;; amdgpu-corpus repo=pytorch/pytorch kind=compiled arch=gfx1100 opt=O3
	.text
	.amdgcn_target "amdgcn-amd-amdhsa--gfx1100"
	.amdhsa_code_object_version 6
	.section	.text._ZN2at6native29vectorized_elementwise_kernelILi16EZNS0_23bitwise_not_kernel_cudaERNS_18TensorIteratorBaseEEUlbE_St5arrayIPcLm2EEEEviT0_T1_,"axG",@progbits,_ZN2at6native29vectorized_elementwise_kernelILi16EZNS0_23bitwise_not_kernel_cudaERNS_18TensorIteratorBaseEEUlbE_St5arrayIPcLm2EEEEviT0_T1_,comdat
	.globl	_ZN2at6native29vectorized_elementwise_kernelILi16EZNS0_23bitwise_not_kernel_cudaERNS_18TensorIteratorBaseEEUlbE_St5arrayIPcLm2EEEEviT0_T1_ ; -- Begin function _ZN2at6native29vectorized_elementwise_kernelILi16EZNS0_23bitwise_not_kernel_cudaERNS_18TensorIteratorBaseEEUlbE_St5arrayIPcLm2EEEEviT0_T1_
	.p2align	8
	.type	_ZN2at6native29vectorized_elementwise_kernelILi16EZNS0_23bitwise_not_kernel_cudaERNS_18TensorIteratorBaseEEUlbE_St5arrayIPcLm2EEEEviT0_T1_,@function
_ZN2at6native29vectorized_elementwise_kernelILi16EZNS0_23bitwise_not_kernel_cudaERNS_18TensorIteratorBaseEEUlbE_St5arrayIPcLm2EEEEviT0_T1_: ; @_ZN2at6native29vectorized_elementwise_kernelILi16EZNS0_23bitwise_not_kernel_cudaERNS_18TensorIteratorBaseEEUlbE_St5arrayIPcLm2EEEEviT0_T1_
; %bb.0:
	s_clause 0x1
	s_load_b32 s2, s[0:1], 0x0
	s_load_b128 s[4:7], s[0:1], 0x8
	s_lshl_b32 s1, s15, 12
	s_mov_b32 s0, -1
	s_waitcnt lgkmcnt(0)
	s_sub_i32 s2, s2, s1
	s_delay_alu instid0(SALU_CYCLE_1)
	s_cmpk_gt_i32 s2, 0xfff
	s_cbranch_scc0 .LBB0_2
; %bb.1:
	v_lshlrev_b32_e32 v5, 4, v0
	s_ashr_i32 s0, s1, 31
	s_add_u32 s8, s6, s1
	s_addc_u32 s9, s7, s0
	global_load_b128 v[1:4], v5, s[8:9]
	s_add_u32 s8, s4, s1
	s_addc_u32 s9, s5, s0
	s_mov_b32 s0, 0
	s_waitcnt vmcnt(0)
	v_and_b32_e32 v6, 0xff, v1
	v_lshrrev_b32_e32 v7, 8, v1
	v_lshrrev_b32_e32 v8, 16, v1
	;; [unrolled: 1-line block ×3, first 2 shown]
	v_and_b32_e32 v9, 0xff, v2
	v_cmp_eq_u16_e32 vcc_lo, 0, v6
	v_lshrrev_b32_e32 v10, 8, v2
	v_lshrrev_b32_e32 v11, 16, v2
	v_lshrrev_b32_e32 v2, 24, v2
	v_and_b32_e32 v12, 0xff, v3
	v_cndmask_b32_e64 v6, 0, 1, vcc_lo
	v_cmp_eq_u16_e32 vcc_lo, 0, v1
	v_lshrrev_b32_e32 v13, 8, v3
	v_lshrrev_b32_e32 v14, 16, v3
	v_lshrrev_b32_e32 v3, 24, v3
	v_and_b32_e32 v15, 0xff, v4
	v_cndmask_b32_e64 v1, 0, 1, vcc_lo
	;; [unrolled: 6-line block ×3, first 2 shown]
	v_cmp_eq_u16_e32 vcc_lo, 0, v2
	v_and_b32_e32 v8, 0xff, v8
	v_and_b32_e32 v10, 0xff, v10
	;; [unrolled: 1-line block ×4, first 2 shown]
	v_cndmask_b32_e64 v2, 0, 1, vcc_lo
	v_cmp_eq_u16_e32 vcc_lo, 0, v12
	v_and_b32_e32 v14, 0xff, v14
	v_and_b32_e32 v16, 0xff, v16
	;; [unrolled: 1-line block ×3, first 2 shown]
	v_lshlrev_b16 v2, 8, v2
	v_cndmask_b32_e64 v12, 0, 1, vcc_lo
	v_cmp_eq_u16_e32 vcc_lo, 0, v3
	v_lshlrev_b16 v1, 8, v1
	v_cndmask_b32_e64 v3, 0, 1, vcc_lo
	v_cmp_eq_u16_e32 vcc_lo, 0, v15
	s_delay_alu instid0(VALU_DEP_2) | instskip(SKIP_4) | instid1(VALU_DEP_2)
	v_lshlrev_b16 v3, 8, v3
	v_cndmask_b32_e64 v15, 0, 1, vcc_lo
	v_cmp_eq_u16_e32 vcc_lo, 0, v4
	v_cndmask_b32_e64 v4, 0, 1, vcc_lo
	v_cmp_eq_u16_e32 vcc_lo, 0, v7
	v_lshlrev_b16 v4, 8, v4
	v_cndmask_b32_e64 v7, 0, 1, vcc_lo
	v_cmp_eq_u16_e32 vcc_lo, 0, v8
	s_delay_alu instid0(VALU_DEP_2) | instskip(SKIP_2) | instid1(VALU_DEP_3)
	v_lshlrev_b16 v7, 8, v7
	v_cndmask_b32_e64 v8, 0, 1, vcc_lo
	v_cmp_eq_u16_e32 vcc_lo, 0, v10
	v_or_b32_e32 v6, v6, v7
	s_delay_alu instid0(VALU_DEP_3) | instskip(SKIP_2) | instid1(VALU_DEP_4)
	v_or_b32_e32 v1, v8, v1
	v_cndmask_b32_e64 v10, 0, 1, vcc_lo
	v_cmp_eq_u16_e32 vcc_lo, 0, v11
	v_and_b32_e32 v6, 0xffff, v6
	s_delay_alu instid0(VALU_DEP_4) | instskip(NEXT) | instid1(VALU_DEP_4)
	v_lshlrev_b32_e32 v1, 16, v1
	v_lshlrev_b16 v10, 8, v10
	v_cndmask_b32_e64 v11, 0, 1, vcc_lo
	v_cmp_eq_u16_e32 vcc_lo, 0, v13
	s_delay_alu instid0(VALU_DEP_4) | instskip(NEXT) | instid1(VALU_DEP_4)
	v_or_b32_e32 v1, v6, v1
	v_or_b32_e32 v9, v9, v10
	s_delay_alu instid0(VALU_DEP_4) | instskip(SKIP_2) | instid1(VALU_DEP_4)
	v_or_b32_e32 v2, v11, v2
	v_cndmask_b32_e64 v13, 0, 1, vcc_lo
	v_cmp_eq_u16_e32 vcc_lo, 0, v14
	v_and_b32_e32 v9, 0xffff, v9
	s_delay_alu instid0(VALU_DEP_4) | instskip(NEXT) | instid1(VALU_DEP_4)
	v_lshlrev_b32_e32 v2, 16, v2
	v_lshlrev_b16 v13, 8, v13
	v_cndmask_b32_e64 v14, 0, 1, vcc_lo
	v_cmp_eq_u16_e32 vcc_lo, 0, v16
	s_delay_alu instid0(VALU_DEP_4) | instskip(NEXT) | instid1(VALU_DEP_4)
	v_or_b32_e32 v2, v9, v2
	v_or_b32_e32 v11, v12, v13
	s_delay_alu instid0(VALU_DEP_4) | instskip(SKIP_2) | instid1(VALU_DEP_3)
	v_or_b32_e32 v3, v14, v3
	v_cndmask_b32_e64 v16, 0, 1, vcc_lo
	v_cmp_eq_u16_e32 vcc_lo, 0, v17
	v_lshlrev_b32_e32 v3, 16, v3
	s_delay_alu instid0(VALU_DEP_3) | instskip(SKIP_1) | instid1(VALU_DEP_2)
	v_lshlrev_b16 v16, 8, v16
	v_cndmask_b32_e64 v17, 0, 1, vcc_lo
	v_or_b32_e32 v8, v15, v16
	s_delay_alu instid0(VALU_DEP_2) | instskip(NEXT) | instid1(VALU_DEP_2)
	v_or_b32_e32 v4, v17, v4
	v_and_b32_e32 v7, 0xffff, v8
	s_delay_alu instid0(VALU_DEP_2) | instskip(SKIP_1) | instid1(VALU_DEP_2)
	v_lshlrev_b32_e32 v4, 16, v4
	v_and_b32_e32 v8, 0xffff, v11
	v_or_b32_e32 v4, v7, v4
	s_delay_alu instid0(VALU_DEP_2)
	v_or_b32_e32 v3, v8, v3
	global_store_b128 v5, v[1:4], s[8:9]
.LBB0_2:
	s_and_not1_b32 vcc_lo, exec_lo, s0
	s_cbranch_vccnz .LBB0_52
; %bb.3:
	v_cmp_gt_i32_e32 vcc_lo, s2, v0
	v_or_b32_e32 v1, s1, v0
	v_or_b32_e32 v2, 0x100, v0
	v_mov_b32_e32 v3, v0
	s_mov_b32 s10, 0
	s_mov_b32 s9, 0
	s_and_saveexec_b32 s3, vcc_lo
	s_cbranch_execz .LBB0_5
; %bb.4:
	global_load_u8 v3, v1, s[6:7]
	s_waitcnt vmcnt(0)
	v_cmp_ne_u16_e64 s0, 0, v3
	v_or_b32_e32 v3, 0x100, v0
	s_delay_alu instid0(VALU_DEP_2)
	s_and_b32 s9, s0, exec_lo
.LBB0_5:
	s_or_b32 exec_lo, exec_lo, s3
	s_delay_alu instid0(SALU_CYCLE_1) | instskip(NEXT) | instid1(VALU_DEP_1)
	s_mov_b32 s3, exec_lo
	v_cmpx_gt_i32_e64 s2, v3
	s_cbranch_execz .LBB0_7
; %bb.6:
	v_add_nc_u32_e32 v4, s1, v3
	v_add_nc_u32_e32 v3, 0x100, v3
	global_load_u8 v4, v4, s[6:7]
	s_waitcnt vmcnt(0)
	v_cmp_ne_u16_e64 s0, 0, v4
	s_delay_alu instid0(VALU_DEP_1)
	s_and_b32 s10, s0, exec_lo
.LBB0_7:
	s_or_b32 exec_lo, exec_lo, s3
	s_mov_b32 s3, 0
	s_mov_b32 s11, 0
	s_mov_b32 s8, exec_lo
	v_cmpx_gt_i32_e64 s2, v3
	s_cbranch_execz .LBB0_9
; %bb.8:
	v_add_nc_u32_e32 v4, s1, v3
	v_add_nc_u32_e32 v3, 0x100, v3
	global_load_u8 v4, v4, s[6:7]
	s_waitcnt vmcnt(0)
	v_cmp_ne_u16_e64 s0, 0, v4
	s_delay_alu instid0(VALU_DEP_1)
	s_and_b32 s11, s0, exec_lo
.LBB0_9:
	s_or_b32 exec_lo, exec_lo, s8
	s_delay_alu instid0(SALU_CYCLE_1)
	s_mov_b32 s8, exec_lo
	v_cmpx_gt_i32_e64 s2, v3
	s_cbranch_execz .LBB0_11
; %bb.10:
	v_add_nc_u32_e32 v4, s1, v3
	v_add_nc_u32_e32 v3, 0x100, v3
	global_load_u8 v4, v4, s[6:7]
	s_waitcnt vmcnt(0)
	v_cmp_ne_u16_e64 s0, 0, v4
	s_delay_alu instid0(VALU_DEP_1)
	s_and_b32 s3, s0, exec_lo
.LBB0_11:
	s_or_b32 exec_lo, exec_lo, s8
	s_mov_b32 s14, 0
	s_mov_b32 s17, 0
	s_mov_b32 s8, exec_lo
	v_cmpx_gt_i32_e64 s2, v3
	s_cbranch_execz .LBB0_13
; %bb.12:
	v_add_nc_u32_e32 v4, s1, v3
	v_add_nc_u32_e32 v3, 0x100, v3
	global_load_u8 v4, v4, s[6:7]
	s_waitcnt vmcnt(0)
	v_cmp_ne_u16_e64 s0, 0, v4
	s_delay_alu instid0(VALU_DEP_1)
	s_and_b32 s17, s0, exec_lo
.LBB0_13:
	s_or_b32 exec_lo, exec_lo, s8
	s_delay_alu instid0(SALU_CYCLE_1)
	;; [unrolled: 29-line block ×7, first 2 shown]
	s_mov_b32 s23, exec_lo
	v_cmpx_gt_i32_e64 s2, v3
	s_cbranch_execz .LBB0_35
; %bb.34:
	v_add_nc_u32_e32 v3, s1, v3
	global_load_u8 v3, v3, s[6:7]
	s_waitcnt vmcnt(0)
	v_cmp_ne_u16_e64 s0, 0, v3
	s_delay_alu instid0(VALU_DEP_1)
	s_and_b32 s19, s0, exec_lo
.LBB0_35:
	s_or_b32 exec_lo, exec_lo, s23
	s_xor_b32 s0, s10, -1
	v_or_b32_e32 v6, 0x400, v0
	v_cndmask_b32_e64 v3, 0, 1, s0
	s_xor_b32 s0, s9, -1
	s_delay_alu instid0(SALU_CYCLE_1) | instskip(SKIP_1) | instid1(VALU_DEP_2)
	v_cndmask_b32_e64 v4, 0, 1, s0
	s_xor_b32 s0, s17, -1
	v_lshlrev_b16 v3, 8, v3
	v_cndmask_b32_e64 v5, 0, 1, s0
	s_xor_b32 s0, s14, -1
	s_delay_alu instid0(SALU_CYCLE_1) | instskip(SKIP_1) | instid1(VALU_DEP_3)
	v_cndmask_b32_e64 v7, 0, 1, s0
	v_cmp_gt_i32_e64 s0, s2, v6
	v_and_b32_e32 v5, 0xffff, v5
	v_or_b32_e32 v3, v4, v3
	s_delay_alu instid0(VALU_DEP_4) | instskip(NEXT) | instid1(VALU_DEP_3)
	v_lshlrev_b16 v6, 8, v7
	v_cndmask_b32_e64 v5, 0, v5, s0
	s_xor_b32 s0, s11, -1
	s_delay_alu instid0(VALU_DEP_3) | instskip(SKIP_3) | instid1(VALU_DEP_2)
	v_and_b32_e32 v3, 0xffff, v3
	v_cndmask_b32_e64 v8, 0, 1, s0
	v_cmp_gt_i32_e64 s0, s2, v2
	v_and_b32_e32 v7, 0xff, v5
	v_cndmask_b32_e64 v3, v4, v3, s0
	s_delay_alu instid0(VALU_DEP_2)
	v_or_b32_e32 v4, v7, v6
	v_or_b32_e32 v6, 0x200, v0
	s_xor_b32 s0, s21, -1
	v_or_b32_e32 v7, 0x500, v0
	v_lshl_or_b32 v8, v8, 16, v3
	v_cndmask_b32_e64 v9, 0, 1, s0
	v_cmp_gt_i32_e64 s0, s2, v6
	v_and_b32_e32 v4, 0xffff, v4
	s_delay_alu instid0(VALU_DEP_3) | instskip(NEXT) | instid1(VALU_DEP_3)
	v_and_b32_e32 v6, 0xffff, v9
	v_cndmask_b32_e64 v3, v3, v8, s0
	v_cmp_gt_i32_e64 s0, s2, v7
	s_delay_alu instid0(VALU_DEP_2) | instskip(NEXT) | instid1(VALU_DEP_2)
	v_lshrrev_b32_e32 v7, 16, v3
	v_cndmask_b32_e64 v4, v5, v4, s0
	v_or_b32_e32 v5, 0xc00, v0
	s_delay_alu instid0(VALU_DEP_3) | instskip(NEXT) | instid1(VALU_DEP_3)
	v_and_b32_e32 v7, 0xff, v7
	v_lshrrev_b32_e32 v8, 16, v4
	s_delay_alu instid0(VALU_DEP_3) | instskip(NEXT) | instid1(VALU_DEP_2)
	v_cmp_gt_i32_e64 s0, s2, v5
	v_and_b32_e32 v8, 0xffffff00, v8
	s_delay_alu instid0(VALU_DEP_2) | instskip(SKIP_1) | instid1(SALU_CYCLE_1)
	v_cndmask_b32_e64 v5, 0, v6, s0
	s_xor_b32 s0, s20, -1
	v_cndmask_b32_e64 v6, 0, 1, s0
	s_xor_b32 s0, s3, -1
	s_delay_alu instid0(VALU_DEP_2)
	v_and_b32_e32 v10, 0xff, v5
	v_cndmask_b32_e64 v9, 0, 1, s0
	s_xor_b32 s0, s12, -1
	v_lshlrev_b16 v6, 8, v6
	v_cndmask_b32_e64 v11, 0, 1, s0
	s_xor_b32 s0, s15, -1
	v_lshlrev_b16 v9, 8, v9
	s_delay_alu instid0(VALU_DEP_3) | instskip(NEXT) | instid1(VALU_DEP_3)
	v_or_b32_e32 v6, v10, v6
	v_or_b32_e32 v8, v11, v8
	v_cndmask_b32_e64 v10, 0, 1, s0
	v_or_b32_e32 v11, 0xd00, v0
	s_xor_b32 s0, s13, -1
	v_and_b32_e32 v6, 0xffff, v6
	v_cndmask_b32_e64 v12, 0, 1, s0
	v_lshlrev_b16 v10, 8, v10
	v_cmp_gt_i32_e64 s0, s2, v11
	v_or_b32_e32 v11, 0x900, v0
	v_or_b32_e32 v7, v7, v9
	s_delay_alu instid0(VALU_DEP_3)
	v_cndmask_b32_e64 v5, v5, v6, s0
	v_lshlrev_b32_e32 v6, 16, v8
	v_or_b32_e32 v8, v12, v10
	v_or_b32_e32 v10, 0x600, v0
	s_xor_b32 s0, s22, -1
	v_lshrrev_b32_e32 v9, 16, v5
	v_and_or_b32 v6, 0xffff, v4, v6
	v_cndmask_b32_e64 v13, 0, 1, s0
	v_cmp_gt_i32_e64 s0, s2, v10
	v_and_b32_e32 v8, 0xffff, v8
	v_and_b32_e32 v9, 0xffffff00, v9
	v_lshlrev_b32_e32 v7, 16, v7
	s_delay_alu instid0(VALU_DEP_4) | instskip(SKIP_2) | instid1(VALU_DEP_4)
	v_cndmask_b32_e64 v4, v4, v6, s0
	v_cmp_gt_i32_e64 s0, s2, v11
	v_or_b32_e32 v11, 0xa00, v0
	v_and_or_b32 v7, 0xffff, v3, v7
	s_delay_alu instid0(VALU_DEP_4) | instskip(NEXT) | instid1(VALU_DEP_4)
	v_lshrrev_b32_e32 v10, 16, v4
	v_cndmask_b32_e64 v6, v12, v8, s0
	s_xor_b32 s0, s18, -1
	v_or_b32_e32 v8, v13, v9
	v_cndmask_b32_e64 v9, 0, 1, s0
	s_xor_b32 s0, s8, -1
	v_or_b32_e32 v13, 0xe00, v0
	v_cndmask_b32_e64 v12, 0, 1, s0
	v_lshlrev_b32_e32 v8, 16, v8
	v_lshl_or_b32 v9, v9, 16, v6
	v_cmp_gt_i32_e64 s0, s2, v11
	s_delay_alu instid0(VALU_DEP_3) | instskip(NEXT) | instid1(VALU_DEP_2)
	v_and_or_b32 v8, 0xffff, v5, v8
	v_cndmask_b32_e64 v9, v6, v9, s0
	v_cmp_gt_i32_e64 s0, s2, v13
	v_and_b32_e32 v6, 0xff, v10
	s_delay_alu instid0(VALU_DEP_3) | instskip(NEXT) | instid1(VALU_DEP_3)
	v_lshrrev_b32_e32 v10, 16, v9
	v_cndmask_b32_e64 v8, v5, v8, s0
	s_xor_b32 s0, s16, -1
	v_lshlrev_b16 v5, 8, v12
	v_cndmask_b32_e64 v11, 0, 1, s0
	s_xor_b32 s0, s19, -1
	v_lshrrev_b32_e32 v12, 16, v8
	v_cndmask_b32_e64 v13, 0, 1, s0
	v_or_b32_e32 v5, v6, v5
	v_and_b32_e32 v6, 0xff, v10
	v_lshlrev_b16 v10, 8, v11
	v_and_b32_e32 v11, 0xff, v12
	v_lshlrev_b16 v12, 8, v13
	v_or_b32_e32 v13, 0x300, v0
	v_lshlrev_b32_e32 v5, 16, v5
	v_or_b32_e32 v10, v6, v10
	s_delay_alu instid0(VALU_DEP_4) | instskip(NEXT) | instid1(VALU_DEP_4)
	v_or_b32_e32 v11, v11, v12
	v_cmp_gt_i32_e64 s0, s2, v13
	s_delay_alu instid0(VALU_DEP_4) | instskip(SKIP_1) | instid1(VALU_DEP_3)
	v_and_or_b32 v5, 0xffff, v4, v5
	v_or_b32_e32 v12, 0xf00, v0
	v_cndmask_b32_e64 v6, v3, v7, s0
	v_or_b32_e32 v7, 0x700, v0
	v_lshlrev_b32_e32 v3, 16, v10
	v_lshlrev_b32_e32 v10, 16, v11
	v_or_b32_e32 v11, 0xb00, v0
	s_delay_alu instid0(VALU_DEP_4) | instskip(NEXT) | instid1(VALU_DEP_4)
	v_cmp_gt_i32_e64 s0, s2, v7
	v_and_or_b32 v3, 0xffff, v9, v3
	s_delay_alu instid0(VALU_DEP_4) | instskip(NEXT) | instid1(VALU_DEP_3)
	v_and_or_b32 v10, 0xffff, v8, v10
	v_cndmask_b32_e64 v5, v4, v5, s0
	v_cmp_gt_i32_e64 s0, s2, v11
	s_delay_alu instid0(VALU_DEP_1) | instskip(SKIP_1) | instid1(VALU_DEP_1)
	v_cndmask_b32_e64 v4, v9, v3, s0
	v_cmp_gt_i32_e64 s0, s2, v12
	v_cndmask_b32_e64 v3, v8, v10, s0
	s_and_saveexec_b32 s0, vcc_lo
	s_cbranch_execnz .LBB0_53
; %bb.36:
	s_or_b32 exec_lo, exec_lo, s0
	s_delay_alu instid0(SALU_CYCLE_1)
	s_mov_b32 s0, exec_lo
	v_cmpx_gt_i32_e64 s2, v0
	s_cbranch_execnz .LBB0_54
.LBB0_37:
	s_or_b32 exec_lo, exec_lo, s0
	s_delay_alu instid0(SALU_CYCLE_1)
	s_mov_b32 s0, exec_lo
	v_cmpx_gt_i32_e64 s2, v0
	s_cbranch_execnz .LBB0_55
.LBB0_38:
	s_or_b32 exec_lo, exec_lo, s0
	s_delay_alu instid0(SALU_CYCLE_1)
	s_mov_b32 s0, exec_lo
	v_cmpx_gt_i32_e64 s2, v0
	s_cbranch_execnz .LBB0_56
.LBB0_39:
	s_or_b32 exec_lo, exec_lo, s0
	s_delay_alu instid0(SALU_CYCLE_1)
	s_mov_b32 s0, exec_lo
	v_cmpx_gt_i32_e64 s2, v0
	s_cbranch_execnz .LBB0_57
.LBB0_40:
	s_or_b32 exec_lo, exec_lo, s0
	s_delay_alu instid0(SALU_CYCLE_1)
	s_mov_b32 s0, exec_lo
	v_cmpx_gt_i32_e64 s2, v0
	s_cbranch_execnz .LBB0_58
.LBB0_41:
	s_or_b32 exec_lo, exec_lo, s0
	s_delay_alu instid0(SALU_CYCLE_1)
	s_mov_b32 s0, exec_lo
	v_cmpx_gt_i32_e64 s2, v0
	s_cbranch_execnz .LBB0_59
.LBB0_42:
	s_or_b32 exec_lo, exec_lo, s0
	s_delay_alu instid0(SALU_CYCLE_1)
	s_mov_b32 s0, exec_lo
	v_cmpx_gt_i32_e64 s2, v0
	s_cbranch_execnz .LBB0_60
.LBB0_43:
	s_or_b32 exec_lo, exec_lo, s0
	s_delay_alu instid0(SALU_CYCLE_1)
	s_mov_b32 s0, exec_lo
	v_cmpx_gt_i32_e64 s2, v0
	s_cbranch_execnz .LBB0_61
.LBB0_44:
	s_or_b32 exec_lo, exec_lo, s0
	s_delay_alu instid0(SALU_CYCLE_1)
	s_mov_b32 s0, exec_lo
	v_cmpx_gt_i32_e64 s2, v0
	s_cbranch_execnz .LBB0_62
.LBB0_45:
	s_or_b32 exec_lo, exec_lo, s0
	s_delay_alu instid0(SALU_CYCLE_1)
	s_mov_b32 s0, exec_lo
	v_cmpx_gt_i32_e64 s2, v0
	s_cbranch_execnz .LBB0_63
.LBB0_46:
	s_or_b32 exec_lo, exec_lo, s0
	s_delay_alu instid0(SALU_CYCLE_1)
	s_mov_b32 s0, exec_lo
	v_cmpx_gt_i32_e64 s2, v0
	s_cbranch_execnz .LBB0_64
.LBB0_47:
	s_or_b32 exec_lo, exec_lo, s0
	s_delay_alu instid0(SALU_CYCLE_1)
	s_mov_b32 s0, exec_lo
	v_cmpx_gt_i32_e64 s2, v0
	s_cbranch_execnz .LBB0_65
.LBB0_48:
	s_or_b32 exec_lo, exec_lo, s0
	s_delay_alu instid0(SALU_CYCLE_1)
	s_mov_b32 s0, exec_lo
	v_cmpx_gt_i32_e64 s2, v0
	s_cbranch_execnz .LBB0_66
.LBB0_49:
	s_or_b32 exec_lo, exec_lo, s0
	s_delay_alu instid0(SALU_CYCLE_1)
	s_mov_b32 s0, exec_lo
	v_cmpx_gt_i32_e64 s2, v0
	s_cbranch_execnz .LBB0_67
.LBB0_50:
	s_or_b32 exec_lo, exec_lo, s0
	s_delay_alu instid0(SALU_CYCLE_1)
	s_mov_b32 s0, exec_lo
	v_cmpx_gt_i32_e64 s2, v0
	s_cbranch_execz .LBB0_52
.LBB0_51:
	v_lshrrev_b32_e32 v1, 24, v3
	v_add_nc_u32_e32 v0, s1, v0
	global_store_b8 v0, v1, s[4:5]
.LBB0_52:
	s_nop 0
	s_sendmsg sendmsg(MSG_DEALLOC_VGPRS)
	s_endpgm
.LBB0_53:
	v_mov_b32_e32 v0, v2
	global_store_b8 v1, v6, s[4:5]
	s_or_b32 exec_lo, exec_lo, s0
	s_delay_alu instid0(SALU_CYCLE_1)
	s_mov_b32 s0, exec_lo
	v_cmpx_gt_i32_e64 s2, v0
	s_cbranch_execz .LBB0_37
.LBB0_54:
	v_lshrrev_b32_e32 v1, 8, v6
	v_add_nc_u32_e32 v2, s1, v0
	v_add_nc_u32_e32 v0, 0x100, v0
	global_store_b8 v2, v1, s[4:5]
	s_or_b32 exec_lo, exec_lo, s0
	s_delay_alu instid0(SALU_CYCLE_1)
	s_mov_b32 s0, exec_lo
	v_cmpx_gt_i32_e64 s2, v0
	s_cbranch_execz .LBB0_38
.LBB0_55:
	v_add_nc_u32_e32 v1, s1, v0
	v_add_nc_u32_e32 v0, 0x100, v0
	global_store_d16_hi_b8 v1, v6, s[4:5]
	s_or_b32 exec_lo, exec_lo, s0
	s_delay_alu instid0(SALU_CYCLE_1)
	s_mov_b32 s0, exec_lo
	v_cmpx_gt_i32_e64 s2, v0
	s_cbranch_execz .LBB0_39
.LBB0_56:
	v_lshrrev_b32_e32 v1, 24, v6
	v_add_nc_u32_e32 v2, s1, v0
	v_add_nc_u32_e32 v0, 0x100, v0
	global_store_b8 v2, v1, s[4:5]
	s_or_b32 exec_lo, exec_lo, s0
	s_delay_alu instid0(SALU_CYCLE_1)
	s_mov_b32 s0, exec_lo
	v_cmpx_gt_i32_e64 s2, v0
	s_cbranch_execz .LBB0_40
.LBB0_57:
	v_add_nc_u32_e32 v1, s1, v0
	v_add_nc_u32_e32 v0, 0x100, v0
	global_store_b8 v1, v5, s[4:5]
	s_or_b32 exec_lo, exec_lo, s0
	s_delay_alu instid0(SALU_CYCLE_1)
	s_mov_b32 s0, exec_lo
	v_cmpx_gt_i32_e64 s2, v0
	s_cbranch_execz .LBB0_41
.LBB0_58:
	v_lshrrev_b32_e32 v1, 8, v5
	v_add_nc_u32_e32 v2, s1, v0
	v_add_nc_u32_e32 v0, 0x100, v0
	global_store_b8 v2, v1, s[4:5]
	s_or_b32 exec_lo, exec_lo, s0
	s_delay_alu instid0(SALU_CYCLE_1)
	s_mov_b32 s0, exec_lo
	v_cmpx_gt_i32_e64 s2, v0
	s_cbranch_execz .LBB0_42
.LBB0_59:
	v_add_nc_u32_e32 v1, s1, v0
	v_add_nc_u32_e32 v0, 0x100, v0
	global_store_d16_hi_b8 v1, v5, s[4:5]
	s_or_b32 exec_lo, exec_lo, s0
	s_delay_alu instid0(SALU_CYCLE_1)
	s_mov_b32 s0, exec_lo
	v_cmpx_gt_i32_e64 s2, v0
	s_cbranch_execz .LBB0_43
.LBB0_60:
	v_lshrrev_b32_e32 v1, 24, v5
	v_add_nc_u32_e32 v2, s1, v0
	v_add_nc_u32_e32 v0, 0x100, v0
	global_store_b8 v2, v1, s[4:5]
	s_or_b32 exec_lo, exec_lo, s0
	s_delay_alu instid0(SALU_CYCLE_1)
	s_mov_b32 s0, exec_lo
	v_cmpx_gt_i32_e64 s2, v0
	s_cbranch_execz .LBB0_44
.LBB0_61:
	v_add_nc_u32_e32 v1, s1, v0
	v_add_nc_u32_e32 v0, 0x100, v0
	global_store_b8 v1, v4, s[4:5]
	s_or_b32 exec_lo, exec_lo, s0
	s_delay_alu instid0(SALU_CYCLE_1)
	s_mov_b32 s0, exec_lo
	v_cmpx_gt_i32_e64 s2, v0
	s_cbranch_execz .LBB0_45
.LBB0_62:
	v_lshrrev_b32_e32 v1, 8, v4
	v_add_nc_u32_e32 v2, s1, v0
	v_add_nc_u32_e32 v0, 0x100, v0
	global_store_b8 v2, v1, s[4:5]
	s_or_b32 exec_lo, exec_lo, s0
	s_delay_alu instid0(SALU_CYCLE_1)
	s_mov_b32 s0, exec_lo
	v_cmpx_gt_i32_e64 s2, v0
	s_cbranch_execz .LBB0_46
.LBB0_63:
	v_add_nc_u32_e32 v1, s1, v0
	v_add_nc_u32_e32 v0, 0x100, v0
	global_store_d16_hi_b8 v1, v4, s[4:5]
	s_or_b32 exec_lo, exec_lo, s0
	s_delay_alu instid0(SALU_CYCLE_1)
	s_mov_b32 s0, exec_lo
	v_cmpx_gt_i32_e64 s2, v0
	s_cbranch_execz .LBB0_47
.LBB0_64:
	v_lshrrev_b32_e32 v1, 24, v4
	v_add_nc_u32_e32 v2, s1, v0
	v_add_nc_u32_e32 v0, 0x100, v0
	global_store_b8 v2, v1, s[4:5]
	s_or_b32 exec_lo, exec_lo, s0
	s_delay_alu instid0(SALU_CYCLE_1)
	s_mov_b32 s0, exec_lo
	v_cmpx_gt_i32_e64 s2, v0
	s_cbranch_execz .LBB0_48
.LBB0_65:
	v_add_nc_u32_e32 v1, s1, v0
	v_add_nc_u32_e32 v0, 0x100, v0
	global_store_b8 v1, v3, s[4:5]
	s_or_b32 exec_lo, exec_lo, s0
	s_delay_alu instid0(SALU_CYCLE_1)
	s_mov_b32 s0, exec_lo
	v_cmpx_gt_i32_e64 s2, v0
	s_cbranch_execz .LBB0_49
.LBB0_66:
	v_lshrrev_b32_e32 v1, 8, v3
	v_add_nc_u32_e32 v2, s1, v0
	v_add_nc_u32_e32 v0, 0x100, v0
	global_store_b8 v2, v1, s[4:5]
	s_or_b32 exec_lo, exec_lo, s0
	s_delay_alu instid0(SALU_CYCLE_1)
	s_mov_b32 s0, exec_lo
	v_cmpx_gt_i32_e64 s2, v0
	s_cbranch_execz .LBB0_50
.LBB0_67:
	v_add_nc_u32_e32 v1, s1, v0
	v_add_nc_u32_e32 v0, 0x100, v0
	global_store_d16_hi_b8 v1, v3, s[4:5]
	s_or_b32 exec_lo, exec_lo, s0
	s_delay_alu instid0(SALU_CYCLE_1)
	s_mov_b32 s0, exec_lo
	v_cmpx_gt_i32_e64 s2, v0
	s_cbranch_execnz .LBB0_51
	s_branch .LBB0_52
	.section	.rodata,"a",@progbits
	.p2align	6, 0x0
	.amdhsa_kernel _ZN2at6native29vectorized_elementwise_kernelILi16EZNS0_23bitwise_not_kernel_cudaERNS_18TensorIteratorBaseEEUlbE_St5arrayIPcLm2EEEEviT0_T1_
		.amdhsa_group_segment_fixed_size 0
		.amdhsa_private_segment_fixed_size 0
		.amdhsa_kernarg_size 24
		.amdhsa_user_sgpr_count 15
		.amdhsa_user_sgpr_dispatch_ptr 0
		.amdhsa_user_sgpr_queue_ptr 0
		.amdhsa_user_sgpr_kernarg_segment_ptr 1
		.amdhsa_user_sgpr_dispatch_id 0
		.amdhsa_user_sgpr_private_segment_size 0
		.amdhsa_wavefront_size32 1
		.amdhsa_uses_dynamic_stack 0
		.amdhsa_enable_private_segment 0
		.amdhsa_system_sgpr_workgroup_id_x 1
		.amdhsa_system_sgpr_workgroup_id_y 0
		.amdhsa_system_sgpr_workgroup_id_z 0
		.amdhsa_system_sgpr_workgroup_info 0
		.amdhsa_system_vgpr_workitem_id 0
		.amdhsa_next_free_vgpr 18
		.amdhsa_next_free_sgpr 24
		.amdhsa_reserve_vcc 1
		.amdhsa_float_round_mode_32 0
		.amdhsa_float_round_mode_16_64 0
		.amdhsa_float_denorm_mode_32 3
		.amdhsa_float_denorm_mode_16_64 3
		.amdhsa_dx10_clamp 1
		.amdhsa_ieee_mode 1
		.amdhsa_fp16_overflow 0
		.amdhsa_workgroup_processor_mode 1
		.amdhsa_memory_ordered 1
		.amdhsa_forward_progress 0
		.amdhsa_shared_vgpr_count 0
		.amdhsa_exception_fp_ieee_invalid_op 0
		.amdhsa_exception_fp_denorm_src 0
		.amdhsa_exception_fp_ieee_div_zero 0
		.amdhsa_exception_fp_ieee_overflow 0
		.amdhsa_exception_fp_ieee_underflow 0
		.amdhsa_exception_fp_ieee_inexact 0
		.amdhsa_exception_int_div_zero 0
	.end_amdhsa_kernel
	.section	.text._ZN2at6native29vectorized_elementwise_kernelILi16EZNS0_23bitwise_not_kernel_cudaERNS_18TensorIteratorBaseEEUlbE_St5arrayIPcLm2EEEEviT0_T1_,"axG",@progbits,_ZN2at6native29vectorized_elementwise_kernelILi16EZNS0_23bitwise_not_kernel_cudaERNS_18TensorIteratorBaseEEUlbE_St5arrayIPcLm2EEEEviT0_T1_,comdat
.Lfunc_end0:
	.size	_ZN2at6native29vectorized_elementwise_kernelILi16EZNS0_23bitwise_not_kernel_cudaERNS_18TensorIteratorBaseEEUlbE_St5arrayIPcLm2EEEEviT0_T1_, .Lfunc_end0-_ZN2at6native29vectorized_elementwise_kernelILi16EZNS0_23bitwise_not_kernel_cudaERNS_18TensorIteratorBaseEEUlbE_St5arrayIPcLm2EEEEviT0_T1_
                                        ; -- End function
	.section	.AMDGPU.csdata,"",@progbits
; Kernel info:
; codeLenInByte = 3748
; NumSgprs: 26
; NumVgprs: 18
; ScratchSize: 0
; MemoryBound: 0
; FloatMode: 240
; IeeeMode: 1
; LDSByteSize: 0 bytes/workgroup (compile time only)
; SGPRBlocks: 3
; VGPRBlocks: 2
; NumSGPRsForWavesPerEU: 26
; NumVGPRsForWavesPerEU: 18
; Occupancy: 16
; WaveLimiterHint : 0
; COMPUTE_PGM_RSRC2:SCRATCH_EN: 0
; COMPUTE_PGM_RSRC2:USER_SGPR: 15
; COMPUTE_PGM_RSRC2:TRAP_HANDLER: 0
; COMPUTE_PGM_RSRC2:TGID_X_EN: 1
; COMPUTE_PGM_RSRC2:TGID_Y_EN: 0
; COMPUTE_PGM_RSRC2:TGID_Z_EN: 0
; COMPUTE_PGM_RSRC2:TIDIG_COMP_CNT: 0
	.section	.text._ZN2at6native29vectorized_elementwise_kernelILi8EZNS0_23bitwise_not_kernel_cudaERNS_18TensorIteratorBaseEEUlbE_St5arrayIPcLm2EEEEviT0_T1_,"axG",@progbits,_ZN2at6native29vectorized_elementwise_kernelILi8EZNS0_23bitwise_not_kernel_cudaERNS_18TensorIteratorBaseEEUlbE_St5arrayIPcLm2EEEEviT0_T1_,comdat
	.globl	_ZN2at6native29vectorized_elementwise_kernelILi8EZNS0_23bitwise_not_kernel_cudaERNS_18TensorIteratorBaseEEUlbE_St5arrayIPcLm2EEEEviT0_T1_ ; -- Begin function _ZN2at6native29vectorized_elementwise_kernelILi8EZNS0_23bitwise_not_kernel_cudaERNS_18TensorIteratorBaseEEUlbE_St5arrayIPcLm2EEEEviT0_T1_
	.p2align	8
	.type	_ZN2at6native29vectorized_elementwise_kernelILi8EZNS0_23bitwise_not_kernel_cudaERNS_18TensorIteratorBaseEEUlbE_St5arrayIPcLm2EEEEviT0_T1_,@function
_ZN2at6native29vectorized_elementwise_kernelILi8EZNS0_23bitwise_not_kernel_cudaERNS_18TensorIteratorBaseEEUlbE_St5arrayIPcLm2EEEEviT0_T1_: ; @_ZN2at6native29vectorized_elementwise_kernelILi8EZNS0_23bitwise_not_kernel_cudaERNS_18TensorIteratorBaseEEUlbE_St5arrayIPcLm2EEEEviT0_T1_
; %bb.0:
	s_clause 0x1
	s_load_b32 s2, s[0:1], 0x0
	s_load_b128 s[4:7], s[0:1], 0x8
	s_lshl_b32 s1, s15, 12
	s_mov_b32 s0, -1
	s_waitcnt lgkmcnt(0)
	s_sub_i32 s2, s2, s1
	s_delay_alu instid0(SALU_CYCLE_1)
	s_cmpk_gt_i32 s2, 0xfff
	s_cbranch_scc0 .LBB1_2
; %bb.1:
	v_lshlrev_b32_e32 v5, 3, v0
	s_ashr_i32 s0, s1, 31
	s_add_u32 s8, s6, s1
	s_addc_u32 s9, s7, s0
	s_clause 0x1
	global_load_b64 v[1:2], v5, s[8:9]
	global_load_b64 v[3:4], v5, s[8:9] offset:2048
	s_add_u32 s8, s4, s1
	s_addc_u32 s9, s5, s0
	s_mov_b32 s0, 0
	s_waitcnt vmcnt(1)
	v_cmp_gt_u32_e32 vcc_lo, 0x1000000, v2
	v_and_b32_e32 v9, 0xff, v2
	v_and_b32_e32 v10, 0xff00, v2
	;; [unrolled: 1-line block ×4, first 2 shown]
	v_cndmask_b32_e64 v2, 0, 1, vcc_lo
	v_cmp_gt_u32_e32 vcc_lo, 0x1000000, v1
	v_and_b32_e32 v7, 0xff00, v1
	v_and_b32_e32 v8, 0xff0000, v1
	s_waitcnt vmcnt(0)
	v_and_b32_e32 v15, 0xff, v4
	v_and_b32_e32 v16, 0xff00, v4
	v_cndmask_b32_e64 v1, 0, 1, vcc_lo
	v_cmp_gt_u32_e32 vcc_lo, 0x1000000, v4
	v_and_b32_e32 v17, 0xff0000, v4
	v_and_b32_e32 v12, 0xff, v3
	;; [unrolled: 1-line block ×4, first 2 shown]
	v_cndmask_b32_e64 v4, 0, 1, vcc_lo
	v_cmp_gt_u32_e32 vcc_lo, 0x1000000, v3
	v_lshlrev_b32_e32 v1, 24, v1
	v_lshlrev_b32_e32 v2, 24, v2
	s_delay_alu instid0(VALU_DEP_4) | instskip(SKIP_2) | instid1(VALU_DEP_2)
	v_lshlrev_b32_e32 v4, 24, v4
	v_cndmask_b32_e64 v3, 0, 1, vcc_lo
	v_cmp_eq_u32_e32 vcc_lo, 0, v11
	v_lshlrev_b32_e32 v3, 24, v3
	v_cndmask_b32_e64 v11, 0, 1, vcc_lo
	v_cmp_eq_u32_e32 vcc_lo, 0, v10
	s_delay_alu instid0(VALU_DEP_2) | instskip(SKIP_2) | instid1(VALU_DEP_3)
	v_lshlrev_b32_e32 v11, 16, v11
	v_cndmask_b32_e64 v10, 0, 1, vcc_lo
	v_cmp_eq_u32_e32 vcc_lo, 0, v9
	v_or3_b32 v2, v2, 0, v11
	s_delay_alu instid0(VALU_DEP_3) | instskip(SKIP_2) | instid1(VALU_DEP_2)
	v_lshlrev_b32_e32 v10, 8, v10
	v_cndmask_b32_e64 v9, 0, 1, vcc_lo
	v_cmp_eq_u32_e32 vcc_lo, 0, v8
	v_or3_b32 v2, v2, v10, v9
	v_cndmask_b32_e64 v8, 0, 1, vcc_lo
	v_cmp_eq_u32_e32 vcc_lo, 0, v7
	s_delay_alu instid0(VALU_DEP_2) | instskip(SKIP_2) | instid1(VALU_DEP_2)
	v_lshlrev_b32_e32 v8, 16, v8
	v_cndmask_b32_e64 v7, 0, 1, vcc_lo
	v_cmp_eq_u32_e32 vcc_lo, 0, v6
	v_lshlrev_b32_e32 v7, 8, v7
	v_cndmask_b32_e64 v6, 0, 1, vcc_lo
	v_cmp_eq_u32_e32 vcc_lo, 0, v17
	s_delay_alu instid0(VALU_DEP_3) | instskip(SKIP_2) | instid1(VALU_DEP_3)
	v_or3_b32 v1, v1, v8, v7
	v_cndmask_b32_e64 v17, 0, 1, vcc_lo
	v_cmp_eq_u32_e32 vcc_lo, 0, v16
	v_or3_b32 v1, v1, v6, 0
	s_delay_alu instid0(VALU_DEP_3) | instskip(SKIP_2) | instid1(VALU_DEP_4)
	v_lshlrev_b32_e32 v17, 16, v17
	v_cndmask_b32_e64 v16, 0, 1, vcc_lo
	v_cmp_eq_u32_e32 vcc_lo, 0, v15
	v_or3_b32 v1, v1, 0, 0
	s_delay_alu instid0(VALU_DEP_4) | instskip(NEXT) | instid1(VALU_DEP_4)
	v_or3_b32 v4, v4, 0, v17
	v_lshlrev_b32_e32 v7, 8, v16
	v_cndmask_b32_e64 v15, 0, 1, vcc_lo
	v_cmp_eq_u32_e32 vcc_lo, 0, v14
	s_delay_alu instid0(VALU_DEP_2) | instskip(SKIP_2) | instid1(VALU_DEP_2)
	v_or3_b32 v4, v4, v7, v15
	v_cndmask_b32_e64 v14, 0, 1, vcc_lo
	v_cmp_eq_u32_e32 vcc_lo, 0, v13
	v_lshlrev_b32_e32 v14, 16, v14
	v_cndmask_b32_e64 v13, 0, 1, vcc_lo
	v_cmp_eq_u32_e32 vcc_lo, 0, v12
	s_delay_alu instid0(VALU_DEP_2) | instskip(SKIP_1) | instid1(VALU_DEP_2)
	v_lshlrev_b32_e32 v13, 8, v13
	v_cndmask_b32_e64 v12, 0, 1, vcc_lo
	v_or3_b32 v3, v3, v14, v13
	s_delay_alu instid0(VALU_DEP_1) | instskip(NEXT) | instid1(VALU_DEP_1)
	v_or3_b32 v3, v3, v12, 0
	v_or3_b32 v3, v3, 0, 0
	s_clause 0x1
	global_store_b64 v5, v[1:2], s[8:9]
	global_store_b64 v5, v[3:4], s[8:9] offset:2048
.LBB1_2:
	s_and_not1_b32 vcc_lo, exec_lo, s0
	s_cbranch_vccnz .LBB1_52
; %bb.3:
	v_cmp_gt_i32_e32 vcc_lo, s2, v0
	v_or_b32_e32 v1, s1, v0
	v_or_b32_e32 v2, 0x100, v0
	v_mov_b32_e32 v3, v0
	s_mov_b32 s10, 0
	s_mov_b32 s9, 0
	s_and_saveexec_b32 s3, vcc_lo
	s_cbranch_execz .LBB1_5
; %bb.4:
	global_load_u8 v3, v1, s[6:7]
	s_waitcnt vmcnt(0)
	v_cmp_ne_u16_e64 s0, 0, v3
	v_or_b32_e32 v3, 0x100, v0
	s_delay_alu instid0(VALU_DEP_2)
	s_and_b32 s9, s0, exec_lo
.LBB1_5:
	s_or_b32 exec_lo, exec_lo, s3
	s_delay_alu instid0(SALU_CYCLE_1) | instskip(NEXT) | instid1(VALU_DEP_1)
	s_mov_b32 s3, exec_lo
	v_cmpx_gt_i32_e64 s2, v3
	s_cbranch_execz .LBB1_7
; %bb.6:
	v_add_nc_u32_e32 v4, s1, v3
	v_add_nc_u32_e32 v3, 0x100, v3
	global_load_u8 v4, v4, s[6:7]
	s_waitcnt vmcnt(0)
	v_cmp_ne_u16_e64 s0, 0, v4
	s_delay_alu instid0(VALU_DEP_1)
	s_and_b32 s10, s0, exec_lo
.LBB1_7:
	s_or_b32 exec_lo, exec_lo, s3
	s_mov_b32 s3, 0
	s_mov_b32 s11, 0
	s_mov_b32 s8, exec_lo
	v_cmpx_gt_i32_e64 s2, v3
	s_cbranch_execz .LBB1_9
; %bb.8:
	v_add_nc_u32_e32 v4, s1, v3
	v_add_nc_u32_e32 v3, 0x100, v3
	global_load_u8 v4, v4, s[6:7]
	s_waitcnt vmcnt(0)
	v_cmp_ne_u16_e64 s0, 0, v4
	s_delay_alu instid0(VALU_DEP_1)
	s_and_b32 s11, s0, exec_lo
.LBB1_9:
	s_or_b32 exec_lo, exec_lo, s8
	s_delay_alu instid0(SALU_CYCLE_1)
	s_mov_b32 s8, exec_lo
	v_cmpx_gt_i32_e64 s2, v3
	s_cbranch_execz .LBB1_11
; %bb.10:
	v_add_nc_u32_e32 v4, s1, v3
	v_add_nc_u32_e32 v3, 0x100, v3
	global_load_u8 v4, v4, s[6:7]
	s_waitcnt vmcnt(0)
	v_cmp_ne_u16_e64 s0, 0, v4
	s_delay_alu instid0(VALU_DEP_1)
	s_and_b32 s3, s0, exec_lo
.LBB1_11:
	s_or_b32 exec_lo, exec_lo, s8
	s_mov_b32 s14, 0
	s_mov_b32 s17, 0
	s_mov_b32 s8, exec_lo
	v_cmpx_gt_i32_e64 s2, v3
	s_cbranch_execz .LBB1_13
; %bb.12:
	v_add_nc_u32_e32 v4, s1, v3
	v_add_nc_u32_e32 v3, 0x100, v3
	global_load_u8 v4, v4, s[6:7]
	s_waitcnt vmcnt(0)
	v_cmp_ne_u16_e64 s0, 0, v4
	s_delay_alu instid0(VALU_DEP_1)
	s_and_b32 s17, s0, exec_lo
.LBB1_13:
	s_or_b32 exec_lo, exec_lo, s8
	s_delay_alu instid0(SALU_CYCLE_1)
	;; [unrolled: 29-line block ×7, first 2 shown]
	s_mov_b32 s23, exec_lo
	v_cmpx_gt_i32_e64 s2, v3
	s_cbranch_execz .LBB1_35
; %bb.34:
	v_add_nc_u32_e32 v3, s1, v3
	global_load_u8 v3, v3, s[6:7]
	s_waitcnt vmcnt(0)
	v_cmp_ne_u16_e64 s0, 0, v3
	s_delay_alu instid0(VALU_DEP_1)
	s_and_b32 s19, s0, exec_lo
.LBB1_35:
	s_or_b32 exec_lo, exec_lo, s23
	s_xor_b32 s0, s10, -1
	v_or_b32_e32 v6, 0x400, v0
	v_cndmask_b32_e64 v3, 0, 1, s0
	s_xor_b32 s0, s9, -1
	s_delay_alu instid0(SALU_CYCLE_1) | instskip(SKIP_1) | instid1(VALU_DEP_2)
	v_cndmask_b32_e64 v4, 0, 1, s0
	s_xor_b32 s0, s17, -1
	v_lshlrev_b16 v3, 8, v3
	v_cndmask_b32_e64 v5, 0, 1, s0
	s_xor_b32 s0, s14, -1
	s_delay_alu instid0(SALU_CYCLE_1) | instskip(SKIP_1) | instid1(VALU_DEP_3)
	v_cndmask_b32_e64 v7, 0, 1, s0
	v_cmp_gt_i32_e64 s0, s2, v6
	v_and_b32_e32 v5, 0xffff, v5
	v_or_b32_e32 v3, v4, v3
	s_delay_alu instid0(VALU_DEP_4) | instskip(NEXT) | instid1(VALU_DEP_3)
	v_lshlrev_b16 v6, 8, v7
	v_cndmask_b32_e64 v5, 0, v5, s0
	s_xor_b32 s0, s11, -1
	s_delay_alu instid0(VALU_DEP_3) | instskip(SKIP_3) | instid1(VALU_DEP_2)
	v_and_b32_e32 v3, 0xffff, v3
	v_cndmask_b32_e64 v8, 0, 1, s0
	v_cmp_gt_i32_e64 s0, s2, v2
	v_and_b32_e32 v7, 0xff, v5
	v_cndmask_b32_e64 v3, v4, v3, s0
	s_delay_alu instid0(VALU_DEP_2)
	v_or_b32_e32 v4, v7, v6
	v_or_b32_e32 v6, 0x200, v0
	s_xor_b32 s0, s21, -1
	v_or_b32_e32 v7, 0x500, v0
	v_lshl_or_b32 v8, v8, 16, v3
	v_cndmask_b32_e64 v9, 0, 1, s0
	v_cmp_gt_i32_e64 s0, s2, v6
	v_and_b32_e32 v4, 0xffff, v4
	s_delay_alu instid0(VALU_DEP_3) | instskip(NEXT) | instid1(VALU_DEP_3)
	v_and_b32_e32 v6, 0xffff, v9
	v_cndmask_b32_e64 v3, v3, v8, s0
	v_cmp_gt_i32_e64 s0, s2, v7
	s_delay_alu instid0(VALU_DEP_2) | instskip(NEXT) | instid1(VALU_DEP_2)
	v_lshrrev_b32_e32 v7, 16, v3
	v_cndmask_b32_e64 v4, v5, v4, s0
	v_or_b32_e32 v5, 0xc00, v0
	s_delay_alu instid0(VALU_DEP_3) | instskip(NEXT) | instid1(VALU_DEP_3)
	v_and_b32_e32 v7, 0xff, v7
	v_lshrrev_b32_e32 v8, 16, v4
	s_delay_alu instid0(VALU_DEP_3) | instskip(NEXT) | instid1(VALU_DEP_2)
	v_cmp_gt_i32_e64 s0, s2, v5
	v_and_b32_e32 v8, 0xffffff00, v8
	s_delay_alu instid0(VALU_DEP_2) | instskip(SKIP_1) | instid1(SALU_CYCLE_1)
	v_cndmask_b32_e64 v5, 0, v6, s0
	s_xor_b32 s0, s20, -1
	v_cndmask_b32_e64 v6, 0, 1, s0
	s_xor_b32 s0, s3, -1
	s_delay_alu instid0(VALU_DEP_2)
	v_and_b32_e32 v10, 0xff, v5
	v_cndmask_b32_e64 v9, 0, 1, s0
	s_xor_b32 s0, s12, -1
	v_lshlrev_b16 v6, 8, v6
	v_cndmask_b32_e64 v11, 0, 1, s0
	s_xor_b32 s0, s15, -1
	v_lshlrev_b16 v9, 8, v9
	s_delay_alu instid0(VALU_DEP_3) | instskip(NEXT) | instid1(VALU_DEP_3)
	v_or_b32_e32 v6, v10, v6
	v_or_b32_e32 v8, v11, v8
	v_cndmask_b32_e64 v10, 0, 1, s0
	v_or_b32_e32 v11, 0xd00, v0
	s_xor_b32 s0, s13, -1
	v_and_b32_e32 v6, 0xffff, v6
	v_cndmask_b32_e64 v12, 0, 1, s0
	v_lshlrev_b16 v10, 8, v10
	v_cmp_gt_i32_e64 s0, s2, v11
	v_or_b32_e32 v11, 0x900, v0
	v_or_b32_e32 v7, v7, v9
	s_delay_alu instid0(VALU_DEP_3)
	v_cndmask_b32_e64 v5, v5, v6, s0
	v_lshlrev_b32_e32 v6, 16, v8
	v_or_b32_e32 v8, v12, v10
	v_or_b32_e32 v10, 0x600, v0
	s_xor_b32 s0, s22, -1
	v_lshrrev_b32_e32 v9, 16, v5
	v_and_or_b32 v6, 0xffff, v4, v6
	v_cndmask_b32_e64 v13, 0, 1, s0
	v_cmp_gt_i32_e64 s0, s2, v10
	v_and_b32_e32 v8, 0xffff, v8
	v_and_b32_e32 v9, 0xffffff00, v9
	v_lshlrev_b32_e32 v7, 16, v7
	s_delay_alu instid0(VALU_DEP_4) | instskip(SKIP_2) | instid1(VALU_DEP_4)
	v_cndmask_b32_e64 v4, v4, v6, s0
	v_cmp_gt_i32_e64 s0, s2, v11
	v_or_b32_e32 v11, 0xa00, v0
	v_and_or_b32 v7, 0xffff, v3, v7
	s_delay_alu instid0(VALU_DEP_4) | instskip(NEXT) | instid1(VALU_DEP_4)
	v_lshrrev_b32_e32 v10, 16, v4
	v_cndmask_b32_e64 v6, v12, v8, s0
	s_xor_b32 s0, s18, -1
	v_or_b32_e32 v8, v13, v9
	v_cndmask_b32_e64 v9, 0, 1, s0
	s_xor_b32 s0, s8, -1
	v_or_b32_e32 v13, 0xe00, v0
	v_cndmask_b32_e64 v12, 0, 1, s0
	v_lshlrev_b32_e32 v8, 16, v8
	v_lshl_or_b32 v9, v9, 16, v6
	v_cmp_gt_i32_e64 s0, s2, v11
	s_delay_alu instid0(VALU_DEP_3) | instskip(NEXT) | instid1(VALU_DEP_2)
	v_and_or_b32 v8, 0xffff, v5, v8
	v_cndmask_b32_e64 v9, v6, v9, s0
	v_cmp_gt_i32_e64 s0, s2, v13
	v_and_b32_e32 v6, 0xff, v10
	s_delay_alu instid0(VALU_DEP_3) | instskip(NEXT) | instid1(VALU_DEP_3)
	v_lshrrev_b32_e32 v10, 16, v9
	v_cndmask_b32_e64 v8, v5, v8, s0
	s_xor_b32 s0, s16, -1
	v_lshlrev_b16 v5, 8, v12
	v_cndmask_b32_e64 v11, 0, 1, s0
	s_xor_b32 s0, s19, -1
	v_lshrrev_b32_e32 v12, 16, v8
	v_cndmask_b32_e64 v13, 0, 1, s0
	v_or_b32_e32 v5, v6, v5
	v_and_b32_e32 v6, 0xff, v10
	v_lshlrev_b16 v10, 8, v11
	v_and_b32_e32 v11, 0xff, v12
	v_lshlrev_b16 v12, 8, v13
	v_or_b32_e32 v13, 0x300, v0
	v_lshlrev_b32_e32 v5, 16, v5
	v_or_b32_e32 v10, v6, v10
	s_delay_alu instid0(VALU_DEP_4) | instskip(NEXT) | instid1(VALU_DEP_4)
	v_or_b32_e32 v11, v11, v12
	v_cmp_gt_i32_e64 s0, s2, v13
	s_delay_alu instid0(VALU_DEP_4) | instskip(SKIP_1) | instid1(VALU_DEP_3)
	v_and_or_b32 v5, 0xffff, v4, v5
	v_or_b32_e32 v12, 0xf00, v0
	v_cndmask_b32_e64 v6, v3, v7, s0
	v_or_b32_e32 v7, 0x700, v0
	v_lshlrev_b32_e32 v3, 16, v10
	v_lshlrev_b32_e32 v10, 16, v11
	v_or_b32_e32 v11, 0xb00, v0
	s_delay_alu instid0(VALU_DEP_4) | instskip(NEXT) | instid1(VALU_DEP_4)
	v_cmp_gt_i32_e64 s0, s2, v7
	v_and_or_b32 v3, 0xffff, v9, v3
	s_delay_alu instid0(VALU_DEP_4) | instskip(NEXT) | instid1(VALU_DEP_3)
	v_and_or_b32 v10, 0xffff, v8, v10
	v_cndmask_b32_e64 v5, v4, v5, s0
	v_cmp_gt_i32_e64 s0, s2, v11
	s_delay_alu instid0(VALU_DEP_1) | instskip(SKIP_1) | instid1(VALU_DEP_1)
	v_cndmask_b32_e64 v4, v9, v3, s0
	v_cmp_gt_i32_e64 s0, s2, v12
	v_cndmask_b32_e64 v3, v8, v10, s0
	s_and_saveexec_b32 s0, vcc_lo
	s_cbranch_execnz .LBB1_53
; %bb.36:
	s_or_b32 exec_lo, exec_lo, s0
	s_delay_alu instid0(SALU_CYCLE_1)
	s_mov_b32 s0, exec_lo
	v_cmpx_gt_i32_e64 s2, v0
	s_cbranch_execnz .LBB1_54
.LBB1_37:
	s_or_b32 exec_lo, exec_lo, s0
	s_delay_alu instid0(SALU_CYCLE_1)
	s_mov_b32 s0, exec_lo
	v_cmpx_gt_i32_e64 s2, v0
	s_cbranch_execnz .LBB1_55
.LBB1_38:
	s_or_b32 exec_lo, exec_lo, s0
	s_delay_alu instid0(SALU_CYCLE_1)
	s_mov_b32 s0, exec_lo
	v_cmpx_gt_i32_e64 s2, v0
	s_cbranch_execnz .LBB1_56
.LBB1_39:
	s_or_b32 exec_lo, exec_lo, s0
	s_delay_alu instid0(SALU_CYCLE_1)
	s_mov_b32 s0, exec_lo
	v_cmpx_gt_i32_e64 s2, v0
	s_cbranch_execnz .LBB1_57
.LBB1_40:
	s_or_b32 exec_lo, exec_lo, s0
	s_delay_alu instid0(SALU_CYCLE_1)
	s_mov_b32 s0, exec_lo
	v_cmpx_gt_i32_e64 s2, v0
	s_cbranch_execnz .LBB1_58
.LBB1_41:
	s_or_b32 exec_lo, exec_lo, s0
	s_delay_alu instid0(SALU_CYCLE_1)
	s_mov_b32 s0, exec_lo
	v_cmpx_gt_i32_e64 s2, v0
	s_cbranch_execnz .LBB1_59
.LBB1_42:
	s_or_b32 exec_lo, exec_lo, s0
	s_delay_alu instid0(SALU_CYCLE_1)
	s_mov_b32 s0, exec_lo
	v_cmpx_gt_i32_e64 s2, v0
	s_cbranch_execnz .LBB1_60
.LBB1_43:
	s_or_b32 exec_lo, exec_lo, s0
	s_delay_alu instid0(SALU_CYCLE_1)
	s_mov_b32 s0, exec_lo
	v_cmpx_gt_i32_e64 s2, v0
	s_cbranch_execnz .LBB1_61
.LBB1_44:
	s_or_b32 exec_lo, exec_lo, s0
	s_delay_alu instid0(SALU_CYCLE_1)
	s_mov_b32 s0, exec_lo
	v_cmpx_gt_i32_e64 s2, v0
	s_cbranch_execnz .LBB1_62
.LBB1_45:
	s_or_b32 exec_lo, exec_lo, s0
	s_delay_alu instid0(SALU_CYCLE_1)
	s_mov_b32 s0, exec_lo
	v_cmpx_gt_i32_e64 s2, v0
	s_cbranch_execnz .LBB1_63
.LBB1_46:
	s_or_b32 exec_lo, exec_lo, s0
	s_delay_alu instid0(SALU_CYCLE_1)
	s_mov_b32 s0, exec_lo
	v_cmpx_gt_i32_e64 s2, v0
	s_cbranch_execnz .LBB1_64
.LBB1_47:
	s_or_b32 exec_lo, exec_lo, s0
	s_delay_alu instid0(SALU_CYCLE_1)
	s_mov_b32 s0, exec_lo
	v_cmpx_gt_i32_e64 s2, v0
	s_cbranch_execnz .LBB1_65
.LBB1_48:
	s_or_b32 exec_lo, exec_lo, s0
	s_delay_alu instid0(SALU_CYCLE_1)
	s_mov_b32 s0, exec_lo
	v_cmpx_gt_i32_e64 s2, v0
	s_cbranch_execnz .LBB1_66
.LBB1_49:
	s_or_b32 exec_lo, exec_lo, s0
	s_delay_alu instid0(SALU_CYCLE_1)
	s_mov_b32 s0, exec_lo
	v_cmpx_gt_i32_e64 s2, v0
	s_cbranch_execnz .LBB1_67
.LBB1_50:
	s_or_b32 exec_lo, exec_lo, s0
	s_delay_alu instid0(SALU_CYCLE_1)
	s_mov_b32 s0, exec_lo
	v_cmpx_gt_i32_e64 s2, v0
	s_cbranch_execz .LBB1_52
.LBB1_51:
	v_lshrrev_b32_e32 v1, 24, v3
	v_add_nc_u32_e32 v0, s1, v0
	global_store_b8 v0, v1, s[4:5]
.LBB1_52:
	s_nop 0
	s_sendmsg sendmsg(MSG_DEALLOC_VGPRS)
	s_endpgm
.LBB1_53:
	v_mov_b32_e32 v0, v2
	global_store_b8 v1, v6, s[4:5]
	s_or_b32 exec_lo, exec_lo, s0
	s_delay_alu instid0(SALU_CYCLE_1)
	s_mov_b32 s0, exec_lo
	v_cmpx_gt_i32_e64 s2, v0
	s_cbranch_execz .LBB1_37
.LBB1_54:
	v_lshrrev_b32_e32 v1, 8, v6
	v_add_nc_u32_e32 v2, s1, v0
	v_add_nc_u32_e32 v0, 0x100, v0
	global_store_b8 v2, v1, s[4:5]
	s_or_b32 exec_lo, exec_lo, s0
	s_delay_alu instid0(SALU_CYCLE_1)
	s_mov_b32 s0, exec_lo
	v_cmpx_gt_i32_e64 s2, v0
	s_cbranch_execz .LBB1_38
.LBB1_55:
	v_add_nc_u32_e32 v1, s1, v0
	v_add_nc_u32_e32 v0, 0x100, v0
	global_store_d16_hi_b8 v1, v6, s[4:5]
	s_or_b32 exec_lo, exec_lo, s0
	s_delay_alu instid0(SALU_CYCLE_1)
	s_mov_b32 s0, exec_lo
	v_cmpx_gt_i32_e64 s2, v0
	s_cbranch_execz .LBB1_39
.LBB1_56:
	v_lshrrev_b32_e32 v1, 24, v6
	v_add_nc_u32_e32 v2, s1, v0
	v_add_nc_u32_e32 v0, 0x100, v0
	global_store_b8 v2, v1, s[4:5]
	s_or_b32 exec_lo, exec_lo, s0
	s_delay_alu instid0(SALU_CYCLE_1)
	s_mov_b32 s0, exec_lo
	v_cmpx_gt_i32_e64 s2, v0
	s_cbranch_execz .LBB1_40
.LBB1_57:
	v_add_nc_u32_e32 v1, s1, v0
	v_add_nc_u32_e32 v0, 0x100, v0
	global_store_b8 v1, v5, s[4:5]
	s_or_b32 exec_lo, exec_lo, s0
	s_delay_alu instid0(SALU_CYCLE_1)
	s_mov_b32 s0, exec_lo
	v_cmpx_gt_i32_e64 s2, v0
	s_cbranch_execz .LBB1_41
.LBB1_58:
	v_lshrrev_b32_e32 v1, 8, v5
	v_add_nc_u32_e32 v2, s1, v0
	v_add_nc_u32_e32 v0, 0x100, v0
	global_store_b8 v2, v1, s[4:5]
	s_or_b32 exec_lo, exec_lo, s0
	s_delay_alu instid0(SALU_CYCLE_1)
	s_mov_b32 s0, exec_lo
	v_cmpx_gt_i32_e64 s2, v0
	s_cbranch_execz .LBB1_42
.LBB1_59:
	v_add_nc_u32_e32 v1, s1, v0
	v_add_nc_u32_e32 v0, 0x100, v0
	global_store_d16_hi_b8 v1, v5, s[4:5]
	s_or_b32 exec_lo, exec_lo, s0
	s_delay_alu instid0(SALU_CYCLE_1)
	s_mov_b32 s0, exec_lo
	v_cmpx_gt_i32_e64 s2, v0
	s_cbranch_execz .LBB1_43
.LBB1_60:
	v_lshrrev_b32_e32 v1, 24, v5
	v_add_nc_u32_e32 v2, s1, v0
	v_add_nc_u32_e32 v0, 0x100, v0
	global_store_b8 v2, v1, s[4:5]
	s_or_b32 exec_lo, exec_lo, s0
	s_delay_alu instid0(SALU_CYCLE_1)
	s_mov_b32 s0, exec_lo
	v_cmpx_gt_i32_e64 s2, v0
	s_cbranch_execz .LBB1_44
.LBB1_61:
	v_add_nc_u32_e32 v1, s1, v0
	v_add_nc_u32_e32 v0, 0x100, v0
	global_store_b8 v1, v4, s[4:5]
	s_or_b32 exec_lo, exec_lo, s0
	s_delay_alu instid0(SALU_CYCLE_1)
	s_mov_b32 s0, exec_lo
	v_cmpx_gt_i32_e64 s2, v0
	s_cbranch_execz .LBB1_45
.LBB1_62:
	v_lshrrev_b32_e32 v1, 8, v4
	v_add_nc_u32_e32 v2, s1, v0
	v_add_nc_u32_e32 v0, 0x100, v0
	global_store_b8 v2, v1, s[4:5]
	s_or_b32 exec_lo, exec_lo, s0
	s_delay_alu instid0(SALU_CYCLE_1)
	s_mov_b32 s0, exec_lo
	v_cmpx_gt_i32_e64 s2, v0
	s_cbranch_execz .LBB1_46
.LBB1_63:
	v_add_nc_u32_e32 v1, s1, v0
	v_add_nc_u32_e32 v0, 0x100, v0
	global_store_d16_hi_b8 v1, v4, s[4:5]
	s_or_b32 exec_lo, exec_lo, s0
	s_delay_alu instid0(SALU_CYCLE_1)
	s_mov_b32 s0, exec_lo
	v_cmpx_gt_i32_e64 s2, v0
	s_cbranch_execz .LBB1_47
.LBB1_64:
	v_lshrrev_b32_e32 v1, 24, v4
	v_add_nc_u32_e32 v2, s1, v0
	v_add_nc_u32_e32 v0, 0x100, v0
	global_store_b8 v2, v1, s[4:5]
	s_or_b32 exec_lo, exec_lo, s0
	s_delay_alu instid0(SALU_CYCLE_1)
	s_mov_b32 s0, exec_lo
	v_cmpx_gt_i32_e64 s2, v0
	s_cbranch_execz .LBB1_48
.LBB1_65:
	v_add_nc_u32_e32 v1, s1, v0
	v_add_nc_u32_e32 v0, 0x100, v0
	global_store_b8 v1, v3, s[4:5]
	s_or_b32 exec_lo, exec_lo, s0
	s_delay_alu instid0(SALU_CYCLE_1)
	s_mov_b32 s0, exec_lo
	v_cmpx_gt_i32_e64 s2, v0
	s_cbranch_execz .LBB1_49
.LBB1_66:
	v_lshrrev_b32_e32 v1, 8, v3
	v_add_nc_u32_e32 v2, s1, v0
	v_add_nc_u32_e32 v0, 0x100, v0
	global_store_b8 v2, v1, s[4:5]
	s_or_b32 exec_lo, exec_lo, s0
	s_delay_alu instid0(SALU_CYCLE_1)
	s_mov_b32 s0, exec_lo
	v_cmpx_gt_i32_e64 s2, v0
	s_cbranch_execz .LBB1_50
.LBB1_67:
	v_add_nc_u32_e32 v1, s1, v0
	v_add_nc_u32_e32 v0, 0x100, v0
	global_store_d16_hi_b8 v1, v3, s[4:5]
	s_or_b32 exec_lo, exec_lo, s0
	s_delay_alu instid0(SALU_CYCLE_1)
	s_mov_b32 s0, exec_lo
	v_cmpx_gt_i32_e64 s2, v0
	s_cbranch_execnz .LBB1_51
	s_branch .LBB1_52
	.section	.rodata,"a",@progbits
	.p2align	6, 0x0
	.amdhsa_kernel _ZN2at6native29vectorized_elementwise_kernelILi8EZNS0_23bitwise_not_kernel_cudaERNS_18TensorIteratorBaseEEUlbE_St5arrayIPcLm2EEEEviT0_T1_
		.amdhsa_group_segment_fixed_size 0
		.amdhsa_private_segment_fixed_size 0
		.amdhsa_kernarg_size 24
		.amdhsa_user_sgpr_count 15
		.amdhsa_user_sgpr_dispatch_ptr 0
		.amdhsa_user_sgpr_queue_ptr 0
		.amdhsa_user_sgpr_kernarg_segment_ptr 1
		.amdhsa_user_sgpr_dispatch_id 0
		.amdhsa_user_sgpr_private_segment_size 0
		.amdhsa_wavefront_size32 1
		.amdhsa_uses_dynamic_stack 0
		.amdhsa_enable_private_segment 0
		.amdhsa_system_sgpr_workgroup_id_x 1
		.amdhsa_system_sgpr_workgroup_id_y 0
		.amdhsa_system_sgpr_workgroup_id_z 0
		.amdhsa_system_sgpr_workgroup_info 0
		.amdhsa_system_vgpr_workitem_id 0
		.amdhsa_next_free_vgpr 18
		.amdhsa_next_free_sgpr 24
		.amdhsa_reserve_vcc 1
		.amdhsa_float_round_mode_32 0
		.amdhsa_float_round_mode_16_64 0
		.amdhsa_float_denorm_mode_32 3
		.amdhsa_float_denorm_mode_16_64 3
		.amdhsa_dx10_clamp 1
		.amdhsa_ieee_mode 1
		.amdhsa_fp16_overflow 0
		.amdhsa_workgroup_processor_mode 1
		.amdhsa_memory_ordered 1
		.amdhsa_forward_progress 0
		.amdhsa_shared_vgpr_count 0
		.amdhsa_exception_fp_ieee_invalid_op 0
		.amdhsa_exception_fp_denorm_src 0
		.amdhsa_exception_fp_ieee_div_zero 0
		.amdhsa_exception_fp_ieee_overflow 0
		.amdhsa_exception_fp_ieee_underflow 0
		.amdhsa_exception_fp_ieee_inexact 0
		.amdhsa_exception_int_div_zero 0
	.end_amdhsa_kernel
	.section	.text._ZN2at6native29vectorized_elementwise_kernelILi8EZNS0_23bitwise_not_kernel_cudaERNS_18TensorIteratorBaseEEUlbE_St5arrayIPcLm2EEEEviT0_T1_,"axG",@progbits,_ZN2at6native29vectorized_elementwise_kernelILi8EZNS0_23bitwise_not_kernel_cudaERNS_18TensorIteratorBaseEEUlbE_St5arrayIPcLm2EEEEviT0_T1_,comdat
.Lfunc_end1:
	.size	_ZN2at6native29vectorized_elementwise_kernelILi8EZNS0_23bitwise_not_kernel_cudaERNS_18TensorIteratorBaseEEUlbE_St5arrayIPcLm2EEEEviT0_T1_, .Lfunc_end1-_ZN2at6native29vectorized_elementwise_kernelILi8EZNS0_23bitwise_not_kernel_cudaERNS_18TensorIteratorBaseEEUlbE_St5arrayIPcLm2EEEEviT0_T1_
                                        ; -- End function
	.section	.AMDGPU.csdata,"",@progbits
; Kernel info:
; codeLenInByte = 3700
; NumSgprs: 26
; NumVgprs: 18
; ScratchSize: 0
; MemoryBound: 0
; FloatMode: 240
; IeeeMode: 1
; LDSByteSize: 0 bytes/workgroup (compile time only)
; SGPRBlocks: 3
; VGPRBlocks: 2
; NumSGPRsForWavesPerEU: 26
; NumVGPRsForWavesPerEU: 18
; Occupancy: 16
; WaveLimiterHint : 1
; COMPUTE_PGM_RSRC2:SCRATCH_EN: 0
; COMPUTE_PGM_RSRC2:USER_SGPR: 15
; COMPUTE_PGM_RSRC2:TRAP_HANDLER: 0
; COMPUTE_PGM_RSRC2:TGID_X_EN: 1
; COMPUTE_PGM_RSRC2:TGID_Y_EN: 0
; COMPUTE_PGM_RSRC2:TGID_Z_EN: 0
; COMPUTE_PGM_RSRC2:TIDIG_COMP_CNT: 0
	.section	.text._ZN2at6native29vectorized_elementwise_kernelILi4EZNS0_23bitwise_not_kernel_cudaERNS_18TensorIteratorBaseEEUlbE_St5arrayIPcLm2EEEEviT0_T1_,"axG",@progbits,_ZN2at6native29vectorized_elementwise_kernelILi4EZNS0_23bitwise_not_kernel_cudaERNS_18TensorIteratorBaseEEUlbE_St5arrayIPcLm2EEEEviT0_T1_,comdat
	.globl	_ZN2at6native29vectorized_elementwise_kernelILi4EZNS0_23bitwise_not_kernel_cudaERNS_18TensorIteratorBaseEEUlbE_St5arrayIPcLm2EEEEviT0_T1_ ; -- Begin function _ZN2at6native29vectorized_elementwise_kernelILi4EZNS0_23bitwise_not_kernel_cudaERNS_18TensorIteratorBaseEEUlbE_St5arrayIPcLm2EEEEviT0_T1_
	.p2align	8
	.type	_ZN2at6native29vectorized_elementwise_kernelILi4EZNS0_23bitwise_not_kernel_cudaERNS_18TensorIteratorBaseEEUlbE_St5arrayIPcLm2EEEEviT0_T1_,@function
_ZN2at6native29vectorized_elementwise_kernelILi4EZNS0_23bitwise_not_kernel_cudaERNS_18TensorIteratorBaseEEUlbE_St5arrayIPcLm2EEEEviT0_T1_: ; @_ZN2at6native29vectorized_elementwise_kernelILi4EZNS0_23bitwise_not_kernel_cudaERNS_18TensorIteratorBaseEEUlbE_St5arrayIPcLm2EEEEviT0_T1_
; %bb.0:
	s_clause 0x1
	s_load_b32 s2, s[0:1], 0x0
	s_load_b128 s[4:7], s[0:1], 0x8
	s_lshl_b32 s1, s15, 12
	s_mov_b32 s0, -1
	s_waitcnt lgkmcnt(0)
	s_sub_i32 s2, s2, s1
	s_delay_alu instid0(SALU_CYCLE_1)
	s_cmpk_gt_i32 s2, 0xfff
	s_cbranch_scc0 .LBB2_2
; %bb.1:
	v_lshlrev_b32_e32 v1, 2, v0
	s_ashr_i32 s0, s1, 31
	s_add_u32 s8, s6, s1
	s_addc_u32 s9, s7, s0
	s_clause 0x3
	global_load_b32 v2, v1, s[8:9]
	global_load_b32 v3, v1, s[8:9] offset:1024
	global_load_b32 v4, v1, s[8:9] offset:2048
	;; [unrolled: 1-line block ×3, first 2 shown]
	s_add_u32 s8, s4, s1
	s_addc_u32 s9, s5, s0
	s_mov_b32 s0, 0
	s_waitcnt vmcnt(3)
	v_cmp_gt_u32_e32 vcc_lo, 0x1000000, v2
	v_and_b32_e32 v6, 0xff, v2
	v_and_b32_e32 v7, 0xff00, v2
	v_and_b32_e32 v8, 0xff0000, v2
	s_waitcnt vmcnt(2)
	v_and_b32_e32 v9, 0xff, v3
	v_cndmask_b32_e64 v2, 0, 1, vcc_lo
	v_cmp_gt_u32_e32 vcc_lo, 0x1000000, v3
	v_and_b32_e32 v10, 0xff00, v3
	v_and_b32_e32 v11, 0xff0000, v3
	s_waitcnt vmcnt(1)
	v_and_b32_e32 v12, 0xff, v4
	v_and_b32_e32 v13, 0xff00, v4
	v_cndmask_b32_e64 v3, 0, 1, vcc_lo
	v_cmp_gt_u32_e32 vcc_lo, 0x1000000, v4
	v_and_b32_e32 v14, 0xff0000, v4
	s_waitcnt vmcnt(0)
	v_and_b32_e32 v15, 0xff, v5
	v_and_b32_e32 v16, 0xff00, v5
	;; [unrolled: 1-line block ×3, first 2 shown]
	v_cndmask_b32_e64 v4, 0, 1, vcc_lo
	v_cmp_gt_u32_e32 vcc_lo, 0x1000000, v5
	v_lshlrev_b32_e32 v2, 24, v2
	v_lshlrev_b32_e32 v3, 24, v3
	s_delay_alu instid0(VALU_DEP_4) | instskip(SKIP_2) | instid1(VALU_DEP_2)
	v_lshlrev_b32_e32 v4, 24, v4
	v_cndmask_b32_e64 v5, 0, 1, vcc_lo
	v_cmp_eq_u32_e32 vcc_lo, 0, v8
	v_lshlrev_b32_e32 v5, 24, v5
	v_cndmask_b32_e64 v8, 0, 1, vcc_lo
	v_cmp_eq_u32_e32 vcc_lo, 0, v7
	s_delay_alu instid0(VALU_DEP_2) | instskip(SKIP_2) | instid1(VALU_DEP_2)
	v_lshl_or_b32 v2, v8, 16, v2
	v_cndmask_b32_e64 v7, 0, 1, vcc_lo
	v_cmp_eq_u32_e32 vcc_lo, 0, v6
	v_lshlrev_b32_e32 v7, 8, v7
	v_cndmask_b32_e64 v6, 0, 1, vcc_lo
	v_cmp_eq_u32_e32 vcc_lo, 0, v11
	s_delay_alu instid0(VALU_DEP_2) | instskip(SKIP_2) | instid1(VALU_DEP_2)
	v_or3_b32 v2, v2, v7, v6
	v_cndmask_b32_e64 v11, 0, 1, vcc_lo
	v_cmp_eq_u32_e32 vcc_lo, 0, v10
	v_lshl_or_b32 v3, v11, 16, v3
	v_cndmask_b32_e64 v10, 0, 1, vcc_lo
	v_cmp_eq_u32_e32 vcc_lo, 0, v9
	s_delay_alu instid0(VALU_DEP_2) | instskip(SKIP_2) | instid1(VALU_DEP_2)
	v_lshlrev_b32_e32 v8, 8, v10
	v_cndmask_b32_e64 v9, 0, 1, vcc_lo
	v_cmp_eq_u32_e32 vcc_lo, 0, v14
	v_or3_b32 v3, v3, v8, v9
	v_cndmask_b32_e64 v14, 0, 1, vcc_lo
	v_cmp_eq_u32_e32 vcc_lo, 0, v13
	s_delay_alu instid0(VALU_DEP_2) | instskip(SKIP_2) | instid1(VALU_DEP_2)
	v_lshl_or_b32 v4, v14, 16, v4
	v_cndmask_b32_e64 v13, 0, 1, vcc_lo
	v_cmp_eq_u32_e32 vcc_lo, 0, v12
	v_lshlrev_b32_e32 v10, 8, v13
	v_cndmask_b32_e64 v12, 0, 1, vcc_lo
	v_cmp_eq_u32_e32 vcc_lo, 0, v17
	s_delay_alu instid0(VALU_DEP_2) | instskip(SKIP_2) | instid1(VALU_DEP_2)
	v_or3_b32 v4, v4, v10, v12
	v_cndmask_b32_e64 v17, 0, 1, vcc_lo
	v_cmp_eq_u32_e32 vcc_lo, 0, v16
	v_lshl_or_b32 v5, v17, 16, v5
	v_cndmask_b32_e64 v16, 0, 1, vcc_lo
	v_cmp_eq_u32_e32 vcc_lo, 0, v15
	s_delay_alu instid0(VALU_DEP_2) | instskip(SKIP_1) | instid1(VALU_DEP_1)
	v_lshlrev_b32_e32 v11, 8, v16
	v_cndmask_b32_e64 v15, 0, 1, vcc_lo
	v_or3_b32 v5, v5, v11, v15
	s_clause 0x3
	global_store_b32 v1, v2, s[8:9]
	global_store_b32 v1, v3, s[8:9] offset:1024
	global_store_b32 v1, v4, s[8:9] offset:2048
	;; [unrolled: 1-line block ×3, first 2 shown]
.LBB2_2:
	s_and_not1_b32 vcc_lo, exec_lo, s0
	s_cbranch_vccnz .LBB2_52
; %bb.3:
	v_cmp_gt_i32_e32 vcc_lo, s2, v0
	v_or_b32_e32 v1, s1, v0
	v_or_b32_e32 v2, 0x100, v0
	v_mov_b32_e32 v3, v0
	s_mov_b32 s10, 0
	s_mov_b32 s9, 0
	s_and_saveexec_b32 s3, vcc_lo
	s_cbranch_execz .LBB2_5
; %bb.4:
	global_load_u8 v3, v1, s[6:7]
	s_waitcnt vmcnt(0)
	v_cmp_ne_u16_e64 s0, 0, v3
	v_or_b32_e32 v3, 0x100, v0
	s_delay_alu instid0(VALU_DEP_2)
	s_and_b32 s9, s0, exec_lo
.LBB2_5:
	s_or_b32 exec_lo, exec_lo, s3
	s_delay_alu instid0(SALU_CYCLE_1) | instskip(NEXT) | instid1(VALU_DEP_1)
	s_mov_b32 s3, exec_lo
	v_cmpx_gt_i32_e64 s2, v3
	s_cbranch_execz .LBB2_7
; %bb.6:
	v_add_nc_u32_e32 v4, s1, v3
	v_add_nc_u32_e32 v3, 0x100, v3
	global_load_u8 v4, v4, s[6:7]
	s_waitcnt vmcnt(0)
	v_cmp_ne_u16_e64 s0, 0, v4
	s_delay_alu instid0(VALU_DEP_1)
	s_and_b32 s10, s0, exec_lo
.LBB2_7:
	s_or_b32 exec_lo, exec_lo, s3
	s_mov_b32 s3, 0
	s_mov_b32 s11, 0
	s_mov_b32 s8, exec_lo
	v_cmpx_gt_i32_e64 s2, v3
	s_cbranch_execz .LBB2_9
; %bb.8:
	v_add_nc_u32_e32 v4, s1, v3
	v_add_nc_u32_e32 v3, 0x100, v3
	global_load_u8 v4, v4, s[6:7]
	s_waitcnt vmcnt(0)
	v_cmp_ne_u16_e64 s0, 0, v4
	s_delay_alu instid0(VALU_DEP_1)
	s_and_b32 s11, s0, exec_lo
.LBB2_9:
	s_or_b32 exec_lo, exec_lo, s8
	s_delay_alu instid0(SALU_CYCLE_1)
	s_mov_b32 s8, exec_lo
	v_cmpx_gt_i32_e64 s2, v3
	s_cbranch_execz .LBB2_11
; %bb.10:
	v_add_nc_u32_e32 v4, s1, v3
	v_add_nc_u32_e32 v3, 0x100, v3
	global_load_u8 v4, v4, s[6:7]
	s_waitcnt vmcnt(0)
	v_cmp_ne_u16_e64 s0, 0, v4
	s_delay_alu instid0(VALU_DEP_1)
	s_and_b32 s3, s0, exec_lo
.LBB2_11:
	s_or_b32 exec_lo, exec_lo, s8
	s_mov_b32 s14, 0
	s_mov_b32 s17, 0
	s_mov_b32 s8, exec_lo
	v_cmpx_gt_i32_e64 s2, v3
	s_cbranch_execz .LBB2_13
; %bb.12:
	v_add_nc_u32_e32 v4, s1, v3
	v_add_nc_u32_e32 v3, 0x100, v3
	global_load_u8 v4, v4, s[6:7]
	s_waitcnt vmcnt(0)
	v_cmp_ne_u16_e64 s0, 0, v4
	s_delay_alu instid0(VALU_DEP_1)
	s_and_b32 s17, s0, exec_lo
.LBB2_13:
	s_or_b32 exec_lo, exec_lo, s8
	s_delay_alu instid0(SALU_CYCLE_1)
	;; [unrolled: 29-line block ×7, first 2 shown]
	s_mov_b32 s23, exec_lo
	v_cmpx_gt_i32_e64 s2, v3
	s_cbranch_execz .LBB2_35
; %bb.34:
	v_add_nc_u32_e32 v3, s1, v3
	global_load_u8 v3, v3, s[6:7]
	s_waitcnt vmcnt(0)
	v_cmp_ne_u16_e64 s0, 0, v3
	s_delay_alu instid0(VALU_DEP_1)
	s_and_b32 s19, s0, exec_lo
.LBB2_35:
	s_or_b32 exec_lo, exec_lo, s23
	s_xor_b32 s0, s10, -1
	v_or_b32_e32 v6, 0x400, v0
	v_cndmask_b32_e64 v3, 0, 1, s0
	s_xor_b32 s0, s9, -1
	s_delay_alu instid0(SALU_CYCLE_1) | instskip(SKIP_1) | instid1(VALU_DEP_2)
	v_cndmask_b32_e64 v4, 0, 1, s0
	s_xor_b32 s0, s17, -1
	v_lshlrev_b16 v3, 8, v3
	v_cndmask_b32_e64 v5, 0, 1, s0
	s_xor_b32 s0, s14, -1
	s_delay_alu instid0(SALU_CYCLE_1) | instskip(SKIP_1) | instid1(VALU_DEP_3)
	v_cndmask_b32_e64 v7, 0, 1, s0
	v_cmp_gt_i32_e64 s0, s2, v6
	v_and_b32_e32 v5, 0xffff, v5
	v_or_b32_e32 v3, v4, v3
	s_delay_alu instid0(VALU_DEP_4) | instskip(NEXT) | instid1(VALU_DEP_3)
	v_lshlrev_b16 v6, 8, v7
	v_cndmask_b32_e64 v5, 0, v5, s0
	s_xor_b32 s0, s11, -1
	s_delay_alu instid0(VALU_DEP_3) | instskip(SKIP_3) | instid1(VALU_DEP_2)
	v_and_b32_e32 v3, 0xffff, v3
	v_cndmask_b32_e64 v8, 0, 1, s0
	v_cmp_gt_i32_e64 s0, s2, v2
	v_and_b32_e32 v7, 0xff, v5
	v_cndmask_b32_e64 v3, v4, v3, s0
	s_delay_alu instid0(VALU_DEP_2)
	v_or_b32_e32 v4, v7, v6
	v_or_b32_e32 v6, 0x200, v0
	s_xor_b32 s0, s21, -1
	v_or_b32_e32 v7, 0x500, v0
	v_lshl_or_b32 v8, v8, 16, v3
	v_cndmask_b32_e64 v9, 0, 1, s0
	v_cmp_gt_i32_e64 s0, s2, v6
	v_and_b32_e32 v4, 0xffff, v4
	s_delay_alu instid0(VALU_DEP_3) | instskip(NEXT) | instid1(VALU_DEP_3)
	v_and_b32_e32 v6, 0xffff, v9
	v_cndmask_b32_e64 v3, v3, v8, s0
	v_cmp_gt_i32_e64 s0, s2, v7
	s_delay_alu instid0(VALU_DEP_2) | instskip(NEXT) | instid1(VALU_DEP_2)
	v_lshrrev_b32_e32 v7, 16, v3
	v_cndmask_b32_e64 v4, v5, v4, s0
	v_or_b32_e32 v5, 0xc00, v0
	s_delay_alu instid0(VALU_DEP_3) | instskip(NEXT) | instid1(VALU_DEP_3)
	v_and_b32_e32 v7, 0xff, v7
	v_lshrrev_b32_e32 v8, 16, v4
	s_delay_alu instid0(VALU_DEP_3) | instskip(NEXT) | instid1(VALU_DEP_2)
	v_cmp_gt_i32_e64 s0, s2, v5
	v_and_b32_e32 v8, 0xffffff00, v8
	s_delay_alu instid0(VALU_DEP_2) | instskip(SKIP_1) | instid1(SALU_CYCLE_1)
	v_cndmask_b32_e64 v5, 0, v6, s0
	s_xor_b32 s0, s20, -1
	v_cndmask_b32_e64 v6, 0, 1, s0
	s_xor_b32 s0, s3, -1
	s_delay_alu instid0(VALU_DEP_2)
	v_and_b32_e32 v10, 0xff, v5
	v_cndmask_b32_e64 v9, 0, 1, s0
	s_xor_b32 s0, s12, -1
	v_lshlrev_b16 v6, 8, v6
	v_cndmask_b32_e64 v11, 0, 1, s0
	s_xor_b32 s0, s15, -1
	v_lshlrev_b16 v9, 8, v9
	s_delay_alu instid0(VALU_DEP_3) | instskip(NEXT) | instid1(VALU_DEP_3)
	v_or_b32_e32 v6, v10, v6
	v_or_b32_e32 v8, v11, v8
	v_cndmask_b32_e64 v10, 0, 1, s0
	v_or_b32_e32 v11, 0xd00, v0
	s_xor_b32 s0, s13, -1
	v_and_b32_e32 v6, 0xffff, v6
	v_cndmask_b32_e64 v12, 0, 1, s0
	v_lshlrev_b16 v10, 8, v10
	v_cmp_gt_i32_e64 s0, s2, v11
	v_or_b32_e32 v11, 0x900, v0
	v_or_b32_e32 v7, v7, v9
	s_delay_alu instid0(VALU_DEP_3)
	v_cndmask_b32_e64 v5, v5, v6, s0
	v_lshlrev_b32_e32 v6, 16, v8
	v_or_b32_e32 v8, v12, v10
	v_or_b32_e32 v10, 0x600, v0
	s_xor_b32 s0, s22, -1
	v_lshrrev_b32_e32 v9, 16, v5
	v_and_or_b32 v6, 0xffff, v4, v6
	v_cndmask_b32_e64 v13, 0, 1, s0
	v_cmp_gt_i32_e64 s0, s2, v10
	v_and_b32_e32 v8, 0xffff, v8
	v_and_b32_e32 v9, 0xffffff00, v9
	v_lshlrev_b32_e32 v7, 16, v7
	s_delay_alu instid0(VALU_DEP_4) | instskip(SKIP_2) | instid1(VALU_DEP_4)
	v_cndmask_b32_e64 v4, v4, v6, s0
	v_cmp_gt_i32_e64 s0, s2, v11
	v_or_b32_e32 v11, 0xa00, v0
	v_and_or_b32 v7, 0xffff, v3, v7
	s_delay_alu instid0(VALU_DEP_4) | instskip(NEXT) | instid1(VALU_DEP_4)
	v_lshrrev_b32_e32 v10, 16, v4
	v_cndmask_b32_e64 v6, v12, v8, s0
	s_xor_b32 s0, s18, -1
	v_or_b32_e32 v8, v13, v9
	v_cndmask_b32_e64 v9, 0, 1, s0
	s_xor_b32 s0, s8, -1
	v_or_b32_e32 v13, 0xe00, v0
	v_cndmask_b32_e64 v12, 0, 1, s0
	v_lshlrev_b32_e32 v8, 16, v8
	v_lshl_or_b32 v9, v9, 16, v6
	v_cmp_gt_i32_e64 s0, s2, v11
	s_delay_alu instid0(VALU_DEP_3) | instskip(NEXT) | instid1(VALU_DEP_2)
	v_and_or_b32 v8, 0xffff, v5, v8
	v_cndmask_b32_e64 v9, v6, v9, s0
	v_cmp_gt_i32_e64 s0, s2, v13
	v_and_b32_e32 v6, 0xff, v10
	s_delay_alu instid0(VALU_DEP_3) | instskip(NEXT) | instid1(VALU_DEP_3)
	v_lshrrev_b32_e32 v10, 16, v9
	v_cndmask_b32_e64 v8, v5, v8, s0
	s_xor_b32 s0, s16, -1
	v_lshlrev_b16 v5, 8, v12
	v_cndmask_b32_e64 v11, 0, 1, s0
	s_xor_b32 s0, s19, -1
	v_lshrrev_b32_e32 v12, 16, v8
	v_cndmask_b32_e64 v13, 0, 1, s0
	v_or_b32_e32 v5, v6, v5
	v_and_b32_e32 v6, 0xff, v10
	v_lshlrev_b16 v10, 8, v11
	v_and_b32_e32 v11, 0xff, v12
	v_lshlrev_b16 v12, 8, v13
	v_or_b32_e32 v13, 0x300, v0
	v_lshlrev_b32_e32 v5, 16, v5
	v_or_b32_e32 v10, v6, v10
	s_delay_alu instid0(VALU_DEP_4) | instskip(NEXT) | instid1(VALU_DEP_4)
	v_or_b32_e32 v11, v11, v12
	v_cmp_gt_i32_e64 s0, s2, v13
	s_delay_alu instid0(VALU_DEP_4) | instskip(SKIP_1) | instid1(VALU_DEP_3)
	v_and_or_b32 v5, 0xffff, v4, v5
	v_or_b32_e32 v12, 0xf00, v0
	v_cndmask_b32_e64 v6, v3, v7, s0
	v_or_b32_e32 v7, 0x700, v0
	v_lshlrev_b32_e32 v3, 16, v10
	v_lshlrev_b32_e32 v10, 16, v11
	v_or_b32_e32 v11, 0xb00, v0
	s_delay_alu instid0(VALU_DEP_4) | instskip(NEXT) | instid1(VALU_DEP_4)
	v_cmp_gt_i32_e64 s0, s2, v7
	v_and_or_b32 v3, 0xffff, v9, v3
	s_delay_alu instid0(VALU_DEP_4) | instskip(NEXT) | instid1(VALU_DEP_3)
	v_and_or_b32 v10, 0xffff, v8, v10
	v_cndmask_b32_e64 v5, v4, v5, s0
	v_cmp_gt_i32_e64 s0, s2, v11
	s_delay_alu instid0(VALU_DEP_1) | instskip(SKIP_1) | instid1(VALU_DEP_1)
	v_cndmask_b32_e64 v4, v9, v3, s0
	v_cmp_gt_i32_e64 s0, s2, v12
	v_cndmask_b32_e64 v3, v8, v10, s0
	s_and_saveexec_b32 s0, vcc_lo
	s_cbranch_execnz .LBB2_53
; %bb.36:
	s_or_b32 exec_lo, exec_lo, s0
	s_delay_alu instid0(SALU_CYCLE_1)
	s_mov_b32 s0, exec_lo
	v_cmpx_gt_i32_e64 s2, v0
	s_cbranch_execnz .LBB2_54
.LBB2_37:
	s_or_b32 exec_lo, exec_lo, s0
	s_delay_alu instid0(SALU_CYCLE_1)
	s_mov_b32 s0, exec_lo
	v_cmpx_gt_i32_e64 s2, v0
	s_cbranch_execnz .LBB2_55
.LBB2_38:
	s_or_b32 exec_lo, exec_lo, s0
	s_delay_alu instid0(SALU_CYCLE_1)
	s_mov_b32 s0, exec_lo
	v_cmpx_gt_i32_e64 s2, v0
	s_cbranch_execnz .LBB2_56
.LBB2_39:
	s_or_b32 exec_lo, exec_lo, s0
	s_delay_alu instid0(SALU_CYCLE_1)
	s_mov_b32 s0, exec_lo
	v_cmpx_gt_i32_e64 s2, v0
	s_cbranch_execnz .LBB2_57
.LBB2_40:
	s_or_b32 exec_lo, exec_lo, s0
	s_delay_alu instid0(SALU_CYCLE_1)
	s_mov_b32 s0, exec_lo
	v_cmpx_gt_i32_e64 s2, v0
	s_cbranch_execnz .LBB2_58
.LBB2_41:
	s_or_b32 exec_lo, exec_lo, s0
	s_delay_alu instid0(SALU_CYCLE_1)
	s_mov_b32 s0, exec_lo
	v_cmpx_gt_i32_e64 s2, v0
	s_cbranch_execnz .LBB2_59
.LBB2_42:
	s_or_b32 exec_lo, exec_lo, s0
	s_delay_alu instid0(SALU_CYCLE_1)
	s_mov_b32 s0, exec_lo
	v_cmpx_gt_i32_e64 s2, v0
	s_cbranch_execnz .LBB2_60
.LBB2_43:
	s_or_b32 exec_lo, exec_lo, s0
	s_delay_alu instid0(SALU_CYCLE_1)
	s_mov_b32 s0, exec_lo
	v_cmpx_gt_i32_e64 s2, v0
	s_cbranch_execnz .LBB2_61
.LBB2_44:
	s_or_b32 exec_lo, exec_lo, s0
	s_delay_alu instid0(SALU_CYCLE_1)
	s_mov_b32 s0, exec_lo
	v_cmpx_gt_i32_e64 s2, v0
	s_cbranch_execnz .LBB2_62
.LBB2_45:
	s_or_b32 exec_lo, exec_lo, s0
	s_delay_alu instid0(SALU_CYCLE_1)
	s_mov_b32 s0, exec_lo
	v_cmpx_gt_i32_e64 s2, v0
	s_cbranch_execnz .LBB2_63
.LBB2_46:
	s_or_b32 exec_lo, exec_lo, s0
	s_delay_alu instid0(SALU_CYCLE_1)
	s_mov_b32 s0, exec_lo
	v_cmpx_gt_i32_e64 s2, v0
	s_cbranch_execnz .LBB2_64
.LBB2_47:
	s_or_b32 exec_lo, exec_lo, s0
	s_delay_alu instid0(SALU_CYCLE_1)
	s_mov_b32 s0, exec_lo
	v_cmpx_gt_i32_e64 s2, v0
	s_cbranch_execnz .LBB2_65
.LBB2_48:
	s_or_b32 exec_lo, exec_lo, s0
	s_delay_alu instid0(SALU_CYCLE_1)
	s_mov_b32 s0, exec_lo
	v_cmpx_gt_i32_e64 s2, v0
	s_cbranch_execnz .LBB2_66
.LBB2_49:
	s_or_b32 exec_lo, exec_lo, s0
	s_delay_alu instid0(SALU_CYCLE_1)
	s_mov_b32 s0, exec_lo
	v_cmpx_gt_i32_e64 s2, v0
	s_cbranch_execnz .LBB2_67
.LBB2_50:
	s_or_b32 exec_lo, exec_lo, s0
	s_delay_alu instid0(SALU_CYCLE_1)
	s_mov_b32 s0, exec_lo
	v_cmpx_gt_i32_e64 s2, v0
	s_cbranch_execz .LBB2_52
.LBB2_51:
	v_lshrrev_b32_e32 v1, 24, v3
	v_add_nc_u32_e32 v0, s1, v0
	global_store_b8 v0, v1, s[4:5]
.LBB2_52:
	s_nop 0
	s_sendmsg sendmsg(MSG_DEALLOC_VGPRS)
	s_endpgm
.LBB2_53:
	v_mov_b32_e32 v0, v2
	global_store_b8 v1, v6, s[4:5]
	s_or_b32 exec_lo, exec_lo, s0
	s_delay_alu instid0(SALU_CYCLE_1)
	s_mov_b32 s0, exec_lo
	v_cmpx_gt_i32_e64 s2, v0
	s_cbranch_execz .LBB2_37
.LBB2_54:
	v_lshrrev_b32_e32 v1, 8, v6
	v_add_nc_u32_e32 v2, s1, v0
	v_add_nc_u32_e32 v0, 0x100, v0
	global_store_b8 v2, v1, s[4:5]
	s_or_b32 exec_lo, exec_lo, s0
	s_delay_alu instid0(SALU_CYCLE_1)
	s_mov_b32 s0, exec_lo
	v_cmpx_gt_i32_e64 s2, v0
	s_cbranch_execz .LBB2_38
.LBB2_55:
	v_add_nc_u32_e32 v1, s1, v0
	v_add_nc_u32_e32 v0, 0x100, v0
	global_store_d16_hi_b8 v1, v6, s[4:5]
	s_or_b32 exec_lo, exec_lo, s0
	s_delay_alu instid0(SALU_CYCLE_1)
	s_mov_b32 s0, exec_lo
	v_cmpx_gt_i32_e64 s2, v0
	s_cbranch_execz .LBB2_39
.LBB2_56:
	v_lshrrev_b32_e32 v1, 24, v6
	v_add_nc_u32_e32 v2, s1, v0
	v_add_nc_u32_e32 v0, 0x100, v0
	global_store_b8 v2, v1, s[4:5]
	s_or_b32 exec_lo, exec_lo, s0
	s_delay_alu instid0(SALU_CYCLE_1)
	s_mov_b32 s0, exec_lo
	v_cmpx_gt_i32_e64 s2, v0
	s_cbranch_execz .LBB2_40
.LBB2_57:
	v_add_nc_u32_e32 v1, s1, v0
	v_add_nc_u32_e32 v0, 0x100, v0
	global_store_b8 v1, v5, s[4:5]
	s_or_b32 exec_lo, exec_lo, s0
	s_delay_alu instid0(SALU_CYCLE_1)
	s_mov_b32 s0, exec_lo
	v_cmpx_gt_i32_e64 s2, v0
	s_cbranch_execz .LBB2_41
.LBB2_58:
	v_lshrrev_b32_e32 v1, 8, v5
	v_add_nc_u32_e32 v2, s1, v0
	v_add_nc_u32_e32 v0, 0x100, v0
	global_store_b8 v2, v1, s[4:5]
	s_or_b32 exec_lo, exec_lo, s0
	s_delay_alu instid0(SALU_CYCLE_1)
	s_mov_b32 s0, exec_lo
	v_cmpx_gt_i32_e64 s2, v0
	s_cbranch_execz .LBB2_42
.LBB2_59:
	v_add_nc_u32_e32 v1, s1, v0
	v_add_nc_u32_e32 v0, 0x100, v0
	global_store_d16_hi_b8 v1, v5, s[4:5]
	s_or_b32 exec_lo, exec_lo, s0
	s_delay_alu instid0(SALU_CYCLE_1)
	s_mov_b32 s0, exec_lo
	v_cmpx_gt_i32_e64 s2, v0
	s_cbranch_execz .LBB2_43
.LBB2_60:
	v_lshrrev_b32_e32 v1, 24, v5
	v_add_nc_u32_e32 v2, s1, v0
	v_add_nc_u32_e32 v0, 0x100, v0
	global_store_b8 v2, v1, s[4:5]
	s_or_b32 exec_lo, exec_lo, s0
	s_delay_alu instid0(SALU_CYCLE_1)
	s_mov_b32 s0, exec_lo
	v_cmpx_gt_i32_e64 s2, v0
	s_cbranch_execz .LBB2_44
.LBB2_61:
	v_add_nc_u32_e32 v1, s1, v0
	v_add_nc_u32_e32 v0, 0x100, v0
	global_store_b8 v1, v4, s[4:5]
	s_or_b32 exec_lo, exec_lo, s0
	s_delay_alu instid0(SALU_CYCLE_1)
	s_mov_b32 s0, exec_lo
	v_cmpx_gt_i32_e64 s2, v0
	s_cbranch_execz .LBB2_45
.LBB2_62:
	v_lshrrev_b32_e32 v1, 8, v4
	v_add_nc_u32_e32 v2, s1, v0
	v_add_nc_u32_e32 v0, 0x100, v0
	global_store_b8 v2, v1, s[4:5]
	s_or_b32 exec_lo, exec_lo, s0
	s_delay_alu instid0(SALU_CYCLE_1)
	s_mov_b32 s0, exec_lo
	v_cmpx_gt_i32_e64 s2, v0
	s_cbranch_execz .LBB2_46
.LBB2_63:
	v_add_nc_u32_e32 v1, s1, v0
	v_add_nc_u32_e32 v0, 0x100, v0
	global_store_d16_hi_b8 v1, v4, s[4:5]
	s_or_b32 exec_lo, exec_lo, s0
	s_delay_alu instid0(SALU_CYCLE_1)
	s_mov_b32 s0, exec_lo
	v_cmpx_gt_i32_e64 s2, v0
	s_cbranch_execz .LBB2_47
.LBB2_64:
	v_lshrrev_b32_e32 v1, 24, v4
	v_add_nc_u32_e32 v2, s1, v0
	v_add_nc_u32_e32 v0, 0x100, v0
	global_store_b8 v2, v1, s[4:5]
	s_or_b32 exec_lo, exec_lo, s0
	s_delay_alu instid0(SALU_CYCLE_1)
	s_mov_b32 s0, exec_lo
	v_cmpx_gt_i32_e64 s2, v0
	s_cbranch_execz .LBB2_48
.LBB2_65:
	v_add_nc_u32_e32 v1, s1, v0
	v_add_nc_u32_e32 v0, 0x100, v0
	global_store_b8 v1, v3, s[4:5]
	s_or_b32 exec_lo, exec_lo, s0
	s_delay_alu instid0(SALU_CYCLE_1)
	s_mov_b32 s0, exec_lo
	v_cmpx_gt_i32_e64 s2, v0
	s_cbranch_execz .LBB2_49
.LBB2_66:
	v_lshrrev_b32_e32 v1, 8, v3
	v_add_nc_u32_e32 v2, s1, v0
	v_add_nc_u32_e32 v0, 0x100, v0
	global_store_b8 v2, v1, s[4:5]
	s_or_b32 exec_lo, exec_lo, s0
	s_delay_alu instid0(SALU_CYCLE_1)
	s_mov_b32 s0, exec_lo
	v_cmpx_gt_i32_e64 s2, v0
	s_cbranch_execz .LBB2_50
.LBB2_67:
	v_add_nc_u32_e32 v1, s1, v0
	v_add_nc_u32_e32 v0, 0x100, v0
	global_store_d16_hi_b8 v1, v3, s[4:5]
	s_or_b32 exec_lo, exec_lo, s0
	s_delay_alu instid0(SALU_CYCLE_1)
	s_mov_b32 s0, exec_lo
	v_cmpx_gt_i32_e64 s2, v0
	s_cbranch_execnz .LBB2_51
	s_branch .LBB2_52
	.section	.rodata,"a",@progbits
	.p2align	6, 0x0
	.amdhsa_kernel _ZN2at6native29vectorized_elementwise_kernelILi4EZNS0_23bitwise_not_kernel_cudaERNS_18TensorIteratorBaseEEUlbE_St5arrayIPcLm2EEEEviT0_T1_
		.amdhsa_group_segment_fixed_size 0
		.amdhsa_private_segment_fixed_size 0
		.amdhsa_kernarg_size 24
		.amdhsa_user_sgpr_count 15
		.amdhsa_user_sgpr_dispatch_ptr 0
		.amdhsa_user_sgpr_queue_ptr 0
		.amdhsa_user_sgpr_kernarg_segment_ptr 1
		.amdhsa_user_sgpr_dispatch_id 0
		.amdhsa_user_sgpr_private_segment_size 0
		.amdhsa_wavefront_size32 1
		.amdhsa_uses_dynamic_stack 0
		.amdhsa_enable_private_segment 0
		.amdhsa_system_sgpr_workgroup_id_x 1
		.amdhsa_system_sgpr_workgroup_id_y 0
		.amdhsa_system_sgpr_workgroup_id_z 0
		.amdhsa_system_sgpr_workgroup_info 0
		.amdhsa_system_vgpr_workitem_id 0
		.amdhsa_next_free_vgpr 18
		.amdhsa_next_free_sgpr 24
		.amdhsa_reserve_vcc 1
		.amdhsa_float_round_mode_32 0
		.amdhsa_float_round_mode_16_64 0
		.amdhsa_float_denorm_mode_32 3
		.amdhsa_float_denorm_mode_16_64 3
		.amdhsa_dx10_clamp 1
		.amdhsa_ieee_mode 1
		.amdhsa_fp16_overflow 0
		.amdhsa_workgroup_processor_mode 1
		.amdhsa_memory_ordered 1
		.amdhsa_forward_progress 0
		.amdhsa_shared_vgpr_count 0
		.amdhsa_exception_fp_ieee_invalid_op 0
		.amdhsa_exception_fp_denorm_src 0
		.amdhsa_exception_fp_ieee_div_zero 0
		.amdhsa_exception_fp_ieee_overflow 0
		.amdhsa_exception_fp_ieee_underflow 0
		.amdhsa_exception_fp_ieee_inexact 0
		.amdhsa_exception_int_div_zero 0
	.end_amdhsa_kernel
	.section	.text._ZN2at6native29vectorized_elementwise_kernelILi4EZNS0_23bitwise_not_kernel_cudaERNS_18TensorIteratorBaseEEUlbE_St5arrayIPcLm2EEEEviT0_T1_,"axG",@progbits,_ZN2at6native29vectorized_elementwise_kernelILi4EZNS0_23bitwise_not_kernel_cudaERNS_18TensorIteratorBaseEEUlbE_St5arrayIPcLm2EEEEviT0_T1_,comdat
.Lfunc_end2:
	.size	_ZN2at6native29vectorized_elementwise_kernelILi4EZNS0_23bitwise_not_kernel_cudaERNS_18TensorIteratorBaseEEUlbE_St5arrayIPcLm2EEEEviT0_T1_, .Lfunc_end2-_ZN2at6native29vectorized_elementwise_kernelILi4EZNS0_23bitwise_not_kernel_cudaERNS_18TensorIteratorBaseEEUlbE_St5arrayIPcLm2EEEEviT0_T1_
                                        ; -- End function
	.section	.AMDGPU.csdata,"",@progbits
; Kernel info:
; codeLenInByte = 3696
; NumSgprs: 26
; NumVgprs: 18
; ScratchSize: 0
; MemoryBound: 0
; FloatMode: 240
; IeeeMode: 1
; LDSByteSize: 0 bytes/workgroup (compile time only)
; SGPRBlocks: 3
; VGPRBlocks: 2
; NumSGPRsForWavesPerEU: 26
; NumVGPRsForWavesPerEU: 18
; Occupancy: 16
; WaveLimiterHint : 1
; COMPUTE_PGM_RSRC2:SCRATCH_EN: 0
; COMPUTE_PGM_RSRC2:USER_SGPR: 15
; COMPUTE_PGM_RSRC2:TRAP_HANDLER: 0
; COMPUTE_PGM_RSRC2:TGID_X_EN: 1
; COMPUTE_PGM_RSRC2:TGID_Y_EN: 0
; COMPUTE_PGM_RSRC2:TGID_Z_EN: 0
; COMPUTE_PGM_RSRC2:TIDIG_COMP_CNT: 0
	.section	.text._ZN2at6native29vectorized_elementwise_kernelILi2EZNS0_23bitwise_not_kernel_cudaERNS_18TensorIteratorBaseEEUlbE_St5arrayIPcLm2EEEEviT0_T1_,"axG",@progbits,_ZN2at6native29vectorized_elementwise_kernelILi2EZNS0_23bitwise_not_kernel_cudaERNS_18TensorIteratorBaseEEUlbE_St5arrayIPcLm2EEEEviT0_T1_,comdat
	.globl	_ZN2at6native29vectorized_elementwise_kernelILi2EZNS0_23bitwise_not_kernel_cudaERNS_18TensorIteratorBaseEEUlbE_St5arrayIPcLm2EEEEviT0_T1_ ; -- Begin function _ZN2at6native29vectorized_elementwise_kernelILi2EZNS0_23bitwise_not_kernel_cudaERNS_18TensorIteratorBaseEEUlbE_St5arrayIPcLm2EEEEviT0_T1_
	.p2align	8
	.type	_ZN2at6native29vectorized_elementwise_kernelILi2EZNS0_23bitwise_not_kernel_cudaERNS_18TensorIteratorBaseEEUlbE_St5arrayIPcLm2EEEEviT0_T1_,@function
_ZN2at6native29vectorized_elementwise_kernelILi2EZNS0_23bitwise_not_kernel_cudaERNS_18TensorIteratorBaseEEUlbE_St5arrayIPcLm2EEEEviT0_T1_: ; @_ZN2at6native29vectorized_elementwise_kernelILi2EZNS0_23bitwise_not_kernel_cudaERNS_18TensorIteratorBaseEEUlbE_St5arrayIPcLm2EEEEviT0_T1_
; %bb.0:
	s_clause 0x1
	s_load_b32 s2, s[0:1], 0x0
	s_load_b128 s[4:7], s[0:1], 0x8
	s_lshl_b32 s1, s15, 12
	s_mov_b32 s0, -1
	s_waitcnt lgkmcnt(0)
	s_sub_i32 s2, s2, s1
	s_delay_alu instid0(SALU_CYCLE_1)
	s_cmpk_gt_i32 s2, 0xfff
	s_cbranch_scc0 .LBB3_2
; %bb.1:
	v_lshlrev_b32_e32 v1, 1, v0
	s_ashr_i32 s3, s1, 31
	s_add_u32 s8, s6, s1
	s_addc_u32 s9, s7, s3
	s_mov_b32 s0, 0
	s_clause 0x7
	global_load_u16 v2, v1, s[8:9]
	global_load_u16 v3, v1, s[8:9] offset:512
	global_load_u16 v4, v1, s[8:9] offset:1024
	;; [unrolled: 1-line block ×7, first 2 shown]
	s_add_u32 s8, s4, s1
	s_addc_u32 s9, s5, s3
	s_waitcnt vmcnt(7)
	v_cmp_gt_u16_e32 vcc_lo, 0x100, v2
	v_and_b32_e32 v10, 0xff, v2
	s_waitcnt vmcnt(6)
	v_and_b32_e32 v11, 0xff, v3
	s_waitcnt vmcnt(5)
	;; [unrolled: 2-line block ×3, first 2 shown]
	v_and_b32_e32 v13, 0xff, v5
	v_cndmask_b32_e64 v2, 0, 1, vcc_lo
	v_cmp_gt_u16_e32 vcc_lo, 0x100, v3
	s_waitcnt vmcnt(3)
	v_and_b32_e32 v14, 0xff, v6
	s_waitcnt vmcnt(2)
	v_and_b32_e32 v15, 0xff, v7
	;; [unrolled: 2-line block ×4, first 2 shown]
	v_cndmask_b32_e64 v3, 0, 1, vcc_lo
	v_cmp_gt_u16_e32 vcc_lo, 0x100, v4
	v_lshlrev_b16 v2, 8, v2
	s_delay_alu instid0(VALU_DEP_3) | instskip(SKIP_2) | instid1(VALU_DEP_2)
	v_lshlrev_b16 v3, 8, v3
	v_cndmask_b32_e64 v4, 0, 1, vcc_lo
	v_cmp_gt_u16_e32 vcc_lo, 0x100, v5
	v_lshlrev_b16 v4, 8, v4
	v_cndmask_b32_e64 v5, 0, 1, vcc_lo
	v_cmp_gt_u16_e32 vcc_lo, 0x100, v6
	s_delay_alu instid0(VALU_DEP_2) | instskip(SKIP_2) | instid1(VALU_DEP_2)
	v_lshlrev_b16 v5, 8, v5
	v_cndmask_b32_e64 v6, 0, 1, vcc_lo
	v_cmp_gt_u16_e32 vcc_lo, 0x100, v7
	v_lshlrev_b16 v6, 8, v6
	v_cndmask_b32_e64 v7, 0, 1, vcc_lo
	v_cmp_gt_u16_e32 vcc_lo, 0x100, v8
	s_delay_alu instid0(VALU_DEP_2) | instskip(SKIP_2) | instid1(VALU_DEP_2)
	v_lshlrev_b16 v7, 8, v7
	v_cndmask_b32_e64 v8, 0, 1, vcc_lo
	v_cmp_gt_u16_e32 vcc_lo, 0x100, v9
	v_lshlrev_b16 v8, 8, v8
	v_cndmask_b32_e64 v9, 0, 1, vcc_lo
	v_cmp_eq_u16_e32 vcc_lo, 0, v10
	s_delay_alu instid0(VALU_DEP_2) | instskip(SKIP_2) | instid1(VALU_DEP_2)
	v_lshlrev_b16 v9, 8, v9
	v_cndmask_b32_e64 v10, 0, 1, vcc_lo
	v_cmp_eq_u16_e32 vcc_lo, 0, v11
	v_or_b32_e32 v2, v2, v10
	v_cndmask_b32_e64 v11, 0, 1, vcc_lo
	v_cmp_eq_u16_e32 vcc_lo, 0, v12
	s_delay_alu instid0(VALU_DEP_2) | instskip(SKIP_2) | instid1(VALU_DEP_2)
	v_or_b32_e32 v3, v3, v11
	v_cndmask_b32_e64 v12, 0, 1, vcc_lo
	v_cmp_eq_u16_e32 vcc_lo, 0, v13
	v_or_b32_e32 v4, v4, v12
	v_cndmask_b32_e64 v13, 0, 1, vcc_lo
	v_cmp_eq_u16_e32 vcc_lo, 0, v14
	s_delay_alu instid0(VALU_DEP_2) | instskip(SKIP_2) | instid1(VALU_DEP_2)
	v_or_b32_e32 v5, v5, v13
	;; [unrolled: 7-line block ×3, first 2 shown]
	v_cndmask_b32_e64 v16, 0, 1, vcc_lo
	v_cmp_eq_u16_e32 vcc_lo, 0, v17
	v_or_b32_e32 v8, v8, v16
	v_cndmask_b32_e64 v17, 0, 1, vcc_lo
	s_delay_alu instid0(VALU_DEP_1)
	v_or_b32_e32 v9, v9, v17
	s_clause 0x7
	global_store_b16 v1, v2, s[8:9]
	global_store_b16 v1, v3, s[8:9] offset:512
	global_store_b16 v1, v4, s[8:9] offset:1024
	;; [unrolled: 1-line block ×7, first 2 shown]
.LBB3_2:
	s_and_not1_b32 vcc_lo, exec_lo, s0
	s_cbranch_vccnz .LBB3_52
; %bb.3:
	v_cmp_gt_i32_e32 vcc_lo, s2, v0
	v_or_b32_e32 v1, s1, v0
	v_or_b32_e32 v2, 0x100, v0
	v_mov_b32_e32 v3, v0
	s_mov_b32 s10, 0
	s_mov_b32 s9, 0
	s_and_saveexec_b32 s3, vcc_lo
	s_cbranch_execz .LBB3_5
; %bb.4:
	global_load_u8 v3, v1, s[6:7]
	s_waitcnt vmcnt(0)
	v_cmp_ne_u16_e64 s0, 0, v3
	v_or_b32_e32 v3, 0x100, v0
	s_delay_alu instid0(VALU_DEP_2)
	s_and_b32 s9, s0, exec_lo
.LBB3_5:
	s_or_b32 exec_lo, exec_lo, s3
	s_delay_alu instid0(SALU_CYCLE_1) | instskip(NEXT) | instid1(VALU_DEP_1)
	s_mov_b32 s3, exec_lo
	v_cmpx_gt_i32_e64 s2, v3
	s_cbranch_execz .LBB3_7
; %bb.6:
	v_add_nc_u32_e32 v4, s1, v3
	v_add_nc_u32_e32 v3, 0x100, v3
	global_load_u8 v4, v4, s[6:7]
	s_waitcnt vmcnt(0)
	v_cmp_ne_u16_e64 s0, 0, v4
	s_delay_alu instid0(VALU_DEP_1)
	s_and_b32 s10, s0, exec_lo
.LBB3_7:
	s_or_b32 exec_lo, exec_lo, s3
	s_mov_b32 s3, 0
	s_mov_b32 s11, 0
	s_mov_b32 s8, exec_lo
	v_cmpx_gt_i32_e64 s2, v3
	s_cbranch_execz .LBB3_9
; %bb.8:
	v_add_nc_u32_e32 v4, s1, v3
	v_add_nc_u32_e32 v3, 0x100, v3
	global_load_u8 v4, v4, s[6:7]
	s_waitcnt vmcnt(0)
	v_cmp_ne_u16_e64 s0, 0, v4
	s_delay_alu instid0(VALU_DEP_1)
	s_and_b32 s11, s0, exec_lo
.LBB3_9:
	s_or_b32 exec_lo, exec_lo, s8
	s_delay_alu instid0(SALU_CYCLE_1)
	s_mov_b32 s8, exec_lo
	v_cmpx_gt_i32_e64 s2, v3
	s_cbranch_execz .LBB3_11
; %bb.10:
	v_add_nc_u32_e32 v4, s1, v3
	v_add_nc_u32_e32 v3, 0x100, v3
	global_load_u8 v4, v4, s[6:7]
	s_waitcnt vmcnt(0)
	v_cmp_ne_u16_e64 s0, 0, v4
	s_delay_alu instid0(VALU_DEP_1)
	s_and_b32 s3, s0, exec_lo
.LBB3_11:
	s_or_b32 exec_lo, exec_lo, s8
	s_mov_b32 s14, 0
	s_mov_b32 s17, 0
	s_mov_b32 s8, exec_lo
	v_cmpx_gt_i32_e64 s2, v3
	s_cbranch_execz .LBB3_13
; %bb.12:
	v_add_nc_u32_e32 v4, s1, v3
	v_add_nc_u32_e32 v3, 0x100, v3
	global_load_u8 v4, v4, s[6:7]
	s_waitcnt vmcnt(0)
	v_cmp_ne_u16_e64 s0, 0, v4
	s_delay_alu instid0(VALU_DEP_1)
	s_and_b32 s17, s0, exec_lo
.LBB3_13:
	s_or_b32 exec_lo, exec_lo, s8
	s_delay_alu instid0(SALU_CYCLE_1)
	;; [unrolled: 29-line block ×7, first 2 shown]
	s_mov_b32 s23, exec_lo
	v_cmpx_gt_i32_e64 s2, v3
	s_cbranch_execz .LBB3_35
; %bb.34:
	v_add_nc_u32_e32 v3, s1, v3
	global_load_u8 v3, v3, s[6:7]
	s_waitcnt vmcnt(0)
	v_cmp_ne_u16_e64 s0, 0, v3
	s_delay_alu instid0(VALU_DEP_1)
	s_and_b32 s19, s0, exec_lo
.LBB3_35:
	s_or_b32 exec_lo, exec_lo, s23
	s_xor_b32 s0, s10, -1
	v_or_b32_e32 v6, 0x400, v0
	v_cndmask_b32_e64 v3, 0, 1, s0
	s_xor_b32 s0, s9, -1
	s_delay_alu instid0(SALU_CYCLE_1) | instskip(SKIP_1) | instid1(VALU_DEP_2)
	v_cndmask_b32_e64 v4, 0, 1, s0
	s_xor_b32 s0, s17, -1
	v_lshlrev_b16 v3, 8, v3
	v_cndmask_b32_e64 v5, 0, 1, s0
	s_xor_b32 s0, s14, -1
	s_delay_alu instid0(SALU_CYCLE_1) | instskip(SKIP_1) | instid1(VALU_DEP_3)
	v_cndmask_b32_e64 v7, 0, 1, s0
	v_cmp_gt_i32_e64 s0, s2, v6
	v_and_b32_e32 v5, 0xffff, v5
	v_or_b32_e32 v3, v4, v3
	s_delay_alu instid0(VALU_DEP_4) | instskip(NEXT) | instid1(VALU_DEP_3)
	v_lshlrev_b16 v6, 8, v7
	v_cndmask_b32_e64 v5, 0, v5, s0
	s_xor_b32 s0, s11, -1
	s_delay_alu instid0(VALU_DEP_3) | instskip(SKIP_3) | instid1(VALU_DEP_2)
	v_and_b32_e32 v3, 0xffff, v3
	v_cndmask_b32_e64 v8, 0, 1, s0
	v_cmp_gt_i32_e64 s0, s2, v2
	v_and_b32_e32 v7, 0xff, v5
	v_cndmask_b32_e64 v3, v4, v3, s0
	s_delay_alu instid0(VALU_DEP_2)
	v_or_b32_e32 v4, v7, v6
	v_or_b32_e32 v6, 0x200, v0
	s_xor_b32 s0, s21, -1
	v_or_b32_e32 v7, 0x500, v0
	v_lshl_or_b32 v8, v8, 16, v3
	v_cndmask_b32_e64 v9, 0, 1, s0
	v_cmp_gt_i32_e64 s0, s2, v6
	v_and_b32_e32 v4, 0xffff, v4
	s_delay_alu instid0(VALU_DEP_3) | instskip(NEXT) | instid1(VALU_DEP_3)
	v_and_b32_e32 v6, 0xffff, v9
	v_cndmask_b32_e64 v3, v3, v8, s0
	v_cmp_gt_i32_e64 s0, s2, v7
	s_delay_alu instid0(VALU_DEP_2) | instskip(NEXT) | instid1(VALU_DEP_2)
	v_lshrrev_b32_e32 v7, 16, v3
	v_cndmask_b32_e64 v4, v5, v4, s0
	v_or_b32_e32 v5, 0xc00, v0
	s_delay_alu instid0(VALU_DEP_3) | instskip(NEXT) | instid1(VALU_DEP_3)
	v_and_b32_e32 v7, 0xff, v7
	v_lshrrev_b32_e32 v8, 16, v4
	s_delay_alu instid0(VALU_DEP_3) | instskip(NEXT) | instid1(VALU_DEP_2)
	v_cmp_gt_i32_e64 s0, s2, v5
	v_and_b32_e32 v8, 0xffffff00, v8
	s_delay_alu instid0(VALU_DEP_2) | instskip(SKIP_1) | instid1(SALU_CYCLE_1)
	v_cndmask_b32_e64 v5, 0, v6, s0
	s_xor_b32 s0, s20, -1
	v_cndmask_b32_e64 v6, 0, 1, s0
	s_xor_b32 s0, s3, -1
	s_delay_alu instid0(VALU_DEP_2)
	v_and_b32_e32 v10, 0xff, v5
	v_cndmask_b32_e64 v9, 0, 1, s0
	s_xor_b32 s0, s12, -1
	v_lshlrev_b16 v6, 8, v6
	v_cndmask_b32_e64 v11, 0, 1, s0
	s_xor_b32 s0, s15, -1
	v_lshlrev_b16 v9, 8, v9
	s_delay_alu instid0(VALU_DEP_3) | instskip(NEXT) | instid1(VALU_DEP_3)
	v_or_b32_e32 v6, v10, v6
	v_or_b32_e32 v8, v11, v8
	v_cndmask_b32_e64 v10, 0, 1, s0
	v_or_b32_e32 v11, 0xd00, v0
	s_xor_b32 s0, s13, -1
	v_and_b32_e32 v6, 0xffff, v6
	v_cndmask_b32_e64 v12, 0, 1, s0
	v_lshlrev_b16 v10, 8, v10
	v_cmp_gt_i32_e64 s0, s2, v11
	v_or_b32_e32 v11, 0x900, v0
	v_or_b32_e32 v7, v7, v9
	s_delay_alu instid0(VALU_DEP_3)
	v_cndmask_b32_e64 v5, v5, v6, s0
	v_lshlrev_b32_e32 v6, 16, v8
	v_or_b32_e32 v8, v12, v10
	v_or_b32_e32 v10, 0x600, v0
	s_xor_b32 s0, s22, -1
	v_lshrrev_b32_e32 v9, 16, v5
	v_and_or_b32 v6, 0xffff, v4, v6
	v_cndmask_b32_e64 v13, 0, 1, s0
	v_cmp_gt_i32_e64 s0, s2, v10
	v_and_b32_e32 v8, 0xffff, v8
	v_and_b32_e32 v9, 0xffffff00, v9
	v_lshlrev_b32_e32 v7, 16, v7
	s_delay_alu instid0(VALU_DEP_4) | instskip(SKIP_2) | instid1(VALU_DEP_4)
	v_cndmask_b32_e64 v4, v4, v6, s0
	v_cmp_gt_i32_e64 s0, s2, v11
	v_or_b32_e32 v11, 0xa00, v0
	v_and_or_b32 v7, 0xffff, v3, v7
	s_delay_alu instid0(VALU_DEP_4) | instskip(NEXT) | instid1(VALU_DEP_4)
	v_lshrrev_b32_e32 v10, 16, v4
	v_cndmask_b32_e64 v6, v12, v8, s0
	s_xor_b32 s0, s18, -1
	v_or_b32_e32 v8, v13, v9
	v_cndmask_b32_e64 v9, 0, 1, s0
	s_xor_b32 s0, s8, -1
	v_or_b32_e32 v13, 0xe00, v0
	v_cndmask_b32_e64 v12, 0, 1, s0
	v_lshlrev_b32_e32 v8, 16, v8
	v_lshl_or_b32 v9, v9, 16, v6
	v_cmp_gt_i32_e64 s0, s2, v11
	s_delay_alu instid0(VALU_DEP_3) | instskip(NEXT) | instid1(VALU_DEP_2)
	v_and_or_b32 v8, 0xffff, v5, v8
	v_cndmask_b32_e64 v9, v6, v9, s0
	v_cmp_gt_i32_e64 s0, s2, v13
	v_and_b32_e32 v6, 0xff, v10
	s_delay_alu instid0(VALU_DEP_3) | instskip(NEXT) | instid1(VALU_DEP_3)
	v_lshrrev_b32_e32 v10, 16, v9
	v_cndmask_b32_e64 v8, v5, v8, s0
	s_xor_b32 s0, s16, -1
	v_lshlrev_b16 v5, 8, v12
	v_cndmask_b32_e64 v11, 0, 1, s0
	s_xor_b32 s0, s19, -1
	v_lshrrev_b32_e32 v12, 16, v8
	v_cndmask_b32_e64 v13, 0, 1, s0
	v_or_b32_e32 v5, v6, v5
	v_and_b32_e32 v6, 0xff, v10
	v_lshlrev_b16 v10, 8, v11
	v_and_b32_e32 v11, 0xff, v12
	v_lshlrev_b16 v12, 8, v13
	v_or_b32_e32 v13, 0x300, v0
	v_lshlrev_b32_e32 v5, 16, v5
	v_or_b32_e32 v10, v6, v10
	s_delay_alu instid0(VALU_DEP_4) | instskip(NEXT) | instid1(VALU_DEP_4)
	v_or_b32_e32 v11, v11, v12
	v_cmp_gt_i32_e64 s0, s2, v13
	s_delay_alu instid0(VALU_DEP_4) | instskip(SKIP_1) | instid1(VALU_DEP_3)
	v_and_or_b32 v5, 0xffff, v4, v5
	v_or_b32_e32 v12, 0xf00, v0
	v_cndmask_b32_e64 v6, v3, v7, s0
	v_or_b32_e32 v7, 0x700, v0
	v_lshlrev_b32_e32 v3, 16, v10
	v_lshlrev_b32_e32 v10, 16, v11
	v_or_b32_e32 v11, 0xb00, v0
	s_delay_alu instid0(VALU_DEP_4) | instskip(NEXT) | instid1(VALU_DEP_4)
	v_cmp_gt_i32_e64 s0, s2, v7
	v_and_or_b32 v3, 0xffff, v9, v3
	s_delay_alu instid0(VALU_DEP_4) | instskip(NEXT) | instid1(VALU_DEP_3)
	v_and_or_b32 v10, 0xffff, v8, v10
	v_cndmask_b32_e64 v5, v4, v5, s0
	v_cmp_gt_i32_e64 s0, s2, v11
	s_delay_alu instid0(VALU_DEP_1) | instskip(SKIP_1) | instid1(VALU_DEP_1)
	v_cndmask_b32_e64 v4, v9, v3, s0
	v_cmp_gt_i32_e64 s0, s2, v12
	v_cndmask_b32_e64 v3, v8, v10, s0
	s_and_saveexec_b32 s0, vcc_lo
	s_cbranch_execnz .LBB3_53
; %bb.36:
	s_or_b32 exec_lo, exec_lo, s0
	s_delay_alu instid0(SALU_CYCLE_1)
	s_mov_b32 s0, exec_lo
	v_cmpx_gt_i32_e64 s2, v0
	s_cbranch_execnz .LBB3_54
.LBB3_37:
	s_or_b32 exec_lo, exec_lo, s0
	s_delay_alu instid0(SALU_CYCLE_1)
	s_mov_b32 s0, exec_lo
	v_cmpx_gt_i32_e64 s2, v0
	s_cbranch_execnz .LBB3_55
.LBB3_38:
	s_or_b32 exec_lo, exec_lo, s0
	s_delay_alu instid0(SALU_CYCLE_1)
	s_mov_b32 s0, exec_lo
	v_cmpx_gt_i32_e64 s2, v0
	s_cbranch_execnz .LBB3_56
.LBB3_39:
	s_or_b32 exec_lo, exec_lo, s0
	s_delay_alu instid0(SALU_CYCLE_1)
	s_mov_b32 s0, exec_lo
	v_cmpx_gt_i32_e64 s2, v0
	s_cbranch_execnz .LBB3_57
.LBB3_40:
	s_or_b32 exec_lo, exec_lo, s0
	s_delay_alu instid0(SALU_CYCLE_1)
	s_mov_b32 s0, exec_lo
	v_cmpx_gt_i32_e64 s2, v0
	s_cbranch_execnz .LBB3_58
.LBB3_41:
	s_or_b32 exec_lo, exec_lo, s0
	s_delay_alu instid0(SALU_CYCLE_1)
	s_mov_b32 s0, exec_lo
	v_cmpx_gt_i32_e64 s2, v0
	s_cbranch_execnz .LBB3_59
.LBB3_42:
	s_or_b32 exec_lo, exec_lo, s0
	s_delay_alu instid0(SALU_CYCLE_1)
	s_mov_b32 s0, exec_lo
	v_cmpx_gt_i32_e64 s2, v0
	s_cbranch_execnz .LBB3_60
.LBB3_43:
	s_or_b32 exec_lo, exec_lo, s0
	s_delay_alu instid0(SALU_CYCLE_1)
	s_mov_b32 s0, exec_lo
	v_cmpx_gt_i32_e64 s2, v0
	s_cbranch_execnz .LBB3_61
.LBB3_44:
	s_or_b32 exec_lo, exec_lo, s0
	s_delay_alu instid0(SALU_CYCLE_1)
	s_mov_b32 s0, exec_lo
	v_cmpx_gt_i32_e64 s2, v0
	s_cbranch_execnz .LBB3_62
.LBB3_45:
	s_or_b32 exec_lo, exec_lo, s0
	s_delay_alu instid0(SALU_CYCLE_1)
	s_mov_b32 s0, exec_lo
	v_cmpx_gt_i32_e64 s2, v0
	s_cbranch_execnz .LBB3_63
.LBB3_46:
	s_or_b32 exec_lo, exec_lo, s0
	s_delay_alu instid0(SALU_CYCLE_1)
	s_mov_b32 s0, exec_lo
	v_cmpx_gt_i32_e64 s2, v0
	s_cbranch_execnz .LBB3_64
.LBB3_47:
	s_or_b32 exec_lo, exec_lo, s0
	s_delay_alu instid0(SALU_CYCLE_1)
	s_mov_b32 s0, exec_lo
	v_cmpx_gt_i32_e64 s2, v0
	s_cbranch_execnz .LBB3_65
.LBB3_48:
	s_or_b32 exec_lo, exec_lo, s0
	s_delay_alu instid0(SALU_CYCLE_1)
	s_mov_b32 s0, exec_lo
	v_cmpx_gt_i32_e64 s2, v0
	s_cbranch_execnz .LBB3_66
.LBB3_49:
	s_or_b32 exec_lo, exec_lo, s0
	s_delay_alu instid0(SALU_CYCLE_1)
	s_mov_b32 s0, exec_lo
	v_cmpx_gt_i32_e64 s2, v0
	s_cbranch_execnz .LBB3_67
.LBB3_50:
	s_or_b32 exec_lo, exec_lo, s0
	s_delay_alu instid0(SALU_CYCLE_1)
	s_mov_b32 s0, exec_lo
	v_cmpx_gt_i32_e64 s2, v0
	s_cbranch_execz .LBB3_52
.LBB3_51:
	v_lshrrev_b32_e32 v1, 24, v3
	v_add_nc_u32_e32 v0, s1, v0
	global_store_b8 v0, v1, s[4:5]
.LBB3_52:
	s_nop 0
	s_sendmsg sendmsg(MSG_DEALLOC_VGPRS)
	s_endpgm
.LBB3_53:
	v_mov_b32_e32 v0, v2
	global_store_b8 v1, v6, s[4:5]
	s_or_b32 exec_lo, exec_lo, s0
	s_delay_alu instid0(SALU_CYCLE_1)
	s_mov_b32 s0, exec_lo
	v_cmpx_gt_i32_e64 s2, v0
	s_cbranch_execz .LBB3_37
.LBB3_54:
	v_lshrrev_b32_e32 v1, 8, v6
	v_add_nc_u32_e32 v2, s1, v0
	v_add_nc_u32_e32 v0, 0x100, v0
	global_store_b8 v2, v1, s[4:5]
	s_or_b32 exec_lo, exec_lo, s0
	s_delay_alu instid0(SALU_CYCLE_1)
	s_mov_b32 s0, exec_lo
	v_cmpx_gt_i32_e64 s2, v0
	s_cbranch_execz .LBB3_38
.LBB3_55:
	v_add_nc_u32_e32 v1, s1, v0
	v_add_nc_u32_e32 v0, 0x100, v0
	global_store_d16_hi_b8 v1, v6, s[4:5]
	s_or_b32 exec_lo, exec_lo, s0
	s_delay_alu instid0(SALU_CYCLE_1)
	s_mov_b32 s0, exec_lo
	v_cmpx_gt_i32_e64 s2, v0
	s_cbranch_execz .LBB3_39
.LBB3_56:
	v_lshrrev_b32_e32 v1, 24, v6
	v_add_nc_u32_e32 v2, s1, v0
	v_add_nc_u32_e32 v0, 0x100, v0
	global_store_b8 v2, v1, s[4:5]
	s_or_b32 exec_lo, exec_lo, s0
	s_delay_alu instid0(SALU_CYCLE_1)
	s_mov_b32 s0, exec_lo
	v_cmpx_gt_i32_e64 s2, v0
	s_cbranch_execz .LBB3_40
.LBB3_57:
	v_add_nc_u32_e32 v1, s1, v0
	v_add_nc_u32_e32 v0, 0x100, v0
	global_store_b8 v1, v5, s[4:5]
	s_or_b32 exec_lo, exec_lo, s0
	s_delay_alu instid0(SALU_CYCLE_1)
	s_mov_b32 s0, exec_lo
	v_cmpx_gt_i32_e64 s2, v0
	s_cbranch_execz .LBB3_41
.LBB3_58:
	v_lshrrev_b32_e32 v1, 8, v5
	v_add_nc_u32_e32 v2, s1, v0
	v_add_nc_u32_e32 v0, 0x100, v0
	global_store_b8 v2, v1, s[4:5]
	s_or_b32 exec_lo, exec_lo, s0
	s_delay_alu instid0(SALU_CYCLE_1)
	s_mov_b32 s0, exec_lo
	v_cmpx_gt_i32_e64 s2, v0
	s_cbranch_execz .LBB3_42
.LBB3_59:
	v_add_nc_u32_e32 v1, s1, v0
	v_add_nc_u32_e32 v0, 0x100, v0
	global_store_d16_hi_b8 v1, v5, s[4:5]
	s_or_b32 exec_lo, exec_lo, s0
	s_delay_alu instid0(SALU_CYCLE_1)
	s_mov_b32 s0, exec_lo
	v_cmpx_gt_i32_e64 s2, v0
	s_cbranch_execz .LBB3_43
.LBB3_60:
	v_lshrrev_b32_e32 v1, 24, v5
	v_add_nc_u32_e32 v2, s1, v0
	v_add_nc_u32_e32 v0, 0x100, v0
	global_store_b8 v2, v1, s[4:5]
	s_or_b32 exec_lo, exec_lo, s0
	s_delay_alu instid0(SALU_CYCLE_1)
	s_mov_b32 s0, exec_lo
	v_cmpx_gt_i32_e64 s2, v0
	s_cbranch_execz .LBB3_44
.LBB3_61:
	v_add_nc_u32_e32 v1, s1, v0
	v_add_nc_u32_e32 v0, 0x100, v0
	global_store_b8 v1, v4, s[4:5]
	s_or_b32 exec_lo, exec_lo, s0
	s_delay_alu instid0(SALU_CYCLE_1)
	s_mov_b32 s0, exec_lo
	v_cmpx_gt_i32_e64 s2, v0
	s_cbranch_execz .LBB3_45
.LBB3_62:
	v_lshrrev_b32_e32 v1, 8, v4
	v_add_nc_u32_e32 v2, s1, v0
	v_add_nc_u32_e32 v0, 0x100, v0
	global_store_b8 v2, v1, s[4:5]
	s_or_b32 exec_lo, exec_lo, s0
	s_delay_alu instid0(SALU_CYCLE_1)
	s_mov_b32 s0, exec_lo
	v_cmpx_gt_i32_e64 s2, v0
	s_cbranch_execz .LBB3_46
.LBB3_63:
	v_add_nc_u32_e32 v1, s1, v0
	v_add_nc_u32_e32 v0, 0x100, v0
	global_store_d16_hi_b8 v1, v4, s[4:5]
	s_or_b32 exec_lo, exec_lo, s0
	s_delay_alu instid0(SALU_CYCLE_1)
	s_mov_b32 s0, exec_lo
	v_cmpx_gt_i32_e64 s2, v0
	s_cbranch_execz .LBB3_47
.LBB3_64:
	v_lshrrev_b32_e32 v1, 24, v4
	v_add_nc_u32_e32 v2, s1, v0
	v_add_nc_u32_e32 v0, 0x100, v0
	global_store_b8 v2, v1, s[4:5]
	s_or_b32 exec_lo, exec_lo, s0
	s_delay_alu instid0(SALU_CYCLE_1)
	s_mov_b32 s0, exec_lo
	v_cmpx_gt_i32_e64 s2, v0
	s_cbranch_execz .LBB3_48
.LBB3_65:
	v_add_nc_u32_e32 v1, s1, v0
	v_add_nc_u32_e32 v0, 0x100, v0
	global_store_b8 v1, v3, s[4:5]
	s_or_b32 exec_lo, exec_lo, s0
	s_delay_alu instid0(SALU_CYCLE_1)
	s_mov_b32 s0, exec_lo
	v_cmpx_gt_i32_e64 s2, v0
	s_cbranch_execz .LBB3_49
.LBB3_66:
	v_lshrrev_b32_e32 v1, 8, v3
	v_add_nc_u32_e32 v2, s1, v0
	v_add_nc_u32_e32 v0, 0x100, v0
	global_store_b8 v2, v1, s[4:5]
	s_or_b32 exec_lo, exec_lo, s0
	s_delay_alu instid0(SALU_CYCLE_1)
	s_mov_b32 s0, exec_lo
	v_cmpx_gt_i32_e64 s2, v0
	s_cbranch_execz .LBB3_50
.LBB3_67:
	v_add_nc_u32_e32 v1, s1, v0
	v_add_nc_u32_e32 v0, 0x100, v0
	global_store_d16_hi_b8 v1, v3, s[4:5]
	s_or_b32 exec_lo, exec_lo, s0
	s_delay_alu instid0(SALU_CYCLE_1)
	s_mov_b32 s0, exec_lo
	v_cmpx_gt_i32_e64 s2, v0
	s_cbranch_execnz .LBB3_51
	s_branch .LBB3_52
	.section	.rodata,"a",@progbits
	.p2align	6, 0x0
	.amdhsa_kernel _ZN2at6native29vectorized_elementwise_kernelILi2EZNS0_23bitwise_not_kernel_cudaERNS_18TensorIteratorBaseEEUlbE_St5arrayIPcLm2EEEEviT0_T1_
		.amdhsa_group_segment_fixed_size 0
		.amdhsa_private_segment_fixed_size 0
		.amdhsa_kernarg_size 24
		.amdhsa_user_sgpr_count 15
		.amdhsa_user_sgpr_dispatch_ptr 0
		.amdhsa_user_sgpr_queue_ptr 0
		.amdhsa_user_sgpr_kernarg_segment_ptr 1
		.amdhsa_user_sgpr_dispatch_id 0
		.amdhsa_user_sgpr_private_segment_size 0
		.amdhsa_wavefront_size32 1
		.amdhsa_uses_dynamic_stack 0
		.amdhsa_enable_private_segment 0
		.amdhsa_system_sgpr_workgroup_id_x 1
		.amdhsa_system_sgpr_workgroup_id_y 0
		.amdhsa_system_sgpr_workgroup_id_z 0
		.amdhsa_system_sgpr_workgroup_info 0
		.amdhsa_system_vgpr_workitem_id 0
		.amdhsa_next_free_vgpr 18
		.amdhsa_next_free_sgpr 24
		.amdhsa_reserve_vcc 1
		.amdhsa_float_round_mode_32 0
		.amdhsa_float_round_mode_16_64 0
		.amdhsa_float_denorm_mode_32 3
		.amdhsa_float_denorm_mode_16_64 3
		.amdhsa_dx10_clamp 1
		.amdhsa_ieee_mode 1
		.amdhsa_fp16_overflow 0
		.amdhsa_workgroup_processor_mode 1
		.amdhsa_memory_ordered 1
		.amdhsa_forward_progress 0
		.amdhsa_shared_vgpr_count 0
		.amdhsa_exception_fp_ieee_invalid_op 0
		.amdhsa_exception_fp_denorm_src 0
		.amdhsa_exception_fp_ieee_div_zero 0
		.amdhsa_exception_fp_ieee_overflow 0
		.amdhsa_exception_fp_ieee_underflow 0
		.amdhsa_exception_fp_ieee_inexact 0
		.amdhsa_exception_int_div_zero 0
	.end_amdhsa_kernel
	.section	.text._ZN2at6native29vectorized_elementwise_kernelILi2EZNS0_23bitwise_not_kernel_cudaERNS_18TensorIteratorBaseEEUlbE_St5arrayIPcLm2EEEEviT0_T1_,"axG",@progbits,_ZN2at6native29vectorized_elementwise_kernelILi2EZNS0_23bitwise_not_kernel_cudaERNS_18TensorIteratorBaseEEUlbE_St5arrayIPcLm2EEEEviT0_T1_,comdat
.Lfunc_end3:
	.size	_ZN2at6native29vectorized_elementwise_kernelILi2EZNS0_23bitwise_not_kernel_cudaERNS_18TensorIteratorBaseEEUlbE_St5arrayIPcLm2EEEEviT0_T1_, .Lfunc_end3-_ZN2at6native29vectorized_elementwise_kernelILi2EZNS0_23bitwise_not_kernel_cudaERNS_18TensorIteratorBaseEEUlbE_St5arrayIPcLm2EEEEviT0_T1_
                                        ; -- End function
	.section	.AMDGPU.csdata,"",@progbits
; Kernel info:
; codeLenInByte = 3764
; NumSgprs: 26
; NumVgprs: 18
; ScratchSize: 0
; MemoryBound: 0
; FloatMode: 240
; IeeeMode: 1
; LDSByteSize: 0 bytes/workgroup (compile time only)
; SGPRBlocks: 3
; VGPRBlocks: 2
; NumSGPRsForWavesPerEU: 26
; NumVGPRsForWavesPerEU: 18
; Occupancy: 16
; WaveLimiterHint : 1
; COMPUTE_PGM_RSRC2:SCRATCH_EN: 0
; COMPUTE_PGM_RSRC2:USER_SGPR: 15
; COMPUTE_PGM_RSRC2:TRAP_HANDLER: 0
; COMPUTE_PGM_RSRC2:TGID_X_EN: 1
; COMPUTE_PGM_RSRC2:TGID_Y_EN: 0
; COMPUTE_PGM_RSRC2:TGID_Z_EN: 0
; COMPUTE_PGM_RSRC2:TIDIG_COMP_CNT: 0
	.section	.text._ZN2at6native27unrolled_elementwise_kernelIZNS0_23bitwise_not_kernel_cudaERNS_18TensorIteratorBaseEEUlbE_St5arrayIPcLm2EELi4E23TrivialOffsetCalculatorILi1EjES9_NS0_6memory15LoadWithoutCastENSA_16StoreWithoutCastEEEviT_T0_T2_T3_T4_T5_,"axG",@progbits,_ZN2at6native27unrolled_elementwise_kernelIZNS0_23bitwise_not_kernel_cudaERNS_18TensorIteratorBaseEEUlbE_St5arrayIPcLm2EELi4E23TrivialOffsetCalculatorILi1EjES9_NS0_6memory15LoadWithoutCastENSA_16StoreWithoutCastEEEviT_T0_T2_T3_T4_T5_,comdat
	.globl	_ZN2at6native27unrolled_elementwise_kernelIZNS0_23bitwise_not_kernel_cudaERNS_18TensorIteratorBaseEEUlbE_St5arrayIPcLm2EELi4E23TrivialOffsetCalculatorILi1EjES9_NS0_6memory15LoadWithoutCastENSA_16StoreWithoutCastEEEviT_T0_T2_T3_T4_T5_ ; -- Begin function _ZN2at6native27unrolled_elementwise_kernelIZNS0_23bitwise_not_kernel_cudaERNS_18TensorIteratorBaseEEUlbE_St5arrayIPcLm2EELi4E23TrivialOffsetCalculatorILi1EjES9_NS0_6memory15LoadWithoutCastENSA_16StoreWithoutCastEEEviT_T0_T2_T3_T4_T5_
	.p2align	8
	.type	_ZN2at6native27unrolled_elementwise_kernelIZNS0_23bitwise_not_kernel_cudaERNS_18TensorIteratorBaseEEUlbE_St5arrayIPcLm2EELi4E23TrivialOffsetCalculatorILi1EjES9_NS0_6memory15LoadWithoutCastENSA_16StoreWithoutCastEEEviT_T0_T2_T3_T4_T5_,@function
_ZN2at6native27unrolled_elementwise_kernelIZNS0_23bitwise_not_kernel_cudaERNS_18TensorIteratorBaseEEUlbE_St5arrayIPcLm2EELi4E23TrivialOffsetCalculatorILi1EjES9_NS0_6memory15LoadWithoutCastENSA_16StoreWithoutCastEEEviT_T0_T2_T3_T4_T5_: ; @_ZN2at6native27unrolled_elementwise_kernelIZNS0_23bitwise_not_kernel_cudaERNS_18TensorIteratorBaseEEUlbE_St5arrayIPcLm2EELi4E23TrivialOffsetCalculatorILi1EjES9_NS0_6memory15LoadWithoutCastENSA_16StoreWithoutCastEEEviT_T0_T2_T3_T4_T5_
; %bb.0:
	s_clause 0x1
	s_load_b32 s2, s[0:1], 0x0
	s_load_b128 s[4:7], s[0:1], 0x8
	s_lshl_b32 s1, s15, 10
	v_or_b32_e32 v2, 0x100, v0
	v_or_b32_e32 v1, s1, v0
	v_mov_b32_e32 v3, v0
	s_mov_b32 s8, -1
	s_mov_b32 s3, -1
	s_waitcnt lgkmcnt(0)
	s_sub_i32 s2, s2, s1
	s_delay_alu instid0(SALU_CYCLE_1)
	v_cmp_gt_i32_e32 vcc_lo, s2, v0
	s_and_saveexec_b32 s9, vcc_lo
	s_cbranch_execz .LBB4_2
; %bb.1:
	global_load_u8 v3, v1, s[6:7]
	s_waitcnt vmcnt(0)
	v_cmp_eq_u16_e64 s0, 0, v3
	v_or_b32_e32 v3, 0x100, v0
	s_delay_alu instid0(VALU_DEP_2)
	s_or_not1_b32 s3, s0, exec_lo
.LBB4_2:
	s_or_b32 exec_lo, exec_lo, s9
	s_delay_alu instid0(SALU_CYCLE_1) | instskip(NEXT) | instid1(VALU_DEP_1)
	s_mov_b32 s9, exec_lo
	v_cmpx_gt_i32_e64 s2, v3
	s_cbranch_execz .LBB4_4
; %bb.3:
	v_add_nc_u32_e32 v4, s1, v3
	v_add_nc_u32_e32 v3, 0x100, v3
	global_load_u8 v4, v4, s[6:7]
	s_waitcnt vmcnt(0)
	v_cmp_eq_u16_e64 s0, 0, v4
	s_delay_alu instid0(VALU_DEP_1)
	s_or_not1_b32 s8, s0, exec_lo
.LBB4_4:
	s_or_b32 exec_lo, exec_lo, s9
	s_mov_b32 s9, -1
	s_mov_b32 s10, -1
	s_mov_b32 s11, exec_lo
	v_cmpx_gt_i32_e64 s2, v3
	s_cbranch_execz .LBB4_6
; %bb.5:
	v_add_nc_u32_e32 v4, s1, v3
	v_add_nc_u32_e32 v3, 0x100, v3
	global_load_u8 v4, v4, s[6:7]
	s_waitcnt vmcnt(0)
	v_cmp_eq_u16_e64 s0, 0, v4
	s_delay_alu instid0(VALU_DEP_1)
	s_or_not1_b32 s10, s0, exec_lo
.LBB4_6:
	s_or_b32 exec_lo, exec_lo, s11
	s_delay_alu instid0(SALU_CYCLE_1)
	s_mov_b32 s11, exec_lo
	v_cmpx_gt_i32_e64 s2, v3
	s_cbranch_execz .LBB4_8
; %bb.7:
	v_add_nc_u32_e32 v3, s1, v3
	global_load_u8 v3, v3, s[6:7]
	s_waitcnt vmcnt(0)
	v_cmp_eq_u16_e64 s0, 0, v3
	s_delay_alu instid0(VALU_DEP_1)
	s_or_not1_b32 s9, s0, exec_lo
.LBB4_8:
	s_or_b32 exec_lo, exec_lo, s11
	v_cndmask_b32_e64 v3, 0, 1, s8
	v_cndmask_b32_e64 v4, 0, 1, s3
	v_cmp_gt_i32_e64 s0, s2, v2
	v_cndmask_b32_e64 v5, 0, 1, s10
	s_delay_alu instid0(VALU_DEP_4) | instskip(NEXT) | instid1(VALU_DEP_1)
	v_lshlrev_b16 v3, 8, v3
	v_or_b32_e32 v3, v4, v3
	s_delay_alu instid0(VALU_DEP_1) | instskip(NEXT) | instid1(VALU_DEP_1)
	v_and_b32_e32 v3, 0xffff, v3
	v_cndmask_b32_e64 v3, v4, v3, s0
	v_or_b32_e32 v4, 0x200, v0
	s_delay_alu instid0(VALU_DEP_2) | instskip(NEXT) | instid1(VALU_DEP_2)
	v_lshl_or_b32 v5, v5, 16, v3
	v_cmp_gt_i32_e64 s0, s2, v4
	v_cndmask_b32_e64 v4, 0, 1, s9
	s_delay_alu instid0(VALU_DEP_2) | instskip(NEXT) | instid1(VALU_DEP_2)
	v_cndmask_b32_e64 v3, v3, v5, s0
	v_lshlrev_b16 v4, 8, v4
	s_delay_alu instid0(VALU_DEP_2) | instskip(NEXT) | instid1(VALU_DEP_1)
	v_lshrrev_b32_e32 v5, 16, v3
	v_or_b32_e32 v4, v5, v4
	v_or_b32_e32 v5, 0x300, v0
	s_delay_alu instid0(VALU_DEP_2) | instskip(NEXT) | instid1(VALU_DEP_2)
	v_lshlrev_b32_e32 v4, 16, v4
	v_cmp_gt_i32_e64 s0, s2, v5
	s_delay_alu instid0(VALU_DEP_2) | instskip(NEXT) | instid1(VALU_DEP_1)
	v_and_or_b32 v4, 0xff01, v3, v4
	v_cndmask_b32_e64 v3, v3, v4, s0
	s_and_saveexec_b32 s0, vcc_lo
	s_cbranch_execnz .LBB4_13
; %bb.9:
	s_or_b32 exec_lo, exec_lo, s0
	s_delay_alu instid0(SALU_CYCLE_1)
	s_mov_b32 s0, exec_lo
	v_cmpx_gt_i32_e64 s2, v0
	s_cbranch_execnz .LBB4_14
.LBB4_10:
	s_or_b32 exec_lo, exec_lo, s0
	s_delay_alu instid0(SALU_CYCLE_1)
	s_mov_b32 s0, exec_lo
	v_cmpx_gt_i32_e64 s2, v0
	s_cbranch_execnz .LBB4_15
.LBB4_11:
	s_or_b32 exec_lo, exec_lo, s0
	s_delay_alu instid0(SALU_CYCLE_1)
	s_mov_b32 s0, exec_lo
	v_cmpx_gt_i32_e64 s2, v0
	s_cbranch_execnz .LBB4_16
.LBB4_12:
	s_nop 0
	s_sendmsg sendmsg(MSG_DEALLOC_VGPRS)
	s_endpgm
.LBB4_13:
	v_mov_b32_e32 v0, v2
	global_store_b8 v1, v3, s[4:5]
	s_or_b32 exec_lo, exec_lo, s0
	s_delay_alu instid0(SALU_CYCLE_1)
	s_mov_b32 s0, exec_lo
	v_cmpx_gt_i32_e64 s2, v0
	s_cbranch_execz .LBB4_10
.LBB4_14:
	v_add_nc_u32_e32 v1, 0x100, v0
	v_add_nc_u32_e32 v2, s1, v0
	v_lshrrev_b32_e32 v4, 8, v3
	s_delay_alu instid0(VALU_DEP_3) | instskip(SKIP_2) | instid1(SALU_CYCLE_1)
	v_mov_b32_e32 v0, v1
	global_store_b8 v2, v4, s[4:5]
	s_or_b32 exec_lo, exec_lo, s0
	s_mov_b32 s0, exec_lo
	v_cmpx_gt_i32_e64 s2, v0
	s_cbranch_execz .LBB4_11
.LBB4_15:
	v_add_nc_u32_e32 v1, 0x100, v0
	v_add_nc_u32_e32 v2, s1, v0
	s_delay_alu instid0(VALU_DEP_2) | instskip(SKIP_2) | instid1(SALU_CYCLE_1)
	v_mov_b32_e32 v0, v1
	global_store_d16_hi_b8 v2, v3, s[4:5]
	s_or_b32 exec_lo, exec_lo, s0
	s_mov_b32 s0, exec_lo
	v_cmpx_gt_i32_e64 s2, v0
	s_cbranch_execz .LBB4_12
.LBB4_16:
	v_add_nc_u32_e32 v0, s1, v0
	v_lshrrev_b32_e32 v1, 24, v3
	global_store_b8 v0, v1, s[4:5]
	s_nop 0
	s_sendmsg sendmsg(MSG_DEALLOC_VGPRS)
	s_endpgm
	.section	.rodata,"a",@progbits
	.p2align	6, 0x0
	.amdhsa_kernel _ZN2at6native27unrolled_elementwise_kernelIZNS0_23bitwise_not_kernel_cudaERNS_18TensorIteratorBaseEEUlbE_St5arrayIPcLm2EELi4E23TrivialOffsetCalculatorILi1EjES9_NS0_6memory15LoadWithoutCastENSA_16StoreWithoutCastEEEviT_T0_T2_T3_T4_T5_
		.amdhsa_group_segment_fixed_size 0
		.amdhsa_private_segment_fixed_size 0
		.amdhsa_kernarg_size 28
		.amdhsa_user_sgpr_count 15
		.amdhsa_user_sgpr_dispatch_ptr 0
		.amdhsa_user_sgpr_queue_ptr 0
		.amdhsa_user_sgpr_kernarg_segment_ptr 1
		.amdhsa_user_sgpr_dispatch_id 0
		.amdhsa_user_sgpr_private_segment_size 0
		.amdhsa_wavefront_size32 1
		.amdhsa_uses_dynamic_stack 0
		.amdhsa_enable_private_segment 0
		.amdhsa_system_sgpr_workgroup_id_x 1
		.amdhsa_system_sgpr_workgroup_id_y 0
		.amdhsa_system_sgpr_workgroup_id_z 0
		.amdhsa_system_sgpr_workgroup_info 0
		.amdhsa_system_vgpr_workitem_id 0
		.amdhsa_next_free_vgpr 6
		.amdhsa_next_free_sgpr 16
		.amdhsa_reserve_vcc 1
		.amdhsa_float_round_mode_32 0
		.amdhsa_float_round_mode_16_64 0
		.amdhsa_float_denorm_mode_32 3
		.amdhsa_float_denorm_mode_16_64 3
		.amdhsa_dx10_clamp 1
		.amdhsa_ieee_mode 1
		.amdhsa_fp16_overflow 0
		.amdhsa_workgroup_processor_mode 1
		.amdhsa_memory_ordered 1
		.amdhsa_forward_progress 0
		.amdhsa_shared_vgpr_count 0
		.amdhsa_exception_fp_ieee_invalid_op 0
		.amdhsa_exception_fp_denorm_src 0
		.amdhsa_exception_fp_ieee_div_zero 0
		.amdhsa_exception_fp_ieee_overflow 0
		.amdhsa_exception_fp_ieee_underflow 0
		.amdhsa_exception_fp_ieee_inexact 0
		.amdhsa_exception_int_div_zero 0
	.end_amdhsa_kernel
	.section	.text._ZN2at6native27unrolled_elementwise_kernelIZNS0_23bitwise_not_kernel_cudaERNS_18TensorIteratorBaseEEUlbE_St5arrayIPcLm2EELi4E23TrivialOffsetCalculatorILi1EjES9_NS0_6memory15LoadWithoutCastENSA_16StoreWithoutCastEEEviT_T0_T2_T3_T4_T5_,"axG",@progbits,_ZN2at6native27unrolled_elementwise_kernelIZNS0_23bitwise_not_kernel_cudaERNS_18TensorIteratorBaseEEUlbE_St5arrayIPcLm2EELi4E23TrivialOffsetCalculatorILi1EjES9_NS0_6memory15LoadWithoutCastENSA_16StoreWithoutCastEEEviT_T0_T2_T3_T4_T5_,comdat
.Lfunc_end4:
	.size	_ZN2at6native27unrolled_elementwise_kernelIZNS0_23bitwise_not_kernel_cudaERNS_18TensorIteratorBaseEEUlbE_St5arrayIPcLm2EELi4E23TrivialOffsetCalculatorILi1EjES9_NS0_6memory15LoadWithoutCastENSA_16StoreWithoutCastEEEviT_T0_T2_T3_T4_T5_, .Lfunc_end4-_ZN2at6native27unrolled_elementwise_kernelIZNS0_23bitwise_not_kernel_cudaERNS_18TensorIteratorBaseEEUlbE_St5arrayIPcLm2EELi4E23TrivialOffsetCalculatorILi1EjES9_NS0_6memory15LoadWithoutCastENSA_16StoreWithoutCastEEEviT_T0_T2_T3_T4_T5_
                                        ; -- End function
	.section	.AMDGPU.csdata,"",@progbits
; Kernel info:
; codeLenInByte = 740
; NumSgprs: 18
; NumVgprs: 6
; ScratchSize: 0
; MemoryBound: 0
; FloatMode: 240
; IeeeMode: 1
; LDSByteSize: 0 bytes/workgroup (compile time only)
; SGPRBlocks: 2
; VGPRBlocks: 0
; NumSGPRsForWavesPerEU: 18
; NumVGPRsForWavesPerEU: 6
; Occupancy: 16
; WaveLimiterHint : 0
; COMPUTE_PGM_RSRC2:SCRATCH_EN: 0
; COMPUTE_PGM_RSRC2:USER_SGPR: 15
; COMPUTE_PGM_RSRC2:TRAP_HANDLER: 0
; COMPUTE_PGM_RSRC2:TGID_X_EN: 1
; COMPUTE_PGM_RSRC2:TGID_Y_EN: 0
; COMPUTE_PGM_RSRC2:TGID_Z_EN: 0
; COMPUTE_PGM_RSRC2:TIDIG_COMP_CNT: 0
	.section	.text._ZN2at6native32elementwise_kernel_manual_unrollILi128ELi8EZNS0_22gpu_kernel_impl_nocastIZNS0_23bitwise_not_kernel_cudaERNS_18TensorIteratorBaseEEUlbE_EEvS4_RKT_EUlibE_EEviT1_,"axG",@progbits,_ZN2at6native32elementwise_kernel_manual_unrollILi128ELi8EZNS0_22gpu_kernel_impl_nocastIZNS0_23bitwise_not_kernel_cudaERNS_18TensorIteratorBaseEEUlbE_EEvS4_RKT_EUlibE_EEviT1_,comdat
	.globl	_ZN2at6native32elementwise_kernel_manual_unrollILi128ELi8EZNS0_22gpu_kernel_impl_nocastIZNS0_23bitwise_not_kernel_cudaERNS_18TensorIteratorBaseEEUlbE_EEvS4_RKT_EUlibE_EEviT1_ ; -- Begin function _ZN2at6native32elementwise_kernel_manual_unrollILi128ELi8EZNS0_22gpu_kernel_impl_nocastIZNS0_23bitwise_not_kernel_cudaERNS_18TensorIteratorBaseEEUlbE_EEvS4_RKT_EUlibE_EEviT1_
	.p2align	8
	.type	_ZN2at6native32elementwise_kernel_manual_unrollILi128ELi8EZNS0_22gpu_kernel_impl_nocastIZNS0_23bitwise_not_kernel_cudaERNS_18TensorIteratorBaseEEUlbE_EEvS4_RKT_EUlibE_EEviT1_,@function
_ZN2at6native32elementwise_kernel_manual_unrollILi128ELi8EZNS0_22gpu_kernel_impl_nocastIZNS0_23bitwise_not_kernel_cudaERNS_18TensorIteratorBaseEEUlbE_EEvS4_RKT_EUlibE_EEviT1_: ; @_ZN2at6native32elementwise_kernel_manual_unrollILi128ELi8EZNS0_22gpu_kernel_impl_nocastIZNS0_23bitwise_not_kernel_cudaERNS_18TensorIteratorBaseEEUlbE_EEvS4_RKT_EUlibE_EEviT1_
; %bb.0:
	s_clause 0x1
	s_load_b32 s22, s[0:1], 0x8
	s_load_b32 s27, s[0:1], 0x0
	v_lshl_or_b32 v12, s15, 10, v0
	s_or_b32 s0, s0, 8
	s_mov_b32 s2, exec_lo
	s_delay_alu instid0(VALU_DEP_1) | instskip(SKIP_2) | instid1(SALU_CYCLE_1)
	v_or_b32_e32 v16, 0x380, v12
	s_waitcnt lgkmcnt(0)
	s_add_i32 s23, s22, -1
	s_cmp_gt_u32 s23, 1
	s_cselect_b32 s24, -1, 0
	v_cmpx_le_i32_e64 s27, v16
	s_xor_b32 s25, exec_lo, s2
	s_cbranch_execz .LBB5_7
; %bb.1:
	s_clause 0x3
	s_load_b128 s[12:15], s[0:1], 0x4
	s_load_b64 s[2:3], s[0:1], 0x14
	s_load_b128 s[8:11], s[0:1], 0xc4
	s_load_b128 s[4:7], s[0:1], 0x148
	s_cmp_lg_u32 s22, 0
	s_mov_b32 s30, exec_lo
	s_cselect_b32 s29, -1, 0
	s_add_u32 s16, s0, 0xc4
	s_addc_u32 s17, s1, 0
	s_min_u32 s28, s23, 15
	s_cmp_gt_u32 s22, 1
	s_cselect_b32 s26, -1, 0
	v_cmpx_gt_i32_e64 s27, v12
	s_cbranch_execz .LBB5_14
; %bb.2:
	s_and_not1_b32 vcc_lo, exec_lo, s24
	s_cbranch_vccnz .LBB5_21
; %bb.3:
	v_dual_mov_b32 v0, 0 :: v_dual_mov_b32 v1, 0
	s_and_not1_b32 vcc_lo, exec_lo, s29
	s_mov_b32 s31, 0
	s_cbranch_vccnz .LBB5_125
; %bb.4:
	v_mov_b32_e32 v0, 0
	s_add_i32 s34, s28, 1
	s_cmp_eq_u32 s23, 2
	s_mov_b32 s33, 0
	s_cbranch_scc1 .LBB5_121
; %bb.5:
	v_dual_mov_b32 v1, 0 :: v_dual_mov_b32 v0, 0
	v_mov_b32_e32 v2, v12
	s_and_b32 s33, s34, 28
	s_mov_b32 s35, 0
	s_mov_b64 s[18:19], s[16:17]
	s_mov_b64 s[20:21], s[0:1]
.LBB5_6:                                ; =>This Inner Loop Header: Depth=1
	s_clause 0x1
	s_load_b256 s[36:43], s[20:21], 0x4
	s_load_b128 s[52:55], s[20:21], 0x24
	s_load_b256 s[44:51], s[18:19], 0x0
	s_add_u32 s20, s20, 48
	s_addc_u32 s21, s21, 0
	s_add_i32 s35, s35, 4
	s_add_u32 s18, s18, 32
	s_addc_u32 s19, s19, 0
	s_cmp_lg_u32 s33, s35
	s_waitcnt lgkmcnt(0)
	v_mul_hi_u32 v3, s37, v2
	s_delay_alu instid0(VALU_DEP_1) | instskip(NEXT) | instid1(VALU_DEP_1)
	v_add_nc_u32_e32 v3, v2, v3
	v_lshrrev_b32_e32 v3, s38, v3
	s_delay_alu instid0(VALU_DEP_1) | instskip(SKIP_1) | instid1(VALU_DEP_2)
	v_mul_hi_u32 v4, s40, v3
	v_mul_lo_u32 v6, v3, s36
	v_add_nc_u32_e32 v4, v3, v4
	s_delay_alu instid0(VALU_DEP_2) | instskip(NEXT) | instid1(VALU_DEP_2)
	v_sub_nc_u32_e32 v2, v2, v6
	v_lshrrev_b32_e32 v4, s41, v4
	s_delay_alu instid0(VALU_DEP_2) | instskip(SKIP_1) | instid1(VALU_DEP_3)
	v_mul_lo_u32 v6, v2, s44
	v_mul_lo_u32 v8, v2, s45
	v_mul_hi_u32 v5, s43, v4
	s_delay_alu instid0(VALU_DEP_1) | instskip(NEXT) | instid1(VALU_DEP_1)
	v_add_nc_u32_e32 v5, v4, v5
	v_lshrrev_b32_e32 v5, s52, v5
	s_delay_alu instid0(VALU_DEP_1) | instskip(SKIP_1) | instid1(VALU_DEP_2)
	v_mul_hi_u32 v7, s54, v5
	v_mul_lo_u32 v9, v5, s42
	v_add_nc_u32_e32 v2, v5, v7
	v_mul_lo_u32 v7, v4, s39
	s_delay_alu instid0(VALU_DEP_3) | instskip(NEXT) | instid1(VALU_DEP_3)
	v_sub_nc_u32_e32 v4, v4, v9
	v_lshrrev_b32_e32 v2, s55, v2
	s_delay_alu instid0(VALU_DEP_2) | instskip(SKIP_2) | instid1(VALU_DEP_4)
	v_mul_lo_u32 v9, v4, s48
	v_mul_lo_u32 v4, v4, s49
	v_sub_nc_u32_e32 v3, v3, v7
	v_mul_lo_u32 v10, v2, s53
	s_delay_alu instid0(VALU_DEP_2) | instskip(SKIP_1) | instid1(VALU_DEP_3)
	v_mul_lo_u32 v7, v3, s46
	v_mul_lo_u32 v3, v3, s47
	v_sub_nc_u32_e32 v5, v5, v10
	s_delay_alu instid0(VALU_DEP_3) | instskip(NEXT) | instid1(VALU_DEP_2)
	v_add3_u32 v0, v6, v0, v7
	v_mul_lo_u32 v10, v5, s50
	v_mul_lo_u32 v5, v5, s51
	v_add3_u32 v1, v8, v1, v3
	s_delay_alu instid0(VALU_DEP_3) | instskip(NEXT) | instid1(VALU_DEP_2)
	v_add3_u32 v0, v9, v0, v10
	v_add3_u32 v1, v4, v1, v5
	s_cbranch_scc1 .LBB5_6
	s_branch .LBB5_122
.LBB5_7:
	s_and_not1_saveexec_b32 s2, s25
	s_cbranch_execz .LBB5_206
.LBB5_8:
	v_cndmask_b32_e64 v14, 0, 1, s24
	s_and_not1_b32 vcc_lo, exec_lo, s24
	s_cbranch_vccnz .LBB5_20
; %bb.9:
	v_dual_mov_b32 v0, 0 :: v_dual_mov_b32 v1, 0
	s_cmp_lg_u32 s22, 0
	s_mov_b32 s6, 0
	s_cbranch_scc0 .LBB5_26
; %bb.10:
	s_min_u32 s7, s23, 15
	v_mov_b32_e32 v0, 0
	s_add_i32 s7, s7, 1
	s_cmp_eq_u32 s23, 2
	s_mov_b32 s8, 0
	s_cbranch_scc1 .LBB5_23
; %bb.11:
	v_dual_mov_b32 v1, 0 :: v_dual_mov_b32 v0, 0
	v_mov_b32_e32 v2, v12
	s_add_u32 s2, s0, 0xc4
	s_addc_u32 s3, s1, 0
	s_and_b32 s8, s7, 28
	s_mov_b32 s9, 0
	s_mov_b64 s[4:5], s[0:1]
.LBB5_12:                               ; =>This Inner Loop Header: Depth=1
	s_clause 0x1
	s_load_b256 s[12:19], s[4:5], 0x4
	s_load_b128 s[36:39], s[4:5], 0x24
	s_load_b256 s[24:31], s[2:3], 0x0
	s_add_u32 s4, s4, 48
	s_addc_u32 s5, s5, 0
	s_add_i32 s9, s9, 4
	s_add_u32 s2, s2, 32
	s_addc_u32 s3, s3, 0
	s_cmp_lg_u32 s8, s9
	s_waitcnt lgkmcnt(0)
	v_mul_hi_u32 v3, s13, v2
	s_delay_alu instid0(VALU_DEP_1) | instskip(NEXT) | instid1(VALU_DEP_1)
	v_add_nc_u32_e32 v3, v2, v3
	v_lshrrev_b32_e32 v3, s14, v3
	s_delay_alu instid0(VALU_DEP_1) | instskip(SKIP_1) | instid1(VALU_DEP_2)
	v_mul_hi_u32 v4, s16, v3
	v_mul_lo_u32 v6, v3, s12
	v_add_nc_u32_e32 v4, v3, v4
	s_delay_alu instid0(VALU_DEP_2) | instskip(NEXT) | instid1(VALU_DEP_2)
	v_sub_nc_u32_e32 v2, v2, v6
	v_lshrrev_b32_e32 v4, s17, v4
	s_delay_alu instid0(VALU_DEP_2) | instskip(SKIP_1) | instid1(VALU_DEP_3)
	v_mul_lo_u32 v6, v2, s24
	v_mul_lo_u32 v8, v2, s25
	v_mul_hi_u32 v5, s19, v4
	s_delay_alu instid0(VALU_DEP_1) | instskip(NEXT) | instid1(VALU_DEP_1)
	v_add_nc_u32_e32 v5, v4, v5
	v_lshrrev_b32_e32 v5, s36, v5
	s_delay_alu instid0(VALU_DEP_1) | instskip(SKIP_1) | instid1(VALU_DEP_2)
	v_mul_hi_u32 v7, s38, v5
	v_mul_lo_u32 v9, v5, s18
	v_add_nc_u32_e32 v2, v5, v7
	v_mul_lo_u32 v7, v4, s15
	s_delay_alu instid0(VALU_DEP_3) | instskip(NEXT) | instid1(VALU_DEP_3)
	v_sub_nc_u32_e32 v4, v4, v9
	v_lshrrev_b32_e32 v2, s39, v2
	s_delay_alu instid0(VALU_DEP_2) | instskip(SKIP_2) | instid1(VALU_DEP_4)
	v_mul_lo_u32 v9, v4, s28
	v_mul_lo_u32 v4, v4, s29
	v_sub_nc_u32_e32 v3, v3, v7
	v_mul_lo_u32 v10, v2, s37
	s_delay_alu instid0(VALU_DEP_2) | instskip(SKIP_1) | instid1(VALU_DEP_3)
	v_mul_lo_u32 v7, v3, s26
	v_mul_lo_u32 v3, v3, s27
	v_sub_nc_u32_e32 v5, v5, v10
	s_delay_alu instid0(VALU_DEP_3) | instskip(NEXT) | instid1(VALU_DEP_2)
	v_add3_u32 v0, v6, v0, v7
	v_mul_lo_u32 v10, v5, s30
	v_mul_lo_u32 v5, v5, s31
	v_add3_u32 v1, v8, v1, v3
	s_delay_alu instid0(VALU_DEP_3) | instskip(NEXT) | instid1(VALU_DEP_2)
	v_add3_u32 v0, v9, v0, v10
	v_add3_u32 v1, v4, v1, v5
	s_cbranch_scc1 .LBB5_12
; %bb.13:
	s_and_b32 s7, s7, 3
	s_delay_alu instid0(SALU_CYCLE_1)
	s_cmp_eq_u32 s7, 0
	s_cbranch_scc0 .LBB5_24
	s_branch .LBB5_26
.LBB5_14:
	s_or_b32 exec_lo, exec_lo, s30
	s_delay_alu instid0(SALU_CYCLE_1)
	s_mov_b32 s30, exec_lo
	v_cmpx_gt_i32_e64 s27, v12
	s_cbranch_execz .LBB5_129
.LBB5_15:
	s_and_not1_b32 vcc_lo, exec_lo, s24
	s_cbranch_vccnz .LBB5_22
; %bb.16:
	v_dual_mov_b32 v0, 0 :: v_dual_mov_b32 v1, 0
	s_and_not1_b32 vcc_lo, exec_lo, s29
	s_mov_b32 s31, 0
	s_cbranch_vccnz .LBB5_140
; %bb.17:
	v_mov_b32_e32 v0, 0
	s_add_i32 s34, s28, 1
	s_cmp_eq_u32 s23, 2
	s_mov_b32 s33, 0
	s_cbranch_scc1 .LBB5_136
; %bb.18:
	v_dual_mov_b32 v1, 0 :: v_dual_mov_b32 v0, 0
	v_mov_b32_e32 v2, v12
	s_and_b32 s33, s34, 28
	s_mov_b32 s35, 0
	s_mov_b64 s[18:19], s[16:17]
	s_mov_b64 s[20:21], s[0:1]
.LBB5_19:                               ; =>This Inner Loop Header: Depth=1
	s_clause 0x1
	s_load_b256 s[36:43], s[20:21], 0x4
	s_load_b128 s[52:55], s[20:21], 0x24
	s_load_b256 s[44:51], s[18:19], 0x0
	s_add_u32 s20, s20, 48
	s_addc_u32 s21, s21, 0
	s_add_i32 s35, s35, 4
	s_add_u32 s18, s18, 32
	s_addc_u32 s19, s19, 0
	s_cmp_eq_u32 s33, s35
	s_waitcnt lgkmcnt(0)
	v_mul_hi_u32 v3, s37, v2
	s_delay_alu instid0(VALU_DEP_1) | instskip(NEXT) | instid1(VALU_DEP_1)
	v_add_nc_u32_e32 v3, v2, v3
	v_lshrrev_b32_e32 v3, s38, v3
	s_delay_alu instid0(VALU_DEP_1) | instskip(SKIP_1) | instid1(VALU_DEP_2)
	v_mul_hi_u32 v4, s40, v3
	v_mul_lo_u32 v6, v3, s36
	v_add_nc_u32_e32 v4, v3, v4
	s_delay_alu instid0(VALU_DEP_2) | instskip(NEXT) | instid1(VALU_DEP_2)
	v_sub_nc_u32_e32 v2, v2, v6
	v_lshrrev_b32_e32 v4, s41, v4
	s_delay_alu instid0(VALU_DEP_2) | instskip(SKIP_1) | instid1(VALU_DEP_3)
	v_mul_lo_u32 v6, v2, s44
	v_mul_lo_u32 v8, v2, s45
	v_mul_hi_u32 v5, s43, v4
	s_delay_alu instid0(VALU_DEP_1) | instskip(NEXT) | instid1(VALU_DEP_1)
	v_add_nc_u32_e32 v5, v4, v5
	v_lshrrev_b32_e32 v5, s52, v5
	s_delay_alu instid0(VALU_DEP_1) | instskip(SKIP_1) | instid1(VALU_DEP_2)
	v_mul_hi_u32 v7, s54, v5
	v_mul_lo_u32 v9, v5, s42
	v_add_nc_u32_e32 v2, v5, v7
	v_mul_lo_u32 v7, v4, s39
	s_delay_alu instid0(VALU_DEP_3) | instskip(NEXT) | instid1(VALU_DEP_3)
	v_sub_nc_u32_e32 v4, v4, v9
	v_lshrrev_b32_e32 v2, s55, v2
	s_delay_alu instid0(VALU_DEP_2) | instskip(SKIP_2) | instid1(VALU_DEP_4)
	v_mul_lo_u32 v9, v4, s48
	v_mul_lo_u32 v4, v4, s49
	v_sub_nc_u32_e32 v3, v3, v7
	v_mul_lo_u32 v10, v2, s53
	s_delay_alu instid0(VALU_DEP_2) | instskip(SKIP_1) | instid1(VALU_DEP_3)
	v_mul_lo_u32 v7, v3, s46
	v_mul_lo_u32 v3, v3, s47
	v_sub_nc_u32_e32 v5, v5, v10
	s_delay_alu instid0(VALU_DEP_3) | instskip(NEXT) | instid1(VALU_DEP_2)
	v_add3_u32 v0, v6, v0, v7
	v_mul_lo_u32 v10, v5, s50
	v_mul_lo_u32 v5, v5, s51
	v_add3_u32 v1, v8, v1, v3
	s_delay_alu instid0(VALU_DEP_3) | instskip(NEXT) | instid1(VALU_DEP_2)
	v_add3_u32 v0, v9, v0, v10
	v_add3_u32 v1, v4, v1, v5
	s_cbranch_scc0 .LBB5_19
	s_branch .LBB5_137
.LBB5_20:
	s_mov_b32 s6, -1
                                        ; implicit-def: $vgpr0
                                        ; implicit-def: $vgpr1
	s_branch .LBB5_26
.LBB5_21:
	s_mov_b32 s31, -1
                                        ; implicit-def: $vgpr0
                                        ; implicit-def: $vgpr1
	s_branch .LBB5_125
.LBB5_22:
	s_mov_b32 s31, -1
                                        ; implicit-def: $vgpr0
                                        ; implicit-def: $vgpr1
	s_branch .LBB5_140
.LBB5_23:
	v_dual_mov_b32 v2, v12 :: v_dual_mov_b32 v1, 0
	s_and_b32 s7, s7, 3
	s_delay_alu instid0(SALU_CYCLE_1)
	s_cmp_eq_u32 s7, 0
	s_cbranch_scc1 .LBB5_26
.LBB5_24:
	s_lshl_b32 s2, s8, 3
	s_mul_i32 s4, s8, 12
	s_add_u32 s2, s2, s0
	s_addc_u32 s3, 0, s1
	s_add_u32 s2, s2, 0xc4
	s_addc_u32 s3, s3, 0
	s_add_u32 s4, s0, s4
	s_addc_u32 s5, 0, s1
	.p2align	6
.LBB5_25:                               ; =>This Inner Loop Header: Depth=1
	s_clause 0x1
	s_load_b64 s[8:9], s[4:5], 0x4
	s_load_b32 s12, s[4:5], 0xc
	s_load_b64 s[10:11], s[2:3], 0x0
	s_add_u32 s4, s4, 12
	s_addc_u32 s5, s5, 0
	s_add_u32 s2, s2, 8
	s_addc_u32 s3, s3, 0
	s_add_i32 s7, s7, -1
	s_delay_alu instid0(SALU_CYCLE_1) | instskip(SKIP_2) | instid1(VALU_DEP_1)
	s_cmp_lg_u32 s7, 0
	s_waitcnt lgkmcnt(0)
	v_mul_hi_u32 v3, s9, v2
	v_add_nc_u32_e32 v3, v2, v3
	s_delay_alu instid0(VALU_DEP_1) | instskip(NEXT) | instid1(VALU_DEP_1)
	v_lshrrev_b32_e32 v6, s12, v3
	v_mul_lo_u32 v3, v6, s8
	s_delay_alu instid0(VALU_DEP_1) | instskip(NEXT) | instid1(VALU_DEP_1)
	v_sub_nc_u32_e32 v2, v2, v3
	v_mad_u64_u32 v[3:4], null, v2, s10, v[0:1]
	v_mad_u64_u32 v[4:5], null, v2, s11, v[1:2]
	v_mov_b32_e32 v2, v6
	s_delay_alu instid0(VALU_DEP_2)
	v_dual_mov_b32 v0, v3 :: v_dual_mov_b32 v1, v4
	s_cbranch_scc1 .LBB5_25
.LBB5_26:
	s_and_not1_b32 vcc_lo, exec_lo, s6
	s_cbranch_vccnz .LBB5_29
; %bb.27:
	s_clause 0x1
	s_load_b128 s[4:7], s[0:1], 0x4
	s_load_b64 s[2:3], s[0:1], 0xc4
	s_cmp_lt_u32 s22, 2
	s_waitcnt lgkmcnt(0)
	v_mul_hi_u32 v0, s5, v12
	s_delay_alu instid0(VALU_DEP_1) | instskip(NEXT) | instid1(VALU_DEP_1)
	v_add_nc_u32_e32 v0, v12, v0
	v_lshrrev_b32_e32 v2, s6, v0
	s_delay_alu instid0(VALU_DEP_1) | instskip(NEXT) | instid1(VALU_DEP_1)
	v_mul_lo_u32 v0, v2, s4
	v_sub_nc_u32_e32 v1, v12, v0
	s_delay_alu instid0(VALU_DEP_1)
	v_mul_lo_u32 v0, v1, s2
	v_mul_lo_u32 v1, v1, s3
	s_cbranch_scc1 .LBB5_29
; %bb.28:
	s_clause 0x1
	s_load_b128 s[4:7], s[0:1], 0x10
	s_load_b64 s[2:3], s[0:1], 0xcc
	s_waitcnt lgkmcnt(0)
	v_mul_hi_u32 v3, s5, v2
	s_delay_alu instid0(VALU_DEP_1) | instskip(NEXT) | instid1(VALU_DEP_1)
	v_add_nc_u32_e32 v3, v2, v3
	v_lshrrev_b32_e32 v3, s6, v3
	s_delay_alu instid0(VALU_DEP_1) | instskip(NEXT) | instid1(VALU_DEP_1)
	v_mul_lo_u32 v3, v3, s4
	v_sub_nc_u32_e32 v5, v2, v3
	s_delay_alu instid0(VALU_DEP_1) | instskip(NEXT) | instid1(VALU_DEP_1)
	v_mad_u64_u32 v[2:3], null, v5, s2, v[0:1]
	v_mad_u64_u32 v[3:4], null, v5, s3, v[1:2]
	s_delay_alu instid0(VALU_DEP_1)
	v_dual_mov_b32 v0, v2 :: v_dual_mov_b32 v1, v3
.LBB5_29:
	v_cmp_ne_u32_e32 vcc_lo, 1, v14
	v_add_nc_u32_e32 v4, 0x80, v12
	s_cbranch_vccnz .LBB5_35
; %bb.30:
	v_dual_mov_b32 v2, 0 :: v_dual_mov_b32 v3, 0
	s_cmp_lg_u32 s22, 0
	s_mov_b32 s6, 0
	s_cbranch_scc0 .LBB5_39
; %bb.31:
	s_min_u32 s7, s23, 15
	v_mov_b32_e32 v2, 0
	s_add_i32 s7, s7, 1
	s_cmp_eq_u32 s23, 2
	s_mov_b32 s8, 0
	s_cbranch_scc1 .LBB5_36
; %bb.32:
	v_dual_mov_b32 v3, 0 :: v_dual_mov_b32 v2, 0
	v_mov_b32_e32 v5, v4
	s_add_u32 s2, s0, 0xc4
	s_addc_u32 s3, s1, 0
	s_and_b32 s8, s7, 28
	s_mov_b32 s9, 0
	s_mov_b64 s[4:5], s[0:1]
.LBB5_33:                               ; =>This Inner Loop Header: Depth=1
	s_clause 0x1
	s_load_b256 s[12:19], s[4:5], 0x4
	s_load_b128 s[36:39], s[4:5], 0x24
	s_load_b256 s[24:31], s[2:3], 0x0
	s_add_u32 s4, s4, 48
	s_addc_u32 s5, s5, 0
	s_add_i32 s9, s9, 4
	s_add_u32 s2, s2, 32
	s_addc_u32 s3, s3, 0
	s_cmp_lg_u32 s8, s9
	s_waitcnt lgkmcnt(0)
	v_mul_hi_u32 v6, s13, v5
	s_delay_alu instid0(VALU_DEP_1) | instskip(NEXT) | instid1(VALU_DEP_1)
	v_add_nc_u32_e32 v6, v5, v6
	v_lshrrev_b32_e32 v6, s14, v6
	s_delay_alu instid0(VALU_DEP_1) | instskip(SKIP_1) | instid1(VALU_DEP_2)
	v_mul_hi_u32 v7, s16, v6
	v_mul_lo_u32 v9, v6, s12
	v_add_nc_u32_e32 v7, v6, v7
	s_delay_alu instid0(VALU_DEP_2) | instskip(NEXT) | instid1(VALU_DEP_2)
	v_sub_nc_u32_e32 v5, v5, v9
	v_lshrrev_b32_e32 v7, s17, v7
	s_delay_alu instid0(VALU_DEP_2) | instskip(SKIP_1) | instid1(VALU_DEP_3)
	v_mul_lo_u32 v9, v5, s24
	v_mul_lo_u32 v11, v5, s25
	v_mul_hi_u32 v8, s19, v7
	s_delay_alu instid0(VALU_DEP_1) | instskip(NEXT) | instid1(VALU_DEP_1)
	v_add_nc_u32_e32 v8, v7, v8
	v_lshrrev_b32_e32 v8, s36, v8
	s_delay_alu instid0(VALU_DEP_1) | instskip(SKIP_1) | instid1(VALU_DEP_2)
	v_mul_hi_u32 v10, s38, v8
	v_mul_lo_u32 v13, v8, s18
	v_add_nc_u32_e32 v5, v8, v10
	v_mul_lo_u32 v10, v7, s15
	s_delay_alu instid0(VALU_DEP_3) | instskip(NEXT) | instid1(VALU_DEP_3)
	v_sub_nc_u32_e32 v7, v7, v13
	v_lshrrev_b32_e32 v5, s39, v5
	s_delay_alu instid0(VALU_DEP_2) | instskip(SKIP_2) | instid1(VALU_DEP_4)
	v_mul_lo_u32 v13, v7, s28
	v_mul_lo_u32 v7, v7, s29
	v_sub_nc_u32_e32 v6, v6, v10
	v_mul_lo_u32 v15, v5, s37
	s_delay_alu instid0(VALU_DEP_2) | instskip(SKIP_1) | instid1(VALU_DEP_3)
	v_mul_lo_u32 v10, v6, s26
	v_mul_lo_u32 v6, v6, s27
	v_sub_nc_u32_e32 v8, v8, v15
	s_delay_alu instid0(VALU_DEP_3) | instskip(NEXT) | instid1(VALU_DEP_2)
	v_add3_u32 v2, v9, v2, v10
	v_mul_lo_u32 v15, v8, s30
	v_mul_lo_u32 v8, v8, s31
	v_add3_u32 v3, v11, v3, v6
	s_delay_alu instid0(VALU_DEP_3) | instskip(NEXT) | instid1(VALU_DEP_2)
	v_add3_u32 v2, v13, v2, v15
	v_add3_u32 v3, v7, v3, v8
	s_cbranch_scc1 .LBB5_33
; %bb.34:
	s_and_b32 s7, s7, 3
	s_delay_alu instid0(SALU_CYCLE_1)
	s_cmp_eq_u32 s7, 0
	s_cbranch_scc0 .LBB5_37
	s_branch .LBB5_39
.LBB5_35:
	s_mov_b32 s6, -1
                                        ; implicit-def: $vgpr2
                                        ; implicit-def: $vgpr3
	s_branch .LBB5_39
.LBB5_36:
	v_mov_b32_e32 v5, v4
	v_mov_b32_e32 v3, 0
	s_and_b32 s7, s7, 3
	s_delay_alu instid0(SALU_CYCLE_1)
	s_cmp_eq_u32 s7, 0
	s_cbranch_scc1 .LBB5_39
.LBB5_37:
	s_lshl_b32 s2, s8, 3
	s_mul_i32 s4, s8, 12
	s_add_u32 s2, s2, s0
	s_addc_u32 s3, 0, s1
	s_add_u32 s2, s2, 0xc4
	s_addc_u32 s3, s3, 0
	;; [unrolled: 2-line block ×3, first 2 shown]
	.p2align	6
.LBB5_38:                               ; =>This Inner Loop Header: Depth=1
	s_clause 0x1
	s_load_b64 s[8:9], s[4:5], 0x4
	s_load_b32 s12, s[4:5], 0xc
	s_load_b64 s[10:11], s[2:3], 0x0
	s_add_u32 s4, s4, 12
	s_addc_u32 s5, s5, 0
	s_add_u32 s2, s2, 8
	s_addc_u32 s3, s3, 0
	s_add_i32 s7, s7, -1
	s_delay_alu instid0(SALU_CYCLE_1) | instskip(SKIP_2) | instid1(VALU_DEP_1)
	s_cmp_lg_u32 s7, 0
	s_waitcnt lgkmcnt(0)
	v_mul_hi_u32 v6, s9, v5
	v_add_nc_u32_e32 v6, v5, v6
	s_delay_alu instid0(VALU_DEP_1) | instskip(NEXT) | instid1(VALU_DEP_1)
	v_lshrrev_b32_e32 v9, s12, v6
	v_mul_lo_u32 v6, v9, s8
	s_delay_alu instid0(VALU_DEP_1) | instskip(NEXT) | instid1(VALU_DEP_1)
	v_sub_nc_u32_e32 v5, v5, v6
	v_mad_u64_u32 v[6:7], null, v5, s10, v[2:3]
	v_mad_u64_u32 v[7:8], null, v5, s11, v[3:4]
	s_delay_alu instid0(VALU_DEP_2) | instskip(NEXT) | instid1(VALU_DEP_2)
	v_dual_mov_b32 v5, v9 :: v_dual_mov_b32 v2, v6
	v_mov_b32_e32 v3, v7
	s_cbranch_scc1 .LBB5_38
.LBB5_39:
	s_and_not1_b32 vcc_lo, exec_lo, s6
	s_cbranch_vccnz .LBB5_42
; %bb.40:
	s_clause 0x1
	s_load_b128 s[4:7], s[0:1], 0x4
	s_load_b64 s[2:3], s[0:1], 0xc4
	s_cmp_lt_u32 s22, 2
	s_waitcnt lgkmcnt(0)
	v_mul_hi_u32 v2, s5, v4
	s_delay_alu instid0(VALU_DEP_1) | instskip(NEXT) | instid1(VALU_DEP_1)
	v_add_nc_u32_e32 v2, v4, v2
	v_lshrrev_b32_e32 v5, s6, v2
	s_delay_alu instid0(VALU_DEP_1) | instskip(NEXT) | instid1(VALU_DEP_1)
	v_mul_lo_u32 v2, v5, s4
	v_sub_nc_u32_e32 v3, v4, v2
	s_delay_alu instid0(VALU_DEP_1)
	v_mul_lo_u32 v2, v3, s2
	v_mul_lo_u32 v3, v3, s3
	s_cbranch_scc1 .LBB5_42
; %bb.41:
	s_clause 0x1
	s_load_b128 s[4:7], s[0:1], 0x10
	s_load_b64 s[2:3], s[0:1], 0xcc
	s_waitcnt lgkmcnt(0)
	v_mul_hi_u32 v4, s5, v5
	s_delay_alu instid0(VALU_DEP_1) | instskip(NEXT) | instid1(VALU_DEP_1)
	v_add_nc_u32_e32 v4, v5, v4
	v_lshrrev_b32_e32 v4, s6, v4
	s_delay_alu instid0(VALU_DEP_1) | instskip(NEXT) | instid1(VALU_DEP_1)
	v_mul_lo_u32 v4, v4, s4
	v_sub_nc_u32_e32 v7, v5, v4
	s_delay_alu instid0(VALU_DEP_1) | instskip(NEXT) | instid1(VALU_DEP_1)
	v_mad_u64_u32 v[4:5], null, v7, s2, v[2:3]
	v_mad_u64_u32 v[5:6], null, v7, s3, v[3:4]
	s_delay_alu instid0(VALU_DEP_1)
	v_dual_mov_b32 v2, v4 :: v_dual_mov_b32 v3, v5
.LBB5_42:
	v_cmp_ne_u32_e32 vcc_lo, 1, v14
	v_add_nc_u32_e32 v6, 0x100, v12
	s_cbranch_vccnz .LBB5_48
; %bb.43:
	v_dual_mov_b32 v4, 0 :: v_dual_mov_b32 v5, 0
	s_cmp_lg_u32 s22, 0
	s_mov_b32 s6, 0
	s_cbranch_scc0 .LBB5_52
; %bb.44:
	s_min_u32 s7, s23, 15
	v_mov_b32_e32 v4, 0
	s_add_i32 s7, s7, 1
	s_cmp_eq_u32 s23, 2
	s_mov_b32 s8, 0
	s_cbranch_scc1 .LBB5_49
; %bb.45:
	v_dual_mov_b32 v5, 0 :: v_dual_mov_b32 v4, 0
	v_mov_b32_e32 v7, v6
	s_add_u32 s2, s0, 0xc4
	s_addc_u32 s3, s1, 0
	s_and_b32 s8, s7, 28
	s_mov_b32 s9, 0
	s_mov_b64 s[4:5], s[0:1]
.LBB5_46:                               ; =>This Inner Loop Header: Depth=1
	s_clause 0x1
	s_load_b256 s[12:19], s[4:5], 0x4
	s_load_b128 s[36:39], s[4:5], 0x24
	s_load_b256 s[24:31], s[2:3], 0x0
	s_add_u32 s4, s4, 48
	s_addc_u32 s5, s5, 0
	s_add_i32 s9, s9, 4
	s_add_u32 s2, s2, 32
	s_addc_u32 s3, s3, 0
	s_cmp_lg_u32 s8, s9
	s_waitcnt lgkmcnt(0)
	v_mul_hi_u32 v8, s13, v7
	s_delay_alu instid0(VALU_DEP_1) | instskip(NEXT) | instid1(VALU_DEP_1)
	v_add_nc_u32_e32 v8, v7, v8
	v_lshrrev_b32_e32 v8, s14, v8
	s_delay_alu instid0(VALU_DEP_1) | instskip(SKIP_1) | instid1(VALU_DEP_2)
	v_mul_hi_u32 v9, s16, v8
	v_mul_lo_u32 v11, v8, s12
	v_add_nc_u32_e32 v9, v8, v9
	s_delay_alu instid0(VALU_DEP_2) | instskip(NEXT) | instid1(VALU_DEP_2)
	v_sub_nc_u32_e32 v7, v7, v11
	v_lshrrev_b32_e32 v9, s17, v9
	s_delay_alu instid0(VALU_DEP_2) | instskip(SKIP_1) | instid1(VALU_DEP_3)
	v_mul_lo_u32 v11, v7, s24
	v_mul_lo_u32 v15, v7, s25
	v_mul_hi_u32 v10, s19, v9
	s_delay_alu instid0(VALU_DEP_1) | instskip(NEXT) | instid1(VALU_DEP_1)
	v_add_nc_u32_e32 v10, v9, v10
	v_lshrrev_b32_e32 v10, s36, v10
	s_delay_alu instid0(VALU_DEP_1) | instskip(SKIP_1) | instid1(VALU_DEP_2)
	v_mul_hi_u32 v13, s38, v10
	v_mul_lo_u32 v17, v10, s18
	v_add_nc_u32_e32 v7, v10, v13
	v_mul_lo_u32 v13, v9, s15
	s_delay_alu instid0(VALU_DEP_3) | instskip(NEXT) | instid1(VALU_DEP_3)
	v_sub_nc_u32_e32 v9, v9, v17
	v_lshrrev_b32_e32 v7, s39, v7
	s_delay_alu instid0(VALU_DEP_2) | instskip(SKIP_2) | instid1(VALU_DEP_4)
	v_mul_lo_u32 v17, v9, s28
	v_mul_lo_u32 v9, v9, s29
	v_sub_nc_u32_e32 v8, v8, v13
	v_mul_lo_u32 v18, v7, s37
	s_delay_alu instid0(VALU_DEP_2) | instskip(SKIP_1) | instid1(VALU_DEP_3)
	v_mul_lo_u32 v13, v8, s26
	v_mul_lo_u32 v8, v8, s27
	v_sub_nc_u32_e32 v10, v10, v18
	s_delay_alu instid0(VALU_DEP_3) | instskip(NEXT) | instid1(VALU_DEP_2)
	v_add3_u32 v4, v11, v4, v13
	v_mul_lo_u32 v18, v10, s30
	v_mul_lo_u32 v10, v10, s31
	v_add3_u32 v5, v15, v5, v8
	s_delay_alu instid0(VALU_DEP_3) | instskip(NEXT) | instid1(VALU_DEP_2)
	v_add3_u32 v4, v17, v4, v18
	v_add3_u32 v5, v9, v5, v10
	s_cbranch_scc1 .LBB5_46
; %bb.47:
	s_and_b32 s7, s7, 3
	s_delay_alu instid0(SALU_CYCLE_1)
	s_cmp_eq_u32 s7, 0
	s_cbranch_scc0 .LBB5_50
	s_branch .LBB5_52
.LBB5_48:
	s_mov_b32 s6, -1
                                        ; implicit-def: $vgpr4
                                        ; implicit-def: $vgpr5
	s_branch .LBB5_52
.LBB5_49:
	v_mov_b32_e32 v7, v6
	v_mov_b32_e32 v5, 0
	s_and_b32 s7, s7, 3
	s_delay_alu instid0(SALU_CYCLE_1)
	s_cmp_eq_u32 s7, 0
	s_cbranch_scc1 .LBB5_52
.LBB5_50:
	s_lshl_b32 s2, s8, 3
	s_mul_i32 s4, s8, 12
	s_add_u32 s2, s2, s0
	s_addc_u32 s3, 0, s1
	s_add_u32 s2, s2, 0xc4
	s_addc_u32 s3, s3, 0
	;; [unrolled: 2-line block ×3, first 2 shown]
	.p2align	6
.LBB5_51:                               ; =>This Inner Loop Header: Depth=1
	s_clause 0x1
	s_load_b64 s[8:9], s[4:5], 0x4
	s_load_b32 s12, s[4:5], 0xc
	s_load_b64 s[10:11], s[2:3], 0x0
	s_add_u32 s4, s4, 12
	s_addc_u32 s5, s5, 0
	s_add_u32 s2, s2, 8
	s_addc_u32 s3, s3, 0
	s_add_i32 s7, s7, -1
	s_delay_alu instid0(SALU_CYCLE_1) | instskip(SKIP_2) | instid1(VALU_DEP_1)
	s_cmp_lg_u32 s7, 0
	s_waitcnt lgkmcnt(0)
	v_mul_hi_u32 v8, s9, v7
	v_add_nc_u32_e32 v8, v7, v8
	s_delay_alu instid0(VALU_DEP_1) | instskip(NEXT) | instid1(VALU_DEP_1)
	v_lshrrev_b32_e32 v11, s12, v8
	v_mul_lo_u32 v8, v11, s8
	s_delay_alu instid0(VALU_DEP_1) | instskip(NEXT) | instid1(VALU_DEP_1)
	v_sub_nc_u32_e32 v7, v7, v8
	v_mad_u64_u32 v[8:9], null, v7, s10, v[4:5]
	v_mad_u64_u32 v[9:10], null, v7, s11, v[5:6]
	s_delay_alu instid0(VALU_DEP_2) | instskip(NEXT) | instid1(VALU_DEP_2)
	v_dual_mov_b32 v7, v11 :: v_dual_mov_b32 v4, v8
	v_mov_b32_e32 v5, v9
	s_cbranch_scc1 .LBB5_51
.LBB5_52:
	s_and_not1_b32 vcc_lo, exec_lo, s6
	s_cbranch_vccnz .LBB5_55
; %bb.53:
	s_clause 0x1
	s_load_b128 s[4:7], s[0:1], 0x4
	s_load_b64 s[2:3], s[0:1], 0xc4
	s_cmp_lt_u32 s22, 2
	s_waitcnt lgkmcnt(0)
	v_mul_hi_u32 v4, s5, v6
	s_delay_alu instid0(VALU_DEP_1) | instskip(NEXT) | instid1(VALU_DEP_1)
	v_add_nc_u32_e32 v4, v6, v4
	v_lshrrev_b32_e32 v7, s6, v4
	s_delay_alu instid0(VALU_DEP_1) | instskip(NEXT) | instid1(VALU_DEP_1)
	v_mul_lo_u32 v4, v7, s4
	v_sub_nc_u32_e32 v5, v6, v4
	s_delay_alu instid0(VALU_DEP_1)
	v_mul_lo_u32 v4, v5, s2
	v_mul_lo_u32 v5, v5, s3
	s_cbranch_scc1 .LBB5_55
; %bb.54:
	s_clause 0x1
	s_load_b128 s[4:7], s[0:1], 0x10
	s_load_b64 s[2:3], s[0:1], 0xcc
	s_waitcnt lgkmcnt(0)
	v_mul_hi_u32 v6, s5, v7
	s_delay_alu instid0(VALU_DEP_1) | instskip(NEXT) | instid1(VALU_DEP_1)
	v_add_nc_u32_e32 v6, v7, v6
	v_lshrrev_b32_e32 v6, s6, v6
	s_delay_alu instid0(VALU_DEP_1) | instskip(NEXT) | instid1(VALU_DEP_1)
	v_mul_lo_u32 v6, v6, s4
	v_sub_nc_u32_e32 v9, v7, v6
	s_delay_alu instid0(VALU_DEP_1) | instskip(NEXT) | instid1(VALU_DEP_1)
	v_mad_u64_u32 v[6:7], null, v9, s2, v[4:5]
	v_mad_u64_u32 v[7:8], null, v9, s3, v[5:6]
	s_delay_alu instid0(VALU_DEP_1)
	v_dual_mov_b32 v4, v6 :: v_dual_mov_b32 v5, v7
.LBB5_55:
	v_cmp_ne_u32_e32 vcc_lo, 1, v14
	v_add_nc_u32_e32 v8, 0x180, v12
	s_cbranch_vccnz .LBB5_61
; %bb.56:
	v_dual_mov_b32 v6, 0 :: v_dual_mov_b32 v7, 0
	s_cmp_lg_u32 s22, 0
	s_mov_b32 s6, 0
	s_cbranch_scc0 .LBB5_65
; %bb.57:
	s_min_u32 s7, s23, 15
	v_mov_b32_e32 v6, 0
	s_add_i32 s7, s7, 1
	s_cmp_eq_u32 s23, 2
	s_mov_b32 s8, 0
	s_cbranch_scc1 .LBB5_62
; %bb.58:
	v_dual_mov_b32 v7, 0 :: v_dual_mov_b32 v6, 0
	v_mov_b32_e32 v9, v8
	s_add_u32 s2, s0, 0xc4
	s_addc_u32 s3, s1, 0
	s_and_b32 s8, s7, 28
	s_mov_b32 s9, 0
	s_mov_b64 s[4:5], s[0:1]
.LBB5_59:                               ; =>This Inner Loop Header: Depth=1
	s_clause 0x1
	s_load_b256 s[12:19], s[4:5], 0x4
	s_load_b128 s[36:39], s[4:5], 0x24
	s_load_b256 s[24:31], s[2:3], 0x0
	s_add_u32 s4, s4, 48
	s_addc_u32 s5, s5, 0
	s_add_i32 s9, s9, 4
	s_add_u32 s2, s2, 32
	s_addc_u32 s3, s3, 0
	s_cmp_lg_u32 s8, s9
	s_waitcnt lgkmcnt(0)
	v_mul_hi_u32 v10, s13, v9
	s_delay_alu instid0(VALU_DEP_1) | instskip(NEXT) | instid1(VALU_DEP_1)
	v_add_nc_u32_e32 v10, v9, v10
	v_lshrrev_b32_e32 v10, s14, v10
	s_delay_alu instid0(VALU_DEP_1) | instskip(SKIP_1) | instid1(VALU_DEP_2)
	v_mul_hi_u32 v11, s16, v10
	v_mul_lo_u32 v15, v10, s12
	v_add_nc_u32_e32 v11, v10, v11
	s_delay_alu instid0(VALU_DEP_2) | instskip(NEXT) | instid1(VALU_DEP_2)
	v_sub_nc_u32_e32 v9, v9, v15
	v_lshrrev_b32_e32 v11, s17, v11
	s_delay_alu instid0(VALU_DEP_2) | instskip(SKIP_1) | instid1(VALU_DEP_3)
	v_mul_lo_u32 v15, v9, s24
	v_mul_lo_u32 v18, v9, s25
	v_mul_hi_u32 v13, s19, v11
	s_delay_alu instid0(VALU_DEP_1) | instskip(NEXT) | instid1(VALU_DEP_1)
	v_add_nc_u32_e32 v13, v11, v13
	v_lshrrev_b32_e32 v13, s36, v13
	s_delay_alu instid0(VALU_DEP_1) | instskip(SKIP_1) | instid1(VALU_DEP_2)
	v_mul_hi_u32 v17, s38, v13
	v_mul_lo_u32 v19, v13, s18
	v_add_nc_u32_e32 v9, v13, v17
	v_mul_lo_u32 v17, v11, s15
	s_delay_alu instid0(VALU_DEP_3) | instskip(NEXT) | instid1(VALU_DEP_3)
	v_sub_nc_u32_e32 v11, v11, v19
	v_lshrrev_b32_e32 v9, s39, v9
	s_delay_alu instid0(VALU_DEP_2) | instskip(SKIP_2) | instid1(VALU_DEP_4)
	v_mul_lo_u32 v19, v11, s28
	v_mul_lo_u32 v11, v11, s29
	v_sub_nc_u32_e32 v10, v10, v17
	v_mul_lo_u32 v20, v9, s37
	s_delay_alu instid0(VALU_DEP_2) | instskip(SKIP_1) | instid1(VALU_DEP_3)
	v_mul_lo_u32 v17, v10, s26
	v_mul_lo_u32 v10, v10, s27
	v_sub_nc_u32_e32 v13, v13, v20
	s_delay_alu instid0(VALU_DEP_3) | instskip(NEXT) | instid1(VALU_DEP_2)
	v_add3_u32 v6, v15, v6, v17
	v_mul_lo_u32 v20, v13, s30
	v_mul_lo_u32 v13, v13, s31
	v_add3_u32 v7, v18, v7, v10
	s_delay_alu instid0(VALU_DEP_3) | instskip(NEXT) | instid1(VALU_DEP_2)
	v_add3_u32 v6, v19, v6, v20
	v_add3_u32 v7, v11, v7, v13
	s_cbranch_scc1 .LBB5_59
; %bb.60:
	s_and_b32 s7, s7, 3
	s_delay_alu instid0(SALU_CYCLE_1)
	s_cmp_eq_u32 s7, 0
	s_cbranch_scc0 .LBB5_63
	s_branch .LBB5_65
.LBB5_61:
	s_mov_b32 s6, -1
                                        ; implicit-def: $vgpr6
                                        ; implicit-def: $vgpr7
	s_branch .LBB5_65
.LBB5_62:
	v_mov_b32_e32 v9, v8
	v_mov_b32_e32 v7, 0
	s_and_b32 s7, s7, 3
	s_delay_alu instid0(SALU_CYCLE_1)
	s_cmp_eq_u32 s7, 0
	s_cbranch_scc1 .LBB5_65
.LBB5_63:
	s_lshl_b32 s2, s8, 3
	s_mul_i32 s4, s8, 12
	s_add_u32 s2, s2, s0
	s_addc_u32 s3, 0, s1
	s_add_u32 s2, s2, 0xc4
	s_addc_u32 s3, s3, 0
	;; [unrolled: 2-line block ×3, first 2 shown]
	.p2align	6
.LBB5_64:                               ; =>This Inner Loop Header: Depth=1
	s_clause 0x1
	s_load_b64 s[8:9], s[4:5], 0x4
	s_load_b32 s12, s[4:5], 0xc
	s_load_b64 s[10:11], s[2:3], 0x0
	s_add_u32 s4, s4, 12
	s_addc_u32 s5, s5, 0
	s_add_u32 s2, s2, 8
	s_addc_u32 s3, s3, 0
	s_add_i32 s7, s7, -1
	s_delay_alu instid0(SALU_CYCLE_1) | instskip(SKIP_2) | instid1(VALU_DEP_1)
	s_cmp_lg_u32 s7, 0
	s_waitcnt lgkmcnt(0)
	v_mul_hi_u32 v10, s9, v9
	v_add_nc_u32_e32 v10, v9, v10
	s_delay_alu instid0(VALU_DEP_1) | instskip(NEXT) | instid1(VALU_DEP_1)
	v_lshrrev_b32_e32 v13, s12, v10
	v_mul_lo_u32 v10, v13, s8
	s_delay_alu instid0(VALU_DEP_1) | instskip(NEXT) | instid1(VALU_DEP_1)
	v_sub_nc_u32_e32 v9, v9, v10
	v_mad_u64_u32 v[10:11], null, v9, s10, v[6:7]
	v_mad_u64_u32 v[17:18], null, v9, s11, v[7:8]
	s_delay_alu instid0(VALU_DEP_2) | instskip(NEXT) | instid1(VALU_DEP_2)
	v_dual_mov_b32 v9, v13 :: v_dual_mov_b32 v6, v10
	v_mov_b32_e32 v7, v17
	s_cbranch_scc1 .LBB5_64
.LBB5_65:
	s_and_not1_b32 vcc_lo, exec_lo, s6
	s_cbranch_vccnz .LBB5_68
; %bb.66:
	s_clause 0x1
	s_load_b128 s[4:7], s[0:1], 0x4
	s_load_b64 s[2:3], s[0:1], 0xc4
	s_cmp_lt_u32 s22, 2
	s_waitcnt lgkmcnt(0)
	v_mul_hi_u32 v6, s5, v8
	s_delay_alu instid0(VALU_DEP_1) | instskip(NEXT) | instid1(VALU_DEP_1)
	v_add_nc_u32_e32 v6, v8, v6
	v_lshrrev_b32_e32 v9, s6, v6
	s_delay_alu instid0(VALU_DEP_1) | instskip(NEXT) | instid1(VALU_DEP_1)
	v_mul_lo_u32 v6, v9, s4
	v_sub_nc_u32_e32 v7, v8, v6
	s_delay_alu instid0(VALU_DEP_1)
	v_mul_lo_u32 v6, v7, s2
	v_mul_lo_u32 v7, v7, s3
	s_cbranch_scc1 .LBB5_68
; %bb.67:
	s_clause 0x1
	s_load_b128 s[4:7], s[0:1], 0x10
	s_load_b64 s[2:3], s[0:1], 0xcc
	s_waitcnt lgkmcnt(0)
	v_mul_hi_u32 v8, s5, v9
	s_delay_alu instid0(VALU_DEP_1) | instskip(NEXT) | instid1(VALU_DEP_1)
	v_add_nc_u32_e32 v8, v9, v8
	v_lshrrev_b32_e32 v8, s6, v8
	s_delay_alu instid0(VALU_DEP_1) | instskip(NEXT) | instid1(VALU_DEP_1)
	v_mul_lo_u32 v8, v8, s4
	v_sub_nc_u32_e32 v11, v9, v8
	s_delay_alu instid0(VALU_DEP_1) | instskip(NEXT) | instid1(VALU_DEP_1)
	v_mad_u64_u32 v[8:9], null, v11, s2, v[6:7]
	v_mad_u64_u32 v[9:10], null, v11, s3, v[7:8]
	s_delay_alu instid0(VALU_DEP_1)
	v_dual_mov_b32 v6, v8 :: v_dual_mov_b32 v7, v9
.LBB5_68:
	v_cmp_ne_u32_e32 vcc_lo, 1, v14
	v_add_nc_u32_e32 v10, 0x200, v12
	s_cbranch_vccnz .LBB5_74
; %bb.69:
	v_dual_mov_b32 v8, 0 :: v_dual_mov_b32 v9, 0
	s_cmp_lg_u32 s22, 0
	s_mov_b32 s6, 0
	s_cbranch_scc0 .LBB5_78
; %bb.70:
	s_min_u32 s7, s23, 15
	v_mov_b32_e32 v8, 0
	s_add_i32 s7, s7, 1
	s_cmp_eq_u32 s23, 2
	s_mov_b32 s8, 0
	s_cbranch_scc1 .LBB5_75
; %bb.71:
	v_dual_mov_b32 v9, 0 :: v_dual_mov_b32 v8, 0
	v_mov_b32_e32 v11, v10
	s_add_u32 s2, s0, 0xc4
	s_addc_u32 s3, s1, 0
	s_and_b32 s8, s7, 28
	s_mov_b32 s9, 0
	s_mov_b64 s[4:5], s[0:1]
.LBB5_72:                               ; =>This Inner Loop Header: Depth=1
	s_clause 0x1
	s_load_b256 s[12:19], s[4:5], 0x4
	s_load_b128 s[36:39], s[4:5], 0x24
	s_load_b256 s[24:31], s[2:3], 0x0
	s_add_u32 s4, s4, 48
	s_addc_u32 s5, s5, 0
	s_add_i32 s9, s9, 4
	s_add_u32 s2, s2, 32
	s_addc_u32 s3, s3, 0
	s_cmp_lg_u32 s8, s9
	s_waitcnt lgkmcnt(0)
	v_mul_hi_u32 v13, s13, v11
	s_delay_alu instid0(VALU_DEP_1) | instskip(NEXT) | instid1(VALU_DEP_1)
	v_add_nc_u32_e32 v13, v11, v13
	v_lshrrev_b32_e32 v13, s14, v13
	s_delay_alu instid0(VALU_DEP_1) | instskip(SKIP_1) | instid1(VALU_DEP_2)
	v_mul_hi_u32 v15, s16, v13
	v_mul_lo_u32 v18, v13, s12
	v_add_nc_u32_e32 v15, v13, v15
	s_delay_alu instid0(VALU_DEP_2) | instskip(NEXT) | instid1(VALU_DEP_2)
	v_sub_nc_u32_e32 v11, v11, v18
	v_lshrrev_b32_e32 v15, s17, v15
	s_delay_alu instid0(VALU_DEP_2) | instskip(SKIP_1) | instid1(VALU_DEP_3)
	v_mul_lo_u32 v18, v11, s24
	v_mul_lo_u32 v20, v11, s25
	v_mul_hi_u32 v17, s19, v15
	s_delay_alu instid0(VALU_DEP_1) | instskip(NEXT) | instid1(VALU_DEP_1)
	v_add_nc_u32_e32 v17, v15, v17
	v_lshrrev_b32_e32 v17, s36, v17
	s_delay_alu instid0(VALU_DEP_1) | instskip(SKIP_1) | instid1(VALU_DEP_2)
	v_mul_hi_u32 v19, s38, v17
	v_mul_lo_u32 v21, v17, s18
	v_add_nc_u32_e32 v11, v17, v19
	v_mul_lo_u32 v19, v15, s15
	s_delay_alu instid0(VALU_DEP_3) | instskip(NEXT) | instid1(VALU_DEP_3)
	v_sub_nc_u32_e32 v15, v15, v21
	v_lshrrev_b32_e32 v11, s39, v11
	s_delay_alu instid0(VALU_DEP_2) | instskip(SKIP_2) | instid1(VALU_DEP_4)
	v_mul_lo_u32 v21, v15, s28
	v_mul_lo_u32 v15, v15, s29
	v_sub_nc_u32_e32 v13, v13, v19
	v_mul_lo_u32 v22, v11, s37
	s_delay_alu instid0(VALU_DEP_2) | instskip(SKIP_1) | instid1(VALU_DEP_3)
	v_mul_lo_u32 v19, v13, s26
	v_mul_lo_u32 v13, v13, s27
	v_sub_nc_u32_e32 v17, v17, v22
	s_delay_alu instid0(VALU_DEP_3) | instskip(NEXT) | instid1(VALU_DEP_2)
	v_add3_u32 v8, v18, v8, v19
	v_mul_lo_u32 v22, v17, s30
	v_mul_lo_u32 v17, v17, s31
	v_add3_u32 v9, v20, v9, v13
	s_delay_alu instid0(VALU_DEP_3) | instskip(NEXT) | instid1(VALU_DEP_2)
	v_add3_u32 v8, v21, v8, v22
	v_add3_u32 v9, v15, v9, v17
	s_cbranch_scc1 .LBB5_72
; %bb.73:
	s_and_b32 s7, s7, 3
	s_delay_alu instid0(SALU_CYCLE_1)
	s_cmp_eq_u32 s7, 0
	s_cbranch_scc0 .LBB5_76
	s_branch .LBB5_78
.LBB5_74:
	s_mov_b32 s6, -1
                                        ; implicit-def: $vgpr8
                                        ; implicit-def: $vgpr9
	s_branch .LBB5_78
.LBB5_75:
	v_mov_b32_e32 v11, v10
	v_mov_b32_e32 v9, 0
	s_and_b32 s7, s7, 3
	s_delay_alu instid0(SALU_CYCLE_1)
	s_cmp_eq_u32 s7, 0
	s_cbranch_scc1 .LBB5_78
.LBB5_76:
	s_lshl_b32 s2, s8, 3
	s_mul_i32 s4, s8, 12
	s_add_u32 s2, s2, s0
	s_addc_u32 s3, 0, s1
	s_add_u32 s2, s2, 0xc4
	s_addc_u32 s3, s3, 0
	;; [unrolled: 2-line block ×3, first 2 shown]
	.p2align	6
.LBB5_77:                               ; =>This Inner Loop Header: Depth=1
	s_clause 0x1
	s_load_b64 s[8:9], s[4:5], 0x4
	s_load_b32 s12, s[4:5], 0xc
	s_load_b64 s[10:11], s[2:3], 0x0
	s_add_u32 s4, s4, 12
	s_addc_u32 s5, s5, 0
	s_add_u32 s2, s2, 8
	s_addc_u32 s3, s3, 0
	s_add_i32 s7, s7, -1
	s_delay_alu instid0(SALU_CYCLE_1) | instskip(SKIP_2) | instid1(VALU_DEP_1)
	s_cmp_lg_u32 s7, 0
	s_waitcnt lgkmcnt(0)
	v_mul_hi_u32 v13, s9, v11
	v_add_nc_u32_e32 v13, v11, v13
	s_delay_alu instid0(VALU_DEP_1) | instskip(NEXT) | instid1(VALU_DEP_1)
	v_lshrrev_b32_e32 v13, s12, v13
	v_mul_lo_u32 v15, v13, s8
	s_delay_alu instid0(VALU_DEP_1) | instskip(NEXT) | instid1(VALU_DEP_1)
	v_sub_nc_u32_e32 v11, v11, v15
	v_mad_u64_u32 v[17:18], null, v11, s10, v[8:9]
	v_mad_u64_u32 v[18:19], null, v11, s11, v[9:10]
	v_mov_b32_e32 v11, v13
	s_delay_alu instid0(VALU_DEP_2)
	v_dual_mov_b32 v8, v17 :: v_dual_mov_b32 v9, v18
	s_cbranch_scc1 .LBB5_77
.LBB5_78:
	s_and_not1_b32 vcc_lo, exec_lo, s6
	s_cbranch_vccnz .LBB5_81
; %bb.79:
	s_clause 0x1
	s_load_b128 s[4:7], s[0:1], 0x4
	s_load_b64 s[2:3], s[0:1], 0xc4
	s_cmp_lt_u32 s22, 2
	s_waitcnt lgkmcnt(0)
	v_mul_hi_u32 v8, s5, v10
	s_delay_alu instid0(VALU_DEP_1) | instskip(NEXT) | instid1(VALU_DEP_1)
	v_add_nc_u32_e32 v8, v10, v8
	v_lshrrev_b32_e32 v11, s6, v8
	s_delay_alu instid0(VALU_DEP_1) | instskip(NEXT) | instid1(VALU_DEP_1)
	v_mul_lo_u32 v8, v11, s4
	v_sub_nc_u32_e32 v9, v10, v8
	s_delay_alu instid0(VALU_DEP_1)
	v_mul_lo_u32 v8, v9, s2
	v_mul_lo_u32 v9, v9, s3
	s_cbranch_scc1 .LBB5_81
; %bb.80:
	s_clause 0x1
	s_load_b128 s[4:7], s[0:1], 0x10
	s_load_b64 s[2:3], s[0:1], 0xcc
	s_waitcnt lgkmcnt(0)
	v_mul_hi_u32 v10, s5, v11
	s_delay_alu instid0(VALU_DEP_1) | instskip(NEXT) | instid1(VALU_DEP_1)
	v_add_nc_u32_e32 v10, v11, v10
	v_lshrrev_b32_e32 v10, s6, v10
	s_delay_alu instid0(VALU_DEP_1) | instskip(NEXT) | instid1(VALU_DEP_1)
	v_mul_lo_u32 v10, v10, s4
	v_sub_nc_u32_e32 v13, v11, v10
	s_delay_alu instid0(VALU_DEP_1) | instskip(NEXT) | instid1(VALU_DEP_1)
	v_mad_u64_u32 v[10:11], null, v13, s2, v[8:9]
	v_mad_u64_u32 v[17:18], null, v13, s3, v[9:10]
	s_delay_alu instid0(VALU_DEP_1)
	v_dual_mov_b32 v8, v10 :: v_dual_mov_b32 v9, v17
.LBB5_81:
	v_cmp_ne_u32_e32 vcc_lo, 1, v14
	v_add_nc_u32_e32 v13, 0x280, v12
	s_cbranch_vccnz .LBB5_87
; %bb.82:
	v_dual_mov_b32 v10, 0 :: v_dual_mov_b32 v11, 0
	s_cmp_lg_u32 s22, 0
	s_mov_b32 s6, 0
	s_cbranch_scc0 .LBB5_91
; %bb.83:
	s_min_u32 s7, s23, 15
	v_mov_b32_e32 v10, 0
	s_add_i32 s7, s7, 1
	s_cmp_eq_u32 s23, 2
	s_mov_b32 s8, 0
	s_cbranch_scc1 .LBB5_88
; %bb.84:
	v_dual_mov_b32 v11, 0 :: v_dual_mov_b32 v10, 0
	v_mov_b32_e32 v15, v13
	s_add_u32 s2, s0, 0xc4
	s_addc_u32 s3, s1, 0
	s_and_b32 s8, s7, 28
	s_mov_b32 s9, 0
	s_mov_b64 s[4:5], s[0:1]
.LBB5_85:                               ; =>This Inner Loop Header: Depth=1
	s_clause 0x1
	s_load_b256 s[12:19], s[4:5], 0x4
	s_load_b128 s[36:39], s[4:5], 0x24
	s_load_b256 s[24:31], s[2:3], 0x0
	s_add_u32 s4, s4, 48
	s_addc_u32 s5, s5, 0
	s_add_i32 s9, s9, 4
	s_add_u32 s2, s2, 32
	s_addc_u32 s3, s3, 0
	s_cmp_lg_u32 s8, s9
	s_waitcnt lgkmcnt(0)
	v_mul_hi_u32 v17, s13, v15
	s_delay_alu instid0(VALU_DEP_1) | instskip(NEXT) | instid1(VALU_DEP_1)
	v_add_nc_u32_e32 v17, v15, v17
	v_lshrrev_b32_e32 v17, s14, v17
	s_delay_alu instid0(VALU_DEP_1) | instskip(SKIP_1) | instid1(VALU_DEP_2)
	v_mul_hi_u32 v18, s16, v17
	v_mul_lo_u32 v20, v17, s12
	v_add_nc_u32_e32 v18, v17, v18
	s_delay_alu instid0(VALU_DEP_2) | instskip(NEXT) | instid1(VALU_DEP_2)
	v_sub_nc_u32_e32 v15, v15, v20
	v_lshrrev_b32_e32 v18, s17, v18
	s_delay_alu instid0(VALU_DEP_2) | instskip(SKIP_1) | instid1(VALU_DEP_3)
	v_mul_lo_u32 v20, v15, s24
	v_mul_lo_u32 v22, v15, s25
	v_mul_hi_u32 v19, s19, v18
	s_delay_alu instid0(VALU_DEP_1) | instskip(NEXT) | instid1(VALU_DEP_1)
	v_add_nc_u32_e32 v19, v18, v19
	v_lshrrev_b32_e32 v19, s36, v19
	s_delay_alu instid0(VALU_DEP_1) | instskip(SKIP_1) | instid1(VALU_DEP_2)
	v_mul_hi_u32 v21, s38, v19
	v_mul_lo_u32 v23, v19, s18
	v_add_nc_u32_e32 v15, v19, v21
	v_mul_lo_u32 v21, v18, s15
	s_delay_alu instid0(VALU_DEP_3) | instskip(NEXT) | instid1(VALU_DEP_3)
	v_sub_nc_u32_e32 v18, v18, v23
	v_lshrrev_b32_e32 v15, s39, v15
	s_delay_alu instid0(VALU_DEP_2) | instskip(SKIP_2) | instid1(VALU_DEP_4)
	v_mul_lo_u32 v23, v18, s28
	v_mul_lo_u32 v18, v18, s29
	v_sub_nc_u32_e32 v17, v17, v21
	v_mul_lo_u32 v24, v15, s37
	s_delay_alu instid0(VALU_DEP_2) | instskip(SKIP_1) | instid1(VALU_DEP_3)
	v_mul_lo_u32 v21, v17, s26
	v_mul_lo_u32 v17, v17, s27
	v_sub_nc_u32_e32 v19, v19, v24
	s_delay_alu instid0(VALU_DEP_3) | instskip(NEXT) | instid1(VALU_DEP_2)
	v_add3_u32 v10, v20, v10, v21
	v_mul_lo_u32 v24, v19, s30
	v_mul_lo_u32 v19, v19, s31
	v_add3_u32 v11, v22, v11, v17
	s_delay_alu instid0(VALU_DEP_3) | instskip(NEXT) | instid1(VALU_DEP_2)
	v_add3_u32 v10, v23, v10, v24
	v_add3_u32 v11, v18, v11, v19
	s_cbranch_scc1 .LBB5_85
; %bb.86:
	s_and_b32 s7, s7, 3
	s_delay_alu instid0(SALU_CYCLE_1)
	s_cmp_eq_u32 s7, 0
	s_cbranch_scc0 .LBB5_89
	s_branch .LBB5_91
.LBB5_87:
	s_mov_b32 s6, -1
                                        ; implicit-def: $vgpr10
                                        ; implicit-def: $vgpr11
	s_branch .LBB5_91
.LBB5_88:
	v_mov_b32_e32 v15, v13
	v_mov_b32_e32 v11, 0
	s_and_b32 s7, s7, 3
	s_delay_alu instid0(SALU_CYCLE_1)
	s_cmp_eq_u32 s7, 0
	s_cbranch_scc1 .LBB5_91
.LBB5_89:
	s_lshl_b32 s2, s8, 3
	s_mul_i32 s4, s8, 12
	s_add_u32 s2, s2, s0
	s_addc_u32 s3, 0, s1
	s_add_u32 s2, s2, 0xc4
	s_addc_u32 s3, s3, 0
	;; [unrolled: 2-line block ×3, first 2 shown]
	.p2align	6
.LBB5_90:                               ; =>This Inner Loop Header: Depth=1
	s_clause 0x1
	s_load_b64 s[8:9], s[4:5], 0x4
	s_load_b32 s12, s[4:5], 0xc
	s_load_b64 s[10:11], s[2:3], 0x0
	s_add_u32 s4, s4, 12
	s_addc_u32 s5, s5, 0
	s_add_u32 s2, s2, 8
	s_addc_u32 s3, s3, 0
	s_add_i32 s7, s7, -1
	s_delay_alu instid0(SALU_CYCLE_1) | instskip(SKIP_2) | instid1(VALU_DEP_1)
	s_cmp_lg_u32 s7, 0
	s_waitcnt lgkmcnt(0)
	v_mul_hi_u32 v17, s9, v15
	v_add_nc_u32_e32 v17, v15, v17
	s_delay_alu instid0(VALU_DEP_1) | instskip(NEXT) | instid1(VALU_DEP_1)
	v_lshrrev_b32_e32 v20, s12, v17
	v_mul_lo_u32 v17, v20, s8
	s_delay_alu instid0(VALU_DEP_1) | instskip(NEXT) | instid1(VALU_DEP_1)
	v_sub_nc_u32_e32 v15, v15, v17
	v_mad_u64_u32 v[17:18], null, v15, s10, v[10:11]
	v_mad_u64_u32 v[18:19], null, v15, s11, v[11:12]
	s_delay_alu instid0(VALU_DEP_2) | instskip(NEXT) | instid1(VALU_DEP_2)
	v_dual_mov_b32 v15, v20 :: v_dual_mov_b32 v10, v17
	v_mov_b32_e32 v11, v18
	s_cbranch_scc1 .LBB5_90
.LBB5_91:
	s_and_not1_b32 vcc_lo, exec_lo, s6
	s_cbranch_vccnz .LBB5_94
; %bb.92:
	s_clause 0x1
	s_load_b128 s[4:7], s[0:1], 0x4
	s_load_b64 s[2:3], s[0:1], 0xc4
	s_cmp_lt_u32 s22, 2
	s_waitcnt lgkmcnt(0)
	v_mul_hi_u32 v10, s5, v13
	s_delay_alu instid0(VALU_DEP_1) | instskip(NEXT) | instid1(VALU_DEP_1)
	v_add_nc_u32_e32 v10, v13, v10
	v_lshrrev_b32_e32 v15, s6, v10
	s_delay_alu instid0(VALU_DEP_1) | instskip(NEXT) | instid1(VALU_DEP_1)
	v_mul_lo_u32 v10, v15, s4
	v_sub_nc_u32_e32 v11, v13, v10
	s_delay_alu instid0(VALU_DEP_1)
	v_mul_lo_u32 v10, v11, s2
	v_mul_lo_u32 v11, v11, s3
	s_cbranch_scc1 .LBB5_94
; %bb.93:
	s_clause 0x1
	s_load_b128 s[4:7], s[0:1], 0x10
	s_load_b64 s[2:3], s[0:1], 0xcc
	s_waitcnt lgkmcnt(0)
	v_mul_hi_u32 v13, s5, v15
	s_delay_alu instid0(VALU_DEP_1) | instskip(NEXT) | instid1(VALU_DEP_1)
	v_add_nc_u32_e32 v13, v15, v13
	v_lshrrev_b32_e32 v13, s6, v13
	s_delay_alu instid0(VALU_DEP_1) | instskip(NEXT) | instid1(VALU_DEP_1)
	v_mul_lo_u32 v13, v13, s4
	v_sub_nc_u32_e32 v13, v15, v13
	s_delay_alu instid0(VALU_DEP_1) | instskip(SKIP_1) | instid1(VALU_DEP_1)
	v_mad_u64_u32 v[17:18], null, v13, s2, v[10:11]
	v_mad_u64_u32 v[18:19], null, v13, s3, v[11:12]
	v_dual_mov_b32 v10, v17 :: v_dual_mov_b32 v11, v18
.LBB5_94:
	v_cmp_ne_u32_e32 vcc_lo, 1, v14
	v_add_nc_u32_e32 v15, 0x300, v12
	s_cbranch_vccnz .LBB5_100
; %bb.95:
	v_dual_mov_b32 v12, 0 :: v_dual_mov_b32 v13, 0
	s_cmp_lg_u32 s22, 0
	s_mov_b32 s6, 0
	s_cbranch_scc0 .LBB5_104
; %bb.96:
	s_min_u32 s7, s23, 15
	v_mov_b32_e32 v12, 0
	s_add_i32 s7, s7, 1
	s_cmp_eq_u32 s23, 2
	s_mov_b32 s8, 0
	s_cbranch_scc1 .LBB5_101
; %bb.97:
	v_dual_mov_b32 v13, 0 :: v_dual_mov_b32 v12, 0
	v_mov_b32_e32 v17, v15
	s_add_u32 s2, s0, 0xc4
	s_addc_u32 s3, s1, 0
	s_and_b32 s8, s7, 28
	s_mov_b32 s9, 0
	s_mov_b64 s[4:5], s[0:1]
.LBB5_98:                               ; =>This Inner Loop Header: Depth=1
	s_clause 0x1
	s_load_b256 s[12:19], s[4:5], 0x4
	s_load_b128 s[36:39], s[4:5], 0x24
	s_load_b256 s[24:31], s[2:3], 0x0
	s_add_u32 s4, s4, 48
	s_addc_u32 s5, s5, 0
	s_add_i32 s9, s9, 4
	s_add_u32 s2, s2, 32
	s_addc_u32 s3, s3, 0
	s_cmp_lg_u32 s8, s9
	s_waitcnt lgkmcnt(0)
	v_mul_hi_u32 v18, s13, v17
	s_delay_alu instid0(VALU_DEP_1) | instskip(NEXT) | instid1(VALU_DEP_1)
	v_add_nc_u32_e32 v18, v17, v18
	v_lshrrev_b32_e32 v18, s14, v18
	s_delay_alu instid0(VALU_DEP_1) | instskip(SKIP_1) | instid1(VALU_DEP_2)
	v_mul_hi_u32 v19, s16, v18
	v_mul_lo_u32 v21, v18, s12
	v_add_nc_u32_e32 v19, v18, v19
	s_delay_alu instid0(VALU_DEP_2) | instskip(NEXT) | instid1(VALU_DEP_2)
	v_sub_nc_u32_e32 v17, v17, v21
	v_lshrrev_b32_e32 v19, s17, v19
	s_delay_alu instid0(VALU_DEP_2) | instskip(SKIP_1) | instid1(VALU_DEP_3)
	v_mul_lo_u32 v21, v17, s24
	v_mul_lo_u32 v23, v17, s25
	v_mul_hi_u32 v20, s19, v19
	s_delay_alu instid0(VALU_DEP_1) | instskip(NEXT) | instid1(VALU_DEP_1)
	v_add_nc_u32_e32 v20, v19, v20
	v_lshrrev_b32_e32 v20, s36, v20
	s_delay_alu instid0(VALU_DEP_1) | instskip(SKIP_1) | instid1(VALU_DEP_2)
	v_mul_hi_u32 v22, s38, v20
	v_mul_lo_u32 v24, v20, s18
	v_add_nc_u32_e32 v17, v20, v22
	v_mul_lo_u32 v22, v19, s15
	s_delay_alu instid0(VALU_DEP_3) | instskip(NEXT) | instid1(VALU_DEP_3)
	v_sub_nc_u32_e32 v19, v19, v24
	v_lshrrev_b32_e32 v17, s39, v17
	s_delay_alu instid0(VALU_DEP_2) | instskip(SKIP_2) | instid1(VALU_DEP_4)
	v_mul_lo_u32 v24, v19, s28
	v_mul_lo_u32 v19, v19, s29
	v_sub_nc_u32_e32 v18, v18, v22
	v_mul_lo_u32 v25, v17, s37
	s_delay_alu instid0(VALU_DEP_2) | instskip(SKIP_1) | instid1(VALU_DEP_3)
	v_mul_lo_u32 v22, v18, s26
	v_mul_lo_u32 v18, v18, s27
	v_sub_nc_u32_e32 v20, v20, v25
	s_delay_alu instid0(VALU_DEP_3) | instskip(NEXT) | instid1(VALU_DEP_2)
	v_add3_u32 v12, v21, v12, v22
	v_mul_lo_u32 v25, v20, s30
	v_mul_lo_u32 v20, v20, s31
	v_add3_u32 v13, v23, v13, v18
	s_delay_alu instid0(VALU_DEP_3) | instskip(NEXT) | instid1(VALU_DEP_2)
	v_add3_u32 v12, v24, v12, v25
	v_add3_u32 v13, v19, v13, v20
	s_cbranch_scc1 .LBB5_98
; %bb.99:
	s_and_b32 s7, s7, 3
	s_delay_alu instid0(SALU_CYCLE_1)
	s_cmp_eq_u32 s7, 0
	s_cbranch_scc0 .LBB5_102
	s_branch .LBB5_104
.LBB5_100:
	s_mov_b32 s6, -1
                                        ; implicit-def: $vgpr12
                                        ; implicit-def: $vgpr13
	s_branch .LBB5_104
.LBB5_101:
	v_mov_b32_e32 v17, v15
	v_mov_b32_e32 v13, 0
	s_and_b32 s7, s7, 3
	s_delay_alu instid0(SALU_CYCLE_1)
	s_cmp_eq_u32 s7, 0
	s_cbranch_scc1 .LBB5_104
.LBB5_102:
	s_lshl_b32 s2, s8, 3
	s_mul_i32 s4, s8, 12
	s_add_u32 s2, s2, s0
	s_addc_u32 s3, 0, s1
	s_add_u32 s2, s2, 0xc4
	s_addc_u32 s3, s3, 0
	;; [unrolled: 2-line block ×3, first 2 shown]
	.p2align	6
.LBB5_103:                              ; =>This Inner Loop Header: Depth=1
	s_clause 0x1
	s_load_b64 s[8:9], s[4:5], 0x4
	s_load_b32 s12, s[4:5], 0xc
	s_load_b64 s[10:11], s[2:3], 0x0
	s_add_u32 s4, s4, 12
	s_addc_u32 s5, s5, 0
	s_add_u32 s2, s2, 8
	s_addc_u32 s3, s3, 0
	s_add_i32 s7, s7, -1
	s_delay_alu instid0(SALU_CYCLE_1) | instskip(SKIP_2) | instid1(VALU_DEP_1)
	s_cmp_lg_u32 s7, 0
	s_waitcnt lgkmcnt(0)
	v_mul_hi_u32 v18, s9, v17
	v_add_nc_u32_e32 v18, v17, v18
	s_delay_alu instid0(VALU_DEP_1) | instskip(NEXT) | instid1(VALU_DEP_1)
	v_lshrrev_b32_e32 v21, s12, v18
	v_mul_lo_u32 v18, v21, s8
	s_delay_alu instid0(VALU_DEP_1) | instskip(NEXT) | instid1(VALU_DEP_1)
	v_sub_nc_u32_e32 v17, v17, v18
	v_mad_u64_u32 v[18:19], null, v17, s10, v[12:13]
	v_mad_u64_u32 v[19:20], null, v17, s11, v[13:14]
	s_delay_alu instid0(VALU_DEP_2) | instskip(NEXT) | instid1(VALU_DEP_2)
	v_dual_mov_b32 v17, v21 :: v_dual_mov_b32 v12, v18
	v_mov_b32_e32 v13, v19
	s_cbranch_scc1 .LBB5_103
.LBB5_104:
	s_and_not1_b32 vcc_lo, exec_lo, s6
	s_cbranch_vccnz .LBB5_107
; %bb.105:
	s_clause 0x1
	s_load_b128 s[4:7], s[0:1], 0x4
	s_load_b64 s[2:3], s[0:1], 0xc4
	s_cmp_lt_u32 s22, 2
	s_waitcnt lgkmcnt(0)
	v_mul_hi_u32 v12, s5, v15
	s_delay_alu instid0(VALU_DEP_1) | instskip(NEXT) | instid1(VALU_DEP_1)
	v_add_nc_u32_e32 v12, v15, v12
	v_lshrrev_b32_e32 v17, s6, v12
	s_delay_alu instid0(VALU_DEP_1) | instskip(NEXT) | instid1(VALU_DEP_1)
	v_mul_lo_u32 v12, v17, s4
	v_sub_nc_u32_e32 v13, v15, v12
	s_delay_alu instid0(VALU_DEP_1)
	v_mul_lo_u32 v12, v13, s2
	v_mul_lo_u32 v13, v13, s3
	s_cbranch_scc1 .LBB5_107
; %bb.106:
	s_clause 0x1
	s_load_b128 s[4:7], s[0:1], 0x10
	s_load_b64 s[2:3], s[0:1], 0xcc
	s_waitcnt lgkmcnt(0)
	v_mul_hi_u32 v15, s5, v17
	s_delay_alu instid0(VALU_DEP_1) | instskip(NEXT) | instid1(VALU_DEP_1)
	v_add_nc_u32_e32 v15, v17, v15
	v_lshrrev_b32_e32 v15, s6, v15
	s_delay_alu instid0(VALU_DEP_1) | instskip(NEXT) | instid1(VALU_DEP_1)
	v_mul_lo_u32 v15, v15, s4
	v_sub_nc_u32_e32 v15, v17, v15
	s_delay_alu instid0(VALU_DEP_1) | instskip(SKIP_1) | instid1(VALU_DEP_1)
	v_mad_u64_u32 v[17:18], null, v15, s2, v[12:13]
	v_mad_u64_u32 v[18:19], null, v15, s3, v[13:14]
	v_dual_mov_b32 v12, v17 :: v_dual_mov_b32 v13, v18
.LBB5_107:
	v_cmp_ne_u32_e32 vcc_lo, 1, v14
	s_cbranch_vccnz .LBB5_113
; %bb.108:
	v_dual_mov_b32 v14, 0 :: v_dual_mov_b32 v15, 0
	s_cmp_lg_u32 s22, 0
	s_mov_b32 s6, 0
	s_cbranch_scc0 .LBB5_117
; %bb.109:
	s_min_u32 s7, s23, 15
	v_mov_b32_e32 v14, 0
	s_add_i32 s7, s7, 1
	s_cmp_eq_u32 s23, 2
	s_mov_b32 s8, 0
	s_cbranch_scc1 .LBB5_114
; %bb.110:
	v_dual_mov_b32 v15, 0 :: v_dual_mov_b32 v14, 0
	v_mov_b32_e32 v17, v16
	s_add_u32 s2, s0, 0xc4
	s_addc_u32 s3, s1, 0
	s_and_b32 s8, s7, 28
	s_mov_b32 s9, 0
	s_mov_b64 s[4:5], s[0:1]
.LBB5_111:                              ; =>This Inner Loop Header: Depth=1
	s_clause 0x1
	s_load_b256 s[12:19], s[4:5], 0x4
	s_load_b128 s[36:39], s[4:5], 0x24
	s_load_b256 s[24:31], s[2:3], 0x0
	s_add_u32 s4, s4, 48
	s_addc_u32 s5, s5, 0
	s_add_i32 s9, s9, 4
	s_add_u32 s2, s2, 32
	s_addc_u32 s3, s3, 0
	s_cmp_lg_u32 s8, s9
	s_waitcnt lgkmcnt(0)
	v_mul_hi_u32 v18, s13, v17
	s_delay_alu instid0(VALU_DEP_1) | instskip(NEXT) | instid1(VALU_DEP_1)
	v_add_nc_u32_e32 v18, v17, v18
	v_lshrrev_b32_e32 v18, s14, v18
	s_delay_alu instid0(VALU_DEP_1) | instskip(SKIP_1) | instid1(VALU_DEP_2)
	v_mul_hi_u32 v19, s16, v18
	v_mul_lo_u32 v21, v18, s12
	v_add_nc_u32_e32 v19, v18, v19
	s_delay_alu instid0(VALU_DEP_2) | instskip(NEXT) | instid1(VALU_DEP_2)
	v_sub_nc_u32_e32 v17, v17, v21
	v_lshrrev_b32_e32 v19, s17, v19
	s_delay_alu instid0(VALU_DEP_2) | instskip(SKIP_1) | instid1(VALU_DEP_3)
	v_mul_lo_u32 v21, v17, s24
	v_mul_lo_u32 v23, v17, s25
	v_mul_hi_u32 v20, s19, v19
	s_delay_alu instid0(VALU_DEP_1) | instskip(NEXT) | instid1(VALU_DEP_1)
	v_add_nc_u32_e32 v20, v19, v20
	v_lshrrev_b32_e32 v20, s36, v20
	s_delay_alu instid0(VALU_DEP_1) | instskip(SKIP_1) | instid1(VALU_DEP_2)
	v_mul_hi_u32 v22, s38, v20
	v_mul_lo_u32 v24, v20, s18
	v_add_nc_u32_e32 v17, v20, v22
	v_mul_lo_u32 v22, v19, s15
	s_delay_alu instid0(VALU_DEP_3) | instskip(NEXT) | instid1(VALU_DEP_3)
	v_sub_nc_u32_e32 v19, v19, v24
	v_lshrrev_b32_e32 v17, s39, v17
	s_delay_alu instid0(VALU_DEP_2) | instskip(SKIP_2) | instid1(VALU_DEP_4)
	v_mul_lo_u32 v24, v19, s28
	v_mul_lo_u32 v19, v19, s29
	v_sub_nc_u32_e32 v18, v18, v22
	v_mul_lo_u32 v25, v17, s37
	s_delay_alu instid0(VALU_DEP_2) | instskip(SKIP_1) | instid1(VALU_DEP_3)
	v_mul_lo_u32 v22, v18, s26
	v_mul_lo_u32 v18, v18, s27
	v_sub_nc_u32_e32 v20, v20, v25
	s_delay_alu instid0(VALU_DEP_3) | instskip(NEXT) | instid1(VALU_DEP_2)
	v_add3_u32 v14, v21, v14, v22
	v_mul_lo_u32 v25, v20, s30
	v_mul_lo_u32 v20, v20, s31
	v_add3_u32 v15, v23, v15, v18
	s_delay_alu instid0(VALU_DEP_3) | instskip(NEXT) | instid1(VALU_DEP_2)
	v_add3_u32 v14, v24, v14, v25
	v_add3_u32 v15, v19, v15, v20
	s_cbranch_scc1 .LBB5_111
; %bb.112:
	s_and_b32 s7, s7, 3
	s_delay_alu instid0(SALU_CYCLE_1)
	s_cmp_eq_u32 s7, 0
	s_cbranch_scc0 .LBB5_115
	s_branch .LBB5_117
.LBB5_113:
	s_mov_b32 s6, -1
                                        ; implicit-def: $vgpr14
                                        ; implicit-def: $vgpr15
	s_branch .LBB5_117
.LBB5_114:
	v_mov_b32_e32 v17, v16
	v_mov_b32_e32 v15, 0
	s_and_b32 s7, s7, 3
	s_delay_alu instid0(SALU_CYCLE_1)
	s_cmp_eq_u32 s7, 0
	s_cbranch_scc1 .LBB5_117
.LBB5_115:
	s_lshl_b32 s2, s8, 3
	s_mul_i32 s4, s8, 12
	s_add_u32 s2, s2, s0
	s_addc_u32 s3, 0, s1
	s_add_u32 s2, s2, 0xc4
	s_addc_u32 s3, s3, 0
	;; [unrolled: 2-line block ×3, first 2 shown]
	.p2align	6
.LBB5_116:                              ; =>This Inner Loop Header: Depth=1
	s_clause 0x1
	s_load_b64 s[8:9], s[4:5], 0x4
	s_load_b32 s12, s[4:5], 0xc
	s_load_b64 s[10:11], s[2:3], 0x0
	s_add_u32 s4, s4, 12
	s_addc_u32 s5, s5, 0
	s_add_u32 s2, s2, 8
	s_addc_u32 s3, s3, 0
	s_add_i32 s7, s7, -1
	s_delay_alu instid0(SALU_CYCLE_1) | instskip(SKIP_2) | instid1(VALU_DEP_1)
	s_cmp_lg_u32 s7, 0
	s_waitcnt lgkmcnt(0)
	v_mul_hi_u32 v18, s9, v17
	v_add_nc_u32_e32 v18, v17, v18
	s_delay_alu instid0(VALU_DEP_1) | instskip(NEXT) | instid1(VALU_DEP_1)
	v_lshrrev_b32_e32 v21, s12, v18
	v_mul_lo_u32 v18, v21, s8
	s_delay_alu instid0(VALU_DEP_1) | instskip(NEXT) | instid1(VALU_DEP_1)
	v_sub_nc_u32_e32 v17, v17, v18
	v_mad_u64_u32 v[18:19], null, v17, s10, v[14:15]
	v_mad_u64_u32 v[19:20], null, v17, s11, v[15:16]
	s_delay_alu instid0(VALU_DEP_2) | instskip(NEXT) | instid1(VALU_DEP_2)
	v_dual_mov_b32 v17, v21 :: v_dual_mov_b32 v14, v18
	v_mov_b32_e32 v15, v19
	s_cbranch_scc1 .LBB5_116
.LBB5_117:
	s_and_not1_b32 vcc_lo, exec_lo, s6
	s_cbranch_vccnz .LBB5_120
; %bb.118:
	s_clause 0x1
	s_load_b128 s[4:7], s[0:1], 0x4
	s_load_b64 s[2:3], s[0:1], 0xc4
	s_cmp_lt_u32 s22, 2
	s_waitcnt lgkmcnt(0)
	v_mul_hi_u32 v14, s5, v16
	s_delay_alu instid0(VALU_DEP_1) | instskip(NEXT) | instid1(VALU_DEP_1)
	v_add_nc_u32_e32 v14, v16, v14
	v_lshrrev_b32_e32 v17, s6, v14
	s_delay_alu instid0(VALU_DEP_1) | instskip(NEXT) | instid1(VALU_DEP_1)
	v_mul_lo_u32 v14, v17, s4
	v_sub_nc_u32_e32 v15, v16, v14
	s_delay_alu instid0(VALU_DEP_1)
	v_mul_lo_u32 v14, v15, s2
	v_mul_lo_u32 v15, v15, s3
	s_cbranch_scc1 .LBB5_120
; %bb.119:
	s_clause 0x1
	s_load_b128 s[4:7], s[0:1], 0x10
	s_load_b64 s[2:3], s[0:1], 0xcc
	s_waitcnt lgkmcnt(0)
	v_mul_hi_u32 v16, s5, v17
	s_delay_alu instid0(VALU_DEP_1) | instskip(NEXT) | instid1(VALU_DEP_1)
	v_add_nc_u32_e32 v16, v17, v16
	v_lshrrev_b32_e32 v16, s6, v16
	s_delay_alu instid0(VALU_DEP_1) | instskip(NEXT) | instid1(VALU_DEP_1)
	v_mul_lo_u32 v16, v16, s4
	v_sub_nc_u32_e32 v19, v17, v16
	s_delay_alu instid0(VALU_DEP_1) | instskip(NEXT) | instid1(VALU_DEP_1)
	v_mad_u64_u32 v[16:17], null, v19, s2, v[14:15]
	v_mad_u64_u32 v[17:18], null, v19, s3, v[15:16]
	s_delay_alu instid0(VALU_DEP_1)
	v_dual_mov_b32 v14, v16 :: v_dual_mov_b32 v15, v17
.LBB5_120:
	s_load_b128 s[0:3], s[0:1], 0x148
	s_waitcnt lgkmcnt(0)
	s_clause 0x7
	global_load_u8 v1, v1, s[2:3]
	global_load_u8 v3, v3, s[2:3]
	;; [unrolled: 1-line block ×8, first 2 shown]
	s_waitcnt vmcnt(7)
	v_cmp_eq_u16_e32 vcc_lo, 0, v1
	v_cndmask_b32_e64 v1, 0, 1, vcc_lo
	s_waitcnt vmcnt(6)
	v_cmp_eq_u16_e32 vcc_lo, 0, v3
	v_cndmask_b32_e64 v3, 0, 1, vcc_lo
	;; [unrolled: 3-line block ×8, first 2 shown]
	s_clause 0x7
	global_store_b8 v0, v1, s[0:1]
	global_store_b8 v2, v3, s[0:1]
	;; [unrolled: 1-line block ×8, first 2 shown]
	s_nop 0
	s_sendmsg sendmsg(MSG_DEALLOC_VGPRS)
	s_endpgm
.LBB5_121:
	v_dual_mov_b32 v2, v12 :: v_dual_mov_b32 v1, 0
.LBB5_122:
	s_and_b32 s34, s34, 3
	s_delay_alu instid0(SALU_CYCLE_1)
	s_cmp_eq_u32 s34, 0
	s_cbranch_scc1 .LBB5_125
; %bb.123:
	s_lshl_b32 s18, s33, 3
	s_mul_i32 s20, s33, 12
	s_add_u32 s18, s18, s0
	s_addc_u32 s19, s1, 0
	s_add_u32 s18, s18, 0xc4
	s_addc_u32 s19, s19, 0
	;; [unrolled: 2-line block ×3, first 2 shown]
	.p2align	6
.LBB5_124:                              ; =>This Inner Loop Header: Depth=1
	s_clause 0x1
	s_load_b64 s[36:37], s[20:21], 0x4
	s_load_b32 s33, s[20:21], 0xc
	s_load_b64 s[38:39], s[18:19], 0x0
	s_add_u32 s20, s20, 12
	s_addc_u32 s21, s21, 0
	s_add_u32 s18, s18, 8
	s_addc_u32 s19, s19, 0
	s_add_i32 s34, s34, -1
	s_delay_alu instid0(SALU_CYCLE_1) | instskip(SKIP_2) | instid1(VALU_DEP_1)
	s_cmp_lg_u32 s34, 0
	s_waitcnt lgkmcnt(0)
	v_mul_hi_u32 v3, s37, v2
	v_add_nc_u32_e32 v3, v2, v3
	s_delay_alu instid0(VALU_DEP_1) | instskip(NEXT) | instid1(VALU_DEP_1)
	v_lshrrev_b32_e32 v6, s33, v3
	v_mul_lo_u32 v3, v6, s36
	s_delay_alu instid0(VALU_DEP_1) | instskip(NEXT) | instid1(VALU_DEP_1)
	v_sub_nc_u32_e32 v2, v2, v3
	v_mad_u64_u32 v[3:4], null, v2, s38, v[0:1]
	v_mad_u64_u32 v[4:5], null, v2, s39, v[1:2]
	v_mov_b32_e32 v2, v6
	s_delay_alu instid0(VALU_DEP_2)
	v_dual_mov_b32 v0, v3 :: v_dual_mov_b32 v1, v4
	s_cbranch_scc1 .LBB5_124
.LBB5_125:
	s_and_not1_b32 vcc_lo, exec_lo, s31
	s_cbranch_vccnz .LBB5_128
; %bb.126:
	s_waitcnt lgkmcnt(0)
	v_mul_hi_u32 v0, s13, v12
	s_and_not1_b32 vcc_lo, exec_lo, s26
	s_delay_alu instid0(VALU_DEP_1) | instskip(NEXT) | instid1(VALU_DEP_1)
	v_add_nc_u32_e32 v0, v12, v0
	v_lshrrev_b32_e32 v2, s14, v0
	s_delay_alu instid0(VALU_DEP_1) | instskip(NEXT) | instid1(VALU_DEP_1)
	v_mul_lo_u32 v0, v2, s12
	v_sub_nc_u32_e32 v1, v12, v0
	s_delay_alu instid0(VALU_DEP_1)
	v_mul_lo_u32 v0, v1, s8
	v_mul_lo_u32 v1, v1, s9
	s_cbranch_vccnz .LBB5_128
; %bb.127:
	v_mul_hi_u32 v3, s2, v2
	s_delay_alu instid0(VALU_DEP_1) | instskip(NEXT) | instid1(VALU_DEP_1)
	v_add_nc_u32_e32 v3, v2, v3
	v_lshrrev_b32_e32 v3, s3, v3
	s_delay_alu instid0(VALU_DEP_1) | instskip(NEXT) | instid1(VALU_DEP_1)
	v_mul_lo_u32 v3, v3, s15
	v_sub_nc_u32_e32 v5, v2, v3
	s_delay_alu instid0(VALU_DEP_1) | instskip(NEXT) | instid1(VALU_DEP_1)
	v_mad_u64_u32 v[2:3], null, v5, s10, v[0:1]
	v_mad_u64_u32 v[3:4], null, v5, s11, v[1:2]
	s_delay_alu instid0(VALU_DEP_1)
	v_dual_mov_b32 v0, v2 :: v_dual_mov_b32 v1, v3
.LBB5_128:
	s_waitcnt lgkmcnt(0)
	global_load_u8 v1, v1, s[6:7]
	v_add_nc_u32_e32 v12, 0x80, v12
	s_waitcnt vmcnt(0)
	v_cmp_eq_u16_e32 vcc_lo, 0, v1
	v_cndmask_b32_e64 v1, 0, 1, vcc_lo
	global_store_b8 v0, v1, s[4:5]
	s_or_b32 exec_lo, exec_lo, s30
	s_delay_alu instid0(SALU_CYCLE_1)
	s_mov_b32 s30, exec_lo
	v_cmpx_gt_i32_e64 s27, v12
	s_cbranch_execnz .LBB5_15
.LBB5_129:
	s_or_b32 exec_lo, exec_lo, s30
	s_delay_alu instid0(SALU_CYCLE_1)
	s_mov_b32 s30, exec_lo
	v_cmpx_gt_i32_e64 s27, v12
	s_cbranch_execz .LBB5_144
.LBB5_130:
	s_and_not1_b32 vcc_lo, exec_lo, s24
	s_cbranch_vccnz .LBB5_135
; %bb.131:
	v_dual_mov_b32 v0, 0 :: v_dual_mov_b32 v1, 0
	s_and_not1_b32 vcc_lo, exec_lo, s29
	s_mov_b32 s31, 0
	s_cbranch_vccnz .LBB5_155
; %bb.132:
	v_mov_b32_e32 v0, 0
	s_add_i32 s34, s28, 1
	s_cmp_eq_u32 s23, 2
	s_mov_b32 s33, 0
	s_cbranch_scc1 .LBB5_151
; %bb.133:
	v_dual_mov_b32 v1, 0 :: v_dual_mov_b32 v0, 0
	v_mov_b32_e32 v2, v12
	s_and_b32 s33, s34, 28
	s_mov_b32 s35, 0
	s_mov_b64 s[18:19], s[16:17]
	s_mov_b64 s[20:21], s[0:1]
.LBB5_134:                              ; =>This Inner Loop Header: Depth=1
	s_clause 0x1
	s_load_b256 s[36:43], s[20:21], 0x4
	s_load_b128 s[52:55], s[20:21], 0x24
	s_load_b256 s[44:51], s[18:19], 0x0
	s_add_u32 s20, s20, 48
	s_addc_u32 s21, s21, 0
	s_add_i32 s35, s35, 4
	s_add_u32 s18, s18, 32
	s_addc_u32 s19, s19, 0
	s_cmp_eq_u32 s33, s35
	s_waitcnt lgkmcnt(0)
	v_mul_hi_u32 v3, s37, v2
	s_delay_alu instid0(VALU_DEP_1) | instskip(NEXT) | instid1(VALU_DEP_1)
	v_add_nc_u32_e32 v3, v2, v3
	v_lshrrev_b32_e32 v3, s38, v3
	s_delay_alu instid0(VALU_DEP_1) | instskip(SKIP_1) | instid1(VALU_DEP_2)
	v_mul_hi_u32 v4, s40, v3
	v_mul_lo_u32 v6, v3, s36
	v_add_nc_u32_e32 v4, v3, v4
	s_delay_alu instid0(VALU_DEP_2) | instskip(NEXT) | instid1(VALU_DEP_2)
	v_sub_nc_u32_e32 v2, v2, v6
	v_lshrrev_b32_e32 v4, s41, v4
	s_delay_alu instid0(VALU_DEP_2) | instskip(SKIP_1) | instid1(VALU_DEP_3)
	v_mul_lo_u32 v6, v2, s44
	v_mul_lo_u32 v8, v2, s45
	v_mul_hi_u32 v5, s43, v4
	s_delay_alu instid0(VALU_DEP_1) | instskip(NEXT) | instid1(VALU_DEP_1)
	v_add_nc_u32_e32 v5, v4, v5
	v_lshrrev_b32_e32 v5, s52, v5
	s_delay_alu instid0(VALU_DEP_1) | instskip(SKIP_1) | instid1(VALU_DEP_2)
	v_mul_hi_u32 v7, s54, v5
	v_mul_lo_u32 v9, v5, s42
	v_add_nc_u32_e32 v2, v5, v7
	v_mul_lo_u32 v7, v4, s39
	s_delay_alu instid0(VALU_DEP_3) | instskip(NEXT) | instid1(VALU_DEP_3)
	v_sub_nc_u32_e32 v4, v4, v9
	v_lshrrev_b32_e32 v2, s55, v2
	s_delay_alu instid0(VALU_DEP_2) | instskip(SKIP_2) | instid1(VALU_DEP_4)
	v_mul_lo_u32 v9, v4, s48
	v_mul_lo_u32 v4, v4, s49
	v_sub_nc_u32_e32 v3, v3, v7
	v_mul_lo_u32 v10, v2, s53
	s_delay_alu instid0(VALU_DEP_2) | instskip(SKIP_1) | instid1(VALU_DEP_3)
	v_mul_lo_u32 v7, v3, s46
	v_mul_lo_u32 v3, v3, s47
	v_sub_nc_u32_e32 v5, v5, v10
	s_delay_alu instid0(VALU_DEP_3) | instskip(NEXT) | instid1(VALU_DEP_2)
	v_add3_u32 v0, v6, v0, v7
	v_mul_lo_u32 v10, v5, s50
	v_mul_lo_u32 v5, v5, s51
	v_add3_u32 v1, v8, v1, v3
	s_delay_alu instid0(VALU_DEP_3) | instskip(NEXT) | instid1(VALU_DEP_2)
	v_add3_u32 v0, v9, v0, v10
	v_add3_u32 v1, v4, v1, v5
	s_cbranch_scc0 .LBB5_134
	s_branch .LBB5_152
.LBB5_135:
	s_mov_b32 s31, -1
                                        ; implicit-def: $vgpr0
                                        ; implicit-def: $vgpr1
	s_branch .LBB5_155
.LBB5_136:
	v_dual_mov_b32 v2, v12 :: v_dual_mov_b32 v1, 0
.LBB5_137:
	s_and_b32 s34, s34, 3
	s_delay_alu instid0(SALU_CYCLE_1)
	s_cmp_eq_u32 s34, 0
	s_cbranch_scc1 .LBB5_140
; %bb.138:
	s_lshl_b32 s18, s33, 3
	s_mul_i32 s20, s33, 12
	s_add_u32 s18, s18, s0
	s_addc_u32 s19, s1, 0
	s_add_u32 s18, s18, 0xc4
	s_addc_u32 s19, s19, 0
	;; [unrolled: 2-line block ×3, first 2 shown]
	.p2align	6
.LBB5_139:                              ; =>This Inner Loop Header: Depth=1
	s_clause 0x1
	s_load_b64 s[36:37], s[20:21], 0x4
	s_load_b32 s33, s[20:21], 0xc
	s_load_b64 s[38:39], s[18:19], 0x0
	s_add_u32 s20, s20, 12
	s_addc_u32 s21, s21, 0
	s_add_u32 s18, s18, 8
	s_addc_u32 s19, s19, 0
	s_add_i32 s34, s34, -1
	s_delay_alu instid0(SALU_CYCLE_1) | instskip(SKIP_2) | instid1(VALU_DEP_1)
	s_cmp_lg_u32 s34, 0
	s_waitcnt lgkmcnt(0)
	v_mul_hi_u32 v3, s37, v2
	v_add_nc_u32_e32 v3, v2, v3
	s_delay_alu instid0(VALU_DEP_1) | instskip(NEXT) | instid1(VALU_DEP_1)
	v_lshrrev_b32_e32 v6, s33, v3
	v_mul_lo_u32 v3, v6, s36
	s_delay_alu instid0(VALU_DEP_1) | instskip(NEXT) | instid1(VALU_DEP_1)
	v_sub_nc_u32_e32 v2, v2, v3
	v_mad_u64_u32 v[3:4], null, v2, s38, v[0:1]
	v_mad_u64_u32 v[4:5], null, v2, s39, v[1:2]
	v_mov_b32_e32 v2, v6
	s_delay_alu instid0(VALU_DEP_2)
	v_dual_mov_b32 v0, v3 :: v_dual_mov_b32 v1, v4
	s_cbranch_scc1 .LBB5_139
.LBB5_140:
	s_and_not1_b32 vcc_lo, exec_lo, s31
	s_cbranch_vccnz .LBB5_143
; %bb.141:
	s_waitcnt lgkmcnt(0)
	v_mul_hi_u32 v0, s13, v12
	s_and_not1_b32 vcc_lo, exec_lo, s26
	s_delay_alu instid0(VALU_DEP_1) | instskip(NEXT) | instid1(VALU_DEP_1)
	v_add_nc_u32_e32 v0, v12, v0
	v_lshrrev_b32_e32 v2, s14, v0
	s_delay_alu instid0(VALU_DEP_1) | instskip(NEXT) | instid1(VALU_DEP_1)
	v_mul_lo_u32 v0, v2, s12
	v_sub_nc_u32_e32 v1, v12, v0
	s_delay_alu instid0(VALU_DEP_1)
	v_mul_lo_u32 v0, v1, s8
	v_mul_lo_u32 v1, v1, s9
	s_cbranch_vccnz .LBB5_143
; %bb.142:
	v_mul_hi_u32 v3, s2, v2
	s_delay_alu instid0(VALU_DEP_1) | instskip(NEXT) | instid1(VALU_DEP_1)
	v_add_nc_u32_e32 v3, v2, v3
	v_lshrrev_b32_e32 v3, s3, v3
	s_delay_alu instid0(VALU_DEP_1) | instskip(NEXT) | instid1(VALU_DEP_1)
	v_mul_lo_u32 v3, v3, s15
	v_sub_nc_u32_e32 v5, v2, v3
	s_delay_alu instid0(VALU_DEP_1) | instskip(NEXT) | instid1(VALU_DEP_1)
	v_mad_u64_u32 v[2:3], null, v5, s10, v[0:1]
	v_mad_u64_u32 v[3:4], null, v5, s11, v[1:2]
	s_delay_alu instid0(VALU_DEP_1)
	v_dual_mov_b32 v0, v2 :: v_dual_mov_b32 v1, v3
.LBB5_143:
	s_waitcnt lgkmcnt(0)
	global_load_u8 v1, v1, s[6:7]
	v_add_nc_u32_e32 v12, 0x80, v12
	s_waitcnt vmcnt(0)
	v_cmp_eq_u16_e32 vcc_lo, 0, v1
	v_cndmask_b32_e64 v1, 0, 1, vcc_lo
	global_store_b8 v0, v1, s[4:5]
	s_or_b32 exec_lo, exec_lo, s30
	s_delay_alu instid0(SALU_CYCLE_1)
	s_mov_b32 s30, exec_lo
	v_cmpx_gt_i32_e64 s27, v12
	s_cbranch_execnz .LBB5_130
.LBB5_144:
	s_or_b32 exec_lo, exec_lo, s30
	s_delay_alu instid0(SALU_CYCLE_1)
	s_mov_b32 s30, exec_lo
	v_cmpx_gt_i32_e64 s27, v12
	s_cbranch_execz .LBB5_159
.LBB5_145:
	s_and_not1_b32 vcc_lo, exec_lo, s24
	s_cbranch_vccnz .LBB5_150
; %bb.146:
	v_dual_mov_b32 v0, 0 :: v_dual_mov_b32 v1, 0
	s_and_not1_b32 vcc_lo, exec_lo, s29
	s_mov_b32 s31, 0
	s_cbranch_vccnz .LBB5_170
; %bb.147:
	v_mov_b32_e32 v0, 0
	s_add_i32 s34, s28, 1
	s_cmp_eq_u32 s23, 2
	s_mov_b32 s33, 0
	s_cbranch_scc1 .LBB5_166
; %bb.148:
	v_dual_mov_b32 v1, 0 :: v_dual_mov_b32 v0, 0
	v_mov_b32_e32 v2, v12
	s_and_b32 s33, s34, 28
	s_mov_b32 s35, 0
	s_mov_b64 s[18:19], s[16:17]
	s_mov_b64 s[20:21], s[0:1]
.LBB5_149:                              ; =>This Inner Loop Header: Depth=1
	s_clause 0x1
	s_load_b256 s[36:43], s[20:21], 0x4
	s_load_b128 s[52:55], s[20:21], 0x24
	s_load_b256 s[44:51], s[18:19], 0x0
	s_add_u32 s20, s20, 48
	s_addc_u32 s21, s21, 0
	s_add_i32 s35, s35, 4
	s_add_u32 s18, s18, 32
	s_addc_u32 s19, s19, 0
	s_cmp_eq_u32 s33, s35
	s_waitcnt lgkmcnt(0)
	v_mul_hi_u32 v3, s37, v2
	s_delay_alu instid0(VALU_DEP_1) | instskip(NEXT) | instid1(VALU_DEP_1)
	v_add_nc_u32_e32 v3, v2, v3
	v_lshrrev_b32_e32 v3, s38, v3
	s_delay_alu instid0(VALU_DEP_1) | instskip(SKIP_1) | instid1(VALU_DEP_2)
	v_mul_hi_u32 v4, s40, v3
	v_mul_lo_u32 v6, v3, s36
	v_add_nc_u32_e32 v4, v3, v4
	s_delay_alu instid0(VALU_DEP_2) | instskip(NEXT) | instid1(VALU_DEP_2)
	v_sub_nc_u32_e32 v2, v2, v6
	v_lshrrev_b32_e32 v4, s41, v4
	s_delay_alu instid0(VALU_DEP_2) | instskip(SKIP_1) | instid1(VALU_DEP_3)
	v_mul_lo_u32 v6, v2, s44
	v_mul_lo_u32 v8, v2, s45
	v_mul_hi_u32 v5, s43, v4
	s_delay_alu instid0(VALU_DEP_1) | instskip(NEXT) | instid1(VALU_DEP_1)
	v_add_nc_u32_e32 v5, v4, v5
	v_lshrrev_b32_e32 v5, s52, v5
	s_delay_alu instid0(VALU_DEP_1) | instskip(SKIP_1) | instid1(VALU_DEP_2)
	v_mul_hi_u32 v7, s54, v5
	v_mul_lo_u32 v9, v5, s42
	v_add_nc_u32_e32 v2, v5, v7
	v_mul_lo_u32 v7, v4, s39
	s_delay_alu instid0(VALU_DEP_3) | instskip(NEXT) | instid1(VALU_DEP_3)
	v_sub_nc_u32_e32 v4, v4, v9
	v_lshrrev_b32_e32 v2, s55, v2
	s_delay_alu instid0(VALU_DEP_2) | instskip(SKIP_2) | instid1(VALU_DEP_4)
	v_mul_lo_u32 v9, v4, s48
	v_mul_lo_u32 v4, v4, s49
	v_sub_nc_u32_e32 v3, v3, v7
	v_mul_lo_u32 v10, v2, s53
	s_delay_alu instid0(VALU_DEP_2) | instskip(SKIP_1) | instid1(VALU_DEP_3)
	v_mul_lo_u32 v7, v3, s46
	v_mul_lo_u32 v3, v3, s47
	v_sub_nc_u32_e32 v5, v5, v10
	s_delay_alu instid0(VALU_DEP_3) | instskip(NEXT) | instid1(VALU_DEP_2)
	v_add3_u32 v0, v6, v0, v7
	v_mul_lo_u32 v10, v5, s50
	v_mul_lo_u32 v5, v5, s51
	v_add3_u32 v1, v8, v1, v3
	s_delay_alu instid0(VALU_DEP_3) | instskip(NEXT) | instid1(VALU_DEP_2)
	v_add3_u32 v0, v9, v0, v10
	v_add3_u32 v1, v4, v1, v5
	s_cbranch_scc0 .LBB5_149
	s_branch .LBB5_167
.LBB5_150:
	s_mov_b32 s31, -1
                                        ; implicit-def: $vgpr0
                                        ; implicit-def: $vgpr1
	s_branch .LBB5_170
.LBB5_151:
	v_dual_mov_b32 v2, v12 :: v_dual_mov_b32 v1, 0
.LBB5_152:
	s_and_b32 s34, s34, 3
	s_delay_alu instid0(SALU_CYCLE_1)
	s_cmp_eq_u32 s34, 0
	s_cbranch_scc1 .LBB5_155
; %bb.153:
	s_lshl_b32 s18, s33, 3
	s_mul_i32 s20, s33, 12
	s_add_u32 s18, s18, s0
	s_addc_u32 s19, s1, 0
	s_add_u32 s18, s18, 0xc4
	s_addc_u32 s19, s19, 0
	;; [unrolled: 2-line block ×3, first 2 shown]
	.p2align	6
.LBB5_154:                              ; =>This Inner Loop Header: Depth=1
	s_clause 0x1
	s_load_b64 s[36:37], s[20:21], 0x4
	s_load_b32 s33, s[20:21], 0xc
	s_load_b64 s[38:39], s[18:19], 0x0
	s_add_u32 s20, s20, 12
	s_addc_u32 s21, s21, 0
	s_add_u32 s18, s18, 8
	s_addc_u32 s19, s19, 0
	s_add_i32 s34, s34, -1
	s_delay_alu instid0(SALU_CYCLE_1) | instskip(SKIP_2) | instid1(VALU_DEP_1)
	s_cmp_lg_u32 s34, 0
	s_waitcnt lgkmcnt(0)
	v_mul_hi_u32 v3, s37, v2
	v_add_nc_u32_e32 v3, v2, v3
	s_delay_alu instid0(VALU_DEP_1) | instskip(NEXT) | instid1(VALU_DEP_1)
	v_lshrrev_b32_e32 v6, s33, v3
	v_mul_lo_u32 v3, v6, s36
	s_delay_alu instid0(VALU_DEP_1) | instskip(NEXT) | instid1(VALU_DEP_1)
	v_sub_nc_u32_e32 v2, v2, v3
	v_mad_u64_u32 v[3:4], null, v2, s38, v[0:1]
	v_mad_u64_u32 v[4:5], null, v2, s39, v[1:2]
	v_mov_b32_e32 v2, v6
	s_delay_alu instid0(VALU_DEP_2)
	v_dual_mov_b32 v0, v3 :: v_dual_mov_b32 v1, v4
	s_cbranch_scc1 .LBB5_154
.LBB5_155:
	s_and_not1_b32 vcc_lo, exec_lo, s31
	s_cbranch_vccnz .LBB5_158
; %bb.156:
	s_waitcnt lgkmcnt(0)
	v_mul_hi_u32 v0, s13, v12
	s_and_not1_b32 vcc_lo, exec_lo, s26
	s_delay_alu instid0(VALU_DEP_1) | instskip(NEXT) | instid1(VALU_DEP_1)
	v_add_nc_u32_e32 v0, v12, v0
	v_lshrrev_b32_e32 v2, s14, v0
	s_delay_alu instid0(VALU_DEP_1) | instskip(NEXT) | instid1(VALU_DEP_1)
	v_mul_lo_u32 v0, v2, s12
	v_sub_nc_u32_e32 v1, v12, v0
	s_delay_alu instid0(VALU_DEP_1)
	v_mul_lo_u32 v0, v1, s8
	v_mul_lo_u32 v1, v1, s9
	s_cbranch_vccnz .LBB5_158
; %bb.157:
	v_mul_hi_u32 v3, s2, v2
	s_delay_alu instid0(VALU_DEP_1) | instskip(NEXT) | instid1(VALU_DEP_1)
	v_add_nc_u32_e32 v3, v2, v3
	v_lshrrev_b32_e32 v3, s3, v3
	s_delay_alu instid0(VALU_DEP_1) | instskip(NEXT) | instid1(VALU_DEP_1)
	v_mul_lo_u32 v3, v3, s15
	v_sub_nc_u32_e32 v5, v2, v3
	s_delay_alu instid0(VALU_DEP_1) | instskip(NEXT) | instid1(VALU_DEP_1)
	v_mad_u64_u32 v[2:3], null, v5, s10, v[0:1]
	v_mad_u64_u32 v[3:4], null, v5, s11, v[1:2]
	s_delay_alu instid0(VALU_DEP_1)
	v_dual_mov_b32 v0, v2 :: v_dual_mov_b32 v1, v3
.LBB5_158:
	s_waitcnt lgkmcnt(0)
	global_load_u8 v1, v1, s[6:7]
	v_add_nc_u32_e32 v12, 0x80, v12
	s_waitcnt vmcnt(0)
	v_cmp_eq_u16_e32 vcc_lo, 0, v1
	v_cndmask_b32_e64 v1, 0, 1, vcc_lo
	global_store_b8 v0, v1, s[4:5]
	s_or_b32 exec_lo, exec_lo, s30
	s_delay_alu instid0(SALU_CYCLE_1)
	s_mov_b32 s30, exec_lo
	v_cmpx_gt_i32_e64 s27, v12
	s_cbranch_execnz .LBB5_145
.LBB5_159:
	s_or_b32 exec_lo, exec_lo, s30
	s_delay_alu instid0(SALU_CYCLE_1)
	s_mov_b32 s30, exec_lo
	v_cmpx_gt_i32_e64 s27, v12
	s_cbranch_execz .LBB5_174
.LBB5_160:
	s_and_not1_b32 vcc_lo, exec_lo, s24
	s_cbranch_vccnz .LBB5_165
; %bb.161:
	v_dual_mov_b32 v0, 0 :: v_dual_mov_b32 v1, 0
	s_and_not1_b32 vcc_lo, exec_lo, s29
	s_mov_b32 s31, 0
	s_cbranch_vccnz .LBB5_185
; %bb.162:
	v_mov_b32_e32 v0, 0
	s_add_i32 s34, s28, 1
	s_cmp_eq_u32 s23, 2
	s_mov_b32 s33, 0
	s_cbranch_scc1 .LBB5_181
; %bb.163:
	v_dual_mov_b32 v1, 0 :: v_dual_mov_b32 v0, 0
	v_mov_b32_e32 v2, v12
	s_and_b32 s33, s34, 28
	s_mov_b32 s35, 0
	s_mov_b64 s[18:19], s[16:17]
	s_mov_b64 s[20:21], s[0:1]
.LBB5_164:                              ; =>This Inner Loop Header: Depth=1
	s_clause 0x1
	s_load_b256 s[36:43], s[20:21], 0x4
	s_load_b128 s[52:55], s[20:21], 0x24
	s_load_b256 s[44:51], s[18:19], 0x0
	s_add_u32 s20, s20, 48
	s_addc_u32 s21, s21, 0
	s_add_i32 s35, s35, 4
	s_add_u32 s18, s18, 32
	s_addc_u32 s19, s19, 0
	s_cmp_eq_u32 s33, s35
	s_waitcnt lgkmcnt(0)
	v_mul_hi_u32 v3, s37, v2
	s_delay_alu instid0(VALU_DEP_1) | instskip(NEXT) | instid1(VALU_DEP_1)
	v_add_nc_u32_e32 v3, v2, v3
	v_lshrrev_b32_e32 v3, s38, v3
	s_delay_alu instid0(VALU_DEP_1) | instskip(SKIP_1) | instid1(VALU_DEP_2)
	v_mul_hi_u32 v4, s40, v3
	v_mul_lo_u32 v6, v3, s36
	v_add_nc_u32_e32 v4, v3, v4
	s_delay_alu instid0(VALU_DEP_2) | instskip(NEXT) | instid1(VALU_DEP_2)
	v_sub_nc_u32_e32 v2, v2, v6
	v_lshrrev_b32_e32 v4, s41, v4
	s_delay_alu instid0(VALU_DEP_2) | instskip(SKIP_1) | instid1(VALU_DEP_3)
	v_mul_lo_u32 v6, v2, s44
	v_mul_lo_u32 v8, v2, s45
	v_mul_hi_u32 v5, s43, v4
	s_delay_alu instid0(VALU_DEP_1) | instskip(NEXT) | instid1(VALU_DEP_1)
	v_add_nc_u32_e32 v5, v4, v5
	v_lshrrev_b32_e32 v5, s52, v5
	s_delay_alu instid0(VALU_DEP_1) | instskip(SKIP_1) | instid1(VALU_DEP_2)
	v_mul_hi_u32 v7, s54, v5
	v_mul_lo_u32 v9, v5, s42
	v_add_nc_u32_e32 v2, v5, v7
	v_mul_lo_u32 v7, v4, s39
	s_delay_alu instid0(VALU_DEP_3) | instskip(NEXT) | instid1(VALU_DEP_3)
	v_sub_nc_u32_e32 v4, v4, v9
	v_lshrrev_b32_e32 v2, s55, v2
	s_delay_alu instid0(VALU_DEP_2) | instskip(SKIP_2) | instid1(VALU_DEP_4)
	v_mul_lo_u32 v9, v4, s48
	v_mul_lo_u32 v4, v4, s49
	v_sub_nc_u32_e32 v3, v3, v7
	v_mul_lo_u32 v10, v2, s53
	s_delay_alu instid0(VALU_DEP_2) | instskip(SKIP_1) | instid1(VALU_DEP_3)
	v_mul_lo_u32 v7, v3, s46
	v_mul_lo_u32 v3, v3, s47
	v_sub_nc_u32_e32 v5, v5, v10
	s_delay_alu instid0(VALU_DEP_3) | instskip(NEXT) | instid1(VALU_DEP_2)
	v_add3_u32 v0, v6, v0, v7
	v_mul_lo_u32 v10, v5, s50
	v_mul_lo_u32 v5, v5, s51
	v_add3_u32 v1, v8, v1, v3
	s_delay_alu instid0(VALU_DEP_3) | instskip(NEXT) | instid1(VALU_DEP_2)
	v_add3_u32 v0, v9, v0, v10
	v_add3_u32 v1, v4, v1, v5
	s_cbranch_scc0 .LBB5_164
	s_branch .LBB5_182
.LBB5_165:
	s_mov_b32 s31, -1
                                        ; implicit-def: $vgpr0
                                        ; implicit-def: $vgpr1
	s_branch .LBB5_185
.LBB5_166:
	v_dual_mov_b32 v2, v12 :: v_dual_mov_b32 v1, 0
.LBB5_167:
	s_and_b32 s34, s34, 3
	s_delay_alu instid0(SALU_CYCLE_1)
	s_cmp_eq_u32 s34, 0
	s_cbranch_scc1 .LBB5_170
; %bb.168:
	s_lshl_b32 s18, s33, 3
	s_mul_i32 s20, s33, 12
	s_add_u32 s18, s18, s0
	s_addc_u32 s19, s1, 0
	s_add_u32 s18, s18, 0xc4
	s_addc_u32 s19, s19, 0
	;; [unrolled: 2-line block ×3, first 2 shown]
	.p2align	6
.LBB5_169:                              ; =>This Inner Loop Header: Depth=1
	s_clause 0x1
	s_load_b64 s[36:37], s[20:21], 0x4
	s_load_b32 s33, s[20:21], 0xc
	s_load_b64 s[38:39], s[18:19], 0x0
	s_add_u32 s20, s20, 12
	s_addc_u32 s21, s21, 0
	s_add_u32 s18, s18, 8
	s_addc_u32 s19, s19, 0
	s_add_i32 s34, s34, -1
	s_delay_alu instid0(SALU_CYCLE_1) | instskip(SKIP_2) | instid1(VALU_DEP_1)
	s_cmp_lg_u32 s34, 0
	s_waitcnt lgkmcnt(0)
	v_mul_hi_u32 v3, s37, v2
	v_add_nc_u32_e32 v3, v2, v3
	s_delay_alu instid0(VALU_DEP_1) | instskip(NEXT) | instid1(VALU_DEP_1)
	v_lshrrev_b32_e32 v6, s33, v3
	v_mul_lo_u32 v3, v6, s36
	s_delay_alu instid0(VALU_DEP_1) | instskip(NEXT) | instid1(VALU_DEP_1)
	v_sub_nc_u32_e32 v2, v2, v3
	v_mad_u64_u32 v[3:4], null, v2, s38, v[0:1]
	v_mad_u64_u32 v[4:5], null, v2, s39, v[1:2]
	v_mov_b32_e32 v2, v6
	s_delay_alu instid0(VALU_DEP_2)
	v_dual_mov_b32 v0, v3 :: v_dual_mov_b32 v1, v4
	s_cbranch_scc1 .LBB5_169
.LBB5_170:
	s_and_not1_b32 vcc_lo, exec_lo, s31
	s_cbranch_vccnz .LBB5_173
; %bb.171:
	s_waitcnt lgkmcnt(0)
	v_mul_hi_u32 v0, s13, v12
	s_and_not1_b32 vcc_lo, exec_lo, s26
	s_delay_alu instid0(VALU_DEP_1) | instskip(NEXT) | instid1(VALU_DEP_1)
	v_add_nc_u32_e32 v0, v12, v0
	v_lshrrev_b32_e32 v2, s14, v0
	s_delay_alu instid0(VALU_DEP_1) | instskip(NEXT) | instid1(VALU_DEP_1)
	v_mul_lo_u32 v0, v2, s12
	v_sub_nc_u32_e32 v1, v12, v0
	s_delay_alu instid0(VALU_DEP_1)
	v_mul_lo_u32 v0, v1, s8
	v_mul_lo_u32 v1, v1, s9
	s_cbranch_vccnz .LBB5_173
; %bb.172:
	v_mul_hi_u32 v3, s2, v2
	s_delay_alu instid0(VALU_DEP_1) | instskip(NEXT) | instid1(VALU_DEP_1)
	v_add_nc_u32_e32 v3, v2, v3
	v_lshrrev_b32_e32 v3, s3, v3
	s_delay_alu instid0(VALU_DEP_1) | instskip(NEXT) | instid1(VALU_DEP_1)
	v_mul_lo_u32 v3, v3, s15
	v_sub_nc_u32_e32 v5, v2, v3
	s_delay_alu instid0(VALU_DEP_1) | instskip(NEXT) | instid1(VALU_DEP_1)
	v_mad_u64_u32 v[2:3], null, v5, s10, v[0:1]
	v_mad_u64_u32 v[3:4], null, v5, s11, v[1:2]
	s_delay_alu instid0(VALU_DEP_1)
	v_dual_mov_b32 v0, v2 :: v_dual_mov_b32 v1, v3
.LBB5_173:
	s_waitcnt lgkmcnt(0)
	global_load_u8 v1, v1, s[6:7]
	v_add_nc_u32_e32 v12, 0x80, v12
	s_waitcnt vmcnt(0)
	v_cmp_eq_u16_e32 vcc_lo, 0, v1
	v_cndmask_b32_e64 v1, 0, 1, vcc_lo
	global_store_b8 v0, v1, s[4:5]
	s_or_b32 exec_lo, exec_lo, s30
	s_delay_alu instid0(SALU_CYCLE_1)
	s_mov_b32 s30, exec_lo
	v_cmpx_gt_i32_e64 s27, v12
	s_cbranch_execnz .LBB5_160
.LBB5_174:
	s_or_b32 exec_lo, exec_lo, s30
	s_delay_alu instid0(SALU_CYCLE_1)
	s_mov_b32 s30, exec_lo
	v_cmpx_gt_i32_e64 s27, v12
	s_cbranch_execz .LBB5_189
.LBB5_175:
	s_and_not1_b32 vcc_lo, exec_lo, s24
	s_cbranch_vccnz .LBB5_180
; %bb.176:
	v_dual_mov_b32 v0, 0 :: v_dual_mov_b32 v1, 0
	s_and_not1_b32 vcc_lo, exec_lo, s29
	s_mov_b32 s31, 0
	s_cbranch_vccnz .LBB5_200
; %bb.177:
	v_mov_b32_e32 v0, 0
	s_add_i32 s34, s28, 1
	s_cmp_eq_u32 s23, 2
	s_mov_b32 s33, 0
	s_cbranch_scc1 .LBB5_196
; %bb.178:
	v_dual_mov_b32 v1, 0 :: v_dual_mov_b32 v0, 0
	v_mov_b32_e32 v2, v12
	s_and_b32 s33, s34, 28
	s_mov_b32 s35, 0
	s_mov_b64 s[18:19], s[16:17]
	s_mov_b64 s[20:21], s[0:1]
.LBB5_179:                              ; =>This Inner Loop Header: Depth=1
	s_clause 0x1
	s_load_b256 s[36:43], s[20:21], 0x4
	s_load_b128 s[52:55], s[20:21], 0x24
	s_load_b256 s[44:51], s[18:19], 0x0
	s_add_u32 s20, s20, 48
	s_addc_u32 s21, s21, 0
	s_add_i32 s35, s35, 4
	s_add_u32 s18, s18, 32
	s_addc_u32 s19, s19, 0
	s_cmp_eq_u32 s33, s35
	s_waitcnt lgkmcnt(0)
	v_mul_hi_u32 v3, s37, v2
	s_delay_alu instid0(VALU_DEP_1) | instskip(NEXT) | instid1(VALU_DEP_1)
	v_add_nc_u32_e32 v3, v2, v3
	v_lshrrev_b32_e32 v3, s38, v3
	s_delay_alu instid0(VALU_DEP_1) | instskip(SKIP_1) | instid1(VALU_DEP_2)
	v_mul_hi_u32 v4, s40, v3
	v_mul_lo_u32 v6, v3, s36
	v_add_nc_u32_e32 v4, v3, v4
	s_delay_alu instid0(VALU_DEP_2) | instskip(NEXT) | instid1(VALU_DEP_2)
	v_sub_nc_u32_e32 v2, v2, v6
	v_lshrrev_b32_e32 v4, s41, v4
	s_delay_alu instid0(VALU_DEP_2) | instskip(SKIP_1) | instid1(VALU_DEP_3)
	v_mul_lo_u32 v6, v2, s44
	v_mul_lo_u32 v8, v2, s45
	v_mul_hi_u32 v5, s43, v4
	s_delay_alu instid0(VALU_DEP_1) | instskip(NEXT) | instid1(VALU_DEP_1)
	v_add_nc_u32_e32 v5, v4, v5
	v_lshrrev_b32_e32 v5, s52, v5
	s_delay_alu instid0(VALU_DEP_1) | instskip(SKIP_1) | instid1(VALU_DEP_2)
	v_mul_hi_u32 v7, s54, v5
	v_mul_lo_u32 v9, v5, s42
	v_add_nc_u32_e32 v2, v5, v7
	v_mul_lo_u32 v7, v4, s39
	s_delay_alu instid0(VALU_DEP_3) | instskip(NEXT) | instid1(VALU_DEP_3)
	v_sub_nc_u32_e32 v4, v4, v9
	v_lshrrev_b32_e32 v2, s55, v2
	s_delay_alu instid0(VALU_DEP_2) | instskip(SKIP_2) | instid1(VALU_DEP_4)
	v_mul_lo_u32 v9, v4, s48
	v_mul_lo_u32 v4, v4, s49
	v_sub_nc_u32_e32 v3, v3, v7
	v_mul_lo_u32 v10, v2, s53
	s_delay_alu instid0(VALU_DEP_2) | instskip(SKIP_1) | instid1(VALU_DEP_3)
	v_mul_lo_u32 v7, v3, s46
	v_mul_lo_u32 v3, v3, s47
	v_sub_nc_u32_e32 v5, v5, v10
	s_delay_alu instid0(VALU_DEP_3) | instskip(NEXT) | instid1(VALU_DEP_2)
	v_add3_u32 v0, v6, v0, v7
	v_mul_lo_u32 v10, v5, s50
	v_mul_lo_u32 v5, v5, s51
	v_add3_u32 v1, v8, v1, v3
	s_delay_alu instid0(VALU_DEP_3) | instskip(NEXT) | instid1(VALU_DEP_2)
	v_add3_u32 v0, v9, v0, v10
	v_add3_u32 v1, v4, v1, v5
	s_cbranch_scc0 .LBB5_179
	s_branch .LBB5_197
.LBB5_180:
	s_mov_b32 s31, -1
                                        ; implicit-def: $vgpr0
                                        ; implicit-def: $vgpr1
	s_branch .LBB5_200
.LBB5_181:
	v_dual_mov_b32 v2, v12 :: v_dual_mov_b32 v1, 0
.LBB5_182:
	s_and_b32 s34, s34, 3
	s_delay_alu instid0(SALU_CYCLE_1)
	s_cmp_eq_u32 s34, 0
	s_cbranch_scc1 .LBB5_185
; %bb.183:
	s_lshl_b32 s18, s33, 3
	s_mul_i32 s20, s33, 12
	s_add_u32 s18, s18, s0
	s_addc_u32 s19, s1, 0
	s_add_u32 s18, s18, 0xc4
	s_addc_u32 s19, s19, 0
	s_add_u32 s20, s0, s20
	s_addc_u32 s21, s1, 0
	.p2align	6
.LBB5_184:                              ; =>This Inner Loop Header: Depth=1
	s_clause 0x1
	s_load_b64 s[36:37], s[20:21], 0x4
	s_load_b32 s33, s[20:21], 0xc
	s_load_b64 s[38:39], s[18:19], 0x0
	s_add_u32 s20, s20, 12
	s_addc_u32 s21, s21, 0
	s_add_u32 s18, s18, 8
	s_addc_u32 s19, s19, 0
	s_add_i32 s34, s34, -1
	s_delay_alu instid0(SALU_CYCLE_1) | instskip(SKIP_2) | instid1(VALU_DEP_1)
	s_cmp_lg_u32 s34, 0
	s_waitcnt lgkmcnt(0)
	v_mul_hi_u32 v3, s37, v2
	v_add_nc_u32_e32 v3, v2, v3
	s_delay_alu instid0(VALU_DEP_1) | instskip(NEXT) | instid1(VALU_DEP_1)
	v_lshrrev_b32_e32 v6, s33, v3
	v_mul_lo_u32 v3, v6, s36
	s_delay_alu instid0(VALU_DEP_1) | instskip(NEXT) | instid1(VALU_DEP_1)
	v_sub_nc_u32_e32 v2, v2, v3
	v_mad_u64_u32 v[3:4], null, v2, s38, v[0:1]
	v_mad_u64_u32 v[4:5], null, v2, s39, v[1:2]
	v_mov_b32_e32 v2, v6
	s_delay_alu instid0(VALU_DEP_2)
	v_dual_mov_b32 v0, v3 :: v_dual_mov_b32 v1, v4
	s_cbranch_scc1 .LBB5_184
.LBB5_185:
	s_and_not1_b32 vcc_lo, exec_lo, s31
	s_cbranch_vccnz .LBB5_188
; %bb.186:
	s_waitcnt lgkmcnt(0)
	v_mul_hi_u32 v0, s13, v12
	s_and_not1_b32 vcc_lo, exec_lo, s26
	s_delay_alu instid0(VALU_DEP_1) | instskip(NEXT) | instid1(VALU_DEP_1)
	v_add_nc_u32_e32 v0, v12, v0
	v_lshrrev_b32_e32 v2, s14, v0
	s_delay_alu instid0(VALU_DEP_1) | instskip(NEXT) | instid1(VALU_DEP_1)
	v_mul_lo_u32 v0, v2, s12
	v_sub_nc_u32_e32 v1, v12, v0
	s_delay_alu instid0(VALU_DEP_1)
	v_mul_lo_u32 v0, v1, s8
	v_mul_lo_u32 v1, v1, s9
	s_cbranch_vccnz .LBB5_188
; %bb.187:
	v_mul_hi_u32 v3, s2, v2
	s_delay_alu instid0(VALU_DEP_1) | instskip(NEXT) | instid1(VALU_DEP_1)
	v_add_nc_u32_e32 v3, v2, v3
	v_lshrrev_b32_e32 v3, s3, v3
	s_delay_alu instid0(VALU_DEP_1) | instskip(NEXT) | instid1(VALU_DEP_1)
	v_mul_lo_u32 v3, v3, s15
	v_sub_nc_u32_e32 v5, v2, v3
	s_delay_alu instid0(VALU_DEP_1) | instskip(NEXT) | instid1(VALU_DEP_1)
	v_mad_u64_u32 v[2:3], null, v5, s10, v[0:1]
	v_mad_u64_u32 v[3:4], null, v5, s11, v[1:2]
	s_delay_alu instid0(VALU_DEP_1)
	v_dual_mov_b32 v0, v2 :: v_dual_mov_b32 v1, v3
.LBB5_188:
	s_waitcnt lgkmcnt(0)
	global_load_u8 v1, v1, s[6:7]
	v_add_nc_u32_e32 v12, 0x80, v12
	s_waitcnt vmcnt(0)
	v_cmp_eq_u16_e32 vcc_lo, 0, v1
	v_cndmask_b32_e64 v1, 0, 1, vcc_lo
	global_store_b8 v0, v1, s[4:5]
	s_or_b32 exec_lo, exec_lo, s30
	s_delay_alu instid0(SALU_CYCLE_1)
	s_mov_b32 s30, exec_lo
	v_cmpx_gt_i32_e64 s27, v12
	s_cbranch_execnz .LBB5_175
.LBB5_189:
	s_or_b32 exec_lo, exec_lo, s30
	s_delay_alu instid0(SALU_CYCLE_1)
	s_mov_b32 s30, exec_lo
	v_cmpx_gt_i32_e64 s27, v12
	s_cbranch_execz .LBB5_204
.LBB5_190:
	s_and_not1_b32 vcc_lo, exec_lo, s24
	s_cbranch_vccnz .LBB5_195
; %bb.191:
	v_dual_mov_b32 v0, 0 :: v_dual_mov_b32 v1, 0
	s_and_not1_b32 vcc_lo, exec_lo, s29
	s_mov_b32 s31, 0
	s_cbranch_vccnz .LBB5_211
; %bb.192:
	v_mov_b32_e32 v0, 0
	s_add_i32 s34, s28, 1
	s_cmp_eq_u32 s23, 2
	s_mov_b32 s33, 0
	s_cbranch_scc1 .LBB5_207
; %bb.193:
	v_dual_mov_b32 v1, 0 :: v_dual_mov_b32 v0, 0
	v_mov_b32_e32 v2, v12
	s_and_b32 s33, s34, 28
	s_mov_b32 s35, 0
	s_mov_b64 s[18:19], s[16:17]
	s_mov_b64 s[20:21], s[0:1]
.LBB5_194:                              ; =>This Inner Loop Header: Depth=1
	s_clause 0x1
	s_load_b256 s[36:43], s[20:21], 0x4
	s_load_b128 s[52:55], s[20:21], 0x24
	s_load_b256 s[44:51], s[18:19], 0x0
	s_add_u32 s20, s20, 48
	s_addc_u32 s21, s21, 0
	s_add_i32 s35, s35, 4
	s_add_u32 s18, s18, 32
	s_addc_u32 s19, s19, 0
	s_cmp_eq_u32 s33, s35
	s_waitcnt lgkmcnt(0)
	v_mul_hi_u32 v3, s37, v2
	s_delay_alu instid0(VALU_DEP_1) | instskip(NEXT) | instid1(VALU_DEP_1)
	v_add_nc_u32_e32 v3, v2, v3
	v_lshrrev_b32_e32 v3, s38, v3
	s_delay_alu instid0(VALU_DEP_1) | instskip(SKIP_1) | instid1(VALU_DEP_2)
	v_mul_hi_u32 v4, s40, v3
	v_mul_lo_u32 v6, v3, s36
	v_add_nc_u32_e32 v4, v3, v4
	s_delay_alu instid0(VALU_DEP_2) | instskip(NEXT) | instid1(VALU_DEP_2)
	v_sub_nc_u32_e32 v2, v2, v6
	v_lshrrev_b32_e32 v4, s41, v4
	s_delay_alu instid0(VALU_DEP_2) | instskip(SKIP_1) | instid1(VALU_DEP_3)
	v_mul_lo_u32 v6, v2, s44
	v_mul_lo_u32 v8, v2, s45
	v_mul_hi_u32 v5, s43, v4
	s_delay_alu instid0(VALU_DEP_1) | instskip(NEXT) | instid1(VALU_DEP_1)
	v_add_nc_u32_e32 v5, v4, v5
	v_lshrrev_b32_e32 v5, s52, v5
	s_delay_alu instid0(VALU_DEP_1) | instskip(SKIP_1) | instid1(VALU_DEP_2)
	v_mul_hi_u32 v7, s54, v5
	v_mul_lo_u32 v9, v5, s42
	v_add_nc_u32_e32 v2, v5, v7
	v_mul_lo_u32 v7, v4, s39
	s_delay_alu instid0(VALU_DEP_3) | instskip(NEXT) | instid1(VALU_DEP_3)
	v_sub_nc_u32_e32 v4, v4, v9
	v_lshrrev_b32_e32 v2, s55, v2
	s_delay_alu instid0(VALU_DEP_2) | instskip(SKIP_2) | instid1(VALU_DEP_4)
	v_mul_lo_u32 v9, v4, s48
	v_mul_lo_u32 v4, v4, s49
	v_sub_nc_u32_e32 v3, v3, v7
	v_mul_lo_u32 v10, v2, s53
	s_delay_alu instid0(VALU_DEP_2) | instskip(SKIP_1) | instid1(VALU_DEP_3)
	v_mul_lo_u32 v7, v3, s46
	v_mul_lo_u32 v3, v3, s47
	v_sub_nc_u32_e32 v5, v5, v10
	s_delay_alu instid0(VALU_DEP_3) | instskip(NEXT) | instid1(VALU_DEP_2)
	v_add3_u32 v0, v6, v0, v7
	v_mul_lo_u32 v10, v5, s50
	v_mul_lo_u32 v5, v5, s51
	v_add3_u32 v1, v8, v1, v3
	s_delay_alu instid0(VALU_DEP_3) | instskip(NEXT) | instid1(VALU_DEP_2)
	v_add3_u32 v0, v9, v0, v10
	v_add3_u32 v1, v4, v1, v5
	s_cbranch_scc0 .LBB5_194
	s_branch .LBB5_208
.LBB5_195:
	s_mov_b32 s31, -1
                                        ; implicit-def: $vgpr0
                                        ; implicit-def: $vgpr1
	s_branch .LBB5_211
.LBB5_196:
	v_dual_mov_b32 v2, v12 :: v_dual_mov_b32 v1, 0
.LBB5_197:
	s_and_b32 s34, s34, 3
	s_delay_alu instid0(SALU_CYCLE_1)
	s_cmp_eq_u32 s34, 0
	s_cbranch_scc1 .LBB5_200
; %bb.198:
	s_lshl_b32 s18, s33, 3
	s_mul_i32 s20, s33, 12
	s_add_u32 s18, s18, s0
	s_addc_u32 s19, s1, 0
	s_add_u32 s18, s18, 0xc4
	s_addc_u32 s19, s19, 0
	s_add_u32 s20, s0, s20
	s_addc_u32 s21, s1, 0
	.p2align	6
.LBB5_199:                              ; =>This Inner Loop Header: Depth=1
	s_clause 0x1
	s_load_b64 s[36:37], s[20:21], 0x4
	s_load_b32 s33, s[20:21], 0xc
	s_load_b64 s[38:39], s[18:19], 0x0
	s_add_u32 s20, s20, 12
	s_addc_u32 s21, s21, 0
	s_add_u32 s18, s18, 8
	s_addc_u32 s19, s19, 0
	s_add_i32 s34, s34, -1
	s_delay_alu instid0(SALU_CYCLE_1) | instskip(SKIP_2) | instid1(VALU_DEP_1)
	s_cmp_lg_u32 s34, 0
	s_waitcnt lgkmcnt(0)
	v_mul_hi_u32 v3, s37, v2
	v_add_nc_u32_e32 v3, v2, v3
	s_delay_alu instid0(VALU_DEP_1) | instskip(NEXT) | instid1(VALU_DEP_1)
	v_lshrrev_b32_e32 v6, s33, v3
	v_mul_lo_u32 v3, v6, s36
	s_delay_alu instid0(VALU_DEP_1) | instskip(NEXT) | instid1(VALU_DEP_1)
	v_sub_nc_u32_e32 v2, v2, v3
	v_mad_u64_u32 v[3:4], null, v2, s38, v[0:1]
	v_mad_u64_u32 v[4:5], null, v2, s39, v[1:2]
	v_mov_b32_e32 v2, v6
	s_delay_alu instid0(VALU_DEP_2)
	v_dual_mov_b32 v0, v3 :: v_dual_mov_b32 v1, v4
	s_cbranch_scc1 .LBB5_199
.LBB5_200:
	s_and_not1_b32 vcc_lo, exec_lo, s31
	s_cbranch_vccnz .LBB5_203
; %bb.201:
	s_waitcnt lgkmcnt(0)
	v_mul_hi_u32 v0, s13, v12
	s_and_not1_b32 vcc_lo, exec_lo, s26
	s_delay_alu instid0(VALU_DEP_1) | instskip(NEXT) | instid1(VALU_DEP_1)
	v_add_nc_u32_e32 v0, v12, v0
	v_lshrrev_b32_e32 v2, s14, v0
	s_delay_alu instid0(VALU_DEP_1) | instskip(NEXT) | instid1(VALU_DEP_1)
	v_mul_lo_u32 v0, v2, s12
	v_sub_nc_u32_e32 v1, v12, v0
	s_delay_alu instid0(VALU_DEP_1)
	v_mul_lo_u32 v0, v1, s8
	v_mul_lo_u32 v1, v1, s9
	s_cbranch_vccnz .LBB5_203
; %bb.202:
	v_mul_hi_u32 v3, s2, v2
	s_delay_alu instid0(VALU_DEP_1) | instskip(NEXT) | instid1(VALU_DEP_1)
	v_add_nc_u32_e32 v3, v2, v3
	v_lshrrev_b32_e32 v3, s3, v3
	s_delay_alu instid0(VALU_DEP_1) | instskip(NEXT) | instid1(VALU_DEP_1)
	v_mul_lo_u32 v3, v3, s15
	v_sub_nc_u32_e32 v5, v2, v3
	s_delay_alu instid0(VALU_DEP_1) | instskip(NEXT) | instid1(VALU_DEP_1)
	v_mad_u64_u32 v[2:3], null, v5, s10, v[0:1]
	v_mad_u64_u32 v[3:4], null, v5, s11, v[1:2]
	s_delay_alu instid0(VALU_DEP_1)
	v_dual_mov_b32 v0, v2 :: v_dual_mov_b32 v1, v3
.LBB5_203:
	s_waitcnt lgkmcnt(0)
	global_load_u8 v1, v1, s[6:7]
	v_add_nc_u32_e32 v12, 0x80, v12
	s_waitcnt vmcnt(0)
	v_cmp_eq_u16_e32 vcc_lo, 0, v1
	v_cndmask_b32_e64 v1, 0, 1, vcc_lo
	global_store_b8 v0, v1, s[4:5]
	s_or_b32 exec_lo, exec_lo, s30
	s_delay_alu instid0(SALU_CYCLE_1)
	s_mov_b32 s30, exec_lo
	v_cmpx_gt_i32_e64 s27, v12
	s_cbranch_execnz .LBB5_190
.LBB5_204:
	s_or_b32 exec_lo, exec_lo, s30
	s_delay_alu instid0(SALU_CYCLE_1)
	s_mov_b32 s20, exec_lo
	v_cmpx_gt_i32_e64 s27, v12
	s_cbranch_execnz .LBB5_215
.LBB5_205:
	s_or_b32 exec_lo, exec_lo, s20
                                        ; implicit-def: $vgpr16
                                        ; implicit-def: $vgpr12
	s_waitcnt lgkmcnt(0)
	s_and_not1_saveexec_b32 s2, s25
	s_cbranch_execnz .LBB5_8
.LBB5_206:
	s_nop 0
	s_sendmsg sendmsg(MSG_DEALLOC_VGPRS)
	s_endpgm
.LBB5_207:
	v_dual_mov_b32 v2, v12 :: v_dual_mov_b32 v1, 0
.LBB5_208:
	s_and_b32 s34, s34, 3
	s_delay_alu instid0(SALU_CYCLE_1)
	s_cmp_eq_u32 s34, 0
	s_cbranch_scc1 .LBB5_211
; %bb.209:
	s_lshl_b32 s18, s33, 3
	s_mul_i32 s20, s33, 12
	s_add_u32 s18, s18, s0
	s_addc_u32 s19, s1, 0
	s_add_u32 s18, s18, 0xc4
	s_addc_u32 s19, s19, 0
	;; [unrolled: 2-line block ×3, first 2 shown]
	.p2align	6
.LBB5_210:                              ; =>This Inner Loop Header: Depth=1
	s_clause 0x1
	s_load_b64 s[36:37], s[20:21], 0x4
	s_load_b32 s33, s[20:21], 0xc
	s_load_b64 s[38:39], s[18:19], 0x0
	s_add_u32 s20, s20, 12
	s_addc_u32 s21, s21, 0
	s_add_u32 s18, s18, 8
	s_addc_u32 s19, s19, 0
	s_add_i32 s34, s34, -1
	s_delay_alu instid0(SALU_CYCLE_1) | instskip(SKIP_2) | instid1(VALU_DEP_1)
	s_cmp_lg_u32 s34, 0
	s_waitcnt lgkmcnt(0)
	v_mul_hi_u32 v3, s37, v2
	v_add_nc_u32_e32 v3, v2, v3
	s_delay_alu instid0(VALU_DEP_1) | instskip(NEXT) | instid1(VALU_DEP_1)
	v_lshrrev_b32_e32 v6, s33, v3
	v_mul_lo_u32 v3, v6, s36
	s_delay_alu instid0(VALU_DEP_1) | instskip(NEXT) | instid1(VALU_DEP_1)
	v_sub_nc_u32_e32 v2, v2, v3
	v_mad_u64_u32 v[3:4], null, v2, s38, v[0:1]
	v_mad_u64_u32 v[4:5], null, v2, s39, v[1:2]
	v_mov_b32_e32 v2, v6
	s_delay_alu instid0(VALU_DEP_2)
	v_dual_mov_b32 v0, v3 :: v_dual_mov_b32 v1, v4
	s_cbranch_scc1 .LBB5_210
.LBB5_211:
	s_and_not1_b32 vcc_lo, exec_lo, s31
	s_cbranch_vccnz .LBB5_214
; %bb.212:
	s_waitcnt lgkmcnt(0)
	v_mul_hi_u32 v0, s13, v12
	s_and_not1_b32 vcc_lo, exec_lo, s26
	s_delay_alu instid0(VALU_DEP_1) | instskip(NEXT) | instid1(VALU_DEP_1)
	v_add_nc_u32_e32 v0, v12, v0
	v_lshrrev_b32_e32 v2, s14, v0
	s_delay_alu instid0(VALU_DEP_1) | instskip(NEXT) | instid1(VALU_DEP_1)
	v_mul_lo_u32 v0, v2, s12
	v_sub_nc_u32_e32 v1, v12, v0
	s_delay_alu instid0(VALU_DEP_1)
	v_mul_lo_u32 v0, v1, s8
	v_mul_lo_u32 v1, v1, s9
	s_cbranch_vccnz .LBB5_214
; %bb.213:
	v_mul_hi_u32 v3, s2, v2
	s_delay_alu instid0(VALU_DEP_1) | instskip(NEXT) | instid1(VALU_DEP_1)
	v_add_nc_u32_e32 v3, v2, v3
	v_lshrrev_b32_e32 v3, s3, v3
	s_delay_alu instid0(VALU_DEP_1) | instskip(NEXT) | instid1(VALU_DEP_1)
	v_mul_lo_u32 v3, v3, s15
	v_sub_nc_u32_e32 v5, v2, v3
	s_delay_alu instid0(VALU_DEP_1) | instskip(NEXT) | instid1(VALU_DEP_1)
	v_mad_u64_u32 v[2:3], null, v5, s10, v[0:1]
	v_mad_u64_u32 v[3:4], null, v5, s11, v[1:2]
	s_delay_alu instid0(VALU_DEP_1)
	v_dual_mov_b32 v0, v2 :: v_dual_mov_b32 v1, v3
.LBB5_214:
	s_waitcnt lgkmcnt(0)
	global_load_u8 v1, v1, s[6:7]
	v_add_nc_u32_e32 v12, 0x80, v12
	s_waitcnt vmcnt(0)
	v_cmp_eq_u16_e32 vcc_lo, 0, v1
	v_cndmask_b32_e64 v1, 0, 1, vcc_lo
	global_store_b8 v0, v1, s[4:5]
	s_or_b32 exec_lo, exec_lo, s30
	s_delay_alu instid0(SALU_CYCLE_1)
	s_mov_b32 s20, exec_lo
	v_cmpx_gt_i32_e64 s27, v12
	s_cbranch_execz .LBB5_205
.LBB5_215:
	s_and_not1_b32 vcc_lo, exec_lo, s24
	s_cbranch_vccnz .LBB5_220
; %bb.216:
	v_dual_mov_b32 v0, 0 :: v_dual_mov_b32 v1, 0
	s_and_not1_b32 vcc_lo, exec_lo, s29
	s_mov_b32 s21, 0
	s_cbranch_vccnz .LBB5_225
; %bb.217:
	v_mov_b32_e32 v0, 0
	s_add_i32 s28, s28, 1
	s_cmp_eq_u32 s23, 2
	s_mov_b32 s27, 0
	s_cbranch_scc1 .LBB5_221
; %bb.218:
	v_dual_mov_b32 v1, 0 :: v_dual_mov_b32 v0, 0
	v_mov_b32_e32 v2, v12
	s_and_b32 s27, s28, 28
	s_mov_b32 s29, 0
	s_mov_b64 s[18:19], s[0:1]
.LBB5_219:                              ; =>This Inner Loop Header: Depth=1
	s_clause 0x1
	s_load_b256 s[36:43], s[18:19], 0x4
	s_load_b128 s[52:55], s[18:19], 0x24
	s_load_b256 s[44:51], s[16:17], 0x0
	s_add_u32 s18, s18, 48
	s_addc_u32 s19, s19, 0
	s_add_i32 s29, s29, 4
	s_add_u32 s16, s16, 32
	s_addc_u32 s17, s17, 0
	s_cmp_eq_u32 s27, s29
	s_waitcnt lgkmcnt(0)
	v_mul_hi_u32 v3, s37, v2
	s_delay_alu instid0(VALU_DEP_1) | instskip(NEXT) | instid1(VALU_DEP_1)
	v_add_nc_u32_e32 v3, v2, v3
	v_lshrrev_b32_e32 v3, s38, v3
	s_delay_alu instid0(VALU_DEP_1) | instskip(SKIP_1) | instid1(VALU_DEP_2)
	v_mul_hi_u32 v4, s40, v3
	v_mul_lo_u32 v6, v3, s36
	v_add_nc_u32_e32 v4, v3, v4
	s_delay_alu instid0(VALU_DEP_2) | instskip(NEXT) | instid1(VALU_DEP_2)
	v_sub_nc_u32_e32 v2, v2, v6
	v_lshrrev_b32_e32 v4, s41, v4
	s_delay_alu instid0(VALU_DEP_2) | instskip(SKIP_1) | instid1(VALU_DEP_3)
	v_mul_lo_u32 v6, v2, s44
	v_mul_lo_u32 v8, v2, s45
	v_mul_hi_u32 v5, s43, v4
	s_delay_alu instid0(VALU_DEP_1) | instskip(NEXT) | instid1(VALU_DEP_1)
	v_add_nc_u32_e32 v5, v4, v5
	v_lshrrev_b32_e32 v5, s52, v5
	s_delay_alu instid0(VALU_DEP_1) | instskip(SKIP_1) | instid1(VALU_DEP_2)
	v_mul_hi_u32 v7, s54, v5
	v_mul_lo_u32 v9, v5, s42
	v_add_nc_u32_e32 v2, v5, v7
	v_mul_lo_u32 v7, v4, s39
	s_delay_alu instid0(VALU_DEP_3) | instskip(NEXT) | instid1(VALU_DEP_3)
	v_sub_nc_u32_e32 v4, v4, v9
	v_lshrrev_b32_e32 v2, s55, v2
	s_delay_alu instid0(VALU_DEP_2) | instskip(SKIP_2) | instid1(VALU_DEP_4)
	v_mul_lo_u32 v9, v4, s48
	v_mul_lo_u32 v4, v4, s49
	v_sub_nc_u32_e32 v3, v3, v7
	v_mul_lo_u32 v10, v2, s53
	s_delay_alu instid0(VALU_DEP_2) | instskip(SKIP_1) | instid1(VALU_DEP_3)
	v_mul_lo_u32 v7, v3, s46
	v_mul_lo_u32 v3, v3, s47
	v_sub_nc_u32_e32 v5, v5, v10
	s_delay_alu instid0(VALU_DEP_3) | instskip(NEXT) | instid1(VALU_DEP_2)
	v_add3_u32 v0, v6, v0, v7
	v_mul_lo_u32 v10, v5, s50
	v_mul_lo_u32 v5, v5, s51
	v_add3_u32 v1, v8, v1, v3
	s_delay_alu instid0(VALU_DEP_3) | instskip(NEXT) | instid1(VALU_DEP_2)
	v_add3_u32 v0, v9, v0, v10
	v_add3_u32 v1, v4, v1, v5
	s_cbranch_scc0 .LBB5_219
	s_branch .LBB5_222
.LBB5_220:
	s_mov_b32 s21, -1
                                        ; implicit-def: $vgpr0
                                        ; implicit-def: $vgpr1
	s_branch .LBB5_225
.LBB5_221:
	v_dual_mov_b32 v2, v12 :: v_dual_mov_b32 v1, 0
.LBB5_222:
	s_and_b32 s28, s28, 3
	s_delay_alu instid0(SALU_CYCLE_1)
	s_cmp_eq_u32 s28, 0
	s_cbranch_scc1 .LBB5_225
; %bb.223:
	s_lshl_b32 s16, s27, 3
	s_mul_i32 s18, s27, 12
	s_add_u32 s16, s16, s0
	s_addc_u32 s17, s1, 0
	s_add_u32 s16, s16, 0xc4
	s_addc_u32 s17, s17, 0
	;; [unrolled: 2-line block ×3, first 2 shown]
	.p2align	6
.LBB5_224:                              ; =>This Inner Loop Header: Depth=1
	s_clause 0x1
	s_load_b64 s[30:31], s[18:19], 0x4
	s_load_b32 s27, s[18:19], 0xc
	s_load_b64 s[34:35], s[16:17], 0x0
	s_add_u32 s18, s18, 12
	s_addc_u32 s19, s19, 0
	s_add_u32 s16, s16, 8
	s_addc_u32 s17, s17, 0
	s_add_i32 s28, s28, -1
	s_delay_alu instid0(SALU_CYCLE_1) | instskip(SKIP_2) | instid1(VALU_DEP_1)
	s_cmp_lg_u32 s28, 0
	s_waitcnt lgkmcnt(0)
	v_mul_hi_u32 v3, s31, v2
	v_add_nc_u32_e32 v3, v2, v3
	s_delay_alu instid0(VALU_DEP_1) | instskip(NEXT) | instid1(VALU_DEP_1)
	v_lshrrev_b32_e32 v6, s27, v3
	v_mul_lo_u32 v3, v6, s30
	s_delay_alu instid0(VALU_DEP_1) | instskip(NEXT) | instid1(VALU_DEP_1)
	v_sub_nc_u32_e32 v2, v2, v3
	v_mad_u64_u32 v[3:4], null, v2, s34, v[0:1]
	v_mad_u64_u32 v[4:5], null, v2, s35, v[1:2]
	v_mov_b32_e32 v2, v6
	s_delay_alu instid0(VALU_DEP_2)
	v_dual_mov_b32 v0, v3 :: v_dual_mov_b32 v1, v4
	s_cbranch_scc1 .LBB5_224
.LBB5_225:
	s_and_not1_b32 vcc_lo, exec_lo, s21
	s_cbranch_vccnz .LBB5_228
; %bb.226:
	s_waitcnt lgkmcnt(0)
	v_mul_hi_u32 v0, s13, v12
	s_and_not1_b32 vcc_lo, exec_lo, s26
	s_delay_alu instid0(VALU_DEP_1) | instskip(NEXT) | instid1(VALU_DEP_1)
	v_add_nc_u32_e32 v0, v12, v0
	v_lshrrev_b32_e32 v2, s14, v0
	s_delay_alu instid0(VALU_DEP_1) | instskip(NEXT) | instid1(VALU_DEP_1)
	v_mul_lo_u32 v0, v2, s12
	v_sub_nc_u32_e32 v1, v12, v0
	s_delay_alu instid0(VALU_DEP_1)
	v_mul_lo_u32 v0, v1, s8
	v_mul_lo_u32 v1, v1, s9
	s_cbranch_vccnz .LBB5_228
; %bb.227:
	v_mul_hi_u32 v3, s2, v2
	s_delay_alu instid0(VALU_DEP_1) | instskip(NEXT) | instid1(VALU_DEP_1)
	v_add_nc_u32_e32 v3, v2, v3
	v_lshrrev_b32_e32 v3, s3, v3
	s_delay_alu instid0(VALU_DEP_1) | instskip(NEXT) | instid1(VALU_DEP_1)
	v_mul_lo_u32 v3, v3, s15
	v_sub_nc_u32_e32 v5, v2, v3
	s_delay_alu instid0(VALU_DEP_1) | instskip(NEXT) | instid1(VALU_DEP_1)
	v_mad_u64_u32 v[2:3], null, v5, s10, v[0:1]
	v_mad_u64_u32 v[3:4], null, v5, s11, v[1:2]
	s_delay_alu instid0(VALU_DEP_1)
	v_dual_mov_b32 v0, v2 :: v_dual_mov_b32 v1, v3
.LBB5_228:
	s_waitcnt lgkmcnt(0)
	global_load_u8 v1, v1, s[6:7]
	s_waitcnt vmcnt(0)
	v_cmp_eq_u16_e32 vcc_lo, 0, v1
	v_cndmask_b32_e64 v1, 0, 1, vcc_lo
	global_store_b8 v0, v1, s[4:5]
	s_or_b32 exec_lo, exec_lo, s20
                                        ; implicit-def: $vgpr16
                                        ; implicit-def: $vgpr12
	s_and_not1_saveexec_b32 s2, s25
	s_cbranch_execz .LBB5_206
	s_branch .LBB5_8
	.section	.rodata,"a",@progbits
	.p2align	6, 0x0
	.amdhsa_kernel _ZN2at6native32elementwise_kernel_manual_unrollILi128ELi8EZNS0_22gpu_kernel_impl_nocastIZNS0_23bitwise_not_kernel_cudaERNS_18TensorIteratorBaseEEUlbE_EEvS4_RKT_EUlibE_EEviT1_
		.amdhsa_group_segment_fixed_size 0
		.amdhsa_private_segment_fixed_size 0
		.amdhsa_kernarg_size 360
		.amdhsa_user_sgpr_count 15
		.amdhsa_user_sgpr_dispatch_ptr 0
		.amdhsa_user_sgpr_queue_ptr 0
		.amdhsa_user_sgpr_kernarg_segment_ptr 1
		.amdhsa_user_sgpr_dispatch_id 0
		.amdhsa_user_sgpr_private_segment_size 0
		.amdhsa_wavefront_size32 1
		.amdhsa_uses_dynamic_stack 0
		.amdhsa_enable_private_segment 0
		.amdhsa_system_sgpr_workgroup_id_x 1
		.amdhsa_system_sgpr_workgroup_id_y 0
		.amdhsa_system_sgpr_workgroup_id_z 0
		.amdhsa_system_sgpr_workgroup_info 0
		.amdhsa_system_vgpr_workitem_id 0
		.amdhsa_next_free_vgpr 26
		.amdhsa_next_free_sgpr 56
		.amdhsa_reserve_vcc 1
		.amdhsa_float_round_mode_32 0
		.amdhsa_float_round_mode_16_64 0
		.amdhsa_float_denorm_mode_32 3
		.amdhsa_float_denorm_mode_16_64 3
		.amdhsa_dx10_clamp 1
		.amdhsa_ieee_mode 1
		.amdhsa_fp16_overflow 0
		.amdhsa_workgroup_processor_mode 1
		.amdhsa_memory_ordered 1
		.amdhsa_forward_progress 0
		.amdhsa_shared_vgpr_count 0
		.amdhsa_exception_fp_ieee_invalid_op 0
		.amdhsa_exception_fp_denorm_src 0
		.amdhsa_exception_fp_ieee_div_zero 0
		.amdhsa_exception_fp_ieee_overflow 0
		.amdhsa_exception_fp_ieee_underflow 0
		.amdhsa_exception_fp_ieee_inexact 0
		.amdhsa_exception_int_div_zero 0
	.end_amdhsa_kernel
	.section	.text._ZN2at6native32elementwise_kernel_manual_unrollILi128ELi8EZNS0_22gpu_kernel_impl_nocastIZNS0_23bitwise_not_kernel_cudaERNS_18TensorIteratorBaseEEUlbE_EEvS4_RKT_EUlibE_EEviT1_,"axG",@progbits,_ZN2at6native32elementwise_kernel_manual_unrollILi128ELi8EZNS0_22gpu_kernel_impl_nocastIZNS0_23bitwise_not_kernel_cudaERNS_18TensorIteratorBaseEEUlbE_EEvS4_RKT_EUlibE_EEviT1_,comdat
.Lfunc_end5:
	.size	_ZN2at6native32elementwise_kernel_manual_unrollILi128ELi8EZNS0_22gpu_kernel_impl_nocastIZNS0_23bitwise_not_kernel_cudaERNS_18TensorIteratorBaseEEUlbE_EEvS4_RKT_EUlibE_EEviT1_, .Lfunc_end5-_ZN2at6native32elementwise_kernel_manual_unrollILi128ELi8EZNS0_22gpu_kernel_impl_nocastIZNS0_23bitwise_not_kernel_cudaERNS_18TensorIteratorBaseEEUlbE_EEvS4_RKT_EUlibE_EEviT1_
                                        ; -- End function
	.section	.AMDGPU.csdata,"",@progbits
; Kernel info:
; codeLenInByte = 13580
; NumSgprs: 58
; NumVgprs: 26
; ScratchSize: 0
; MemoryBound: 0
; FloatMode: 240
; IeeeMode: 1
; LDSByteSize: 0 bytes/workgroup (compile time only)
; SGPRBlocks: 7
; VGPRBlocks: 3
; NumSGPRsForWavesPerEU: 58
; NumVGPRsForWavesPerEU: 26
; Occupancy: 16
; WaveLimiterHint : 1
; COMPUTE_PGM_RSRC2:SCRATCH_EN: 0
; COMPUTE_PGM_RSRC2:USER_SGPR: 15
; COMPUTE_PGM_RSRC2:TRAP_HANDLER: 0
; COMPUTE_PGM_RSRC2:TGID_X_EN: 1
; COMPUTE_PGM_RSRC2:TGID_Y_EN: 0
; COMPUTE_PGM_RSRC2:TGID_Z_EN: 0
; COMPUTE_PGM_RSRC2:TIDIG_COMP_CNT: 0
	.section	.text._ZN2at6native32elementwise_kernel_manual_unrollILi128ELi4EZNS0_15gpu_kernel_implIZNS0_23bitwise_not_kernel_cudaERNS_18TensorIteratorBaseEEUlbE_EEvS4_RKT_EUlibE_EEviT1_,"axG",@progbits,_ZN2at6native32elementwise_kernel_manual_unrollILi128ELi4EZNS0_15gpu_kernel_implIZNS0_23bitwise_not_kernel_cudaERNS_18TensorIteratorBaseEEUlbE_EEvS4_RKT_EUlibE_EEviT1_,comdat
	.globl	_ZN2at6native32elementwise_kernel_manual_unrollILi128ELi4EZNS0_15gpu_kernel_implIZNS0_23bitwise_not_kernel_cudaERNS_18TensorIteratorBaseEEUlbE_EEvS4_RKT_EUlibE_EEviT1_ ; -- Begin function _ZN2at6native32elementwise_kernel_manual_unrollILi128ELi4EZNS0_15gpu_kernel_implIZNS0_23bitwise_not_kernel_cudaERNS_18TensorIteratorBaseEEUlbE_EEvS4_RKT_EUlibE_EEviT1_
	.p2align	8
	.type	_ZN2at6native32elementwise_kernel_manual_unrollILi128ELi4EZNS0_15gpu_kernel_implIZNS0_23bitwise_not_kernel_cudaERNS_18TensorIteratorBaseEEUlbE_EEvS4_RKT_EUlibE_EEviT1_,@function
_ZN2at6native32elementwise_kernel_manual_unrollILi128ELi4EZNS0_15gpu_kernel_implIZNS0_23bitwise_not_kernel_cudaERNS_18TensorIteratorBaseEEUlbE_EEvS4_RKT_EUlibE_EEviT1_: ; @_ZN2at6native32elementwise_kernel_manual_unrollILi128ELi4EZNS0_15gpu_kernel_implIZNS0_23bitwise_not_kernel_cudaERNS_18TensorIteratorBaseEEUlbE_EEvS4_RKT_EUlibE_EEviT1_
; %bb.0:
	v_mov_b32_e32 v1, 0
	s_clause 0x2
	s_load_b32 s10, s[0:1], 0x0
	s_load_b64 s[2:3], s[0:1], 0x18
	s_load_b128 s[4:7], s[0:1], 0x8
	v_lshl_or_b32 v3, s15, 9, v0
	s_mov_b32 s9, 0
	global_load_u16 v2, v1, s[0:1] offset:33
	s_mov_b32 s1, 0
	v_or_b32_e32 v0, 0x180, v3
	s_mov_b32 s0, exec_lo
	s_waitcnt vmcnt(0)
	v_lshrrev_b16 v4, 8, v2
	s_waitcnt lgkmcnt(0)
	v_cmpx_le_i32_e64 s10, v0
	s_xor_b32 s8, exec_lo, s0
	s_cbranch_execz .LBB6_1016
; %bb.1:
	s_mov_b32 s16, -1
	s_mov_b32 s13, 0
	s_mov_b32 s11, 0
	s_mov_b32 s12, exec_lo
	v_cmpx_gt_i32_e64 s10, v3
	s_cbranch_execz .LBB6_246
; %bb.2:
	v_mul_lo_u32 v0, v3, s3
	v_cmp_gt_i16_e32 vcc_lo, 11, v4
	s_delay_alu instid0(VALU_DEP_2) | instskip(SKIP_1) | instid1(VALU_DEP_1)
	v_ashrrev_i32_e32 v1, 31, v0
	v_add_co_u32 v0, s0, s6, v0
	v_add_co_ci_u32_e64 v1, s0, s7, v1, s0
	s_cbranch_vccnz .LBB6_9
; %bb.3:
	v_cmp_lt_i16_e32 vcc_lo, 25, v4
	s_cbranch_vccz .LBB6_128
; %bb.4:
	v_cmp_lt_i16_e32 vcc_lo, 28, v4
	s_cbranch_vccz .LBB6_129
	;; [unrolled: 3-line block ×4, first 2 shown]
; %bb.7:
	v_cmp_eq_u16_e32 vcc_lo, 46, v4
	s_mov_b32 s14, 0
	s_cbranch_vccz .LBB6_132
; %bb.8:
	global_load_b32 v5, v[0:1], off
	s_mov_b32 s0, -1
	s_waitcnt vmcnt(0)
	v_and_b32_e32 v5, 0x7fff7fff, v5
	s_delay_alu instid0(VALU_DEP_1)
	v_cmp_ne_u32_e32 vcc_lo, 0, v5
	s_and_b32 s9, vcc_lo, exec_lo
	s_branch .LBB6_134
.LBB6_9:
	s_mov_b32 s0, 0
                                        ; implicit-def: $sgpr9
	s_cbranch_execnz .LBB6_196
.LBB6_10:
	s_and_not1_b32 vcc_lo, exec_lo, s0
	s_cbranch_vccnz .LBB6_243
.LBB6_11:
	v_mul_lo_u32 v0, v3, s2
	v_and_b32_e32 v5, 0xff, v2
	s_mov_b32 s11, -1
	s_xor_b32 s9, s9, -1
	s_mov_b32 s14, 0
	s_delay_alu instid0(VALU_DEP_1) | instskip(NEXT) | instid1(VALU_DEP_3)
	v_cmp_gt_i16_e32 vcc_lo, 11, v5
	v_ashrrev_i32_e32 v1, 31, v0
	v_add_co_u32 v0, s0, s4, v0
	s_delay_alu instid0(VALU_DEP_1)
	v_add_co_ci_u32_e64 v1, s0, s5, v1, s0
	s_mov_b32 s0, 0
	s_cbranch_vccnz .LBB6_88
; %bb.12:
	v_cmp_lt_i16_e32 vcc_lo, 25, v5
	s_cbranch_vccz .LBB6_45
; %bb.13:
	v_cmp_lt_i16_e32 vcc_lo, 28, v5
	s_cbranch_vccz .LBB6_28
	;; [unrolled: 3-line block ×4, first 2 shown]
; %bb.16:
	v_cmp_eq_u16_e32 vcc_lo, 46, v5
	s_mov_b32 s11, 0
	s_mov_b32 s14, -1
	s_cbranch_vccz .LBB6_18
; %bb.17:
	v_cndmask_b32_e64 v6, 0, 1.0, s9
	s_mov_b32 s0, -1
	s_mov_b32 s14, 0
	s_delay_alu instid0(VALU_DEP_1) | instskip(NEXT) | instid1(VALU_DEP_1)
	v_bfe_u32 v7, v6, 16, 1
	v_add3_u32 v6, v6, v7, 0x7fff
	s_delay_alu instid0(VALU_DEP_1)
	v_lshrrev_b32_e32 v6, 16, v6
	global_store_b32 v[0:1], v6, off
.LBB6_18:
	s_and_b32 vcc_lo, exec_lo, s11
	s_cbranch_vccz .LBB6_23
; %bb.19:
	v_cmp_eq_u16_e32 vcc_lo, 44, v5
	s_mov_b32 s14, -1
	s_cbranch_vccz .LBB6_23
; %bb.20:
	v_cndmask_b32_e64 v8, 0, 1.0, s9
	v_mov_b32_e32 v7, 0xff
	s_mov_b32 s11, exec_lo
	s_delay_alu instid0(VALU_DEP_2) | instskip(NEXT) | instid1(VALU_DEP_1)
	v_lshrrev_b32_e32 v6, 23, v8
	v_cmpx_ne_u32_e32 0xff, v6
; %bb.21:
	v_and_b32_e32 v7, 0x400000, v8
	v_and_or_b32 v8, 0x3fffff, v8, v6
	s_delay_alu instid0(VALU_DEP_2) | instskip(NEXT) | instid1(VALU_DEP_2)
	v_cmp_ne_u32_e32 vcc_lo, 0, v7
	v_cmp_ne_u32_e64 s0, 0, v8
	s_delay_alu instid0(VALU_DEP_1) | instskip(NEXT) | instid1(SALU_CYCLE_1)
	s_and_b32 s0, vcc_lo, s0
	v_cndmask_b32_e64 v7, 0, 1, s0
	s_delay_alu instid0(VALU_DEP_1)
	v_add_nc_u32_e32 v7, v6, v7
; %bb.22:
	s_or_b32 exec_lo, exec_lo, s11
	s_mov_b32 s0, -1
	s_mov_b32 s14, 0
	global_store_b8 v[0:1], v7, off
.LBB6_23:
	s_mov_b32 s11, 0
.LBB6_24:
	s_delay_alu instid0(SALU_CYCLE_1)
	s_and_b32 vcc_lo, exec_lo, s11
	s_cbranch_vccz .LBB6_27
; %bb.25:
	v_cmp_eq_u16_e32 vcc_lo, 29, v5
	s_mov_b32 s14, -1
	s_cbranch_vccz .LBB6_27
; %bb.26:
	s_mov_b32 s14, 0
	v_cndmask_b32_e64 v6, 0, 1, s9
	v_mov_b32_e32 v7, s14
	s_mov_b32 s0, -1
	global_store_b64 v[0:1], v[6:7], off
.LBB6_27:
	s_mov_b32 s11, 0
.LBB6_28:
	s_delay_alu instid0(SALU_CYCLE_1)
	s_and_b32 vcc_lo, exec_lo, s11
	s_cbranch_vccz .LBB6_44
; %bb.29:
	v_cmp_gt_i16_e32 vcc_lo, 27, v5
	s_mov_b32 s0, -1
	s_cbranch_vccnz .LBB6_35
; %bb.30:
	v_cmp_lt_i16_e32 vcc_lo, 27, v5
	s_cbranch_vccz .LBB6_32
; %bb.31:
	v_cndmask_b32_e64 v6, 0, 1, s9
	s_mov_b32 s0, 0
	global_store_b32 v[0:1], v6, off
.LBB6_32:
	s_and_not1_b32 vcc_lo, exec_lo, s0
	s_cbranch_vccnz .LBB6_34
; %bb.33:
	v_cndmask_b32_e64 v6, 0, 1, s9
	global_store_b16 v[0:1], v6, off
.LBB6_34:
	s_mov_b32 s0, 0
.LBB6_35:
	s_delay_alu instid0(SALU_CYCLE_1)
	s_and_not1_b32 vcc_lo, exec_lo, s0
	s_cbranch_vccnz .LBB6_43
; %bb.36:
	v_cndmask_b32_e64 v7, 0, 1.0, s9
	v_mov_b32_e32 v8, 0x80
	s_mov_b32 s0, exec_lo
	s_delay_alu instid0(VALU_DEP_2)
	v_cmpx_gt_u32_e32 0x43800000, v7
	s_cbranch_execz .LBB6_42
; %bb.37:
	s_mov_b32 s11, 0
	s_mov_b32 s15, exec_lo
                                        ; implicit-def: $vgpr6
	v_cmpx_lt_u32_e32 0x3bffffff, v7
	s_xor_b32 s15, exec_lo, s15
	s_cbranch_execz .LBB6_309
; %bb.38:
	v_bfe_u32 v6, v7, 20, 1
	s_mov_b32 s11, exec_lo
	s_delay_alu instid0(VALU_DEP_1) | instskip(NEXT) | instid1(VALU_DEP_1)
	v_add3_u32 v6, v7, v6, 0x487ffff
                                        ; implicit-def: $vgpr7
	v_lshrrev_b32_e32 v6, 20, v6
	s_or_saveexec_b32 s15, s15
                                        ; implicit-def: $sgpr16
	s_delay_alu instid0(SALU_CYCLE_1)
	s_xor_b32 exec_lo, exec_lo, s15
	s_cbranch_execnz .LBB6_310
.LBB6_39:
	s_or_b32 exec_lo, exec_lo, s15
	v_mov_b32_e32 v8, s16
	s_and_saveexec_b32 s15, s11
.LBB6_40:
	v_mov_b32_e32 v8, v6
.LBB6_41:
	s_or_b32 exec_lo, exec_lo, s15
.LBB6_42:
	s_delay_alu instid0(SALU_CYCLE_1)
	s_or_b32 exec_lo, exec_lo, s0
	global_store_b8 v[0:1], v8, off
.LBB6_43:
	s_mov_b32 s0, -1
.LBB6_44:
	s_mov_b32 s11, 0
.LBB6_45:
	s_delay_alu instid0(SALU_CYCLE_1)
	s_and_b32 vcc_lo, exec_lo, s11
	s_cbranch_vccz .LBB6_86
; %bb.46:
	v_cmp_lt_i16_e32 vcc_lo, 22, v5
	s_mov_b32 s11, -1
	s_cbranch_vccz .LBB6_78
; %bb.47:
	v_cmp_gt_i16_e32 vcc_lo, 24, v5
	s_mov_b32 s0, -1
	s_cbranch_vccnz .LBB6_67
; %bb.48:
	v_cmp_lt_i16_e32 vcc_lo, 24, v5
	s_cbranch_vccz .LBB6_56
; %bb.49:
	v_cndmask_b32_e64 v7, 0, 1.0, s9
	v_mov_b32_e32 v8, 0x80
	s_mov_b32 s0, exec_lo
	s_delay_alu instid0(VALU_DEP_2)
	v_cmpx_gt_u32_e32 0x47800000, v7
	s_cbranch_execz .LBB6_55
; %bb.50:
	s_mov_b32 s11, 0
	s_mov_b32 s15, exec_lo
                                        ; implicit-def: $vgpr6
	v_cmpx_lt_u32_e32 0x37ffffff, v7
	s_xor_b32 s15, exec_lo, s15
	s_cbranch_execz .LBB6_313
; %bb.51:
	v_bfe_u32 v6, v7, 21, 1
	s_mov_b32 s11, exec_lo
	s_delay_alu instid0(VALU_DEP_1) | instskip(NEXT) | instid1(VALU_DEP_1)
	v_add3_u32 v6, v7, v6, 0x88fffff
                                        ; implicit-def: $vgpr7
	v_lshrrev_b32_e32 v6, 21, v6
	s_or_saveexec_b32 s15, s15
                                        ; implicit-def: $sgpr16
	s_delay_alu instid0(SALU_CYCLE_1)
	s_xor_b32 exec_lo, exec_lo, s15
	s_cbranch_execnz .LBB6_314
.LBB6_52:
	s_or_b32 exec_lo, exec_lo, s15
	v_mov_b32_e32 v8, s16
	s_and_saveexec_b32 s15, s11
.LBB6_53:
	v_mov_b32_e32 v8, v6
.LBB6_54:
	s_or_b32 exec_lo, exec_lo, s15
.LBB6_55:
	s_delay_alu instid0(SALU_CYCLE_1)
	s_or_b32 exec_lo, exec_lo, s0
	s_mov_b32 s0, 0
	global_store_b8 v[0:1], v8, off
.LBB6_56:
	s_and_b32 vcc_lo, exec_lo, s0
	s_cbranch_vccz .LBB6_66
; %bb.57:
	v_cndmask_b32_e64 v7, 0, 1.0, s9
	s_mov_b32 s0, exec_lo
                                        ; implicit-def: $vgpr6
	s_delay_alu instid0(VALU_DEP_1)
	v_cmpx_gt_u32_e32 0x43f00000, v7
	s_xor_b32 s0, exec_lo, s0
	s_cbranch_execz .LBB6_63
; %bb.58:
	s_mov_b32 s11, exec_lo
                                        ; implicit-def: $vgpr6
	v_cmpx_lt_u32_e32 0x3c7fffff, v7
	s_xor_b32 s11, exec_lo, s11
; %bb.59:
	v_bfe_u32 v6, v7, 20, 1
	s_delay_alu instid0(VALU_DEP_1) | instskip(NEXT) | instid1(VALU_DEP_1)
	v_add3_u32 v6, v7, v6, 0x407ffff
	v_and_b32_e32 v7, 0xff00000, v6
	v_lshrrev_b32_e32 v6, 20, v6
	s_delay_alu instid0(VALU_DEP_2) | instskip(NEXT) | instid1(VALU_DEP_2)
	v_cmp_ne_u32_e32 vcc_lo, 0x7f00000, v7
                                        ; implicit-def: $vgpr7
	v_cndmask_b32_e32 v6, 0x7e, v6, vcc_lo
; %bb.60:
	s_and_not1_saveexec_b32 s11, s11
; %bb.61:
	v_add_f32_e32 v6, 0x46800000, v7
; %bb.62:
	s_or_b32 exec_lo, exec_lo, s11
                                        ; implicit-def: $vgpr7
.LBB6_63:
	s_and_not1_saveexec_b32 s0, s0
; %bb.64:
	v_mov_b32_e32 v6, 0x7f
	v_cmp_lt_u32_e32 vcc_lo, 0x7f800000, v7
	s_delay_alu instid0(VALU_DEP_2)
	v_cndmask_b32_e32 v6, 0x7e, v6, vcc_lo
; %bb.65:
	s_or_b32 exec_lo, exec_lo, s0
	global_store_b8 v[0:1], v6, off
.LBB6_66:
	s_mov_b32 s0, 0
.LBB6_67:
	s_delay_alu instid0(SALU_CYCLE_1)
	s_and_not1_b32 vcc_lo, exec_lo, s0
	s_cbranch_vccnz .LBB6_77
; %bb.68:
	v_cndmask_b32_e64 v7, 0, 1.0, s9
	s_mov_b32 s0, exec_lo
                                        ; implicit-def: $vgpr6
	s_delay_alu instid0(VALU_DEP_1)
	v_cmpx_gt_u32_e32 0x47800000, v7
	s_xor_b32 s0, exec_lo, s0
	s_cbranch_execz .LBB6_74
; %bb.69:
	s_mov_b32 s11, exec_lo
                                        ; implicit-def: $vgpr6
	v_cmpx_lt_u32_e32 0x387fffff, v7
	s_xor_b32 s11, exec_lo, s11
; %bb.70:
	v_bfe_u32 v6, v7, 21, 1
	s_delay_alu instid0(VALU_DEP_1) | instskip(NEXT) | instid1(VALU_DEP_1)
	v_add3_u32 v6, v7, v6, 0x80fffff
                                        ; implicit-def: $vgpr7
	v_lshrrev_b32_e32 v6, 21, v6
; %bb.71:
	s_and_not1_saveexec_b32 s11, s11
; %bb.72:
	v_add_f32_e32 v6, 0x43000000, v7
; %bb.73:
	s_or_b32 exec_lo, exec_lo, s11
                                        ; implicit-def: $vgpr7
.LBB6_74:
	s_and_not1_saveexec_b32 s0, s0
; %bb.75:
	v_mov_b32_e32 v6, 0x7f
	v_cmp_lt_u32_e32 vcc_lo, 0x7f800000, v7
	s_delay_alu instid0(VALU_DEP_2)
	v_cndmask_b32_e32 v6, 0x7c, v6, vcc_lo
; %bb.76:
	s_or_b32 exec_lo, exec_lo, s0
	global_store_b8 v[0:1], v6, off
.LBB6_77:
	s_mov_b32 s11, 0
	s_mov_b32 s0, -1
.LBB6_78:
	s_and_not1_b32 vcc_lo, exec_lo, s11
	s_cbranch_vccnz .LBB6_86
; %bb.79:
	v_cmp_lt_i16_e32 vcc_lo, 14, v5
	s_mov_b32 s11, -1
	s_cbranch_vccz .LBB6_83
; %bb.80:
	v_cmp_eq_u16_e32 vcc_lo, 15, v5
	s_mov_b32 s14, -1
	s_cbranch_vccz .LBB6_82
; %bb.81:
	v_cndmask_b32_e64 v6, 0, 1.0, s9
	s_mov_b32 s0, -1
	s_mov_b32 s14, 0
	s_delay_alu instid0(VALU_DEP_1) | instskip(NEXT) | instid1(VALU_DEP_1)
	v_bfe_u32 v7, v6, 16, 1
	v_add3_u32 v6, v6, v7, 0x7fff
	global_store_d16_hi_b16 v[0:1], v6, off
.LBB6_82:
	s_mov_b32 s11, 0
.LBB6_83:
	s_delay_alu instid0(SALU_CYCLE_1)
	s_and_b32 vcc_lo, exec_lo, s11
	s_cbranch_vccz .LBB6_86
; %bb.84:
	v_cmp_eq_u16_e32 vcc_lo, 11, v5
	s_mov_b32 s14, -1
	s_cbranch_vccz .LBB6_86
; %bb.85:
	v_cndmask_b32_e64 v6, 0, 1, s9
	s_mov_b32 s0, -1
	s_mov_b32 s14, 0
	global_store_b8 v[0:1], v6, off
.LBB6_86:
.LBB6_87:
	s_and_not1_b32 vcc_lo, exec_lo, s0
	s_mov_b32 s11, 0
	s_cbranch_vccnz .LBB6_244
	s_branch .LBB6_127
.LBB6_88:
	s_and_b32 vcc_lo, exec_lo, s11
	s_cbranch_vccz .LBB6_87
; %bb.89:
	v_cmp_gt_i16_e32 vcc_lo, 5, v5
	s_mov_b32 s0, -1
	s_cbranch_vccnz .LBB6_110
; %bb.90:
	v_cmp_gt_i16_e32 vcc_lo, 8, v5
	s_cbranch_vccnz .LBB6_100
; %bb.91:
	v_cmp_gt_i16_e32 vcc_lo, 9, v5
	s_cbranch_vccnz .LBB6_97
; %bb.92:
	v_cmp_lt_i16_e32 vcc_lo, 9, v5
	s_cbranch_vccz .LBB6_94
; %bb.93:
	v_cndmask_b32_e64 v6, 0, 1, s9
	v_mov_b32_e32 v8, 0
	s_mov_b32 s0, 0
	s_delay_alu instid0(VALU_DEP_2) | instskip(NEXT) | instid1(VALU_DEP_2)
	v_cvt_f64_u32_e32 v[6:7], v6
	v_mov_b32_e32 v9, v8
	global_store_b128 v[0:1], v[6:9], off
.LBB6_94:
	s_and_not1_b32 vcc_lo, exec_lo, s0
	s_cbranch_vccnz .LBB6_96
; %bb.95:
	v_cndmask_b32_e64 v6, 0, 1.0, s9
	v_mov_b32_e32 v7, 0
	global_store_b64 v[0:1], v[6:7], off
.LBB6_96:
	s_mov_b32 s0, 0
.LBB6_97:
	s_delay_alu instid0(SALU_CYCLE_1)
	s_and_not1_b32 vcc_lo, exec_lo, s0
	s_cbranch_vccnz .LBB6_99
; %bb.98:
	v_cndmask_b32_e64 v6, 0, 1.0, s9
	s_delay_alu instid0(VALU_DEP_1) | instskip(NEXT) | instid1(VALU_DEP_1)
	v_cvt_f16_f32_e32 v6, v6
	v_and_b32_e32 v6, 0xffff, v6
	global_store_b32 v[0:1], v6, off
.LBB6_99:
	s_mov_b32 s0, 0
.LBB6_100:
	s_delay_alu instid0(SALU_CYCLE_1)
	s_and_not1_b32 vcc_lo, exec_lo, s0
	s_cbranch_vccnz .LBB6_109
; %bb.101:
	v_cmp_gt_i16_e32 vcc_lo, 6, v5
	s_mov_b32 s0, -1
	s_cbranch_vccnz .LBB6_107
; %bb.102:
	v_cmp_lt_i16_e32 vcc_lo, 6, v5
	s_cbranch_vccz .LBB6_104
; %bb.103:
	v_cndmask_b32_e64 v6, 0, 1, s9
	s_mov_b32 s0, 0
	s_delay_alu instid0(VALU_DEP_1)
	v_cvt_f64_u32_e32 v[6:7], v6
	global_store_b64 v[0:1], v[6:7], off
.LBB6_104:
	s_and_not1_b32 vcc_lo, exec_lo, s0
	s_cbranch_vccnz .LBB6_106
; %bb.105:
	v_cndmask_b32_e64 v6, 0, 1.0, s9
	global_store_b32 v[0:1], v6, off
.LBB6_106:
	s_mov_b32 s0, 0
.LBB6_107:
	s_delay_alu instid0(SALU_CYCLE_1)
	s_and_not1_b32 vcc_lo, exec_lo, s0
	s_cbranch_vccnz .LBB6_109
; %bb.108:
	v_cndmask_b32_e64 v6, 0, 1.0, s9
	s_delay_alu instid0(VALU_DEP_1)
	v_cvt_f16_f32_e32 v6, v6
	global_store_b16 v[0:1], v6, off
.LBB6_109:
	s_mov_b32 s0, 0
.LBB6_110:
	s_delay_alu instid0(SALU_CYCLE_1)
	s_and_not1_b32 vcc_lo, exec_lo, s0
	s_cbranch_vccnz .LBB6_126
; %bb.111:
	v_cmp_gt_i16_e32 vcc_lo, 2, v5
	s_mov_b32 s0, -1
	s_cbranch_vccnz .LBB6_121
; %bb.112:
	v_cmp_gt_i16_e32 vcc_lo, 3, v5
	s_cbranch_vccnz .LBB6_118
; %bb.113:
	v_cmp_lt_i16_e32 vcc_lo, 3, v5
	s_cbranch_vccz .LBB6_115
; %bb.114:
	s_mov_b32 s0, 0
	v_cndmask_b32_e64 v6, 0, 1, s9
	v_mov_b32_e32 v7, s0
	global_store_b64 v[0:1], v[6:7], off
.LBB6_115:
	s_and_not1_b32 vcc_lo, exec_lo, s0
	s_cbranch_vccnz .LBB6_117
; %bb.116:
	v_cndmask_b32_e64 v6, 0, 1, s9
	global_store_b32 v[0:1], v6, off
.LBB6_117:
	s_mov_b32 s0, 0
.LBB6_118:
	s_delay_alu instid0(SALU_CYCLE_1)
	s_and_not1_b32 vcc_lo, exec_lo, s0
	s_cbranch_vccnz .LBB6_120
; %bb.119:
	v_cndmask_b32_e64 v6, 0, 1, s9
	global_store_b16 v[0:1], v6, off
.LBB6_120:
	s_mov_b32 s0, 0
.LBB6_121:
	s_delay_alu instid0(SALU_CYCLE_1)
	s_and_not1_b32 vcc_lo, exec_lo, s0
	s_cbranch_vccnz .LBB6_126
; %bb.122:
	v_cmp_lt_i16_e32 vcc_lo, 0, v5
	v_cndmask_b32_e64 v5, 0, 1, s9
	s_mov_b32 s0, -1
	s_cbranch_vccz .LBB6_124
; %bb.123:
	s_mov_b32 s0, 0
	global_store_b8 v[0:1], v5, off
.LBB6_124:
	s_and_not1_b32 vcc_lo, exec_lo, s0
	s_cbranch_vccnz .LBB6_126
; %bb.125:
	global_store_b8 v[0:1], v5, off
.LBB6_126:
	s_mov_b32 s11, 0
.LBB6_127:
	v_add_nc_u32_e32 v3, 0x80, v3
	s_mov_b32 s0, -1
	s_branch .LBB6_245
.LBB6_128:
	s_mov_b32 s0, 0
                                        ; implicit-def: $sgpr9
	s_cbranch_execnz .LBB6_161
	s_branch .LBB6_195
.LBB6_129:
	s_mov_b32 s14, -1
	s_mov_b32 s0, 0
                                        ; implicit-def: $sgpr9
	s_branch .LBB6_142
.LBB6_130:
	s_mov_b32 s14, -1
	s_mov_b32 s0, 0
                                        ; implicit-def: $sgpr9
	s_branch .LBB6_137
.LBB6_131:
	s_mov_b32 s14, -1
	s_branch .LBB6_133
.LBB6_132:
	s_mov_b32 s11, -1
.LBB6_133:
	s_mov_b32 s0, 0
                                        ; implicit-def: $sgpr9
.LBB6_134:
	s_and_b32 vcc_lo, exec_lo, s14
	s_cbranch_vccz .LBB6_136
; %bb.135:
	v_cmp_eq_u16_e64 s0, 44, v4
	s_mov_b32 s11, -1
	s_or_b32 s9, s9, exec_lo
.LBB6_136:
	s_mov_b32 s14, 0
.LBB6_137:
	s_delay_alu instid0(SALU_CYCLE_1)
	s_and_b32 vcc_lo, exec_lo, s14
	s_cbranch_vccz .LBB6_141
; %bb.138:
	v_cmp_eq_u16_e32 vcc_lo, 29, v4
	s_cbranch_vccz .LBB6_140
; %bb.139:
	global_load_b64 v[5:6], v[0:1], off
	s_mov_b32 s0, -1
	s_mov_b32 s11, 0
	s_mov_b32 s14, 0
	s_waitcnt vmcnt(0)
	v_cmp_ne_u64_e32 vcc_lo, 0, v[5:6]
	s_and_b32 s9, vcc_lo, exec_lo
	s_branch .LBB6_142
.LBB6_140:
	s_mov_b32 s11, -1
                                        ; implicit-def: $sgpr9
.LBB6_141:
	s_mov_b32 s14, 0
.LBB6_142:
	s_delay_alu instid0(SALU_CYCLE_1)
	s_and_b32 vcc_lo, exec_lo, s14
	s_cbranch_vccz .LBB6_160
; %bb.143:
	v_cmp_gt_i16_e32 vcc_lo, 27, v4
	s_cbranch_vccnz .LBB6_146
; %bb.144:
	v_cmp_lt_i16_e32 vcc_lo, 27, v4
	s_cbranch_vccz .LBB6_147
; %bb.145:
	global_load_b32 v5, v[0:1], off
	s_mov_b32 s0, 0
	s_waitcnt vmcnt(0)
	v_cmp_ne_u32_e32 vcc_lo, 0, v5
	s_and_b32 s9, vcc_lo, exec_lo
	s_branch .LBB6_148
.LBB6_146:
	s_mov_b32 s0, -1
                                        ; implicit-def: $sgpr9
	s_branch .LBB6_151
.LBB6_147:
	s_mov_b32 s0, -1
                                        ; implicit-def: $sgpr9
.LBB6_148:
	s_delay_alu instid0(SALU_CYCLE_1)
	s_and_not1_b32 vcc_lo, exec_lo, s0
	s_cbranch_vccnz .LBB6_150
; %bb.149:
	global_load_u16 v5, v[0:1], off
	s_and_not1_b32 s0, s9, exec_lo
	s_waitcnt vmcnt(0)
	v_cmp_ne_u16_e32 vcc_lo, 0, v5
	s_and_b32 s9, vcc_lo, exec_lo
	s_delay_alu instid0(SALU_CYCLE_1)
	s_or_b32 s9, s0, s9
.LBB6_150:
	s_mov_b32 s0, 0
.LBB6_151:
	s_delay_alu instid0(SALU_CYCLE_1)
	s_and_not1_b32 vcc_lo, exec_lo, s0
	s_cbranch_vccnz .LBB6_159
; %bb.152:
	global_load_u8 v5, v[0:1], off
	s_mov_b32 s0, 0
	s_mov_b32 s14, exec_lo
                                        ; implicit-def: $sgpr9
	s_waitcnt vmcnt(0)
	v_cmpx_lt_i16_e32 0x7f, v5
	s_xor_b32 s14, exec_lo, s14
	s_cbranch_execz .LBB6_172
; %bb.153:
	s_mov_b32 s0, -1
	s_mov_b32 s15, exec_lo
                                        ; implicit-def: $sgpr9
	v_cmpx_eq_u16_e32 0x80, v5
; %bb.154:
	s_mov_b32 s9, -1
	s_xor_b32 s0, exec_lo, -1
; %bb.155:
	s_or_b32 exec_lo, exec_lo, s15
	s_delay_alu instid0(SALU_CYCLE_1)
	s_and_b32 s0, s0, exec_lo
	s_and_not1_saveexec_b32 s14, s14
	s_cbranch_execnz .LBB6_173
.LBB6_156:
	s_or_b32 exec_lo, exec_lo, s14
	s_and_saveexec_b32 s14, s0
	s_cbranch_execz .LBB6_158
.LBB6_157:
	v_and_b32_e32 v5, 0xffff, v5
	s_and_not1_b32 s0, s9, exec_lo
	s_delay_alu instid0(VALU_DEP_1) | instskip(NEXT) | instid1(VALU_DEP_1)
	v_and_b32_e32 v6, 7, v5
	v_clz_i32_u32_e32 v7, v6
	s_delay_alu instid0(VALU_DEP_1) | instskip(NEXT) | instid1(VALU_DEP_1)
	v_min_u32_e32 v7, 32, v7
	v_subrev_nc_u32_e32 v8, 28, v7
	v_sub_nc_u32_e32 v7, 29, v7
	s_delay_alu instid0(VALU_DEP_2) | instskip(SKIP_1) | instid1(VALU_DEP_2)
	v_lshlrev_b32_e32 v8, v8, v5
	v_bfe_u32 v5, v5, 3, 4
	v_and_b32_e32 v8, 7, v8
	s_delay_alu instid0(VALU_DEP_2) | instskip(NEXT) | instid1(VALU_DEP_2)
	v_cmp_eq_u32_e32 vcc_lo, 0, v5
	v_dual_cndmask_b32 v5, v5, v7 :: v_dual_cndmask_b32 v6, v6, v8
	s_delay_alu instid0(VALU_DEP_1) | instskip(NEXT) | instid1(VALU_DEP_2)
	v_lshl_add_u32 v5, v5, 23, 0x3b800000
	v_lshlrev_b32_e32 v6, 20, v6
	s_delay_alu instid0(VALU_DEP_1) | instskip(NEXT) | instid1(VALU_DEP_1)
	v_and_or_b32 v5, 0x7f800000, v5, v6
	v_cmp_ne_u32_e32 vcc_lo, 0, v5
	s_and_b32 s9, vcc_lo, exec_lo
	s_delay_alu instid0(SALU_CYCLE_1)
	s_or_b32 s9, s0, s9
.LBB6_158:
	s_or_b32 exec_lo, exec_lo, s14
.LBB6_159:
	s_mov_b32 s0, -1
.LBB6_160:
	s_branch .LBB6_195
.LBB6_161:
	v_cmp_lt_i16_e32 vcc_lo, 22, v4
	s_cbranch_vccz .LBB6_171
; %bb.162:
	v_cmp_gt_i16_e32 vcc_lo, 24, v4
	s_cbranch_vccnz .LBB6_174
; %bb.163:
	v_cmp_lt_i16_e32 vcc_lo, 24, v4
	s_cbranch_vccz .LBB6_175
; %bb.164:
	global_load_u8 v5, v[0:1], off
	s_mov_b32 s0, 0
	s_mov_b32 s14, exec_lo
                                        ; implicit-def: $sgpr9
	s_waitcnt vmcnt(0)
	v_cmpx_lt_i16_e32 0x7f, v5
	s_xor_b32 s14, exec_lo, s14
	s_cbranch_execz .LBB6_187
; %bb.165:
	s_mov_b32 s0, -1
	s_mov_b32 s15, exec_lo
                                        ; implicit-def: $sgpr9
	v_cmpx_eq_u16_e32 0x80, v5
; %bb.166:
	s_mov_b32 s9, -1
	s_xor_b32 s0, exec_lo, -1
; %bb.167:
	s_or_b32 exec_lo, exec_lo, s15
	s_delay_alu instid0(SALU_CYCLE_1)
	s_and_b32 s0, s0, exec_lo
	s_and_not1_saveexec_b32 s14, s14
	s_cbranch_execnz .LBB6_188
.LBB6_168:
	s_or_b32 exec_lo, exec_lo, s14
	s_and_saveexec_b32 s14, s0
	s_cbranch_execz .LBB6_170
.LBB6_169:
	v_and_b32_e32 v5, 0xffff, v5
	s_and_not1_b32 s0, s9, exec_lo
	s_delay_alu instid0(VALU_DEP_1) | instskip(NEXT) | instid1(VALU_DEP_1)
	v_and_b32_e32 v6, 3, v5
	v_clz_i32_u32_e32 v7, v6
	s_delay_alu instid0(VALU_DEP_1) | instskip(NEXT) | instid1(VALU_DEP_1)
	v_min_u32_e32 v7, 32, v7
	v_subrev_nc_u32_e32 v8, 29, v7
	v_sub_nc_u32_e32 v7, 30, v7
	s_delay_alu instid0(VALU_DEP_2) | instskip(SKIP_1) | instid1(VALU_DEP_2)
	v_lshlrev_b32_e32 v8, v8, v5
	v_bfe_u32 v5, v5, 2, 5
	v_and_b32_e32 v8, 3, v8
	s_delay_alu instid0(VALU_DEP_2) | instskip(NEXT) | instid1(VALU_DEP_2)
	v_cmp_eq_u32_e32 vcc_lo, 0, v5
	v_dual_cndmask_b32 v5, v5, v7 :: v_dual_cndmask_b32 v6, v6, v8
	s_delay_alu instid0(VALU_DEP_1) | instskip(NEXT) | instid1(VALU_DEP_2)
	v_lshl_add_u32 v5, v5, 23, 0x37800000
	v_lshlrev_b32_e32 v6, 21, v6
	s_delay_alu instid0(VALU_DEP_1) | instskip(NEXT) | instid1(VALU_DEP_1)
	v_and_or_b32 v5, 0x7f800000, v5, v6
	v_cmp_ne_u32_e32 vcc_lo, 0, v5
	s_and_b32 s9, vcc_lo, exec_lo
	s_delay_alu instid0(SALU_CYCLE_1)
	s_or_b32 s9, s0, s9
.LBB6_170:
	s_or_b32 exec_lo, exec_lo, s14
	s_mov_b32 s0, 0
	s_branch .LBB6_176
.LBB6_171:
	s_mov_b32 s14, -1
                                        ; implicit-def: $sgpr9
	s_branch .LBB6_182
.LBB6_172:
	s_and_not1_saveexec_b32 s14, s14
	s_cbranch_execz .LBB6_156
.LBB6_173:
	v_cmp_ne_u16_e32 vcc_lo, 0, v5
	s_and_not1_b32 s0, s0, exec_lo
	s_and_not1_b32 s9, s9, exec_lo
	s_and_b32 s15, vcc_lo, exec_lo
	s_delay_alu instid0(SALU_CYCLE_1)
	s_or_b32 s0, s0, s15
	s_or_b32 exec_lo, exec_lo, s14
	s_and_saveexec_b32 s14, s0
	s_cbranch_execnz .LBB6_157
	s_branch .LBB6_158
.LBB6_174:
	s_mov_b32 s0, -1
                                        ; implicit-def: $sgpr9
	s_branch .LBB6_179
.LBB6_175:
	s_mov_b32 s0, -1
                                        ; implicit-def: $sgpr9
.LBB6_176:
	s_delay_alu instid0(SALU_CYCLE_1)
	s_and_b32 vcc_lo, exec_lo, s0
	s_cbranch_vccz .LBB6_178
; %bb.177:
	global_load_u8 v5, v[0:1], off
	s_and_not1_b32 s9, s9, exec_lo
	s_waitcnt vmcnt(0)
	v_lshlrev_b32_e32 v5, 24, v5
	s_delay_alu instid0(VALU_DEP_1) | instskip(NEXT) | instid1(VALU_DEP_1)
	v_and_b32_e32 v5, 0x7f000000, v5
	v_clz_i32_u32_e32 v6, v5
	v_add_nc_u32_e32 v8, 0x1000000, v5
	v_cmp_ne_u32_e32 vcc_lo, 0, v5
	s_delay_alu instid0(VALU_DEP_3) | instskip(NEXT) | instid1(VALU_DEP_3)
	v_min_u32_e32 v6, 32, v6
	v_ashrrev_i32_e32 v8, 8, v8
	s_delay_alu instid0(VALU_DEP_2) | instskip(NEXT) | instid1(VALU_DEP_1)
	v_sub_nc_u32_e64 v6, v6, 4 clamp
	v_lshlrev_b32_e32 v7, v6, v5
	v_lshlrev_b32_e32 v6, 23, v6
	s_delay_alu instid0(VALU_DEP_2) | instskip(NEXT) | instid1(VALU_DEP_1)
	v_lshrrev_b32_e32 v7, 4, v7
	v_sub_nc_u32_e32 v6, v7, v6
	v_and_b32_e32 v7, 0x7f800000, v8
	s_delay_alu instid0(VALU_DEP_2) | instskip(NEXT) | instid1(VALU_DEP_1)
	v_add_nc_u32_e32 v6, 0x3c000000, v6
	v_and_or_b32 v6, 0x7ff00000, v6, v7
	s_delay_alu instid0(VALU_DEP_1) | instskip(NEXT) | instid1(VALU_DEP_1)
	v_cmp_ne_u32_e64 s0, 0, v6
	s_and_b32 s0, vcc_lo, s0
	s_delay_alu instid0(SALU_CYCLE_1) | instskip(NEXT) | instid1(SALU_CYCLE_1)
	s_and_b32 s0, s0, exec_lo
	s_or_b32 s9, s9, s0
.LBB6_178:
	s_mov_b32 s0, 0
.LBB6_179:
	s_delay_alu instid0(SALU_CYCLE_1)
	s_and_not1_b32 vcc_lo, exec_lo, s0
	s_cbranch_vccnz .LBB6_181
; %bb.180:
	global_load_u8 v5, v[0:1], off
	s_and_not1_b32 s0, s9, exec_lo
	s_waitcnt vmcnt(0)
	v_lshlrev_b32_e32 v6, 25, v5
	v_lshlrev_b32_e32 v5, 8, v5
	s_delay_alu instid0(VALU_DEP_2) | instskip(NEXT) | instid1(VALU_DEP_2)
	v_lshrrev_b32_e32 v7, 4, v6
	v_and_or_b32 v5, 0x7f00, v5, 0.5
	s_delay_alu instid0(VALU_DEP_2) | instskip(NEXT) | instid1(VALU_DEP_2)
	v_or_b32_e32 v7, 0x70000000, v7
	v_add_f32_e32 v5, -0.5, v5
	s_delay_alu instid0(VALU_DEP_2) | instskip(SKIP_1) | instid1(VALU_DEP_2)
	v_mul_f32_e32 v7, 0x7800000, v7
	v_cmp_gt_u32_e32 vcc_lo, 0x8000000, v6
	v_cndmask_b32_e32 v5, v7, v5, vcc_lo
	s_delay_alu instid0(VALU_DEP_1) | instskip(SKIP_1) | instid1(SALU_CYCLE_1)
	v_cmp_neq_f32_e32 vcc_lo, 0, v5
	s_and_b32 s9, vcc_lo, exec_lo
	s_or_b32 s9, s0, s9
.LBB6_181:
	s_mov_b32 s14, 0
	s_mov_b32 s0, -1
.LBB6_182:
	s_and_not1_b32 vcc_lo, exec_lo, s14
	s_cbranch_vccnz .LBB6_195
; %bb.183:
	v_cmp_lt_i16_e32 vcc_lo, 14, v4
	s_cbranch_vccz .LBB6_186
; %bb.184:
	v_cmp_eq_u16_e32 vcc_lo, 15, v4
	s_cbranch_vccz .LBB6_189
; %bb.185:
	global_load_u16 v5, v[0:1], off
	s_mov_b32 s11, 0
	s_mov_b32 s0, -1
	s_waitcnt vmcnt(0)
	v_and_b32_e32 v5, 0x7fff, v5
	s_delay_alu instid0(VALU_DEP_1)
	v_cmp_ne_u16_e32 vcc_lo, 0, v5
	s_and_b32 s9, vcc_lo, exec_lo
	s_branch .LBB6_190
.LBB6_186:
	s_mov_b32 s14, -1
                                        ; implicit-def: $sgpr9
	s_branch .LBB6_191
.LBB6_187:
	s_and_not1_saveexec_b32 s14, s14
	s_cbranch_execz .LBB6_168
.LBB6_188:
	v_cmp_ne_u16_e32 vcc_lo, 0, v5
	s_and_not1_b32 s0, s0, exec_lo
	s_and_not1_b32 s9, s9, exec_lo
	s_and_b32 s15, vcc_lo, exec_lo
	s_delay_alu instid0(SALU_CYCLE_1)
	s_or_b32 s0, s0, s15
	s_or_b32 exec_lo, exec_lo, s14
	s_and_saveexec_b32 s14, s0
	s_cbranch_execnz .LBB6_169
	s_branch .LBB6_170
.LBB6_189:
	s_mov_b32 s11, -1
                                        ; implicit-def: $sgpr9
.LBB6_190:
	s_mov_b32 s14, 0
.LBB6_191:
	s_delay_alu instid0(SALU_CYCLE_1)
	s_and_b32 vcc_lo, exec_lo, s14
	s_cbranch_vccz .LBB6_195
; %bb.192:
	v_cmp_eq_u16_e32 vcc_lo, 11, v4
	s_cbranch_vccz .LBB6_194
; %bb.193:
	global_load_u8 v5, v[0:1], off
	s_mov_b32 s11, 0
	s_mov_b32 s0, -1
	s_waitcnt vmcnt(0)
	v_cmp_ne_u16_e32 vcc_lo, 0, v5
	s_and_b32 s9, vcc_lo, exec_lo
	s_branch .LBB6_195
.LBB6_194:
	s_mov_b32 s11, -1
                                        ; implicit-def: $sgpr9
.LBB6_195:
	s_branch .LBB6_10
.LBB6_196:
	v_cmp_gt_i16_e32 vcc_lo, 5, v4
	s_cbranch_vccnz .LBB6_201
; %bb.197:
	v_cmp_gt_i16_e32 vcc_lo, 8, v4
	s_cbranch_vccnz .LBB6_202
; %bb.198:
	v_cmp_gt_i16_e32 vcc_lo, 9, v4
	s_cbranch_vccnz .LBB6_203
; %bb.199:
	v_cmp_lt_i16_e32 vcc_lo, 9, v4
	s_cbranch_vccz .LBB6_204
; %bb.200:
	global_load_b128 v[5:8], v[0:1], off
	s_waitcnt vmcnt(0)
	v_cmp_neq_f64_e32 vcc_lo, 0, v[5:6]
	v_cmp_neq_f64_e64 s0, 0, v[7:8]
	s_delay_alu instid0(VALU_DEP_1)
	s_or_b32 s9, vcc_lo, s0
	s_mov_b32 s0, 0
	s_and_b32 s9, s9, exec_lo
	s_branch .LBB6_205
.LBB6_201:
                                        ; implicit-def: $sgpr9
	s_branch .LBB6_223
.LBB6_202:
	s_mov_b32 s0, -1
                                        ; implicit-def: $sgpr9
	s_branch .LBB6_211
.LBB6_203:
	s_mov_b32 s0, -1
                                        ; implicit-def: $sgpr9
	s_branch .LBB6_208
.LBB6_204:
	s_mov_b32 s0, -1
                                        ; implicit-def: $sgpr9
.LBB6_205:
	s_delay_alu instid0(SALU_CYCLE_1)
	s_and_not1_b32 vcc_lo, exec_lo, s0
	s_cbranch_vccnz .LBB6_207
; %bb.206:
	global_load_b64 v[5:6], v[0:1], off
	s_and_not1_b32 s0, s9, exec_lo
	s_waitcnt vmcnt(0)
	v_or_b32_e32 v5, v5, v6
	s_delay_alu instid0(VALU_DEP_1) | instskip(NEXT) | instid1(VALU_DEP_1)
	v_and_b32_e32 v5, 0x7fffffff, v5
	v_cmp_ne_u32_e32 vcc_lo, 0, v5
	s_and_b32 s9, vcc_lo, exec_lo
	s_delay_alu instid0(SALU_CYCLE_1)
	s_or_b32 s9, s0, s9
.LBB6_207:
	s_mov_b32 s0, 0
.LBB6_208:
	s_delay_alu instid0(SALU_CYCLE_1)
	s_and_not1_b32 vcc_lo, exec_lo, s0
	s_cbranch_vccnz .LBB6_210
; %bb.209:
	global_load_b32 v5, v[0:1], off
	s_and_not1_b32 s0, s9, exec_lo
	s_waitcnt vmcnt(0)
	v_and_b32_e32 v5, 0x7fff7fff, v5
	s_delay_alu instid0(VALU_DEP_1) | instskip(SKIP_1) | instid1(SALU_CYCLE_1)
	v_cmp_ne_u32_e32 vcc_lo, 0, v5
	s_and_b32 s9, vcc_lo, exec_lo
	s_or_b32 s9, s0, s9
.LBB6_210:
	s_mov_b32 s0, 0
.LBB6_211:
	s_delay_alu instid0(SALU_CYCLE_1)
	s_and_not1_b32 vcc_lo, exec_lo, s0
	s_cbranch_vccnz .LBB6_222
; %bb.212:
	v_cmp_gt_i16_e32 vcc_lo, 6, v4
	s_cbranch_vccnz .LBB6_215
; %bb.213:
	v_cmp_lt_i16_e32 vcc_lo, 6, v4
	s_cbranch_vccz .LBB6_216
; %bb.214:
	global_load_b64 v[5:6], v[0:1], off
	s_mov_b32 s0, 0
	s_waitcnt vmcnt(0)
	v_cmp_neq_f64_e32 vcc_lo, 0, v[5:6]
	s_and_b32 s9, vcc_lo, exec_lo
	s_branch .LBB6_217
.LBB6_215:
	s_mov_b32 s0, -1
                                        ; implicit-def: $sgpr9
	s_branch .LBB6_220
.LBB6_216:
	s_mov_b32 s0, -1
                                        ; implicit-def: $sgpr9
.LBB6_217:
	s_delay_alu instid0(SALU_CYCLE_1)
	s_and_not1_b32 vcc_lo, exec_lo, s0
	s_cbranch_vccnz .LBB6_219
; %bb.218:
	global_load_b32 v5, v[0:1], off
	s_and_not1_b32 s0, s9, exec_lo
	s_waitcnt vmcnt(0)
	v_cmp_neq_f32_e32 vcc_lo, 0, v5
	s_and_b32 s9, vcc_lo, exec_lo
	s_delay_alu instid0(SALU_CYCLE_1)
	s_or_b32 s9, s0, s9
.LBB6_219:
	s_mov_b32 s0, 0
.LBB6_220:
	s_delay_alu instid0(SALU_CYCLE_1)
	s_and_not1_b32 vcc_lo, exec_lo, s0
	s_cbranch_vccnz .LBB6_222
; %bb.221:
	global_load_u16 v5, v[0:1], off
	s_and_not1_b32 s0, s9, exec_lo
	s_waitcnt vmcnt(0)
	v_and_b32_e32 v5, 0x7fff, v5
	s_delay_alu instid0(VALU_DEP_1) | instskip(SKIP_1) | instid1(SALU_CYCLE_1)
	v_cmp_ne_u16_e32 vcc_lo, 0, v5
	s_and_b32 s9, vcc_lo, exec_lo
	s_or_b32 s9, s0, s9
.LBB6_222:
	s_cbranch_execnz .LBB6_242
.LBB6_223:
	v_cmp_gt_i16_e32 vcc_lo, 2, v4
	s_cbranch_vccnz .LBB6_227
; %bb.224:
	v_cmp_gt_i16_e32 vcc_lo, 3, v4
	s_cbranch_vccnz .LBB6_228
; %bb.225:
	v_cmp_lt_i16_e32 vcc_lo, 3, v4
	s_cbranch_vccz .LBB6_229
; %bb.226:
	global_load_b64 v[5:6], v[0:1], off
	s_mov_b32 s0, 0
	s_waitcnt vmcnt(0)
	v_cmp_ne_u64_e32 vcc_lo, 0, v[5:6]
	s_and_b32 s9, vcc_lo, exec_lo
	s_branch .LBB6_230
.LBB6_227:
	s_mov_b32 s0, -1
                                        ; implicit-def: $sgpr9
	s_branch .LBB6_236
.LBB6_228:
	s_mov_b32 s0, -1
                                        ; implicit-def: $sgpr9
	s_branch .LBB6_233
.LBB6_229:
	s_mov_b32 s0, -1
                                        ; implicit-def: $sgpr9
.LBB6_230:
	s_delay_alu instid0(SALU_CYCLE_1)
	s_and_not1_b32 vcc_lo, exec_lo, s0
	s_cbranch_vccnz .LBB6_232
; %bb.231:
	global_load_b32 v5, v[0:1], off
	s_and_not1_b32 s0, s9, exec_lo
	s_waitcnt vmcnt(0)
	v_cmp_ne_u32_e32 vcc_lo, 0, v5
	s_and_b32 s9, vcc_lo, exec_lo
	s_delay_alu instid0(SALU_CYCLE_1)
	s_or_b32 s9, s0, s9
.LBB6_232:
	s_mov_b32 s0, 0
.LBB6_233:
	s_delay_alu instid0(SALU_CYCLE_1)
	s_and_not1_b32 vcc_lo, exec_lo, s0
	s_cbranch_vccnz .LBB6_235
; %bb.234:
	global_load_u16 v5, v[0:1], off
	s_and_not1_b32 s0, s9, exec_lo
	s_waitcnt vmcnt(0)
	v_cmp_ne_u16_e32 vcc_lo, 0, v5
	s_and_b32 s9, vcc_lo, exec_lo
	s_delay_alu instid0(SALU_CYCLE_1)
	s_or_b32 s9, s0, s9
.LBB6_235:
	s_mov_b32 s0, 0
.LBB6_236:
	s_delay_alu instid0(SALU_CYCLE_1)
	s_and_not1_b32 vcc_lo, exec_lo, s0
	s_cbranch_vccnz .LBB6_242
; %bb.237:
	v_cmp_lt_i16_e32 vcc_lo, 0, v4
	s_mov_b32 s0, 0
	s_cbranch_vccz .LBB6_239
; %bb.238:
	global_load_u8 v5, v[0:1], off
	s_waitcnt vmcnt(0)
	v_cmp_ne_u16_e32 vcc_lo, 0, v5
	s_and_b32 s9, vcc_lo, exec_lo
	s_branch .LBB6_240
.LBB6_239:
	s_mov_b32 s0, -1
                                        ; implicit-def: $sgpr9
.LBB6_240:
	s_delay_alu instid0(SALU_CYCLE_1)
	s_and_not1_b32 vcc_lo, exec_lo, s0
	s_cbranch_vccnz .LBB6_242
; %bb.241:
	global_load_u8 v0, v[0:1], off
	s_and_not1_b32 s0, s9, exec_lo
	s_waitcnt vmcnt(0)
	v_cmp_ne_u16_e32 vcc_lo, 0, v0
	s_and_b32 s9, vcc_lo, exec_lo
	s_delay_alu instid0(SALU_CYCLE_1)
	s_or_b32 s9, s0, s9
.LBB6_242:
	s_branch .LBB6_11
.LBB6_243:
	s_mov_b32 s14, 0
.LBB6_244:
	s_mov_b32 s0, 0
                                        ; implicit-def: $vgpr3
.LBB6_245:
	s_and_b32 s9, s14, exec_lo
	s_and_b32 s11, s11, exec_lo
	s_or_not1_b32 s16, s0, exec_lo
.LBB6_246:
	s_or_b32 exec_lo, exec_lo, s12
	s_mov_b32 s0, 0
	s_mov_b32 s15, 0
                                        ; implicit-def: $sgpr14
                                        ; implicit-def: $vgpr0_vgpr1
	s_and_saveexec_b32 s12, s16
	s_cbranch_execz .LBB6_846
; %bb.247:
	s_mov_b32 s17, -1
	s_mov_b32 s13, s11
	s_mov_b32 s14, s9
	s_mov_b32 s15, exec_lo
	v_cmpx_gt_i32_e64 s10, v3
	s_cbranch_execz .LBB6_503
; %bb.248:
	v_mul_lo_u32 v0, v3, s3
	v_cmp_gt_i16_e32 vcc_lo, 11, v4
	s_delay_alu instid0(VALU_DEP_2) | instskip(SKIP_1) | instid1(VALU_DEP_1)
	v_ashrrev_i32_e32 v1, 31, v0
	v_add_co_u32 v0, s0, s6, v0
	v_add_co_ci_u32_e64 v1, s0, s7, v1, s0
	s_cbranch_vccnz .LBB6_255
; %bb.249:
	v_cmp_lt_i16_e32 vcc_lo, 25, v4
	s_cbranch_vccz .LBB6_304
; %bb.250:
	v_cmp_lt_i16_e32 vcc_lo, 28, v4
	s_cbranch_vccz .LBB6_305
	;; [unrolled: 3-line block ×4, first 2 shown]
; %bb.253:
	v_cmp_eq_u16_e32 vcc_lo, 46, v4
	s_mov_b32 s16, 0
	s_cbranch_vccz .LBB6_315
; %bb.254:
	global_load_b32 v5, v[0:1], off
	s_mov_b32 s13, 0
	s_mov_b32 s0, -1
	s_waitcnt vmcnt(0)
	v_and_b32_e32 v5, 0x7fff7fff, v5
	s_delay_alu instid0(VALU_DEP_1)
	v_cmp_ne_u32_e32 vcc_lo, 0, v5
	s_and_b32 s14, vcc_lo, exec_lo
	s_branch .LBB6_317
.LBB6_255:
	s_mov_b32 s0, 0
	s_mov_b32 s13, s11
                                        ; implicit-def: $sgpr14
	s_cbranch_execnz .LBB6_380
.LBB6_256:
	s_and_not1_b32 vcc_lo, exec_lo, s0
	s_cbranch_vccnz .LBB6_428
.LBB6_257:
	v_mul_lo_u32 v0, v3, s2
	v_and_b32_e32 v5, 0xff, v2
	s_mov_b32 s16, -1
	s_xor_b32 s13, s14, -1
	s_mov_b32 s14, 0
	s_delay_alu instid0(VALU_DEP_1) | instskip(NEXT) | instid1(VALU_DEP_3)
	v_cmp_gt_i16_e32 vcc_lo, 11, v5
	v_ashrrev_i32_e32 v1, 31, v0
	v_add_co_u32 v0, s0, s4, v0
	s_delay_alu instid0(VALU_DEP_1)
	v_add_co_ci_u32_e64 v1, s0, s5, v1, s0
	s_mov_b32 s0, s9
	s_cbranch_vccnz .LBB6_264
; %bb.258:
	v_cmp_lt_i16_e32 vcc_lo, 25, v5
	s_cbranch_vccz .LBB6_306
; %bb.259:
	v_cmp_lt_i16_e32 vcc_lo, 28, v5
	s_cbranch_vccz .LBB6_308
	;; [unrolled: 3-line block ×4, first 2 shown]
; %bb.262:
	v_cmp_eq_u16_e32 vcc_lo, 46, v5
	s_mov_b32 s16, 0
	s_mov_b32 s0, -1
	s_cbranch_vccz .LBB6_431
; %bb.263:
	v_cndmask_b32_e64 v6, 0, 1.0, s13
	s_mov_b32 s14, -1
	s_mov_b32 s0, 0
	s_delay_alu instid0(VALU_DEP_1) | instskip(NEXT) | instid1(VALU_DEP_1)
	v_bfe_u32 v7, v6, 16, 1
	v_add3_u32 v6, v6, v7, 0x7fff
	s_delay_alu instid0(VALU_DEP_1)
	v_lshrrev_b32_e32 v6, 16, v6
	global_store_b32 v[0:1], v6, off
	s_branch .LBB6_431
.LBB6_264:
	s_and_b32 vcc_lo, exec_lo, s16
	s_cbranch_vccz .LBB6_500
; %bb.265:
	v_cmp_gt_i16_e32 vcc_lo, 5, v5
	s_mov_b32 s14, -1
	s_cbranch_vccnz .LBB6_286
; %bb.266:
	v_cmp_gt_i16_e32 vcc_lo, 8, v5
	s_cbranch_vccnz .LBB6_276
; %bb.267:
	v_cmp_gt_i16_e32 vcc_lo, 9, v5
	s_cbranch_vccnz .LBB6_273
; %bb.268:
	v_cmp_lt_i16_e32 vcc_lo, 9, v5
	s_cbranch_vccz .LBB6_270
; %bb.269:
	v_cndmask_b32_e64 v6, 0, 1, s13
	v_mov_b32_e32 v8, 0
	s_mov_b32 s14, 0
	s_delay_alu instid0(VALU_DEP_2) | instskip(NEXT) | instid1(VALU_DEP_2)
	v_cvt_f64_u32_e32 v[6:7], v6
	v_mov_b32_e32 v9, v8
	global_store_b128 v[0:1], v[6:9], off
.LBB6_270:
	s_and_not1_b32 vcc_lo, exec_lo, s14
	s_cbranch_vccnz .LBB6_272
; %bb.271:
	v_cndmask_b32_e64 v6, 0, 1.0, s13
	v_mov_b32_e32 v7, 0
	global_store_b64 v[0:1], v[6:7], off
.LBB6_272:
	s_mov_b32 s14, 0
.LBB6_273:
	s_delay_alu instid0(SALU_CYCLE_1)
	s_and_not1_b32 vcc_lo, exec_lo, s14
	s_cbranch_vccnz .LBB6_275
; %bb.274:
	v_cndmask_b32_e64 v6, 0, 1.0, s13
	s_delay_alu instid0(VALU_DEP_1) | instskip(NEXT) | instid1(VALU_DEP_1)
	v_cvt_f16_f32_e32 v6, v6
	v_and_b32_e32 v6, 0xffff, v6
	global_store_b32 v[0:1], v6, off
.LBB6_275:
	s_mov_b32 s14, 0
.LBB6_276:
	s_delay_alu instid0(SALU_CYCLE_1)
	s_and_not1_b32 vcc_lo, exec_lo, s14
	s_cbranch_vccnz .LBB6_285
; %bb.277:
	v_cmp_gt_i16_e32 vcc_lo, 6, v5
	s_mov_b32 s14, -1
	s_cbranch_vccnz .LBB6_283
; %bb.278:
	v_cmp_lt_i16_e32 vcc_lo, 6, v5
	s_cbranch_vccz .LBB6_280
; %bb.279:
	v_cndmask_b32_e64 v6, 0, 1, s13
	s_mov_b32 s14, 0
	s_delay_alu instid0(VALU_DEP_1)
	v_cvt_f64_u32_e32 v[6:7], v6
	global_store_b64 v[0:1], v[6:7], off
.LBB6_280:
	s_and_not1_b32 vcc_lo, exec_lo, s14
	s_cbranch_vccnz .LBB6_282
; %bb.281:
	v_cndmask_b32_e64 v6, 0, 1.0, s13
	global_store_b32 v[0:1], v6, off
.LBB6_282:
	s_mov_b32 s14, 0
.LBB6_283:
	s_delay_alu instid0(SALU_CYCLE_1)
	s_and_not1_b32 vcc_lo, exec_lo, s14
	s_cbranch_vccnz .LBB6_285
; %bb.284:
	v_cndmask_b32_e64 v6, 0, 1.0, s13
	s_delay_alu instid0(VALU_DEP_1)
	v_cvt_f16_f32_e32 v6, v6
	global_store_b16 v[0:1], v6, off
.LBB6_285:
	s_mov_b32 s14, 0
.LBB6_286:
	s_delay_alu instid0(SALU_CYCLE_1)
	s_and_not1_b32 vcc_lo, exec_lo, s14
	s_cbranch_vccnz .LBB6_302
; %bb.287:
	v_cmp_gt_i16_e32 vcc_lo, 2, v5
	s_mov_b32 s14, -1
	s_cbranch_vccnz .LBB6_297
; %bb.288:
	v_cmp_gt_i16_e32 vcc_lo, 3, v5
	s_cbranch_vccnz .LBB6_294
; %bb.289:
	v_cmp_lt_i16_e32 vcc_lo, 3, v5
	s_cbranch_vccz .LBB6_291
; %bb.290:
	s_mov_b32 s14, 0
	v_cndmask_b32_e64 v6, 0, 1, s13
	v_mov_b32_e32 v7, s14
	global_store_b64 v[0:1], v[6:7], off
.LBB6_291:
	s_and_not1_b32 vcc_lo, exec_lo, s14
	s_cbranch_vccnz .LBB6_293
; %bb.292:
	v_cndmask_b32_e64 v6, 0, 1, s13
	global_store_b32 v[0:1], v6, off
.LBB6_293:
	s_mov_b32 s14, 0
.LBB6_294:
	s_delay_alu instid0(SALU_CYCLE_1)
	s_and_not1_b32 vcc_lo, exec_lo, s14
	s_cbranch_vccnz .LBB6_296
; %bb.295:
	v_cndmask_b32_e64 v6, 0, 1, s13
	global_store_b16 v[0:1], v6, off
.LBB6_296:
	s_mov_b32 s14, 0
.LBB6_297:
	s_delay_alu instid0(SALU_CYCLE_1)
	s_and_not1_b32 vcc_lo, exec_lo, s14
	s_cbranch_vccnz .LBB6_302
; %bb.298:
	v_cmp_lt_i16_e32 vcc_lo, 0, v5
	s_mov_b32 s14, -1
	s_cbranch_vccz .LBB6_300
; %bb.299:
	v_cndmask_b32_e64 v5, 0, 1, s13
	s_mov_b32 s14, 0
	global_store_b8 v[0:1], v5, off
.LBB6_300:
	s_and_not1_b32 vcc_lo, exec_lo, s14
	s_cbranch_vccnz .LBB6_302
; %bb.301:
	v_cndmask_b32_e64 v5, 0, 1, s13
	global_store_b8 v[0:1], v5, off
.LBB6_302:
	s_mov_b32 s13, 0
	s_branch .LBB6_501
.LBB6_303:
	s_mov_b32 s16, 0
	s_branch .LBB6_429
.LBB6_304:
	s_mov_b32 s16, -1
	s_mov_b32 s0, 0
	s_mov_b32 s13, s11
                                        ; implicit-def: $sgpr14
	s_branch .LBB6_344
.LBB6_305:
	s_mov_b32 s16, -1
	s_mov_b32 s0, 0
	s_mov_b32 s13, s11
                                        ; implicit-def: $sgpr14
	s_branch .LBB6_325
.LBB6_306:
	s_mov_b32 s0, s9
	s_branch .LBB6_458
.LBB6_307:
	s_mov_b32 s16, -1
	s_mov_b32 s0, 0
	s_mov_b32 s13, s11
                                        ; implicit-def: $sgpr14
	s_branch .LBB6_320
.LBB6_308:
	s_mov_b32 s0, s9
	s_branch .LBB6_441
.LBB6_309:
	s_or_saveexec_b32 s15, s15
                                        ; implicit-def: $sgpr16
	s_delay_alu instid0(SALU_CYCLE_1)
	s_xor_b32 exec_lo, exec_lo, s15
	s_cbranch_execz .LBB6_39
.LBB6_310:
	v_add_f32_e32 v6, 0x46000000, v7
	s_and_not1_b32 s11, s11, exec_lo
	s_mov_b32 s16, 0
	s_delay_alu instid0(VALU_DEP_1) | instskip(NEXT) | instid1(VALU_DEP_1)
	v_and_b32_e32 v6, 0xff, v6
	v_cmp_ne_u32_e32 vcc_lo, 0, v6
	s_and_b32 s17, vcc_lo, exec_lo
	s_delay_alu instid0(SALU_CYCLE_1)
	s_or_b32 s11, s11, s17
	s_or_b32 exec_lo, exec_lo, s15
	v_mov_b32_e32 v8, s16
	s_and_saveexec_b32 s15, s11
	s_cbranch_execnz .LBB6_40
	s_branch .LBB6_41
.LBB6_311:
	s_mov_b32 s16, -1
	s_mov_b32 s0, 0
	s_mov_b32 s13, s11
	s_branch .LBB6_316
.LBB6_312:
	s_mov_b32 s0, s9
	s_branch .LBB6_437
.LBB6_313:
	s_or_saveexec_b32 s15, s15
                                        ; implicit-def: $sgpr16
	s_delay_alu instid0(SALU_CYCLE_1)
	s_xor_b32 exec_lo, exec_lo, s15
	s_cbranch_execz .LBB6_52
.LBB6_314:
	v_add_f32_e32 v6, 0x42800000, v7
	s_and_not1_b32 s11, s11, exec_lo
	s_mov_b32 s16, 0
	s_delay_alu instid0(VALU_DEP_1) | instskip(NEXT) | instid1(VALU_DEP_1)
	v_and_b32_e32 v6, 0xff, v6
	v_cmp_ne_u32_e32 vcc_lo, 0, v6
	s_and_b32 s17, vcc_lo, exec_lo
	s_delay_alu instid0(SALU_CYCLE_1)
	s_or_b32 s11, s11, s17
	s_or_b32 exec_lo, exec_lo, s15
	v_mov_b32_e32 v8, s16
	s_and_saveexec_b32 s15, s11
	s_cbranch_execnz .LBB6_53
	s_branch .LBB6_54
.LBB6_315:
	s_mov_b32 s13, -1
	s_mov_b32 s0, 0
.LBB6_316:
                                        ; implicit-def: $sgpr14
.LBB6_317:
	s_and_b32 vcc_lo, exec_lo, s16
	s_cbranch_vccz .LBB6_319
; %bb.318:
	v_cmp_eq_u16_e64 s0, 44, v4
	s_or_b32 s14, s14, exec_lo
	s_or_b32 s13, s13, exec_lo
.LBB6_319:
	s_mov_b32 s16, 0
.LBB6_320:
	s_delay_alu instid0(SALU_CYCLE_1)
	s_and_b32 vcc_lo, exec_lo, s16
	s_cbranch_vccz .LBB6_324
; %bb.321:
	v_cmp_eq_u16_e32 vcc_lo, 29, v4
	s_cbranch_vccz .LBB6_323
; %bb.322:
	global_load_b64 v[5:6], v[0:1], off
	s_mov_b32 s0, -1
	s_mov_b32 s13, 0
	s_mov_b32 s16, 0
	s_waitcnt vmcnt(0)
	v_cmp_ne_u64_e32 vcc_lo, 0, v[5:6]
	s_and_b32 s14, vcc_lo, exec_lo
	s_branch .LBB6_325
.LBB6_323:
	s_mov_b32 s13, -1
                                        ; implicit-def: $sgpr14
.LBB6_324:
	s_mov_b32 s16, 0
.LBB6_325:
	s_delay_alu instid0(SALU_CYCLE_1)
	s_and_b32 vcc_lo, exec_lo, s16
	s_cbranch_vccz .LBB6_343
; %bb.326:
	v_cmp_gt_i16_e32 vcc_lo, 27, v4
	s_cbranch_vccnz .LBB6_329
; %bb.327:
	v_cmp_lt_i16_e32 vcc_lo, 27, v4
	s_cbranch_vccz .LBB6_330
; %bb.328:
	global_load_b32 v5, v[0:1], off
	s_mov_b32 s0, 0
	s_waitcnt vmcnt(0)
	v_cmp_ne_u32_e32 vcc_lo, 0, v5
	s_and_b32 s14, vcc_lo, exec_lo
	s_branch .LBB6_331
.LBB6_329:
	s_mov_b32 s0, -1
                                        ; implicit-def: $sgpr14
	s_branch .LBB6_334
.LBB6_330:
	s_mov_b32 s0, -1
                                        ; implicit-def: $sgpr14
.LBB6_331:
	s_delay_alu instid0(SALU_CYCLE_1)
	s_and_not1_b32 vcc_lo, exec_lo, s0
	s_cbranch_vccnz .LBB6_333
; %bb.332:
	global_load_u16 v5, v[0:1], off
	s_and_not1_b32 s0, s14, exec_lo
	s_waitcnt vmcnt(0)
	v_cmp_ne_u16_e32 vcc_lo, 0, v5
	s_and_b32 s14, vcc_lo, exec_lo
	s_delay_alu instid0(SALU_CYCLE_1)
	s_or_b32 s14, s0, s14
.LBB6_333:
	s_mov_b32 s0, 0
.LBB6_334:
	s_delay_alu instid0(SALU_CYCLE_1)
	s_and_not1_b32 vcc_lo, exec_lo, s0
	s_cbranch_vccnz .LBB6_342
; %bb.335:
	global_load_u8 v5, v[0:1], off
	s_mov_b32 s0, 0
	s_mov_b32 s16, exec_lo
                                        ; implicit-def: $sgpr14
	s_waitcnt vmcnt(0)
	v_cmpx_lt_i16_e32 0x7f, v5
	s_xor_b32 s16, exec_lo, s16
	s_cbranch_execz .LBB6_356
; %bb.336:
	s_mov_b32 s0, -1
	s_mov_b32 s17, exec_lo
                                        ; implicit-def: $sgpr14
	v_cmpx_eq_u16_e32 0x80, v5
; %bb.337:
	s_mov_b32 s14, -1
	s_xor_b32 s0, exec_lo, -1
; %bb.338:
	s_or_b32 exec_lo, exec_lo, s17
	s_delay_alu instid0(SALU_CYCLE_1)
	s_and_b32 s0, s0, exec_lo
	s_and_not1_saveexec_b32 s16, s16
	s_cbranch_execnz .LBB6_357
.LBB6_339:
	s_or_b32 exec_lo, exec_lo, s16
	s_and_saveexec_b32 s16, s0
	s_cbranch_execz .LBB6_341
.LBB6_340:
	v_and_b32_e32 v5, 0xffff, v5
	s_and_not1_b32 s0, s14, exec_lo
	s_delay_alu instid0(VALU_DEP_1) | instskip(NEXT) | instid1(VALU_DEP_1)
	v_and_b32_e32 v6, 7, v5
	v_clz_i32_u32_e32 v7, v6
	s_delay_alu instid0(VALU_DEP_1) | instskip(NEXT) | instid1(VALU_DEP_1)
	v_min_u32_e32 v7, 32, v7
	v_subrev_nc_u32_e32 v8, 28, v7
	v_sub_nc_u32_e32 v7, 29, v7
	s_delay_alu instid0(VALU_DEP_2) | instskip(SKIP_1) | instid1(VALU_DEP_2)
	v_lshlrev_b32_e32 v8, v8, v5
	v_bfe_u32 v5, v5, 3, 4
	v_and_b32_e32 v8, 7, v8
	s_delay_alu instid0(VALU_DEP_2) | instskip(NEXT) | instid1(VALU_DEP_2)
	v_cmp_eq_u32_e32 vcc_lo, 0, v5
	v_dual_cndmask_b32 v5, v5, v7 :: v_dual_cndmask_b32 v6, v6, v8
	s_delay_alu instid0(VALU_DEP_1) | instskip(NEXT) | instid1(VALU_DEP_2)
	v_lshl_add_u32 v5, v5, 23, 0x3b800000
	v_lshlrev_b32_e32 v6, 20, v6
	s_delay_alu instid0(VALU_DEP_1) | instskip(NEXT) | instid1(VALU_DEP_1)
	v_and_or_b32 v5, 0x7f800000, v5, v6
	v_cmp_ne_u32_e32 vcc_lo, 0, v5
	s_and_b32 s14, vcc_lo, exec_lo
	s_delay_alu instid0(SALU_CYCLE_1)
	s_or_b32 s14, s0, s14
.LBB6_341:
	s_or_b32 exec_lo, exec_lo, s16
.LBB6_342:
	s_mov_b32 s0, -1
.LBB6_343:
	s_mov_b32 s16, 0
.LBB6_344:
	s_delay_alu instid0(SALU_CYCLE_1)
	s_and_b32 vcc_lo, exec_lo, s16
	s_cbranch_vccz .LBB6_379
; %bb.345:
	v_cmp_lt_i16_e32 vcc_lo, 22, v4
	s_cbranch_vccz .LBB6_355
; %bb.346:
	v_cmp_gt_i16_e32 vcc_lo, 24, v4
	s_cbranch_vccnz .LBB6_358
; %bb.347:
	v_cmp_lt_i16_e32 vcc_lo, 24, v4
	s_cbranch_vccz .LBB6_359
; %bb.348:
	global_load_u8 v5, v[0:1], off
	s_mov_b32 s0, 0
	s_mov_b32 s16, exec_lo
                                        ; implicit-def: $sgpr14
	s_waitcnt vmcnt(0)
	v_cmpx_lt_i16_e32 0x7f, v5
	s_xor_b32 s16, exec_lo, s16
	s_cbranch_execz .LBB6_371
; %bb.349:
	s_mov_b32 s0, -1
	s_mov_b32 s17, exec_lo
                                        ; implicit-def: $sgpr14
	v_cmpx_eq_u16_e32 0x80, v5
; %bb.350:
	s_mov_b32 s14, -1
	s_xor_b32 s0, exec_lo, -1
; %bb.351:
	s_or_b32 exec_lo, exec_lo, s17
	s_delay_alu instid0(SALU_CYCLE_1)
	s_and_b32 s0, s0, exec_lo
	s_and_not1_saveexec_b32 s16, s16
	s_cbranch_execnz .LBB6_372
.LBB6_352:
	s_or_b32 exec_lo, exec_lo, s16
	s_and_saveexec_b32 s16, s0
	s_cbranch_execz .LBB6_354
.LBB6_353:
	v_and_b32_e32 v5, 0xffff, v5
	s_and_not1_b32 s0, s14, exec_lo
	s_delay_alu instid0(VALU_DEP_1) | instskip(NEXT) | instid1(VALU_DEP_1)
	v_and_b32_e32 v6, 3, v5
	v_clz_i32_u32_e32 v7, v6
	s_delay_alu instid0(VALU_DEP_1) | instskip(NEXT) | instid1(VALU_DEP_1)
	v_min_u32_e32 v7, 32, v7
	v_subrev_nc_u32_e32 v8, 29, v7
	v_sub_nc_u32_e32 v7, 30, v7
	s_delay_alu instid0(VALU_DEP_2) | instskip(SKIP_1) | instid1(VALU_DEP_2)
	v_lshlrev_b32_e32 v8, v8, v5
	v_bfe_u32 v5, v5, 2, 5
	v_and_b32_e32 v8, 3, v8
	s_delay_alu instid0(VALU_DEP_2) | instskip(NEXT) | instid1(VALU_DEP_2)
	v_cmp_eq_u32_e32 vcc_lo, 0, v5
	v_dual_cndmask_b32 v5, v5, v7 :: v_dual_cndmask_b32 v6, v6, v8
	s_delay_alu instid0(VALU_DEP_1) | instskip(NEXT) | instid1(VALU_DEP_2)
	v_lshl_add_u32 v5, v5, 23, 0x37800000
	v_lshlrev_b32_e32 v6, 21, v6
	s_delay_alu instid0(VALU_DEP_1) | instskip(NEXT) | instid1(VALU_DEP_1)
	v_and_or_b32 v5, 0x7f800000, v5, v6
	v_cmp_ne_u32_e32 vcc_lo, 0, v5
	s_and_b32 s14, vcc_lo, exec_lo
	s_delay_alu instid0(SALU_CYCLE_1)
	s_or_b32 s14, s0, s14
.LBB6_354:
	s_or_b32 exec_lo, exec_lo, s16
	s_mov_b32 s0, 0
	s_branch .LBB6_360
.LBB6_355:
	s_mov_b32 s16, -1
                                        ; implicit-def: $sgpr14
	s_branch .LBB6_366
.LBB6_356:
	s_and_not1_saveexec_b32 s16, s16
	s_cbranch_execz .LBB6_339
.LBB6_357:
	v_cmp_ne_u16_e32 vcc_lo, 0, v5
	s_and_not1_b32 s0, s0, exec_lo
	s_and_not1_b32 s14, s14, exec_lo
	s_and_b32 s17, vcc_lo, exec_lo
	s_delay_alu instid0(SALU_CYCLE_1)
	s_or_b32 s0, s0, s17
	s_or_b32 exec_lo, exec_lo, s16
	s_and_saveexec_b32 s16, s0
	s_cbranch_execnz .LBB6_340
	s_branch .LBB6_341
.LBB6_358:
	s_mov_b32 s0, -1
                                        ; implicit-def: $sgpr14
	s_branch .LBB6_363
.LBB6_359:
	s_mov_b32 s0, -1
                                        ; implicit-def: $sgpr14
.LBB6_360:
	s_delay_alu instid0(SALU_CYCLE_1)
	s_and_b32 vcc_lo, exec_lo, s0
	s_cbranch_vccz .LBB6_362
; %bb.361:
	global_load_u8 v5, v[0:1], off
	s_and_not1_b32 s14, s14, exec_lo
	s_waitcnt vmcnt(0)
	v_lshlrev_b32_e32 v5, 24, v5
	s_delay_alu instid0(VALU_DEP_1) | instskip(NEXT) | instid1(VALU_DEP_1)
	v_and_b32_e32 v5, 0x7f000000, v5
	v_clz_i32_u32_e32 v6, v5
	v_add_nc_u32_e32 v8, 0x1000000, v5
	v_cmp_ne_u32_e32 vcc_lo, 0, v5
	s_delay_alu instid0(VALU_DEP_3) | instskip(NEXT) | instid1(VALU_DEP_3)
	v_min_u32_e32 v6, 32, v6
	v_ashrrev_i32_e32 v8, 8, v8
	s_delay_alu instid0(VALU_DEP_2) | instskip(NEXT) | instid1(VALU_DEP_1)
	v_sub_nc_u32_e64 v6, v6, 4 clamp
	v_lshlrev_b32_e32 v7, v6, v5
	v_lshlrev_b32_e32 v6, 23, v6
	s_delay_alu instid0(VALU_DEP_2) | instskip(NEXT) | instid1(VALU_DEP_1)
	v_lshrrev_b32_e32 v7, 4, v7
	v_sub_nc_u32_e32 v6, v7, v6
	v_and_b32_e32 v7, 0x7f800000, v8
	s_delay_alu instid0(VALU_DEP_2) | instskip(NEXT) | instid1(VALU_DEP_1)
	v_add_nc_u32_e32 v6, 0x3c000000, v6
	v_and_or_b32 v6, 0x7ff00000, v6, v7
	s_delay_alu instid0(VALU_DEP_1) | instskip(NEXT) | instid1(VALU_DEP_1)
	v_cmp_ne_u32_e64 s0, 0, v6
	s_and_b32 s0, vcc_lo, s0
	s_delay_alu instid0(SALU_CYCLE_1) | instskip(NEXT) | instid1(SALU_CYCLE_1)
	s_and_b32 s0, s0, exec_lo
	s_or_b32 s14, s14, s0
.LBB6_362:
	s_mov_b32 s0, 0
.LBB6_363:
	s_delay_alu instid0(SALU_CYCLE_1)
	s_and_not1_b32 vcc_lo, exec_lo, s0
	s_cbranch_vccnz .LBB6_365
; %bb.364:
	global_load_u8 v5, v[0:1], off
	s_and_not1_b32 s0, s14, exec_lo
	s_waitcnt vmcnt(0)
	v_lshlrev_b32_e32 v6, 25, v5
	v_lshlrev_b32_e32 v5, 8, v5
	s_delay_alu instid0(VALU_DEP_2) | instskip(NEXT) | instid1(VALU_DEP_2)
	v_lshrrev_b32_e32 v7, 4, v6
	v_and_or_b32 v5, 0x7f00, v5, 0.5
	s_delay_alu instid0(VALU_DEP_2) | instskip(NEXT) | instid1(VALU_DEP_2)
	v_or_b32_e32 v7, 0x70000000, v7
	v_add_f32_e32 v5, -0.5, v5
	s_delay_alu instid0(VALU_DEP_2) | instskip(SKIP_1) | instid1(VALU_DEP_2)
	v_mul_f32_e32 v7, 0x7800000, v7
	v_cmp_gt_u32_e32 vcc_lo, 0x8000000, v6
	v_cndmask_b32_e32 v5, v7, v5, vcc_lo
	s_delay_alu instid0(VALU_DEP_1) | instskip(SKIP_1) | instid1(SALU_CYCLE_1)
	v_cmp_neq_f32_e32 vcc_lo, 0, v5
	s_and_b32 s14, vcc_lo, exec_lo
	s_or_b32 s14, s0, s14
.LBB6_365:
	s_mov_b32 s16, 0
	s_mov_b32 s0, -1
.LBB6_366:
	s_and_not1_b32 vcc_lo, exec_lo, s16
	s_cbranch_vccnz .LBB6_379
; %bb.367:
	v_cmp_lt_i16_e32 vcc_lo, 14, v4
	s_cbranch_vccz .LBB6_370
; %bb.368:
	v_cmp_eq_u16_e32 vcc_lo, 15, v4
	s_cbranch_vccz .LBB6_373
; %bb.369:
	global_load_u16 v5, v[0:1], off
	s_mov_b32 s13, 0
	s_mov_b32 s0, -1
	s_waitcnt vmcnt(0)
	v_and_b32_e32 v5, 0x7fff, v5
	s_delay_alu instid0(VALU_DEP_1)
	v_cmp_ne_u16_e32 vcc_lo, 0, v5
	s_and_b32 s14, vcc_lo, exec_lo
	s_branch .LBB6_374
.LBB6_370:
	s_mov_b32 s16, -1
                                        ; implicit-def: $sgpr14
	s_branch .LBB6_375
.LBB6_371:
	s_and_not1_saveexec_b32 s16, s16
	s_cbranch_execz .LBB6_352
.LBB6_372:
	v_cmp_ne_u16_e32 vcc_lo, 0, v5
	s_and_not1_b32 s0, s0, exec_lo
	s_and_not1_b32 s14, s14, exec_lo
	s_and_b32 s17, vcc_lo, exec_lo
	s_delay_alu instid0(SALU_CYCLE_1)
	s_or_b32 s0, s0, s17
	s_or_b32 exec_lo, exec_lo, s16
	s_and_saveexec_b32 s16, s0
	s_cbranch_execnz .LBB6_353
	s_branch .LBB6_354
.LBB6_373:
	s_mov_b32 s13, -1
                                        ; implicit-def: $sgpr14
.LBB6_374:
	s_mov_b32 s16, 0
.LBB6_375:
	s_delay_alu instid0(SALU_CYCLE_1)
	s_and_b32 vcc_lo, exec_lo, s16
	s_cbranch_vccz .LBB6_379
; %bb.376:
	v_cmp_eq_u16_e32 vcc_lo, 11, v4
	s_cbranch_vccz .LBB6_378
; %bb.377:
	global_load_u8 v5, v[0:1], off
	s_mov_b32 s13, 0
	s_mov_b32 s0, -1
	s_waitcnt vmcnt(0)
	v_cmp_ne_u16_e32 vcc_lo, 0, v5
	s_and_b32 s14, vcc_lo, exec_lo
	s_branch .LBB6_379
.LBB6_378:
	s_mov_b32 s13, -1
                                        ; implicit-def: $sgpr14
.LBB6_379:
	s_branch .LBB6_256
.LBB6_380:
	v_cmp_gt_i16_e32 vcc_lo, 5, v4
	s_cbranch_vccnz .LBB6_385
; %bb.381:
	v_cmp_gt_i16_e32 vcc_lo, 8, v4
	s_cbranch_vccnz .LBB6_386
; %bb.382:
	;; [unrolled: 3-line block ×3, first 2 shown]
	v_cmp_lt_i16_e32 vcc_lo, 9, v4
	s_cbranch_vccz .LBB6_388
; %bb.384:
	global_load_b128 v[5:8], v[0:1], off
	s_waitcnt vmcnt(0)
	v_cmp_neq_f64_e32 vcc_lo, 0, v[5:6]
	v_cmp_neq_f64_e64 s0, 0, v[7:8]
	s_delay_alu instid0(VALU_DEP_1)
	s_or_b32 s14, vcc_lo, s0
	s_mov_b32 s0, 0
	s_and_b32 s14, s14, exec_lo
	s_branch .LBB6_389
.LBB6_385:
	s_mov_b32 s0, -1
                                        ; implicit-def: $sgpr14
	s_branch .LBB6_407
.LBB6_386:
	s_mov_b32 s0, -1
                                        ; implicit-def: $sgpr14
	s_branch .LBB6_395
.LBB6_387:
	s_mov_b32 s0, -1
                                        ; implicit-def: $sgpr14
	s_branch .LBB6_392
.LBB6_388:
	s_mov_b32 s0, -1
                                        ; implicit-def: $sgpr14
.LBB6_389:
	s_delay_alu instid0(SALU_CYCLE_1)
	s_and_not1_b32 vcc_lo, exec_lo, s0
	s_cbranch_vccnz .LBB6_391
; %bb.390:
	global_load_b64 v[5:6], v[0:1], off
	s_and_not1_b32 s0, s14, exec_lo
	s_waitcnt vmcnt(0)
	v_or_b32_e32 v5, v5, v6
	s_delay_alu instid0(VALU_DEP_1) | instskip(NEXT) | instid1(VALU_DEP_1)
	v_and_b32_e32 v5, 0x7fffffff, v5
	v_cmp_ne_u32_e32 vcc_lo, 0, v5
	s_and_b32 s14, vcc_lo, exec_lo
	s_delay_alu instid0(SALU_CYCLE_1)
	s_or_b32 s14, s0, s14
.LBB6_391:
	s_mov_b32 s0, 0
.LBB6_392:
	s_delay_alu instid0(SALU_CYCLE_1)
	s_and_not1_b32 vcc_lo, exec_lo, s0
	s_cbranch_vccnz .LBB6_394
; %bb.393:
	global_load_b32 v5, v[0:1], off
	s_and_not1_b32 s0, s14, exec_lo
	s_waitcnt vmcnt(0)
	v_and_b32_e32 v5, 0x7fff7fff, v5
	s_delay_alu instid0(VALU_DEP_1) | instskip(SKIP_1) | instid1(SALU_CYCLE_1)
	v_cmp_ne_u32_e32 vcc_lo, 0, v5
	s_and_b32 s14, vcc_lo, exec_lo
	s_or_b32 s14, s0, s14
.LBB6_394:
	s_mov_b32 s0, 0
.LBB6_395:
	s_delay_alu instid0(SALU_CYCLE_1)
	s_and_not1_b32 vcc_lo, exec_lo, s0
	s_cbranch_vccnz .LBB6_406
; %bb.396:
	v_cmp_gt_i16_e32 vcc_lo, 6, v4
	s_cbranch_vccnz .LBB6_399
; %bb.397:
	v_cmp_lt_i16_e32 vcc_lo, 6, v4
	s_cbranch_vccz .LBB6_400
; %bb.398:
	global_load_b64 v[5:6], v[0:1], off
	s_mov_b32 s0, 0
	s_waitcnt vmcnt(0)
	v_cmp_neq_f64_e32 vcc_lo, 0, v[5:6]
	s_and_b32 s14, vcc_lo, exec_lo
	s_branch .LBB6_401
.LBB6_399:
	s_mov_b32 s0, -1
                                        ; implicit-def: $sgpr14
	s_branch .LBB6_404
.LBB6_400:
	s_mov_b32 s0, -1
                                        ; implicit-def: $sgpr14
.LBB6_401:
	s_delay_alu instid0(SALU_CYCLE_1)
	s_and_not1_b32 vcc_lo, exec_lo, s0
	s_cbranch_vccnz .LBB6_403
; %bb.402:
	global_load_b32 v5, v[0:1], off
	s_and_not1_b32 s0, s14, exec_lo
	s_waitcnt vmcnt(0)
	v_cmp_neq_f32_e32 vcc_lo, 0, v5
	s_and_b32 s14, vcc_lo, exec_lo
	s_delay_alu instid0(SALU_CYCLE_1)
	s_or_b32 s14, s0, s14
.LBB6_403:
	s_mov_b32 s0, 0
.LBB6_404:
	s_delay_alu instid0(SALU_CYCLE_1)
	s_and_not1_b32 vcc_lo, exec_lo, s0
	s_cbranch_vccnz .LBB6_406
; %bb.405:
	global_load_u16 v5, v[0:1], off
	s_and_not1_b32 s0, s14, exec_lo
	s_waitcnt vmcnt(0)
	v_and_b32_e32 v5, 0x7fff, v5
	s_delay_alu instid0(VALU_DEP_1) | instskip(SKIP_1) | instid1(SALU_CYCLE_1)
	v_cmp_ne_u16_e32 vcc_lo, 0, v5
	s_and_b32 s14, vcc_lo, exec_lo
	s_or_b32 s14, s0, s14
.LBB6_406:
	s_mov_b32 s0, 0
.LBB6_407:
	s_delay_alu instid0(SALU_CYCLE_1)
	s_and_not1_b32 vcc_lo, exec_lo, s0
	s_cbranch_vccnz .LBB6_427
; %bb.408:
	v_cmp_gt_i16_e32 vcc_lo, 2, v4
	s_cbranch_vccnz .LBB6_412
; %bb.409:
	v_cmp_gt_i16_e32 vcc_lo, 3, v4
	s_cbranch_vccnz .LBB6_413
; %bb.410:
	v_cmp_lt_i16_e32 vcc_lo, 3, v4
	s_cbranch_vccz .LBB6_414
; %bb.411:
	global_load_b64 v[5:6], v[0:1], off
	s_mov_b32 s0, 0
	s_waitcnt vmcnt(0)
	v_cmp_ne_u64_e32 vcc_lo, 0, v[5:6]
	s_and_b32 s14, vcc_lo, exec_lo
	s_branch .LBB6_415
.LBB6_412:
	s_mov_b32 s0, -1
                                        ; implicit-def: $sgpr14
	s_branch .LBB6_421
.LBB6_413:
	s_mov_b32 s0, -1
                                        ; implicit-def: $sgpr14
	s_branch .LBB6_418
.LBB6_414:
	s_mov_b32 s0, -1
                                        ; implicit-def: $sgpr14
.LBB6_415:
	s_delay_alu instid0(SALU_CYCLE_1)
	s_and_not1_b32 vcc_lo, exec_lo, s0
	s_cbranch_vccnz .LBB6_417
; %bb.416:
	global_load_b32 v5, v[0:1], off
	s_and_not1_b32 s0, s14, exec_lo
	s_waitcnt vmcnt(0)
	v_cmp_ne_u32_e32 vcc_lo, 0, v5
	s_and_b32 s14, vcc_lo, exec_lo
	s_delay_alu instid0(SALU_CYCLE_1)
	s_or_b32 s14, s0, s14
.LBB6_417:
	s_mov_b32 s0, 0
.LBB6_418:
	s_delay_alu instid0(SALU_CYCLE_1)
	s_and_not1_b32 vcc_lo, exec_lo, s0
	s_cbranch_vccnz .LBB6_420
; %bb.419:
	global_load_u16 v5, v[0:1], off
	s_and_not1_b32 s0, s14, exec_lo
	s_waitcnt vmcnt(0)
	v_cmp_ne_u16_e32 vcc_lo, 0, v5
	s_and_b32 s14, vcc_lo, exec_lo
	s_delay_alu instid0(SALU_CYCLE_1)
	s_or_b32 s14, s0, s14
.LBB6_420:
	s_mov_b32 s0, 0
.LBB6_421:
	s_delay_alu instid0(SALU_CYCLE_1)
	s_and_not1_b32 vcc_lo, exec_lo, s0
	s_cbranch_vccnz .LBB6_427
; %bb.422:
	v_cmp_lt_i16_e32 vcc_lo, 0, v4
	s_mov_b32 s0, 0
	s_cbranch_vccz .LBB6_424
; %bb.423:
	global_load_u8 v5, v[0:1], off
	s_waitcnt vmcnt(0)
	v_cmp_ne_u16_e32 vcc_lo, 0, v5
	s_and_b32 s14, vcc_lo, exec_lo
	s_branch .LBB6_425
.LBB6_424:
	s_mov_b32 s0, -1
                                        ; implicit-def: $sgpr14
.LBB6_425:
	s_delay_alu instid0(SALU_CYCLE_1)
	s_and_not1_b32 vcc_lo, exec_lo, s0
	s_cbranch_vccnz .LBB6_427
; %bb.426:
	global_load_u8 v0, v[0:1], off
	s_and_not1_b32 s0, s14, exec_lo
	s_waitcnt vmcnt(0)
	v_cmp_ne_u16_e32 vcc_lo, 0, v0
	s_and_b32 s14, vcc_lo, exec_lo
	s_delay_alu instid0(SALU_CYCLE_1)
	s_or_b32 s14, s0, s14
.LBB6_427:
	s_branch .LBB6_257
.LBB6_428:
	s_mov_b32 s16, 0
	s_mov_b32 s0, s9
.LBB6_429:
                                        ; implicit-def: $vgpr3
	s_branch .LBB6_502
.LBB6_430:
	s_mov_b32 s0, s9
.LBB6_431:
	s_and_b32 vcc_lo, exec_lo, s16
	s_cbranch_vccz .LBB6_436
; %bb.432:
	v_cmp_eq_u16_e32 vcc_lo, 44, v5
	s_mov_b32 s0, -1
	s_cbranch_vccz .LBB6_436
; %bb.433:
	v_cndmask_b32_e64 v8, 0, 1.0, s13
	v_mov_b32_e32 v7, 0xff
	s_mov_b32 s14, exec_lo
	s_delay_alu instid0(VALU_DEP_2) | instskip(NEXT) | instid1(VALU_DEP_1)
	v_lshrrev_b32_e32 v6, 23, v8
	v_cmpx_ne_u32_e32 0xff, v6
; %bb.434:
	v_and_b32_e32 v7, 0x400000, v8
	v_and_or_b32 v8, 0x3fffff, v8, v6
	s_delay_alu instid0(VALU_DEP_2) | instskip(NEXT) | instid1(VALU_DEP_2)
	v_cmp_ne_u32_e32 vcc_lo, 0, v7
	v_cmp_ne_u32_e64 s0, 0, v8
	s_delay_alu instid0(VALU_DEP_1) | instskip(NEXT) | instid1(SALU_CYCLE_1)
	s_and_b32 s0, vcc_lo, s0
	v_cndmask_b32_e64 v7, 0, 1, s0
	s_delay_alu instid0(VALU_DEP_1)
	v_add_nc_u32_e32 v7, v6, v7
; %bb.435:
	s_or_b32 exec_lo, exec_lo, s14
	s_mov_b32 s14, -1
	s_mov_b32 s0, 0
	global_store_b8 v[0:1], v7, off
.LBB6_436:
	s_mov_b32 s16, 0
.LBB6_437:
	s_delay_alu instid0(SALU_CYCLE_1)
	s_and_b32 vcc_lo, exec_lo, s16
	s_cbranch_vccz .LBB6_440
; %bb.438:
	v_cmp_eq_u16_e32 vcc_lo, 29, v5
	s_mov_b32 s0, -1
	s_cbranch_vccz .LBB6_440
; %bb.439:
	s_mov_b32 s0, 0
	v_cndmask_b32_e64 v6, 0, 1, s13
	v_mov_b32_e32 v7, s0
	s_mov_b32 s14, -1
	s_mov_b32 s16, 0
	global_store_b64 v[0:1], v[6:7], off
	s_branch .LBB6_441
.LBB6_440:
	s_mov_b32 s16, 0
.LBB6_441:
	s_delay_alu instid0(SALU_CYCLE_1)
	s_and_b32 vcc_lo, exec_lo, s16
	s_cbranch_vccz .LBB6_457
; %bb.442:
	v_cmp_gt_i16_e32 vcc_lo, 27, v5
	s_mov_b32 s14, -1
	s_cbranch_vccnz .LBB6_448
; %bb.443:
	v_cmp_lt_i16_e32 vcc_lo, 27, v5
	s_cbranch_vccz .LBB6_445
; %bb.444:
	v_cndmask_b32_e64 v6, 0, 1, s13
	s_mov_b32 s14, 0
	global_store_b32 v[0:1], v6, off
.LBB6_445:
	s_and_not1_b32 vcc_lo, exec_lo, s14
	s_cbranch_vccnz .LBB6_447
; %bb.446:
	v_cndmask_b32_e64 v6, 0, 1, s13
	global_store_b16 v[0:1], v6, off
.LBB6_447:
	s_mov_b32 s14, 0
.LBB6_448:
	s_delay_alu instid0(SALU_CYCLE_1)
	s_and_not1_b32 vcc_lo, exec_lo, s14
	s_cbranch_vccnz .LBB6_456
; %bb.449:
	v_cndmask_b32_e64 v7, 0, 1.0, s13
	v_mov_b32_e32 v8, 0x80
	s_mov_b32 s14, exec_lo
	s_delay_alu instid0(VALU_DEP_2)
	v_cmpx_gt_u32_e32 0x43800000, v7
	s_cbranch_execz .LBB6_455
; %bb.450:
	s_mov_b32 s16, 0
	s_mov_b32 s17, exec_lo
                                        ; implicit-def: $vgpr6
	v_cmpx_lt_u32_e32 0x3bffffff, v7
	s_xor_b32 s17, exec_lo, s17
	s_cbranch_execz .LBB6_516
; %bb.451:
	v_bfe_u32 v6, v7, 20, 1
	s_mov_b32 s16, exec_lo
	s_delay_alu instid0(VALU_DEP_1) | instskip(NEXT) | instid1(VALU_DEP_1)
	v_add3_u32 v6, v7, v6, 0x487ffff
                                        ; implicit-def: $vgpr7
	v_lshrrev_b32_e32 v6, 20, v6
	s_or_saveexec_b32 s17, s17
                                        ; implicit-def: $sgpr18
	s_delay_alu instid0(SALU_CYCLE_1)
	s_xor_b32 exec_lo, exec_lo, s17
	s_cbranch_execnz .LBB6_517
.LBB6_452:
	s_or_b32 exec_lo, exec_lo, s17
	v_mov_b32_e32 v8, s18
	s_and_saveexec_b32 s17, s16
.LBB6_453:
	v_mov_b32_e32 v8, v6
.LBB6_454:
	s_or_b32 exec_lo, exec_lo, s17
.LBB6_455:
	s_delay_alu instid0(SALU_CYCLE_1)
	s_or_b32 exec_lo, exec_lo, s14
	global_store_b8 v[0:1], v8, off
.LBB6_456:
	s_mov_b32 s14, -1
.LBB6_457:
	s_mov_b32 s16, 0
.LBB6_458:
	s_delay_alu instid0(SALU_CYCLE_1)
	s_and_b32 vcc_lo, exec_lo, s16
	s_cbranch_vccz .LBB6_499
; %bb.459:
	v_cmp_lt_i16_e32 vcc_lo, 22, v5
	s_mov_b32 s16, -1
	s_cbranch_vccz .LBB6_491
; %bb.460:
	v_cmp_gt_i16_e32 vcc_lo, 24, v5
	s_mov_b32 s14, -1
	s_cbranch_vccnz .LBB6_480
; %bb.461:
	v_cmp_lt_i16_e32 vcc_lo, 24, v5
	s_cbranch_vccz .LBB6_469
; %bb.462:
	v_cndmask_b32_e64 v7, 0, 1.0, s13
	v_mov_b32_e32 v8, 0x80
	s_mov_b32 s14, exec_lo
	s_delay_alu instid0(VALU_DEP_2)
	v_cmpx_gt_u32_e32 0x47800000, v7
	s_cbranch_execz .LBB6_468
; %bb.463:
	s_mov_b32 s16, 0
	s_mov_b32 s17, exec_lo
                                        ; implicit-def: $vgpr6
	v_cmpx_lt_u32_e32 0x37ffffff, v7
	s_xor_b32 s17, exec_lo, s17
	s_cbranch_execz .LBB6_519
; %bb.464:
	v_bfe_u32 v6, v7, 21, 1
	s_mov_b32 s16, exec_lo
	s_delay_alu instid0(VALU_DEP_1) | instskip(NEXT) | instid1(VALU_DEP_1)
	v_add3_u32 v6, v7, v6, 0x88fffff
                                        ; implicit-def: $vgpr7
	v_lshrrev_b32_e32 v6, 21, v6
	s_or_saveexec_b32 s17, s17
                                        ; implicit-def: $sgpr18
	s_delay_alu instid0(SALU_CYCLE_1)
	s_xor_b32 exec_lo, exec_lo, s17
	s_cbranch_execnz .LBB6_520
.LBB6_465:
	s_or_b32 exec_lo, exec_lo, s17
	v_mov_b32_e32 v8, s18
	s_and_saveexec_b32 s17, s16
.LBB6_466:
	v_mov_b32_e32 v8, v6
.LBB6_467:
	s_or_b32 exec_lo, exec_lo, s17
.LBB6_468:
	s_delay_alu instid0(SALU_CYCLE_1)
	s_or_b32 exec_lo, exec_lo, s14
	s_mov_b32 s14, 0
	global_store_b8 v[0:1], v8, off
.LBB6_469:
	s_and_b32 vcc_lo, exec_lo, s14
	s_cbranch_vccz .LBB6_479
; %bb.470:
	v_cndmask_b32_e64 v7, 0, 1.0, s13
	s_mov_b32 s14, exec_lo
                                        ; implicit-def: $vgpr6
	s_delay_alu instid0(VALU_DEP_1)
	v_cmpx_gt_u32_e32 0x43f00000, v7
	s_xor_b32 s14, exec_lo, s14
	s_cbranch_execz .LBB6_476
; %bb.471:
	s_mov_b32 s16, exec_lo
                                        ; implicit-def: $vgpr6
	v_cmpx_lt_u32_e32 0x3c7fffff, v7
	s_xor_b32 s16, exec_lo, s16
; %bb.472:
	v_bfe_u32 v6, v7, 20, 1
	s_delay_alu instid0(VALU_DEP_1) | instskip(NEXT) | instid1(VALU_DEP_1)
	v_add3_u32 v6, v7, v6, 0x407ffff
	v_and_b32_e32 v7, 0xff00000, v6
	v_lshrrev_b32_e32 v6, 20, v6
	s_delay_alu instid0(VALU_DEP_2) | instskip(NEXT) | instid1(VALU_DEP_2)
	v_cmp_ne_u32_e32 vcc_lo, 0x7f00000, v7
                                        ; implicit-def: $vgpr7
	v_cndmask_b32_e32 v6, 0x7e, v6, vcc_lo
; %bb.473:
	s_and_not1_saveexec_b32 s16, s16
; %bb.474:
	v_add_f32_e32 v6, 0x46800000, v7
; %bb.475:
	s_or_b32 exec_lo, exec_lo, s16
                                        ; implicit-def: $vgpr7
.LBB6_476:
	s_and_not1_saveexec_b32 s14, s14
; %bb.477:
	v_mov_b32_e32 v6, 0x7f
	v_cmp_lt_u32_e32 vcc_lo, 0x7f800000, v7
	s_delay_alu instid0(VALU_DEP_2)
	v_cndmask_b32_e32 v6, 0x7e, v6, vcc_lo
; %bb.478:
	s_or_b32 exec_lo, exec_lo, s14
	global_store_b8 v[0:1], v6, off
.LBB6_479:
	s_mov_b32 s14, 0
.LBB6_480:
	s_delay_alu instid0(SALU_CYCLE_1)
	s_and_not1_b32 vcc_lo, exec_lo, s14
	s_cbranch_vccnz .LBB6_490
; %bb.481:
	v_cndmask_b32_e64 v7, 0, 1.0, s13
	s_mov_b32 s14, exec_lo
                                        ; implicit-def: $vgpr6
	s_delay_alu instid0(VALU_DEP_1)
	v_cmpx_gt_u32_e32 0x47800000, v7
	s_xor_b32 s14, exec_lo, s14
	s_cbranch_execz .LBB6_487
; %bb.482:
	s_mov_b32 s16, exec_lo
                                        ; implicit-def: $vgpr6
	v_cmpx_lt_u32_e32 0x387fffff, v7
	s_xor_b32 s16, exec_lo, s16
; %bb.483:
	v_bfe_u32 v6, v7, 21, 1
	s_delay_alu instid0(VALU_DEP_1) | instskip(NEXT) | instid1(VALU_DEP_1)
	v_add3_u32 v6, v7, v6, 0x80fffff
                                        ; implicit-def: $vgpr7
	v_lshrrev_b32_e32 v6, 21, v6
; %bb.484:
	s_and_not1_saveexec_b32 s16, s16
; %bb.485:
	v_add_f32_e32 v6, 0x43000000, v7
; %bb.486:
	s_or_b32 exec_lo, exec_lo, s16
                                        ; implicit-def: $vgpr7
.LBB6_487:
	s_and_not1_saveexec_b32 s14, s14
; %bb.488:
	v_mov_b32_e32 v6, 0x7f
	v_cmp_lt_u32_e32 vcc_lo, 0x7f800000, v7
	s_delay_alu instid0(VALU_DEP_2)
	v_cndmask_b32_e32 v6, 0x7c, v6, vcc_lo
; %bb.489:
	s_or_b32 exec_lo, exec_lo, s14
	global_store_b8 v[0:1], v6, off
.LBB6_490:
	s_mov_b32 s16, 0
	s_mov_b32 s14, -1
.LBB6_491:
	s_and_not1_b32 vcc_lo, exec_lo, s16
	s_cbranch_vccnz .LBB6_499
; %bb.492:
	v_cmp_lt_i16_e32 vcc_lo, 14, v5
	s_mov_b32 s16, -1
	s_cbranch_vccz .LBB6_496
; %bb.493:
	v_cmp_eq_u16_e32 vcc_lo, 15, v5
	s_mov_b32 s0, -1
	s_cbranch_vccz .LBB6_495
; %bb.494:
	v_cndmask_b32_e64 v6, 0, 1.0, s13
	s_mov_b32 s14, -1
	s_mov_b32 s0, 0
	s_delay_alu instid0(VALU_DEP_1) | instskip(NEXT) | instid1(VALU_DEP_1)
	v_bfe_u32 v7, v6, 16, 1
	v_add3_u32 v6, v6, v7, 0x7fff
	global_store_d16_hi_b16 v[0:1], v6, off
.LBB6_495:
	s_mov_b32 s16, 0
.LBB6_496:
	s_delay_alu instid0(SALU_CYCLE_1)
	s_and_b32 vcc_lo, exec_lo, s16
	s_cbranch_vccz .LBB6_499
; %bb.497:
	v_cmp_eq_u16_e32 vcc_lo, 11, v5
	s_mov_b32 s0, -1
	s_cbranch_vccz .LBB6_499
; %bb.498:
	v_cndmask_b32_e64 v6, 0, 1, s13
	s_mov_b32 s14, -1
	s_mov_b32 s0, 0
	global_store_b8 v[0:1], v6, off
.LBB6_499:
.LBB6_500:
	s_and_not1_b32 vcc_lo, exec_lo, s14
	s_mov_b32 s13, 0
	s_cbranch_vccnz .LBB6_303
.LBB6_501:
	v_add_nc_u32_e32 v3, 0x80, v3
	s_mov_b32 s16, -1
.LBB6_502:
	s_and_not1_b32 s14, s9, exec_lo
	s_and_b32 s0, s0, exec_lo
	s_and_not1_b32 s17, s11, exec_lo
	s_and_b32 s13, s13, exec_lo
	s_or_b32 s14, s14, s0
	s_or_b32 s13, s17, s13
	s_or_not1_b32 s17, s16, exec_lo
.LBB6_503:
	s_or_b32 exec_lo, exec_lo, s15
	s_mov_b32 s16, 0
	s_mov_b32 s0, 0
	;; [unrolled: 1-line block ×3, first 2 shown]
                                        ; implicit-def: $sgpr19
                                        ; implicit-def: $vgpr0_vgpr1
	s_and_saveexec_b32 s15, s17
	s_cbranch_execz .LBB6_845
; %bb.504:
	s_mov_b32 s19, -1
	s_mov_b32 s17, s13
	s_mov_b32 s18, s14
	s_mov_b32 s16, exec_lo
	v_cmpx_gt_i32_e64 s10, v3
	s_cbranch_execz .LBB6_761
; %bb.505:
	v_mul_lo_u32 v0, v3, s3
	v_cmp_gt_i16_e32 vcc_lo, 11, v4
	s_delay_alu instid0(VALU_DEP_2) | instskip(SKIP_1) | instid1(VALU_DEP_1)
	v_ashrrev_i32_e32 v1, 31, v0
	v_add_co_u32 v0, s0, s6, v0
	v_add_co_ci_u32_e64 v1, s0, s7, v1, s0
	s_cbranch_vccnz .LBB6_512
; %bb.506:
	v_cmp_lt_i16_e32 vcc_lo, 25, v4
	s_cbranch_vccz .LBB6_513
; %bb.507:
	v_cmp_lt_i16_e32 vcc_lo, 28, v4
	s_cbranch_vccz .LBB6_514
; %bb.508:
	v_cmp_lt_i16_e32 vcc_lo, 43, v4
	s_cbranch_vccz .LBB6_515
; %bb.509:
	v_cmp_lt_i16_e32 vcc_lo, 45, v4
	s_cbranch_vccz .LBB6_518
; %bb.510:
	v_cmp_eq_u16_e32 vcc_lo, 46, v4
	s_mov_b32 s19, 0
	s_cbranch_vccz .LBB6_521
; %bb.511:
	global_load_b32 v5, v[0:1], off
	s_mov_b32 s17, 0
	s_mov_b32 s0, -1
	s_waitcnt vmcnt(0)
	v_and_b32_e32 v5, 0x7fff7fff, v5
	s_delay_alu instid0(VALU_DEP_1)
	v_cmp_ne_u32_e32 vcc_lo, 0, v5
	s_and_b32 s18, vcc_lo, exec_lo
	s_branch .LBB6_523
.LBB6_512:
	s_mov_b32 s0, 0
	s_mov_b32 s17, s13
                                        ; implicit-def: $sgpr18
	s_branch .LBB6_586
.LBB6_513:
	s_mov_b32 s0, 0
	s_mov_b32 s17, s13
                                        ; implicit-def: $sgpr18
	s_branch .LBB6_550
.LBB6_514:
	s_mov_b32 s0, 0
	s_mov_b32 s17, s13
                                        ; implicit-def: $sgpr18
	s_branch .LBB6_531
.LBB6_515:
	s_mov_b32 s0, 0
	s_mov_b32 s17, s13
                                        ; implicit-def: $sgpr18
	s_branch .LBB6_526
.LBB6_516:
	s_or_saveexec_b32 s17, s17
                                        ; implicit-def: $sgpr18
	s_delay_alu instid0(SALU_CYCLE_1)
	s_xor_b32 exec_lo, exec_lo, s17
	s_cbranch_execz .LBB6_452
.LBB6_517:
	v_add_f32_e32 v6, 0x46000000, v7
	s_and_not1_b32 s16, s16, exec_lo
	s_mov_b32 s18, 0
	s_delay_alu instid0(VALU_DEP_1) | instskip(NEXT) | instid1(VALU_DEP_1)
	v_and_b32_e32 v6, 0xff, v6
	v_cmp_ne_u32_e32 vcc_lo, 0, v6
	s_and_b32 s19, vcc_lo, exec_lo
	s_delay_alu instid0(SALU_CYCLE_1)
	s_or_b32 s16, s16, s19
	s_or_b32 exec_lo, exec_lo, s17
	v_mov_b32_e32 v8, s18
	s_and_saveexec_b32 s17, s16
	s_cbranch_execnz .LBB6_453
	s_branch .LBB6_454
.LBB6_518:
	s_mov_b32 s0, 0
	s_mov_b32 s17, s13
	s_branch .LBB6_522
.LBB6_519:
	s_or_saveexec_b32 s17, s17
                                        ; implicit-def: $sgpr18
	s_delay_alu instid0(SALU_CYCLE_1)
	s_xor_b32 exec_lo, exec_lo, s17
	s_cbranch_execz .LBB6_465
.LBB6_520:
	v_add_f32_e32 v6, 0x42800000, v7
	s_and_not1_b32 s16, s16, exec_lo
	s_mov_b32 s18, 0
	s_delay_alu instid0(VALU_DEP_1) | instskip(NEXT) | instid1(VALU_DEP_1)
	v_and_b32_e32 v6, 0xff, v6
	v_cmp_ne_u32_e32 vcc_lo, 0, v6
	s_and_b32 s19, vcc_lo, exec_lo
	s_delay_alu instid0(SALU_CYCLE_1)
	s_or_b32 s16, s16, s19
	s_or_b32 exec_lo, exec_lo, s17
	v_mov_b32_e32 v8, s18
	s_and_saveexec_b32 s17, s16
	s_cbranch_execnz .LBB6_466
	s_branch .LBB6_467
.LBB6_521:
	s_mov_b32 s17, -1
	s_mov_b32 s0, 0
.LBB6_522:
                                        ; implicit-def: $sgpr18
.LBB6_523:
	s_and_b32 vcc_lo, exec_lo, s19
	s_cbranch_vccz .LBB6_525
; %bb.524:
	v_cmp_eq_u16_e64 s0, 44, v4
	s_or_b32 s18, s18, exec_lo
	s_or_b32 s17, s17, exec_lo
.LBB6_525:
	s_mov_b32 s19, 0
.LBB6_526:
	s_delay_alu instid0(SALU_CYCLE_1)
	s_and_b32 vcc_lo, exec_lo, s19
	s_cbranch_vccz .LBB6_530
; %bb.527:
	v_cmp_eq_u16_e32 vcc_lo, 29, v4
	s_cbranch_vccz .LBB6_529
; %bb.528:
	global_load_b64 v[5:6], v[0:1], off
	s_mov_b32 s0, -1
	s_mov_b32 s17, 0
	s_mov_b32 s19, 0
	s_waitcnt vmcnt(0)
	v_cmp_ne_u64_e32 vcc_lo, 0, v[5:6]
	s_and_b32 s18, vcc_lo, exec_lo
	s_branch .LBB6_531
.LBB6_529:
	s_mov_b32 s17, -1
                                        ; implicit-def: $sgpr18
.LBB6_530:
	s_mov_b32 s19, 0
.LBB6_531:
	s_delay_alu instid0(SALU_CYCLE_1)
	s_and_b32 vcc_lo, exec_lo, s19
	s_cbranch_vccz .LBB6_549
; %bb.532:
	v_cmp_gt_i16_e32 vcc_lo, 27, v4
	s_cbranch_vccnz .LBB6_535
; %bb.533:
	v_cmp_lt_i16_e32 vcc_lo, 27, v4
	s_cbranch_vccz .LBB6_536
; %bb.534:
	global_load_b32 v5, v[0:1], off
	s_mov_b32 s0, 0
	s_waitcnt vmcnt(0)
	v_cmp_ne_u32_e32 vcc_lo, 0, v5
	s_and_b32 s18, vcc_lo, exec_lo
	s_branch .LBB6_537
.LBB6_535:
	s_mov_b32 s0, -1
                                        ; implicit-def: $sgpr18
	s_branch .LBB6_540
.LBB6_536:
	s_mov_b32 s0, -1
                                        ; implicit-def: $sgpr18
.LBB6_537:
	s_delay_alu instid0(SALU_CYCLE_1)
	s_and_not1_b32 vcc_lo, exec_lo, s0
	s_cbranch_vccnz .LBB6_539
; %bb.538:
	global_load_u16 v5, v[0:1], off
	s_and_not1_b32 s0, s18, exec_lo
	s_waitcnt vmcnt(0)
	v_cmp_ne_u16_e32 vcc_lo, 0, v5
	s_and_b32 s18, vcc_lo, exec_lo
	s_delay_alu instid0(SALU_CYCLE_1)
	s_or_b32 s18, s0, s18
.LBB6_539:
	s_mov_b32 s0, 0
.LBB6_540:
	s_delay_alu instid0(SALU_CYCLE_1)
	s_and_not1_b32 vcc_lo, exec_lo, s0
	s_cbranch_vccnz .LBB6_548
; %bb.541:
	global_load_u8 v5, v[0:1], off
	s_mov_b32 s0, 0
	s_mov_b32 s19, exec_lo
                                        ; implicit-def: $sgpr18
	s_waitcnt vmcnt(0)
	v_cmpx_lt_i16_e32 0x7f, v5
	s_xor_b32 s19, exec_lo, s19
	s_cbranch_execz .LBB6_562
; %bb.542:
	s_mov_b32 s0, -1
	s_mov_b32 s20, exec_lo
                                        ; implicit-def: $sgpr18
	v_cmpx_eq_u16_e32 0x80, v5
; %bb.543:
	s_mov_b32 s18, -1
	s_xor_b32 s0, exec_lo, -1
; %bb.544:
	s_or_b32 exec_lo, exec_lo, s20
	s_delay_alu instid0(SALU_CYCLE_1)
	s_and_b32 s0, s0, exec_lo
	s_and_not1_saveexec_b32 s19, s19
	s_cbranch_execnz .LBB6_563
.LBB6_545:
	s_or_b32 exec_lo, exec_lo, s19
	s_and_saveexec_b32 s19, s0
	s_cbranch_execz .LBB6_547
.LBB6_546:
	v_and_b32_e32 v5, 0xffff, v5
	s_and_not1_b32 s0, s18, exec_lo
	s_delay_alu instid0(VALU_DEP_1) | instskip(NEXT) | instid1(VALU_DEP_1)
	v_and_b32_e32 v6, 7, v5
	v_clz_i32_u32_e32 v7, v6
	s_delay_alu instid0(VALU_DEP_1) | instskip(NEXT) | instid1(VALU_DEP_1)
	v_min_u32_e32 v7, 32, v7
	v_subrev_nc_u32_e32 v8, 28, v7
	v_sub_nc_u32_e32 v7, 29, v7
	s_delay_alu instid0(VALU_DEP_2) | instskip(SKIP_1) | instid1(VALU_DEP_2)
	v_lshlrev_b32_e32 v8, v8, v5
	v_bfe_u32 v5, v5, 3, 4
	v_and_b32_e32 v8, 7, v8
	s_delay_alu instid0(VALU_DEP_2) | instskip(NEXT) | instid1(VALU_DEP_2)
	v_cmp_eq_u32_e32 vcc_lo, 0, v5
	v_dual_cndmask_b32 v5, v5, v7 :: v_dual_cndmask_b32 v6, v6, v8
	s_delay_alu instid0(VALU_DEP_1) | instskip(NEXT) | instid1(VALU_DEP_2)
	v_lshl_add_u32 v5, v5, 23, 0x3b800000
	v_lshlrev_b32_e32 v6, 20, v6
	s_delay_alu instid0(VALU_DEP_1) | instskip(NEXT) | instid1(VALU_DEP_1)
	v_and_or_b32 v5, 0x7f800000, v5, v6
	v_cmp_ne_u32_e32 vcc_lo, 0, v5
	s_and_b32 s18, vcc_lo, exec_lo
	s_delay_alu instid0(SALU_CYCLE_1)
	s_or_b32 s18, s0, s18
.LBB6_547:
	s_or_b32 exec_lo, exec_lo, s19
.LBB6_548:
	s_mov_b32 s0, -1
.LBB6_549:
	s_mov_b32 s19, 0
.LBB6_550:
	s_delay_alu instid0(SALU_CYCLE_1)
	s_and_b32 vcc_lo, exec_lo, s19
	s_cbranch_vccz .LBB6_585
; %bb.551:
	v_cmp_lt_i16_e32 vcc_lo, 22, v4
	s_cbranch_vccz .LBB6_561
; %bb.552:
	v_cmp_gt_i16_e32 vcc_lo, 24, v4
	s_cbranch_vccnz .LBB6_564
; %bb.553:
	v_cmp_lt_i16_e32 vcc_lo, 24, v4
	s_cbranch_vccz .LBB6_565
; %bb.554:
	global_load_u8 v5, v[0:1], off
	s_mov_b32 s0, 0
	s_mov_b32 s19, exec_lo
                                        ; implicit-def: $sgpr18
	s_waitcnt vmcnt(0)
	v_cmpx_lt_i16_e32 0x7f, v5
	s_xor_b32 s19, exec_lo, s19
	s_cbranch_execz .LBB6_577
; %bb.555:
	s_mov_b32 s0, -1
	s_mov_b32 s20, exec_lo
                                        ; implicit-def: $sgpr18
	v_cmpx_eq_u16_e32 0x80, v5
; %bb.556:
	s_mov_b32 s18, -1
	s_xor_b32 s0, exec_lo, -1
; %bb.557:
	s_or_b32 exec_lo, exec_lo, s20
	s_delay_alu instid0(SALU_CYCLE_1)
	s_and_b32 s0, s0, exec_lo
	s_and_not1_saveexec_b32 s19, s19
	s_cbranch_execnz .LBB6_578
.LBB6_558:
	s_or_b32 exec_lo, exec_lo, s19
	s_and_saveexec_b32 s19, s0
	s_cbranch_execz .LBB6_560
.LBB6_559:
	v_and_b32_e32 v5, 0xffff, v5
	s_and_not1_b32 s0, s18, exec_lo
	s_delay_alu instid0(VALU_DEP_1) | instskip(NEXT) | instid1(VALU_DEP_1)
	v_and_b32_e32 v6, 3, v5
	v_clz_i32_u32_e32 v7, v6
	s_delay_alu instid0(VALU_DEP_1) | instskip(NEXT) | instid1(VALU_DEP_1)
	v_min_u32_e32 v7, 32, v7
	v_subrev_nc_u32_e32 v8, 29, v7
	v_sub_nc_u32_e32 v7, 30, v7
	s_delay_alu instid0(VALU_DEP_2) | instskip(SKIP_1) | instid1(VALU_DEP_2)
	v_lshlrev_b32_e32 v8, v8, v5
	v_bfe_u32 v5, v5, 2, 5
	v_and_b32_e32 v8, 3, v8
	s_delay_alu instid0(VALU_DEP_2) | instskip(NEXT) | instid1(VALU_DEP_2)
	v_cmp_eq_u32_e32 vcc_lo, 0, v5
	v_dual_cndmask_b32 v5, v5, v7 :: v_dual_cndmask_b32 v6, v6, v8
	s_delay_alu instid0(VALU_DEP_1) | instskip(NEXT) | instid1(VALU_DEP_2)
	v_lshl_add_u32 v5, v5, 23, 0x37800000
	v_lshlrev_b32_e32 v6, 21, v6
	s_delay_alu instid0(VALU_DEP_1) | instskip(NEXT) | instid1(VALU_DEP_1)
	v_and_or_b32 v5, 0x7f800000, v5, v6
	v_cmp_ne_u32_e32 vcc_lo, 0, v5
	s_and_b32 s18, vcc_lo, exec_lo
	s_delay_alu instid0(SALU_CYCLE_1)
	s_or_b32 s18, s0, s18
.LBB6_560:
	s_or_b32 exec_lo, exec_lo, s19
	s_mov_b32 s0, 0
	s_branch .LBB6_566
.LBB6_561:
	s_mov_b32 s19, -1
                                        ; implicit-def: $sgpr18
	s_branch .LBB6_572
.LBB6_562:
	s_and_not1_saveexec_b32 s19, s19
	s_cbranch_execz .LBB6_545
.LBB6_563:
	v_cmp_ne_u16_e32 vcc_lo, 0, v5
	s_and_not1_b32 s0, s0, exec_lo
	s_and_not1_b32 s18, s18, exec_lo
	s_and_b32 s20, vcc_lo, exec_lo
	s_delay_alu instid0(SALU_CYCLE_1)
	s_or_b32 s0, s0, s20
	s_or_b32 exec_lo, exec_lo, s19
	s_and_saveexec_b32 s19, s0
	s_cbranch_execnz .LBB6_546
	s_branch .LBB6_547
.LBB6_564:
	s_mov_b32 s0, -1
                                        ; implicit-def: $sgpr18
	s_branch .LBB6_569
.LBB6_565:
	s_mov_b32 s0, -1
                                        ; implicit-def: $sgpr18
.LBB6_566:
	s_delay_alu instid0(SALU_CYCLE_1)
	s_and_b32 vcc_lo, exec_lo, s0
	s_cbranch_vccz .LBB6_568
; %bb.567:
	global_load_u8 v5, v[0:1], off
	s_and_not1_b32 s18, s18, exec_lo
	s_waitcnt vmcnt(0)
	v_lshlrev_b32_e32 v5, 24, v5
	s_delay_alu instid0(VALU_DEP_1) | instskip(NEXT) | instid1(VALU_DEP_1)
	v_and_b32_e32 v5, 0x7f000000, v5
	v_clz_i32_u32_e32 v6, v5
	v_add_nc_u32_e32 v8, 0x1000000, v5
	v_cmp_ne_u32_e32 vcc_lo, 0, v5
	s_delay_alu instid0(VALU_DEP_3) | instskip(NEXT) | instid1(VALU_DEP_3)
	v_min_u32_e32 v6, 32, v6
	v_ashrrev_i32_e32 v8, 8, v8
	s_delay_alu instid0(VALU_DEP_2) | instskip(NEXT) | instid1(VALU_DEP_1)
	v_sub_nc_u32_e64 v6, v6, 4 clamp
	v_lshlrev_b32_e32 v7, v6, v5
	v_lshlrev_b32_e32 v6, 23, v6
	s_delay_alu instid0(VALU_DEP_2) | instskip(NEXT) | instid1(VALU_DEP_1)
	v_lshrrev_b32_e32 v7, 4, v7
	v_sub_nc_u32_e32 v6, v7, v6
	v_and_b32_e32 v7, 0x7f800000, v8
	s_delay_alu instid0(VALU_DEP_2) | instskip(NEXT) | instid1(VALU_DEP_1)
	v_add_nc_u32_e32 v6, 0x3c000000, v6
	v_and_or_b32 v6, 0x7ff00000, v6, v7
	s_delay_alu instid0(VALU_DEP_1) | instskip(NEXT) | instid1(VALU_DEP_1)
	v_cmp_ne_u32_e64 s0, 0, v6
	s_and_b32 s0, vcc_lo, s0
	s_delay_alu instid0(SALU_CYCLE_1) | instskip(NEXT) | instid1(SALU_CYCLE_1)
	s_and_b32 s0, s0, exec_lo
	s_or_b32 s18, s18, s0
.LBB6_568:
	s_mov_b32 s0, 0
.LBB6_569:
	s_delay_alu instid0(SALU_CYCLE_1)
	s_and_not1_b32 vcc_lo, exec_lo, s0
	s_cbranch_vccnz .LBB6_571
; %bb.570:
	global_load_u8 v5, v[0:1], off
	s_and_not1_b32 s0, s18, exec_lo
	s_waitcnt vmcnt(0)
	v_lshlrev_b32_e32 v6, 25, v5
	v_lshlrev_b32_e32 v5, 8, v5
	s_delay_alu instid0(VALU_DEP_2) | instskip(NEXT) | instid1(VALU_DEP_2)
	v_lshrrev_b32_e32 v7, 4, v6
	v_and_or_b32 v5, 0x7f00, v5, 0.5
	s_delay_alu instid0(VALU_DEP_2) | instskip(NEXT) | instid1(VALU_DEP_2)
	v_or_b32_e32 v7, 0x70000000, v7
	v_add_f32_e32 v5, -0.5, v5
	s_delay_alu instid0(VALU_DEP_2) | instskip(SKIP_1) | instid1(VALU_DEP_2)
	v_mul_f32_e32 v7, 0x7800000, v7
	v_cmp_gt_u32_e32 vcc_lo, 0x8000000, v6
	v_cndmask_b32_e32 v5, v7, v5, vcc_lo
	s_delay_alu instid0(VALU_DEP_1) | instskip(SKIP_1) | instid1(SALU_CYCLE_1)
	v_cmp_neq_f32_e32 vcc_lo, 0, v5
	s_and_b32 s18, vcc_lo, exec_lo
	s_or_b32 s18, s0, s18
.LBB6_571:
	s_mov_b32 s19, 0
	s_mov_b32 s0, -1
.LBB6_572:
	s_and_not1_b32 vcc_lo, exec_lo, s19
	s_cbranch_vccnz .LBB6_585
; %bb.573:
	v_cmp_lt_i16_e32 vcc_lo, 14, v4
	s_cbranch_vccz .LBB6_576
; %bb.574:
	v_cmp_eq_u16_e32 vcc_lo, 15, v4
	s_cbranch_vccz .LBB6_579
; %bb.575:
	global_load_u16 v5, v[0:1], off
	s_mov_b32 s17, 0
	s_mov_b32 s0, -1
	s_waitcnt vmcnt(0)
	v_and_b32_e32 v5, 0x7fff, v5
	s_delay_alu instid0(VALU_DEP_1)
	v_cmp_ne_u16_e32 vcc_lo, 0, v5
	s_and_b32 s18, vcc_lo, exec_lo
	s_branch .LBB6_580
.LBB6_576:
	s_mov_b32 s19, -1
                                        ; implicit-def: $sgpr18
	s_branch .LBB6_581
.LBB6_577:
	s_and_not1_saveexec_b32 s19, s19
	s_cbranch_execz .LBB6_558
.LBB6_578:
	v_cmp_ne_u16_e32 vcc_lo, 0, v5
	s_and_not1_b32 s0, s0, exec_lo
	s_and_not1_b32 s18, s18, exec_lo
	s_and_b32 s20, vcc_lo, exec_lo
	s_delay_alu instid0(SALU_CYCLE_1)
	s_or_b32 s0, s0, s20
	s_or_b32 exec_lo, exec_lo, s19
	s_and_saveexec_b32 s19, s0
	s_cbranch_execnz .LBB6_559
	s_branch .LBB6_560
.LBB6_579:
	s_mov_b32 s17, -1
                                        ; implicit-def: $sgpr18
.LBB6_580:
	s_mov_b32 s19, 0
.LBB6_581:
	s_delay_alu instid0(SALU_CYCLE_1)
	s_and_b32 vcc_lo, exec_lo, s19
	s_cbranch_vccz .LBB6_585
; %bb.582:
	v_cmp_eq_u16_e32 vcc_lo, 11, v4
	s_cbranch_vccz .LBB6_584
; %bb.583:
	global_load_u8 v5, v[0:1], off
	s_mov_b32 s17, 0
	s_mov_b32 s0, -1
	s_waitcnt vmcnt(0)
	v_cmp_ne_u16_e32 vcc_lo, 0, v5
	s_and_b32 s18, vcc_lo, exec_lo
	s_branch .LBB6_585
.LBB6_584:
	s_mov_b32 s17, -1
                                        ; implicit-def: $sgpr18
.LBB6_585:
	s_mov_b32 s19, 0
.LBB6_586:
	s_delay_alu instid0(SALU_CYCLE_1)
	s_and_b32 vcc_lo, exec_lo, s19
	s_cbranch_vccz .LBB6_635
; %bb.587:
	v_cmp_gt_i16_e32 vcc_lo, 5, v4
	s_cbranch_vccnz .LBB6_592
; %bb.588:
	v_cmp_gt_i16_e32 vcc_lo, 8, v4
	s_cbranch_vccnz .LBB6_593
	;; [unrolled: 3-line block ×3, first 2 shown]
; %bb.590:
	v_cmp_lt_i16_e32 vcc_lo, 9, v4
	s_cbranch_vccz .LBB6_595
; %bb.591:
	global_load_b128 v[5:8], v[0:1], off
	s_waitcnt vmcnt(0)
	v_cmp_neq_f64_e32 vcc_lo, 0, v[5:6]
	v_cmp_neq_f64_e64 s0, 0, v[7:8]
	s_delay_alu instid0(VALU_DEP_1)
	s_or_b32 s18, vcc_lo, s0
	s_mov_b32 s0, 0
	s_and_b32 s18, s18, exec_lo
	s_branch .LBB6_596
.LBB6_592:
	s_mov_b32 s0, -1
                                        ; implicit-def: $sgpr18
	s_branch .LBB6_614
.LBB6_593:
	s_mov_b32 s0, -1
                                        ; implicit-def: $sgpr18
	s_branch .LBB6_602
.LBB6_594:
	s_mov_b32 s0, -1
                                        ; implicit-def: $sgpr18
	s_branch .LBB6_599
.LBB6_595:
	s_mov_b32 s0, -1
                                        ; implicit-def: $sgpr18
.LBB6_596:
	s_delay_alu instid0(SALU_CYCLE_1)
	s_and_not1_b32 vcc_lo, exec_lo, s0
	s_cbranch_vccnz .LBB6_598
; %bb.597:
	global_load_b64 v[5:6], v[0:1], off
	s_and_not1_b32 s0, s18, exec_lo
	s_waitcnt vmcnt(0)
	v_or_b32_e32 v5, v5, v6
	s_delay_alu instid0(VALU_DEP_1) | instskip(NEXT) | instid1(VALU_DEP_1)
	v_and_b32_e32 v5, 0x7fffffff, v5
	v_cmp_ne_u32_e32 vcc_lo, 0, v5
	s_and_b32 s18, vcc_lo, exec_lo
	s_delay_alu instid0(SALU_CYCLE_1)
	s_or_b32 s18, s0, s18
.LBB6_598:
	s_mov_b32 s0, 0
.LBB6_599:
	s_delay_alu instid0(SALU_CYCLE_1)
	s_and_not1_b32 vcc_lo, exec_lo, s0
	s_cbranch_vccnz .LBB6_601
; %bb.600:
	global_load_b32 v5, v[0:1], off
	s_and_not1_b32 s0, s18, exec_lo
	s_waitcnt vmcnt(0)
	v_and_b32_e32 v5, 0x7fff7fff, v5
	s_delay_alu instid0(VALU_DEP_1) | instskip(SKIP_1) | instid1(SALU_CYCLE_1)
	v_cmp_ne_u32_e32 vcc_lo, 0, v5
	s_and_b32 s18, vcc_lo, exec_lo
	s_or_b32 s18, s0, s18
.LBB6_601:
	s_mov_b32 s0, 0
.LBB6_602:
	s_delay_alu instid0(SALU_CYCLE_1)
	s_and_not1_b32 vcc_lo, exec_lo, s0
	s_cbranch_vccnz .LBB6_613
; %bb.603:
	v_cmp_gt_i16_e32 vcc_lo, 6, v4
	s_cbranch_vccnz .LBB6_606
; %bb.604:
	v_cmp_lt_i16_e32 vcc_lo, 6, v4
	s_cbranch_vccz .LBB6_607
; %bb.605:
	global_load_b64 v[5:6], v[0:1], off
	s_mov_b32 s0, 0
	s_waitcnt vmcnt(0)
	v_cmp_neq_f64_e32 vcc_lo, 0, v[5:6]
	s_and_b32 s18, vcc_lo, exec_lo
	s_branch .LBB6_608
.LBB6_606:
	s_mov_b32 s0, -1
                                        ; implicit-def: $sgpr18
	s_branch .LBB6_611
.LBB6_607:
	s_mov_b32 s0, -1
                                        ; implicit-def: $sgpr18
.LBB6_608:
	s_delay_alu instid0(SALU_CYCLE_1)
	s_and_not1_b32 vcc_lo, exec_lo, s0
	s_cbranch_vccnz .LBB6_610
; %bb.609:
	global_load_b32 v5, v[0:1], off
	s_and_not1_b32 s0, s18, exec_lo
	s_waitcnt vmcnt(0)
	v_cmp_neq_f32_e32 vcc_lo, 0, v5
	s_and_b32 s18, vcc_lo, exec_lo
	s_delay_alu instid0(SALU_CYCLE_1)
	s_or_b32 s18, s0, s18
.LBB6_610:
	s_mov_b32 s0, 0
.LBB6_611:
	s_delay_alu instid0(SALU_CYCLE_1)
	s_and_not1_b32 vcc_lo, exec_lo, s0
	s_cbranch_vccnz .LBB6_613
; %bb.612:
	global_load_u16 v5, v[0:1], off
	s_and_not1_b32 s0, s18, exec_lo
	s_waitcnt vmcnt(0)
	v_and_b32_e32 v5, 0x7fff, v5
	s_delay_alu instid0(VALU_DEP_1) | instskip(SKIP_1) | instid1(SALU_CYCLE_1)
	v_cmp_ne_u16_e32 vcc_lo, 0, v5
	s_and_b32 s18, vcc_lo, exec_lo
	s_or_b32 s18, s0, s18
.LBB6_613:
	s_mov_b32 s0, 0
.LBB6_614:
	s_delay_alu instid0(SALU_CYCLE_1)
	s_and_not1_b32 vcc_lo, exec_lo, s0
	s_cbranch_vccnz .LBB6_634
; %bb.615:
	v_cmp_gt_i16_e32 vcc_lo, 2, v4
	s_cbranch_vccnz .LBB6_619
; %bb.616:
	v_cmp_gt_i16_e32 vcc_lo, 3, v4
	s_cbranch_vccnz .LBB6_620
; %bb.617:
	v_cmp_lt_i16_e32 vcc_lo, 3, v4
	s_cbranch_vccz .LBB6_621
; %bb.618:
	global_load_b64 v[5:6], v[0:1], off
	s_mov_b32 s0, 0
	s_waitcnt vmcnt(0)
	v_cmp_ne_u64_e32 vcc_lo, 0, v[5:6]
	s_and_b32 s18, vcc_lo, exec_lo
	s_branch .LBB6_622
.LBB6_619:
	s_mov_b32 s0, -1
                                        ; implicit-def: $sgpr18
	s_branch .LBB6_628
.LBB6_620:
	s_mov_b32 s0, -1
                                        ; implicit-def: $sgpr18
	s_branch .LBB6_625
.LBB6_621:
	s_mov_b32 s0, -1
                                        ; implicit-def: $sgpr18
.LBB6_622:
	s_delay_alu instid0(SALU_CYCLE_1)
	s_and_not1_b32 vcc_lo, exec_lo, s0
	s_cbranch_vccnz .LBB6_624
; %bb.623:
	global_load_b32 v5, v[0:1], off
	s_and_not1_b32 s0, s18, exec_lo
	s_waitcnt vmcnt(0)
	v_cmp_ne_u32_e32 vcc_lo, 0, v5
	s_and_b32 s18, vcc_lo, exec_lo
	s_delay_alu instid0(SALU_CYCLE_1)
	s_or_b32 s18, s0, s18
.LBB6_624:
	s_mov_b32 s0, 0
.LBB6_625:
	s_delay_alu instid0(SALU_CYCLE_1)
	s_and_not1_b32 vcc_lo, exec_lo, s0
	s_cbranch_vccnz .LBB6_627
; %bb.626:
	global_load_u16 v5, v[0:1], off
	s_and_not1_b32 s0, s18, exec_lo
	s_waitcnt vmcnt(0)
	v_cmp_ne_u16_e32 vcc_lo, 0, v5
	s_and_b32 s18, vcc_lo, exec_lo
	s_delay_alu instid0(SALU_CYCLE_1)
	s_or_b32 s18, s0, s18
.LBB6_627:
	s_mov_b32 s0, 0
.LBB6_628:
	s_delay_alu instid0(SALU_CYCLE_1)
	s_and_not1_b32 vcc_lo, exec_lo, s0
	s_cbranch_vccnz .LBB6_634
; %bb.629:
	v_cmp_lt_i16_e32 vcc_lo, 0, v4
	s_mov_b32 s0, 0
	s_cbranch_vccz .LBB6_631
; %bb.630:
	global_load_u8 v5, v[0:1], off
	s_waitcnt vmcnt(0)
	v_cmp_ne_u16_e32 vcc_lo, 0, v5
	s_and_b32 s18, vcc_lo, exec_lo
	s_branch .LBB6_632
.LBB6_631:
	s_mov_b32 s0, -1
                                        ; implicit-def: $sgpr18
.LBB6_632:
	s_delay_alu instid0(SALU_CYCLE_1)
	s_and_not1_b32 vcc_lo, exec_lo, s0
	s_cbranch_vccnz .LBB6_634
; %bb.633:
	global_load_u8 v0, v[0:1], off
	s_and_not1_b32 s0, s18, exec_lo
	s_waitcnt vmcnt(0)
	v_cmp_ne_u16_e32 vcc_lo, 0, v0
	s_and_b32 s18, vcc_lo, exec_lo
	s_delay_alu instid0(SALU_CYCLE_1)
	s_or_b32 s18, s0, s18
.LBB6_634:
	s_mov_b32 s0, -1
.LBB6_635:
	s_delay_alu instid0(SALU_CYCLE_1)
	s_and_not1_b32 vcc_lo, exec_lo, s0
	s_cbranch_vccnz .LBB6_643
; %bb.636:
	v_mul_lo_u32 v0, v3, s2
	v_and_b32_e32 v5, 0xff, v2
	s_mov_b32 s19, -1
	s_xor_b32 s17, s18, -1
	s_mov_b32 s18, 0
	s_delay_alu instid0(VALU_DEP_1) | instskip(NEXT) | instid1(VALU_DEP_3)
	v_cmp_gt_i16_e32 vcc_lo, 11, v5
	v_ashrrev_i32_e32 v1, 31, v0
	v_add_co_u32 v0, s0, s4, v0
	s_delay_alu instid0(VALU_DEP_1)
	v_add_co_ci_u32_e64 v1, s0, s5, v1, s0
	s_mov_b32 s0, s14
	s_cbranch_vccnz .LBB6_644
; %bb.637:
	v_cmp_lt_i16_e32 vcc_lo, 25, v5
	s_cbranch_vccz .LBB6_685
; %bb.638:
	v_cmp_lt_i16_e32 vcc_lo, 28, v5
	s_cbranch_vccz .LBB6_686
	;; [unrolled: 3-line block ×4, first 2 shown]
; %bb.641:
	v_cmp_eq_u16_e32 vcc_lo, 46, v5
	s_mov_b32 s19, 0
	s_mov_b32 s0, -1
	s_cbranch_vccz .LBB6_689
; %bb.642:
	v_cndmask_b32_e64 v6, 0, 1.0, s17
	s_mov_b32 s18, -1
	s_mov_b32 s0, 0
	s_delay_alu instid0(VALU_DEP_1) | instskip(NEXT) | instid1(VALU_DEP_1)
	v_bfe_u32 v7, v6, 16, 1
	v_add3_u32 v6, v6, v7, 0x7fff
	s_delay_alu instid0(VALU_DEP_1)
	v_lshrrev_b32_e32 v6, 16, v6
	global_store_b32 v[0:1], v6, off
	s_branch .LBB6_689
.LBB6_643:
	s_mov_b32 s19, 0
	s_mov_b32 s0, s14
	s_branch .LBB6_684
.LBB6_644:
	s_and_b32 vcc_lo, exec_lo, s19
	s_cbranch_vccz .LBB6_758
; %bb.645:
	v_cmp_gt_i16_e32 vcc_lo, 5, v5
	s_mov_b32 s18, -1
	s_cbranch_vccnz .LBB6_666
; %bb.646:
	v_cmp_gt_i16_e32 vcc_lo, 8, v5
	s_cbranch_vccnz .LBB6_656
; %bb.647:
	v_cmp_gt_i16_e32 vcc_lo, 9, v5
	s_cbranch_vccnz .LBB6_653
; %bb.648:
	v_cmp_lt_i16_e32 vcc_lo, 9, v5
	s_cbranch_vccz .LBB6_650
; %bb.649:
	v_cndmask_b32_e64 v6, 0, 1, s17
	v_mov_b32_e32 v8, 0
	s_mov_b32 s18, 0
	s_delay_alu instid0(VALU_DEP_2) | instskip(NEXT) | instid1(VALU_DEP_2)
	v_cvt_f64_u32_e32 v[6:7], v6
	v_mov_b32_e32 v9, v8
	global_store_b128 v[0:1], v[6:9], off
.LBB6_650:
	s_and_not1_b32 vcc_lo, exec_lo, s18
	s_cbranch_vccnz .LBB6_652
; %bb.651:
	v_cndmask_b32_e64 v6, 0, 1.0, s17
	v_mov_b32_e32 v7, 0
	global_store_b64 v[0:1], v[6:7], off
.LBB6_652:
	s_mov_b32 s18, 0
.LBB6_653:
	s_delay_alu instid0(SALU_CYCLE_1)
	s_and_not1_b32 vcc_lo, exec_lo, s18
	s_cbranch_vccnz .LBB6_655
; %bb.654:
	v_cndmask_b32_e64 v6, 0, 1.0, s17
	s_delay_alu instid0(VALU_DEP_1) | instskip(NEXT) | instid1(VALU_DEP_1)
	v_cvt_f16_f32_e32 v6, v6
	v_and_b32_e32 v6, 0xffff, v6
	global_store_b32 v[0:1], v6, off
.LBB6_655:
	s_mov_b32 s18, 0
.LBB6_656:
	s_delay_alu instid0(SALU_CYCLE_1)
	s_and_not1_b32 vcc_lo, exec_lo, s18
	s_cbranch_vccnz .LBB6_665
; %bb.657:
	v_cmp_gt_i16_e32 vcc_lo, 6, v5
	s_mov_b32 s18, -1
	s_cbranch_vccnz .LBB6_663
; %bb.658:
	v_cmp_lt_i16_e32 vcc_lo, 6, v5
	s_cbranch_vccz .LBB6_660
; %bb.659:
	v_cndmask_b32_e64 v6, 0, 1, s17
	s_mov_b32 s18, 0
	s_delay_alu instid0(VALU_DEP_1)
	v_cvt_f64_u32_e32 v[6:7], v6
	global_store_b64 v[0:1], v[6:7], off
.LBB6_660:
	s_and_not1_b32 vcc_lo, exec_lo, s18
	s_cbranch_vccnz .LBB6_662
; %bb.661:
	v_cndmask_b32_e64 v6, 0, 1.0, s17
	global_store_b32 v[0:1], v6, off
.LBB6_662:
	s_mov_b32 s18, 0
.LBB6_663:
	s_delay_alu instid0(SALU_CYCLE_1)
	s_and_not1_b32 vcc_lo, exec_lo, s18
	s_cbranch_vccnz .LBB6_665
; %bb.664:
	v_cndmask_b32_e64 v6, 0, 1.0, s17
	s_delay_alu instid0(VALU_DEP_1)
	v_cvt_f16_f32_e32 v6, v6
	global_store_b16 v[0:1], v6, off
.LBB6_665:
	s_mov_b32 s18, 0
.LBB6_666:
	s_delay_alu instid0(SALU_CYCLE_1)
	s_and_not1_b32 vcc_lo, exec_lo, s18
	s_cbranch_vccnz .LBB6_682
; %bb.667:
	v_cmp_gt_i16_e32 vcc_lo, 2, v5
	s_mov_b32 s18, -1
	s_cbranch_vccnz .LBB6_677
; %bb.668:
	v_cmp_gt_i16_e32 vcc_lo, 3, v5
	s_cbranch_vccnz .LBB6_674
; %bb.669:
	v_cmp_lt_i16_e32 vcc_lo, 3, v5
	s_cbranch_vccz .LBB6_671
; %bb.670:
	s_mov_b32 s18, 0
	v_cndmask_b32_e64 v6, 0, 1, s17
	v_mov_b32_e32 v7, s18
	global_store_b64 v[0:1], v[6:7], off
.LBB6_671:
	s_and_not1_b32 vcc_lo, exec_lo, s18
	s_cbranch_vccnz .LBB6_673
; %bb.672:
	v_cndmask_b32_e64 v6, 0, 1, s17
	global_store_b32 v[0:1], v6, off
.LBB6_673:
	s_mov_b32 s18, 0
.LBB6_674:
	s_delay_alu instid0(SALU_CYCLE_1)
	s_and_not1_b32 vcc_lo, exec_lo, s18
	s_cbranch_vccnz .LBB6_676
; %bb.675:
	v_cndmask_b32_e64 v6, 0, 1, s17
	global_store_b16 v[0:1], v6, off
.LBB6_676:
	s_mov_b32 s18, 0
.LBB6_677:
	s_delay_alu instid0(SALU_CYCLE_1)
	s_and_not1_b32 vcc_lo, exec_lo, s18
	s_cbranch_vccnz .LBB6_682
; %bb.678:
	v_cmp_lt_i16_e32 vcc_lo, 0, v5
	s_mov_b32 s18, -1
	s_cbranch_vccz .LBB6_680
; %bb.679:
	v_cndmask_b32_e64 v5, 0, 1, s17
	s_mov_b32 s18, 0
	global_store_b8 v[0:1], v5, off
.LBB6_680:
	s_and_not1_b32 vcc_lo, exec_lo, s18
	s_cbranch_vccnz .LBB6_682
; %bb.681:
	v_cndmask_b32_e64 v5, 0, 1, s17
	global_store_b8 v[0:1], v5, off
.LBB6_682:
	s_mov_b32 s17, 0
	s_branch .LBB6_759
.LBB6_683:
	s_mov_b32 s19, 0
.LBB6_684:
                                        ; implicit-def: $vgpr3
	s_branch .LBB6_760
.LBB6_685:
	s_mov_b32 s0, s14
	s_branch .LBB6_716
.LBB6_686:
	s_mov_b32 s0, s14
	s_branch .LBB6_699
.LBB6_687:
	s_mov_b32 s0, s14
	s_branch .LBB6_695
.LBB6_688:
	s_mov_b32 s0, s14
.LBB6_689:
	s_and_b32 vcc_lo, exec_lo, s19
	s_cbranch_vccz .LBB6_694
; %bb.690:
	v_cmp_eq_u16_e32 vcc_lo, 44, v5
	s_mov_b32 s0, -1
	s_cbranch_vccz .LBB6_694
; %bb.691:
	v_cndmask_b32_e64 v8, 0, 1.0, s17
	v_mov_b32_e32 v7, 0xff
	s_mov_b32 s18, exec_lo
	s_delay_alu instid0(VALU_DEP_2) | instskip(NEXT) | instid1(VALU_DEP_1)
	v_lshrrev_b32_e32 v6, 23, v8
	v_cmpx_ne_u32_e32 0xff, v6
; %bb.692:
	v_and_b32_e32 v7, 0x400000, v8
	v_and_or_b32 v8, 0x3fffff, v8, v6
	s_delay_alu instid0(VALU_DEP_2) | instskip(NEXT) | instid1(VALU_DEP_2)
	v_cmp_ne_u32_e32 vcc_lo, 0, v7
	v_cmp_ne_u32_e64 s0, 0, v8
	s_delay_alu instid0(VALU_DEP_1) | instskip(NEXT) | instid1(SALU_CYCLE_1)
	s_and_b32 s0, vcc_lo, s0
	v_cndmask_b32_e64 v7, 0, 1, s0
	s_delay_alu instid0(VALU_DEP_1)
	v_add_nc_u32_e32 v7, v6, v7
; %bb.693:
	s_or_b32 exec_lo, exec_lo, s18
	s_mov_b32 s18, -1
	s_mov_b32 s0, 0
	global_store_b8 v[0:1], v7, off
.LBB6_694:
	s_mov_b32 s19, 0
.LBB6_695:
	s_delay_alu instid0(SALU_CYCLE_1)
	s_and_b32 vcc_lo, exec_lo, s19
	s_cbranch_vccz .LBB6_698
; %bb.696:
	v_cmp_eq_u16_e32 vcc_lo, 29, v5
	s_mov_b32 s0, -1
	s_cbranch_vccz .LBB6_698
; %bb.697:
	s_mov_b32 s0, 0
	v_cndmask_b32_e64 v6, 0, 1, s17
	v_mov_b32_e32 v7, s0
	s_mov_b32 s18, -1
	s_mov_b32 s19, 0
	global_store_b64 v[0:1], v[6:7], off
	s_branch .LBB6_699
.LBB6_698:
	s_mov_b32 s19, 0
.LBB6_699:
	s_delay_alu instid0(SALU_CYCLE_1)
	s_and_b32 vcc_lo, exec_lo, s19
	s_cbranch_vccz .LBB6_715
; %bb.700:
	v_cmp_gt_i16_e32 vcc_lo, 27, v5
	s_mov_b32 s18, -1
	s_cbranch_vccnz .LBB6_706
; %bb.701:
	v_cmp_lt_i16_e32 vcc_lo, 27, v5
	s_cbranch_vccz .LBB6_703
; %bb.702:
	v_cndmask_b32_e64 v6, 0, 1, s17
	s_mov_b32 s18, 0
	global_store_b32 v[0:1], v6, off
.LBB6_703:
	s_and_not1_b32 vcc_lo, exec_lo, s18
	s_cbranch_vccnz .LBB6_705
; %bb.704:
	v_cndmask_b32_e64 v6, 0, 1, s17
	global_store_b16 v[0:1], v6, off
.LBB6_705:
	s_mov_b32 s18, 0
.LBB6_706:
	s_delay_alu instid0(SALU_CYCLE_1)
	s_and_not1_b32 vcc_lo, exec_lo, s18
	s_cbranch_vccnz .LBB6_714
; %bb.707:
	v_cndmask_b32_e64 v7, 0, 1.0, s17
	v_mov_b32_e32 v8, 0x80
	s_mov_b32 s18, exec_lo
	s_delay_alu instid0(VALU_DEP_2)
	v_cmpx_gt_u32_e32 0x43800000, v7
	s_cbranch_execz .LBB6_713
; %bb.708:
	s_mov_b32 s19, 0
	s_mov_b32 s20, exec_lo
                                        ; implicit-def: $vgpr6
	v_cmpx_lt_u32_e32 0x3bffffff, v7
	s_xor_b32 s20, exec_lo, s20
	s_cbranch_execz .LBB6_774
; %bb.709:
	v_bfe_u32 v6, v7, 20, 1
	s_mov_b32 s19, exec_lo
	s_delay_alu instid0(VALU_DEP_1) | instskip(NEXT) | instid1(VALU_DEP_1)
	v_add3_u32 v6, v7, v6, 0x487ffff
                                        ; implicit-def: $vgpr7
	v_lshrrev_b32_e32 v6, 20, v6
	s_or_saveexec_b32 s20, s20
                                        ; implicit-def: $sgpr21
	s_delay_alu instid0(SALU_CYCLE_1)
	s_xor_b32 exec_lo, exec_lo, s20
	s_cbranch_execnz .LBB6_775
.LBB6_710:
	s_or_b32 exec_lo, exec_lo, s20
	v_mov_b32_e32 v8, s21
	s_and_saveexec_b32 s20, s19
.LBB6_711:
	v_mov_b32_e32 v8, v6
.LBB6_712:
	s_or_b32 exec_lo, exec_lo, s20
.LBB6_713:
	s_delay_alu instid0(SALU_CYCLE_1)
	s_or_b32 exec_lo, exec_lo, s18
	global_store_b8 v[0:1], v8, off
.LBB6_714:
	s_mov_b32 s18, -1
.LBB6_715:
	s_mov_b32 s19, 0
.LBB6_716:
	s_delay_alu instid0(SALU_CYCLE_1)
	s_and_b32 vcc_lo, exec_lo, s19
	s_cbranch_vccz .LBB6_757
; %bb.717:
	v_cmp_lt_i16_e32 vcc_lo, 22, v5
	s_mov_b32 s19, -1
	s_cbranch_vccz .LBB6_749
; %bb.718:
	v_cmp_gt_i16_e32 vcc_lo, 24, v5
	s_mov_b32 s18, -1
	s_cbranch_vccnz .LBB6_738
; %bb.719:
	v_cmp_lt_i16_e32 vcc_lo, 24, v5
	s_cbranch_vccz .LBB6_727
; %bb.720:
	v_cndmask_b32_e64 v7, 0, 1.0, s17
	v_mov_b32_e32 v8, 0x80
	s_mov_b32 s18, exec_lo
	s_delay_alu instid0(VALU_DEP_2)
	v_cmpx_gt_u32_e32 0x47800000, v7
	s_cbranch_execz .LBB6_726
; %bb.721:
	s_mov_b32 s19, 0
	s_mov_b32 s20, exec_lo
                                        ; implicit-def: $vgpr6
	v_cmpx_lt_u32_e32 0x37ffffff, v7
	s_xor_b32 s20, exec_lo, s20
	s_cbranch_execz .LBB6_777
; %bb.722:
	v_bfe_u32 v6, v7, 21, 1
	s_mov_b32 s19, exec_lo
	s_delay_alu instid0(VALU_DEP_1) | instskip(NEXT) | instid1(VALU_DEP_1)
	v_add3_u32 v6, v7, v6, 0x88fffff
                                        ; implicit-def: $vgpr7
	v_lshrrev_b32_e32 v6, 21, v6
	s_or_saveexec_b32 s20, s20
                                        ; implicit-def: $sgpr21
	s_delay_alu instid0(SALU_CYCLE_1)
	s_xor_b32 exec_lo, exec_lo, s20
	s_cbranch_execnz .LBB6_778
.LBB6_723:
	s_or_b32 exec_lo, exec_lo, s20
	v_mov_b32_e32 v8, s21
	s_and_saveexec_b32 s20, s19
.LBB6_724:
	v_mov_b32_e32 v8, v6
.LBB6_725:
	s_or_b32 exec_lo, exec_lo, s20
.LBB6_726:
	s_delay_alu instid0(SALU_CYCLE_1)
	s_or_b32 exec_lo, exec_lo, s18
	s_mov_b32 s18, 0
	global_store_b8 v[0:1], v8, off
.LBB6_727:
	s_and_b32 vcc_lo, exec_lo, s18
	s_cbranch_vccz .LBB6_737
; %bb.728:
	v_cndmask_b32_e64 v7, 0, 1.0, s17
	s_mov_b32 s18, exec_lo
                                        ; implicit-def: $vgpr6
	s_delay_alu instid0(VALU_DEP_1)
	v_cmpx_gt_u32_e32 0x43f00000, v7
	s_xor_b32 s18, exec_lo, s18
	s_cbranch_execz .LBB6_734
; %bb.729:
	s_mov_b32 s19, exec_lo
                                        ; implicit-def: $vgpr6
	v_cmpx_lt_u32_e32 0x3c7fffff, v7
	s_xor_b32 s19, exec_lo, s19
; %bb.730:
	v_bfe_u32 v6, v7, 20, 1
	s_delay_alu instid0(VALU_DEP_1) | instskip(NEXT) | instid1(VALU_DEP_1)
	v_add3_u32 v6, v7, v6, 0x407ffff
	v_and_b32_e32 v7, 0xff00000, v6
	v_lshrrev_b32_e32 v6, 20, v6
	s_delay_alu instid0(VALU_DEP_2) | instskip(NEXT) | instid1(VALU_DEP_2)
	v_cmp_ne_u32_e32 vcc_lo, 0x7f00000, v7
                                        ; implicit-def: $vgpr7
	v_cndmask_b32_e32 v6, 0x7e, v6, vcc_lo
; %bb.731:
	s_and_not1_saveexec_b32 s19, s19
; %bb.732:
	v_add_f32_e32 v6, 0x46800000, v7
; %bb.733:
	s_or_b32 exec_lo, exec_lo, s19
                                        ; implicit-def: $vgpr7
.LBB6_734:
	s_and_not1_saveexec_b32 s18, s18
; %bb.735:
	v_mov_b32_e32 v6, 0x7f
	v_cmp_lt_u32_e32 vcc_lo, 0x7f800000, v7
	s_delay_alu instid0(VALU_DEP_2)
	v_cndmask_b32_e32 v6, 0x7e, v6, vcc_lo
; %bb.736:
	s_or_b32 exec_lo, exec_lo, s18
	global_store_b8 v[0:1], v6, off
.LBB6_737:
	s_mov_b32 s18, 0
.LBB6_738:
	s_delay_alu instid0(SALU_CYCLE_1)
	s_and_not1_b32 vcc_lo, exec_lo, s18
	s_cbranch_vccnz .LBB6_748
; %bb.739:
	v_cndmask_b32_e64 v7, 0, 1.0, s17
	s_mov_b32 s18, exec_lo
                                        ; implicit-def: $vgpr6
	s_delay_alu instid0(VALU_DEP_1)
	v_cmpx_gt_u32_e32 0x47800000, v7
	s_xor_b32 s18, exec_lo, s18
	s_cbranch_execz .LBB6_745
; %bb.740:
	s_mov_b32 s19, exec_lo
                                        ; implicit-def: $vgpr6
	v_cmpx_lt_u32_e32 0x387fffff, v7
	s_xor_b32 s19, exec_lo, s19
; %bb.741:
	v_bfe_u32 v6, v7, 21, 1
	s_delay_alu instid0(VALU_DEP_1) | instskip(NEXT) | instid1(VALU_DEP_1)
	v_add3_u32 v6, v7, v6, 0x80fffff
                                        ; implicit-def: $vgpr7
	v_lshrrev_b32_e32 v6, 21, v6
; %bb.742:
	s_and_not1_saveexec_b32 s19, s19
; %bb.743:
	v_add_f32_e32 v6, 0x43000000, v7
; %bb.744:
	s_or_b32 exec_lo, exec_lo, s19
                                        ; implicit-def: $vgpr7
.LBB6_745:
	s_and_not1_saveexec_b32 s18, s18
; %bb.746:
	v_mov_b32_e32 v6, 0x7f
	v_cmp_lt_u32_e32 vcc_lo, 0x7f800000, v7
	s_delay_alu instid0(VALU_DEP_2)
	v_cndmask_b32_e32 v6, 0x7c, v6, vcc_lo
; %bb.747:
	s_or_b32 exec_lo, exec_lo, s18
	global_store_b8 v[0:1], v6, off
.LBB6_748:
	s_mov_b32 s19, 0
	s_mov_b32 s18, -1
.LBB6_749:
	s_and_not1_b32 vcc_lo, exec_lo, s19
	s_cbranch_vccnz .LBB6_757
; %bb.750:
	v_cmp_lt_i16_e32 vcc_lo, 14, v5
	s_mov_b32 s19, -1
	s_cbranch_vccz .LBB6_754
; %bb.751:
	v_cmp_eq_u16_e32 vcc_lo, 15, v5
	s_mov_b32 s0, -1
	s_cbranch_vccz .LBB6_753
; %bb.752:
	v_cndmask_b32_e64 v6, 0, 1.0, s17
	s_mov_b32 s18, -1
	s_mov_b32 s0, 0
	s_delay_alu instid0(VALU_DEP_1) | instskip(NEXT) | instid1(VALU_DEP_1)
	v_bfe_u32 v7, v6, 16, 1
	v_add3_u32 v6, v6, v7, 0x7fff
	global_store_d16_hi_b16 v[0:1], v6, off
.LBB6_753:
	s_mov_b32 s19, 0
.LBB6_754:
	s_delay_alu instid0(SALU_CYCLE_1)
	s_and_b32 vcc_lo, exec_lo, s19
	s_cbranch_vccz .LBB6_757
; %bb.755:
	v_cmp_eq_u16_e32 vcc_lo, 11, v5
	s_mov_b32 s0, -1
	s_cbranch_vccz .LBB6_757
; %bb.756:
	v_cndmask_b32_e64 v6, 0, 1, s17
	s_mov_b32 s18, -1
	s_mov_b32 s0, 0
	global_store_b8 v[0:1], v6, off
.LBB6_757:
.LBB6_758:
	s_and_not1_b32 vcc_lo, exec_lo, s18
	s_mov_b32 s17, 0
	s_cbranch_vccnz .LBB6_683
.LBB6_759:
	v_add_nc_u32_e32 v3, 0x80, v3
	s_mov_b32 s19, -1
.LBB6_760:
	s_and_not1_b32 s18, s14, exec_lo
	s_and_b32 s0, s0, exec_lo
	s_and_not1_b32 s20, s13, exec_lo
	s_and_b32 s17, s17, exec_lo
	s_or_b32 s18, s18, s0
	s_or_b32 s17, s20, s17
	s_or_not1_b32 s19, s19, exec_lo
.LBB6_761:
	s_or_b32 exec_lo, exec_lo, s16
	s_mov_b32 s20, 0
	s_mov_b32 s0, 0
	;; [unrolled: 1-line block ×3, first 2 shown]
                                        ; implicit-def: $sgpr22
                                        ; implicit-def: $vgpr0_vgpr1
	s_and_saveexec_b32 s16, s19
	s_cbranch_execz .LBB6_844
; %bb.762:
	v_cmp_gt_i32_e32 vcc_lo, s10, v3
	s_mov_b32 s19, 0
	s_mov_b32 s23, s17
                                        ; implicit-def: $sgpr22
                                        ; implicit-def: $vgpr0_vgpr1
	s_and_saveexec_b32 s10, vcc_lo
	s_cbranch_execz .LBB6_843
; %bb.763:
	v_mul_lo_u32 v0, v3, s3
	v_cmp_gt_i16_e32 vcc_lo, 11, v4
	s_delay_alu instid0(VALU_DEP_2) | instskip(SKIP_1) | instid1(VALU_DEP_1)
	v_ashrrev_i32_e32 v1, 31, v0
	v_add_co_u32 v0, s0, s6, v0
	v_add_co_ci_u32_e64 v1, s0, s7, v1, s0
	s_cbranch_vccnz .LBB6_770
; %bb.764:
	v_cmp_lt_i16_e32 vcc_lo, 25, v4
	s_mov_b32 s0, 0
	s_cbranch_vccz .LBB6_771
; %bb.765:
	v_cmp_lt_i16_e32 vcc_lo, 28, v4
	s_cbranch_vccz .LBB6_772
; %bb.766:
	v_cmp_lt_i16_e32 vcc_lo, 43, v4
	;; [unrolled: 3-line block ×3, first 2 shown]
	s_cbranch_vccz .LBB6_776
; %bb.768:
	v_cmp_eq_u16_e32 vcc_lo, 46, v4
	s_mov_b32 s22, 0
	s_cbranch_vccz .LBB6_779
; %bb.769:
	global_load_b32 v5, v[0:1], off
	s_mov_b32 s21, -1
	s_waitcnt vmcnt(0)
	v_and_b32_e32 v5, 0x7fff7fff, v5
	s_delay_alu instid0(VALU_DEP_1)
	v_cmp_ne_u32_e32 vcc_lo, 0, v5
	s_and_b32 s20, vcc_lo, exec_lo
	s_branch .LBB6_781
.LBB6_770:
	s_mov_b32 s23, -1
	s_mov_b32 s0, 0
	s_mov_b32 s19, s17
                                        ; implicit-def: $sgpr20
	s_branch .LBB6_842
.LBB6_771:
	s_mov_b32 s22, -1
	s_mov_b32 s19, s17
                                        ; implicit-def: $sgpr20
	s_branch .LBB6_808
.LBB6_772:
	s_mov_b32 s22, -1
	s_mov_b32 s19, s17
                                        ; implicit-def: $sgpr20
	s_branch .LBB6_789
.LBB6_773:
	s_mov_b32 s22, -1
	s_mov_b32 s19, s17
                                        ; implicit-def: $sgpr20
	s_branch .LBB6_784
.LBB6_774:
	s_or_saveexec_b32 s20, s20
                                        ; implicit-def: $sgpr21
	s_delay_alu instid0(SALU_CYCLE_1)
	s_xor_b32 exec_lo, exec_lo, s20
	s_cbranch_execz .LBB6_710
.LBB6_775:
	v_add_f32_e32 v6, 0x46000000, v7
	s_and_not1_b32 s19, s19, exec_lo
	s_mov_b32 s21, 0
	s_delay_alu instid0(VALU_DEP_1) | instskip(NEXT) | instid1(VALU_DEP_1)
	v_and_b32_e32 v6, 0xff, v6
	v_cmp_ne_u32_e32 vcc_lo, 0, v6
	s_and_b32 s22, vcc_lo, exec_lo
	s_delay_alu instid0(SALU_CYCLE_1)
	s_or_b32 s19, s19, s22
	s_or_b32 exec_lo, exec_lo, s20
	v_mov_b32_e32 v8, s21
	s_and_saveexec_b32 s20, s19
	s_cbranch_execnz .LBB6_711
	s_branch .LBB6_712
.LBB6_776:
	s_mov_b32 s22, -1
	s_mov_b32 s19, s17
	s_branch .LBB6_780
.LBB6_777:
	s_or_saveexec_b32 s20, s20
                                        ; implicit-def: $sgpr21
	s_delay_alu instid0(SALU_CYCLE_1)
	s_xor_b32 exec_lo, exec_lo, s20
	s_cbranch_execz .LBB6_723
.LBB6_778:
	v_add_f32_e32 v6, 0x42800000, v7
	s_and_not1_b32 s19, s19, exec_lo
	s_mov_b32 s21, 0
	s_delay_alu instid0(VALU_DEP_1) | instskip(NEXT) | instid1(VALU_DEP_1)
	v_and_b32_e32 v6, 0xff, v6
	v_cmp_ne_u32_e32 vcc_lo, 0, v6
	s_and_b32 s22, vcc_lo, exec_lo
	s_delay_alu instid0(SALU_CYCLE_1)
	s_or_b32 s19, s19, s22
	s_or_b32 exec_lo, exec_lo, s20
	v_mov_b32_e32 v8, s21
	s_and_saveexec_b32 s20, s19
	s_cbranch_execnz .LBB6_724
	s_branch .LBB6_725
.LBB6_779:
	s_mov_b32 s19, -1
.LBB6_780:
                                        ; implicit-def: $sgpr20
.LBB6_781:
	s_and_b32 vcc_lo, exec_lo, s22
	s_cbranch_vccz .LBB6_783
; %bb.782:
	v_cmp_ne_u16_e32 vcc_lo, 44, v4
	s_and_not1_b32 s19, s19, exec_lo
	s_mov_b32 s21, -1
	s_or_b32 s20, s20, exec_lo
	s_and_b32 s22, vcc_lo, exec_lo
	s_delay_alu instid0(SALU_CYCLE_1)
	s_or_b32 s19, s19, s22
.LBB6_783:
	s_mov_b32 s22, 0
.LBB6_784:
	s_delay_alu instid0(SALU_CYCLE_1)
	s_and_b32 vcc_lo, exec_lo, s22
	s_cbranch_vccz .LBB6_788
; %bb.785:
	v_cmp_eq_u16_e32 vcc_lo, 29, v4
	s_cbranch_vccz .LBB6_787
; %bb.786:
	global_load_b64 v[5:6], v[0:1], off
	s_mov_b32 s19, 0
	s_mov_b32 s21, -1
	s_mov_b32 s22, 0
	s_waitcnt vmcnt(0)
	v_cmp_ne_u64_e32 vcc_lo, 0, v[5:6]
	s_and_b32 s20, vcc_lo, exec_lo
	s_branch .LBB6_789
.LBB6_787:
	s_mov_b32 s19, -1
                                        ; implicit-def: $sgpr20
.LBB6_788:
	s_mov_b32 s22, 0
.LBB6_789:
	s_delay_alu instid0(SALU_CYCLE_1)
	s_and_b32 vcc_lo, exec_lo, s22
	s_cbranch_vccz .LBB6_807
; %bb.790:
	v_cmp_gt_i16_e32 vcc_lo, 27, v4
	s_cbranch_vccnz .LBB6_793
; %bb.791:
	v_cmp_lt_i16_e32 vcc_lo, 27, v4
	s_cbranch_vccz .LBB6_794
; %bb.792:
	global_load_b32 v5, v[0:1], off
	s_mov_b32 s21, 0
	s_waitcnt vmcnt(0)
	v_cmp_ne_u32_e32 vcc_lo, 0, v5
	s_and_b32 s20, vcc_lo, exec_lo
	s_branch .LBB6_795
.LBB6_793:
	s_mov_b32 s21, -1
                                        ; implicit-def: $sgpr20
	s_branch .LBB6_798
.LBB6_794:
	s_mov_b32 s21, -1
                                        ; implicit-def: $sgpr20
.LBB6_795:
	s_delay_alu instid0(SALU_CYCLE_1)
	s_and_not1_b32 vcc_lo, exec_lo, s21
	s_cbranch_vccnz .LBB6_797
; %bb.796:
	global_load_u16 v5, v[0:1], off
	s_and_not1_b32 s20, s20, exec_lo
	s_waitcnt vmcnt(0)
	v_cmp_ne_u16_e32 vcc_lo, 0, v5
	s_and_b32 s21, vcc_lo, exec_lo
	s_delay_alu instid0(SALU_CYCLE_1)
	s_or_b32 s20, s20, s21
.LBB6_797:
	s_mov_b32 s21, 0
.LBB6_798:
	s_delay_alu instid0(SALU_CYCLE_1)
	s_and_not1_b32 vcc_lo, exec_lo, s21
	s_cbranch_vccnz .LBB6_806
; %bb.799:
	global_load_u8 v5, v[0:1], off
	s_mov_b32 s21, 0
	s_mov_b32 s22, exec_lo
                                        ; implicit-def: $sgpr20
	s_waitcnt vmcnt(0)
	v_cmpx_lt_i16_e32 0x7f, v5
	s_xor_b32 s22, exec_lo, s22
	s_cbranch_execz .LBB6_820
; %bb.800:
	s_mov_b32 s21, -1
	s_mov_b32 s23, exec_lo
                                        ; implicit-def: $sgpr20
	v_cmpx_eq_u16_e32 0x80, v5
; %bb.801:
	s_mov_b32 s20, -1
	s_xor_b32 s21, exec_lo, -1
; %bb.802:
	s_or_b32 exec_lo, exec_lo, s23
	s_delay_alu instid0(SALU_CYCLE_1)
	s_and_b32 s21, s21, exec_lo
	s_and_not1_saveexec_b32 s22, s22
	s_cbranch_execnz .LBB6_821
.LBB6_803:
	s_or_b32 exec_lo, exec_lo, s22
	s_and_saveexec_b32 s22, s21
	s_cbranch_execz .LBB6_805
.LBB6_804:
	v_and_b32_e32 v5, 0xffff, v5
	s_and_not1_b32 s20, s20, exec_lo
	s_delay_alu instid0(VALU_DEP_1) | instskip(NEXT) | instid1(VALU_DEP_1)
	v_and_b32_e32 v6, 7, v5
	v_clz_i32_u32_e32 v7, v6
	s_delay_alu instid0(VALU_DEP_1) | instskip(NEXT) | instid1(VALU_DEP_1)
	v_min_u32_e32 v7, 32, v7
	v_subrev_nc_u32_e32 v8, 28, v7
	v_sub_nc_u32_e32 v7, 29, v7
	s_delay_alu instid0(VALU_DEP_2) | instskip(SKIP_1) | instid1(VALU_DEP_2)
	v_lshlrev_b32_e32 v8, v8, v5
	v_bfe_u32 v5, v5, 3, 4
	v_and_b32_e32 v8, 7, v8
	s_delay_alu instid0(VALU_DEP_2) | instskip(NEXT) | instid1(VALU_DEP_2)
	v_cmp_eq_u32_e32 vcc_lo, 0, v5
	v_dual_cndmask_b32 v5, v5, v7 :: v_dual_cndmask_b32 v6, v6, v8
	s_delay_alu instid0(VALU_DEP_1) | instskip(NEXT) | instid1(VALU_DEP_2)
	v_lshl_add_u32 v5, v5, 23, 0x3b800000
	v_lshlrev_b32_e32 v6, 20, v6
	s_delay_alu instid0(VALU_DEP_1) | instskip(NEXT) | instid1(VALU_DEP_1)
	v_and_or_b32 v5, 0x7f800000, v5, v6
	v_cmp_ne_u32_e32 vcc_lo, 0, v5
	s_and_b32 s21, vcc_lo, exec_lo
	s_delay_alu instid0(SALU_CYCLE_1)
	s_or_b32 s20, s20, s21
.LBB6_805:
	s_or_b32 exec_lo, exec_lo, s22
.LBB6_806:
	s_mov_b32 s21, -1
.LBB6_807:
	s_mov_b32 s22, 0
.LBB6_808:
	s_delay_alu instid0(SALU_CYCLE_1)
	s_and_b32 vcc_lo, exec_lo, s22
	s_cbranch_vccz .LBB6_841
; %bb.809:
	v_cmp_lt_i16_e32 vcc_lo, 22, v4
	s_cbranch_vccz .LBB6_819
; %bb.810:
	v_cmp_gt_i16_e32 vcc_lo, 24, v4
	s_cbranch_vccnz .LBB6_822
; %bb.811:
	v_cmp_lt_i16_e32 vcc_lo, 24, v4
	s_cbranch_vccz .LBB6_823
; %bb.812:
	global_load_u8 v5, v[0:1], off
	s_mov_b32 s21, exec_lo
                                        ; implicit-def: $sgpr20
	s_waitcnt vmcnt(0)
	v_cmpx_lt_i16_e32 0x7f, v5
	s_xor_b32 s21, exec_lo, s21
	s_cbranch_execz .LBB6_835
; %bb.813:
	s_mov_b32 s0, -1
	s_mov_b32 s22, exec_lo
                                        ; implicit-def: $sgpr20
	v_cmpx_eq_u16_e32 0x80, v5
; %bb.814:
	s_mov_b32 s20, -1
	s_xor_b32 s0, exec_lo, -1
; %bb.815:
	s_or_b32 exec_lo, exec_lo, s22
	s_delay_alu instid0(SALU_CYCLE_1)
	s_and_b32 s0, s0, exec_lo
	s_and_not1_saveexec_b32 s21, s21
	s_cbranch_execnz .LBB6_836
.LBB6_816:
	s_or_b32 exec_lo, exec_lo, s21
	s_and_saveexec_b32 s21, s0
	s_cbranch_execz .LBB6_818
.LBB6_817:
	v_and_b32_e32 v5, 0xffff, v5
	s_and_not1_b32 s0, s20, exec_lo
	s_delay_alu instid0(VALU_DEP_1) | instskip(NEXT) | instid1(VALU_DEP_1)
	v_and_b32_e32 v6, 3, v5
	v_clz_i32_u32_e32 v7, v6
	s_delay_alu instid0(VALU_DEP_1) | instskip(NEXT) | instid1(VALU_DEP_1)
	v_min_u32_e32 v7, 32, v7
	v_subrev_nc_u32_e32 v8, 29, v7
	v_sub_nc_u32_e32 v7, 30, v7
	s_delay_alu instid0(VALU_DEP_2) | instskip(SKIP_1) | instid1(VALU_DEP_2)
	v_lshlrev_b32_e32 v8, v8, v5
	v_bfe_u32 v5, v5, 2, 5
	v_and_b32_e32 v8, 3, v8
	s_delay_alu instid0(VALU_DEP_2) | instskip(NEXT) | instid1(VALU_DEP_2)
	v_cmp_eq_u32_e32 vcc_lo, 0, v5
	v_dual_cndmask_b32 v5, v5, v7 :: v_dual_cndmask_b32 v6, v6, v8
	s_delay_alu instid0(VALU_DEP_1) | instskip(NEXT) | instid1(VALU_DEP_2)
	v_lshl_add_u32 v5, v5, 23, 0x37800000
	v_lshlrev_b32_e32 v6, 21, v6
	s_delay_alu instid0(VALU_DEP_1) | instskip(NEXT) | instid1(VALU_DEP_1)
	v_and_or_b32 v5, 0x7f800000, v5, v6
	v_cmp_ne_u32_e32 vcc_lo, 0, v5
	s_and_b32 s20, vcc_lo, exec_lo
	s_delay_alu instid0(SALU_CYCLE_1)
	s_or_b32 s20, s0, s20
.LBB6_818:
	s_or_b32 exec_lo, exec_lo, s21
	s_mov_b32 s0, 0
	s_branch .LBB6_824
.LBB6_819:
	s_mov_b32 s0, -1
                                        ; implicit-def: $sgpr20
	s_branch .LBB6_830
.LBB6_820:
	s_and_not1_saveexec_b32 s22, s22
	s_cbranch_execz .LBB6_803
.LBB6_821:
	v_cmp_ne_u16_e32 vcc_lo, 0, v5
	s_and_not1_b32 s21, s21, exec_lo
	s_and_not1_b32 s20, s20, exec_lo
	s_and_b32 s23, vcc_lo, exec_lo
	s_delay_alu instid0(SALU_CYCLE_1)
	s_or_b32 s21, s21, s23
	s_or_b32 exec_lo, exec_lo, s22
	s_and_saveexec_b32 s22, s21
	s_cbranch_execnz .LBB6_804
	s_branch .LBB6_805
.LBB6_822:
	s_mov_b32 s0, -1
                                        ; implicit-def: $sgpr20
	s_branch .LBB6_827
.LBB6_823:
	s_mov_b32 s0, -1
                                        ; implicit-def: $sgpr20
.LBB6_824:
	s_delay_alu instid0(SALU_CYCLE_1)
	s_and_b32 vcc_lo, exec_lo, s0
	s_cbranch_vccz .LBB6_826
; %bb.825:
	global_load_u8 v5, v[0:1], off
	s_and_not1_b32 s20, s20, exec_lo
	s_waitcnt vmcnt(0)
	v_lshlrev_b32_e32 v5, 24, v5
	s_delay_alu instid0(VALU_DEP_1) | instskip(NEXT) | instid1(VALU_DEP_1)
	v_and_b32_e32 v5, 0x7f000000, v5
	v_clz_i32_u32_e32 v6, v5
	v_add_nc_u32_e32 v8, 0x1000000, v5
	v_cmp_ne_u32_e32 vcc_lo, 0, v5
	s_delay_alu instid0(VALU_DEP_3) | instskip(NEXT) | instid1(VALU_DEP_3)
	v_min_u32_e32 v6, 32, v6
	v_ashrrev_i32_e32 v8, 8, v8
	s_delay_alu instid0(VALU_DEP_2) | instskip(NEXT) | instid1(VALU_DEP_1)
	v_sub_nc_u32_e64 v6, v6, 4 clamp
	v_lshlrev_b32_e32 v7, v6, v5
	v_lshlrev_b32_e32 v6, 23, v6
	s_delay_alu instid0(VALU_DEP_2) | instskip(NEXT) | instid1(VALU_DEP_1)
	v_lshrrev_b32_e32 v7, 4, v7
	v_sub_nc_u32_e32 v6, v7, v6
	v_and_b32_e32 v7, 0x7f800000, v8
	s_delay_alu instid0(VALU_DEP_2) | instskip(NEXT) | instid1(VALU_DEP_1)
	v_add_nc_u32_e32 v6, 0x3c000000, v6
	v_and_or_b32 v6, 0x7ff00000, v6, v7
	s_delay_alu instid0(VALU_DEP_1) | instskip(NEXT) | instid1(VALU_DEP_1)
	v_cmp_ne_u32_e64 s0, 0, v6
	s_and_b32 s0, vcc_lo, s0
	s_delay_alu instid0(SALU_CYCLE_1) | instskip(NEXT) | instid1(SALU_CYCLE_1)
	s_and_b32 s0, s0, exec_lo
	s_or_b32 s20, s20, s0
.LBB6_826:
	s_mov_b32 s0, 0
.LBB6_827:
	s_delay_alu instid0(SALU_CYCLE_1)
	s_and_not1_b32 vcc_lo, exec_lo, s0
	s_cbranch_vccnz .LBB6_829
; %bb.828:
	global_load_u8 v5, v[0:1], off
	s_and_not1_b32 s0, s20, exec_lo
	s_waitcnt vmcnt(0)
	v_lshlrev_b32_e32 v6, 25, v5
	v_lshlrev_b32_e32 v5, 8, v5
	s_delay_alu instid0(VALU_DEP_2) | instskip(NEXT) | instid1(VALU_DEP_2)
	v_lshrrev_b32_e32 v7, 4, v6
	v_and_or_b32 v5, 0x7f00, v5, 0.5
	s_delay_alu instid0(VALU_DEP_2) | instskip(NEXT) | instid1(VALU_DEP_2)
	v_or_b32_e32 v7, 0x70000000, v7
	v_add_f32_e32 v5, -0.5, v5
	s_delay_alu instid0(VALU_DEP_2) | instskip(SKIP_1) | instid1(VALU_DEP_2)
	v_mul_f32_e32 v7, 0x7800000, v7
	v_cmp_gt_u32_e32 vcc_lo, 0x8000000, v6
	v_cndmask_b32_e32 v5, v7, v5, vcc_lo
	s_delay_alu instid0(VALU_DEP_1) | instskip(SKIP_1) | instid1(SALU_CYCLE_1)
	v_cmp_neq_f32_e32 vcc_lo, 0, v5
	s_and_b32 s20, vcc_lo, exec_lo
	s_or_b32 s20, s0, s20
.LBB6_829:
	s_mov_b32 s0, 0
	s_mov_b32 s21, -1
.LBB6_830:
	s_and_not1_b32 vcc_lo, exec_lo, s0
	s_mov_b32 s0, 0
	s_cbranch_vccnz .LBB6_841
; %bb.831:
	v_cmp_lt_i16_e32 vcc_lo, 14, v4
	s_cbranch_vccz .LBB6_834
; %bb.832:
	v_cmp_eq_u16_e32 vcc_lo, 15, v4
	s_cbranch_vccz .LBB6_837
; %bb.833:
	global_load_u16 v5, v[0:1], off
	s_mov_b32 s19, 0
	s_mov_b32 s21, -1
	s_waitcnt vmcnt(0)
	v_and_b32_e32 v5, 0x7fff, v5
	s_delay_alu instid0(VALU_DEP_1)
	v_cmp_ne_u16_e32 vcc_lo, 0, v5
	s_and_b32 s20, vcc_lo, exec_lo
	s_branch .LBB6_839
.LBB6_834:
	s_mov_b32 s0, -1
	s_branch .LBB6_838
.LBB6_835:
	s_and_not1_saveexec_b32 s21, s21
	s_cbranch_execz .LBB6_816
.LBB6_836:
	v_cmp_ne_u16_e32 vcc_lo, 0, v5
	s_and_not1_b32 s0, s0, exec_lo
	s_and_not1_b32 s20, s20, exec_lo
	s_and_b32 s22, vcc_lo, exec_lo
	s_delay_alu instid0(SALU_CYCLE_1)
	s_or_b32 s0, s0, s22
	s_or_b32 exec_lo, exec_lo, s21
	s_and_saveexec_b32 s21, s0
	s_cbranch_execnz .LBB6_817
	s_branch .LBB6_818
.LBB6_837:
	s_mov_b32 s19, -1
.LBB6_838:
                                        ; implicit-def: $sgpr20
.LBB6_839:
	s_and_b32 vcc_lo, exec_lo, s0
	s_mov_b32 s0, 0
	s_cbranch_vccz .LBB6_841
; %bb.840:
	v_cmp_ne_u16_e32 vcc_lo, 11, v4
	s_and_not1_b32 s19, s19, exec_lo
	s_mov_b32 s0, -1
	s_and_not1_b32 s20, s20, exec_lo
	s_and_b32 s22, vcc_lo, exec_lo
	s_delay_alu instid0(SALU_CYCLE_1)
	s_or_b32 s19, s19, s22
.LBB6_841:
	s_mov_b32 s23, 0
.LBB6_842:
	s_and_b32 s22, s20, exec_lo
	s_and_b32 s20, s23, exec_lo
	s_and_not1_b32 s23, s17, exec_lo
	s_and_b32 s24, s19, exec_lo
	s_and_b32 s21, s21, exec_lo
	;; [unrolled: 1-line block ×3, first 2 shown]
	s_or_b32 s23, s23, s24
.LBB6_843:
	s_or_b32 exec_lo, exec_lo, s10
	s_delay_alu instid0(SALU_CYCLE_1)
	s_and_not1_b32 s10, s17, exec_lo
	s_and_b32 s17, s23, exec_lo
	s_and_b32 s22, s22, exec_lo
	;; [unrolled: 1-line block ×5, first 2 shown]
	s_or_b32 s17, s10, s17
.LBB6_844:
	s_or_b32 exec_lo, exec_lo, s16
	s_delay_alu instid0(SALU_CYCLE_1)
	s_and_not1_b32 s10, s14, exec_lo
	s_and_b32 s14, s18, exec_lo
	s_and_b32 s19, s22, exec_lo
	s_or_b32 s14, s10, s14
	s_and_not1_b32 s10, s13, exec_lo
	s_and_b32 s13, s17, exec_lo
	s_and_b32 s18, s21, exec_lo
	s_and_b32 s0, s0, exec_lo
	s_and_b32 s16, s20, exec_lo
	s_or_b32 s13, s10, s13
.LBB6_845:
	s_or_b32 exec_lo, exec_lo, s15
	s_delay_alu instid0(SALU_CYCLE_1)
	s_and_not1_b32 s9, s9, exec_lo
	s_and_b32 s10, s14, exec_lo
	s_and_b32 s14, s19, exec_lo
	s_or_b32 s9, s9, s10
	s_and_not1_b32 s10, s11, exec_lo
	s_and_b32 s11, s13, exec_lo
	s_and_b32 s15, s18, exec_lo
	;; [unrolled: 1-line block ×4, first 2 shown]
	s_or_b32 s11, s10, s11
.LBB6_846:
	s_or_b32 exec_lo, exec_lo, s12
	s_mov_b32 s10, 0
	s_and_saveexec_b32 s12, s11
	s_cbranch_execnz .LBB6_858
; %bb.847:
	s_or_b32 exec_lo, exec_lo, s12
	s_and_saveexec_b32 s11, s13
	s_delay_alu instid0(SALU_CYCLE_1)
	s_xor_b32 s11, exec_lo, s11
	s_cbranch_execz .LBB6_849
.LBB6_848:
	global_load_u8 v5, v[0:1], off
	s_and_not1_b32 s12, s14, exec_lo
	s_or_b32 s15, s15, exec_lo
	s_waitcnt vmcnt(0)
	v_cmp_ne_u16_e32 vcc_lo, 0, v5
	s_and_b32 s13, vcc_lo, exec_lo
	s_delay_alu instid0(SALU_CYCLE_1)
	s_or_b32 s14, s12, s13
.LBB6_849:
	s_or_b32 exec_lo, exec_lo, s11
	s_and_saveexec_b32 s11, s0
	s_cbranch_execz .LBB6_897
; %bb.850:
	v_cmp_gt_i16_e32 vcc_lo, 5, v4
	s_cbranch_vccnz .LBB6_855
; %bb.851:
	v_cmp_gt_i16_e32 vcc_lo, 8, v4
	s_cbranch_vccnz .LBB6_856
	;; [unrolled: 3-line block ×3, first 2 shown]
; %bb.853:
	v_cmp_lt_i16_e32 vcc_lo, 9, v4
	s_cbranch_vccz .LBB6_860
; %bb.854:
	global_load_b128 v[5:8], v[0:1], off
	s_mov_b32 s12, 0
	s_waitcnt vmcnt(0)
	v_cmp_neq_f64_e32 vcc_lo, 0, v[5:6]
	v_cmp_neq_f64_e64 s0, 0, v[7:8]
	s_delay_alu instid0(VALU_DEP_1) | instskip(NEXT) | instid1(SALU_CYCLE_1)
	s_or_b32 s0, vcc_lo, s0
	s_and_b32 s0, s0, exec_lo
	s_branch .LBB6_861
.LBB6_855:
                                        ; implicit-def: $sgpr0
	s_branch .LBB6_878
.LBB6_856:
                                        ; implicit-def: $sgpr0
	s_branch .LBB6_867
.LBB6_857:
	s_mov_b32 s12, -1
                                        ; implicit-def: $sgpr0
	s_branch .LBB6_864
.LBB6_858:
	s_cbranch_execnz .LBB6_1076
; %bb.859:
	s_mov_b32 s10, exec_lo
	s_and_not1_b32 s14, s14, exec_lo
	s_and_not1_b32 s15, s15, exec_lo
	s_and_not1_b32 s13, s13, exec_lo
	s_or_b32 exec_lo, exec_lo, s12
	s_and_saveexec_b32 s11, s13
	s_delay_alu instid0(SALU_CYCLE_1)
	s_xor_b32 s11, exec_lo, s11
	s_cbranch_execnz .LBB6_848
	s_branch .LBB6_849
.LBB6_860:
	s_mov_b32 s12, -1
                                        ; implicit-def: $sgpr0
.LBB6_861:
	s_delay_alu instid0(SALU_CYCLE_1)
	s_and_not1_b32 vcc_lo, exec_lo, s12
	s_cbranch_vccnz .LBB6_863
; %bb.862:
	global_load_b64 v[5:6], v[0:1], off
	s_and_not1_b32 s0, s0, exec_lo
	s_waitcnt vmcnt(0)
	v_or_b32_e32 v5, v5, v6
	s_delay_alu instid0(VALU_DEP_1) | instskip(NEXT) | instid1(VALU_DEP_1)
	v_and_b32_e32 v5, 0x7fffffff, v5
	v_cmp_ne_u32_e32 vcc_lo, 0, v5
	s_and_b32 s12, vcc_lo, exec_lo
	s_delay_alu instid0(SALU_CYCLE_1)
	s_or_b32 s0, s0, s12
.LBB6_863:
	s_mov_b32 s12, 0
.LBB6_864:
	s_delay_alu instid0(SALU_CYCLE_1)
	s_and_not1_b32 vcc_lo, exec_lo, s12
	s_cbranch_vccnz .LBB6_866
; %bb.865:
	global_load_b32 v5, v[0:1], off
	s_and_not1_b32 s0, s0, exec_lo
	s_waitcnt vmcnt(0)
	v_and_b32_e32 v5, 0x7fff7fff, v5
	s_delay_alu instid0(VALU_DEP_1) | instskip(SKIP_1) | instid1(SALU_CYCLE_1)
	v_cmp_ne_u32_e32 vcc_lo, 0, v5
	s_and_b32 s12, vcc_lo, exec_lo
	s_or_b32 s0, s0, s12
.LBB6_866:
	s_cbranch_execnz .LBB6_877
.LBB6_867:
	v_cmp_gt_i16_e32 vcc_lo, 6, v4
	s_cbranch_vccnz .LBB6_870
; %bb.868:
	v_cmp_lt_i16_e32 vcc_lo, 6, v4
	s_cbranch_vccz .LBB6_871
; %bb.869:
	global_load_b64 v[5:6], v[0:1], off
	s_mov_b32 s12, 0
	s_waitcnt vmcnt(0)
	v_cmp_neq_f64_e32 vcc_lo, 0, v[5:6]
	s_and_b32 s0, vcc_lo, exec_lo
	s_branch .LBB6_872
.LBB6_870:
	s_mov_b32 s12, -1
                                        ; implicit-def: $sgpr0
	s_branch .LBB6_875
.LBB6_871:
	s_mov_b32 s12, -1
                                        ; implicit-def: $sgpr0
.LBB6_872:
	s_delay_alu instid0(SALU_CYCLE_1)
	s_and_not1_b32 vcc_lo, exec_lo, s12
	s_cbranch_vccnz .LBB6_874
; %bb.873:
	global_load_b32 v5, v[0:1], off
	s_and_not1_b32 s0, s0, exec_lo
	s_waitcnt vmcnt(0)
	v_cmp_neq_f32_e32 vcc_lo, 0, v5
	s_and_b32 s12, vcc_lo, exec_lo
	s_delay_alu instid0(SALU_CYCLE_1)
	s_or_b32 s0, s0, s12
.LBB6_874:
	s_mov_b32 s12, 0
.LBB6_875:
	s_delay_alu instid0(SALU_CYCLE_1)
	s_and_not1_b32 vcc_lo, exec_lo, s12
	s_cbranch_vccnz .LBB6_877
; %bb.876:
	global_load_u16 v5, v[0:1], off
	s_and_not1_b32 s0, s0, exec_lo
	s_waitcnt vmcnt(0)
	v_and_b32_e32 v5, 0x7fff, v5
	s_delay_alu instid0(VALU_DEP_1) | instskip(SKIP_1) | instid1(SALU_CYCLE_1)
	v_cmp_ne_u16_e32 vcc_lo, 0, v5
	s_and_b32 s12, vcc_lo, exec_lo
	s_or_b32 s0, s0, s12
.LBB6_877:
	s_cbranch_execnz .LBB6_896
.LBB6_878:
	v_cmp_gt_i16_e32 vcc_lo, 2, v4
	s_cbranch_vccnz .LBB6_882
; %bb.879:
	v_cmp_gt_i16_e32 vcc_lo, 3, v4
	s_cbranch_vccnz .LBB6_883
; %bb.880:
	v_cmp_lt_i16_e32 vcc_lo, 3, v4
	s_cbranch_vccz .LBB6_884
; %bb.881:
	global_load_b64 v[5:6], v[0:1], off
	s_mov_b32 s12, 0
	s_waitcnt vmcnt(0)
	v_cmp_ne_u64_e32 vcc_lo, 0, v[5:6]
	s_and_b32 s0, vcc_lo, exec_lo
	s_branch .LBB6_885
.LBB6_882:
                                        ; implicit-def: $sgpr0
	s_branch .LBB6_891
.LBB6_883:
	s_mov_b32 s12, -1
                                        ; implicit-def: $sgpr0
	s_branch .LBB6_888
.LBB6_884:
	s_mov_b32 s12, -1
                                        ; implicit-def: $sgpr0
.LBB6_885:
	s_delay_alu instid0(SALU_CYCLE_1)
	s_and_not1_b32 vcc_lo, exec_lo, s12
	s_cbranch_vccnz .LBB6_887
; %bb.886:
	global_load_b32 v5, v[0:1], off
	s_and_not1_b32 s0, s0, exec_lo
	s_waitcnt vmcnt(0)
	v_cmp_ne_u32_e32 vcc_lo, 0, v5
	s_and_b32 s12, vcc_lo, exec_lo
	s_delay_alu instid0(SALU_CYCLE_1)
	s_or_b32 s0, s0, s12
.LBB6_887:
	s_mov_b32 s12, 0
.LBB6_888:
	s_delay_alu instid0(SALU_CYCLE_1)
	s_and_not1_b32 vcc_lo, exec_lo, s12
	s_cbranch_vccnz .LBB6_890
; %bb.889:
	global_load_u16 v5, v[0:1], off
	s_and_not1_b32 s0, s0, exec_lo
	s_waitcnt vmcnt(0)
	v_cmp_ne_u16_e32 vcc_lo, 0, v5
	s_and_b32 s12, vcc_lo, exec_lo
	s_delay_alu instid0(SALU_CYCLE_1)
	s_or_b32 s0, s0, s12
.LBB6_890:
	s_cbranch_execnz .LBB6_896
.LBB6_891:
	v_cmp_lt_i16_e32 vcc_lo, 0, v4
	s_mov_b32 s12, 0
	s_cbranch_vccz .LBB6_893
; %bb.892:
	global_load_u8 v4, v[0:1], off
	s_waitcnt vmcnt(0)
	v_cmp_ne_u16_e32 vcc_lo, 0, v4
	s_and_b32 s0, vcc_lo, exec_lo
	s_branch .LBB6_894
.LBB6_893:
	s_mov_b32 s12, -1
                                        ; implicit-def: $sgpr0
.LBB6_894:
	s_delay_alu instid0(SALU_CYCLE_1)
	s_and_not1_b32 vcc_lo, exec_lo, s12
	s_cbranch_vccnz .LBB6_896
; %bb.895:
	global_load_u8 v0, v[0:1], off
	s_and_not1_b32 s0, s0, exec_lo
	s_waitcnt vmcnt(0)
	v_cmp_ne_u16_e32 vcc_lo, 0, v0
	s_and_b32 s12, vcc_lo, exec_lo
	s_delay_alu instid0(SALU_CYCLE_1)
	s_or_b32 s0, s0, s12
.LBB6_896:
	s_and_not1_b32 s12, s14, exec_lo
	s_and_b32 s0, s0, exec_lo
	s_or_b32 s15, s15, exec_lo
	s_or_b32 s14, s12, s0
.LBB6_897:
	s_or_b32 exec_lo, exec_lo, s11
	s_mov_b32 s0, 0
	s_mov_b32 s13, 0
                                        ; implicit-def: $sgpr12
                                        ; implicit-def: $vgpr4
                                        ; implicit-def: $vgpr0_vgpr1
	s_and_saveexec_b32 s11, s15
	s_cbranch_execz .LBB6_974
; %bb.898:
	v_mul_lo_u32 v0, v3, s2
	v_and_b32_e32 v4, 0xff, v2
	s_mov_b32 s13, -1
	s_xor_b32 s12, s14, -1
	s_mov_b32 s14, 0
	s_delay_alu instid0(VALU_DEP_1) | instskip(NEXT) | instid1(VALU_DEP_3)
	v_cmp_gt_i16_e32 vcc_lo, 11, v4
	v_ashrrev_i32_e32 v1, 31, v0
	v_add_co_u32 v0, s0, s4, v0
	s_delay_alu instid0(VALU_DEP_1)
	v_add_co_ci_u32_e64 v1, s0, s5, v1, s0
	s_mov_b32 s0, s9
	s_cbranch_vccnz .LBB6_973
; %bb.899:
	v_cmp_lt_i16_e32 vcc_lo, 25, v4
	s_mov_b32 s0, s9
	s_cbranch_vccz .LBB6_932
; %bb.900:
	v_cmp_lt_i16_e32 vcc_lo, 28, v4
	s_mov_b32 s0, s9
	s_cbranch_vccz .LBB6_916
	;; [unrolled: 4-line block ×4, first 2 shown]
; %bb.903:
	v_cmp_eq_u16_e32 vcc_lo, 46, v4
	s_mov_b32 s0, -1
	s_cbranch_vccz .LBB6_905
; %bb.904:
	v_cndmask_b32_e64 v2, 0, 1.0, s12
	s_mov_b32 s0, 0
	s_delay_alu instid0(VALU_DEP_1) | instskip(NEXT) | instid1(VALU_DEP_1)
	v_bfe_u32 v3, v2, 16, 1
	v_add3_u32 v2, v2, v3, 0x7fff
	s_delay_alu instid0(VALU_DEP_1)
	v_lshrrev_b32_e32 v2, 16, v2
	global_store_b32 v[0:1], v2, off
.LBB6_905:
	s_mov_b32 s13, 0
.LBB6_906:
	s_delay_alu instid0(SALU_CYCLE_1)
	s_and_b32 vcc_lo, exec_lo, s13
	s_cbranch_vccz .LBB6_911
; %bb.907:
	v_cmp_eq_u16_e32 vcc_lo, 44, v4
	s_mov_b32 s0, -1
	s_cbranch_vccz .LBB6_911
; %bb.908:
	v_cndmask_b32_e64 v5, 0, 1.0, s12
	v_mov_b32_e32 v3, 0xff
	s_mov_b32 s13, exec_lo
	s_delay_alu instid0(VALU_DEP_2) | instskip(NEXT) | instid1(VALU_DEP_1)
	v_lshrrev_b32_e32 v2, 23, v5
	v_cmpx_ne_u32_e32 0xff, v2
; %bb.909:
	v_and_b32_e32 v3, 0x400000, v5
	v_and_or_b32 v5, 0x3fffff, v5, v2
	s_delay_alu instid0(VALU_DEP_2) | instskip(NEXT) | instid1(VALU_DEP_2)
	v_cmp_ne_u32_e32 vcc_lo, 0, v3
	v_cmp_ne_u32_e64 s0, 0, v5
	s_delay_alu instid0(VALU_DEP_1) | instskip(NEXT) | instid1(SALU_CYCLE_1)
	s_and_b32 s0, vcc_lo, s0
	v_cndmask_b32_e64 v3, 0, 1, s0
	s_delay_alu instid0(VALU_DEP_1)
	v_add_nc_u32_e32 v3, v2, v3
; %bb.910:
	s_or_b32 exec_lo, exec_lo, s13
	s_mov_b32 s0, 0
	global_store_b8 v[0:1], v3, off
.LBB6_911:
	s_mov_b32 s13, 0
.LBB6_912:
	s_delay_alu instid0(SALU_CYCLE_1)
	s_and_b32 vcc_lo, exec_lo, s13
	s_cbranch_vccz .LBB6_915
; %bb.913:
	v_cmp_eq_u16_e32 vcc_lo, 29, v4
	s_mov_b32 s0, -1
	s_cbranch_vccz .LBB6_915
; %bb.914:
	s_mov_b32 s0, 0
	v_cndmask_b32_e64 v2, 0, 1, s12
	v_mov_b32_e32 v3, s0
	global_store_b64 v[0:1], v[2:3], off
.LBB6_915:
	s_mov_b32 s13, 0
.LBB6_916:
	s_delay_alu instid0(SALU_CYCLE_1)
	s_and_b32 vcc_lo, exec_lo, s13
	s_cbranch_vccz .LBB6_931
; %bb.917:
	v_cmp_gt_i16_e32 vcc_lo, 27, v4
	s_mov_b32 s13, -1
	s_cbranch_vccnz .LBB6_923
; %bb.918:
	v_cmp_lt_i16_e32 vcc_lo, 27, v4
	v_cndmask_b32_e64 v2, 0, 1, s12
	s_cbranch_vccz .LBB6_920
; %bb.919:
	s_mov_b32 s13, 0
	global_store_b32 v[0:1], v2, off
.LBB6_920:
	s_and_not1_b32 vcc_lo, exec_lo, s13
	s_cbranch_vccnz .LBB6_922
; %bb.921:
	global_store_b16 v[0:1], v2, off
.LBB6_922:
	s_mov_b32 s13, 0
.LBB6_923:
	s_delay_alu instid0(SALU_CYCLE_1)
	s_and_not1_b32 vcc_lo, exec_lo, s13
	s_cbranch_vccnz .LBB6_931
; %bb.924:
	v_cndmask_b32_e64 v3, 0, 1.0, s12
	v_mov_b32_e32 v5, 0x80
	s_mov_b32 s13, exec_lo
	s_delay_alu instid0(VALU_DEP_2)
	v_cmpx_gt_u32_e32 0x43800000, v3
	s_cbranch_execz .LBB6_930
; %bb.925:
	s_mov_b32 s15, exec_lo
                                        ; implicit-def: $vgpr2
	v_cmpx_lt_u32_e32 0x3bffffff, v3
	s_xor_b32 s15, exec_lo, s15
	s_cbranch_execz .LBB6_1165
; %bb.926:
	v_bfe_u32 v2, v3, 20, 1
	s_mov_b32 s14, exec_lo
	s_delay_alu instid0(VALU_DEP_1) | instskip(NEXT) | instid1(VALU_DEP_1)
	v_add3_u32 v2, v3, v2, 0x487ffff
                                        ; implicit-def: $vgpr3
	v_lshrrev_b32_e32 v2, 20, v2
	s_or_saveexec_b32 s15, s15
                                        ; implicit-def: $sgpr16
	s_delay_alu instid0(SALU_CYCLE_1)
	s_xor_b32 exec_lo, exec_lo, s15
	s_cbranch_execnz .LBB6_1166
.LBB6_927:
	s_or_b32 exec_lo, exec_lo, s15
	v_mov_b32_e32 v5, s16
	s_and_saveexec_b32 s15, s14
.LBB6_928:
	v_mov_b32_e32 v5, v2
.LBB6_929:
	s_or_b32 exec_lo, exec_lo, s15
.LBB6_930:
	s_delay_alu instid0(SALU_CYCLE_1)
	s_or_b32 exec_lo, exec_lo, s13
	global_store_b8 v[0:1], v5, off
.LBB6_931:
	s_mov_b32 s13, 0
.LBB6_932:
	s_delay_alu instid0(SALU_CYCLE_1)
	s_and_b32 vcc_lo, exec_lo, s13
	s_mov_b32 s13, 0
	s_cbranch_vccz .LBB6_972
; %bb.933:
	v_cmp_lt_i16_e32 vcc_lo, 22, v4
	s_mov_b32 s14, -1
	s_cbranch_vccz .LBB6_965
; %bb.934:
	v_cmp_gt_i16_e32 vcc_lo, 24, v4
	s_cbranch_vccnz .LBB6_954
; %bb.935:
	v_cmp_lt_i16_e32 vcc_lo, 24, v4
	s_cbranch_vccz .LBB6_943
; %bb.936:
	v_cndmask_b32_e64 v3, 0, 1.0, s12
	v_mov_b32_e32 v5, 0x80
	s_mov_b32 s14, exec_lo
	s_delay_alu instid0(VALU_DEP_2)
	v_cmpx_gt_u32_e32 0x47800000, v3
	s_cbranch_execz .LBB6_942
; %bb.937:
	s_mov_b32 s15, 0
	s_mov_b32 s16, exec_lo
                                        ; implicit-def: $vgpr2
	v_cmpx_lt_u32_e32 0x37ffffff, v3
	s_xor_b32 s16, exec_lo, s16
	s_cbranch_execz .LBB6_1209
; %bb.938:
	v_bfe_u32 v2, v3, 21, 1
	s_mov_b32 s15, exec_lo
	s_delay_alu instid0(VALU_DEP_1) | instskip(NEXT) | instid1(VALU_DEP_1)
	v_add3_u32 v2, v3, v2, 0x88fffff
                                        ; implicit-def: $vgpr3
	v_lshrrev_b32_e32 v2, 21, v2
	s_or_saveexec_b32 s16, s16
                                        ; implicit-def: $sgpr17
	s_delay_alu instid0(SALU_CYCLE_1)
	s_xor_b32 exec_lo, exec_lo, s16
	s_cbranch_execnz .LBB6_1210
.LBB6_939:
	s_or_b32 exec_lo, exec_lo, s16
	v_mov_b32_e32 v5, s17
	s_and_saveexec_b32 s16, s15
.LBB6_940:
	v_mov_b32_e32 v5, v2
.LBB6_941:
	s_or_b32 exec_lo, exec_lo, s16
.LBB6_942:
	s_delay_alu instid0(SALU_CYCLE_1)
	s_or_b32 exec_lo, exec_lo, s14
	s_mov_b32 s14, 0
	global_store_b8 v[0:1], v5, off
.LBB6_943:
	s_and_b32 vcc_lo, exec_lo, s14
	s_cbranch_vccz .LBB6_953
; %bb.944:
	v_cndmask_b32_e64 v3, 0, 1.0, s12
	s_mov_b32 s14, exec_lo
                                        ; implicit-def: $vgpr2
	s_delay_alu instid0(VALU_DEP_1)
	v_cmpx_gt_u32_e32 0x43f00000, v3
	s_xor_b32 s14, exec_lo, s14
	s_cbranch_execz .LBB6_950
; %bb.945:
	s_mov_b32 s15, exec_lo
                                        ; implicit-def: $vgpr2
	v_cmpx_lt_u32_e32 0x3c7fffff, v3
	s_xor_b32 s15, exec_lo, s15
; %bb.946:
	v_bfe_u32 v2, v3, 20, 1
	s_delay_alu instid0(VALU_DEP_1) | instskip(NEXT) | instid1(VALU_DEP_1)
	v_add3_u32 v2, v3, v2, 0x407ffff
	v_and_b32_e32 v3, 0xff00000, v2
	v_lshrrev_b32_e32 v2, 20, v2
	s_delay_alu instid0(VALU_DEP_2) | instskip(NEXT) | instid1(VALU_DEP_2)
	v_cmp_ne_u32_e32 vcc_lo, 0x7f00000, v3
                                        ; implicit-def: $vgpr3
	v_cndmask_b32_e32 v2, 0x7e, v2, vcc_lo
; %bb.947:
	s_and_not1_saveexec_b32 s15, s15
; %bb.948:
	v_add_f32_e32 v2, 0x46800000, v3
; %bb.949:
	s_or_b32 exec_lo, exec_lo, s15
                                        ; implicit-def: $vgpr3
.LBB6_950:
	s_and_not1_saveexec_b32 s14, s14
; %bb.951:
	v_mov_b32_e32 v2, 0x7f
	v_cmp_lt_u32_e32 vcc_lo, 0x7f800000, v3
	s_delay_alu instid0(VALU_DEP_2)
	v_cndmask_b32_e32 v2, 0x7e, v2, vcc_lo
; %bb.952:
	s_or_b32 exec_lo, exec_lo, s14
	global_store_b8 v[0:1], v2, off
.LBB6_953:
	s_mov_b32 s14, 0
.LBB6_954:
	s_delay_alu instid0(SALU_CYCLE_1)
	s_and_not1_b32 vcc_lo, exec_lo, s14
	s_cbranch_vccnz .LBB6_964
; %bb.955:
	v_cndmask_b32_e64 v3, 0, 1.0, s12
	s_mov_b32 s14, exec_lo
                                        ; implicit-def: $vgpr2
	s_delay_alu instid0(VALU_DEP_1)
	v_cmpx_gt_u32_e32 0x47800000, v3
	s_xor_b32 s14, exec_lo, s14
	s_cbranch_execz .LBB6_961
; %bb.956:
	s_mov_b32 s15, exec_lo
                                        ; implicit-def: $vgpr2
	v_cmpx_lt_u32_e32 0x387fffff, v3
	s_xor_b32 s15, exec_lo, s15
; %bb.957:
	v_bfe_u32 v2, v3, 21, 1
	s_delay_alu instid0(VALU_DEP_1) | instskip(NEXT) | instid1(VALU_DEP_1)
	v_add3_u32 v2, v3, v2, 0x80fffff
                                        ; implicit-def: $vgpr3
	v_lshrrev_b32_e32 v2, 21, v2
; %bb.958:
	s_and_not1_saveexec_b32 s15, s15
; %bb.959:
	v_add_f32_e32 v2, 0x43000000, v3
; %bb.960:
	s_or_b32 exec_lo, exec_lo, s15
                                        ; implicit-def: $vgpr3
.LBB6_961:
	s_and_not1_saveexec_b32 s14, s14
; %bb.962:
	v_mov_b32_e32 v2, 0x7f
	v_cmp_lt_u32_e32 vcc_lo, 0x7f800000, v3
	s_delay_alu instid0(VALU_DEP_2)
	v_cndmask_b32_e32 v2, 0x7c, v2, vcc_lo
; %bb.963:
	s_or_b32 exec_lo, exec_lo, s14
	global_store_b8 v[0:1], v2, off
.LBB6_964:
	s_mov_b32 s14, 0
.LBB6_965:
	s_delay_alu instid0(SALU_CYCLE_1)
	s_and_not1_b32 vcc_lo, exec_lo, s14
	s_mov_b32 s14, 0
	s_cbranch_vccnz .LBB6_973
; %bb.966:
	v_cmp_lt_i16_e32 vcc_lo, 14, v4
	s_mov_b32 s14, -1
	s_cbranch_vccz .LBB6_970
; %bb.967:
	v_cmp_eq_u16_e32 vcc_lo, 15, v4
	s_mov_b32 s0, -1
	s_cbranch_vccz .LBB6_969
; %bb.968:
	v_cndmask_b32_e64 v2, 0, 1.0, s12
	s_mov_b32 s0, 0
	s_delay_alu instid0(VALU_DEP_1) | instskip(NEXT) | instid1(VALU_DEP_1)
	v_bfe_u32 v3, v2, 16, 1
	v_add3_u32 v2, v2, v3, 0x7fff
	global_store_d16_hi_b16 v[0:1], v2, off
.LBB6_969:
	s_mov_b32 s14, 0
.LBB6_970:
	s_delay_alu instid0(SALU_CYCLE_1)
	s_and_b32 vcc_lo, exec_lo, s14
	s_mov_b32 s14, 0
	s_cbranch_vccz .LBB6_973
; %bb.971:
	v_cmp_ne_u16_e32 vcc_lo, 11, v4
	s_and_not1_b32 s0, s0, exec_lo
	s_mov_b32 s14, -1
	s_and_b32 s15, vcc_lo, exec_lo
	s_delay_alu instid0(SALU_CYCLE_1)
	s_or_b32 s0, s0, s15
	s_branch .LBB6_973
.LBB6_972:
	s_mov_b32 s14, 0
.LBB6_973:
	s_and_not1_b32 s9, s9, exec_lo
	s_and_b32 s15, s0, exec_lo
	s_and_b32 s12, s12, exec_lo
	;; [unrolled: 1-line block ×4, first 2 shown]
	s_or_b32 s9, s9, s15
.LBB6_974:
	s_or_b32 exec_lo, exec_lo, s11
	s_and_saveexec_b32 s11, s9
	s_cbranch_execnz .LBB6_1036
; %bb.975:
	s_or_b32 exec_lo, exec_lo, s11
	s_and_saveexec_b32 s9, s0
	s_delay_alu instid0(SALU_CYCLE_1)
	s_xor_b32 s0, exec_lo, s9
	s_cbranch_execz .LBB6_977
.LBB6_976:
	v_cndmask_b32_e64 v2, 0, 1, s12
	global_store_b8 v[0:1], v2, off
.LBB6_977:
	s_or_b32 exec_lo, exec_lo, s0
	s_and_saveexec_b32 s0, s13
	s_delay_alu instid0(SALU_CYCLE_1)
	s_xor_b32 s0, exec_lo, s0
	s_cbranch_execz .LBB6_1015
; %bb.978:
	v_cmp_gt_i16_e32 vcc_lo, 5, v4
	s_mov_b32 s9, -1
	s_cbranch_vccnz .LBB6_999
; %bb.979:
	v_cmp_gt_i16_e32 vcc_lo, 8, v4
	s_cbranch_vccnz .LBB6_989
; %bb.980:
	v_cmp_gt_i16_e32 vcc_lo, 9, v4
	s_cbranch_vccnz .LBB6_986
; %bb.981:
	v_cmp_lt_i16_e32 vcc_lo, 9, v4
	s_cbranch_vccz .LBB6_983
; %bb.982:
	v_cndmask_b32_e64 v2, 0, 1, s12
	v_mov_b32_e32 v7, 0
	s_mov_b32 s9, 0
	s_delay_alu instid0(VALU_DEP_2) | instskip(NEXT) | instid1(VALU_DEP_2)
	v_cvt_f64_u32_e32 v[5:6], v2
	v_mov_b32_e32 v8, v7
	global_store_b128 v[0:1], v[5:8], off
.LBB6_983:
	s_and_not1_b32 vcc_lo, exec_lo, s9
	s_cbranch_vccnz .LBB6_985
; %bb.984:
	v_cndmask_b32_e64 v2, 0, 1.0, s12
	v_mov_b32_e32 v3, 0
	global_store_b64 v[0:1], v[2:3], off
.LBB6_985:
	s_mov_b32 s9, 0
.LBB6_986:
	s_delay_alu instid0(SALU_CYCLE_1)
	s_and_not1_b32 vcc_lo, exec_lo, s9
	s_cbranch_vccnz .LBB6_988
; %bb.987:
	v_cndmask_b32_e64 v2, 0, 1.0, s12
	s_delay_alu instid0(VALU_DEP_1) | instskip(NEXT) | instid1(VALU_DEP_1)
	v_cvt_f16_f32_e32 v2, v2
	v_and_b32_e32 v2, 0xffff, v2
	global_store_b32 v[0:1], v2, off
.LBB6_988:
	s_mov_b32 s9, 0
.LBB6_989:
	s_delay_alu instid0(SALU_CYCLE_1)
	s_and_not1_b32 vcc_lo, exec_lo, s9
	s_cbranch_vccnz .LBB6_998
; %bb.990:
	v_cmp_gt_i16_e32 vcc_lo, 6, v4
	s_mov_b32 s9, -1
	s_cbranch_vccnz .LBB6_996
; %bb.991:
	v_cmp_lt_i16_e32 vcc_lo, 6, v4
	s_cbranch_vccz .LBB6_993
; %bb.992:
	v_cndmask_b32_e64 v2, 0, 1, s12
	s_mov_b32 s9, 0
	s_delay_alu instid0(VALU_DEP_1)
	v_cvt_f64_u32_e32 v[2:3], v2
	global_store_b64 v[0:1], v[2:3], off
.LBB6_993:
	s_and_not1_b32 vcc_lo, exec_lo, s9
	s_cbranch_vccnz .LBB6_995
; %bb.994:
	v_cndmask_b32_e64 v2, 0, 1.0, s12
	global_store_b32 v[0:1], v2, off
.LBB6_995:
	s_mov_b32 s9, 0
.LBB6_996:
	s_delay_alu instid0(SALU_CYCLE_1)
	s_and_not1_b32 vcc_lo, exec_lo, s9
	s_cbranch_vccnz .LBB6_998
; %bb.997:
	v_cndmask_b32_e64 v2, 0, 1.0, s12
	s_delay_alu instid0(VALU_DEP_1)
	v_cvt_f16_f32_e32 v2, v2
	global_store_b16 v[0:1], v2, off
.LBB6_998:
	s_mov_b32 s9, 0
.LBB6_999:
	s_delay_alu instid0(SALU_CYCLE_1)
	s_and_not1_b32 vcc_lo, exec_lo, s9
	s_cbranch_vccnz .LBB6_1015
; %bb.1000:
	v_cmp_gt_i16_e32 vcc_lo, 2, v4
	s_mov_b32 s9, -1
	s_cbranch_vccnz .LBB6_1010
; %bb.1001:
	v_cmp_gt_i16_e32 vcc_lo, 3, v4
	s_cbranch_vccnz .LBB6_1007
; %bb.1002:
	v_cmp_lt_i16_e32 vcc_lo, 3, v4
	s_cbranch_vccz .LBB6_1004
; %bb.1003:
	s_mov_b32 s9, 0
	v_cndmask_b32_e64 v2, 0, 1, s12
	v_mov_b32_e32 v3, s9
	global_store_b64 v[0:1], v[2:3], off
.LBB6_1004:
	s_and_not1_b32 vcc_lo, exec_lo, s9
	s_cbranch_vccnz .LBB6_1006
; %bb.1005:
	v_cndmask_b32_e64 v2, 0, 1, s12
	global_store_b32 v[0:1], v2, off
.LBB6_1006:
	s_mov_b32 s9, 0
.LBB6_1007:
	s_delay_alu instid0(SALU_CYCLE_1)
	s_and_not1_b32 vcc_lo, exec_lo, s9
	s_cbranch_vccnz .LBB6_1009
; %bb.1008:
	v_cndmask_b32_e64 v2, 0, 1, s12
	global_store_b16 v[0:1], v2, off
.LBB6_1009:
	s_mov_b32 s9, 0
.LBB6_1010:
	s_delay_alu instid0(SALU_CYCLE_1)
	s_and_not1_b32 vcc_lo, exec_lo, s9
	s_cbranch_vccnz .LBB6_1015
; %bb.1011:
	v_cmp_lt_i16_e32 vcc_lo, 0, v4
	s_mov_b32 s9, -1
	s_cbranch_vccz .LBB6_1013
; %bb.1012:
	v_cndmask_b32_e64 v2, 0, 1, s12
	s_mov_b32 s9, 0
	global_store_b8 v[0:1], v2, off
.LBB6_1013:
	s_and_not1_b32 vcc_lo, exec_lo, s9
	s_cbranch_vccnz .LBB6_1015
; %bb.1014:
	v_cndmask_b32_e64 v2, 0, 1, s12
	global_store_b8 v[0:1], v2, off
.LBB6_1015:
	s_or_b32 exec_lo, exec_lo, s0
	s_delay_alu instid0(SALU_CYCLE_1)
	s_and_b32 s9, s10, exec_lo
                                        ; implicit-def: $vgpr3
                                        ; implicit-def: $vgpr4
                                        ; implicit-def: $vgpr2
.LBB6_1016:
	s_or_saveexec_b32 s8, s8
	s_mov_b32 s10, 0
                                        ; implicit-def: $sgpr0
                                        ; implicit-def: $vgpr5
                                        ; implicit-def: $vgpr0_vgpr1
	s_xor_b32 exec_lo, exec_lo, s8
	s_cbranch_execz .LBB6_1972
; %bb.1017:
	v_mul_lo_u32 v5, s3, v3
	v_cmp_gt_i16_e32 vcc_lo, 11, v4
	s_delay_alu instid0(VALU_DEP_2) | instskip(SKIP_1) | instid1(VALU_DEP_1)
	v_ashrrev_i32_e32 v1, 31, v5
	v_add_co_u32 v0, s0, s6, v5
	v_add_co_ci_u32_e64 v1, s0, s7, v1, s0
	s_cbranch_vccnz .LBB6_1024
; %bb.1018:
	v_cmp_lt_i16_e32 vcc_lo, 25, v4
	s_mov_b32 s0, 0
	s_cbranch_vccz .LBB6_1030
; %bb.1019:
	v_cmp_lt_i16_e32 vcc_lo, 28, v4
	s_cbranch_vccz .LBB6_1032
; %bb.1020:
	v_cmp_lt_i16_e32 vcc_lo, 43, v4
	;; [unrolled: 3-line block ×3, first 2 shown]
	s_cbranch_vccz .LBB6_1038
; %bb.1022:
	v_cmp_eq_u16_e32 vcc_lo, 46, v4
	s_mov_b32 s12, 0
	s_cbranch_vccz .LBB6_1080
; %bb.1023:
	global_load_b32 v6, v[0:1], off
	s_mov_b32 s11, -1
	s_waitcnt vmcnt(0)
	v_and_b32_e32 v6, 0x7fff7fff, v6
	s_delay_alu instid0(VALU_DEP_1)
	v_cmp_ne_u32_e32 vcc_lo, 0, v6
	s_and_b32 s10, vcc_lo, exec_lo
	s_branch .LBB6_1082
.LBB6_1024:
	s_mov_b32 s11, 0
	s_mov_b32 s1, s9
                                        ; implicit-def: $sgpr10
	s_cbranch_execz .LBB6_1143
; %bb.1025:
	v_cmp_gt_i16_e32 vcc_lo, 5, v4
	s_cbranch_vccnz .LBB6_1031
; %bb.1026:
	v_cmp_gt_i16_e32 vcc_lo, 8, v4
	s_cbranch_vccnz .LBB6_1033
	;; [unrolled: 3-line block ×3, first 2 shown]
; %bb.1028:
	v_cmp_lt_i16_e32 vcc_lo, 9, v4
	s_cbranch_vccz .LBB6_1039
; %bb.1029:
	global_load_b128 v[6:9], v[0:1], off
	s_waitcnt vmcnt(0)
	v_cmp_neq_f64_e32 vcc_lo, 0, v[6:7]
	v_cmp_neq_f64_e64 s0, 0, v[8:9]
	s_delay_alu instid0(VALU_DEP_1)
	s_or_b32 s10, vcc_lo, s0
	s_mov_b32 s0, 0
	s_and_b32 s10, s10, exec_lo
	s_branch .LBB6_1040
.LBB6_1030:
	s_mov_b32 s11, 0
                                        ; implicit-def: $sgpr10
	s_cbranch_execnz .LBB6_1108
	s_branch .LBB6_1139
.LBB6_1031:
                                        ; implicit-def: $sgpr10
	s_branch .LBB6_1057
.LBB6_1032:
	s_mov_b32 s12, -1
	s_mov_b32 s11, 0
                                        ; implicit-def: $sgpr10
	s_branch .LBB6_1089
.LBB6_1033:
                                        ; implicit-def: $sgpr10
	s_branch .LBB6_1046
.LBB6_1034:
	s_mov_b32 s11, 0
                                        ; implicit-def: $sgpr10
	s_cbranch_execnz .LBB6_1085
	s_branch .LBB6_1088
.LBB6_1035:
	s_mov_b32 s0, -1
                                        ; implicit-def: $sgpr10
	s_branch .LBB6_1043
.LBB6_1036:
	s_cbranch_execnz .LBB6_1078
; %bb.1037:
	s_or_b32 s10, s10, exec_lo
	s_and_not1_b32 s0, s0, exec_lo
	s_or_b32 exec_lo, exec_lo, s11
	s_and_saveexec_b32 s9, s0
	s_delay_alu instid0(SALU_CYCLE_1)
	s_xor_b32 s0, exec_lo, s9
	s_cbranch_execnz .LBB6_976
	s_branch .LBB6_977
.LBB6_1038:
	s_mov_b32 s12, -1
	s_branch .LBB6_1081
.LBB6_1039:
	s_mov_b32 s0, -1
                                        ; implicit-def: $sgpr10
.LBB6_1040:
	s_delay_alu instid0(SALU_CYCLE_1)
	s_and_not1_b32 vcc_lo, exec_lo, s0
	s_cbranch_vccnz .LBB6_1042
; %bb.1041:
	global_load_b64 v[6:7], v[0:1], off
	s_and_not1_b32 s0, s10, exec_lo
	s_waitcnt vmcnt(0)
	v_or_b32_e32 v6, v6, v7
	s_delay_alu instid0(VALU_DEP_1) | instskip(NEXT) | instid1(VALU_DEP_1)
	v_and_b32_e32 v6, 0x7fffffff, v6
	v_cmp_ne_u32_e32 vcc_lo, 0, v6
	s_and_b32 s10, vcc_lo, exec_lo
	s_delay_alu instid0(SALU_CYCLE_1)
	s_or_b32 s10, s0, s10
.LBB6_1042:
	s_mov_b32 s0, 0
.LBB6_1043:
	s_delay_alu instid0(SALU_CYCLE_1)
	s_and_not1_b32 vcc_lo, exec_lo, s0
	s_cbranch_vccnz .LBB6_1045
; %bb.1044:
	global_load_b32 v6, v[0:1], off
	s_and_not1_b32 s0, s10, exec_lo
	s_waitcnt vmcnt(0)
	v_and_b32_e32 v6, 0x7fff7fff, v6
	s_delay_alu instid0(VALU_DEP_1) | instskip(SKIP_1) | instid1(SALU_CYCLE_1)
	v_cmp_ne_u32_e32 vcc_lo, 0, v6
	s_and_b32 s10, vcc_lo, exec_lo
	s_or_b32 s10, s0, s10
.LBB6_1045:
	s_cbranch_execnz .LBB6_1056
.LBB6_1046:
	v_cmp_gt_i16_e32 vcc_lo, 6, v4
	s_cbranch_vccnz .LBB6_1049
; %bb.1047:
	v_cmp_lt_i16_e32 vcc_lo, 6, v4
	s_cbranch_vccz .LBB6_1050
; %bb.1048:
	global_load_b64 v[6:7], v[0:1], off
	s_mov_b32 s0, 0
	s_waitcnt vmcnt(0)
	v_cmp_neq_f64_e32 vcc_lo, 0, v[6:7]
	s_and_b32 s10, vcc_lo, exec_lo
	s_branch .LBB6_1051
.LBB6_1049:
	s_mov_b32 s0, -1
                                        ; implicit-def: $sgpr10
	s_branch .LBB6_1054
.LBB6_1050:
	s_mov_b32 s0, -1
                                        ; implicit-def: $sgpr10
.LBB6_1051:
	s_delay_alu instid0(SALU_CYCLE_1)
	s_and_not1_b32 vcc_lo, exec_lo, s0
	s_cbranch_vccnz .LBB6_1053
; %bb.1052:
	global_load_b32 v6, v[0:1], off
	s_and_not1_b32 s0, s10, exec_lo
	s_waitcnt vmcnt(0)
	v_cmp_neq_f32_e32 vcc_lo, 0, v6
	s_and_b32 s10, vcc_lo, exec_lo
	s_delay_alu instid0(SALU_CYCLE_1)
	s_or_b32 s10, s0, s10
.LBB6_1053:
	s_mov_b32 s0, 0
.LBB6_1054:
	s_delay_alu instid0(SALU_CYCLE_1)
	s_and_not1_b32 vcc_lo, exec_lo, s0
	s_cbranch_vccnz .LBB6_1056
; %bb.1055:
	global_load_u16 v6, v[0:1], off
	s_and_not1_b32 s0, s10, exec_lo
	s_waitcnt vmcnt(0)
	v_and_b32_e32 v6, 0x7fff, v6
	s_delay_alu instid0(VALU_DEP_1) | instskip(SKIP_1) | instid1(SALU_CYCLE_1)
	v_cmp_ne_u16_e32 vcc_lo, 0, v6
	s_and_b32 s10, vcc_lo, exec_lo
	s_or_b32 s10, s0, s10
.LBB6_1056:
	s_cbranch_execnz .LBB6_1075
.LBB6_1057:
	v_cmp_gt_i16_e32 vcc_lo, 2, v4
	s_cbranch_vccnz .LBB6_1061
; %bb.1058:
	v_cmp_gt_i16_e32 vcc_lo, 3, v4
	s_cbranch_vccnz .LBB6_1062
; %bb.1059:
	v_cmp_lt_i16_e32 vcc_lo, 3, v4
	s_cbranch_vccz .LBB6_1063
; %bb.1060:
	global_load_b64 v[6:7], v[0:1], off
	s_mov_b32 s0, 0
	s_waitcnt vmcnt(0)
	v_cmp_ne_u64_e32 vcc_lo, 0, v[6:7]
	s_and_b32 s10, vcc_lo, exec_lo
	s_branch .LBB6_1064
.LBB6_1061:
                                        ; implicit-def: $sgpr10
	s_branch .LBB6_1070
.LBB6_1062:
	s_mov_b32 s0, -1
                                        ; implicit-def: $sgpr10
	s_branch .LBB6_1067
.LBB6_1063:
	s_mov_b32 s0, -1
                                        ; implicit-def: $sgpr10
.LBB6_1064:
	s_delay_alu instid0(SALU_CYCLE_1)
	s_and_not1_b32 vcc_lo, exec_lo, s0
	s_cbranch_vccnz .LBB6_1066
; %bb.1065:
	global_load_b32 v6, v[0:1], off
	s_and_not1_b32 s0, s10, exec_lo
	s_waitcnt vmcnt(0)
	v_cmp_ne_u32_e32 vcc_lo, 0, v6
	s_and_b32 s10, vcc_lo, exec_lo
	s_delay_alu instid0(SALU_CYCLE_1)
	s_or_b32 s10, s0, s10
.LBB6_1066:
	s_mov_b32 s0, 0
.LBB6_1067:
	s_delay_alu instid0(SALU_CYCLE_1)
	s_and_not1_b32 vcc_lo, exec_lo, s0
	s_cbranch_vccnz .LBB6_1069
; %bb.1068:
	global_load_u16 v6, v[0:1], off
	s_and_not1_b32 s0, s10, exec_lo
	s_waitcnt vmcnt(0)
	v_cmp_ne_u16_e32 vcc_lo, 0, v6
	s_and_b32 s10, vcc_lo, exec_lo
	s_delay_alu instid0(SALU_CYCLE_1)
	s_or_b32 s10, s0, s10
.LBB6_1069:
	s_cbranch_execnz .LBB6_1075
.LBB6_1070:
	v_cmp_lt_i16_e32 vcc_lo, 0, v4
	s_mov_b32 s0, 0
	s_cbranch_vccz .LBB6_1072
; %bb.1071:
	global_load_u8 v6, v[0:1], off
	s_waitcnt vmcnt(0)
	v_cmp_ne_u16_e32 vcc_lo, 0, v6
	s_and_b32 s10, vcc_lo, exec_lo
	s_branch .LBB6_1073
.LBB6_1072:
	s_mov_b32 s0, -1
                                        ; implicit-def: $sgpr10
.LBB6_1073:
	s_delay_alu instid0(SALU_CYCLE_1)
	s_and_not1_b32 vcc_lo, exec_lo, s0
	s_cbranch_vccnz .LBB6_1075
; %bb.1074:
	global_load_u8 v0, v[0:1], off
	s_and_not1_b32 s0, s10, exec_lo
	s_waitcnt vmcnt(0)
	v_cmp_ne_u16_e32 vcc_lo, 0, v0
	s_and_b32 s10, vcc_lo, exec_lo
	s_delay_alu instid0(SALU_CYCLE_1)
	s_or_b32 s10, s0, s10
.LBB6_1075:
	s_branch .LBB6_1144
.LBB6_1076:
	s_trap 2
	s_sendmsg_rtn_b32 s0, sendmsg(MSG_RTN_GET_DOORBELL)
	s_mov_b32 ttmp2, m0
	s_waitcnt lgkmcnt(0)
	s_and_b32 s0, s0, 0x3ff
	s_delay_alu instid0(SALU_CYCLE_1) | instskip(NEXT) | instid1(SALU_CYCLE_1)
	s_bitset1_b32 s0, 10
	s_mov_b32 m0, s0
	s_sendmsg sendmsg(MSG_INTERRUPT)
	s_mov_b32 m0, ttmp2
.LBB6_1077:                             ; =>This Inner Loop Header: Depth=1
	s_sethalt 5
	s_branch .LBB6_1077
.LBB6_1078:
	s_trap 2
	s_sendmsg_rtn_b32 s0, sendmsg(MSG_RTN_GET_DOORBELL)
	s_mov_b32 ttmp2, m0
	s_waitcnt lgkmcnt(0)
	s_and_b32 s0, s0, 0x3ff
	s_delay_alu instid0(SALU_CYCLE_1) | instskip(NEXT) | instid1(SALU_CYCLE_1)
	s_bitset1_b32 s0, 10
	s_mov_b32 m0, s0
	s_sendmsg sendmsg(MSG_INTERRUPT)
	s_mov_b32 m0, ttmp2
.LBB6_1079:                             ; =>This Inner Loop Header: Depth=1
	s_sethalt 5
	s_branch .LBB6_1079
.LBB6_1080:
	s_mov_b32 s1, -1
.LBB6_1081:
	s_mov_b32 s11, 0
                                        ; implicit-def: $sgpr10
.LBB6_1082:
	s_and_b32 vcc_lo, exec_lo, s12
	s_cbranch_vccz .LBB6_1084
; %bb.1083:
	v_cmp_ne_u16_e64 s1, 44, v4
	s_mov_b32 s11, -1
	s_or_b32 s10, s10, exec_lo
.LBB6_1084:
	s_branch .LBB6_1088
.LBB6_1085:
	v_cmp_eq_u16_e32 vcc_lo, 29, v4
	s_cbranch_vccz .LBB6_1087
; %bb.1086:
	global_load_b64 v[6:7], v[0:1], off
	s_mov_b32 s1, 0
	s_mov_b32 s11, -1
	s_mov_b32 s12, 0
	s_waitcnt vmcnt(0)
	v_cmp_ne_u64_e32 vcc_lo, 0, v[6:7]
	s_and_b32 s10, vcc_lo, exec_lo
	s_branch .LBB6_1089
.LBB6_1087:
	s_mov_b32 s1, -1
                                        ; implicit-def: $sgpr10
.LBB6_1088:
	s_mov_b32 s12, 0
.LBB6_1089:
	s_delay_alu instid0(SALU_CYCLE_1)
	s_and_b32 vcc_lo, exec_lo, s12
	s_cbranch_vccz .LBB6_1107
; %bb.1090:
	v_cmp_gt_i16_e32 vcc_lo, 27, v4
	s_cbranch_vccnz .LBB6_1093
; %bb.1091:
	v_cmp_lt_i16_e32 vcc_lo, 27, v4
	s_cbranch_vccz .LBB6_1094
; %bb.1092:
	global_load_b32 v6, v[0:1], off
	s_mov_b32 s11, 0
	s_waitcnt vmcnt(0)
	v_cmp_ne_u32_e32 vcc_lo, 0, v6
	s_and_b32 s10, vcc_lo, exec_lo
	s_branch .LBB6_1095
.LBB6_1093:
	s_mov_b32 s11, -1
                                        ; implicit-def: $sgpr10
	s_branch .LBB6_1098
.LBB6_1094:
	s_mov_b32 s11, -1
                                        ; implicit-def: $sgpr10
.LBB6_1095:
	s_delay_alu instid0(SALU_CYCLE_1)
	s_and_not1_b32 vcc_lo, exec_lo, s11
	s_cbranch_vccnz .LBB6_1097
; %bb.1096:
	global_load_u16 v6, v[0:1], off
	s_and_not1_b32 s10, s10, exec_lo
	s_waitcnt vmcnt(0)
	v_cmp_ne_u16_e32 vcc_lo, 0, v6
	s_and_b32 s11, vcc_lo, exec_lo
	s_delay_alu instid0(SALU_CYCLE_1)
	s_or_b32 s10, s10, s11
.LBB6_1097:
	s_mov_b32 s11, 0
.LBB6_1098:
	s_delay_alu instid0(SALU_CYCLE_1)
	s_and_not1_b32 vcc_lo, exec_lo, s11
	s_cbranch_vccnz .LBB6_1106
; %bb.1099:
	global_load_u8 v6, v[0:1], off
	s_mov_b32 s11, 0
	s_mov_b32 s12, exec_lo
                                        ; implicit-def: $sgpr10
	s_waitcnt vmcnt(0)
	v_cmpx_lt_i16_e32 0x7f, v6
	s_xor_b32 s12, exec_lo, s12
	s_cbranch_execz .LBB6_1119
; %bb.1100:
	s_mov_b32 s11, -1
	s_mov_b32 s13, exec_lo
                                        ; implicit-def: $sgpr10
	v_cmpx_eq_u16_e32 0x80, v6
; %bb.1101:
	s_mov_b32 s10, -1
	s_xor_b32 s11, exec_lo, -1
; %bb.1102:
	s_or_b32 exec_lo, exec_lo, s13
	s_delay_alu instid0(SALU_CYCLE_1)
	s_and_b32 s11, s11, exec_lo
	s_and_not1_saveexec_b32 s12, s12
	s_cbranch_execnz .LBB6_1120
.LBB6_1103:
	s_or_b32 exec_lo, exec_lo, s12
	s_and_saveexec_b32 s12, s11
	s_cbranch_execz .LBB6_1105
.LBB6_1104:
	v_and_b32_e32 v6, 0xffff, v6
	s_and_not1_b32 s10, s10, exec_lo
	s_delay_alu instid0(VALU_DEP_1) | instskip(NEXT) | instid1(VALU_DEP_1)
	v_and_b32_e32 v7, 7, v6
	v_clz_i32_u32_e32 v8, v7
	s_delay_alu instid0(VALU_DEP_1) | instskip(NEXT) | instid1(VALU_DEP_1)
	v_min_u32_e32 v8, 32, v8
	v_subrev_nc_u32_e32 v9, 28, v8
	v_sub_nc_u32_e32 v8, 29, v8
	s_delay_alu instid0(VALU_DEP_2) | instskip(SKIP_1) | instid1(VALU_DEP_2)
	v_lshlrev_b32_e32 v9, v9, v6
	v_bfe_u32 v6, v6, 3, 4
	v_and_b32_e32 v9, 7, v9
	s_delay_alu instid0(VALU_DEP_2) | instskip(NEXT) | instid1(VALU_DEP_2)
	v_cmp_eq_u32_e32 vcc_lo, 0, v6
	v_dual_cndmask_b32 v6, v6, v8 :: v_dual_cndmask_b32 v7, v7, v9
	s_delay_alu instid0(VALU_DEP_1) | instskip(NEXT) | instid1(VALU_DEP_2)
	v_lshl_add_u32 v6, v6, 23, 0x3b800000
	v_lshlrev_b32_e32 v7, 20, v7
	s_delay_alu instid0(VALU_DEP_1) | instskip(NEXT) | instid1(VALU_DEP_1)
	v_and_or_b32 v6, 0x7f800000, v6, v7
	v_cmp_ne_u32_e32 vcc_lo, 0, v6
	s_and_b32 s11, vcc_lo, exec_lo
	s_delay_alu instid0(SALU_CYCLE_1)
	s_or_b32 s10, s10, s11
.LBB6_1105:
	s_or_b32 exec_lo, exec_lo, s12
.LBB6_1106:
	s_mov_b32 s11, -1
.LBB6_1107:
	s_branch .LBB6_1139
.LBB6_1108:
	v_cmp_lt_i16_e32 vcc_lo, 22, v4
	s_cbranch_vccz .LBB6_1118
; %bb.1109:
	v_cmp_gt_i16_e32 vcc_lo, 24, v4
	s_cbranch_vccnz .LBB6_1121
; %bb.1110:
	v_cmp_lt_i16_e32 vcc_lo, 24, v4
	s_cbranch_vccz .LBB6_1122
; %bb.1111:
	global_load_u8 v6, v[0:1], off
	s_mov_b32 s11, exec_lo
                                        ; implicit-def: $sgpr10
	s_waitcnt vmcnt(0)
	v_cmpx_lt_i16_e32 0x7f, v6
	s_xor_b32 s11, exec_lo, s11
	s_cbranch_execz .LBB6_1133
; %bb.1112:
	s_mov_b32 s0, -1
	s_mov_b32 s12, exec_lo
                                        ; implicit-def: $sgpr10
	v_cmpx_eq_u16_e32 0x80, v6
; %bb.1113:
	s_mov_b32 s10, -1
	s_xor_b32 s0, exec_lo, -1
; %bb.1114:
	s_or_b32 exec_lo, exec_lo, s12
	s_delay_alu instid0(SALU_CYCLE_1)
	s_and_b32 s0, s0, exec_lo
	s_and_not1_saveexec_b32 s11, s11
	s_cbranch_execnz .LBB6_1134
.LBB6_1115:
	s_or_b32 exec_lo, exec_lo, s11
	s_and_saveexec_b32 s11, s0
	s_cbranch_execz .LBB6_1117
.LBB6_1116:
	v_and_b32_e32 v6, 0xffff, v6
	s_and_not1_b32 s0, s10, exec_lo
	s_delay_alu instid0(VALU_DEP_1) | instskip(NEXT) | instid1(VALU_DEP_1)
	v_and_b32_e32 v7, 3, v6
	v_clz_i32_u32_e32 v8, v7
	s_delay_alu instid0(VALU_DEP_1) | instskip(NEXT) | instid1(VALU_DEP_1)
	v_min_u32_e32 v8, 32, v8
	v_subrev_nc_u32_e32 v9, 29, v8
	v_sub_nc_u32_e32 v8, 30, v8
	s_delay_alu instid0(VALU_DEP_2) | instskip(SKIP_1) | instid1(VALU_DEP_2)
	v_lshlrev_b32_e32 v9, v9, v6
	v_bfe_u32 v6, v6, 2, 5
	v_and_b32_e32 v9, 3, v9
	s_delay_alu instid0(VALU_DEP_2) | instskip(NEXT) | instid1(VALU_DEP_2)
	v_cmp_eq_u32_e32 vcc_lo, 0, v6
	v_dual_cndmask_b32 v6, v6, v8 :: v_dual_cndmask_b32 v7, v7, v9
	s_delay_alu instid0(VALU_DEP_1) | instskip(NEXT) | instid1(VALU_DEP_2)
	v_lshl_add_u32 v6, v6, 23, 0x37800000
	v_lshlrev_b32_e32 v7, 21, v7
	s_delay_alu instid0(VALU_DEP_1) | instskip(NEXT) | instid1(VALU_DEP_1)
	v_and_or_b32 v6, 0x7f800000, v6, v7
	v_cmp_ne_u32_e32 vcc_lo, 0, v6
	s_and_b32 s10, vcc_lo, exec_lo
	s_delay_alu instid0(SALU_CYCLE_1)
	s_or_b32 s10, s0, s10
.LBB6_1117:
	s_or_b32 exec_lo, exec_lo, s11
	s_mov_b32 s0, 0
	s_branch .LBB6_1123
.LBB6_1118:
                                        ; implicit-def: $sgpr10
	s_mov_b32 s0, 0
	s_branch .LBB6_1129
.LBB6_1119:
	s_and_not1_saveexec_b32 s12, s12
	s_cbranch_execz .LBB6_1103
.LBB6_1120:
	v_cmp_ne_u16_e32 vcc_lo, 0, v6
	s_and_not1_b32 s11, s11, exec_lo
	s_and_not1_b32 s10, s10, exec_lo
	s_and_b32 s13, vcc_lo, exec_lo
	s_delay_alu instid0(SALU_CYCLE_1)
	s_or_b32 s11, s11, s13
	s_or_b32 exec_lo, exec_lo, s12
	s_and_saveexec_b32 s12, s11
	s_cbranch_execnz .LBB6_1104
	s_branch .LBB6_1105
.LBB6_1121:
	s_mov_b32 s0, -1
                                        ; implicit-def: $sgpr10
	s_branch .LBB6_1126
.LBB6_1122:
	s_mov_b32 s0, -1
                                        ; implicit-def: $sgpr10
.LBB6_1123:
	s_delay_alu instid0(SALU_CYCLE_1)
	s_and_b32 vcc_lo, exec_lo, s0
	s_cbranch_vccz .LBB6_1125
; %bb.1124:
	global_load_u8 v6, v[0:1], off
	s_and_not1_b32 s10, s10, exec_lo
	s_waitcnt vmcnt(0)
	v_lshlrev_b32_e32 v6, 24, v6
	s_delay_alu instid0(VALU_DEP_1) | instskip(NEXT) | instid1(VALU_DEP_1)
	v_and_b32_e32 v6, 0x7f000000, v6
	v_clz_i32_u32_e32 v7, v6
	v_add_nc_u32_e32 v9, 0x1000000, v6
	v_cmp_ne_u32_e32 vcc_lo, 0, v6
	s_delay_alu instid0(VALU_DEP_3) | instskip(NEXT) | instid1(VALU_DEP_3)
	v_min_u32_e32 v7, 32, v7
	v_ashrrev_i32_e32 v9, 8, v9
	s_delay_alu instid0(VALU_DEP_2) | instskip(NEXT) | instid1(VALU_DEP_1)
	v_sub_nc_u32_e64 v7, v7, 4 clamp
	v_lshlrev_b32_e32 v8, v7, v6
	v_lshlrev_b32_e32 v7, 23, v7
	s_delay_alu instid0(VALU_DEP_2) | instskip(NEXT) | instid1(VALU_DEP_1)
	v_lshrrev_b32_e32 v8, 4, v8
	v_sub_nc_u32_e32 v7, v8, v7
	v_and_b32_e32 v8, 0x7f800000, v9
	s_delay_alu instid0(VALU_DEP_2) | instskip(NEXT) | instid1(VALU_DEP_1)
	v_add_nc_u32_e32 v7, 0x3c000000, v7
	v_and_or_b32 v7, 0x7ff00000, v7, v8
	s_delay_alu instid0(VALU_DEP_1) | instskip(NEXT) | instid1(VALU_DEP_1)
	v_cmp_ne_u32_e64 s0, 0, v7
	s_and_b32 s0, vcc_lo, s0
	s_delay_alu instid0(SALU_CYCLE_1) | instskip(NEXT) | instid1(SALU_CYCLE_1)
	s_and_b32 s0, s0, exec_lo
	s_or_b32 s10, s10, s0
.LBB6_1125:
	s_mov_b32 s0, 0
.LBB6_1126:
	s_delay_alu instid0(SALU_CYCLE_1)
	s_and_not1_b32 vcc_lo, exec_lo, s0
	s_cbranch_vccnz .LBB6_1128
; %bb.1127:
	global_load_u8 v6, v[0:1], off
	s_and_not1_b32 s0, s10, exec_lo
	s_waitcnt vmcnt(0)
	v_lshlrev_b32_e32 v7, 25, v6
	v_lshlrev_b32_e32 v6, 8, v6
	s_delay_alu instid0(VALU_DEP_2) | instskip(NEXT) | instid1(VALU_DEP_2)
	v_lshrrev_b32_e32 v8, 4, v7
	v_and_or_b32 v6, 0x7f00, v6, 0.5
	s_delay_alu instid0(VALU_DEP_2) | instskip(NEXT) | instid1(VALU_DEP_2)
	v_or_b32_e32 v8, 0x70000000, v8
	v_add_f32_e32 v6, -0.5, v6
	s_delay_alu instid0(VALU_DEP_2) | instskip(SKIP_1) | instid1(VALU_DEP_2)
	v_mul_f32_e32 v8, 0x7800000, v8
	v_cmp_gt_u32_e32 vcc_lo, 0x8000000, v7
	v_cndmask_b32_e32 v6, v8, v6, vcc_lo
	s_delay_alu instid0(VALU_DEP_1) | instskip(SKIP_1) | instid1(SALU_CYCLE_1)
	v_cmp_neq_f32_e32 vcc_lo, 0, v6
	s_and_b32 s10, vcc_lo, exec_lo
	s_or_b32 s10, s0, s10
.LBB6_1128:
	s_mov_b32 s11, -1
	s_mov_b32 s0, 0
	s_cbranch_execnz .LBB6_1139
.LBB6_1129:
	v_cmp_lt_i16_e32 vcc_lo, 14, v4
	s_cbranch_vccz .LBB6_1132
; %bb.1130:
	v_cmp_eq_u16_e32 vcc_lo, 15, v4
	s_cbranch_vccz .LBB6_1135
; %bb.1131:
	global_load_u16 v6, v[0:1], off
	s_mov_b32 s1, 0
	s_mov_b32 s11, -1
	s_waitcnt vmcnt(0)
	v_and_b32_e32 v6, 0x7fff, v6
	s_delay_alu instid0(VALU_DEP_1)
	v_cmp_ne_u16_e32 vcc_lo, 0, v6
	s_and_b32 s10, vcc_lo, exec_lo
	s_branch .LBB6_1137
.LBB6_1132:
	s_mov_b32 s0, -1
	s_branch .LBB6_1136
.LBB6_1133:
	s_and_not1_saveexec_b32 s11, s11
	s_cbranch_execz .LBB6_1115
.LBB6_1134:
	v_cmp_ne_u16_e32 vcc_lo, 0, v6
	s_and_not1_b32 s0, s0, exec_lo
	s_and_not1_b32 s10, s10, exec_lo
	s_and_b32 s12, vcc_lo, exec_lo
	s_delay_alu instid0(SALU_CYCLE_1)
	s_or_b32 s0, s0, s12
	s_or_b32 exec_lo, exec_lo, s11
	s_and_saveexec_b32 s11, s0
	s_cbranch_execnz .LBB6_1116
	s_branch .LBB6_1117
.LBB6_1135:
	s_mov_b32 s1, -1
.LBB6_1136:
                                        ; implicit-def: $sgpr10
.LBB6_1137:
	s_and_b32 vcc_lo, exec_lo, s0
	s_mov_b32 s0, 0
	s_cbranch_vccz .LBB6_1139
; %bb.1138:
	v_cmp_ne_u16_e64 s1, 11, v4
	s_mov_b32 s0, -1
	s_and_not1_b32 s10, s10, exec_lo
.LBB6_1139:
	s_delay_alu instid0(VALU_DEP_1)
	s_and_b32 vcc_lo, exec_lo, s1
	s_cbranch_vccnz .LBB6_1163
; %bb.1140:
	s_mov_b32 s1, s9
	s_and_not1_b32 vcc_lo, exec_lo, s0
	s_cbranch_vccnz .LBB6_1142
.LBB6_1141:
	global_load_u8 v6, v[0:1], off
	s_and_not1_b32 s0, s10, exec_lo
	s_mov_b32 s11, -1
	s_waitcnt vmcnt(0)
	v_cmp_ne_u16_e32 vcc_lo, 0, v6
	s_and_b32 s10, vcc_lo, exec_lo
	s_delay_alu instid0(SALU_CYCLE_1)
	s_or_b32 s10, s0, s10
.LBB6_1142:
.LBB6_1143:
	s_and_not1_b32 vcc_lo, exec_lo, s11
	s_cbranch_vccnz .LBB6_1970
.LBB6_1144:
	s_lshl_b32 s12, s3, 7
	v_cmp_gt_i16_e32 vcc_lo, 11, v4
	v_add_nc_u32_e32 v5, s12, v5
	s_delay_alu instid0(VALU_DEP_1) | instskip(SKIP_1) | instid1(VALU_DEP_1)
	v_ashrrev_i32_e32 v1, 31, v5
	v_add_co_u32 v0, s0, s6, v5
	v_add_co_ci_u32_e64 v1, s0, s7, v1, s0
	s_cbranch_vccnz .LBB6_1151
; %bb.1145:
	v_cmp_lt_i16_e32 vcc_lo, 25, v4
	s_mov_b32 s0, 0
	s_cbranch_vccz .LBB6_1157
; %bb.1146:
	v_cmp_lt_i16_e32 vcc_lo, 28, v4
	s_cbranch_vccz .LBB6_1159
; %bb.1147:
	v_cmp_lt_i16_e32 vcc_lo, 43, v4
	;; [unrolled: 3-line block ×3, first 2 shown]
	s_cbranch_vccz .LBB6_1167
; %bb.1149:
	v_cmp_eq_u16_e32 vcc_lo, 46, v4
	s_mov_b32 s14, 0
	s_cbranch_vccz .LBB6_1211
; %bb.1150:
	global_load_b32 v6, v[0:1], off
	s_mov_b32 s11, 0
	s_mov_b32 s13, -1
	s_waitcnt vmcnt(0)
	v_and_b32_e32 v6, 0x7fff7fff, v6
	s_delay_alu instid0(VALU_DEP_1)
	v_cmp_ne_u32_e32 vcc_lo, 0, v6
	s_and_b32 s3, vcc_lo, exec_lo
	s_branch .LBB6_1213
.LBB6_1151:
	s_mov_b32 s13, 0
                                        ; implicit-def: $sgpr3
	s_cbranch_execz .LBB6_1276
; %bb.1152:
	v_cmp_gt_i16_e32 vcc_lo, 5, v4
	s_cbranch_vccnz .LBB6_1158
; %bb.1153:
	v_cmp_gt_i16_e32 vcc_lo, 8, v4
	s_cbranch_vccnz .LBB6_1160
	;; [unrolled: 3-line block ×3, first 2 shown]
; %bb.1155:
	v_cmp_lt_i16_e32 vcc_lo, 9, v4
	s_cbranch_vccz .LBB6_1168
; %bb.1156:
	global_load_b128 v[6:9], v[0:1], off
	s_waitcnt vmcnt(0)
	v_cmp_neq_f64_e32 vcc_lo, 0, v[6:7]
	v_cmp_neq_f64_e64 s0, 0, v[8:9]
	s_delay_alu instid0(VALU_DEP_1)
	s_or_b32 s3, vcc_lo, s0
	s_mov_b32 s0, 0
	s_and_b32 s3, s3, exec_lo
	s_branch .LBB6_1169
.LBB6_1157:
	s_mov_b32 s13, 0
	s_mov_b32 s11, 0
                                        ; implicit-def: $sgpr3
	s_cbranch_execnz .LBB6_1240
	s_branch .LBB6_1272
.LBB6_1158:
                                        ; implicit-def: $sgpr3
	s_branch .LBB6_1187
.LBB6_1159:
	s_mov_b32 s14, -1
	s_mov_b32 s13, 0
	s_mov_b32 s11, 0
                                        ; implicit-def: $sgpr3
	s_branch .LBB6_1221
.LBB6_1160:
	s_mov_b32 s0, -1
                                        ; implicit-def: $sgpr3
	s_branch .LBB6_1175
.LBB6_1161:
	s_mov_b32 s14, -1
	s_mov_b32 s13, 0
	s_mov_b32 s11, 0
                                        ; implicit-def: $sgpr3
	s_branch .LBB6_1216
.LBB6_1162:
	s_mov_b32 s0, -1
                                        ; implicit-def: $sgpr3
	s_branch .LBB6_1172
.LBB6_1163:
	s_cbranch_execnz .LBB6_1207
; %bb.1164:
	s_mov_b32 s11, 0
	s_and_not1_b32 s10, s10, exec_lo
	s_or_b32 s1, s9, exec_lo
	s_cbranch_execz .LBB6_1141
	s_branch .LBB6_1142
.LBB6_1165:
	s_or_saveexec_b32 s15, s15
                                        ; implicit-def: $sgpr16
	s_delay_alu instid0(SALU_CYCLE_1)
	s_xor_b32 exec_lo, exec_lo, s15
	s_cbranch_execz .LBB6_927
.LBB6_1166:
	v_add_f32_e32 v2, 0x46000000, v3
	s_and_not1_b32 s14, s14, exec_lo
	s_mov_b32 s16, 0
	s_delay_alu instid0(VALU_DEP_1) | instskip(NEXT) | instid1(VALU_DEP_1)
	v_and_b32_e32 v2, 0xff, v2
	v_cmp_ne_u32_e32 vcc_lo, 0, v2
	s_and_b32 s17, vcc_lo, exec_lo
	s_delay_alu instid0(SALU_CYCLE_1)
	s_or_b32 s14, s14, s17
	s_or_b32 exec_lo, exec_lo, s15
	v_mov_b32_e32 v5, s16
	s_and_saveexec_b32 s15, s14
	s_cbranch_execnz .LBB6_928
	s_branch .LBB6_929
.LBB6_1167:
	s_mov_b32 s14, -1
	s_mov_b32 s13, 0
	s_mov_b32 s11, 0
	s_branch .LBB6_1212
.LBB6_1168:
	s_mov_b32 s0, -1
                                        ; implicit-def: $sgpr3
.LBB6_1169:
	s_delay_alu instid0(SALU_CYCLE_1)
	s_and_not1_b32 vcc_lo, exec_lo, s0
	s_cbranch_vccnz .LBB6_1171
; %bb.1170:
	global_load_b64 v[6:7], v[0:1], off
	s_and_not1_b32 s0, s3, exec_lo
	s_waitcnt vmcnt(0)
	v_or_b32_e32 v6, v6, v7
	s_delay_alu instid0(VALU_DEP_1) | instskip(NEXT) | instid1(VALU_DEP_1)
	v_and_b32_e32 v6, 0x7fffffff, v6
	v_cmp_ne_u32_e32 vcc_lo, 0, v6
	s_and_b32 s3, vcc_lo, exec_lo
	s_delay_alu instid0(SALU_CYCLE_1)
	s_or_b32 s3, s0, s3
.LBB6_1171:
	s_mov_b32 s0, 0
.LBB6_1172:
	s_delay_alu instid0(SALU_CYCLE_1)
	s_and_not1_b32 vcc_lo, exec_lo, s0
	s_cbranch_vccnz .LBB6_1174
; %bb.1173:
	global_load_b32 v6, v[0:1], off
	s_and_not1_b32 s0, s3, exec_lo
	s_waitcnt vmcnt(0)
	v_and_b32_e32 v6, 0x7fff7fff, v6
	s_delay_alu instid0(VALU_DEP_1) | instskip(SKIP_1) | instid1(SALU_CYCLE_1)
	v_cmp_ne_u32_e32 vcc_lo, 0, v6
	s_and_b32 s3, vcc_lo, exec_lo
	s_or_b32 s3, s0, s3
.LBB6_1174:
	s_mov_b32 s0, 0
.LBB6_1175:
	s_delay_alu instid0(SALU_CYCLE_1)
	s_and_not1_b32 vcc_lo, exec_lo, s0
	s_cbranch_vccnz .LBB6_1186
; %bb.1176:
	v_cmp_gt_i16_e32 vcc_lo, 6, v4
	s_cbranch_vccnz .LBB6_1179
; %bb.1177:
	v_cmp_lt_i16_e32 vcc_lo, 6, v4
	s_cbranch_vccz .LBB6_1180
; %bb.1178:
	global_load_b64 v[6:7], v[0:1], off
	s_mov_b32 s0, 0
	s_waitcnt vmcnt(0)
	v_cmp_neq_f64_e32 vcc_lo, 0, v[6:7]
	s_and_b32 s3, vcc_lo, exec_lo
	s_branch .LBB6_1181
.LBB6_1179:
	s_mov_b32 s0, -1
                                        ; implicit-def: $sgpr3
	s_branch .LBB6_1184
.LBB6_1180:
	s_mov_b32 s0, -1
                                        ; implicit-def: $sgpr3
.LBB6_1181:
	s_delay_alu instid0(SALU_CYCLE_1)
	s_and_not1_b32 vcc_lo, exec_lo, s0
	s_cbranch_vccnz .LBB6_1183
; %bb.1182:
	global_load_b32 v6, v[0:1], off
	s_and_not1_b32 s0, s3, exec_lo
	s_waitcnt vmcnt(0)
	v_cmp_neq_f32_e32 vcc_lo, 0, v6
	s_and_b32 s3, vcc_lo, exec_lo
	s_delay_alu instid0(SALU_CYCLE_1)
	s_or_b32 s3, s0, s3
.LBB6_1183:
	s_mov_b32 s0, 0
.LBB6_1184:
	s_delay_alu instid0(SALU_CYCLE_1)
	s_and_not1_b32 vcc_lo, exec_lo, s0
	s_cbranch_vccnz .LBB6_1186
; %bb.1185:
	global_load_u16 v6, v[0:1], off
	s_and_not1_b32 s0, s3, exec_lo
	s_waitcnt vmcnt(0)
	v_and_b32_e32 v6, 0x7fff, v6
	s_delay_alu instid0(VALU_DEP_1) | instskip(SKIP_1) | instid1(SALU_CYCLE_1)
	v_cmp_ne_u16_e32 vcc_lo, 0, v6
	s_and_b32 s3, vcc_lo, exec_lo
	s_or_b32 s3, s0, s3
.LBB6_1186:
	s_cbranch_execnz .LBB6_1206
.LBB6_1187:
	v_cmp_gt_i16_e32 vcc_lo, 2, v4
	s_cbranch_vccnz .LBB6_1191
; %bb.1188:
	v_cmp_gt_i16_e32 vcc_lo, 3, v4
	s_cbranch_vccnz .LBB6_1192
; %bb.1189:
	v_cmp_lt_i16_e32 vcc_lo, 3, v4
	s_cbranch_vccz .LBB6_1193
; %bb.1190:
	global_load_b64 v[6:7], v[0:1], off
	s_mov_b32 s0, 0
	s_waitcnt vmcnt(0)
	v_cmp_ne_u64_e32 vcc_lo, 0, v[6:7]
	s_and_b32 s3, vcc_lo, exec_lo
	s_branch .LBB6_1194
.LBB6_1191:
	s_mov_b32 s0, -1
                                        ; implicit-def: $sgpr3
	s_branch .LBB6_1200
.LBB6_1192:
	s_mov_b32 s0, -1
                                        ; implicit-def: $sgpr3
	s_branch .LBB6_1197
.LBB6_1193:
	s_mov_b32 s0, -1
                                        ; implicit-def: $sgpr3
.LBB6_1194:
	s_delay_alu instid0(SALU_CYCLE_1)
	s_and_not1_b32 vcc_lo, exec_lo, s0
	s_cbranch_vccnz .LBB6_1196
; %bb.1195:
	global_load_b32 v6, v[0:1], off
	s_and_not1_b32 s0, s3, exec_lo
	s_waitcnt vmcnt(0)
	v_cmp_ne_u32_e32 vcc_lo, 0, v6
	s_and_b32 s3, vcc_lo, exec_lo
	s_delay_alu instid0(SALU_CYCLE_1)
	s_or_b32 s3, s0, s3
.LBB6_1196:
	s_mov_b32 s0, 0
.LBB6_1197:
	s_delay_alu instid0(SALU_CYCLE_1)
	s_and_not1_b32 vcc_lo, exec_lo, s0
	s_cbranch_vccnz .LBB6_1199
; %bb.1198:
	global_load_u16 v6, v[0:1], off
	s_and_not1_b32 s0, s3, exec_lo
	s_waitcnt vmcnt(0)
	v_cmp_ne_u16_e32 vcc_lo, 0, v6
	s_and_b32 s3, vcc_lo, exec_lo
	s_delay_alu instid0(SALU_CYCLE_1)
	s_or_b32 s3, s0, s3
.LBB6_1199:
	s_mov_b32 s0, 0
.LBB6_1200:
	s_delay_alu instid0(SALU_CYCLE_1)
	s_and_not1_b32 vcc_lo, exec_lo, s0
	s_cbranch_vccnz .LBB6_1206
; %bb.1201:
	v_cmp_lt_i16_e32 vcc_lo, 0, v4
	s_mov_b32 s0, 0
	s_cbranch_vccz .LBB6_1203
; %bb.1202:
	global_load_u8 v6, v[0:1], off
	s_waitcnt vmcnt(0)
	v_cmp_ne_u16_e32 vcc_lo, 0, v6
	s_and_b32 s3, vcc_lo, exec_lo
	s_branch .LBB6_1204
.LBB6_1203:
	s_mov_b32 s0, -1
                                        ; implicit-def: $sgpr3
.LBB6_1204:
	s_delay_alu instid0(SALU_CYCLE_1)
	s_and_not1_b32 vcc_lo, exec_lo, s0
	s_cbranch_vccnz .LBB6_1206
; %bb.1205:
	global_load_u8 v0, v[0:1], off
	s_and_not1_b32 s0, s3, exec_lo
	s_waitcnt vmcnt(0)
	v_cmp_ne_u16_e32 vcc_lo, 0, v0
	s_and_b32 s3, vcc_lo, exec_lo
	s_delay_alu instid0(SALU_CYCLE_1)
	s_or_b32 s3, s0, s3
.LBB6_1206:
	s_branch .LBB6_1277
.LBB6_1207:
	s_trap 2
	s_sendmsg_rtn_b32 s0, sendmsg(MSG_RTN_GET_DOORBELL)
	s_mov_b32 ttmp2, m0
	s_waitcnt lgkmcnt(0)
	s_and_b32 s0, s0, 0x3ff
	s_delay_alu instid0(SALU_CYCLE_1) | instskip(NEXT) | instid1(SALU_CYCLE_1)
	s_bitset1_b32 s0, 10
	s_mov_b32 m0, s0
	s_sendmsg sendmsg(MSG_INTERRUPT)
	s_mov_b32 m0, ttmp2
.LBB6_1208:                             ; =>This Inner Loop Header: Depth=1
	s_sethalt 5
	s_branch .LBB6_1208
.LBB6_1209:
	s_or_saveexec_b32 s16, s16
                                        ; implicit-def: $sgpr17
	s_delay_alu instid0(SALU_CYCLE_1)
	s_xor_b32 exec_lo, exec_lo, s16
	s_cbranch_execz .LBB6_939
.LBB6_1210:
	v_add_f32_e32 v2, 0x42800000, v3
	s_and_not1_b32 s15, s15, exec_lo
	s_mov_b32 s17, 0
	s_delay_alu instid0(VALU_DEP_1) | instskip(NEXT) | instid1(VALU_DEP_1)
	v_and_b32_e32 v2, 0xff, v2
	v_cmp_ne_u32_e32 vcc_lo, 0, v2
	s_and_b32 s18, vcc_lo, exec_lo
	s_delay_alu instid0(SALU_CYCLE_1)
	s_or_b32 s15, s15, s18
	s_or_b32 exec_lo, exec_lo, s16
	v_mov_b32_e32 v5, s17
	s_and_saveexec_b32 s16, s15
	s_cbranch_execnz .LBB6_940
	s_branch .LBB6_941
.LBB6_1211:
	s_mov_b32 s11, -1
	s_mov_b32 s13, 0
.LBB6_1212:
                                        ; implicit-def: $sgpr3
.LBB6_1213:
	s_and_b32 vcc_lo, exec_lo, s14
	s_cbranch_vccz .LBB6_1215
; %bb.1214:
	v_cmp_ne_u16_e64 s11, 44, v4
	s_mov_b32 s13, -1
	s_or_b32 s3, s3, exec_lo
.LBB6_1215:
	s_mov_b32 s14, 0
.LBB6_1216:
	s_delay_alu instid0(SALU_CYCLE_1)
	s_and_b32 vcc_lo, exec_lo, s14
	s_cbranch_vccz .LBB6_1220
; %bb.1217:
	v_cmp_eq_u16_e32 vcc_lo, 29, v4
	s_cbranch_vccz .LBB6_1219
; %bb.1218:
	global_load_b64 v[6:7], v[0:1], off
	s_mov_b32 s11, 0
	s_mov_b32 s13, -1
	s_mov_b32 s14, 0
	s_waitcnt vmcnt(0)
	v_cmp_ne_u64_e32 vcc_lo, 0, v[6:7]
	s_and_b32 s3, vcc_lo, exec_lo
	s_branch .LBB6_1221
.LBB6_1219:
	s_mov_b32 s11, -1
                                        ; implicit-def: $sgpr3
.LBB6_1220:
	s_mov_b32 s14, 0
.LBB6_1221:
	s_delay_alu instid0(SALU_CYCLE_1)
	s_and_b32 vcc_lo, exec_lo, s14
	s_cbranch_vccz .LBB6_1239
; %bb.1222:
	v_cmp_gt_i16_e32 vcc_lo, 27, v4
	s_cbranch_vccnz .LBB6_1225
; %bb.1223:
	v_cmp_lt_i16_e32 vcc_lo, 27, v4
	s_cbranch_vccz .LBB6_1226
; %bb.1224:
	global_load_b32 v6, v[0:1], off
	s_mov_b32 s13, 0
	s_waitcnt vmcnt(0)
	v_cmp_ne_u32_e32 vcc_lo, 0, v6
	s_and_b32 s3, vcc_lo, exec_lo
	s_branch .LBB6_1227
.LBB6_1225:
	s_mov_b32 s13, -1
                                        ; implicit-def: $sgpr3
	s_branch .LBB6_1230
.LBB6_1226:
	s_mov_b32 s13, -1
                                        ; implicit-def: $sgpr3
.LBB6_1227:
	s_delay_alu instid0(SALU_CYCLE_1)
	s_and_not1_b32 vcc_lo, exec_lo, s13
	s_cbranch_vccnz .LBB6_1229
; %bb.1228:
	global_load_u16 v6, v[0:1], off
	s_and_not1_b32 s3, s3, exec_lo
	s_waitcnt vmcnt(0)
	v_cmp_ne_u16_e32 vcc_lo, 0, v6
	s_and_b32 s13, vcc_lo, exec_lo
	s_delay_alu instid0(SALU_CYCLE_1)
	s_or_b32 s3, s3, s13
.LBB6_1229:
	s_mov_b32 s13, 0
.LBB6_1230:
	s_delay_alu instid0(SALU_CYCLE_1)
	s_and_not1_b32 vcc_lo, exec_lo, s13
	s_cbranch_vccnz .LBB6_1238
; %bb.1231:
	global_load_u8 v6, v[0:1], off
	s_mov_b32 s13, 0
	s_mov_b32 s14, exec_lo
                                        ; implicit-def: $sgpr3
	s_waitcnt vmcnt(0)
	v_cmpx_lt_i16_e32 0x7f, v6
	s_xor_b32 s14, exec_lo, s14
	s_cbranch_execz .LBB6_1251
; %bb.1232:
	s_mov_b32 s13, -1
	s_mov_b32 s15, exec_lo
                                        ; implicit-def: $sgpr3
	v_cmpx_eq_u16_e32 0x80, v6
; %bb.1233:
	s_mov_b32 s3, -1
	s_xor_b32 s13, exec_lo, -1
; %bb.1234:
	s_or_b32 exec_lo, exec_lo, s15
	s_delay_alu instid0(SALU_CYCLE_1)
	s_and_b32 s13, s13, exec_lo
	s_and_not1_saveexec_b32 s14, s14
	s_cbranch_execnz .LBB6_1252
.LBB6_1235:
	s_or_b32 exec_lo, exec_lo, s14
	s_and_saveexec_b32 s14, s13
	s_cbranch_execz .LBB6_1237
.LBB6_1236:
	v_and_b32_e32 v6, 0xffff, v6
	s_and_not1_b32 s3, s3, exec_lo
	s_delay_alu instid0(VALU_DEP_1) | instskip(NEXT) | instid1(VALU_DEP_1)
	v_and_b32_e32 v7, 7, v6
	v_clz_i32_u32_e32 v8, v7
	s_delay_alu instid0(VALU_DEP_1) | instskip(NEXT) | instid1(VALU_DEP_1)
	v_min_u32_e32 v8, 32, v8
	v_subrev_nc_u32_e32 v9, 28, v8
	v_sub_nc_u32_e32 v8, 29, v8
	s_delay_alu instid0(VALU_DEP_2) | instskip(SKIP_1) | instid1(VALU_DEP_2)
	v_lshlrev_b32_e32 v9, v9, v6
	v_bfe_u32 v6, v6, 3, 4
	v_and_b32_e32 v9, 7, v9
	s_delay_alu instid0(VALU_DEP_2) | instskip(NEXT) | instid1(VALU_DEP_2)
	v_cmp_eq_u32_e32 vcc_lo, 0, v6
	v_dual_cndmask_b32 v6, v6, v8 :: v_dual_cndmask_b32 v7, v7, v9
	s_delay_alu instid0(VALU_DEP_1) | instskip(NEXT) | instid1(VALU_DEP_2)
	v_lshl_add_u32 v6, v6, 23, 0x3b800000
	v_lshlrev_b32_e32 v7, 20, v7
	s_delay_alu instid0(VALU_DEP_1) | instskip(NEXT) | instid1(VALU_DEP_1)
	v_and_or_b32 v6, 0x7f800000, v6, v7
	v_cmp_ne_u32_e32 vcc_lo, 0, v6
	s_and_b32 s13, vcc_lo, exec_lo
	s_delay_alu instid0(SALU_CYCLE_1)
	s_or_b32 s3, s3, s13
.LBB6_1237:
	s_or_b32 exec_lo, exec_lo, s14
.LBB6_1238:
	s_mov_b32 s13, -1
.LBB6_1239:
	s_branch .LBB6_1272
.LBB6_1240:
	v_cmp_lt_i16_e32 vcc_lo, 22, v4
	s_cbranch_vccz .LBB6_1250
; %bb.1241:
	v_cmp_gt_i16_e32 vcc_lo, 24, v4
	s_cbranch_vccnz .LBB6_1253
; %bb.1242:
	v_cmp_lt_i16_e32 vcc_lo, 24, v4
	s_cbranch_vccz .LBB6_1254
; %bb.1243:
	global_load_u8 v6, v[0:1], off
	s_mov_b32 s13, exec_lo
                                        ; implicit-def: $sgpr3
	s_waitcnt vmcnt(0)
	v_cmpx_lt_i16_e32 0x7f, v6
	s_xor_b32 s13, exec_lo, s13
	s_cbranch_execz .LBB6_1266
; %bb.1244:
	s_mov_b32 s0, -1
	s_mov_b32 s14, exec_lo
                                        ; implicit-def: $sgpr3
	v_cmpx_eq_u16_e32 0x80, v6
; %bb.1245:
	s_mov_b32 s3, -1
	s_xor_b32 s0, exec_lo, -1
; %bb.1246:
	s_or_b32 exec_lo, exec_lo, s14
	s_delay_alu instid0(SALU_CYCLE_1)
	s_and_b32 s0, s0, exec_lo
	s_and_not1_saveexec_b32 s13, s13
	s_cbranch_execnz .LBB6_1267
.LBB6_1247:
	s_or_b32 exec_lo, exec_lo, s13
	s_and_saveexec_b32 s13, s0
	s_cbranch_execz .LBB6_1249
.LBB6_1248:
	v_and_b32_e32 v6, 0xffff, v6
	s_and_not1_b32 s0, s3, exec_lo
	s_delay_alu instid0(VALU_DEP_1) | instskip(NEXT) | instid1(VALU_DEP_1)
	v_and_b32_e32 v7, 3, v6
	v_clz_i32_u32_e32 v8, v7
	s_delay_alu instid0(VALU_DEP_1) | instskip(NEXT) | instid1(VALU_DEP_1)
	v_min_u32_e32 v8, 32, v8
	v_subrev_nc_u32_e32 v9, 29, v8
	v_sub_nc_u32_e32 v8, 30, v8
	s_delay_alu instid0(VALU_DEP_2) | instskip(SKIP_1) | instid1(VALU_DEP_2)
	v_lshlrev_b32_e32 v9, v9, v6
	v_bfe_u32 v6, v6, 2, 5
	v_and_b32_e32 v9, 3, v9
	s_delay_alu instid0(VALU_DEP_2) | instskip(NEXT) | instid1(VALU_DEP_2)
	v_cmp_eq_u32_e32 vcc_lo, 0, v6
	v_dual_cndmask_b32 v6, v6, v8 :: v_dual_cndmask_b32 v7, v7, v9
	s_delay_alu instid0(VALU_DEP_1) | instskip(NEXT) | instid1(VALU_DEP_2)
	v_lshl_add_u32 v6, v6, 23, 0x37800000
	v_lshlrev_b32_e32 v7, 21, v7
	s_delay_alu instid0(VALU_DEP_1) | instskip(NEXT) | instid1(VALU_DEP_1)
	v_and_or_b32 v6, 0x7f800000, v6, v7
	v_cmp_ne_u32_e32 vcc_lo, 0, v6
	s_and_b32 s3, vcc_lo, exec_lo
	s_delay_alu instid0(SALU_CYCLE_1)
	s_or_b32 s3, s0, s3
.LBB6_1249:
	s_or_b32 exec_lo, exec_lo, s13
	s_mov_b32 s0, 0
	s_branch .LBB6_1255
.LBB6_1250:
	s_mov_b32 s0, -1
                                        ; implicit-def: $sgpr3
	s_branch .LBB6_1261
.LBB6_1251:
	s_and_not1_saveexec_b32 s14, s14
	s_cbranch_execz .LBB6_1235
.LBB6_1252:
	v_cmp_ne_u16_e32 vcc_lo, 0, v6
	s_and_not1_b32 s13, s13, exec_lo
	s_and_not1_b32 s3, s3, exec_lo
	s_and_b32 s15, vcc_lo, exec_lo
	s_delay_alu instid0(SALU_CYCLE_1)
	s_or_b32 s13, s13, s15
	s_or_b32 exec_lo, exec_lo, s14
	s_and_saveexec_b32 s14, s13
	s_cbranch_execnz .LBB6_1236
	s_branch .LBB6_1237
.LBB6_1253:
	s_mov_b32 s0, -1
                                        ; implicit-def: $sgpr3
	s_branch .LBB6_1258
.LBB6_1254:
	s_mov_b32 s0, -1
                                        ; implicit-def: $sgpr3
.LBB6_1255:
	s_delay_alu instid0(SALU_CYCLE_1)
	s_and_b32 vcc_lo, exec_lo, s0
	s_cbranch_vccz .LBB6_1257
; %bb.1256:
	global_load_u8 v6, v[0:1], off
	s_and_not1_b32 s3, s3, exec_lo
	s_waitcnt vmcnt(0)
	v_lshlrev_b32_e32 v6, 24, v6
	s_delay_alu instid0(VALU_DEP_1) | instskip(NEXT) | instid1(VALU_DEP_1)
	v_and_b32_e32 v6, 0x7f000000, v6
	v_clz_i32_u32_e32 v7, v6
	v_add_nc_u32_e32 v9, 0x1000000, v6
	v_cmp_ne_u32_e32 vcc_lo, 0, v6
	s_delay_alu instid0(VALU_DEP_3) | instskip(NEXT) | instid1(VALU_DEP_3)
	v_min_u32_e32 v7, 32, v7
	v_ashrrev_i32_e32 v9, 8, v9
	s_delay_alu instid0(VALU_DEP_2) | instskip(NEXT) | instid1(VALU_DEP_1)
	v_sub_nc_u32_e64 v7, v7, 4 clamp
	v_lshlrev_b32_e32 v8, v7, v6
	v_lshlrev_b32_e32 v7, 23, v7
	s_delay_alu instid0(VALU_DEP_2) | instskip(NEXT) | instid1(VALU_DEP_1)
	v_lshrrev_b32_e32 v8, 4, v8
	v_sub_nc_u32_e32 v7, v8, v7
	v_and_b32_e32 v8, 0x7f800000, v9
	s_delay_alu instid0(VALU_DEP_2) | instskip(NEXT) | instid1(VALU_DEP_1)
	v_add_nc_u32_e32 v7, 0x3c000000, v7
	v_and_or_b32 v7, 0x7ff00000, v7, v8
	s_delay_alu instid0(VALU_DEP_1) | instskip(NEXT) | instid1(VALU_DEP_1)
	v_cmp_ne_u32_e64 s0, 0, v7
	s_and_b32 s0, vcc_lo, s0
	s_delay_alu instid0(SALU_CYCLE_1) | instskip(NEXT) | instid1(SALU_CYCLE_1)
	s_and_b32 s0, s0, exec_lo
	s_or_b32 s3, s3, s0
.LBB6_1257:
	s_mov_b32 s0, 0
.LBB6_1258:
	s_delay_alu instid0(SALU_CYCLE_1)
	s_and_not1_b32 vcc_lo, exec_lo, s0
	s_cbranch_vccnz .LBB6_1260
; %bb.1259:
	global_load_u8 v6, v[0:1], off
	s_and_not1_b32 s0, s3, exec_lo
	s_waitcnt vmcnt(0)
	v_lshlrev_b32_e32 v7, 25, v6
	v_lshlrev_b32_e32 v6, 8, v6
	s_delay_alu instid0(VALU_DEP_2) | instskip(NEXT) | instid1(VALU_DEP_2)
	v_lshrrev_b32_e32 v8, 4, v7
	v_and_or_b32 v6, 0x7f00, v6, 0.5
	s_delay_alu instid0(VALU_DEP_2) | instskip(NEXT) | instid1(VALU_DEP_2)
	v_or_b32_e32 v8, 0x70000000, v8
	v_add_f32_e32 v6, -0.5, v6
	s_delay_alu instid0(VALU_DEP_2) | instskip(SKIP_1) | instid1(VALU_DEP_2)
	v_mul_f32_e32 v8, 0x7800000, v8
	v_cmp_gt_u32_e32 vcc_lo, 0x8000000, v7
	v_cndmask_b32_e32 v6, v8, v6, vcc_lo
	s_delay_alu instid0(VALU_DEP_1) | instskip(SKIP_1) | instid1(SALU_CYCLE_1)
	v_cmp_neq_f32_e32 vcc_lo, 0, v6
	s_and_b32 s3, vcc_lo, exec_lo
	s_or_b32 s3, s0, s3
.LBB6_1260:
	s_mov_b32 s0, 0
	s_mov_b32 s13, -1
.LBB6_1261:
	s_and_not1_b32 vcc_lo, exec_lo, s0
	s_mov_b32 s0, 0
	s_cbranch_vccnz .LBB6_1272
; %bb.1262:
	v_cmp_lt_i16_e32 vcc_lo, 14, v4
	s_cbranch_vccz .LBB6_1265
; %bb.1263:
	v_cmp_eq_u16_e32 vcc_lo, 15, v4
	s_cbranch_vccz .LBB6_1268
; %bb.1264:
	global_load_u16 v6, v[0:1], off
	s_mov_b32 s11, 0
	s_mov_b32 s13, -1
	s_waitcnt vmcnt(0)
	v_and_b32_e32 v6, 0x7fff, v6
	s_delay_alu instid0(VALU_DEP_1)
	v_cmp_ne_u16_e32 vcc_lo, 0, v6
	s_and_b32 s3, vcc_lo, exec_lo
	s_branch .LBB6_1270
.LBB6_1265:
	s_mov_b32 s0, -1
	s_branch .LBB6_1269
.LBB6_1266:
	s_and_not1_saveexec_b32 s13, s13
	s_cbranch_execz .LBB6_1247
.LBB6_1267:
	v_cmp_ne_u16_e32 vcc_lo, 0, v6
	s_and_not1_b32 s0, s0, exec_lo
	s_and_not1_b32 s3, s3, exec_lo
	s_and_b32 s14, vcc_lo, exec_lo
	s_delay_alu instid0(SALU_CYCLE_1)
	s_or_b32 s0, s0, s14
	s_or_b32 exec_lo, exec_lo, s13
	s_and_saveexec_b32 s13, s0
	s_cbranch_execnz .LBB6_1248
	s_branch .LBB6_1249
.LBB6_1268:
	s_mov_b32 s11, -1
.LBB6_1269:
                                        ; implicit-def: $sgpr3
.LBB6_1270:
	s_and_b32 vcc_lo, exec_lo, s0
	s_mov_b32 s0, 0
	s_cbranch_vccz .LBB6_1272
; %bb.1271:
	v_cmp_ne_u16_e64 s11, 11, v4
	s_mov_b32 s0, -1
	s_and_not1_b32 s3, s3, exec_lo
.LBB6_1272:
	s_delay_alu instid0(VALU_DEP_1)
	s_and_b32 vcc_lo, exec_lo, s11
	s_cbranch_vccnz .LBB6_1296
; %bb.1273:
	s_and_not1_b32 vcc_lo, exec_lo, s0
	s_cbranch_vccnz .LBB6_1275
.LBB6_1274:
	global_load_u8 v6, v[0:1], off
	s_and_not1_b32 s0, s3, exec_lo
	s_mov_b32 s13, -1
	s_waitcnt vmcnt(0)
	v_cmp_ne_u16_e32 vcc_lo, 0, v6
	s_and_b32 s3, vcc_lo, exec_lo
	s_delay_alu instid0(SALU_CYCLE_1)
	s_or_b32 s3, s0, s3
.LBB6_1275:
.LBB6_1276:
	s_and_not1_b32 vcc_lo, exec_lo, s13
	s_cbranch_vccnz .LBB6_1970
.LBB6_1277:
	v_add_nc_u32_e32 v5, s12, v5
	v_cmp_gt_i16_e32 vcc_lo, 11, v4
	s_delay_alu instid0(VALU_DEP_2) | instskip(SKIP_1) | instid1(VALU_DEP_1)
	v_ashrrev_i32_e32 v1, 31, v5
	v_add_co_u32 v0, s0, s6, v5
	v_add_co_ci_u32_e64 v1, s0, s7, v1, s0
	s_cbranch_vccnz .LBB6_1284
; %bb.1278:
	v_cmp_lt_i16_e32 vcc_lo, 25, v4
	s_mov_b32 s0, 0
	s_cbranch_vccz .LBB6_1290
; %bb.1279:
	v_cmp_lt_i16_e32 vcc_lo, 28, v4
	s_cbranch_vccz .LBB6_1292
; %bb.1280:
	v_cmp_lt_i16_e32 vcc_lo, 43, v4
	s_cbranch_vccz .LBB6_1294
; %bb.1281:
	v_cmp_lt_i16_e32 vcc_lo, 45, v4
	s_cbranch_vccz .LBB6_1298
; %bb.1282:
	v_cmp_eq_u16_e32 vcc_lo, 46, v4
	s_mov_b32 s15, 0
	s_cbranch_vccz .LBB6_1341
; %bb.1283:
	global_load_b32 v6, v[0:1], off
	s_mov_b32 s13, 0
	s_mov_b32 s14, -1
	s_waitcnt vmcnt(0)
	v_and_b32_e32 v6, 0x7fff7fff, v6
	s_delay_alu instid0(VALU_DEP_1)
	v_cmp_ne_u32_e32 vcc_lo, 0, v6
	s_and_b32 s11, vcc_lo, exec_lo
	s_branch .LBB6_1343
.LBB6_1284:
	s_mov_b32 s14, 0
                                        ; implicit-def: $sgpr11
	s_cbranch_execz .LBB6_1407
; %bb.1285:
	v_cmp_gt_i16_e32 vcc_lo, 5, v4
	s_cbranch_vccnz .LBB6_1291
; %bb.1286:
	v_cmp_gt_i16_e32 vcc_lo, 8, v4
	s_cbranch_vccnz .LBB6_1293
	;; [unrolled: 3-line block ×3, first 2 shown]
; %bb.1288:
	v_cmp_lt_i16_e32 vcc_lo, 9, v4
	s_cbranch_vccz .LBB6_1299
; %bb.1289:
	global_load_b128 v[6:9], v[0:1], off
	s_waitcnt vmcnt(0)
	v_cmp_neq_f64_e32 vcc_lo, 0, v[6:7]
	v_cmp_neq_f64_e64 s0, 0, v[8:9]
	s_delay_alu instid0(VALU_DEP_1)
	s_or_b32 s11, vcc_lo, s0
	s_mov_b32 s0, 0
	s_and_b32 s11, s11, exec_lo
	s_branch .LBB6_1300
.LBB6_1290:
	s_mov_b32 s15, -1
	s_mov_b32 s14, 0
	s_mov_b32 s13, 0
                                        ; implicit-def: $sgpr11
	s_branch .LBB6_1370
.LBB6_1291:
	s_mov_b32 s0, -1
                                        ; implicit-def: $sgpr11
	s_branch .LBB6_1318
.LBB6_1292:
	s_mov_b32 s15, -1
	s_mov_b32 s14, 0
	s_mov_b32 s13, 0
                                        ; implicit-def: $sgpr11
	s_branch .LBB6_1351
.LBB6_1293:
	s_mov_b32 s0, -1
                                        ; implicit-def: $sgpr11
	s_branch .LBB6_1306
.LBB6_1294:
	s_mov_b32 s15, -1
	s_mov_b32 s14, 0
	s_mov_b32 s13, 0
                                        ; implicit-def: $sgpr11
	s_branch .LBB6_1346
.LBB6_1295:
	s_mov_b32 s0, -1
                                        ; implicit-def: $sgpr11
	s_branch .LBB6_1303
.LBB6_1296:
	s_cbranch_execnz .LBB6_1339
; %bb.1297:
	s_mov_b32 s13, 0
	s_and_not1_b32 s3, s3, exec_lo
	s_or_b32 s1, s1, exec_lo
	s_cbranch_execz .LBB6_1274
	s_branch .LBB6_1275
.LBB6_1298:
	s_mov_b32 s15, -1
	s_mov_b32 s14, 0
	s_mov_b32 s13, 0
	s_branch .LBB6_1342
.LBB6_1299:
	s_mov_b32 s0, -1
                                        ; implicit-def: $sgpr11
.LBB6_1300:
	s_delay_alu instid0(SALU_CYCLE_1)
	s_and_not1_b32 vcc_lo, exec_lo, s0
	s_cbranch_vccnz .LBB6_1302
; %bb.1301:
	global_load_b64 v[6:7], v[0:1], off
	s_and_not1_b32 s0, s11, exec_lo
	s_waitcnt vmcnt(0)
	v_or_b32_e32 v6, v6, v7
	s_delay_alu instid0(VALU_DEP_1) | instskip(NEXT) | instid1(VALU_DEP_1)
	v_and_b32_e32 v6, 0x7fffffff, v6
	v_cmp_ne_u32_e32 vcc_lo, 0, v6
	s_and_b32 s11, vcc_lo, exec_lo
	s_delay_alu instid0(SALU_CYCLE_1)
	s_or_b32 s11, s0, s11
.LBB6_1302:
	s_mov_b32 s0, 0
.LBB6_1303:
	s_delay_alu instid0(SALU_CYCLE_1)
	s_and_not1_b32 vcc_lo, exec_lo, s0
	s_cbranch_vccnz .LBB6_1305
; %bb.1304:
	global_load_b32 v6, v[0:1], off
	s_and_not1_b32 s0, s11, exec_lo
	s_waitcnt vmcnt(0)
	v_and_b32_e32 v6, 0x7fff7fff, v6
	s_delay_alu instid0(VALU_DEP_1) | instskip(SKIP_1) | instid1(SALU_CYCLE_1)
	v_cmp_ne_u32_e32 vcc_lo, 0, v6
	s_and_b32 s11, vcc_lo, exec_lo
	s_or_b32 s11, s0, s11
.LBB6_1305:
	s_mov_b32 s0, 0
.LBB6_1306:
	s_delay_alu instid0(SALU_CYCLE_1)
	s_and_not1_b32 vcc_lo, exec_lo, s0
	s_cbranch_vccnz .LBB6_1317
; %bb.1307:
	v_cmp_gt_i16_e32 vcc_lo, 6, v4
	s_cbranch_vccnz .LBB6_1310
; %bb.1308:
	v_cmp_lt_i16_e32 vcc_lo, 6, v4
	s_cbranch_vccz .LBB6_1311
; %bb.1309:
	global_load_b64 v[6:7], v[0:1], off
	s_mov_b32 s0, 0
	s_waitcnt vmcnt(0)
	v_cmp_neq_f64_e32 vcc_lo, 0, v[6:7]
	s_and_b32 s11, vcc_lo, exec_lo
	s_branch .LBB6_1312
.LBB6_1310:
	s_mov_b32 s0, -1
                                        ; implicit-def: $sgpr11
	s_branch .LBB6_1315
.LBB6_1311:
	s_mov_b32 s0, -1
                                        ; implicit-def: $sgpr11
.LBB6_1312:
	s_delay_alu instid0(SALU_CYCLE_1)
	s_and_not1_b32 vcc_lo, exec_lo, s0
	s_cbranch_vccnz .LBB6_1314
; %bb.1313:
	global_load_b32 v6, v[0:1], off
	s_and_not1_b32 s0, s11, exec_lo
	s_waitcnt vmcnt(0)
	v_cmp_neq_f32_e32 vcc_lo, 0, v6
	s_and_b32 s11, vcc_lo, exec_lo
	s_delay_alu instid0(SALU_CYCLE_1)
	s_or_b32 s11, s0, s11
.LBB6_1314:
	s_mov_b32 s0, 0
.LBB6_1315:
	s_delay_alu instid0(SALU_CYCLE_1)
	s_and_not1_b32 vcc_lo, exec_lo, s0
	s_cbranch_vccnz .LBB6_1317
; %bb.1316:
	global_load_u16 v6, v[0:1], off
	s_and_not1_b32 s0, s11, exec_lo
	s_waitcnt vmcnt(0)
	v_and_b32_e32 v6, 0x7fff, v6
	s_delay_alu instid0(VALU_DEP_1) | instskip(SKIP_1) | instid1(SALU_CYCLE_1)
	v_cmp_ne_u16_e32 vcc_lo, 0, v6
	s_and_b32 s11, vcc_lo, exec_lo
	s_or_b32 s11, s0, s11
.LBB6_1317:
	s_mov_b32 s0, 0
.LBB6_1318:
	s_delay_alu instid0(SALU_CYCLE_1)
	s_and_not1_b32 vcc_lo, exec_lo, s0
	s_cbranch_vccnz .LBB6_1338
; %bb.1319:
	v_cmp_gt_i16_e32 vcc_lo, 2, v4
	s_cbranch_vccnz .LBB6_1323
; %bb.1320:
	v_cmp_gt_i16_e32 vcc_lo, 3, v4
	s_cbranch_vccnz .LBB6_1324
; %bb.1321:
	v_cmp_lt_i16_e32 vcc_lo, 3, v4
	s_cbranch_vccz .LBB6_1325
; %bb.1322:
	global_load_b64 v[6:7], v[0:1], off
	s_mov_b32 s0, 0
	s_waitcnt vmcnt(0)
	v_cmp_ne_u64_e32 vcc_lo, 0, v[6:7]
	s_and_b32 s11, vcc_lo, exec_lo
	s_branch .LBB6_1326
.LBB6_1323:
	s_mov_b32 s0, -1
                                        ; implicit-def: $sgpr11
	s_branch .LBB6_1332
.LBB6_1324:
	s_mov_b32 s0, -1
                                        ; implicit-def: $sgpr11
	s_branch .LBB6_1329
.LBB6_1325:
	s_mov_b32 s0, -1
                                        ; implicit-def: $sgpr11
.LBB6_1326:
	s_delay_alu instid0(SALU_CYCLE_1)
	s_and_not1_b32 vcc_lo, exec_lo, s0
	s_cbranch_vccnz .LBB6_1328
; %bb.1327:
	global_load_b32 v6, v[0:1], off
	s_and_not1_b32 s0, s11, exec_lo
	s_waitcnt vmcnt(0)
	v_cmp_ne_u32_e32 vcc_lo, 0, v6
	s_and_b32 s11, vcc_lo, exec_lo
	s_delay_alu instid0(SALU_CYCLE_1)
	s_or_b32 s11, s0, s11
.LBB6_1328:
	s_mov_b32 s0, 0
.LBB6_1329:
	s_delay_alu instid0(SALU_CYCLE_1)
	s_and_not1_b32 vcc_lo, exec_lo, s0
	s_cbranch_vccnz .LBB6_1331
; %bb.1330:
	global_load_u16 v6, v[0:1], off
	s_and_not1_b32 s0, s11, exec_lo
	s_waitcnt vmcnt(0)
	v_cmp_ne_u16_e32 vcc_lo, 0, v6
	s_and_b32 s11, vcc_lo, exec_lo
	s_delay_alu instid0(SALU_CYCLE_1)
	s_or_b32 s11, s0, s11
.LBB6_1331:
	s_mov_b32 s0, 0
.LBB6_1332:
	s_delay_alu instid0(SALU_CYCLE_1)
	s_and_not1_b32 vcc_lo, exec_lo, s0
	s_cbranch_vccnz .LBB6_1338
; %bb.1333:
	v_cmp_lt_i16_e32 vcc_lo, 0, v4
	s_mov_b32 s0, 0
	s_cbranch_vccz .LBB6_1335
; %bb.1334:
	global_load_u8 v6, v[0:1], off
	s_waitcnt vmcnt(0)
	v_cmp_ne_u16_e32 vcc_lo, 0, v6
	s_and_b32 s11, vcc_lo, exec_lo
	s_branch .LBB6_1336
.LBB6_1335:
	s_mov_b32 s0, -1
                                        ; implicit-def: $sgpr11
.LBB6_1336:
	s_delay_alu instid0(SALU_CYCLE_1)
	s_and_not1_b32 vcc_lo, exec_lo, s0
	s_cbranch_vccnz .LBB6_1338
; %bb.1337:
	global_load_u8 v0, v[0:1], off
	s_and_not1_b32 s0, s11, exec_lo
	s_waitcnt vmcnt(0)
	v_cmp_ne_u16_e32 vcc_lo, 0, v0
	s_and_b32 s11, vcc_lo, exec_lo
	s_delay_alu instid0(SALU_CYCLE_1)
	s_or_b32 s11, s0, s11
.LBB6_1338:
	s_branch .LBB6_1408
.LBB6_1339:
	s_trap 2
	s_sendmsg_rtn_b32 s0, sendmsg(MSG_RTN_GET_DOORBELL)
	s_mov_b32 ttmp2, m0
	s_waitcnt lgkmcnt(0)
	s_and_b32 s0, s0, 0x3ff
	s_delay_alu instid0(SALU_CYCLE_1) | instskip(NEXT) | instid1(SALU_CYCLE_1)
	s_bitset1_b32 s0, 10
	s_mov_b32 m0, s0
	s_sendmsg sendmsg(MSG_INTERRUPT)
	s_mov_b32 m0, ttmp2
.LBB6_1340:                             ; =>This Inner Loop Header: Depth=1
	s_sethalt 5
	s_branch .LBB6_1340
.LBB6_1341:
	s_mov_b32 s13, -1
	s_mov_b32 s14, 0
.LBB6_1342:
                                        ; implicit-def: $sgpr11
.LBB6_1343:
	s_and_b32 vcc_lo, exec_lo, s15
	s_cbranch_vccz .LBB6_1345
; %bb.1344:
	v_cmp_ne_u16_e64 s13, 44, v4
	s_mov_b32 s14, -1
	s_or_b32 s11, s11, exec_lo
.LBB6_1345:
	s_mov_b32 s15, 0
.LBB6_1346:
	s_delay_alu instid0(SALU_CYCLE_1)
	s_and_b32 vcc_lo, exec_lo, s15
	s_cbranch_vccz .LBB6_1350
; %bb.1347:
	v_cmp_eq_u16_e32 vcc_lo, 29, v4
	s_cbranch_vccz .LBB6_1349
; %bb.1348:
	global_load_b64 v[6:7], v[0:1], off
	s_mov_b32 s13, 0
	s_mov_b32 s14, -1
	s_mov_b32 s15, 0
	s_waitcnt vmcnt(0)
	v_cmp_ne_u64_e32 vcc_lo, 0, v[6:7]
	s_and_b32 s11, vcc_lo, exec_lo
	s_branch .LBB6_1351
.LBB6_1349:
	s_mov_b32 s13, -1
                                        ; implicit-def: $sgpr11
.LBB6_1350:
	s_mov_b32 s15, 0
.LBB6_1351:
	s_delay_alu instid0(SALU_CYCLE_1)
	s_and_b32 vcc_lo, exec_lo, s15
	s_cbranch_vccz .LBB6_1369
; %bb.1352:
	v_cmp_gt_i16_e32 vcc_lo, 27, v4
	s_cbranch_vccnz .LBB6_1355
; %bb.1353:
	v_cmp_lt_i16_e32 vcc_lo, 27, v4
	s_cbranch_vccz .LBB6_1356
; %bb.1354:
	global_load_b32 v6, v[0:1], off
	s_mov_b32 s14, 0
	s_waitcnt vmcnt(0)
	v_cmp_ne_u32_e32 vcc_lo, 0, v6
	s_and_b32 s11, vcc_lo, exec_lo
	s_branch .LBB6_1357
.LBB6_1355:
	s_mov_b32 s14, -1
                                        ; implicit-def: $sgpr11
	s_branch .LBB6_1360
.LBB6_1356:
	s_mov_b32 s14, -1
                                        ; implicit-def: $sgpr11
.LBB6_1357:
	s_delay_alu instid0(SALU_CYCLE_1)
	s_and_not1_b32 vcc_lo, exec_lo, s14
	s_cbranch_vccnz .LBB6_1359
; %bb.1358:
	global_load_u16 v6, v[0:1], off
	s_and_not1_b32 s11, s11, exec_lo
	s_waitcnt vmcnt(0)
	v_cmp_ne_u16_e32 vcc_lo, 0, v6
	s_and_b32 s14, vcc_lo, exec_lo
	s_delay_alu instid0(SALU_CYCLE_1)
	s_or_b32 s11, s11, s14
.LBB6_1359:
	s_mov_b32 s14, 0
.LBB6_1360:
	s_delay_alu instid0(SALU_CYCLE_1)
	s_and_not1_b32 vcc_lo, exec_lo, s14
	s_cbranch_vccnz .LBB6_1368
; %bb.1361:
	global_load_u8 v6, v[0:1], off
	s_mov_b32 s14, 0
	s_mov_b32 s15, exec_lo
                                        ; implicit-def: $sgpr11
	s_waitcnt vmcnt(0)
	v_cmpx_lt_i16_e32 0x7f, v6
	s_xor_b32 s15, exec_lo, s15
	s_cbranch_execz .LBB6_1382
; %bb.1362:
	s_mov_b32 s14, -1
	s_mov_b32 s16, exec_lo
                                        ; implicit-def: $sgpr11
	v_cmpx_eq_u16_e32 0x80, v6
; %bb.1363:
	s_mov_b32 s11, -1
	s_xor_b32 s14, exec_lo, -1
; %bb.1364:
	s_or_b32 exec_lo, exec_lo, s16
	s_delay_alu instid0(SALU_CYCLE_1)
	s_and_b32 s14, s14, exec_lo
	s_and_not1_saveexec_b32 s15, s15
	s_cbranch_execnz .LBB6_1383
.LBB6_1365:
	s_or_b32 exec_lo, exec_lo, s15
	s_and_saveexec_b32 s15, s14
	s_cbranch_execz .LBB6_1367
.LBB6_1366:
	v_and_b32_e32 v6, 0xffff, v6
	s_and_not1_b32 s11, s11, exec_lo
	s_delay_alu instid0(VALU_DEP_1) | instskip(NEXT) | instid1(VALU_DEP_1)
	v_and_b32_e32 v7, 7, v6
	v_clz_i32_u32_e32 v8, v7
	s_delay_alu instid0(VALU_DEP_1) | instskip(NEXT) | instid1(VALU_DEP_1)
	v_min_u32_e32 v8, 32, v8
	v_subrev_nc_u32_e32 v9, 28, v8
	v_sub_nc_u32_e32 v8, 29, v8
	s_delay_alu instid0(VALU_DEP_2) | instskip(SKIP_1) | instid1(VALU_DEP_2)
	v_lshlrev_b32_e32 v9, v9, v6
	v_bfe_u32 v6, v6, 3, 4
	v_and_b32_e32 v9, 7, v9
	s_delay_alu instid0(VALU_DEP_2) | instskip(NEXT) | instid1(VALU_DEP_2)
	v_cmp_eq_u32_e32 vcc_lo, 0, v6
	v_dual_cndmask_b32 v6, v6, v8 :: v_dual_cndmask_b32 v7, v7, v9
	s_delay_alu instid0(VALU_DEP_1) | instskip(NEXT) | instid1(VALU_DEP_2)
	v_lshl_add_u32 v6, v6, 23, 0x3b800000
	v_lshlrev_b32_e32 v7, 20, v7
	s_delay_alu instid0(VALU_DEP_1) | instskip(NEXT) | instid1(VALU_DEP_1)
	v_and_or_b32 v6, 0x7f800000, v6, v7
	v_cmp_ne_u32_e32 vcc_lo, 0, v6
	s_and_b32 s14, vcc_lo, exec_lo
	s_delay_alu instid0(SALU_CYCLE_1)
	s_or_b32 s11, s11, s14
.LBB6_1367:
	s_or_b32 exec_lo, exec_lo, s15
.LBB6_1368:
	s_mov_b32 s14, -1
.LBB6_1369:
	s_mov_b32 s15, 0
.LBB6_1370:
	s_delay_alu instid0(SALU_CYCLE_1)
	s_and_b32 vcc_lo, exec_lo, s15
	s_cbranch_vccz .LBB6_1403
; %bb.1371:
	v_cmp_lt_i16_e32 vcc_lo, 22, v4
	s_cbranch_vccz .LBB6_1381
; %bb.1372:
	v_cmp_gt_i16_e32 vcc_lo, 24, v4
	s_cbranch_vccnz .LBB6_1384
; %bb.1373:
	v_cmp_lt_i16_e32 vcc_lo, 24, v4
	s_cbranch_vccz .LBB6_1385
; %bb.1374:
	global_load_u8 v6, v[0:1], off
	s_mov_b32 s14, exec_lo
                                        ; implicit-def: $sgpr11
	s_waitcnt vmcnt(0)
	v_cmpx_lt_i16_e32 0x7f, v6
	s_xor_b32 s14, exec_lo, s14
	s_cbranch_execz .LBB6_1397
; %bb.1375:
	s_mov_b32 s0, -1
	s_mov_b32 s15, exec_lo
                                        ; implicit-def: $sgpr11
	v_cmpx_eq_u16_e32 0x80, v6
; %bb.1376:
	s_mov_b32 s11, -1
	s_xor_b32 s0, exec_lo, -1
; %bb.1377:
	s_or_b32 exec_lo, exec_lo, s15
	s_delay_alu instid0(SALU_CYCLE_1)
	s_and_b32 s0, s0, exec_lo
	s_and_not1_saveexec_b32 s14, s14
	s_cbranch_execnz .LBB6_1398
.LBB6_1378:
	s_or_b32 exec_lo, exec_lo, s14
	s_and_saveexec_b32 s14, s0
	s_cbranch_execz .LBB6_1380
.LBB6_1379:
	v_and_b32_e32 v6, 0xffff, v6
	s_and_not1_b32 s0, s11, exec_lo
	s_delay_alu instid0(VALU_DEP_1) | instskip(NEXT) | instid1(VALU_DEP_1)
	v_and_b32_e32 v7, 3, v6
	v_clz_i32_u32_e32 v8, v7
	s_delay_alu instid0(VALU_DEP_1) | instskip(NEXT) | instid1(VALU_DEP_1)
	v_min_u32_e32 v8, 32, v8
	v_subrev_nc_u32_e32 v9, 29, v8
	v_sub_nc_u32_e32 v8, 30, v8
	s_delay_alu instid0(VALU_DEP_2) | instskip(SKIP_1) | instid1(VALU_DEP_2)
	v_lshlrev_b32_e32 v9, v9, v6
	v_bfe_u32 v6, v6, 2, 5
	v_and_b32_e32 v9, 3, v9
	s_delay_alu instid0(VALU_DEP_2) | instskip(NEXT) | instid1(VALU_DEP_2)
	v_cmp_eq_u32_e32 vcc_lo, 0, v6
	v_dual_cndmask_b32 v6, v6, v8 :: v_dual_cndmask_b32 v7, v7, v9
	s_delay_alu instid0(VALU_DEP_1) | instskip(NEXT) | instid1(VALU_DEP_2)
	v_lshl_add_u32 v6, v6, 23, 0x37800000
	v_lshlrev_b32_e32 v7, 21, v7
	s_delay_alu instid0(VALU_DEP_1) | instskip(NEXT) | instid1(VALU_DEP_1)
	v_and_or_b32 v6, 0x7f800000, v6, v7
	v_cmp_ne_u32_e32 vcc_lo, 0, v6
	s_and_b32 s11, vcc_lo, exec_lo
	s_delay_alu instid0(SALU_CYCLE_1)
	s_or_b32 s11, s0, s11
.LBB6_1380:
	s_or_b32 exec_lo, exec_lo, s14
	s_mov_b32 s0, 0
	s_branch .LBB6_1386
.LBB6_1381:
	s_mov_b32 s0, -1
                                        ; implicit-def: $sgpr11
	s_branch .LBB6_1392
.LBB6_1382:
	s_and_not1_saveexec_b32 s15, s15
	s_cbranch_execz .LBB6_1365
.LBB6_1383:
	v_cmp_ne_u16_e32 vcc_lo, 0, v6
	s_and_not1_b32 s14, s14, exec_lo
	s_and_not1_b32 s11, s11, exec_lo
	s_and_b32 s16, vcc_lo, exec_lo
	s_delay_alu instid0(SALU_CYCLE_1)
	s_or_b32 s14, s14, s16
	s_or_b32 exec_lo, exec_lo, s15
	s_and_saveexec_b32 s15, s14
	s_cbranch_execnz .LBB6_1366
	s_branch .LBB6_1367
.LBB6_1384:
	s_mov_b32 s0, -1
                                        ; implicit-def: $sgpr11
	s_branch .LBB6_1389
.LBB6_1385:
	s_mov_b32 s0, -1
                                        ; implicit-def: $sgpr11
.LBB6_1386:
	s_delay_alu instid0(SALU_CYCLE_1)
	s_and_b32 vcc_lo, exec_lo, s0
	s_cbranch_vccz .LBB6_1388
; %bb.1387:
	global_load_u8 v6, v[0:1], off
	s_and_not1_b32 s11, s11, exec_lo
	s_waitcnt vmcnt(0)
	v_lshlrev_b32_e32 v6, 24, v6
	s_delay_alu instid0(VALU_DEP_1) | instskip(NEXT) | instid1(VALU_DEP_1)
	v_and_b32_e32 v6, 0x7f000000, v6
	v_clz_i32_u32_e32 v7, v6
	v_add_nc_u32_e32 v9, 0x1000000, v6
	v_cmp_ne_u32_e32 vcc_lo, 0, v6
	s_delay_alu instid0(VALU_DEP_3) | instskip(NEXT) | instid1(VALU_DEP_3)
	v_min_u32_e32 v7, 32, v7
	v_ashrrev_i32_e32 v9, 8, v9
	s_delay_alu instid0(VALU_DEP_2) | instskip(NEXT) | instid1(VALU_DEP_1)
	v_sub_nc_u32_e64 v7, v7, 4 clamp
	v_lshlrev_b32_e32 v8, v7, v6
	v_lshlrev_b32_e32 v7, 23, v7
	s_delay_alu instid0(VALU_DEP_2) | instskip(NEXT) | instid1(VALU_DEP_1)
	v_lshrrev_b32_e32 v8, 4, v8
	v_sub_nc_u32_e32 v7, v8, v7
	v_and_b32_e32 v8, 0x7f800000, v9
	s_delay_alu instid0(VALU_DEP_2) | instskip(NEXT) | instid1(VALU_DEP_1)
	v_add_nc_u32_e32 v7, 0x3c000000, v7
	v_and_or_b32 v7, 0x7ff00000, v7, v8
	s_delay_alu instid0(VALU_DEP_1) | instskip(NEXT) | instid1(VALU_DEP_1)
	v_cmp_ne_u32_e64 s0, 0, v7
	s_and_b32 s0, vcc_lo, s0
	s_delay_alu instid0(SALU_CYCLE_1) | instskip(NEXT) | instid1(SALU_CYCLE_1)
	s_and_b32 s0, s0, exec_lo
	s_or_b32 s11, s11, s0
.LBB6_1388:
	s_mov_b32 s0, 0
.LBB6_1389:
	s_delay_alu instid0(SALU_CYCLE_1)
	s_and_not1_b32 vcc_lo, exec_lo, s0
	s_cbranch_vccnz .LBB6_1391
; %bb.1390:
	global_load_u8 v6, v[0:1], off
	s_and_not1_b32 s0, s11, exec_lo
	s_waitcnt vmcnt(0)
	v_lshlrev_b32_e32 v7, 25, v6
	v_lshlrev_b32_e32 v6, 8, v6
	s_delay_alu instid0(VALU_DEP_2) | instskip(NEXT) | instid1(VALU_DEP_2)
	v_lshrrev_b32_e32 v8, 4, v7
	v_and_or_b32 v6, 0x7f00, v6, 0.5
	s_delay_alu instid0(VALU_DEP_2) | instskip(NEXT) | instid1(VALU_DEP_2)
	v_or_b32_e32 v8, 0x70000000, v8
	v_add_f32_e32 v6, -0.5, v6
	s_delay_alu instid0(VALU_DEP_2) | instskip(SKIP_1) | instid1(VALU_DEP_2)
	v_mul_f32_e32 v8, 0x7800000, v8
	v_cmp_gt_u32_e32 vcc_lo, 0x8000000, v7
	v_cndmask_b32_e32 v6, v8, v6, vcc_lo
	s_delay_alu instid0(VALU_DEP_1) | instskip(SKIP_1) | instid1(SALU_CYCLE_1)
	v_cmp_neq_f32_e32 vcc_lo, 0, v6
	s_and_b32 s11, vcc_lo, exec_lo
	s_or_b32 s11, s0, s11
.LBB6_1391:
	s_mov_b32 s0, 0
	s_mov_b32 s14, -1
.LBB6_1392:
	s_and_not1_b32 vcc_lo, exec_lo, s0
	s_mov_b32 s0, 0
	s_cbranch_vccnz .LBB6_1403
; %bb.1393:
	v_cmp_lt_i16_e32 vcc_lo, 14, v4
	s_cbranch_vccz .LBB6_1396
; %bb.1394:
	v_cmp_eq_u16_e32 vcc_lo, 15, v4
	s_cbranch_vccz .LBB6_1399
; %bb.1395:
	global_load_u16 v6, v[0:1], off
	s_mov_b32 s13, 0
	s_mov_b32 s14, -1
	s_waitcnt vmcnt(0)
	v_and_b32_e32 v6, 0x7fff, v6
	s_delay_alu instid0(VALU_DEP_1)
	v_cmp_ne_u16_e32 vcc_lo, 0, v6
	s_and_b32 s11, vcc_lo, exec_lo
	s_branch .LBB6_1401
.LBB6_1396:
	s_mov_b32 s0, -1
	s_branch .LBB6_1400
.LBB6_1397:
	s_and_not1_saveexec_b32 s14, s14
	s_cbranch_execz .LBB6_1378
.LBB6_1398:
	v_cmp_ne_u16_e32 vcc_lo, 0, v6
	s_and_not1_b32 s0, s0, exec_lo
	s_and_not1_b32 s11, s11, exec_lo
	s_and_b32 s15, vcc_lo, exec_lo
	s_delay_alu instid0(SALU_CYCLE_1)
	s_or_b32 s0, s0, s15
	s_or_b32 exec_lo, exec_lo, s14
	s_and_saveexec_b32 s14, s0
	s_cbranch_execnz .LBB6_1379
	s_branch .LBB6_1380
.LBB6_1399:
	s_mov_b32 s13, -1
.LBB6_1400:
                                        ; implicit-def: $sgpr11
.LBB6_1401:
	s_and_b32 vcc_lo, exec_lo, s0
	s_mov_b32 s0, 0
	s_cbranch_vccz .LBB6_1403
; %bb.1402:
	v_cmp_ne_u16_e64 s13, 11, v4
	s_mov_b32 s0, -1
	s_and_not1_b32 s11, s11, exec_lo
.LBB6_1403:
	s_delay_alu instid0(VALU_DEP_1)
	s_and_b32 vcc_lo, exec_lo, s13
	s_cbranch_vccnz .LBB6_1419
; %bb.1404:
	s_and_not1_b32 vcc_lo, exec_lo, s0
	s_cbranch_vccnz .LBB6_1406
.LBB6_1405:
	global_load_u8 v6, v[0:1], off
	s_and_not1_b32 s0, s11, exec_lo
	s_mov_b32 s14, -1
	s_waitcnt vmcnt(0)
	v_cmp_ne_u16_e32 vcc_lo, 0, v6
	s_and_b32 s11, vcc_lo, exec_lo
	s_delay_alu instid0(SALU_CYCLE_1)
	s_or_b32 s11, s0, s11
.LBB6_1406:
.LBB6_1407:
	s_and_not1_b32 vcc_lo, exec_lo, s14
	s_cbranch_vccnz .LBB6_1970
.LBB6_1408:
	v_add_nc_u32_e32 v0, s12, v5
	v_cmp_gt_i16_e32 vcc_lo, 11, v4
	s_delay_alu instid0(VALU_DEP_2) | instskip(SKIP_1) | instid1(VALU_DEP_1)
	v_ashrrev_i32_e32 v1, 31, v0
	v_add_co_u32 v0, s0, s6, v0
	v_add_co_ci_u32_e64 v1, s0, s7, v1, s0
	s_cbranch_vccnz .LBB6_1415
; %bb.1409:
	v_cmp_lt_i16_e32 vcc_lo, 25, v4
	s_mov_b32 s0, 0
	s_cbranch_vccz .LBB6_1416
; %bb.1410:
	v_cmp_lt_i16_e32 vcc_lo, 28, v4
	s_cbranch_vccz .LBB6_1417
; %bb.1411:
	v_cmp_lt_i16_e32 vcc_lo, 43, v4
	;; [unrolled: 3-line block ×3, first 2 shown]
	s_cbranch_vccz .LBB6_1421
; %bb.1413:
	v_cmp_eq_u16_e32 vcc_lo, 46, v4
	s_mov_b32 s13, 0
	s_cbranch_vccz .LBB6_1424
; %bb.1414:
	global_load_b32 v5, v[0:1], off
	s_mov_b32 s7, 0
	s_mov_b32 s12, -1
	s_waitcnt vmcnt(0)
	v_and_b32_e32 v5, 0x7fff7fff, v5
	s_delay_alu instid0(VALU_DEP_1)
	v_cmp_ne_u32_e32 vcc_lo, 0, v5
	s_and_b32 s6, vcc_lo, exec_lo
	s_branch .LBB6_1426
.LBB6_1415:
	s_mov_b32 s0, -1
	s_mov_b32 s12, 0
                                        ; implicit-def: $sgpr6
	s_branch .LBB6_1490
.LBB6_1416:
	s_mov_b32 s13, -1
	s_mov_b32 s12, 0
	s_mov_b32 s7, 0
                                        ; implicit-def: $sgpr6
	s_branch .LBB6_1453
.LBB6_1417:
	s_mov_b32 s13, -1
	s_mov_b32 s12, 0
	s_mov_b32 s7, 0
                                        ; implicit-def: $sgpr6
	s_branch .LBB6_1434
.LBB6_1418:
	s_mov_b32 s13, -1
	s_mov_b32 s12, 0
	s_mov_b32 s7, 0
                                        ; implicit-def: $sgpr6
	s_branch .LBB6_1429
.LBB6_1419:
	s_cbranch_execnz .LBB6_1422
; %bb.1420:
	s_mov_b32 s14, 0
	s_and_not1_b32 s11, s11, exec_lo
	s_or_b32 s1, s1, exec_lo
	s_cbranch_execz .LBB6_1405
	s_branch .LBB6_1406
.LBB6_1421:
	s_mov_b32 s13, -1
	s_mov_b32 s12, 0
	s_mov_b32 s7, 0
	s_branch .LBB6_1425
.LBB6_1422:
	s_trap 2
	s_sendmsg_rtn_b32 s0, sendmsg(MSG_RTN_GET_DOORBELL)
	s_mov_b32 ttmp2, m0
	s_waitcnt lgkmcnt(0)
	s_and_b32 s0, s0, 0x3ff
	s_delay_alu instid0(SALU_CYCLE_1) | instskip(NEXT) | instid1(SALU_CYCLE_1)
	s_bitset1_b32 s0, 10
	s_mov_b32 m0, s0
	s_sendmsg sendmsg(MSG_INTERRUPT)
	s_mov_b32 m0, ttmp2
.LBB6_1423:                             ; =>This Inner Loop Header: Depth=1
	s_sethalt 5
	s_branch .LBB6_1423
.LBB6_1424:
	s_mov_b32 s7, -1
	s_mov_b32 s12, 0
.LBB6_1425:
                                        ; implicit-def: $sgpr6
.LBB6_1426:
	s_and_b32 vcc_lo, exec_lo, s13
	s_cbranch_vccz .LBB6_1428
; %bb.1427:
	v_cmp_ne_u16_e64 s7, 44, v4
	s_mov_b32 s12, -1
	s_or_b32 s6, s6, exec_lo
.LBB6_1428:
	s_mov_b32 s13, 0
.LBB6_1429:
	s_delay_alu instid0(SALU_CYCLE_1)
	s_and_b32 vcc_lo, exec_lo, s13
	s_cbranch_vccz .LBB6_1433
; %bb.1430:
	v_cmp_eq_u16_e32 vcc_lo, 29, v4
	s_cbranch_vccz .LBB6_1432
; %bb.1431:
	global_load_b64 v[5:6], v[0:1], off
	s_mov_b32 s7, 0
	s_mov_b32 s12, -1
	s_mov_b32 s13, 0
	s_waitcnt vmcnt(0)
	v_cmp_ne_u64_e32 vcc_lo, 0, v[5:6]
	s_and_b32 s6, vcc_lo, exec_lo
	s_branch .LBB6_1434
.LBB6_1432:
	s_mov_b32 s7, -1
                                        ; implicit-def: $sgpr6
.LBB6_1433:
	s_mov_b32 s13, 0
.LBB6_1434:
	s_delay_alu instid0(SALU_CYCLE_1)
	s_and_b32 vcc_lo, exec_lo, s13
	s_cbranch_vccz .LBB6_1452
; %bb.1435:
	v_cmp_gt_i16_e32 vcc_lo, 27, v4
	s_cbranch_vccnz .LBB6_1438
; %bb.1436:
	v_cmp_lt_i16_e32 vcc_lo, 27, v4
	s_cbranch_vccz .LBB6_1439
; %bb.1437:
	global_load_b32 v5, v[0:1], off
	s_mov_b32 s12, 0
	s_waitcnt vmcnt(0)
	v_cmp_ne_u32_e32 vcc_lo, 0, v5
	s_and_b32 s6, vcc_lo, exec_lo
	s_branch .LBB6_1440
.LBB6_1438:
	s_mov_b32 s12, -1
                                        ; implicit-def: $sgpr6
	s_branch .LBB6_1443
.LBB6_1439:
	s_mov_b32 s12, -1
                                        ; implicit-def: $sgpr6
.LBB6_1440:
	s_delay_alu instid0(SALU_CYCLE_1)
	s_and_not1_b32 vcc_lo, exec_lo, s12
	s_cbranch_vccnz .LBB6_1442
; %bb.1441:
	global_load_u16 v5, v[0:1], off
	s_and_not1_b32 s6, s6, exec_lo
	s_waitcnt vmcnt(0)
	v_cmp_ne_u16_e32 vcc_lo, 0, v5
	s_and_b32 s12, vcc_lo, exec_lo
	s_delay_alu instid0(SALU_CYCLE_1)
	s_or_b32 s6, s6, s12
.LBB6_1442:
	s_mov_b32 s12, 0
.LBB6_1443:
	s_delay_alu instid0(SALU_CYCLE_1)
	s_and_not1_b32 vcc_lo, exec_lo, s12
	s_cbranch_vccnz .LBB6_1451
; %bb.1444:
	global_load_u8 v5, v[0:1], off
	s_mov_b32 s12, 0
	s_mov_b32 s13, exec_lo
                                        ; implicit-def: $sgpr6
	s_waitcnt vmcnt(0)
	v_cmpx_lt_i16_e32 0x7f, v5
	s_xor_b32 s13, exec_lo, s13
	s_cbranch_execz .LBB6_1465
; %bb.1445:
	s_mov_b32 s12, -1
	s_mov_b32 s14, exec_lo
                                        ; implicit-def: $sgpr6
	v_cmpx_eq_u16_e32 0x80, v5
; %bb.1446:
	s_mov_b32 s6, -1
	s_xor_b32 s12, exec_lo, -1
; %bb.1447:
	s_or_b32 exec_lo, exec_lo, s14
	s_delay_alu instid0(SALU_CYCLE_1)
	s_and_b32 s12, s12, exec_lo
	s_and_not1_saveexec_b32 s13, s13
	s_cbranch_execnz .LBB6_1466
.LBB6_1448:
	s_or_b32 exec_lo, exec_lo, s13
	s_and_saveexec_b32 s13, s12
	s_cbranch_execz .LBB6_1450
.LBB6_1449:
	v_and_b32_e32 v5, 0xffff, v5
	s_and_not1_b32 s6, s6, exec_lo
	s_delay_alu instid0(VALU_DEP_1) | instskip(NEXT) | instid1(VALU_DEP_1)
	v_and_b32_e32 v6, 7, v5
	v_clz_i32_u32_e32 v7, v6
	s_delay_alu instid0(VALU_DEP_1) | instskip(NEXT) | instid1(VALU_DEP_1)
	v_min_u32_e32 v7, 32, v7
	v_subrev_nc_u32_e32 v8, 28, v7
	v_sub_nc_u32_e32 v7, 29, v7
	s_delay_alu instid0(VALU_DEP_2) | instskip(SKIP_1) | instid1(VALU_DEP_2)
	v_lshlrev_b32_e32 v8, v8, v5
	v_bfe_u32 v5, v5, 3, 4
	v_and_b32_e32 v8, 7, v8
	s_delay_alu instid0(VALU_DEP_2) | instskip(NEXT) | instid1(VALU_DEP_2)
	v_cmp_eq_u32_e32 vcc_lo, 0, v5
	v_dual_cndmask_b32 v5, v5, v7 :: v_dual_cndmask_b32 v6, v6, v8
	s_delay_alu instid0(VALU_DEP_1) | instskip(NEXT) | instid1(VALU_DEP_2)
	v_lshl_add_u32 v5, v5, 23, 0x3b800000
	v_lshlrev_b32_e32 v6, 20, v6
	s_delay_alu instid0(VALU_DEP_1) | instskip(NEXT) | instid1(VALU_DEP_1)
	v_and_or_b32 v5, 0x7f800000, v5, v6
	v_cmp_ne_u32_e32 vcc_lo, 0, v5
	s_and_b32 s12, vcc_lo, exec_lo
	s_delay_alu instid0(SALU_CYCLE_1)
	s_or_b32 s6, s6, s12
.LBB6_1450:
	s_or_b32 exec_lo, exec_lo, s13
.LBB6_1451:
	s_mov_b32 s12, -1
.LBB6_1452:
	s_mov_b32 s13, 0
.LBB6_1453:
	s_delay_alu instid0(SALU_CYCLE_1)
	s_and_b32 vcc_lo, exec_lo, s13
	s_cbranch_vccz .LBB6_1486
; %bb.1454:
	v_cmp_lt_i16_e32 vcc_lo, 22, v4
	s_cbranch_vccz .LBB6_1464
; %bb.1455:
	v_cmp_gt_i16_e32 vcc_lo, 24, v4
	s_cbranch_vccnz .LBB6_1467
; %bb.1456:
	v_cmp_lt_i16_e32 vcc_lo, 24, v4
	s_cbranch_vccz .LBB6_1468
; %bb.1457:
	global_load_u8 v5, v[0:1], off
	s_mov_b32 s12, exec_lo
                                        ; implicit-def: $sgpr6
	s_waitcnt vmcnt(0)
	v_cmpx_lt_i16_e32 0x7f, v5
	s_xor_b32 s12, exec_lo, s12
	s_cbranch_execz .LBB6_1480
; %bb.1458:
	s_mov_b32 s0, -1
	s_mov_b32 s13, exec_lo
                                        ; implicit-def: $sgpr6
	v_cmpx_eq_u16_e32 0x80, v5
; %bb.1459:
	s_mov_b32 s6, -1
	s_xor_b32 s0, exec_lo, -1
; %bb.1460:
	s_or_b32 exec_lo, exec_lo, s13
	s_delay_alu instid0(SALU_CYCLE_1)
	s_and_b32 s0, s0, exec_lo
	s_and_not1_saveexec_b32 s12, s12
	s_cbranch_execnz .LBB6_1481
.LBB6_1461:
	s_or_b32 exec_lo, exec_lo, s12
	s_and_saveexec_b32 s12, s0
	s_cbranch_execz .LBB6_1463
.LBB6_1462:
	v_and_b32_e32 v5, 0xffff, v5
	s_and_not1_b32 s0, s6, exec_lo
	s_delay_alu instid0(VALU_DEP_1) | instskip(NEXT) | instid1(VALU_DEP_1)
	v_and_b32_e32 v6, 3, v5
	v_clz_i32_u32_e32 v7, v6
	s_delay_alu instid0(VALU_DEP_1) | instskip(NEXT) | instid1(VALU_DEP_1)
	v_min_u32_e32 v7, 32, v7
	v_subrev_nc_u32_e32 v8, 29, v7
	v_sub_nc_u32_e32 v7, 30, v7
	s_delay_alu instid0(VALU_DEP_2) | instskip(SKIP_1) | instid1(VALU_DEP_2)
	v_lshlrev_b32_e32 v8, v8, v5
	v_bfe_u32 v5, v5, 2, 5
	v_and_b32_e32 v8, 3, v8
	s_delay_alu instid0(VALU_DEP_2) | instskip(NEXT) | instid1(VALU_DEP_2)
	v_cmp_eq_u32_e32 vcc_lo, 0, v5
	v_dual_cndmask_b32 v5, v5, v7 :: v_dual_cndmask_b32 v6, v6, v8
	s_delay_alu instid0(VALU_DEP_1) | instskip(NEXT) | instid1(VALU_DEP_2)
	v_lshl_add_u32 v5, v5, 23, 0x37800000
	v_lshlrev_b32_e32 v6, 21, v6
	s_delay_alu instid0(VALU_DEP_1) | instskip(NEXT) | instid1(VALU_DEP_1)
	v_and_or_b32 v5, 0x7f800000, v5, v6
	v_cmp_ne_u32_e32 vcc_lo, 0, v5
	s_and_b32 s6, vcc_lo, exec_lo
	s_delay_alu instid0(SALU_CYCLE_1)
	s_or_b32 s6, s0, s6
.LBB6_1463:
	s_or_b32 exec_lo, exec_lo, s12
	s_mov_b32 s0, 0
	s_branch .LBB6_1469
.LBB6_1464:
	s_mov_b32 s0, -1
                                        ; implicit-def: $sgpr6
	s_branch .LBB6_1475
.LBB6_1465:
	s_and_not1_saveexec_b32 s13, s13
	s_cbranch_execz .LBB6_1448
.LBB6_1466:
	v_cmp_ne_u16_e32 vcc_lo, 0, v5
	s_and_not1_b32 s12, s12, exec_lo
	s_and_not1_b32 s6, s6, exec_lo
	s_and_b32 s14, vcc_lo, exec_lo
	s_delay_alu instid0(SALU_CYCLE_1)
	s_or_b32 s12, s12, s14
	s_or_b32 exec_lo, exec_lo, s13
	s_and_saveexec_b32 s13, s12
	s_cbranch_execnz .LBB6_1449
	s_branch .LBB6_1450
.LBB6_1467:
	s_mov_b32 s0, -1
                                        ; implicit-def: $sgpr6
	s_branch .LBB6_1472
.LBB6_1468:
	s_mov_b32 s0, -1
                                        ; implicit-def: $sgpr6
.LBB6_1469:
	s_delay_alu instid0(SALU_CYCLE_1)
	s_and_b32 vcc_lo, exec_lo, s0
	s_cbranch_vccz .LBB6_1471
; %bb.1470:
	global_load_u8 v5, v[0:1], off
	s_and_not1_b32 s6, s6, exec_lo
	s_waitcnt vmcnt(0)
	v_lshlrev_b32_e32 v5, 24, v5
	s_delay_alu instid0(VALU_DEP_1) | instskip(NEXT) | instid1(VALU_DEP_1)
	v_and_b32_e32 v5, 0x7f000000, v5
	v_clz_i32_u32_e32 v6, v5
	v_add_nc_u32_e32 v8, 0x1000000, v5
	v_cmp_ne_u32_e32 vcc_lo, 0, v5
	s_delay_alu instid0(VALU_DEP_3) | instskip(NEXT) | instid1(VALU_DEP_3)
	v_min_u32_e32 v6, 32, v6
	v_ashrrev_i32_e32 v8, 8, v8
	s_delay_alu instid0(VALU_DEP_2) | instskip(NEXT) | instid1(VALU_DEP_1)
	v_sub_nc_u32_e64 v6, v6, 4 clamp
	v_lshlrev_b32_e32 v7, v6, v5
	v_lshlrev_b32_e32 v6, 23, v6
	s_delay_alu instid0(VALU_DEP_2) | instskip(NEXT) | instid1(VALU_DEP_1)
	v_lshrrev_b32_e32 v7, 4, v7
	v_sub_nc_u32_e32 v6, v7, v6
	v_and_b32_e32 v7, 0x7f800000, v8
	s_delay_alu instid0(VALU_DEP_2) | instskip(NEXT) | instid1(VALU_DEP_1)
	v_add_nc_u32_e32 v6, 0x3c000000, v6
	v_and_or_b32 v6, 0x7ff00000, v6, v7
	s_delay_alu instid0(VALU_DEP_1) | instskip(NEXT) | instid1(VALU_DEP_1)
	v_cmp_ne_u32_e64 s0, 0, v6
	s_and_b32 s0, vcc_lo, s0
	s_delay_alu instid0(SALU_CYCLE_1) | instskip(NEXT) | instid1(SALU_CYCLE_1)
	s_and_b32 s0, s0, exec_lo
	s_or_b32 s6, s6, s0
.LBB6_1471:
	s_mov_b32 s0, 0
.LBB6_1472:
	s_delay_alu instid0(SALU_CYCLE_1)
	s_and_not1_b32 vcc_lo, exec_lo, s0
	s_cbranch_vccnz .LBB6_1474
; %bb.1473:
	global_load_u8 v5, v[0:1], off
	s_and_not1_b32 s0, s6, exec_lo
	s_waitcnt vmcnt(0)
	v_lshlrev_b32_e32 v6, 25, v5
	v_lshlrev_b32_e32 v5, 8, v5
	s_delay_alu instid0(VALU_DEP_2) | instskip(NEXT) | instid1(VALU_DEP_2)
	v_lshrrev_b32_e32 v7, 4, v6
	v_and_or_b32 v5, 0x7f00, v5, 0.5
	s_delay_alu instid0(VALU_DEP_2) | instskip(NEXT) | instid1(VALU_DEP_2)
	v_or_b32_e32 v7, 0x70000000, v7
	v_add_f32_e32 v5, -0.5, v5
	s_delay_alu instid0(VALU_DEP_2) | instskip(SKIP_1) | instid1(VALU_DEP_2)
	v_mul_f32_e32 v7, 0x7800000, v7
	v_cmp_gt_u32_e32 vcc_lo, 0x8000000, v6
	v_cndmask_b32_e32 v5, v7, v5, vcc_lo
	s_delay_alu instid0(VALU_DEP_1) | instskip(SKIP_1) | instid1(SALU_CYCLE_1)
	v_cmp_neq_f32_e32 vcc_lo, 0, v5
	s_and_b32 s6, vcc_lo, exec_lo
	s_or_b32 s6, s0, s6
.LBB6_1474:
	s_mov_b32 s0, 0
	s_mov_b32 s12, -1
.LBB6_1475:
	s_and_not1_b32 vcc_lo, exec_lo, s0
	s_mov_b32 s0, 0
	s_cbranch_vccnz .LBB6_1486
; %bb.1476:
	v_cmp_lt_i16_e32 vcc_lo, 14, v4
	s_cbranch_vccz .LBB6_1479
; %bb.1477:
	v_cmp_eq_u16_e32 vcc_lo, 15, v4
	s_cbranch_vccz .LBB6_1482
; %bb.1478:
	global_load_u16 v5, v[0:1], off
	s_mov_b32 s7, 0
	s_mov_b32 s12, -1
	s_waitcnt vmcnt(0)
	v_and_b32_e32 v5, 0x7fff, v5
	s_delay_alu instid0(VALU_DEP_1)
	v_cmp_ne_u16_e32 vcc_lo, 0, v5
	s_and_b32 s6, vcc_lo, exec_lo
	s_branch .LBB6_1484
.LBB6_1479:
	s_mov_b32 s0, -1
	s_branch .LBB6_1483
.LBB6_1480:
	s_and_not1_saveexec_b32 s12, s12
	s_cbranch_execz .LBB6_1461
.LBB6_1481:
	v_cmp_ne_u16_e32 vcc_lo, 0, v5
	s_and_not1_b32 s0, s0, exec_lo
	s_and_not1_b32 s6, s6, exec_lo
	s_and_b32 s13, vcc_lo, exec_lo
	s_delay_alu instid0(SALU_CYCLE_1)
	s_or_b32 s0, s0, s13
	s_or_b32 exec_lo, exec_lo, s12
	s_and_saveexec_b32 s12, s0
	s_cbranch_execnz .LBB6_1462
	s_branch .LBB6_1463
.LBB6_1482:
	s_mov_b32 s7, -1
.LBB6_1483:
                                        ; implicit-def: $sgpr6
.LBB6_1484:
	s_and_b32 vcc_lo, exec_lo, s0
	s_mov_b32 s0, 0
	s_cbranch_vccz .LBB6_1486
; %bb.1485:
	v_cmp_ne_u16_e64 s7, 11, v4
	s_mov_b32 s0, -1
	s_and_not1_b32 s6, s6, exec_lo
.LBB6_1486:
	s_delay_alu instid0(VALU_DEP_1)
	s_and_b32 vcc_lo, exec_lo, s7
	s_cbranch_vccnz .LBB6_2015
; %bb.1487:
	s_and_not1_b32 vcc_lo, exec_lo, s0
	s_cbranch_vccnz .LBB6_1489
.LBB6_1488:
	global_load_u8 v5, v[0:1], off
	s_and_not1_b32 s0, s6, exec_lo
	s_mov_b32 s12, -1
	s_waitcnt vmcnt(0)
	v_cmp_ne_u16_e32 vcc_lo, 0, v5
	s_and_b32 s6, vcc_lo, exec_lo
	s_delay_alu instid0(SALU_CYCLE_1)
	s_or_b32 s6, s0, s6
.LBB6_1489:
	s_mov_b32 s0, 0
.LBB6_1490:
	s_delay_alu instid0(SALU_CYCLE_1)
	s_and_b32 vcc_lo, exec_lo, s0
	s_cbranch_vccz .LBB6_1539
; %bb.1491:
	v_cmp_gt_i16_e32 vcc_lo, 5, v4
	s_cbranch_vccnz .LBB6_1496
; %bb.1492:
	v_cmp_gt_i16_e32 vcc_lo, 8, v4
	s_cbranch_vccnz .LBB6_1497
	;; [unrolled: 3-line block ×3, first 2 shown]
; %bb.1494:
	v_cmp_lt_i16_e32 vcc_lo, 9, v4
	s_cbranch_vccz .LBB6_1499
; %bb.1495:
	global_load_b128 v[5:8], v[0:1], off
	s_waitcnt vmcnt(0)
	v_cmp_neq_f64_e32 vcc_lo, 0, v[5:6]
	v_cmp_neq_f64_e64 s0, 0, v[7:8]
	s_delay_alu instid0(VALU_DEP_1)
	s_or_b32 s6, vcc_lo, s0
	s_mov_b32 s0, 0
	s_and_b32 s6, s6, exec_lo
	s_branch .LBB6_1500
.LBB6_1496:
	s_mov_b32 s0, -1
                                        ; implicit-def: $sgpr6
	s_branch .LBB6_1518
.LBB6_1497:
	s_mov_b32 s0, -1
                                        ; implicit-def: $sgpr6
	s_branch .LBB6_1506
.LBB6_1498:
	s_mov_b32 s0, -1
                                        ; implicit-def: $sgpr6
	s_branch .LBB6_1503
.LBB6_1499:
	s_mov_b32 s0, -1
                                        ; implicit-def: $sgpr6
.LBB6_1500:
	s_delay_alu instid0(SALU_CYCLE_1)
	s_and_not1_b32 vcc_lo, exec_lo, s0
	s_cbranch_vccnz .LBB6_1502
; %bb.1501:
	global_load_b64 v[5:6], v[0:1], off
	s_and_not1_b32 s0, s6, exec_lo
	s_waitcnt vmcnt(0)
	v_or_b32_e32 v5, v5, v6
	s_delay_alu instid0(VALU_DEP_1) | instskip(NEXT) | instid1(VALU_DEP_1)
	v_and_b32_e32 v5, 0x7fffffff, v5
	v_cmp_ne_u32_e32 vcc_lo, 0, v5
	s_and_b32 s6, vcc_lo, exec_lo
	s_delay_alu instid0(SALU_CYCLE_1)
	s_or_b32 s6, s0, s6
.LBB6_1502:
	s_mov_b32 s0, 0
.LBB6_1503:
	s_delay_alu instid0(SALU_CYCLE_1)
	s_and_not1_b32 vcc_lo, exec_lo, s0
	s_cbranch_vccnz .LBB6_1505
; %bb.1504:
	global_load_b32 v5, v[0:1], off
	s_and_not1_b32 s0, s6, exec_lo
	s_waitcnt vmcnt(0)
	v_and_b32_e32 v5, 0x7fff7fff, v5
	s_delay_alu instid0(VALU_DEP_1) | instskip(SKIP_1) | instid1(SALU_CYCLE_1)
	v_cmp_ne_u32_e32 vcc_lo, 0, v5
	s_and_b32 s6, vcc_lo, exec_lo
	s_or_b32 s6, s0, s6
.LBB6_1505:
	s_mov_b32 s0, 0
.LBB6_1506:
	s_delay_alu instid0(SALU_CYCLE_1)
	s_and_not1_b32 vcc_lo, exec_lo, s0
	s_cbranch_vccnz .LBB6_1517
; %bb.1507:
	v_cmp_gt_i16_e32 vcc_lo, 6, v4
	s_cbranch_vccnz .LBB6_1510
; %bb.1508:
	v_cmp_lt_i16_e32 vcc_lo, 6, v4
	s_cbranch_vccz .LBB6_1511
; %bb.1509:
	global_load_b64 v[5:6], v[0:1], off
	s_mov_b32 s0, 0
	s_waitcnt vmcnt(0)
	v_cmp_neq_f64_e32 vcc_lo, 0, v[5:6]
	s_and_b32 s6, vcc_lo, exec_lo
	s_branch .LBB6_1512
.LBB6_1510:
	s_mov_b32 s0, -1
                                        ; implicit-def: $sgpr6
	s_branch .LBB6_1515
.LBB6_1511:
	s_mov_b32 s0, -1
                                        ; implicit-def: $sgpr6
.LBB6_1512:
	s_delay_alu instid0(SALU_CYCLE_1)
	s_and_not1_b32 vcc_lo, exec_lo, s0
	s_cbranch_vccnz .LBB6_1514
; %bb.1513:
	global_load_b32 v5, v[0:1], off
	s_and_not1_b32 s0, s6, exec_lo
	s_waitcnt vmcnt(0)
	v_cmp_neq_f32_e32 vcc_lo, 0, v5
	s_and_b32 s6, vcc_lo, exec_lo
	s_delay_alu instid0(SALU_CYCLE_1)
	s_or_b32 s6, s0, s6
.LBB6_1514:
	s_mov_b32 s0, 0
.LBB6_1515:
	s_delay_alu instid0(SALU_CYCLE_1)
	s_and_not1_b32 vcc_lo, exec_lo, s0
	s_cbranch_vccnz .LBB6_1517
; %bb.1516:
	global_load_u16 v5, v[0:1], off
	s_and_not1_b32 s0, s6, exec_lo
	s_waitcnt vmcnt(0)
	v_and_b32_e32 v5, 0x7fff, v5
	s_delay_alu instid0(VALU_DEP_1) | instskip(SKIP_1) | instid1(SALU_CYCLE_1)
	v_cmp_ne_u16_e32 vcc_lo, 0, v5
	s_and_b32 s6, vcc_lo, exec_lo
	s_or_b32 s6, s0, s6
.LBB6_1517:
	s_mov_b32 s0, 0
.LBB6_1518:
	s_delay_alu instid0(SALU_CYCLE_1)
	s_and_not1_b32 vcc_lo, exec_lo, s0
	s_cbranch_vccnz .LBB6_1538
; %bb.1519:
	v_cmp_gt_i16_e32 vcc_lo, 2, v4
	s_cbranch_vccnz .LBB6_1523
; %bb.1520:
	v_cmp_gt_i16_e32 vcc_lo, 3, v4
	s_cbranch_vccnz .LBB6_1524
; %bb.1521:
	v_cmp_lt_i16_e32 vcc_lo, 3, v4
	s_cbranch_vccz .LBB6_1525
; %bb.1522:
	global_load_b64 v[5:6], v[0:1], off
	s_mov_b32 s0, 0
	s_waitcnt vmcnt(0)
	v_cmp_ne_u64_e32 vcc_lo, 0, v[5:6]
	s_and_b32 s6, vcc_lo, exec_lo
	s_branch .LBB6_1526
.LBB6_1523:
	s_mov_b32 s0, -1
                                        ; implicit-def: $sgpr6
	s_branch .LBB6_1532
.LBB6_1524:
	s_mov_b32 s0, -1
                                        ; implicit-def: $sgpr6
	s_branch .LBB6_1529
.LBB6_1525:
	s_mov_b32 s0, -1
                                        ; implicit-def: $sgpr6
.LBB6_1526:
	s_delay_alu instid0(SALU_CYCLE_1)
	s_and_not1_b32 vcc_lo, exec_lo, s0
	s_cbranch_vccnz .LBB6_1528
; %bb.1527:
	global_load_b32 v5, v[0:1], off
	s_and_not1_b32 s0, s6, exec_lo
	s_waitcnt vmcnt(0)
	v_cmp_ne_u32_e32 vcc_lo, 0, v5
	s_and_b32 s6, vcc_lo, exec_lo
	s_delay_alu instid0(SALU_CYCLE_1)
	s_or_b32 s6, s0, s6
.LBB6_1528:
	s_mov_b32 s0, 0
.LBB6_1529:
	s_delay_alu instid0(SALU_CYCLE_1)
	s_and_not1_b32 vcc_lo, exec_lo, s0
	s_cbranch_vccnz .LBB6_1531
; %bb.1530:
	global_load_u16 v5, v[0:1], off
	s_and_not1_b32 s0, s6, exec_lo
	s_waitcnt vmcnt(0)
	v_cmp_ne_u16_e32 vcc_lo, 0, v5
	s_and_b32 s6, vcc_lo, exec_lo
	s_delay_alu instid0(SALU_CYCLE_1)
	s_or_b32 s6, s0, s6
.LBB6_1531:
	s_mov_b32 s0, 0
.LBB6_1532:
	s_delay_alu instid0(SALU_CYCLE_1)
	s_and_not1_b32 vcc_lo, exec_lo, s0
	s_cbranch_vccnz .LBB6_1538
; %bb.1533:
	v_cmp_lt_i16_e32 vcc_lo, 0, v4
	s_mov_b32 s0, 0
	s_cbranch_vccz .LBB6_1535
; %bb.1534:
	global_load_u8 v4, v[0:1], off
	s_waitcnt vmcnt(0)
	v_cmp_ne_u16_e32 vcc_lo, 0, v4
	s_and_b32 s6, vcc_lo, exec_lo
	s_branch .LBB6_1536
.LBB6_1535:
	s_mov_b32 s0, -1
                                        ; implicit-def: $sgpr6
.LBB6_1536:
	s_delay_alu instid0(SALU_CYCLE_1)
	s_and_not1_b32 vcc_lo, exec_lo, s0
	s_cbranch_vccnz .LBB6_1538
; %bb.1537:
	global_load_u8 v0, v[0:1], off
	s_and_not1_b32 s0, s6, exec_lo
	s_waitcnt vmcnt(0)
	v_cmp_ne_u16_e32 vcc_lo, 0, v0
	s_and_b32 s6, vcc_lo, exec_lo
	s_delay_alu instid0(SALU_CYCLE_1)
	s_or_b32 s6, s0, s6
.LBB6_1538:
	s_mov_b32 s12, -1
.LBB6_1539:
	s_delay_alu instid0(SALU_CYCLE_1)
	s_and_not1_b32 vcc_lo, exec_lo, s12
	s_cbranch_vccnz .LBB6_1970
; %bb.1540:
	v_mul_lo_u32 v3, s2, v3
	v_and_b32_e32 v5, 0xff, v2
	s_mov_b32 s13, -1
	s_xor_b32 s7, s10, -1
	s_mov_b32 s12, 0
	s_delay_alu instid0(VALU_DEP_1) | instskip(NEXT) | instid1(VALU_DEP_3)
	v_cmp_gt_i16_e32 vcc_lo, 11, v5
	v_ashrrev_i32_e32 v1, 31, v3
	v_add_co_u32 v0, s0, s4, v3
	s_delay_alu instid0(VALU_DEP_1)
	v_add_co_ci_u32_e64 v1, s0, s5, v1, s0
	s_cbranch_vccnz .LBB6_1618
; %bb.1541:
	v_cmp_lt_i16_e32 vcc_lo, 25, v5
	s_mov_b32 s10, 0
	s_mov_b32 s0, 0
	s_cbranch_vccz .LBB6_1574
; %bb.1542:
	v_cmp_lt_i16_e32 vcc_lo, 28, v5
	s_cbranch_vccz .LBB6_1557
; %bb.1543:
	v_cmp_lt_i16_e32 vcc_lo, 43, v5
	;; [unrolled: 3-line block ×3, first 2 shown]
	s_cbranch_vccz .LBB6_1547
; %bb.1545:
	v_cmp_eq_u16_e32 vcc_lo, 46, v5
	s_mov_b32 s0, -1
	s_mov_b32 s13, 0
	s_cbranch_vccz .LBB6_1547
; %bb.1546:
	v_cndmask_b32_e64 v2, 0, 1.0, s7
	s_mov_b32 s0, 0
	s_mov_b32 s12, -1
	s_delay_alu instid0(VALU_DEP_1) | instskip(NEXT) | instid1(VALU_DEP_1)
	v_bfe_u32 v4, v2, 16, 1
	v_add3_u32 v2, v2, v4, 0x7fff
	s_delay_alu instid0(VALU_DEP_1)
	v_lshrrev_b32_e32 v2, 16, v2
	global_store_b32 v[0:1], v2, off
.LBB6_1547:
	s_and_b32 vcc_lo, exec_lo, s13
	s_cbranch_vccz .LBB6_1552
; %bb.1548:
	v_cmp_eq_u16_e32 vcc_lo, 44, v5
	s_mov_b32 s0, -1
	s_cbranch_vccz .LBB6_1552
; %bb.1549:
	v_cndmask_b32_e64 v6, 0, 1.0, s7
	v_mov_b32_e32 v4, 0xff
	s_mov_b32 s12, exec_lo
	s_delay_alu instid0(VALU_DEP_2) | instskip(NEXT) | instid1(VALU_DEP_1)
	v_lshrrev_b32_e32 v2, 23, v6
	v_cmpx_ne_u32_e32 0xff, v2
; %bb.1550:
	v_and_b32_e32 v4, 0x400000, v6
	v_and_or_b32 v6, 0x3fffff, v6, v2
	s_delay_alu instid0(VALU_DEP_2) | instskip(NEXT) | instid1(VALU_DEP_2)
	v_cmp_ne_u32_e32 vcc_lo, 0, v4
	v_cmp_ne_u32_e64 s0, 0, v6
	s_delay_alu instid0(VALU_DEP_1) | instskip(NEXT) | instid1(SALU_CYCLE_1)
	s_and_b32 s0, vcc_lo, s0
	v_cndmask_b32_e64 v4, 0, 1, s0
	s_delay_alu instid0(VALU_DEP_1)
	v_add_nc_u32_e32 v4, v2, v4
; %bb.1551:
	s_or_b32 exec_lo, exec_lo, s12
	s_mov_b32 s0, 0
	s_mov_b32 s12, -1
	global_store_b8 v[0:1], v4, off
.LBB6_1552:
	s_mov_b32 s13, 0
.LBB6_1553:
	s_delay_alu instid0(SALU_CYCLE_1)
	s_and_b32 vcc_lo, exec_lo, s13
	s_cbranch_vccz .LBB6_1556
; %bb.1554:
	v_cmp_eq_u16_e32 vcc_lo, 29, v5
	s_mov_b32 s0, -1
	s_cbranch_vccz .LBB6_1556
; %bb.1555:
	s_mov_b32 s0, 0
	v_cndmask_b32_e64 v6, 0, 1, s7
	v_mov_b32_e32 v7, s0
	s_mov_b32 s12, -1
	global_store_b64 v[0:1], v[6:7], off
.LBB6_1556:
	s_mov_b32 s13, 0
.LBB6_1557:
	s_delay_alu instid0(SALU_CYCLE_1)
	s_and_b32 vcc_lo, exec_lo, s13
	s_cbranch_vccz .LBB6_1573
; %bb.1558:
	v_cmp_gt_i16_e32 vcc_lo, 27, v5
	s_mov_b32 s12, -1
	s_cbranch_vccnz .LBB6_1564
; %bb.1559:
	v_cmp_lt_i16_e32 vcc_lo, 27, v5
	s_cbranch_vccz .LBB6_1561
; %bb.1560:
	v_cndmask_b32_e64 v2, 0, 1, s7
	s_mov_b32 s12, 0
	global_store_b32 v[0:1], v2, off
.LBB6_1561:
	s_and_not1_b32 vcc_lo, exec_lo, s12
	s_cbranch_vccnz .LBB6_1563
; %bb.1562:
	v_cndmask_b32_e64 v2, 0, 1, s7
	global_store_b16 v[0:1], v2, off
.LBB6_1563:
	s_mov_b32 s12, 0
.LBB6_1564:
	s_delay_alu instid0(SALU_CYCLE_1)
	s_and_not1_b32 vcc_lo, exec_lo, s12
	s_cbranch_vccnz .LBB6_1572
; %bb.1565:
	v_cndmask_b32_e64 v4, 0, 1.0, s7
	v_mov_b32_e32 v6, 0x80
	s_mov_b32 s12, exec_lo
	s_delay_alu instid0(VALU_DEP_2)
	v_cmpx_gt_u32_e32 0x43800000, v4
	s_cbranch_execz .LBB6_1571
; %bb.1566:
	s_mov_b32 s13, 0
	s_mov_b32 s14, exec_lo
                                        ; implicit-def: $vgpr2
	v_cmpx_lt_u32_e32 0x3bffffff, v4
	s_xor_b32 s14, exec_lo, s14
	s_cbranch_execz .LBB6_2017
; %bb.1567:
	v_bfe_u32 v2, v4, 20, 1
	s_mov_b32 s13, exec_lo
	s_delay_alu instid0(VALU_DEP_1) | instskip(NEXT) | instid1(VALU_DEP_1)
	v_add3_u32 v2, v4, v2, 0x487ffff
                                        ; implicit-def: $vgpr4
	v_lshrrev_b32_e32 v2, 20, v2
	s_or_saveexec_b32 s14, s14
                                        ; implicit-def: $sgpr15
	s_delay_alu instid0(SALU_CYCLE_1)
	s_xor_b32 exec_lo, exec_lo, s14
	s_cbranch_execnz .LBB6_2018
.LBB6_1568:
	s_or_b32 exec_lo, exec_lo, s14
	v_mov_b32_e32 v6, s15
	s_and_saveexec_b32 s14, s13
.LBB6_1569:
	v_mov_b32_e32 v6, v2
.LBB6_1570:
	s_or_b32 exec_lo, exec_lo, s14
.LBB6_1571:
	s_delay_alu instid0(SALU_CYCLE_1)
	s_or_b32 exec_lo, exec_lo, s12
	global_store_b8 v[0:1], v6, off
.LBB6_1572:
	s_mov_b32 s12, -1
.LBB6_1573:
	s_mov_b32 s13, 0
.LBB6_1574:
	s_delay_alu instid0(SALU_CYCLE_1)
	s_and_b32 vcc_lo, exec_lo, s13
	s_cbranch_vccz .LBB6_1614
; %bb.1575:
	v_cmp_lt_i16_e32 vcc_lo, 22, v5
	s_mov_b32 s10, -1
	s_cbranch_vccz .LBB6_1607
; %bb.1576:
	v_cmp_gt_i16_e32 vcc_lo, 24, v5
	s_cbranch_vccnz .LBB6_1596
; %bb.1577:
	v_cmp_lt_i16_e32 vcc_lo, 24, v5
	s_cbranch_vccz .LBB6_1585
; %bb.1578:
	v_cndmask_b32_e64 v4, 0, 1.0, s7
	v_mov_b32_e32 v6, 0x80
	s_mov_b32 s10, exec_lo
	s_delay_alu instid0(VALU_DEP_2)
	v_cmpx_gt_u32_e32 0x47800000, v4
	s_cbranch_execz .LBB6_1584
; %bb.1579:
	s_mov_b32 s12, 0
	s_mov_b32 s13, exec_lo
                                        ; implicit-def: $vgpr2
	v_cmpx_lt_u32_e32 0x37ffffff, v4
	s_xor_b32 s13, exec_lo, s13
	s_cbranch_execz .LBB6_2023
; %bb.1580:
	v_bfe_u32 v2, v4, 21, 1
	s_mov_b32 s12, exec_lo
	s_delay_alu instid0(VALU_DEP_1) | instskip(NEXT) | instid1(VALU_DEP_1)
	v_add3_u32 v2, v4, v2, 0x88fffff
                                        ; implicit-def: $vgpr4
	v_lshrrev_b32_e32 v2, 21, v2
	s_or_saveexec_b32 s13, s13
                                        ; implicit-def: $sgpr14
	s_delay_alu instid0(SALU_CYCLE_1)
	s_xor_b32 exec_lo, exec_lo, s13
	s_cbranch_execnz .LBB6_2024
.LBB6_1581:
	s_or_b32 exec_lo, exec_lo, s13
	v_mov_b32_e32 v6, s14
	s_and_saveexec_b32 s13, s12
.LBB6_1582:
	v_mov_b32_e32 v6, v2
.LBB6_1583:
	s_or_b32 exec_lo, exec_lo, s13
.LBB6_1584:
	s_delay_alu instid0(SALU_CYCLE_1)
	s_or_b32 exec_lo, exec_lo, s10
	s_mov_b32 s10, 0
	global_store_b8 v[0:1], v6, off
.LBB6_1585:
	s_and_b32 vcc_lo, exec_lo, s10
	s_cbranch_vccz .LBB6_1595
; %bb.1586:
	v_cndmask_b32_e64 v4, 0, 1.0, s7
	s_mov_b32 s10, exec_lo
                                        ; implicit-def: $vgpr2
	s_delay_alu instid0(VALU_DEP_1)
	v_cmpx_gt_u32_e32 0x43f00000, v4
	s_xor_b32 s10, exec_lo, s10
	s_cbranch_execz .LBB6_1592
; %bb.1587:
	s_mov_b32 s12, exec_lo
                                        ; implicit-def: $vgpr2
	v_cmpx_lt_u32_e32 0x3c7fffff, v4
	s_xor_b32 s12, exec_lo, s12
; %bb.1588:
	v_bfe_u32 v2, v4, 20, 1
	s_delay_alu instid0(VALU_DEP_1) | instskip(NEXT) | instid1(VALU_DEP_1)
	v_add3_u32 v2, v4, v2, 0x407ffff
	v_and_b32_e32 v4, 0xff00000, v2
	v_lshrrev_b32_e32 v2, 20, v2
	s_delay_alu instid0(VALU_DEP_2) | instskip(NEXT) | instid1(VALU_DEP_2)
	v_cmp_ne_u32_e32 vcc_lo, 0x7f00000, v4
                                        ; implicit-def: $vgpr4
	v_cndmask_b32_e32 v2, 0x7e, v2, vcc_lo
; %bb.1589:
	s_and_not1_saveexec_b32 s12, s12
; %bb.1590:
	v_add_f32_e32 v2, 0x46800000, v4
; %bb.1591:
	s_or_b32 exec_lo, exec_lo, s12
                                        ; implicit-def: $vgpr4
.LBB6_1592:
	s_and_not1_saveexec_b32 s10, s10
; %bb.1593:
	v_mov_b32_e32 v2, 0x7f
	v_cmp_lt_u32_e32 vcc_lo, 0x7f800000, v4
	s_delay_alu instid0(VALU_DEP_2)
	v_cndmask_b32_e32 v2, 0x7e, v2, vcc_lo
; %bb.1594:
	s_or_b32 exec_lo, exec_lo, s10
	global_store_b8 v[0:1], v2, off
.LBB6_1595:
	s_mov_b32 s10, 0
.LBB6_1596:
	s_delay_alu instid0(SALU_CYCLE_1)
	s_and_not1_b32 vcc_lo, exec_lo, s10
	s_cbranch_vccnz .LBB6_1606
; %bb.1597:
	v_cndmask_b32_e64 v4, 0, 1.0, s7
	s_mov_b32 s10, exec_lo
                                        ; implicit-def: $vgpr2
	s_delay_alu instid0(VALU_DEP_1)
	v_cmpx_gt_u32_e32 0x47800000, v4
	s_xor_b32 s10, exec_lo, s10
	s_cbranch_execz .LBB6_1603
; %bb.1598:
	s_mov_b32 s12, exec_lo
                                        ; implicit-def: $vgpr2
	v_cmpx_lt_u32_e32 0x387fffff, v4
	s_xor_b32 s12, exec_lo, s12
; %bb.1599:
	v_bfe_u32 v2, v4, 21, 1
	s_delay_alu instid0(VALU_DEP_1) | instskip(NEXT) | instid1(VALU_DEP_1)
	v_add3_u32 v2, v4, v2, 0x80fffff
                                        ; implicit-def: $vgpr4
	v_lshrrev_b32_e32 v2, 21, v2
; %bb.1600:
	s_and_not1_saveexec_b32 s12, s12
; %bb.1601:
	v_add_f32_e32 v2, 0x43000000, v4
; %bb.1602:
	s_or_b32 exec_lo, exec_lo, s12
                                        ; implicit-def: $vgpr4
.LBB6_1603:
	s_and_not1_saveexec_b32 s10, s10
; %bb.1604:
	v_mov_b32_e32 v2, 0x7f
	v_cmp_lt_u32_e32 vcc_lo, 0x7f800000, v4
	s_delay_alu instid0(VALU_DEP_2)
	v_cndmask_b32_e32 v2, 0x7c, v2, vcc_lo
; %bb.1605:
	s_or_b32 exec_lo, exec_lo, s10
	global_store_b8 v[0:1], v2, off
.LBB6_1606:
	s_mov_b32 s10, 0
	s_mov_b32 s12, -1
.LBB6_1607:
	s_and_not1_b32 vcc_lo, exec_lo, s10
	s_mov_b32 s10, 0
	s_cbranch_vccnz .LBB6_1614
; %bb.1608:
	v_cmp_lt_i16_e32 vcc_lo, 14, v5
	s_mov_b32 s10, -1
	s_cbranch_vccz .LBB6_1612
; %bb.1609:
	v_cmp_eq_u16_e32 vcc_lo, 15, v5
	s_mov_b32 s0, -1
	s_cbranch_vccz .LBB6_1611
; %bb.1610:
	v_cndmask_b32_e64 v2, 0, 1.0, s7
	s_mov_b32 s0, 0
	s_mov_b32 s12, -1
	s_delay_alu instid0(VALU_DEP_1) | instskip(NEXT) | instid1(VALU_DEP_1)
	v_bfe_u32 v4, v2, 16, 1
	v_add3_u32 v2, v2, v4, 0x7fff
	global_store_d16_hi_b16 v[0:1], v2, off
.LBB6_1611:
	s_mov_b32 s10, 0
.LBB6_1612:
	s_delay_alu instid0(SALU_CYCLE_1)
	s_and_b32 vcc_lo, exec_lo, s10
	s_mov_b32 s10, 0
	s_cbranch_vccz .LBB6_1614
; %bb.1613:
	v_cmp_ne_u16_e64 s0, 11, v5
	s_mov_b32 s10, -1
.LBB6_1614:
	s_delay_alu instid0(VALU_DEP_1)
	s_and_b32 vcc_lo, exec_lo, s0
	s_cbranch_vccnz .LBB6_2021
; %bb.1615:
	s_and_not1_b32 vcc_lo, exec_lo, s10
	s_cbranch_vccnz .LBB6_1617
.LBB6_1616:
	v_cndmask_b32_e64 v2, 0, 1, s7
	s_mov_b32 s12, -1
	global_store_b8 v[0:1], v2, off
.LBB6_1617:
	s_mov_b32 s13, 0
.LBB6_1618:
	s_delay_alu instid0(SALU_CYCLE_1)
	s_and_b32 vcc_lo, exec_lo, s13
	s_cbranch_vccz .LBB6_1657
; %bb.1619:
	v_cmp_gt_i16_e32 vcc_lo, 5, v5
	s_mov_b32 s0, -1
	s_cbranch_vccnz .LBB6_1640
; %bb.1620:
	v_cmp_gt_i16_e32 vcc_lo, 8, v5
	s_cbranch_vccnz .LBB6_1630
; %bb.1621:
	v_cmp_gt_i16_e32 vcc_lo, 9, v5
	s_cbranch_vccnz .LBB6_1627
; %bb.1622:
	v_cmp_lt_i16_e32 vcc_lo, 9, v5
	s_cbranch_vccz .LBB6_1624
; %bb.1623:
	v_cndmask_b32_e64 v2, 0, 1, s7
	v_mov_b32_e32 v8, 0
	s_mov_b32 s0, 0
	s_delay_alu instid0(VALU_DEP_2) | instskip(NEXT) | instid1(VALU_DEP_2)
	v_cvt_f64_u32_e32 v[6:7], v2
	v_mov_b32_e32 v9, v8
	global_store_b128 v[0:1], v[6:9], off
.LBB6_1624:
	s_and_not1_b32 vcc_lo, exec_lo, s0
	s_cbranch_vccnz .LBB6_1626
; %bb.1625:
	v_cndmask_b32_e64 v6, 0, 1.0, s7
	v_mov_b32_e32 v7, 0
	global_store_b64 v[0:1], v[6:7], off
.LBB6_1626:
	s_mov_b32 s0, 0
.LBB6_1627:
	s_delay_alu instid0(SALU_CYCLE_1)
	s_and_not1_b32 vcc_lo, exec_lo, s0
	s_cbranch_vccnz .LBB6_1629
; %bb.1628:
	v_cndmask_b32_e64 v2, 0, 1.0, s7
	s_delay_alu instid0(VALU_DEP_1) | instskip(NEXT) | instid1(VALU_DEP_1)
	v_cvt_f16_f32_e32 v2, v2
	v_and_b32_e32 v2, 0xffff, v2
	global_store_b32 v[0:1], v2, off
.LBB6_1629:
	s_mov_b32 s0, 0
.LBB6_1630:
	s_delay_alu instid0(SALU_CYCLE_1)
	s_and_not1_b32 vcc_lo, exec_lo, s0
	s_cbranch_vccnz .LBB6_1639
; %bb.1631:
	v_cmp_gt_i16_e32 vcc_lo, 6, v5
	s_mov_b32 s0, -1
	s_cbranch_vccnz .LBB6_1637
; %bb.1632:
	v_cmp_lt_i16_e32 vcc_lo, 6, v5
	s_cbranch_vccz .LBB6_1634
; %bb.1633:
	v_cndmask_b32_e64 v2, 0, 1, s7
	s_mov_b32 s0, 0
	s_delay_alu instid0(VALU_DEP_1)
	v_cvt_f64_u32_e32 v[6:7], v2
	global_store_b64 v[0:1], v[6:7], off
.LBB6_1634:
	s_and_not1_b32 vcc_lo, exec_lo, s0
	s_cbranch_vccnz .LBB6_1636
; %bb.1635:
	v_cndmask_b32_e64 v2, 0, 1.0, s7
	global_store_b32 v[0:1], v2, off
.LBB6_1636:
	s_mov_b32 s0, 0
.LBB6_1637:
	s_delay_alu instid0(SALU_CYCLE_1)
	s_and_not1_b32 vcc_lo, exec_lo, s0
	s_cbranch_vccnz .LBB6_1639
; %bb.1638:
	v_cndmask_b32_e64 v2, 0, 1.0, s7
	s_delay_alu instid0(VALU_DEP_1)
	v_cvt_f16_f32_e32 v2, v2
	global_store_b16 v[0:1], v2, off
.LBB6_1639:
	s_mov_b32 s0, 0
.LBB6_1640:
	s_delay_alu instid0(SALU_CYCLE_1)
	s_and_not1_b32 vcc_lo, exec_lo, s0
	s_cbranch_vccnz .LBB6_1656
; %bb.1641:
	v_cmp_gt_i16_e32 vcc_lo, 2, v5
	s_mov_b32 s0, -1
	s_cbranch_vccnz .LBB6_1651
; %bb.1642:
	v_cmp_gt_i16_e32 vcc_lo, 3, v5
	s_cbranch_vccnz .LBB6_1648
; %bb.1643:
	v_cmp_lt_i16_e32 vcc_lo, 3, v5
	s_cbranch_vccz .LBB6_1645
; %bb.1644:
	s_mov_b32 s0, 0
	v_cndmask_b32_e64 v6, 0, 1, s7
	v_mov_b32_e32 v7, s0
	global_store_b64 v[0:1], v[6:7], off
.LBB6_1645:
	s_and_not1_b32 vcc_lo, exec_lo, s0
	s_cbranch_vccnz .LBB6_1647
; %bb.1646:
	v_cndmask_b32_e64 v2, 0, 1, s7
	global_store_b32 v[0:1], v2, off
.LBB6_1647:
	s_mov_b32 s0, 0
.LBB6_1648:
	s_delay_alu instid0(SALU_CYCLE_1)
	s_and_not1_b32 vcc_lo, exec_lo, s0
	s_cbranch_vccnz .LBB6_1650
; %bb.1649:
	v_cndmask_b32_e64 v2, 0, 1, s7
	global_store_b16 v[0:1], v2, off
.LBB6_1650:
	s_mov_b32 s0, 0
.LBB6_1651:
	s_delay_alu instid0(SALU_CYCLE_1)
	s_and_not1_b32 vcc_lo, exec_lo, s0
	s_cbranch_vccnz .LBB6_1656
; %bb.1652:
	v_cmp_lt_i16_e32 vcc_lo, 0, v5
	s_mov_b32 s0, -1
	s_cbranch_vccz .LBB6_1654
; %bb.1653:
	v_cndmask_b32_e64 v2, 0, 1, s7
	s_mov_b32 s0, 0
	global_store_b8 v[0:1], v2, off
.LBB6_1654:
	s_and_not1_b32 vcc_lo, exec_lo, s0
	s_cbranch_vccnz .LBB6_1656
; %bb.1655:
	v_cndmask_b32_e64 v2, 0, 1, s7
	global_store_b8 v[0:1], v2, off
.LBB6_1656:
	s_mov_b32 s12, -1
.LBB6_1657:
	s_delay_alu instid0(SALU_CYCLE_1)
	s_and_not1_b32 vcc_lo, exec_lo, s12
	s_cbranch_vccnz .LBB6_1970
; %bb.1658:
	s_lshl_b32 s2, s2, 7
	v_cmp_gt_i16_e32 vcc_lo, 11, v5
	v_add_nc_u32_e32 v2, s2, v3
	s_mov_b32 s7, -1
	s_xor_b32 s3, s3, -1
	s_mov_b32 s10, 0
	s_delay_alu instid0(VALU_DEP_1) | instskip(SKIP_1) | instid1(VALU_DEP_1)
	v_ashrrev_i32_e32 v1, 31, v2
	v_add_co_u32 v0, s0, s4, v2
	v_add_co_ci_u32_e64 v1, s0, s5, v1, s0
	s_cbranch_vccnz .LBB6_1736
; %bb.1659:
	v_cmp_lt_i16_e32 vcc_lo, 25, v5
	s_mov_b32 s12, -1
	s_mov_b32 s7, 0
	s_mov_b32 s0, 0
	s_cbranch_vccz .LBB6_1692
; %bb.1660:
	v_cmp_lt_i16_e32 vcc_lo, 28, v5
	s_cbranch_vccz .LBB6_1675
; %bb.1661:
	v_cmp_lt_i16_e32 vcc_lo, 43, v5
	;; [unrolled: 3-line block ×3, first 2 shown]
	s_cbranch_vccz .LBB6_1665
; %bb.1663:
	v_cmp_eq_u16_e32 vcc_lo, 46, v5
	s_mov_b32 s0, -1
	s_mov_b32 s12, 0
	s_cbranch_vccz .LBB6_1665
; %bb.1664:
	v_cndmask_b32_e64 v3, 0, 1.0, s3
	s_mov_b32 s0, 0
	s_mov_b32 s10, -1
	s_delay_alu instid0(VALU_DEP_1) | instskip(NEXT) | instid1(VALU_DEP_1)
	v_bfe_u32 v4, v3, 16, 1
	v_add3_u32 v3, v3, v4, 0x7fff
	s_delay_alu instid0(VALU_DEP_1)
	v_lshrrev_b32_e32 v3, 16, v3
	global_store_b32 v[0:1], v3, off
.LBB6_1665:
	s_and_b32 vcc_lo, exec_lo, s12
	s_cbranch_vccz .LBB6_1670
; %bb.1666:
	v_cmp_eq_u16_e32 vcc_lo, 44, v5
	s_mov_b32 s0, -1
	s_cbranch_vccz .LBB6_1670
; %bb.1667:
	v_cndmask_b32_e64 v6, 0, 1.0, s3
	v_mov_b32_e32 v4, 0xff
	s_mov_b32 s10, exec_lo
	s_delay_alu instid0(VALU_DEP_2) | instskip(NEXT) | instid1(VALU_DEP_1)
	v_lshrrev_b32_e32 v3, 23, v6
	v_cmpx_ne_u32_e32 0xff, v3
; %bb.1668:
	v_and_b32_e32 v4, 0x400000, v6
	v_and_or_b32 v6, 0x3fffff, v6, v3
	s_delay_alu instid0(VALU_DEP_2) | instskip(NEXT) | instid1(VALU_DEP_2)
	v_cmp_ne_u32_e32 vcc_lo, 0, v4
	v_cmp_ne_u32_e64 s0, 0, v6
	s_delay_alu instid0(VALU_DEP_1) | instskip(NEXT) | instid1(SALU_CYCLE_1)
	s_and_b32 s0, vcc_lo, s0
	v_cndmask_b32_e64 v4, 0, 1, s0
	s_delay_alu instid0(VALU_DEP_1)
	v_add_nc_u32_e32 v4, v3, v4
; %bb.1669:
	s_or_b32 exec_lo, exec_lo, s10
	s_mov_b32 s0, 0
	s_mov_b32 s10, -1
	global_store_b8 v[0:1], v4, off
.LBB6_1670:
	s_mov_b32 s12, 0
.LBB6_1671:
	s_delay_alu instid0(SALU_CYCLE_1)
	s_and_b32 vcc_lo, exec_lo, s12
	s_cbranch_vccz .LBB6_1674
; %bb.1672:
	v_cmp_eq_u16_e32 vcc_lo, 29, v5
	s_mov_b32 s0, -1
	s_cbranch_vccz .LBB6_1674
; %bb.1673:
	s_mov_b32 s0, 0
	v_cndmask_b32_e64 v3, 0, 1, s3
	v_mov_b32_e32 v4, s0
	s_mov_b32 s10, -1
	global_store_b64 v[0:1], v[3:4], off
.LBB6_1674:
	s_mov_b32 s12, 0
.LBB6_1675:
	s_delay_alu instid0(SALU_CYCLE_1)
	s_and_b32 vcc_lo, exec_lo, s12
	s_cbranch_vccz .LBB6_1691
; %bb.1676:
	v_cmp_gt_i16_e32 vcc_lo, 27, v5
	s_mov_b32 s10, -1
	s_cbranch_vccnz .LBB6_1682
; %bb.1677:
	v_cmp_lt_i16_e32 vcc_lo, 27, v5
	s_cbranch_vccz .LBB6_1679
; %bb.1678:
	v_cndmask_b32_e64 v3, 0, 1, s3
	s_mov_b32 s10, 0
	global_store_b32 v[0:1], v3, off
.LBB6_1679:
	s_and_not1_b32 vcc_lo, exec_lo, s10
	s_cbranch_vccnz .LBB6_1681
; %bb.1680:
	v_cndmask_b32_e64 v3, 0, 1, s3
	global_store_b16 v[0:1], v3, off
.LBB6_1681:
	s_mov_b32 s10, 0
.LBB6_1682:
	s_delay_alu instid0(SALU_CYCLE_1)
	s_and_not1_b32 vcc_lo, exec_lo, s10
	s_cbranch_vccnz .LBB6_1690
; %bb.1683:
	v_cndmask_b32_e64 v4, 0, 1.0, s3
	v_mov_b32_e32 v6, 0x80
	s_mov_b32 s10, exec_lo
	s_delay_alu instid0(VALU_DEP_2)
	v_cmpx_gt_u32_e32 0x43800000, v4
	s_cbranch_execz .LBB6_1689
; %bb.1684:
	s_mov_b32 s12, 0
	s_mov_b32 s13, exec_lo
                                        ; implicit-def: $vgpr3
	v_cmpx_lt_u32_e32 0x3bffffff, v4
	s_xor_b32 s13, exec_lo, s13
	s_cbranch_execz .LBB6_2025
; %bb.1685:
	v_bfe_u32 v3, v4, 20, 1
	s_mov_b32 s12, exec_lo
	s_delay_alu instid0(VALU_DEP_1) | instskip(NEXT) | instid1(VALU_DEP_1)
	v_add3_u32 v3, v4, v3, 0x487ffff
                                        ; implicit-def: $vgpr4
	v_lshrrev_b32_e32 v3, 20, v3
	s_or_saveexec_b32 s13, s13
                                        ; implicit-def: $sgpr14
	s_delay_alu instid0(SALU_CYCLE_1)
	s_xor_b32 exec_lo, exec_lo, s13
	s_cbranch_execnz .LBB6_2026
.LBB6_1686:
	s_or_b32 exec_lo, exec_lo, s13
	v_mov_b32_e32 v6, s14
	s_and_saveexec_b32 s13, s12
.LBB6_1687:
	v_mov_b32_e32 v6, v3
.LBB6_1688:
	s_or_b32 exec_lo, exec_lo, s13
.LBB6_1689:
	s_delay_alu instid0(SALU_CYCLE_1)
	s_or_b32 exec_lo, exec_lo, s10
	global_store_b8 v[0:1], v6, off
.LBB6_1690:
	s_mov_b32 s10, -1
.LBB6_1691:
	s_mov_b32 s12, 0
.LBB6_1692:
	s_delay_alu instid0(SALU_CYCLE_1)
	s_and_b32 vcc_lo, exec_lo, s12
	s_cbranch_vccz .LBB6_1732
; %bb.1693:
	v_cmp_lt_i16_e32 vcc_lo, 22, v5
	s_mov_b32 s7, -1
	s_cbranch_vccz .LBB6_1725
; %bb.1694:
	v_cmp_gt_i16_e32 vcc_lo, 24, v5
	s_cbranch_vccnz .LBB6_1714
; %bb.1695:
	v_cmp_lt_i16_e32 vcc_lo, 24, v5
	s_cbranch_vccz .LBB6_1703
; %bb.1696:
	v_cndmask_b32_e64 v4, 0, 1.0, s3
	v_mov_b32_e32 v6, 0x80
	s_mov_b32 s7, exec_lo
	s_delay_alu instid0(VALU_DEP_2)
	v_cmpx_gt_u32_e32 0x47800000, v4
	s_cbranch_execz .LBB6_1702
; %bb.1697:
	s_mov_b32 s10, 0
	s_mov_b32 s12, exec_lo
                                        ; implicit-def: $vgpr3
	v_cmpx_lt_u32_e32 0x37ffffff, v4
	s_xor_b32 s12, exec_lo, s12
	s_cbranch_execz .LBB6_2031
; %bb.1698:
	v_bfe_u32 v3, v4, 21, 1
	s_mov_b32 s10, exec_lo
	s_delay_alu instid0(VALU_DEP_1) | instskip(NEXT) | instid1(VALU_DEP_1)
	v_add3_u32 v3, v4, v3, 0x88fffff
                                        ; implicit-def: $vgpr4
	v_lshrrev_b32_e32 v3, 21, v3
	s_or_saveexec_b32 s12, s12
                                        ; implicit-def: $sgpr13
	s_delay_alu instid0(SALU_CYCLE_1)
	s_xor_b32 exec_lo, exec_lo, s12
	s_cbranch_execnz .LBB6_2032
.LBB6_1699:
	s_or_b32 exec_lo, exec_lo, s12
	v_mov_b32_e32 v6, s13
	s_and_saveexec_b32 s12, s10
.LBB6_1700:
	v_mov_b32_e32 v6, v3
.LBB6_1701:
	s_or_b32 exec_lo, exec_lo, s12
.LBB6_1702:
	s_delay_alu instid0(SALU_CYCLE_1)
	s_or_b32 exec_lo, exec_lo, s7
	s_mov_b32 s7, 0
	global_store_b8 v[0:1], v6, off
.LBB6_1703:
	s_and_b32 vcc_lo, exec_lo, s7
	s_cbranch_vccz .LBB6_1713
; %bb.1704:
	v_cndmask_b32_e64 v4, 0, 1.0, s3
	s_mov_b32 s7, exec_lo
                                        ; implicit-def: $vgpr3
	s_delay_alu instid0(VALU_DEP_1)
	v_cmpx_gt_u32_e32 0x43f00000, v4
	s_xor_b32 s7, exec_lo, s7
	s_cbranch_execz .LBB6_1710
; %bb.1705:
	s_mov_b32 s10, exec_lo
                                        ; implicit-def: $vgpr3
	v_cmpx_lt_u32_e32 0x3c7fffff, v4
	s_xor_b32 s10, exec_lo, s10
; %bb.1706:
	v_bfe_u32 v3, v4, 20, 1
	s_delay_alu instid0(VALU_DEP_1) | instskip(NEXT) | instid1(VALU_DEP_1)
	v_add3_u32 v3, v4, v3, 0x407ffff
	v_and_b32_e32 v4, 0xff00000, v3
	v_lshrrev_b32_e32 v3, 20, v3
	s_delay_alu instid0(VALU_DEP_2) | instskip(NEXT) | instid1(VALU_DEP_2)
	v_cmp_ne_u32_e32 vcc_lo, 0x7f00000, v4
                                        ; implicit-def: $vgpr4
	v_cndmask_b32_e32 v3, 0x7e, v3, vcc_lo
; %bb.1707:
	s_and_not1_saveexec_b32 s10, s10
; %bb.1708:
	v_add_f32_e32 v3, 0x46800000, v4
; %bb.1709:
	s_or_b32 exec_lo, exec_lo, s10
                                        ; implicit-def: $vgpr4
.LBB6_1710:
	s_and_not1_saveexec_b32 s7, s7
; %bb.1711:
	v_mov_b32_e32 v3, 0x7f
	v_cmp_lt_u32_e32 vcc_lo, 0x7f800000, v4
	s_delay_alu instid0(VALU_DEP_2)
	v_cndmask_b32_e32 v3, 0x7e, v3, vcc_lo
; %bb.1712:
	s_or_b32 exec_lo, exec_lo, s7
	global_store_b8 v[0:1], v3, off
.LBB6_1713:
	s_mov_b32 s7, 0
.LBB6_1714:
	s_delay_alu instid0(SALU_CYCLE_1)
	s_and_not1_b32 vcc_lo, exec_lo, s7
	s_cbranch_vccnz .LBB6_1724
; %bb.1715:
	v_cndmask_b32_e64 v4, 0, 1.0, s3
	s_mov_b32 s7, exec_lo
                                        ; implicit-def: $vgpr3
	s_delay_alu instid0(VALU_DEP_1)
	v_cmpx_gt_u32_e32 0x47800000, v4
	s_xor_b32 s7, exec_lo, s7
	s_cbranch_execz .LBB6_1721
; %bb.1716:
	s_mov_b32 s10, exec_lo
                                        ; implicit-def: $vgpr3
	v_cmpx_lt_u32_e32 0x387fffff, v4
	s_xor_b32 s10, exec_lo, s10
; %bb.1717:
	v_bfe_u32 v3, v4, 21, 1
	s_delay_alu instid0(VALU_DEP_1) | instskip(NEXT) | instid1(VALU_DEP_1)
	v_add3_u32 v3, v4, v3, 0x80fffff
                                        ; implicit-def: $vgpr4
	v_lshrrev_b32_e32 v3, 21, v3
; %bb.1718:
	s_and_not1_saveexec_b32 s10, s10
; %bb.1719:
	v_add_f32_e32 v3, 0x43000000, v4
; %bb.1720:
	s_or_b32 exec_lo, exec_lo, s10
                                        ; implicit-def: $vgpr4
.LBB6_1721:
	s_and_not1_saveexec_b32 s7, s7
; %bb.1722:
	v_mov_b32_e32 v3, 0x7f
	v_cmp_lt_u32_e32 vcc_lo, 0x7f800000, v4
	s_delay_alu instid0(VALU_DEP_2)
	v_cndmask_b32_e32 v3, 0x7c, v3, vcc_lo
; %bb.1723:
	s_or_b32 exec_lo, exec_lo, s7
	global_store_b8 v[0:1], v3, off
.LBB6_1724:
	s_mov_b32 s7, 0
	s_mov_b32 s10, -1
.LBB6_1725:
	s_and_not1_b32 vcc_lo, exec_lo, s7
	s_mov_b32 s7, 0
	s_cbranch_vccnz .LBB6_1732
; %bb.1726:
	v_cmp_lt_i16_e32 vcc_lo, 14, v5
	s_mov_b32 s7, -1
	s_cbranch_vccz .LBB6_1730
; %bb.1727:
	v_cmp_eq_u16_e32 vcc_lo, 15, v5
	s_mov_b32 s0, -1
	s_cbranch_vccz .LBB6_1729
; %bb.1728:
	v_cndmask_b32_e64 v3, 0, 1.0, s3
	s_mov_b32 s0, 0
	s_mov_b32 s10, -1
	s_delay_alu instid0(VALU_DEP_1) | instskip(NEXT) | instid1(VALU_DEP_1)
	v_bfe_u32 v4, v3, 16, 1
	v_add3_u32 v3, v3, v4, 0x7fff
	global_store_d16_hi_b16 v[0:1], v3, off
.LBB6_1729:
	s_mov_b32 s7, 0
.LBB6_1730:
	s_delay_alu instid0(SALU_CYCLE_1)
	s_and_b32 vcc_lo, exec_lo, s7
	s_mov_b32 s7, 0
	s_cbranch_vccz .LBB6_1732
; %bb.1731:
	v_cmp_ne_u16_e64 s0, 11, v5
	s_mov_b32 s7, -1
.LBB6_1732:
	s_delay_alu instid0(VALU_DEP_1)
	s_and_b32 vcc_lo, exec_lo, s0
	s_cbranch_vccnz .LBB6_2029
; %bb.1733:
	s_and_not1_b32 vcc_lo, exec_lo, s7
	s_cbranch_vccnz .LBB6_1735
.LBB6_1734:
	v_cndmask_b32_e64 v3, 0, 1, s3
	s_mov_b32 s10, -1
	global_store_b8 v[0:1], v3, off
.LBB6_1735:
	s_mov_b32 s7, 0
.LBB6_1736:
	s_delay_alu instid0(SALU_CYCLE_1)
	s_and_b32 vcc_lo, exec_lo, s7
	s_cbranch_vccz .LBB6_1775
; %bb.1737:
	v_cmp_gt_i16_e32 vcc_lo, 5, v5
	s_mov_b32 s0, -1
	s_cbranch_vccnz .LBB6_1758
; %bb.1738:
	v_cmp_gt_i16_e32 vcc_lo, 8, v5
	s_cbranch_vccnz .LBB6_1748
; %bb.1739:
	v_cmp_gt_i16_e32 vcc_lo, 9, v5
	s_cbranch_vccnz .LBB6_1745
; %bb.1740:
	v_cmp_lt_i16_e32 vcc_lo, 9, v5
	s_cbranch_vccz .LBB6_1742
; %bb.1741:
	v_cndmask_b32_e64 v3, 0, 1, s3
	v_mov_b32_e32 v8, 0
	s_mov_b32 s0, 0
	s_delay_alu instid0(VALU_DEP_2) | instskip(NEXT) | instid1(VALU_DEP_2)
	v_cvt_f64_u32_e32 v[6:7], v3
	v_mov_b32_e32 v9, v8
	global_store_b128 v[0:1], v[6:9], off
.LBB6_1742:
	s_and_not1_b32 vcc_lo, exec_lo, s0
	s_cbranch_vccnz .LBB6_1744
; %bb.1743:
	v_cndmask_b32_e64 v3, 0, 1.0, s3
	v_mov_b32_e32 v4, 0
	global_store_b64 v[0:1], v[3:4], off
.LBB6_1744:
	s_mov_b32 s0, 0
.LBB6_1745:
	s_delay_alu instid0(SALU_CYCLE_1)
	s_and_not1_b32 vcc_lo, exec_lo, s0
	s_cbranch_vccnz .LBB6_1747
; %bb.1746:
	v_cndmask_b32_e64 v3, 0, 1.0, s3
	s_delay_alu instid0(VALU_DEP_1) | instskip(NEXT) | instid1(VALU_DEP_1)
	v_cvt_f16_f32_e32 v3, v3
	v_and_b32_e32 v3, 0xffff, v3
	global_store_b32 v[0:1], v3, off
.LBB6_1747:
	s_mov_b32 s0, 0
.LBB6_1748:
	s_delay_alu instid0(SALU_CYCLE_1)
	s_and_not1_b32 vcc_lo, exec_lo, s0
	s_cbranch_vccnz .LBB6_1757
; %bb.1749:
	v_cmp_gt_i16_e32 vcc_lo, 6, v5
	s_mov_b32 s0, -1
	s_cbranch_vccnz .LBB6_1755
; %bb.1750:
	v_cmp_lt_i16_e32 vcc_lo, 6, v5
	s_cbranch_vccz .LBB6_1752
; %bb.1751:
	v_cndmask_b32_e64 v3, 0, 1, s3
	s_mov_b32 s0, 0
	s_delay_alu instid0(VALU_DEP_1)
	v_cvt_f64_u32_e32 v[3:4], v3
	global_store_b64 v[0:1], v[3:4], off
.LBB6_1752:
	s_and_not1_b32 vcc_lo, exec_lo, s0
	s_cbranch_vccnz .LBB6_1754
; %bb.1753:
	v_cndmask_b32_e64 v3, 0, 1.0, s3
	global_store_b32 v[0:1], v3, off
.LBB6_1754:
	s_mov_b32 s0, 0
.LBB6_1755:
	s_delay_alu instid0(SALU_CYCLE_1)
	s_and_not1_b32 vcc_lo, exec_lo, s0
	s_cbranch_vccnz .LBB6_1757
; %bb.1756:
	v_cndmask_b32_e64 v3, 0, 1.0, s3
	s_delay_alu instid0(VALU_DEP_1)
	v_cvt_f16_f32_e32 v3, v3
	global_store_b16 v[0:1], v3, off
.LBB6_1757:
	s_mov_b32 s0, 0
.LBB6_1758:
	s_delay_alu instid0(SALU_CYCLE_1)
	s_and_not1_b32 vcc_lo, exec_lo, s0
	s_cbranch_vccnz .LBB6_1774
; %bb.1759:
	v_cmp_gt_i16_e32 vcc_lo, 2, v5
	s_mov_b32 s0, -1
	s_cbranch_vccnz .LBB6_1769
; %bb.1760:
	v_cmp_gt_i16_e32 vcc_lo, 3, v5
	s_cbranch_vccnz .LBB6_1766
; %bb.1761:
	v_cmp_lt_i16_e32 vcc_lo, 3, v5
	s_cbranch_vccz .LBB6_1763
; %bb.1762:
	s_mov_b32 s0, 0
	v_cndmask_b32_e64 v3, 0, 1, s3
	v_mov_b32_e32 v4, s0
	global_store_b64 v[0:1], v[3:4], off
.LBB6_1763:
	s_and_not1_b32 vcc_lo, exec_lo, s0
	s_cbranch_vccnz .LBB6_1765
; %bb.1764:
	v_cndmask_b32_e64 v3, 0, 1, s3
	global_store_b32 v[0:1], v3, off
.LBB6_1765:
	s_mov_b32 s0, 0
.LBB6_1766:
	s_delay_alu instid0(SALU_CYCLE_1)
	s_and_not1_b32 vcc_lo, exec_lo, s0
	s_cbranch_vccnz .LBB6_1768
; %bb.1767:
	v_cndmask_b32_e64 v3, 0, 1, s3
	global_store_b16 v[0:1], v3, off
.LBB6_1768:
	s_mov_b32 s0, 0
.LBB6_1769:
	s_delay_alu instid0(SALU_CYCLE_1)
	s_and_not1_b32 vcc_lo, exec_lo, s0
	s_cbranch_vccnz .LBB6_1774
; %bb.1770:
	v_cmp_lt_i16_e32 vcc_lo, 0, v5
	v_cndmask_b32_e64 v3, 0, 1, s3
	s_mov_b32 s0, -1
	s_cbranch_vccz .LBB6_1772
; %bb.1771:
	s_mov_b32 s0, 0
	global_store_b8 v[0:1], v3, off
.LBB6_1772:
	s_and_not1_b32 vcc_lo, exec_lo, s0
	s_cbranch_vccnz .LBB6_1774
; %bb.1773:
	global_store_b8 v[0:1], v3, off
.LBB6_1774:
	s_mov_b32 s10, -1
.LBB6_1775:
	s_delay_alu instid0(SALU_CYCLE_1)
	s_and_not1_b32 vcc_lo, exec_lo, s10
	s_cbranch_vccnz .LBB6_1970
; %bb.1776:
	v_add_nc_u32_e32 v2, s2, v2
	v_cmp_gt_i16_e32 vcc_lo, 11, v5
	s_mov_b32 s7, -1
	s_xor_b32 s3, s11, -1
	s_mov_b32 s10, 0
	v_ashrrev_i32_e32 v1, 31, v2
	v_add_co_u32 v0, s0, s4, v2
	s_delay_alu instid0(VALU_DEP_1)
	v_add_co_ci_u32_e64 v1, s0, s5, v1, s0
	s_cbranch_vccnz .LBB6_1854
; %bb.1777:
	v_cmp_lt_i16_e32 vcc_lo, 25, v5
	s_mov_b32 s11, -1
	s_mov_b32 s7, 0
	s_mov_b32 s0, 0
	s_cbranch_vccz .LBB6_1810
; %bb.1778:
	v_cmp_lt_i16_e32 vcc_lo, 28, v5
	s_cbranch_vccz .LBB6_1793
; %bb.1779:
	v_cmp_lt_i16_e32 vcc_lo, 43, v5
	;; [unrolled: 3-line block ×3, first 2 shown]
	s_cbranch_vccz .LBB6_1783
; %bb.1781:
	v_cmp_eq_u16_e32 vcc_lo, 46, v5
	s_mov_b32 s0, -1
	s_mov_b32 s11, 0
	s_cbranch_vccz .LBB6_1783
; %bb.1782:
	v_cndmask_b32_e64 v3, 0, 1.0, s3
	s_mov_b32 s0, 0
	s_mov_b32 s10, -1
	s_delay_alu instid0(VALU_DEP_1) | instskip(NEXT) | instid1(VALU_DEP_1)
	v_bfe_u32 v4, v3, 16, 1
	v_add3_u32 v3, v3, v4, 0x7fff
	s_delay_alu instid0(VALU_DEP_1)
	v_lshrrev_b32_e32 v3, 16, v3
	global_store_b32 v[0:1], v3, off
.LBB6_1783:
	s_and_b32 vcc_lo, exec_lo, s11
	s_cbranch_vccz .LBB6_1788
; %bb.1784:
	v_cmp_eq_u16_e32 vcc_lo, 44, v5
	s_mov_b32 s0, -1
	s_cbranch_vccz .LBB6_1788
; %bb.1785:
	v_cndmask_b32_e64 v6, 0, 1.0, s3
	v_mov_b32_e32 v4, 0xff
	s_mov_b32 s10, exec_lo
	s_delay_alu instid0(VALU_DEP_2) | instskip(NEXT) | instid1(VALU_DEP_1)
	v_lshrrev_b32_e32 v3, 23, v6
	v_cmpx_ne_u32_e32 0xff, v3
; %bb.1786:
	v_and_b32_e32 v4, 0x400000, v6
	v_and_or_b32 v6, 0x3fffff, v6, v3
	s_delay_alu instid0(VALU_DEP_2) | instskip(NEXT) | instid1(VALU_DEP_2)
	v_cmp_ne_u32_e32 vcc_lo, 0, v4
	v_cmp_ne_u32_e64 s0, 0, v6
	s_delay_alu instid0(VALU_DEP_1) | instskip(NEXT) | instid1(SALU_CYCLE_1)
	s_and_b32 s0, vcc_lo, s0
	v_cndmask_b32_e64 v4, 0, 1, s0
	s_delay_alu instid0(VALU_DEP_1)
	v_add_nc_u32_e32 v4, v3, v4
; %bb.1787:
	s_or_b32 exec_lo, exec_lo, s10
	s_mov_b32 s0, 0
	s_mov_b32 s10, -1
	global_store_b8 v[0:1], v4, off
.LBB6_1788:
	s_mov_b32 s11, 0
.LBB6_1789:
	s_delay_alu instid0(SALU_CYCLE_1)
	s_and_b32 vcc_lo, exec_lo, s11
	s_cbranch_vccz .LBB6_1792
; %bb.1790:
	v_cmp_eq_u16_e32 vcc_lo, 29, v5
	s_mov_b32 s0, -1
	s_cbranch_vccz .LBB6_1792
; %bb.1791:
	s_mov_b32 s0, 0
	v_cndmask_b32_e64 v3, 0, 1, s3
	v_mov_b32_e32 v4, s0
	s_mov_b32 s10, -1
	global_store_b64 v[0:1], v[3:4], off
.LBB6_1792:
	s_mov_b32 s11, 0
.LBB6_1793:
	s_delay_alu instid0(SALU_CYCLE_1)
	s_and_b32 vcc_lo, exec_lo, s11
	s_cbranch_vccz .LBB6_1809
; %bb.1794:
	v_cmp_gt_i16_e32 vcc_lo, 27, v5
	s_mov_b32 s10, -1
	s_cbranch_vccnz .LBB6_1800
; %bb.1795:
	v_cmp_lt_i16_e32 vcc_lo, 27, v5
	s_cbranch_vccz .LBB6_1797
; %bb.1796:
	v_cndmask_b32_e64 v3, 0, 1, s3
	s_mov_b32 s10, 0
	global_store_b32 v[0:1], v3, off
.LBB6_1797:
	s_and_not1_b32 vcc_lo, exec_lo, s10
	s_cbranch_vccnz .LBB6_1799
; %bb.1798:
	v_cndmask_b32_e64 v3, 0, 1, s3
	global_store_b16 v[0:1], v3, off
.LBB6_1799:
	s_mov_b32 s10, 0
.LBB6_1800:
	s_delay_alu instid0(SALU_CYCLE_1)
	s_and_not1_b32 vcc_lo, exec_lo, s10
	s_cbranch_vccnz .LBB6_1808
; %bb.1801:
	v_cndmask_b32_e64 v4, 0, 1.0, s3
	v_mov_b32_e32 v6, 0x80
	s_mov_b32 s10, exec_lo
	s_delay_alu instid0(VALU_DEP_2)
	v_cmpx_gt_u32_e32 0x43800000, v4
	s_cbranch_execz .LBB6_1807
; %bb.1802:
	s_mov_b32 s11, 0
	s_mov_b32 s12, exec_lo
                                        ; implicit-def: $vgpr3
	v_cmpx_lt_u32_e32 0x3bffffff, v4
	s_xor_b32 s12, exec_lo, s12
	s_cbranch_execz .LBB6_2033
; %bb.1803:
	v_bfe_u32 v3, v4, 20, 1
	s_mov_b32 s11, exec_lo
	s_delay_alu instid0(VALU_DEP_1) | instskip(NEXT) | instid1(VALU_DEP_1)
	v_add3_u32 v3, v4, v3, 0x487ffff
                                        ; implicit-def: $vgpr4
	v_lshrrev_b32_e32 v3, 20, v3
	s_or_saveexec_b32 s12, s12
                                        ; implicit-def: $sgpr13
	s_delay_alu instid0(SALU_CYCLE_1)
	s_xor_b32 exec_lo, exec_lo, s12
	s_cbranch_execnz .LBB6_2034
.LBB6_1804:
	s_or_b32 exec_lo, exec_lo, s12
	v_mov_b32_e32 v6, s13
	s_and_saveexec_b32 s12, s11
.LBB6_1805:
	v_mov_b32_e32 v6, v3
.LBB6_1806:
	s_or_b32 exec_lo, exec_lo, s12
.LBB6_1807:
	s_delay_alu instid0(SALU_CYCLE_1)
	s_or_b32 exec_lo, exec_lo, s10
	global_store_b8 v[0:1], v6, off
.LBB6_1808:
	s_mov_b32 s10, -1
.LBB6_1809:
	s_mov_b32 s11, 0
.LBB6_1810:
	s_delay_alu instid0(SALU_CYCLE_1)
	s_and_b32 vcc_lo, exec_lo, s11
	s_cbranch_vccz .LBB6_1850
; %bb.1811:
	v_cmp_lt_i16_e32 vcc_lo, 22, v5
	s_mov_b32 s7, -1
	s_cbranch_vccz .LBB6_1843
; %bb.1812:
	v_cmp_gt_i16_e32 vcc_lo, 24, v5
	s_cbranch_vccnz .LBB6_1832
; %bb.1813:
	v_cmp_lt_i16_e32 vcc_lo, 24, v5
	s_cbranch_vccz .LBB6_1821
; %bb.1814:
	v_cndmask_b32_e64 v4, 0, 1.0, s3
	v_mov_b32_e32 v6, 0x80
	s_mov_b32 s7, exec_lo
	s_delay_alu instid0(VALU_DEP_2)
	v_cmpx_gt_u32_e32 0x47800000, v4
	s_cbranch_execz .LBB6_1820
; %bb.1815:
	s_mov_b32 s10, 0
	s_mov_b32 s11, exec_lo
                                        ; implicit-def: $vgpr3
	v_cmpx_lt_u32_e32 0x37ffffff, v4
	s_xor_b32 s11, exec_lo, s11
	s_cbranch_execz .LBB6_2039
; %bb.1816:
	v_bfe_u32 v3, v4, 21, 1
	s_mov_b32 s10, exec_lo
	s_delay_alu instid0(VALU_DEP_1) | instskip(NEXT) | instid1(VALU_DEP_1)
	v_add3_u32 v3, v4, v3, 0x88fffff
                                        ; implicit-def: $vgpr4
	v_lshrrev_b32_e32 v3, 21, v3
	s_or_saveexec_b32 s11, s11
                                        ; implicit-def: $sgpr12
	s_delay_alu instid0(SALU_CYCLE_1)
	s_xor_b32 exec_lo, exec_lo, s11
	s_cbranch_execnz .LBB6_2040
.LBB6_1817:
	s_or_b32 exec_lo, exec_lo, s11
	v_mov_b32_e32 v6, s12
	s_and_saveexec_b32 s11, s10
.LBB6_1818:
	v_mov_b32_e32 v6, v3
.LBB6_1819:
	s_or_b32 exec_lo, exec_lo, s11
.LBB6_1820:
	s_delay_alu instid0(SALU_CYCLE_1)
	s_or_b32 exec_lo, exec_lo, s7
	s_mov_b32 s7, 0
	global_store_b8 v[0:1], v6, off
.LBB6_1821:
	s_and_b32 vcc_lo, exec_lo, s7
	s_cbranch_vccz .LBB6_1831
; %bb.1822:
	v_cndmask_b32_e64 v4, 0, 1.0, s3
	s_mov_b32 s7, exec_lo
                                        ; implicit-def: $vgpr3
	s_delay_alu instid0(VALU_DEP_1)
	v_cmpx_gt_u32_e32 0x43f00000, v4
	s_xor_b32 s7, exec_lo, s7
	s_cbranch_execz .LBB6_1828
; %bb.1823:
	s_mov_b32 s10, exec_lo
                                        ; implicit-def: $vgpr3
	v_cmpx_lt_u32_e32 0x3c7fffff, v4
	s_xor_b32 s10, exec_lo, s10
; %bb.1824:
	v_bfe_u32 v3, v4, 20, 1
	s_delay_alu instid0(VALU_DEP_1) | instskip(NEXT) | instid1(VALU_DEP_1)
	v_add3_u32 v3, v4, v3, 0x407ffff
	v_and_b32_e32 v4, 0xff00000, v3
	v_lshrrev_b32_e32 v3, 20, v3
	s_delay_alu instid0(VALU_DEP_2) | instskip(NEXT) | instid1(VALU_DEP_2)
	v_cmp_ne_u32_e32 vcc_lo, 0x7f00000, v4
                                        ; implicit-def: $vgpr4
	v_cndmask_b32_e32 v3, 0x7e, v3, vcc_lo
; %bb.1825:
	s_and_not1_saveexec_b32 s10, s10
; %bb.1826:
	v_add_f32_e32 v3, 0x46800000, v4
; %bb.1827:
	s_or_b32 exec_lo, exec_lo, s10
                                        ; implicit-def: $vgpr4
.LBB6_1828:
	s_and_not1_saveexec_b32 s7, s7
; %bb.1829:
	v_mov_b32_e32 v3, 0x7f
	v_cmp_lt_u32_e32 vcc_lo, 0x7f800000, v4
	s_delay_alu instid0(VALU_DEP_2)
	v_cndmask_b32_e32 v3, 0x7e, v3, vcc_lo
; %bb.1830:
	s_or_b32 exec_lo, exec_lo, s7
	global_store_b8 v[0:1], v3, off
.LBB6_1831:
	s_mov_b32 s7, 0
.LBB6_1832:
	s_delay_alu instid0(SALU_CYCLE_1)
	s_and_not1_b32 vcc_lo, exec_lo, s7
	s_cbranch_vccnz .LBB6_1842
; %bb.1833:
	v_cndmask_b32_e64 v4, 0, 1.0, s3
	s_mov_b32 s7, exec_lo
                                        ; implicit-def: $vgpr3
	s_delay_alu instid0(VALU_DEP_1)
	v_cmpx_gt_u32_e32 0x47800000, v4
	s_xor_b32 s7, exec_lo, s7
	s_cbranch_execz .LBB6_1839
; %bb.1834:
	s_mov_b32 s10, exec_lo
                                        ; implicit-def: $vgpr3
	v_cmpx_lt_u32_e32 0x387fffff, v4
	s_xor_b32 s10, exec_lo, s10
; %bb.1835:
	v_bfe_u32 v3, v4, 21, 1
	s_delay_alu instid0(VALU_DEP_1) | instskip(NEXT) | instid1(VALU_DEP_1)
	v_add3_u32 v3, v4, v3, 0x80fffff
                                        ; implicit-def: $vgpr4
	v_lshrrev_b32_e32 v3, 21, v3
; %bb.1836:
	s_and_not1_saveexec_b32 s10, s10
; %bb.1837:
	v_add_f32_e32 v3, 0x43000000, v4
; %bb.1838:
	s_or_b32 exec_lo, exec_lo, s10
                                        ; implicit-def: $vgpr4
.LBB6_1839:
	s_and_not1_saveexec_b32 s7, s7
; %bb.1840:
	v_mov_b32_e32 v3, 0x7f
	v_cmp_lt_u32_e32 vcc_lo, 0x7f800000, v4
	s_delay_alu instid0(VALU_DEP_2)
	v_cndmask_b32_e32 v3, 0x7c, v3, vcc_lo
; %bb.1841:
	s_or_b32 exec_lo, exec_lo, s7
	global_store_b8 v[0:1], v3, off
.LBB6_1842:
	s_mov_b32 s7, 0
	s_mov_b32 s10, -1
.LBB6_1843:
	s_and_not1_b32 vcc_lo, exec_lo, s7
	s_mov_b32 s7, 0
	s_cbranch_vccnz .LBB6_1850
; %bb.1844:
	v_cmp_lt_i16_e32 vcc_lo, 14, v5
	s_mov_b32 s7, -1
	s_cbranch_vccz .LBB6_1848
; %bb.1845:
	v_cmp_eq_u16_e32 vcc_lo, 15, v5
	s_mov_b32 s0, -1
	s_cbranch_vccz .LBB6_1847
; %bb.1846:
	v_cndmask_b32_e64 v3, 0, 1.0, s3
	s_mov_b32 s0, 0
	s_mov_b32 s10, -1
	s_delay_alu instid0(VALU_DEP_1) | instskip(NEXT) | instid1(VALU_DEP_1)
	v_bfe_u32 v4, v3, 16, 1
	v_add3_u32 v3, v3, v4, 0x7fff
	global_store_d16_hi_b16 v[0:1], v3, off
.LBB6_1847:
	s_mov_b32 s7, 0
.LBB6_1848:
	s_delay_alu instid0(SALU_CYCLE_1)
	s_and_b32 vcc_lo, exec_lo, s7
	s_mov_b32 s7, 0
	s_cbranch_vccz .LBB6_1850
; %bb.1849:
	v_cmp_ne_u16_e64 s0, 11, v5
	s_mov_b32 s7, -1
.LBB6_1850:
	s_delay_alu instid0(VALU_DEP_1)
	s_and_b32 vcc_lo, exec_lo, s0
	s_cbranch_vccnz .LBB6_2037
; %bb.1851:
	s_and_not1_b32 vcc_lo, exec_lo, s7
	s_cbranch_vccnz .LBB6_1853
.LBB6_1852:
	v_cndmask_b32_e64 v3, 0, 1, s3
	s_mov_b32 s10, -1
	global_store_b8 v[0:1], v3, off
.LBB6_1853:
	s_mov_b32 s7, 0
.LBB6_1854:
	s_delay_alu instid0(SALU_CYCLE_1)
	s_and_b32 vcc_lo, exec_lo, s7
	s_cbranch_vccz .LBB6_1893
; %bb.1855:
	v_cmp_gt_i16_e32 vcc_lo, 5, v5
	s_mov_b32 s0, -1
	s_cbranch_vccnz .LBB6_1876
; %bb.1856:
	v_cmp_gt_i16_e32 vcc_lo, 8, v5
	s_cbranch_vccnz .LBB6_1866
; %bb.1857:
	v_cmp_gt_i16_e32 vcc_lo, 9, v5
	s_cbranch_vccnz .LBB6_1863
; %bb.1858:
	v_cmp_lt_i16_e32 vcc_lo, 9, v5
	s_cbranch_vccz .LBB6_1860
; %bb.1859:
	v_cndmask_b32_e64 v3, 0, 1, s3
	v_mov_b32_e32 v8, 0
	s_mov_b32 s0, 0
	s_delay_alu instid0(VALU_DEP_2) | instskip(NEXT) | instid1(VALU_DEP_2)
	v_cvt_f64_u32_e32 v[6:7], v3
	v_mov_b32_e32 v9, v8
	global_store_b128 v[0:1], v[6:9], off
.LBB6_1860:
	s_and_not1_b32 vcc_lo, exec_lo, s0
	s_cbranch_vccnz .LBB6_1862
; %bb.1861:
	v_cndmask_b32_e64 v3, 0, 1.0, s3
	v_mov_b32_e32 v4, 0
	global_store_b64 v[0:1], v[3:4], off
.LBB6_1862:
	s_mov_b32 s0, 0
.LBB6_1863:
	s_delay_alu instid0(SALU_CYCLE_1)
	s_and_not1_b32 vcc_lo, exec_lo, s0
	s_cbranch_vccnz .LBB6_1865
; %bb.1864:
	v_cndmask_b32_e64 v3, 0, 1.0, s3
	s_delay_alu instid0(VALU_DEP_1) | instskip(NEXT) | instid1(VALU_DEP_1)
	v_cvt_f16_f32_e32 v3, v3
	v_and_b32_e32 v3, 0xffff, v3
	global_store_b32 v[0:1], v3, off
.LBB6_1865:
	s_mov_b32 s0, 0
.LBB6_1866:
	s_delay_alu instid0(SALU_CYCLE_1)
	s_and_not1_b32 vcc_lo, exec_lo, s0
	s_cbranch_vccnz .LBB6_1875
; %bb.1867:
	v_cmp_gt_i16_e32 vcc_lo, 6, v5
	s_mov_b32 s0, -1
	s_cbranch_vccnz .LBB6_1873
; %bb.1868:
	v_cmp_lt_i16_e32 vcc_lo, 6, v5
	s_cbranch_vccz .LBB6_1870
; %bb.1869:
	v_cndmask_b32_e64 v3, 0, 1, s3
	s_mov_b32 s0, 0
	s_delay_alu instid0(VALU_DEP_1)
	v_cvt_f64_u32_e32 v[3:4], v3
	global_store_b64 v[0:1], v[3:4], off
.LBB6_1870:
	s_and_not1_b32 vcc_lo, exec_lo, s0
	s_cbranch_vccnz .LBB6_1872
; %bb.1871:
	v_cndmask_b32_e64 v3, 0, 1.0, s3
	global_store_b32 v[0:1], v3, off
.LBB6_1872:
	s_mov_b32 s0, 0
.LBB6_1873:
	s_delay_alu instid0(SALU_CYCLE_1)
	s_and_not1_b32 vcc_lo, exec_lo, s0
	s_cbranch_vccnz .LBB6_1875
; %bb.1874:
	v_cndmask_b32_e64 v3, 0, 1.0, s3
	s_delay_alu instid0(VALU_DEP_1)
	v_cvt_f16_f32_e32 v3, v3
	global_store_b16 v[0:1], v3, off
.LBB6_1875:
	s_mov_b32 s0, 0
.LBB6_1876:
	s_delay_alu instid0(SALU_CYCLE_1)
	s_and_not1_b32 vcc_lo, exec_lo, s0
	s_cbranch_vccnz .LBB6_1892
; %bb.1877:
	v_cmp_gt_i16_e32 vcc_lo, 2, v5
	s_mov_b32 s0, -1
	s_cbranch_vccnz .LBB6_1887
; %bb.1878:
	v_cmp_gt_i16_e32 vcc_lo, 3, v5
	s_cbranch_vccnz .LBB6_1884
; %bb.1879:
	v_cmp_lt_i16_e32 vcc_lo, 3, v5
	s_cbranch_vccz .LBB6_1881
; %bb.1880:
	s_mov_b32 s0, 0
	v_cndmask_b32_e64 v3, 0, 1, s3
	v_mov_b32_e32 v4, s0
	global_store_b64 v[0:1], v[3:4], off
.LBB6_1881:
	s_and_not1_b32 vcc_lo, exec_lo, s0
	s_cbranch_vccnz .LBB6_1883
; %bb.1882:
	v_cndmask_b32_e64 v3, 0, 1, s3
	global_store_b32 v[0:1], v3, off
.LBB6_1883:
	s_mov_b32 s0, 0
.LBB6_1884:
	s_delay_alu instid0(SALU_CYCLE_1)
	s_and_not1_b32 vcc_lo, exec_lo, s0
	s_cbranch_vccnz .LBB6_1886
; %bb.1885:
	v_cndmask_b32_e64 v3, 0, 1, s3
	global_store_b16 v[0:1], v3, off
.LBB6_1886:
	s_mov_b32 s0, 0
.LBB6_1887:
	s_delay_alu instid0(SALU_CYCLE_1)
	s_and_not1_b32 vcc_lo, exec_lo, s0
	s_cbranch_vccnz .LBB6_1892
; %bb.1888:
	v_cmp_lt_i16_e32 vcc_lo, 0, v5
	v_cndmask_b32_e64 v3, 0, 1, s3
	s_mov_b32 s0, -1
	s_cbranch_vccz .LBB6_1890
; %bb.1889:
	s_mov_b32 s0, 0
	global_store_b8 v[0:1], v3, off
.LBB6_1890:
	s_and_not1_b32 vcc_lo, exec_lo, s0
	s_cbranch_vccnz .LBB6_1892
; %bb.1891:
	global_store_b8 v[0:1], v3, off
.LBB6_1892:
	s_mov_b32 s10, -1
.LBB6_1893:
	s_delay_alu instid0(SALU_CYCLE_1)
	s_and_not1_b32 vcc_lo, exec_lo, s10
	s_cbranch_vccnz .LBB6_1970
; %bb.1894:
	v_add_nc_u32_e32 v0, s2, v2
	v_cmp_gt_i16_e32 vcc_lo, 11, v5
	s_mov_b32 s7, -1
	s_xor_b32 s2, s6, -1
	s_mov_b32 s3, 0
	v_ashrrev_i32_e32 v1, 31, v0
	v_add_co_u32 v0, s0, s4, v0
	s_delay_alu instid0(VALU_DEP_1)
	v_add_co_ci_u32_e64 v1, s0, s5, v1, s0
	s_cbranch_vccnz .LBB6_1971
; %bb.1895:
	v_cmp_lt_i16_e32 vcc_lo, 25, v5
	s_mov_b32 s4, -1
	s_mov_b32 s0, 0
	s_cbranch_vccz .LBB6_1928
; %bb.1896:
	v_cmp_lt_i16_e32 vcc_lo, 28, v5
	s_cbranch_vccz .LBB6_1912
; %bb.1897:
	v_cmp_lt_i16_e32 vcc_lo, 43, v5
	;; [unrolled: 3-line block ×3, first 2 shown]
	s_cbranch_vccz .LBB6_1902
; %bb.1899:
	v_cmp_eq_u16_e32 vcc_lo, 46, v5
	s_mov_b32 s0, -1
	s_cbranch_vccz .LBB6_1901
; %bb.1900:
	v_cndmask_b32_e64 v2, 0, 1.0, s2
	s_mov_b32 s0, 0
	s_delay_alu instid0(VALU_DEP_1) | instskip(NEXT) | instid1(VALU_DEP_1)
	v_bfe_u32 v3, v2, 16, 1
	v_add3_u32 v2, v2, v3, 0x7fff
	s_delay_alu instid0(VALU_DEP_1)
	v_lshrrev_b32_e32 v2, 16, v2
	global_store_b32 v[0:1], v2, off
.LBB6_1901:
	s_mov_b32 s4, 0
.LBB6_1902:
	s_delay_alu instid0(SALU_CYCLE_1)
	s_and_b32 vcc_lo, exec_lo, s4
	s_cbranch_vccz .LBB6_1907
; %bb.1903:
	v_cmp_eq_u16_e32 vcc_lo, 44, v5
	s_mov_b32 s0, -1
	s_cbranch_vccz .LBB6_1907
; %bb.1904:
	v_cndmask_b32_e64 v4, 0, 1.0, s2
	v_mov_b32_e32 v3, 0xff
	s_mov_b32 s4, exec_lo
	s_delay_alu instid0(VALU_DEP_2) | instskip(NEXT) | instid1(VALU_DEP_1)
	v_lshrrev_b32_e32 v2, 23, v4
	v_cmpx_ne_u32_e32 0xff, v2
; %bb.1905:
	v_and_b32_e32 v3, 0x400000, v4
	v_and_or_b32 v4, 0x3fffff, v4, v2
	s_delay_alu instid0(VALU_DEP_2) | instskip(NEXT) | instid1(VALU_DEP_2)
	v_cmp_ne_u32_e32 vcc_lo, 0, v3
	v_cmp_ne_u32_e64 s0, 0, v4
	s_delay_alu instid0(VALU_DEP_1) | instskip(NEXT) | instid1(SALU_CYCLE_1)
	s_and_b32 s0, vcc_lo, s0
	v_cndmask_b32_e64 v3, 0, 1, s0
	s_delay_alu instid0(VALU_DEP_1)
	v_add_nc_u32_e32 v3, v2, v3
; %bb.1906:
	s_or_b32 exec_lo, exec_lo, s4
	s_mov_b32 s0, 0
	global_store_b8 v[0:1], v3, off
.LBB6_1907:
	s_mov_b32 s4, 0
.LBB6_1908:
	s_delay_alu instid0(SALU_CYCLE_1)
	s_and_b32 vcc_lo, exec_lo, s4
	s_cbranch_vccz .LBB6_1911
; %bb.1909:
	v_cmp_eq_u16_e32 vcc_lo, 29, v5
	s_mov_b32 s0, -1
	s_cbranch_vccz .LBB6_1911
; %bb.1910:
	s_mov_b32 s0, 0
	v_cndmask_b32_e64 v2, 0, 1, s2
	v_mov_b32_e32 v3, s0
	global_store_b64 v[0:1], v[2:3], off
.LBB6_1911:
	s_mov_b32 s4, 0
.LBB6_1912:
	s_delay_alu instid0(SALU_CYCLE_1)
	s_and_b32 vcc_lo, exec_lo, s4
	s_cbranch_vccz .LBB6_1927
; %bb.1913:
	v_cmp_gt_i16_e32 vcc_lo, 27, v5
	s_mov_b32 s4, -1
	s_cbranch_vccnz .LBB6_1919
; %bb.1914:
	v_cmp_lt_i16_e32 vcc_lo, 27, v5
	v_cndmask_b32_e64 v2, 0, 1, s2
	s_cbranch_vccz .LBB6_1916
; %bb.1915:
	s_mov_b32 s4, 0
	global_store_b32 v[0:1], v2, off
.LBB6_1916:
	s_and_not1_b32 vcc_lo, exec_lo, s4
	s_cbranch_vccnz .LBB6_1918
; %bb.1917:
	global_store_b16 v[0:1], v2, off
.LBB6_1918:
	s_mov_b32 s4, 0
.LBB6_1919:
	s_delay_alu instid0(SALU_CYCLE_1)
	s_and_not1_b32 vcc_lo, exec_lo, s4
	s_cbranch_vccnz .LBB6_1927
; %bb.1920:
	v_cndmask_b32_e64 v3, 0, 1.0, s2
	v_mov_b32_e32 v4, 0x80
	s_mov_b32 s4, exec_lo
	s_delay_alu instid0(VALU_DEP_2)
	v_cmpx_gt_u32_e32 0x43800000, v3
	s_cbranch_execz .LBB6_1926
; %bb.1921:
	s_mov_b32 s5, 0
	s_mov_b32 s6, exec_lo
                                        ; implicit-def: $vgpr2
	v_cmpx_lt_u32_e32 0x3bffffff, v3
	s_xor_b32 s6, exec_lo, s6
	s_cbranch_execz .LBB6_2041
; %bb.1922:
	v_bfe_u32 v2, v3, 20, 1
	s_mov_b32 s5, exec_lo
	s_delay_alu instid0(VALU_DEP_1) | instskip(NEXT) | instid1(VALU_DEP_1)
	v_add3_u32 v2, v3, v2, 0x487ffff
                                        ; implicit-def: $vgpr3
	v_lshrrev_b32_e32 v2, 20, v2
	s_or_saveexec_b32 s6, s6
                                        ; implicit-def: $sgpr7
	s_delay_alu instid0(SALU_CYCLE_1)
	s_xor_b32 exec_lo, exec_lo, s6
	s_cbranch_execnz .LBB6_2042
.LBB6_1923:
	s_or_b32 exec_lo, exec_lo, s6
	v_mov_b32_e32 v4, s7
	s_and_saveexec_b32 s6, s5
.LBB6_1924:
	v_mov_b32_e32 v4, v2
.LBB6_1925:
	s_or_b32 exec_lo, exec_lo, s6
.LBB6_1926:
	s_delay_alu instid0(SALU_CYCLE_1)
	s_or_b32 exec_lo, exec_lo, s4
	global_store_b8 v[0:1], v4, off
.LBB6_1927:
	s_mov_b32 s4, 0
.LBB6_1928:
	s_delay_alu instid0(SALU_CYCLE_1)
	s_and_b32 vcc_lo, exec_lo, s4
	s_cbranch_vccz .LBB6_1968
; %bb.1929:
	v_cmp_lt_i16_e32 vcc_lo, 22, v5
	s_mov_b32 s3, -1
	s_cbranch_vccz .LBB6_1961
; %bb.1930:
	v_cmp_gt_i16_e32 vcc_lo, 24, v5
	s_cbranch_vccnz .LBB6_1950
; %bb.1931:
	v_cmp_lt_i16_e32 vcc_lo, 24, v5
	s_cbranch_vccz .LBB6_1939
; %bb.1932:
	v_cndmask_b32_e64 v3, 0, 1.0, s2
	v_mov_b32_e32 v4, 0x80
	s_mov_b32 s3, exec_lo
	s_delay_alu instid0(VALU_DEP_2)
	v_cmpx_gt_u32_e32 0x47800000, v3
	s_cbranch_execz .LBB6_1938
; %bb.1933:
	s_mov_b32 s4, 0
	s_mov_b32 s5, exec_lo
                                        ; implicit-def: $vgpr2
	v_cmpx_lt_u32_e32 0x37ffffff, v3
	s_xor_b32 s5, exec_lo, s5
	s_cbranch_execz .LBB6_2047
; %bb.1934:
	v_bfe_u32 v2, v3, 21, 1
	s_mov_b32 s4, exec_lo
	s_delay_alu instid0(VALU_DEP_1) | instskip(NEXT) | instid1(VALU_DEP_1)
	v_add3_u32 v2, v3, v2, 0x88fffff
                                        ; implicit-def: $vgpr3
	v_lshrrev_b32_e32 v2, 21, v2
	s_or_saveexec_b32 s5, s5
                                        ; implicit-def: $sgpr6
	s_delay_alu instid0(SALU_CYCLE_1)
	s_xor_b32 exec_lo, exec_lo, s5
	s_cbranch_execnz .LBB6_2048
.LBB6_1935:
	s_or_b32 exec_lo, exec_lo, s5
	v_mov_b32_e32 v4, s6
	s_and_saveexec_b32 s5, s4
.LBB6_1936:
	v_mov_b32_e32 v4, v2
.LBB6_1937:
	s_or_b32 exec_lo, exec_lo, s5
.LBB6_1938:
	s_delay_alu instid0(SALU_CYCLE_1)
	s_or_b32 exec_lo, exec_lo, s3
	s_mov_b32 s3, 0
	global_store_b8 v[0:1], v4, off
.LBB6_1939:
	s_and_b32 vcc_lo, exec_lo, s3
	s_cbranch_vccz .LBB6_1949
; %bb.1940:
	v_cndmask_b32_e64 v3, 0, 1.0, s2
	s_mov_b32 s3, exec_lo
                                        ; implicit-def: $vgpr2
	s_delay_alu instid0(VALU_DEP_1)
	v_cmpx_gt_u32_e32 0x43f00000, v3
	s_xor_b32 s3, exec_lo, s3
	s_cbranch_execz .LBB6_1946
; %bb.1941:
	s_mov_b32 s4, exec_lo
                                        ; implicit-def: $vgpr2
	v_cmpx_lt_u32_e32 0x3c7fffff, v3
	s_xor_b32 s4, exec_lo, s4
; %bb.1942:
	v_bfe_u32 v2, v3, 20, 1
	s_delay_alu instid0(VALU_DEP_1) | instskip(NEXT) | instid1(VALU_DEP_1)
	v_add3_u32 v2, v3, v2, 0x407ffff
	v_and_b32_e32 v3, 0xff00000, v2
	v_lshrrev_b32_e32 v2, 20, v2
	s_delay_alu instid0(VALU_DEP_2) | instskip(NEXT) | instid1(VALU_DEP_2)
	v_cmp_ne_u32_e32 vcc_lo, 0x7f00000, v3
                                        ; implicit-def: $vgpr3
	v_cndmask_b32_e32 v2, 0x7e, v2, vcc_lo
; %bb.1943:
	s_and_not1_saveexec_b32 s4, s4
; %bb.1944:
	v_add_f32_e32 v2, 0x46800000, v3
; %bb.1945:
	s_or_b32 exec_lo, exec_lo, s4
                                        ; implicit-def: $vgpr3
.LBB6_1946:
	s_and_not1_saveexec_b32 s3, s3
; %bb.1947:
	v_mov_b32_e32 v2, 0x7f
	v_cmp_lt_u32_e32 vcc_lo, 0x7f800000, v3
	s_delay_alu instid0(VALU_DEP_2)
	v_cndmask_b32_e32 v2, 0x7e, v2, vcc_lo
; %bb.1948:
	s_or_b32 exec_lo, exec_lo, s3
	global_store_b8 v[0:1], v2, off
.LBB6_1949:
	s_mov_b32 s3, 0
.LBB6_1950:
	s_delay_alu instid0(SALU_CYCLE_1)
	s_and_not1_b32 vcc_lo, exec_lo, s3
	s_cbranch_vccnz .LBB6_1960
; %bb.1951:
	v_cndmask_b32_e64 v3, 0, 1.0, s2
	s_mov_b32 s3, exec_lo
                                        ; implicit-def: $vgpr2
	s_delay_alu instid0(VALU_DEP_1)
	v_cmpx_gt_u32_e32 0x47800000, v3
	s_xor_b32 s3, exec_lo, s3
	s_cbranch_execz .LBB6_1957
; %bb.1952:
	s_mov_b32 s4, exec_lo
                                        ; implicit-def: $vgpr2
	v_cmpx_lt_u32_e32 0x387fffff, v3
	s_xor_b32 s4, exec_lo, s4
; %bb.1953:
	v_bfe_u32 v2, v3, 21, 1
	s_delay_alu instid0(VALU_DEP_1) | instskip(NEXT) | instid1(VALU_DEP_1)
	v_add3_u32 v2, v3, v2, 0x80fffff
                                        ; implicit-def: $vgpr3
	v_lshrrev_b32_e32 v2, 21, v2
; %bb.1954:
	s_and_not1_saveexec_b32 s4, s4
; %bb.1955:
	v_add_f32_e32 v2, 0x43000000, v3
; %bb.1956:
	s_or_b32 exec_lo, exec_lo, s4
                                        ; implicit-def: $vgpr3
.LBB6_1957:
	s_and_not1_saveexec_b32 s3, s3
; %bb.1958:
	v_mov_b32_e32 v2, 0x7f
	v_cmp_lt_u32_e32 vcc_lo, 0x7f800000, v3
	s_delay_alu instid0(VALU_DEP_2)
	v_cndmask_b32_e32 v2, 0x7c, v2, vcc_lo
; %bb.1959:
	s_or_b32 exec_lo, exec_lo, s3
	global_store_b8 v[0:1], v2, off
.LBB6_1960:
	s_mov_b32 s3, 0
.LBB6_1961:
	s_delay_alu instid0(SALU_CYCLE_1)
	s_and_not1_b32 vcc_lo, exec_lo, s3
	s_mov_b32 s3, 0
	s_cbranch_vccnz .LBB6_1968
; %bb.1962:
	v_cmp_lt_i16_e32 vcc_lo, 14, v5
	s_mov_b32 s3, -1
	s_cbranch_vccz .LBB6_1966
; %bb.1963:
	v_cmp_eq_u16_e32 vcc_lo, 15, v5
	s_mov_b32 s0, -1
	s_cbranch_vccz .LBB6_1965
; %bb.1964:
	v_cndmask_b32_e64 v2, 0, 1.0, s2
	s_mov_b32 s0, 0
	s_delay_alu instid0(VALU_DEP_1) | instskip(NEXT) | instid1(VALU_DEP_1)
	v_bfe_u32 v3, v2, 16, 1
	v_add3_u32 v2, v2, v3, 0x7fff
	global_store_d16_hi_b16 v[0:1], v2, off
.LBB6_1965:
	s_mov_b32 s3, 0
.LBB6_1966:
	s_delay_alu instid0(SALU_CYCLE_1)
	s_and_b32 vcc_lo, exec_lo, s3
	s_mov_b32 s3, 0
	s_cbranch_vccz .LBB6_1968
; %bb.1967:
	v_cmp_ne_u16_e64 s0, 11, v5
	s_mov_b32 s3, -1
.LBB6_1968:
	s_delay_alu instid0(VALU_DEP_1)
	s_and_b32 vcc_lo, exec_lo, s0
	s_cbranch_vccnz .LBB6_2045
.LBB6_1969:
	s_mov_b32 s7, 0
	s_branch .LBB6_1971
.LBB6_1970:
	s_mov_b32 s7, 0
	s_mov_b32 s3, 0
                                        ; implicit-def: $sgpr2
                                        ; implicit-def: $vgpr5
                                        ; implicit-def: $vgpr0_vgpr1
.LBB6_1971:
	s_and_b32 s0, s2, exec_lo
	s_and_not1_b32 s2, s9, exec_lo
	s_and_b32 s4, s1, exec_lo
	s_and_b32 s10, s7, exec_lo
	;; [unrolled: 1-line block ×3, first 2 shown]
	s_or_b32 s9, s2, s4
.LBB6_1972:
	s_or_b32 exec_lo, exec_lo, s8
	s_and_saveexec_b32 s2, s9
	s_cbranch_execz .LBB6_1975
; %bb.1973:
	; divergent unreachable
	s_or_b32 exec_lo, exec_lo, s2
	s_and_saveexec_b32 s2, s1
	s_delay_alu instid0(SALU_CYCLE_1)
	s_xor_b32 s1, exec_lo, s2
	s_cbranch_execnz .LBB6_1976
.LBB6_1974:
	s_or_b32 exec_lo, exec_lo, s1
	s_and_saveexec_b32 s1, s10
	s_cbranch_execnz .LBB6_1977
	s_branch .LBB6_2014
.LBB6_1975:
	s_or_b32 exec_lo, exec_lo, s2
	s_and_saveexec_b32 s2, s1
	s_delay_alu instid0(SALU_CYCLE_1)
	s_xor_b32 s1, exec_lo, s2
	s_cbranch_execz .LBB6_1974
.LBB6_1976:
	v_cndmask_b32_e64 v2, 0, 1, s0
	global_store_b8 v[0:1], v2, off
	s_or_b32 exec_lo, exec_lo, s1
	s_and_saveexec_b32 s1, s10
	s_cbranch_execz .LBB6_2014
.LBB6_1977:
	v_cmp_gt_i16_e32 vcc_lo, 5, v5
	s_mov_b32 s1, -1
	s_cbranch_vccnz .LBB6_1998
; %bb.1978:
	v_cmp_gt_i16_e32 vcc_lo, 8, v5
	s_cbranch_vccnz .LBB6_1988
; %bb.1979:
	v_cmp_gt_i16_e32 vcc_lo, 9, v5
	s_cbranch_vccnz .LBB6_1985
; %bb.1980:
	v_cmp_lt_i16_e32 vcc_lo, 9, v5
	s_cbranch_vccz .LBB6_1982
; %bb.1981:
	v_cndmask_b32_e64 v2, 0, 1, s0
	v_mov_b32_e32 v8, 0
	s_mov_b32 s1, 0
	s_delay_alu instid0(VALU_DEP_2) | instskip(NEXT) | instid1(VALU_DEP_2)
	v_cvt_f64_u32_e32 v[6:7], v2
	v_mov_b32_e32 v9, v8
	global_store_b128 v[0:1], v[6:9], off
.LBB6_1982:
	s_and_not1_b32 vcc_lo, exec_lo, s1
	s_cbranch_vccnz .LBB6_1984
; %bb.1983:
	v_cndmask_b32_e64 v2, 0, 1.0, s0
	v_mov_b32_e32 v3, 0
	global_store_b64 v[0:1], v[2:3], off
.LBB6_1984:
	s_mov_b32 s1, 0
.LBB6_1985:
	s_delay_alu instid0(SALU_CYCLE_1)
	s_and_not1_b32 vcc_lo, exec_lo, s1
	s_cbranch_vccnz .LBB6_1987
; %bb.1986:
	v_cndmask_b32_e64 v2, 0, 1.0, s0
	s_delay_alu instid0(VALU_DEP_1) | instskip(NEXT) | instid1(VALU_DEP_1)
	v_cvt_f16_f32_e32 v2, v2
	v_and_b32_e32 v2, 0xffff, v2
	global_store_b32 v[0:1], v2, off
.LBB6_1987:
	s_mov_b32 s1, 0
.LBB6_1988:
	s_delay_alu instid0(SALU_CYCLE_1)
	s_and_not1_b32 vcc_lo, exec_lo, s1
	s_cbranch_vccnz .LBB6_1997
; %bb.1989:
	v_cmp_gt_i16_e32 vcc_lo, 6, v5
	s_mov_b32 s1, -1
	s_cbranch_vccnz .LBB6_1995
; %bb.1990:
	v_cmp_lt_i16_e32 vcc_lo, 6, v5
	s_cbranch_vccz .LBB6_1992
; %bb.1991:
	v_cndmask_b32_e64 v2, 0, 1, s0
	s_mov_b32 s1, 0
	s_delay_alu instid0(VALU_DEP_1)
	v_cvt_f64_u32_e32 v[2:3], v2
	global_store_b64 v[0:1], v[2:3], off
.LBB6_1992:
	s_and_not1_b32 vcc_lo, exec_lo, s1
	s_cbranch_vccnz .LBB6_1994
; %bb.1993:
	v_cndmask_b32_e64 v2, 0, 1.0, s0
	global_store_b32 v[0:1], v2, off
.LBB6_1994:
	s_mov_b32 s1, 0
.LBB6_1995:
	s_delay_alu instid0(SALU_CYCLE_1)
	s_and_not1_b32 vcc_lo, exec_lo, s1
	s_cbranch_vccnz .LBB6_1997
; %bb.1996:
	v_cndmask_b32_e64 v2, 0, 1.0, s0
	s_delay_alu instid0(VALU_DEP_1)
	v_cvt_f16_f32_e32 v2, v2
	global_store_b16 v[0:1], v2, off
.LBB6_1997:
	s_mov_b32 s1, 0
.LBB6_1998:
	s_delay_alu instid0(SALU_CYCLE_1)
	s_and_not1_b32 vcc_lo, exec_lo, s1
	s_cbranch_vccnz .LBB6_2014
; %bb.1999:
	v_cmp_gt_i16_e32 vcc_lo, 2, v5
	s_mov_b32 s1, -1
	s_cbranch_vccnz .LBB6_2009
; %bb.2000:
	v_cmp_gt_i16_e32 vcc_lo, 3, v5
	s_cbranch_vccnz .LBB6_2006
; %bb.2001:
	v_cmp_lt_i16_e32 vcc_lo, 3, v5
	s_cbranch_vccz .LBB6_2003
; %bb.2002:
	s_mov_b32 s1, 0
	v_cndmask_b32_e64 v2, 0, 1, s0
	v_mov_b32_e32 v3, s1
	global_store_b64 v[0:1], v[2:3], off
.LBB6_2003:
	s_and_not1_b32 vcc_lo, exec_lo, s1
	s_cbranch_vccnz .LBB6_2005
; %bb.2004:
	v_cndmask_b32_e64 v2, 0, 1, s0
	global_store_b32 v[0:1], v2, off
.LBB6_2005:
	s_mov_b32 s1, 0
.LBB6_2006:
	s_delay_alu instid0(SALU_CYCLE_1)
	s_and_not1_b32 vcc_lo, exec_lo, s1
	s_cbranch_vccnz .LBB6_2008
; %bb.2007:
	v_cndmask_b32_e64 v2, 0, 1, s0
	global_store_b16 v[0:1], v2, off
.LBB6_2008:
	s_mov_b32 s1, 0
.LBB6_2009:
	s_delay_alu instid0(SALU_CYCLE_1)
	s_and_not1_b32 vcc_lo, exec_lo, s1
	s_cbranch_vccnz .LBB6_2014
; %bb.2010:
	v_cmp_lt_i16_e32 vcc_lo, 0, v5
	v_cndmask_b32_e64 v2, 0, 1, s0
	s_mov_b32 s0, -1
	s_cbranch_vccz .LBB6_2012
; %bb.2011:
	s_mov_b32 s0, 0
	global_store_b8 v[0:1], v2, off
.LBB6_2012:
	s_and_not1_b32 vcc_lo, exec_lo, s0
	s_cbranch_vccnz .LBB6_2014
; %bb.2013:
	global_store_b8 v[0:1], v2, off
	s_nop 0
	s_sendmsg sendmsg(MSG_DEALLOC_VGPRS)
	s_endpgm
.LBB6_2014:
	s_nop 0
	s_sendmsg sendmsg(MSG_DEALLOC_VGPRS)
	s_endpgm
.LBB6_2015:
	s_cbranch_execnz .LBB6_2019
; %bb.2016:
	s_mov_b32 s12, 0
	s_and_not1_b32 s6, s6, exec_lo
	s_or_b32 s1, s1, exec_lo
	s_cbranch_execz .LBB6_1488
	s_branch .LBB6_1489
.LBB6_2017:
	s_or_saveexec_b32 s14, s14
                                        ; implicit-def: $sgpr15
	s_delay_alu instid0(SALU_CYCLE_1)
	s_xor_b32 exec_lo, exec_lo, s14
	s_cbranch_execz .LBB6_1568
.LBB6_2018:
	v_add_f32_e32 v2, 0x46000000, v4
	s_and_not1_b32 s13, s13, exec_lo
	s_mov_b32 s15, 0
	s_delay_alu instid0(VALU_DEP_1) | instskip(NEXT) | instid1(VALU_DEP_1)
	v_and_b32_e32 v2, 0xff, v2
	v_cmp_ne_u32_e32 vcc_lo, 0, v2
	s_and_b32 s16, vcc_lo, exec_lo
	s_delay_alu instid0(SALU_CYCLE_1)
	s_or_b32 s13, s13, s16
	s_or_b32 exec_lo, exec_lo, s14
	v_mov_b32_e32 v6, s15
	s_and_saveexec_b32 s14, s13
	s_cbranch_execnz .LBB6_1569
	s_branch .LBB6_1570
.LBB6_2019:
	s_trap 2
	s_sendmsg_rtn_b32 s0, sendmsg(MSG_RTN_GET_DOORBELL)
	s_mov_b32 ttmp2, m0
	s_waitcnt lgkmcnt(0)
	s_and_b32 s0, s0, 0x3ff
	s_delay_alu instid0(SALU_CYCLE_1) | instskip(NEXT) | instid1(SALU_CYCLE_1)
	s_bitset1_b32 s0, 10
	s_mov_b32 m0, s0
	s_sendmsg sendmsg(MSG_INTERRUPT)
	s_mov_b32 m0, ttmp2
.LBB6_2020:                             ; =>This Inner Loop Header: Depth=1
	s_sethalt 5
	s_branch .LBB6_2020
.LBB6_2021:
	s_cbranch_execnz .LBB6_2027
; %bb.2022:
	s_or_b32 s1, s1, exec_lo
	s_cbranch_execz .LBB6_1616
	s_branch .LBB6_1617
.LBB6_2023:
	s_or_saveexec_b32 s13, s13
                                        ; implicit-def: $sgpr14
	s_delay_alu instid0(SALU_CYCLE_1)
	s_xor_b32 exec_lo, exec_lo, s13
	s_cbranch_execz .LBB6_1581
.LBB6_2024:
	v_add_f32_e32 v2, 0x42800000, v4
	s_and_not1_b32 s12, s12, exec_lo
	s_mov_b32 s14, 0
	s_delay_alu instid0(VALU_DEP_1) | instskip(NEXT) | instid1(VALU_DEP_1)
	v_and_b32_e32 v2, 0xff, v2
	v_cmp_ne_u32_e32 vcc_lo, 0, v2
	s_and_b32 s15, vcc_lo, exec_lo
	s_delay_alu instid0(SALU_CYCLE_1)
	s_or_b32 s12, s12, s15
	s_or_b32 exec_lo, exec_lo, s13
	v_mov_b32_e32 v6, s14
	s_and_saveexec_b32 s13, s12
	s_cbranch_execnz .LBB6_1582
	s_branch .LBB6_1583
.LBB6_2025:
	s_or_saveexec_b32 s13, s13
                                        ; implicit-def: $sgpr14
	s_delay_alu instid0(SALU_CYCLE_1)
	s_xor_b32 exec_lo, exec_lo, s13
	s_cbranch_execz .LBB6_1686
.LBB6_2026:
	v_add_f32_e32 v3, 0x46000000, v4
	s_and_not1_b32 s12, s12, exec_lo
	s_mov_b32 s14, 0
	s_delay_alu instid0(VALU_DEP_1) | instskip(NEXT) | instid1(VALU_DEP_1)
	v_and_b32_e32 v3, 0xff, v3
	v_cmp_ne_u32_e32 vcc_lo, 0, v3
	s_and_b32 s15, vcc_lo, exec_lo
	s_delay_alu instid0(SALU_CYCLE_1)
	s_or_b32 s12, s12, s15
	s_or_b32 exec_lo, exec_lo, s13
	v_mov_b32_e32 v6, s14
	s_and_saveexec_b32 s13, s12
	s_cbranch_execnz .LBB6_1687
	s_branch .LBB6_1688
.LBB6_2027:
	s_trap 2
	s_sendmsg_rtn_b32 s0, sendmsg(MSG_RTN_GET_DOORBELL)
	s_mov_b32 ttmp2, m0
	s_waitcnt lgkmcnt(0)
	s_and_b32 s0, s0, 0x3ff
	s_delay_alu instid0(SALU_CYCLE_1) | instskip(NEXT) | instid1(SALU_CYCLE_1)
	s_bitset1_b32 s0, 10
	s_mov_b32 m0, s0
	s_sendmsg sendmsg(MSG_INTERRUPT)
	s_mov_b32 m0, ttmp2
.LBB6_2028:                             ; =>This Inner Loop Header: Depth=1
	s_sethalt 5
	s_branch .LBB6_2028
.LBB6_2029:
	s_cbranch_execnz .LBB6_2035
; %bb.2030:
	s_or_b32 s1, s1, exec_lo
	s_cbranch_execz .LBB6_1734
	s_branch .LBB6_1735
.LBB6_2031:
	s_or_saveexec_b32 s12, s12
                                        ; implicit-def: $sgpr13
	s_delay_alu instid0(SALU_CYCLE_1)
	s_xor_b32 exec_lo, exec_lo, s12
	s_cbranch_execz .LBB6_1699
.LBB6_2032:
	v_add_f32_e32 v3, 0x42800000, v4
	s_and_not1_b32 s10, s10, exec_lo
	s_mov_b32 s13, 0
	s_delay_alu instid0(VALU_DEP_1) | instskip(NEXT) | instid1(VALU_DEP_1)
	v_and_b32_e32 v3, 0xff, v3
	v_cmp_ne_u32_e32 vcc_lo, 0, v3
	s_and_b32 s14, vcc_lo, exec_lo
	s_delay_alu instid0(SALU_CYCLE_1)
	s_or_b32 s10, s10, s14
	s_or_b32 exec_lo, exec_lo, s12
	v_mov_b32_e32 v6, s13
	s_and_saveexec_b32 s12, s10
	s_cbranch_execnz .LBB6_1700
	s_branch .LBB6_1701
.LBB6_2033:
	s_or_saveexec_b32 s12, s12
                                        ; implicit-def: $sgpr13
	s_delay_alu instid0(SALU_CYCLE_1)
	s_xor_b32 exec_lo, exec_lo, s12
	s_cbranch_execz .LBB6_1804
.LBB6_2034:
	v_add_f32_e32 v3, 0x46000000, v4
	s_and_not1_b32 s11, s11, exec_lo
	s_mov_b32 s13, 0
	s_delay_alu instid0(VALU_DEP_1) | instskip(NEXT) | instid1(VALU_DEP_1)
	v_and_b32_e32 v3, 0xff, v3
	v_cmp_ne_u32_e32 vcc_lo, 0, v3
	s_and_b32 s14, vcc_lo, exec_lo
	s_delay_alu instid0(SALU_CYCLE_1)
	s_or_b32 s11, s11, s14
	s_or_b32 exec_lo, exec_lo, s12
	v_mov_b32_e32 v6, s13
	s_and_saveexec_b32 s12, s11
	s_cbranch_execnz .LBB6_1805
	s_branch .LBB6_1806
.LBB6_2035:
	s_trap 2
	s_sendmsg_rtn_b32 s0, sendmsg(MSG_RTN_GET_DOORBELL)
	s_mov_b32 ttmp2, m0
	s_waitcnt lgkmcnt(0)
	s_and_b32 s0, s0, 0x3ff
	s_delay_alu instid0(SALU_CYCLE_1) | instskip(NEXT) | instid1(SALU_CYCLE_1)
	s_bitset1_b32 s0, 10
	s_mov_b32 m0, s0
	s_sendmsg sendmsg(MSG_INTERRUPT)
	s_mov_b32 m0, ttmp2
.LBB6_2036:                             ; =>This Inner Loop Header: Depth=1
	s_sethalt 5
	s_branch .LBB6_2036
.LBB6_2037:
	s_cbranch_execnz .LBB6_2043
; %bb.2038:
	s_or_b32 s1, s1, exec_lo
	s_cbranch_execz .LBB6_1852
	s_branch .LBB6_1853
.LBB6_2039:
	s_or_saveexec_b32 s11, s11
                                        ; implicit-def: $sgpr12
	s_delay_alu instid0(SALU_CYCLE_1)
	s_xor_b32 exec_lo, exec_lo, s11
	s_cbranch_execz .LBB6_1817
.LBB6_2040:
	v_add_f32_e32 v3, 0x42800000, v4
	s_and_not1_b32 s10, s10, exec_lo
	s_mov_b32 s12, 0
	s_delay_alu instid0(VALU_DEP_1) | instskip(NEXT) | instid1(VALU_DEP_1)
	v_and_b32_e32 v3, 0xff, v3
	v_cmp_ne_u32_e32 vcc_lo, 0, v3
	s_and_b32 s13, vcc_lo, exec_lo
	s_delay_alu instid0(SALU_CYCLE_1)
	s_or_b32 s10, s10, s13
	s_or_b32 exec_lo, exec_lo, s11
	v_mov_b32_e32 v6, s12
	s_and_saveexec_b32 s11, s10
	s_cbranch_execnz .LBB6_1818
	s_branch .LBB6_1819
.LBB6_2041:
	s_or_saveexec_b32 s6, s6
                                        ; implicit-def: $sgpr7
	s_delay_alu instid0(SALU_CYCLE_1)
	s_xor_b32 exec_lo, exec_lo, s6
	s_cbranch_execz .LBB6_1923
.LBB6_2042:
	v_add_f32_e32 v2, 0x46000000, v3
	s_and_not1_b32 s5, s5, exec_lo
	s_mov_b32 s7, 0
	s_delay_alu instid0(VALU_DEP_1) | instskip(NEXT) | instid1(VALU_DEP_1)
	v_and_b32_e32 v2, 0xff, v2
	v_cmp_ne_u32_e32 vcc_lo, 0, v2
	s_and_b32 s10, vcc_lo, exec_lo
	s_delay_alu instid0(SALU_CYCLE_1)
	s_or_b32 s5, s5, s10
	s_or_b32 exec_lo, exec_lo, s6
	v_mov_b32_e32 v4, s7
	s_and_saveexec_b32 s6, s5
	s_cbranch_execnz .LBB6_1924
	s_branch .LBB6_1925
.LBB6_2043:
	s_trap 2
	s_sendmsg_rtn_b32 s0, sendmsg(MSG_RTN_GET_DOORBELL)
	s_mov_b32 ttmp2, m0
	s_waitcnt lgkmcnt(0)
	s_and_b32 s0, s0, 0x3ff
	s_delay_alu instid0(SALU_CYCLE_1) | instskip(NEXT) | instid1(SALU_CYCLE_1)
	s_bitset1_b32 s0, 10
	s_mov_b32 m0, s0
	s_sendmsg sendmsg(MSG_INTERRUPT)
	s_mov_b32 m0, ttmp2
.LBB6_2044:                             ; =>This Inner Loop Header: Depth=1
	s_sethalt 5
	s_branch .LBB6_2044
.LBB6_2045:
	s_cbranch_execnz .LBB6_2049
; %bb.2046:
	s_mov_b32 s3, 0
	s_or_b32 s1, s1, exec_lo
	s_branch .LBB6_1969
.LBB6_2047:
	s_or_saveexec_b32 s5, s5
                                        ; implicit-def: $sgpr6
	s_delay_alu instid0(SALU_CYCLE_1)
	s_xor_b32 exec_lo, exec_lo, s5
	s_cbranch_execz .LBB6_1935
.LBB6_2048:
	v_add_f32_e32 v2, 0x42800000, v3
	s_and_not1_b32 s4, s4, exec_lo
	s_mov_b32 s6, 0
	s_delay_alu instid0(VALU_DEP_1) | instskip(NEXT) | instid1(VALU_DEP_1)
	v_and_b32_e32 v2, 0xff, v2
	v_cmp_ne_u32_e32 vcc_lo, 0, v2
	s_and_b32 s7, vcc_lo, exec_lo
	s_delay_alu instid0(SALU_CYCLE_1)
	s_or_b32 s4, s4, s7
	s_or_b32 exec_lo, exec_lo, s5
	v_mov_b32_e32 v4, s6
	s_and_saveexec_b32 s5, s4
	s_cbranch_execnz .LBB6_1936
	s_branch .LBB6_1937
.LBB6_2049:
	s_trap 2
	s_sendmsg_rtn_b32 s0, sendmsg(MSG_RTN_GET_DOORBELL)
	s_mov_b32 ttmp2, m0
	s_waitcnt lgkmcnt(0)
	s_and_b32 s0, s0, 0x3ff
	s_delay_alu instid0(SALU_CYCLE_1) | instskip(NEXT) | instid1(SALU_CYCLE_1)
	s_bitset1_b32 s0, 10
	s_mov_b32 m0, s0
	s_sendmsg sendmsg(MSG_INTERRUPT)
	s_mov_b32 m0, ttmp2
.LBB6_2050:                             ; =>This Inner Loop Header: Depth=1
	s_sethalt 5
	s_branch .LBB6_2050
	.section	.rodata,"a",@progbits
	.p2align	6, 0x0
	.amdhsa_kernel _ZN2at6native32elementwise_kernel_manual_unrollILi128ELi4EZNS0_15gpu_kernel_implIZNS0_23bitwise_not_kernel_cudaERNS_18TensorIteratorBaseEEUlbE_EEvS4_RKT_EUlibE_EEviT1_
		.amdhsa_group_segment_fixed_size 0
		.amdhsa_private_segment_fixed_size 0
		.amdhsa_kernarg_size 40
		.amdhsa_user_sgpr_count 15
		.amdhsa_user_sgpr_dispatch_ptr 0
		.amdhsa_user_sgpr_queue_ptr 0
		.amdhsa_user_sgpr_kernarg_segment_ptr 1
		.amdhsa_user_sgpr_dispatch_id 0
		.amdhsa_user_sgpr_private_segment_size 0
		.amdhsa_wavefront_size32 1
		.amdhsa_uses_dynamic_stack 0
		.amdhsa_enable_private_segment 0
		.amdhsa_system_sgpr_workgroup_id_x 1
		.amdhsa_system_sgpr_workgroup_id_y 0
		.amdhsa_system_sgpr_workgroup_id_z 0
		.amdhsa_system_sgpr_workgroup_info 0
		.amdhsa_system_vgpr_workitem_id 0
		.amdhsa_next_free_vgpr 10
		.amdhsa_next_free_sgpr 25
		.amdhsa_reserve_vcc 1
		.amdhsa_float_round_mode_32 0
		.amdhsa_float_round_mode_16_64 0
		.amdhsa_float_denorm_mode_32 3
		.amdhsa_float_denorm_mode_16_64 3
		.amdhsa_dx10_clamp 1
		.amdhsa_ieee_mode 1
		.amdhsa_fp16_overflow 0
		.amdhsa_workgroup_processor_mode 1
		.amdhsa_memory_ordered 1
		.amdhsa_forward_progress 0
		.amdhsa_shared_vgpr_count 0
		.amdhsa_exception_fp_ieee_invalid_op 0
		.amdhsa_exception_fp_denorm_src 0
		.amdhsa_exception_fp_ieee_div_zero 0
		.amdhsa_exception_fp_ieee_overflow 0
		.amdhsa_exception_fp_ieee_underflow 0
		.amdhsa_exception_fp_ieee_inexact 0
		.amdhsa_exception_int_div_zero 0
	.end_amdhsa_kernel
	.section	.text._ZN2at6native32elementwise_kernel_manual_unrollILi128ELi4EZNS0_15gpu_kernel_implIZNS0_23bitwise_not_kernel_cudaERNS_18TensorIteratorBaseEEUlbE_EEvS4_RKT_EUlibE_EEviT1_,"axG",@progbits,_ZN2at6native32elementwise_kernel_manual_unrollILi128ELi4EZNS0_15gpu_kernel_implIZNS0_23bitwise_not_kernel_cudaERNS_18TensorIteratorBaseEEUlbE_EEvS4_RKT_EUlibE_EEviT1_,comdat
.Lfunc_end6:
	.size	_ZN2at6native32elementwise_kernel_manual_unrollILi128ELi4EZNS0_15gpu_kernel_implIZNS0_23bitwise_not_kernel_cudaERNS_18TensorIteratorBaseEEUlbE_EEvS4_RKT_EUlibE_EEviT1_, .Lfunc_end6-_ZN2at6native32elementwise_kernel_manual_unrollILi128ELi4EZNS0_15gpu_kernel_implIZNS0_23bitwise_not_kernel_cudaERNS_18TensorIteratorBaseEEUlbE_EEvS4_RKT_EUlibE_EEviT1_
                                        ; -- End function
	.section	.AMDGPU.csdata,"",@progbits
; Kernel info:
; codeLenInByte = 34320
; NumSgprs: 27
; NumVgprs: 10
; ScratchSize: 0
; MemoryBound: 1
; FloatMode: 240
; IeeeMode: 1
; LDSByteSize: 0 bytes/workgroup (compile time only)
; SGPRBlocks: 3
; VGPRBlocks: 1
; NumSGPRsForWavesPerEU: 27
; NumVGPRsForWavesPerEU: 10
; Occupancy: 16
; WaveLimiterHint : 0
; COMPUTE_PGM_RSRC2:SCRATCH_EN: 0
; COMPUTE_PGM_RSRC2:USER_SGPR: 15
; COMPUTE_PGM_RSRC2:TRAP_HANDLER: 0
; COMPUTE_PGM_RSRC2:TGID_X_EN: 1
; COMPUTE_PGM_RSRC2:TGID_Y_EN: 0
; COMPUTE_PGM_RSRC2:TGID_Z_EN: 0
; COMPUTE_PGM_RSRC2:TIDIG_COMP_CNT: 0
	.section	.text._ZN2at6native32elementwise_kernel_manual_unrollILi128ELi4EZNS0_15gpu_kernel_implIZNS0_23bitwise_not_kernel_cudaERNS_18TensorIteratorBaseEEUlbE_EEvS4_RKT_EUlibE0_EEviT1_,"axG",@progbits,_ZN2at6native32elementwise_kernel_manual_unrollILi128ELi4EZNS0_15gpu_kernel_implIZNS0_23bitwise_not_kernel_cudaERNS_18TensorIteratorBaseEEUlbE_EEvS4_RKT_EUlibE0_EEviT1_,comdat
	.globl	_ZN2at6native32elementwise_kernel_manual_unrollILi128ELi4EZNS0_15gpu_kernel_implIZNS0_23bitwise_not_kernel_cudaERNS_18TensorIteratorBaseEEUlbE_EEvS4_RKT_EUlibE0_EEviT1_ ; -- Begin function _ZN2at6native32elementwise_kernel_manual_unrollILi128ELi4EZNS0_15gpu_kernel_implIZNS0_23bitwise_not_kernel_cudaERNS_18TensorIteratorBaseEEUlbE_EEvS4_RKT_EUlibE0_EEviT1_
	.p2align	8
	.type	_ZN2at6native32elementwise_kernel_manual_unrollILi128ELi4EZNS0_15gpu_kernel_implIZNS0_23bitwise_not_kernel_cudaERNS_18TensorIteratorBaseEEUlbE_EEvS4_RKT_EUlibE0_EEviT1_,@function
_ZN2at6native32elementwise_kernel_manual_unrollILi128ELi4EZNS0_15gpu_kernel_implIZNS0_23bitwise_not_kernel_cudaERNS_18TensorIteratorBaseEEUlbE_EEvS4_RKT_EUlibE0_EEviT1_: ; @_ZN2at6native32elementwise_kernel_manual_unrollILi128ELi4EZNS0_15gpu_kernel_implIZNS0_23bitwise_not_kernel_cudaERNS_18TensorIteratorBaseEEUlbE_EEvS4_RKT_EUlibE0_EEviT1_
; %bb.0:
	s_clause 0x1
	s_load_b32 s24, s[0:1], 0x8
	s_load_b32 s30, s[0:1], 0x0
	v_lshl_or_b32 v5, s15, 9, v0
	s_or_b32 s16, s0, 8
	s_mov_b32 s3, -1
	s_mov_b32 s26, 0
	s_mov_b32 s17, s1
	v_or_b32_e32 v8, 0x180, v5
	s_mov_b32 s8, 0
	s_mov_b32 s2, exec_lo
	s_waitcnt lgkmcnt(0)
	s_add_i32 s25, s24, -1
	s_delay_alu instid0(SALU_CYCLE_1)
	s_cmp_gt_u32 s25, 1
	s_cselect_b32 s27, -1, 0
	v_cmpx_le_i32_e64 s30, v8
	s_xor_b32 s28, exec_lo, s2
	s_cbranch_execz .LBB7_1062
; %bb.1:
	v_mov_b32_e32 v0, 0
	s_clause 0x3
	s_load_b128 s[12:15], s[16:17], 0x4
	s_load_b64 s[18:19], s[16:17], 0x14
	s_load_b128 s[8:11], s[16:17], 0xc4
	s_load_b128 s[4:7], s[16:17], 0x148
	s_cmp_lg_u32 s24, 0
	s_mov_b32 s37, 0
	s_cselect_b32 s33, -1, 0
	global_load_u16 v3, v0, s[16:17] offset:345
	s_add_u32 s20, s16, 0xc4
	s_addc_u32 s21, s17, 0
	s_min_u32 s31, s25, 15
	s_cmp_gt_u32 s24, 1
	s_mov_b32 s35, 0
	s_cselect_b32 s29, -1, 0
	s_mov_b32 s34, 0
	s_mov_b32 s36, exec_lo
	s_waitcnt vmcnt(0)
	v_lshrrev_b16 v4, 8, v3
	v_cmpx_gt_i32_e64 s30, v5
	s_cbranch_execz .LBB7_255
; %bb.2:
	s_and_not1_b32 vcc_lo, exec_lo, s27
	s_cbranch_vccnz .LBB7_7
; %bb.3:
	v_dual_mov_b32 v0, 0 :: v_dual_mov_b32 v1, 0
	s_and_not1_b32 vcc_lo, exec_lo, s33
	s_cbranch_vccnz .LBB7_12
; %bb.4:
	v_mov_b32_e32 v0, 0
	s_add_i32 s38, s31, 1
	s_cmp_eq_u32 s25, 2
	s_cbranch_scc1 .LBB7_8
; %bb.5:
	v_dual_mov_b32 v1, 0 :: v_dual_mov_b32 v0, 0
	v_mov_b32_e32 v2, v5
	s_and_b32 s35, s38, 28
	s_mov_b32 s39, 0
	s_mov_b64 s[2:3], s[20:21]
	s_mov_b64 s[22:23], s[16:17]
.LBB7_6:                                ; =>This Inner Loop Header: Depth=1
	s_clause 0x1
	s_load_b256 s[40:47], s[22:23], 0x4
	s_load_b128 s[56:59], s[22:23], 0x24
	s_load_b256 s[48:55], s[2:3], 0x0
	s_add_u32 s22, s22, 48
	s_addc_u32 s23, s23, 0
	s_add_i32 s39, s39, 4
	s_add_u32 s2, s2, 32
	s_addc_u32 s3, s3, 0
	s_cmp_lg_u32 s35, s39
	s_waitcnt lgkmcnt(0)
	v_mul_hi_u32 v6, s41, v2
	s_delay_alu instid0(VALU_DEP_1) | instskip(NEXT) | instid1(VALU_DEP_1)
	v_add_nc_u32_e32 v6, v2, v6
	v_lshrrev_b32_e32 v6, s42, v6
	s_delay_alu instid0(VALU_DEP_1) | instskip(SKIP_1) | instid1(VALU_DEP_2)
	v_mul_hi_u32 v7, s44, v6
	v_mul_lo_u32 v9, v6, s40
	v_add_nc_u32_e32 v7, v6, v7
	s_delay_alu instid0(VALU_DEP_2) | instskip(NEXT) | instid1(VALU_DEP_2)
	v_sub_nc_u32_e32 v2, v2, v9
	v_lshrrev_b32_e32 v7, s45, v7
	s_delay_alu instid0(VALU_DEP_2) | instskip(SKIP_1) | instid1(VALU_DEP_3)
	v_mul_lo_u32 v9, v2, s48
	v_mul_lo_u32 v11, v2, s49
	v_mul_hi_u32 v8, s47, v7
	s_delay_alu instid0(VALU_DEP_1) | instskip(NEXT) | instid1(VALU_DEP_1)
	v_add_nc_u32_e32 v8, v7, v8
	v_lshrrev_b32_e32 v8, s56, v8
	s_delay_alu instid0(VALU_DEP_1) | instskip(SKIP_1) | instid1(VALU_DEP_2)
	v_mul_hi_u32 v10, s58, v8
	v_mul_lo_u32 v12, v8, s46
	v_add_nc_u32_e32 v2, v8, v10
	v_mul_lo_u32 v10, v7, s43
	s_delay_alu instid0(VALU_DEP_3) | instskip(NEXT) | instid1(VALU_DEP_3)
	v_sub_nc_u32_e32 v7, v7, v12
	v_lshrrev_b32_e32 v2, s59, v2
	s_delay_alu instid0(VALU_DEP_2) | instskip(SKIP_2) | instid1(VALU_DEP_4)
	v_mul_lo_u32 v12, v7, s52
	v_mul_lo_u32 v7, v7, s53
	v_sub_nc_u32_e32 v6, v6, v10
	v_mul_lo_u32 v13, v2, s57
	s_delay_alu instid0(VALU_DEP_2) | instskip(SKIP_1) | instid1(VALU_DEP_3)
	v_mul_lo_u32 v10, v6, s50
	v_mul_lo_u32 v6, v6, s51
	v_sub_nc_u32_e32 v8, v8, v13
	s_delay_alu instid0(VALU_DEP_3) | instskip(NEXT) | instid1(VALU_DEP_2)
	v_add3_u32 v0, v9, v0, v10
	v_mul_lo_u32 v13, v8, s54
	v_mul_lo_u32 v8, v8, s55
	v_add3_u32 v1, v11, v1, v6
	s_delay_alu instid0(VALU_DEP_3) | instskip(NEXT) | instid1(VALU_DEP_2)
	v_add3_u32 v0, v12, v0, v13
	v_add3_u32 v1, v7, v1, v8
	s_cbranch_scc1 .LBB7_6
	s_branch .LBB7_9
.LBB7_7:
	s_mov_b32 s34, -1
                                        ; implicit-def: $vgpr0
                                        ; implicit-def: $vgpr1
	s_branch .LBB7_12
.LBB7_8:
	v_dual_mov_b32 v2, v5 :: v_dual_mov_b32 v1, 0
.LBB7_9:
	s_and_b32 s38, s38, 3
	s_delay_alu instid0(SALU_CYCLE_1)
	s_cmp_eq_u32 s38, 0
	s_cbranch_scc1 .LBB7_12
; %bb.10:
	s_lshl_b32 s2, s35, 3
	s_mul_i32 s22, s35, 12
	s_add_u32 s2, s2, s16
	s_addc_u32 s3, s17, 0
	s_add_u32 s2, s2, 0xc4
	s_addc_u32 s3, s3, 0
	;; [unrolled: 2-line block ×3, first 2 shown]
	.p2align	6
.LBB7_11:                               ; =>This Inner Loop Header: Depth=1
	s_clause 0x1
	s_load_b64 s[40:41], s[22:23], 0x4
	s_load_b32 s35, s[22:23], 0xc
	s_load_b64 s[42:43], s[2:3], 0x0
	s_add_u32 s22, s22, 12
	s_addc_u32 s23, s23, 0
	s_add_u32 s2, s2, 8
	s_addc_u32 s3, s3, 0
	s_add_i32 s38, s38, -1
	s_delay_alu instid0(SALU_CYCLE_1) | instskip(SKIP_2) | instid1(VALU_DEP_1)
	s_cmp_lg_u32 s38, 0
	s_waitcnt lgkmcnt(0)
	v_mul_hi_u32 v6, s41, v2
	v_add_nc_u32_e32 v6, v2, v6
	s_delay_alu instid0(VALU_DEP_1) | instskip(NEXT) | instid1(VALU_DEP_1)
	v_lshrrev_b32_e32 v9, s35, v6
	v_mul_lo_u32 v6, v9, s40
	s_delay_alu instid0(VALU_DEP_1) | instskip(NEXT) | instid1(VALU_DEP_1)
	v_sub_nc_u32_e32 v2, v2, v6
	v_mad_u64_u32 v[6:7], null, v2, s42, v[0:1]
	v_mad_u64_u32 v[7:8], null, v2, s43, v[1:2]
	v_mov_b32_e32 v2, v9
	s_delay_alu instid0(VALU_DEP_2)
	v_dual_mov_b32 v0, v6 :: v_dual_mov_b32 v1, v7
	s_cbranch_scc1 .LBB7_11
.LBB7_12:
	s_and_not1_b32 vcc_lo, exec_lo, s34
	s_cbranch_vccnz .LBB7_15
; %bb.13:
	s_waitcnt lgkmcnt(0)
	v_mul_hi_u32 v0, s13, v5
	s_and_not1_b32 vcc_lo, exec_lo, s29
	s_delay_alu instid0(VALU_DEP_1) | instskip(NEXT) | instid1(VALU_DEP_1)
	v_add_nc_u32_e32 v0, v5, v0
	v_lshrrev_b32_e32 v2, s14, v0
	s_delay_alu instid0(VALU_DEP_1) | instskip(NEXT) | instid1(VALU_DEP_1)
	v_mul_lo_u32 v0, v2, s12
	v_sub_nc_u32_e32 v1, v5, v0
	s_delay_alu instid0(VALU_DEP_1)
	v_mul_lo_u32 v0, v1, s8
	v_mul_lo_u32 v1, v1, s9
	s_cbranch_vccnz .LBB7_15
; %bb.14:
	v_mul_hi_u32 v6, s18, v2
	s_delay_alu instid0(VALU_DEP_1) | instskip(NEXT) | instid1(VALU_DEP_1)
	v_add_nc_u32_e32 v6, v2, v6
	v_lshrrev_b32_e32 v6, s19, v6
	s_delay_alu instid0(VALU_DEP_1) | instskip(NEXT) | instid1(VALU_DEP_1)
	v_mul_lo_u32 v6, v6, s15
	v_sub_nc_u32_e32 v2, v2, v6
	s_delay_alu instid0(VALU_DEP_1) | instskip(SKIP_1) | instid1(VALU_DEP_1)
	v_mad_u64_u32 v[6:7], null, v2, s10, v[0:1]
	v_mad_u64_u32 v[7:8], null, v2, s11, v[1:2]
	v_dual_mov_b32 v0, v6 :: v_dual_mov_b32 v1, v7
.LBB7_15:
	v_cmp_gt_i16_e32 vcc_lo, 11, v4
	s_waitcnt lgkmcnt(0)
	s_delay_alu instid0(VALU_DEP_2) | instskip(NEXT) | instid1(VALU_DEP_1)
	v_add_co_u32 v1, s2, s6, v1
	v_add_co_ci_u32_e64 v2, null, s7, 0, s2
	s_mov_b32 s3, 0
	s_cbranch_vccnz .LBB7_22
; %bb.16:
	v_cmp_lt_i16_e32 vcc_lo, 25, v4
	s_cbranch_vccz .LBB7_27
; %bb.17:
	v_cmp_lt_i16_e32 vcc_lo, 28, v4
	s_cbranch_vccz .LBB7_142
; %bb.18:
	v_cmp_lt_i16_e32 vcc_lo, 43, v4
	s_cbranch_vccz .LBB7_143
; %bb.19:
	v_cmp_lt_i16_e32 vcc_lo, 45, v4
	s_cbranch_vccz .LBB7_144
; %bb.20:
	v_cmp_eq_u16_e32 vcc_lo, 46, v4
	s_mov_b32 s23, 0
	s_cbranch_vccz .LBB7_145
; %bb.21:
	global_load_b32 v6, v[1:2], off
	s_mov_b32 s2, -1
	s_waitcnt vmcnt(0)
	v_and_b32_e32 v6, 0x7fff7fff, v6
	s_delay_alu instid0(VALU_DEP_1)
	v_cmp_ne_u32_e32 vcc_lo, 0, v6
	s_and_b32 s22, vcc_lo, exec_lo
	s_branch .LBB7_147
.LBB7_22:
	s_mov_b32 s2, 0
                                        ; implicit-def: $sgpr22
	s_cbranch_execnz .LBB7_205
.LBB7_23:
	s_and_not1_b32 vcc_lo, exec_lo, s2
	s_cbranch_vccnz .LBB7_252
.LBB7_24:
	v_and_b32_e32 v2, 0xff, v3
	s_xor_b32 s3, s22, -1
	v_add_co_u32 v0, s22, s4, v0
	s_delay_alu instid0(VALU_DEP_1) | instskip(NEXT) | instid1(VALU_DEP_3)
	v_add_co_ci_u32_e64 v1, null, s5, 0, s22
	v_cmp_gt_i16_e32 vcc_lo, 11, v2
	s_mov_b32 s23, -1
	s_mov_b32 s2, 0
	s_mov_b32 s22, 0
	s_cbranch_vccz .LBB7_28
; %bb.25:
	s_and_b32 vcc_lo, exec_lo, s23
	s_cbranch_vccnz .LBB7_103
.LBB7_26:
	s_and_not1_b32 vcc_lo, exec_lo, s22
	s_mov_b32 s3, 0
	s_cbranch_vccz .LBB7_141
	s_branch .LBB7_253
.LBB7_27:
	s_mov_b32 s2, 0
                                        ; implicit-def: $sgpr22
	s_cbranch_execnz .LBB7_172
	s_branch .LBB7_204
.LBB7_28:
	v_cmp_lt_i16_e32 vcc_lo, 25, v2
	s_cbranch_vccz .LBB7_61
; %bb.29:
	v_cmp_lt_i16_e32 vcc_lo, 28, v2
	s_cbranch_vccz .LBB7_44
; %bb.30:
	;; [unrolled: 3-line block ×4, first 2 shown]
	v_cmp_eq_u16_e32 vcc_lo, 46, v2
	s_mov_b32 s23, 0
	s_mov_b32 s2, -1
	s_cbranch_vccz .LBB7_34
; %bb.33:
	v_cndmask_b32_e64 v6, 0, 1.0, s3
	s_mov_b32 s22, -1
	s_mov_b32 s2, 0
	s_delay_alu instid0(VALU_DEP_1) | instskip(NEXT) | instid1(VALU_DEP_1)
	v_bfe_u32 v7, v6, 16, 1
	v_add3_u32 v6, v6, v7, 0x7fff
	s_delay_alu instid0(VALU_DEP_1)
	v_lshrrev_b32_e32 v6, 16, v6
	global_store_b32 v[0:1], v6, off
.LBB7_34:
	s_and_b32 vcc_lo, exec_lo, s23
	s_cbranch_vccz .LBB7_39
; %bb.35:
	v_cmp_eq_u16_e32 vcc_lo, 44, v2
	s_mov_b32 s2, -1
	s_cbranch_vccz .LBB7_39
; %bb.36:
	v_cndmask_b32_e64 v8, 0, 1.0, s3
	v_mov_b32_e32 v7, 0xff
	s_mov_b32 s22, exec_lo
	s_delay_alu instid0(VALU_DEP_2) | instskip(NEXT) | instid1(VALU_DEP_1)
	v_lshrrev_b32_e32 v6, 23, v8
	v_cmpx_ne_u32_e32 0xff, v6
; %bb.37:
	v_and_b32_e32 v7, 0x400000, v8
	v_and_or_b32 v8, 0x3fffff, v8, v6
	s_delay_alu instid0(VALU_DEP_2) | instskip(NEXT) | instid1(VALU_DEP_2)
	v_cmp_ne_u32_e32 vcc_lo, 0, v7
	v_cmp_ne_u32_e64 s2, 0, v8
	s_delay_alu instid0(VALU_DEP_1) | instskip(NEXT) | instid1(SALU_CYCLE_1)
	s_and_b32 s2, vcc_lo, s2
	v_cndmask_b32_e64 v7, 0, 1, s2
	s_delay_alu instid0(VALU_DEP_1)
	v_add_nc_u32_e32 v7, v6, v7
; %bb.38:
	s_or_b32 exec_lo, exec_lo, s22
	s_mov_b32 s22, -1
	s_mov_b32 s2, 0
	global_store_b8 v[0:1], v7, off
.LBB7_39:
	s_mov_b32 s23, 0
.LBB7_40:
	s_delay_alu instid0(SALU_CYCLE_1)
	s_and_b32 vcc_lo, exec_lo, s23
	s_cbranch_vccz .LBB7_43
; %bb.41:
	v_cmp_eq_u16_e32 vcc_lo, 29, v2
	s_mov_b32 s2, -1
	s_cbranch_vccz .LBB7_43
; %bb.42:
	s_mov_b32 s2, 0
	v_cndmask_b32_e64 v6, 0, 1, s3
	v_mov_b32_e32 v7, s2
	s_mov_b32 s22, -1
	global_store_b64 v[0:1], v[6:7], off
.LBB7_43:
	s_mov_b32 s23, 0
.LBB7_44:
	s_delay_alu instid0(SALU_CYCLE_1)
	s_and_b32 vcc_lo, exec_lo, s23
	s_cbranch_vccz .LBB7_60
; %bb.45:
	v_cmp_gt_i16_e32 vcc_lo, 27, v2
	s_mov_b32 s22, -1
	s_cbranch_vccnz .LBB7_51
; %bb.46:
	v_cmp_lt_i16_e32 vcc_lo, 27, v2
	s_cbranch_vccz .LBB7_48
; %bb.47:
	v_cndmask_b32_e64 v6, 0, 1, s3
	s_mov_b32 s22, 0
	global_store_b32 v[0:1], v6, off
.LBB7_48:
	s_and_not1_b32 vcc_lo, exec_lo, s22
	s_cbranch_vccnz .LBB7_50
; %bb.49:
	v_cndmask_b32_e64 v6, 0, 1, s3
	global_store_b16 v[0:1], v6, off
.LBB7_50:
	s_mov_b32 s22, 0
.LBB7_51:
	s_delay_alu instid0(SALU_CYCLE_1)
	s_and_not1_b32 vcc_lo, exec_lo, s22
	s_cbranch_vccnz .LBB7_59
; %bb.52:
	v_cndmask_b32_e64 v7, 0, 1.0, s3
	v_mov_b32_e32 v8, 0x80
	s_mov_b32 s22, exec_lo
	s_delay_alu instid0(VALU_DEP_2)
	v_cmpx_gt_u32_e32 0x43800000, v7
	s_cbranch_execz .LBB7_58
; %bb.53:
	s_mov_b32 s23, 0
	s_mov_b32 s34, exec_lo
                                        ; implicit-def: $vgpr6
	v_cmpx_lt_u32_e32 0x3bffffff, v7
	s_xor_b32 s34, exec_lo, s34
	s_cbranch_execnz .LBB7_300
; %bb.54:
	s_or_saveexec_b32 s34, s34
                                        ; implicit-def: $sgpr35
	s_delay_alu instid0(SALU_CYCLE_1)
	s_xor_b32 exec_lo, exec_lo, s34
	s_cbranch_execnz .LBB7_301
.LBB7_55:
	s_or_b32 exec_lo, exec_lo, s34
	v_mov_b32_e32 v8, s35
	s_and_saveexec_b32 s34, s23
.LBB7_56:
	v_mov_b32_e32 v8, v6
.LBB7_57:
	s_or_b32 exec_lo, exec_lo, s34
.LBB7_58:
	s_delay_alu instid0(SALU_CYCLE_1)
	s_or_b32 exec_lo, exec_lo, s22
	global_store_b8 v[0:1], v8, off
.LBB7_59:
	s_mov_b32 s22, -1
.LBB7_60:
	s_mov_b32 s23, 0
.LBB7_61:
	s_delay_alu instid0(SALU_CYCLE_1)
	s_and_b32 vcc_lo, exec_lo, s23
	s_cbranch_vccz .LBB7_102
; %bb.62:
	v_cmp_lt_i16_e32 vcc_lo, 22, v2
	s_mov_b32 s23, -1
	s_cbranch_vccz .LBB7_94
; %bb.63:
	v_cmp_gt_i16_e32 vcc_lo, 24, v2
	s_mov_b32 s22, -1
	s_cbranch_vccnz .LBB7_83
; %bb.64:
	v_cmp_lt_i16_e32 vcc_lo, 24, v2
	s_cbranch_vccz .LBB7_72
; %bb.65:
	v_cndmask_b32_e64 v7, 0, 1.0, s3
	v_mov_b32_e32 v8, 0x80
	s_mov_b32 s22, exec_lo
	s_delay_alu instid0(VALU_DEP_2)
	v_cmpx_gt_u32_e32 0x47800000, v7
	s_cbranch_execz .LBB7_71
; %bb.66:
	s_mov_b32 s23, 0
	s_mov_b32 s34, exec_lo
                                        ; implicit-def: $vgpr6
	v_cmpx_lt_u32_e32 0x37ffffff, v7
	s_xor_b32 s34, exec_lo, s34
	s_cbranch_execnz .LBB7_554
; %bb.67:
	s_or_saveexec_b32 s34, s34
                                        ; implicit-def: $sgpr35
	s_delay_alu instid0(SALU_CYCLE_1)
	s_xor_b32 exec_lo, exec_lo, s34
	s_cbranch_execnz .LBB7_555
.LBB7_68:
	s_or_b32 exec_lo, exec_lo, s34
	v_mov_b32_e32 v8, s35
	s_and_saveexec_b32 s34, s23
.LBB7_69:
	v_mov_b32_e32 v8, v6
.LBB7_70:
	s_or_b32 exec_lo, exec_lo, s34
.LBB7_71:
	s_delay_alu instid0(SALU_CYCLE_1)
	s_or_b32 exec_lo, exec_lo, s22
	s_mov_b32 s22, 0
	global_store_b8 v[0:1], v8, off
.LBB7_72:
	s_and_b32 vcc_lo, exec_lo, s22
	s_cbranch_vccz .LBB7_82
; %bb.73:
	v_cndmask_b32_e64 v7, 0, 1.0, s3
	s_mov_b32 s22, exec_lo
                                        ; implicit-def: $vgpr6
	s_delay_alu instid0(VALU_DEP_1)
	v_cmpx_gt_u32_e32 0x43f00000, v7
	s_xor_b32 s22, exec_lo, s22
	s_cbranch_execz .LBB7_79
; %bb.74:
	s_mov_b32 s23, exec_lo
                                        ; implicit-def: $vgpr6
	v_cmpx_lt_u32_e32 0x3c7fffff, v7
	s_xor_b32 s23, exec_lo, s23
; %bb.75:
	v_bfe_u32 v6, v7, 20, 1
	s_delay_alu instid0(VALU_DEP_1) | instskip(NEXT) | instid1(VALU_DEP_1)
	v_add3_u32 v6, v7, v6, 0x407ffff
	v_and_b32_e32 v7, 0xff00000, v6
	v_lshrrev_b32_e32 v6, 20, v6
	s_delay_alu instid0(VALU_DEP_2) | instskip(NEXT) | instid1(VALU_DEP_2)
	v_cmp_ne_u32_e32 vcc_lo, 0x7f00000, v7
                                        ; implicit-def: $vgpr7
	v_cndmask_b32_e32 v6, 0x7e, v6, vcc_lo
; %bb.76:
	s_and_not1_saveexec_b32 s23, s23
; %bb.77:
	v_add_f32_e32 v6, 0x46800000, v7
; %bb.78:
	s_or_b32 exec_lo, exec_lo, s23
                                        ; implicit-def: $vgpr7
.LBB7_79:
	s_and_not1_saveexec_b32 s22, s22
; %bb.80:
	v_mov_b32_e32 v6, 0x7f
	v_cmp_lt_u32_e32 vcc_lo, 0x7f800000, v7
	s_delay_alu instid0(VALU_DEP_2)
	v_cndmask_b32_e32 v6, 0x7e, v6, vcc_lo
; %bb.81:
	s_or_b32 exec_lo, exec_lo, s22
	global_store_b8 v[0:1], v6, off
.LBB7_82:
	s_mov_b32 s22, 0
.LBB7_83:
	s_delay_alu instid0(SALU_CYCLE_1)
	s_and_not1_b32 vcc_lo, exec_lo, s22
	s_cbranch_vccnz .LBB7_93
; %bb.84:
	v_cndmask_b32_e64 v7, 0, 1.0, s3
	s_mov_b32 s22, exec_lo
                                        ; implicit-def: $vgpr6
	s_delay_alu instid0(VALU_DEP_1)
	v_cmpx_gt_u32_e32 0x47800000, v7
	s_xor_b32 s22, exec_lo, s22
	s_cbranch_execz .LBB7_90
; %bb.85:
	s_mov_b32 s23, exec_lo
                                        ; implicit-def: $vgpr6
	v_cmpx_lt_u32_e32 0x387fffff, v7
	s_xor_b32 s23, exec_lo, s23
; %bb.86:
	v_bfe_u32 v6, v7, 21, 1
	s_delay_alu instid0(VALU_DEP_1) | instskip(NEXT) | instid1(VALU_DEP_1)
	v_add3_u32 v6, v7, v6, 0x80fffff
                                        ; implicit-def: $vgpr7
	v_lshrrev_b32_e32 v6, 21, v6
; %bb.87:
	s_and_not1_saveexec_b32 s23, s23
; %bb.88:
	v_add_f32_e32 v6, 0x43000000, v7
; %bb.89:
	s_or_b32 exec_lo, exec_lo, s23
                                        ; implicit-def: $vgpr7
.LBB7_90:
	s_and_not1_saveexec_b32 s22, s22
; %bb.91:
	v_mov_b32_e32 v6, 0x7f
	v_cmp_lt_u32_e32 vcc_lo, 0x7f800000, v7
	s_delay_alu instid0(VALU_DEP_2)
	v_cndmask_b32_e32 v6, 0x7c, v6, vcc_lo
; %bb.92:
	s_or_b32 exec_lo, exec_lo, s22
	global_store_b8 v[0:1], v6, off
.LBB7_93:
	s_mov_b32 s23, 0
	s_mov_b32 s22, -1
.LBB7_94:
	s_and_not1_b32 vcc_lo, exec_lo, s23
	s_cbranch_vccnz .LBB7_102
; %bb.95:
	v_cmp_lt_i16_e32 vcc_lo, 14, v2
	s_mov_b32 s23, -1
	s_cbranch_vccz .LBB7_99
; %bb.96:
	v_cmp_eq_u16_e32 vcc_lo, 15, v2
	s_mov_b32 s2, -1
	s_cbranch_vccz .LBB7_98
; %bb.97:
	v_cndmask_b32_e64 v6, 0, 1.0, s3
	s_mov_b32 s22, -1
	s_mov_b32 s2, 0
	s_delay_alu instid0(VALU_DEP_1) | instskip(NEXT) | instid1(VALU_DEP_1)
	v_bfe_u32 v7, v6, 16, 1
	v_add3_u32 v6, v6, v7, 0x7fff
	global_store_d16_hi_b16 v[0:1], v6, off
.LBB7_98:
	s_mov_b32 s23, 0
.LBB7_99:
	s_delay_alu instid0(SALU_CYCLE_1)
	s_and_b32 vcc_lo, exec_lo, s23
	s_cbranch_vccz .LBB7_102
; %bb.100:
	v_cmp_eq_u16_e32 vcc_lo, 11, v2
	s_mov_b32 s2, -1
	s_cbranch_vccz .LBB7_102
; %bb.101:
	v_cndmask_b32_e64 v6, 0, 1, s3
	s_mov_b32 s22, -1
	s_mov_b32 s2, 0
	global_store_b8 v[0:1], v6, off
.LBB7_102:
	s_branch .LBB7_26
.LBB7_103:
	v_cmp_gt_i16_e32 vcc_lo, 5, v2
	s_mov_b32 s22, -1
	s_cbranch_vccnz .LBB7_124
; %bb.104:
	v_cmp_gt_i16_e32 vcc_lo, 8, v2
	s_cbranch_vccnz .LBB7_114
; %bb.105:
	v_cmp_gt_i16_e32 vcc_lo, 9, v2
	s_cbranch_vccnz .LBB7_111
; %bb.106:
	v_cmp_lt_i16_e32 vcc_lo, 9, v2
	s_cbranch_vccz .LBB7_108
; %bb.107:
	v_cndmask_b32_e64 v6, 0, 1, s3
	v_mov_b32_e32 v8, 0
	s_mov_b32 s22, 0
	s_delay_alu instid0(VALU_DEP_2) | instskip(NEXT) | instid1(VALU_DEP_2)
	v_cvt_f64_u32_e32 v[6:7], v6
	v_mov_b32_e32 v9, v8
	global_store_b128 v[0:1], v[6:9], off
.LBB7_108:
	s_and_not1_b32 vcc_lo, exec_lo, s22
	s_cbranch_vccnz .LBB7_110
; %bb.109:
	v_cndmask_b32_e64 v6, 0, 1.0, s3
	v_mov_b32_e32 v7, 0
	global_store_b64 v[0:1], v[6:7], off
.LBB7_110:
	s_mov_b32 s22, 0
.LBB7_111:
	s_delay_alu instid0(SALU_CYCLE_1)
	s_and_not1_b32 vcc_lo, exec_lo, s22
	s_cbranch_vccnz .LBB7_113
; %bb.112:
	v_cndmask_b32_e64 v6, 0, 1.0, s3
	s_delay_alu instid0(VALU_DEP_1) | instskip(NEXT) | instid1(VALU_DEP_1)
	v_cvt_f16_f32_e32 v6, v6
	v_and_b32_e32 v6, 0xffff, v6
	global_store_b32 v[0:1], v6, off
.LBB7_113:
	s_mov_b32 s22, 0
.LBB7_114:
	s_delay_alu instid0(SALU_CYCLE_1)
	s_and_not1_b32 vcc_lo, exec_lo, s22
	s_cbranch_vccnz .LBB7_123
; %bb.115:
	v_cmp_gt_i16_e32 vcc_lo, 6, v2
	s_mov_b32 s22, -1
	s_cbranch_vccnz .LBB7_121
; %bb.116:
	v_cmp_lt_i16_e32 vcc_lo, 6, v2
	s_cbranch_vccz .LBB7_118
; %bb.117:
	v_cndmask_b32_e64 v6, 0, 1, s3
	s_mov_b32 s22, 0
	s_delay_alu instid0(VALU_DEP_1)
	v_cvt_f64_u32_e32 v[6:7], v6
	global_store_b64 v[0:1], v[6:7], off
.LBB7_118:
	s_and_not1_b32 vcc_lo, exec_lo, s22
	s_cbranch_vccnz .LBB7_120
; %bb.119:
	v_cndmask_b32_e64 v6, 0, 1.0, s3
	global_store_b32 v[0:1], v6, off
.LBB7_120:
	s_mov_b32 s22, 0
.LBB7_121:
	s_delay_alu instid0(SALU_CYCLE_1)
	s_and_not1_b32 vcc_lo, exec_lo, s22
	s_cbranch_vccnz .LBB7_123
; %bb.122:
	v_cndmask_b32_e64 v6, 0, 1.0, s3
	s_delay_alu instid0(VALU_DEP_1)
	v_cvt_f16_f32_e32 v6, v6
	global_store_b16 v[0:1], v6, off
.LBB7_123:
	s_mov_b32 s22, 0
.LBB7_124:
	s_delay_alu instid0(SALU_CYCLE_1)
	s_and_not1_b32 vcc_lo, exec_lo, s22
	s_cbranch_vccnz .LBB7_140
; %bb.125:
	v_cmp_gt_i16_e32 vcc_lo, 2, v2
	s_mov_b32 s22, -1
	s_cbranch_vccnz .LBB7_135
; %bb.126:
	v_cmp_gt_i16_e32 vcc_lo, 3, v2
	s_cbranch_vccnz .LBB7_132
; %bb.127:
	v_cmp_lt_i16_e32 vcc_lo, 3, v2
	s_cbranch_vccz .LBB7_129
; %bb.128:
	s_mov_b32 s22, 0
	v_cndmask_b32_e64 v6, 0, 1, s3
	v_mov_b32_e32 v7, s22
	global_store_b64 v[0:1], v[6:7], off
.LBB7_129:
	s_and_not1_b32 vcc_lo, exec_lo, s22
	s_cbranch_vccnz .LBB7_131
; %bb.130:
	v_cndmask_b32_e64 v6, 0, 1, s3
	global_store_b32 v[0:1], v6, off
.LBB7_131:
	s_mov_b32 s22, 0
.LBB7_132:
	s_delay_alu instid0(SALU_CYCLE_1)
	s_and_not1_b32 vcc_lo, exec_lo, s22
	s_cbranch_vccnz .LBB7_134
; %bb.133:
	v_cndmask_b32_e64 v6, 0, 1, s3
	global_store_b16 v[0:1], v6, off
.LBB7_134:
	s_mov_b32 s22, 0
.LBB7_135:
	s_delay_alu instid0(SALU_CYCLE_1)
	s_and_not1_b32 vcc_lo, exec_lo, s22
	s_cbranch_vccnz .LBB7_140
; %bb.136:
	v_cmp_lt_i16_e32 vcc_lo, 0, v2
	v_cndmask_b32_e64 v2, 0, 1, s3
	s_mov_b32 s3, -1
	s_cbranch_vccz .LBB7_138
; %bb.137:
	s_mov_b32 s3, 0
	global_store_b8 v[0:1], v2, off
.LBB7_138:
	s_and_not1_b32 vcc_lo, exec_lo, s3
	s_cbranch_vccnz .LBB7_140
; %bb.139:
	global_store_b8 v[0:1], v2, off
.LBB7_140:
	s_mov_b32 s3, 0
.LBB7_141:
	v_add_nc_u32_e32 v5, 0x80, v5
	s_mov_b32 s22, -1
	s_branch .LBB7_254
.LBB7_142:
	s_mov_b32 s23, -1
	s_mov_b32 s2, 0
                                        ; implicit-def: $sgpr22
	s_branch .LBB7_155
.LBB7_143:
	s_mov_b32 s23, -1
	s_mov_b32 s2, 0
                                        ; implicit-def: $sgpr22
	s_branch .LBB7_150
.LBB7_144:
	s_mov_b32 s23, -1
	s_branch .LBB7_146
.LBB7_145:
	s_mov_b32 s3, -1
.LBB7_146:
	s_mov_b32 s2, 0
                                        ; implicit-def: $sgpr22
.LBB7_147:
	s_and_b32 vcc_lo, exec_lo, s23
	s_cbranch_vccz .LBB7_149
; %bb.148:
	v_cmp_eq_u16_e64 s2, 44, v4
	s_mov_b32 s3, -1
	s_or_b32 s22, s22, exec_lo
.LBB7_149:
	s_mov_b32 s23, 0
.LBB7_150:
	s_delay_alu instid0(SALU_CYCLE_1)
	s_and_b32 vcc_lo, exec_lo, s23
	s_cbranch_vccz .LBB7_154
; %bb.151:
	v_cmp_eq_u16_e32 vcc_lo, 29, v4
	s_cbranch_vccz .LBB7_153
; %bb.152:
	global_load_b64 v[6:7], v[1:2], off
	s_mov_b32 s2, -1
	s_mov_b32 s3, 0
	s_mov_b32 s23, 0
	s_waitcnt vmcnt(0)
	v_cmp_ne_u64_e32 vcc_lo, 0, v[6:7]
	s_and_b32 s22, vcc_lo, exec_lo
	s_branch .LBB7_155
.LBB7_153:
	s_mov_b32 s3, -1
                                        ; implicit-def: $sgpr22
.LBB7_154:
	s_mov_b32 s23, 0
.LBB7_155:
	s_delay_alu instid0(SALU_CYCLE_1)
	s_and_b32 vcc_lo, exec_lo, s23
	s_cbranch_vccz .LBB7_171
; %bb.156:
	v_cmp_gt_i16_e32 vcc_lo, 27, v4
	s_cbranch_vccnz .LBB7_159
; %bb.157:
	v_cmp_lt_i16_e32 vcc_lo, 27, v4
	s_cbranch_vccz .LBB7_160
; %bb.158:
	global_load_b32 v6, v[1:2], off
	s_mov_b32 s2, 0
	s_waitcnt vmcnt(0)
	v_cmp_ne_u32_e32 vcc_lo, 0, v6
	s_and_b32 s22, vcc_lo, exec_lo
	s_branch .LBB7_161
.LBB7_159:
	s_mov_b32 s2, -1
                                        ; implicit-def: $sgpr22
	s_branch .LBB7_164
.LBB7_160:
	s_mov_b32 s2, -1
                                        ; implicit-def: $sgpr22
.LBB7_161:
	s_delay_alu instid0(SALU_CYCLE_1)
	s_and_not1_b32 vcc_lo, exec_lo, s2
	s_cbranch_vccnz .LBB7_163
; %bb.162:
	global_load_u16 v6, v[1:2], off
	s_and_not1_b32 s2, s22, exec_lo
	s_waitcnt vmcnt(0)
	v_cmp_ne_u16_e32 vcc_lo, 0, v6
	s_and_b32 s22, vcc_lo, exec_lo
	s_delay_alu instid0(SALU_CYCLE_1)
	s_or_b32 s22, s2, s22
.LBB7_163:
	s_mov_b32 s2, 0
.LBB7_164:
	s_delay_alu instid0(SALU_CYCLE_1)
	s_and_not1_b32 vcc_lo, exec_lo, s2
	s_cbranch_vccnz .LBB7_170
; %bb.165:
	global_load_u8 v6, v[1:2], off
	s_mov_b32 s2, 0
	s_mov_b32 s23, exec_lo
                                        ; implicit-def: $sgpr22
	s_waitcnt vmcnt(0)
	v_cmpx_lt_i16_e32 0x7f, v6
	s_xor_b32 s23, exec_lo, s23
	s_cbranch_execnz .LBB7_182
; %bb.166:
	s_and_not1_saveexec_b32 s23, s23
	s_cbranch_execnz .LBB7_185
.LBB7_167:
	s_or_b32 exec_lo, exec_lo, s23
	s_and_saveexec_b32 s23, s2
	s_cbranch_execz .LBB7_169
.LBB7_168:
	v_and_b32_e32 v6, 0xffff, v6
	s_and_not1_b32 s2, s22, exec_lo
	s_delay_alu instid0(VALU_DEP_1) | instskip(NEXT) | instid1(VALU_DEP_1)
	v_and_b32_e32 v7, 7, v6
	v_clz_i32_u32_e32 v8, v7
	s_delay_alu instid0(VALU_DEP_1) | instskip(NEXT) | instid1(VALU_DEP_1)
	v_min_u32_e32 v8, 32, v8
	v_subrev_nc_u32_e32 v9, 28, v8
	v_sub_nc_u32_e32 v8, 29, v8
	s_delay_alu instid0(VALU_DEP_2) | instskip(SKIP_1) | instid1(VALU_DEP_2)
	v_lshlrev_b32_e32 v9, v9, v6
	v_bfe_u32 v6, v6, 3, 4
	v_and_b32_e32 v9, 7, v9
	s_delay_alu instid0(VALU_DEP_2) | instskip(NEXT) | instid1(VALU_DEP_2)
	v_cmp_eq_u32_e32 vcc_lo, 0, v6
	v_dual_cndmask_b32 v6, v6, v8 :: v_dual_cndmask_b32 v7, v7, v9
	s_delay_alu instid0(VALU_DEP_1) | instskip(NEXT) | instid1(VALU_DEP_2)
	v_lshl_add_u32 v6, v6, 23, 0x3b800000
	v_lshlrev_b32_e32 v7, 20, v7
	s_delay_alu instid0(VALU_DEP_1) | instskip(NEXT) | instid1(VALU_DEP_1)
	v_and_or_b32 v6, 0x7f800000, v6, v7
	v_cmp_ne_u32_e32 vcc_lo, 0, v6
	s_and_b32 s22, vcc_lo, exec_lo
	s_delay_alu instid0(SALU_CYCLE_1)
	s_or_b32 s22, s2, s22
.LBB7_169:
	s_or_b32 exec_lo, exec_lo, s23
.LBB7_170:
	s_mov_b32 s2, -1
.LBB7_171:
	s_branch .LBB7_204
.LBB7_172:
	v_cmp_lt_i16_e32 vcc_lo, 22, v4
	s_cbranch_vccz .LBB7_180
; %bb.173:
	v_cmp_gt_i16_e32 vcc_lo, 24, v4
	s_cbranch_vccnz .LBB7_181
; %bb.174:
	v_cmp_lt_i16_e32 vcc_lo, 24, v4
	s_cbranch_vccz .LBB7_186
; %bb.175:
	global_load_u8 v6, v[1:2], off
	s_mov_b32 s2, 0
	s_mov_b32 s23, exec_lo
                                        ; implicit-def: $sgpr22
	s_waitcnt vmcnt(0)
	v_cmpx_lt_i16_e32 0x7f, v6
	s_xor_b32 s23, exec_lo, s23
	s_cbranch_execnz .LBB7_294
; %bb.176:
	s_and_not1_saveexec_b32 s23, s23
	s_cbranch_execnz .LBB7_297
.LBB7_177:
	s_or_b32 exec_lo, exec_lo, s23
	s_and_saveexec_b32 s23, s2
	s_cbranch_execz .LBB7_179
.LBB7_178:
	v_and_b32_e32 v6, 0xffff, v6
	s_and_not1_b32 s2, s22, exec_lo
	s_delay_alu instid0(VALU_DEP_1) | instskip(NEXT) | instid1(VALU_DEP_1)
	v_and_b32_e32 v7, 3, v6
	v_clz_i32_u32_e32 v8, v7
	s_delay_alu instid0(VALU_DEP_1) | instskip(NEXT) | instid1(VALU_DEP_1)
	v_min_u32_e32 v8, 32, v8
	v_subrev_nc_u32_e32 v9, 29, v8
	v_sub_nc_u32_e32 v8, 30, v8
	s_delay_alu instid0(VALU_DEP_2) | instskip(SKIP_1) | instid1(VALU_DEP_2)
	v_lshlrev_b32_e32 v9, v9, v6
	v_bfe_u32 v6, v6, 2, 5
	v_and_b32_e32 v9, 3, v9
	s_delay_alu instid0(VALU_DEP_2) | instskip(NEXT) | instid1(VALU_DEP_2)
	v_cmp_eq_u32_e32 vcc_lo, 0, v6
	v_dual_cndmask_b32 v6, v6, v8 :: v_dual_cndmask_b32 v7, v7, v9
	s_delay_alu instid0(VALU_DEP_1) | instskip(NEXT) | instid1(VALU_DEP_2)
	v_lshl_add_u32 v6, v6, 23, 0x37800000
	v_lshlrev_b32_e32 v7, 21, v7
	s_delay_alu instid0(VALU_DEP_1) | instskip(NEXT) | instid1(VALU_DEP_1)
	v_and_or_b32 v6, 0x7f800000, v6, v7
	v_cmp_ne_u32_e32 vcc_lo, 0, v6
	s_and_b32 s22, vcc_lo, exec_lo
	s_delay_alu instid0(SALU_CYCLE_1)
	s_or_b32 s22, s2, s22
.LBB7_179:
	s_or_b32 exec_lo, exec_lo, s23
	s_mov_b32 s2, 0
	s_branch .LBB7_187
.LBB7_180:
	s_mov_b32 s23, -1
                                        ; implicit-def: $sgpr22
	s_branch .LBB7_193
.LBB7_181:
	s_mov_b32 s2, -1
                                        ; implicit-def: $sgpr22
	s_branch .LBB7_190
.LBB7_182:
	s_mov_b32 s2, -1
	s_mov_b32 s34, exec_lo
                                        ; implicit-def: $sgpr22
	v_cmpx_eq_u16_e32 0x80, v6
; %bb.183:
	s_mov_b32 s22, -1
	s_xor_b32 s2, exec_lo, -1
; %bb.184:
	s_or_b32 exec_lo, exec_lo, s34
	s_delay_alu instid0(SALU_CYCLE_1)
	s_and_b32 s2, s2, exec_lo
	s_and_not1_saveexec_b32 s23, s23
	s_cbranch_execz .LBB7_167
.LBB7_185:
	v_cmp_ne_u16_e32 vcc_lo, 0, v6
	s_and_not1_b32 s2, s2, exec_lo
	s_and_not1_b32 s22, s22, exec_lo
	s_and_b32 s34, vcc_lo, exec_lo
	s_delay_alu instid0(SALU_CYCLE_1)
	s_or_b32 s2, s2, s34
	s_or_b32 exec_lo, exec_lo, s23
	s_and_saveexec_b32 s23, s2
	s_cbranch_execnz .LBB7_168
	s_branch .LBB7_169
.LBB7_186:
	s_mov_b32 s2, -1
                                        ; implicit-def: $sgpr22
.LBB7_187:
	s_delay_alu instid0(SALU_CYCLE_1)
	s_and_b32 vcc_lo, exec_lo, s2
	s_cbranch_vccz .LBB7_189
; %bb.188:
	global_load_u8 v6, v[1:2], off
	s_and_not1_b32 s22, s22, exec_lo
	s_waitcnt vmcnt(0)
	v_lshlrev_b32_e32 v6, 24, v6
	s_delay_alu instid0(VALU_DEP_1) | instskip(NEXT) | instid1(VALU_DEP_1)
	v_and_b32_e32 v6, 0x7f000000, v6
	v_clz_i32_u32_e32 v7, v6
	v_add_nc_u32_e32 v9, 0x1000000, v6
	v_cmp_ne_u32_e32 vcc_lo, 0, v6
	s_delay_alu instid0(VALU_DEP_3) | instskip(NEXT) | instid1(VALU_DEP_3)
	v_min_u32_e32 v7, 32, v7
	v_ashrrev_i32_e32 v9, 8, v9
	s_delay_alu instid0(VALU_DEP_2) | instskip(NEXT) | instid1(VALU_DEP_1)
	v_sub_nc_u32_e64 v7, v7, 4 clamp
	v_lshlrev_b32_e32 v8, v7, v6
	v_lshlrev_b32_e32 v7, 23, v7
	s_delay_alu instid0(VALU_DEP_2) | instskip(NEXT) | instid1(VALU_DEP_1)
	v_lshrrev_b32_e32 v8, 4, v8
	v_sub_nc_u32_e32 v7, v8, v7
	v_and_b32_e32 v8, 0x7f800000, v9
	s_delay_alu instid0(VALU_DEP_2) | instskip(NEXT) | instid1(VALU_DEP_1)
	v_add_nc_u32_e32 v7, 0x3c000000, v7
	v_and_or_b32 v7, 0x7ff00000, v7, v8
	s_delay_alu instid0(VALU_DEP_1) | instskip(NEXT) | instid1(VALU_DEP_1)
	v_cmp_ne_u32_e64 s2, 0, v7
	s_and_b32 s2, vcc_lo, s2
	s_delay_alu instid0(SALU_CYCLE_1) | instskip(NEXT) | instid1(SALU_CYCLE_1)
	s_and_b32 s2, s2, exec_lo
	s_or_b32 s22, s22, s2
.LBB7_189:
	s_mov_b32 s2, 0
.LBB7_190:
	s_delay_alu instid0(SALU_CYCLE_1)
	s_and_not1_b32 vcc_lo, exec_lo, s2
	s_cbranch_vccnz .LBB7_192
; %bb.191:
	global_load_u8 v6, v[1:2], off
	s_and_not1_b32 s2, s22, exec_lo
	s_waitcnt vmcnt(0)
	v_lshlrev_b32_e32 v7, 25, v6
	v_lshlrev_b32_e32 v6, 8, v6
	s_delay_alu instid0(VALU_DEP_2) | instskip(NEXT) | instid1(VALU_DEP_2)
	v_lshrrev_b32_e32 v8, 4, v7
	v_and_or_b32 v6, 0x7f00, v6, 0.5
	s_delay_alu instid0(VALU_DEP_2) | instskip(NEXT) | instid1(VALU_DEP_2)
	v_or_b32_e32 v8, 0x70000000, v8
	v_add_f32_e32 v6, -0.5, v6
	s_delay_alu instid0(VALU_DEP_2) | instskip(SKIP_1) | instid1(VALU_DEP_2)
	v_mul_f32_e32 v8, 0x7800000, v8
	v_cmp_gt_u32_e32 vcc_lo, 0x8000000, v7
	v_cndmask_b32_e32 v6, v8, v6, vcc_lo
	s_delay_alu instid0(VALU_DEP_1) | instskip(SKIP_1) | instid1(SALU_CYCLE_1)
	v_cmp_neq_f32_e32 vcc_lo, 0, v6
	s_and_b32 s22, vcc_lo, exec_lo
	s_or_b32 s22, s2, s22
.LBB7_192:
	s_mov_b32 s23, 0
	s_mov_b32 s2, -1
.LBB7_193:
	s_and_not1_b32 vcc_lo, exec_lo, s23
	s_cbranch_vccnz .LBB7_204
; %bb.194:
	v_cmp_lt_i16_e32 vcc_lo, 14, v4
	s_cbranch_vccz .LBB7_197
; %bb.195:
	v_cmp_eq_u16_e32 vcc_lo, 15, v4
	s_cbranch_vccz .LBB7_198
; %bb.196:
	global_load_u16 v6, v[1:2], off
	s_mov_b32 s3, 0
	s_mov_b32 s2, -1
	s_waitcnt vmcnt(0)
	v_and_b32_e32 v6, 0x7fff, v6
	s_delay_alu instid0(VALU_DEP_1)
	v_cmp_ne_u16_e32 vcc_lo, 0, v6
	s_and_b32 s22, vcc_lo, exec_lo
	s_branch .LBB7_199
.LBB7_197:
	s_mov_b32 s23, -1
                                        ; implicit-def: $sgpr22
	s_branch .LBB7_200
.LBB7_198:
	s_mov_b32 s3, -1
                                        ; implicit-def: $sgpr22
.LBB7_199:
	s_mov_b32 s23, 0
.LBB7_200:
	s_delay_alu instid0(SALU_CYCLE_1)
	s_and_b32 vcc_lo, exec_lo, s23
	s_cbranch_vccz .LBB7_204
; %bb.201:
	v_cmp_eq_u16_e32 vcc_lo, 11, v4
	s_cbranch_vccz .LBB7_203
; %bb.202:
	global_load_u8 v6, v[1:2], off
	s_mov_b32 s3, 0
	s_mov_b32 s2, -1
	s_waitcnt vmcnt(0)
	v_cmp_ne_u16_e32 vcc_lo, 0, v6
	s_and_b32 s22, vcc_lo, exec_lo
	s_branch .LBB7_204
.LBB7_203:
	s_mov_b32 s3, -1
                                        ; implicit-def: $sgpr22
.LBB7_204:
	s_branch .LBB7_23
.LBB7_205:
	v_cmp_gt_i16_e32 vcc_lo, 5, v4
	s_cbranch_vccnz .LBB7_210
; %bb.206:
	v_cmp_gt_i16_e32 vcc_lo, 8, v4
	s_cbranch_vccnz .LBB7_211
; %bb.207:
	;; [unrolled: 3-line block ×3, first 2 shown]
	v_cmp_lt_i16_e32 vcc_lo, 9, v4
	s_cbranch_vccz .LBB7_213
; %bb.209:
	global_load_b128 v[6:9], v[1:2], off
	s_waitcnt vmcnt(0)
	v_cmp_neq_f64_e32 vcc_lo, 0, v[6:7]
	v_cmp_neq_f64_e64 s2, 0, v[8:9]
	s_delay_alu instid0(VALU_DEP_1)
	s_or_b32 s22, vcc_lo, s2
	s_mov_b32 s2, 0
	s_and_b32 s22, s22, exec_lo
	s_branch .LBB7_214
.LBB7_210:
                                        ; implicit-def: $sgpr22
	s_branch .LBB7_232
.LBB7_211:
	s_mov_b32 s2, -1
                                        ; implicit-def: $sgpr22
	s_branch .LBB7_220
.LBB7_212:
	s_mov_b32 s2, -1
                                        ; implicit-def: $sgpr22
	s_branch .LBB7_217
.LBB7_213:
	s_mov_b32 s2, -1
                                        ; implicit-def: $sgpr22
.LBB7_214:
	s_delay_alu instid0(SALU_CYCLE_1)
	s_and_not1_b32 vcc_lo, exec_lo, s2
	s_cbranch_vccnz .LBB7_216
; %bb.215:
	global_load_b64 v[6:7], v[1:2], off
	s_and_not1_b32 s2, s22, exec_lo
	s_waitcnt vmcnt(0)
	v_or_b32_e32 v6, v6, v7
	s_delay_alu instid0(VALU_DEP_1) | instskip(NEXT) | instid1(VALU_DEP_1)
	v_and_b32_e32 v6, 0x7fffffff, v6
	v_cmp_ne_u32_e32 vcc_lo, 0, v6
	s_and_b32 s22, vcc_lo, exec_lo
	s_delay_alu instid0(SALU_CYCLE_1)
	s_or_b32 s22, s2, s22
.LBB7_216:
	s_mov_b32 s2, 0
.LBB7_217:
	s_delay_alu instid0(SALU_CYCLE_1)
	s_and_not1_b32 vcc_lo, exec_lo, s2
	s_cbranch_vccnz .LBB7_219
; %bb.218:
	global_load_b32 v6, v[1:2], off
	s_and_not1_b32 s2, s22, exec_lo
	s_waitcnt vmcnt(0)
	v_and_b32_e32 v6, 0x7fff7fff, v6
	s_delay_alu instid0(VALU_DEP_1) | instskip(SKIP_1) | instid1(SALU_CYCLE_1)
	v_cmp_ne_u32_e32 vcc_lo, 0, v6
	s_and_b32 s22, vcc_lo, exec_lo
	s_or_b32 s22, s2, s22
.LBB7_219:
	s_mov_b32 s2, 0
.LBB7_220:
	s_delay_alu instid0(SALU_CYCLE_1)
	s_and_not1_b32 vcc_lo, exec_lo, s2
	s_cbranch_vccnz .LBB7_231
; %bb.221:
	v_cmp_gt_i16_e32 vcc_lo, 6, v4
	s_cbranch_vccnz .LBB7_224
; %bb.222:
	v_cmp_lt_i16_e32 vcc_lo, 6, v4
	s_cbranch_vccz .LBB7_225
; %bb.223:
	global_load_b64 v[6:7], v[1:2], off
	s_mov_b32 s2, 0
	s_waitcnt vmcnt(0)
	v_cmp_neq_f64_e32 vcc_lo, 0, v[6:7]
	s_and_b32 s22, vcc_lo, exec_lo
	s_branch .LBB7_226
.LBB7_224:
	s_mov_b32 s2, -1
                                        ; implicit-def: $sgpr22
	s_branch .LBB7_229
.LBB7_225:
	s_mov_b32 s2, -1
                                        ; implicit-def: $sgpr22
.LBB7_226:
	s_delay_alu instid0(SALU_CYCLE_1)
	s_and_not1_b32 vcc_lo, exec_lo, s2
	s_cbranch_vccnz .LBB7_228
; %bb.227:
	global_load_b32 v6, v[1:2], off
	s_and_not1_b32 s2, s22, exec_lo
	s_waitcnt vmcnt(0)
	v_cmp_neq_f32_e32 vcc_lo, 0, v6
	s_and_b32 s22, vcc_lo, exec_lo
	s_delay_alu instid0(SALU_CYCLE_1)
	s_or_b32 s22, s2, s22
.LBB7_228:
	s_mov_b32 s2, 0
.LBB7_229:
	s_delay_alu instid0(SALU_CYCLE_1)
	s_and_not1_b32 vcc_lo, exec_lo, s2
	s_cbranch_vccnz .LBB7_231
; %bb.230:
	global_load_u16 v6, v[1:2], off
	s_and_not1_b32 s2, s22, exec_lo
	s_waitcnt vmcnt(0)
	v_and_b32_e32 v6, 0x7fff, v6
	s_delay_alu instid0(VALU_DEP_1) | instskip(SKIP_1) | instid1(SALU_CYCLE_1)
	v_cmp_ne_u16_e32 vcc_lo, 0, v6
	s_and_b32 s22, vcc_lo, exec_lo
	s_or_b32 s22, s2, s22
.LBB7_231:
	s_cbranch_execnz .LBB7_251
.LBB7_232:
	v_cmp_gt_i16_e32 vcc_lo, 2, v4
	s_cbranch_vccnz .LBB7_236
; %bb.233:
	v_cmp_gt_i16_e32 vcc_lo, 3, v4
	s_cbranch_vccnz .LBB7_237
; %bb.234:
	v_cmp_lt_i16_e32 vcc_lo, 3, v4
	s_cbranch_vccz .LBB7_238
; %bb.235:
	global_load_b64 v[6:7], v[1:2], off
	s_mov_b32 s2, 0
	s_waitcnt vmcnt(0)
	v_cmp_ne_u64_e32 vcc_lo, 0, v[6:7]
	s_and_b32 s22, vcc_lo, exec_lo
	s_branch .LBB7_239
.LBB7_236:
	s_mov_b32 s2, -1
                                        ; implicit-def: $sgpr22
	s_branch .LBB7_245
.LBB7_237:
	s_mov_b32 s2, -1
                                        ; implicit-def: $sgpr22
	s_branch .LBB7_242
.LBB7_238:
	s_mov_b32 s2, -1
                                        ; implicit-def: $sgpr22
.LBB7_239:
	s_delay_alu instid0(SALU_CYCLE_1)
	s_and_not1_b32 vcc_lo, exec_lo, s2
	s_cbranch_vccnz .LBB7_241
; %bb.240:
	global_load_b32 v6, v[1:2], off
	s_and_not1_b32 s2, s22, exec_lo
	s_waitcnt vmcnt(0)
	v_cmp_ne_u32_e32 vcc_lo, 0, v6
	s_and_b32 s22, vcc_lo, exec_lo
	s_delay_alu instid0(SALU_CYCLE_1)
	s_or_b32 s22, s2, s22
.LBB7_241:
	s_mov_b32 s2, 0
.LBB7_242:
	s_delay_alu instid0(SALU_CYCLE_1)
	s_and_not1_b32 vcc_lo, exec_lo, s2
	s_cbranch_vccnz .LBB7_244
; %bb.243:
	global_load_u16 v6, v[1:2], off
	s_and_not1_b32 s2, s22, exec_lo
	s_waitcnt vmcnt(0)
	v_cmp_ne_u16_e32 vcc_lo, 0, v6
	s_and_b32 s22, vcc_lo, exec_lo
	s_delay_alu instid0(SALU_CYCLE_1)
	s_or_b32 s22, s2, s22
.LBB7_244:
	s_mov_b32 s2, 0
.LBB7_245:
	s_delay_alu instid0(SALU_CYCLE_1)
	s_and_not1_b32 vcc_lo, exec_lo, s2
	s_cbranch_vccnz .LBB7_251
; %bb.246:
	v_cmp_lt_i16_e32 vcc_lo, 0, v4
	s_mov_b32 s2, 0
	s_cbranch_vccz .LBB7_248
; %bb.247:
	global_load_u8 v6, v[1:2], off
	s_waitcnt vmcnt(0)
	v_cmp_ne_u16_e32 vcc_lo, 0, v6
	s_and_b32 s22, vcc_lo, exec_lo
	s_branch .LBB7_249
.LBB7_248:
	s_mov_b32 s2, -1
                                        ; implicit-def: $sgpr22
.LBB7_249:
	s_delay_alu instid0(SALU_CYCLE_1)
	s_and_not1_b32 vcc_lo, exec_lo, s2
	s_cbranch_vccnz .LBB7_251
; %bb.250:
	global_load_u8 v1, v[1:2], off
	s_and_not1_b32 s2, s22, exec_lo
	s_waitcnt vmcnt(0)
	v_cmp_ne_u16_e32 vcc_lo, 0, v1
	s_and_b32 s22, vcc_lo, exec_lo
	s_delay_alu instid0(SALU_CYCLE_1)
	s_or_b32 s22, s2, s22
.LBB7_251:
	s_branch .LBB7_24
.LBB7_252:
	s_mov_b32 s2, 0
.LBB7_253:
	s_mov_b32 s22, 0
                                        ; implicit-def: $vgpr5
.LBB7_254:
	s_and_b32 s34, s2, exec_lo
	s_and_b32 s35, s3, exec_lo
	s_or_not1_b32 s3, s22, exec_lo
.LBB7_255:
	s_or_b32 exec_lo, exec_lo, s36
	s_mov_b32 s2, 0
	s_mov_b32 s23, 0
                                        ; implicit-def: $sgpr22
                                        ; implicit-def: $vgpr1_vgpr2
                                        ; implicit-def: $vgpr0
	s_and_saveexec_b32 s36, s3
	s_cbranch_execz .LBB7_892
; %bb.256:
	s_mov_b32 s22, -1
	s_mov_b32 s37, s35
	s_mov_b32 s38, s34
	s_mov_b32 s39, exec_lo
	v_cmpx_gt_i32_e64 s30, v5
	s_cbranch_execz .LBB7_523
; %bb.257:
	s_and_not1_b32 vcc_lo, exec_lo, s27
	s_cbranch_vccnz .LBB7_262
; %bb.258:
	v_dual_mov_b32 v0, 0 :: v_dual_mov_b32 v1, 0
	s_and_not1_b32 vcc_lo, exec_lo, s33
	s_mov_b32 s37, 0
	s_cbranch_vccnz .LBB7_267
; %bb.259:
	v_mov_b32_e32 v0, 0
	s_add_i32 s40, s31, 1
	s_cmp_eq_u32 s25, 2
	s_mov_b32 s38, 0
	s_cbranch_scc1 .LBB7_263
; %bb.260:
	v_dual_mov_b32 v1, 0 :: v_dual_mov_b32 v0, 0
	v_mov_b32_e32 v2, v5
	s_and_b32 s38, s40, 28
	s_mov_b32 s41, 0
	s_mov_b64 s[2:3], s[20:21]
	s_mov_b64 s[22:23], s[16:17]
.LBB7_261:                              ; =>This Inner Loop Header: Depth=1
	s_clause 0x1
	s_load_b256 s[44:51], s[22:23], 0x4
	s_load_b128 s[60:63], s[22:23], 0x24
	s_load_b256 s[52:59], s[2:3], 0x0
	s_add_u32 s22, s22, 48
	s_addc_u32 s23, s23, 0
	s_add_i32 s41, s41, 4
	s_add_u32 s2, s2, 32
	s_addc_u32 s3, s3, 0
	s_cmp_eq_u32 s38, s41
	s_waitcnt lgkmcnt(0)
	v_mul_hi_u32 v6, s45, v2
	s_delay_alu instid0(VALU_DEP_1) | instskip(NEXT) | instid1(VALU_DEP_1)
	v_add_nc_u32_e32 v6, v2, v6
	v_lshrrev_b32_e32 v6, s46, v6
	s_delay_alu instid0(VALU_DEP_1) | instskip(SKIP_1) | instid1(VALU_DEP_2)
	v_mul_hi_u32 v7, s48, v6
	v_mul_lo_u32 v9, v6, s44
	v_add_nc_u32_e32 v7, v6, v7
	s_delay_alu instid0(VALU_DEP_2) | instskip(NEXT) | instid1(VALU_DEP_2)
	v_sub_nc_u32_e32 v2, v2, v9
	v_lshrrev_b32_e32 v7, s49, v7
	s_delay_alu instid0(VALU_DEP_2) | instskip(SKIP_1) | instid1(VALU_DEP_3)
	v_mul_lo_u32 v9, v2, s52
	v_mul_lo_u32 v11, v2, s53
	v_mul_hi_u32 v8, s51, v7
	s_delay_alu instid0(VALU_DEP_1) | instskip(NEXT) | instid1(VALU_DEP_1)
	v_add_nc_u32_e32 v8, v7, v8
	v_lshrrev_b32_e32 v8, s60, v8
	s_delay_alu instid0(VALU_DEP_1) | instskip(SKIP_1) | instid1(VALU_DEP_2)
	v_mul_hi_u32 v10, s62, v8
	v_mul_lo_u32 v12, v8, s50
	v_add_nc_u32_e32 v2, v8, v10
	v_mul_lo_u32 v10, v7, s47
	s_delay_alu instid0(VALU_DEP_3) | instskip(NEXT) | instid1(VALU_DEP_3)
	v_sub_nc_u32_e32 v7, v7, v12
	v_lshrrev_b32_e32 v2, s63, v2
	s_delay_alu instid0(VALU_DEP_2) | instskip(SKIP_2) | instid1(VALU_DEP_4)
	v_mul_lo_u32 v12, v7, s56
	v_mul_lo_u32 v7, v7, s57
	v_sub_nc_u32_e32 v6, v6, v10
	v_mul_lo_u32 v13, v2, s61
	s_delay_alu instid0(VALU_DEP_2) | instskip(SKIP_1) | instid1(VALU_DEP_3)
	v_mul_lo_u32 v10, v6, s54
	v_mul_lo_u32 v6, v6, s55
	v_sub_nc_u32_e32 v8, v8, v13
	s_delay_alu instid0(VALU_DEP_3) | instskip(NEXT) | instid1(VALU_DEP_2)
	v_add3_u32 v0, v9, v0, v10
	v_mul_lo_u32 v13, v8, s58
	v_mul_lo_u32 v8, v8, s59
	v_add3_u32 v1, v11, v1, v6
	s_delay_alu instid0(VALU_DEP_3) | instskip(NEXT) | instid1(VALU_DEP_2)
	v_add3_u32 v0, v12, v0, v13
	v_add3_u32 v1, v7, v1, v8
	s_cbranch_scc0 .LBB7_261
	s_branch .LBB7_264
.LBB7_262:
	s_mov_b32 s37, -1
                                        ; implicit-def: $vgpr0
                                        ; implicit-def: $vgpr1
	s_branch .LBB7_267
.LBB7_263:
	v_dual_mov_b32 v2, v5 :: v_dual_mov_b32 v1, 0
.LBB7_264:
	s_and_b32 s40, s40, 3
	s_delay_alu instid0(SALU_CYCLE_1)
	s_cmp_eq_u32 s40, 0
	s_cbranch_scc1 .LBB7_267
; %bb.265:
	s_lshl_b32 s2, s38, 3
	s_mul_i32 s22, s38, 12
	s_add_u32 s2, s2, s16
	s_addc_u32 s3, s17, 0
	s_add_u32 s2, s2, 0xc4
	s_addc_u32 s3, s3, 0
	;; [unrolled: 2-line block ×3, first 2 shown]
	.p2align	6
.LBB7_266:                              ; =>This Inner Loop Header: Depth=1
	s_clause 0x1
	s_load_b64 s[42:43], s[22:23], 0x4
	s_load_b32 s38, s[22:23], 0xc
	s_load_b64 s[44:45], s[2:3], 0x0
	s_add_u32 s22, s22, 12
	s_addc_u32 s23, s23, 0
	s_add_u32 s2, s2, 8
	s_addc_u32 s3, s3, 0
	s_add_i32 s40, s40, -1
	s_delay_alu instid0(SALU_CYCLE_1) | instskip(SKIP_2) | instid1(VALU_DEP_1)
	s_cmp_lg_u32 s40, 0
	s_waitcnt lgkmcnt(0)
	v_mul_hi_u32 v6, s43, v2
	v_add_nc_u32_e32 v6, v2, v6
	s_delay_alu instid0(VALU_DEP_1) | instskip(NEXT) | instid1(VALU_DEP_1)
	v_lshrrev_b32_e32 v9, s38, v6
	v_mul_lo_u32 v6, v9, s42
	s_delay_alu instid0(VALU_DEP_1) | instskip(NEXT) | instid1(VALU_DEP_1)
	v_sub_nc_u32_e32 v2, v2, v6
	v_mad_u64_u32 v[6:7], null, v2, s44, v[0:1]
	v_mad_u64_u32 v[7:8], null, v2, s45, v[1:2]
	v_mov_b32_e32 v2, v9
	s_delay_alu instid0(VALU_DEP_2)
	v_dual_mov_b32 v0, v6 :: v_dual_mov_b32 v1, v7
	s_cbranch_scc1 .LBB7_266
.LBB7_267:
	s_and_not1_b32 vcc_lo, exec_lo, s37
	s_cbranch_vccnz .LBB7_270
; %bb.268:
	s_waitcnt lgkmcnt(0)
	v_mul_hi_u32 v0, s13, v5
	s_and_not1_b32 vcc_lo, exec_lo, s29
	s_delay_alu instid0(VALU_DEP_1) | instskip(NEXT) | instid1(VALU_DEP_1)
	v_add_nc_u32_e32 v0, v5, v0
	v_lshrrev_b32_e32 v2, s14, v0
	s_delay_alu instid0(VALU_DEP_1) | instskip(NEXT) | instid1(VALU_DEP_1)
	v_mul_lo_u32 v0, v2, s12
	v_sub_nc_u32_e32 v1, v5, v0
	s_delay_alu instid0(VALU_DEP_1)
	v_mul_lo_u32 v0, v1, s8
	v_mul_lo_u32 v1, v1, s9
	s_cbranch_vccnz .LBB7_270
; %bb.269:
	v_mul_hi_u32 v6, s18, v2
	s_delay_alu instid0(VALU_DEP_1) | instskip(NEXT) | instid1(VALU_DEP_1)
	v_add_nc_u32_e32 v6, v2, v6
	v_lshrrev_b32_e32 v6, s19, v6
	s_delay_alu instid0(VALU_DEP_1) | instskip(NEXT) | instid1(VALU_DEP_1)
	v_mul_lo_u32 v6, v6, s15
	v_sub_nc_u32_e32 v2, v2, v6
	s_delay_alu instid0(VALU_DEP_1) | instskip(SKIP_1) | instid1(VALU_DEP_1)
	v_mad_u64_u32 v[6:7], null, v2, s10, v[0:1]
	v_mad_u64_u32 v[7:8], null, v2, s11, v[1:2]
	v_dual_mov_b32 v0, v6 :: v_dual_mov_b32 v1, v7
.LBB7_270:
	v_cmp_gt_i16_e32 vcc_lo, 11, v4
	s_waitcnt lgkmcnt(0)
	s_delay_alu instid0(VALU_DEP_2) | instskip(NEXT) | instid1(VALU_DEP_1)
	v_add_co_u32 v1, s2, s6, v1
	v_add_co_ci_u32_e64 v2, null, s7, 0, s2
	s_mov_b32 s2, 0
	s_cbranch_vccnz .LBB7_277
; %bb.271:
	v_cmp_lt_i16_e32 vcc_lo, 25, v4
	s_cbranch_vccz .LBB7_283
; %bb.272:
	v_cmp_lt_i16_e32 vcc_lo, 28, v4
	s_cbranch_vccz .LBB7_290
	;; [unrolled: 3-line block ×4, first 2 shown]
; %bb.275:
	v_cmp_eq_u16_e32 vcc_lo, 46, v4
	s_mov_b32 s23, 0
	s_cbranch_vccz .LBB7_302
; %bb.276:
	global_load_b32 v6, v[1:2], off
	s_mov_b32 s3, 0
	s_mov_b32 s2, -1
	s_waitcnt vmcnt(0)
	v_and_b32_e32 v6, 0x7fff7fff, v6
	s_delay_alu instid0(VALU_DEP_1)
	v_cmp_ne_u32_e32 vcc_lo, 0, v6
	s_and_b32 s22, vcc_lo, exec_lo
	s_branch .LBB7_304
.LBB7_277:
	s_mov_b32 s3, s35
                                        ; implicit-def: $sgpr22
	s_cbranch_execnz .LBB7_363
.LBB7_278:
	s_and_not1_b32 vcc_lo, exec_lo, s2
	s_cbranch_vccnz .LBB7_411
.LBB7_279:
	v_and_b32_e32 v2, 0xff, v3
	v_add_co_u32 v0, s2, s4, v0
	s_delay_alu instid0(VALU_DEP_1) | instskip(NEXT) | instid1(VALU_DEP_3)
	v_add_co_ci_u32_e64 v1, null, s5, 0, s2
	v_cmp_gt_i16_e32 vcc_lo, 11, v2
	s_mov_b32 s23, -1
	s_xor_b32 s3, s22, -1
	s_mov_b32 s22, 0
	s_mov_b32 s2, s34
	s_cbranch_vccz .LBB7_284
; %bb.280:
	s_and_b32 vcc_lo, exec_lo, s23
	s_cbranch_vccnz .LBB7_482
.LBB7_281:
	s_and_not1_b32 vcc_lo, exec_lo, s22
	s_mov_b32 s3, 0
	s_cbranch_vccnz .LBB7_520
.LBB7_282:
	v_add_nc_u32_e32 v5, 0x80, v5
	s_mov_b32 s22, -1
	s_branch .LBB7_522
.LBB7_283:
	s_mov_b32 s23, -1
	s_mov_b32 s3, s35
                                        ; implicit-def: $sgpr22
	s_branch .LBB7_329
.LBB7_284:
	v_cmp_lt_i16_e32 vcc_lo, 25, v2
	s_cbranch_vccz .LBB7_291
; %bb.285:
	v_cmp_lt_i16_e32 vcc_lo, 28, v2
	s_cbranch_vccz .LBB7_293
; %bb.286:
	;; [unrolled: 3-line block ×4, first 2 shown]
	v_cmp_eq_u16_e32 vcc_lo, 46, v2
	s_mov_b32 s23, 0
	s_mov_b32 s2, -1
	s_cbranch_vccz .LBB7_413
; %bb.289:
	v_cndmask_b32_e64 v6, 0, 1.0, s3
	s_mov_b32 s22, -1
	s_mov_b32 s2, 0
	s_delay_alu instid0(VALU_DEP_1) | instskip(NEXT) | instid1(VALU_DEP_1)
	v_bfe_u32 v7, v6, 16, 1
	v_add3_u32 v6, v6, v7, 0x7fff
	s_delay_alu instid0(VALU_DEP_1)
	v_lshrrev_b32_e32 v6, 16, v6
	global_store_b32 v[0:1], v6, off
	s_branch .LBB7_413
.LBB7_290:
	s_mov_b32 s23, -1
	s_mov_b32 s3, s35
                                        ; implicit-def: $sgpr22
	s_branch .LBB7_312
.LBB7_291:
	s_mov_b32 s2, s34
	s_branch .LBB7_440
.LBB7_292:
	s_mov_b32 s23, -1
	s_mov_b32 s3, s35
                                        ; implicit-def: $sgpr22
	s_branch .LBB7_307
.LBB7_293:
	s_mov_b32 s2, s34
	s_branch .LBB7_423
.LBB7_294:
	s_mov_b32 s2, -1
	s_mov_b32 s34, exec_lo
                                        ; implicit-def: $sgpr22
	v_cmpx_eq_u16_e32 0x80, v6
; %bb.295:
	s_mov_b32 s22, -1
	s_xor_b32 s2, exec_lo, -1
; %bb.296:
	s_or_b32 exec_lo, exec_lo, s34
	s_delay_alu instid0(SALU_CYCLE_1)
	s_and_b32 s2, s2, exec_lo
	s_and_not1_saveexec_b32 s23, s23
	s_cbranch_execz .LBB7_177
.LBB7_297:
	v_cmp_ne_u16_e32 vcc_lo, 0, v6
	s_and_not1_b32 s2, s2, exec_lo
	s_and_not1_b32 s22, s22, exec_lo
	s_and_b32 s34, vcc_lo, exec_lo
	s_delay_alu instid0(SALU_CYCLE_1)
	s_or_b32 s2, s2, s34
	s_or_b32 exec_lo, exec_lo, s23
	s_and_saveexec_b32 s23, s2
	s_cbranch_execnz .LBB7_178
	s_branch .LBB7_179
.LBB7_298:
	s_mov_b32 s23, -1
	s_mov_b32 s3, s35
	s_branch .LBB7_303
.LBB7_299:
	s_mov_b32 s2, s34
	s_branch .LBB7_419
.LBB7_300:
	v_bfe_u32 v6, v7, 20, 1
	s_mov_b32 s23, exec_lo
	s_delay_alu instid0(VALU_DEP_1) | instskip(NEXT) | instid1(VALU_DEP_1)
	v_add3_u32 v6, v7, v6, 0x487ffff
                                        ; implicit-def: $vgpr7
	v_lshrrev_b32_e32 v6, 20, v6
	s_or_saveexec_b32 s34, s34
                                        ; implicit-def: $sgpr35
	s_delay_alu instid0(SALU_CYCLE_1)
	s_xor_b32 exec_lo, exec_lo, s34
	s_cbranch_execz .LBB7_55
.LBB7_301:
	v_add_f32_e32 v6, 0x46000000, v7
	s_and_not1_b32 s23, s23, exec_lo
	s_mov_b32 s35, 0
	s_delay_alu instid0(VALU_DEP_1) | instskip(NEXT) | instid1(VALU_DEP_1)
	v_and_b32_e32 v6, 0xff, v6
	v_cmp_ne_u32_e32 vcc_lo, 0, v6
	s_and_b32 s38, vcc_lo, exec_lo
	s_delay_alu instid0(SALU_CYCLE_1)
	s_or_b32 s23, s23, s38
	s_or_b32 exec_lo, exec_lo, s34
	v_mov_b32_e32 v8, s35
	s_and_saveexec_b32 s34, s23
	s_cbranch_execnz .LBB7_56
	s_branch .LBB7_57
.LBB7_302:
	s_mov_b32 s3, -1
.LBB7_303:
                                        ; implicit-def: $sgpr22
.LBB7_304:
	s_and_b32 vcc_lo, exec_lo, s23
	s_cbranch_vccz .LBB7_306
; %bb.305:
	v_cmp_eq_u16_e64 s2, 44, v4
	s_or_b32 s22, s22, exec_lo
	s_or_b32 s3, s3, exec_lo
.LBB7_306:
	s_mov_b32 s23, 0
.LBB7_307:
	s_delay_alu instid0(SALU_CYCLE_1)
	s_and_b32 vcc_lo, exec_lo, s23
	s_cbranch_vccz .LBB7_311
; %bb.308:
	v_cmp_eq_u16_e32 vcc_lo, 29, v4
	s_cbranch_vccz .LBB7_310
; %bb.309:
	global_load_b64 v[6:7], v[1:2], off
	s_mov_b32 s2, -1
	s_mov_b32 s3, 0
	s_mov_b32 s23, 0
	s_waitcnt vmcnt(0)
	v_cmp_ne_u64_e32 vcc_lo, 0, v[6:7]
	s_and_b32 s22, vcc_lo, exec_lo
	s_branch .LBB7_312
.LBB7_310:
	s_mov_b32 s3, -1
                                        ; implicit-def: $sgpr22
.LBB7_311:
	s_mov_b32 s23, 0
.LBB7_312:
	s_delay_alu instid0(SALU_CYCLE_1)
	s_and_b32 vcc_lo, exec_lo, s23
	s_cbranch_vccz .LBB7_328
; %bb.313:
	v_cmp_gt_i16_e32 vcc_lo, 27, v4
	s_cbranch_vccnz .LBB7_316
; %bb.314:
	v_cmp_lt_i16_e32 vcc_lo, 27, v4
	s_cbranch_vccz .LBB7_317
; %bb.315:
	global_load_b32 v6, v[1:2], off
	s_mov_b32 s2, 0
	s_waitcnt vmcnt(0)
	v_cmp_ne_u32_e32 vcc_lo, 0, v6
	s_and_b32 s22, vcc_lo, exec_lo
	s_branch .LBB7_318
.LBB7_316:
	s_mov_b32 s2, -1
                                        ; implicit-def: $sgpr22
	s_branch .LBB7_321
.LBB7_317:
	s_mov_b32 s2, -1
                                        ; implicit-def: $sgpr22
.LBB7_318:
	s_delay_alu instid0(SALU_CYCLE_1)
	s_and_not1_b32 vcc_lo, exec_lo, s2
	s_cbranch_vccnz .LBB7_320
; %bb.319:
	global_load_u16 v6, v[1:2], off
	s_and_not1_b32 s2, s22, exec_lo
	s_waitcnt vmcnt(0)
	v_cmp_ne_u16_e32 vcc_lo, 0, v6
	s_and_b32 s22, vcc_lo, exec_lo
	s_delay_alu instid0(SALU_CYCLE_1)
	s_or_b32 s22, s2, s22
.LBB7_320:
	s_mov_b32 s2, 0
.LBB7_321:
	s_delay_alu instid0(SALU_CYCLE_1)
	s_and_not1_b32 vcc_lo, exec_lo, s2
	s_cbranch_vccnz .LBB7_327
; %bb.322:
	global_load_u8 v6, v[1:2], off
	s_mov_b32 s2, 0
	s_mov_b32 s23, exec_lo
                                        ; implicit-def: $sgpr22
	s_waitcnt vmcnt(0)
	v_cmpx_lt_i16_e32 0x7f, v6
	s_xor_b32 s23, exec_lo, s23
	s_cbranch_execnz .LBB7_340
; %bb.323:
	s_and_not1_saveexec_b32 s23, s23
	s_cbranch_execnz .LBB7_343
.LBB7_324:
	s_or_b32 exec_lo, exec_lo, s23
	s_and_saveexec_b32 s23, s2
	s_cbranch_execz .LBB7_326
.LBB7_325:
	v_and_b32_e32 v6, 0xffff, v6
	s_and_not1_b32 s2, s22, exec_lo
	s_delay_alu instid0(VALU_DEP_1) | instskip(NEXT) | instid1(VALU_DEP_1)
	v_and_b32_e32 v7, 7, v6
	v_clz_i32_u32_e32 v8, v7
	s_delay_alu instid0(VALU_DEP_1) | instskip(NEXT) | instid1(VALU_DEP_1)
	v_min_u32_e32 v8, 32, v8
	v_subrev_nc_u32_e32 v9, 28, v8
	v_sub_nc_u32_e32 v8, 29, v8
	s_delay_alu instid0(VALU_DEP_2) | instskip(SKIP_1) | instid1(VALU_DEP_2)
	v_lshlrev_b32_e32 v9, v9, v6
	v_bfe_u32 v6, v6, 3, 4
	v_and_b32_e32 v9, 7, v9
	s_delay_alu instid0(VALU_DEP_2) | instskip(NEXT) | instid1(VALU_DEP_2)
	v_cmp_eq_u32_e32 vcc_lo, 0, v6
	v_dual_cndmask_b32 v6, v6, v8 :: v_dual_cndmask_b32 v7, v7, v9
	s_delay_alu instid0(VALU_DEP_1) | instskip(NEXT) | instid1(VALU_DEP_2)
	v_lshl_add_u32 v6, v6, 23, 0x3b800000
	v_lshlrev_b32_e32 v7, 20, v7
	s_delay_alu instid0(VALU_DEP_1) | instskip(NEXT) | instid1(VALU_DEP_1)
	v_and_or_b32 v6, 0x7f800000, v6, v7
	v_cmp_ne_u32_e32 vcc_lo, 0, v6
	s_and_b32 s22, vcc_lo, exec_lo
	s_delay_alu instid0(SALU_CYCLE_1)
	s_or_b32 s22, s2, s22
.LBB7_326:
	s_or_b32 exec_lo, exec_lo, s23
.LBB7_327:
	s_mov_b32 s2, -1
.LBB7_328:
	s_mov_b32 s23, 0
.LBB7_329:
	s_delay_alu instid0(SALU_CYCLE_1)
	s_and_b32 vcc_lo, exec_lo, s23
	s_cbranch_vccz .LBB7_362
; %bb.330:
	v_cmp_lt_i16_e32 vcc_lo, 22, v4
	s_cbranch_vccz .LBB7_338
; %bb.331:
	v_cmp_gt_i16_e32 vcc_lo, 24, v4
	s_cbranch_vccnz .LBB7_339
; %bb.332:
	v_cmp_lt_i16_e32 vcc_lo, 24, v4
	s_cbranch_vccz .LBB7_344
; %bb.333:
	global_load_u8 v6, v[1:2], off
	s_mov_b32 s2, 0
	s_mov_b32 s23, exec_lo
                                        ; implicit-def: $sgpr22
	s_waitcnt vmcnt(0)
	v_cmpx_lt_i16_e32 0x7f, v6
	s_xor_b32 s23, exec_lo, s23
	s_cbranch_execnz .LBB7_549
; %bb.334:
	s_and_not1_saveexec_b32 s23, s23
	s_cbranch_execnz .LBB7_552
.LBB7_335:
	s_or_b32 exec_lo, exec_lo, s23
	s_and_saveexec_b32 s23, s2
	s_cbranch_execz .LBB7_337
.LBB7_336:
	v_and_b32_e32 v6, 0xffff, v6
	s_and_not1_b32 s2, s22, exec_lo
	s_delay_alu instid0(VALU_DEP_1) | instskip(NEXT) | instid1(VALU_DEP_1)
	v_and_b32_e32 v7, 3, v6
	v_clz_i32_u32_e32 v8, v7
	s_delay_alu instid0(VALU_DEP_1) | instskip(NEXT) | instid1(VALU_DEP_1)
	v_min_u32_e32 v8, 32, v8
	v_subrev_nc_u32_e32 v9, 29, v8
	v_sub_nc_u32_e32 v8, 30, v8
	s_delay_alu instid0(VALU_DEP_2) | instskip(SKIP_1) | instid1(VALU_DEP_2)
	v_lshlrev_b32_e32 v9, v9, v6
	v_bfe_u32 v6, v6, 2, 5
	v_and_b32_e32 v9, 3, v9
	s_delay_alu instid0(VALU_DEP_2) | instskip(NEXT) | instid1(VALU_DEP_2)
	v_cmp_eq_u32_e32 vcc_lo, 0, v6
	v_dual_cndmask_b32 v6, v6, v8 :: v_dual_cndmask_b32 v7, v7, v9
	s_delay_alu instid0(VALU_DEP_1) | instskip(NEXT) | instid1(VALU_DEP_2)
	v_lshl_add_u32 v6, v6, 23, 0x37800000
	v_lshlrev_b32_e32 v7, 21, v7
	s_delay_alu instid0(VALU_DEP_1) | instskip(NEXT) | instid1(VALU_DEP_1)
	v_and_or_b32 v6, 0x7f800000, v6, v7
	v_cmp_ne_u32_e32 vcc_lo, 0, v6
	s_and_b32 s22, vcc_lo, exec_lo
	s_delay_alu instid0(SALU_CYCLE_1)
	s_or_b32 s22, s2, s22
.LBB7_337:
	s_or_b32 exec_lo, exec_lo, s23
	s_mov_b32 s2, 0
	s_branch .LBB7_345
.LBB7_338:
	s_mov_b32 s23, -1
                                        ; implicit-def: $sgpr22
	s_branch .LBB7_351
.LBB7_339:
	s_mov_b32 s2, -1
                                        ; implicit-def: $sgpr22
	s_branch .LBB7_348
.LBB7_340:
	s_mov_b32 s2, -1
	s_mov_b32 s37, exec_lo
                                        ; implicit-def: $sgpr22
	v_cmpx_eq_u16_e32 0x80, v6
; %bb.341:
	s_mov_b32 s22, -1
	s_xor_b32 s2, exec_lo, -1
; %bb.342:
	s_or_b32 exec_lo, exec_lo, s37
	s_delay_alu instid0(SALU_CYCLE_1)
	s_and_b32 s2, s2, exec_lo
	s_and_not1_saveexec_b32 s23, s23
	s_cbranch_execz .LBB7_324
.LBB7_343:
	v_cmp_ne_u16_e32 vcc_lo, 0, v6
	s_and_not1_b32 s2, s2, exec_lo
	s_and_not1_b32 s22, s22, exec_lo
	s_and_b32 s37, vcc_lo, exec_lo
	s_delay_alu instid0(SALU_CYCLE_1)
	s_or_b32 s2, s2, s37
	s_or_b32 exec_lo, exec_lo, s23
	s_and_saveexec_b32 s23, s2
	s_cbranch_execnz .LBB7_325
	s_branch .LBB7_326
.LBB7_344:
	s_mov_b32 s2, -1
                                        ; implicit-def: $sgpr22
.LBB7_345:
	s_delay_alu instid0(SALU_CYCLE_1)
	s_and_b32 vcc_lo, exec_lo, s2
	s_cbranch_vccz .LBB7_347
; %bb.346:
	global_load_u8 v6, v[1:2], off
	s_and_not1_b32 s22, s22, exec_lo
	s_waitcnt vmcnt(0)
	v_lshlrev_b32_e32 v6, 24, v6
	s_delay_alu instid0(VALU_DEP_1) | instskip(NEXT) | instid1(VALU_DEP_1)
	v_and_b32_e32 v6, 0x7f000000, v6
	v_clz_i32_u32_e32 v7, v6
	v_add_nc_u32_e32 v9, 0x1000000, v6
	v_cmp_ne_u32_e32 vcc_lo, 0, v6
	s_delay_alu instid0(VALU_DEP_3) | instskip(NEXT) | instid1(VALU_DEP_3)
	v_min_u32_e32 v7, 32, v7
	v_ashrrev_i32_e32 v9, 8, v9
	s_delay_alu instid0(VALU_DEP_2) | instskip(NEXT) | instid1(VALU_DEP_1)
	v_sub_nc_u32_e64 v7, v7, 4 clamp
	v_lshlrev_b32_e32 v8, v7, v6
	v_lshlrev_b32_e32 v7, 23, v7
	s_delay_alu instid0(VALU_DEP_2) | instskip(NEXT) | instid1(VALU_DEP_1)
	v_lshrrev_b32_e32 v8, 4, v8
	v_sub_nc_u32_e32 v7, v8, v7
	v_and_b32_e32 v8, 0x7f800000, v9
	s_delay_alu instid0(VALU_DEP_2) | instskip(NEXT) | instid1(VALU_DEP_1)
	v_add_nc_u32_e32 v7, 0x3c000000, v7
	v_and_or_b32 v7, 0x7ff00000, v7, v8
	s_delay_alu instid0(VALU_DEP_1) | instskip(NEXT) | instid1(VALU_DEP_1)
	v_cmp_ne_u32_e64 s2, 0, v7
	s_and_b32 s2, vcc_lo, s2
	s_delay_alu instid0(SALU_CYCLE_1) | instskip(NEXT) | instid1(SALU_CYCLE_1)
	s_and_b32 s2, s2, exec_lo
	s_or_b32 s22, s22, s2
.LBB7_347:
	s_mov_b32 s2, 0
.LBB7_348:
	s_delay_alu instid0(SALU_CYCLE_1)
	s_and_not1_b32 vcc_lo, exec_lo, s2
	s_cbranch_vccnz .LBB7_350
; %bb.349:
	global_load_u8 v6, v[1:2], off
	s_and_not1_b32 s2, s22, exec_lo
	s_waitcnt vmcnt(0)
	v_lshlrev_b32_e32 v7, 25, v6
	v_lshlrev_b32_e32 v6, 8, v6
	s_delay_alu instid0(VALU_DEP_2) | instskip(NEXT) | instid1(VALU_DEP_2)
	v_lshrrev_b32_e32 v8, 4, v7
	v_and_or_b32 v6, 0x7f00, v6, 0.5
	s_delay_alu instid0(VALU_DEP_2) | instskip(NEXT) | instid1(VALU_DEP_2)
	v_or_b32_e32 v8, 0x70000000, v8
	v_add_f32_e32 v6, -0.5, v6
	s_delay_alu instid0(VALU_DEP_2) | instskip(SKIP_1) | instid1(VALU_DEP_2)
	v_mul_f32_e32 v8, 0x7800000, v8
	v_cmp_gt_u32_e32 vcc_lo, 0x8000000, v7
	v_cndmask_b32_e32 v6, v8, v6, vcc_lo
	s_delay_alu instid0(VALU_DEP_1) | instskip(SKIP_1) | instid1(SALU_CYCLE_1)
	v_cmp_neq_f32_e32 vcc_lo, 0, v6
	s_and_b32 s22, vcc_lo, exec_lo
	s_or_b32 s22, s2, s22
.LBB7_350:
	s_mov_b32 s23, 0
	s_mov_b32 s2, -1
.LBB7_351:
	s_and_not1_b32 vcc_lo, exec_lo, s23
	s_cbranch_vccnz .LBB7_362
; %bb.352:
	v_cmp_lt_i16_e32 vcc_lo, 14, v4
	s_cbranch_vccz .LBB7_355
; %bb.353:
	v_cmp_eq_u16_e32 vcc_lo, 15, v4
	s_cbranch_vccz .LBB7_356
; %bb.354:
	global_load_u16 v6, v[1:2], off
	s_mov_b32 s3, 0
	s_mov_b32 s2, -1
	s_waitcnt vmcnt(0)
	v_and_b32_e32 v6, 0x7fff, v6
	s_delay_alu instid0(VALU_DEP_1)
	v_cmp_ne_u16_e32 vcc_lo, 0, v6
	s_and_b32 s22, vcc_lo, exec_lo
	s_branch .LBB7_357
.LBB7_355:
	s_mov_b32 s23, -1
                                        ; implicit-def: $sgpr22
	s_branch .LBB7_358
.LBB7_356:
	s_mov_b32 s3, -1
                                        ; implicit-def: $sgpr22
.LBB7_357:
	s_mov_b32 s23, 0
.LBB7_358:
	s_delay_alu instid0(SALU_CYCLE_1)
	s_and_b32 vcc_lo, exec_lo, s23
	s_cbranch_vccz .LBB7_362
; %bb.359:
	v_cmp_eq_u16_e32 vcc_lo, 11, v4
	s_cbranch_vccz .LBB7_361
; %bb.360:
	global_load_u8 v6, v[1:2], off
	s_mov_b32 s3, 0
	s_mov_b32 s2, -1
	s_waitcnt vmcnt(0)
	v_cmp_ne_u16_e32 vcc_lo, 0, v6
	s_and_b32 s22, vcc_lo, exec_lo
	s_branch .LBB7_362
.LBB7_361:
	s_mov_b32 s3, -1
                                        ; implicit-def: $sgpr22
.LBB7_362:
	s_branch .LBB7_278
.LBB7_363:
	v_cmp_gt_i16_e32 vcc_lo, 5, v4
	s_cbranch_vccnz .LBB7_368
; %bb.364:
	v_cmp_gt_i16_e32 vcc_lo, 8, v4
	s_cbranch_vccnz .LBB7_369
; %bb.365:
	;; [unrolled: 3-line block ×3, first 2 shown]
	v_cmp_lt_i16_e32 vcc_lo, 9, v4
	s_cbranch_vccz .LBB7_371
; %bb.367:
	global_load_b128 v[6:9], v[1:2], off
	s_waitcnt vmcnt(0)
	v_cmp_neq_f64_e32 vcc_lo, 0, v[6:7]
	v_cmp_neq_f64_e64 s2, 0, v[8:9]
	s_delay_alu instid0(VALU_DEP_1)
	s_or_b32 s22, vcc_lo, s2
	s_mov_b32 s2, 0
	s_and_b32 s22, s22, exec_lo
	s_branch .LBB7_372
.LBB7_368:
	s_mov_b32 s2, -1
                                        ; implicit-def: $sgpr22
	s_branch .LBB7_390
.LBB7_369:
	s_mov_b32 s2, -1
                                        ; implicit-def: $sgpr22
	s_branch .LBB7_378
.LBB7_370:
	s_mov_b32 s2, -1
                                        ; implicit-def: $sgpr22
	s_branch .LBB7_375
.LBB7_371:
	s_mov_b32 s2, -1
                                        ; implicit-def: $sgpr22
.LBB7_372:
	s_delay_alu instid0(SALU_CYCLE_1)
	s_and_not1_b32 vcc_lo, exec_lo, s2
	s_cbranch_vccnz .LBB7_374
; %bb.373:
	global_load_b64 v[6:7], v[1:2], off
	s_and_not1_b32 s2, s22, exec_lo
	s_waitcnt vmcnt(0)
	v_or_b32_e32 v6, v6, v7
	s_delay_alu instid0(VALU_DEP_1) | instskip(NEXT) | instid1(VALU_DEP_1)
	v_and_b32_e32 v6, 0x7fffffff, v6
	v_cmp_ne_u32_e32 vcc_lo, 0, v6
	s_and_b32 s22, vcc_lo, exec_lo
	s_delay_alu instid0(SALU_CYCLE_1)
	s_or_b32 s22, s2, s22
.LBB7_374:
	s_mov_b32 s2, 0
.LBB7_375:
	s_delay_alu instid0(SALU_CYCLE_1)
	s_and_not1_b32 vcc_lo, exec_lo, s2
	s_cbranch_vccnz .LBB7_377
; %bb.376:
	global_load_b32 v6, v[1:2], off
	s_and_not1_b32 s2, s22, exec_lo
	s_waitcnt vmcnt(0)
	v_and_b32_e32 v6, 0x7fff7fff, v6
	s_delay_alu instid0(VALU_DEP_1) | instskip(SKIP_1) | instid1(SALU_CYCLE_1)
	v_cmp_ne_u32_e32 vcc_lo, 0, v6
	s_and_b32 s22, vcc_lo, exec_lo
	s_or_b32 s22, s2, s22
.LBB7_377:
	s_mov_b32 s2, 0
.LBB7_378:
	s_delay_alu instid0(SALU_CYCLE_1)
	s_and_not1_b32 vcc_lo, exec_lo, s2
	s_cbranch_vccnz .LBB7_389
; %bb.379:
	v_cmp_gt_i16_e32 vcc_lo, 6, v4
	s_cbranch_vccnz .LBB7_382
; %bb.380:
	v_cmp_lt_i16_e32 vcc_lo, 6, v4
	s_cbranch_vccz .LBB7_383
; %bb.381:
	global_load_b64 v[6:7], v[1:2], off
	s_mov_b32 s2, 0
	s_waitcnt vmcnt(0)
	v_cmp_neq_f64_e32 vcc_lo, 0, v[6:7]
	s_and_b32 s22, vcc_lo, exec_lo
	s_branch .LBB7_384
.LBB7_382:
	s_mov_b32 s2, -1
                                        ; implicit-def: $sgpr22
	s_branch .LBB7_387
.LBB7_383:
	s_mov_b32 s2, -1
                                        ; implicit-def: $sgpr22
.LBB7_384:
	s_delay_alu instid0(SALU_CYCLE_1)
	s_and_not1_b32 vcc_lo, exec_lo, s2
	s_cbranch_vccnz .LBB7_386
; %bb.385:
	global_load_b32 v6, v[1:2], off
	s_and_not1_b32 s2, s22, exec_lo
	s_waitcnt vmcnt(0)
	v_cmp_neq_f32_e32 vcc_lo, 0, v6
	s_and_b32 s22, vcc_lo, exec_lo
	s_delay_alu instid0(SALU_CYCLE_1)
	s_or_b32 s22, s2, s22
.LBB7_386:
	s_mov_b32 s2, 0
.LBB7_387:
	s_delay_alu instid0(SALU_CYCLE_1)
	s_and_not1_b32 vcc_lo, exec_lo, s2
	s_cbranch_vccnz .LBB7_389
; %bb.388:
	global_load_u16 v6, v[1:2], off
	s_and_not1_b32 s2, s22, exec_lo
	s_waitcnt vmcnt(0)
	v_and_b32_e32 v6, 0x7fff, v6
	s_delay_alu instid0(VALU_DEP_1) | instskip(SKIP_1) | instid1(SALU_CYCLE_1)
	v_cmp_ne_u16_e32 vcc_lo, 0, v6
	s_and_b32 s22, vcc_lo, exec_lo
	s_or_b32 s22, s2, s22
.LBB7_389:
	s_mov_b32 s2, 0
.LBB7_390:
	s_delay_alu instid0(SALU_CYCLE_1)
	s_and_not1_b32 vcc_lo, exec_lo, s2
	s_cbranch_vccnz .LBB7_410
; %bb.391:
	v_cmp_gt_i16_e32 vcc_lo, 2, v4
	s_cbranch_vccnz .LBB7_395
; %bb.392:
	v_cmp_gt_i16_e32 vcc_lo, 3, v4
	s_cbranch_vccnz .LBB7_396
; %bb.393:
	v_cmp_lt_i16_e32 vcc_lo, 3, v4
	s_cbranch_vccz .LBB7_397
; %bb.394:
	global_load_b64 v[6:7], v[1:2], off
	s_mov_b32 s2, 0
	s_waitcnt vmcnt(0)
	v_cmp_ne_u64_e32 vcc_lo, 0, v[6:7]
	s_and_b32 s22, vcc_lo, exec_lo
	s_branch .LBB7_398
.LBB7_395:
	s_mov_b32 s2, -1
                                        ; implicit-def: $sgpr22
	s_branch .LBB7_404
.LBB7_396:
	s_mov_b32 s2, -1
                                        ; implicit-def: $sgpr22
	s_branch .LBB7_401
.LBB7_397:
	s_mov_b32 s2, -1
                                        ; implicit-def: $sgpr22
.LBB7_398:
	s_delay_alu instid0(SALU_CYCLE_1)
	s_and_not1_b32 vcc_lo, exec_lo, s2
	s_cbranch_vccnz .LBB7_400
; %bb.399:
	global_load_b32 v6, v[1:2], off
	s_and_not1_b32 s2, s22, exec_lo
	s_waitcnt vmcnt(0)
	v_cmp_ne_u32_e32 vcc_lo, 0, v6
	s_and_b32 s22, vcc_lo, exec_lo
	s_delay_alu instid0(SALU_CYCLE_1)
	s_or_b32 s22, s2, s22
.LBB7_400:
	s_mov_b32 s2, 0
.LBB7_401:
	s_delay_alu instid0(SALU_CYCLE_1)
	s_and_not1_b32 vcc_lo, exec_lo, s2
	s_cbranch_vccnz .LBB7_403
; %bb.402:
	global_load_u16 v6, v[1:2], off
	s_and_not1_b32 s2, s22, exec_lo
	s_waitcnt vmcnt(0)
	v_cmp_ne_u16_e32 vcc_lo, 0, v6
	s_and_b32 s22, vcc_lo, exec_lo
	s_delay_alu instid0(SALU_CYCLE_1)
	s_or_b32 s22, s2, s22
.LBB7_403:
	s_mov_b32 s2, 0
.LBB7_404:
	s_delay_alu instid0(SALU_CYCLE_1)
	s_and_not1_b32 vcc_lo, exec_lo, s2
	s_cbranch_vccnz .LBB7_410
; %bb.405:
	v_cmp_lt_i16_e32 vcc_lo, 0, v4
	s_mov_b32 s2, 0
	s_cbranch_vccz .LBB7_407
; %bb.406:
	global_load_u8 v6, v[1:2], off
	s_waitcnt vmcnt(0)
	v_cmp_ne_u16_e32 vcc_lo, 0, v6
	s_and_b32 s22, vcc_lo, exec_lo
	s_branch .LBB7_408
.LBB7_407:
	s_mov_b32 s2, -1
                                        ; implicit-def: $sgpr22
.LBB7_408:
	s_delay_alu instid0(SALU_CYCLE_1)
	s_and_not1_b32 vcc_lo, exec_lo, s2
	s_cbranch_vccnz .LBB7_410
; %bb.409:
	global_load_u8 v1, v[1:2], off
	s_and_not1_b32 s2, s22, exec_lo
	s_waitcnt vmcnt(0)
	v_cmp_ne_u16_e32 vcc_lo, 0, v1
	s_and_b32 s22, vcc_lo, exec_lo
	s_delay_alu instid0(SALU_CYCLE_1)
	s_or_b32 s22, s2, s22
.LBB7_410:
	s_branch .LBB7_279
.LBB7_411:
	s_mov_b32 s22, 0
	s_mov_b32 s2, s34
	s_branch .LBB7_521
.LBB7_412:
	s_mov_b32 s2, s34
.LBB7_413:
	s_and_b32 vcc_lo, exec_lo, s23
	s_cbranch_vccz .LBB7_418
; %bb.414:
	v_cmp_eq_u16_e32 vcc_lo, 44, v2
	s_mov_b32 s2, -1
	s_cbranch_vccz .LBB7_418
; %bb.415:
	v_cndmask_b32_e64 v8, 0, 1.0, s3
	v_mov_b32_e32 v7, 0xff
	s_mov_b32 s22, exec_lo
	s_delay_alu instid0(VALU_DEP_2) | instskip(NEXT) | instid1(VALU_DEP_1)
	v_lshrrev_b32_e32 v6, 23, v8
	v_cmpx_ne_u32_e32 0xff, v6
; %bb.416:
	v_and_b32_e32 v7, 0x400000, v8
	v_and_or_b32 v8, 0x3fffff, v8, v6
	s_delay_alu instid0(VALU_DEP_2) | instskip(NEXT) | instid1(VALU_DEP_2)
	v_cmp_ne_u32_e32 vcc_lo, 0, v7
	v_cmp_ne_u32_e64 s2, 0, v8
	s_delay_alu instid0(VALU_DEP_1) | instskip(NEXT) | instid1(SALU_CYCLE_1)
	s_and_b32 s2, vcc_lo, s2
	v_cndmask_b32_e64 v7, 0, 1, s2
	s_delay_alu instid0(VALU_DEP_1)
	v_add_nc_u32_e32 v7, v6, v7
; %bb.417:
	s_or_b32 exec_lo, exec_lo, s22
	s_mov_b32 s22, -1
	s_mov_b32 s2, 0
	global_store_b8 v[0:1], v7, off
.LBB7_418:
	s_mov_b32 s23, 0
.LBB7_419:
	s_delay_alu instid0(SALU_CYCLE_1)
	s_and_b32 vcc_lo, exec_lo, s23
	s_cbranch_vccz .LBB7_422
; %bb.420:
	v_cmp_eq_u16_e32 vcc_lo, 29, v2
	s_mov_b32 s2, -1
	s_cbranch_vccz .LBB7_422
; %bb.421:
	s_mov_b32 s2, 0
	v_cndmask_b32_e64 v6, 0, 1, s3
	v_mov_b32_e32 v7, s2
	s_mov_b32 s22, -1
	s_mov_b32 s23, 0
	global_store_b64 v[0:1], v[6:7], off
	s_branch .LBB7_423
.LBB7_422:
	s_mov_b32 s23, 0
.LBB7_423:
	s_delay_alu instid0(SALU_CYCLE_1)
	s_and_b32 vcc_lo, exec_lo, s23
	s_cbranch_vccz .LBB7_439
; %bb.424:
	v_cmp_gt_i16_e32 vcc_lo, 27, v2
	s_mov_b32 s22, -1
	s_cbranch_vccnz .LBB7_430
; %bb.425:
	v_cmp_lt_i16_e32 vcc_lo, 27, v2
	s_cbranch_vccz .LBB7_427
; %bb.426:
	v_cndmask_b32_e64 v6, 0, 1, s3
	s_mov_b32 s22, 0
	global_store_b32 v[0:1], v6, off
.LBB7_427:
	s_and_not1_b32 vcc_lo, exec_lo, s22
	s_cbranch_vccnz .LBB7_429
; %bb.428:
	v_cndmask_b32_e64 v6, 0, 1, s3
	global_store_b16 v[0:1], v6, off
.LBB7_429:
	s_mov_b32 s22, 0
.LBB7_430:
	s_delay_alu instid0(SALU_CYCLE_1)
	s_and_not1_b32 vcc_lo, exec_lo, s22
	s_cbranch_vccnz .LBB7_438
; %bb.431:
	v_cndmask_b32_e64 v7, 0, 1.0, s3
	v_mov_b32_e32 v8, 0x80
	s_mov_b32 s22, exec_lo
	s_delay_alu instid0(VALU_DEP_2)
	v_cmpx_gt_u32_e32 0x43800000, v7
	s_cbranch_execz .LBB7_437
; %bb.432:
	s_mov_b32 s23, 0
	s_mov_b32 s37, exec_lo
                                        ; implicit-def: $vgpr6
	v_cmpx_lt_u32_e32 0x3bffffff, v7
	s_xor_b32 s37, exec_lo, s37
	s_cbranch_execnz .LBB7_556
; %bb.433:
	s_or_saveexec_b32 s37, s37
                                        ; implicit-def: $sgpr38
	s_delay_alu instid0(SALU_CYCLE_1)
	s_xor_b32 exec_lo, exec_lo, s37
	s_cbranch_execnz .LBB7_557
.LBB7_434:
	s_or_b32 exec_lo, exec_lo, s37
	v_mov_b32_e32 v8, s38
	s_and_saveexec_b32 s37, s23
.LBB7_435:
	v_mov_b32_e32 v8, v6
.LBB7_436:
	s_or_b32 exec_lo, exec_lo, s37
.LBB7_437:
	s_delay_alu instid0(SALU_CYCLE_1)
	s_or_b32 exec_lo, exec_lo, s22
	global_store_b8 v[0:1], v8, off
.LBB7_438:
	s_mov_b32 s22, -1
.LBB7_439:
	s_mov_b32 s23, 0
.LBB7_440:
	s_delay_alu instid0(SALU_CYCLE_1)
	s_and_b32 vcc_lo, exec_lo, s23
	s_cbranch_vccz .LBB7_481
; %bb.441:
	v_cmp_lt_i16_e32 vcc_lo, 22, v2
	s_mov_b32 s23, -1
	s_cbranch_vccz .LBB7_473
; %bb.442:
	v_cmp_gt_i16_e32 vcc_lo, 24, v2
	s_mov_b32 s22, -1
	s_cbranch_vccnz .LBB7_462
; %bb.443:
	v_cmp_lt_i16_e32 vcc_lo, 24, v2
	s_cbranch_vccz .LBB7_451
; %bb.444:
	v_cndmask_b32_e64 v7, 0, 1.0, s3
	v_mov_b32_e32 v8, 0x80
	s_mov_b32 s22, exec_lo
	s_delay_alu instid0(VALU_DEP_2)
	v_cmpx_gt_u32_e32 0x47800000, v7
	s_cbranch_execz .LBB7_450
; %bb.445:
	s_mov_b32 s23, 0
	s_mov_b32 s37, exec_lo
                                        ; implicit-def: $vgpr6
	v_cmpx_lt_u32_e32 0x37ffffff, v7
	s_xor_b32 s37, exec_lo, s37
	s_cbranch_execnz .LBB7_825
; %bb.446:
	s_or_saveexec_b32 s37, s37
                                        ; implicit-def: $sgpr38
	s_delay_alu instid0(SALU_CYCLE_1)
	s_xor_b32 exec_lo, exec_lo, s37
	s_cbranch_execnz .LBB7_826
.LBB7_447:
	s_or_b32 exec_lo, exec_lo, s37
	v_mov_b32_e32 v8, s38
	s_and_saveexec_b32 s37, s23
.LBB7_448:
	v_mov_b32_e32 v8, v6
.LBB7_449:
	s_or_b32 exec_lo, exec_lo, s37
.LBB7_450:
	s_delay_alu instid0(SALU_CYCLE_1)
	s_or_b32 exec_lo, exec_lo, s22
	s_mov_b32 s22, 0
	global_store_b8 v[0:1], v8, off
.LBB7_451:
	s_and_b32 vcc_lo, exec_lo, s22
	s_cbranch_vccz .LBB7_461
; %bb.452:
	v_cndmask_b32_e64 v7, 0, 1.0, s3
	s_mov_b32 s22, exec_lo
                                        ; implicit-def: $vgpr6
	s_delay_alu instid0(VALU_DEP_1)
	v_cmpx_gt_u32_e32 0x43f00000, v7
	s_xor_b32 s22, exec_lo, s22
	s_cbranch_execz .LBB7_458
; %bb.453:
	s_mov_b32 s23, exec_lo
                                        ; implicit-def: $vgpr6
	v_cmpx_lt_u32_e32 0x3c7fffff, v7
	s_xor_b32 s23, exec_lo, s23
; %bb.454:
	v_bfe_u32 v6, v7, 20, 1
	s_delay_alu instid0(VALU_DEP_1) | instskip(NEXT) | instid1(VALU_DEP_1)
	v_add3_u32 v6, v7, v6, 0x407ffff
	v_and_b32_e32 v7, 0xff00000, v6
	v_lshrrev_b32_e32 v6, 20, v6
	s_delay_alu instid0(VALU_DEP_2) | instskip(NEXT) | instid1(VALU_DEP_2)
	v_cmp_ne_u32_e32 vcc_lo, 0x7f00000, v7
                                        ; implicit-def: $vgpr7
	v_cndmask_b32_e32 v6, 0x7e, v6, vcc_lo
; %bb.455:
	s_and_not1_saveexec_b32 s23, s23
; %bb.456:
	v_add_f32_e32 v6, 0x46800000, v7
; %bb.457:
	s_or_b32 exec_lo, exec_lo, s23
                                        ; implicit-def: $vgpr7
.LBB7_458:
	s_and_not1_saveexec_b32 s22, s22
; %bb.459:
	v_mov_b32_e32 v6, 0x7f
	v_cmp_lt_u32_e32 vcc_lo, 0x7f800000, v7
	s_delay_alu instid0(VALU_DEP_2)
	v_cndmask_b32_e32 v6, 0x7e, v6, vcc_lo
; %bb.460:
	s_or_b32 exec_lo, exec_lo, s22
	global_store_b8 v[0:1], v6, off
.LBB7_461:
	s_mov_b32 s22, 0
.LBB7_462:
	s_delay_alu instid0(SALU_CYCLE_1)
	s_and_not1_b32 vcc_lo, exec_lo, s22
	s_cbranch_vccnz .LBB7_472
; %bb.463:
	v_cndmask_b32_e64 v7, 0, 1.0, s3
	s_mov_b32 s22, exec_lo
                                        ; implicit-def: $vgpr6
	s_delay_alu instid0(VALU_DEP_1)
	v_cmpx_gt_u32_e32 0x47800000, v7
	s_xor_b32 s22, exec_lo, s22
	s_cbranch_execz .LBB7_469
; %bb.464:
	s_mov_b32 s23, exec_lo
                                        ; implicit-def: $vgpr6
	v_cmpx_lt_u32_e32 0x387fffff, v7
	s_xor_b32 s23, exec_lo, s23
; %bb.465:
	v_bfe_u32 v6, v7, 21, 1
	s_delay_alu instid0(VALU_DEP_1) | instskip(NEXT) | instid1(VALU_DEP_1)
	v_add3_u32 v6, v7, v6, 0x80fffff
                                        ; implicit-def: $vgpr7
	v_lshrrev_b32_e32 v6, 21, v6
; %bb.466:
	s_and_not1_saveexec_b32 s23, s23
; %bb.467:
	v_add_f32_e32 v6, 0x43000000, v7
; %bb.468:
	s_or_b32 exec_lo, exec_lo, s23
                                        ; implicit-def: $vgpr7
.LBB7_469:
	s_and_not1_saveexec_b32 s22, s22
; %bb.470:
	v_mov_b32_e32 v6, 0x7f
	v_cmp_lt_u32_e32 vcc_lo, 0x7f800000, v7
	s_delay_alu instid0(VALU_DEP_2)
	v_cndmask_b32_e32 v6, 0x7c, v6, vcc_lo
; %bb.471:
	s_or_b32 exec_lo, exec_lo, s22
	global_store_b8 v[0:1], v6, off
.LBB7_472:
	s_mov_b32 s23, 0
	s_mov_b32 s22, -1
.LBB7_473:
	s_and_not1_b32 vcc_lo, exec_lo, s23
	s_cbranch_vccnz .LBB7_481
; %bb.474:
	v_cmp_lt_i16_e32 vcc_lo, 14, v2
	s_mov_b32 s23, -1
	s_cbranch_vccz .LBB7_478
; %bb.475:
	v_cmp_eq_u16_e32 vcc_lo, 15, v2
	s_mov_b32 s2, -1
	s_cbranch_vccz .LBB7_477
; %bb.476:
	v_cndmask_b32_e64 v6, 0, 1.0, s3
	s_mov_b32 s22, -1
	s_mov_b32 s2, 0
	s_delay_alu instid0(VALU_DEP_1) | instskip(NEXT) | instid1(VALU_DEP_1)
	v_bfe_u32 v7, v6, 16, 1
	v_add3_u32 v6, v6, v7, 0x7fff
	global_store_d16_hi_b16 v[0:1], v6, off
.LBB7_477:
	s_mov_b32 s23, 0
.LBB7_478:
	s_delay_alu instid0(SALU_CYCLE_1)
	s_and_b32 vcc_lo, exec_lo, s23
	s_cbranch_vccz .LBB7_481
; %bb.479:
	v_cmp_eq_u16_e32 vcc_lo, 11, v2
	s_mov_b32 s2, -1
	s_cbranch_vccz .LBB7_481
; %bb.480:
	v_cndmask_b32_e64 v6, 0, 1, s3
	s_mov_b32 s22, -1
	s_mov_b32 s2, 0
	global_store_b8 v[0:1], v6, off
.LBB7_481:
	s_branch .LBB7_281
.LBB7_482:
	v_cmp_gt_i16_e32 vcc_lo, 5, v2
	s_mov_b32 s22, -1
	s_cbranch_vccnz .LBB7_503
; %bb.483:
	v_cmp_gt_i16_e32 vcc_lo, 8, v2
	s_cbranch_vccnz .LBB7_493
; %bb.484:
	v_cmp_gt_i16_e32 vcc_lo, 9, v2
	s_cbranch_vccnz .LBB7_490
; %bb.485:
	v_cmp_lt_i16_e32 vcc_lo, 9, v2
	s_cbranch_vccz .LBB7_487
; %bb.486:
	v_cndmask_b32_e64 v6, 0, 1, s3
	v_mov_b32_e32 v8, 0
	s_mov_b32 s22, 0
	s_delay_alu instid0(VALU_DEP_2) | instskip(NEXT) | instid1(VALU_DEP_2)
	v_cvt_f64_u32_e32 v[6:7], v6
	v_mov_b32_e32 v9, v8
	global_store_b128 v[0:1], v[6:9], off
.LBB7_487:
	s_and_not1_b32 vcc_lo, exec_lo, s22
	s_cbranch_vccnz .LBB7_489
; %bb.488:
	v_cndmask_b32_e64 v6, 0, 1.0, s3
	v_mov_b32_e32 v7, 0
	global_store_b64 v[0:1], v[6:7], off
.LBB7_489:
	s_mov_b32 s22, 0
.LBB7_490:
	s_delay_alu instid0(SALU_CYCLE_1)
	s_and_not1_b32 vcc_lo, exec_lo, s22
	s_cbranch_vccnz .LBB7_492
; %bb.491:
	v_cndmask_b32_e64 v6, 0, 1.0, s3
	s_delay_alu instid0(VALU_DEP_1) | instskip(NEXT) | instid1(VALU_DEP_1)
	v_cvt_f16_f32_e32 v6, v6
	v_and_b32_e32 v6, 0xffff, v6
	global_store_b32 v[0:1], v6, off
.LBB7_492:
	s_mov_b32 s22, 0
.LBB7_493:
	s_delay_alu instid0(SALU_CYCLE_1)
	s_and_not1_b32 vcc_lo, exec_lo, s22
	s_cbranch_vccnz .LBB7_502
; %bb.494:
	v_cmp_gt_i16_e32 vcc_lo, 6, v2
	s_mov_b32 s22, -1
	s_cbranch_vccnz .LBB7_500
; %bb.495:
	v_cmp_lt_i16_e32 vcc_lo, 6, v2
	s_cbranch_vccz .LBB7_497
; %bb.496:
	v_cndmask_b32_e64 v6, 0, 1, s3
	s_mov_b32 s22, 0
	s_delay_alu instid0(VALU_DEP_1)
	v_cvt_f64_u32_e32 v[6:7], v6
	global_store_b64 v[0:1], v[6:7], off
.LBB7_497:
	s_and_not1_b32 vcc_lo, exec_lo, s22
	s_cbranch_vccnz .LBB7_499
; %bb.498:
	v_cndmask_b32_e64 v6, 0, 1.0, s3
	global_store_b32 v[0:1], v6, off
.LBB7_499:
	s_mov_b32 s22, 0
.LBB7_500:
	s_delay_alu instid0(SALU_CYCLE_1)
	s_and_not1_b32 vcc_lo, exec_lo, s22
	s_cbranch_vccnz .LBB7_502
; %bb.501:
	v_cndmask_b32_e64 v6, 0, 1.0, s3
	s_delay_alu instid0(VALU_DEP_1)
	v_cvt_f16_f32_e32 v6, v6
	global_store_b16 v[0:1], v6, off
.LBB7_502:
	s_mov_b32 s22, 0
.LBB7_503:
	s_delay_alu instid0(SALU_CYCLE_1)
	s_and_not1_b32 vcc_lo, exec_lo, s22
	s_cbranch_vccnz .LBB7_519
; %bb.504:
	v_cmp_gt_i16_e32 vcc_lo, 2, v2
	s_mov_b32 s22, -1
	s_cbranch_vccnz .LBB7_514
; %bb.505:
	v_cmp_gt_i16_e32 vcc_lo, 3, v2
	s_cbranch_vccnz .LBB7_511
; %bb.506:
	v_cmp_lt_i16_e32 vcc_lo, 3, v2
	s_cbranch_vccz .LBB7_508
; %bb.507:
	s_mov_b32 s22, 0
	v_cndmask_b32_e64 v6, 0, 1, s3
	v_mov_b32_e32 v7, s22
	global_store_b64 v[0:1], v[6:7], off
.LBB7_508:
	s_and_not1_b32 vcc_lo, exec_lo, s22
	s_cbranch_vccnz .LBB7_510
; %bb.509:
	v_cndmask_b32_e64 v6, 0, 1, s3
	global_store_b32 v[0:1], v6, off
.LBB7_510:
	s_mov_b32 s22, 0
.LBB7_511:
	s_delay_alu instid0(SALU_CYCLE_1)
	s_and_not1_b32 vcc_lo, exec_lo, s22
	s_cbranch_vccnz .LBB7_513
; %bb.512:
	v_cndmask_b32_e64 v6, 0, 1, s3
	global_store_b16 v[0:1], v6, off
.LBB7_513:
	s_mov_b32 s22, 0
.LBB7_514:
	s_delay_alu instid0(SALU_CYCLE_1)
	s_and_not1_b32 vcc_lo, exec_lo, s22
	s_cbranch_vccnz .LBB7_519
; %bb.515:
	v_cmp_lt_i16_e32 vcc_lo, 0, v2
	s_mov_b32 s22, -1
	s_cbranch_vccz .LBB7_517
; %bb.516:
	v_cndmask_b32_e64 v2, 0, 1, s3
	s_mov_b32 s22, 0
	global_store_b8 v[0:1], v2, off
.LBB7_517:
	s_and_not1_b32 vcc_lo, exec_lo, s22
	s_cbranch_vccnz .LBB7_519
; %bb.518:
	v_cndmask_b32_e64 v2, 0, 1, s3
	global_store_b8 v[0:1], v2, off
.LBB7_519:
	s_mov_b32 s3, 0
	s_branch .LBB7_282
.LBB7_520:
	s_mov_b32 s22, 0
.LBB7_521:
                                        ; implicit-def: $vgpr5
.LBB7_522:
	s_and_not1_b32 s23, s34, exec_lo
	s_and_b32 s2, s2, exec_lo
	s_and_not1_b32 s37, s35, exec_lo
	s_and_b32 s3, s3, exec_lo
	s_or_b32 s38, s23, s2
	s_or_b32 s37, s37, s3
	s_or_not1_b32 s22, s22, exec_lo
.LBB7_523:
	s_or_b32 exec_lo, exec_lo, s39
	s_mov_b32 s3, 0
	s_mov_b32 s2, 0
	;; [unrolled: 1-line block ×3, first 2 shown]
                                        ; implicit-def: $sgpr40
                                        ; implicit-def: $vgpr1_vgpr2
                                        ; implicit-def: $vgpr0
	s_and_saveexec_b32 s39, s22
	s_cbranch_execz .LBB7_891
; %bb.524:
	s_mov_b32 s43, -1
	s_mov_b32 s22, s37
	s_mov_b32 s23, s38
	s_mov_b32 s40, exec_lo
	v_cmpx_gt_i32_e64 s30, v5
	s_cbranch_execz .LBB7_798
; %bb.525:
	s_and_not1_b32 vcc_lo, exec_lo, s27
	s_cbranch_vccnz .LBB7_530
; %bb.526:
	v_dual_mov_b32 v0, 0 :: v_dual_mov_b32 v1, 0
	s_and_not1_b32 vcc_lo, exec_lo, s33
	s_mov_b32 s41, 0
	s_cbranch_vccnz .LBB7_535
; %bb.527:
	v_mov_b32_e32 v0, 0
	s_add_i32 s43, s31, 1
	s_cmp_eq_u32 s25, 2
	s_mov_b32 s42, 0
	s_cbranch_scc1 .LBB7_531
; %bb.528:
	v_dual_mov_b32 v1, 0 :: v_dual_mov_b32 v0, 0
	v_mov_b32_e32 v2, v5
	s_and_b32 s42, s43, 28
	s_mov_b32 s44, 0
	s_mov_b64 s[2:3], s[20:21]
	s_mov_b64 s[22:23], s[16:17]
.LBB7_529:                              ; =>This Inner Loop Header: Depth=1
	s_clause 0x1
	s_load_b256 s[48:55], s[22:23], 0x4
	s_load_b128 s[64:67], s[22:23], 0x24
	s_load_b256 s[56:63], s[2:3], 0x0
	s_add_u32 s22, s22, 48
	s_addc_u32 s23, s23, 0
	s_add_i32 s44, s44, 4
	s_add_u32 s2, s2, 32
	s_addc_u32 s3, s3, 0
	s_cmp_eq_u32 s42, s44
	s_waitcnt lgkmcnt(0)
	v_mul_hi_u32 v6, s49, v2
	s_delay_alu instid0(VALU_DEP_1) | instskip(NEXT) | instid1(VALU_DEP_1)
	v_add_nc_u32_e32 v6, v2, v6
	v_lshrrev_b32_e32 v6, s50, v6
	s_delay_alu instid0(VALU_DEP_1) | instskip(SKIP_1) | instid1(VALU_DEP_2)
	v_mul_hi_u32 v7, s52, v6
	v_mul_lo_u32 v9, v6, s48
	v_add_nc_u32_e32 v7, v6, v7
	s_delay_alu instid0(VALU_DEP_2) | instskip(NEXT) | instid1(VALU_DEP_2)
	v_sub_nc_u32_e32 v2, v2, v9
	v_lshrrev_b32_e32 v7, s53, v7
	s_delay_alu instid0(VALU_DEP_2) | instskip(SKIP_1) | instid1(VALU_DEP_3)
	v_mul_lo_u32 v9, v2, s56
	v_mul_lo_u32 v11, v2, s57
	v_mul_hi_u32 v8, s55, v7
	s_delay_alu instid0(VALU_DEP_1) | instskip(NEXT) | instid1(VALU_DEP_1)
	v_add_nc_u32_e32 v8, v7, v8
	v_lshrrev_b32_e32 v8, s64, v8
	s_delay_alu instid0(VALU_DEP_1) | instskip(SKIP_1) | instid1(VALU_DEP_2)
	v_mul_hi_u32 v10, s66, v8
	v_mul_lo_u32 v12, v8, s54
	v_add_nc_u32_e32 v2, v8, v10
	v_mul_lo_u32 v10, v7, s51
	s_delay_alu instid0(VALU_DEP_3) | instskip(NEXT) | instid1(VALU_DEP_3)
	v_sub_nc_u32_e32 v7, v7, v12
	v_lshrrev_b32_e32 v2, s67, v2
	s_delay_alu instid0(VALU_DEP_2) | instskip(SKIP_2) | instid1(VALU_DEP_4)
	v_mul_lo_u32 v12, v7, s60
	v_mul_lo_u32 v7, v7, s61
	v_sub_nc_u32_e32 v6, v6, v10
	v_mul_lo_u32 v13, v2, s65
	s_delay_alu instid0(VALU_DEP_2) | instskip(SKIP_1) | instid1(VALU_DEP_3)
	v_mul_lo_u32 v10, v6, s58
	v_mul_lo_u32 v6, v6, s59
	v_sub_nc_u32_e32 v8, v8, v13
	s_delay_alu instid0(VALU_DEP_3) | instskip(NEXT) | instid1(VALU_DEP_2)
	v_add3_u32 v0, v9, v0, v10
	v_mul_lo_u32 v13, v8, s62
	v_mul_lo_u32 v8, v8, s63
	v_add3_u32 v1, v11, v1, v6
	s_delay_alu instid0(VALU_DEP_3) | instskip(NEXT) | instid1(VALU_DEP_2)
	v_add3_u32 v0, v12, v0, v13
	v_add3_u32 v1, v7, v1, v8
	s_cbranch_scc0 .LBB7_529
	s_branch .LBB7_532
.LBB7_530:
	s_mov_b32 s41, -1
                                        ; implicit-def: $vgpr0
                                        ; implicit-def: $vgpr1
	s_branch .LBB7_535
.LBB7_531:
	v_dual_mov_b32 v2, v5 :: v_dual_mov_b32 v1, 0
.LBB7_532:
	s_and_b32 s43, s43, 3
	s_delay_alu instid0(SALU_CYCLE_1)
	s_cmp_eq_u32 s43, 0
	s_cbranch_scc1 .LBB7_535
; %bb.533:
	s_lshl_b32 s2, s42, 3
	s_mul_i32 s22, s42, 12
	s_add_u32 s2, s2, s16
	s_addc_u32 s3, s17, 0
	s_add_u32 s2, s2, 0xc4
	s_addc_u32 s3, s3, 0
	;; [unrolled: 2-line block ×3, first 2 shown]
	.p2align	6
.LBB7_534:                              ; =>This Inner Loop Header: Depth=1
	s_clause 0x1
	s_load_b64 s[44:45], s[22:23], 0x4
	s_load_b32 s42, s[22:23], 0xc
	s_load_b64 s[46:47], s[2:3], 0x0
	s_add_u32 s22, s22, 12
	s_addc_u32 s23, s23, 0
	s_add_u32 s2, s2, 8
	s_addc_u32 s3, s3, 0
	s_add_i32 s43, s43, -1
	s_delay_alu instid0(SALU_CYCLE_1) | instskip(SKIP_2) | instid1(VALU_DEP_1)
	s_cmp_lg_u32 s43, 0
	s_waitcnt lgkmcnt(0)
	v_mul_hi_u32 v6, s45, v2
	v_add_nc_u32_e32 v6, v2, v6
	s_delay_alu instid0(VALU_DEP_1) | instskip(NEXT) | instid1(VALU_DEP_1)
	v_lshrrev_b32_e32 v9, s42, v6
	v_mul_lo_u32 v6, v9, s44
	s_delay_alu instid0(VALU_DEP_1) | instskip(NEXT) | instid1(VALU_DEP_1)
	v_sub_nc_u32_e32 v2, v2, v6
	v_mad_u64_u32 v[6:7], null, v2, s46, v[0:1]
	v_mad_u64_u32 v[7:8], null, v2, s47, v[1:2]
	v_mov_b32_e32 v2, v9
	s_delay_alu instid0(VALU_DEP_2)
	v_dual_mov_b32 v0, v6 :: v_dual_mov_b32 v1, v7
	s_cbranch_scc1 .LBB7_534
.LBB7_535:
	s_and_not1_b32 vcc_lo, exec_lo, s41
	s_cbranch_vccnz .LBB7_538
; %bb.536:
	s_waitcnt lgkmcnt(0)
	v_mul_hi_u32 v0, s13, v5
	s_and_not1_b32 vcc_lo, exec_lo, s29
	s_delay_alu instid0(VALU_DEP_1) | instskip(NEXT) | instid1(VALU_DEP_1)
	v_add_nc_u32_e32 v0, v5, v0
	v_lshrrev_b32_e32 v2, s14, v0
	s_delay_alu instid0(VALU_DEP_1) | instskip(NEXT) | instid1(VALU_DEP_1)
	v_mul_lo_u32 v0, v2, s12
	v_sub_nc_u32_e32 v1, v5, v0
	s_delay_alu instid0(VALU_DEP_1)
	v_mul_lo_u32 v0, v1, s8
	v_mul_lo_u32 v1, v1, s9
	s_cbranch_vccnz .LBB7_538
; %bb.537:
	v_mul_hi_u32 v6, s18, v2
	s_delay_alu instid0(VALU_DEP_1) | instskip(NEXT) | instid1(VALU_DEP_1)
	v_add_nc_u32_e32 v6, v2, v6
	v_lshrrev_b32_e32 v6, s19, v6
	s_delay_alu instid0(VALU_DEP_1) | instskip(NEXT) | instid1(VALU_DEP_1)
	v_mul_lo_u32 v6, v6, s15
	v_sub_nc_u32_e32 v2, v2, v6
	s_delay_alu instid0(VALU_DEP_1) | instskip(SKIP_1) | instid1(VALU_DEP_1)
	v_mad_u64_u32 v[6:7], null, v2, s10, v[0:1]
	v_mad_u64_u32 v[7:8], null, v2, s11, v[1:2]
	v_dual_mov_b32 v0, v6 :: v_dual_mov_b32 v1, v7
.LBB7_538:
	v_cmp_gt_i16_e32 vcc_lo, 11, v4
	s_waitcnt lgkmcnt(0)
	s_delay_alu instid0(VALU_DEP_2) | instskip(NEXT) | instid1(VALU_DEP_1)
	v_add_co_u32 v1, s2, s6, v1
	v_add_co_ci_u32_e64 v2, null, s7, 0, s2
	s_mov_b32 s2, 0
	s_cbranch_vccnz .LBB7_545
; %bb.539:
	v_cmp_lt_i16_e32 vcc_lo, 25, v4
	s_cbranch_vccz .LBB7_546
; %bb.540:
	v_cmp_lt_i16_e32 vcc_lo, 28, v4
	s_cbranch_vccz .LBB7_547
	;; [unrolled: 3-line block ×4, first 2 shown]
; %bb.543:
	v_cmp_eq_u16_e32 vcc_lo, 46, v4
	s_mov_b32 s23, 0
	s_cbranch_vccz .LBB7_558
; %bb.544:
	global_load_b32 v6, v[1:2], off
	s_mov_b32 s3, 0
	s_mov_b32 s2, -1
	s_waitcnt vmcnt(0)
	v_and_b32_e32 v6, 0x7fff7fff, v6
	s_delay_alu instid0(VALU_DEP_1)
	v_cmp_ne_u32_e32 vcc_lo, 0, v6
	s_and_b32 s22, vcc_lo, exec_lo
	s_branch .LBB7_560
.LBB7_545:
	s_mov_b32 s23, -1
	s_mov_b32 s3, s37
                                        ; implicit-def: $sgpr22
	s_branch .LBB7_619
.LBB7_546:
	s_mov_b32 s23, -1
	s_mov_b32 s3, s37
                                        ; implicit-def: $sgpr22
	s_branch .LBB7_585
.LBB7_547:
	s_mov_b32 s23, -1
	s_mov_b32 s3, s37
                                        ; implicit-def: $sgpr22
	s_branch .LBB7_568
.LBB7_548:
	s_mov_b32 s23, -1
	s_mov_b32 s3, s37
                                        ; implicit-def: $sgpr22
	s_branch .LBB7_563
.LBB7_549:
	s_mov_b32 s2, -1
	s_mov_b32 s37, exec_lo
                                        ; implicit-def: $sgpr22
	v_cmpx_eq_u16_e32 0x80, v6
; %bb.550:
	s_mov_b32 s22, -1
	s_xor_b32 s2, exec_lo, -1
; %bb.551:
	s_or_b32 exec_lo, exec_lo, s37
	s_delay_alu instid0(SALU_CYCLE_1)
	s_and_b32 s2, s2, exec_lo
	s_and_not1_saveexec_b32 s23, s23
	s_cbranch_execz .LBB7_335
.LBB7_552:
	v_cmp_ne_u16_e32 vcc_lo, 0, v6
	s_and_not1_b32 s2, s2, exec_lo
	s_and_not1_b32 s22, s22, exec_lo
	s_and_b32 s37, vcc_lo, exec_lo
	s_delay_alu instid0(SALU_CYCLE_1)
	s_or_b32 s2, s2, s37
	s_or_b32 exec_lo, exec_lo, s23
	s_and_saveexec_b32 s23, s2
	s_cbranch_execnz .LBB7_336
	s_branch .LBB7_337
.LBB7_553:
	s_mov_b32 s23, -1
	s_mov_b32 s3, s37
	s_branch .LBB7_559
.LBB7_554:
	v_bfe_u32 v6, v7, 21, 1
	s_mov_b32 s23, exec_lo
	s_delay_alu instid0(VALU_DEP_1) | instskip(NEXT) | instid1(VALU_DEP_1)
	v_add3_u32 v6, v7, v6, 0x88fffff
                                        ; implicit-def: $vgpr7
	v_lshrrev_b32_e32 v6, 21, v6
	s_or_saveexec_b32 s34, s34
                                        ; implicit-def: $sgpr35
	s_delay_alu instid0(SALU_CYCLE_1)
	s_xor_b32 exec_lo, exec_lo, s34
	s_cbranch_execz .LBB7_68
.LBB7_555:
	v_add_f32_e32 v6, 0x42800000, v7
	s_and_not1_b32 s23, s23, exec_lo
	s_mov_b32 s35, 0
	s_delay_alu instid0(VALU_DEP_1) | instskip(NEXT) | instid1(VALU_DEP_1)
	v_and_b32_e32 v6, 0xff, v6
	v_cmp_ne_u32_e32 vcc_lo, 0, v6
	s_and_b32 s38, vcc_lo, exec_lo
	s_delay_alu instid0(SALU_CYCLE_1)
	s_or_b32 s23, s23, s38
	s_or_b32 exec_lo, exec_lo, s34
	v_mov_b32_e32 v8, s35
	s_and_saveexec_b32 s34, s23
	s_cbranch_execnz .LBB7_69
	s_branch .LBB7_70
.LBB7_556:
	v_bfe_u32 v6, v7, 20, 1
	s_mov_b32 s23, exec_lo
	s_delay_alu instid0(VALU_DEP_1) | instskip(NEXT) | instid1(VALU_DEP_1)
	v_add3_u32 v6, v7, v6, 0x487ffff
                                        ; implicit-def: $vgpr7
	v_lshrrev_b32_e32 v6, 20, v6
	s_or_saveexec_b32 s37, s37
                                        ; implicit-def: $sgpr38
	s_delay_alu instid0(SALU_CYCLE_1)
	s_xor_b32 exec_lo, exec_lo, s37
	s_cbranch_execz .LBB7_434
.LBB7_557:
	v_add_f32_e32 v6, 0x46000000, v7
	s_and_not1_b32 s23, s23, exec_lo
	s_mov_b32 s38, 0
	s_delay_alu instid0(VALU_DEP_1) | instskip(NEXT) | instid1(VALU_DEP_1)
	v_and_b32_e32 v6, 0xff, v6
	v_cmp_ne_u32_e32 vcc_lo, 0, v6
	s_and_b32 s40, vcc_lo, exec_lo
	s_delay_alu instid0(SALU_CYCLE_1)
	s_or_b32 s23, s23, s40
	s_or_b32 exec_lo, exec_lo, s37
	v_mov_b32_e32 v8, s38
	s_and_saveexec_b32 s37, s23
	s_cbranch_execnz .LBB7_435
	s_branch .LBB7_436
.LBB7_558:
	s_mov_b32 s3, -1
.LBB7_559:
                                        ; implicit-def: $sgpr22
.LBB7_560:
	s_and_b32 vcc_lo, exec_lo, s23
	s_cbranch_vccz .LBB7_562
; %bb.561:
	v_cmp_eq_u16_e64 s2, 44, v4
	s_or_b32 s22, s22, exec_lo
	s_or_b32 s3, s3, exec_lo
.LBB7_562:
	s_mov_b32 s23, 0
.LBB7_563:
	s_delay_alu instid0(SALU_CYCLE_1)
	s_and_b32 vcc_lo, exec_lo, s23
	s_cbranch_vccz .LBB7_567
; %bb.564:
	v_cmp_eq_u16_e32 vcc_lo, 29, v4
	s_cbranch_vccz .LBB7_566
; %bb.565:
	global_load_b64 v[6:7], v[1:2], off
	s_mov_b32 s2, -1
	s_mov_b32 s3, 0
	s_mov_b32 s23, 0
	s_waitcnt vmcnt(0)
	v_cmp_ne_u64_e32 vcc_lo, 0, v[6:7]
	s_and_b32 s22, vcc_lo, exec_lo
	s_branch .LBB7_568
.LBB7_566:
	s_mov_b32 s3, -1
                                        ; implicit-def: $sgpr22
.LBB7_567:
	s_mov_b32 s23, 0
.LBB7_568:
	s_delay_alu instid0(SALU_CYCLE_1)
	s_and_b32 vcc_lo, exec_lo, s23
	s_cbranch_vccz .LBB7_584
; %bb.569:
	v_cmp_gt_i16_e32 vcc_lo, 27, v4
	s_cbranch_vccnz .LBB7_572
; %bb.570:
	v_cmp_lt_i16_e32 vcc_lo, 27, v4
	s_cbranch_vccz .LBB7_573
; %bb.571:
	global_load_b32 v6, v[1:2], off
	s_mov_b32 s2, 0
	s_waitcnt vmcnt(0)
	v_cmp_ne_u32_e32 vcc_lo, 0, v6
	s_and_b32 s22, vcc_lo, exec_lo
	s_branch .LBB7_574
.LBB7_572:
	s_mov_b32 s2, -1
                                        ; implicit-def: $sgpr22
	s_branch .LBB7_577
.LBB7_573:
	s_mov_b32 s2, -1
                                        ; implicit-def: $sgpr22
.LBB7_574:
	s_delay_alu instid0(SALU_CYCLE_1)
	s_and_not1_b32 vcc_lo, exec_lo, s2
	s_cbranch_vccnz .LBB7_576
; %bb.575:
	global_load_u16 v6, v[1:2], off
	s_and_not1_b32 s2, s22, exec_lo
	s_waitcnt vmcnt(0)
	v_cmp_ne_u16_e32 vcc_lo, 0, v6
	s_and_b32 s22, vcc_lo, exec_lo
	s_delay_alu instid0(SALU_CYCLE_1)
	s_or_b32 s22, s2, s22
.LBB7_576:
	s_mov_b32 s2, 0
.LBB7_577:
	s_delay_alu instid0(SALU_CYCLE_1)
	s_and_not1_b32 vcc_lo, exec_lo, s2
	s_cbranch_vccnz .LBB7_583
; %bb.578:
	global_load_u8 v6, v[1:2], off
	s_mov_b32 s2, 0
	s_mov_b32 s23, exec_lo
                                        ; implicit-def: $sgpr22
	s_waitcnt vmcnt(0)
	v_cmpx_lt_i16_e32 0x7f, v6
	s_xor_b32 s23, exec_lo, s23
	s_cbranch_execnz .LBB7_596
; %bb.579:
	s_and_not1_saveexec_b32 s23, s23
	s_cbranch_execnz .LBB7_599
.LBB7_580:
	s_or_b32 exec_lo, exec_lo, s23
	s_and_saveexec_b32 s23, s2
	s_cbranch_execz .LBB7_582
.LBB7_581:
	v_and_b32_e32 v6, 0xffff, v6
	s_and_not1_b32 s2, s22, exec_lo
	s_delay_alu instid0(VALU_DEP_1) | instskip(NEXT) | instid1(VALU_DEP_1)
	v_and_b32_e32 v7, 7, v6
	v_clz_i32_u32_e32 v8, v7
	s_delay_alu instid0(VALU_DEP_1) | instskip(NEXT) | instid1(VALU_DEP_1)
	v_min_u32_e32 v8, 32, v8
	v_subrev_nc_u32_e32 v9, 28, v8
	v_sub_nc_u32_e32 v8, 29, v8
	s_delay_alu instid0(VALU_DEP_2) | instskip(SKIP_1) | instid1(VALU_DEP_2)
	v_lshlrev_b32_e32 v9, v9, v6
	v_bfe_u32 v6, v6, 3, 4
	v_and_b32_e32 v9, 7, v9
	s_delay_alu instid0(VALU_DEP_2) | instskip(NEXT) | instid1(VALU_DEP_2)
	v_cmp_eq_u32_e32 vcc_lo, 0, v6
	v_dual_cndmask_b32 v6, v6, v8 :: v_dual_cndmask_b32 v7, v7, v9
	s_delay_alu instid0(VALU_DEP_1) | instskip(NEXT) | instid1(VALU_DEP_2)
	v_lshl_add_u32 v6, v6, 23, 0x3b800000
	v_lshlrev_b32_e32 v7, 20, v7
	s_delay_alu instid0(VALU_DEP_1) | instskip(NEXT) | instid1(VALU_DEP_1)
	v_and_or_b32 v6, 0x7f800000, v6, v7
	v_cmp_ne_u32_e32 vcc_lo, 0, v6
	s_and_b32 s22, vcc_lo, exec_lo
	s_delay_alu instid0(SALU_CYCLE_1)
	s_or_b32 s22, s2, s22
.LBB7_582:
	s_or_b32 exec_lo, exec_lo, s23
.LBB7_583:
	s_mov_b32 s2, -1
.LBB7_584:
	s_mov_b32 s23, 0
.LBB7_585:
	s_delay_alu instid0(SALU_CYCLE_1)
	s_and_b32 vcc_lo, exec_lo, s23
	s_cbranch_vccz .LBB7_618
; %bb.586:
	v_cmp_lt_i16_e32 vcc_lo, 22, v4
	s_cbranch_vccz .LBB7_594
; %bb.587:
	v_cmp_gt_i16_e32 vcc_lo, 24, v4
	s_cbranch_vccnz .LBB7_595
; %bb.588:
	v_cmp_lt_i16_e32 vcc_lo, 24, v4
	s_cbranch_vccz .LBB7_600
; %bb.589:
	global_load_u8 v6, v[1:2], off
	s_mov_b32 s2, 0
	s_mov_b32 s23, exec_lo
                                        ; implicit-def: $sgpr22
	s_waitcnt vmcnt(0)
	v_cmpx_lt_i16_e32 0x7f, v6
	s_xor_b32 s23, exec_lo, s23
	s_cbranch_execnz .LBB7_683
; %bb.590:
	s_and_not1_saveexec_b32 s23, s23
	s_cbranch_execnz .LBB7_686
.LBB7_591:
	s_or_b32 exec_lo, exec_lo, s23
	s_and_saveexec_b32 s23, s2
	s_cbranch_execz .LBB7_593
.LBB7_592:
	v_and_b32_e32 v6, 0xffff, v6
	s_and_not1_b32 s2, s22, exec_lo
	s_delay_alu instid0(VALU_DEP_1) | instskip(NEXT) | instid1(VALU_DEP_1)
	v_and_b32_e32 v7, 3, v6
	v_clz_i32_u32_e32 v8, v7
	s_delay_alu instid0(VALU_DEP_1) | instskip(NEXT) | instid1(VALU_DEP_1)
	v_min_u32_e32 v8, 32, v8
	v_subrev_nc_u32_e32 v9, 29, v8
	v_sub_nc_u32_e32 v8, 30, v8
	s_delay_alu instid0(VALU_DEP_2) | instskip(SKIP_1) | instid1(VALU_DEP_2)
	v_lshlrev_b32_e32 v9, v9, v6
	v_bfe_u32 v6, v6, 2, 5
	v_and_b32_e32 v9, 3, v9
	s_delay_alu instid0(VALU_DEP_2) | instskip(NEXT) | instid1(VALU_DEP_2)
	v_cmp_eq_u32_e32 vcc_lo, 0, v6
	v_dual_cndmask_b32 v6, v6, v8 :: v_dual_cndmask_b32 v7, v7, v9
	s_delay_alu instid0(VALU_DEP_1) | instskip(NEXT) | instid1(VALU_DEP_2)
	v_lshl_add_u32 v6, v6, 23, 0x37800000
	v_lshlrev_b32_e32 v7, 21, v7
	s_delay_alu instid0(VALU_DEP_1) | instskip(NEXT) | instid1(VALU_DEP_1)
	v_and_or_b32 v6, 0x7f800000, v6, v7
	v_cmp_ne_u32_e32 vcc_lo, 0, v6
	s_and_b32 s22, vcc_lo, exec_lo
	s_delay_alu instid0(SALU_CYCLE_1)
	s_or_b32 s22, s2, s22
.LBB7_593:
	s_or_b32 exec_lo, exec_lo, s23
	s_mov_b32 s2, 0
	s_branch .LBB7_601
.LBB7_594:
	s_mov_b32 s23, -1
                                        ; implicit-def: $sgpr22
	s_branch .LBB7_607
.LBB7_595:
	s_mov_b32 s2, -1
                                        ; implicit-def: $sgpr22
	s_branch .LBB7_604
.LBB7_596:
	s_mov_b32 s2, -1
	s_mov_b32 s41, exec_lo
                                        ; implicit-def: $sgpr22
	v_cmpx_eq_u16_e32 0x80, v6
; %bb.597:
	s_mov_b32 s22, -1
	s_xor_b32 s2, exec_lo, -1
; %bb.598:
	s_or_b32 exec_lo, exec_lo, s41
	s_delay_alu instid0(SALU_CYCLE_1)
	s_and_b32 s2, s2, exec_lo
	s_and_not1_saveexec_b32 s23, s23
	s_cbranch_execz .LBB7_580
.LBB7_599:
	v_cmp_ne_u16_e32 vcc_lo, 0, v6
	s_and_not1_b32 s2, s2, exec_lo
	s_and_not1_b32 s22, s22, exec_lo
	s_and_b32 s41, vcc_lo, exec_lo
	s_delay_alu instid0(SALU_CYCLE_1)
	s_or_b32 s2, s2, s41
	s_or_b32 exec_lo, exec_lo, s23
	s_and_saveexec_b32 s23, s2
	s_cbranch_execnz .LBB7_581
	s_branch .LBB7_582
.LBB7_600:
	s_mov_b32 s2, -1
                                        ; implicit-def: $sgpr22
.LBB7_601:
	s_delay_alu instid0(SALU_CYCLE_1)
	s_and_b32 vcc_lo, exec_lo, s2
	s_cbranch_vccz .LBB7_603
; %bb.602:
	global_load_u8 v6, v[1:2], off
	s_and_not1_b32 s22, s22, exec_lo
	s_waitcnt vmcnt(0)
	v_lshlrev_b32_e32 v6, 24, v6
	s_delay_alu instid0(VALU_DEP_1) | instskip(NEXT) | instid1(VALU_DEP_1)
	v_and_b32_e32 v6, 0x7f000000, v6
	v_clz_i32_u32_e32 v7, v6
	v_add_nc_u32_e32 v9, 0x1000000, v6
	v_cmp_ne_u32_e32 vcc_lo, 0, v6
	s_delay_alu instid0(VALU_DEP_3) | instskip(NEXT) | instid1(VALU_DEP_3)
	v_min_u32_e32 v7, 32, v7
	v_ashrrev_i32_e32 v9, 8, v9
	s_delay_alu instid0(VALU_DEP_2) | instskip(NEXT) | instid1(VALU_DEP_1)
	v_sub_nc_u32_e64 v7, v7, 4 clamp
	v_lshlrev_b32_e32 v8, v7, v6
	v_lshlrev_b32_e32 v7, 23, v7
	s_delay_alu instid0(VALU_DEP_2) | instskip(NEXT) | instid1(VALU_DEP_1)
	v_lshrrev_b32_e32 v8, 4, v8
	v_sub_nc_u32_e32 v7, v8, v7
	v_and_b32_e32 v8, 0x7f800000, v9
	s_delay_alu instid0(VALU_DEP_2) | instskip(NEXT) | instid1(VALU_DEP_1)
	v_add_nc_u32_e32 v7, 0x3c000000, v7
	v_and_or_b32 v7, 0x7ff00000, v7, v8
	s_delay_alu instid0(VALU_DEP_1) | instskip(NEXT) | instid1(VALU_DEP_1)
	v_cmp_ne_u32_e64 s2, 0, v7
	s_and_b32 s2, vcc_lo, s2
	s_delay_alu instid0(SALU_CYCLE_1) | instskip(NEXT) | instid1(SALU_CYCLE_1)
	s_and_b32 s2, s2, exec_lo
	s_or_b32 s22, s22, s2
.LBB7_603:
	s_mov_b32 s2, 0
.LBB7_604:
	s_delay_alu instid0(SALU_CYCLE_1)
	s_and_not1_b32 vcc_lo, exec_lo, s2
	s_cbranch_vccnz .LBB7_606
; %bb.605:
	global_load_u8 v6, v[1:2], off
	s_and_not1_b32 s2, s22, exec_lo
	s_waitcnt vmcnt(0)
	v_lshlrev_b32_e32 v7, 25, v6
	v_lshlrev_b32_e32 v6, 8, v6
	s_delay_alu instid0(VALU_DEP_2) | instskip(NEXT) | instid1(VALU_DEP_2)
	v_lshrrev_b32_e32 v8, 4, v7
	v_and_or_b32 v6, 0x7f00, v6, 0.5
	s_delay_alu instid0(VALU_DEP_2) | instskip(NEXT) | instid1(VALU_DEP_2)
	v_or_b32_e32 v8, 0x70000000, v8
	v_add_f32_e32 v6, -0.5, v6
	s_delay_alu instid0(VALU_DEP_2) | instskip(SKIP_1) | instid1(VALU_DEP_2)
	v_mul_f32_e32 v8, 0x7800000, v8
	v_cmp_gt_u32_e32 vcc_lo, 0x8000000, v7
	v_cndmask_b32_e32 v6, v8, v6, vcc_lo
	s_delay_alu instid0(VALU_DEP_1) | instskip(SKIP_1) | instid1(SALU_CYCLE_1)
	v_cmp_neq_f32_e32 vcc_lo, 0, v6
	s_and_b32 s22, vcc_lo, exec_lo
	s_or_b32 s22, s2, s22
.LBB7_606:
	s_mov_b32 s23, 0
	s_mov_b32 s2, -1
.LBB7_607:
	s_and_not1_b32 vcc_lo, exec_lo, s23
	s_cbranch_vccnz .LBB7_618
; %bb.608:
	v_cmp_lt_i16_e32 vcc_lo, 14, v4
	s_cbranch_vccz .LBB7_611
; %bb.609:
	v_cmp_eq_u16_e32 vcc_lo, 15, v4
	s_cbranch_vccz .LBB7_612
; %bb.610:
	global_load_u16 v6, v[1:2], off
	s_mov_b32 s3, 0
	s_mov_b32 s2, -1
	s_waitcnt vmcnt(0)
	v_and_b32_e32 v6, 0x7fff, v6
	s_delay_alu instid0(VALU_DEP_1)
	v_cmp_ne_u16_e32 vcc_lo, 0, v6
	s_and_b32 s22, vcc_lo, exec_lo
	s_branch .LBB7_613
.LBB7_611:
	s_mov_b32 s23, -1
                                        ; implicit-def: $sgpr22
	s_branch .LBB7_614
.LBB7_612:
	s_mov_b32 s3, -1
                                        ; implicit-def: $sgpr22
.LBB7_613:
	s_mov_b32 s23, 0
.LBB7_614:
	s_delay_alu instid0(SALU_CYCLE_1)
	s_and_b32 vcc_lo, exec_lo, s23
	s_cbranch_vccz .LBB7_618
; %bb.615:
	v_cmp_eq_u16_e32 vcc_lo, 11, v4
	s_cbranch_vccz .LBB7_617
; %bb.616:
	global_load_u8 v6, v[1:2], off
	s_mov_b32 s3, 0
	s_mov_b32 s2, -1
	s_waitcnt vmcnt(0)
	v_cmp_ne_u16_e32 vcc_lo, 0, v6
	s_and_b32 s22, vcc_lo, exec_lo
	s_branch .LBB7_618
.LBB7_617:
	s_mov_b32 s3, -1
                                        ; implicit-def: $sgpr22
.LBB7_618:
	s_mov_b32 s23, 0
.LBB7_619:
	s_delay_alu instid0(SALU_CYCLE_1)
	s_and_b32 vcc_lo, exec_lo, s23
	s_cbranch_vccz .LBB7_668
; %bb.620:
	v_cmp_gt_i16_e32 vcc_lo, 5, v4
	s_cbranch_vccnz .LBB7_625
; %bb.621:
	v_cmp_gt_i16_e32 vcc_lo, 8, v4
	s_cbranch_vccnz .LBB7_626
	;; [unrolled: 3-line block ×3, first 2 shown]
; %bb.623:
	v_cmp_lt_i16_e32 vcc_lo, 9, v4
	s_cbranch_vccz .LBB7_628
; %bb.624:
	global_load_b128 v[6:9], v[1:2], off
	s_waitcnt vmcnt(0)
	v_cmp_neq_f64_e32 vcc_lo, 0, v[6:7]
	v_cmp_neq_f64_e64 s2, 0, v[8:9]
	s_delay_alu instid0(VALU_DEP_1)
	s_or_b32 s22, vcc_lo, s2
	s_mov_b32 s2, 0
	s_and_b32 s22, s22, exec_lo
	s_branch .LBB7_629
.LBB7_625:
	s_mov_b32 s2, -1
                                        ; implicit-def: $sgpr22
	s_branch .LBB7_647
.LBB7_626:
	s_mov_b32 s2, -1
                                        ; implicit-def: $sgpr22
	s_branch .LBB7_635
.LBB7_627:
	s_mov_b32 s2, -1
                                        ; implicit-def: $sgpr22
	s_branch .LBB7_632
.LBB7_628:
	s_mov_b32 s2, -1
                                        ; implicit-def: $sgpr22
.LBB7_629:
	s_delay_alu instid0(SALU_CYCLE_1)
	s_and_not1_b32 vcc_lo, exec_lo, s2
	s_cbranch_vccnz .LBB7_631
; %bb.630:
	global_load_b64 v[6:7], v[1:2], off
	s_and_not1_b32 s2, s22, exec_lo
	s_waitcnt vmcnt(0)
	v_or_b32_e32 v6, v6, v7
	s_delay_alu instid0(VALU_DEP_1) | instskip(NEXT) | instid1(VALU_DEP_1)
	v_and_b32_e32 v6, 0x7fffffff, v6
	v_cmp_ne_u32_e32 vcc_lo, 0, v6
	s_and_b32 s22, vcc_lo, exec_lo
	s_delay_alu instid0(SALU_CYCLE_1)
	s_or_b32 s22, s2, s22
.LBB7_631:
	s_mov_b32 s2, 0
.LBB7_632:
	s_delay_alu instid0(SALU_CYCLE_1)
	s_and_not1_b32 vcc_lo, exec_lo, s2
	s_cbranch_vccnz .LBB7_634
; %bb.633:
	global_load_b32 v6, v[1:2], off
	s_and_not1_b32 s2, s22, exec_lo
	s_waitcnt vmcnt(0)
	v_and_b32_e32 v6, 0x7fff7fff, v6
	s_delay_alu instid0(VALU_DEP_1) | instskip(SKIP_1) | instid1(SALU_CYCLE_1)
	v_cmp_ne_u32_e32 vcc_lo, 0, v6
	s_and_b32 s22, vcc_lo, exec_lo
	s_or_b32 s22, s2, s22
.LBB7_634:
	s_mov_b32 s2, 0
.LBB7_635:
	s_delay_alu instid0(SALU_CYCLE_1)
	s_and_not1_b32 vcc_lo, exec_lo, s2
	s_cbranch_vccnz .LBB7_646
; %bb.636:
	v_cmp_gt_i16_e32 vcc_lo, 6, v4
	s_cbranch_vccnz .LBB7_639
; %bb.637:
	v_cmp_lt_i16_e32 vcc_lo, 6, v4
	s_cbranch_vccz .LBB7_640
; %bb.638:
	global_load_b64 v[6:7], v[1:2], off
	s_mov_b32 s2, 0
	s_waitcnt vmcnt(0)
	v_cmp_neq_f64_e32 vcc_lo, 0, v[6:7]
	s_and_b32 s22, vcc_lo, exec_lo
	s_branch .LBB7_641
.LBB7_639:
	s_mov_b32 s2, -1
                                        ; implicit-def: $sgpr22
	s_branch .LBB7_644
.LBB7_640:
	s_mov_b32 s2, -1
                                        ; implicit-def: $sgpr22
.LBB7_641:
	s_delay_alu instid0(SALU_CYCLE_1)
	s_and_not1_b32 vcc_lo, exec_lo, s2
	s_cbranch_vccnz .LBB7_643
; %bb.642:
	global_load_b32 v6, v[1:2], off
	s_and_not1_b32 s2, s22, exec_lo
	s_waitcnt vmcnt(0)
	v_cmp_neq_f32_e32 vcc_lo, 0, v6
	s_and_b32 s22, vcc_lo, exec_lo
	s_delay_alu instid0(SALU_CYCLE_1)
	s_or_b32 s22, s2, s22
.LBB7_643:
	s_mov_b32 s2, 0
.LBB7_644:
	s_delay_alu instid0(SALU_CYCLE_1)
	s_and_not1_b32 vcc_lo, exec_lo, s2
	s_cbranch_vccnz .LBB7_646
; %bb.645:
	global_load_u16 v6, v[1:2], off
	s_and_not1_b32 s2, s22, exec_lo
	s_waitcnt vmcnt(0)
	v_and_b32_e32 v6, 0x7fff, v6
	s_delay_alu instid0(VALU_DEP_1) | instskip(SKIP_1) | instid1(SALU_CYCLE_1)
	v_cmp_ne_u16_e32 vcc_lo, 0, v6
	s_and_b32 s22, vcc_lo, exec_lo
	s_or_b32 s22, s2, s22
.LBB7_646:
	s_mov_b32 s2, 0
.LBB7_647:
	s_delay_alu instid0(SALU_CYCLE_1)
	s_and_not1_b32 vcc_lo, exec_lo, s2
	s_cbranch_vccnz .LBB7_667
; %bb.648:
	v_cmp_gt_i16_e32 vcc_lo, 2, v4
	s_cbranch_vccnz .LBB7_652
; %bb.649:
	v_cmp_gt_i16_e32 vcc_lo, 3, v4
	s_cbranch_vccnz .LBB7_653
; %bb.650:
	v_cmp_lt_i16_e32 vcc_lo, 3, v4
	s_cbranch_vccz .LBB7_654
; %bb.651:
	global_load_b64 v[6:7], v[1:2], off
	s_mov_b32 s2, 0
	s_waitcnt vmcnt(0)
	v_cmp_ne_u64_e32 vcc_lo, 0, v[6:7]
	s_and_b32 s22, vcc_lo, exec_lo
	s_branch .LBB7_655
.LBB7_652:
	s_mov_b32 s2, -1
                                        ; implicit-def: $sgpr22
	s_branch .LBB7_661
.LBB7_653:
	s_mov_b32 s2, -1
                                        ; implicit-def: $sgpr22
	s_branch .LBB7_658
.LBB7_654:
	s_mov_b32 s2, -1
                                        ; implicit-def: $sgpr22
.LBB7_655:
	s_delay_alu instid0(SALU_CYCLE_1)
	s_and_not1_b32 vcc_lo, exec_lo, s2
	s_cbranch_vccnz .LBB7_657
; %bb.656:
	global_load_b32 v6, v[1:2], off
	s_and_not1_b32 s2, s22, exec_lo
	s_waitcnt vmcnt(0)
	v_cmp_ne_u32_e32 vcc_lo, 0, v6
	s_and_b32 s22, vcc_lo, exec_lo
	s_delay_alu instid0(SALU_CYCLE_1)
	s_or_b32 s22, s2, s22
.LBB7_657:
	s_mov_b32 s2, 0
.LBB7_658:
	s_delay_alu instid0(SALU_CYCLE_1)
	s_and_not1_b32 vcc_lo, exec_lo, s2
	s_cbranch_vccnz .LBB7_660
; %bb.659:
	global_load_u16 v6, v[1:2], off
	s_and_not1_b32 s2, s22, exec_lo
	s_waitcnt vmcnt(0)
	v_cmp_ne_u16_e32 vcc_lo, 0, v6
	s_and_b32 s22, vcc_lo, exec_lo
	s_delay_alu instid0(SALU_CYCLE_1)
	s_or_b32 s22, s2, s22
.LBB7_660:
	s_mov_b32 s2, 0
.LBB7_661:
	s_delay_alu instid0(SALU_CYCLE_1)
	s_and_not1_b32 vcc_lo, exec_lo, s2
	s_cbranch_vccnz .LBB7_667
; %bb.662:
	v_cmp_lt_i16_e32 vcc_lo, 0, v4
	s_mov_b32 s2, 0
	s_cbranch_vccz .LBB7_664
; %bb.663:
	global_load_u8 v6, v[1:2], off
	s_waitcnt vmcnt(0)
	v_cmp_ne_u16_e32 vcc_lo, 0, v6
	s_and_b32 s22, vcc_lo, exec_lo
	s_branch .LBB7_665
.LBB7_664:
	s_mov_b32 s2, -1
                                        ; implicit-def: $sgpr22
.LBB7_665:
	s_delay_alu instid0(SALU_CYCLE_1)
	s_and_not1_b32 vcc_lo, exec_lo, s2
	s_cbranch_vccnz .LBB7_667
; %bb.666:
	global_load_u8 v1, v[1:2], off
	s_and_not1_b32 s2, s22, exec_lo
	s_waitcnt vmcnt(0)
	v_cmp_ne_u16_e32 vcc_lo, 0, v1
	s_and_b32 s22, vcc_lo, exec_lo
	s_delay_alu instid0(SALU_CYCLE_1)
	s_or_b32 s22, s2, s22
.LBB7_667:
	s_mov_b32 s2, -1
.LBB7_668:
	s_delay_alu instid0(SALU_CYCLE_1)
	s_and_not1_b32 vcc_lo, exec_lo, s2
	s_cbranch_vccnz .LBB7_673
; %bb.669:
	v_and_b32_e32 v2, 0xff, v3
	v_add_co_u32 v0, s2, s4, v0
	s_delay_alu instid0(VALU_DEP_1) | instskip(NEXT) | instid1(VALU_DEP_3)
	v_add_co_ci_u32_e64 v1, null, s5, 0, s2
	v_cmp_gt_i16_e32 vcc_lo, 11, v2
	s_mov_b32 s23, -1
	s_xor_b32 s3, s22, -1
	s_mov_b32 s22, 0
	s_mov_b32 s2, s38
	s_cbranch_vccz .LBB7_674
; %bb.670:
	s_and_b32 vcc_lo, exec_lo, s23
	s_cbranch_vccnz .LBB7_757
.LBB7_671:
	s_and_not1_b32 vcc_lo, exec_lo, s22
	s_mov_b32 s3, 0
	s_cbranch_vccnz .LBB7_795
.LBB7_672:
	v_add_nc_u32_e32 v5, 0x80, v5
	s_mov_b32 s41, -1
	s_branch .LBB7_797
.LBB7_673:
	s_mov_b32 s41, 0
	s_mov_b32 s2, s38
	s_branch .LBB7_796
.LBB7_674:
	v_cmp_lt_i16_e32 vcc_lo, 25, v2
	s_cbranch_vccz .LBB7_680
; %bb.675:
	v_cmp_lt_i16_e32 vcc_lo, 28, v2
	s_cbranch_vccz .LBB7_681
; %bb.676:
	v_cmp_lt_i16_e32 vcc_lo, 43, v2
	s_cbranch_vccz .LBB7_682
; %bb.677:
	v_cmp_lt_i16_e32 vcc_lo, 45, v2
	s_cbranch_vccz .LBB7_687
; %bb.678:
	v_cmp_eq_u16_e32 vcc_lo, 46, v2
	s_mov_b32 s23, 0
	s_mov_b32 s2, -1
	s_cbranch_vccz .LBB7_688
; %bb.679:
	v_cndmask_b32_e64 v6, 0, 1.0, s3
	s_mov_b32 s22, -1
	s_mov_b32 s2, 0
	s_delay_alu instid0(VALU_DEP_1) | instskip(NEXT) | instid1(VALU_DEP_1)
	v_bfe_u32 v7, v6, 16, 1
	v_add3_u32 v6, v6, v7, 0x7fff
	s_delay_alu instid0(VALU_DEP_1)
	v_lshrrev_b32_e32 v6, 16, v6
	global_store_b32 v[0:1], v6, off
	s_branch .LBB7_688
.LBB7_680:
	s_mov_b32 s2, s38
	s_branch .LBB7_715
.LBB7_681:
	s_mov_b32 s2, s38
	s_branch .LBB7_698
.LBB7_682:
	s_mov_b32 s2, s38
	s_branch .LBB7_694
.LBB7_683:
	s_mov_b32 s2, -1
	s_mov_b32 s41, exec_lo
                                        ; implicit-def: $sgpr22
	v_cmpx_eq_u16_e32 0x80, v6
; %bb.684:
	s_mov_b32 s22, -1
	s_xor_b32 s2, exec_lo, -1
; %bb.685:
	s_or_b32 exec_lo, exec_lo, s41
	s_delay_alu instid0(SALU_CYCLE_1)
	s_and_b32 s2, s2, exec_lo
	s_and_not1_saveexec_b32 s23, s23
	s_cbranch_execz .LBB7_591
.LBB7_686:
	v_cmp_ne_u16_e32 vcc_lo, 0, v6
	s_and_not1_b32 s2, s2, exec_lo
	s_and_not1_b32 s22, s22, exec_lo
	s_and_b32 s41, vcc_lo, exec_lo
	s_delay_alu instid0(SALU_CYCLE_1)
	s_or_b32 s2, s2, s41
	s_or_b32 exec_lo, exec_lo, s23
	s_and_saveexec_b32 s23, s2
	s_cbranch_execnz .LBB7_592
	s_branch .LBB7_593
.LBB7_687:
	s_mov_b32 s2, s38
.LBB7_688:
	s_and_b32 vcc_lo, exec_lo, s23
	s_cbranch_vccz .LBB7_693
; %bb.689:
	v_cmp_eq_u16_e32 vcc_lo, 44, v2
	s_mov_b32 s2, -1
	s_cbranch_vccz .LBB7_693
; %bb.690:
	v_cndmask_b32_e64 v8, 0, 1.0, s3
	v_mov_b32_e32 v7, 0xff
	s_mov_b32 s22, exec_lo
	s_delay_alu instid0(VALU_DEP_2) | instskip(NEXT) | instid1(VALU_DEP_1)
	v_lshrrev_b32_e32 v6, 23, v8
	v_cmpx_ne_u32_e32 0xff, v6
; %bb.691:
	v_and_b32_e32 v7, 0x400000, v8
	v_and_or_b32 v8, 0x3fffff, v8, v6
	s_delay_alu instid0(VALU_DEP_2) | instskip(NEXT) | instid1(VALU_DEP_2)
	v_cmp_ne_u32_e32 vcc_lo, 0, v7
	v_cmp_ne_u32_e64 s2, 0, v8
	s_delay_alu instid0(VALU_DEP_1) | instskip(NEXT) | instid1(SALU_CYCLE_1)
	s_and_b32 s2, vcc_lo, s2
	v_cndmask_b32_e64 v7, 0, 1, s2
	s_delay_alu instid0(VALU_DEP_1)
	v_add_nc_u32_e32 v7, v6, v7
; %bb.692:
	s_or_b32 exec_lo, exec_lo, s22
	s_mov_b32 s22, -1
	s_mov_b32 s2, 0
	global_store_b8 v[0:1], v7, off
.LBB7_693:
	s_mov_b32 s23, 0
.LBB7_694:
	s_delay_alu instid0(SALU_CYCLE_1)
	s_and_b32 vcc_lo, exec_lo, s23
	s_cbranch_vccz .LBB7_697
; %bb.695:
	v_cmp_eq_u16_e32 vcc_lo, 29, v2
	s_mov_b32 s2, -1
	s_cbranch_vccz .LBB7_697
; %bb.696:
	s_mov_b32 s2, 0
	v_cndmask_b32_e64 v6, 0, 1, s3
	v_mov_b32_e32 v7, s2
	s_mov_b32 s22, -1
	s_mov_b32 s23, 0
	global_store_b64 v[0:1], v[6:7], off
	s_branch .LBB7_698
.LBB7_697:
	s_mov_b32 s23, 0
.LBB7_698:
	s_delay_alu instid0(SALU_CYCLE_1)
	s_and_b32 vcc_lo, exec_lo, s23
	s_cbranch_vccz .LBB7_714
; %bb.699:
	v_cmp_gt_i16_e32 vcc_lo, 27, v2
	s_mov_b32 s22, -1
	s_cbranch_vccnz .LBB7_705
; %bb.700:
	v_cmp_lt_i16_e32 vcc_lo, 27, v2
	s_cbranch_vccz .LBB7_702
; %bb.701:
	v_cndmask_b32_e64 v6, 0, 1, s3
	s_mov_b32 s22, 0
	global_store_b32 v[0:1], v6, off
.LBB7_702:
	s_and_not1_b32 vcc_lo, exec_lo, s22
	s_cbranch_vccnz .LBB7_704
; %bb.703:
	v_cndmask_b32_e64 v6, 0, 1, s3
	global_store_b16 v[0:1], v6, off
.LBB7_704:
	s_mov_b32 s22, 0
.LBB7_705:
	s_delay_alu instid0(SALU_CYCLE_1)
	s_and_not1_b32 vcc_lo, exec_lo, s22
	s_cbranch_vccnz .LBB7_713
; %bb.706:
	v_cndmask_b32_e64 v7, 0, 1.0, s3
	v_mov_b32_e32 v8, 0x80
	s_mov_b32 s22, exec_lo
	s_delay_alu instid0(VALU_DEP_2)
	v_cmpx_gt_u32_e32 0x43800000, v7
	s_cbranch_execz .LBB7_712
; %bb.707:
	s_mov_b32 s23, 0
	s_mov_b32 s41, exec_lo
                                        ; implicit-def: $vgpr6
	v_cmpx_lt_u32_e32 0x3bffffff, v7
	s_xor_b32 s41, exec_lo, s41
	s_cbranch_execnz .LBB7_827
; %bb.708:
	s_or_saveexec_b32 s41, s41
                                        ; implicit-def: $sgpr42
	s_delay_alu instid0(SALU_CYCLE_1)
	s_xor_b32 exec_lo, exec_lo, s41
	s_cbranch_execnz .LBB7_828
.LBB7_709:
	s_or_b32 exec_lo, exec_lo, s41
	v_mov_b32_e32 v8, s42
	s_and_saveexec_b32 s41, s23
.LBB7_710:
	v_mov_b32_e32 v8, v6
.LBB7_711:
	s_or_b32 exec_lo, exec_lo, s41
.LBB7_712:
	s_delay_alu instid0(SALU_CYCLE_1)
	s_or_b32 exec_lo, exec_lo, s22
	global_store_b8 v[0:1], v8, off
.LBB7_713:
	s_mov_b32 s22, -1
.LBB7_714:
	s_mov_b32 s23, 0
.LBB7_715:
	s_delay_alu instid0(SALU_CYCLE_1)
	s_and_b32 vcc_lo, exec_lo, s23
	s_cbranch_vccz .LBB7_756
; %bb.716:
	v_cmp_lt_i16_e32 vcc_lo, 22, v2
	s_mov_b32 s23, -1
	s_cbranch_vccz .LBB7_748
; %bb.717:
	v_cmp_gt_i16_e32 vcc_lo, 24, v2
	s_mov_b32 s22, -1
	s_cbranch_vccnz .LBB7_737
; %bb.718:
	v_cmp_lt_i16_e32 vcc_lo, 24, v2
	s_cbranch_vccz .LBB7_726
; %bb.719:
	v_cndmask_b32_e64 v7, 0, 1.0, s3
	v_mov_b32_e32 v8, 0x80
	s_mov_b32 s22, exec_lo
	s_delay_alu instid0(VALU_DEP_2)
	v_cmpx_gt_u32_e32 0x47800000, v7
	s_cbranch_execz .LBB7_725
; %bb.720:
	s_mov_b32 s23, 0
	s_mov_b32 s41, exec_lo
                                        ; implicit-def: $vgpr6
	v_cmpx_lt_u32_e32 0x37ffffff, v7
	s_xor_b32 s41, exec_lo, s41
	s_cbranch_execnz .LBB7_2129
; %bb.721:
	s_or_saveexec_b32 s41, s41
                                        ; implicit-def: $sgpr42
	s_delay_alu instid0(SALU_CYCLE_1)
	s_xor_b32 exec_lo, exec_lo, s41
	s_cbranch_execnz .LBB7_2130
.LBB7_722:
	s_or_b32 exec_lo, exec_lo, s41
	v_mov_b32_e32 v8, s42
	s_and_saveexec_b32 s41, s23
.LBB7_723:
	v_mov_b32_e32 v8, v6
.LBB7_724:
	s_or_b32 exec_lo, exec_lo, s41
.LBB7_725:
	s_delay_alu instid0(SALU_CYCLE_1)
	s_or_b32 exec_lo, exec_lo, s22
	s_mov_b32 s22, 0
	global_store_b8 v[0:1], v8, off
.LBB7_726:
	s_and_b32 vcc_lo, exec_lo, s22
	s_cbranch_vccz .LBB7_736
; %bb.727:
	v_cndmask_b32_e64 v7, 0, 1.0, s3
	s_mov_b32 s22, exec_lo
                                        ; implicit-def: $vgpr6
	s_delay_alu instid0(VALU_DEP_1)
	v_cmpx_gt_u32_e32 0x43f00000, v7
	s_xor_b32 s22, exec_lo, s22
	s_cbranch_execz .LBB7_733
; %bb.728:
	s_mov_b32 s23, exec_lo
                                        ; implicit-def: $vgpr6
	v_cmpx_lt_u32_e32 0x3c7fffff, v7
	s_xor_b32 s23, exec_lo, s23
; %bb.729:
	v_bfe_u32 v6, v7, 20, 1
	s_delay_alu instid0(VALU_DEP_1) | instskip(NEXT) | instid1(VALU_DEP_1)
	v_add3_u32 v6, v7, v6, 0x407ffff
	v_and_b32_e32 v7, 0xff00000, v6
	v_lshrrev_b32_e32 v6, 20, v6
	s_delay_alu instid0(VALU_DEP_2) | instskip(NEXT) | instid1(VALU_DEP_2)
	v_cmp_ne_u32_e32 vcc_lo, 0x7f00000, v7
                                        ; implicit-def: $vgpr7
	v_cndmask_b32_e32 v6, 0x7e, v6, vcc_lo
; %bb.730:
	s_and_not1_saveexec_b32 s23, s23
; %bb.731:
	v_add_f32_e32 v6, 0x46800000, v7
; %bb.732:
	s_or_b32 exec_lo, exec_lo, s23
                                        ; implicit-def: $vgpr7
.LBB7_733:
	s_and_not1_saveexec_b32 s22, s22
; %bb.734:
	v_mov_b32_e32 v6, 0x7f
	v_cmp_lt_u32_e32 vcc_lo, 0x7f800000, v7
	s_delay_alu instid0(VALU_DEP_2)
	v_cndmask_b32_e32 v6, 0x7e, v6, vcc_lo
; %bb.735:
	s_or_b32 exec_lo, exec_lo, s22
	global_store_b8 v[0:1], v6, off
.LBB7_736:
	s_mov_b32 s22, 0
.LBB7_737:
	s_delay_alu instid0(SALU_CYCLE_1)
	s_and_not1_b32 vcc_lo, exec_lo, s22
	s_cbranch_vccnz .LBB7_747
; %bb.738:
	v_cndmask_b32_e64 v7, 0, 1.0, s3
	s_mov_b32 s22, exec_lo
                                        ; implicit-def: $vgpr6
	s_delay_alu instid0(VALU_DEP_1)
	v_cmpx_gt_u32_e32 0x47800000, v7
	s_xor_b32 s22, exec_lo, s22
	s_cbranch_execz .LBB7_744
; %bb.739:
	s_mov_b32 s23, exec_lo
                                        ; implicit-def: $vgpr6
	v_cmpx_lt_u32_e32 0x387fffff, v7
	s_xor_b32 s23, exec_lo, s23
; %bb.740:
	v_bfe_u32 v6, v7, 21, 1
	s_delay_alu instid0(VALU_DEP_1) | instskip(NEXT) | instid1(VALU_DEP_1)
	v_add3_u32 v6, v7, v6, 0x80fffff
                                        ; implicit-def: $vgpr7
	v_lshrrev_b32_e32 v6, 21, v6
; %bb.741:
	s_and_not1_saveexec_b32 s23, s23
; %bb.742:
	v_add_f32_e32 v6, 0x43000000, v7
; %bb.743:
	s_or_b32 exec_lo, exec_lo, s23
                                        ; implicit-def: $vgpr7
.LBB7_744:
	s_and_not1_saveexec_b32 s22, s22
; %bb.745:
	v_mov_b32_e32 v6, 0x7f
	v_cmp_lt_u32_e32 vcc_lo, 0x7f800000, v7
	s_delay_alu instid0(VALU_DEP_2)
	v_cndmask_b32_e32 v6, 0x7c, v6, vcc_lo
; %bb.746:
	s_or_b32 exec_lo, exec_lo, s22
	global_store_b8 v[0:1], v6, off
.LBB7_747:
	s_mov_b32 s23, 0
	s_mov_b32 s22, -1
.LBB7_748:
	s_and_not1_b32 vcc_lo, exec_lo, s23
	s_cbranch_vccnz .LBB7_756
; %bb.749:
	v_cmp_lt_i16_e32 vcc_lo, 14, v2
	s_mov_b32 s23, -1
	s_cbranch_vccz .LBB7_753
; %bb.750:
	v_cmp_eq_u16_e32 vcc_lo, 15, v2
	s_mov_b32 s2, -1
	s_cbranch_vccz .LBB7_752
; %bb.751:
	v_cndmask_b32_e64 v6, 0, 1.0, s3
	s_mov_b32 s22, -1
	s_mov_b32 s2, 0
	s_delay_alu instid0(VALU_DEP_1) | instskip(NEXT) | instid1(VALU_DEP_1)
	v_bfe_u32 v7, v6, 16, 1
	v_add3_u32 v6, v6, v7, 0x7fff
	global_store_d16_hi_b16 v[0:1], v6, off
.LBB7_752:
	s_mov_b32 s23, 0
.LBB7_753:
	s_delay_alu instid0(SALU_CYCLE_1)
	s_and_b32 vcc_lo, exec_lo, s23
	s_cbranch_vccz .LBB7_756
; %bb.754:
	v_cmp_eq_u16_e32 vcc_lo, 11, v2
	s_mov_b32 s2, -1
	s_cbranch_vccz .LBB7_756
; %bb.755:
	v_cndmask_b32_e64 v6, 0, 1, s3
	s_mov_b32 s22, -1
	s_mov_b32 s2, 0
	global_store_b8 v[0:1], v6, off
.LBB7_756:
	s_branch .LBB7_671
.LBB7_757:
	v_cmp_gt_i16_e32 vcc_lo, 5, v2
	s_mov_b32 s22, -1
	s_cbranch_vccnz .LBB7_778
; %bb.758:
	v_cmp_gt_i16_e32 vcc_lo, 8, v2
	s_cbranch_vccnz .LBB7_768
; %bb.759:
	v_cmp_gt_i16_e32 vcc_lo, 9, v2
	s_cbranch_vccnz .LBB7_765
; %bb.760:
	v_cmp_lt_i16_e32 vcc_lo, 9, v2
	s_cbranch_vccz .LBB7_762
; %bb.761:
	v_cndmask_b32_e64 v6, 0, 1, s3
	v_mov_b32_e32 v8, 0
	s_mov_b32 s22, 0
	s_delay_alu instid0(VALU_DEP_2) | instskip(NEXT) | instid1(VALU_DEP_2)
	v_cvt_f64_u32_e32 v[6:7], v6
	v_mov_b32_e32 v9, v8
	global_store_b128 v[0:1], v[6:9], off
.LBB7_762:
	s_and_not1_b32 vcc_lo, exec_lo, s22
	s_cbranch_vccnz .LBB7_764
; %bb.763:
	v_cndmask_b32_e64 v6, 0, 1.0, s3
	v_mov_b32_e32 v7, 0
	global_store_b64 v[0:1], v[6:7], off
.LBB7_764:
	s_mov_b32 s22, 0
.LBB7_765:
	s_delay_alu instid0(SALU_CYCLE_1)
	s_and_not1_b32 vcc_lo, exec_lo, s22
	s_cbranch_vccnz .LBB7_767
; %bb.766:
	v_cndmask_b32_e64 v6, 0, 1.0, s3
	s_delay_alu instid0(VALU_DEP_1) | instskip(NEXT) | instid1(VALU_DEP_1)
	v_cvt_f16_f32_e32 v6, v6
	v_and_b32_e32 v6, 0xffff, v6
	global_store_b32 v[0:1], v6, off
.LBB7_767:
	s_mov_b32 s22, 0
.LBB7_768:
	s_delay_alu instid0(SALU_CYCLE_1)
	s_and_not1_b32 vcc_lo, exec_lo, s22
	s_cbranch_vccnz .LBB7_777
; %bb.769:
	v_cmp_gt_i16_e32 vcc_lo, 6, v2
	s_mov_b32 s22, -1
	s_cbranch_vccnz .LBB7_775
; %bb.770:
	v_cmp_lt_i16_e32 vcc_lo, 6, v2
	s_cbranch_vccz .LBB7_772
; %bb.771:
	v_cndmask_b32_e64 v6, 0, 1, s3
	s_mov_b32 s22, 0
	s_delay_alu instid0(VALU_DEP_1)
	v_cvt_f64_u32_e32 v[6:7], v6
	global_store_b64 v[0:1], v[6:7], off
.LBB7_772:
	s_and_not1_b32 vcc_lo, exec_lo, s22
	s_cbranch_vccnz .LBB7_774
; %bb.773:
	v_cndmask_b32_e64 v6, 0, 1.0, s3
	global_store_b32 v[0:1], v6, off
.LBB7_774:
	s_mov_b32 s22, 0
.LBB7_775:
	s_delay_alu instid0(SALU_CYCLE_1)
	s_and_not1_b32 vcc_lo, exec_lo, s22
	s_cbranch_vccnz .LBB7_777
; %bb.776:
	v_cndmask_b32_e64 v6, 0, 1.0, s3
	s_delay_alu instid0(VALU_DEP_1)
	v_cvt_f16_f32_e32 v6, v6
	global_store_b16 v[0:1], v6, off
.LBB7_777:
	s_mov_b32 s22, 0
.LBB7_778:
	s_delay_alu instid0(SALU_CYCLE_1)
	s_and_not1_b32 vcc_lo, exec_lo, s22
	s_cbranch_vccnz .LBB7_794
; %bb.779:
	v_cmp_gt_i16_e32 vcc_lo, 2, v2
	s_mov_b32 s22, -1
	s_cbranch_vccnz .LBB7_789
; %bb.780:
	v_cmp_gt_i16_e32 vcc_lo, 3, v2
	s_cbranch_vccnz .LBB7_786
; %bb.781:
	v_cmp_lt_i16_e32 vcc_lo, 3, v2
	s_cbranch_vccz .LBB7_783
; %bb.782:
	s_mov_b32 s22, 0
	v_cndmask_b32_e64 v6, 0, 1, s3
	v_mov_b32_e32 v7, s22
	global_store_b64 v[0:1], v[6:7], off
.LBB7_783:
	s_and_not1_b32 vcc_lo, exec_lo, s22
	s_cbranch_vccnz .LBB7_785
; %bb.784:
	v_cndmask_b32_e64 v6, 0, 1, s3
	global_store_b32 v[0:1], v6, off
.LBB7_785:
	s_mov_b32 s22, 0
.LBB7_786:
	s_delay_alu instid0(SALU_CYCLE_1)
	s_and_not1_b32 vcc_lo, exec_lo, s22
	s_cbranch_vccnz .LBB7_788
; %bb.787:
	v_cndmask_b32_e64 v6, 0, 1, s3
	global_store_b16 v[0:1], v6, off
.LBB7_788:
	s_mov_b32 s22, 0
.LBB7_789:
	s_delay_alu instid0(SALU_CYCLE_1)
	s_and_not1_b32 vcc_lo, exec_lo, s22
	s_cbranch_vccnz .LBB7_794
; %bb.790:
	v_cmp_lt_i16_e32 vcc_lo, 0, v2
	s_mov_b32 s22, -1
	s_cbranch_vccz .LBB7_792
; %bb.791:
	v_cndmask_b32_e64 v2, 0, 1, s3
	s_mov_b32 s22, 0
	global_store_b8 v[0:1], v2, off
.LBB7_792:
	s_and_not1_b32 vcc_lo, exec_lo, s22
	s_cbranch_vccnz .LBB7_794
; %bb.793:
	v_cndmask_b32_e64 v2, 0, 1, s3
	global_store_b8 v[0:1], v2, off
.LBB7_794:
	s_mov_b32 s3, 0
	s_branch .LBB7_672
.LBB7_795:
	s_mov_b32 s41, 0
.LBB7_796:
                                        ; implicit-def: $vgpr5
.LBB7_797:
	s_and_not1_b32 s22, s38, exec_lo
	s_and_b32 s2, s2, exec_lo
	s_and_not1_b32 s42, s37, exec_lo
	s_and_b32 s3, s3, exec_lo
	s_or_b32 s23, s22, s2
	s_or_b32 s22, s42, s3
	s_or_not1_b32 s43, s41, exec_lo
.LBB7_798:
	s_or_b32 exec_lo, exec_lo, s40
	s_mov_b32 s3, 0
	s_mov_b32 s2, 0
	;; [unrolled: 1-line block ×3, first 2 shown]
                                        ; implicit-def: $sgpr42
                                        ; implicit-def: $vgpr1_vgpr2
                                        ; implicit-def: $vgpr0
	s_and_saveexec_b32 s40, s43
	s_cbranch_execz .LBB7_890
; %bb.799:
	v_cmp_gt_i32_e32 vcc_lo, s30, v5
	s_mov_b32 s44, s22
	s_mov_b32 s43, 0
                                        ; implicit-def: $sgpr42
                                        ; implicit-def: $vgpr1_vgpr2
                                        ; implicit-def: $vgpr0
	s_and_saveexec_b32 s30, vcc_lo
	s_cbranch_execz .LBB7_889
; %bb.800:
	s_and_not1_b32 vcc_lo, exec_lo, s27
	s_cbranch_vccnz .LBB7_805
; %bb.801:
	v_dual_mov_b32 v0, 0 :: v_dual_mov_b32 v1, 0
	s_and_not1_b32 vcc_lo, exec_lo, s33
	s_mov_b32 s33, 0
	s_cbranch_vccnz .LBB7_810
; %bb.802:
	v_mov_b32_e32 v0, 0
	s_add_i32 s41, s31, 1
	s_cmp_eq_u32 s25, 2
	s_mov_b32 s31, 0
	s_cbranch_scc1 .LBB7_806
; %bb.803:
	v_dual_mov_b32 v1, 0 :: v_dual_mov_b32 v0, 0
	v_mov_b32_e32 v2, v5
	s_and_b32 s31, s41, 28
	s_mov_b32 s42, 0
	s_mov_b64 s[2:3], s[16:17]
.LBB7_804:                              ; =>This Inner Loop Header: Depth=1
	s_clause 0x1
	s_load_b256 s[44:51], s[2:3], 0x4
	s_load_b128 s[60:63], s[2:3], 0x24
	s_load_b256 s[52:59], s[20:21], 0x0
	s_add_u32 s2, s2, 48
	s_addc_u32 s3, s3, 0
	s_add_i32 s42, s42, 4
	s_add_u32 s20, s20, 32
	s_addc_u32 s21, s21, 0
	s_cmp_eq_u32 s31, s42
	s_waitcnt lgkmcnt(0)
	v_mul_hi_u32 v6, s45, v2
	s_delay_alu instid0(VALU_DEP_1) | instskip(NEXT) | instid1(VALU_DEP_1)
	v_add_nc_u32_e32 v6, v2, v6
	v_lshrrev_b32_e32 v6, s46, v6
	s_delay_alu instid0(VALU_DEP_1) | instskip(SKIP_1) | instid1(VALU_DEP_2)
	v_mul_hi_u32 v7, s48, v6
	v_mul_lo_u32 v9, v6, s44
	v_add_nc_u32_e32 v7, v6, v7
	s_delay_alu instid0(VALU_DEP_2) | instskip(NEXT) | instid1(VALU_DEP_2)
	v_sub_nc_u32_e32 v2, v2, v9
	v_lshrrev_b32_e32 v7, s49, v7
	s_delay_alu instid0(VALU_DEP_2) | instskip(SKIP_1) | instid1(VALU_DEP_3)
	v_mul_lo_u32 v9, v2, s52
	v_mul_lo_u32 v11, v2, s53
	v_mul_hi_u32 v8, s51, v7
	s_delay_alu instid0(VALU_DEP_1) | instskip(NEXT) | instid1(VALU_DEP_1)
	v_add_nc_u32_e32 v8, v7, v8
	v_lshrrev_b32_e32 v8, s60, v8
	s_delay_alu instid0(VALU_DEP_1) | instskip(SKIP_1) | instid1(VALU_DEP_2)
	v_mul_hi_u32 v10, s62, v8
	v_mul_lo_u32 v12, v8, s50
	v_add_nc_u32_e32 v2, v8, v10
	v_mul_lo_u32 v10, v7, s47
	s_delay_alu instid0(VALU_DEP_3) | instskip(NEXT) | instid1(VALU_DEP_3)
	v_sub_nc_u32_e32 v7, v7, v12
	v_lshrrev_b32_e32 v2, s63, v2
	s_delay_alu instid0(VALU_DEP_2) | instskip(SKIP_2) | instid1(VALU_DEP_4)
	v_mul_lo_u32 v12, v7, s56
	v_mul_lo_u32 v7, v7, s57
	v_sub_nc_u32_e32 v6, v6, v10
	v_mul_lo_u32 v13, v2, s61
	s_delay_alu instid0(VALU_DEP_2) | instskip(SKIP_1) | instid1(VALU_DEP_3)
	v_mul_lo_u32 v10, v6, s54
	v_mul_lo_u32 v6, v6, s55
	v_sub_nc_u32_e32 v8, v8, v13
	s_delay_alu instid0(VALU_DEP_3) | instskip(NEXT) | instid1(VALU_DEP_2)
	v_add3_u32 v0, v9, v0, v10
	v_mul_lo_u32 v13, v8, s58
	v_mul_lo_u32 v8, v8, s59
	v_add3_u32 v1, v11, v1, v6
	s_delay_alu instid0(VALU_DEP_3) | instskip(NEXT) | instid1(VALU_DEP_2)
	v_add3_u32 v0, v12, v0, v13
	v_add3_u32 v1, v7, v1, v8
	s_cbranch_scc0 .LBB7_804
	s_branch .LBB7_807
.LBB7_805:
	s_mov_b32 s33, -1
                                        ; implicit-def: $vgpr0
                                        ; implicit-def: $vgpr1
	s_branch .LBB7_810
.LBB7_806:
	v_dual_mov_b32 v2, v5 :: v_dual_mov_b32 v1, 0
.LBB7_807:
	s_and_b32 s41, s41, 3
	s_delay_alu instid0(SALU_CYCLE_1)
	s_cmp_eq_u32 s41, 0
	s_cbranch_scc1 .LBB7_810
; %bb.808:
	s_lshl_b32 s2, s31, 3
	s_mul_i32 s20, s31, 12
	s_add_u32 s2, s2, s16
	s_addc_u32 s3, s17, 0
	s_add_u32 s2, s2, 0xc4
	s_addc_u32 s3, s3, 0
	;; [unrolled: 2-line block ×3, first 2 shown]
.LBB7_809:                              ; =>This Inner Loop Header: Depth=1
	s_clause 0x1
	s_load_b64 s[42:43], s[20:21], 0x4
	s_load_b32 s31, s[20:21], 0xc
	s_load_b64 s[44:45], s[2:3], 0x0
	s_add_u32 s20, s20, 12
	s_addc_u32 s21, s21, 0
	s_add_u32 s2, s2, 8
	s_addc_u32 s3, s3, 0
	s_add_i32 s41, s41, -1
	s_delay_alu instid0(SALU_CYCLE_1) | instskip(SKIP_2) | instid1(VALU_DEP_1)
	s_cmp_lg_u32 s41, 0
	s_waitcnt lgkmcnt(0)
	v_mul_hi_u32 v6, s43, v2
	v_add_nc_u32_e32 v6, v2, v6
	s_delay_alu instid0(VALU_DEP_1) | instskip(NEXT) | instid1(VALU_DEP_1)
	v_lshrrev_b32_e32 v9, s31, v6
	v_mul_lo_u32 v6, v9, s42
	s_delay_alu instid0(VALU_DEP_1) | instskip(NEXT) | instid1(VALU_DEP_1)
	v_sub_nc_u32_e32 v2, v2, v6
	v_mad_u64_u32 v[6:7], null, v2, s44, v[0:1]
	v_mad_u64_u32 v[7:8], null, v2, s45, v[1:2]
	v_mov_b32_e32 v2, v9
	s_delay_alu instid0(VALU_DEP_2)
	v_dual_mov_b32 v0, v6 :: v_dual_mov_b32 v1, v7
	s_cbranch_scc1 .LBB7_809
.LBB7_810:
	s_and_not1_b32 vcc_lo, exec_lo, s33
	s_cbranch_vccnz .LBB7_813
; %bb.811:
	s_waitcnt lgkmcnt(0)
	v_mul_hi_u32 v0, s13, v5
	s_and_not1_b32 vcc_lo, exec_lo, s29
	s_delay_alu instid0(VALU_DEP_1) | instskip(NEXT) | instid1(VALU_DEP_1)
	v_add_nc_u32_e32 v0, v5, v0
	v_lshrrev_b32_e32 v2, s14, v0
	s_delay_alu instid0(VALU_DEP_1) | instskip(NEXT) | instid1(VALU_DEP_1)
	v_mul_lo_u32 v0, v2, s12
	v_sub_nc_u32_e32 v1, v5, v0
	s_delay_alu instid0(VALU_DEP_1)
	v_mul_lo_u32 v0, v1, s8
	v_mul_lo_u32 v1, v1, s9
	s_cbranch_vccnz .LBB7_813
; %bb.812:
	v_mul_hi_u32 v5, s18, v2
	s_delay_alu instid0(VALU_DEP_1) | instskip(NEXT) | instid1(VALU_DEP_1)
	v_add_nc_u32_e32 v5, v2, v5
	v_lshrrev_b32_e32 v5, s19, v5
	s_delay_alu instid0(VALU_DEP_1) | instskip(NEXT) | instid1(VALU_DEP_1)
	v_mul_lo_u32 v5, v5, s15
	v_sub_nc_u32_e32 v2, v2, v5
	s_delay_alu instid0(VALU_DEP_1) | instskip(SKIP_1) | instid1(VALU_DEP_1)
	v_mad_u64_u32 v[5:6], null, v2, s10, v[0:1]
	v_mad_u64_u32 v[6:7], null, v2, s11, v[1:2]
	v_dual_mov_b32 v0, v5 :: v_dual_mov_b32 v1, v6
.LBB7_813:
	v_cmp_gt_i16_e32 vcc_lo, 11, v4
	s_waitcnt lgkmcnt(0)
	s_delay_alu instid0(VALU_DEP_2) | instskip(NEXT) | instid1(VALU_DEP_1)
	v_add_co_u32 v1, s2, s6, v1
	v_add_co_ci_u32_e64 v2, null, s7, 0, s2
	s_mov_b32 s7, 0
	s_cbranch_vccnz .LBB7_820
; %bb.814:
	v_cmp_lt_i16_e32 vcc_lo, 25, v4
	s_mov_b32 s2, 0
	s_cbranch_vccz .LBB7_821
; %bb.815:
	v_cmp_lt_i16_e32 vcc_lo, 28, v4
	s_cbranch_vccz .LBB7_822
; %bb.816:
	v_cmp_lt_i16_e32 vcc_lo, 43, v4
	;; [unrolled: 3-line block ×3, first 2 shown]
	s_cbranch_vccz .LBB7_824
; %bb.818:
	v_cmp_eq_u16_e32 vcc_lo, 46, v4
	s_mov_b32 s8, 0
	s_cbranch_vccz .LBB7_829
; %bb.819:
	global_load_b32 v5, v[1:2], off
	s_mov_b32 s3, 0
	s_mov_b32 s7, -1
	s_waitcnt vmcnt(0)
	v_and_b32_e32 v5, 0x7fff7fff, v5
	s_delay_alu instid0(VALU_DEP_1)
	v_cmp_ne_u32_e32 vcc_lo, 0, v5
	s_and_b32 s6, vcc_lo, exec_lo
	s_branch .LBB7_831
.LBB7_820:
	s_mov_b32 s8, -1
	s_mov_b32 s2, 0
	s_mov_b32 s3, s22
                                        ; implicit-def: $sgpr6
	s_branch .LBB7_888
.LBB7_821:
	s_mov_b32 s8, -1
	s_mov_b32 s3, s22
                                        ; implicit-def: $sgpr6
	s_branch .LBB7_856
.LBB7_822:
	s_mov_b32 s8, -1
	s_mov_b32 s3, s22
                                        ; implicit-def: $sgpr6
	s_branch .LBB7_839
.LBB7_823:
	s_mov_b32 s8, -1
	s_mov_b32 s3, s22
                                        ; implicit-def: $sgpr6
	s_branch .LBB7_834
.LBB7_824:
	s_mov_b32 s8, -1
	s_mov_b32 s3, s22
	s_branch .LBB7_830
.LBB7_825:
	v_bfe_u32 v6, v7, 21, 1
	s_mov_b32 s23, exec_lo
	s_delay_alu instid0(VALU_DEP_1) | instskip(NEXT) | instid1(VALU_DEP_1)
	v_add3_u32 v6, v7, v6, 0x88fffff
                                        ; implicit-def: $vgpr7
	v_lshrrev_b32_e32 v6, 21, v6
	s_or_saveexec_b32 s37, s37
                                        ; implicit-def: $sgpr38
	s_delay_alu instid0(SALU_CYCLE_1)
	s_xor_b32 exec_lo, exec_lo, s37
	s_cbranch_execz .LBB7_447
.LBB7_826:
	v_add_f32_e32 v6, 0x42800000, v7
	s_and_not1_b32 s23, s23, exec_lo
	s_mov_b32 s38, 0
	s_delay_alu instid0(VALU_DEP_1) | instskip(NEXT) | instid1(VALU_DEP_1)
	v_and_b32_e32 v6, 0xff, v6
	v_cmp_ne_u32_e32 vcc_lo, 0, v6
	s_and_b32 s40, vcc_lo, exec_lo
	s_delay_alu instid0(SALU_CYCLE_1)
	s_or_b32 s23, s23, s40
	s_or_b32 exec_lo, exec_lo, s37
	v_mov_b32_e32 v8, s38
	s_and_saveexec_b32 s37, s23
	s_cbranch_execnz .LBB7_448
	s_branch .LBB7_449
.LBB7_827:
	v_bfe_u32 v6, v7, 20, 1
	s_mov_b32 s23, exec_lo
	s_delay_alu instid0(VALU_DEP_1) | instskip(NEXT) | instid1(VALU_DEP_1)
	v_add3_u32 v6, v7, v6, 0x487ffff
                                        ; implicit-def: $vgpr7
	v_lshrrev_b32_e32 v6, 20, v6
	s_or_saveexec_b32 s41, s41
                                        ; implicit-def: $sgpr42
	s_delay_alu instid0(SALU_CYCLE_1)
	s_xor_b32 exec_lo, exec_lo, s41
	s_cbranch_execz .LBB7_709
.LBB7_828:
	v_add_f32_e32 v6, 0x46000000, v7
	s_and_not1_b32 s23, s23, exec_lo
	s_mov_b32 s42, 0
	s_delay_alu instid0(VALU_DEP_1) | instskip(NEXT) | instid1(VALU_DEP_1)
	v_and_b32_e32 v6, 0xff, v6
	v_cmp_ne_u32_e32 vcc_lo, 0, v6
	s_and_b32 s43, vcc_lo, exec_lo
	s_delay_alu instid0(SALU_CYCLE_1)
	s_or_b32 s23, s23, s43
	s_or_b32 exec_lo, exec_lo, s41
	v_mov_b32_e32 v8, s42
	s_and_saveexec_b32 s41, s23
	s_cbranch_execnz .LBB7_710
	s_branch .LBB7_711
.LBB7_829:
	s_mov_b32 s3, -1
.LBB7_830:
                                        ; implicit-def: $sgpr6
.LBB7_831:
	s_and_b32 vcc_lo, exec_lo, s8
	s_cbranch_vccz .LBB7_833
; %bb.832:
	v_cmp_ne_u16_e32 vcc_lo, 44, v4
	s_and_not1_b32 s3, s3, exec_lo
	s_mov_b32 s7, -1
	s_or_b32 s6, s6, exec_lo
	s_and_b32 s8, vcc_lo, exec_lo
	s_delay_alu instid0(SALU_CYCLE_1)
	s_or_b32 s3, s3, s8
.LBB7_833:
	s_mov_b32 s8, 0
.LBB7_834:
	s_delay_alu instid0(SALU_CYCLE_1)
	s_and_b32 vcc_lo, exec_lo, s8
	s_cbranch_vccz .LBB7_838
; %bb.835:
	v_cmp_eq_u16_e32 vcc_lo, 29, v4
	s_cbranch_vccz .LBB7_837
; %bb.836:
	global_load_b64 v[5:6], v[1:2], off
	s_mov_b32 s3, 0
	s_mov_b32 s7, -1
	s_mov_b32 s8, 0
	s_waitcnt vmcnt(0)
	v_cmp_ne_u64_e32 vcc_lo, 0, v[5:6]
	s_and_b32 s6, vcc_lo, exec_lo
	s_branch .LBB7_839
.LBB7_837:
	s_mov_b32 s3, -1
                                        ; implicit-def: $sgpr6
.LBB7_838:
	s_mov_b32 s8, 0
.LBB7_839:
	s_delay_alu instid0(SALU_CYCLE_1)
	s_and_b32 vcc_lo, exec_lo, s8
	s_cbranch_vccz .LBB7_855
; %bb.840:
	v_cmp_gt_i16_e32 vcc_lo, 27, v4
	s_cbranch_vccnz .LBB7_843
; %bb.841:
	v_cmp_lt_i16_e32 vcc_lo, 27, v4
	s_cbranch_vccz .LBB7_844
; %bb.842:
	global_load_b32 v5, v[1:2], off
	s_mov_b32 s7, 0
	s_waitcnt vmcnt(0)
	v_cmp_ne_u32_e32 vcc_lo, 0, v5
	s_and_b32 s6, vcc_lo, exec_lo
	s_branch .LBB7_845
.LBB7_843:
	s_mov_b32 s7, -1
                                        ; implicit-def: $sgpr6
	s_branch .LBB7_848
.LBB7_844:
	s_mov_b32 s7, -1
                                        ; implicit-def: $sgpr6
.LBB7_845:
	s_delay_alu instid0(SALU_CYCLE_1)
	s_and_not1_b32 vcc_lo, exec_lo, s7
	s_cbranch_vccnz .LBB7_847
; %bb.846:
	global_load_u16 v5, v[1:2], off
	s_and_not1_b32 s6, s6, exec_lo
	s_waitcnt vmcnt(0)
	v_cmp_ne_u16_e32 vcc_lo, 0, v5
	s_and_b32 s7, vcc_lo, exec_lo
	s_delay_alu instid0(SALU_CYCLE_1)
	s_or_b32 s6, s6, s7
.LBB7_847:
	s_mov_b32 s7, 0
.LBB7_848:
	s_delay_alu instid0(SALU_CYCLE_1)
	s_and_not1_b32 vcc_lo, exec_lo, s7
	s_cbranch_vccnz .LBB7_854
; %bb.849:
	global_load_u8 v5, v[1:2], off
	s_mov_b32 s7, 0
	s_mov_b32 s8, exec_lo
                                        ; implicit-def: $sgpr6
	s_waitcnt vmcnt(0)
	v_cmpx_lt_i16_e32 0x7f, v5
	s_xor_b32 s8, exec_lo, s8
	s_cbranch_execnz .LBB7_867
; %bb.850:
	s_and_not1_saveexec_b32 s8, s8
	s_cbranch_execnz .LBB7_870
.LBB7_851:
	s_or_b32 exec_lo, exec_lo, s8
	s_and_saveexec_b32 s8, s7
	s_cbranch_execz .LBB7_853
.LBB7_852:
	v_and_b32_e32 v5, 0xffff, v5
	s_and_not1_b32 s6, s6, exec_lo
	s_delay_alu instid0(VALU_DEP_1) | instskip(NEXT) | instid1(VALU_DEP_1)
	v_and_b32_e32 v6, 7, v5
	v_clz_i32_u32_e32 v7, v6
	s_delay_alu instid0(VALU_DEP_1) | instskip(NEXT) | instid1(VALU_DEP_1)
	v_min_u32_e32 v7, 32, v7
	v_subrev_nc_u32_e32 v8, 28, v7
	v_sub_nc_u32_e32 v7, 29, v7
	s_delay_alu instid0(VALU_DEP_2) | instskip(SKIP_1) | instid1(VALU_DEP_2)
	v_lshlrev_b32_e32 v8, v8, v5
	v_bfe_u32 v5, v5, 3, 4
	v_and_b32_e32 v8, 7, v8
	s_delay_alu instid0(VALU_DEP_2) | instskip(NEXT) | instid1(VALU_DEP_2)
	v_cmp_eq_u32_e32 vcc_lo, 0, v5
	v_dual_cndmask_b32 v5, v5, v7 :: v_dual_cndmask_b32 v6, v6, v8
	s_delay_alu instid0(VALU_DEP_1) | instskip(NEXT) | instid1(VALU_DEP_2)
	v_lshl_add_u32 v5, v5, 23, 0x3b800000
	v_lshlrev_b32_e32 v6, 20, v6
	s_delay_alu instid0(VALU_DEP_1) | instskip(NEXT) | instid1(VALU_DEP_1)
	v_and_or_b32 v5, 0x7f800000, v5, v6
	v_cmp_ne_u32_e32 vcc_lo, 0, v5
	s_and_b32 s7, vcc_lo, exec_lo
	s_delay_alu instid0(SALU_CYCLE_1)
	s_or_b32 s6, s6, s7
.LBB7_853:
	s_or_b32 exec_lo, exec_lo, s8
.LBB7_854:
	s_mov_b32 s7, -1
.LBB7_855:
	s_mov_b32 s8, 0
.LBB7_856:
	s_delay_alu instid0(SALU_CYCLE_1)
	s_and_b32 vcc_lo, exec_lo, s8
	s_cbranch_vccz .LBB7_887
; %bb.857:
	v_cmp_lt_i16_e32 vcc_lo, 22, v4
	s_cbranch_vccz .LBB7_865
; %bb.858:
	v_cmp_gt_i16_e32 vcc_lo, 24, v4
	s_cbranch_vccnz .LBB7_866
; %bb.859:
	v_cmp_lt_i16_e32 vcc_lo, 24, v4
	s_cbranch_vccz .LBB7_871
; %bb.860:
	global_load_u8 v5, v[1:2], off
	s_mov_b32 s7, exec_lo
                                        ; implicit-def: $sgpr6
	s_waitcnt vmcnt(0)
	v_cmpx_lt_i16_e32 0x7f, v5
	s_xor_b32 s7, exec_lo, s7
	s_cbranch_execnz .LBB7_2119
; %bb.861:
	s_and_not1_saveexec_b32 s7, s7
	s_cbranch_execnz .LBB7_2122
.LBB7_862:
	s_or_b32 exec_lo, exec_lo, s7
	s_and_saveexec_b32 s7, s2
	s_cbranch_execz .LBB7_864
.LBB7_863:
	v_and_b32_e32 v5, 0xffff, v5
	s_and_not1_b32 s2, s6, exec_lo
	s_delay_alu instid0(VALU_DEP_1) | instskip(NEXT) | instid1(VALU_DEP_1)
	v_and_b32_e32 v6, 3, v5
	v_clz_i32_u32_e32 v7, v6
	s_delay_alu instid0(VALU_DEP_1) | instskip(NEXT) | instid1(VALU_DEP_1)
	v_min_u32_e32 v7, 32, v7
	v_subrev_nc_u32_e32 v8, 29, v7
	v_sub_nc_u32_e32 v7, 30, v7
	s_delay_alu instid0(VALU_DEP_2) | instskip(SKIP_1) | instid1(VALU_DEP_2)
	v_lshlrev_b32_e32 v8, v8, v5
	v_bfe_u32 v5, v5, 2, 5
	v_and_b32_e32 v8, 3, v8
	s_delay_alu instid0(VALU_DEP_2) | instskip(NEXT) | instid1(VALU_DEP_2)
	v_cmp_eq_u32_e32 vcc_lo, 0, v5
	v_dual_cndmask_b32 v5, v5, v7 :: v_dual_cndmask_b32 v6, v6, v8
	s_delay_alu instid0(VALU_DEP_1) | instskip(NEXT) | instid1(VALU_DEP_2)
	v_lshl_add_u32 v5, v5, 23, 0x37800000
	v_lshlrev_b32_e32 v6, 21, v6
	s_delay_alu instid0(VALU_DEP_1) | instskip(NEXT) | instid1(VALU_DEP_1)
	v_and_or_b32 v5, 0x7f800000, v5, v6
	v_cmp_ne_u32_e32 vcc_lo, 0, v5
	s_and_b32 s6, vcc_lo, exec_lo
	s_delay_alu instid0(SALU_CYCLE_1)
	s_or_b32 s6, s2, s6
.LBB7_864:
	s_or_b32 exec_lo, exec_lo, s7
	s_mov_b32 s2, 0
	s_branch .LBB7_872
.LBB7_865:
	s_mov_b32 s2, -1
                                        ; implicit-def: $sgpr6
	s_branch .LBB7_878
.LBB7_866:
	s_mov_b32 s2, -1
                                        ; implicit-def: $sgpr6
	s_branch .LBB7_875
.LBB7_867:
	s_mov_b32 s7, -1
	s_mov_b32 s9, exec_lo
                                        ; implicit-def: $sgpr6
	v_cmpx_eq_u16_e32 0x80, v5
; %bb.868:
	s_mov_b32 s6, -1
	s_xor_b32 s7, exec_lo, -1
; %bb.869:
	s_or_b32 exec_lo, exec_lo, s9
	s_delay_alu instid0(SALU_CYCLE_1)
	s_and_b32 s7, s7, exec_lo
	s_and_not1_saveexec_b32 s8, s8
	s_cbranch_execz .LBB7_851
.LBB7_870:
	v_cmp_ne_u16_e32 vcc_lo, 0, v5
	s_and_not1_b32 s7, s7, exec_lo
	s_and_not1_b32 s6, s6, exec_lo
	s_and_b32 s9, vcc_lo, exec_lo
	s_delay_alu instid0(SALU_CYCLE_1)
	s_or_b32 s7, s7, s9
	s_or_b32 exec_lo, exec_lo, s8
	s_and_saveexec_b32 s8, s7
	s_cbranch_execnz .LBB7_852
	s_branch .LBB7_853
.LBB7_871:
	s_mov_b32 s2, -1
                                        ; implicit-def: $sgpr6
.LBB7_872:
	s_delay_alu instid0(SALU_CYCLE_1)
	s_and_b32 vcc_lo, exec_lo, s2
	s_cbranch_vccz .LBB7_874
; %bb.873:
	global_load_u8 v5, v[1:2], off
	s_and_not1_b32 s6, s6, exec_lo
	s_waitcnt vmcnt(0)
	v_lshlrev_b32_e32 v5, 24, v5
	s_delay_alu instid0(VALU_DEP_1) | instskip(NEXT) | instid1(VALU_DEP_1)
	v_and_b32_e32 v5, 0x7f000000, v5
	v_clz_i32_u32_e32 v6, v5
	v_add_nc_u32_e32 v8, 0x1000000, v5
	v_cmp_ne_u32_e32 vcc_lo, 0, v5
	s_delay_alu instid0(VALU_DEP_3) | instskip(NEXT) | instid1(VALU_DEP_3)
	v_min_u32_e32 v6, 32, v6
	v_ashrrev_i32_e32 v8, 8, v8
	s_delay_alu instid0(VALU_DEP_2) | instskip(NEXT) | instid1(VALU_DEP_1)
	v_sub_nc_u32_e64 v6, v6, 4 clamp
	v_lshlrev_b32_e32 v7, v6, v5
	v_lshlrev_b32_e32 v6, 23, v6
	s_delay_alu instid0(VALU_DEP_2) | instskip(NEXT) | instid1(VALU_DEP_1)
	v_lshrrev_b32_e32 v7, 4, v7
	v_sub_nc_u32_e32 v6, v7, v6
	v_and_b32_e32 v7, 0x7f800000, v8
	s_delay_alu instid0(VALU_DEP_2) | instskip(NEXT) | instid1(VALU_DEP_1)
	v_add_nc_u32_e32 v6, 0x3c000000, v6
	v_and_or_b32 v6, 0x7ff00000, v6, v7
	s_delay_alu instid0(VALU_DEP_1) | instskip(NEXT) | instid1(VALU_DEP_1)
	v_cmp_ne_u32_e64 s2, 0, v6
	s_and_b32 s2, vcc_lo, s2
	s_delay_alu instid0(SALU_CYCLE_1) | instskip(NEXT) | instid1(SALU_CYCLE_1)
	s_and_b32 s2, s2, exec_lo
	s_or_b32 s6, s6, s2
.LBB7_874:
	s_mov_b32 s2, 0
.LBB7_875:
	s_delay_alu instid0(SALU_CYCLE_1)
	s_and_not1_b32 vcc_lo, exec_lo, s2
	s_cbranch_vccnz .LBB7_877
; %bb.876:
	global_load_u8 v5, v[1:2], off
	s_and_not1_b32 s2, s6, exec_lo
	s_waitcnt vmcnt(0)
	v_lshlrev_b32_e32 v6, 25, v5
	v_lshlrev_b32_e32 v5, 8, v5
	s_delay_alu instid0(VALU_DEP_2) | instskip(NEXT) | instid1(VALU_DEP_2)
	v_lshrrev_b32_e32 v7, 4, v6
	v_and_or_b32 v5, 0x7f00, v5, 0.5
	s_delay_alu instid0(VALU_DEP_2) | instskip(NEXT) | instid1(VALU_DEP_2)
	v_or_b32_e32 v7, 0x70000000, v7
	v_add_f32_e32 v5, -0.5, v5
	s_delay_alu instid0(VALU_DEP_2) | instskip(SKIP_1) | instid1(VALU_DEP_2)
	v_mul_f32_e32 v7, 0x7800000, v7
	v_cmp_gt_u32_e32 vcc_lo, 0x8000000, v6
	v_cndmask_b32_e32 v5, v7, v5, vcc_lo
	s_delay_alu instid0(VALU_DEP_1) | instskip(SKIP_1) | instid1(SALU_CYCLE_1)
	v_cmp_neq_f32_e32 vcc_lo, 0, v5
	s_and_b32 s6, vcc_lo, exec_lo
	s_or_b32 s6, s2, s6
.LBB7_877:
	s_mov_b32 s2, 0
	s_mov_b32 s7, -1
.LBB7_878:
	s_and_not1_b32 vcc_lo, exec_lo, s2
	s_mov_b32 s2, 0
	s_cbranch_vccnz .LBB7_887
; %bb.879:
	v_cmp_lt_i16_e32 vcc_lo, 14, v4
	s_cbranch_vccz .LBB7_882
; %bb.880:
	v_cmp_eq_u16_e32 vcc_lo, 15, v4
	s_cbranch_vccz .LBB7_883
; %bb.881:
	global_load_u16 v5, v[1:2], off
	s_mov_b32 s3, 0
	s_mov_b32 s7, -1
	s_waitcnt vmcnt(0)
	v_and_b32_e32 v5, 0x7fff, v5
	s_delay_alu instid0(VALU_DEP_1)
	v_cmp_ne_u16_e32 vcc_lo, 0, v5
	s_and_b32 s6, vcc_lo, exec_lo
	s_branch .LBB7_885
.LBB7_882:
	s_mov_b32 s2, -1
	s_branch .LBB7_884
.LBB7_883:
	s_mov_b32 s3, -1
.LBB7_884:
                                        ; implicit-def: $sgpr6
.LBB7_885:
	s_and_b32 vcc_lo, exec_lo, s2
	s_mov_b32 s2, 0
	s_cbranch_vccz .LBB7_887
; %bb.886:
	v_cmp_ne_u16_e32 vcc_lo, 11, v4
	s_and_not1_b32 s3, s3, exec_lo
	s_mov_b32 s2, -1
	s_and_not1_b32 s6, s6, exec_lo
	s_and_b32 s8, vcc_lo, exec_lo
	s_delay_alu instid0(SALU_CYCLE_1)
	s_or_b32 s3, s3, s8
.LBB7_887:
	s_mov_b32 s8, 0
.LBB7_888:
	s_and_b32 s42, s6, exec_lo
	s_and_b32 s41, s7, exec_lo
	s_and_not1_b32 s6, s22, exec_lo
	s_and_b32 s7, s3, exec_lo
	s_and_b32 s43, s8, exec_lo
	;; [unrolled: 1-line block ×3, first 2 shown]
	s_or_b32 s44, s6, s7
.LBB7_889:
	s_or_b32 exec_lo, exec_lo, s30
	s_waitcnt lgkmcnt(0)
	s_and_not1_b32 s6, s22, exec_lo
	s_and_b32 s7, s44, exec_lo
	s_and_b32 s42, s42, exec_lo
	s_and_b32 s41, s41, exec_lo
	s_and_b32 s2, s43, exec_lo
	s_and_b32 s3, s3, exec_lo
	s_or_b32 s22, s6, s7
.LBB7_890:
	s_or_b32 exec_lo, exec_lo, s40
	s_waitcnt lgkmcnt(0)
	s_and_not1_b32 s6, s38, exec_lo
	s_and_b32 s7, s23, exec_lo
	s_and_b32 s40, s42, exec_lo
	s_or_b32 s38, s6, s7
	s_and_not1_b32 s6, s37, exec_lo
	s_and_b32 s7, s22, exec_lo
	s_and_b32 s23, s41, exec_lo
	;; [unrolled: 1-line block ×4, first 2 shown]
	s_or_b32 s37, s6, s7
.LBB7_891:
	s_or_b32 exec_lo, exec_lo, s39
	s_waitcnt lgkmcnt(0)
	s_and_not1_b32 s6, s34, exec_lo
	s_and_b32 s7, s38, exec_lo
	s_and_b32 s22, s40, exec_lo
	s_or_b32 s34, s6, s7
	s_and_not1_b32 s6, s35, exec_lo
	s_and_b32 s7, s37, exec_lo
	s_and_b32 s23, s23, exec_lo
	s_and_b32 s2, s2, exec_lo
	s_and_b32 s37, s3, exec_lo
	s_or_b32 s35, s6, s7
.LBB7_892:
	s_or_b32 exec_lo, exec_lo, s36
	s_mov_b32 s3, 0
	s_waitcnt lgkmcnt(0)
	s_and_saveexec_b32 s6, s35
	s_cbranch_execnz .LBB7_904
; %bb.893:
	s_or_b32 exec_lo, exec_lo, s6
	s_and_saveexec_b32 s6, s37
	s_delay_alu instid0(SALU_CYCLE_1)
	s_xor_b32 s6, exec_lo, s6
	s_cbranch_execz .LBB7_895
.LBB7_894:
	global_load_u8 v5, v[1:2], off
	s_and_not1_b32 s7, s22, exec_lo
	s_or_b32 s23, s23, exec_lo
	s_waitcnt vmcnt(0)
	v_cmp_ne_u16_e32 vcc_lo, 0, v5
	s_and_b32 s8, vcc_lo, exec_lo
	s_delay_alu instid0(SALU_CYCLE_1)
	s_or_b32 s22, s7, s8
.LBB7_895:
	s_or_b32 exec_lo, exec_lo, s6
	s_and_saveexec_b32 s6, s2
	s_cbranch_execz .LBB7_943
; %bb.896:
	v_cmp_gt_i16_e32 vcc_lo, 5, v4
	s_cbranch_vccnz .LBB7_901
; %bb.897:
	v_cmp_gt_i16_e32 vcc_lo, 8, v4
	s_cbranch_vccnz .LBB7_902
	;; [unrolled: 3-line block ×3, first 2 shown]
; %bb.899:
	v_cmp_lt_i16_e32 vcc_lo, 9, v4
	s_cbranch_vccz .LBB7_906
; %bb.900:
	global_load_b128 v[5:8], v[1:2], off
	s_mov_b32 s7, 0
	s_waitcnt vmcnt(0)
	v_cmp_neq_f64_e32 vcc_lo, 0, v[5:6]
	v_cmp_neq_f64_e64 s2, 0, v[7:8]
	s_delay_alu instid0(VALU_DEP_1) | instskip(NEXT) | instid1(SALU_CYCLE_1)
	s_or_b32 s2, vcc_lo, s2
	s_and_b32 s2, s2, exec_lo
	s_branch .LBB7_907
.LBB7_901:
                                        ; implicit-def: $sgpr2
	s_branch .LBB7_924
.LBB7_902:
                                        ; implicit-def: $sgpr2
	s_branch .LBB7_913
.LBB7_903:
	s_mov_b32 s7, -1
                                        ; implicit-def: $sgpr2
	s_branch .LBB7_910
.LBB7_904:
	s_cbranch_execnz .LBB7_1130
; %bb.905:
	s_mov_b32 s3, exec_lo
	s_and_not1_b32 s22, s22, exec_lo
	s_and_not1_b32 s23, s23, exec_lo
	;; [unrolled: 1-line block ×3, first 2 shown]
	s_or_b32 exec_lo, exec_lo, s6
	s_and_saveexec_b32 s6, s37
	s_delay_alu instid0(SALU_CYCLE_1)
	s_xor_b32 s6, exec_lo, s6
	s_cbranch_execnz .LBB7_894
	s_branch .LBB7_895
.LBB7_906:
	s_mov_b32 s7, -1
                                        ; implicit-def: $sgpr2
.LBB7_907:
	s_delay_alu instid0(SALU_CYCLE_1)
	s_and_not1_b32 vcc_lo, exec_lo, s7
	s_cbranch_vccnz .LBB7_909
; %bb.908:
	global_load_b64 v[5:6], v[1:2], off
	s_and_not1_b32 s2, s2, exec_lo
	s_waitcnt vmcnt(0)
	v_or_b32_e32 v5, v5, v6
	s_delay_alu instid0(VALU_DEP_1) | instskip(NEXT) | instid1(VALU_DEP_1)
	v_and_b32_e32 v5, 0x7fffffff, v5
	v_cmp_ne_u32_e32 vcc_lo, 0, v5
	s_and_b32 s7, vcc_lo, exec_lo
	s_delay_alu instid0(SALU_CYCLE_1)
	s_or_b32 s2, s2, s7
.LBB7_909:
	s_mov_b32 s7, 0
.LBB7_910:
	s_delay_alu instid0(SALU_CYCLE_1)
	s_and_not1_b32 vcc_lo, exec_lo, s7
	s_cbranch_vccnz .LBB7_912
; %bb.911:
	global_load_b32 v5, v[1:2], off
	s_and_not1_b32 s2, s2, exec_lo
	s_waitcnt vmcnt(0)
	v_and_b32_e32 v5, 0x7fff7fff, v5
	s_delay_alu instid0(VALU_DEP_1) | instskip(SKIP_1) | instid1(SALU_CYCLE_1)
	v_cmp_ne_u32_e32 vcc_lo, 0, v5
	s_and_b32 s7, vcc_lo, exec_lo
	s_or_b32 s2, s2, s7
.LBB7_912:
	s_cbranch_execnz .LBB7_923
.LBB7_913:
	v_cmp_gt_i16_e32 vcc_lo, 6, v4
	s_cbranch_vccnz .LBB7_916
; %bb.914:
	v_cmp_lt_i16_e32 vcc_lo, 6, v4
	s_cbranch_vccz .LBB7_917
; %bb.915:
	global_load_b64 v[5:6], v[1:2], off
	s_mov_b32 s7, 0
	s_waitcnt vmcnt(0)
	v_cmp_neq_f64_e32 vcc_lo, 0, v[5:6]
	s_and_b32 s2, vcc_lo, exec_lo
	s_branch .LBB7_918
.LBB7_916:
	s_mov_b32 s7, -1
                                        ; implicit-def: $sgpr2
	s_branch .LBB7_921
.LBB7_917:
	s_mov_b32 s7, -1
                                        ; implicit-def: $sgpr2
.LBB7_918:
	s_delay_alu instid0(SALU_CYCLE_1)
	s_and_not1_b32 vcc_lo, exec_lo, s7
	s_cbranch_vccnz .LBB7_920
; %bb.919:
	global_load_b32 v5, v[1:2], off
	s_and_not1_b32 s2, s2, exec_lo
	s_waitcnt vmcnt(0)
	v_cmp_neq_f32_e32 vcc_lo, 0, v5
	s_and_b32 s7, vcc_lo, exec_lo
	s_delay_alu instid0(SALU_CYCLE_1)
	s_or_b32 s2, s2, s7
.LBB7_920:
	s_mov_b32 s7, 0
.LBB7_921:
	s_delay_alu instid0(SALU_CYCLE_1)
	s_and_not1_b32 vcc_lo, exec_lo, s7
	s_cbranch_vccnz .LBB7_923
; %bb.922:
	global_load_u16 v5, v[1:2], off
	s_and_not1_b32 s2, s2, exec_lo
	s_waitcnt vmcnt(0)
	v_and_b32_e32 v5, 0x7fff, v5
	s_delay_alu instid0(VALU_DEP_1) | instskip(SKIP_1) | instid1(SALU_CYCLE_1)
	v_cmp_ne_u16_e32 vcc_lo, 0, v5
	s_and_b32 s7, vcc_lo, exec_lo
	s_or_b32 s2, s2, s7
.LBB7_923:
	s_cbranch_execnz .LBB7_942
.LBB7_924:
	v_cmp_gt_i16_e32 vcc_lo, 2, v4
	s_cbranch_vccnz .LBB7_928
; %bb.925:
	v_cmp_gt_i16_e32 vcc_lo, 3, v4
	s_cbranch_vccnz .LBB7_929
; %bb.926:
	v_cmp_lt_i16_e32 vcc_lo, 3, v4
	s_cbranch_vccz .LBB7_930
; %bb.927:
	global_load_b64 v[5:6], v[1:2], off
	s_mov_b32 s7, 0
	s_waitcnt vmcnt(0)
	v_cmp_ne_u64_e32 vcc_lo, 0, v[5:6]
	s_and_b32 s2, vcc_lo, exec_lo
	s_branch .LBB7_931
.LBB7_928:
                                        ; implicit-def: $sgpr2
	s_branch .LBB7_937
.LBB7_929:
	s_mov_b32 s7, -1
                                        ; implicit-def: $sgpr2
	s_branch .LBB7_934
.LBB7_930:
	s_mov_b32 s7, -1
                                        ; implicit-def: $sgpr2
.LBB7_931:
	s_delay_alu instid0(SALU_CYCLE_1)
	s_and_not1_b32 vcc_lo, exec_lo, s7
	s_cbranch_vccnz .LBB7_933
; %bb.932:
	global_load_b32 v5, v[1:2], off
	s_and_not1_b32 s2, s2, exec_lo
	s_waitcnt vmcnt(0)
	v_cmp_ne_u32_e32 vcc_lo, 0, v5
	s_and_b32 s7, vcc_lo, exec_lo
	s_delay_alu instid0(SALU_CYCLE_1)
	s_or_b32 s2, s2, s7
.LBB7_933:
	s_mov_b32 s7, 0
.LBB7_934:
	s_delay_alu instid0(SALU_CYCLE_1)
	s_and_not1_b32 vcc_lo, exec_lo, s7
	s_cbranch_vccnz .LBB7_936
; %bb.935:
	global_load_u16 v5, v[1:2], off
	s_and_not1_b32 s2, s2, exec_lo
	s_waitcnt vmcnt(0)
	v_cmp_ne_u16_e32 vcc_lo, 0, v5
	s_and_b32 s7, vcc_lo, exec_lo
	s_delay_alu instid0(SALU_CYCLE_1)
	s_or_b32 s2, s2, s7
.LBB7_936:
	s_cbranch_execnz .LBB7_942
.LBB7_937:
	v_cmp_lt_i16_e32 vcc_lo, 0, v4
	s_mov_b32 s7, 0
	s_cbranch_vccz .LBB7_939
; %bb.938:
	global_load_u8 v4, v[1:2], off
	s_waitcnt vmcnt(0)
	v_cmp_ne_u16_e32 vcc_lo, 0, v4
	s_and_b32 s2, vcc_lo, exec_lo
	s_branch .LBB7_940
.LBB7_939:
	s_mov_b32 s7, -1
                                        ; implicit-def: $sgpr2
.LBB7_940:
	s_delay_alu instid0(SALU_CYCLE_1)
	s_and_not1_b32 vcc_lo, exec_lo, s7
	s_cbranch_vccnz .LBB7_942
; %bb.941:
	global_load_u8 v1, v[1:2], off
	s_and_not1_b32 s2, s2, exec_lo
	s_waitcnt vmcnt(0)
	v_cmp_ne_u16_e32 vcc_lo, 0, v1
	s_and_b32 s7, vcc_lo, exec_lo
	s_delay_alu instid0(SALU_CYCLE_1)
	s_or_b32 s2, s2, s7
.LBB7_942:
	s_and_not1_b32 s7, s22, exec_lo
	s_and_b32 s2, s2, exec_lo
	s_or_b32 s23, s23, exec_lo
	s_or_b32 s22, s7, s2
.LBB7_943:
	s_or_b32 exec_lo, exec_lo, s6
	s_mov_b32 s2, 0
	s_mov_b32 s8, 0
                                        ; implicit-def: $sgpr7
                                        ; implicit-def: $vgpr4
                                        ; implicit-def: $vgpr1_vgpr2
	s_and_saveexec_b32 s6, s23
	s_cbranch_execz .LBB7_1020
; %bb.944:
	v_and_b32_e32 v4, 0xff, v3
	v_add_co_u32 v1, s2, s4, v0
	s_delay_alu instid0(VALU_DEP_1) | instskip(NEXT) | instid1(VALU_DEP_3)
	v_add_co_ci_u32_e64 v2, null, s5, 0, s2
	v_cmp_gt_i16_e32 vcc_lo, 11, v4
	s_mov_b32 s8, -1
	s_xor_b32 s7, s22, -1
	s_mov_b32 s9, 0
	s_mov_b32 s2, s34
	s_cbranch_vccnz .LBB7_1019
; %bb.945:
	v_cmp_lt_i16_e32 vcc_lo, 25, v4
	s_mov_b32 s4, -1
	s_mov_b32 s2, s34
	s_cbranch_vccz .LBB7_978
; %bb.946:
	v_cmp_lt_i16_e32 vcc_lo, 28, v4
	s_mov_b32 s2, s34
	s_cbranch_vccz .LBB7_962
; %bb.947:
	v_cmp_lt_i16_e32 vcc_lo, 43, v4
	;; [unrolled: 4-line block ×3, first 2 shown]
	s_mov_b32 s2, s34
	s_cbranch_vccz .LBB7_952
; %bb.949:
	v_cmp_eq_u16_e32 vcc_lo, 46, v4
	s_mov_b32 s2, -1
	s_cbranch_vccz .LBB7_951
; %bb.950:
	v_cndmask_b32_e64 v0, 0, 1.0, s7
	s_mov_b32 s2, 0
	s_delay_alu instid0(VALU_DEP_1) | instskip(NEXT) | instid1(VALU_DEP_1)
	v_bfe_u32 v3, v0, 16, 1
	v_add3_u32 v0, v0, v3, 0x7fff
	s_delay_alu instid0(VALU_DEP_1)
	v_lshrrev_b32_e32 v0, 16, v0
	global_store_b32 v[1:2], v0, off
.LBB7_951:
	s_mov_b32 s4, 0
.LBB7_952:
	s_delay_alu instid0(SALU_CYCLE_1)
	s_and_b32 vcc_lo, exec_lo, s4
	s_cbranch_vccz .LBB7_957
; %bb.953:
	v_cmp_eq_u16_e32 vcc_lo, 44, v4
	s_mov_b32 s2, -1
	s_cbranch_vccz .LBB7_957
; %bb.954:
	v_cndmask_b32_e64 v5, 0, 1.0, s7
	v_mov_b32_e32 v3, 0xff
	s_mov_b32 s4, exec_lo
	s_delay_alu instid0(VALU_DEP_2) | instskip(NEXT) | instid1(VALU_DEP_1)
	v_lshrrev_b32_e32 v0, 23, v5
	v_cmpx_ne_u32_e32 0xff, v0
; %bb.955:
	v_and_b32_e32 v3, 0x400000, v5
	v_and_or_b32 v5, 0x3fffff, v5, v0
	s_delay_alu instid0(VALU_DEP_2) | instskip(NEXT) | instid1(VALU_DEP_2)
	v_cmp_ne_u32_e32 vcc_lo, 0, v3
	v_cmp_ne_u32_e64 s2, 0, v5
	s_delay_alu instid0(VALU_DEP_1) | instskip(NEXT) | instid1(SALU_CYCLE_1)
	s_and_b32 s2, vcc_lo, s2
	v_cndmask_b32_e64 v3, 0, 1, s2
	s_delay_alu instid0(VALU_DEP_1)
	v_add_nc_u32_e32 v3, v0, v3
; %bb.956:
	s_or_b32 exec_lo, exec_lo, s4
	s_mov_b32 s2, 0
	global_store_b8 v[1:2], v3, off
.LBB7_957:
	s_mov_b32 s4, 0
.LBB7_958:
	s_delay_alu instid0(SALU_CYCLE_1)
	s_and_b32 vcc_lo, exec_lo, s4
	s_cbranch_vccz .LBB7_961
; %bb.959:
	v_cmp_eq_u16_e32 vcc_lo, 29, v4
	s_mov_b32 s2, -1
	s_cbranch_vccz .LBB7_961
; %bb.960:
	s_mov_b32 s2, 0
	v_cndmask_b32_e64 v5, 0, 1, s7
	v_mov_b32_e32 v6, s2
	global_store_b64 v[1:2], v[5:6], off
.LBB7_961:
	s_mov_b32 s4, 0
.LBB7_962:
	s_delay_alu instid0(SALU_CYCLE_1)
	s_and_b32 vcc_lo, exec_lo, s4
	s_cbranch_vccz .LBB7_977
; %bb.963:
	v_cmp_gt_i16_e32 vcc_lo, 27, v4
	s_mov_b32 s4, -1
	s_cbranch_vccnz .LBB7_969
; %bb.964:
	v_cmp_lt_i16_e32 vcc_lo, 27, v4
	v_cndmask_b32_e64 v0, 0, 1, s7
	s_cbranch_vccz .LBB7_966
; %bb.965:
	s_mov_b32 s4, 0
	global_store_b32 v[1:2], v0, off
.LBB7_966:
	s_and_not1_b32 vcc_lo, exec_lo, s4
	s_cbranch_vccnz .LBB7_968
; %bb.967:
	global_store_b16 v[1:2], v0, off
.LBB7_968:
	s_mov_b32 s4, 0
.LBB7_969:
	s_delay_alu instid0(SALU_CYCLE_1)
	s_and_not1_b32 vcc_lo, exec_lo, s4
	s_cbranch_vccnz .LBB7_977
; %bb.970:
	v_cndmask_b32_e64 v3, 0, 1.0, s7
	v_mov_b32_e32 v5, 0x80
	s_mov_b32 s4, exec_lo
	s_delay_alu instid0(VALU_DEP_2)
	v_cmpx_gt_u32_e32 0x43800000, v3
	s_cbranch_execz .LBB7_976
; %bb.971:
	s_mov_b32 s5, 0
	s_mov_b32 s8, exec_lo
                                        ; implicit-def: $vgpr0
	v_cmpx_lt_u32_e32 0x3bffffff, v3
	s_xor_b32 s8, exec_lo, s8
	s_cbranch_execnz .LBB7_1259
; %bb.972:
	s_or_saveexec_b32 s8, s8
                                        ; implicit-def: $sgpr9
	s_delay_alu instid0(SALU_CYCLE_1)
	s_xor_b32 exec_lo, exec_lo, s8
	s_cbranch_execnz .LBB7_1260
.LBB7_973:
	s_or_b32 exec_lo, exec_lo, s8
	v_mov_b32_e32 v5, s9
	s_and_saveexec_b32 s8, s5
.LBB7_974:
	v_mov_b32_e32 v5, v0
.LBB7_975:
	s_or_b32 exec_lo, exec_lo, s8
.LBB7_976:
	s_delay_alu instid0(SALU_CYCLE_1)
	s_or_b32 exec_lo, exec_lo, s4
	global_store_b8 v[1:2], v5, off
.LBB7_977:
	s_mov_b32 s4, 0
.LBB7_978:
	s_delay_alu instid0(SALU_CYCLE_1)
	s_and_b32 vcc_lo, exec_lo, s4
	s_mov_b32 s8, 0
	s_cbranch_vccz .LBB7_1018
; %bb.979:
	v_cmp_lt_i16_e32 vcc_lo, 22, v4
	s_mov_b32 s4, -1
	s_cbranch_vccz .LBB7_1011
; %bb.980:
	v_cmp_gt_i16_e32 vcc_lo, 24, v4
	s_cbranch_vccnz .LBB7_1000
; %bb.981:
	v_cmp_lt_i16_e32 vcc_lo, 24, v4
	s_cbranch_vccz .LBB7_989
; %bb.982:
	v_cndmask_b32_e64 v3, 0, 1.0, s7
	v_mov_b32_e32 v5, 0x80
	s_mov_b32 s4, exec_lo
	s_delay_alu instid0(VALU_DEP_2)
	v_cmpx_gt_u32_e32 0x47800000, v3
	s_cbranch_execz .LBB7_988
; %bb.983:
	s_mov_b32 s5, 0
	s_mov_b32 s9, exec_lo
                                        ; implicit-def: $vgpr0
	v_cmpx_lt_u32_e32 0x37ffffff, v3
	s_xor_b32 s9, exec_lo, s9
	s_cbranch_execnz .LBB7_1390
; %bb.984:
	s_or_saveexec_b32 s9, s9
                                        ; implicit-def: $sgpr10
	s_delay_alu instid0(SALU_CYCLE_1)
	s_xor_b32 exec_lo, exec_lo, s9
	s_cbranch_execnz .LBB7_1391
.LBB7_985:
	s_or_b32 exec_lo, exec_lo, s9
	v_mov_b32_e32 v5, s10
	s_and_saveexec_b32 s9, s5
.LBB7_986:
	v_mov_b32_e32 v5, v0
.LBB7_987:
	s_or_b32 exec_lo, exec_lo, s9
.LBB7_988:
	s_delay_alu instid0(SALU_CYCLE_1)
	s_or_b32 exec_lo, exec_lo, s4
	s_mov_b32 s4, 0
	global_store_b8 v[1:2], v5, off
.LBB7_989:
	s_and_b32 vcc_lo, exec_lo, s4
	s_cbranch_vccz .LBB7_999
; %bb.990:
	v_cndmask_b32_e64 v3, 0, 1.0, s7
	s_mov_b32 s4, exec_lo
                                        ; implicit-def: $vgpr0
	s_delay_alu instid0(VALU_DEP_1)
	v_cmpx_gt_u32_e32 0x43f00000, v3
	s_xor_b32 s4, exec_lo, s4
	s_cbranch_execz .LBB7_996
; %bb.991:
	s_mov_b32 s5, exec_lo
                                        ; implicit-def: $vgpr0
	v_cmpx_lt_u32_e32 0x3c7fffff, v3
	s_xor_b32 s5, exec_lo, s5
; %bb.992:
	v_bfe_u32 v0, v3, 20, 1
	s_delay_alu instid0(VALU_DEP_1) | instskip(NEXT) | instid1(VALU_DEP_1)
	v_add3_u32 v0, v3, v0, 0x407ffff
	v_and_b32_e32 v3, 0xff00000, v0
	v_lshrrev_b32_e32 v0, 20, v0
	s_delay_alu instid0(VALU_DEP_2) | instskip(NEXT) | instid1(VALU_DEP_2)
	v_cmp_ne_u32_e32 vcc_lo, 0x7f00000, v3
                                        ; implicit-def: $vgpr3
	v_cndmask_b32_e32 v0, 0x7e, v0, vcc_lo
; %bb.993:
	s_and_not1_saveexec_b32 s5, s5
; %bb.994:
	v_add_f32_e32 v0, 0x46800000, v3
; %bb.995:
	s_or_b32 exec_lo, exec_lo, s5
                                        ; implicit-def: $vgpr3
.LBB7_996:
	s_and_not1_saveexec_b32 s4, s4
; %bb.997:
	v_mov_b32_e32 v0, 0x7f
	v_cmp_lt_u32_e32 vcc_lo, 0x7f800000, v3
	s_delay_alu instid0(VALU_DEP_2)
	v_cndmask_b32_e32 v0, 0x7e, v0, vcc_lo
; %bb.998:
	s_or_b32 exec_lo, exec_lo, s4
	global_store_b8 v[1:2], v0, off
.LBB7_999:
	s_mov_b32 s4, 0
.LBB7_1000:
	s_delay_alu instid0(SALU_CYCLE_1)
	s_and_not1_b32 vcc_lo, exec_lo, s4
	s_cbranch_vccnz .LBB7_1010
; %bb.1001:
	v_cndmask_b32_e64 v3, 0, 1.0, s7
	s_mov_b32 s4, exec_lo
                                        ; implicit-def: $vgpr0
	s_delay_alu instid0(VALU_DEP_1)
	v_cmpx_gt_u32_e32 0x47800000, v3
	s_xor_b32 s4, exec_lo, s4
	s_cbranch_execz .LBB7_1007
; %bb.1002:
	s_mov_b32 s5, exec_lo
                                        ; implicit-def: $vgpr0
	v_cmpx_lt_u32_e32 0x387fffff, v3
	s_xor_b32 s5, exec_lo, s5
; %bb.1003:
	v_bfe_u32 v0, v3, 21, 1
	s_delay_alu instid0(VALU_DEP_1) | instskip(NEXT) | instid1(VALU_DEP_1)
	v_add3_u32 v0, v3, v0, 0x80fffff
                                        ; implicit-def: $vgpr3
	v_lshrrev_b32_e32 v0, 21, v0
; %bb.1004:
	s_and_not1_saveexec_b32 s5, s5
; %bb.1005:
	v_add_f32_e32 v0, 0x43000000, v3
; %bb.1006:
	s_or_b32 exec_lo, exec_lo, s5
                                        ; implicit-def: $vgpr3
.LBB7_1007:
	s_and_not1_saveexec_b32 s4, s4
; %bb.1008:
	v_mov_b32_e32 v0, 0x7f
	v_cmp_lt_u32_e32 vcc_lo, 0x7f800000, v3
	s_delay_alu instid0(VALU_DEP_2)
	v_cndmask_b32_e32 v0, 0x7c, v0, vcc_lo
; %bb.1009:
	s_or_b32 exec_lo, exec_lo, s4
	global_store_b8 v[1:2], v0, off
.LBB7_1010:
	s_mov_b32 s4, 0
.LBB7_1011:
	s_delay_alu instid0(SALU_CYCLE_1)
	s_and_not1_b32 vcc_lo, exec_lo, s4
	s_mov_b32 s9, 0
	s_cbranch_vccnz .LBB7_1019
; %bb.1012:
	v_cmp_lt_i16_e32 vcc_lo, 14, v4
	s_mov_b32 s4, -1
	s_cbranch_vccz .LBB7_1016
; %bb.1013:
	v_cmp_eq_u16_e32 vcc_lo, 15, v4
	s_mov_b32 s2, -1
	s_cbranch_vccz .LBB7_1015
; %bb.1014:
	v_cndmask_b32_e64 v0, 0, 1.0, s7
	s_mov_b32 s2, 0
	s_delay_alu instid0(VALU_DEP_1) | instskip(NEXT) | instid1(VALU_DEP_1)
	v_bfe_u32 v3, v0, 16, 1
	v_add3_u32 v0, v0, v3, 0x7fff
	global_store_d16_hi_b16 v[1:2], v0, off
.LBB7_1015:
	s_mov_b32 s4, 0
.LBB7_1016:
	s_delay_alu instid0(SALU_CYCLE_1)
	s_and_b32 vcc_lo, exec_lo, s4
	s_cbranch_vccz .LBB7_1019
; %bb.1017:
	v_cmp_ne_u16_e32 vcc_lo, 11, v4
	s_and_not1_b32 s2, s2, exec_lo
	s_mov_b32 s9, -1
	s_and_b32 s4, vcc_lo, exec_lo
	s_delay_alu instid0(SALU_CYCLE_1)
	s_or_b32 s2, s2, s4
	s_branch .LBB7_1019
.LBB7_1018:
	s_mov_b32 s9, 0
.LBB7_1019:
	s_and_not1_b32 s4, s34, exec_lo
	s_and_b32 s5, s2, exec_lo
	s_and_b32 s7, s7, exec_lo
	;; [unrolled: 1-line block ×4, first 2 shown]
	s_or_b32 s34, s4, s5
.LBB7_1020:
	s_or_b32 exec_lo, exec_lo, s6
	s_and_saveexec_b32 s4, s34
	s_cbranch_execnz .LBB7_1127
; %bb.1021:
	s_or_b32 exec_lo, exec_lo, s4
	s_and_saveexec_b32 s4, s2
	s_delay_alu instid0(SALU_CYCLE_1)
	s_xor_b32 s2, exec_lo, s4
	s_cbranch_execz .LBB7_1023
.LBB7_1022:
	v_cndmask_b32_e64 v0, 0, 1, s7
	global_store_b8 v[1:2], v0, off
.LBB7_1023:
	s_or_b32 exec_lo, exec_lo, s2
	s_and_saveexec_b32 s2, s8
	s_delay_alu instid0(SALU_CYCLE_1)
	s_xor_b32 s2, exec_lo, s2
	s_cbranch_execz .LBB7_1061
; %bb.1024:
	v_cmp_gt_i16_e32 vcc_lo, 5, v4
	s_mov_b32 s4, -1
	s_cbranch_vccnz .LBB7_1045
; %bb.1025:
	v_cmp_gt_i16_e32 vcc_lo, 8, v4
	s_cbranch_vccnz .LBB7_1035
; %bb.1026:
	v_cmp_gt_i16_e32 vcc_lo, 9, v4
	s_cbranch_vccnz .LBB7_1032
; %bb.1027:
	v_cmp_lt_i16_e32 vcc_lo, 9, v4
	s_cbranch_vccz .LBB7_1029
; %bb.1028:
	v_cndmask_b32_e64 v0, 0, 1, s7
	v_mov_b32_e32 v7, 0
	s_mov_b32 s4, 0
	s_delay_alu instid0(VALU_DEP_2) | instskip(NEXT) | instid1(VALU_DEP_2)
	v_cvt_f64_u32_e32 v[5:6], v0
	v_mov_b32_e32 v8, v7
	global_store_b128 v[1:2], v[5:8], off
.LBB7_1029:
	s_and_not1_b32 vcc_lo, exec_lo, s4
	s_cbranch_vccnz .LBB7_1031
; %bb.1030:
	v_cndmask_b32_e64 v5, 0, 1.0, s7
	v_mov_b32_e32 v6, 0
	global_store_b64 v[1:2], v[5:6], off
.LBB7_1031:
	s_mov_b32 s4, 0
.LBB7_1032:
	s_delay_alu instid0(SALU_CYCLE_1)
	s_and_not1_b32 vcc_lo, exec_lo, s4
	s_cbranch_vccnz .LBB7_1034
; %bb.1033:
	v_cndmask_b32_e64 v0, 0, 1.0, s7
	s_delay_alu instid0(VALU_DEP_1) | instskip(NEXT) | instid1(VALU_DEP_1)
	v_cvt_f16_f32_e32 v0, v0
	v_and_b32_e32 v0, 0xffff, v0
	global_store_b32 v[1:2], v0, off
.LBB7_1034:
	s_mov_b32 s4, 0
.LBB7_1035:
	s_delay_alu instid0(SALU_CYCLE_1)
	s_and_not1_b32 vcc_lo, exec_lo, s4
	s_cbranch_vccnz .LBB7_1044
; %bb.1036:
	v_cmp_gt_i16_e32 vcc_lo, 6, v4
	s_mov_b32 s4, -1
	s_cbranch_vccnz .LBB7_1042
; %bb.1037:
	v_cmp_lt_i16_e32 vcc_lo, 6, v4
	s_cbranch_vccz .LBB7_1039
; %bb.1038:
	v_cndmask_b32_e64 v0, 0, 1, s7
	s_mov_b32 s4, 0
	s_delay_alu instid0(VALU_DEP_1)
	v_cvt_f64_u32_e32 v[5:6], v0
	global_store_b64 v[1:2], v[5:6], off
.LBB7_1039:
	s_and_not1_b32 vcc_lo, exec_lo, s4
	s_cbranch_vccnz .LBB7_1041
; %bb.1040:
	v_cndmask_b32_e64 v0, 0, 1.0, s7
	global_store_b32 v[1:2], v0, off
.LBB7_1041:
	s_mov_b32 s4, 0
.LBB7_1042:
	s_delay_alu instid0(SALU_CYCLE_1)
	s_and_not1_b32 vcc_lo, exec_lo, s4
	s_cbranch_vccnz .LBB7_1044
; %bb.1043:
	v_cndmask_b32_e64 v0, 0, 1.0, s7
	s_delay_alu instid0(VALU_DEP_1)
	v_cvt_f16_f32_e32 v0, v0
	global_store_b16 v[1:2], v0, off
.LBB7_1044:
	s_mov_b32 s4, 0
.LBB7_1045:
	s_delay_alu instid0(SALU_CYCLE_1)
	s_and_not1_b32 vcc_lo, exec_lo, s4
	s_cbranch_vccnz .LBB7_1061
; %bb.1046:
	v_cmp_gt_i16_e32 vcc_lo, 2, v4
	s_mov_b32 s4, -1
	s_cbranch_vccnz .LBB7_1056
; %bb.1047:
	v_cmp_gt_i16_e32 vcc_lo, 3, v4
	s_cbranch_vccnz .LBB7_1053
; %bb.1048:
	v_cmp_lt_i16_e32 vcc_lo, 3, v4
	s_cbranch_vccz .LBB7_1050
; %bb.1049:
	s_mov_b32 s4, 0
	v_cndmask_b32_e64 v5, 0, 1, s7
	v_mov_b32_e32 v6, s4
	global_store_b64 v[1:2], v[5:6], off
.LBB7_1050:
	s_and_not1_b32 vcc_lo, exec_lo, s4
	s_cbranch_vccnz .LBB7_1052
; %bb.1051:
	v_cndmask_b32_e64 v0, 0, 1, s7
	global_store_b32 v[1:2], v0, off
.LBB7_1052:
	s_mov_b32 s4, 0
.LBB7_1053:
	s_delay_alu instid0(SALU_CYCLE_1)
	s_and_not1_b32 vcc_lo, exec_lo, s4
	s_cbranch_vccnz .LBB7_1055
; %bb.1054:
	v_cndmask_b32_e64 v0, 0, 1, s7
	global_store_b16 v[1:2], v0, off
.LBB7_1055:
	s_mov_b32 s4, 0
.LBB7_1056:
	s_delay_alu instid0(SALU_CYCLE_1)
	s_and_not1_b32 vcc_lo, exec_lo, s4
	s_cbranch_vccnz .LBB7_1061
; %bb.1057:
	v_cmp_lt_i16_e32 vcc_lo, 0, v4
	s_mov_b32 s4, -1
	s_cbranch_vccz .LBB7_1059
; %bb.1058:
	v_cndmask_b32_e64 v0, 0, 1, s7
	s_mov_b32 s4, 0
	global_store_b8 v[1:2], v0, off
.LBB7_1059:
	s_and_not1_b32 vcc_lo, exec_lo, s4
	s_cbranch_vccnz .LBB7_1061
; %bb.1060:
	v_cndmask_b32_e64 v0, 0, 1, s7
	global_store_b8 v[1:2], v0, off
.LBB7_1061:
	s_or_b32 exec_lo, exec_lo, s2
	s_delay_alu instid0(SALU_CYCLE_1)
	s_and_b32 s8, s3, exec_lo
                                        ; implicit-def: $vgpr8
                                        ; implicit-def: $vgpr5
.LBB7_1062:
	s_or_saveexec_b32 s9, s28
	s_mov_b32 s4, 0
                                        ; implicit-def: $sgpr2
                                        ; implicit-def: $vgpr0_vgpr1
                                        ; implicit-def: $vgpr6
	s_xor_b32 exec_lo, exec_lo, s9
	s_cbranch_execz .LBB7_2066
; %bb.1063:
	v_cndmask_b32_e64 v0, 0, 1, s27
	s_and_not1_b32 vcc_lo, exec_lo, s27
	s_cbranch_vccnz .LBB7_1069
; %bb.1064:
	v_mov_b32_e32 v3, 0
	v_mov_b32_e32 v7, 0
	s_cmp_lg_u32 s24, 0
	s_mov_b32 s6, 0
	s_cbranch_scc0 .LBB7_1073
; %bb.1065:
	s_min_u32 s7, s25, 15
	v_mov_b32_e32 v3, 0
	s_add_i32 s7, s7, 1
	s_cmp_eq_u32 s25, 2
	s_mov_b32 s10, 0
	s_cbranch_scc1 .LBB7_1070
; %bb.1066:
	v_mov_b32_e32 v7, 0
	v_mov_b32_e32 v3, 0
	;; [unrolled: 1-line block ×3, first 2 shown]
	s_add_u32 s2, s16, 0xc4
	s_addc_u32 s3, s17, 0
	s_and_b32 s10, s7, 28
	s_mov_b32 s11, 0
	s_mov_b64 s[4:5], s[16:17]
.LBB7_1067:                             ; =>This Inner Loop Header: Depth=1
	s_clause 0x1
	s_load_b256 s[36:43], s[4:5], 0x4
	s_load_b128 s[12:15], s[4:5], 0x24
	s_load_b256 s[44:51], s[2:3], 0x0
	s_add_u32 s4, s4, 48
	s_addc_u32 s5, s5, 0
	s_add_i32 s11, s11, 4
	s_add_u32 s2, s2, 32
	s_addc_u32 s3, s3, 0
	s_cmp_lg_u32 s10, s11
	s_waitcnt lgkmcnt(0)
	v_mul_hi_u32 v2, s37, v1
	s_delay_alu instid0(VALU_DEP_1) | instskip(NEXT) | instid1(VALU_DEP_1)
	v_add_nc_u32_e32 v2, v1, v2
	v_lshrrev_b32_e32 v2, s38, v2
	s_delay_alu instid0(VALU_DEP_1) | instskip(SKIP_1) | instid1(VALU_DEP_2)
	v_mul_hi_u32 v4, s40, v2
	v_mul_lo_u32 v9, v2, s36
	v_add_nc_u32_e32 v4, v2, v4
	s_delay_alu instid0(VALU_DEP_2) | instskip(NEXT) | instid1(VALU_DEP_2)
	v_sub_nc_u32_e32 v1, v1, v9
	v_lshrrev_b32_e32 v4, s41, v4
	s_delay_alu instid0(VALU_DEP_2) | instskip(SKIP_1) | instid1(VALU_DEP_3)
	v_mul_lo_u32 v9, v1, s44
	v_mul_lo_u32 v11, v1, s45
	v_mul_hi_u32 v6, s43, v4
	s_delay_alu instid0(VALU_DEP_1) | instskip(NEXT) | instid1(VALU_DEP_1)
	v_add_nc_u32_e32 v6, v4, v6
	v_lshrrev_b32_e32 v6, s12, v6
	s_delay_alu instid0(VALU_DEP_1) | instskip(SKIP_1) | instid1(VALU_DEP_2)
	v_mul_hi_u32 v10, s14, v6
	v_mul_lo_u32 v12, v6, s42
	v_add_nc_u32_e32 v1, v6, v10
	v_mul_lo_u32 v10, v4, s39
	s_delay_alu instid0(VALU_DEP_3) | instskip(NEXT) | instid1(VALU_DEP_3)
	v_sub_nc_u32_e32 v4, v4, v12
	v_lshrrev_b32_e32 v1, s15, v1
	s_delay_alu instid0(VALU_DEP_2) | instskip(SKIP_2) | instid1(VALU_DEP_4)
	v_mul_lo_u32 v12, v4, s48
	v_mul_lo_u32 v4, v4, s49
	v_sub_nc_u32_e32 v2, v2, v10
	v_mul_lo_u32 v13, v1, s13
	s_delay_alu instid0(VALU_DEP_2) | instskip(SKIP_1) | instid1(VALU_DEP_3)
	v_mul_lo_u32 v10, v2, s46
	v_mul_lo_u32 v2, v2, s47
	v_sub_nc_u32_e32 v6, v6, v13
	s_delay_alu instid0(VALU_DEP_3) | instskip(NEXT) | instid1(VALU_DEP_2)
	v_add3_u32 v3, v9, v3, v10
	v_mul_lo_u32 v13, v6, s50
	v_mul_lo_u32 v6, v6, s51
	v_add3_u32 v2, v11, v7, v2
	s_delay_alu instid0(VALU_DEP_3) | instskip(NEXT) | instid1(VALU_DEP_2)
	v_add3_u32 v3, v12, v3, v13
	v_add3_u32 v7, v4, v2, v6
	s_cbranch_scc1 .LBB7_1067
; %bb.1068:
	s_and_b32 s7, s7, 3
	s_delay_alu instid0(SALU_CYCLE_1)
	s_cmp_eq_u32 s7, 0
	s_cbranch_scc0 .LBB7_1071
	s_branch .LBB7_1073
.LBB7_1069:
	s_mov_b32 s6, -1
                                        ; implicit-def: $vgpr3
                                        ; implicit-def: $vgpr7
	s_branch .LBB7_1073
.LBB7_1070:
	v_mov_b32_e32 v1, v5
	v_mov_b32_e32 v7, 0
	s_and_b32 s7, s7, 3
	s_delay_alu instid0(SALU_CYCLE_1)
	s_cmp_eq_u32 s7, 0
	s_cbranch_scc1 .LBB7_1073
.LBB7_1071:
	s_lshl_b32 s2, s10, 3
	s_mul_i32 s4, s10, 12
	s_add_u32 s2, s2, s16
	s_addc_u32 s3, 0, s17
	s_add_u32 s2, s2, 0xc4
	s_addc_u32 s3, s3, 0
	;; [unrolled: 2-line block ×3, first 2 shown]
	.p2align	6
.LBB7_1072:                             ; =>This Inner Loop Header: Depth=1
	s_clause 0x1
	s_load_b64 s[10:11], s[4:5], 0x4
	s_load_b32 s14, s[4:5], 0xc
	s_load_b64 s[12:13], s[2:3], 0x0
	s_add_u32 s4, s4, 12
	s_addc_u32 s5, s5, 0
	s_add_u32 s2, s2, 8
	s_addc_u32 s3, s3, 0
	s_add_i32 s7, s7, -1
	s_delay_alu instid0(SALU_CYCLE_1) | instskip(SKIP_2) | instid1(VALU_DEP_1)
	s_cmp_lg_u32 s7, 0
	s_waitcnt lgkmcnt(0)
	v_mul_hi_u32 v2, s11, v1
	v_add_nc_u32_e32 v2, v1, v2
	s_delay_alu instid0(VALU_DEP_1) | instskip(NEXT) | instid1(VALU_DEP_1)
	v_lshrrev_b32_e32 v4, s14, v2
	v_mul_lo_u32 v2, v4, s10
	s_delay_alu instid0(VALU_DEP_1) | instskip(NEXT) | instid1(VALU_DEP_1)
	v_sub_nc_u32_e32 v1, v1, v2
	v_mad_u64_u32 v[9:10], null, v1, s12, v[3:4]
	v_mad_u64_u32 v[2:3], null, v1, s13, v[7:8]
	v_mov_b32_e32 v1, v4
	s_delay_alu instid0(VALU_DEP_3) | instskip(NEXT) | instid1(VALU_DEP_3)
	v_mov_b32_e32 v3, v9
	v_mov_b32_e32 v7, v2
	s_cbranch_scc1 .LBB7_1072
.LBB7_1073:
	s_and_not1_b32 vcc_lo, exec_lo, s6
	s_cbranch_vccnz .LBB7_1076
; %bb.1074:
	s_clause 0x1
	s_load_b128 s[4:7], s[16:17], 0x4
	s_load_b64 s[2:3], s[16:17], 0xc4
	s_cmp_lt_u32 s24, 2
	s_waitcnt lgkmcnt(0)
	v_mul_hi_u32 v1, s5, v5
	s_delay_alu instid0(VALU_DEP_1) | instskip(NEXT) | instid1(VALU_DEP_1)
	v_add_nc_u32_e32 v1, v5, v1
	v_lshrrev_b32_e32 v1, s6, v1
	s_delay_alu instid0(VALU_DEP_1) | instskip(NEXT) | instid1(VALU_DEP_1)
	v_mul_lo_u32 v2, v1, s4
	v_sub_nc_u32_e32 v2, v5, v2
	s_delay_alu instid0(VALU_DEP_1)
	v_mul_lo_u32 v3, v2, s2
	v_mul_lo_u32 v7, v2, s3
	s_cbranch_scc1 .LBB7_1076
; %bb.1075:
	s_clause 0x1
	s_load_b128 s[4:7], s[16:17], 0x10
	s_load_b64 s[2:3], s[16:17], 0xcc
	s_waitcnt lgkmcnt(0)
	v_mul_hi_u32 v2, s5, v1
	s_delay_alu instid0(VALU_DEP_1) | instskip(NEXT) | instid1(VALU_DEP_1)
	v_add_nc_u32_e32 v2, v1, v2
	v_lshrrev_b32_e32 v2, s6, v2
	s_delay_alu instid0(VALU_DEP_1) | instskip(NEXT) | instid1(VALU_DEP_1)
	v_mul_lo_u32 v2, v2, s4
	v_sub_nc_u32_e32 v4, v1, v2
	s_delay_alu instid0(VALU_DEP_1) | instskip(SKIP_1) | instid1(VALU_DEP_2)
	v_mad_u64_u32 v[1:2], null, v4, s2, v[3:4]
	v_mad_u64_u32 v[2:3], null, v4, s3, v[7:8]
	v_mov_b32_e32 v3, v1
	s_delay_alu instid0(VALU_DEP_2)
	v_mov_b32_e32 v7, v2
.LBB7_1076:
	v_cmp_ne_u32_e32 vcc_lo, 1, v0
	v_add_nc_u32_e32 v1, 0x80, v5
	s_cbranch_vccnz .LBB7_1082
; %bb.1077:
	v_mov_b32_e32 v2, 0
	v_mov_b32_e32 v6, 0
	s_cmp_lg_u32 s24, 0
	s_mov_b32 s6, 0
	s_cbranch_scc0 .LBB7_1086
; %bb.1078:
	s_min_u32 s7, s25, 15
	v_mov_b32_e32 v2, 0
	s_add_i32 s7, s7, 1
	s_cmp_eq_u32 s25, 2
	s_mov_b32 s10, 0
	s_cbranch_scc1 .LBB7_1083
; %bb.1079:
	v_mov_b32_e32 v6, 0
	v_mov_b32_e32 v2, 0
	;; [unrolled: 1-line block ×3, first 2 shown]
	s_add_u32 s2, s16, 0xc4
	s_addc_u32 s3, s17, 0
	s_and_b32 s10, s7, 28
	s_mov_b32 s11, 0
	s_mov_b64 s[4:5], s[16:17]
.LBB7_1080:                             ; =>This Inner Loop Header: Depth=1
	s_clause 0x1
	s_load_b256 s[36:43], s[4:5], 0x4
	s_load_b128 s[12:15], s[4:5], 0x24
	s_load_b256 s[44:51], s[2:3], 0x0
	s_add_u32 s4, s4, 48
	s_addc_u32 s5, s5, 0
	s_add_i32 s11, s11, 4
	s_add_u32 s2, s2, 32
	s_addc_u32 s3, s3, 0
	s_cmp_lg_u32 s10, s11
	s_waitcnt lgkmcnt(0)
	v_mul_hi_u32 v9, s37, v4
	s_delay_alu instid0(VALU_DEP_1) | instskip(NEXT) | instid1(VALU_DEP_1)
	v_add_nc_u32_e32 v9, v4, v9
	v_lshrrev_b32_e32 v9, s38, v9
	s_delay_alu instid0(VALU_DEP_1) | instskip(SKIP_1) | instid1(VALU_DEP_2)
	v_mul_hi_u32 v10, s40, v9
	v_mul_lo_u32 v12, v9, s36
	v_add_nc_u32_e32 v10, v9, v10
	s_delay_alu instid0(VALU_DEP_2) | instskip(NEXT) | instid1(VALU_DEP_2)
	v_sub_nc_u32_e32 v4, v4, v12
	v_lshrrev_b32_e32 v10, s41, v10
	s_delay_alu instid0(VALU_DEP_2) | instskip(SKIP_1) | instid1(VALU_DEP_3)
	v_mul_lo_u32 v12, v4, s44
	v_mul_lo_u32 v14, v4, s45
	v_mul_hi_u32 v11, s43, v10
	s_delay_alu instid0(VALU_DEP_1) | instskip(NEXT) | instid1(VALU_DEP_1)
	v_add_nc_u32_e32 v11, v10, v11
	v_lshrrev_b32_e32 v11, s12, v11
	s_delay_alu instid0(VALU_DEP_1) | instskip(SKIP_1) | instid1(VALU_DEP_2)
	v_mul_hi_u32 v13, s14, v11
	v_mul_lo_u32 v15, v11, s42
	v_add_nc_u32_e32 v4, v11, v13
	v_mul_lo_u32 v13, v10, s39
	s_delay_alu instid0(VALU_DEP_3) | instskip(NEXT) | instid1(VALU_DEP_3)
	v_sub_nc_u32_e32 v10, v10, v15
	v_lshrrev_b32_e32 v4, s15, v4
	s_delay_alu instid0(VALU_DEP_2) | instskip(SKIP_2) | instid1(VALU_DEP_4)
	v_mul_lo_u32 v15, v10, s48
	v_mul_lo_u32 v10, v10, s49
	v_sub_nc_u32_e32 v9, v9, v13
	v_mul_lo_u32 v16, v4, s13
	s_delay_alu instid0(VALU_DEP_2) | instskip(SKIP_1) | instid1(VALU_DEP_3)
	v_mul_lo_u32 v13, v9, s46
	v_mul_lo_u32 v9, v9, s47
	v_sub_nc_u32_e32 v11, v11, v16
	s_delay_alu instid0(VALU_DEP_3) | instskip(NEXT) | instid1(VALU_DEP_2)
	v_add3_u32 v2, v12, v2, v13
	v_mul_lo_u32 v16, v11, s50
	v_mul_lo_u32 v11, v11, s51
	v_add3_u32 v6, v14, v6, v9
	s_delay_alu instid0(VALU_DEP_3) | instskip(NEXT) | instid1(VALU_DEP_2)
	v_add3_u32 v2, v15, v2, v16
	v_add3_u32 v6, v10, v6, v11
	s_cbranch_scc1 .LBB7_1080
; %bb.1081:
	s_and_b32 s7, s7, 3
	s_delay_alu instid0(SALU_CYCLE_1)
	s_cmp_eq_u32 s7, 0
	s_cbranch_scc0 .LBB7_1084
	s_branch .LBB7_1086
.LBB7_1082:
	s_mov_b32 s6, -1
                                        ; implicit-def: $vgpr2
                                        ; implicit-def: $vgpr6
	s_branch .LBB7_1086
.LBB7_1083:
	v_mov_b32_e32 v4, v1
	v_mov_b32_e32 v6, 0
	s_and_b32 s7, s7, 3
	s_delay_alu instid0(SALU_CYCLE_1)
	s_cmp_eq_u32 s7, 0
	s_cbranch_scc1 .LBB7_1086
.LBB7_1084:
	s_lshl_b32 s2, s10, 3
	s_mul_i32 s4, s10, 12
	s_add_u32 s2, s2, s16
	s_addc_u32 s3, 0, s17
	s_add_u32 s2, s2, 0xc4
	s_addc_u32 s3, s3, 0
	;; [unrolled: 2-line block ×3, first 2 shown]
	.p2align	6
.LBB7_1085:                             ; =>This Inner Loop Header: Depth=1
	s_clause 0x1
	s_load_b64 s[10:11], s[4:5], 0x4
	s_load_b32 s14, s[4:5], 0xc
	s_load_b64 s[12:13], s[2:3], 0x0
	s_add_u32 s4, s4, 12
	s_addc_u32 s5, s5, 0
	s_add_u32 s2, s2, 8
	s_addc_u32 s3, s3, 0
	s_add_i32 s7, s7, -1
	s_delay_alu instid0(SALU_CYCLE_1) | instskip(SKIP_2) | instid1(VALU_DEP_1)
	s_cmp_lg_u32 s7, 0
	s_waitcnt lgkmcnt(0)
	v_mul_hi_u32 v9, s11, v4
	v_add_nc_u32_e32 v9, v4, v9
	s_delay_alu instid0(VALU_DEP_1) | instskip(NEXT) | instid1(VALU_DEP_1)
	v_lshrrev_b32_e32 v12, s14, v9
	v_mul_lo_u32 v9, v12, s10
	s_delay_alu instid0(VALU_DEP_1) | instskip(NEXT) | instid1(VALU_DEP_1)
	v_sub_nc_u32_e32 v4, v4, v9
	v_mad_u64_u32 v[9:10], null, v4, s12, v[2:3]
	v_mad_u64_u32 v[10:11], null, v4, s13, v[6:7]
	v_mov_b32_e32 v4, v12
	s_delay_alu instid0(VALU_DEP_3) | instskip(NEXT) | instid1(VALU_DEP_3)
	v_mov_b32_e32 v2, v9
	v_mov_b32_e32 v6, v10
	s_cbranch_scc1 .LBB7_1085
.LBB7_1086:
	s_and_not1_b32 vcc_lo, exec_lo, s6
	s_cbranch_vccnz .LBB7_1089
; %bb.1087:
	s_clause 0x1
	s_load_b128 s[4:7], s[16:17], 0x4
	s_load_b64 s[2:3], s[16:17], 0xc4
	s_cmp_lt_u32 s24, 2
	s_waitcnt lgkmcnt(0)
	v_mul_hi_u32 v2, s5, v1
	s_delay_alu instid0(VALU_DEP_1) | instskip(NEXT) | instid1(VALU_DEP_1)
	v_add_nc_u32_e32 v2, v1, v2
	v_lshrrev_b32_e32 v4, s6, v2
	s_delay_alu instid0(VALU_DEP_1) | instskip(NEXT) | instid1(VALU_DEP_1)
	v_mul_lo_u32 v2, v4, s4
	v_sub_nc_u32_e32 v1, v1, v2
	s_delay_alu instid0(VALU_DEP_1)
	v_mul_lo_u32 v2, v1, s2
	v_mul_lo_u32 v6, v1, s3
	s_cbranch_scc1 .LBB7_1089
; %bb.1088:
	s_clause 0x1
	s_load_b128 s[4:7], s[16:17], 0x10
	s_load_b64 s[2:3], s[16:17], 0xcc
	s_waitcnt lgkmcnt(0)
	v_mul_hi_u32 v1, s5, v4
	s_delay_alu instid0(VALU_DEP_1) | instskip(NEXT) | instid1(VALU_DEP_1)
	v_add_nc_u32_e32 v1, v4, v1
	v_lshrrev_b32_e32 v1, s6, v1
	s_delay_alu instid0(VALU_DEP_1) | instskip(NEXT) | instid1(VALU_DEP_1)
	v_mul_lo_u32 v1, v1, s4
	v_sub_nc_u32_e32 v4, v4, v1
	s_delay_alu instid0(VALU_DEP_1) | instskip(SKIP_1) | instid1(VALU_DEP_2)
	v_mad_u64_u32 v[9:10], null, v4, s2, v[2:3]
	v_mad_u64_u32 v[1:2], null, v4, s3, v[6:7]
	v_mov_b32_e32 v2, v9
	s_delay_alu instid0(VALU_DEP_2)
	v_mov_b32_e32 v6, v1
.LBB7_1089:
	v_cmp_ne_u32_e32 vcc_lo, 1, v0
	v_add_nc_u32_e32 v4, 0x100, v5
	s_cbranch_vccnz .LBB7_1095
; %bb.1090:
	v_mov_b32_e32 v1, 0
	v_mov_b32_e32 v5, 0
	s_cmp_lg_u32 s24, 0
	s_mov_b32 s6, 0
	s_cbranch_scc0 .LBB7_1099
; %bb.1091:
	s_min_u32 s7, s25, 15
	v_mov_b32_e32 v1, 0
	s_add_i32 s7, s7, 1
	s_cmp_eq_u32 s25, 2
	s_mov_b32 s10, 0
	s_cbranch_scc1 .LBB7_1096
; %bb.1092:
	v_mov_b32_e32 v5, 0
	v_mov_b32_e32 v1, 0
	;; [unrolled: 1-line block ×3, first 2 shown]
	s_add_u32 s2, s16, 0xc4
	s_addc_u32 s3, s17, 0
	s_and_b32 s10, s7, 28
	s_mov_b32 s11, 0
	s_mov_b64 s[4:5], s[16:17]
.LBB7_1093:                             ; =>This Inner Loop Header: Depth=1
	s_clause 0x1
	s_load_b256 s[36:43], s[4:5], 0x4
	s_load_b128 s[12:15], s[4:5], 0x24
	s_load_b256 s[44:51], s[2:3], 0x0
	s_add_u32 s4, s4, 48
	s_addc_u32 s5, s5, 0
	s_add_i32 s11, s11, 4
	s_add_u32 s2, s2, 32
	s_addc_u32 s3, s3, 0
	s_cmp_lg_u32 s10, s11
	s_waitcnt lgkmcnt(0)
	v_mul_hi_u32 v10, s37, v9
	s_delay_alu instid0(VALU_DEP_1) | instskip(NEXT) | instid1(VALU_DEP_1)
	v_add_nc_u32_e32 v10, v9, v10
	v_lshrrev_b32_e32 v10, s38, v10
	s_delay_alu instid0(VALU_DEP_1) | instskip(SKIP_1) | instid1(VALU_DEP_2)
	v_mul_hi_u32 v11, s40, v10
	v_mul_lo_u32 v13, v10, s36
	v_add_nc_u32_e32 v11, v10, v11
	s_delay_alu instid0(VALU_DEP_2) | instskip(NEXT) | instid1(VALU_DEP_2)
	v_sub_nc_u32_e32 v9, v9, v13
	v_lshrrev_b32_e32 v11, s41, v11
	s_delay_alu instid0(VALU_DEP_2) | instskip(SKIP_1) | instid1(VALU_DEP_3)
	v_mul_lo_u32 v13, v9, s44
	v_mul_lo_u32 v15, v9, s45
	v_mul_hi_u32 v12, s43, v11
	s_delay_alu instid0(VALU_DEP_1) | instskip(NEXT) | instid1(VALU_DEP_1)
	v_add_nc_u32_e32 v12, v11, v12
	v_lshrrev_b32_e32 v12, s12, v12
	s_delay_alu instid0(VALU_DEP_1) | instskip(SKIP_1) | instid1(VALU_DEP_2)
	v_mul_hi_u32 v14, s14, v12
	v_mul_lo_u32 v16, v12, s42
	v_add_nc_u32_e32 v9, v12, v14
	v_mul_lo_u32 v14, v11, s39
	s_delay_alu instid0(VALU_DEP_3) | instskip(NEXT) | instid1(VALU_DEP_3)
	v_sub_nc_u32_e32 v11, v11, v16
	v_lshrrev_b32_e32 v9, s15, v9
	s_delay_alu instid0(VALU_DEP_2) | instskip(SKIP_2) | instid1(VALU_DEP_4)
	v_mul_lo_u32 v16, v11, s48
	v_mul_lo_u32 v11, v11, s49
	v_sub_nc_u32_e32 v10, v10, v14
	v_mul_lo_u32 v17, v9, s13
	s_delay_alu instid0(VALU_DEP_2) | instskip(SKIP_1) | instid1(VALU_DEP_3)
	v_mul_lo_u32 v14, v10, s46
	v_mul_lo_u32 v10, v10, s47
	v_sub_nc_u32_e32 v12, v12, v17
	s_delay_alu instid0(VALU_DEP_3) | instskip(NEXT) | instid1(VALU_DEP_2)
	v_add3_u32 v1, v13, v1, v14
	v_mul_lo_u32 v17, v12, s50
	v_mul_lo_u32 v12, v12, s51
	v_add3_u32 v5, v15, v5, v10
	s_delay_alu instid0(VALU_DEP_3) | instskip(NEXT) | instid1(VALU_DEP_2)
	v_add3_u32 v1, v16, v1, v17
	v_add3_u32 v5, v11, v5, v12
	s_cbranch_scc1 .LBB7_1093
; %bb.1094:
	s_and_b32 s7, s7, 3
	s_delay_alu instid0(SALU_CYCLE_1)
	s_cmp_eq_u32 s7, 0
	s_cbranch_scc0 .LBB7_1097
	s_branch .LBB7_1099
.LBB7_1095:
	s_mov_b32 s6, -1
                                        ; implicit-def: $vgpr1
                                        ; implicit-def: $vgpr5
	s_branch .LBB7_1099
.LBB7_1096:
	v_mov_b32_e32 v9, v4
	v_mov_b32_e32 v5, 0
	s_and_b32 s7, s7, 3
	s_delay_alu instid0(SALU_CYCLE_1)
	s_cmp_eq_u32 s7, 0
	s_cbranch_scc1 .LBB7_1099
.LBB7_1097:
	s_lshl_b32 s2, s10, 3
	s_mul_i32 s4, s10, 12
	s_add_u32 s2, s2, s16
	s_addc_u32 s3, 0, s17
	s_add_u32 s2, s2, 0xc4
	s_addc_u32 s3, s3, 0
	;; [unrolled: 2-line block ×3, first 2 shown]
	.p2align	6
.LBB7_1098:                             ; =>This Inner Loop Header: Depth=1
	s_clause 0x1
	s_load_b64 s[10:11], s[4:5], 0x4
	s_load_b32 s14, s[4:5], 0xc
	s_load_b64 s[12:13], s[2:3], 0x0
	s_add_u32 s4, s4, 12
	s_addc_u32 s5, s5, 0
	s_add_u32 s2, s2, 8
	s_addc_u32 s3, s3, 0
	s_add_i32 s7, s7, -1
	s_delay_alu instid0(SALU_CYCLE_1) | instskip(SKIP_2) | instid1(VALU_DEP_1)
	s_cmp_lg_u32 s7, 0
	s_waitcnt lgkmcnt(0)
	v_mul_hi_u32 v10, s11, v9
	v_add_nc_u32_e32 v10, v9, v10
	s_delay_alu instid0(VALU_DEP_1) | instskip(NEXT) | instid1(VALU_DEP_1)
	v_lshrrev_b32_e32 v13, s14, v10
	v_mul_lo_u32 v10, v13, s10
	s_delay_alu instid0(VALU_DEP_1) | instskip(NEXT) | instid1(VALU_DEP_1)
	v_sub_nc_u32_e32 v9, v9, v10
	v_mad_u64_u32 v[10:11], null, v9, s12, v[1:2]
	v_mad_u64_u32 v[11:12], null, v9, s13, v[5:6]
	v_mov_b32_e32 v9, v13
	s_delay_alu instid0(VALU_DEP_3) | instskip(NEXT) | instid1(VALU_DEP_3)
	v_mov_b32_e32 v1, v10
	v_mov_b32_e32 v5, v11
	s_cbranch_scc1 .LBB7_1098
.LBB7_1099:
	s_and_not1_b32 vcc_lo, exec_lo, s6
	s_cbranch_vccnz .LBB7_1102
; %bb.1100:
	s_clause 0x1
	s_load_b128 s[4:7], s[16:17], 0x4
	s_load_b64 s[2:3], s[16:17], 0xc4
	s_cmp_lt_u32 s24, 2
	s_waitcnt lgkmcnt(0)
	v_mul_hi_u32 v1, s5, v4
	s_delay_alu instid0(VALU_DEP_1) | instskip(NEXT) | instid1(VALU_DEP_1)
	v_add_nc_u32_e32 v1, v4, v1
	v_lshrrev_b32_e32 v9, s6, v1
	s_delay_alu instid0(VALU_DEP_1) | instskip(NEXT) | instid1(VALU_DEP_1)
	v_mul_lo_u32 v1, v9, s4
	v_sub_nc_u32_e32 v4, v4, v1
	s_delay_alu instid0(VALU_DEP_1)
	v_mul_lo_u32 v1, v4, s2
	v_mul_lo_u32 v5, v4, s3
	s_cbranch_scc1 .LBB7_1102
; %bb.1101:
	s_clause 0x1
	s_load_b128 s[4:7], s[16:17], 0x10
	s_load_b64 s[2:3], s[16:17], 0xcc
	s_waitcnt lgkmcnt(0)
	v_mul_hi_u32 v4, s5, v9
	s_delay_alu instid0(VALU_DEP_1) | instskip(NEXT) | instid1(VALU_DEP_1)
	v_add_nc_u32_e32 v4, v9, v4
	v_lshrrev_b32_e32 v4, s6, v4
	s_delay_alu instid0(VALU_DEP_1) | instskip(NEXT) | instid1(VALU_DEP_1)
	v_mul_lo_u32 v4, v4, s4
	v_sub_nc_u32_e32 v4, v9, v4
	s_delay_alu instid0(VALU_DEP_1) | instskip(SKIP_1) | instid1(VALU_DEP_2)
	v_mad_u64_u32 v[9:10], null, v4, s2, v[1:2]
	v_mad_u64_u32 v[10:11], null, v4, s3, v[5:6]
	v_mov_b32_e32 v1, v9
	s_delay_alu instid0(VALU_DEP_2)
	v_mov_b32_e32 v5, v10
.LBB7_1102:
	v_cmp_ne_u32_e32 vcc_lo, 1, v0
	s_cbranch_vccnz .LBB7_1108
; %bb.1103:
	v_mov_b32_e32 v0, 0
	v_mov_b32_e32 v4, 0
	s_cmp_lg_u32 s24, 0
	s_mov_b32 s6, 0
	s_cbranch_scc0 .LBB7_1112
; %bb.1104:
	s_min_u32 s7, s25, 15
	v_mov_b32_e32 v0, 0
	s_add_i32 s7, s7, 1
	s_cmp_eq_u32 s25, 2
	s_mov_b32 s10, 0
	s_cbranch_scc1 .LBB7_1109
; %bb.1105:
	v_dual_mov_b32 v4, 0 :: v_dual_mov_b32 v9, v8
	v_mov_b32_e32 v0, 0
	s_add_u32 s2, s16, 0xc4
	s_addc_u32 s3, s17, 0
	s_and_b32 s10, s7, 28
	s_mov_b32 s11, 0
	s_mov_b64 s[4:5], s[16:17]
.LBB7_1106:                             ; =>This Inner Loop Header: Depth=1
	s_clause 0x1
	s_load_b256 s[36:43], s[4:5], 0x4
	s_load_b128 s[12:15], s[4:5], 0x24
	s_load_b256 s[44:51], s[2:3], 0x0
	s_add_u32 s4, s4, 48
	s_addc_u32 s5, s5, 0
	s_add_i32 s11, s11, 4
	s_add_u32 s2, s2, 32
	s_addc_u32 s3, s3, 0
	s_cmp_lg_u32 s10, s11
	s_waitcnt lgkmcnt(0)
	v_mul_hi_u32 v10, s37, v9
	s_delay_alu instid0(VALU_DEP_1) | instskip(NEXT) | instid1(VALU_DEP_1)
	v_add_nc_u32_e32 v10, v9, v10
	v_lshrrev_b32_e32 v10, s38, v10
	s_delay_alu instid0(VALU_DEP_1) | instskip(SKIP_1) | instid1(VALU_DEP_2)
	v_mul_hi_u32 v11, s40, v10
	v_mul_lo_u32 v13, v10, s36
	v_add_nc_u32_e32 v11, v10, v11
	s_delay_alu instid0(VALU_DEP_2) | instskip(NEXT) | instid1(VALU_DEP_2)
	v_sub_nc_u32_e32 v9, v9, v13
	v_lshrrev_b32_e32 v11, s41, v11
	s_delay_alu instid0(VALU_DEP_2) | instskip(SKIP_1) | instid1(VALU_DEP_3)
	v_mul_lo_u32 v13, v9, s44
	v_mul_lo_u32 v15, v9, s45
	v_mul_hi_u32 v12, s43, v11
	s_delay_alu instid0(VALU_DEP_1) | instskip(NEXT) | instid1(VALU_DEP_1)
	v_add_nc_u32_e32 v12, v11, v12
	v_lshrrev_b32_e32 v12, s12, v12
	s_delay_alu instid0(VALU_DEP_1) | instskip(SKIP_1) | instid1(VALU_DEP_2)
	v_mul_hi_u32 v14, s14, v12
	v_mul_lo_u32 v16, v12, s42
	v_add_nc_u32_e32 v9, v12, v14
	v_mul_lo_u32 v14, v11, s39
	s_delay_alu instid0(VALU_DEP_3) | instskip(NEXT) | instid1(VALU_DEP_3)
	v_sub_nc_u32_e32 v11, v11, v16
	v_lshrrev_b32_e32 v9, s15, v9
	s_delay_alu instid0(VALU_DEP_2) | instskip(SKIP_2) | instid1(VALU_DEP_4)
	v_mul_lo_u32 v16, v11, s48
	v_mul_lo_u32 v11, v11, s49
	v_sub_nc_u32_e32 v10, v10, v14
	v_mul_lo_u32 v17, v9, s13
	s_delay_alu instid0(VALU_DEP_2) | instskip(SKIP_1) | instid1(VALU_DEP_3)
	v_mul_lo_u32 v14, v10, s46
	v_mul_lo_u32 v10, v10, s47
	v_sub_nc_u32_e32 v12, v12, v17
	s_delay_alu instid0(VALU_DEP_3) | instskip(NEXT) | instid1(VALU_DEP_2)
	v_add3_u32 v0, v13, v0, v14
	v_mul_lo_u32 v17, v12, s50
	v_mul_lo_u32 v12, v12, s51
	v_add3_u32 v4, v15, v4, v10
	s_delay_alu instid0(VALU_DEP_3) | instskip(NEXT) | instid1(VALU_DEP_2)
	v_add3_u32 v0, v16, v0, v17
	v_add3_u32 v4, v11, v4, v12
	s_cbranch_scc1 .LBB7_1106
; %bb.1107:
	s_and_b32 s7, s7, 3
	s_delay_alu instid0(SALU_CYCLE_1)
	s_cmp_eq_u32 s7, 0
	s_cbranch_scc0 .LBB7_1110
	s_branch .LBB7_1112
.LBB7_1108:
	s_mov_b32 s6, -1
                                        ; implicit-def: $vgpr0
                                        ; implicit-def: $vgpr4
	s_branch .LBB7_1112
.LBB7_1109:
	v_dual_mov_b32 v9, v8 :: v_dual_mov_b32 v4, 0
	s_and_b32 s7, s7, 3
	s_delay_alu instid0(SALU_CYCLE_1)
	s_cmp_eq_u32 s7, 0
	s_cbranch_scc1 .LBB7_1112
.LBB7_1110:
	s_lshl_b32 s2, s10, 3
	s_mul_i32 s4, s10, 12
	s_add_u32 s2, s2, s16
	s_addc_u32 s3, 0, s17
	s_add_u32 s2, s2, 0xc4
	s_addc_u32 s3, s3, 0
	;; [unrolled: 2-line block ×3, first 2 shown]
	.p2align	6
.LBB7_1111:                             ; =>This Inner Loop Header: Depth=1
	s_clause 0x1
	s_load_b64 s[10:11], s[4:5], 0x4
	s_load_b32 s14, s[4:5], 0xc
	s_load_b64 s[12:13], s[2:3], 0x0
	s_add_u32 s4, s4, 12
	s_addc_u32 s5, s5, 0
	s_add_u32 s2, s2, 8
	s_addc_u32 s3, s3, 0
	s_add_i32 s7, s7, -1
	s_delay_alu instid0(SALU_CYCLE_1) | instskip(SKIP_2) | instid1(VALU_DEP_1)
	s_cmp_lg_u32 s7, 0
	s_waitcnt lgkmcnt(0)
	v_mul_hi_u32 v10, s11, v9
	v_add_nc_u32_e32 v10, v9, v10
	s_delay_alu instid0(VALU_DEP_1) | instskip(NEXT) | instid1(VALU_DEP_1)
	v_lshrrev_b32_e32 v13, s14, v10
	v_mul_lo_u32 v10, v13, s10
	s_delay_alu instid0(VALU_DEP_1) | instskip(NEXT) | instid1(VALU_DEP_1)
	v_sub_nc_u32_e32 v9, v9, v10
	v_mad_u64_u32 v[10:11], null, v9, s12, v[0:1]
	v_mad_u64_u32 v[11:12], null, v9, s13, v[4:5]
	s_delay_alu instid0(VALU_DEP_2) | instskip(NEXT) | instid1(VALU_DEP_2)
	v_dual_mov_b32 v9, v13 :: v_dual_mov_b32 v0, v10
	v_mov_b32_e32 v4, v11
	s_cbranch_scc1 .LBB7_1111
.LBB7_1112:
	s_and_not1_b32 vcc_lo, exec_lo, s6
	s_cbranch_vccnz .LBB7_1115
; %bb.1113:
	s_clause 0x1
	s_load_b128 s[4:7], s[16:17], 0x4
	s_load_b64 s[2:3], s[16:17], 0xc4
	s_cmp_lt_u32 s24, 2
	s_waitcnt lgkmcnt(0)
	v_mul_hi_u32 v0, s5, v8
	s_delay_alu instid0(VALU_DEP_1) | instskip(NEXT) | instid1(VALU_DEP_1)
	v_add_nc_u32_e32 v0, v8, v0
	v_lshrrev_b32_e32 v9, s6, v0
	s_delay_alu instid0(VALU_DEP_1) | instskip(NEXT) | instid1(VALU_DEP_1)
	v_mul_lo_u32 v0, v9, s4
	v_sub_nc_u32_e32 v4, v8, v0
	s_delay_alu instid0(VALU_DEP_1)
	v_mul_lo_u32 v0, v4, s2
	v_mul_lo_u32 v4, v4, s3
	s_cbranch_scc1 .LBB7_1115
; %bb.1114:
	s_clause 0x1
	s_load_b128 s[4:7], s[16:17], 0x10
	s_load_b64 s[2:3], s[16:17], 0xcc
	s_waitcnt lgkmcnt(0)
	v_mul_hi_u32 v8, s5, v9
	s_delay_alu instid0(VALU_DEP_1) | instskip(NEXT) | instid1(VALU_DEP_1)
	v_add_nc_u32_e32 v8, v9, v8
	v_lshrrev_b32_e32 v8, s6, v8
	s_delay_alu instid0(VALU_DEP_1) | instskip(NEXT) | instid1(VALU_DEP_1)
	v_mul_lo_u32 v8, v8, s4
	v_sub_nc_u32_e32 v11, v9, v8
	s_delay_alu instid0(VALU_DEP_1) | instskip(SKIP_1) | instid1(VALU_DEP_2)
	v_mad_u64_u32 v[8:9], null, v11, s2, v[0:1]
	v_mad_u64_u32 v[9:10], null, v11, s3, v[4:5]
	v_mov_b32_e32 v0, v8
	s_delay_alu instid0(VALU_DEP_2)
	v_mov_b32_e32 v4, v9
.LBB7_1115:
	s_clause 0x1
	s_load_b32 s2, s[0:1], 0x160
	s_load_b128 s[4:7], s[16:17], 0x148
	s_mov_b32 s10, 0
	s_waitcnt lgkmcnt(0)
	s_lshr_b32 s0, s2, 16
	s_delay_alu instid0(SALU_CYCLE_1) | instskip(SKIP_1) | instid1(VALU_DEP_1)
	v_and_b32_e64 v9, 0xff, s0
	v_add_co_u32 v7, s0, s6, v7
	v_add_co_ci_u32_e64 v8, null, s7, 0, s0
	s_delay_alu instid0(VALU_DEP_3)
	v_cmp_gt_i16_e32 vcc_lo, 11, v9
	s_cbranch_vccnz .LBB7_1122
; %bb.1116:
	v_cmp_lt_i16_e32 vcc_lo, 25, v9
	s_mov_b32 s0, 0
	s_cbranch_vccz .LBB7_1124
; %bb.1117:
	v_cmp_lt_i16_e32 vcc_lo, 28, v9
	s_cbranch_vccz .LBB7_1125
; %bb.1118:
	v_cmp_lt_i16_e32 vcc_lo, 43, v9
	;; [unrolled: 3-line block ×3, first 2 shown]
	s_cbranch_vccz .LBB7_1129
; %bb.1120:
	v_cmp_eq_u16_e32 vcc_lo, 46, v9
	s_mov_b32 s11, 0
	s_cbranch_vccz .LBB7_1134
; %bb.1121:
	global_load_b32 v10, v[7:8], off
	s_mov_b32 s1, 0
	s_mov_b32 s10, -1
	s_waitcnt vmcnt(0)
	v_and_b32_e32 v10, 0x7fff7fff, v10
	s_delay_alu instid0(VALU_DEP_1)
	v_cmp_ne_u32_e32 vcc_lo, 0, v10
	s_and_b32 s3, vcc_lo, exec_lo
	s_branch .LBB7_1136
.LBB7_1122:
	s_mov_b32 s1, s8
                                        ; implicit-def: $sgpr3
	s_cbranch_execnz .LBB7_1193
.LBB7_1123:
	s_and_not1_b32 vcc_lo, exec_lo, s10
	s_cbranch_vccz .LBB7_1238
	s_branch .LBB7_2064
.LBB7_1124:
	s_mov_b32 s1, 0
                                        ; implicit-def: $sgpr3
	s_cbranch_execnz .LBB7_1160
	s_branch .LBB7_1189
.LBB7_1125:
	s_mov_b32 s11, -1
	s_mov_b32 s1, 0
                                        ; implicit-def: $sgpr3
	s_branch .LBB7_1143
.LBB7_1126:
	s_mov_b32 s1, 0
                                        ; implicit-def: $sgpr3
	s_cbranch_execnz .LBB7_1139
	s_branch .LBB7_1142
.LBB7_1127:
	s_cbranch_execnz .LBB7_1132
; %bb.1128:
	s_or_b32 s3, s3, exec_lo
	s_and_not1_b32 s2, s2, exec_lo
	s_or_b32 exec_lo, exec_lo, s4
	s_and_saveexec_b32 s4, s2
	s_delay_alu instid0(SALU_CYCLE_1)
	s_xor_b32 s2, exec_lo, s4
	s_cbranch_execnz .LBB7_1022
	s_branch .LBB7_1023
.LBB7_1129:
	s_mov_b32 s11, -1
	s_mov_b32 s1, 0
	s_branch .LBB7_1135
.LBB7_1130:
	s_trap 2
	s_sendmsg_rtn_b32 s0, sendmsg(MSG_RTN_GET_DOORBELL)
	s_mov_b32 ttmp2, m0
	s_waitcnt lgkmcnt(0)
	s_and_b32 s0, s0, 0x3ff
	s_delay_alu instid0(SALU_CYCLE_1) | instskip(NEXT) | instid1(SALU_CYCLE_1)
	s_bitset1_b32 s0, 10
	s_mov_b32 m0, s0
	s_sendmsg sendmsg(MSG_INTERRUPT)
	s_mov_b32 m0, ttmp2
.LBB7_1131:                             ; =>This Inner Loop Header: Depth=1
	s_sethalt 5
	s_branch .LBB7_1131
.LBB7_1132:
	s_trap 2
	s_sendmsg_rtn_b32 s0, sendmsg(MSG_RTN_GET_DOORBELL)
	s_mov_b32 ttmp2, m0
	s_waitcnt lgkmcnt(0)
	s_and_b32 s0, s0, 0x3ff
	s_delay_alu instid0(SALU_CYCLE_1) | instskip(NEXT) | instid1(SALU_CYCLE_1)
	s_bitset1_b32 s0, 10
	s_mov_b32 m0, s0
	s_sendmsg sendmsg(MSG_INTERRUPT)
	s_mov_b32 m0, ttmp2
.LBB7_1133:                             ; =>This Inner Loop Header: Depth=1
	s_sethalt 5
	s_branch .LBB7_1133
.LBB7_1134:
	s_mov_b32 s1, -1
.LBB7_1135:
                                        ; implicit-def: $sgpr3
.LBB7_1136:
	s_and_b32 vcc_lo, exec_lo, s11
	s_cbranch_vccz .LBB7_1138
; %bb.1137:
	v_cmp_ne_u16_e64 s1, 44, v9
	s_mov_b32 s10, -1
	s_or_b32 s3, s3, exec_lo
.LBB7_1138:
	s_branch .LBB7_1142
.LBB7_1139:
	v_cmp_eq_u16_e32 vcc_lo, 29, v9
	s_cbranch_vccz .LBB7_1141
; %bb.1140:
	global_load_b64 v[10:11], v[7:8], off
	s_mov_b32 s1, 0
	s_mov_b32 s10, -1
	s_mov_b32 s11, 0
	s_waitcnt vmcnt(0)
	v_cmp_ne_u64_e32 vcc_lo, 0, v[10:11]
	s_and_b32 s3, vcc_lo, exec_lo
	s_branch .LBB7_1143
.LBB7_1141:
	s_mov_b32 s1, -1
                                        ; implicit-def: $sgpr3
.LBB7_1142:
	s_mov_b32 s11, 0
.LBB7_1143:
	s_delay_alu instid0(SALU_CYCLE_1)
	s_and_b32 vcc_lo, exec_lo, s11
	s_cbranch_vccz .LBB7_1159
; %bb.1144:
	v_cmp_gt_i16_e32 vcc_lo, 27, v9
	s_cbranch_vccnz .LBB7_1147
; %bb.1145:
	v_cmp_lt_i16_e32 vcc_lo, 27, v9
	s_cbranch_vccz .LBB7_1148
; %bb.1146:
	global_load_b32 v10, v[7:8], off
	s_mov_b32 s10, 0
	s_waitcnt vmcnt(0)
	v_cmp_ne_u32_e32 vcc_lo, 0, v10
	s_and_b32 s3, vcc_lo, exec_lo
	s_branch .LBB7_1149
.LBB7_1147:
	s_mov_b32 s10, -1
                                        ; implicit-def: $sgpr3
	s_branch .LBB7_1152
.LBB7_1148:
	s_mov_b32 s10, -1
                                        ; implicit-def: $sgpr3
.LBB7_1149:
	s_delay_alu instid0(SALU_CYCLE_1)
	s_and_not1_b32 vcc_lo, exec_lo, s10
	s_cbranch_vccnz .LBB7_1151
; %bb.1150:
	global_load_u16 v10, v[7:8], off
	s_and_not1_b32 s3, s3, exec_lo
	s_waitcnt vmcnt(0)
	v_cmp_ne_u16_e32 vcc_lo, 0, v10
	s_and_b32 s10, vcc_lo, exec_lo
	s_delay_alu instid0(SALU_CYCLE_1)
	s_or_b32 s3, s3, s10
.LBB7_1151:
	s_mov_b32 s10, 0
.LBB7_1152:
	s_delay_alu instid0(SALU_CYCLE_1)
	s_and_not1_b32 vcc_lo, exec_lo, s10
	s_cbranch_vccnz .LBB7_1158
; %bb.1153:
	global_load_u8 v10, v[7:8], off
	s_mov_b32 s10, 0
	s_mov_b32 s11, exec_lo
                                        ; implicit-def: $sgpr3
	s_waitcnt vmcnt(0)
	v_cmpx_lt_i16_e32 0x7f, v10
	s_xor_b32 s11, exec_lo, s11
	s_cbranch_execnz .LBB7_1170
; %bb.1154:
	s_and_not1_saveexec_b32 s11, s11
	s_cbranch_execnz .LBB7_1173
.LBB7_1155:
	s_or_b32 exec_lo, exec_lo, s11
	s_and_saveexec_b32 s11, s10
	s_cbranch_execz .LBB7_1157
.LBB7_1156:
	v_and_b32_e32 v10, 0xffff, v10
	s_and_not1_b32 s3, s3, exec_lo
	s_delay_alu instid0(VALU_DEP_1) | instskip(NEXT) | instid1(VALU_DEP_1)
	v_and_b32_e32 v11, 7, v10
	v_clz_i32_u32_e32 v12, v11
	s_delay_alu instid0(VALU_DEP_1) | instskip(NEXT) | instid1(VALU_DEP_1)
	v_min_u32_e32 v12, 32, v12
	v_subrev_nc_u32_e32 v13, 28, v12
	v_sub_nc_u32_e32 v12, 29, v12
	s_delay_alu instid0(VALU_DEP_2) | instskip(SKIP_1) | instid1(VALU_DEP_2)
	v_lshlrev_b32_e32 v13, v13, v10
	v_bfe_u32 v10, v10, 3, 4
	v_and_b32_e32 v13, 7, v13
	s_delay_alu instid0(VALU_DEP_2) | instskip(NEXT) | instid1(VALU_DEP_2)
	v_cmp_eq_u32_e32 vcc_lo, 0, v10
	v_dual_cndmask_b32 v10, v10, v12 :: v_dual_cndmask_b32 v11, v11, v13
	s_delay_alu instid0(VALU_DEP_1) | instskip(NEXT) | instid1(VALU_DEP_2)
	v_lshl_add_u32 v10, v10, 23, 0x3b800000
	v_lshlrev_b32_e32 v11, 20, v11
	s_delay_alu instid0(VALU_DEP_1) | instskip(NEXT) | instid1(VALU_DEP_1)
	v_and_or_b32 v10, 0x7f800000, v10, v11
	v_cmp_ne_u32_e32 vcc_lo, 0, v10
	s_and_b32 s10, vcc_lo, exec_lo
	s_delay_alu instid0(SALU_CYCLE_1)
	s_or_b32 s3, s3, s10
.LBB7_1157:
	s_or_b32 exec_lo, exec_lo, s11
.LBB7_1158:
	s_mov_b32 s10, -1
.LBB7_1159:
	s_branch .LBB7_1189
.LBB7_1160:
	v_cmp_lt_i16_e32 vcc_lo, 22, v9
	s_cbranch_vccz .LBB7_1168
; %bb.1161:
	v_cmp_gt_i16_e32 vcc_lo, 24, v9
	s_cbranch_vccnz .LBB7_1169
; %bb.1162:
	v_cmp_lt_i16_e32 vcc_lo, 24, v9
	s_cbranch_vccz .LBB7_1174
; %bb.1163:
	global_load_u8 v10, v[7:8], off
	s_mov_b32 s10, exec_lo
                                        ; implicit-def: $sgpr3
	s_waitcnt vmcnt(0)
	v_cmpx_lt_i16_e32 0x7f, v10
	s_xor_b32 s10, exec_lo, s10
	s_cbranch_execnz .LBB7_1252
; %bb.1164:
	s_and_not1_saveexec_b32 s10, s10
	s_cbranch_execnz .LBB7_1255
.LBB7_1165:
	s_or_b32 exec_lo, exec_lo, s10
	s_and_saveexec_b32 s10, s0
	s_cbranch_execz .LBB7_1167
.LBB7_1166:
	v_and_b32_e32 v10, 0xffff, v10
	s_and_not1_b32 s0, s3, exec_lo
	s_delay_alu instid0(VALU_DEP_1) | instskip(NEXT) | instid1(VALU_DEP_1)
	v_and_b32_e32 v11, 3, v10
	v_clz_i32_u32_e32 v12, v11
	s_delay_alu instid0(VALU_DEP_1) | instskip(NEXT) | instid1(VALU_DEP_1)
	v_min_u32_e32 v12, 32, v12
	v_subrev_nc_u32_e32 v13, 29, v12
	v_sub_nc_u32_e32 v12, 30, v12
	s_delay_alu instid0(VALU_DEP_2) | instskip(SKIP_1) | instid1(VALU_DEP_2)
	v_lshlrev_b32_e32 v13, v13, v10
	v_bfe_u32 v10, v10, 2, 5
	v_and_b32_e32 v13, 3, v13
	s_delay_alu instid0(VALU_DEP_2) | instskip(NEXT) | instid1(VALU_DEP_2)
	v_cmp_eq_u32_e32 vcc_lo, 0, v10
	v_dual_cndmask_b32 v10, v10, v12 :: v_dual_cndmask_b32 v11, v11, v13
	s_delay_alu instid0(VALU_DEP_1) | instskip(NEXT) | instid1(VALU_DEP_2)
	v_lshl_add_u32 v10, v10, 23, 0x37800000
	v_lshlrev_b32_e32 v11, 21, v11
	s_delay_alu instid0(VALU_DEP_1) | instskip(NEXT) | instid1(VALU_DEP_1)
	v_and_or_b32 v10, 0x7f800000, v10, v11
	v_cmp_ne_u32_e32 vcc_lo, 0, v10
	s_and_b32 s3, vcc_lo, exec_lo
	s_delay_alu instid0(SALU_CYCLE_1)
	s_or_b32 s3, s0, s3
.LBB7_1167:
	s_or_b32 exec_lo, exec_lo, s10
	s_mov_b32 s0, 0
	s_branch .LBB7_1175
.LBB7_1168:
                                        ; implicit-def: $sgpr3
	s_mov_b32 s0, 0
	s_branch .LBB7_1181
.LBB7_1169:
	s_mov_b32 s0, -1
                                        ; implicit-def: $sgpr3
	s_branch .LBB7_1178
.LBB7_1170:
	s_mov_b32 s10, -1
	s_mov_b32 s12, exec_lo
                                        ; implicit-def: $sgpr3
	v_cmpx_eq_u16_e32 0x80, v10
; %bb.1171:
	s_mov_b32 s3, -1
	s_xor_b32 s10, exec_lo, -1
; %bb.1172:
	s_or_b32 exec_lo, exec_lo, s12
	s_delay_alu instid0(SALU_CYCLE_1)
	s_and_b32 s10, s10, exec_lo
	s_and_not1_saveexec_b32 s11, s11
	s_cbranch_execz .LBB7_1155
.LBB7_1173:
	v_cmp_ne_u16_e32 vcc_lo, 0, v10
	s_and_not1_b32 s10, s10, exec_lo
	s_and_not1_b32 s3, s3, exec_lo
	s_and_b32 s12, vcc_lo, exec_lo
	s_delay_alu instid0(SALU_CYCLE_1)
	s_or_b32 s10, s10, s12
	s_or_b32 exec_lo, exec_lo, s11
	s_and_saveexec_b32 s11, s10
	s_cbranch_execnz .LBB7_1156
	s_branch .LBB7_1157
.LBB7_1174:
	s_mov_b32 s0, -1
                                        ; implicit-def: $sgpr3
.LBB7_1175:
	s_delay_alu instid0(SALU_CYCLE_1)
	s_and_b32 vcc_lo, exec_lo, s0
	s_cbranch_vccz .LBB7_1177
; %bb.1176:
	global_load_u8 v10, v[7:8], off
	s_and_not1_b32 s3, s3, exec_lo
	s_waitcnt vmcnt(0)
	v_lshlrev_b32_e32 v10, 24, v10
	s_delay_alu instid0(VALU_DEP_1) | instskip(NEXT) | instid1(VALU_DEP_1)
	v_and_b32_e32 v10, 0x7f000000, v10
	v_clz_i32_u32_e32 v11, v10
	v_add_nc_u32_e32 v13, 0x1000000, v10
	v_cmp_ne_u32_e32 vcc_lo, 0, v10
	s_delay_alu instid0(VALU_DEP_3) | instskip(NEXT) | instid1(VALU_DEP_3)
	v_min_u32_e32 v11, 32, v11
	v_ashrrev_i32_e32 v13, 8, v13
	s_delay_alu instid0(VALU_DEP_2) | instskip(NEXT) | instid1(VALU_DEP_1)
	v_sub_nc_u32_e64 v11, v11, 4 clamp
	v_lshlrev_b32_e32 v12, v11, v10
	v_lshlrev_b32_e32 v11, 23, v11
	s_delay_alu instid0(VALU_DEP_2) | instskip(NEXT) | instid1(VALU_DEP_1)
	v_lshrrev_b32_e32 v12, 4, v12
	v_sub_nc_u32_e32 v11, v12, v11
	v_and_b32_e32 v12, 0x7f800000, v13
	s_delay_alu instid0(VALU_DEP_2) | instskip(NEXT) | instid1(VALU_DEP_1)
	v_add_nc_u32_e32 v11, 0x3c000000, v11
	v_and_or_b32 v11, 0x7ff00000, v11, v12
	s_delay_alu instid0(VALU_DEP_1) | instskip(NEXT) | instid1(VALU_DEP_1)
	v_cmp_ne_u32_e64 s0, 0, v11
	s_and_b32 s0, vcc_lo, s0
	s_delay_alu instid0(SALU_CYCLE_1) | instskip(NEXT) | instid1(SALU_CYCLE_1)
	s_and_b32 s0, s0, exec_lo
	s_or_b32 s3, s3, s0
.LBB7_1177:
	s_mov_b32 s0, 0
.LBB7_1178:
	s_delay_alu instid0(SALU_CYCLE_1)
	s_and_not1_b32 vcc_lo, exec_lo, s0
	s_cbranch_vccnz .LBB7_1180
; %bb.1179:
	global_load_u8 v10, v[7:8], off
	s_and_not1_b32 s0, s3, exec_lo
	s_waitcnt vmcnt(0)
	v_lshlrev_b32_e32 v11, 25, v10
	v_lshlrev_b32_e32 v10, 8, v10
	s_delay_alu instid0(VALU_DEP_2) | instskip(NEXT) | instid1(VALU_DEP_2)
	v_lshrrev_b32_e32 v12, 4, v11
	v_and_or_b32 v10, 0x7f00, v10, 0.5
	s_delay_alu instid0(VALU_DEP_2) | instskip(NEXT) | instid1(VALU_DEP_2)
	v_or_b32_e32 v12, 0x70000000, v12
	v_add_f32_e32 v10, -0.5, v10
	s_delay_alu instid0(VALU_DEP_2) | instskip(SKIP_1) | instid1(VALU_DEP_2)
	v_mul_f32_e32 v12, 0x7800000, v12
	v_cmp_gt_u32_e32 vcc_lo, 0x8000000, v11
	v_cndmask_b32_e32 v10, v12, v10, vcc_lo
	s_delay_alu instid0(VALU_DEP_1) | instskip(SKIP_1) | instid1(SALU_CYCLE_1)
	v_cmp_neq_f32_e32 vcc_lo, 0, v10
	s_and_b32 s3, vcc_lo, exec_lo
	s_or_b32 s3, s0, s3
.LBB7_1180:
	s_mov_b32 s10, -1
	s_mov_b32 s0, 0
	s_cbranch_execnz .LBB7_1189
.LBB7_1181:
	v_cmp_lt_i16_e32 vcc_lo, 14, v9
	s_cbranch_vccz .LBB7_1184
; %bb.1182:
	v_cmp_eq_u16_e32 vcc_lo, 15, v9
	s_cbranch_vccz .LBB7_1185
; %bb.1183:
	global_load_u16 v10, v[7:8], off
	s_mov_b32 s1, 0
	s_mov_b32 s10, -1
	s_waitcnt vmcnt(0)
	v_and_b32_e32 v10, 0x7fff, v10
	s_delay_alu instid0(VALU_DEP_1)
	v_cmp_ne_u16_e32 vcc_lo, 0, v10
	s_and_b32 s3, vcc_lo, exec_lo
	s_branch .LBB7_1187
.LBB7_1184:
	s_mov_b32 s0, -1
	s_branch .LBB7_1186
.LBB7_1185:
	s_mov_b32 s1, -1
.LBB7_1186:
                                        ; implicit-def: $sgpr3
.LBB7_1187:
	s_and_b32 vcc_lo, exec_lo, s0
	s_mov_b32 s0, 0
	s_cbranch_vccz .LBB7_1189
; %bb.1188:
	v_cmp_ne_u16_e64 s1, 11, v9
	s_mov_b32 s0, -1
	s_and_not1_b32 s3, s3, exec_lo
.LBB7_1189:
	s_delay_alu instid0(VALU_DEP_1)
	s_and_b32 vcc_lo, exec_lo, s1
	s_cbranch_vccnz .LBB7_1250
; %bb.1190:
	s_mov_b32 s1, s8
	s_and_not1_b32 vcc_lo, exec_lo, s0
	s_cbranch_vccnz .LBB7_1192
.LBB7_1191:
	global_load_u8 v10, v[7:8], off
	s_and_not1_b32 s0, s3, exec_lo
	s_mov_b32 s10, -1
	s_waitcnt vmcnt(0)
	v_cmp_ne_u16_e32 vcc_lo, 0, v10
	s_and_b32 s3, vcc_lo, exec_lo
	s_delay_alu instid0(SALU_CYCLE_1)
	s_or_b32 s3, s0, s3
.LBB7_1192:
	s_branch .LBB7_1123
.LBB7_1193:
	v_cmp_gt_i16_e32 vcc_lo, 5, v9
	s_cbranch_vccnz .LBB7_1198
; %bb.1194:
	v_cmp_gt_i16_e32 vcc_lo, 8, v9
	s_cbranch_vccnz .LBB7_1199
; %bb.1195:
	;; [unrolled: 3-line block ×3, first 2 shown]
	v_cmp_lt_i16_e32 vcc_lo, 9, v9
	s_cbranch_vccz .LBB7_1201
; %bb.1197:
	global_load_b128 v[10:13], v[7:8], off
	s_waitcnt vmcnt(0)
	v_cmp_neq_f64_e32 vcc_lo, 0, v[10:11]
	v_cmp_neq_f64_e64 s0, 0, v[12:13]
	s_delay_alu instid0(VALU_DEP_1)
	s_or_b32 s3, vcc_lo, s0
	s_mov_b32 s0, 0
	s_and_b32 s3, s3, exec_lo
	s_branch .LBB7_1202
.LBB7_1198:
                                        ; implicit-def: $sgpr3
	s_branch .LBB7_1219
.LBB7_1199:
                                        ; implicit-def: $sgpr3
	s_branch .LBB7_1208
.LBB7_1200:
	s_mov_b32 s0, -1
                                        ; implicit-def: $sgpr3
	s_branch .LBB7_1205
.LBB7_1201:
	s_mov_b32 s0, -1
                                        ; implicit-def: $sgpr3
.LBB7_1202:
	s_delay_alu instid0(SALU_CYCLE_1)
	s_and_not1_b32 vcc_lo, exec_lo, s0
	s_cbranch_vccnz .LBB7_1204
; %bb.1203:
	global_load_b64 v[10:11], v[7:8], off
	s_and_not1_b32 s0, s3, exec_lo
	s_waitcnt vmcnt(0)
	v_or_b32_e32 v10, v10, v11
	s_delay_alu instid0(VALU_DEP_1) | instskip(NEXT) | instid1(VALU_DEP_1)
	v_and_b32_e32 v10, 0x7fffffff, v10
	v_cmp_ne_u32_e32 vcc_lo, 0, v10
	s_and_b32 s3, vcc_lo, exec_lo
	s_delay_alu instid0(SALU_CYCLE_1)
	s_or_b32 s3, s0, s3
.LBB7_1204:
	s_mov_b32 s0, 0
.LBB7_1205:
	s_delay_alu instid0(SALU_CYCLE_1)
	s_and_not1_b32 vcc_lo, exec_lo, s0
	s_cbranch_vccnz .LBB7_1207
; %bb.1206:
	global_load_b32 v10, v[7:8], off
	s_and_not1_b32 s0, s3, exec_lo
	s_waitcnt vmcnt(0)
	v_and_b32_e32 v10, 0x7fff7fff, v10
	s_delay_alu instid0(VALU_DEP_1) | instskip(SKIP_1) | instid1(SALU_CYCLE_1)
	v_cmp_ne_u32_e32 vcc_lo, 0, v10
	s_and_b32 s3, vcc_lo, exec_lo
	s_or_b32 s3, s0, s3
.LBB7_1207:
	s_cbranch_execnz .LBB7_1218
.LBB7_1208:
	v_cmp_gt_i16_e32 vcc_lo, 6, v9
	s_cbranch_vccnz .LBB7_1211
; %bb.1209:
	v_cmp_lt_i16_e32 vcc_lo, 6, v9
	s_cbranch_vccz .LBB7_1212
; %bb.1210:
	global_load_b64 v[10:11], v[7:8], off
	s_mov_b32 s0, 0
	s_waitcnt vmcnt(0)
	v_cmp_neq_f64_e32 vcc_lo, 0, v[10:11]
	s_and_b32 s3, vcc_lo, exec_lo
	s_branch .LBB7_1213
.LBB7_1211:
	s_mov_b32 s0, -1
                                        ; implicit-def: $sgpr3
	s_branch .LBB7_1216
.LBB7_1212:
	s_mov_b32 s0, -1
                                        ; implicit-def: $sgpr3
.LBB7_1213:
	s_delay_alu instid0(SALU_CYCLE_1)
	s_and_not1_b32 vcc_lo, exec_lo, s0
	s_cbranch_vccnz .LBB7_1215
; %bb.1214:
	global_load_b32 v10, v[7:8], off
	s_and_not1_b32 s0, s3, exec_lo
	s_waitcnt vmcnt(0)
	v_cmp_neq_f32_e32 vcc_lo, 0, v10
	s_and_b32 s3, vcc_lo, exec_lo
	s_delay_alu instid0(SALU_CYCLE_1)
	s_or_b32 s3, s0, s3
.LBB7_1215:
	s_mov_b32 s0, 0
.LBB7_1216:
	s_delay_alu instid0(SALU_CYCLE_1)
	s_and_not1_b32 vcc_lo, exec_lo, s0
	s_cbranch_vccnz .LBB7_1218
; %bb.1217:
	global_load_u16 v10, v[7:8], off
	s_and_not1_b32 s0, s3, exec_lo
	s_waitcnt vmcnt(0)
	v_and_b32_e32 v10, 0x7fff, v10
	s_delay_alu instid0(VALU_DEP_1) | instskip(SKIP_1) | instid1(SALU_CYCLE_1)
	v_cmp_ne_u16_e32 vcc_lo, 0, v10
	s_and_b32 s3, vcc_lo, exec_lo
	s_or_b32 s3, s0, s3
.LBB7_1218:
	s_cbranch_execnz .LBB7_1237
.LBB7_1219:
	v_cmp_gt_i16_e32 vcc_lo, 2, v9
	s_cbranch_vccnz .LBB7_1223
; %bb.1220:
	v_cmp_gt_i16_e32 vcc_lo, 3, v9
	s_cbranch_vccnz .LBB7_1224
; %bb.1221:
	v_cmp_lt_i16_e32 vcc_lo, 3, v9
	s_cbranch_vccz .LBB7_1225
; %bb.1222:
	global_load_b64 v[10:11], v[7:8], off
	s_mov_b32 s0, 0
	s_waitcnt vmcnt(0)
	v_cmp_ne_u64_e32 vcc_lo, 0, v[10:11]
	s_and_b32 s3, vcc_lo, exec_lo
	s_branch .LBB7_1226
.LBB7_1223:
                                        ; implicit-def: $sgpr3
	s_branch .LBB7_1232
.LBB7_1224:
	s_mov_b32 s0, -1
                                        ; implicit-def: $sgpr3
	s_branch .LBB7_1229
.LBB7_1225:
	s_mov_b32 s0, -1
                                        ; implicit-def: $sgpr3
.LBB7_1226:
	s_delay_alu instid0(SALU_CYCLE_1)
	s_and_not1_b32 vcc_lo, exec_lo, s0
	s_cbranch_vccnz .LBB7_1228
; %bb.1227:
	global_load_b32 v10, v[7:8], off
	s_and_not1_b32 s0, s3, exec_lo
	s_waitcnt vmcnt(0)
	v_cmp_ne_u32_e32 vcc_lo, 0, v10
	s_and_b32 s3, vcc_lo, exec_lo
	s_delay_alu instid0(SALU_CYCLE_1)
	s_or_b32 s3, s0, s3
.LBB7_1228:
	s_mov_b32 s0, 0
.LBB7_1229:
	s_delay_alu instid0(SALU_CYCLE_1)
	s_and_not1_b32 vcc_lo, exec_lo, s0
	s_cbranch_vccnz .LBB7_1231
; %bb.1230:
	global_load_u16 v10, v[7:8], off
	s_and_not1_b32 s0, s3, exec_lo
	s_waitcnt vmcnt(0)
	v_cmp_ne_u16_e32 vcc_lo, 0, v10
	s_and_b32 s3, vcc_lo, exec_lo
	s_delay_alu instid0(SALU_CYCLE_1)
	s_or_b32 s3, s0, s3
.LBB7_1231:
	s_cbranch_execnz .LBB7_1237
.LBB7_1232:
	v_cmp_lt_i16_e32 vcc_lo, 0, v9
	s_mov_b32 s0, 0
	s_cbranch_vccz .LBB7_1234
; %bb.1233:
	global_load_u8 v10, v[7:8], off
	s_waitcnt vmcnt(0)
	v_cmp_ne_u16_e32 vcc_lo, 0, v10
	s_and_b32 s3, vcc_lo, exec_lo
	s_branch .LBB7_1235
.LBB7_1234:
	s_mov_b32 s0, -1
                                        ; implicit-def: $sgpr3
.LBB7_1235:
	s_delay_alu instid0(SALU_CYCLE_1)
	s_and_not1_b32 vcc_lo, exec_lo, s0
	s_cbranch_vccnz .LBB7_1237
; %bb.1236:
	global_load_u8 v7, v[7:8], off
	s_and_not1_b32 s0, s3, exec_lo
	s_waitcnt vmcnt(0)
	v_cmp_ne_u16_e32 vcc_lo, 0, v7
	s_and_b32 s3, vcc_lo, exec_lo
	s_delay_alu instid0(SALU_CYCLE_1)
	s_or_b32 s3, s0, s3
.LBB7_1237:
.LBB7_1238:
	v_cmp_gt_i16_e32 vcc_lo, 11, v9
	v_add_co_u32 v6, s0, s6, v6
	s_delay_alu instid0(VALU_DEP_1)
	v_add_co_ci_u32_e64 v7, null, s7, 0, s0
	s_mov_b32 s12, 0
	s_cbranch_vccnz .LBB7_1245
; %bb.1239:
	v_cmp_lt_i16_e32 vcc_lo, 25, v9
	s_mov_b32 s0, 0
	s_cbranch_vccz .LBB7_1247
; %bb.1240:
	v_cmp_lt_i16_e32 vcc_lo, 28, v9
	s_cbranch_vccz .LBB7_1248
; %bb.1241:
	v_cmp_lt_i16_e32 vcc_lo, 43, v9
	;; [unrolled: 3-line block ×3, first 2 shown]
	s_cbranch_vccz .LBB7_1256
; %bb.1243:
	v_cmp_eq_u16_e32 vcc_lo, 46, v9
	s_mov_b32 s13, 0
	s_cbranch_vccz .LBB7_1261
; %bb.1244:
	global_load_b32 v8, v[6:7], off
	s_mov_b32 s11, 0
	s_mov_b32 s12, -1
	s_waitcnt vmcnt(0)
	v_and_b32_e32 v8, 0x7fff7fff, v8
	s_delay_alu instid0(VALU_DEP_1)
	v_cmp_ne_u32_e32 vcc_lo, 0, v8
	s_and_b32 s10, vcc_lo, exec_lo
	s_branch .LBB7_1263
.LBB7_1245:
                                        ; implicit-def: $sgpr10
	s_cbranch_execnz .LBB7_1322
.LBB7_1246:
	s_and_not1_b32 vcc_lo, exec_lo, s12
	s_cbranch_vccz .LBB7_1369
	s_branch .LBB7_2064
.LBB7_1247:
	s_mov_b32 s11, 0
                                        ; implicit-def: $sgpr10
	s_cbranch_execnz .LBB7_1288
	s_branch .LBB7_1318
.LBB7_1248:
	s_mov_b32 s13, -1
	s_mov_b32 s11, 0
                                        ; implicit-def: $sgpr10
	s_branch .LBB7_1271
.LBB7_1249:
	s_mov_b32 s13, -1
	s_mov_b32 s11, 0
                                        ; implicit-def: $sgpr10
	s_branch .LBB7_1266
.LBB7_1250:
	s_cbranch_execnz .LBB7_1257
; %bb.1251:
	s_mov_b32 s10, 0
	s_and_not1_b32 s3, s3, exec_lo
	s_or_b32 s1, s8, exec_lo
	s_cbranch_execz .LBB7_1191
	s_branch .LBB7_1192
.LBB7_1252:
	s_mov_b32 s0, -1
	s_mov_b32 s11, exec_lo
                                        ; implicit-def: $sgpr3
	v_cmpx_eq_u16_e32 0x80, v10
; %bb.1253:
	s_mov_b32 s3, -1
	s_xor_b32 s0, exec_lo, -1
; %bb.1254:
	s_or_b32 exec_lo, exec_lo, s11
	s_delay_alu instid0(SALU_CYCLE_1)
	s_and_b32 s0, s0, exec_lo
	s_and_not1_saveexec_b32 s10, s10
	s_cbranch_execz .LBB7_1165
.LBB7_1255:
	v_cmp_ne_u16_e32 vcc_lo, 0, v10
	s_and_not1_b32 s0, s0, exec_lo
	s_and_not1_b32 s3, s3, exec_lo
	s_and_b32 s11, vcc_lo, exec_lo
	s_delay_alu instid0(SALU_CYCLE_1)
	s_or_b32 s0, s0, s11
	s_or_b32 exec_lo, exec_lo, s10
	s_and_saveexec_b32 s10, s0
	s_cbranch_execnz .LBB7_1166
	s_branch .LBB7_1167
.LBB7_1256:
	s_mov_b32 s13, -1
	s_mov_b32 s11, 0
	s_branch .LBB7_1262
.LBB7_1257:
	s_trap 2
	s_sendmsg_rtn_b32 s0, sendmsg(MSG_RTN_GET_DOORBELL)
	s_mov_b32 ttmp2, m0
	s_waitcnt lgkmcnt(0)
	s_and_b32 s0, s0, 0x3ff
	s_delay_alu instid0(SALU_CYCLE_1) | instskip(NEXT) | instid1(SALU_CYCLE_1)
	s_bitset1_b32 s0, 10
	s_mov_b32 m0, s0
	s_sendmsg sendmsg(MSG_INTERRUPT)
	s_mov_b32 m0, ttmp2
.LBB7_1258:                             ; =>This Inner Loop Header: Depth=1
	s_sethalt 5
	s_branch .LBB7_1258
.LBB7_1259:
	v_bfe_u32 v0, v3, 20, 1
	s_mov_b32 s5, exec_lo
	s_delay_alu instid0(VALU_DEP_1) | instskip(NEXT) | instid1(VALU_DEP_1)
	v_add3_u32 v0, v3, v0, 0x487ffff
                                        ; implicit-def: $vgpr3
	v_lshrrev_b32_e32 v0, 20, v0
	s_or_saveexec_b32 s8, s8
                                        ; implicit-def: $sgpr9
	s_delay_alu instid0(SALU_CYCLE_1)
	s_xor_b32 exec_lo, exec_lo, s8
	s_cbranch_execz .LBB7_973
.LBB7_1260:
	v_add_f32_e32 v0, 0x46000000, v3
	s_and_not1_b32 s5, s5, exec_lo
	s_mov_b32 s9, 0
	s_delay_alu instid0(VALU_DEP_1) | instskip(NEXT) | instid1(VALU_DEP_1)
	v_and_b32_e32 v0, 0xff, v0
	v_cmp_ne_u32_e32 vcc_lo, 0, v0
	s_and_b32 s10, vcc_lo, exec_lo
	s_delay_alu instid0(SALU_CYCLE_1)
	s_or_b32 s5, s5, s10
	s_or_b32 exec_lo, exec_lo, s8
	v_mov_b32_e32 v5, s9
	s_and_saveexec_b32 s8, s5
	s_cbranch_execnz .LBB7_974
	s_branch .LBB7_975
.LBB7_1261:
	s_mov_b32 s11, -1
.LBB7_1262:
                                        ; implicit-def: $sgpr10
.LBB7_1263:
	s_and_b32 vcc_lo, exec_lo, s13
	s_cbranch_vccz .LBB7_1265
; %bb.1264:
	v_cmp_ne_u16_e64 s11, 44, v9
	s_mov_b32 s12, -1
	s_or_b32 s10, s10, exec_lo
.LBB7_1265:
	s_mov_b32 s13, 0
.LBB7_1266:
	s_delay_alu instid0(SALU_CYCLE_1)
	s_and_b32 vcc_lo, exec_lo, s13
	s_cbranch_vccz .LBB7_1270
; %bb.1267:
	v_cmp_eq_u16_e32 vcc_lo, 29, v9
	s_cbranch_vccz .LBB7_1269
; %bb.1268:
	global_load_b64 v[10:11], v[6:7], off
	s_mov_b32 s11, 0
	s_mov_b32 s12, -1
	s_mov_b32 s13, 0
	s_waitcnt vmcnt(0)
	v_cmp_ne_u64_e32 vcc_lo, 0, v[10:11]
	s_and_b32 s10, vcc_lo, exec_lo
	s_branch .LBB7_1271
.LBB7_1269:
	s_mov_b32 s11, -1
                                        ; implicit-def: $sgpr10
.LBB7_1270:
	s_mov_b32 s13, 0
.LBB7_1271:
	s_delay_alu instid0(SALU_CYCLE_1)
	s_and_b32 vcc_lo, exec_lo, s13
	s_cbranch_vccz .LBB7_1287
; %bb.1272:
	v_cmp_gt_i16_e32 vcc_lo, 27, v9
	s_cbranch_vccnz .LBB7_1275
; %bb.1273:
	v_cmp_lt_i16_e32 vcc_lo, 27, v9
	s_cbranch_vccz .LBB7_1276
; %bb.1274:
	global_load_b32 v8, v[6:7], off
	s_mov_b32 s12, 0
	s_waitcnt vmcnt(0)
	v_cmp_ne_u32_e32 vcc_lo, 0, v8
	s_and_b32 s10, vcc_lo, exec_lo
	s_branch .LBB7_1277
.LBB7_1275:
	s_mov_b32 s12, -1
                                        ; implicit-def: $sgpr10
	s_branch .LBB7_1280
.LBB7_1276:
	s_mov_b32 s12, -1
                                        ; implicit-def: $sgpr10
.LBB7_1277:
	s_delay_alu instid0(SALU_CYCLE_1)
	s_and_not1_b32 vcc_lo, exec_lo, s12
	s_cbranch_vccnz .LBB7_1279
; %bb.1278:
	global_load_u16 v8, v[6:7], off
	s_and_not1_b32 s10, s10, exec_lo
	s_waitcnt vmcnt(0)
	v_cmp_ne_u16_e32 vcc_lo, 0, v8
	s_and_b32 s12, vcc_lo, exec_lo
	s_delay_alu instid0(SALU_CYCLE_1)
	s_or_b32 s10, s10, s12
.LBB7_1279:
	s_mov_b32 s12, 0
.LBB7_1280:
	s_delay_alu instid0(SALU_CYCLE_1)
	s_and_not1_b32 vcc_lo, exec_lo, s12
	s_cbranch_vccnz .LBB7_1286
; %bb.1281:
	global_load_u8 v8, v[6:7], off
	s_mov_b32 s12, 0
	s_mov_b32 s13, exec_lo
                                        ; implicit-def: $sgpr10
	s_waitcnt vmcnt(0)
	v_cmpx_lt_i16_e32 0x7f, v8
	s_xor_b32 s13, exec_lo, s13
	s_cbranch_execnz .LBB7_1298
; %bb.1282:
	s_and_not1_saveexec_b32 s13, s13
	s_cbranch_execnz .LBB7_1301
.LBB7_1283:
	s_or_b32 exec_lo, exec_lo, s13
	s_and_saveexec_b32 s13, s12
	s_cbranch_execz .LBB7_1285
.LBB7_1284:
	v_and_b32_e32 v8, 0xffff, v8
	s_and_not1_b32 s10, s10, exec_lo
	s_delay_alu instid0(VALU_DEP_1) | instskip(NEXT) | instid1(VALU_DEP_1)
	v_and_b32_e32 v10, 7, v8
	v_clz_i32_u32_e32 v11, v10
	s_delay_alu instid0(VALU_DEP_1) | instskip(NEXT) | instid1(VALU_DEP_1)
	v_min_u32_e32 v11, 32, v11
	v_subrev_nc_u32_e32 v12, 28, v11
	v_sub_nc_u32_e32 v11, 29, v11
	s_delay_alu instid0(VALU_DEP_2) | instskip(SKIP_1) | instid1(VALU_DEP_2)
	v_lshlrev_b32_e32 v12, v12, v8
	v_bfe_u32 v8, v8, 3, 4
	v_and_b32_e32 v12, 7, v12
	s_delay_alu instid0(VALU_DEP_2) | instskip(SKIP_1) | instid1(VALU_DEP_3)
	v_cmp_eq_u32_e32 vcc_lo, 0, v8
	v_cndmask_b32_e32 v8, v8, v11, vcc_lo
	v_cndmask_b32_e32 v10, v10, v12, vcc_lo
	s_delay_alu instid0(VALU_DEP_2) | instskip(NEXT) | instid1(VALU_DEP_2)
	v_lshl_add_u32 v8, v8, 23, 0x3b800000
	v_lshlrev_b32_e32 v10, 20, v10
	s_delay_alu instid0(VALU_DEP_1) | instskip(NEXT) | instid1(VALU_DEP_1)
	v_and_or_b32 v8, 0x7f800000, v8, v10
	v_cmp_ne_u32_e32 vcc_lo, 0, v8
	s_and_b32 s12, vcc_lo, exec_lo
	s_delay_alu instid0(SALU_CYCLE_1)
	s_or_b32 s10, s10, s12
.LBB7_1285:
	s_or_b32 exec_lo, exec_lo, s13
.LBB7_1286:
	s_mov_b32 s12, -1
.LBB7_1287:
	s_branch .LBB7_1318
.LBB7_1288:
	v_cmp_lt_i16_e32 vcc_lo, 22, v9
	s_cbranch_vccz .LBB7_1296
; %bb.1289:
	v_cmp_gt_i16_e32 vcc_lo, 24, v9
	s_cbranch_vccnz .LBB7_1297
; %bb.1290:
	v_cmp_lt_i16_e32 vcc_lo, 24, v9
	s_cbranch_vccz .LBB7_1302
; %bb.1291:
	global_load_u8 v8, v[6:7], off
	s_mov_b32 s12, exec_lo
                                        ; implicit-def: $sgpr10
	s_waitcnt vmcnt(0)
	v_cmpx_lt_i16_e32 0x7f, v8
	s_xor_b32 s12, exec_lo, s12
	s_cbranch_execnz .LBB7_1383
; %bb.1292:
	s_and_not1_saveexec_b32 s12, s12
	s_cbranch_execnz .LBB7_1386
.LBB7_1293:
	s_or_b32 exec_lo, exec_lo, s12
	s_and_saveexec_b32 s12, s0
	s_cbranch_execz .LBB7_1295
.LBB7_1294:
	v_and_b32_e32 v8, 0xffff, v8
	s_and_not1_b32 s0, s10, exec_lo
	s_delay_alu instid0(VALU_DEP_1) | instskip(NEXT) | instid1(VALU_DEP_1)
	v_and_b32_e32 v10, 3, v8
	v_clz_i32_u32_e32 v11, v10
	s_delay_alu instid0(VALU_DEP_1) | instskip(NEXT) | instid1(VALU_DEP_1)
	v_min_u32_e32 v11, 32, v11
	v_subrev_nc_u32_e32 v12, 29, v11
	v_sub_nc_u32_e32 v11, 30, v11
	s_delay_alu instid0(VALU_DEP_2) | instskip(SKIP_1) | instid1(VALU_DEP_2)
	v_lshlrev_b32_e32 v12, v12, v8
	v_bfe_u32 v8, v8, 2, 5
	v_and_b32_e32 v12, 3, v12
	s_delay_alu instid0(VALU_DEP_2) | instskip(SKIP_1) | instid1(VALU_DEP_3)
	v_cmp_eq_u32_e32 vcc_lo, 0, v8
	v_cndmask_b32_e32 v8, v8, v11, vcc_lo
	v_cndmask_b32_e32 v10, v10, v12, vcc_lo
	s_delay_alu instid0(VALU_DEP_2) | instskip(NEXT) | instid1(VALU_DEP_2)
	v_lshl_add_u32 v8, v8, 23, 0x37800000
	v_lshlrev_b32_e32 v10, 21, v10
	s_delay_alu instid0(VALU_DEP_1) | instskip(NEXT) | instid1(VALU_DEP_1)
	v_and_or_b32 v8, 0x7f800000, v8, v10
	v_cmp_ne_u32_e32 vcc_lo, 0, v8
	s_and_b32 s10, vcc_lo, exec_lo
	s_delay_alu instid0(SALU_CYCLE_1)
	s_or_b32 s10, s0, s10
.LBB7_1295:
	s_or_b32 exec_lo, exec_lo, s12
	s_mov_b32 s0, 0
	s_branch .LBB7_1303
.LBB7_1296:
	s_mov_b32 s0, -1
                                        ; implicit-def: $sgpr10
	s_branch .LBB7_1309
.LBB7_1297:
	s_mov_b32 s0, -1
                                        ; implicit-def: $sgpr10
	s_branch .LBB7_1306
.LBB7_1298:
	s_mov_b32 s12, -1
	s_mov_b32 s14, exec_lo
                                        ; implicit-def: $sgpr10
	v_cmpx_eq_u16_e32 0x80, v8
; %bb.1299:
	s_mov_b32 s10, -1
	s_xor_b32 s12, exec_lo, -1
; %bb.1300:
	s_or_b32 exec_lo, exec_lo, s14
	s_delay_alu instid0(SALU_CYCLE_1)
	s_and_b32 s12, s12, exec_lo
	s_and_not1_saveexec_b32 s13, s13
	s_cbranch_execz .LBB7_1283
.LBB7_1301:
	v_cmp_ne_u16_e32 vcc_lo, 0, v8
	s_and_not1_b32 s12, s12, exec_lo
	s_and_not1_b32 s10, s10, exec_lo
	s_and_b32 s14, vcc_lo, exec_lo
	s_delay_alu instid0(SALU_CYCLE_1)
	s_or_b32 s12, s12, s14
	s_or_b32 exec_lo, exec_lo, s13
	s_and_saveexec_b32 s13, s12
	s_cbranch_execnz .LBB7_1284
	s_branch .LBB7_1285
.LBB7_1302:
	s_mov_b32 s0, -1
                                        ; implicit-def: $sgpr10
.LBB7_1303:
	s_delay_alu instid0(SALU_CYCLE_1)
	s_and_b32 vcc_lo, exec_lo, s0
	s_cbranch_vccz .LBB7_1305
; %bb.1304:
	global_load_u8 v8, v[6:7], off
	s_and_not1_b32 s10, s10, exec_lo
	s_waitcnt vmcnt(0)
	v_lshlrev_b32_e32 v8, 24, v8
	s_delay_alu instid0(VALU_DEP_1) | instskip(NEXT) | instid1(VALU_DEP_1)
	v_and_b32_e32 v8, 0x7f000000, v8
	v_clz_i32_u32_e32 v10, v8
	v_add_nc_u32_e32 v12, 0x1000000, v8
	v_cmp_ne_u32_e32 vcc_lo, 0, v8
	s_delay_alu instid0(VALU_DEP_3) | instskip(NEXT) | instid1(VALU_DEP_3)
	v_min_u32_e32 v10, 32, v10
	v_ashrrev_i32_e32 v12, 8, v12
	s_delay_alu instid0(VALU_DEP_2) | instskip(NEXT) | instid1(VALU_DEP_1)
	v_sub_nc_u32_e64 v10, v10, 4 clamp
	v_lshlrev_b32_e32 v11, v10, v8
	v_lshlrev_b32_e32 v10, 23, v10
	s_delay_alu instid0(VALU_DEP_2) | instskip(NEXT) | instid1(VALU_DEP_1)
	v_lshrrev_b32_e32 v11, 4, v11
	v_sub_nc_u32_e32 v10, v11, v10
	v_and_b32_e32 v11, 0x7f800000, v12
	s_delay_alu instid0(VALU_DEP_2) | instskip(NEXT) | instid1(VALU_DEP_1)
	v_add_nc_u32_e32 v10, 0x3c000000, v10
	v_and_or_b32 v10, 0x7ff00000, v10, v11
	s_delay_alu instid0(VALU_DEP_1) | instskip(NEXT) | instid1(VALU_DEP_1)
	v_cmp_ne_u32_e64 s0, 0, v10
	s_and_b32 s0, vcc_lo, s0
	s_delay_alu instid0(SALU_CYCLE_1) | instskip(NEXT) | instid1(SALU_CYCLE_1)
	s_and_b32 s0, s0, exec_lo
	s_or_b32 s10, s10, s0
.LBB7_1305:
	s_mov_b32 s0, 0
.LBB7_1306:
	s_delay_alu instid0(SALU_CYCLE_1)
	s_and_not1_b32 vcc_lo, exec_lo, s0
	s_cbranch_vccnz .LBB7_1308
; %bb.1307:
	global_load_u8 v8, v[6:7], off
	s_and_not1_b32 s0, s10, exec_lo
	s_waitcnt vmcnt(0)
	v_lshlrev_b32_e32 v10, 25, v8
	v_lshlrev_b32_e32 v8, 8, v8
	s_delay_alu instid0(VALU_DEP_2) | instskip(NEXT) | instid1(VALU_DEP_2)
	v_lshrrev_b32_e32 v11, 4, v10
	v_and_or_b32 v8, 0x7f00, v8, 0.5
	s_delay_alu instid0(VALU_DEP_2) | instskip(NEXT) | instid1(VALU_DEP_1)
	v_or_b32_e32 v11, 0x70000000, v11
	v_dual_add_f32 v8, -0.5, v8 :: v_dual_mul_f32 v11, 0x7800000, v11
	v_cmp_gt_u32_e32 vcc_lo, 0x8000000, v10
	s_delay_alu instid0(VALU_DEP_2) | instskip(NEXT) | instid1(VALU_DEP_1)
	v_cndmask_b32_e32 v8, v11, v8, vcc_lo
	v_cmp_neq_f32_e32 vcc_lo, 0, v8
	s_and_b32 s10, vcc_lo, exec_lo
	s_delay_alu instid0(SALU_CYCLE_1)
	s_or_b32 s10, s0, s10
.LBB7_1308:
	s_mov_b32 s0, 0
	s_mov_b32 s12, -1
.LBB7_1309:
	s_and_not1_b32 vcc_lo, exec_lo, s0
	s_mov_b32 s0, 0
	s_cbranch_vccnz .LBB7_1318
; %bb.1310:
	v_cmp_lt_i16_e32 vcc_lo, 14, v9
	s_cbranch_vccz .LBB7_1313
; %bb.1311:
	v_cmp_eq_u16_e32 vcc_lo, 15, v9
	s_cbranch_vccz .LBB7_1314
; %bb.1312:
	global_load_u16 v8, v[6:7], off
	s_mov_b32 s11, 0
	s_mov_b32 s12, -1
	s_waitcnt vmcnt(0)
	v_and_b32_e32 v8, 0x7fff, v8
	s_delay_alu instid0(VALU_DEP_1)
	v_cmp_ne_u16_e32 vcc_lo, 0, v8
	s_and_b32 s10, vcc_lo, exec_lo
	s_branch .LBB7_1316
.LBB7_1313:
	s_mov_b32 s0, -1
	s_branch .LBB7_1315
.LBB7_1314:
	s_mov_b32 s11, -1
.LBB7_1315:
                                        ; implicit-def: $sgpr10
.LBB7_1316:
	s_and_b32 vcc_lo, exec_lo, s0
	s_mov_b32 s0, 0
	s_cbranch_vccz .LBB7_1318
; %bb.1317:
	v_cmp_ne_u16_e64 s11, 11, v9
	s_mov_b32 s0, -1
	s_and_not1_b32 s10, s10, exec_lo
.LBB7_1318:
	s_delay_alu instid0(VALU_DEP_1)
	s_and_b32 vcc_lo, exec_lo, s11
	s_cbranch_vccnz .LBB7_1381
; %bb.1319:
	s_and_not1_b32 vcc_lo, exec_lo, s0
	s_cbranch_vccnz .LBB7_1321
.LBB7_1320:
	global_load_u8 v8, v[6:7], off
	s_and_not1_b32 s0, s10, exec_lo
	s_mov_b32 s12, -1
	s_waitcnt vmcnt(0)
	v_cmp_ne_u16_e32 vcc_lo, 0, v8
	s_and_b32 s10, vcc_lo, exec_lo
	s_delay_alu instid0(SALU_CYCLE_1)
	s_or_b32 s10, s0, s10
.LBB7_1321:
	s_branch .LBB7_1246
.LBB7_1322:
	v_cmp_gt_i16_e32 vcc_lo, 5, v9
	s_cbranch_vccnz .LBB7_1327
; %bb.1323:
	v_cmp_gt_i16_e32 vcc_lo, 8, v9
	s_cbranch_vccnz .LBB7_1328
; %bb.1324:
	;; [unrolled: 3-line block ×3, first 2 shown]
	v_cmp_lt_i16_e32 vcc_lo, 9, v9
	s_cbranch_vccz .LBB7_1330
; %bb.1326:
	global_load_b128 v[10:13], v[6:7], off
	s_waitcnt vmcnt(0)
	v_cmp_neq_f64_e32 vcc_lo, 0, v[10:11]
	v_cmp_neq_f64_e64 s0, 0, v[12:13]
	s_delay_alu instid0(VALU_DEP_1)
	s_or_b32 s10, vcc_lo, s0
	s_mov_b32 s0, 0
	s_and_b32 s10, s10, exec_lo
	s_branch .LBB7_1331
.LBB7_1327:
                                        ; implicit-def: $sgpr10
	s_branch .LBB7_1349
.LBB7_1328:
	s_mov_b32 s0, -1
                                        ; implicit-def: $sgpr10
	s_branch .LBB7_1337
.LBB7_1329:
	s_mov_b32 s0, -1
                                        ; implicit-def: $sgpr10
	s_branch .LBB7_1334
.LBB7_1330:
	s_mov_b32 s0, -1
                                        ; implicit-def: $sgpr10
.LBB7_1331:
	s_delay_alu instid0(SALU_CYCLE_1)
	s_and_not1_b32 vcc_lo, exec_lo, s0
	s_cbranch_vccnz .LBB7_1333
; %bb.1332:
	global_load_b64 v[10:11], v[6:7], off
	s_and_not1_b32 s0, s10, exec_lo
	s_waitcnt vmcnt(0)
	v_or_b32_e32 v8, v10, v11
	s_delay_alu instid0(VALU_DEP_1) | instskip(NEXT) | instid1(VALU_DEP_1)
	v_and_b32_e32 v8, 0x7fffffff, v8
	v_cmp_ne_u32_e32 vcc_lo, 0, v8
	s_and_b32 s10, vcc_lo, exec_lo
	s_delay_alu instid0(SALU_CYCLE_1)
	s_or_b32 s10, s0, s10
.LBB7_1333:
	s_mov_b32 s0, 0
.LBB7_1334:
	s_delay_alu instid0(SALU_CYCLE_1)
	s_and_not1_b32 vcc_lo, exec_lo, s0
	s_cbranch_vccnz .LBB7_1336
; %bb.1335:
	global_load_b32 v8, v[6:7], off
	s_and_not1_b32 s0, s10, exec_lo
	s_waitcnt vmcnt(0)
	v_and_b32_e32 v8, 0x7fff7fff, v8
	s_delay_alu instid0(VALU_DEP_1) | instskip(SKIP_1) | instid1(SALU_CYCLE_1)
	v_cmp_ne_u32_e32 vcc_lo, 0, v8
	s_and_b32 s10, vcc_lo, exec_lo
	s_or_b32 s10, s0, s10
.LBB7_1336:
	s_mov_b32 s0, 0
.LBB7_1337:
	s_delay_alu instid0(SALU_CYCLE_1)
	s_and_not1_b32 vcc_lo, exec_lo, s0
	s_cbranch_vccnz .LBB7_1348
; %bb.1338:
	v_cmp_gt_i16_e32 vcc_lo, 6, v9
	s_cbranch_vccnz .LBB7_1341
; %bb.1339:
	v_cmp_lt_i16_e32 vcc_lo, 6, v9
	s_cbranch_vccz .LBB7_1342
; %bb.1340:
	global_load_b64 v[10:11], v[6:7], off
	s_mov_b32 s0, 0
	s_waitcnt vmcnt(0)
	v_cmp_neq_f64_e32 vcc_lo, 0, v[10:11]
	s_and_b32 s10, vcc_lo, exec_lo
	s_branch .LBB7_1343
.LBB7_1341:
	s_mov_b32 s0, -1
                                        ; implicit-def: $sgpr10
	s_branch .LBB7_1346
.LBB7_1342:
	s_mov_b32 s0, -1
                                        ; implicit-def: $sgpr10
.LBB7_1343:
	s_delay_alu instid0(SALU_CYCLE_1)
	s_and_not1_b32 vcc_lo, exec_lo, s0
	s_cbranch_vccnz .LBB7_1345
; %bb.1344:
	global_load_b32 v8, v[6:7], off
	s_and_not1_b32 s0, s10, exec_lo
	s_waitcnt vmcnt(0)
	v_cmp_neq_f32_e32 vcc_lo, 0, v8
	s_and_b32 s10, vcc_lo, exec_lo
	s_delay_alu instid0(SALU_CYCLE_1)
	s_or_b32 s10, s0, s10
.LBB7_1345:
	s_mov_b32 s0, 0
.LBB7_1346:
	s_delay_alu instid0(SALU_CYCLE_1)
	s_and_not1_b32 vcc_lo, exec_lo, s0
	s_cbranch_vccnz .LBB7_1348
; %bb.1347:
	global_load_u16 v8, v[6:7], off
	s_and_not1_b32 s0, s10, exec_lo
	s_waitcnt vmcnt(0)
	v_and_b32_e32 v8, 0x7fff, v8
	s_delay_alu instid0(VALU_DEP_1) | instskip(SKIP_1) | instid1(SALU_CYCLE_1)
	v_cmp_ne_u16_e32 vcc_lo, 0, v8
	s_and_b32 s10, vcc_lo, exec_lo
	s_or_b32 s10, s0, s10
.LBB7_1348:
	s_cbranch_execnz .LBB7_1368
.LBB7_1349:
	v_cmp_gt_i16_e32 vcc_lo, 2, v9
	s_cbranch_vccnz .LBB7_1353
; %bb.1350:
	v_cmp_gt_i16_e32 vcc_lo, 3, v9
	s_cbranch_vccnz .LBB7_1354
; %bb.1351:
	v_cmp_lt_i16_e32 vcc_lo, 3, v9
	s_cbranch_vccz .LBB7_1355
; %bb.1352:
	global_load_b64 v[10:11], v[6:7], off
	s_mov_b32 s0, 0
	s_waitcnt vmcnt(0)
	v_cmp_ne_u64_e32 vcc_lo, 0, v[10:11]
	s_and_b32 s10, vcc_lo, exec_lo
	s_branch .LBB7_1356
.LBB7_1353:
	s_mov_b32 s0, -1
                                        ; implicit-def: $sgpr10
	s_branch .LBB7_1362
.LBB7_1354:
	s_mov_b32 s0, -1
                                        ; implicit-def: $sgpr10
	s_branch .LBB7_1359
.LBB7_1355:
	s_mov_b32 s0, -1
                                        ; implicit-def: $sgpr10
.LBB7_1356:
	s_delay_alu instid0(SALU_CYCLE_1)
	s_and_not1_b32 vcc_lo, exec_lo, s0
	s_cbranch_vccnz .LBB7_1358
; %bb.1357:
	global_load_b32 v8, v[6:7], off
	s_and_not1_b32 s0, s10, exec_lo
	s_waitcnt vmcnt(0)
	v_cmp_ne_u32_e32 vcc_lo, 0, v8
	s_and_b32 s10, vcc_lo, exec_lo
	s_delay_alu instid0(SALU_CYCLE_1)
	s_or_b32 s10, s0, s10
.LBB7_1358:
	s_mov_b32 s0, 0
.LBB7_1359:
	s_delay_alu instid0(SALU_CYCLE_1)
	s_and_not1_b32 vcc_lo, exec_lo, s0
	s_cbranch_vccnz .LBB7_1361
; %bb.1360:
	global_load_u16 v8, v[6:7], off
	s_and_not1_b32 s0, s10, exec_lo
	s_waitcnt vmcnt(0)
	v_cmp_ne_u16_e32 vcc_lo, 0, v8
	s_and_b32 s10, vcc_lo, exec_lo
	s_delay_alu instid0(SALU_CYCLE_1)
	s_or_b32 s10, s0, s10
.LBB7_1361:
	s_mov_b32 s0, 0
.LBB7_1362:
	s_delay_alu instid0(SALU_CYCLE_1)
	s_and_not1_b32 vcc_lo, exec_lo, s0
	s_cbranch_vccnz .LBB7_1368
; %bb.1363:
	v_cmp_lt_i16_e32 vcc_lo, 0, v9
	s_mov_b32 s0, 0
	s_cbranch_vccz .LBB7_1365
; %bb.1364:
	global_load_u8 v8, v[6:7], off
	s_waitcnt vmcnt(0)
	v_cmp_ne_u16_e32 vcc_lo, 0, v8
	s_and_b32 s10, vcc_lo, exec_lo
	s_branch .LBB7_1366
.LBB7_1365:
	s_mov_b32 s0, -1
                                        ; implicit-def: $sgpr10
.LBB7_1366:
	s_delay_alu instid0(SALU_CYCLE_1)
	s_and_not1_b32 vcc_lo, exec_lo, s0
	s_cbranch_vccnz .LBB7_1368
; %bb.1367:
	global_load_u8 v6, v[6:7], off
	s_and_not1_b32 s0, s10, exec_lo
	s_waitcnt vmcnt(0)
	v_cmp_ne_u16_e32 vcc_lo, 0, v6
	s_and_b32 s10, vcc_lo, exec_lo
	s_delay_alu instid0(SALU_CYCLE_1)
	s_or_b32 s10, s0, s10
.LBB7_1368:
.LBB7_1369:
	v_cmp_gt_i16_e32 vcc_lo, 11, v9
	v_add_co_u32 v5, s0, s6, v5
	s_delay_alu instid0(VALU_DEP_1)
	v_add_co_ci_u32_e64 v6, null, s7, 0, s0
	s_mov_b32 s13, 0
	s_cbranch_vccnz .LBB7_1376
; %bb.1370:
	v_cmp_lt_i16_e32 vcc_lo, 25, v9
	s_mov_b32 s0, 0
	s_cbranch_vccz .LBB7_1378
; %bb.1371:
	v_cmp_lt_i16_e32 vcc_lo, 28, v9
	s_cbranch_vccz .LBB7_1379
; %bb.1372:
	v_cmp_lt_i16_e32 vcc_lo, 43, v9
	;; [unrolled: 3-line block ×3, first 2 shown]
	s_cbranch_vccz .LBB7_1387
; %bb.1374:
	v_cmp_eq_u16_e32 vcc_lo, 46, v9
	s_mov_b32 s14, 0
	s_cbranch_vccz .LBB7_1392
; %bb.1375:
	global_load_b32 v7, v[5:6], off
	s_mov_b32 s12, 0
	s_mov_b32 s13, -1
	s_waitcnt vmcnt(0)
	v_and_b32_e32 v7, 0x7fff7fff, v7
	s_delay_alu instid0(VALU_DEP_1)
	v_cmp_ne_u32_e32 vcc_lo, 0, v7
	s_and_b32 s11, vcc_lo, exec_lo
	s_branch .LBB7_1394
.LBB7_1376:
                                        ; implicit-def: $sgpr11
	s_cbranch_execnz .LBB7_1454
.LBB7_1377:
	s_and_not1_b32 vcc_lo, exec_lo, s13
	s_cbranch_vccz .LBB7_1502
	s_branch .LBB7_2064
.LBB7_1378:
	s_mov_b32 s14, -1
	s_mov_b32 s12, 0
                                        ; implicit-def: $sgpr11
	s_branch .LBB7_1419
.LBB7_1379:
	s_mov_b32 s14, -1
	s_mov_b32 s12, 0
                                        ; implicit-def: $sgpr11
	s_branch .LBB7_1402
.LBB7_1380:
	s_mov_b32 s14, -1
	s_mov_b32 s12, 0
                                        ; implicit-def: $sgpr11
	s_branch .LBB7_1397
.LBB7_1381:
	s_cbranch_execnz .LBB7_1388
; %bb.1382:
	s_mov_b32 s12, 0
	s_and_not1_b32 s10, s10, exec_lo
	s_or_b32 s1, s1, exec_lo
	s_cbranch_execz .LBB7_1320
	s_branch .LBB7_1321
.LBB7_1383:
	s_mov_b32 s0, -1
	s_mov_b32 s13, exec_lo
                                        ; implicit-def: $sgpr10
	v_cmpx_eq_u16_e32 0x80, v8
; %bb.1384:
	s_mov_b32 s10, -1
	s_xor_b32 s0, exec_lo, -1
; %bb.1385:
	s_or_b32 exec_lo, exec_lo, s13
	s_delay_alu instid0(SALU_CYCLE_1)
	s_and_b32 s0, s0, exec_lo
	s_and_not1_saveexec_b32 s12, s12
	s_cbranch_execz .LBB7_1293
.LBB7_1386:
	v_cmp_ne_u16_e32 vcc_lo, 0, v8
	s_and_not1_b32 s0, s0, exec_lo
	s_and_not1_b32 s10, s10, exec_lo
	s_and_b32 s13, vcc_lo, exec_lo
	s_delay_alu instid0(SALU_CYCLE_1)
	s_or_b32 s0, s0, s13
	s_or_b32 exec_lo, exec_lo, s12
	s_and_saveexec_b32 s12, s0
	s_cbranch_execnz .LBB7_1294
	s_branch .LBB7_1295
.LBB7_1387:
	s_mov_b32 s14, -1
	s_mov_b32 s12, 0
	s_branch .LBB7_1393
.LBB7_1388:
	s_trap 2
	s_sendmsg_rtn_b32 s0, sendmsg(MSG_RTN_GET_DOORBELL)
	s_mov_b32 ttmp2, m0
	s_waitcnt lgkmcnt(0)
	s_and_b32 s0, s0, 0x3ff
	s_delay_alu instid0(SALU_CYCLE_1) | instskip(NEXT) | instid1(SALU_CYCLE_1)
	s_bitset1_b32 s0, 10
	s_mov_b32 m0, s0
	s_sendmsg sendmsg(MSG_INTERRUPT)
	s_mov_b32 m0, ttmp2
.LBB7_1389:                             ; =>This Inner Loop Header: Depth=1
	s_sethalt 5
	s_branch .LBB7_1389
.LBB7_1390:
	v_bfe_u32 v0, v3, 21, 1
	s_mov_b32 s5, exec_lo
	s_delay_alu instid0(VALU_DEP_1) | instskip(NEXT) | instid1(VALU_DEP_1)
	v_add3_u32 v0, v3, v0, 0x88fffff
                                        ; implicit-def: $vgpr3
	v_lshrrev_b32_e32 v0, 21, v0
	s_or_saveexec_b32 s9, s9
                                        ; implicit-def: $sgpr10
	s_delay_alu instid0(SALU_CYCLE_1)
	s_xor_b32 exec_lo, exec_lo, s9
	s_cbranch_execz .LBB7_985
.LBB7_1391:
	v_add_f32_e32 v0, 0x42800000, v3
	s_and_not1_b32 s5, s5, exec_lo
	s_mov_b32 s10, 0
	s_delay_alu instid0(VALU_DEP_1) | instskip(NEXT) | instid1(VALU_DEP_1)
	v_and_b32_e32 v0, 0xff, v0
	v_cmp_ne_u32_e32 vcc_lo, 0, v0
	s_and_b32 s11, vcc_lo, exec_lo
	s_delay_alu instid0(SALU_CYCLE_1)
	s_or_b32 s5, s5, s11
	s_or_b32 exec_lo, exec_lo, s9
	v_mov_b32_e32 v5, s10
	s_and_saveexec_b32 s9, s5
	s_cbranch_execnz .LBB7_986
	s_branch .LBB7_987
.LBB7_1392:
	s_mov_b32 s12, -1
.LBB7_1393:
                                        ; implicit-def: $sgpr11
.LBB7_1394:
	s_and_b32 vcc_lo, exec_lo, s14
	s_cbranch_vccz .LBB7_1396
; %bb.1395:
	v_cmp_ne_u16_e64 s12, 44, v9
	s_mov_b32 s13, -1
	s_or_b32 s11, s11, exec_lo
.LBB7_1396:
	s_mov_b32 s14, 0
.LBB7_1397:
	s_delay_alu instid0(SALU_CYCLE_1)
	s_and_b32 vcc_lo, exec_lo, s14
	s_cbranch_vccz .LBB7_1401
; %bb.1398:
	v_cmp_eq_u16_e32 vcc_lo, 29, v9
	s_cbranch_vccz .LBB7_1400
; %bb.1399:
	global_load_b64 v[7:8], v[5:6], off
	s_mov_b32 s12, 0
	s_mov_b32 s13, -1
	s_mov_b32 s14, 0
	s_waitcnt vmcnt(0)
	v_cmp_ne_u64_e32 vcc_lo, 0, v[7:8]
	s_and_b32 s11, vcc_lo, exec_lo
	s_branch .LBB7_1402
.LBB7_1400:
	s_mov_b32 s12, -1
                                        ; implicit-def: $sgpr11
.LBB7_1401:
	s_mov_b32 s14, 0
.LBB7_1402:
	s_delay_alu instid0(SALU_CYCLE_1)
	s_and_b32 vcc_lo, exec_lo, s14
	s_cbranch_vccz .LBB7_1418
; %bb.1403:
	v_cmp_gt_i16_e32 vcc_lo, 27, v9
	s_cbranch_vccnz .LBB7_1406
; %bb.1404:
	v_cmp_lt_i16_e32 vcc_lo, 27, v9
	s_cbranch_vccz .LBB7_1407
; %bb.1405:
	global_load_b32 v7, v[5:6], off
	s_mov_b32 s13, 0
	s_waitcnt vmcnt(0)
	v_cmp_ne_u32_e32 vcc_lo, 0, v7
	s_and_b32 s11, vcc_lo, exec_lo
	s_branch .LBB7_1408
.LBB7_1406:
	s_mov_b32 s13, -1
                                        ; implicit-def: $sgpr11
	s_branch .LBB7_1411
.LBB7_1407:
	s_mov_b32 s13, -1
                                        ; implicit-def: $sgpr11
.LBB7_1408:
	s_delay_alu instid0(SALU_CYCLE_1)
	s_and_not1_b32 vcc_lo, exec_lo, s13
	s_cbranch_vccnz .LBB7_1410
; %bb.1409:
	global_load_u16 v7, v[5:6], off
	s_and_not1_b32 s11, s11, exec_lo
	s_waitcnt vmcnt(0)
	v_cmp_ne_u16_e32 vcc_lo, 0, v7
	s_and_b32 s13, vcc_lo, exec_lo
	s_delay_alu instid0(SALU_CYCLE_1)
	s_or_b32 s11, s11, s13
.LBB7_1410:
	s_mov_b32 s13, 0
.LBB7_1411:
	s_delay_alu instid0(SALU_CYCLE_1)
	s_and_not1_b32 vcc_lo, exec_lo, s13
	s_cbranch_vccnz .LBB7_1417
; %bb.1412:
	global_load_u8 v7, v[5:6], off
	s_mov_b32 s13, 0
	s_mov_b32 s14, exec_lo
                                        ; implicit-def: $sgpr11
	s_waitcnt vmcnt(0)
	v_cmpx_lt_i16_e32 0x7f, v7
	s_xor_b32 s14, exec_lo, s14
	s_cbranch_execnz .LBB7_1430
; %bb.1413:
	s_and_not1_saveexec_b32 s14, s14
	s_cbranch_execnz .LBB7_1433
.LBB7_1414:
	s_or_b32 exec_lo, exec_lo, s14
	s_and_saveexec_b32 s14, s13
	s_cbranch_execz .LBB7_1416
.LBB7_1415:
	v_and_b32_e32 v7, 0xffff, v7
	s_and_not1_b32 s11, s11, exec_lo
	s_delay_alu instid0(VALU_DEP_1) | instskip(NEXT) | instid1(VALU_DEP_1)
	v_and_b32_e32 v8, 7, v7
	v_clz_i32_u32_e32 v10, v8
	s_delay_alu instid0(VALU_DEP_1) | instskip(NEXT) | instid1(VALU_DEP_1)
	v_min_u32_e32 v10, 32, v10
	v_subrev_nc_u32_e32 v11, 28, v10
	v_sub_nc_u32_e32 v10, 29, v10
	s_delay_alu instid0(VALU_DEP_2) | instskip(SKIP_1) | instid1(VALU_DEP_2)
	v_lshlrev_b32_e32 v11, v11, v7
	v_bfe_u32 v7, v7, 3, 4
	v_and_b32_e32 v11, 7, v11
	s_delay_alu instid0(VALU_DEP_2) | instskip(NEXT) | instid1(VALU_DEP_2)
	v_cmp_eq_u32_e32 vcc_lo, 0, v7
	v_dual_cndmask_b32 v7, v7, v10 :: v_dual_cndmask_b32 v8, v8, v11
	s_delay_alu instid0(VALU_DEP_1) | instskip(NEXT) | instid1(VALU_DEP_2)
	v_lshl_add_u32 v7, v7, 23, 0x3b800000
	v_lshlrev_b32_e32 v8, 20, v8
	s_delay_alu instid0(VALU_DEP_1) | instskip(NEXT) | instid1(VALU_DEP_1)
	v_and_or_b32 v7, 0x7f800000, v7, v8
	v_cmp_ne_u32_e32 vcc_lo, 0, v7
	s_and_b32 s13, vcc_lo, exec_lo
	s_delay_alu instid0(SALU_CYCLE_1)
	s_or_b32 s11, s11, s13
.LBB7_1416:
	s_or_b32 exec_lo, exec_lo, s14
.LBB7_1417:
	s_mov_b32 s13, -1
.LBB7_1418:
	s_mov_b32 s14, 0
.LBB7_1419:
	s_delay_alu instid0(SALU_CYCLE_1)
	s_and_b32 vcc_lo, exec_lo, s14
	s_cbranch_vccz .LBB7_1450
; %bb.1420:
	v_cmp_lt_i16_e32 vcc_lo, 22, v9
	s_cbranch_vccz .LBB7_1428
; %bb.1421:
	v_cmp_gt_i16_e32 vcc_lo, 24, v9
	s_cbranch_vccnz .LBB7_1429
; %bb.1422:
	v_cmp_lt_i16_e32 vcc_lo, 24, v9
	s_cbranch_vccz .LBB7_1434
; %bb.1423:
	global_load_u8 v7, v[5:6], off
	s_mov_b32 s13, exec_lo
                                        ; implicit-def: $sgpr11
	s_waitcnt vmcnt(0)
	v_cmpx_lt_i16_e32 0x7f, v7
	s_xor_b32 s13, exec_lo, s13
	s_cbranch_execnz .LBB7_1515
; %bb.1424:
	s_and_not1_saveexec_b32 s13, s13
	s_cbranch_execnz .LBB7_1518
.LBB7_1425:
	s_or_b32 exec_lo, exec_lo, s13
	s_and_saveexec_b32 s13, s0
	s_cbranch_execz .LBB7_1427
.LBB7_1426:
	v_and_b32_e32 v7, 0xffff, v7
	s_and_not1_b32 s0, s11, exec_lo
	s_delay_alu instid0(VALU_DEP_1) | instskip(NEXT) | instid1(VALU_DEP_1)
	v_and_b32_e32 v8, 3, v7
	v_clz_i32_u32_e32 v10, v8
	s_delay_alu instid0(VALU_DEP_1) | instskip(NEXT) | instid1(VALU_DEP_1)
	v_min_u32_e32 v10, 32, v10
	v_subrev_nc_u32_e32 v11, 29, v10
	v_sub_nc_u32_e32 v10, 30, v10
	s_delay_alu instid0(VALU_DEP_2) | instskip(SKIP_1) | instid1(VALU_DEP_2)
	v_lshlrev_b32_e32 v11, v11, v7
	v_bfe_u32 v7, v7, 2, 5
	v_and_b32_e32 v11, 3, v11
	s_delay_alu instid0(VALU_DEP_2) | instskip(NEXT) | instid1(VALU_DEP_2)
	v_cmp_eq_u32_e32 vcc_lo, 0, v7
	v_dual_cndmask_b32 v7, v7, v10 :: v_dual_cndmask_b32 v8, v8, v11
	s_delay_alu instid0(VALU_DEP_1) | instskip(NEXT) | instid1(VALU_DEP_2)
	v_lshl_add_u32 v7, v7, 23, 0x37800000
	v_lshlrev_b32_e32 v8, 21, v8
	s_delay_alu instid0(VALU_DEP_1) | instskip(NEXT) | instid1(VALU_DEP_1)
	v_and_or_b32 v7, 0x7f800000, v7, v8
	v_cmp_ne_u32_e32 vcc_lo, 0, v7
	s_and_b32 s11, vcc_lo, exec_lo
	s_delay_alu instid0(SALU_CYCLE_1)
	s_or_b32 s11, s0, s11
.LBB7_1427:
	s_or_b32 exec_lo, exec_lo, s13
	s_mov_b32 s0, 0
	s_branch .LBB7_1435
.LBB7_1428:
	s_mov_b32 s0, -1
                                        ; implicit-def: $sgpr11
	s_branch .LBB7_1441
.LBB7_1429:
	s_mov_b32 s0, -1
                                        ; implicit-def: $sgpr11
	s_branch .LBB7_1438
.LBB7_1430:
	s_mov_b32 s13, -1
	s_mov_b32 s15, exec_lo
                                        ; implicit-def: $sgpr11
	v_cmpx_eq_u16_e32 0x80, v7
; %bb.1431:
	s_mov_b32 s11, -1
	s_xor_b32 s13, exec_lo, -1
; %bb.1432:
	s_or_b32 exec_lo, exec_lo, s15
	s_delay_alu instid0(SALU_CYCLE_1)
	s_and_b32 s13, s13, exec_lo
	s_and_not1_saveexec_b32 s14, s14
	s_cbranch_execz .LBB7_1414
.LBB7_1433:
	v_cmp_ne_u16_e32 vcc_lo, 0, v7
	s_and_not1_b32 s13, s13, exec_lo
	s_and_not1_b32 s11, s11, exec_lo
	s_and_b32 s15, vcc_lo, exec_lo
	s_delay_alu instid0(SALU_CYCLE_1)
	s_or_b32 s13, s13, s15
	s_or_b32 exec_lo, exec_lo, s14
	s_and_saveexec_b32 s14, s13
	s_cbranch_execnz .LBB7_1415
	s_branch .LBB7_1416
.LBB7_1434:
	s_mov_b32 s0, -1
                                        ; implicit-def: $sgpr11
.LBB7_1435:
	s_delay_alu instid0(SALU_CYCLE_1)
	s_and_b32 vcc_lo, exec_lo, s0
	s_cbranch_vccz .LBB7_1437
; %bb.1436:
	global_load_u8 v7, v[5:6], off
	s_and_not1_b32 s11, s11, exec_lo
	s_waitcnt vmcnt(0)
	v_lshlrev_b32_e32 v7, 24, v7
	s_delay_alu instid0(VALU_DEP_1) | instskip(NEXT) | instid1(VALU_DEP_1)
	v_and_b32_e32 v7, 0x7f000000, v7
	v_clz_i32_u32_e32 v8, v7
	v_add_nc_u32_e32 v11, 0x1000000, v7
	v_cmp_ne_u32_e32 vcc_lo, 0, v7
	s_delay_alu instid0(VALU_DEP_3) | instskip(NEXT) | instid1(VALU_DEP_3)
	v_min_u32_e32 v8, 32, v8
	v_ashrrev_i32_e32 v11, 8, v11
	s_delay_alu instid0(VALU_DEP_2) | instskip(NEXT) | instid1(VALU_DEP_1)
	v_sub_nc_u32_e64 v8, v8, 4 clamp
	v_lshlrev_b32_e32 v10, v8, v7
	v_lshlrev_b32_e32 v8, 23, v8
	s_delay_alu instid0(VALU_DEP_2) | instskip(NEXT) | instid1(VALU_DEP_1)
	v_lshrrev_b32_e32 v10, 4, v10
	v_sub_nc_u32_e32 v8, v10, v8
	v_and_b32_e32 v10, 0x7f800000, v11
	s_delay_alu instid0(VALU_DEP_2) | instskip(NEXT) | instid1(VALU_DEP_1)
	v_add_nc_u32_e32 v8, 0x3c000000, v8
	v_and_or_b32 v8, 0x7ff00000, v8, v10
	s_delay_alu instid0(VALU_DEP_1) | instskip(NEXT) | instid1(VALU_DEP_1)
	v_cmp_ne_u32_e64 s0, 0, v8
	s_and_b32 s0, vcc_lo, s0
	s_delay_alu instid0(SALU_CYCLE_1) | instskip(NEXT) | instid1(SALU_CYCLE_1)
	s_and_b32 s0, s0, exec_lo
	s_or_b32 s11, s11, s0
.LBB7_1437:
	s_mov_b32 s0, 0
.LBB7_1438:
	s_delay_alu instid0(SALU_CYCLE_1)
	s_and_not1_b32 vcc_lo, exec_lo, s0
	s_cbranch_vccnz .LBB7_1440
; %bb.1439:
	global_load_u8 v7, v[5:6], off
	s_and_not1_b32 s0, s11, exec_lo
	s_waitcnt vmcnt(0)
	v_lshlrev_b32_e32 v8, 25, v7
	s_delay_alu instid0(VALU_DEP_1) | instskip(SKIP_1) | instid1(VALU_DEP_2)
	v_lshrrev_b32_e32 v10, 4, v8
	v_cmp_gt_u32_e32 vcc_lo, 0x8000000, v8
	v_or_b32_e32 v10, 0x70000000, v10
	s_delay_alu instid0(VALU_DEP_1) | instskip(NEXT) | instid1(VALU_DEP_1)
	v_dual_mul_f32 v10, 0x7800000, v10 :: v_dual_lshlrev_b32 v7, 8, v7
	v_and_or_b32 v7, 0x7f00, v7, 0.5
	s_delay_alu instid0(VALU_DEP_1) | instskip(NEXT) | instid1(VALU_DEP_1)
	v_add_f32_e32 v7, -0.5, v7
	v_cndmask_b32_e32 v7, v10, v7, vcc_lo
	s_delay_alu instid0(VALU_DEP_1) | instskip(SKIP_1) | instid1(SALU_CYCLE_1)
	v_cmp_neq_f32_e32 vcc_lo, 0, v7
	s_and_b32 s11, vcc_lo, exec_lo
	s_or_b32 s11, s0, s11
.LBB7_1440:
	s_mov_b32 s0, 0
	s_mov_b32 s13, -1
.LBB7_1441:
	s_and_not1_b32 vcc_lo, exec_lo, s0
	s_mov_b32 s0, 0
	s_cbranch_vccnz .LBB7_1450
; %bb.1442:
	v_cmp_lt_i16_e32 vcc_lo, 14, v9
	s_cbranch_vccz .LBB7_1445
; %bb.1443:
	v_cmp_eq_u16_e32 vcc_lo, 15, v9
	s_cbranch_vccz .LBB7_1446
; %bb.1444:
	global_load_u16 v7, v[5:6], off
	s_mov_b32 s12, 0
	s_mov_b32 s13, -1
	s_waitcnt vmcnt(0)
	v_and_b32_e32 v7, 0x7fff, v7
	s_delay_alu instid0(VALU_DEP_1)
	v_cmp_ne_u16_e32 vcc_lo, 0, v7
	s_and_b32 s11, vcc_lo, exec_lo
	s_branch .LBB7_1448
.LBB7_1445:
	s_mov_b32 s0, -1
	s_branch .LBB7_1447
.LBB7_1446:
	s_mov_b32 s12, -1
.LBB7_1447:
                                        ; implicit-def: $sgpr11
.LBB7_1448:
	s_and_b32 vcc_lo, exec_lo, s0
	s_mov_b32 s0, 0
	s_cbranch_vccz .LBB7_1450
; %bb.1449:
	v_cmp_ne_u16_e64 s12, 11, v9
	s_mov_b32 s0, -1
	s_and_not1_b32 s11, s11, exec_lo
.LBB7_1450:
	s_delay_alu instid0(VALU_DEP_1)
	s_and_b32 vcc_lo, exec_lo, s12
	s_cbranch_vccnz .LBB7_1513
; %bb.1451:
	s_and_not1_b32 vcc_lo, exec_lo, s0
	s_cbranch_vccnz .LBB7_1453
.LBB7_1452:
	global_load_u8 v7, v[5:6], off
	s_and_not1_b32 s0, s11, exec_lo
	s_mov_b32 s13, -1
	s_waitcnt vmcnt(0)
	v_cmp_ne_u16_e32 vcc_lo, 0, v7
	s_and_b32 s11, vcc_lo, exec_lo
	s_delay_alu instid0(SALU_CYCLE_1)
	s_or_b32 s11, s0, s11
.LBB7_1453:
	s_branch .LBB7_1377
.LBB7_1454:
	v_cmp_gt_i16_e32 vcc_lo, 5, v9
	s_cbranch_vccnz .LBB7_1459
; %bb.1455:
	v_cmp_gt_i16_e32 vcc_lo, 8, v9
	s_cbranch_vccnz .LBB7_1460
; %bb.1456:
	v_cmp_gt_i16_e32 vcc_lo, 9, v9
	s_cbranch_vccnz .LBB7_1461
; %bb.1457:
	v_cmp_lt_i16_e32 vcc_lo, 9, v9
	s_cbranch_vccz .LBB7_1462
; %bb.1458:
	global_load_b128 v[10:13], v[5:6], off
	s_waitcnt vmcnt(0)
	v_cmp_neq_f64_e32 vcc_lo, 0, v[10:11]
	v_cmp_neq_f64_e64 s0, 0, v[12:13]
	s_delay_alu instid0(VALU_DEP_1)
	s_or_b32 s11, vcc_lo, s0
	s_mov_b32 s0, 0
	s_and_b32 s11, s11, exec_lo
	s_branch .LBB7_1463
.LBB7_1459:
	s_mov_b32 s0, -1
                                        ; implicit-def: $sgpr11
	s_branch .LBB7_1481
.LBB7_1460:
	s_mov_b32 s0, -1
                                        ; implicit-def: $sgpr11
	s_branch .LBB7_1469
.LBB7_1461:
	s_mov_b32 s0, -1
                                        ; implicit-def: $sgpr11
	s_branch .LBB7_1466
.LBB7_1462:
	s_mov_b32 s0, -1
                                        ; implicit-def: $sgpr11
.LBB7_1463:
	s_delay_alu instid0(SALU_CYCLE_1)
	s_and_not1_b32 vcc_lo, exec_lo, s0
	s_cbranch_vccnz .LBB7_1465
; %bb.1464:
	global_load_b64 v[7:8], v[5:6], off
	s_and_not1_b32 s0, s11, exec_lo
	s_waitcnt vmcnt(0)
	v_or_b32_e32 v7, v7, v8
	s_delay_alu instid0(VALU_DEP_1) | instskip(NEXT) | instid1(VALU_DEP_1)
	v_and_b32_e32 v7, 0x7fffffff, v7
	v_cmp_ne_u32_e32 vcc_lo, 0, v7
	s_and_b32 s11, vcc_lo, exec_lo
	s_delay_alu instid0(SALU_CYCLE_1)
	s_or_b32 s11, s0, s11
.LBB7_1465:
	s_mov_b32 s0, 0
.LBB7_1466:
	s_delay_alu instid0(SALU_CYCLE_1)
	s_and_not1_b32 vcc_lo, exec_lo, s0
	s_cbranch_vccnz .LBB7_1468
; %bb.1467:
	global_load_b32 v7, v[5:6], off
	s_and_not1_b32 s0, s11, exec_lo
	s_waitcnt vmcnt(0)
	v_and_b32_e32 v7, 0x7fff7fff, v7
	s_delay_alu instid0(VALU_DEP_1) | instskip(SKIP_1) | instid1(SALU_CYCLE_1)
	v_cmp_ne_u32_e32 vcc_lo, 0, v7
	s_and_b32 s11, vcc_lo, exec_lo
	s_or_b32 s11, s0, s11
.LBB7_1468:
	s_mov_b32 s0, 0
.LBB7_1469:
	s_delay_alu instid0(SALU_CYCLE_1)
	s_and_not1_b32 vcc_lo, exec_lo, s0
	s_cbranch_vccnz .LBB7_1480
; %bb.1470:
	v_cmp_gt_i16_e32 vcc_lo, 6, v9
	s_cbranch_vccnz .LBB7_1473
; %bb.1471:
	v_cmp_lt_i16_e32 vcc_lo, 6, v9
	s_cbranch_vccz .LBB7_1474
; %bb.1472:
	global_load_b64 v[7:8], v[5:6], off
	s_mov_b32 s0, 0
	s_waitcnt vmcnt(0)
	v_cmp_neq_f64_e32 vcc_lo, 0, v[7:8]
	s_and_b32 s11, vcc_lo, exec_lo
	s_branch .LBB7_1475
.LBB7_1473:
	s_mov_b32 s0, -1
                                        ; implicit-def: $sgpr11
	s_branch .LBB7_1478
.LBB7_1474:
	s_mov_b32 s0, -1
                                        ; implicit-def: $sgpr11
.LBB7_1475:
	s_delay_alu instid0(SALU_CYCLE_1)
	s_and_not1_b32 vcc_lo, exec_lo, s0
	s_cbranch_vccnz .LBB7_1477
; %bb.1476:
	global_load_b32 v7, v[5:6], off
	s_and_not1_b32 s0, s11, exec_lo
	s_waitcnt vmcnt(0)
	v_cmp_neq_f32_e32 vcc_lo, 0, v7
	s_and_b32 s11, vcc_lo, exec_lo
	s_delay_alu instid0(SALU_CYCLE_1)
	s_or_b32 s11, s0, s11
.LBB7_1477:
	s_mov_b32 s0, 0
.LBB7_1478:
	s_delay_alu instid0(SALU_CYCLE_1)
	s_and_not1_b32 vcc_lo, exec_lo, s0
	s_cbranch_vccnz .LBB7_1480
; %bb.1479:
	global_load_u16 v7, v[5:6], off
	s_and_not1_b32 s0, s11, exec_lo
	s_waitcnt vmcnt(0)
	v_and_b32_e32 v7, 0x7fff, v7
	s_delay_alu instid0(VALU_DEP_1) | instskip(SKIP_1) | instid1(SALU_CYCLE_1)
	v_cmp_ne_u16_e32 vcc_lo, 0, v7
	s_and_b32 s11, vcc_lo, exec_lo
	s_or_b32 s11, s0, s11
.LBB7_1480:
	s_mov_b32 s0, 0
.LBB7_1481:
	s_delay_alu instid0(SALU_CYCLE_1)
	s_and_not1_b32 vcc_lo, exec_lo, s0
	s_cbranch_vccnz .LBB7_1501
; %bb.1482:
	v_cmp_gt_i16_e32 vcc_lo, 2, v9
	s_cbranch_vccnz .LBB7_1486
; %bb.1483:
	v_cmp_gt_i16_e32 vcc_lo, 3, v9
	s_cbranch_vccnz .LBB7_1487
; %bb.1484:
	v_cmp_lt_i16_e32 vcc_lo, 3, v9
	s_cbranch_vccz .LBB7_1488
; %bb.1485:
	global_load_b64 v[7:8], v[5:6], off
	s_mov_b32 s0, 0
	s_waitcnt vmcnt(0)
	v_cmp_ne_u64_e32 vcc_lo, 0, v[7:8]
	s_and_b32 s11, vcc_lo, exec_lo
	s_branch .LBB7_1489
.LBB7_1486:
	s_mov_b32 s0, -1
                                        ; implicit-def: $sgpr11
	s_branch .LBB7_1495
.LBB7_1487:
	s_mov_b32 s0, -1
                                        ; implicit-def: $sgpr11
	s_branch .LBB7_1492
.LBB7_1488:
	s_mov_b32 s0, -1
                                        ; implicit-def: $sgpr11
.LBB7_1489:
	s_delay_alu instid0(SALU_CYCLE_1)
	s_and_not1_b32 vcc_lo, exec_lo, s0
	s_cbranch_vccnz .LBB7_1491
; %bb.1490:
	global_load_b32 v7, v[5:6], off
	s_and_not1_b32 s0, s11, exec_lo
	s_waitcnt vmcnt(0)
	v_cmp_ne_u32_e32 vcc_lo, 0, v7
	s_and_b32 s11, vcc_lo, exec_lo
	s_delay_alu instid0(SALU_CYCLE_1)
	s_or_b32 s11, s0, s11
.LBB7_1491:
	s_mov_b32 s0, 0
.LBB7_1492:
	s_delay_alu instid0(SALU_CYCLE_1)
	s_and_not1_b32 vcc_lo, exec_lo, s0
	s_cbranch_vccnz .LBB7_1494
; %bb.1493:
	global_load_u16 v7, v[5:6], off
	s_and_not1_b32 s0, s11, exec_lo
	s_waitcnt vmcnt(0)
	v_cmp_ne_u16_e32 vcc_lo, 0, v7
	s_and_b32 s11, vcc_lo, exec_lo
	s_delay_alu instid0(SALU_CYCLE_1)
	s_or_b32 s11, s0, s11
.LBB7_1494:
	s_mov_b32 s0, 0
.LBB7_1495:
	s_delay_alu instid0(SALU_CYCLE_1)
	s_and_not1_b32 vcc_lo, exec_lo, s0
	s_cbranch_vccnz .LBB7_1501
; %bb.1496:
	v_cmp_lt_i16_e32 vcc_lo, 0, v9
	s_mov_b32 s0, 0
	s_cbranch_vccz .LBB7_1498
; %bb.1497:
	global_load_u8 v7, v[5:6], off
	s_waitcnt vmcnt(0)
	v_cmp_ne_u16_e32 vcc_lo, 0, v7
	s_and_b32 s11, vcc_lo, exec_lo
	s_branch .LBB7_1499
.LBB7_1498:
	s_mov_b32 s0, -1
                                        ; implicit-def: $sgpr11
.LBB7_1499:
	s_delay_alu instid0(SALU_CYCLE_1)
	s_and_not1_b32 vcc_lo, exec_lo, s0
	s_cbranch_vccnz .LBB7_1501
; %bb.1500:
	global_load_u8 v5, v[5:6], off
	s_and_not1_b32 s0, s11, exec_lo
	s_waitcnt vmcnt(0)
	v_cmp_ne_u16_e32 vcc_lo, 0, v5
	s_and_b32 s11, vcc_lo, exec_lo
	s_delay_alu instid0(SALU_CYCLE_1)
	s_or_b32 s11, s0, s11
.LBB7_1501:
.LBB7_1502:
	v_cmp_gt_i16_e32 vcc_lo, 11, v9
	v_add_co_u32 v4, s0, s6, v4
	s_delay_alu instid0(VALU_DEP_1)
	v_add_co_ci_u32_e64 v5, null, s7, 0, s0
	s_mov_b32 s12, 0
	s_cbranch_vccnz .LBB7_1509
; %bb.1503:
	v_cmp_lt_i16_e32 vcc_lo, 25, v9
	s_mov_b32 s0, 0
	s_cbranch_vccz .LBB7_1510
; %bb.1504:
	v_cmp_lt_i16_e32 vcc_lo, 28, v9
	s_cbranch_vccz .LBB7_1511
; %bb.1505:
	v_cmp_lt_i16_e32 vcc_lo, 43, v9
	;; [unrolled: 3-line block ×3, first 2 shown]
	s_cbranch_vccz .LBB7_1519
; %bb.1507:
	v_cmp_eq_u16_e32 vcc_lo, 46, v9
	s_mov_b32 s13, 0
	s_cbranch_vccz .LBB7_1522
; %bb.1508:
	global_load_b32 v6, v[4:5], off
	s_mov_b32 s7, 0
	s_mov_b32 s12, -1
	s_waitcnt vmcnt(0)
	v_and_b32_e32 v6, 0x7fff7fff, v6
	s_delay_alu instid0(VALU_DEP_1)
	v_cmp_ne_u32_e32 vcc_lo, 0, v6
	s_and_b32 s6, vcc_lo, exec_lo
	s_branch .LBB7_1524
.LBB7_1509:
	s_mov_b32 s0, -1
                                        ; implicit-def: $sgpr6
	s_branch .LBB7_1584
.LBB7_1510:
	s_mov_b32 s13, -1
	s_mov_b32 s7, 0
                                        ; implicit-def: $sgpr6
	s_branch .LBB7_1549
.LBB7_1511:
	s_mov_b32 s13, -1
	s_mov_b32 s7, 0
                                        ; implicit-def: $sgpr6
	s_branch .LBB7_1532
.LBB7_1512:
	s_mov_b32 s13, -1
	s_mov_b32 s7, 0
                                        ; implicit-def: $sgpr6
	s_branch .LBB7_1527
.LBB7_1513:
	s_cbranch_execnz .LBB7_1520
; %bb.1514:
	s_mov_b32 s13, 0
	s_and_not1_b32 s11, s11, exec_lo
	s_or_b32 s1, s1, exec_lo
	s_cbranch_execz .LBB7_1452
	s_branch .LBB7_1453
.LBB7_1515:
	s_mov_b32 s0, -1
	s_mov_b32 s14, exec_lo
                                        ; implicit-def: $sgpr11
	v_cmpx_eq_u16_e32 0x80, v7
; %bb.1516:
	s_mov_b32 s11, -1
	s_xor_b32 s0, exec_lo, -1
; %bb.1517:
	s_or_b32 exec_lo, exec_lo, s14
	s_delay_alu instid0(SALU_CYCLE_1)
	s_and_b32 s0, s0, exec_lo
	s_and_not1_saveexec_b32 s13, s13
	s_cbranch_execz .LBB7_1425
.LBB7_1518:
	v_cmp_ne_u16_e32 vcc_lo, 0, v7
	s_and_not1_b32 s0, s0, exec_lo
	s_and_not1_b32 s11, s11, exec_lo
	s_and_b32 s14, vcc_lo, exec_lo
	s_delay_alu instid0(SALU_CYCLE_1)
	s_or_b32 s0, s0, s14
	s_or_b32 exec_lo, exec_lo, s13
	s_and_saveexec_b32 s13, s0
	s_cbranch_execnz .LBB7_1426
	s_branch .LBB7_1427
.LBB7_1519:
	s_mov_b32 s13, -1
	s_mov_b32 s7, 0
	s_branch .LBB7_1523
.LBB7_1520:
	s_trap 2
	s_sendmsg_rtn_b32 s0, sendmsg(MSG_RTN_GET_DOORBELL)
	s_mov_b32 ttmp2, m0
	s_waitcnt lgkmcnt(0)
	s_and_b32 s0, s0, 0x3ff
	s_delay_alu instid0(SALU_CYCLE_1) | instskip(NEXT) | instid1(SALU_CYCLE_1)
	s_bitset1_b32 s0, 10
	s_mov_b32 m0, s0
	s_sendmsg sendmsg(MSG_INTERRUPT)
	s_mov_b32 m0, ttmp2
.LBB7_1521:                             ; =>This Inner Loop Header: Depth=1
	s_sethalt 5
	s_branch .LBB7_1521
.LBB7_1522:
	s_mov_b32 s7, -1
.LBB7_1523:
                                        ; implicit-def: $sgpr6
.LBB7_1524:
	s_and_b32 vcc_lo, exec_lo, s13
	s_cbranch_vccz .LBB7_1526
; %bb.1525:
	v_cmp_ne_u16_e64 s7, 44, v9
	s_mov_b32 s12, -1
	s_or_b32 s6, s6, exec_lo
.LBB7_1526:
	s_mov_b32 s13, 0
.LBB7_1527:
	s_delay_alu instid0(SALU_CYCLE_1)
	s_and_b32 vcc_lo, exec_lo, s13
	s_cbranch_vccz .LBB7_1531
; %bb.1528:
	v_cmp_eq_u16_e32 vcc_lo, 29, v9
	s_cbranch_vccz .LBB7_1530
; %bb.1529:
	global_load_b64 v[6:7], v[4:5], off
	s_mov_b32 s7, 0
	s_mov_b32 s12, -1
	s_mov_b32 s13, 0
	s_waitcnt vmcnt(0)
	v_cmp_ne_u64_e32 vcc_lo, 0, v[6:7]
	s_and_b32 s6, vcc_lo, exec_lo
	s_branch .LBB7_1532
.LBB7_1530:
	s_mov_b32 s7, -1
                                        ; implicit-def: $sgpr6
.LBB7_1531:
	s_mov_b32 s13, 0
.LBB7_1532:
	s_delay_alu instid0(SALU_CYCLE_1)
	s_and_b32 vcc_lo, exec_lo, s13
	s_cbranch_vccz .LBB7_1548
; %bb.1533:
	v_cmp_gt_i16_e32 vcc_lo, 27, v9
	s_cbranch_vccnz .LBB7_1536
; %bb.1534:
	v_cmp_lt_i16_e32 vcc_lo, 27, v9
	s_cbranch_vccz .LBB7_1537
; %bb.1535:
	global_load_b32 v6, v[4:5], off
	s_mov_b32 s12, 0
	s_waitcnt vmcnt(0)
	v_cmp_ne_u32_e32 vcc_lo, 0, v6
	s_and_b32 s6, vcc_lo, exec_lo
	s_branch .LBB7_1538
.LBB7_1536:
	s_mov_b32 s12, -1
                                        ; implicit-def: $sgpr6
	s_branch .LBB7_1541
.LBB7_1537:
	s_mov_b32 s12, -1
                                        ; implicit-def: $sgpr6
.LBB7_1538:
	s_delay_alu instid0(SALU_CYCLE_1)
	s_and_not1_b32 vcc_lo, exec_lo, s12
	s_cbranch_vccnz .LBB7_1540
; %bb.1539:
	global_load_u16 v6, v[4:5], off
	s_and_not1_b32 s6, s6, exec_lo
	s_waitcnt vmcnt(0)
	v_cmp_ne_u16_e32 vcc_lo, 0, v6
	s_and_b32 s12, vcc_lo, exec_lo
	s_delay_alu instid0(SALU_CYCLE_1)
	s_or_b32 s6, s6, s12
.LBB7_1540:
	s_mov_b32 s12, 0
.LBB7_1541:
	s_delay_alu instid0(SALU_CYCLE_1)
	s_and_not1_b32 vcc_lo, exec_lo, s12
	s_cbranch_vccnz .LBB7_1547
; %bb.1542:
	global_load_u8 v6, v[4:5], off
	s_mov_b32 s12, 0
	s_mov_b32 s13, exec_lo
                                        ; implicit-def: $sgpr6
	s_waitcnt vmcnt(0)
	v_cmpx_lt_i16_e32 0x7f, v6
	s_xor_b32 s13, exec_lo, s13
	s_cbranch_execnz .LBB7_1560
; %bb.1543:
	s_and_not1_saveexec_b32 s13, s13
	s_cbranch_execnz .LBB7_1563
.LBB7_1544:
	s_or_b32 exec_lo, exec_lo, s13
	s_and_saveexec_b32 s13, s12
	s_cbranch_execz .LBB7_1546
.LBB7_1545:
	v_and_b32_e32 v6, 0xffff, v6
	s_and_not1_b32 s6, s6, exec_lo
	s_delay_alu instid0(VALU_DEP_1) | instskip(NEXT) | instid1(VALU_DEP_1)
	v_and_b32_e32 v7, 7, v6
	v_clz_i32_u32_e32 v8, v7
	s_delay_alu instid0(VALU_DEP_1) | instskip(NEXT) | instid1(VALU_DEP_1)
	v_min_u32_e32 v8, 32, v8
	v_subrev_nc_u32_e32 v10, 28, v8
	v_sub_nc_u32_e32 v8, 29, v8
	s_delay_alu instid0(VALU_DEP_2) | instskip(SKIP_1) | instid1(VALU_DEP_2)
	v_lshlrev_b32_e32 v10, v10, v6
	v_bfe_u32 v6, v6, 3, 4
	v_and_b32_e32 v10, 7, v10
	s_delay_alu instid0(VALU_DEP_2) | instskip(NEXT) | instid1(VALU_DEP_2)
	v_cmp_eq_u32_e32 vcc_lo, 0, v6
	v_dual_cndmask_b32 v6, v6, v8 :: v_dual_cndmask_b32 v7, v7, v10
	s_delay_alu instid0(VALU_DEP_1) | instskip(NEXT) | instid1(VALU_DEP_2)
	v_lshl_add_u32 v6, v6, 23, 0x3b800000
	v_lshlrev_b32_e32 v7, 20, v7
	s_delay_alu instid0(VALU_DEP_1) | instskip(NEXT) | instid1(VALU_DEP_1)
	v_and_or_b32 v6, 0x7f800000, v6, v7
	v_cmp_ne_u32_e32 vcc_lo, 0, v6
	s_and_b32 s12, vcc_lo, exec_lo
	s_delay_alu instid0(SALU_CYCLE_1)
	s_or_b32 s6, s6, s12
.LBB7_1546:
	s_or_b32 exec_lo, exec_lo, s13
.LBB7_1547:
	s_mov_b32 s12, -1
.LBB7_1548:
	s_mov_b32 s13, 0
.LBB7_1549:
	s_delay_alu instid0(SALU_CYCLE_1)
	s_and_b32 vcc_lo, exec_lo, s13
	s_cbranch_vccz .LBB7_1580
; %bb.1550:
	v_cmp_lt_i16_e32 vcc_lo, 22, v9
	s_cbranch_vccz .LBB7_1558
; %bb.1551:
	v_cmp_gt_i16_e32 vcc_lo, 24, v9
	s_cbranch_vccnz .LBB7_1559
; %bb.1552:
	v_cmp_lt_i16_e32 vcc_lo, 24, v9
	s_cbranch_vccz .LBB7_1564
; %bb.1553:
	global_load_u8 v6, v[4:5], off
	s_mov_b32 s12, exec_lo
                                        ; implicit-def: $sgpr6
	s_waitcnt vmcnt(0)
	v_cmpx_lt_i16_e32 0x7f, v6
	s_xor_b32 s12, exec_lo, s12
	s_cbranch_execnz .LBB7_2111
; %bb.1554:
	s_and_not1_saveexec_b32 s12, s12
	s_cbranch_execnz .LBB7_2114
.LBB7_1555:
	s_or_b32 exec_lo, exec_lo, s12
	s_and_saveexec_b32 s12, s0
	s_cbranch_execz .LBB7_1557
.LBB7_1556:
	v_and_b32_e32 v6, 0xffff, v6
	s_and_not1_b32 s0, s6, exec_lo
	s_delay_alu instid0(VALU_DEP_1) | instskip(NEXT) | instid1(VALU_DEP_1)
	v_and_b32_e32 v7, 3, v6
	v_clz_i32_u32_e32 v8, v7
	s_delay_alu instid0(VALU_DEP_1) | instskip(NEXT) | instid1(VALU_DEP_1)
	v_min_u32_e32 v8, 32, v8
	v_subrev_nc_u32_e32 v10, 29, v8
	v_sub_nc_u32_e32 v8, 30, v8
	s_delay_alu instid0(VALU_DEP_2) | instskip(SKIP_1) | instid1(VALU_DEP_2)
	v_lshlrev_b32_e32 v10, v10, v6
	v_bfe_u32 v6, v6, 2, 5
	v_and_b32_e32 v10, 3, v10
	s_delay_alu instid0(VALU_DEP_2) | instskip(NEXT) | instid1(VALU_DEP_2)
	v_cmp_eq_u32_e32 vcc_lo, 0, v6
	v_dual_cndmask_b32 v6, v6, v8 :: v_dual_cndmask_b32 v7, v7, v10
	s_delay_alu instid0(VALU_DEP_1) | instskip(NEXT) | instid1(VALU_DEP_2)
	v_lshl_add_u32 v6, v6, 23, 0x37800000
	v_lshlrev_b32_e32 v7, 21, v7
	s_delay_alu instid0(VALU_DEP_1) | instskip(NEXT) | instid1(VALU_DEP_1)
	v_and_or_b32 v6, 0x7f800000, v6, v7
	v_cmp_ne_u32_e32 vcc_lo, 0, v6
	s_and_b32 s6, vcc_lo, exec_lo
	s_delay_alu instid0(SALU_CYCLE_1)
	s_or_b32 s6, s0, s6
.LBB7_1557:
	s_or_b32 exec_lo, exec_lo, s12
	s_mov_b32 s0, 0
	s_branch .LBB7_1565
.LBB7_1558:
	s_mov_b32 s0, -1
                                        ; implicit-def: $sgpr6
	s_branch .LBB7_1571
.LBB7_1559:
	s_mov_b32 s0, -1
                                        ; implicit-def: $sgpr6
	s_branch .LBB7_1568
.LBB7_1560:
	s_mov_b32 s12, -1
	s_mov_b32 s14, exec_lo
                                        ; implicit-def: $sgpr6
	v_cmpx_eq_u16_e32 0x80, v6
; %bb.1561:
	s_mov_b32 s6, -1
	s_xor_b32 s12, exec_lo, -1
; %bb.1562:
	s_or_b32 exec_lo, exec_lo, s14
	s_delay_alu instid0(SALU_CYCLE_1)
	s_and_b32 s12, s12, exec_lo
	s_and_not1_saveexec_b32 s13, s13
	s_cbranch_execz .LBB7_1544
.LBB7_1563:
	v_cmp_ne_u16_e32 vcc_lo, 0, v6
	s_and_not1_b32 s12, s12, exec_lo
	s_and_not1_b32 s6, s6, exec_lo
	s_and_b32 s14, vcc_lo, exec_lo
	s_delay_alu instid0(SALU_CYCLE_1)
	s_or_b32 s12, s12, s14
	s_or_b32 exec_lo, exec_lo, s13
	s_and_saveexec_b32 s13, s12
	s_cbranch_execnz .LBB7_1545
	s_branch .LBB7_1546
.LBB7_1564:
	s_mov_b32 s0, -1
                                        ; implicit-def: $sgpr6
.LBB7_1565:
	s_delay_alu instid0(SALU_CYCLE_1)
	s_and_b32 vcc_lo, exec_lo, s0
	s_cbranch_vccz .LBB7_1567
; %bb.1566:
	global_load_u8 v6, v[4:5], off
	s_and_not1_b32 s6, s6, exec_lo
	s_waitcnt vmcnt(0)
	v_lshlrev_b32_e32 v6, 24, v6
	s_delay_alu instid0(VALU_DEP_1) | instskip(NEXT) | instid1(VALU_DEP_1)
	v_and_b32_e32 v6, 0x7f000000, v6
	v_clz_i32_u32_e32 v7, v6
	v_add_nc_u32_e32 v10, 0x1000000, v6
	v_cmp_ne_u32_e32 vcc_lo, 0, v6
	s_delay_alu instid0(VALU_DEP_3) | instskip(NEXT) | instid1(VALU_DEP_3)
	v_min_u32_e32 v7, 32, v7
	v_ashrrev_i32_e32 v10, 8, v10
	s_delay_alu instid0(VALU_DEP_2) | instskip(NEXT) | instid1(VALU_DEP_1)
	v_sub_nc_u32_e64 v7, v7, 4 clamp
	v_lshlrev_b32_e32 v8, v7, v6
	v_lshlrev_b32_e32 v7, 23, v7
	s_delay_alu instid0(VALU_DEP_2) | instskip(NEXT) | instid1(VALU_DEP_1)
	v_lshrrev_b32_e32 v8, 4, v8
	v_sub_nc_u32_e32 v7, v8, v7
	v_and_b32_e32 v8, 0x7f800000, v10
	s_delay_alu instid0(VALU_DEP_2) | instskip(NEXT) | instid1(VALU_DEP_1)
	v_add_nc_u32_e32 v7, 0x3c000000, v7
	v_and_or_b32 v7, 0x7ff00000, v7, v8
	s_delay_alu instid0(VALU_DEP_1) | instskip(NEXT) | instid1(VALU_DEP_1)
	v_cmp_ne_u32_e64 s0, 0, v7
	s_and_b32 s0, vcc_lo, s0
	s_delay_alu instid0(SALU_CYCLE_1) | instskip(NEXT) | instid1(SALU_CYCLE_1)
	s_and_b32 s0, s0, exec_lo
	s_or_b32 s6, s6, s0
.LBB7_1567:
	s_mov_b32 s0, 0
.LBB7_1568:
	s_delay_alu instid0(SALU_CYCLE_1)
	s_and_not1_b32 vcc_lo, exec_lo, s0
	s_cbranch_vccnz .LBB7_1570
; %bb.1569:
	global_load_u8 v6, v[4:5], off
	s_and_not1_b32 s0, s6, exec_lo
	s_waitcnt vmcnt(0)
	v_lshlrev_b32_e32 v7, 25, v6
	v_lshlrev_b32_e32 v6, 8, v6
	s_delay_alu instid0(VALU_DEP_2) | instskip(NEXT) | instid1(VALU_DEP_2)
	v_lshrrev_b32_e32 v8, 4, v7
	v_and_or_b32 v6, 0x7f00, v6, 0.5
	s_delay_alu instid0(VALU_DEP_2) | instskip(NEXT) | instid1(VALU_DEP_2)
	v_or_b32_e32 v8, 0x70000000, v8
	v_add_f32_e32 v6, -0.5, v6
	s_delay_alu instid0(VALU_DEP_2) | instskip(SKIP_1) | instid1(VALU_DEP_2)
	v_mul_f32_e32 v8, 0x7800000, v8
	v_cmp_gt_u32_e32 vcc_lo, 0x8000000, v7
	v_cndmask_b32_e32 v6, v8, v6, vcc_lo
	s_delay_alu instid0(VALU_DEP_1) | instskip(SKIP_1) | instid1(SALU_CYCLE_1)
	v_cmp_neq_f32_e32 vcc_lo, 0, v6
	s_and_b32 s6, vcc_lo, exec_lo
	s_or_b32 s6, s0, s6
.LBB7_1570:
	s_mov_b32 s0, 0
	s_mov_b32 s12, -1
.LBB7_1571:
	s_and_not1_b32 vcc_lo, exec_lo, s0
	s_mov_b32 s0, 0
	s_cbranch_vccnz .LBB7_1580
; %bb.1572:
	v_cmp_lt_i16_e32 vcc_lo, 14, v9
	s_cbranch_vccz .LBB7_1575
; %bb.1573:
	v_cmp_eq_u16_e32 vcc_lo, 15, v9
	s_cbranch_vccz .LBB7_1576
; %bb.1574:
	global_load_u16 v6, v[4:5], off
	s_mov_b32 s7, 0
	s_mov_b32 s12, -1
	s_waitcnt vmcnt(0)
	v_and_b32_e32 v6, 0x7fff, v6
	s_delay_alu instid0(VALU_DEP_1)
	v_cmp_ne_u16_e32 vcc_lo, 0, v6
	s_and_b32 s6, vcc_lo, exec_lo
	s_branch .LBB7_1578
.LBB7_1575:
	s_mov_b32 s0, -1
	s_branch .LBB7_1577
.LBB7_1576:
	s_mov_b32 s7, -1
.LBB7_1577:
                                        ; implicit-def: $sgpr6
.LBB7_1578:
	s_and_b32 vcc_lo, exec_lo, s0
	s_mov_b32 s0, 0
	s_cbranch_vccz .LBB7_1580
; %bb.1579:
	v_cmp_ne_u16_e64 s7, 11, v9
	s_mov_b32 s0, -1
	s_and_not1_b32 s6, s6, exec_lo
.LBB7_1580:
	s_delay_alu instid0(VALU_DEP_1)
	s_and_b32 vcc_lo, exec_lo, s7
	s_cbranch_vccnz .LBB7_2109
; %bb.1581:
	s_and_not1_b32 vcc_lo, exec_lo, s0
	s_cbranch_vccnz .LBB7_1583
.LBB7_1582:
	global_load_u8 v6, v[4:5], off
	s_and_not1_b32 s0, s6, exec_lo
	s_mov_b32 s12, -1
	s_waitcnt vmcnt(0)
	v_cmp_ne_u16_e32 vcc_lo, 0, v6
	s_and_b32 s6, vcc_lo, exec_lo
	s_delay_alu instid0(SALU_CYCLE_1)
	s_or_b32 s6, s0, s6
.LBB7_1583:
	s_mov_b32 s0, 0
.LBB7_1584:
	s_delay_alu instid0(SALU_CYCLE_1)
	s_and_b32 vcc_lo, exec_lo, s0
	s_cbranch_vccz .LBB7_1633
; %bb.1585:
	v_cmp_gt_i16_e32 vcc_lo, 5, v9
	s_cbranch_vccnz .LBB7_1590
; %bb.1586:
	v_cmp_gt_i16_e32 vcc_lo, 8, v9
	s_cbranch_vccnz .LBB7_1591
	;; [unrolled: 3-line block ×3, first 2 shown]
; %bb.1588:
	v_cmp_lt_i16_e32 vcc_lo, 9, v9
	s_cbranch_vccz .LBB7_1593
; %bb.1589:
	global_load_b128 v[10:13], v[4:5], off
	s_waitcnt vmcnt(0)
	v_cmp_neq_f64_e32 vcc_lo, 0, v[10:11]
	v_cmp_neq_f64_e64 s0, 0, v[12:13]
	s_delay_alu instid0(VALU_DEP_1)
	s_or_b32 s6, vcc_lo, s0
	s_mov_b32 s0, 0
	s_and_b32 s6, s6, exec_lo
	s_branch .LBB7_1594
.LBB7_1590:
	s_mov_b32 s0, -1
                                        ; implicit-def: $sgpr6
	s_branch .LBB7_1612
.LBB7_1591:
	s_mov_b32 s0, -1
                                        ; implicit-def: $sgpr6
	s_branch .LBB7_1600
.LBB7_1592:
	s_mov_b32 s0, -1
                                        ; implicit-def: $sgpr6
	s_branch .LBB7_1597
.LBB7_1593:
	s_mov_b32 s0, -1
                                        ; implicit-def: $sgpr6
.LBB7_1594:
	s_delay_alu instid0(SALU_CYCLE_1)
	s_and_not1_b32 vcc_lo, exec_lo, s0
	s_cbranch_vccnz .LBB7_1596
; %bb.1595:
	global_load_b64 v[6:7], v[4:5], off
	s_and_not1_b32 s0, s6, exec_lo
	s_waitcnt vmcnt(0)
	v_or_b32_e32 v6, v6, v7
	s_delay_alu instid0(VALU_DEP_1) | instskip(NEXT) | instid1(VALU_DEP_1)
	v_and_b32_e32 v6, 0x7fffffff, v6
	v_cmp_ne_u32_e32 vcc_lo, 0, v6
	s_and_b32 s6, vcc_lo, exec_lo
	s_delay_alu instid0(SALU_CYCLE_1)
	s_or_b32 s6, s0, s6
.LBB7_1596:
	s_mov_b32 s0, 0
.LBB7_1597:
	s_delay_alu instid0(SALU_CYCLE_1)
	s_and_not1_b32 vcc_lo, exec_lo, s0
	s_cbranch_vccnz .LBB7_1599
; %bb.1598:
	global_load_b32 v6, v[4:5], off
	s_and_not1_b32 s0, s6, exec_lo
	s_waitcnt vmcnt(0)
	v_and_b32_e32 v6, 0x7fff7fff, v6
	s_delay_alu instid0(VALU_DEP_1) | instskip(SKIP_1) | instid1(SALU_CYCLE_1)
	v_cmp_ne_u32_e32 vcc_lo, 0, v6
	s_and_b32 s6, vcc_lo, exec_lo
	s_or_b32 s6, s0, s6
.LBB7_1599:
	s_mov_b32 s0, 0
.LBB7_1600:
	s_delay_alu instid0(SALU_CYCLE_1)
	s_and_not1_b32 vcc_lo, exec_lo, s0
	s_cbranch_vccnz .LBB7_1611
; %bb.1601:
	v_cmp_gt_i16_e32 vcc_lo, 6, v9
	s_cbranch_vccnz .LBB7_1604
; %bb.1602:
	v_cmp_lt_i16_e32 vcc_lo, 6, v9
	s_cbranch_vccz .LBB7_1605
; %bb.1603:
	global_load_b64 v[6:7], v[4:5], off
	s_mov_b32 s0, 0
	s_waitcnt vmcnt(0)
	v_cmp_neq_f64_e32 vcc_lo, 0, v[6:7]
	s_and_b32 s6, vcc_lo, exec_lo
	s_branch .LBB7_1606
.LBB7_1604:
	s_mov_b32 s0, -1
                                        ; implicit-def: $sgpr6
	s_branch .LBB7_1609
.LBB7_1605:
	s_mov_b32 s0, -1
                                        ; implicit-def: $sgpr6
.LBB7_1606:
	s_delay_alu instid0(SALU_CYCLE_1)
	s_and_not1_b32 vcc_lo, exec_lo, s0
	s_cbranch_vccnz .LBB7_1608
; %bb.1607:
	global_load_b32 v6, v[4:5], off
	s_and_not1_b32 s0, s6, exec_lo
	s_waitcnt vmcnt(0)
	v_cmp_neq_f32_e32 vcc_lo, 0, v6
	s_and_b32 s6, vcc_lo, exec_lo
	s_delay_alu instid0(SALU_CYCLE_1)
	s_or_b32 s6, s0, s6
.LBB7_1608:
	s_mov_b32 s0, 0
.LBB7_1609:
	s_delay_alu instid0(SALU_CYCLE_1)
	s_and_not1_b32 vcc_lo, exec_lo, s0
	s_cbranch_vccnz .LBB7_1611
; %bb.1610:
	global_load_u16 v6, v[4:5], off
	s_and_not1_b32 s0, s6, exec_lo
	s_waitcnt vmcnt(0)
	v_and_b32_e32 v6, 0x7fff, v6
	s_delay_alu instid0(VALU_DEP_1) | instskip(SKIP_1) | instid1(SALU_CYCLE_1)
	v_cmp_ne_u16_e32 vcc_lo, 0, v6
	s_and_b32 s6, vcc_lo, exec_lo
	s_or_b32 s6, s0, s6
.LBB7_1611:
	s_mov_b32 s0, 0
.LBB7_1612:
	s_delay_alu instid0(SALU_CYCLE_1)
	s_and_not1_b32 vcc_lo, exec_lo, s0
	s_cbranch_vccnz .LBB7_1632
; %bb.1613:
	v_cmp_gt_i16_e32 vcc_lo, 2, v9
	s_cbranch_vccnz .LBB7_1617
; %bb.1614:
	v_cmp_gt_i16_e32 vcc_lo, 3, v9
	s_cbranch_vccnz .LBB7_1618
; %bb.1615:
	v_cmp_lt_i16_e32 vcc_lo, 3, v9
	s_cbranch_vccz .LBB7_1619
; %bb.1616:
	global_load_b64 v[6:7], v[4:5], off
	s_mov_b32 s0, 0
	s_waitcnt vmcnt(0)
	v_cmp_ne_u64_e32 vcc_lo, 0, v[6:7]
	s_and_b32 s6, vcc_lo, exec_lo
	s_branch .LBB7_1620
.LBB7_1617:
	s_mov_b32 s0, -1
                                        ; implicit-def: $sgpr6
	s_branch .LBB7_1626
.LBB7_1618:
	s_mov_b32 s0, -1
                                        ; implicit-def: $sgpr6
	s_branch .LBB7_1623
.LBB7_1619:
	s_mov_b32 s0, -1
                                        ; implicit-def: $sgpr6
.LBB7_1620:
	s_delay_alu instid0(SALU_CYCLE_1)
	s_and_not1_b32 vcc_lo, exec_lo, s0
	s_cbranch_vccnz .LBB7_1622
; %bb.1621:
	global_load_b32 v6, v[4:5], off
	s_and_not1_b32 s0, s6, exec_lo
	s_waitcnt vmcnt(0)
	v_cmp_ne_u32_e32 vcc_lo, 0, v6
	s_and_b32 s6, vcc_lo, exec_lo
	s_delay_alu instid0(SALU_CYCLE_1)
	s_or_b32 s6, s0, s6
.LBB7_1622:
	s_mov_b32 s0, 0
.LBB7_1623:
	s_delay_alu instid0(SALU_CYCLE_1)
	s_and_not1_b32 vcc_lo, exec_lo, s0
	s_cbranch_vccnz .LBB7_1625
; %bb.1624:
	global_load_u16 v6, v[4:5], off
	s_and_not1_b32 s0, s6, exec_lo
	s_waitcnt vmcnt(0)
	v_cmp_ne_u16_e32 vcc_lo, 0, v6
	s_and_b32 s6, vcc_lo, exec_lo
	s_delay_alu instid0(SALU_CYCLE_1)
	s_or_b32 s6, s0, s6
.LBB7_1625:
	s_mov_b32 s0, 0
.LBB7_1626:
	s_delay_alu instid0(SALU_CYCLE_1)
	s_and_not1_b32 vcc_lo, exec_lo, s0
	s_cbranch_vccnz .LBB7_1632
; %bb.1627:
	v_cmp_lt_i16_e32 vcc_lo, 0, v9
	s_mov_b32 s0, 0
	s_cbranch_vccz .LBB7_1629
; %bb.1628:
	global_load_u8 v6, v[4:5], off
	s_waitcnt vmcnt(0)
	v_cmp_ne_u16_e32 vcc_lo, 0, v6
	s_and_b32 s6, vcc_lo, exec_lo
	s_branch .LBB7_1630
.LBB7_1629:
	s_mov_b32 s0, -1
                                        ; implicit-def: $sgpr6
.LBB7_1630:
	s_delay_alu instid0(SALU_CYCLE_1)
	s_and_not1_b32 vcc_lo, exec_lo, s0
	s_cbranch_vccnz .LBB7_1632
; %bb.1631:
	global_load_u8 v4, v[4:5], off
	s_and_not1_b32 s0, s6, exec_lo
	s_waitcnt vmcnt(0)
	v_cmp_ne_u16_e32 vcc_lo, 0, v4
	s_and_b32 s6, vcc_lo, exec_lo
	s_delay_alu instid0(SALU_CYCLE_1)
	s_or_b32 s6, s0, s6
.LBB7_1632:
	s_mov_b32 s12, -1
.LBB7_1633:
	s_delay_alu instid0(SALU_CYCLE_1)
	s_and_not1_b32 vcc_lo, exec_lo, s12
	s_cbranch_vccnz .LBB7_2064
; %bb.1634:
	s_lshr_b32 s0, s2, 8
	s_xor_b32 s2, s3, -1
	v_and_b32_e64 v6, 0xff, s0
	v_add_co_u32 v3, s3, s4, v3
	s_delay_alu instid0(VALU_DEP_1) | instskip(NEXT) | instid1(VALU_DEP_3)
	v_add_co_ci_u32_e64 v4, null, s5, 0, s3
	v_cmp_gt_i16_e32 vcc_lo, 11, v6
	s_mov_b32 s0, -1
	s_mov_b32 s7, 0
	s_cbranch_vccnz .LBB7_1712
; %bb.1635:
	v_cmp_lt_i16_e32 vcc_lo, 25, v6
	s_mov_b32 s12, -1
	s_mov_b32 s3, 0
	s_mov_b32 s0, 0
	s_cbranch_vccz .LBB7_1668
; %bb.1636:
	v_cmp_lt_i16_e32 vcc_lo, 28, v6
	s_cbranch_vccz .LBB7_1651
; %bb.1637:
	v_cmp_lt_i16_e32 vcc_lo, 43, v6
	;; [unrolled: 3-line block ×3, first 2 shown]
	s_cbranch_vccz .LBB7_1641
; %bb.1639:
	v_cmp_eq_u16_e32 vcc_lo, 46, v6
	s_mov_b32 s0, -1
	s_mov_b32 s12, 0
	s_cbranch_vccz .LBB7_1641
; %bb.1640:
	v_cndmask_b32_e64 v5, 0, 1.0, s2
	s_mov_b32 s0, 0
	s_mov_b32 s7, -1
	s_delay_alu instid0(VALU_DEP_1) | instskip(NEXT) | instid1(VALU_DEP_1)
	v_bfe_u32 v7, v5, 16, 1
	v_add3_u32 v5, v5, v7, 0x7fff
	s_delay_alu instid0(VALU_DEP_1)
	v_lshrrev_b32_e32 v5, 16, v5
	global_store_b32 v[3:4], v5, off
.LBB7_1641:
	s_and_b32 vcc_lo, exec_lo, s12
	s_cbranch_vccz .LBB7_1646
; %bb.1642:
	v_cmp_eq_u16_e32 vcc_lo, 44, v6
	s_mov_b32 s0, -1
	s_cbranch_vccz .LBB7_1646
; %bb.1643:
	v_cndmask_b32_e64 v8, 0, 1.0, s2
	v_mov_b32_e32 v7, 0xff
	s_mov_b32 s7, exec_lo
	s_delay_alu instid0(VALU_DEP_2) | instskip(NEXT) | instid1(VALU_DEP_1)
	v_lshrrev_b32_e32 v5, 23, v8
	v_cmpx_ne_u32_e32 0xff, v5
; %bb.1644:
	v_and_b32_e32 v7, 0x400000, v8
	v_and_or_b32 v8, 0x3fffff, v8, v5
	s_delay_alu instid0(VALU_DEP_2) | instskip(NEXT) | instid1(VALU_DEP_2)
	v_cmp_ne_u32_e32 vcc_lo, 0, v7
	v_cmp_ne_u32_e64 s0, 0, v8
	s_delay_alu instid0(VALU_DEP_1) | instskip(NEXT) | instid1(SALU_CYCLE_1)
	s_and_b32 s0, vcc_lo, s0
	v_cndmask_b32_e64 v7, 0, 1, s0
	s_delay_alu instid0(VALU_DEP_1)
	v_add_nc_u32_e32 v7, v5, v7
; %bb.1645:
	s_or_b32 exec_lo, exec_lo, s7
	s_mov_b32 s0, 0
	s_mov_b32 s7, -1
	global_store_b8 v[3:4], v7, off
.LBB7_1646:
	s_mov_b32 s12, 0
.LBB7_1647:
	s_delay_alu instid0(SALU_CYCLE_1)
	s_and_b32 vcc_lo, exec_lo, s12
	s_cbranch_vccz .LBB7_1650
; %bb.1648:
	v_cmp_eq_u16_e32 vcc_lo, 29, v6
	s_mov_b32 s0, -1
	s_cbranch_vccz .LBB7_1650
; %bb.1649:
	s_mov_b32 s0, 0
	v_cndmask_b32_e64 v7, 0, 1, s2
	v_mov_b32_e32 v8, s0
	s_mov_b32 s7, -1
	global_store_b64 v[3:4], v[7:8], off
.LBB7_1650:
	s_mov_b32 s12, 0
.LBB7_1651:
	s_delay_alu instid0(SALU_CYCLE_1)
	s_and_b32 vcc_lo, exec_lo, s12
	s_cbranch_vccz .LBB7_1667
; %bb.1652:
	v_cmp_gt_i16_e32 vcc_lo, 27, v6
	s_mov_b32 s7, -1
	s_cbranch_vccnz .LBB7_1658
; %bb.1653:
	v_cmp_lt_i16_e32 vcc_lo, 27, v6
	s_cbranch_vccz .LBB7_1655
; %bb.1654:
	v_cndmask_b32_e64 v5, 0, 1, s2
	s_mov_b32 s7, 0
	global_store_b32 v[3:4], v5, off
.LBB7_1655:
	s_and_not1_b32 vcc_lo, exec_lo, s7
	s_cbranch_vccnz .LBB7_1657
; %bb.1656:
	v_cndmask_b32_e64 v5, 0, 1, s2
	global_store_b16 v[3:4], v5, off
.LBB7_1657:
	s_mov_b32 s7, 0
.LBB7_1658:
	s_delay_alu instid0(SALU_CYCLE_1)
	s_and_not1_b32 vcc_lo, exec_lo, s7
	s_cbranch_vccnz .LBB7_1666
; %bb.1659:
	v_cndmask_b32_e64 v7, 0, 1.0, s2
	v_mov_b32_e32 v8, 0x80
	s_mov_b32 s7, exec_lo
	s_delay_alu instid0(VALU_DEP_2)
	v_cmpx_gt_u32_e32 0x43800000, v7
	s_cbranch_execz .LBB7_1665
; %bb.1660:
	s_mov_b32 s12, 0
	s_mov_b32 s13, exec_lo
                                        ; implicit-def: $vgpr5
	v_cmpx_lt_u32_e32 0x3bffffff, v7
	s_xor_b32 s13, exec_lo, s13
	s_cbranch_execnz .LBB7_2123
; %bb.1661:
	s_or_saveexec_b32 s13, s13
                                        ; implicit-def: $sgpr14
	s_delay_alu instid0(SALU_CYCLE_1)
	s_xor_b32 exec_lo, exec_lo, s13
	s_cbranch_execnz .LBB7_2124
.LBB7_1662:
	s_or_b32 exec_lo, exec_lo, s13
	v_mov_b32_e32 v8, s14
	s_and_saveexec_b32 s13, s12
.LBB7_1663:
	v_mov_b32_e32 v8, v5
.LBB7_1664:
	s_or_b32 exec_lo, exec_lo, s13
.LBB7_1665:
	s_delay_alu instid0(SALU_CYCLE_1)
	s_or_b32 exec_lo, exec_lo, s7
	global_store_b8 v[3:4], v8, off
.LBB7_1666:
	s_mov_b32 s7, -1
.LBB7_1667:
	s_mov_b32 s12, 0
.LBB7_1668:
	s_delay_alu instid0(SALU_CYCLE_1)
	s_and_b32 vcc_lo, exec_lo, s12
	s_cbranch_vccz .LBB7_1708
; %bb.1669:
	v_cmp_lt_i16_e32 vcc_lo, 22, v6
	s_mov_b32 s3, -1
	s_cbranch_vccz .LBB7_1701
; %bb.1670:
	v_cmp_gt_i16_e32 vcc_lo, 24, v6
	s_cbranch_vccnz .LBB7_1690
; %bb.1671:
	v_cmp_lt_i16_e32 vcc_lo, 24, v6
	s_cbranch_vccz .LBB7_1679
; %bb.1672:
	v_cndmask_b32_e64 v7, 0, 1.0, s2
	v_mov_b32_e32 v8, 0x80
	s_mov_b32 s3, exec_lo
	s_delay_alu instid0(VALU_DEP_2)
	v_cmpx_gt_u32_e32 0x47800000, v7
	s_cbranch_execz .LBB7_1678
; %bb.1673:
	s_mov_b32 s7, 0
	s_mov_b32 s12, exec_lo
                                        ; implicit-def: $vgpr5
	v_cmpx_lt_u32_e32 0x37ffffff, v7
	s_xor_b32 s12, exec_lo, s12
	s_cbranch_execnz .LBB7_2131
; %bb.1674:
	s_or_saveexec_b32 s12, s12
                                        ; implicit-def: $sgpr13
	s_delay_alu instid0(SALU_CYCLE_1)
	s_xor_b32 exec_lo, exec_lo, s12
	s_cbranch_execnz .LBB7_2132
.LBB7_1675:
	s_or_b32 exec_lo, exec_lo, s12
	v_mov_b32_e32 v8, s13
	s_and_saveexec_b32 s12, s7
.LBB7_1676:
	v_mov_b32_e32 v8, v5
.LBB7_1677:
	s_or_b32 exec_lo, exec_lo, s12
.LBB7_1678:
	s_delay_alu instid0(SALU_CYCLE_1)
	s_or_b32 exec_lo, exec_lo, s3
	s_mov_b32 s3, 0
	global_store_b8 v[3:4], v8, off
.LBB7_1679:
	s_and_b32 vcc_lo, exec_lo, s3
	s_cbranch_vccz .LBB7_1689
; %bb.1680:
	v_cndmask_b32_e64 v7, 0, 1.0, s2
	s_mov_b32 s3, exec_lo
                                        ; implicit-def: $vgpr5
	s_delay_alu instid0(VALU_DEP_1)
	v_cmpx_gt_u32_e32 0x43f00000, v7
	s_xor_b32 s3, exec_lo, s3
	s_cbranch_execz .LBB7_1686
; %bb.1681:
	s_mov_b32 s7, exec_lo
                                        ; implicit-def: $vgpr5
	v_cmpx_lt_u32_e32 0x3c7fffff, v7
	s_xor_b32 s7, exec_lo, s7
; %bb.1682:
	v_bfe_u32 v5, v7, 20, 1
	s_delay_alu instid0(VALU_DEP_1) | instskip(NEXT) | instid1(VALU_DEP_1)
	v_add3_u32 v5, v7, v5, 0x407ffff
	v_and_b32_e32 v7, 0xff00000, v5
	v_lshrrev_b32_e32 v5, 20, v5
	s_delay_alu instid0(VALU_DEP_2) | instskip(NEXT) | instid1(VALU_DEP_2)
	v_cmp_ne_u32_e32 vcc_lo, 0x7f00000, v7
                                        ; implicit-def: $vgpr7
	v_cndmask_b32_e32 v5, 0x7e, v5, vcc_lo
; %bb.1683:
	s_and_not1_saveexec_b32 s7, s7
; %bb.1684:
	v_add_f32_e32 v5, 0x46800000, v7
; %bb.1685:
	s_or_b32 exec_lo, exec_lo, s7
                                        ; implicit-def: $vgpr7
.LBB7_1686:
	s_and_not1_saveexec_b32 s3, s3
; %bb.1687:
	v_mov_b32_e32 v5, 0x7f
	v_cmp_lt_u32_e32 vcc_lo, 0x7f800000, v7
	s_delay_alu instid0(VALU_DEP_2)
	v_cndmask_b32_e32 v5, 0x7e, v5, vcc_lo
; %bb.1688:
	s_or_b32 exec_lo, exec_lo, s3
	global_store_b8 v[3:4], v5, off
.LBB7_1689:
	s_mov_b32 s3, 0
.LBB7_1690:
	s_delay_alu instid0(SALU_CYCLE_1)
	s_and_not1_b32 vcc_lo, exec_lo, s3
	s_cbranch_vccnz .LBB7_1700
; %bb.1691:
	v_cndmask_b32_e64 v7, 0, 1.0, s2
	s_mov_b32 s3, exec_lo
                                        ; implicit-def: $vgpr5
	s_delay_alu instid0(VALU_DEP_1)
	v_cmpx_gt_u32_e32 0x47800000, v7
	s_xor_b32 s3, exec_lo, s3
	s_cbranch_execz .LBB7_1697
; %bb.1692:
	s_mov_b32 s7, exec_lo
                                        ; implicit-def: $vgpr5
	v_cmpx_lt_u32_e32 0x387fffff, v7
	s_xor_b32 s7, exec_lo, s7
; %bb.1693:
	v_bfe_u32 v5, v7, 21, 1
	s_delay_alu instid0(VALU_DEP_1) | instskip(NEXT) | instid1(VALU_DEP_1)
	v_add3_u32 v5, v7, v5, 0x80fffff
                                        ; implicit-def: $vgpr7
	v_lshrrev_b32_e32 v5, 21, v5
; %bb.1694:
	s_and_not1_saveexec_b32 s7, s7
; %bb.1695:
	v_add_f32_e32 v5, 0x43000000, v7
; %bb.1696:
	s_or_b32 exec_lo, exec_lo, s7
                                        ; implicit-def: $vgpr7
.LBB7_1697:
	s_and_not1_saveexec_b32 s3, s3
; %bb.1698:
	v_mov_b32_e32 v5, 0x7f
	v_cmp_lt_u32_e32 vcc_lo, 0x7f800000, v7
	s_delay_alu instid0(VALU_DEP_2)
	v_cndmask_b32_e32 v5, 0x7c, v5, vcc_lo
; %bb.1699:
	s_or_b32 exec_lo, exec_lo, s3
	global_store_b8 v[3:4], v5, off
.LBB7_1700:
	s_mov_b32 s3, 0
	s_mov_b32 s7, -1
.LBB7_1701:
	s_and_not1_b32 vcc_lo, exec_lo, s3
	s_mov_b32 s3, 0
	s_cbranch_vccnz .LBB7_1708
; %bb.1702:
	v_cmp_lt_i16_e32 vcc_lo, 14, v6
	s_mov_b32 s3, -1
	s_cbranch_vccz .LBB7_1706
; %bb.1703:
	v_cmp_eq_u16_e32 vcc_lo, 15, v6
	s_mov_b32 s0, -1
	s_cbranch_vccz .LBB7_1705
; %bb.1704:
	v_cndmask_b32_e64 v5, 0, 1.0, s2
	s_mov_b32 s0, 0
	s_mov_b32 s7, -1
	s_delay_alu instid0(VALU_DEP_1) | instskip(NEXT) | instid1(VALU_DEP_1)
	v_bfe_u32 v7, v5, 16, 1
	v_add3_u32 v5, v5, v7, 0x7fff
	global_store_d16_hi_b16 v[3:4], v5, off
.LBB7_1705:
	s_mov_b32 s3, 0
.LBB7_1706:
	s_delay_alu instid0(SALU_CYCLE_1)
	s_and_b32 vcc_lo, exec_lo, s3
	s_mov_b32 s3, 0
	s_cbranch_vccz .LBB7_1708
; %bb.1707:
	v_cmp_ne_u16_e64 s0, 11, v6
	s_mov_b32 s3, -1
.LBB7_1708:
	s_delay_alu instid0(VALU_DEP_1)
	s_and_b32 vcc_lo, exec_lo, s0
	s_cbranch_vccnz .LBB7_2117
; %bb.1709:
	s_and_not1_b32 vcc_lo, exec_lo, s3
	s_cbranch_vccnz .LBB7_1711
.LBB7_1710:
	v_cndmask_b32_e64 v5, 0, 1, s2
	s_mov_b32 s7, -1
	global_store_b8 v[3:4], v5, off
.LBB7_1711:
	s_mov_b32 s0, 0
.LBB7_1712:
	s_delay_alu instid0(SALU_CYCLE_1)
	s_and_b32 vcc_lo, exec_lo, s0
	s_cbranch_vccz .LBB7_1751
; %bb.1713:
	v_cmp_gt_i16_e32 vcc_lo, 5, v6
	s_mov_b32 s0, -1
	s_cbranch_vccnz .LBB7_1734
; %bb.1714:
	v_cmp_gt_i16_e32 vcc_lo, 8, v6
	s_cbranch_vccnz .LBB7_1724
; %bb.1715:
	v_cmp_gt_i16_e32 vcc_lo, 9, v6
	s_cbranch_vccnz .LBB7_1721
; %bb.1716:
	v_cmp_lt_i16_e32 vcc_lo, 9, v6
	s_cbranch_vccz .LBB7_1718
; %bb.1717:
	v_cndmask_b32_e64 v5, 0, 1, s2
	v_mov_b32_e32 v9, 0
	s_mov_b32 s0, 0
	s_delay_alu instid0(VALU_DEP_2) | instskip(NEXT) | instid1(VALU_DEP_2)
	v_cvt_f64_u32_e32 v[7:8], v5
	v_mov_b32_e32 v10, v9
	global_store_b128 v[3:4], v[7:10], off
.LBB7_1718:
	s_and_not1_b32 vcc_lo, exec_lo, s0
	s_cbranch_vccnz .LBB7_1720
; %bb.1719:
	v_cndmask_b32_e64 v7, 0, 1.0, s2
	v_mov_b32_e32 v8, 0
	global_store_b64 v[3:4], v[7:8], off
.LBB7_1720:
	s_mov_b32 s0, 0
.LBB7_1721:
	s_delay_alu instid0(SALU_CYCLE_1)
	s_and_not1_b32 vcc_lo, exec_lo, s0
	s_cbranch_vccnz .LBB7_1723
; %bb.1722:
	v_cndmask_b32_e64 v5, 0, 1.0, s2
	s_delay_alu instid0(VALU_DEP_1) | instskip(NEXT) | instid1(VALU_DEP_1)
	v_cvt_f16_f32_e32 v5, v5
	v_and_b32_e32 v5, 0xffff, v5
	global_store_b32 v[3:4], v5, off
.LBB7_1723:
	s_mov_b32 s0, 0
.LBB7_1724:
	s_delay_alu instid0(SALU_CYCLE_1)
	s_and_not1_b32 vcc_lo, exec_lo, s0
	s_cbranch_vccnz .LBB7_1733
; %bb.1725:
	v_cmp_gt_i16_e32 vcc_lo, 6, v6
	s_mov_b32 s0, -1
	s_cbranch_vccnz .LBB7_1731
; %bb.1726:
	v_cmp_lt_i16_e32 vcc_lo, 6, v6
	s_cbranch_vccz .LBB7_1728
; %bb.1727:
	v_cndmask_b32_e64 v5, 0, 1, s2
	s_mov_b32 s0, 0
	s_delay_alu instid0(VALU_DEP_1)
	v_cvt_f64_u32_e32 v[7:8], v5
	global_store_b64 v[3:4], v[7:8], off
.LBB7_1728:
	s_and_not1_b32 vcc_lo, exec_lo, s0
	s_cbranch_vccnz .LBB7_1730
; %bb.1729:
	v_cndmask_b32_e64 v5, 0, 1.0, s2
	global_store_b32 v[3:4], v5, off
.LBB7_1730:
	s_mov_b32 s0, 0
.LBB7_1731:
	s_delay_alu instid0(SALU_CYCLE_1)
	s_and_not1_b32 vcc_lo, exec_lo, s0
	s_cbranch_vccnz .LBB7_1733
; %bb.1732:
	v_cndmask_b32_e64 v5, 0, 1.0, s2
	s_delay_alu instid0(VALU_DEP_1)
	v_cvt_f16_f32_e32 v5, v5
	global_store_b16 v[3:4], v5, off
.LBB7_1733:
	s_mov_b32 s0, 0
.LBB7_1734:
	s_delay_alu instid0(SALU_CYCLE_1)
	s_and_not1_b32 vcc_lo, exec_lo, s0
	s_cbranch_vccnz .LBB7_1750
; %bb.1735:
	v_cmp_gt_i16_e32 vcc_lo, 2, v6
	s_mov_b32 s0, -1
	s_cbranch_vccnz .LBB7_1745
; %bb.1736:
	v_cmp_gt_i16_e32 vcc_lo, 3, v6
	s_cbranch_vccnz .LBB7_1742
; %bb.1737:
	v_cmp_lt_i16_e32 vcc_lo, 3, v6
	s_cbranch_vccz .LBB7_1739
; %bb.1738:
	s_mov_b32 s0, 0
	v_cndmask_b32_e64 v7, 0, 1, s2
	v_mov_b32_e32 v8, s0
	global_store_b64 v[3:4], v[7:8], off
.LBB7_1739:
	s_and_not1_b32 vcc_lo, exec_lo, s0
	s_cbranch_vccnz .LBB7_1741
; %bb.1740:
	v_cndmask_b32_e64 v5, 0, 1, s2
	global_store_b32 v[3:4], v5, off
.LBB7_1741:
	s_mov_b32 s0, 0
.LBB7_1742:
	s_delay_alu instid0(SALU_CYCLE_1)
	s_and_not1_b32 vcc_lo, exec_lo, s0
	s_cbranch_vccnz .LBB7_1744
; %bb.1743:
	v_cndmask_b32_e64 v5, 0, 1, s2
	global_store_b16 v[3:4], v5, off
.LBB7_1744:
	s_mov_b32 s0, 0
.LBB7_1745:
	s_delay_alu instid0(SALU_CYCLE_1)
	s_and_not1_b32 vcc_lo, exec_lo, s0
	s_cbranch_vccnz .LBB7_1750
; %bb.1746:
	v_cmp_lt_i16_e32 vcc_lo, 0, v6
	s_mov_b32 s0, -1
	s_cbranch_vccz .LBB7_1748
; %bb.1747:
	v_cndmask_b32_e64 v5, 0, 1, s2
	s_mov_b32 s0, 0
	global_store_b8 v[3:4], v5, off
.LBB7_1748:
	s_and_not1_b32 vcc_lo, exec_lo, s0
	s_cbranch_vccnz .LBB7_1750
; %bb.1749:
	v_cndmask_b32_e64 v5, 0, 1, s2
	global_store_b8 v[3:4], v5, off
.LBB7_1750:
	s_mov_b32 s7, -1
.LBB7_1751:
	s_delay_alu instid0(SALU_CYCLE_1)
	s_and_not1_b32 vcc_lo, exec_lo, s7
	s_cbranch_vccnz .LBB7_2064
; %bb.1752:
	v_cmp_gt_i16_e32 vcc_lo, 11, v6
	v_add_co_u32 v2, s3, s4, v2
	s_delay_alu instid0(VALU_DEP_1)
	v_add_co_ci_u32_e64 v3, null, s5, 0, s3
	s_mov_b32 s0, -1
	s_xor_b32 s2, s10, -1
	s_mov_b32 s7, 0
	s_cbranch_vccnz .LBB7_1830
; %bb.1753:
	v_cmp_lt_i16_e32 vcc_lo, 25, v6
	s_mov_b32 s10, -1
	s_mov_b32 s3, 0
	s_mov_b32 s0, 0
	s_cbranch_vccz .LBB7_1786
; %bb.1754:
	v_cmp_lt_i16_e32 vcc_lo, 28, v6
	s_cbranch_vccz .LBB7_1769
; %bb.1755:
	v_cmp_lt_i16_e32 vcc_lo, 43, v6
	;; [unrolled: 3-line block ×3, first 2 shown]
	s_cbranch_vccz .LBB7_1759
; %bb.1757:
	v_cmp_eq_u16_e32 vcc_lo, 46, v6
	s_mov_b32 s0, -1
	s_mov_b32 s10, 0
	s_cbranch_vccz .LBB7_1759
; %bb.1758:
	v_cndmask_b32_e64 v4, 0, 1.0, s2
	s_mov_b32 s0, 0
	s_mov_b32 s7, -1
	s_delay_alu instid0(VALU_DEP_1) | instskip(NEXT) | instid1(VALU_DEP_1)
	v_bfe_u32 v5, v4, 16, 1
	v_add3_u32 v4, v4, v5, 0x7fff
	s_delay_alu instid0(VALU_DEP_1)
	v_lshrrev_b32_e32 v4, 16, v4
	global_store_b32 v[2:3], v4, off
.LBB7_1759:
	s_and_b32 vcc_lo, exec_lo, s10
	s_cbranch_vccz .LBB7_1764
; %bb.1760:
	v_cmp_eq_u16_e32 vcc_lo, 44, v6
	s_mov_b32 s0, -1
	s_cbranch_vccz .LBB7_1764
; %bb.1761:
	v_cndmask_b32_e64 v7, 0, 1.0, s2
	v_mov_b32_e32 v5, 0xff
	s_mov_b32 s7, exec_lo
	s_delay_alu instid0(VALU_DEP_2) | instskip(NEXT) | instid1(VALU_DEP_1)
	v_lshrrev_b32_e32 v4, 23, v7
	v_cmpx_ne_u32_e32 0xff, v4
; %bb.1762:
	v_and_b32_e32 v5, 0x400000, v7
	v_and_or_b32 v7, 0x3fffff, v7, v4
	s_delay_alu instid0(VALU_DEP_2) | instskip(NEXT) | instid1(VALU_DEP_2)
	v_cmp_ne_u32_e32 vcc_lo, 0, v5
	v_cmp_ne_u32_e64 s0, 0, v7
	s_delay_alu instid0(VALU_DEP_1) | instskip(NEXT) | instid1(SALU_CYCLE_1)
	s_and_b32 s0, vcc_lo, s0
	v_cndmask_b32_e64 v5, 0, 1, s0
	s_delay_alu instid0(VALU_DEP_1)
	v_add_nc_u32_e32 v5, v4, v5
; %bb.1763:
	s_or_b32 exec_lo, exec_lo, s7
	s_mov_b32 s0, 0
	s_mov_b32 s7, -1
	global_store_b8 v[2:3], v5, off
.LBB7_1764:
	s_mov_b32 s10, 0
.LBB7_1765:
	s_delay_alu instid0(SALU_CYCLE_1)
	s_and_b32 vcc_lo, exec_lo, s10
	s_cbranch_vccz .LBB7_1768
; %bb.1766:
	v_cmp_eq_u16_e32 vcc_lo, 29, v6
	s_mov_b32 s0, -1
	s_cbranch_vccz .LBB7_1768
; %bb.1767:
	s_mov_b32 s0, 0
	v_cndmask_b32_e64 v4, 0, 1, s2
	v_mov_b32_e32 v5, s0
	s_mov_b32 s7, -1
	global_store_b64 v[2:3], v[4:5], off
.LBB7_1768:
	s_mov_b32 s10, 0
.LBB7_1769:
	s_delay_alu instid0(SALU_CYCLE_1)
	s_and_b32 vcc_lo, exec_lo, s10
	s_cbranch_vccz .LBB7_1785
; %bb.1770:
	v_cmp_gt_i16_e32 vcc_lo, 27, v6
	s_mov_b32 s7, -1
	s_cbranch_vccnz .LBB7_1776
; %bb.1771:
	v_cmp_lt_i16_e32 vcc_lo, 27, v6
	s_cbranch_vccz .LBB7_1773
; %bb.1772:
	v_cndmask_b32_e64 v4, 0, 1, s2
	s_mov_b32 s7, 0
	global_store_b32 v[2:3], v4, off
.LBB7_1773:
	s_and_not1_b32 vcc_lo, exec_lo, s7
	s_cbranch_vccnz .LBB7_1775
; %bb.1774:
	v_cndmask_b32_e64 v4, 0, 1, s2
	global_store_b16 v[2:3], v4, off
.LBB7_1775:
	s_mov_b32 s7, 0
.LBB7_1776:
	s_delay_alu instid0(SALU_CYCLE_1)
	s_and_not1_b32 vcc_lo, exec_lo, s7
	s_cbranch_vccnz .LBB7_1784
; %bb.1777:
	v_cndmask_b32_e64 v5, 0, 1.0, s2
	v_mov_b32_e32 v7, 0x80
	s_mov_b32 s7, exec_lo
	s_delay_alu instid0(VALU_DEP_2)
	v_cmpx_gt_u32_e32 0x43800000, v5
	s_cbranch_execz .LBB7_1783
; %bb.1778:
	s_mov_b32 s10, 0
	s_mov_b32 s12, exec_lo
                                        ; implicit-def: $vgpr4
	v_cmpx_lt_u32_e32 0x3bffffff, v5
	s_xor_b32 s12, exec_lo, s12
	s_cbranch_execnz .LBB7_2133
; %bb.1779:
	s_or_saveexec_b32 s12, s12
                                        ; implicit-def: $sgpr13
	s_delay_alu instid0(SALU_CYCLE_1)
	s_xor_b32 exec_lo, exec_lo, s12
	s_cbranch_execnz .LBB7_2134
.LBB7_1780:
	s_or_b32 exec_lo, exec_lo, s12
	v_mov_b32_e32 v7, s13
	s_and_saveexec_b32 s12, s10
.LBB7_1781:
	v_mov_b32_e32 v7, v4
.LBB7_1782:
	s_or_b32 exec_lo, exec_lo, s12
.LBB7_1783:
	s_delay_alu instid0(SALU_CYCLE_1)
	s_or_b32 exec_lo, exec_lo, s7
	global_store_b8 v[2:3], v7, off
.LBB7_1784:
	s_mov_b32 s7, -1
.LBB7_1785:
	s_mov_b32 s10, 0
.LBB7_1786:
	s_delay_alu instid0(SALU_CYCLE_1)
	s_and_b32 vcc_lo, exec_lo, s10
	s_cbranch_vccz .LBB7_1826
; %bb.1787:
	v_cmp_lt_i16_e32 vcc_lo, 22, v6
	s_mov_b32 s3, -1
	s_cbranch_vccz .LBB7_1819
; %bb.1788:
	v_cmp_gt_i16_e32 vcc_lo, 24, v6
	s_cbranch_vccnz .LBB7_1808
; %bb.1789:
	v_cmp_lt_i16_e32 vcc_lo, 24, v6
	s_cbranch_vccz .LBB7_1797
; %bb.1790:
	v_cndmask_b32_e64 v5, 0, 1.0, s2
	v_mov_b32_e32 v7, 0x80
	s_mov_b32 s3, exec_lo
	s_delay_alu instid0(VALU_DEP_2)
	v_cmpx_gt_u32_e32 0x47800000, v5
	s_cbranch_execz .LBB7_1796
; %bb.1791:
	s_mov_b32 s7, 0
	s_mov_b32 s10, exec_lo
                                        ; implicit-def: $vgpr4
	v_cmpx_lt_u32_e32 0x37ffffff, v5
	s_xor_b32 s10, exec_lo, s10
	s_cbranch_execnz .LBB7_2139
; %bb.1792:
	s_or_saveexec_b32 s10, s10
                                        ; implicit-def: $sgpr12
	s_delay_alu instid0(SALU_CYCLE_1)
	s_xor_b32 exec_lo, exec_lo, s10
	s_cbranch_execnz .LBB7_2140
.LBB7_1793:
	s_or_b32 exec_lo, exec_lo, s10
	v_mov_b32_e32 v7, s12
	s_and_saveexec_b32 s10, s7
.LBB7_1794:
	v_mov_b32_e32 v7, v4
.LBB7_1795:
	s_or_b32 exec_lo, exec_lo, s10
.LBB7_1796:
	s_delay_alu instid0(SALU_CYCLE_1)
	s_or_b32 exec_lo, exec_lo, s3
	s_mov_b32 s3, 0
	global_store_b8 v[2:3], v7, off
.LBB7_1797:
	s_and_b32 vcc_lo, exec_lo, s3
	s_cbranch_vccz .LBB7_1807
; %bb.1798:
	v_cndmask_b32_e64 v5, 0, 1.0, s2
	s_mov_b32 s3, exec_lo
                                        ; implicit-def: $vgpr4
	s_delay_alu instid0(VALU_DEP_1)
	v_cmpx_gt_u32_e32 0x43f00000, v5
	s_xor_b32 s3, exec_lo, s3
	s_cbranch_execz .LBB7_1804
; %bb.1799:
	s_mov_b32 s7, exec_lo
                                        ; implicit-def: $vgpr4
	v_cmpx_lt_u32_e32 0x3c7fffff, v5
	s_xor_b32 s7, exec_lo, s7
; %bb.1800:
	v_bfe_u32 v4, v5, 20, 1
	s_delay_alu instid0(VALU_DEP_1) | instskip(NEXT) | instid1(VALU_DEP_1)
	v_add3_u32 v4, v5, v4, 0x407ffff
	v_and_b32_e32 v5, 0xff00000, v4
	v_lshrrev_b32_e32 v4, 20, v4
	s_delay_alu instid0(VALU_DEP_2) | instskip(NEXT) | instid1(VALU_DEP_2)
	v_cmp_ne_u32_e32 vcc_lo, 0x7f00000, v5
                                        ; implicit-def: $vgpr5
	v_cndmask_b32_e32 v4, 0x7e, v4, vcc_lo
; %bb.1801:
	s_and_not1_saveexec_b32 s7, s7
; %bb.1802:
	v_add_f32_e32 v4, 0x46800000, v5
; %bb.1803:
	s_or_b32 exec_lo, exec_lo, s7
                                        ; implicit-def: $vgpr5
.LBB7_1804:
	s_and_not1_saveexec_b32 s3, s3
; %bb.1805:
	v_mov_b32_e32 v4, 0x7f
	v_cmp_lt_u32_e32 vcc_lo, 0x7f800000, v5
	s_delay_alu instid0(VALU_DEP_2)
	v_cndmask_b32_e32 v4, 0x7e, v4, vcc_lo
; %bb.1806:
	s_or_b32 exec_lo, exec_lo, s3
	global_store_b8 v[2:3], v4, off
.LBB7_1807:
	s_mov_b32 s3, 0
.LBB7_1808:
	s_delay_alu instid0(SALU_CYCLE_1)
	s_and_not1_b32 vcc_lo, exec_lo, s3
	s_cbranch_vccnz .LBB7_1818
; %bb.1809:
	v_cndmask_b32_e64 v5, 0, 1.0, s2
	s_mov_b32 s3, exec_lo
                                        ; implicit-def: $vgpr4
	s_delay_alu instid0(VALU_DEP_1)
	v_cmpx_gt_u32_e32 0x47800000, v5
	s_xor_b32 s3, exec_lo, s3
	s_cbranch_execz .LBB7_1815
; %bb.1810:
	s_mov_b32 s7, exec_lo
                                        ; implicit-def: $vgpr4
	v_cmpx_lt_u32_e32 0x387fffff, v5
	s_xor_b32 s7, exec_lo, s7
; %bb.1811:
	v_bfe_u32 v4, v5, 21, 1
	s_delay_alu instid0(VALU_DEP_1) | instskip(NEXT) | instid1(VALU_DEP_1)
	v_add3_u32 v4, v5, v4, 0x80fffff
                                        ; implicit-def: $vgpr5
	v_lshrrev_b32_e32 v4, 21, v4
; %bb.1812:
	s_and_not1_saveexec_b32 s7, s7
; %bb.1813:
	v_add_f32_e32 v4, 0x43000000, v5
; %bb.1814:
	s_or_b32 exec_lo, exec_lo, s7
                                        ; implicit-def: $vgpr5
.LBB7_1815:
	s_and_not1_saveexec_b32 s3, s3
; %bb.1816:
	v_mov_b32_e32 v4, 0x7f
	v_cmp_lt_u32_e32 vcc_lo, 0x7f800000, v5
	s_delay_alu instid0(VALU_DEP_2)
	v_cndmask_b32_e32 v4, 0x7c, v4, vcc_lo
; %bb.1817:
	s_or_b32 exec_lo, exec_lo, s3
	global_store_b8 v[2:3], v4, off
.LBB7_1818:
	s_mov_b32 s3, 0
	s_mov_b32 s7, -1
.LBB7_1819:
	s_and_not1_b32 vcc_lo, exec_lo, s3
	s_mov_b32 s3, 0
	s_cbranch_vccnz .LBB7_1826
; %bb.1820:
	v_cmp_lt_i16_e32 vcc_lo, 14, v6
	s_mov_b32 s3, -1
	s_cbranch_vccz .LBB7_1824
; %bb.1821:
	v_cmp_eq_u16_e32 vcc_lo, 15, v6
	s_mov_b32 s0, -1
	s_cbranch_vccz .LBB7_1823
; %bb.1822:
	v_cndmask_b32_e64 v4, 0, 1.0, s2
	s_mov_b32 s0, 0
	s_mov_b32 s7, -1
	s_delay_alu instid0(VALU_DEP_1) | instskip(NEXT) | instid1(VALU_DEP_1)
	v_bfe_u32 v5, v4, 16, 1
	v_add3_u32 v4, v4, v5, 0x7fff
	global_store_d16_hi_b16 v[2:3], v4, off
.LBB7_1823:
	s_mov_b32 s3, 0
.LBB7_1824:
	s_delay_alu instid0(SALU_CYCLE_1)
	s_and_b32 vcc_lo, exec_lo, s3
	s_mov_b32 s3, 0
	s_cbranch_vccz .LBB7_1826
; %bb.1825:
	v_cmp_ne_u16_e64 s0, 11, v6
	s_mov_b32 s3, -1
.LBB7_1826:
	s_delay_alu instid0(VALU_DEP_1)
	s_and_b32 vcc_lo, exec_lo, s0
	s_cbranch_vccnz .LBB7_2127
; %bb.1827:
	s_and_not1_b32 vcc_lo, exec_lo, s3
	s_cbranch_vccnz .LBB7_1829
.LBB7_1828:
	v_cndmask_b32_e64 v4, 0, 1, s2
	s_mov_b32 s7, -1
	global_store_b8 v[2:3], v4, off
.LBB7_1829:
	s_mov_b32 s0, 0
.LBB7_1830:
	s_delay_alu instid0(SALU_CYCLE_1)
	s_and_b32 vcc_lo, exec_lo, s0
	s_cbranch_vccz .LBB7_1869
; %bb.1831:
	v_cmp_gt_i16_e32 vcc_lo, 5, v6
	s_mov_b32 s0, -1
	s_cbranch_vccnz .LBB7_1852
; %bb.1832:
	v_cmp_gt_i16_e32 vcc_lo, 8, v6
	s_cbranch_vccnz .LBB7_1842
; %bb.1833:
	v_cmp_gt_i16_e32 vcc_lo, 9, v6
	s_cbranch_vccnz .LBB7_1839
; %bb.1834:
	v_cmp_lt_i16_e32 vcc_lo, 9, v6
	s_cbranch_vccz .LBB7_1836
; %bb.1835:
	v_cndmask_b32_e64 v4, 0, 1, s2
	v_mov_b32_e32 v9, 0
	s_mov_b32 s0, 0
	s_delay_alu instid0(VALU_DEP_2) | instskip(NEXT) | instid1(VALU_DEP_2)
	v_cvt_f64_u32_e32 v[7:8], v4
	v_mov_b32_e32 v10, v9
	global_store_b128 v[2:3], v[7:10], off
.LBB7_1836:
	s_and_not1_b32 vcc_lo, exec_lo, s0
	s_cbranch_vccnz .LBB7_1838
; %bb.1837:
	v_cndmask_b32_e64 v4, 0, 1.0, s2
	v_mov_b32_e32 v5, 0
	global_store_b64 v[2:3], v[4:5], off
.LBB7_1838:
	s_mov_b32 s0, 0
.LBB7_1839:
	s_delay_alu instid0(SALU_CYCLE_1)
	s_and_not1_b32 vcc_lo, exec_lo, s0
	s_cbranch_vccnz .LBB7_1841
; %bb.1840:
	v_cndmask_b32_e64 v4, 0, 1.0, s2
	s_delay_alu instid0(VALU_DEP_1) | instskip(NEXT) | instid1(VALU_DEP_1)
	v_cvt_f16_f32_e32 v4, v4
	v_and_b32_e32 v4, 0xffff, v4
	global_store_b32 v[2:3], v4, off
.LBB7_1841:
	s_mov_b32 s0, 0
.LBB7_1842:
	s_delay_alu instid0(SALU_CYCLE_1)
	s_and_not1_b32 vcc_lo, exec_lo, s0
	s_cbranch_vccnz .LBB7_1851
; %bb.1843:
	v_cmp_gt_i16_e32 vcc_lo, 6, v6
	s_mov_b32 s0, -1
	s_cbranch_vccnz .LBB7_1849
; %bb.1844:
	v_cmp_lt_i16_e32 vcc_lo, 6, v6
	s_cbranch_vccz .LBB7_1846
; %bb.1845:
	v_cndmask_b32_e64 v4, 0, 1, s2
	s_mov_b32 s0, 0
	s_delay_alu instid0(VALU_DEP_1)
	v_cvt_f64_u32_e32 v[4:5], v4
	global_store_b64 v[2:3], v[4:5], off
.LBB7_1846:
	s_and_not1_b32 vcc_lo, exec_lo, s0
	s_cbranch_vccnz .LBB7_1848
; %bb.1847:
	v_cndmask_b32_e64 v4, 0, 1.0, s2
	global_store_b32 v[2:3], v4, off
.LBB7_1848:
	s_mov_b32 s0, 0
.LBB7_1849:
	s_delay_alu instid0(SALU_CYCLE_1)
	s_and_not1_b32 vcc_lo, exec_lo, s0
	s_cbranch_vccnz .LBB7_1851
; %bb.1850:
	v_cndmask_b32_e64 v4, 0, 1.0, s2
	s_delay_alu instid0(VALU_DEP_1)
	v_cvt_f16_f32_e32 v4, v4
	global_store_b16 v[2:3], v4, off
.LBB7_1851:
	s_mov_b32 s0, 0
.LBB7_1852:
	s_delay_alu instid0(SALU_CYCLE_1)
	s_and_not1_b32 vcc_lo, exec_lo, s0
	s_cbranch_vccnz .LBB7_1868
; %bb.1853:
	v_cmp_gt_i16_e32 vcc_lo, 2, v6
	s_mov_b32 s0, -1
	s_cbranch_vccnz .LBB7_1863
; %bb.1854:
	v_cmp_gt_i16_e32 vcc_lo, 3, v6
	s_cbranch_vccnz .LBB7_1860
; %bb.1855:
	v_cmp_lt_i16_e32 vcc_lo, 3, v6
	s_cbranch_vccz .LBB7_1857
; %bb.1856:
	s_mov_b32 s0, 0
	v_cndmask_b32_e64 v4, 0, 1, s2
	v_mov_b32_e32 v5, s0
	global_store_b64 v[2:3], v[4:5], off
.LBB7_1857:
	s_and_not1_b32 vcc_lo, exec_lo, s0
	s_cbranch_vccnz .LBB7_1859
; %bb.1858:
	v_cndmask_b32_e64 v4, 0, 1, s2
	global_store_b32 v[2:3], v4, off
.LBB7_1859:
	s_mov_b32 s0, 0
.LBB7_1860:
	s_delay_alu instid0(SALU_CYCLE_1)
	s_and_not1_b32 vcc_lo, exec_lo, s0
	s_cbranch_vccnz .LBB7_1862
; %bb.1861:
	v_cndmask_b32_e64 v4, 0, 1, s2
	global_store_b16 v[2:3], v4, off
.LBB7_1862:
	s_mov_b32 s0, 0
.LBB7_1863:
	s_delay_alu instid0(SALU_CYCLE_1)
	s_and_not1_b32 vcc_lo, exec_lo, s0
	s_cbranch_vccnz .LBB7_1868
; %bb.1864:
	v_cmp_lt_i16_e32 vcc_lo, 0, v6
	v_cndmask_b32_e64 v4, 0, 1, s2
	s_mov_b32 s0, -1
	s_cbranch_vccz .LBB7_1866
; %bb.1865:
	s_mov_b32 s0, 0
	global_store_b8 v[2:3], v4, off
.LBB7_1866:
	s_and_not1_b32 vcc_lo, exec_lo, s0
	s_cbranch_vccnz .LBB7_1868
; %bb.1867:
	global_store_b8 v[2:3], v4, off
.LBB7_1868:
	s_mov_b32 s7, -1
.LBB7_1869:
	s_delay_alu instid0(SALU_CYCLE_1)
	s_and_not1_b32 vcc_lo, exec_lo, s7
	s_cbranch_vccnz .LBB7_2064
; %bb.1870:
	v_cmp_gt_i16_e32 vcc_lo, 11, v6
	v_add_co_u32 v1, s3, s4, v1
	s_delay_alu instid0(VALU_DEP_1)
	v_add_co_ci_u32_e64 v2, null, s5, 0, s3
	s_mov_b32 s0, -1
	s_xor_b32 s2, s11, -1
	s_mov_b32 s7, 0
	s_cbranch_vccnz .LBB7_1948
; %bb.1871:
	v_cmp_lt_i16_e32 vcc_lo, 25, v6
	s_mov_b32 s10, -1
	s_mov_b32 s3, 0
	s_mov_b32 s0, 0
	s_cbranch_vccz .LBB7_1904
; %bb.1872:
	v_cmp_lt_i16_e32 vcc_lo, 28, v6
	s_cbranch_vccz .LBB7_1887
; %bb.1873:
	v_cmp_lt_i16_e32 vcc_lo, 43, v6
	;; [unrolled: 3-line block ×3, first 2 shown]
	s_cbranch_vccz .LBB7_1877
; %bb.1875:
	v_cmp_eq_u16_e32 vcc_lo, 46, v6
	s_mov_b32 s0, -1
	s_mov_b32 s10, 0
	s_cbranch_vccz .LBB7_1877
; %bb.1876:
	v_cndmask_b32_e64 v3, 0, 1.0, s2
	s_mov_b32 s0, 0
	s_mov_b32 s7, -1
	s_delay_alu instid0(VALU_DEP_1) | instskip(NEXT) | instid1(VALU_DEP_1)
	v_bfe_u32 v4, v3, 16, 1
	v_add3_u32 v3, v3, v4, 0x7fff
	s_delay_alu instid0(VALU_DEP_1)
	v_lshrrev_b32_e32 v3, 16, v3
	global_store_b32 v[1:2], v3, off
.LBB7_1877:
	s_and_b32 vcc_lo, exec_lo, s10
	s_cbranch_vccz .LBB7_1882
; %bb.1878:
	v_cmp_eq_u16_e32 vcc_lo, 44, v6
	s_mov_b32 s0, -1
	s_cbranch_vccz .LBB7_1882
; %bb.1879:
	v_cndmask_b32_e64 v5, 0, 1.0, s2
	v_mov_b32_e32 v4, 0xff
	s_mov_b32 s7, exec_lo
	s_delay_alu instid0(VALU_DEP_2) | instskip(NEXT) | instid1(VALU_DEP_1)
	v_lshrrev_b32_e32 v3, 23, v5
	v_cmpx_ne_u32_e32 0xff, v3
; %bb.1880:
	v_and_b32_e32 v4, 0x400000, v5
	v_and_or_b32 v5, 0x3fffff, v5, v3
	s_delay_alu instid0(VALU_DEP_2) | instskip(NEXT) | instid1(VALU_DEP_2)
	v_cmp_ne_u32_e32 vcc_lo, 0, v4
	v_cmp_ne_u32_e64 s0, 0, v5
	s_delay_alu instid0(VALU_DEP_1) | instskip(NEXT) | instid1(SALU_CYCLE_1)
	s_and_b32 s0, vcc_lo, s0
	v_cndmask_b32_e64 v4, 0, 1, s0
	s_delay_alu instid0(VALU_DEP_1)
	v_add_nc_u32_e32 v4, v3, v4
; %bb.1881:
	s_or_b32 exec_lo, exec_lo, s7
	s_mov_b32 s0, 0
	s_mov_b32 s7, -1
	global_store_b8 v[1:2], v4, off
.LBB7_1882:
	s_mov_b32 s10, 0
.LBB7_1883:
	s_delay_alu instid0(SALU_CYCLE_1)
	s_and_b32 vcc_lo, exec_lo, s10
	s_cbranch_vccz .LBB7_1886
; %bb.1884:
	v_cmp_eq_u16_e32 vcc_lo, 29, v6
	s_mov_b32 s0, -1
	s_cbranch_vccz .LBB7_1886
; %bb.1885:
	s_mov_b32 s0, 0
	v_cndmask_b32_e64 v3, 0, 1, s2
	v_mov_b32_e32 v4, s0
	s_mov_b32 s7, -1
	global_store_b64 v[1:2], v[3:4], off
.LBB7_1886:
	s_mov_b32 s10, 0
.LBB7_1887:
	s_delay_alu instid0(SALU_CYCLE_1)
	s_and_b32 vcc_lo, exec_lo, s10
	s_cbranch_vccz .LBB7_1903
; %bb.1888:
	v_cmp_gt_i16_e32 vcc_lo, 27, v6
	s_mov_b32 s7, -1
	s_cbranch_vccnz .LBB7_1894
; %bb.1889:
	v_cmp_lt_i16_e32 vcc_lo, 27, v6
	s_cbranch_vccz .LBB7_1891
; %bb.1890:
	v_cndmask_b32_e64 v3, 0, 1, s2
	s_mov_b32 s7, 0
	global_store_b32 v[1:2], v3, off
.LBB7_1891:
	s_and_not1_b32 vcc_lo, exec_lo, s7
	s_cbranch_vccnz .LBB7_1893
; %bb.1892:
	v_cndmask_b32_e64 v3, 0, 1, s2
	global_store_b16 v[1:2], v3, off
.LBB7_1893:
	s_mov_b32 s7, 0
.LBB7_1894:
	s_delay_alu instid0(SALU_CYCLE_1)
	s_and_not1_b32 vcc_lo, exec_lo, s7
	s_cbranch_vccnz .LBB7_1902
; %bb.1895:
	v_cndmask_b32_e64 v4, 0, 1.0, s2
	v_mov_b32_e32 v5, 0x80
	s_mov_b32 s7, exec_lo
	s_delay_alu instid0(VALU_DEP_2)
	v_cmpx_gt_u32_e32 0x43800000, v4
	s_cbranch_execz .LBB7_1901
; %bb.1896:
	s_mov_b32 s10, 0
	s_mov_b32 s11, exec_lo
                                        ; implicit-def: $vgpr3
	v_cmpx_lt_u32_e32 0x3bffffff, v4
	s_xor_b32 s11, exec_lo, s11
	s_cbranch_execnz .LBB7_2141
; %bb.1897:
	s_or_saveexec_b32 s11, s11
                                        ; implicit-def: $sgpr12
	s_delay_alu instid0(SALU_CYCLE_1)
	s_xor_b32 exec_lo, exec_lo, s11
	s_cbranch_execnz .LBB7_2142
.LBB7_1898:
	s_or_b32 exec_lo, exec_lo, s11
	v_mov_b32_e32 v5, s12
	s_and_saveexec_b32 s11, s10
.LBB7_1899:
	v_mov_b32_e32 v5, v3
.LBB7_1900:
	s_or_b32 exec_lo, exec_lo, s11
.LBB7_1901:
	s_delay_alu instid0(SALU_CYCLE_1)
	s_or_b32 exec_lo, exec_lo, s7
	global_store_b8 v[1:2], v5, off
.LBB7_1902:
	s_mov_b32 s7, -1
.LBB7_1903:
	s_mov_b32 s10, 0
.LBB7_1904:
	s_delay_alu instid0(SALU_CYCLE_1)
	s_and_b32 vcc_lo, exec_lo, s10
	s_cbranch_vccz .LBB7_1944
; %bb.1905:
	v_cmp_lt_i16_e32 vcc_lo, 22, v6
	s_mov_b32 s3, -1
	s_cbranch_vccz .LBB7_1937
; %bb.1906:
	v_cmp_gt_i16_e32 vcc_lo, 24, v6
	s_cbranch_vccnz .LBB7_1926
; %bb.1907:
	v_cmp_lt_i16_e32 vcc_lo, 24, v6
	s_cbranch_vccz .LBB7_1915
; %bb.1908:
	v_cndmask_b32_e64 v4, 0, 1.0, s2
	v_mov_b32_e32 v5, 0x80
	s_mov_b32 s3, exec_lo
	s_delay_alu instid0(VALU_DEP_2)
	v_cmpx_gt_u32_e32 0x47800000, v4
	s_cbranch_execz .LBB7_1914
; %bb.1909:
	s_mov_b32 s7, 0
	s_mov_b32 s10, exec_lo
                                        ; implicit-def: $vgpr3
	v_cmpx_lt_u32_e32 0x37ffffff, v4
	s_xor_b32 s10, exec_lo, s10
	s_cbranch_execnz .LBB7_2147
; %bb.1910:
	s_or_saveexec_b32 s10, s10
                                        ; implicit-def: $sgpr11
	s_delay_alu instid0(SALU_CYCLE_1)
	s_xor_b32 exec_lo, exec_lo, s10
	s_cbranch_execnz .LBB7_2148
.LBB7_1911:
	s_or_b32 exec_lo, exec_lo, s10
	v_mov_b32_e32 v5, s11
	s_and_saveexec_b32 s10, s7
.LBB7_1912:
	v_mov_b32_e32 v5, v3
.LBB7_1913:
	s_or_b32 exec_lo, exec_lo, s10
.LBB7_1914:
	s_delay_alu instid0(SALU_CYCLE_1)
	s_or_b32 exec_lo, exec_lo, s3
	s_mov_b32 s3, 0
	global_store_b8 v[1:2], v5, off
.LBB7_1915:
	s_and_b32 vcc_lo, exec_lo, s3
	s_cbranch_vccz .LBB7_1925
; %bb.1916:
	v_cndmask_b32_e64 v4, 0, 1.0, s2
	s_mov_b32 s3, exec_lo
                                        ; implicit-def: $vgpr3
	s_delay_alu instid0(VALU_DEP_1)
	v_cmpx_gt_u32_e32 0x43f00000, v4
	s_xor_b32 s3, exec_lo, s3
	s_cbranch_execz .LBB7_1922
; %bb.1917:
	s_mov_b32 s7, exec_lo
                                        ; implicit-def: $vgpr3
	v_cmpx_lt_u32_e32 0x3c7fffff, v4
	s_xor_b32 s7, exec_lo, s7
; %bb.1918:
	v_bfe_u32 v3, v4, 20, 1
	s_delay_alu instid0(VALU_DEP_1) | instskip(NEXT) | instid1(VALU_DEP_1)
	v_add3_u32 v3, v4, v3, 0x407ffff
	v_and_b32_e32 v4, 0xff00000, v3
	v_lshrrev_b32_e32 v3, 20, v3
	s_delay_alu instid0(VALU_DEP_2) | instskip(NEXT) | instid1(VALU_DEP_2)
	v_cmp_ne_u32_e32 vcc_lo, 0x7f00000, v4
                                        ; implicit-def: $vgpr4
	v_cndmask_b32_e32 v3, 0x7e, v3, vcc_lo
; %bb.1919:
	s_and_not1_saveexec_b32 s7, s7
; %bb.1920:
	v_add_f32_e32 v3, 0x46800000, v4
; %bb.1921:
	s_or_b32 exec_lo, exec_lo, s7
                                        ; implicit-def: $vgpr4
.LBB7_1922:
	s_and_not1_saveexec_b32 s3, s3
; %bb.1923:
	v_mov_b32_e32 v3, 0x7f
	v_cmp_lt_u32_e32 vcc_lo, 0x7f800000, v4
	s_delay_alu instid0(VALU_DEP_2)
	v_cndmask_b32_e32 v3, 0x7e, v3, vcc_lo
; %bb.1924:
	s_or_b32 exec_lo, exec_lo, s3
	global_store_b8 v[1:2], v3, off
.LBB7_1925:
	s_mov_b32 s3, 0
.LBB7_1926:
	s_delay_alu instid0(SALU_CYCLE_1)
	s_and_not1_b32 vcc_lo, exec_lo, s3
	s_cbranch_vccnz .LBB7_1936
; %bb.1927:
	v_cndmask_b32_e64 v4, 0, 1.0, s2
	s_mov_b32 s3, exec_lo
                                        ; implicit-def: $vgpr3
	s_delay_alu instid0(VALU_DEP_1)
	v_cmpx_gt_u32_e32 0x47800000, v4
	s_xor_b32 s3, exec_lo, s3
	s_cbranch_execz .LBB7_1933
; %bb.1928:
	s_mov_b32 s7, exec_lo
                                        ; implicit-def: $vgpr3
	v_cmpx_lt_u32_e32 0x387fffff, v4
	s_xor_b32 s7, exec_lo, s7
; %bb.1929:
	v_bfe_u32 v3, v4, 21, 1
	s_delay_alu instid0(VALU_DEP_1) | instskip(NEXT) | instid1(VALU_DEP_1)
	v_add3_u32 v3, v4, v3, 0x80fffff
                                        ; implicit-def: $vgpr4
	v_lshrrev_b32_e32 v3, 21, v3
; %bb.1930:
	s_and_not1_saveexec_b32 s7, s7
; %bb.1931:
	v_add_f32_e32 v3, 0x43000000, v4
; %bb.1932:
	s_or_b32 exec_lo, exec_lo, s7
                                        ; implicit-def: $vgpr4
.LBB7_1933:
	s_and_not1_saveexec_b32 s3, s3
; %bb.1934:
	v_mov_b32_e32 v3, 0x7f
	v_cmp_lt_u32_e32 vcc_lo, 0x7f800000, v4
	s_delay_alu instid0(VALU_DEP_2)
	v_cndmask_b32_e32 v3, 0x7c, v3, vcc_lo
; %bb.1935:
	s_or_b32 exec_lo, exec_lo, s3
	global_store_b8 v[1:2], v3, off
.LBB7_1936:
	s_mov_b32 s3, 0
	s_mov_b32 s7, -1
.LBB7_1937:
	s_and_not1_b32 vcc_lo, exec_lo, s3
	s_mov_b32 s3, 0
	s_cbranch_vccnz .LBB7_1944
; %bb.1938:
	v_cmp_lt_i16_e32 vcc_lo, 14, v6
	s_mov_b32 s3, -1
	s_cbranch_vccz .LBB7_1942
; %bb.1939:
	v_cmp_eq_u16_e32 vcc_lo, 15, v6
	s_mov_b32 s0, -1
	s_cbranch_vccz .LBB7_1941
; %bb.1940:
	v_cndmask_b32_e64 v3, 0, 1.0, s2
	s_mov_b32 s0, 0
	s_mov_b32 s7, -1
	s_delay_alu instid0(VALU_DEP_1) | instskip(NEXT) | instid1(VALU_DEP_1)
	v_bfe_u32 v4, v3, 16, 1
	v_add3_u32 v3, v3, v4, 0x7fff
	global_store_d16_hi_b16 v[1:2], v3, off
.LBB7_1941:
	s_mov_b32 s3, 0
.LBB7_1942:
	s_delay_alu instid0(SALU_CYCLE_1)
	s_and_b32 vcc_lo, exec_lo, s3
	s_mov_b32 s3, 0
	s_cbranch_vccz .LBB7_1944
; %bb.1943:
	v_cmp_ne_u16_e64 s0, 11, v6
	s_mov_b32 s3, -1
.LBB7_1944:
	s_delay_alu instid0(VALU_DEP_1)
	s_and_b32 vcc_lo, exec_lo, s0
	s_cbranch_vccnz .LBB7_2137
; %bb.1945:
	s_and_not1_b32 vcc_lo, exec_lo, s3
	s_cbranch_vccnz .LBB7_1947
.LBB7_1946:
	v_cndmask_b32_e64 v3, 0, 1, s2
	s_mov_b32 s7, -1
	global_store_b8 v[1:2], v3, off
.LBB7_1947:
	s_mov_b32 s0, 0
.LBB7_1948:
	s_delay_alu instid0(SALU_CYCLE_1)
	s_and_b32 vcc_lo, exec_lo, s0
	s_cbranch_vccz .LBB7_1987
; %bb.1949:
	v_cmp_gt_i16_e32 vcc_lo, 5, v6
	s_mov_b32 s0, -1
	s_cbranch_vccnz .LBB7_1970
; %bb.1950:
	v_cmp_gt_i16_e32 vcc_lo, 8, v6
	s_cbranch_vccnz .LBB7_1960
; %bb.1951:
	v_cmp_gt_i16_e32 vcc_lo, 9, v6
	s_cbranch_vccnz .LBB7_1957
; %bb.1952:
	v_cmp_lt_i16_e32 vcc_lo, 9, v6
	s_cbranch_vccz .LBB7_1954
; %bb.1953:
	v_cndmask_b32_e64 v3, 0, 1, s2
	v_mov_b32_e32 v9, 0
	s_mov_b32 s0, 0
	s_delay_alu instid0(VALU_DEP_2) | instskip(NEXT) | instid1(VALU_DEP_2)
	v_cvt_f64_u32_e32 v[7:8], v3
	v_mov_b32_e32 v10, v9
	global_store_b128 v[1:2], v[7:10], off
.LBB7_1954:
	s_and_not1_b32 vcc_lo, exec_lo, s0
	s_cbranch_vccnz .LBB7_1956
; %bb.1955:
	v_cndmask_b32_e64 v3, 0, 1.0, s2
	v_mov_b32_e32 v4, 0
	global_store_b64 v[1:2], v[3:4], off
.LBB7_1956:
	s_mov_b32 s0, 0
.LBB7_1957:
	s_delay_alu instid0(SALU_CYCLE_1)
	s_and_not1_b32 vcc_lo, exec_lo, s0
	s_cbranch_vccnz .LBB7_1959
; %bb.1958:
	v_cndmask_b32_e64 v3, 0, 1.0, s2
	s_delay_alu instid0(VALU_DEP_1) | instskip(NEXT) | instid1(VALU_DEP_1)
	v_cvt_f16_f32_e32 v3, v3
	v_and_b32_e32 v3, 0xffff, v3
	global_store_b32 v[1:2], v3, off
.LBB7_1959:
	s_mov_b32 s0, 0
.LBB7_1960:
	s_delay_alu instid0(SALU_CYCLE_1)
	s_and_not1_b32 vcc_lo, exec_lo, s0
	s_cbranch_vccnz .LBB7_1969
; %bb.1961:
	v_cmp_gt_i16_e32 vcc_lo, 6, v6
	s_mov_b32 s0, -1
	s_cbranch_vccnz .LBB7_1967
; %bb.1962:
	v_cmp_lt_i16_e32 vcc_lo, 6, v6
	s_cbranch_vccz .LBB7_1964
; %bb.1963:
	v_cndmask_b32_e64 v3, 0, 1, s2
	s_mov_b32 s0, 0
	s_delay_alu instid0(VALU_DEP_1)
	v_cvt_f64_u32_e32 v[3:4], v3
	global_store_b64 v[1:2], v[3:4], off
.LBB7_1964:
	s_and_not1_b32 vcc_lo, exec_lo, s0
	s_cbranch_vccnz .LBB7_1966
; %bb.1965:
	v_cndmask_b32_e64 v3, 0, 1.0, s2
	global_store_b32 v[1:2], v3, off
.LBB7_1966:
	s_mov_b32 s0, 0
.LBB7_1967:
	s_delay_alu instid0(SALU_CYCLE_1)
	s_and_not1_b32 vcc_lo, exec_lo, s0
	s_cbranch_vccnz .LBB7_1969
; %bb.1968:
	v_cndmask_b32_e64 v3, 0, 1.0, s2
	s_delay_alu instid0(VALU_DEP_1)
	v_cvt_f16_f32_e32 v3, v3
	global_store_b16 v[1:2], v3, off
.LBB7_1969:
	s_mov_b32 s0, 0
.LBB7_1970:
	s_delay_alu instid0(SALU_CYCLE_1)
	s_and_not1_b32 vcc_lo, exec_lo, s0
	s_cbranch_vccnz .LBB7_1986
; %bb.1971:
	v_cmp_gt_i16_e32 vcc_lo, 2, v6
	s_mov_b32 s0, -1
	s_cbranch_vccnz .LBB7_1981
; %bb.1972:
	v_cmp_gt_i16_e32 vcc_lo, 3, v6
	s_cbranch_vccnz .LBB7_1978
; %bb.1973:
	v_cmp_lt_i16_e32 vcc_lo, 3, v6
	s_cbranch_vccz .LBB7_1975
; %bb.1974:
	s_mov_b32 s0, 0
	v_cndmask_b32_e64 v3, 0, 1, s2
	v_mov_b32_e32 v4, s0
	global_store_b64 v[1:2], v[3:4], off
.LBB7_1975:
	s_and_not1_b32 vcc_lo, exec_lo, s0
	s_cbranch_vccnz .LBB7_1977
; %bb.1976:
	v_cndmask_b32_e64 v3, 0, 1, s2
	global_store_b32 v[1:2], v3, off
.LBB7_1977:
	s_mov_b32 s0, 0
.LBB7_1978:
	s_delay_alu instid0(SALU_CYCLE_1)
	s_and_not1_b32 vcc_lo, exec_lo, s0
	s_cbranch_vccnz .LBB7_1980
; %bb.1979:
	v_cndmask_b32_e64 v3, 0, 1, s2
	global_store_b16 v[1:2], v3, off
.LBB7_1980:
	s_mov_b32 s0, 0
.LBB7_1981:
	s_delay_alu instid0(SALU_CYCLE_1)
	s_and_not1_b32 vcc_lo, exec_lo, s0
	s_cbranch_vccnz .LBB7_1986
; %bb.1982:
	v_cmp_lt_i16_e32 vcc_lo, 0, v6
	v_cndmask_b32_e64 v3, 0, 1, s2
	s_mov_b32 s0, -1
	s_cbranch_vccz .LBB7_1984
; %bb.1983:
	s_mov_b32 s0, 0
	global_store_b8 v[1:2], v3, off
.LBB7_1984:
	s_and_not1_b32 vcc_lo, exec_lo, s0
	s_cbranch_vccnz .LBB7_1986
; %bb.1985:
	global_store_b8 v[1:2], v3, off
.LBB7_1986:
	s_mov_b32 s7, -1
.LBB7_1987:
	s_delay_alu instid0(SALU_CYCLE_1)
	s_and_not1_b32 vcc_lo, exec_lo, s7
	s_cbranch_vccnz .LBB7_2064
; %bb.1988:
	v_cmp_gt_i16_e32 vcc_lo, 11, v6
	v_add_co_u32 v0, s3, s4, v0
	s_delay_alu instid0(VALU_DEP_1)
	v_add_co_ci_u32_e64 v1, null, s5, 0, s3
	s_mov_b32 s0, -1
	s_xor_b32 s2, s6, -1
	s_mov_b32 s3, 0
	s_cbranch_vccnz .LBB7_2065
; %bb.1989:
	v_cmp_lt_i16_e32 vcc_lo, 25, v6
	s_mov_b32 s4, -1
	s_mov_b32 s0, 0
	s_cbranch_vccz .LBB7_2022
; %bb.1990:
	v_cmp_lt_i16_e32 vcc_lo, 28, v6
	s_cbranch_vccz .LBB7_2006
; %bb.1991:
	v_cmp_lt_i16_e32 vcc_lo, 43, v6
	s_cbranch_vccz .LBB7_2002
; %bb.1992:
	v_cmp_lt_i16_e32 vcc_lo, 45, v6
	s_cbranch_vccz .LBB7_1996
; %bb.1993:
	v_cmp_eq_u16_e32 vcc_lo, 46, v6
	s_mov_b32 s0, -1
	s_cbranch_vccz .LBB7_1995
; %bb.1994:
	v_cndmask_b32_e64 v2, 0, 1.0, s2
	s_mov_b32 s0, 0
	s_delay_alu instid0(VALU_DEP_1) | instskip(NEXT) | instid1(VALU_DEP_1)
	v_bfe_u32 v3, v2, 16, 1
	v_add3_u32 v2, v2, v3, 0x7fff
	s_delay_alu instid0(VALU_DEP_1)
	v_lshrrev_b32_e32 v2, 16, v2
	global_store_b32 v[0:1], v2, off
.LBB7_1995:
	s_mov_b32 s4, 0
.LBB7_1996:
	s_delay_alu instid0(SALU_CYCLE_1)
	s_and_b32 vcc_lo, exec_lo, s4
	s_cbranch_vccz .LBB7_2001
; %bb.1997:
	v_cmp_eq_u16_e32 vcc_lo, 44, v6
	s_mov_b32 s0, -1
	s_cbranch_vccz .LBB7_2001
; %bb.1998:
	v_cndmask_b32_e64 v4, 0, 1.0, s2
	v_mov_b32_e32 v3, 0xff
	s_mov_b32 s4, exec_lo
	s_delay_alu instid0(VALU_DEP_2) | instskip(NEXT) | instid1(VALU_DEP_1)
	v_lshrrev_b32_e32 v2, 23, v4
	v_cmpx_ne_u32_e32 0xff, v2
; %bb.1999:
	v_and_b32_e32 v3, 0x400000, v4
	v_and_or_b32 v4, 0x3fffff, v4, v2
	s_delay_alu instid0(VALU_DEP_2) | instskip(NEXT) | instid1(VALU_DEP_2)
	v_cmp_ne_u32_e32 vcc_lo, 0, v3
	v_cmp_ne_u32_e64 s0, 0, v4
	s_delay_alu instid0(VALU_DEP_1) | instskip(NEXT) | instid1(SALU_CYCLE_1)
	s_and_b32 s0, vcc_lo, s0
	v_cndmask_b32_e64 v3, 0, 1, s0
	s_delay_alu instid0(VALU_DEP_1)
	v_add_nc_u32_e32 v3, v2, v3
; %bb.2000:
	s_or_b32 exec_lo, exec_lo, s4
	s_mov_b32 s0, 0
	global_store_b8 v[0:1], v3, off
.LBB7_2001:
	s_mov_b32 s4, 0
.LBB7_2002:
	s_delay_alu instid0(SALU_CYCLE_1)
	s_and_b32 vcc_lo, exec_lo, s4
	s_cbranch_vccz .LBB7_2005
; %bb.2003:
	v_cmp_eq_u16_e32 vcc_lo, 29, v6
	s_mov_b32 s0, -1
	s_cbranch_vccz .LBB7_2005
; %bb.2004:
	s_mov_b32 s0, 0
	v_cndmask_b32_e64 v2, 0, 1, s2
	v_mov_b32_e32 v3, s0
	global_store_b64 v[0:1], v[2:3], off
.LBB7_2005:
	s_mov_b32 s4, 0
.LBB7_2006:
	s_delay_alu instid0(SALU_CYCLE_1)
	s_and_b32 vcc_lo, exec_lo, s4
	s_cbranch_vccz .LBB7_2021
; %bb.2007:
	v_cmp_gt_i16_e32 vcc_lo, 27, v6
	s_mov_b32 s4, -1
	s_cbranch_vccnz .LBB7_2013
; %bb.2008:
	v_cmp_lt_i16_e32 vcc_lo, 27, v6
	v_cndmask_b32_e64 v2, 0, 1, s2
	s_cbranch_vccz .LBB7_2010
; %bb.2009:
	s_mov_b32 s4, 0
	global_store_b32 v[0:1], v2, off
.LBB7_2010:
	s_and_not1_b32 vcc_lo, exec_lo, s4
	s_cbranch_vccnz .LBB7_2012
; %bb.2011:
	global_store_b16 v[0:1], v2, off
.LBB7_2012:
	s_mov_b32 s4, 0
.LBB7_2013:
	s_delay_alu instid0(SALU_CYCLE_1)
	s_and_not1_b32 vcc_lo, exec_lo, s4
	s_cbranch_vccnz .LBB7_2021
; %bb.2014:
	v_cndmask_b32_e64 v3, 0, 1.0, s2
	v_mov_b32_e32 v4, 0x80
	s_mov_b32 s4, exec_lo
	s_delay_alu instid0(VALU_DEP_2)
	v_cmpx_gt_u32_e32 0x43800000, v3
	s_cbranch_execz .LBB7_2020
; %bb.2015:
	s_mov_b32 s5, 0
	s_mov_b32 s6, exec_lo
                                        ; implicit-def: $vgpr2
	v_cmpx_lt_u32_e32 0x3bffffff, v3
	s_xor_b32 s6, exec_lo, s6
	s_cbranch_execnz .LBB7_2149
; %bb.2016:
	s_or_saveexec_b32 s6, s6
                                        ; implicit-def: $sgpr7
	s_delay_alu instid0(SALU_CYCLE_1)
	s_xor_b32 exec_lo, exec_lo, s6
	s_cbranch_execnz .LBB7_2150
.LBB7_2017:
	s_or_b32 exec_lo, exec_lo, s6
	v_mov_b32_e32 v4, s7
	s_and_saveexec_b32 s6, s5
.LBB7_2018:
	v_mov_b32_e32 v4, v2
.LBB7_2019:
	s_or_b32 exec_lo, exec_lo, s6
.LBB7_2020:
	s_delay_alu instid0(SALU_CYCLE_1)
	s_or_b32 exec_lo, exec_lo, s4
	global_store_b8 v[0:1], v4, off
.LBB7_2021:
	s_mov_b32 s4, 0
.LBB7_2022:
	s_delay_alu instid0(SALU_CYCLE_1)
	s_and_b32 vcc_lo, exec_lo, s4
	s_cbranch_vccz .LBB7_2062
; %bb.2023:
	v_cmp_lt_i16_e32 vcc_lo, 22, v6
	s_mov_b32 s3, -1
	s_cbranch_vccz .LBB7_2055
; %bb.2024:
	v_cmp_gt_i16_e32 vcc_lo, 24, v6
	s_cbranch_vccnz .LBB7_2044
; %bb.2025:
	v_cmp_lt_i16_e32 vcc_lo, 24, v6
	s_cbranch_vccz .LBB7_2033
; %bb.2026:
	v_cndmask_b32_e64 v3, 0, 1.0, s2
	v_mov_b32_e32 v4, 0x80
	s_mov_b32 s3, exec_lo
	s_delay_alu instid0(VALU_DEP_2)
	v_cmpx_gt_u32_e32 0x47800000, v3
	s_cbranch_execz .LBB7_2032
; %bb.2027:
	s_mov_b32 s4, 0
	s_mov_b32 s5, exec_lo
                                        ; implicit-def: $vgpr2
	v_cmpx_lt_u32_e32 0x37ffffff, v3
	s_xor_b32 s5, exec_lo, s5
	s_cbranch_execnz .LBB7_2153
; %bb.2028:
	s_or_saveexec_b32 s5, s5
                                        ; implicit-def: $sgpr6
	s_delay_alu instid0(SALU_CYCLE_1)
	s_xor_b32 exec_lo, exec_lo, s5
	s_cbranch_execnz .LBB7_2154
.LBB7_2029:
	s_or_b32 exec_lo, exec_lo, s5
	v_mov_b32_e32 v4, s6
	s_and_saveexec_b32 s5, s4
.LBB7_2030:
	v_mov_b32_e32 v4, v2
.LBB7_2031:
	s_or_b32 exec_lo, exec_lo, s5
.LBB7_2032:
	s_delay_alu instid0(SALU_CYCLE_1)
	s_or_b32 exec_lo, exec_lo, s3
	s_mov_b32 s3, 0
	global_store_b8 v[0:1], v4, off
.LBB7_2033:
	s_and_b32 vcc_lo, exec_lo, s3
	s_cbranch_vccz .LBB7_2043
; %bb.2034:
	v_cndmask_b32_e64 v3, 0, 1.0, s2
	s_mov_b32 s3, exec_lo
                                        ; implicit-def: $vgpr2
	s_delay_alu instid0(VALU_DEP_1)
	v_cmpx_gt_u32_e32 0x43f00000, v3
	s_xor_b32 s3, exec_lo, s3
	s_cbranch_execz .LBB7_2040
; %bb.2035:
	s_mov_b32 s4, exec_lo
                                        ; implicit-def: $vgpr2
	v_cmpx_lt_u32_e32 0x3c7fffff, v3
	s_xor_b32 s4, exec_lo, s4
; %bb.2036:
	v_bfe_u32 v2, v3, 20, 1
	s_delay_alu instid0(VALU_DEP_1) | instskip(NEXT) | instid1(VALU_DEP_1)
	v_add3_u32 v2, v3, v2, 0x407ffff
	v_and_b32_e32 v3, 0xff00000, v2
	v_lshrrev_b32_e32 v2, 20, v2
	s_delay_alu instid0(VALU_DEP_2) | instskip(NEXT) | instid1(VALU_DEP_2)
	v_cmp_ne_u32_e32 vcc_lo, 0x7f00000, v3
                                        ; implicit-def: $vgpr3
	v_cndmask_b32_e32 v2, 0x7e, v2, vcc_lo
; %bb.2037:
	s_and_not1_saveexec_b32 s4, s4
; %bb.2038:
	v_add_f32_e32 v2, 0x46800000, v3
; %bb.2039:
	s_or_b32 exec_lo, exec_lo, s4
                                        ; implicit-def: $vgpr3
.LBB7_2040:
	s_and_not1_saveexec_b32 s3, s3
; %bb.2041:
	v_mov_b32_e32 v2, 0x7f
	v_cmp_lt_u32_e32 vcc_lo, 0x7f800000, v3
	s_delay_alu instid0(VALU_DEP_2)
	v_cndmask_b32_e32 v2, 0x7e, v2, vcc_lo
; %bb.2042:
	s_or_b32 exec_lo, exec_lo, s3
	global_store_b8 v[0:1], v2, off
.LBB7_2043:
	s_mov_b32 s3, 0
.LBB7_2044:
	s_delay_alu instid0(SALU_CYCLE_1)
	s_and_not1_b32 vcc_lo, exec_lo, s3
	s_cbranch_vccnz .LBB7_2054
; %bb.2045:
	v_cndmask_b32_e64 v3, 0, 1.0, s2
	s_mov_b32 s3, exec_lo
                                        ; implicit-def: $vgpr2
	s_delay_alu instid0(VALU_DEP_1)
	v_cmpx_gt_u32_e32 0x47800000, v3
	s_xor_b32 s3, exec_lo, s3
	s_cbranch_execz .LBB7_2051
; %bb.2046:
	s_mov_b32 s4, exec_lo
                                        ; implicit-def: $vgpr2
	v_cmpx_lt_u32_e32 0x387fffff, v3
	s_xor_b32 s4, exec_lo, s4
; %bb.2047:
	v_bfe_u32 v2, v3, 21, 1
	s_delay_alu instid0(VALU_DEP_1) | instskip(NEXT) | instid1(VALU_DEP_1)
	v_add3_u32 v2, v3, v2, 0x80fffff
                                        ; implicit-def: $vgpr3
	v_lshrrev_b32_e32 v2, 21, v2
; %bb.2048:
	s_and_not1_saveexec_b32 s4, s4
; %bb.2049:
	v_add_f32_e32 v2, 0x43000000, v3
; %bb.2050:
	s_or_b32 exec_lo, exec_lo, s4
                                        ; implicit-def: $vgpr3
.LBB7_2051:
	s_and_not1_saveexec_b32 s3, s3
; %bb.2052:
	v_mov_b32_e32 v2, 0x7f
	v_cmp_lt_u32_e32 vcc_lo, 0x7f800000, v3
	s_delay_alu instid0(VALU_DEP_2)
	v_cndmask_b32_e32 v2, 0x7c, v2, vcc_lo
; %bb.2053:
	s_or_b32 exec_lo, exec_lo, s3
	global_store_b8 v[0:1], v2, off
.LBB7_2054:
	s_mov_b32 s3, 0
.LBB7_2055:
	s_delay_alu instid0(SALU_CYCLE_1)
	s_and_not1_b32 vcc_lo, exec_lo, s3
	s_mov_b32 s3, 0
	s_cbranch_vccnz .LBB7_2062
; %bb.2056:
	v_cmp_lt_i16_e32 vcc_lo, 14, v6
	s_mov_b32 s3, -1
	s_cbranch_vccz .LBB7_2060
; %bb.2057:
	v_cmp_eq_u16_e32 vcc_lo, 15, v6
	s_mov_b32 s0, -1
	s_cbranch_vccz .LBB7_2059
; %bb.2058:
	v_cndmask_b32_e64 v2, 0, 1.0, s2
	s_mov_b32 s0, 0
	s_delay_alu instid0(VALU_DEP_1) | instskip(NEXT) | instid1(VALU_DEP_1)
	v_bfe_u32 v3, v2, 16, 1
	v_add3_u32 v2, v2, v3, 0x7fff
	global_store_d16_hi_b16 v[0:1], v2, off
.LBB7_2059:
	s_mov_b32 s3, 0
.LBB7_2060:
	s_delay_alu instid0(SALU_CYCLE_1)
	s_and_b32 vcc_lo, exec_lo, s3
	s_mov_b32 s3, 0
	s_cbranch_vccz .LBB7_2062
; %bb.2061:
	v_cmp_ne_u16_e64 s0, 11, v6
	s_mov_b32 s3, -1
.LBB7_2062:
	s_delay_alu instid0(VALU_DEP_1)
	s_and_b32 vcc_lo, exec_lo, s0
	s_cbranch_vccnz .LBB7_2145
.LBB7_2063:
	s_mov_b32 s0, 0
	s_branch .LBB7_2065
.LBB7_2064:
	s_mov_b32 s0, 0
	s_mov_b32 s3, 0
                                        ; implicit-def: $sgpr2
                                        ; implicit-def: $vgpr0_vgpr1
                                        ; implicit-def: $vgpr6
.LBB7_2065:
	s_and_b32 s4, s0, exec_lo
	s_and_not1_b32 s0, s8, exec_lo
	s_and_b32 s1, s1, exec_lo
	s_and_b32 s2, s2, exec_lo
	;; [unrolled: 1-line block ×3, first 2 shown]
	s_or_b32 s8, s0, s1
.LBB7_2066:
	s_or_b32 exec_lo, exec_lo, s9
	s_and_saveexec_b32 s0, s8
	s_cbranch_execnz .LBB7_2070
; %bb.2067:
	s_or_b32 exec_lo, exec_lo, s0
	s_and_saveexec_b32 s0, s26
	s_delay_alu instid0(SALU_CYCLE_1)
	s_xor_b32 s0, exec_lo, s0
	s_cbranch_execnz .LBB7_2071
.LBB7_2068:
	s_or_b32 exec_lo, exec_lo, s0
	s_and_saveexec_b32 s0, s4
	s_cbranch_execnz .LBB7_2072
.LBB7_2069:
	s_nop 0
	s_sendmsg sendmsg(MSG_DEALLOC_VGPRS)
	s_endpgm
.LBB7_2070:
	; divergent unreachable
	s_or_b32 exec_lo, exec_lo, s0
	s_and_saveexec_b32 s0, s26
	s_delay_alu instid0(SALU_CYCLE_1)
	s_xor_b32 s0, exec_lo, s0
	s_cbranch_execz .LBB7_2068
.LBB7_2071:
	v_cndmask_b32_e64 v2, 0, 1, s2
	global_store_b8 v[0:1], v2, off
	s_or_b32 exec_lo, exec_lo, s0
	s_and_saveexec_b32 s0, s4
	s_cbranch_execz .LBB7_2069
.LBB7_2072:
	v_cmp_gt_i16_e32 vcc_lo, 5, v6
	s_mov_b32 s0, -1
	s_cbranch_vccnz .LBB7_2093
; %bb.2073:
	v_cmp_gt_i16_e32 vcc_lo, 8, v6
	s_cbranch_vccnz .LBB7_2083
; %bb.2074:
	v_cmp_gt_i16_e32 vcc_lo, 9, v6
	s_cbranch_vccnz .LBB7_2080
; %bb.2075:
	v_cmp_lt_i16_e32 vcc_lo, 9, v6
	s_cbranch_vccz .LBB7_2077
; %bb.2076:
	v_cndmask_b32_e64 v2, 0, 1, s2
	v_mov_b32_e32 v4, 0
	s_mov_b32 s0, 0
	s_delay_alu instid0(VALU_DEP_2) | instskip(NEXT) | instid1(VALU_DEP_2)
	v_cvt_f64_u32_e32 v[2:3], v2
	v_mov_b32_e32 v5, v4
	global_store_b128 v[0:1], v[2:5], off
.LBB7_2077:
	s_and_not1_b32 vcc_lo, exec_lo, s0
	s_cbranch_vccnz .LBB7_2079
; %bb.2078:
	v_cndmask_b32_e64 v2, 0, 1.0, s2
	v_mov_b32_e32 v3, 0
	global_store_b64 v[0:1], v[2:3], off
.LBB7_2079:
	s_mov_b32 s0, 0
.LBB7_2080:
	s_delay_alu instid0(SALU_CYCLE_1)
	s_and_not1_b32 vcc_lo, exec_lo, s0
	s_cbranch_vccnz .LBB7_2082
; %bb.2081:
	v_cndmask_b32_e64 v2, 0, 1.0, s2
	s_delay_alu instid0(VALU_DEP_1) | instskip(NEXT) | instid1(VALU_DEP_1)
	v_cvt_f16_f32_e32 v2, v2
	v_and_b32_e32 v2, 0xffff, v2
	global_store_b32 v[0:1], v2, off
.LBB7_2082:
	s_mov_b32 s0, 0
.LBB7_2083:
	s_delay_alu instid0(SALU_CYCLE_1)
	s_and_not1_b32 vcc_lo, exec_lo, s0
	s_cbranch_vccnz .LBB7_2092
; %bb.2084:
	v_cmp_gt_i16_e32 vcc_lo, 6, v6
	s_mov_b32 s0, -1
	s_cbranch_vccnz .LBB7_2090
; %bb.2085:
	v_cmp_lt_i16_e32 vcc_lo, 6, v6
	s_cbranch_vccz .LBB7_2087
; %bb.2086:
	v_cndmask_b32_e64 v2, 0, 1, s2
	s_mov_b32 s0, 0
	s_delay_alu instid0(VALU_DEP_1)
	v_cvt_f64_u32_e32 v[2:3], v2
	global_store_b64 v[0:1], v[2:3], off
.LBB7_2087:
	s_and_not1_b32 vcc_lo, exec_lo, s0
	s_cbranch_vccnz .LBB7_2089
; %bb.2088:
	v_cndmask_b32_e64 v2, 0, 1.0, s2
	global_store_b32 v[0:1], v2, off
.LBB7_2089:
	s_mov_b32 s0, 0
.LBB7_2090:
	s_delay_alu instid0(SALU_CYCLE_1)
	s_and_not1_b32 vcc_lo, exec_lo, s0
	s_cbranch_vccnz .LBB7_2092
; %bb.2091:
	v_cndmask_b32_e64 v2, 0, 1.0, s2
	s_delay_alu instid0(VALU_DEP_1)
	v_cvt_f16_f32_e32 v2, v2
	global_store_b16 v[0:1], v2, off
.LBB7_2092:
	s_mov_b32 s0, 0
.LBB7_2093:
	s_delay_alu instid0(SALU_CYCLE_1)
	s_and_not1_b32 vcc_lo, exec_lo, s0
	s_cbranch_vccnz .LBB7_2069
; %bb.2094:
	v_cmp_gt_i16_e32 vcc_lo, 2, v6
	s_mov_b32 s0, -1
	s_cbranch_vccnz .LBB7_2104
; %bb.2095:
	v_cmp_gt_i16_e32 vcc_lo, 3, v6
	s_cbranch_vccnz .LBB7_2101
; %bb.2096:
	v_cmp_lt_i16_e32 vcc_lo, 3, v6
	s_cbranch_vccz .LBB7_2098
; %bb.2097:
	s_mov_b32 s0, 0
	v_cndmask_b32_e64 v2, 0, 1, s2
	v_mov_b32_e32 v3, s0
	global_store_b64 v[0:1], v[2:3], off
.LBB7_2098:
	s_and_not1_b32 vcc_lo, exec_lo, s0
	s_cbranch_vccnz .LBB7_2100
; %bb.2099:
	v_cndmask_b32_e64 v2, 0, 1, s2
	global_store_b32 v[0:1], v2, off
.LBB7_2100:
	s_mov_b32 s0, 0
.LBB7_2101:
	s_delay_alu instid0(SALU_CYCLE_1)
	s_and_not1_b32 vcc_lo, exec_lo, s0
	s_cbranch_vccnz .LBB7_2103
; %bb.2102:
	v_cndmask_b32_e64 v2, 0, 1, s2
	global_store_b16 v[0:1], v2, off
.LBB7_2103:
	s_mov_b32 s0, 0
.LBB7_2104:
	s_delay_alu instid0(SALU_CYCLE_1)
	s_and_not1_b32 vcc_lo, exec_lo, s0
	s_cbranch_vccnz .LBB7_2069
; %bb.2105:
	v_cmp_lt_i16_e32 vcc_lo, 0, v6
	v_cndmask_b32_e64 v2, 0, 1, s2
	s_mov_b32 s0, -1
	s_cbranch_vccz .LBB7_2107
; %bb.2106:
	s_mov_b32 s0, 0
	global_store_b8 v[0:1], v2, off
.LBB7_2107:
	s_and_not1_b32 vcc_lo, exec_lo, s0
	s_cbranch_vccnz .LBB7_2069
; %bb.2108:
	global_store_b8 v[0:1], v2, off
	s_nop 0
	s_sendmsg sendmsg(MSG_DEALLOC_VGPRS)
	s_endpgm
.LBB7_2109:
	s_cbranch_execnz .LBB7_2115
; %bb.2110:
	s_mov_b32 s12, 0
	s_and_not1_b32 s6, s6, exec_lo
	s_or_b32 s1, s1, exec_lo
	s_cbranch_execz .LBB7_1582
	s_branch .LBB7_1583
.LBB7_2111:
	s_mov_b32 s0, -1
	s_mov_b32 s13, exec_lo
                                        ; implicit-def: $sgpr6
	v_cmpx_eq_u16_e32 0x80, v6
; %bb.2112:
	s_mov_b32 s6, -1
	s_xor_b32 s0, exec_lo, -1
; %bb.2113:
	s_or_b32 exec_lo, exec_lo, s13
	s_delay_alu instid0(SALU_CYCLE_1)
	s_and_b32 s0, s0, exec_lo
	s_and_not1_saveexec_b32 s12, s12
	s_cbranch_execz .LBB7_1555
.LBB7_2114:
	v_cmp_ne_u16_e32 vcc_lo, 0, v6
	s_and_not1_b32 s0, s0, exec_lo
	s_and_not1_b32 s6, s6, exec_lo
	s_and_b32 s13, vcc_lo, exec_lo
	s_delay_alu instid0(SALU_CYCLE_1)
	s_or_b32 s0, s0, s13
	s_or_b32 exec_lo, exec_lo, s12
	s_and_saveexec_b32 s12, s0
	s_cbranch_execnz .LBB7_1556
	s_branch .LBB7_1557
.LBB7_2115:
	s_trap 2
	s_sendmsg_rtn_b32 s0, sendmsg(MSG_RTN_GET_DOORBELL)
	s_mov_b32 ttmp2, m0
	s_waitcnt lgkmcnt(0)
	s_and_b32 s0, s0, 0x3ff
	s_delay_alu instid0(SALU_CYCLE_1) | instskip(NEXT) | instid1(SALU_CYCLE_1)
	s_bitset1_b32 s0, 10
	s_mov_b32 m0, s0
	s_sendmsg sendmsg(MSG_INTERRUPT)
	s_mov_b32 m0, ttmp2
.LBB7_2116:                             ; =>This Inner Loop Header: Depth=1
	s_sethalt 5
	s_branch .LBB7_2116
.LBB7_2117:
	s_cbranch_execnz .LBB7_2125
; %bb.2118:
	s_or_b32 s1, s1, exec_lo
	s_cbranch_execz .LBB7_1710
	s_branch .LBB7_1711
.LBB7_2119:
	s_mov_b32 s2, -1
	s_mov_b32 s8, exec_lo
                                        ; implicit-def: $sgpr6
	v_cmpx_eq_u16_e32 0x80, v5
; %bb.2120:
	s_mov_b32 s6, -1
	s_xor_b32 s2, exec_lo, -1
; %bb.2121:
	s_or_b32 exec_lo, exec_lo, s8
	s_delay_alu instid0(SALU_CYCLE_1)
	s_and_b32 s2, s2, exec_lo
	s_and_not1_saveexec_b32 s7, s7
	s_cbranch_execz .LBB7_862
.LBB7_2122:
	v_cmp_ne_u16_e32 vcc_lo, 0, v5
	s_and_not1_b32 s2, s2, exec_lo
	s_and_not1_b32 s6, s6, exec_lo
	s_and_b32 s8, vcc_lo, exec_lo
	s_delay_alu instid0(SALU_CYCLE_1)
	s_or_b32 s2, s2, s8
	s_or_b32 exec_lo, exec_lo, s7
	s_and_saveexec_b32 s7, s2
	s_cbranch_execnz .LBB7_863
	s_branch .LBB7_864
.LBB7_2123:
	v_bfe_u32 v5, v7, 20, 1
	s_mov_b32 s12, exec_lo
	s_delay_alu instid0(VALU_DEP_1) | instskip(NEXT) | instid1(VALU_DEP_1)
	v_add3_u32 v5, v7, v5, 0x487ffff
                                        ; implicit-def: $vgpr7
	v_lshrrev_b32_e32 v5, 20, v5
	s_or_saveexec_b32 s13, s13
                                        ; implicit-def: $sgpr14
	s_delay_alu instid0(SALU_CYCLE_1)
	s_xor_b32 exec_lo, exec_lo, s13
	s_cbranch_execz .LBB7_1662
.LBB7_2124:
	v_add_f32_e32 v5, 0x46000000, v7
	s_and_not1_b32 s12, s12, exec_lo
	s_mov_b32 s14, 0
	s_delay_alu instid0(VALU_DEP_1) | instskip(NEXT) | instid1(VALU_DEP_1)
	v_and_b32_e32 v5, 0xff, v5
	v_cmp_ne_u32_e32 vcc_lo, 0, v5
	s_and_b32 s15, vcc_lo, exec_lo
	s_delay_alu instid0(SALU_CYCLE_1)
	s_or_b32 s12, s12, s15
	s_or_b32 exec_lo, exec_lo, s13
	v_mov_b32_e32 v8, s14
	s_and_saveexec_b32 s13, s12
	s_cbranch_execnz .LBB7_1663
	s_branch .LBB7_1664
.LBB7_2125:
	s_trap 2
	s_sendmsg_rtn_b32 s0, sendmsg(MSG_RTN_GET_DOORBELL)
	s_mov_b32 ttmp2, m0
	s_waitcnt lgkmcnt(0)
	s_and_b32 s0, s0, 0x3ff
	s_delay_alu instid0(SALU_CYCLE_1) | instskip(NEXT) | instid1(SALU_CYCLE_1)
	s_bitset1_b32 s0, 10
	s_mov_b32 m0, s0
	s_sendmsg sendmsg(MSG_INTERRUPT)
	s_mov_b32 m0, ttmp2
.LBB7_2126:                             ; =>This Inner Loop Header: Depth=1
	s_sethalt 5
	s_branch .LBB7_2126
.LBB7_2127:
	s_cbranch_execnz .LBB7_2135
; %bb.2128:
	s_or_b32 s1, s1, exec_lo
	s_cbranch_execz .LBB7_1828
	s_branch .LBB7_1829
.LBB7_2129:
	v_bfe_u32 v6, v7, 21, 1
	s_mov_b32 s23, exec_lo
	s_delay_alu instid0(VALU_DEP_1) | instskip(NEXT) | instid1(VALU_DEP_1)
	v_add3_u32 v6, v7, v6, 0x88fffff
                                        ; implicit-def: $vgpr7
	v_lshrrev_b32_e32 v6, 21, v6
	s_or_saveexec_b32 s41, s41
                                        ; implicit-def: $sgpr42
	s_delay_alu instid0(SALU_CYCLE_1)
	s_xor_b32 exec_lo, exec_lo, s41
	s_cbranch_execz .LBB7_722
.LBB7_2130:
	v_add_f32_e32 v6, 0x42800000, v7
	s_and_not1_b32 s23, s23, exec_lo
	s_mov_b32 s42, 0
	s_delay_alu instid0(VALU_DEP_1) | instskip(NEXT) | instid1(VALU_DEP_1)
	v_and_b32_e32 v6, 0xff, v6
	v_cmp_ne_u32_e32 vcc_lo, 0, v6
	s_and_b32 s43, vcc_lo, exec_lo
	s_delay_alu instid0(SALU_CYCLE_1)
	s_or_b32 s23, s23, s43
	s_or_b32 exec_lo, exec_lo, s41
	v_mov_b32_e32 v8, s42
	s_and_saveexec_b32 s41, s23
	s_cbranch_execnz .LBB7_723
	s_branch .LBB7_724
.LBB7_2131:
	v_bfe_u32 v5, v7, 21, 1
	s_mov_b32 s7, exec_lo
	s_delay_alu instid0(VALU_DEP_1) | instskip(NEXT) | instid1(VALU_DEP_1)
	v_add3_u32 v5, v7, v5, 0x88fffff
                                        ; implicit-def: $vgpr7
	v_lshrrev_b32_e32 v5, 21, v5
	s_or_saveexec_b32 s12, s12
                                        ; implicit-def: $sgpr13
	s_delay_alu instid0(SALU_CYCLE_1)
	s_xor_b32 exec_lo, exec_lo, s12
	s_cbranch_execz .LBB7_1675
.LBB7_2132:
	v_add_f32_e32 v5, 0x42800000, v7
	s_and_not1_b32 s7, s7, exec_lo
	s_mov_b32 s13, 0
	s_delay_alu instid0(VALU_DEP_1) | instskip(NEXT) | instid1(VALU_DEP_1)
	v_and_b32_e32 v5, 0xff, v5
	v_cmp_ne_u32_e32 vcc_lo, 0, v5
	s_and_b32 s14, vcc_lo, exec_lo
	s_delay_alu instid0(SALU_CYCLE_1)
	s_or_b32 s7, s7, s14
	s_or_b32 exec_lo, exec_lo, s12
	v_mov_b32_e32 v8, s13
	s_and_saveexec_b32 s12, s7
	s_cbranch_execnz .LBB7_1676
	s_branch .LBB7_1677
.LBB7_2133:
	v_bfe_u32 v4, v5, 20, 1
	s_mov_b32 s10, exec_lo
	s_delay_alu instid0(VALU_DEP_1) | instskip(NEXT) | instid1(VALU_DEP_1)
	v_add3_u32 v4, v5, v4, 0x487ffff
                                        ; implicit-def: $vgpr5
	v_lshrrev_b32_e32 v4, 20, v4
	s_or_saveexec_b32 s12, s12
                                        ; implicit-def: $sgpr13
	s_delay_alu instid0(SALU_CYCLE_1)
	s_xor_b32 exec_lo, exec_lo, s12
	s_cbranch_execz .LBB7_1780
.LBB7_2134:
	v_add_f32_e32 v4, 0x46000000, v5
	s_and_not1_b32 s10, s10, exec_lo
	s_mov_b32 s13, 0
	s_delay_alu instid0(VALU_DEP_1) | instskip(NEXT) | instid1(VALU_DEP_1)
	v_and_b32_e32 v4, 0xff, v4
	v_cmp_ne_u32_e32 vcc_lo, 0, v4
	s_and_b32 s14, vcc_lo, exec_lo
	s_delay_alu instid0(SALU_CYCLE_1)
	s_or_b32 s10, s10, s14
	s_or_b32 exec_lo, exec_lo, s12
	v_mov_b32_e32 v7, s13
	s_and_saveexec_b32 s12, s10
	s_cbranch_execnz .LBB7_1781
	s_branch .LBB7_1782
.LBB7_2135:
	s_trap 2
	s_sendmsg_rtn_b32 s0, sendmsg(MSG_RTN_GET_DOORBELL)
	s_mov_b32 ttmp2, m0
	s_waitcnt lgkmcnt(0)
	s_and_b32 s0, s0, 0x3ff
	s_delay_alu instid0(SALU_CYCLE_1) | instskip(NEXT) | instid1(SALU_CYCLE_1)
	s_bitset1_b32 s0, 10
	s_mov_b32 m0, s0
	s_sendmsg sendmsg(MSG_INTERRUPT)
	s_mov_b32 m0, ttmp2
.LBB7_2136:                             ; =>This Inner Loop Header: Depth=1
	s_sethalt 5
	s_branch .LBB7_2136
.LBB7_2137:
	s_cbranch_execnz .LBB7_2143
; %bb.2138:
	s_or_b32 s1, s1, exec_lo
	s_cbranch_execz .LBB7_1946
	s_branch .LBB7_1947
.LBB7_2139:
	v_bfe_u32 v4, v5, 21, 1
	s_mov_b32 s7, exec_lo
	s_delay_alu instid0(VALU_DEP_1) | instskip(NEXT) | instid1(VALU_DEP_1)
	v_add3_u32 v4, v5, v4, 0x88fffff
                                        ; implicit-def: $vgpr5
	v_lshrrev_b32_e32 v4, 21, v4
	s_or_saveexec_b32 s10, s10
                                        ; implicit-def: $sgpr12
	s_delay_alu instid0(SALU_CYCLE_1)
	s_xor_b32 exec_lo, exec_lo, s10
	s_cbranch_execz .LBB7_1793
.LBB7_2140:
	v_add_f32_e32 v4, 0x42800000, v5
	s_and_not1_b32 s7, s7, exec_lo
	s_mov_b32 s12, 0
	s_delay_alu instid0(VALU_DEP_1) | instskip(NEXT) | instid1(VALU_DEP_1)
	v_and_b32_e32 v4, 0xff, v4
	v_cmp_ne_u32_e32 vcc_lo, 0, v4
	s_and_b32 s13, vcc_lo, exec_lo
	s_delay_alu instid0(SALU_CYCLE_1)
	s_or_b32 s7, s7, s13
	s_or_b32 exec_lo, exec_lo, s10
	v_mov_b32_e32 v7, s12
	s_and_saveexec_b32 s10, s7
	s_cbranch_execnz .LBB7_1794
	s_branch .LBB7_1795
.LBB7_2141:
	v_bfe_u32 v3, v4, 20, 1
	s_mov_b32 s10, exec_lo
	s_delay_alu instid0(VALU_DEP_1) | instskip(NEXT) | instid1(VALU_DEP_1)
	v_add3_u32 v3, v4, v3, 0x487ffff
                                        ; implicit-def: $vgpr4
	v_lshrrev_b32_e32 v3, 20, v3
	s_or_saveexec_b32 s11, s11
                                        ; implicit-def: $sgpr12
	s_delay_alu instid0(SALU_CYCLE_1)
	s_xor_b32 exec_lo, exec_lo, s11
	s_cbranch_execz .LBB7_1898
.LBB7_2142:
	v_add_f32_e32 v3, 0x46000000, v4
	s_and_not1_b32 s10, s10, exec_lo
	s_mov_b32 s12, 0
	s_delay_alu instid0(VALU_DEP_1) | instskip(NEXT) | instid1(VALU_DEP_1)
	v_and_b32_e32 v3, 0xff, v3
	v_cmp_ne_u32_e32 vcc_lo, 0, v3
	s_and_b32 s13, vcc_lo, exec_lo
	s_delay_alu instid0(SALU_CYCLE_1)
	s_or_b32 s10, s10, s13
	s_or_b32 exec_lo, exec_lo, s11
	v_mov_b32_e32 v5, s12
	s_and_saveexec_b32 s11, s10
	s_cbranch_execnz .LBB7_1899
	s_branch .LBB7_1900
.LBB7_2143:
	s_trap 2
	s_sendmsg_rtn_b32 s0, sendmsg(MSG_RTN_GET_DOORBELL)
	s_mov_b32 ttmp2, m0
	s_waitcnt lgkmcnt(0)
	s_and_b32 s0, s0, 0x3ff
	s_delay_alu instid0(SALU_CYCLE_1) | instskip(NEXT) | instid1(SALU_CYCLE_1)
	s_bitset1_b32 s0, 10
	s_mov_b32 m0, s0
	s_sendmsg sendmsg(MSG_INTERRUPT)
	s_mov_b32 m0, ttmp2
.LBB7_2144:                             ; =>This Inner Loop Header: Depth=1
	s_sethalt 5
	s_branch .LBB7_2144
.LBB7_2145:
	s_cbranch_execnz .LBB7_2151
; %bb.2146:
	s_mov_b32 s3, 0
	s_or_b32 s1, s1, exec_lo
	s_branch .LBB7_2063
.LBB7_2147:
	v_bfe_u32 v3, v4, 21, 1
	s_mov_b32 s7, exec_lo
	s_delay_alu instid0(VALU_DEP_1) | instskip(NEXT) | instid1(VALU_DEP_1)
	v_add3_u32 v3, v4, v3, 0x88fffff
                                        ; implicit-def: $vgpr4
	v_lshrrev_b32_e32 v3, 21, v3
	s_or_saveexec_b32 s10, s10
                                        ; implicit-def: $sgpr11
	s_delay_alu instid0(SALU_CYCLE_1)
	s_xor_b32 exec_lo, exec_lo, s10
	s_cbranch_execz .LBB7_1911
.LBB7_2148:
	v_add_f32_e32 v3, 0x42800000, v4
	s_and_not1_b32 s7, s7, exec_lo
	s_mov_b32 s11, 0
	s_delay_alu instid0(VALU_DEP_1) | instskip(NEXT) | instid1(VALU_DEP_1)
	v_and_b32_e32 v3, 0xff, v3
	v_cmp_ne_u32_e32 vcc_lo, 0, v3
	s_and_b32 s12, vcc_lo, exec_lo
	s_delay_alu instid0(SALU_CYCLE_1)
	s_or_b32 s7, s7, s12
	s_or_b32 exec_lo, exec_lo, s10
	v_mov_b32_e32 v5, s11
	s_and_saveexec_b32 s10, s7
	s_cbranch_execnz .LBB7_1912
	s_branch .LBB7_1913
.LBB7_2149:
	v_bfe_u32 v2, v3, 20, 1
	s_mov_b32 s5, exec_lo
	s_delay_alu instid0(VALU_DEP_1) | instskip(NEXT) | instid1(VALU_DEP_1)
	v_add3_u32 v2, v3, v2, 0x487ffff
                                        ; implicit-def: $vgpr3
	v_lshrrev_b32_e32 v2, 20, v2
	s_or_saveexec_b32 s6, s6
                                        ; implicit-def: $sgpr7
	s_delay_alu instid0(SALU_CYCLE_1)
	s_xor_b32 exec_lo, exec_lo, s6
	s_cbranch_execz .LBB7_2017
.LBB7_2150:
	v_add_f32_e32 v2, 0x46000000, v3
	s_and_not1_b32 s5, s5, exec_lo
	s_mov_b32 s7, 0
	s_delay_alu instid0(VALU_DEP_1) | instskip(NEXT) | instid1(VALU_DEP_1)
	v_and_b32_e32 v2, 0xff, v2
	v_cmp_ne_u32_e32 vcc_lo, 0, v2
	s_and_b32 s10, vcc_lo, exec_lo
	s_delay_alu instid0(SALU_CYCLE_1)
	s_or_b32 s5, s5, s10
	s_or_b32 exec_lo, exec_lo, s6
	v_mov_b32_e32 v4, s7
	s_and_saveexec_b32 s6, s5
	s_cbranch_execnz .LBB7_2018
	s_branch .LBB7_2019
.LBB7_2151:
	s_trap 2
	s_sendmsg_rtn_b32 s0, sendmsg(MSG_RTN_GET_DOORBELL)
	s_mov_b32 ttmp2, m0
	s_waitcnt lgkmcnt(0)
	s_and_b32 s0, s0, 0x3ff
	s_delay_alu instid0(SALU_CYCLE_1) | instskip(NEXT) | instid1(SALU_CYCLE_1)
	s_bitset1_b32 s0, 10
	s_mov_b32 m0, s0
	s_sendmsg sendmsg(MSG_INTERRUPT)
	s_mov_b32 m0, ttmp2
.LBB7_2152:                             ; =>This Inner Loop Header: Depth=1
	s_sethalt 5
	s_branch .LBB7_2152
.LBB7_2153:
	v_bfe_u32 v2, v3, 21, 1
	s_mov_b32 s4, exec_lo
	s_delay_alu instid0(VALU_DEP_1) | instskip(NEXT) | instid1(VALU_DEP_1)
	v_add3_u32 v2, v3, v2, 0x88fffff
                                        ; implicit-def: $vgpr3
	v_lshrrev_b32_e32 v2, 21, v2
	s_or_saveexec_b32 s5, s5
                                        ; implicit-def: $sgpr6
	s_delay_alu instid0(SALU_CYCLE_1)
	s_xor_b32 exec_lo, exec_lo, s5
	s_cbranch_execz .LBB7_2029
.LBB7_2154:
	v_add_f32_e32 v2, 0x42800000, v3
	s_and_not1_b32 s4, s4, exec_lo
	s_mov_b32 s6, 0
	s_delay_alu instid0(VALU_DEP_1) | instskip(NEXT) | instid1(VALU_DEP_1)
	v_and_b32_e32 v2, 0xff, v2
	v_cmp_ne_u32_e32 vcc_lo, 0, v2
	s_and_b32 s7, vcc_lo, exec_lo
	s_delay_alu instid0(SALU_CYCLE_1)
	s_or_b32 s4, s4, s7
	s_or_b32 exec_lo, exec_lo, s5
	v_mov_b32_e32 v4, s6
	s_and_saveexec_b32 s5, s4
	s_cbranch_execnz .LBB7_2030
	s_branch .LBB7_2031
	.section	.rodata,"a",@progbits
	.p2align	6, 0x0
	.amdhsa_kernel _ZN2at6native32elementwise_kernel_manual_unrollILi128ELi4EZNS0_15gpu_kernel_implIZNS0_23bitwise_not_kernel_cudaERNS_18TensorIteratorBaseEEUlbE_EEvS4_RKT_EUlibE0_EEviT1_
		.amdhsa_group_segment_fixed_size 0
		.amdhsa_private_segment_fixed_size 0
		.amdhsa_kernarg_size 360
		.amdhsa_user_sgpr_count 15
		.amdhsa_user_sgpr_dispatch_ptr 0
		.amdhsa_user_sgpr_queue_ptr 0
		.amdhsa_user_sgpr_kernarg_segment_ptr 1
		.amdhsa_user_sgpr_dispatch_id 0
		.amdhsa_user_sgpr_private_segment_size 0
		.amdhsa_wavefront_size32 1
		.amdhsa_uses_dynamic_stack 0
		.amdhsa_enable_private_segment 0
		.amdhsa_system_sgpr_workgroup_id_x 1
		.amdhsa_system_sgpr_workgroup_id_y 0
		.amdhsa_system_sgpr_workgroup_id_z 0
		.amdhsa_system_sgpr_workgroup_info 0
		.amdhsa_system_vgpr_workitem_id 0
		.amdhsa_next_free_vgpr 18
		.amdhsa_next_free_sgpr 68
		.amdhsa_reserve_vcc 1
		.amdhsa_float_round_mode_32 0
		.amdhsa_float_round_mode_16_64 0
		.amdhsa_float_denorm_mode_32 3
		.amdhsa_float_denorm_mode_16_64 3
		.amdhsa_dx10_clamp 1
		.amdhsa_ieee_mode 1
		.amdhsa_fp16_overflow 0
		.amdhsa_workgroup_processor_mode 1
		.amdhsa_memory_ordered 1
		.amdhsa_forward_progress 0
		.amdhsa_shared_vgpr_count 0
		.amdhsa_exception_fp_ieee_invalid_op 0
		.amdhsa_exception_fp_denorm_src 0
		.amdhsa_exception_fp_ieee_div_zero 0
		.amdhsa_exception_fp_ieee_overflow 0
		.amdhsa_exception_fp_ieee_underflow 0
		.amdhsa_exception_fp_ieee_inexact 0
		.amdhsa_exception_int_div_zero 0
	.end_amdhsa_kernel
	.section	.text._ZN2at6native32elementwise_kernel_manual_unrollILi128ELi4EZNS0_15gpu_kernel_implIZNS0_23bitwise_not_kernel_cudaERNS_18TensorIteratorBaseEEUlbE_EEvS4_RKT_EUlibE0_EEviT1_,"axG",@progbits,_ZN2at6native32elementwise_kernel_manual_unrollILi128ELi4EZNS0_15gpu_kernel_implIZNS0_23bitwise_not_kernel_cudaERNS_18TensorIteratorBaseEEUlbE_EEvS4_RKT_EUlibE0_EEviT1_,comdat
.Lfunc_end7:
	.size	_ZN2at6native32elementwise_kernel_manual_unrollILi128ELi4EZNS0_15gpu_kernel_implIZNS0_23bitwise_not_kernel_cudaERNS_18TensorIteratorBaseEEUlbE_EEvS4_RKT_EUlibE0_EEviT1_, .Lfunc_end7-_ZN2at6native32elementwise_kernel_manual_unrollILi128ELi4EZNS0_15gpu_kernel_implIZNS0_23bitwise_not_kernel_cudaERNS_18TensorIteratorBaseEEUlbE_EEvS4_RKT_EUlibE0_EEviT1_
                                        ; -- End function
	.section	.AMDGPU.csdata,"",@progbits
; Kernel info:
; codeLenInByte = 40420
; NumSgprs: 70
; NumVgprs: 18
; ScratchSize: 0
; MemoryBound: 1
; FloatMode: 240
; IeeeMode: 1
; LDSByteSize: 0 bytes/workgroup (compile time only)
; SGPRBlocks: 8
; VGPRBlocks: 2
; NumSGPRsForWavesPerEU: 70
; NumVGPRsForWavesPerEU: 18
; Occupancy: 16
; WaveLimiterHint : 1
; COMPUTE_PGM_RSRC2:SCRATCH_EN: 0
; COMPUTE_PGM_RSRC2:USER_SGPR: 15
; COMPUTE_PGM_RSRC2:TRAP_HANDLER: 0
; COMPUTE_PGM_RSRC2:TGID_X_EN: 1
; COMPUTE_PGM_RSRC2:TGID_Y_EN: 0
; COMPUTE_PGM_RSRC2:TGID_Z_EN: 0
; COMPUTE_PGM_RSRC2:TIDIG_COMP_CNT: 0
	.section	.text._ZN2at6native29vectorized_elementwise_kernelILi16EZZZNS0_23bitwise_not_kernel_cudaERNS_18TensorIteratorBaseEENKUlvE_clEvENKUlvE_clEvEUlhE_St5arrayIPcLm2EEEEviT0_T1_,"axG",@progbits,_ZN2at6native29vectorized_elementwise_kernelILi16EZZZNS0_23bitwise_not_kernel_cudaERNS_18TensorIteratorBaseEENKUlvE_clEvENKUlvE_clEvEUlhE_St5arrayIPcLm2EEEEviT0_T1_,comdat
	.globl	_ZN2at6native29vectorized_elementwise_kernelILi16EZZZNS0_23bitwise_not_kernel_cudaERNS_18TensorIteratorBaseEENKUlvE_clEvENKUlvE_clEvEUlhE_St5arrayIPcLm2EEEEviT0_T1_ ; -- Begin function _ZN2at6native29vectorized_elementwise_kernelILi16EZZZNS0_23bitwise_not_kernel_cudaERNS_18TensorIteratorBaseEENKUlvE_clEvENKUlvE_clEvEUlhE_St5arrayIPcLm2EEEEviT0_T1_
	.p2align	8
	.type	_ZN2at6native29vectorized_elementwise_kernelILi16EZZZNS0_23bitwise_not_kernel_cudaERNS_18TensorIteratorBaseEENKUlvE_clEvENKUlvE_clEvEUlhE_St5arrayIPcLm2EEEEviT0_T1_,@function
_ZN2at6native29vectorized_elementwise_kernelILi16EZZZNS0_23bitwise_not_kernel_cudaERNS_18TensorIteratorBaseEENKUlvE_clEvENKUlvE_clEvEUlhE_St5arrayIPcLm2EEEEviT0_T1_: ; @_ZN2at6native29vectorized_elementwise_kernelILi16EZZZNS0_23bitwise_not_kernel_cudaERNS_18TensorIteratorBaseEENKUlvE_clEvENKUlvE_clEvEUlhE_St5arrayIPcLm2EEEEviT0_T1_
; %bb.0:
	s_clause 0x1
	s_load_b32 s2, s[0:1], 0x0
	s_load_b128 s[4:7], s[0:1], 0x8
	s_lshl_b32 s1, s15, 12
	s_mov_b32 s0, -1
	s_waitcnt lgkmcnt(0)
	s_sub_i32 s2, s2, s1
	s_delay_alu instid0(SALU_CYCLE_1)
	s_cmpk_gt_i32 s2, 0xfff
	s_cbranch_scc0 .LBB8_2
; %bb.1:
	v_lshlrev_b32_e32 v5, 4, v0
	s_ashr_i32 s0, s1, 31
	s_add_u32 s8, s6, s1
	s_addc_u32 s9, s7, s0
	global_load_b128 v[1:4], v5, s[8:9]
	s_add_u32 s8, s4, s1
	s_addc_u32 s9, s5, s0
	s_mov_b32 s0, 0
	s_waitcnt vmcnt(0)
	v_lshrrev_b32_e32 v6, 8, v1
	v_lshrrev_b32_e32 v7, 16, v1
	;; [unrolled: 1-line block ×12, first 2 shown]
	v_xor_b32_e32 v1, -1, v1
	v_xor_b32_e32 v2, -1, v2
	;; [unrolled: 1-line block ×16, first 2 shown]
	v_and_b32_e32 v4, 0xff, v4
	v_and_b32_e32 v3, 0xff, v3
	;; [unrolled: 1-line block ×4, first 2 shown]
	v_lshlrev_b16 v15, 8, v15
	v_lshlrev_b16 v17, 8, v17
	v_and_b32_e32 v16, 0xff, v16
	v_lshlrev_b16 v12, 8, v12
	v_lshlrev_b16 v14, 8, v14
	v_and_b32_e32 v13, 0xff, v13
	;; [unrolled: 3-line block ×4, first 2 shown]
	v_or_b32_e32 v4, v4, v15
	v_or_b32_e32 v15, v16, v17
	;; [unrolled: 1-line block ×8, first 2 shown]
	v_and_b32_e32 v4, 0xffff, v4
	v_lshlrev_b32_e32 v7, 16, v15
	v_and_b32_e32 v3, 0xffff, v3
	v_lshlrev_b32_e32 v8, 16, v12
	;; [unrolled: 2-line block ×4, first 2 shown]
	v_or_b32_e32 v4, v4, v7
	v_or_b32_e32 v3, v3, v8
	;; [unrolled: 1-line block ×3, first 2 shown]
	s_delay_alu instid0(VALU_DEP_4)
	v_or_b32_e32 v1, v1, v6
	global_store_b128 v5, v[1:4], s[8:9]
.LBB8_2:
	s_and_not1_b32 vcc_lo, exec_lo, s0
	s_cbranch_vccnz .LBB8_52
; %bb.3:
	v_cmp_gt_i32_e32 vcc_lo, s2, v0
	v_dual_mov_b32 v4, 0 :: v_dual_mov_b32 v5, 0
	v_or_b32_e32 v1, s1, v0
	v_or_b32_e32 v2, 0x100, v0
	v_mov_b32_e32 v6, v0
	s_and_saveexec_b32 s0, vcc_lo
	s_cbranch_execz .LBB8_5
; %bb.4:
	global_load_u8 v5, v1, s[6:7]
	v_or_b32_e32 v6, 0x100, v0
.LBB8_5:
	s_or_b32 exec_lo, exec_lo, s0
	s_delay_alu instid0(SALU_CYCLE_1) | instskip(NEXT) | instid1(VALU_DEP_1)
	s_mov_b32 s3, exec_lo
	v_cmpx_gt_i32_e64 s2, v6
	s_cbranch_execz .LBB8_7
; %bb.6:
	v_add_nc_u32_e32 v3, s1, v6
	v_add_nc_u32_e32 v6, 0x100, v6
	global_load_u8 v4, v3, s[6:7]
.LBB8_7:
	s_or_b32 exec_lo, exec_lo, s3
	v_dual_mov_b32 v7, 0 :: v_dual_mov_b32 v8, 0
	s_mov_b32 s3, exec_lo
	v_cmpx_gt_i32_e64 s2, v6
	s_cbranch_execz .LBB8_9
; %bb.8:
	v_add_nc_u32_e32 v3, s1, v6
	v_add_nc_u32_e32 v6, 0x100, v6
	global_load_u8 v8, v3, s[6:7]
.LBB8_9:
	s_or_b32 exec_lo, exec_lo, s3
	s_delay_alu instid0(SALU_CYCLE_1)
	s_mov_b32 s3, exec_lo
	v_cmpx_gt_i32_e64 s2, v6
	s_cbranch_execz .LBB8_11
; %bb.10:
	v_add_nc_u32_e32 v3, s1, v6
	v_add_nc_u32_e32 v6, 0x100, v6
	global_load_u8 v7, v3, s[6:7]
.LBB8_11:
	s_or_b32 exec_lo, exec_lo, s3
	v_dual_mov_b32 v10, 0 :: v_dual_mov_b32 v11, 0
	s_mov_b32 s3, exec_lo
	v_cmpx_gt_i32_e64 s2, v6
	s_cbranch_execz .LBB8_13
; %bb.12:
	v_add_nc_u32_e32 v3, s1, v6
	v_add_nc_u32_e32 v6, 0x100, v6
	global_load_u8 v11, v3, s[6:7]
.LBB8_13:
	s_or_b32 exec_lo, exec_lo, s3
	s_delay_alu instid0(SALU_CYCLE_1)
	s_mov_b32 s3, exec_lo
	v_cmpx_gt_i32_e64 s2, v6
	s_cbranch_execz .LBB8_15
; %bb.14:
	v_add_nc_u32_e32 v3, s1, v6
	v_add_nc_u32_e32 v6, 0x100, v6
	global_load_u8 v10, v3, s[6:7]
.LBB8_15:
	s_or_b32 exec_lo, exec_lo, s3
	v_dual_mov_b32 v3, 0 :: v_dual_mov_b32 v12, 0
	s_mov_b32 s3, exec_lo
	v_cmpx_gt_i32_e64 s2, v6
	s_cbranch_execz .LBB8_17
; %bb.16:
	v_add_nc_u32_e32 v9, s1, v6
	v_add_nc_u32_e32 v6, 0x100, v6
	global_load_u8 v12, v9, s[6:7]
.LBB8_17:
	s_or_b32 exec_lo, exec_lo, s3
	s_delay_alu instid0(SALU_CYCLE_1)
	s_mov_b32 s3, exec_lo
	v_cmpx_gt_i32_e64 s2, v6
	s_cbranch_execz .LBB8_19
; %bb.18:
	v_add_nc_u32_e32 v3, s1, v6
	v_add_nc_u32_e32 v6, 0x100, v6
	global_load_u8 v3, v3, s[6:7]
.LBB8_19:
	s_or_b32 exec_lo, exec_lo, s3
	v_dual_mov_b32 v14, 0 :: v_dual_mov_b32 v15, 0
	s_mov_b32 s3, exec_lo
	v_cmpx_gt_i32_e64 s2, v6
	s_cbranch_execz .LBB8_21
; %bb.20:
	v_add_nc_u32_e32 v9, s1, v6
	v_add_nc_u32_e32 v6, 0x100, v6
	global_load_u8 v15, v9, s[6:7]
.LBB8_21:
	s_or_b32 exec_lo, exec_lo, s3
	s_delay_alu instid0(SALU_CYCLE_1)
	s_mov_b32 s3, exec_lo
	v_cmpx_gt_i32_e64 s2, v6
	s_cbranch_execz .LBB8_23
; %bb.22:
	v_add_nc_u32_e32 v9, s1, v6
	v_add_nc_u32_e32 v6, 0x100, v6
	global_load_u8 v14, v9, s[6:7]
.LBB8_23:
	s_or_b32 exec_lo, exec_lo, s3
	v_mov_b32_e32 v9, 0
	v_mov_b32_e32 v13, 0
	s_mov_b32 s3, exec_lo
	v_cmpx_gt_i32_e64 s2, v6
	s_cbranch_execz .LBB8_25
; %bb.24:
	v_add_nc_u32_e32 v13, s1, v6
	v_add_nc_u32_e32 v6, 0x100, v6
	global_load_u8 v13, v13, s[6:7]
.LBB8_25:
	s_or_b32 exec_lo, exec_lo, s3
	s_delay_alu instid0(SALU_CYCLE_1)
	s_mov_b32 s3, exec_lo
	v_cmpx_gt_i32_e64 s2, v6
	s_cbranch_execz .LBB8_27
; %bb.26:
	v_add_nc_u32_e32 v9, s1, v6
	v_add_nc_u32_e32 v6, 0x100, v6
	global_load_u8 v9, v9, s[6:7]
.LBB8_27:
	s_or_b32 exec_lo, exec_lo, s3
	v_mov_b32_e32 v17, 0
	v_mov_b32_e32 v19, 0
	s_mov_b32 s3, exec_lo
	v_cmpx_gt_i32_e64 s2, v6
	s_cbranch_execz .LBB8_29
; %bb.28:
	v_add_nc_u32_e32 v16, s1, v6
	v_add_nc_u32_e32 v6, 0x100, v6
	global_load_u8 v19, v16, s[6:7]
.LBB8_29:
	s_or_b32 exec_lo, exec_lo, s3
	s_delay_alu instid0(SALU_CYCLE_1)
	;; [unrolled: 21-line block ×3, first 2 shown]
	s_mov_b32 s3, exec_lo
	v_cmpx_gt_i32_e64 s2, v6
	s_cbranch_execz .LBB8_35
; %bb.34:
	v_add_nc_u32_e32 v6, s1, v6
	global_load_u8 v16, v6, s[6:7]
.LBB8_35:
	s_or_b32 exec_lo, exec_lo, s3
	s_waitcnt vmcnt(0)
	v_xor_b32_e32 v5, -1, v5
	v_xor_b32_e32 v4, -1, v4
	;; [unrolled: 1-line block ×3, first 2 shown]
	v_or_b32_e32 v20, 0x400, v0
	v_xor_b32_e32 v8, -1, v8
	v_and_b32_e32 v5, 0xff, v5
	v_lshlrev_b16 v4, 8, v4
	v_perm_b32 v11, v11, 0, 0x3020104
	v_cmp_gt_i32_e64 s0, s2, v20
	v_and_b32_e32 v8, 0xff, v8
	v_or_b32_e32 v6, 0x200, v0
	v_or_b32_e32 v4, v5, v4
	v_and_b32_e32 v5, 0xffff, v5
	v_cndmask_b32_e64 v11, 0, v11, s0
	v_cmp_gt_i32_e64 s0, s2, v2
	v_xor_b32_e32 v10, -1, v10
	v_and_b32_e32 v4, 0xffff, v4
	v_lshlrev_b32_e32 v8, 16, v8
	v_and_b32_e32 v20, 0xff, v11
	v_xor_b32_e32 v15, -1, v15
	v_lshlrev_b16 v10, 8, v10
	v_cndmask_b32_e64 v4, v5, v4, s0
	v_cmp_gt_i32_e64 s0, s2, v6
	v_xor_b32_e32 v6, -1, v14
	v_or_b32_e32 v14, 0xc00, v0
	v_or_b32_e32 v10, v20, v10
	;; [unrolled: 1-line block ×4, first 2 shown]
	v_xor_b32_e32 v17, -1, v17
	v_or_b32_e32 v21, 0x600, v0
	v_and_b32_e32 v10, 0xffff, v10
	v_cndmask_b32_e64 v4, v4, v8, s0
	v_xor_b32_e32 v8, -1, v19
	v_cmp_gt_i32_e64 s0, s2, v14
	v_xor_b32_e32 v12, -1, v12
	v_and_or_b32 v10, 0xffff0000, v11, v10
	v_and_b32_e32 v14, 0xff, v15
	v_perm_b32 v8, v8, 0, 0x3020104
	v_lshlrev_b16 v6, 8, v6
	v_xor_b32_e32 v7, -1, v7
	v_lshrrev_b32_e32 v19, 16, v4
	v_xor_b32_e32 v3, -1, v3
	v_cndmask_b32_e64 v8, 0, v8, s0
	v_cmp_gt_i32_e64 s0, s2, v5
	v_or_b32_e32 v6, v14, v6
	v_lshlrev_b16 v7, 8, v7
	v_and_b32_e32 v19, 0xff, v19
	v_lshlrev_b16 v3, 8, v3
	v_cndmask_b32_e64 v5, v11, v10, s0
	v_lshlrev_b16 v10, 8, v17
	v_and_b32_e32 v11, 0xff, v8
	v_cmp_gt_i32_e64 s0, s2, v21
	v_and_b32_e32 v6, 0xffff, v6
	v_perm_b32 v12, v5, v12, 0x7000504
	v_or_b32_e32 v7, v19, v7
	v_or_b32_e32 v10, v11, v10
	v_xor_b32_e32 v11, -1, v13
	v_or_b32_e32 v13, 0x900, v0
	v_cndmask_b32_e64 v5, v5, v12, s0
	v_and_b32_e32 v12, 0xffff, v14
	v_and_b32_e32 v10, 0xffff, v10
	v_and_b32_e32 v11, 0xff, v11
	v_or_b32_e32 v14, 0xd00, v0
	v_cmp_gt_i32_e64 s0, s2, v13
	v_or_b32_e32 v13, 0xa00, v0
	v_and_or_b32 v10, 0xffff0000, v8, v10
	v_lshlrev_b32_e32 v11, 16, v11
	v_lshlrev_b32_e32 v7, 16, v7
	v_cndmask_b32_e64 v6, v12, v6, s0
	v_cmp_gt_i32_e64 s0, s2, v14
	v_or_b32_e32 v14, 0xe00, v0
	v_lshrrev_b32_e32 v12, 16, v5
	v_xor_b32_e32 v9, -1, v9
	v_or_b32_e32 v11, v6, v11
	v_cndmask_b32_e64 v8, v8, v10, s0
	v_xor_b32_e32 v10, -1, v18
	v_cmp_gt_i32_e64 s0, s2, v13
	v_xor_b32_e32 v13, -1, v16
	v_lshlrev_b16 v9, 8, v9
	v_and_or_b32 v7, 0xffff, v4, v7
	v_perm_b32 v10, v8, v10, 0x7000504
	v_cndmask_b32_e64 v11, v6, v11, s0
	v_cmp_gt_i32_e64 s0, s2, v14
	v_and_b32_e32 v6, 0xff, v12
	s_delay_alu instid0(VALU_DEP_2) | instskip(NEXT) | instid1(VALU_DEP_4)
	v_cndmask_b32_e64 v8, v8, v10, s0
	v_lshrrev_b32_e32 v10, 16, v11
	s_delay_alu instid0(VALU_DEP_3) | instskip(NEXT) | instid1(VALU_DEP_3)
	v_or_b32_e32 v3, v6, v3
	v_lshrrev_b32_e32 v12, 16, v8
	s_delay_alu instid0(VALU_DEP_3) | instskip(NEXT) | instid1(VALU_DEP_3)
	v_and_b32_e32 v6, 0xff, v10
	v_lshlrev_b32_e32 v3, 16, v3
	s_delay_alu instid0(VALU_DEP_3) | instskip(SKIP_4) | instid1(VALU_DEP_4)
	v_and_b32_e32 v10, 0xff, v12
	v_lshlrev_b16 v12, 8, v13
	v_or_b32_e32 v13, 0x300, v0
	v_or_b32_e32 v9, v6, v9
	v_and_or_b32 v3, 0xffff, v5, v3
	v_or_b32_e32 v10, v10, v12
	s_delay_alu instid0(VALU_DEP_4) | instskip(SKIP_1) | instid1(VALU_DEP_2)
	v_cmp_gt_i32_e64 s0, s2, v13
	v_or_b32_e32 v12, 0xf00, v0
	v_cndmask_b32_e64 v6, v4, v7, s0
	v_or_b32_e32 v7, 0x700, v0
	v_lshlrev_b32_e32 v4, 16, v9
	v_lshlrev_b32_e32 v9, 16, v10
	v_or_b32_e32 v10, 0xb00, v0
	s_delay_alu instid0(VALU_DEP_4) | instskip(NEXT) | instid1(VALU_DEP_4)
	v_cmp_gt_i32_e64 s0, s2, v7
	v_and_or_b32 v4, 0xffff, v11, v4
	s_delay_alu instid0(VALU_DEP_4) | instskip(NEXT) | instid1(VALU_DEP_3)
	v_and_or_b32 v9, 0xffff, v8, v9
	v_cndmask_b32_e64 v5, v5, v3, s0
	v_cmp_gt_i32_e64 s0, s2, v10
	s_delay_alu instid0(VALU_DEP_1) | instskip(SKIP_1) | instid1(VALU_DEP_1)
	v_cndmask_b32_e64 v4, v11, v4, s0
	v_cmp_gt_i32_e64 s0, s2, v12
	v_cndmask_b32_e64 v3, v8, v9, s0
	s_and_saveexec_b32 s0, vcc_lo
	s_cbranch_execnz .LBB8_53
; %bb.36:
	s_or_b32 exec_lo, exec_lo, s0
	s_delay_alu instid0(SALU_CYCLE_1)
	s_mov_b32 s0, exec_lo
	v_cmpx_gt_i32_e64 s2, v0
	s_cbranch_execnz .LBB8_54
.LBB8_37:
	s_or_b32 exec_lo, exec_lo, s0
	s_delay_alu instid0(SALU_CYCLE_1)
	s_mov_b32 s0, exec_lo
	v_cmpx_gt_i32_e64 s2, v0
	s_cbranch_execnz .LBB8_55
.LBB8_38:
	s_or_b32 exec_lo, exec_lo, s0
	s_delay_alu instid0(SALU_CYCLE_1)
	s_mov_b32 s0, exec_lo
	v_cmpx_gt_i32_e64 s2, v0
	s_cbranch_execnz .LBB8_56
.LBB8_39:
	s_or_b32 exec_lo, exec_lo, s0
	s_delay_alu instid0(SALU_CYCLE_1)
	s_mov_b32 s0, exec_lo
	v_cmpx_gt_i32_e64 s2, v0
	s_cbranch_execnz .LBB8_57
.LBB8_40:
	s_or_b32 exec_lo, exec_lo, s0
	s_delay_alu instid0(SALU_CYCLE_1)
	s_mov_b32 s0, exec_lo
	v_cmpx_gt_i32_e64 s2, v0
	s_cbranch_execnz .LBB8_58
.LBB8_41:
	s_or_b32 exec_lo, exec_lo, s0
	s_delay_alu instid0(SALU_CYCLE_1)
	s_mov_b32 s0, exec_lo
	v_cmpx_gt_i32_e64 s2, v0
	s_cbranch_execnz .LBB8_59
.LBB8_42:
	s_or_b32 exec_lo, exec_lo, s0
	s_delay_alu instid0(SALU_CYCLE_1)
	s_mov_b32 s0, exec_lo
	v_cmpx_gt_i32_e64 s2, v0
	s_cbranch_execnz .LBB8_60
.LBB8_43:
	s_or_b32 exec_lo, exec_lo, s0
	s_delay_alu instid0(SALU_CYCLE_1)
	s_mov_b32 s0, exec_lo
	v_cmpx_gt_i32_e64 s2, v0
	s_cbranch_execnz .LBB8_61
.LBB8_44:
	s_or_b32 exec_lo, exec_lo, s0
	s_delay_alu instid0(SALU_CYCLE_1)
	s_mov_b32 s0, exec_lo
	v_cmpx_gt_i32_e64 s2, v0
	s_cbranch_execnz .LBB8_62
.LBB8_45:
	s_or_b32 exec_lo, exec_lo, s0
	s_delay_alu instid0(SALU_CYCLE_1)
	s_mov_b32 s0, exec_lo
	v_cmpx_gt_i32_e64 s2, v0
	s_cbranch_execnz .LBB8_63
.LBB8_46:
	s_or_b32 exec_lo, exec_lo, s0
	s_delay_alu instid0(SALU_CYCLE_1)
	s_mov_b32 s0, exec_lo
	v_cmpx_gt_i32_e64 s2, v0
	s_cbranch_execnz .LBB8_64
.LBB8_47:
	s_or_b32 exec_lo, exec_lo, s0
	s_delay_alu instid0(SALU_CYCLE_1)
	s_mov_b32 s0, exec_lo
	v_cmpx_gt_i32_e64 s2, v0
	s_cbranch_execnz .LBB8_65
.LBB8_48:
	s_or_b32 exec_lo, exec_lo, s0
	s_delay_alu instid0(SALU_CYCLE_1)
	s_mov_b32 s0, exec_lo
	v_cmpx_gt_i32_e64 s2, v0
	s_cbranch_execnz .LBB8_66
.LBB8_49:
	s_or_b32 exec_lo, exec_lo, s0
	s_delay_alu instid0(SALU_CYCLE_1)
	s_mov_b32 s0, exec_lo
	v_cmpx_gt_i32_e64 s2, v0
	s_cbranch_execnz .LBB8_67
.LBB8_50:
	s_or_b32 exec_lo, exec_lo, s0
	s_delay_alu instid0(SALU_CYCLE_1)
	s_mov_b32 s0, exec_lo
	v_cmpx_gt_i32_e64 s2, v0
	s_cbranch_execz .LBB8_52
.LBB8_51:
	v_add_nc_u32_e32 v0, s1, v0
	v_lshrrev_b32_e32 v1, 24, v3
	global_store_b8 v0, v1, s[4:5]
.LBB8_52:
	s_nop 0
	s_sendmsg sendmsg(MSG_DEALLOC_VGPRS)
	s_endpgm
.LBB8_53:
	v_mov_b32_e32 v0, v2
	global_store_b8 v1, v6, s[4:5]
	s_or_b32 exec_lo, exec_lo, s0
	s_delay_alu instid0(SALU_CYCLE_1)
	s_mov_b32 s0, exec_lo
	v_cmpx_gt_i32_e64 s2, v0
	s_cbranch_execz .LBB8_37
.LBB8_54:
	v_add_nc_u32_e32 v1, s1, v0
	v_lshrrev_b32_e32 v2, 8, v6
	v_add_nc_u32_e32 v0, 0x100, v0
	global_store_b8 v1, v2, s[4:5]
	s_or_b32 exec_lo, exec_lo, s0
	s_delay_alu instid0(SALU_CYCLE_1)
	s_mov_b32 s0, exec_lo
	v_cmpx_gt_i32_e64 s2, v0
	s_cbranch_execz .LBB8_38
.LBB8_55:
	v_add_nc_u32_e32 v1, s1, v0
	v_add_nc_u32_e32 v0, 0x100, v0
	global_store_d16_hi_b8 v1, v6, s[4:5]
	s_or_b32 exec_lo, exec_lo, s0
	s_delay_alu instid0(SALU_CYCLE_1)
	s_mov_b32 s0, exec_lo
	v_cmpx_gt_i32_e64 s2, v0
	s_cbranch_execz .LBB8_39
.LBB8_56:
	v_add_nc_u32_e32 v1, s1, v0
	v_lshrrev_b32_e32 v2, 24, v6
	v_add_nc_u32_e32 v0, 0x100, v0
	global_store_b8 v1, v2, s[4:5]
	s_or_b32 exec_lo, exec_lo, s0
	s_delay_alu instid0(SALU_CYCLE_1)
	s_mov_b32 s0, exec_lo
	v_cmpx_gt_i32_e64 s2, v0
	s_cbranch_execz .LBB8_40
.LBB8_57:
	v_add_nc_u32_e32 v1, s1, v0
	v_add_nc_u32_e32 v0, 0x100, v0
	global_store_b8 v1, v5, s[4:5]
	s_or_b32 exec_lo, exec_lo, s0
	s_delay_alu instid0(SALU_CYCLE_1)
	s_mov_b32 s0, exec_lo
	v_cmpx_gt_i32_e64 s2, v0
	s_cbranch_execz .LBB8_41
.LBB8_58:
	v_add_nc_u32_e32 v1, s1, v0
	v_lshrrev_b32_e32 v2, 8, v5
	v_add_nc_u32_e32 v0, 0x100, v0
	global_store_b8 v1, v2, s[4:5]
	s_or_b32 exec_lo, exec_lo, s0
	s_delay_alu instid0(SALU_CYCLE_1)
	s_mov_b32 s0, exec_lo
	v_cmpx_gt_i32_e64 s2, v0
	s_cbranch_execz .LBB8_42
.LBB8_59:
	v_add_nc_u32_e32 v1, s1, v0
	v_add_nc_u32_e32 v0, 0x100, v0
	global_store_d16_hi_b8 v1, v5, s[4:5]
	s_or_b32 exec_lo, exec_lo, s0
	s_delay_alu instid0(SALU_CYCLE_1)
	s_mov_b32 s0, exec_lo
	v_cmpx_gt_i32_e64 s2, v0
	s_cbranch_execz .LBB8_43
.LBB8_60:
	v_add_nc_u32_e32 v1, s1, v0
	v_lshrrev_b32_e32 v2, 24, v5
	v_add_nc_u32_e32 v0, 0x100, v0
	global_store_b8 v1, v2, s[4:5]
	s_or_b32 exec_lo, exec_lo, s0
	s_delay_alu instid0(SALU_CYCLE_1)
	s_mov_b32 s0, exec_lo
	v_cmpx_gt_i32_e64 s2, v0
	s_cbranch_execz .LBB8_44
.LBB8_61:
	v_add_nc_u32_e32 v1, s1, v0
	v_add_nc_u32_e32 v0, 0x100, v0
	global_store_b8 v1, v4, s[4:5]
	s_or_b32 exec_lo, exec_lo, s0
	s_delay_alu instid0(SALU_CYCLE_1)
	s_mov_b32 s0, exec_lo
	v_cmpx_gt_i32_e64 s2, v0
	s_cbranch_execz .LBB8_45
.LBB8_62:
	v_add_nc_u32_e32 v1, s1, v0
	v_lshrrev_b32_e32 v2, 8, v4
	v_add_nc_u32_e32 v0, 0x100, v0
	global_store_b8 v1, v2, s[4:5]
	s_or_b32 exec_lo, exec_lo, s0
	s_delay_alu instid0(SALU_CYCLE_1)
	s_mov_b32 s0, exec_lo
	v_cmpx_gt_i32_e64 s2, v0
	s_cbranch_execz .LBB8_46
.LBB8_63:
	v_add_nc_u32_e32 v1, s1, v0
	v_add_nc_u32_e32 v0, 0x100, v0
	global_store_d16_hi_b8 v1, v4, s[4:5]
	s_or_b32 exec_lo, exec_lo, s0
	s_delay_alu instid0(SALU_CYCLE_1)
	s_mov_b32 s0, exec_lo
	v_cmpx_gt_i32_e64 s2, v0
	s_cbranch_execz .LBB8_47
.LBB8_64:
	v_add_nc_u32_e32 v1, s1, v0
	v_lshrrev_b32_e32 v2, 24, v4
	v_add_nc_u32_e32 v0, 0x100, v0
	global_store_b8 v1, v2, s[4:5]
	s_or_b32 exec_lo, exec_lo, s0
	s_delay_alu instid0(SALU_CYCLE_1)
	s_mov_b32 s0, exec_lo
	v_cmpx_gt_i32_e64 s2, v0
	s_cbranch_execz .LBB8_48
.LBB8_65:
	v_add_nc_u32_e32 v1, s1, v0
	v_add_nc_u32_e32 v0, 0x100, v0
	global_store_b8 v1, v3, s[4:5]
	s_or_b32 exec_lo, exec_lo, s0
	s_delay_alu instid0(SALU_CYCLE_1)
	s_mov_b32 s0, exec_lo
	v_cmpx_gt_i32_e64 s2, v0
	s_cbranch_execz .LBB8_49
.LBB8_66:
	v_add_nc_u32_e32 v1, s1, v0
	v_lshrrev_b32_e32 v2, 8, v3
	v_add_nc_u32_e32 v0, 0x100, v0
	global_store_b8 v1, v2, s[4:5]
	s_or_b32 exec_lo, exec_lo, s0
	s_delay_alu instid0(SALU_CYCLE_1)
	s_mov_b32 s0, exec_lo
	v_cmpx_gt_i32_e64 s2, v0
	s_cbranch_execz .LBB8_50
.LBB8_67:
	v_add_nc_u32_e32 v1, s1, v0
	v_add_nc_u32_e32 v0, 0x100, v0
	global_store_d16_hi_b8 v1, v3, s[4:5]
	s_or_b32 exec_lo, exec_lo, s0
	s_delay_alu instid0(SALU_CYCLE_1)
	s_mov_b32 s0, exec_lo
	v_cmpx_gt_i32_e64 s2, v0
	s_cbranch_execnz .LBB8_51
	s_branch .LBB8_52
	.section	.rodata,"a",@progbits
	.p2align	6, 0x0
	.amdhsa_kernel _ZN2at6native29vectorized_elementwise_kernelILi16EZZZNS0_23bitwise_not_kernel_cudaERNS_18TensorIteratorBaseEENKUlvE_clEvENKUlvE_clEvEUlhE_St5arrayIPcLm2EEEEviT0_T1_
		.amdhsa_group_segment_fixed_size 0
		.amdhsa_private_segment_fixed_size 0
		.amdhsa_kernarg_size 24
		.amdhsa_user_sgpr_count 15
		.amdhsa_user_sgpr_dispatch_ptr 0
		.amdhsa_user_sgpr_queue_ptr 0
		.amdhsa_user_sgpr_kernarg_segment_ptr 1
		.amdhsa_user_sgpr_dispatch_id 0
		.amdhsa_user_sgpr_private_segment_size 0
		.amdhsa_wavefront_size32 1
		.amdhsa_uses_dynamic_stack 0
		.amdhsa_enable_private_segment 0
		.amdhsa_system_sgpr_workgroup_id_x 1
		.amdhsa_system_sgpr_workgroup_id_y 0
		.amdhsa_system_sgpr_workgroup_id_z 0
		.amdhsa_system_sgpr_workgroup_info 0
		.amdhsa_system_vgpr_workitem_id 0
		.amdhsa_next_free_vgpr 22
		.amdhsa_next_free_sgpr 16
		.amdhsa_reserve_vcc 1
		.amdhsa_float_round_mode_32 0
		.amdhsa_float_round_mode_16_64 0
		.amdhsa_float_denorm_mode_32 3
		.amdhsa_float_denorm_mode_16_64 3
		.amdhsa_dx10_clamp 1
		.amdhsa_ieee_mode 1
		.amdhsa_fp16_overflow 0
		.amdhsa_workgroup_processor_mode 1
		.amdhsa_memory_ordered 1
		.amdhsa_forward_progress 0
		.amdhsa_shared_vgpr_count 0
		.amdhsa_exception_fp_ieee_invalid_op 0
		.amdhsa_exception_fp_denorm_src 0
		.amdhsa_exception_fp_ieee_div_zero 0
		.amdhsa_exception_fp_ieee_overflow 0
		.amdhsa_exception_fp_ieee_underflow 0
		.amdhsa_exception_fp_ieee_inexact 0
		.amdhsa_exception_int_div_zero 0
	.end_amdhsa_kernel
	.section	.text._ZN2at6native29vectorized_elementwise_kernelILi16EZZZNS0_23bitwise_not_kernel_cudaERNS_18TensorIteratorBaseEENKUlvE_clEvENKUlvE_clEvEUlhE_St5arrayIPcLm2EEEEviT0_T1_,"axG",@progbits,_ZN2at6native29vectorized_elementwise_kernelILi16EZZZNS0_23bitwise_not_kernel_cudaERNS_18TensorIteratorBaseEENKUlvE_clEvENKUlvE_clEvEUlhE_St5arrayIPcLm2EEEEviT0_T1_,comdat
.Lfunc_end8:
	.size	_ZN2at6native29vectorized_elementwise_kernelILi16EZZZNS0_23bitwise_not_kernel_cudaERNS_18TensorIteratorBaseEENKUlvE_clEvENKUlvE_clEvEUlhE_St5arrayIPcLm2EEEEviT0_T1_, .Lfunc_end8-_ZN2at6native29vectorized_elementwise_kernelILi16EZZZNS0_23bitwise_not_kernel_cudaERNS_18TensorIteratorBaseEENKUlvE_clEvENKUlvE_clEvEUlhE_St5arrayIPcLm2EEEEviT0_T1_
                                        ; -- End function
	.section	.AMDGPU.csdata,"",@progbits
; Kernel info:
; codeLenInByte = 3080
; NumSgprs: 18
; NumVgprs: 22
; ScratchSize: 0
; MemoryBound: 0
; FloatMode: 240
; IeeeMode: 1
; LDSByteSize: 0 bytes/workgroup (compile time only)
; SGPRBlocks: 2
; VGPRBlocks: 2
; NumSGPRsForWavesPerEU: 18
; NumVGPRsForWavesPerEU: 22
; Occupancy: 16
; WaveLimiterHint : 0
; COMPUTE_PGM_RSRC2:SCRATCH_EN: 0
; COMPUTE_PGM_RSRC2:USER_SGPR: 15
; COMPUTE_PGM_RSRC2:TRAP_HANDLER: 0
; COMPUTE_PGM_RSRC2:TGID_X_EN: 1
; COMPUTE_PGM_RSRC2:TGID_Y_EN: 0
; COMPUTE_PGM_RSRC2:TGID_Z_EN: 0
; COMPUTE_PGM_RSRC2:TIDIG_COMP_CNT: 0
	.section	.text._ZN2at6native29vectorized_elementwise_kernelILi8EZZZNS0_23bitwise_not_kernel_cudaERNS_18TensorIteratorBaseEENKUlvE_clEvENKUlvE_clEvEUlhE_St5arrayIPcLm2EEEEviT0_T1_,"axG",@progbits,_ZN2at6native29vectorized_elementwise_kernelILi8EZZZNS0_23bitwise_not_kernel_cudaERNS_18TensorIteratorBaseEENKUlvE_clEvENKUlvE_clEvEUlhE_St5arrayIPcLm2EEEEviT0_T1_,comdat
	.globl	_ZN2at6native29vectorized_elementwise_kernelILi8EZZZNS0_23bitwise_not_kernel_cudaERNS_18TensorIteratorBaseEENKUlvE_clEvENKUlvE_clEvEUlhE_St5arrayIPcLm2EEEEviT0_T1_ ; -- Begin function _ZN2at6native29vectorized_elementwise_kernelILi8EZZZNS0_23bitwise_not_kernel_cudaERNS_18TensorIteratorBaseEENKUlvE_clEvENKUlvE_clEvEUlhE_St5arrayIPcLm2EEEEviT0_T1_
	.p2align	8
	.type	_ZN2at6native29vectorized_elementwise_kernelILi8EZZZNS0_23bitwise_not_kernel_cudaERNS_18TensorIteratorBaseEENKUlvE_clEvENKUlvE_clEvEUlhE_St5arrayIPcLm2EEEEviT0_T1_,@function
_ZN2at6native29vectorized_elementwise_kernelILi8EZZZNS0_23bitwise_not_kernel_cudaERNS_18TensorIteratorBaseEENKUlvE_clEvENKUlvE_clEvEUlhE_St5arrayIPcLm2EEEEviT0_T1_: ; @_ZN2at6native29vectorized_elementwise_kernelILi8EZZZNS0_23bitwise_not_kernel_cudaERNS_18TensorIteratorBaseEENKUlvE_clEvENKUlvE_clEvEUlhE_St5arrayIPcLm2EEEEviT0_T1_
; %bb.0:
	s_clause 0x1
	s_load_b32 s2, s[0:1], 0x0
	s_load_b128 s[4:7], s[0:1], 0x8
	s_lshl_b32 s1, s15, 12
	s_mov_b32 s0, -1
	s_waitcnt lgkmcnt(0)
	s_sub_i32 s2, s2, s1
	s_delay_alu instid0(SALU_CYCLE_1)
	s_cmpk_gt_i32 s2, 0xfff
	s_cbranch_scc0 .LBB9_2
; %bb.1:
	v_lshlrev_b32_e32 v5, 3, v0
	s_ashr_i32 s0, s1, 31
	s_add_u32 s8, s6, s1
	s_addc_u32 s9, s7, s0
	s_clause 0x1
	global_load_b64 v[1:2], v5, s[8:9]
	global_load_b64 v[3:4], v5, s[8:9] offset:2048
	s_add_u32 s8, s4, s1
	s_addc_u32 s9, s5, s0
	s_mov_b32 s0, 0
	s_waitcnt vmcnt(1)
	v_not_b32_e32 v2, v2
	s_waitcnt vmcnt(0)
	v_not_b32_e32 v4, v4
	v_not_b32_e32 v1, v1
	;; [unrolled: 1-line block ×3, first 2 shown]
	v_and_b32_e32 v6, 0xff000000, v2
	v_and_b32_e32 v7, 0xff0000, v2
	;; [unrolled: 1-line block ×6, first 2 shown]
	v_or_b32_e32 v6, v7, v6
	v_and_b32_e32 v11, 0xff00, v4
	v_and_b32_e32 v4, 0xff, v4
	v_or_b32_e32 v7, v10, v9
	s_delay_alu instid0(VALU_DEP_4) | instskip(NEXT) | instid1(VALU_DEP_2)
	v_or3_b32 v2, v6, v8, v2
	v_or3_b32 v4, v7, v11, v4
	s_clause 0x1
	global_store_b64 v5, v[1:2], s[8:9]
	global_store_b64 v5, v[3:4], s[8:9] offset:2048
.LBB9_2:
	s_and_not1_b32 vcc_lo, exec_lo, s0
	s_cbranch_vccnz .LBB9_52
; %bb.3:
	v_cmp_gt_i32_e32 vcc_lo, s2, v0
	v_dual_mov_b32 v4, 0 :: v_dual_mov_b32 v5, 0
	v_or_b32_e32 v1, s1, v0
	v_or_b32_e32 v2, 0x100, v0
	v_mov_b32_e32 v6, v0
	s_and_saveexec_b32 s0, vcc_lo
	s_cbranch_execz .LBB9_5
; %bb.4:
	global_load_u8 v5, v1, s[6:7]
	v_or_b32_e32 v6, 0x100, v0
.LBB9_5:
	s_or_b32 exec_lo, exec_lo, s0
	s_delay_alu instid0(SALU_CYCLE_1) | instskip(NEXT) | instid1(VALU_DEP_1)
	s_mov_b32 s3, exec_lo
	v_cmpx_gt_i32_e64 s2, v6
	s_cbranch_execz .LBB9_7
; %bb.6:
	v_add_nc_u32_e32 v3, s1, v6
	v_add_nc_u32_e32 v6, 0x100, v6
	global_load_u8 v4, v3, s[6:7]
.LBB9_7:
	s_or_b32 exec_lo, exec_lo, s3
	v_dual_mov_b32 v7, 0 :: v_dual_mov_b32 v8, 0
	s_mov_b32 s3, exec_lo
	v_cmpx_gt_i32_e64 s2, v6
	s_cbranch_execz .LBB9_9
; %bb.8:
	v_add_nc_u32_e32 v3, s1, v6
	v_add_nc_u32_e32 v6, 0x100, v6
	global_load_u8 v8, v3, s[6:7]
.LBB9_9:
	s_or_b32 exec_lo, exec_lo, s3
	s_delay_alu instid0(SALU_CYCLE_1)
	s_mov_b32 s3, exec_lo
	v_cmpx_gt_i32_e64 s2, v6
	s_cbranch_execz .LBB9_11
; %bb.10:
	v_add_nc_u32_e32 v3, s1, v6
	v_add_nc_u32_e32 v6, 0x100, v6
	global_load_u8 v7, v3, s[6:7]
.LBB9_11:
	s_or_b32 exec_lo, exec_lo, s3
	v_dual_mov_b32 v10, 0 :: v_dual_mov_b32 v11, 0
	s_mov_b32 s3, exec_lo
	v_cmpx_gt_i32_e64 s2, v6
	s_cbranch_execz .LBB9_13
; %bb.12:
	v_add_nc_u32_e32 v3, s1, v6
	v_add_nc_u32_e32 v6, 0x100, v6
	global_load_u8 v11, v3, s[6:7]
.LBB9_13:
	s_or_b32 exec_lo, exec_lo, s3
	s_delay_alu instid0(SALU_CYCLE_1)
	s_mov_b32 s3, exec_lo
	v_cmpx_gt_i32_e64 s2, v6
	s_cbranch_execz .LBB9_15
; %bb.14:
	v_add_nc_u32_e32 v3, s1, v6
	v_add_nc_u32_e32 v6, 0x100, v6
	global_load_u8 v10, v3, s[6:7]
.LBB9_15:
	s_or_b32 exec_lo, exec_lo, s3
	v_dual_mov_b32 v3, 0 :: v_dual_mov_b32 v12, 0
	s_mov_b32 s3, exec_lo
	v_cmpx_gt_i32_e64 s2, v6
	s_cbranch_execz .LBB9_17
; %bb.16:
	v_add_nc_u32_e32 v9, s1, v6
	v_add_nc_u32_e32 v6, 0x100, v6
	global_load_u8 v12, v9, s[6:7]
.LBB9_17:
	s_or_b32 exec_lo, exec_lo, s3
	s_delay_alu instid0(SALU_CYCLE_1)
	s_mov_b32 s3, exec_lo
	v_cmpx_gt_i32_e64 s2, v6
	s_cbranch_execz .LBB9_19
; %bb.18:
	v_add_nc_u32_e32 v3, s1, v6
	v_add_nc_u32_e32 v6, 0x100, v6
	global_load_u8 v3, v3, s[6:7]
.LBB9_19:
	s_or_b32 exec_lo, exec_lo, s3
	v_dual_mov_b32 v14, 0 :: v_dual_mov_b32 v15, 0
	s_mov_b32 s3, exec_lo
	v_cmpx_gt_i32_e64 s2, v6
	s_cbranch_execz .LBB9_21
; %bb.20:
	v_add_nc_u32_e32 v9, s1, v6
	v_add_nc_u32_e32 v6, 0x100, v6
	global_load_u8 v15, v9, s[6:7]
.LBB9_21:
	s_or_b32 exec_lo, exec_lo, s3
	s_delay_alu instid0(SALU_CYCLE_1)
	s_mov_b32 s3, exec_lo
	v_cmpx_gt_i32_e64 s2, v6
	s_cbranch_execz .LBB9_23
; %bb.22:
	v_add_nc_u32_e32 v9, s1, v6
	v_add_nc_u32_e32 v6, 0x100, v6
	global_load_u8 v14, v9, s[6:7]
.LBB9_23:
	s_or_b32 exec_lo, exec_lo, s3
	v_mov_b32_e32 v9, 0
	v_mov_b32_e32 v13, 0
	s_mov_b32 s3, exec_lo
	v_cmpx_gt_i32_e64 s2, v6
	s_cbranch_execz .LBB9_25
; %bb.24:
	v_add_nc_u32_e32 v13, s1, v6
	v_add_nc_u32_e32 v6, 0x100, v6
	global_load_u8 v13, v13, s[6:7]
.LBB9_25:
	s_or_b32 exec_lo, exec_lo, s3
	s_delay_alu instid0(SALU_CYCLE_1)
	s_mov_b32 s3, exec_lo
	v_cmpx_gt_i32_e64 s2, v6
	s_cbranch_execz .LBB9_27
; %bb.26:
	v_add_nc_u32_e32 v9, s1, v6
	v_add_nc_u32_e32 v6, 0x100, v6
	global_load_u8 v9, v9, s[6:7]
.LBB9_27:
	s_or_b32 exec_lo, exec_lo, s3
	v_mov_b32_e32 v17, 0
	v_mov_b32_e32 v19, 0
	s_mov_b32 s3, exec_lo
	v_cmpx_gt_i32_e64 s2, v6
	s_cbranch_execz .LBB9_29
; %bb.28:
	v_add_nc_u32_e32 v16, s1, v6
	v_add_nc_u32_e32 v6, 0x100, v6
	global_load_u8 v19, v16, s[6:7]
.LBB9_29:
	s_or_b32 exec_lo, exec_lo, s3
	s_delay_alu instid0(SALU_CYCLE_1)
	;; [unrolled: 21-line block ×3, first 2 shown]
	s_mov_b32 s3, exec_lo
	v_cmpx_gt_i32_e64 s2, v6
	s_cbranch_execz .LBB9_35
; %bb.34:
	v_add_nc_u32_e32 v6, s1, v6
	global_load_u8 v16, v6, s[6:7]
.LBB9_35:
	s_or_b32 exec_lo, exec_lo, s3
	s_waitcnt vmcnt(0)
	v_xor_b32_e32 v5, -1, v5
	v_xor_b32_e32 v4, -1, v4
	;; [unrolled: 1-line block ×3, first 2 shown]
	v_or_b32_e32 v20, 0x400, v0
	v_xor_b32_e32 v8, -1, v8
	v_and_b32_e32 v5, 0xff, v5
	v_lshlrev_b16 v4, 8, v4
	v_perm_b32 v11, v11, 0, 0x3020104
	v_cmp_gt_i32_e64 s0, s2, v20
	v_and_b32_e32 v8, 0xff, v8
	v_or_b32_e32 v6, 0x200, v0
	v_or_b32_e32 v4, v5, v4
	v_and_b32_e32 v5, 0xffff, v5
	v_cndmask_b32_e64 v11, 0, v11, s0
	v_cmp_gt_i32_e64 s0, s2, v2
	v_xor_b32_e32 v10, -1, v10
	v_and_b32_e32 v4, 0xffff, v4
	v_lshlrev_b32_e32 v8, 16, v8
	v_and_b32_e32 v20, 0xff, v11
	v_xor_b32_e32 v15, -1, v15
	v_lshlrev_b16 v10, 8, v10
	v_cndmask_b32_e64 v4, v5, v4, s0
	v_cmp_gt_i32_e64 s0, s2, v6
	v_xor_b32_e32 v6, -1, v14
	v_or_b32_e32 v14, 0xc00, v0
	v_or_b32_e32 v10, v20, v10
	;; [unrolled: 1-line block ×4, first 2 shown]
	v_xor_b32_e32 v17, -1, v17
	v_or_b32_e32 v21, 0x600, v0
	v_and_b32_e32 v10, 0xffff, v10
	v_cndmask_b32_e64 v4, v4, v8, s0
	v_xor_b32_e32 v8, -1, v19
	v_cmp_gt_i32_e64 s0, s2, v14
	v_xor_b32_e32 v12, -1, v12
	v_and_or_b32 v10, 0xffff0000, v11, v10
	v_and_b32_e32 v14, 0xff, v15
	v_perm_b32 v8, v8, 0, 0x3020104
	v_lshlrev_b16 v6, 8, v6
	v_xor_b32_e32 v7, -1, v7
	v_lshrrev_b32_e32 v19, 16, v4
	v_xor_b32_e32 v3, -1, v3
	v_cndmask_b32_e64 v8, 0, v8, s0
	v_cmp_gt_i32_e64 s0, s2, v5
	v_or_b32_e32 v6, v14, v6
	v_lshlrev_b16 v7, 8, v7
	v_and_b32_e32 v19, 0xff, v19
	v_lshlrev_b16 v3, 8, v3
	v_cndmask_b32_e64 v5, v11, v10, s0
	v_lshlrev_b16 v10, 8, v17
	v_and_b32_e32 v11, 0xff, v8
	v_cmp_gt_i32_e64 s0, s2, v21
	v_and_b32_e32 v6, 0xffff, v6
	v_perm_b32 v12, v5, v12, 0x7000504
	v_or_b32_e32 v7, v19, v7
	v_or_b32_e32 v10, v11, v10
	v_xor_b32_e32 v11, -1, v13
	v_or_b32_e32 v13, 0x900, v0
	v_cndmask_b32_e64 v5, v5, v12, s0
	v_and_b32_e32 v12, 0xffff, v14
	v_and_b32_e32 v10, 0xffff, v10
	;; [unrolled: 1-line block ×3, first 2 shown]
	v_or_b32_e32 v14, 0xd00, v0
	v_cmp_gt_i32_e64 s0, s2, v13
	v_or_b32_e32 v13, 0xa00, v0
	v_and_or_b32 v10, 0xffff0000, v8, v10
	v_lshlrev_b32_e32 v11, 16, v11
	v_lshlrev_b32_e32 v7, 16, v7
	v_cndmask_b32_e64 v6, v12, v6, s0
	v_cmp_gt_i32_e64 s0, s2, v14
	v_or_b32_e32 v14, 0xe00, v0
	v_lshrrev_b32_e32 v12, 16, v5
	v_xor_b32_e32 v9, -1, v9
	v_or_b32_e32 v11, v6, v11
	v_cndmask_b32_e64 v8, v8, v10, s0
	v_xor_b32_e32 v10, -1, v18
	v_cmp_gt_i32_e64 s0, s2, v13
	v_xor_b32_e32 v13, -1, v16
	v_lshlrev_b16 v9, 8, v9
	v_and_or_b32 v7, 0xffff, v4, v7
	v_perm_b32 v10, v8, v10, 0x7000504
	v_cndmask_b32_e64 v11, v6, v11, s0
	v_cmp_gt_i32_e64 s0, s2, v14
	v_and_b32_e32 v6, 0xff, v12
	s_delay_alu instid0(VALU_DEP_2) | instskip(NEXT) | instid1(VALU_DEP_4)
	v_cndmask_b32_e64 v8, v8, v10, s0
	v_lshrrev_b32_e32 v10, 16, v11
	s_delay_alu instid0(VALU_DEP_3) | instskip(NEXT) | instid1(VALU_DEP_3)
	v_or_b32_e32 v3, v6, v3
	v_lshrrev_b32_e32 v12, 16, v8
	s_delay_alu instid0(VALU_DEP_3) | instskip(NEXT) | instid1(VALU_DEP_3)
	v_and_b32_e32 v6, 0xff, v10
	v_lshlrev_b32_e32 v3, 16, v3
	s_delay_alu instid0(VALU_DEP_3) | instskip(SKIP_4) | instid1(VALU_DEP_4)
	v_and_b32_e32 v10, 0xff, v12
	v_lshlrev_b16 v12, 8, v13
	v_or_b32_e32 v13, 0x300, v0
	v_or_b32_e32 v9, v6, v9
	v_and_or_b32 v3, 0xffff, v5, v3
	v_or_b32_e32 v10, v10, v12
	s_delay_alu instid0(VALU_DEP_4) | instskip(SKIP_1) | instid1(VALU_DEP_2)
	v_cmp_gt_i32_e64 s0, s2, v13
	v_or_b32_e32 v12, 0xf00, v0
	v_cndmask_b32_e64 v6, v4, v7, s0
	v_or_b32_e32 v7, 0x700, v0
	v_lshlrev_b32_e32 v4, 16, v9
	v_lshlrev_b32_e32 v9, 16, v10
	v_or_b32_e32 v10, 0xb00, v0
	s_delay_alu instid0(VALU_DEP_4) | instskip(NEXT) | instid1(VALU_DEP_4)
	v_cmp_gt_i32_e64 s0, s2, v7
	v_and_or_b32 v4, 0xffff, v11, v4
	s_delay_alu instid0(VALU_DEP_4) | instskip(NEXT) | instid1(VALU_DEP_3)
	v_and_or_b32 v9, 0xffff, v8, v9
	v_cndmask_b32_e64 v5, v5, v3, s0
	v_cmp_gt_i32_e64 s0, s2, v10
	s_delay_alu instid0(VALU_DEP_1) | instskip(SKIP_1) | instid1(VALU_DEP_1)
	v_cndmask_b32_e64 v4, v11, v4, s0
	v_cmp_gt_i32_e64 s0, s2, v12
	v_cndmask_b32_e64 v3, v8, v9, s0
	s_and_saveexec_b32 s0, vcc_lo
	s_cbranch_execnz .LBB9_53
; %bb.36:
	s_or_b32 exec_lo, exec_lo, s0
	s_delay_alu instid0(SALU_CYCLE_1)
	s_mov_b32 s0, exec_lo
	v_cmpx_gt_i32_e64 s2, v0
	s_cbranch_execnz .LBB9_54
.LBB9_37:
	s_or_b32 exec_lo, exec_lo, s0
	s_delay_alu instid0(SALU_CYCLE_1)
	s_mov_b32 s0, exec_lo
	v_cmpx_gt_i32_e64 s2, v0
	s_cbranch_execnz .LBB9_55
.LBB9_38:
	s_or_b32 exec_lo, exec_lo, s0
	s_delay_alu instid0(SALU_CYCLE_1)
	s_mov_b32 s0, exec_lo
	v_cmpx_gt_i32_e64 s2, v0
	s_cbranch_execnz .LBB9_56
.LBB9_39:
	s_or_b32 exec_lo, exec_lo, s0
	s_delay_alu instid0(SALU_CYCLE_1)
	s_mov_b32 s0, exec_lo
	v_cmpx_gt_i32_e64 s2, v0
	s_cbranch_execnz .LBB9_57
.LBB9_40:
	s_or_b32 exec_lo, exec_lo, s0
	s_delay_alu instid0(SALU_CYCLE_1)
	s_mov_b32 s0, exec_lo
	v_cmpx_gt_i32_e64 s2, v0
	s_cbranch_execnz .LBB9_58
.LBB9_41:
	s_or_b32 exec_lo, exec_lo, s0
	s_delay_alu instid0(SALU_CYCLE_1)
	s_mov_b32 s0, exec_lo
	v_cmpx_gt_i32_e64 s2, v0
	s_cbranch_execnz .LBB9_59
.LBB9_42:
	s_or_b32 exec_lo, exec_lo, s0
	s_delay_alu instid0(SALU_CYCLE_1)
	s_mov_b32 s0, exec_lo
	v_cmpx_gt_i32_e64 s2, v0
	s_cbranch_execnz .LBB9_60
.LBB9_43:
	s_or_b32 exec_lo, exec_lo, s0
	s_delay_alu instid0(SALU_CYCLE_1)
	s_mov_b32 s0, exec_lo
	v_cmpx_gt_i32_e64 s2, v0
	s_cbranch_execnz .LBB9_61
.LBB9_44:
	s_or_b32 exec_lo, exec_lo, s0
	s_delay_alu instid0(SALU_CYCLE_1)
	s_mov_b32 s0, exec_lo
	v_cmpx_gt_i32_e64 s2, v0
	s_cbranch_execnz .LBB9_62
.LBB9_45:
	s_or_b32 exec_lo, exec_lo, s0
	s_delay_alu instid0(SALU_CYCLE_1)
	s_mov_b32 s0, exec_lo
	v_cmpx_gt_i32_e64 s2, v0
	s_cbranch_execnz .LBB9_63
.LBB9_46:
	s_or_b32 exec_lo, exec_lo, s0
	s_delay_alu instid0(SALU_CYCLE_1)
	s_mov_b32 s0, exec_lo
	v_cmpx_gt_i32_e64 s2, v0
	s_cbranch_execnz .LBB9_64
.LBB9_47:
	s_or_b32 exec_lo, exec_lo, s0
	s_delay_alu instid0(SALU_CYCLE_1)
	s_mov_b32 s0, exec_lo
	v_cmpx_gt_i32_e64 s2, v0
	s_cbranch_execnz .LBB9_65
.LBB9_48:
	s_or_b32 exec_lo, exec_lo, s0
	s_delay_alu instid0(SALU_CYCLE_1)
	s_mov_b32 s0, exec_lo
	v_cmpx_gt_i32_e64 s2, v0
	s_cbranch_execnz .LBB9_66
.LBB9_49:
	s_or_b32 exec_lo, exec_lo, s0
	s_delay_alu instid0(SALU_CYCLE_1)
	s_mov_b32 s0, exec_lo
	v_cmpx_gt_i32_e64 s2, v0
	s_cbranch_execnz .LBB9_67
.LBB9_50:
	s_or_b32 exec_lo, exec_lo, s0
	s_delay_alu instid0(SALU_CYCLE_1)
	s_mov_b32 s0, exec_lo
	v_cmpx_gt_i32_e64 s2, v0
	s_cbranch_execz .LBB9_52
.LBB9_51:
	v_add_nc_u32_e32 v0, s1, v0
	v_lshrrev_b32_e32 v1, 24, v3
	global_store_b8 v0, v1, s[4:5]
.LBB9_52:
	s_nop 0
	s_sendmsg sendmsg(MSG_DEALLOC_VGPRS)
	s_endpgm
.LBB9_53:
	v_mov_b32_e32 v0, v2
	global_store_b8 v1, v6, s[4:5]
	s_or_b32 exec_lo, exec_lo, s0
	s_delay_alu instid0(SALU_CYCLE_1)
	s_mov_b32 s0, exec_lo
	v_cmpx_gt_i32_e64 s2, v0
	s_cbranch_execz .LBB9_37
.LBB9_54:
	v_add_nc_u32_e32 v1, s1, v0
	v_lshrrev_b32_e32 v2, 8, v6
	v_add_nc_u32_e32 v0, 0x100, v0
	global_store_b8 v1, v2, s[4:5]
	s_or_b32 exec_lo, exec_lo, s0
	s_delay_alu instid0(SALU_CYCLE_1)
	s_mov_b32 s0, exec_lo
	v_cmpx_gt_i32_e64 s2, v0
	s_cbranch_execz .LBB9_38
.LBB9_55:
	v_add_nc_u32_e32 v1, s1, v0
	v_add_nc_u32_e32 v0, 0x100, v0
	global_store_d16_hi_b8 v1, v6, s[4:5]
	s_or_b32 exec_lo, exec_lo, s0
	s_delay_alu instid0(SALU_CYCLE_1)
	s_mov_b32 s0, exec_lo
	v_cmpx_gt_i32_e64 s2, v0
	s_cbranch_execz .LBB9_39
.LBB9_56:
	v_add_nc_u32_e32 v1, s1, v0
	v_lshrrev_b32_e32 v2, 24, v6
	v_add_nc_u32_e32 v0, 0x100, v0
	global_store_b8 v1, v2, s[4:5]
	s_or_b32 exec_lo, exec_lo, s0
	s_delay_alu instid0(SALU_CYCLE_1)
	s_mov_b32 s0, exec_lo
	v_cmpx_gt_i32_e64 s2, v0
	s_cbranch_execz .LBB9_40
.LBB9_57:
	v_add_nc_u32_e32 v1, s1, v0
	v_add_nc_u32_e32 v0, 0x100, v0
	global_store_b8 v1, v5, s[4:5]
	s_or_b32 exec_lo, exec_lo, s0
	s_delay_alu instid0(SALU_CYCLE_1)
	s_mov_b32 s0, exec_lo
	v_cmpx_gt_i32_e64 s2, v0
	s_cbranch_execz .LBB9_41
.LBB9_58:
	v_add_nc_u32_e32 v1, s1, v0
	v_lshrrev_b32_e32 v2, 8, v5
	v_add_nc_u32_e32 v0, 0x100, v0
	global_store_b8 v1, v2, s[4:5]
	s_or_b32 exec_lo, exec_lo, s0
	s_delay_alu instid0(SALU_CYCLE_1)
	s_mov_b32 s0, exec_lo
	v_cmpx_gt_i32_e64 s2, v0
	s_cbranch_execz .LBB9_42
.LBB9_59:
	v_add_nc_u32_e32 v1, s1, v0
	v_add_nc_u32_e32 v0, 0x100, v0
	global_store_d16_hi_b8 v1, v5, s[4:5]
	s_or_b32 exec_lo, exec_lo, s0
	s_delay_alu instid0(SALU_CYCLE_1)
	s_mov_b32 s0, exec_lo
	v_cmpx_gt_i32_e64 s2, v0
	s_cbranch_execz .LBB9_43
.LBB9_60:
	v_add_nc_u32_e32 v1, s1, v0
	v_lshrrev_b32_e32 v2, 24, v5
	v_add_nc_u32_e32 v0, 0x100, v0
	global_store_b8 v1, v2, s[4:5]
	s_or_b32 exec_lo, exec_lo, s0
	s_delay_alu instid0(SALU_CYCLE_1)
	s_mov_b32 s0, exec_lo
	v_cmpx_gt_i32_e64 s2, v0
	s_cbranch_execz .LBB9_44
.LBB9_61:
	v_add_nc_u32_e32 v1, s1, v0
	v_add_nc_u32_e32 v0, 0x100, v0
	global_store_b8 v1, v4, s[4:5]
	s_or_b32 exec_lo, exec_lo, s0
	s_delay_alu instid0(SALU_CYCLE_1)
	s_mov_b32 s0, exec_lo
	v_cmpx_gt_i32_e64 s2, v0
	s_cbranch_execz .LBB9_45
.LBB9_62:
	v_add_nc_u32_e32 v1, s1, v0
	v_lshrrev_b32_e32 v2, 8, v4
	v_add_nc_u32_e32 v0, 0x100, v0
	global_store_b8 v1, v2, s[4:5]
	s_or_b32 exec_lo, exec_lo, s0
	s_delay_alu instid0(SALU_CYCLE_1)
	s_mov_b32 s0, exec_lo
	v_cmpx_gt_i32_e64 s2, v0
	s_cbranch_execz .LBB9_46
.LBB9_63:
	v_add_nc_u32_e32 v1, s1, v0
	v_add_nc_u32_e32 v0, 0x100, v0
	global_store_d16_hi_b8 v1, v4, s[4:5]
	s_or_b32 exec_lo, exec_lo, s0
	s_delay_alu instid0(SALU_CYCLE_1)
	s_mov_b32 s0, exec_lo
	v_cmpx_gt_i32_e64 s2, v0
	s_cbranch_execz .LBB9_47
.LBB9_64:
	v_add_nc_u32_e32 v1, s1, v0
	v_lshrrev_b32_e32 v2, 24, v4
	v_add_nc_u32_e32 v0, 0x100, v0
	global_store_b8 v1, v2, s[4:5]
	s_or_b32 exec_lo, exec_lo, s0
	s_delay_alu instid0(SALU_CYCLE_1)
	s_mov_b32 s0, exec_lo
	v_cmpx_gt_i32_e64 s2, v0
	s_cbranch_execz .LBB9_48
.LBB9_65:
	v_add_nc_u32_e32 v1, s1, v0
	v_add_nc_u32_e32 v0, 0x100, v0
	global_store_b8 v1, v3, s[4:5]
	s_or_b32 exec_lo, exec_lo, s0
	s_delay_alu instid0(SALU_CYCLE_1)
	s_mov_b32 s0, exec_lo
	v_cmpx_gt_i32_e64 s2, v0
	s_cbranch_execz .LBB9_49
.LBB9_66:
	v_add_nc_u32_e32 v1, s1, v0
	v_lshrrev_b32_e32 v2, 8, v3
	v_add_nc_u32_e32 v0, 0x100, v0
	global_store_b8 v1, v2, s[4:5]
	s_or_b32 exec_lo, exec_lo, s0
	s_delay_alu instid0(SALU_CYCLE_1)
	s_mov_b32 s0, exec_lo
	v_cmpx_gt_i32_e64 s2, v0
	s_cbranch_execz .LBB9_50
.LBB9_67:
	v_add_nc_u32_e32 v1, s1, v0
	v_add_nc_u32_e32 v0, 0x100, v0
	global_store_d16_hi_b8 v1, v3, s[4:5]
	s_or_b32 exec_lo, exec_lo, s0
	s_delay_alu instid0(SALU_CYCLE_1)
	s_mov_b32 s0, exec_lo
	v_cmpx_gt_i32_e64 s2, v0
	s_cbranch_execnz .LBB9_51
	s_branch .LBB9_52
	.section	.rodata,"a",@progbits
	.p2align	6, 0x0
	.amdhsa_kernel _ZN2at6native29vectorized_elementwise_kernelILi8EZZZNS0_23bitwise_not_kernel_cudaERNS_18TensorIteratorBaseEENKUlvE_clEvENKUlvE_clEvEUlhE_St5arrayIPcLm2EEEEviT0_T1_
		.amdhsa_group_segment_fixed_size 0
		.amdhsa_private_segment_fixed_size 0
		.amdhsa_kernarg_size 24
		.amdhsa_user_sgpr_count 15
		.amdhsa_user_sgpr_dispatch_ptr 0
		.amdhsa_user_sgpr_queue_ptr 0
		.amdhsa_user_sgpr_kernarg_segment_ptr 1
		.amdhsa_user_sgpr_dispatch_id 0
		.amdhsa_user_sgpr_private_segment_size 0
		.amdhsa_wavefront_size32 1
		.amdhsa_uses_dynamic_stack 0
		.amdhsa_enable_private_segment 0
		.amdhsa_system_sgpr_workgroup_id_x 1
		.amdhsa_system_sgpr_workgroup_id_y 0
		.amdhsa_system_sgpr_workgroup_id_z 0
		.amdhsa_system_sgpr_workgroup_info 0
		.amdhsa_system_vgpr_workitem_id 0
		.amdhsa_next_free_vgpr 22
		.amdhsa_next_free_sgpr 16
		.amdhsa_reserve_vcc 1
		.amdhsa_float_round_mode_32 0
		.amdhsa_float_round_mode_16_64 0
		.amdhsa_float_denorm_mode_32 3
		.amdhsa_float_denorm_mode_16_64 3
		.amdhsa_dx10_clamp 1
		.amdhsa_ieee_mode 1
		.amdhsa_fp16_overflow 0
		.amdhsa_workgroup_processor_mode 1
		.amdhsa_memory_ordered 1
		.amdhsa_forward_progress 0
		.amdhsa_shared_vgpr_count 0
		.amdhsa_exception_fp_ieee_invalid_op 0
		.amdhsa_exception_fp_denorm_src 0
		.amdhsa_exception_fp_ieee_div_zero 0
		.amdhsa_exception_fp_ieee_overflow 0
		.amdhsa_exception_fp_ieee_underflow 0
		.amdhsa_exception_fp_ieee_inexact 0
		.amdhsa_exception_int_div_zero 0
	.end_amdhsa_kernel
	.section	.text._ZN2at6native29vectorized_elementwise_kernelILi8EZZZNS0_23bitwise_not_kernel_cudaERNS_18TensorIteratorBaseEENKUlvE_clEvENKUlvE_clEvEUlhE_St5arrayIPcLm2EEEEviT0_T1_,"axG",@progbits,_ZN2at6native29vectorized_elementwise_kernelILi8EZZZNS0_23bitwise_not_kernel_cudaERNS_18TensorIteratorBaseEENKUlvE_clEvENKUlvE_clEvEUlhE_St5arrayIPcLm2EEEEviT0_T1_,comdat
.Lfunc_end9:
	.size	_ZN2at6native29vectorized_elementwise_kernelILi8EZZZNS0_23bitwise_not_kernel_cudaERNS_18TensorIteratorBaseEENKUlvE_clEvENKUlvE_clEvEUlhE_St5arrayIPcLm2EEEEviT0_T1_, .Lfunc_end9-_ZN2at6native29vectorized_elementwise_kernelILi8EZZZNS0_23bitwise_not_kernel_cudaERNS_18TensorIteratorBaseEENKUlvE_clEvENKUlvE_clEvEUlhE_St5arrayIPcLm2EEEEviT0_T1_
                                        ; -- End function
	.section	.AMDGPU.csdata,"",@progbits
; Kernel info:
; codeLenInByte = 2876
; NumSgprs: 18
; NumVgprs: 22
; ScratchSize: 0
; MemoryBound: 0
; FloatMode: 240
; IeeeMode: 1
; LDSByteSize: 0 bytes/workgroup (compile time only)
; SGPRBlocks: 2
; VGPRBlocks: 2
; NumSGPRsForWavesPerEU: 18
; NumVGPRsForWavesPerEU: 22
; Occupancy: 16
; WaveLimiterHint : 1
; COMPUTE_PGM_RSRC2:SCRATCH_EN: 0
; COMPUTE_PGM_RSRC2:USER_SGPR: 15
; COMPUTE_PGM_RSRC2:TRAP_HANDLER: 0
; COMPUTE_PGM_RSRC2:TGID_X_EN: 1
; COMPUTE_PGM_RSRC2:TGID_Y_EN: 0
; COMPUTE_PGM_RSRC2:TGID_Z_EN: 0
; COMPUTE_PGM_RSRC2:TIDIG_COMP_CNT: 0
	.section	.text._ZN2at6native29vectorized_elementwise_kernelILi4EZZZNS0_23bitwise_not_kernel_cudaERNS_18TensorIteratorBaseEENKUlvE_clEvENKUlvE_clEvEUlhE_St5arrayIPcLm2EEEEviT0_T1_,"axG",@progbits,_ZN2at6native29vectorized_elementwise_kernelILi4EZZZNS0_23bitwise_not_kernel_cudaERNS_18TensorIteratorBaseEENKUlvE_clEvENKUlvE_clEvEUlhE_St5arrayIPcLm2EEEEviT0_T1_,comdat
	.globl	_ZN2at6native29vectorized_elementwise_kernelILi4EZZZNS0_23bitwise_not_kernel_cudaERNS_18TensorIteratorBaseEENKUlvE_clEvENKUlvE_clEvEUlhE_St5arrayIPcLm2EEEEviT0_T1_ ; -- Begin function _ZN2at6native29vectorized_elementwise_kernelILi4EZZZNS0_23bitwise_not_kernel_cudaERNS_18TensorIteratorBaseEENKUlvE_clEvENKUlvE_clEvEUlhE_St5arrayIPcLm2EEEEviT0_T1_
	.p2align	8
	.type	_ZN2at6native29vectorized_elementwise_kernelILi4EZZZNS0_23bitwise_not_kernel_cudaERNS_18TensorIteratorBaseEENKUlvE_clEvENKUlvE_clEvEUlhE_St5arrayIPcLm2EEEEviT0_T1_,@function
_ZN2at6native29vectorized_elementwise_kernelILi4EZZZNS0_23bitwise_not_kernel_cudaERNS_18TensorIteratorBaseEENKUlvE_clEvENKUlvE_clEvEUlhE_St5arrayIPcLm2EEEEviT0_T1_: ; @_ZN2at6native29vectorized_elementwise_kernelILi4EZZZNS0_23bitwise_not_kernel_cudaERNS_18TensorIteratorBaseEENKUlvE_clEvENKUlvE_clEvEUlhE_St5arrayIPcLm2EEEEviT0_T1_
; %bb.0:
	s_clause 0x1
	s_load_b32 s2, s[0:1], 0x0
	s_load_b128 s[4:7], s[0:1], 0x8
	s_lshl_b32 s1, s15, 12
	s_mov_b32 s0, -1
	s_waitcnt lgkmcnt(0)
	s_sub_i32 s2, s2, s1
	s_delay_alu instid0(SALU_CYCLE_1)
	s_cmpk_gt_i32 s2, 0xfff
	s_cbranch_scc0 .LBB10_2
; %bb.1:
	v_lshlrev_b32_e32 v1, 2, v0
	s_ashr_i32 s0, s1, 31
	s_add_u32 s8, s6, s1
	s_addc_u32 s9, s7, s0
	s_clause 0x3
	global_load_b32 v2, v1, s[8:9]
	global_load_b32 v3, v1, s[8:9] offset:1024
	global_load_b32 v4, v1, s[8:9] offset:2048
	;; [unrolled: 1-line block ×3, first 2 shown]
	s_add_u32 s8, s4, s1
	s_addc_u32 s9, s5, s0
	s_mov_b32 s0, 0
	s_waitcnt vmcnt(3)
	v_not_b32_e32 v2, v2
	s_waitcnt vmcnt(2)
	v_not_b32_e32 v3, v3
	;; [unrolled: 2-line block ×4, first 2 shown]
	s_clause 0x3
	global_store_b32 v1, v2, s[8:9]
	global_store_b32 v1, v3, s[8:9] offset:1024
	global_store_b32 v1, v4, s[8:9] offset:2048
	global_store_b32 v1, v5, s[8:9] offset:3072
.LBB10_2:
	s_and_not1_b32 vcc_lo, exec_lo, s0
	s_cbranch_vccnz .LBB10_52
; %bb.3:
	v_cmp_gt_i32_e32 vcc_lo, s2, v0
	v_dual_mov_b32 v4, 0 :: v_dual_mov_b32 v5, 0
	v_or_b32_e32 v1, s1, v0
	v_or_b32_e32 v2, 0x100, v0
	v_mov_b32_e32 v6, v0
	s_and_saveexec_b32 s0, vcc_lo
	s_cbranch_execz .LBB10_5
; %bb.4:
	global_load_u8 v5, v1, s[6:7]
	v_or_b32_e32 v6, 0x100, v0
.LBB10_5:
	s_or_b32 exec_lo, exec_lo, s0
	s_delay_alu instid0(SALU_CYCLE_1) | instskip(NEXT) | instid1(VALU_DEP_1)
	s_mov_b32 s3, exec_lo
	v_cmpx_gt_i32_e64 s2, v6
	s_cbranch_execz .LBB10_7
; %bb.6:
	v_add_nc_u32_e32 v3, s1, v6
	v_add_nc_u32_e32 v6, 0x100, v6
	global_load_u8 v4, v3, s[6:7]
.LBB10_7:
	s_or_b32 exec_lo, exec_lo, s3
	v_dual_mov_b32 v7, 0 :: v_dual_mov_b32 v8, 0
	s_mov_b32 s3, exec_lo
	v_cmpx_gt_i32_e64 s2, v6
	s_cbranch_execz .LBB10_9
; %bb.8:
	v_add_nc_u32_e32 v3, s1, v6
	v_add_nc_u32_e32 v6, 0x100, v6
	global_load_u8 v8, v3, s[6:7]
.LBB10_9:
	s_or_b32 exec_lo, exec_lo, s3
	s_delay_alu instid0(SALU_CYCLE_1)
	s_mov_b32 s3, exec_lo
	v_cmpx_gt_i32_e64 s2, v6
	s_cbranch_execz .LBB10_11
; %bb.10:
	v_add_nc_u32_e32 v3, s1, v6
	v_add_nc_u32_e32 v6, 0x100, v6
	global_load_u8 v7, v3, s[6:7]
.LBB10_11:
	s_or_b32 exec_lo, exec_lo, s3
	v_dual_mov_b32 v10, 0 :: v_dual_mov_b32 v11, 0
	s_mov_b32 s3, exec_lo
	v_cmpx_gt_i32_e64 s2, v6
	s_cbranch_execz .LBB10_13
; %bb.12:
	v_add_nc_u32_e32 v3, s1, v6
	v_add_nc_u32_e32 v6, 0x100, v6
	global_load_u8 v11, v3, s[6:7]
.LBB10_13:
	s_or_b32 exec_lo, exec_lo, s3
	s_delay_alu instid0(SALU_CYCLE_1)
	;; [unrolled: 20-line block ×4, first 2 shown]
	s_mov_b32 s3, exec_lo
	v_cmpx_gt_i32_e64 s2, v6
	s_cbranch_execz .LBB10_23
; %bb.22:
	v_add_nc_u32_e32 v9, s1, v6
	v_add_nc_u32_e32 v6, 0x100, v6
	global_load_u8 v14, v9, s[6:7]
.LBB10_23:
	s_or_b32 exec_lo, exec_lo, s3
	v_mov_b32_e32 v9, 0
	v_mov_b32_e32 v13, 0
	s_mov_b32 s3, exec_lo
	v_cmpx_gt_i32_e64 s2, v6
	s_cbranch_execz .LBB10_25
; %bb.24:
	v_add_nc_u32_e32 v13, s1, v6
	v_add_nc_u32_e32 v6, 0x100, v6
	global_load_u8 v13, v13, s[6:7]
.LBB10_25:
	s_or_b32 exec_lo, exec_lo, s3
	s_delay_alu instid0(SALU_CYCLE_1)
	s_mov_b32 s3, exec_lo
	v_cmpx_gt_i32_e64 s2, v6
	s_cbranch_execz .LBB10_27
; %bb.26:
	v_add_nc_u32_e32 v9, s1, v6
	v_add_nc_u32_e32 v6, 0x100, v6
	global_load_u8 v9, v9, s[6:7]
.LBB10_27:
	s_or_b32 exec_lo, exec_lo, s3
	v_mov_b32_e32 v17, 0
	v_mov_b32_e32 v19, 0
	s_mov_b32 s3, exec_lo
	v_cmpx_gt_i32_e64 s2, v6
	s_cbranch_execz .LBB10_29
; %bb.28:
	v_add_nc_u32_e32 v16, s1, v6
	v_add_nc_u32_e32 v6, 0x100, v6
	global_load_u8 v19, v16, s[6:7]
.LBB10_29:
	s_or_b32 exec_lo, exec_lo, s3
	s_delay_alu instid0(SALU_CYCLE_1)
	;; [unrolled: 21-line block ×3, first 2 shown]
	s_mov_b32 s3, exec_lo
	v_cmpx_gt_i32_e64 s2, v6
	s_cbranch_execz .LBB10_35
; %bb.34:
	v_add_nc_u32_e32 v6, s1, v6
	global_load_u8 v16, v6, s[6:7]
.LBB10_35:
	s_or_b32 exec_lo, exec_lo, s3
	s_waitcnt vmcnt(0)
	v_xor_b32_e32 v5, -1, v5
	v_xor_b32_e32 v4, -1, v4
	;; [unrolled: 1-line block ×3, first 2 shown]
	v_or_b32_e32 v20, 0x400, v0
	v_xor_b32_e32 v8, -1, v8
	v_and_b32_e32 v5, 0xff, v5
	v_lshlrev_b16 v4, 8, v4
	v_perm_b32 v11, v11, 0, 0x3020104
	v_cmp_gt_i32_e64 s0, s2, v20
	v_and_b32_e32 v8, 0xff, v8
	v_or_b32_e32 v6, 0x200, v0
	v_or_b32_e32 v4, v5, v4
	v_and_b32_e32 v5, 0xffff, v5
	v_cndmask_b32_e64 v11, 0, v11, s0
	v_cmp_gt_i32_e64 s0, s2, v2
	v_xor_b32_e32 v10, -1, v10
	v_and_b32_e32 v4, 0xffff, v4
	v_lshlrev_b32_e32 v8, 16, v8
	v_and_b32_e32 v20, 0xff, v11
	v_xor_b32_e32 v15, -1, v15
	v_lshlrev_b16 v10, 8, v10
	v_cndmask_b32_e64 v4, v5, v4, s0
	v_cmp_gt_i32_e64 s0, s2, v6
	v_xor_b32_e32 v6, -1, v14
	v_or_b32_e32 v14, 0xc00, v0
	v_or_b32_e32 v10, v20, v10
	;; [unrolled: 1-line block ×4, first 2 shown]
	v_xor_b32_e32 v17, -1, v17
	v_or_b32_e32 v21, 0x600, v0
	v_and_b32_e32 v10, 0xffff, v10
	v_cndmask_b32_e64 v4, v4, v8, s0
	v_xor_b32_e32 v8, -1, v19
	v_cmp_gt_i32_e64 s0, s2, v14
	v_xor_b32_e32 v12, -1, v12
	v_and_or_b32 v10, 0xffff0000, v11, v10
	v_and_b32_e32 v14, 0xff, v15
	v_perm_b32 v8, v8, 0, 0x3020104
	v_lshlrev_b16 v6, 8, v6
	v_xor_b32_e32 v7, -1, v7
	v_lshrrev_b32_e32 v19, 16, v4
	v_xor_b32_e32 v3, -1, v3
	v_cndmask_b32_e64 v8, 0, v8, s0
	v_cmp_gt_i32_e64 s0, s2, v5
	v_or_b32_e32 v6, v14, v6
	v_lshlrev_b16 v7, 8, v7
	v_and_b32_e32 v19, 0xff, v19
	v_lshlrev_b16 v3, 8, v3
	v_cndmask_b32_e64 v5, v11, v10, s0
	v_lshlrev_b16 v10, 8, v17
	v_and_b32_e32 v11, 0xff, v8
	v_cmp_gt_i32_e64 s0, s2, v21
	v_and_b32_e32 v6, 0xffff, v6
	v_perm_b32 v12, v5, v12, 0x7000504
	v_or_b32_e32 v7, v19, v7
	v_or_b32_e32 v10, v11, v10
	v_xor_b32_e32 v11, -1, v13
	v_or_b32_e32 v13, 0x900, v0
	v_cndmask_b32_e64 v5, v5, v12, s0
	v_and_b32_e32 v12, 0xffff, v14
	v_and_b32_e32 v10, 0xffff, v10
	;; [unrolled: 1-line block ×3, first 2 shown]
	v_or_b32_e32 v14, 0xd00, v0
	v_cmp_gt_i32_e64 s0, s2, v13
	v_or_b32_e32 v13, 0xa00, v0
	v_and_or_b32 v10, 0xffff0000, v8, v10
	v_lshlrev_b32_e32 v11, 16, v11
	v_lshlrev_b32_e32 v7, 16, v7
	v_cndmask_b32_e64 v6, v12, v6, s0
	v_cmp_gt_i32_e64 s0, s2, v14
	v_or_b32_e32 v14, 0xe00, v0
	v_lshrrev_b32_e32 v12, 16, v5
	v_xor_b32_e32 v9, -1, v9
	v_or_b32_e32 v11, v6, v11
	v_cndmask_b32_e64 v8, v8, v10, s0
	v_xor_b32_e32 v10, -1, v18
	v_cmp_gt_i32_e64 s0, s2, v13
	v_xor_b32_e32 v13, -1, v16
	v_lshlrev_b16 v9, 8, v9
	v_and_or_b32 v7, 0xffff, v4, v7
	v_perm_b32 v10, v8, v10, 0x7000504
	v_cndmask_b32_e64 v11, v6, v11, s0
	v_cmp_gt_i32_e64 s0, s2, v14
	v_and_b32_e32 v6, 0xff, v12
	s_delay_alu instid0(VALU_DEP_2) | instskip(NEXT) | instid1(VALU_DEP_4)
	v_cndmask_b32_e64 v8, v8, v10, s0
	v_lshrrev_b32_e32 v10, 16, v11
	s_delay_alu instid0(VALU_DEP_3) | instskip(NEXT) | instid1(VALU_DEP_3)
	v_or_b32_e32 v3, v6, v3
	v_lshrrev_b32_e32 v12, 16, v8
	s_delay_alu instid0(VALU_DEP_3) | instskip(NEXT) | instid1(VALU_DEP_3)
	v_and_b32_e32 v6, 0xff, v10
	v_lshlrev_b32_e32 v3, 16, v3
	s_delay_alu instid0(VALU_DEP_3) | instskip(SKIP_4) | instid1(VALU_DEP_4)
	v_and_b32_e32 v10, 0xff, v12
	v_lshlrev_b16 v12, 8, v13
	v_or_b32_e32 v13, 0x300, v0
	v_or_b32_e32 v9, v6, v9
	v_and_or_b32 v3, 0xffff, v5, v3
	v_or_b32_e32 v10, v10, v12
	s_delay_alu instid0(VALU_DEP_4) | instskip(SKIP_1) | instid1(VALU_DEP_2)
	v_cmp_gt_i32_e64 s0, s2, v13
	v_or_b32_e32 v12, 0xf00, v0
	v_cndmask_b32_e64 v6, v4, v7, s0
	v_or_b32_e32 v7, 0x700, v0
	v_lshlrev_b32_e32 v4, 16, v9
	v_lshlrev_b32_e32 v9, 16, v10
	v_or_b32_e32 v10, 0xb00, v0
	s_delay_alu instid0(VALU_DEP_4) | instskip(NEXT) | instid1(VALU_DEP_4)
	v_cmp_gt_i32_e64 s0, s2, v7
	v_and_or_b32 v4, 0xffff, v11, v4
	s_delay_alu instid0(VALU_DEP_4) | instskip(NEXT) | instid1(VALU_DEP_3)
	v_and_or_b32 v9, 0xffff, v8, v9
	v_cndmask_b32_e64 v5, v5, v3, s0
	v_cmp_gt_i32_e64 s0, s2, v10
	s_delay_alu instid0(VALU_DEP_1) | instskip(SKIP_1) | instid1(VALU_DEP_1)
	v_cndmask_b32_e64 v4, v11, v4, s0
	v_cmp_gt_i32_e64 s0, s2, v12
	v_cndmask_b32_e64 v3, v8, v9, s0
	s_and_saveexec_b32 s0, vcc_lo
	s_cbranch_execnz .LBB10_53
; %bb.36:
	s_or_b32 exec_lo, exec_lo, s0
	s_delay_alu instid0(SALU_CYCLE_1)
	s_mov_b32 s0, exec_lo
	v_cmpx_gt_i32_e64 s2, v0
	s_cbranch_execnz .LBB10_54
.LBB10_37:
	s_or_b32 exec_lo, exec_lo, s0
	s_delay_alu instid0(SALU_CYCLE_1)
	s_mov_b32 s0, exec_lo
	v_cmpx_gt_i32_e64 s2, v0
	s_cbranch_execnz .LBB10_55
.LBB10_38:
	s_or_b32 exec_lo, exec_lo, s0
	s_delay_alu instid0(SALU_CYCLE_1)
	s_mov_b32 s0, exec_lo
	v_cmpx_gt_i32_e64 s2, v0
	s_cbranch_execnz .LBB10_56
.LBB10_39:
	s_or_b32 exec_lo, exec_lo, s0
	s_delay_alu instid0(SALU_CYCLE_1)
	s_mov_b32 s0, exec_lo
	v_cmpx_gt_i32_e64 s2, v0
	s_cbranch_execnz .LBB10_57
.LBB10_40:
	s_or_b32 exec_lo, exec_lo, s0
	s_delay_alu instid0(SALU_CYCLE_1)
	s_mov_b32 s0, exec_lo
	v_cmpx_gt_i32_e64 s2, v0
	s_cbranch_execnz .LBB10_58
.LBB10_41:
	s_or_b32 exec_lo, exec_lo, s0
	s_delay_alu instid0(SALU_CYCLE_1)
	s_mov_b32 s0, exec_lo
	v_cmpx_gt_i32_e64 s2, v0
	s_cbranch_execnz .LBB10_59
.LBB10_42:
	s_or_b32 exec_lo, exec_lo, s0
	s_delay_alu instid0(SALU_CYCLE_1)
	s_mov_b32 s0, exec_lo
	v_cmpx_gt_i32_e64 s2, v0
	s_cbranch_execnz .LBB10_60
.LBB10_43:
	s_or_b32 exec_lo, exec_lo, s0
	s_delay_alu instid0(SALU_CYCLE_1)
	s_mov_b32 s0, exec_lo
	v_cmpx_gt_i32_e64 s2, v0
	s_cbranch_execnz .LBB10_61
.LBB10_44:
	s_or_b32 exec_lo, exec_lo, s0
	s_delay_alu instid0(SALU_CYCLE_1)
	s_mov_b32 s0, exec_lo
	v_cmpx_gt_i32_e64 s2, v0
	s_cbranch_execnz .LBB10_62
.LBB10_45:
	s_or_b32 exec_lo, exec_lo, s0
	s_delay_alu instid0(SALU_CYCLE_1)
	s_mov_b32 s0, exec_lo
	v_cmpx_gt_i32_e64 s2, v0
	s_cbranch_execnz .LBB10_63
.LBB10_46:
	s_or_b32 exec_lo, exec_lo, s0
	s_delay_alu instid0(SALU_CYCLE_1)
	s_mov_b32 s0, exec_lo
	v_cmpx_gt_i32_e64 s2, v0
	s_cbranch_execnz .LBB10_64
.LBB10_47:
	s_or_b32 exec_lo, exec_lo, s0
	s_delay_alu instid0(SALU_CYCLE_1)
	s_mov_b32 s0, exec_lo
	v_cmpx_gt_i32_e64 s2, v0
	s_cbranch_execnz .LBB10_65
.LBB10_48:
	s_or_b32 exec_lo, exec_lo, s0
	s_delay_alu instid0(SALU_CYCLE_1)
	s_mov_b32 s0, exec_lo
	v_cmpx_gt_i32_e64 s2, v0
	s_cbranch_execnz .LBB10_66
.LBB10_49:
	s_or_b32 exec_lo, exec_lo, s0
	s_delay_alu instid0(SALU_CYCLE_1)
	s_mov_b32 s0, exec_lo
	v_cmpx_gt_i32_e64 s2, v0
	s_cbranch_execnz .LBB10_67
.LBB10_50:
	s_or_b32 exec_lo, exec_lo, s0
	s_delay_alu instid0(SALU_CYCLE_1)
	s_mov_b32 s0, exec_lo
	v_cmpx_gt_i32_e64 s2, v0
	s_cbranch_execz .LBB10_52
.LBB10_51:
	v_add_nc_u32_e32 v0, s1, v0
	v_lshrrev_b32_e32 v1, 24, v3
	global_store_b8 v0, v1, s[4:5]
.LBB10_52:
	s_nop 0
	s_sendmsg sendmsg(MSG_DEALLOC_VGPRS)
	s_endpgm
.LBB10_53:
	v_mov_b32_e32 v0, v2
	global_store_b8 v1, v6, s[4:5]
	s_or_b32 exec_lo, exec_lo, s0
	s_delay_alu instid0(SALU_CYCLE_1)
	s_mov_b32 s0, exec_lo
	v_cmpx_gt_i32_e64 s2, v0
	s_cbranch_execz .LBB10_37
.LBB10_54:
	v_add_nc_u32_e32 v1, s1, v0
	v_lshrrev_b32_e32 v2, 8, v6
	v_add_nc_u32_e32 v0, 0x100, v0
	global_store_b8 v1, v2, s[4:5]
	s_or_b32 exec_lo, exec_lo, s0
	s_delay_alu instid0(SALU_CYCLE_1)
	s_mov_b32 s0, exec_lo
	v_cmpx_gt_i32_e64 s2, v0
	s_cbranch_execz .LBB10_38
.LBB10_55:
	v_add_nc_u32_e32 v1, s1, v0
	v_add_nc_u32_e32 v0, 0x100, v0
	global_store_d16_hi_b8 v1, v6, s[4:5]
	s_or_b32 exec_lo, exec_lo, s0
	s_delay_alu instid0(SALU_CYCLE_1)
	s_mov_b32 s0, exec_lo
	v_cmpx_gt_i32_e64 s2, v0
	s_cbranch_execz .LBB10_39
.LBB10_56:
	v_add_nc_u32_e32 v1, s1, v0
	v_lshrrev_b32_e32 v2, 24, v6
	v_add_nc_u32_e32 v0, 0x100, v0
	global_store_b8 v1, v2, s[4:5]
	s_or_b32 exec_lo, exec_lo, s0
	s_delay_alu instid0(SALU_CYCLE_1)
	s_mov_b32 s0, exec_lo
	v_cmpx_gt_i32_e64 s2, v0
	s_cbranch_execz .LBB10_40
.LBB10_57:
	v_add_nc_u32_e32 v1, s1, v0
	v_add_nc_u32_e32 v0, 0x100, v0
	global_store_b8 v1, v5, s[4:5]
	s_or_b32 exec_lo, exec_lo, s0
	s_delay_alu instid0(SALU_CYCLE_1)
	s_mov_b32 s0, exec_lo
	v_cmpx_gt_i32_e64 s2, v0
	s_cbranch_execz .LBB10_41
.LBB10_58:
	v_add_nc_u32_e32 v1, s1, v0
	v_lshrrev_b32_e32 v2, 8, v5
	v_add_nc_u32_e32 v0, 0x100, v0
	global_store_b8 v1, v2, s[4:5]
	s_or_b32 exec_lo, exec_lo, s0
	s_delay_alu instid0(SALU_CYCLE_1)
	s_mov_b32 s0, exec_lo
	v_cmpx_gt_i32_e64 s2, v0
	s_cbranch_execz .LBB10_42
.LBB10_59:
	v_add_nc_u32_e32 v1, s1, v0
	v_add_nc_u32_e32 v0, 0x100, v0
	global_store_d16_hi_b8 v1, v5, s[4:5]
	s_or_b32 exec_lo, exec_lo, s0
	s_delay_alu instid0(SALU_CYCLE_1)
	s_mov_b32 s0, exec_lo
	v_cmpx_gt_i32_e64 s2, v0
	s_cbranch_execz .LBB10_43
.LBB10_60:
	v_add_nc_u32_e32 v1, s1, v0
	v_lshrrev_b32_e32 v2, 24, v5
	v_add_nc_u32_e32 v0, 0x100, v0
	global_store_b8 v1, v2, s[4:5]
	s_or_b32 exec_lo, exec_lo, s0
	s_delay_alu instid0(SALU_CYCLE_1)
	s_mov_b32 s0, exec_lo
	v_cmpx_gt_i32_e64 s2, v0
	s_cbranch_execz .LBB10_44
.LBB10_61:
	v_add_nc_u32_e32 v1, s1, v0
	v_add_nc_u32_e32 v0, 0x100, v0
	global_store_b8 v1, v4, s[4:5]
	s_or_b32 exec_lo, exec_lo, s0
	s_delay_alu instid0(SALU_CYCLE_1)
	s_mov_b32 s0, exec_lo
	v_cmpx_gt_i32_e64 s2, v0
	s_cbranch_execz .LBB10_45
.LBB10_62:
	v_add_nc_u32_e32 v1, s1, v0
	v_lshrrev_b32_e32 v2, 8, v4
	v_add_nc_u32_e32 v0, 0x100, v0
	global_store_b8 v1, v2, s[4:5]
	s_or_b32 exec_lo, exec_lo, s0
	s_delay_alu instid0(SALU_CYCLE_1)
	s_mov_b32 s0, exec_lo
	v_cmpx_gt_i32_e64 s2, v0
	s_cbranch_execz .LBB10_46
.LBB10_63:
	v_add_nc_u32_e32 v1, s1, v0
	v_add_nc_u32_e32 v0, 0x100, v0
	global_store_d16_hi_b8 v1, v4, s[4:5]
	s_or_b32 exec_lo, exec_lo, s0
	s_delay_alu instid0(SALU_CYCLE_1)
	s_mov_b32 s0, exec_lo
	v_cmpx_gt_i32_e64 s2, v0
	s_cbranch_execz .LBB10_47
.LBB10_64:
	v_add_nc_u32_e32 v1, s1, v0
	v_lshrrev_b32_e32 v2, 24, v4
	v_add_nc_u32_e32 v0, 0x100, v0
	global_store_b8 v1, v2, s[4:5]
	s_or_b32 exec_lo, exec_lo, s0
	s_delay_alu instid0(SALU_CYCLE_1)
	s_mov_b32 s0, exec_lo
	v_cmpx_gt_i32_e64 s2, v0
	s_cbranch_execz .LBB10_48
.LBB10_65:
	v_add_nc_u32_e32 v1, s1, v0
	v_add_nc_u32_e32 v0, 0x100, v0
	global_store_b8 v1, v3, s[4:5]
	s_or_b32 exec_lo, exec_lo, s0
	s_delay_alu instid0(SALU_CYCLE_1)
	s_mov_b32 s0, exec_lo
	v_cmpx_gt_i32_e64 s2, v0
	s_cbranch_execz .LBB10_49
.LBB10_66:
	v_add_nc_u32_e32 v1, s1, v0
	v_lshrrev_b32_e32 v2, 8, v3
	v_add_nc_u32_e32 v0, 0x100, v0
	global_store_b8 v1, v2, s[4:5]
	s_or_b32 exec_lo, exec_lo, s0
	s_delay_alu instid0(SALU_CYCLE_1)
	s_mov_b32 s0, exec_lo
	v_cmpx_gt_i32_e64 s2, v0
	s_cbranch_execz .LBB10_50
.LBB10_67:
	v_add_nc_u32_e32 v1, s1, v0
	v_add_nc_u32_e32 v0, 0x100, v0
	global_store_d16_hi_b8 v1, v3, s[4:5]
	s_or_b32 exec_lo, exec_lo, s0
	s_delay_alu instid0(SALU_CYCLE_1)
	s_mov_b32 s0, exec_lo
	v_cmpx_gt_i32_e64 s2, v0
	s_cbranch_execnz .LBB10_51
	s_branch .LBB10_52
	.section	.rodata,"a",@progbits
	.p2align	6, 0x0
	.amdhsa_kernel _ZN2at6native29vectorized_elementwise_kernelILi4EZZZNS0_23bitwise_not_kernel_cudaERNS_18TensorIteratorBaseEENKUlvE_clEvENKUlvE_clEvEUlhE_St5arrayIPcLm2EEEEviT0_T1_
		.amdhsa_group_segment_fixed_size 0
		.amdhsa_private_segment_fixed_size 0
		.amdhsa_kernarg_size 24
		.amdhsa_user_sgpr_count 15
		.amdhsa_user_sgpr_dispatch_ptr 0
		.amdhsa_user_sgpr_queue_ptr 0
		.amdhsa_user_sgpr_kernarg_segment_ptr 1
		.amdhsa_user_sgpr_dispatch_id 0
		.amdhsa_user_sgpr_private_segment_size 0
		.amdhsa_wavefront_size32 1
		.amdhsa_uses_dynamic_stack 0
		.amdhsa_enable_private_segment 0
		.amdhsa_system_sgpr_workgroup_id_x 1
		.amdhsa_system_sgpr_workgroup_id_y 0
		.amdhsa_system_sgpr_workgroup_id_z 0
		.amdhsa_system_sgpr_workgroup_info 0
		.amdhsa_system_vgpr_workitem_id 0
		.amdhsa_next_free_vgpr 22
		.amdhsa_next_free_sgpr 16
		.amdhsa_reserve_vcc 1
		.amdhsa_float_round_mode_32 0
		.amdhsa_float_round_mode_16_64 0
		.amdhsa_float_denorm_mode_32 3
		.amdhsa_float_denorm_mode_16_64 3
		.amdhsa_dx10_clamp 1
		.amdhsa_ieee_mode 1
		.amdhsa_fp16_overflow 0
		.amdhsa_workgroup_processor_mode 1
		.amdhsa_memory_ordered 1
		.amdhsa_forward_progress 0
		.amdhsa_shared_vgpr_count 0
		.amdhsa_exception_fp_ieee_invalid_op 0
		.amdhsa_exception_fp_denorm_src 0
		.amdhsa_exception_fp_ieee_div_zero 0
		.amdhsa_exception_fp_ieee_overflow 0
		.amdhsa_exception_fp_ieee_underflow 0
		.amdhsa_exception_fp_ieee_inexact 0
		.amdhsa_exception_int_div_zero 0
	.end_amdhsa_kernel
	.section	.text._ZN2at6native29vectorized_elementwise_kernelILi4EZZZNS0_23bitwise_not_kernel_cudaERNS_18TensorIteratorBaseEENKUlvE_clEvENKUlvE_clEvEUlhE_St5arrayIPcLm2EEEEviT0_T1_,"axG",@progbits,_ZN2at6native29vectorized_elementwise_kernelILi4EZZZNS0_23bitwise_not_kernel_cudaERNS_18TensorIteratorBaseEENKUlvE_clEvENKUlvE_clEvEUlhE_St5arrayIPcLm2EEEEviT0_T1_,comdat
.Lfunc_end10:
	.size	_ZN2at6native29vectorized_elementwise_kernelILi4EZZZNS0_23bitwise_not_kernel_cudaERNS_18TensorIteratorBaseEENKUlvE_clEvENKUlvE_clEvEUlhE_St5arrayIPcLm2EEEEviT0_T1_, .Lfunc_end10-_ZN2at6native29vectorized_elementwise_kernelILi4EZZZNS0_23bitwise_not_kernel_cudaERNS_18TensorIteratorBaseEENKUlvE_clEvENKUlvE_clEvEUlhE_St5arrayIPcLm2EEEEviT0_T1_
                                        ; -- End function
	.section	.AMDGPU.csdata,"",@progbits
; Kernel info:
; codeLenInByte = 2824
; NumSgprs: 18
; NumVgprs: 22
; ScratchSize: 0
; MemoryBound: 0
; FloatMode: 240
; IeeeMode: 1
; LDSByteSize: 0 bytes/workgroup (compile time only)
; SGPRBlocks: 2
; VGPRBlocks: 2
; NumSGPRsForWavesPerEU: 18
; NumVGPRsForWavesPerEU: 22
; Occupancy: 16
; WaveLimiterHint : 1
; COMPUTE_PGM_RSRC2:SCRATCH_EN: 0
; COMPUTE_PGM_RSRC2:USER_SGPR: 15
; COMPUTE_PGM_RSRC2:TRAP_HANDLER: 0
; COMPUTE_PGM_RSRC2:TGID_X_EN: 1
; COMPUTE_PGM_RSRC2:TGID_Y_EN: 0
; COMPUTE_PGM_RSRC2:TGID_Z_EN: 0
; COMPUTE_PGM_RSRC2:TIDIG_COMP_CNT: 0
	.section	.text._ZN2at6native29vectorized_elementwise_kernelILi2EZZZNS0_23bitwise_not_kernel_cudaERNS_18TensorIteratorBaseEENKUlvE_clEvENKUlvE_clEvEUlhE_St5arrayIPcLm2EEEEviT0_T1_,"axG",@progbits,_ZN2at6native29vectorized_elementwise_kernelILi2EZZZNS0_23bitwise_not_kernel_cudaERNS_18TensorIteratorBaseEENKUlvE_clEvENKUlvE_clEvEUlhE_St5arrayIPcLm2EEEEviT0_T1_,comdat
	.globl	_ZN2at6native29vectorized_elementwise_kernelILi2EZZZNS0_23bitwise_not_kernel_cudaERNS_18TensorIteratorBaseEENKUlvE_clEvENKUlvE_clEvEUlhE_St5arrayIPcLm2EEEEviT0_T1_ ; -- Begin function _ZN2at6native29vectorized_elementwise_kernelILi2EZZZNS0_23bitwise_not_kernel_cudaERNS_18TensorIteratorBaseEENKUlvE_clEvENKUlvE_clEvEUlhE_St5arrayIPcLm2EEEEviT0_T1_
	.p2align	8
	.type	_ZN2at6native29vectorized_elementwise_kernelILi2EZZZNS0_23bitwise_not_kernel_cudaERNS_18TensorIteratorBaseEENKUlvE_clEvENKUlvE_clEvEUlhE_St5arrayIPcLm2EEEEviT0_T1_,@function
_ZN2at6native29vectorized_elementwise_kernelILi2EZZZNS0_23bitwise_not_kernel_cudaERNS_18TensorIteratorBaseEENKUlvE_clEvENKUlvE_clEvEUlhE_St5arrayIPcLm2EEEEviT0_T1_: ; @_ZN2at6native29vectorized_elementwise_kernelILi2EZZZNS0_23bitwise_not_kernel_cudaERNS_18TensorIteratorBaseEENKUlvE_clEvENKUlvE_clEvEUlhE_St5arrayIPcLm2EEEEviT0_T1_
; %bb.0:
	s_clause 0x1
	s_load_b32 s2, s[0:1], 0x0
	s_load_b128 s[4:7], s[0:1], 0x8
	s_lshl_b32 s1, s15, 12
	s_mov_b32 s0, -1
	s_waitcnt lgkmcnt(0)
	s_sub_i32 s2, s2, s1
	s_delay_alu instid0(SALU_CYCLE_1)
	s_cmpk_gt_i32 s2, 0xfff
	s_cbranch_scc0 .LBB11_2
; %bb.1:
	v_lshlrev_b32_e32 v1, 1, v0
	s_ashr_i32 s3, s1, 31
	s_add_u32 s8, s6, s1
	s_addc_u32 s9, s7, s3
	s_mov_b32 s0, 0
	s_clause 0x7
	global_load_u16 v2, v1, s[8:9]
	global_load_u16 v3, v1, s[8:9] offset:512
	global_load_u16 v4, v1, s[8:9] offset:1024
	;; [unrolled: 1-line block ×7, first 2 shown]
	s_add_u32 s8, s4, s1
	s_addc_u32 s9, s5, s3
	s_waitcnt vmcnt(7)
	v_xor_b32_e32 v2, -1, v2
	s_waitcnt vmcnt(6)
	v_xor_b32_e32 v3, -1, v3
	;; [unrolled: 2-line block ×8, first 2 shown]
	s_clause 0x7
	global_store_b16 v1, v2, s[8:9]
	global_store_b16 v1, v3, s[8:9] offset:512
	global_store_b16 v1, v4, s[8:9] offset:1024
	;; [unrolled: 1-line block ×7, first 2 shown]
.LBB11_2:
	s_and_not1_b32 vcc_lo, exec_lo, s0
	s_cbranch_vccnz .LBB11_52
; %bb.3:
	v_cmp_gt_i32_e32 vcc_lo, s2, v0
	v_dual_mov_b32 v4, 0 :: v_dual_mov_b32 v5, 0
	v_or_b32_e32 v1, s1, v0
	v_or_b32_e32 v2, 0x100, v0
	v_mov_b32_e32 v6, v0
	s_and_saveexec_b32 s0, vcc_lo
	s_cbranch_execz .LBB11_5
; %bb.4:
	global_load_u8 v5, v1, s[6:7]
	v_or_b32_e32 v6, 0x100, v0
.LBB11_5:
	s_or_b32 exec_lo, exec_lo, s0
	s_delay_alu instid0(SALU_CYCLE_1) | instskip(NEXT) | instid1(VALU_DEP_1)
	s_mov_b32 s3, exec_lo
	v_cmpx_gt_i32_e64 s2, v6
	s_cbranch_execz .LBB11_7
; %bb.6:
	v_add_nc_u32_e32 v3, s1, v6
	v_add_nc_u32_e32 v6, 0x100, v6
	global_load_u8 v4, v3, s[6:7]
.LBB11_7:
	s_or_b32 exec_lo, exec_lo, s3
	v_dual_mov_b32 v7, 0 :: v_dual_mov_b32 v8, 0
	s_mov_b32 s3, exec_lo
	v_cmpx_gt_i32_e64 s2, v6
	s_cbranch_execz .LBB11_9
; %bb.8:
	v_add_nc_u32_e32 v3, s1, v6
	v_add_nc_u32_e32 v6, 0x100, v6
	global_load_u8 v8, v3, s[6:7]
.LBB11_9:
	s_or_b32 exec_lo, exec_lo, s3
	s_delay_alu instid0(SALU_CYCLE_1)
	s_mov_b32 s3, exec_lo
	v_cmpx_gt_i32_e64 s2, v6
	s_cbranch_execz .LBB11_11
; %bb.10:
	v_add_nc_u32_e32 v3, s1, v6
	v_add_nc_u32_e32 v6, 0x100, v6
	global_load_u8 v7, v3, s[6:7]
.LBB11_11:
	s_or_b32 exec_lo, exec_lo, s3
	v_dual_mov_b32 v10, 0 :: v_dual_mov_b32 v11, 0
	s_mov_b32 s3, exec_lo
	v_cmpx_gt_i32_e64 s2, v6
	s_cbranch_execz .LBB11_13
; %bb.12:
	v_add_nc_u32_e32 v3, s1, v6
	v_add_nc_u32_e32 v6, 0x100, v6
	global_load_u8 v11, v3, s[6:7]
.LBB11_13:
	s_or_b32 exec_lo, exec_lo, s3
	s_delay_alu instid0(SALU_CYCLE_1)
	;; [unrolled: 20-line block ×4, first 2 shown]
	s_mov_b32 s3, exec_lo
	v_cmpx_gt_i32_e64 s2, v6
	s_cbranch_execz .LBB11_23
; %bb.22:
	v_add_nc_u32_e32 v9, s1, v6
	v_add_nc_u32_e32 v6, 0x100, v6
	global_load_u8 v14, v9, s[6:7]
.LBB11_23:
	s_or_b32 exec_lo, exec_lo, s3
	v_mov_b32_e32 v9, 0
	v_mov_b32_e32 v13, 0
	s_mov_b32 s3, exec_lo
	v_cmpx_gt_i32_e64 s2, v6
	s_cbranch_execz .LBB11_25
; %bb.24:
	v_add_nc_u32_e32 v13, s1, v6
	v_add_nc_u32_e32 v6, 0x100, v6
	global_load_u8 v13, v13, s[6:7]
.LBB11_25:
	s_or_b32 exec_lo, exec_lo, s3
	s_delay_alu instid0(SALU_CYCLE_1)
	s_mov_b32 s3, exec_lo
	v_cmpx_gt_i32_e64 s2, v6
	s_cbranch_execz .LBB11_27
; %bb.26:
	v_add_nc_u32_e32 v9, s1, v6
	v_add_nc_u32_e32 v6, 0x100, v6
	global_load_u8 v9, v9, s[6:7]
.LBB11_27:
	s_or_b32 exec_lo, exec_lo, s3
	v_mov_b32_e32 v17, 0
	v_mov_b32_e32 v19, 0
	s_mov_b32 s3, exec_lo
	v_cmpx_gt_i32_e64 s2, v6
	s_cbranch_execz .LBB11_29
; %bb.28:
	v_add_nc_u32_e32 v16, s1, v6
	v_add_nc_u32_e32 v6, 0x100, v6
	global_load_u8 v19, v16, s[6:7]
.LBB11_29:
	s_or_b32 exec_lo, exec_lo, s3
	s_delay_alu instid0(SALU_CYCLE_1)
	;; [unrolled: 21-line block ×3, first 2 shown]
	s_mov_b32 s3, exec_lo
	v_cmpx_gt_i32_e64 s2, v6
	s_cbranch_execz .LBB11_35
; %bb.34:
	v_add_nc_u32_e32 v6, s1, v6
	global_load_u8 v16, v6, s[6:7]
.LBB11_35:
	s_or_b32 exec_lo, exec_lo, s3
	s_waitcnt vmcnt(0)
	v_xor_b32_e32 v5, -1, v5
	v_xor_b32_e32 v4, -1, v4
	;; [unrolled: 1-line block ×3, first 2 shown]
	v_or_b32_e32 v20, 0x400, v0
	v_xor_b32_e32 v8, -1, v8
	v_and_b32_e32 v5, 0xff, v5
	v_lshlrev_b16 v4, 8, v4
	v_perm_b32 v11, v11, 0, 0x3020104
	v_cmp_gt_i32_e64 s0, s2, v20
	v_and_b32_e32 v8, 0xff, v8
	v_or_b32_e32 v6, 0x200, v0
	v_or_b32_e32 v4, v5, v4
	v_and_b32_e32 v5, 0xffff, v5
	v_cndmask_b32_e64 v11, 0, v11, s0
	v_cmp_gt_i32_e64 s0, s2, v2
	v_xor_b32_e32 v10, -1, v10
	v_and_b32_e32 v4, 0xffff, v4
	v_lshlrev_b32_e32 v8, 16, v8
	v_and_b32_e32 v20, 0xff, v11
	v_xor_b32_e32 v15, -1, v15
	v_lshlrev_b16 v10, 8, v10
	v_cndmask_b32_e64 v4, v5, v4, s0
	v_cmp_gt_i32_e64 s0, s2, v6
	v_xor_b32_e32 v6, -1, v14
	v_or_b32_e32 v14, 0xc00, v0
	v_or_b32_e32 v10, v20, v10
	;; [unrolled: 1-line block ×4, first 2 shown]
	v_xor_b32_e32 v17, -1, v17
	v_or_b32_e32 v21, 0x600, v0
	v_and_b32_e32 v10, 0xffff, v10
	v_cndmask_b32_e64 v4, v4, v8, s0
	v_xor_b32_e32 v8, -1, v19
	v_cmp_gt_i32_e64 s0, s2, v14
	v_xor_b32_e32 v12, -1, v12
	v_and_or_b32 v10, 0xffff0000, v11, v10
	v_and_b32_e32 v14, 0xff, v15
	v_perm_b32 v8, v8, 0, 0x3020104
	v_lshlrev_b16 v6, 8, v6
	v_xor_b32_e32 v7, -1, v7
	v_lshrrev_b32_e32 v19, 16, v4
	v_xor_b32_e32 v3, -1, v3
	v_cndmask_b32_e64 v8, 0, v8, s0
	v_cmp_gt_i32_e64 s0, s2, v5
	v_or_b32_e32 v6, v14, v6
	v_lshlrev_b16 v7, 8, v7
	v_and_b32_e32 v19, 0xff, v19
	v_lshlrev_b16 v3, 8, v3
	v_cndmask_b32_e64 v5, v11, v10, s0
	v_lshlrev_b16 v10, 8, v17
	v_and_b32_e32 v11, 0xff, v8
	v_cmp_gt_i32_e64 s0, s2, v21
	v_and_b32_e32 v6, 0xffff, v6
	v_perm_b32 v12, v5, v12, 0x7000504
	v_or_b32_e32 v7, v19, v7
	v_or_b32_e32 v10, v11, v10
	v_xor_b32_e32 v11, -1, v13
	v_or_b32_e32 v13, 0x900, v0
	v_cndmask_b32_e64 v5, v5, v12, s0
	v_and_b32_e32 v12, 0xffff, v14
	v_and_b32_e32 v10, 0xffff, v10
	;; [unrolled: 1-line block ×3, first 2 shown]
	v_or_b32_e32 v14, 0xd00, v0
	v_cmp_gt_i32_e64 s0, s2, v13
	v_or_b32_e32 v13, 0xa00, v0
	v_and_or_b32 v10, 0xffff0000, v8, v10
	v_lshlrev_b32_e32 v11, 16, v11
	v_lshlrev_b32_e32 v7, 16, v7
	v_cndmask_b32_e64 v6, v12, v6, s0
	v_cmp_gt_i32_e64 s0, s2, v14
	v_or_b32_e32 v14, 0xe00, v0
	v_lshrrev_b32_e32 v12, 16, v5
	v_xor_b32_e32 v9, -1, v9
	v_or_b32_e32 v11, v6, v11
	v_cndmask_b32_e64 v8, v8, v10, s0
	v_xor_b32_e32 v10, -1, v18
	v_cmp_gt_i32_e64 s0, s2, v13
	v_xor_b32_e32 v13, -1, v16
	v_lshlrev_b16 v9, 8, v9
	v_and_or_b32 v7, 0xffff, v4, v7
	v_perm_b32 v10, v8, v10, 0x7000504
	v_cndmask_b32_e64 v11, v6, v11, s0
	v_cmp_gt_i32_e64 s0, s2, v14
	v_and_b32_e32 v6, 0xff, v12
	s_delay_alu instid0(VALU_DEP_2) | instskip(NEXT) | instid1(VALU_DEP_4)
	v_cndmask_b32_e64 v8, v8, v10, s0
	v_lshrrev_b32_e32 v10, 16, v11
	s_delay_alu instid0(VALU_DEP_3) | instskip(NEXT) | instid1(VALU_DEP_3)
	v_or_b32_e32 v3, v6, v3
	v_lshrrev_b32_e32 v12, 16, v8
	s_delay_alu instid0(VALU_DEP_3) | instskip(NEXT) | instid1(VALU_DEP_3)
	v_and_b32_e32 v6, 0xff, v10
	v_lshlrev_b32_e32 v3, 16, v3
	s_delay_alu instid0(VALU_DEP_3) | instskip(SKIP_4) | instid1(VALU_DEP_4)
	v_and_b32_e32 v10, 0xff, v12
	v_lshlrev_b16 v12, 8, v13
	v_or_b32_e32 v13, 0x300, v0
	v_or_b32_e32 v9, v6, v9
	v_and_or_b32 v3, 0xffff, v5, v3
	v_or_b32_e32 v10, v10, v12
	s_delay_alu instid0(VALU_DEP_4) | instskip(SKIP_1) | instid1(VALU_DEP_2)
	v_cmp_gt_i32_e64 s0, s2, v13
	v_or_b32_e32 v12, 0xf00, v0
	v_cndmask_b32_e64 v6, v4, v7, s0
	v_or_b32_e32 v7, 0x700, v0
	v_lshlrev_b32_e32 v4, 16, v9
	v_lshlrev_b32_e32 v9, 16, v10
	v_or_b32_e32 v10, 0xb00, v0
	s_delay_alu instid0(VALU_DEP_4) | instskip(NEXT) | instid1(VALU_DEP_4)
	v_cmp_gt_i32_e64 s0, s2, v7
	v_and_or_b32 v4, 0xffff, v11, v4
	s_delay_alu instid0(VALU_DEP_4) | instskip(NEXT) | instid1(VALU_DEP_3)
	v_and_or_b32 v9, 0xffff, v8, v9
	v_cndmask_b32_e64 v5, v5, v3, s0
	v_cmp_gt_i32_e64 s0, s2, v10
	s_delay_alu instid0(VALU_DEP_1) | instskip(SKIP_1) | instid1(VALU_DEP_1)
	v_cndmask_b32_e64 v4, v11, v4, s0
	v_cmp_gt_i32_e64 s0, s2, v12
	v_cndmask_b32_e64 v3, v8, v9, s0
	s_and_saveexec_b32 s0, vcc_lo
	s_cbranch_execnz .LBB11_53
; %bb.36:
	s_or_b32 exec_lo, exec_lo, s0
	s_delay_alu instid0(SALU_CYCLE_1)
	s_mov_b32 s0, exec_lo
	v_cmpx_gt_i32_e64 s2, v0
	s_cbranch_execnz .LBB11_54
.LBB11_37:
	s_or_b32 exec_lo, exec_lo, s0
	s_delay_alu instid0(SALU_CYCLE_1)
	s_mov_b32 s0, exec_lo
	v_cmpx_gt_i32_e64 s2, v0
	s_cbranch_execnz .LBB11_55
.LBB11_38:
	s_or_b32 exec_lo, exec_lo, s0
	s_delay_alu instid0(SALU_CYCLE_1)
	s_mov_b32 s0, exec_lo
	v_cmpx_gt_i32_e64 s2, v0
	s_cbranch_execnz .LBB11_56
.LBB11_39:
	s_or_b32 exec_lo, exec_lo, s0
	s_delay_alu instid0(SALU_CYCLE_1)
	s_mov_b32 s0, exec_lo
	v_cmpx_gt_i32_e64 s2, v0
	s_cbranch_execnz .LBB11_57
.LBB11_40:
	s_or_b32 exec_lo, exec_lo, s0
	s_delay_alu instid0(SALU_CYCLE_1)
	s_mov_b32 s0, exec_lo
	v_cmpx_gt_i32_e64 s2, v0
	s_cbranch_execnz .LBB11_58
.LBB11_41:
	s_or_b32 exec_lo, exec_lo, s0
	s_delay_alu instid0(SALU_CYCLE_1)
	s_mov_b32 s0, exec_lo
	v_cmpx_gt_i32_e64 s2, v0
	s_cbranch_execnz .LBB11_59
.LBB11_42:
	s_or_b32 exec_lo, exec_lo, s0
	s_delay_alu instid0(SALU_CYCLE_1)
	s_mov_b32 s0, exec_lo
	v_cmpx_gt_i32_e64 s2, v0
	s_cbranch_execnz .LBB11_60
.LBB11_43:
	s_or_b32 exec_lo, exec_lo, s0
	s_delay_alu instid0(SALU_CYCLE_1)
	s_mov_b32 s0, exec_lo
	v_cmpx_gt_i32_e64 s2, v0
	s_cbranch_execnz .LBB11_61
.LBB11_44:
	s_or_b32 exec_lo, exec_lo, s0
	s_delay_alu instid0(SALU_CYCLE_1)
	s_mov_b32 s0, exec_lo
	v_cmpx_gt_i32_e64 s2, v0
	s_cbranch_execnz .LBB11_62
.LBB11_45:
	s_or_b32 exec_lo, exec_lo, s0
	s_delay_alu instid0(SALU_CYCLE_1)
	s_mov_b32 s0, exec_lo
	v_cmpx_gt_i32_e64 s2, v0
	s_cbranch_execnz .LBB11_63
.LBB11_46:
	s_or_b32 exec_lo, exec_lo, s0
	s_delay_alu instid0(SALU_CYCLE_1)
	s_mov_b32 s0, exec_lo
	v_cmpx_gt_i32_e64 s2, v0
	s_cbranch_execnz .LBB11_64
.LBB11_47:
	s_or_b32 exec_lo, exec_lo, s0
	s_delay_alu instid0(SALU_CYCLE_1)
	s_mov_b32 s0, exec_lo
	v_cmpx_gt_i32_e64 s2, v0
	s_cbranch_execnz .LBB11_65
.LBB11_48:
	s_or_b32 exec_lo, exec_lo, s0
	s_delay_alu instid0(SALU_CYCLE_1)
	s_mov_b32 s0, exec_lo
	v_cmpx_gt_i32_e64 s2, v0
	s_cbranch_execnz .LBB11_66
.LBB11_49:
	s_or_b32 exec_lo, exec_lo, s0
	s_delay_alu instid0(SALU_CYCLE_1)
	s_mov_b32 s0, exec_lo
	v_cmpx_gt_i32_e64 s2, v0
	s_cbranch_execnz .LBB11_67
.LBB11_50:
	s_or_b32 exec_lo, exec_lo, s0
	s_delay_alu instid0(SALU_CYCLE_1)
	s_mov_b32 s0, exec_lo
	v_cmpx_gt_i32_e64 s2, v0
	s_cbranch_execz .LBB11_52
.LBB11_51:
	v_add_nc_u32_e32 v0, s1, v0
	v_lshrrev_b32_e32 v1, 24, v3
	global_store_b8 v0, v1, s[4:5]
.LBB11_52:
	s_nop 0
	s_sendmsg sendmsg(MSG_DEALLOC_VGPRS)
	s_endpgm
.LBB11_53:
	v_mov_b32_e32 v0, v2
	global_store_b8 v1, v6, s[4:5]
	s_or_b32 exec_lo, exec_lo, s0
	s_delay_alu instid0(SALU_CYCLE_1)
	s_mov_b32 s0, exec_lo
	v_cmpx_gt_i32_e64 s2, v0
	s_cbranch_execz .LBB11_37
.LBB11_54:
	v_add_nc_u32_e32 v1, s1, v0
	v_lshrrev_b32_e32 v2, 8, v6
	v_add_nc_u32_e32 v0, 0x100, v0
	global_store_b8 v1, v2, s[4:5]
	s_or_b32 exec_lo, exec_lo, s0
	s_delay_alu instid0(SALU_CYCLE_1)
	s_mov_b32 s0, exec_lo
	v_cmpx_gt_i32_e64 s2, v0
	s_cbranch_execz .LBB11_38
.LBB11_55:
	v_add_nc_u32_e32 v1, s1, v0
	v_add_nc_u32_e32 v0, 0x100, v0
	global_store_d16_hi_b8 v1, v6, s[4:5]
	s_or_b32 exec_lo, exec_lo, s0
	s_delay_alu instid0(SALU_CYCLE_1)
	s_mov_b32 s0, exec_lo
	v_cmpx_gt_i32_e64 s2, v0
	s_cbranch_execz .LBB11_39
.LBB11_56:
	v_add_nc_u32_e32 v1, s1, v0
	v_lshrrev_b32_e32 v2, 24, v6
	v_add_nc_u32_e32 v0, 0x100, v0
	global_store_b8 v1, v2, s[4:5]
	s_or_b32 exec_lo, exec_lo, s0
	s_delay_alu instid0(SALU_CYCLE_1)
	s_mov_b32 s0, exec_lo
	v_cmpx_gt_i32_e64 s2, v0
	s_cbranch_execz .LBB11_40
.LBB11_57:
	v_add_nc_u32_e32 v1, s1, v0
	v_add_nc_u32_e32 v0, 0x100, v0
	global_store_b8 v1, v5, s[4:5]
	s_or_b32 exec_lo, exec_lo, s0
	s_delay_alu instid0(SALU_CYCLE_1)
	s_mov_b32 s0, exec_lo
	v_cmpx_gt_i32_e64 s2, v0
	s_cbranch_execz .LBB11_41
.LBB11_58:
	v_add_nc_u32_e32 v1, s1, v0
	v_lshrrev_b32_e32 v2, 8, v5
	v_add_nc_u32_e32 v0, 0x100, v0
	global_store_b8 v1, v2, s[4:5]
	s_or_b32 exec_lo, exec_lo, s0
	s_delay_alu instid0(SALU_CYCLE_1)
	s_mov_b32 s0, exec_lo
	v_cmpx_gt_i32_e64 s2, v0
	s_cbranch_execz .LBB11_42
.LBB11_59:
	v_add_nc_u32_e32 v1, s1, v0
	v_add_nc_u32_e32 v0, 0x100, v0
	global_store_d16_hi_b8 v1, v5, s[4:5]
	s_or_b32 exec_lo, exec_lo, s0
	s_delay_alu instid0(SALU_CYCLE_1)
	s_mov_b32 s0, exec_lo
	v_cmpx_gt_i32_e64 s2, v0
	s_cbranch_execz .LBB11_43
.LBB11_60:
	v_add_nc_u32_e32 v1, s1, v0
	v_lshrrev_b32_e32 v2, 24, v5
	v_add_nc_u32_e32 v0, 0x100, v0
	global_store_b8 v1, v2, s[4:5]
	s_or_b32 exec_lo, exec_lo, s0
	s_delay_alu instid0(SALU_CYCLE_1)
	s_mov_b32 s0, exec_lo
	v_cmpx_gt_i32_e64 s2, v0
	s_cbranch_execz .LBB11_44
.LBB11_61:
	v_add_nc_u32_e32 v1, s1, v0
	v_add_nc_u32_e32 v0, 0x100, v0
	global_store_b8 v1, v4, s[4:5]
	s_or_b32 exec_lo, exec_lo, s0
	s_delay_alu instid0(SALU_CYCLE_1)
	s_mov_b32 s0, exec_lo
	v_cmpx_gt_i32_e64 s2, v0
	s_cbranch_execz .LBB11_45
.LBB11_62:
	v_add_nc_u32_e32 v1, s1, v0
	v_lshrrev_b32_e32 v2, 8, v4
	v_add_nc_u32_e32 v0, 0x100, v0
	global_store_b8 v1, v2, s[4:5]
	s_or_b32 exec_lo, exec_lo, s0
	s_delay_alu instid0(SALU_CYCLE_1)
	s_mov_b32 s0, exec_lo
	v_cmpx_gt_i32_e64 s2, v0
	s_cbranch_execz .LBB11_46
.LBB11_63:
	v_add_nc_u32_e32 v1, s1, v0
	v_add_nc_u32_e32 v0, 0x100, v0
	global_store_d16_hi_b8 v1, v4, s[4:5]
	s_or_b32 exec_lo, exec_lo, s0
	s_delay_alu instid0(SALU_CYCLE_1)
	s_mov_b32 s0, exec_lo
	v_cmpx_gt_i32_e64 s2, v0
	s_cbranch_execz .LBB11_47
.LBB11_64:
	v_add_nc_u32_e32 v1, s1, v0
	v_lshrrev_b32_e32 v2, 24, v4
	v_add_nc_u32_e32 v0, 0x100, v0
	global_store_b8 v1, v2, s[4:5]
	s_or_b32 exec_lo, exec_lo, s0
	s_delay_alu instid0(SALU_CYCLE_1)
	s_mov_b32 s0, exec_lo
	v_cmpx_gt_i32_e64 s2, v0
	s_cbranch_execz .LBB11_48
.LBB11_65:
	v_add_nc_u32_e32 v1, s1, v0
	v_add_nc_u32_e32 v0, 0x100, v0
	global_store_b8 v1, v3, s[4:5]
	s_or_b32 exec_lo, exec_lo, s0
	s_delay_alu instid0(SALU_CYCLE_1)
	s_mov_b32 s0, exec_lo
	v_cmpx_gt_i32_e64 s2, v0
	s_cbranch_execz .LBB11_49
.LBB11_66:
	v_add_nc_u32_e32 v1, s1, v0
	v_lshrrev_b32_e32 v2, 8, v3
	v_add_nc_u32_e32 v0, 0x100, v0
	global_store_b8 v1, v2, s[4:5]
	s_or_b32 exec_lo, exec_lo, s0
	s_delay_alu instid0(SALU_CYCLE_1)
	s_mov_b32 s0, exec_lo
	v_cmpx_gt_i32_e64 s2, v0
	s_cbranch_execz .LBB11_50
.LBB11_67:
	v_add_nc_u32_e32 v1, s1, v0
	v_add_nc_u32_e32 v0, 0x100, v0
	global_store_d16_hi_b8 v1, v3, s[4:5]
	s_or_b32 exec_lo, exec_lo, s0
	s_delay_alu instid0(SALU_CYCLE_1)
	s_mov_b32 s0, exec_lo
	v_cmpx_gt_i32_e64 s2, v0
	s_cbranch_execnz .LBB11_51
	s_branch .LBB11_52
	.section	.rodata,"a",@progbits
	.p2align	6, 0x0
	.amdhsa_kernel _ZN2at6native29vectorized_elementwise_kernelILi2EZZZNS0_23bitwise_not_kernel_cudaERNS_18TensorIteratorBaseEENKUlvE_clEvENKUlvE_clEvEUlhE_St5arrayIPcLm2EEEEviT0_T1_
		.amdhsa_group_segment_fixed_size 0
		.amdhsa_private_segment_fixed_size 0
		.amdhsa_kernarg_size 24
		.amdhsa_user_sgpr_count 15
		.amdhsa_user_sgpr_dispatch_ptr 0
		.amdhsa_user_sgpr_queue_ptr 0
		.amdhsa_user_sgpr_kernarg_segment_ptr 1
		.amdhsa_user_sgpr_dispatch_id 0
		.amdhsa_user_sgpr_private_segment_size 0
		.amdhsa_wavefront_size32 1
		.amdhsa_uses_dynamic_stack 0
		.amdhsa_enable_private_segment 0
		.amdhsa_system_sgpr_workgroup_id_x 1
		.amdhsa_system_sgpr_workgroup_id_y 0
		.amdhsa_system_sgpr_workgroup_id_z 0
		.amdhsa_system_sgpr_workgroup_info 0
		.amdhsa_system_vgpr_workitem_id 0
		.amdhsa_next_free_vgpr 22
		.amdhsa_next_free_sgpr 16
		.amdhsa_reserve_vcc 1
		.amdhsa_float_round_mode_32 0
		.amdhsa_float_round_mode_16_64 0
		.amdhsa_float_denorm_mode_32 3
		.amdhsa_float_denorm_mode_16_64 3
		.amdhsa_dx10_clamp 1
		.amdhsa_ieee_mode 1
		.amdhsa_fp16_overflow 0
		.amdhsa_workgroup_processor_mode 1
		.amdhsa_memory_ordered 1
		.amdhsa_forward_progress 0
		.amdhsa_shared_vgpr_count 0
		.amdhsa_exception_fp_ieee_invalid_op 0
		.amdhsa_exception_fp_denorm_src 0
		.amdhsa_exception_fp_ieee_div_zero 0
		.amdhsa_exception_fp_ieee_overflow 0
		.amdhsa_exception_fp_ieee_underflow 0
		.amdhsa_exception_fp_ieee_inexact 0
		.amdhsa_exception_int_div_zero 0
	.end_amdhsa_kernel
	.section	.text._ZN2at6native29vectorized_elementwise_kernelILi2EZZZNS0_23bitwise_not_kernel_cudaERNS_18TensorIteratorBaseEENKUlvE_clEvENKUlvE_clEvEUlhE_St5arrayIPcLm2EEEEviT0_T1_,"axG",@progbits,_ZN2at6native29vectorized_elementwise_kernelILi2EZZZNS0_23bitwise_not_kernel_cudaERNS_18TensorIteratorBaseEENKUlvE_clEvENKUlvE_clEvEUlhE_St5arrayIPcLm2EEEEviT0_T1_,comdat
.Lfunc_end11:
	.size	_ZN2at6native29vectorized_elementwise_kernelILi2EZZZNS0_23bitwise_not_kernel_cudaERNS_18TensorIteratorBaseEENKUlvE_clEvENKUlvE_clEvEUlhE_St5arrayIPcLm2EEEEviT0_T1_, .Lfunc_end11-_ZN2at6native29vectorized_elementwise_kernelILi2EZZZNS0_23bitwise_not_kernel_cudaERNS_18TensorIteratorBaseEENKUlvE_clEvENKUlvE_clEvEUlhE_St5arrayIPcLm2EEEEviT0_T1_
                                        ; -- End function
	.section	.AMDGPU.csdata,"",@progbits
; Kernel info:
; codeLenInByte = 2920
; NumSgprs: 18
; NumVgprs: 22
; ScratchSize: 0
; MemoryBound: 0
; FloatMode: 240
; IeeeMode: 1
; LDSByteSize: 0 bytes/workgroup (compile time only)
; SGPRBlocks: 2
; VGPRBlocks: 2
; NumSGPRsForWavesPerEU: 18
; NumVGPRsForWavesPerEU: 22
; Occupancy: 16
; WaveLimiterHint : 1
; COMPUTE_PGM_RSRC2:SCRATCH_EN: 0
; COMPUTE_PGM_RSRC2:USER_SGPR: 15
; COMPUTE_PGM_RSRC2:TRAP_HANDLER: 0
; COMPUTE_PGM_RSRC2:TGID_X_EN: 1
; COMPUTE_PGM_RSRC2:TGID_Y_EN: 0
; COMPUTE_PGM_RSRC2:TGID_Z_EN: 0
; COMPUTE_PGM_RSRC2:TIDIG_COMP_CNT: 0
	.section	.text._ZN2at6native27unrolled_elementwise_kernelIZZZNS0_23bitwise_not_kernel_cudaERNS_18TensorIteratorBaseEENKUlvE_clEvENKUlvE_clEvEUlhE_St5arrayIPcLm2EELi4E23TrivialOffsetCalculatorILi1EjESB_NS0_6memory15LoadWithoutCastENSC_16StoreWithoutCastEEEviT_T0_T2_T3_T4_T5_,"axG",@progbits,_ZN2at6native27unrolled_elementwise_kernelIZZZNS0_23bitwise_not_kernel_cudaERNS_18TensorIteratorBaseEENKUlvE_clEvENKUlvE_clEvEUlhE_St5arrayIPcLm2EELi4E23TrivialOffsetCalculatorILi1EjESB_NS0_6memory15LoadWithoutCastENSC_16StoreWithoutCastEEEviT_T0_T2_T3_T4_T5_,comdat
	.globl	_ZN2at6native27unrolled_elementwise_kernelIZZZNS0_23bitwise_not_kernel_cudaERNS_18TensorIteratorBaseEENKUlvE_clEvENKUlvE_clEvEUlhE_St5arrayIPcLm2EELi4E23TrivialOffsetCalculatorILi1EjESB_NS0_6memory15LoadWithoutCastENSC_16StoreWithoutCastEEEviT_T0_T2_T3_T4_T5_ ; -- Begin function _ZN2at6native27unrolled_elementwise_kernelIZZZNS0_23bitwise_not_kernel_cudaERNS_18TensorIteratorBaseEENKUlvE_clEvENKUlvE_clEvEUlhE_St5arrayIPcLm2EELi4E23TrivialOffsetCalculatorILi1EjESB_NS0_6memory15LoadWithoutCastENSC_16StoreWithoutCastEEEviT_T0_T2_T3_T4_T5_
	.p2align	8
	.type	_ZN2at6native27unrolled_elementwise_kernelIZZZNS0_23bitwise_not_kernel_cudaERNS_18TensorIteratorBaseEENKUlvE_clEvENKUlvE_clEvEUlhE_St5arrayIPcLm2EELi4E23TrivialOffsetCalculatorILi1EjESB_NS0_6memory15LoadWithoutCastENSC_16StoreWithoutCastEEEviT_T0_T2_T3_T4_T5_,@function
_ZN2at6native27unrolled_elementwise_kernelIZZZNS0_23bitwise_not_kernel_cudaERNS_18TensorIteratorBaseEENKUlvE_clEvENKUlvE_clEvEUlhE_St5arrayIPcLm2EELi4E23TrivialOffsetCalculatorILi1EjESB_NS0_6memory15LoadWithoutCastENSC_16StoreWithoutCastEEEviT_T0_T2_T3_T4_T5_: ; @_ZN2at6native27unrolled_elementwise_kernelIZZZNS0_23bitwise_not_kernel_cudaERNS_18TensorIteratorBaseEENKUlvE_clEvENKUlvE_clEvEUlhE_St5arrayIPcLm2EELi4E23TrivialOffsetCalculatorILi1EjESB_NS0_6memory15LoadWithoutCastENSC_16StoreWithoutCastEEEviT_T0_T2_T3_T4_T5_
; %bb.0:
	s_clause 0x1
	s_load_b32 s2, s[0:1], 0x0
	s_load_b128 s[4:7], s[0:1], 0x8
	s_lshl_b32 s1, s15, 10
	v_dual_mov_b32 v3, 0xff :: v_dual_mov_b32 v4, 0xff
	v_or_b32_e32 v1, s1, v0
	v_or_b32_e32 v2, 0x100, v0
	v_mov_b32_e32 v6, v0
	s_waitcnt lgkmcnt(0)
	s_sub_i32 s2, s2, s1
	s_delay_alu instid0(SALU_CYCLE_1)
	v_cmp_gt_i32_e32 vcc_lo, s2, v0
	s_and_saveexec_b32 s0, vcc_lo
	s_cbranch_execz .LBB12_2
; %bb.1:
	global_load_u8 v4, v1, s[6:7]
	v_or_b32_e32 v6, 0x100, v0
	s_waitcnt vmcnt(0)
	v_xor_b32_e32 v4, -1, v4
.LBB12_2:
	s_or_b32 exec_lo, exec_lo, s0
	s_delay_alu instid0(SALU_CYCLE_1)
	s_mov_b32 s3, exec_lo
	v_cmpx_gt_i32_e64 s2, v6
	s_cbranch_execz .LBB12_4
; %bb.3:
	v_add_nc_u32_e32 v3, s1, v6
	v_add_nc_u32_e32 v6, 0x100, v6
	global_load_u8 v3, v3, s[6:7]
	s_waitcnt vmcnt(0)
	v_xor_b32_e32 v3, -1, v3
.LBB12_4:
	s_or_b32 exec_lo, exec_lo, s3
	v_mov_b32_e32 v5, 0xff
	v_mov_b32_e32 v7, 0xff
	s_mov_b32 s3, exec_lo
	v_cmpx_gt_i32_e64 s2, v6
	s_cbranch_execz .LBB12_6
; %bb.5:
	v_add_nc_u32_e32 v7, s1, v6
	v_add_nc_u32_e32 v6, 0x100, v6
	global_load_u8 v7, v7, s[6:7]
	s_waitcnt vmcnt(0)
	v_xor_b32_e32 v7, -1, v7
.LBB12_6:
	s_or_b32 exec_lo, exec_lo, s3
	s_delay_alu instid0(SALU_CYCLE_1)
	s_mov_b32 s3, exec_lo
	v_cmpx_gt_i32_e64 s2, v6
	s_cbranch_execz .LBB12_8
; %bb.7:
	v_add_nc_u32_e32 v5, s1, v6
	global_load_u8 v5, v5, s[6:7]
	s_waitcnt vmcnt(0)
	v_xor_b32_e32 v5, -1, v5
.LBB12_8:
	s_or_b32 exec_lo, exec_lo, s3
	v_and_b32_e32 v4, 0xff, v4
	v_lshlrev_b16 v3, 8, v3
	v_and_b32_e32 v6, 0xff, v7
	v_cmp_gt_i32_e64 s0, s2, v2
	v_lshlrev_b16 v5, 8, v5
	s_delay_alu instid0(VALU_DEP_4) | instskip(SKIP_2) | instid1(VALU_DEP_3)
	v_or_b32_e32 v3, v4, v3
	v_and_b32_e32 v4, 0xffff, v4
	v_lshlrev_b32_e32 v6, 16, v6
	v_and_b32_e32 v3, 0xffff, v3
	s_delay_alu instid0(VALU_DEP_1) | instskip(SKIP_1) | instid1(VALU_DEP_2)
	v_cndmask_b32_e64 v3, v4, v3, s0
	v_or_b32_e32 v4, 0x200, v0
	v_or_b32_e32 v6, v3, v6
	s_delay_alu instid0(VALU_DEP_2) | instskip(NEXT) | instid1(VALU_DEP_1)
	v_cmp_gt_i32_e64 s0, s2, v4
	v_cndmask_b32_e64 v3, v3, v6, s0
	s_delay_alu instid0(VALU_DEP_1) | instskip(NEXT) | instid1(VALU_DEP_1)
	v_lshrrev_b32_e32 v4, 16, v3
	v_and_b32_e32 v4, 0xff, v4
	s_delay_alu instid0(VALU_DEP_1) | instskip(SKIP_1) | instid1(VALU_DEP_2)
	v_or_b32_e32 v4, v4, v5
	v_or_b32_e32 v5, 0x300, v0
	v_lshlrev_b32_e32 v4, 16, v4
	s_delay_alu instid0(VALU_DEP_2) | instskip(NEXT) | instid1(VALU_DEP_2)
	v_cmp_gt_i32_e64 s0, s2, v5
	v_and_or_b32 v4, 0xffff, v3, v4
	s_delay_alu instid0(VALU_DEP_1)
	v_cndmask_b32_e64 v3, v3, v4, s0
	s_and_saveexec_b32 s0, vcc_lo
	s_cbranch_execnz .LBB12_13
; %bb.9:
	s_or_b32 exec_lo, exec_lo, s0
	s_delay_alu instid0(SALU_CYCLE_1)
	s_mov_b32 s0, exec_lo
	v_cmpx_gt_i32_e64 s2, v0
	s_cbranch_execnz .LBB12_14
.LBB12_10:
	s_or_b32 exec_lo, exec_lo, s0
	s_delay_alu instid0(SALU_CYCLE_1)
	s_mov_b32 s0, exec_lo
	v_cmpx_gt_i32_e64 s2, v0
	s_cbranch_execnz .LBB12_15
.LBB12_11:
	s_or_b32 exec_lo, exec_lo, s0
	s_delay_alu instid0(SALU_CYCLE_1)
	s_mov_b32 s0, exec_lo
	v_cmpx_gt_i32_e64 s2, v0
	s_cbranch_execnz .LBB12_16
.LBB12_12:
	s_nop 0
	s_sendmsg sendmsg(MSG_DEALLOC_VGPRS)
	s_endpgm
.LBB12_13:
	v_mov_b32_e32 v0, v2
	global_store_b8 v1, v3, s[4:5]
	s_or_b32 exec_lo, exec_lo, s0
	s_delay_alu instid0(SALU_CYCLE_1)
	s_mov_b32 s0, exec_lo
	v_cmpx_gt_i32_e64 s2, v0
	s_cbranch_execz .LBB12_10
.LBB12_14:
	v_add_nc_u32_e32 v1, 0x100, v0
	v_lshrrev_b32_e32 v2, 8, v3
	v_add_nc_u32_e32 v4, s1, v0
	s_delay_alu instid0(VALU_DEP_3) | instskip(SKIP_2) | instid1(SALU_CYCLE_1)
	v_mov_b32_e32 v0, v1
	global_store_b8 v4, v2, s[4:5]
	s_or_b32 exec_lo, exec_lo, s0
	s_mov_b32 s0, exec_lo
	v_cmpx_gt_i32_e64 s2, v0
	s_cbranch_execz .LBB12_11
.LBB12_15:
	v_add_nc_u32_e32 v1, 0x100, v0
	v_add_nc_u32_e32 v2, s1, v0
	s_delay_alu instid0(VALU_DEP_2) | instskip(SKIP_2) | instid1(SALU_CYCLE_1)
	v_mov_b32_e32 v0, v1
	global_store_d16_hi_b8 v2, v3, s[4:5]
	s_or_b32 exec_lo, exec_lo, s0
	s_mov_b32 s0, exec_lo
	v_cmpx_gt_i32_e64 s2, v0
	s_cbranch_execz .LBB12_12
.LBB12_16:
	v_lshrrev_b32_e32 v1, 24, v3
	v_add_nc_u32_e32 v0, s1, v0
	global_store_b8 v0, v1, s[4:5]
	s_nop 0
	s_sendmsg sendmsg(MSG_DEALLOC_VGPRS)
	s_endpgm
	.section	.rodata,"a",@progbits
	.p2align	6, 0x0
	.amdhsa_kernel _ZN2at6native27unrolled_elementwise_kernelIZZZNS0_23bitwise_not_kernel_cudaERNS_18TensorIteratorBaseEENKUlvE_clEvENKUlvE_clEvEUlhE_St5arrayIPcLm2EELi4E23TrivialOffsetCalculatorILi1EjESB_NS0_6memory15LoadWithoutCastENSC_16StoreWithoutCastEEEviT_T0_T2_T3_T4_T5_
		.amdhsa_group_segment_fixed_size 0
		.amdhsa_private_segment_fixed_size 0
		.amdhsa_kernarg_size 28
		.amdhsa_user_sgpr_count 15
		.amdhsa_user_sgpr_dispatch_ptr 0
		.amdhsa_user_sgpr_queue_ptr 0
		.amdhsa_user_sgpr_kernarg_segment_ptr 1
		.amdhsa_user_sgpr_dispatch_id 0
		.amdhsa_user_sgpr_private_segment_size 0
		.amdhsa_wavefront_size32 1
		.amdhsa_uses_dynamic_stack 0
		.amdhsa_enable_private_segment 0
		.amdhsa_system_sgpr_workgroup_id_x 1
		.amdhsa_system_sgpr_workgroup_id_y 0
		.amdhsa_system_sgpr_workgroup_id_z 0
		.amdhsa_system_sgpr_workgroup_info 0
		.amdhsa_system_vgpr_workitem_id 0
		.amdhsa_next_free_vgpr 8
		.amdhsa_next_free_sgpr 16
		.amdhsa_reserve_vcc 1
		.amdhsa_float_round_mode_32 0
		.amdhsa_float_round_mode_16_64 0
		.amdhsa_float_denorm_mode_32 3
		.amdhsa_float_denorm_mode_16_64 3
		.amdhsa_dx10_clamp 1
		.amdhsa_ieee_mode 1
		.amdhsa_fp16_overflow 0
		.amdhsa_workgroup_processor_mode 1
		.amdhsa_memory_ordered 1
		.amdhsa_forward_progress 0
		.amdhsa_shared_vgpr_count 0
		.amdhsa_exception_fp_ieee_invalid_op 0
		.amdhsa_exception_fp_denorm_src 0
		.amdhsa_exception_fp_ieee_div_zero 0
		.amdhsa_exception_fp_ieee_overflow 0
		.amdhsa_exception_fp_ieee_underflow 0
		.amdhsa_exception_fp_ieee_inexact 0
		.amdhsa_exception_int_div_zero 0
	.end_amdhsa_kernel
	.section	.text._ZN2at6native27unrolled_elementwise_kernelIZZZNS0_23bitwise_not_kernel_cudaERNS_18TensorIteratorBaseEENKUlvE_clEvENKUlvE_clEvEUlhE_St5arrayIPcLm2EELi4E23TrivialOffsetCalculatorILi1EjESB_NS0_6memory15LoadWithoutCastENSC_16StoreWithoutCastEEEviT_T0_T2_T3_T4_T5_,"axG",@progbits,_ZN2at6native27unrolled_elementwise_kernelIZZZNS0_23bitwise_not_kernel_cudaERNS_18TensorIteratorBaseEENKUlvE_clEvENKUlvE_clEvEUlhE_St5arrayIPcLm2EELi4E23TrivialOffsetCalculatorILi1EjESB_NS0_6memory15LoadWithoutCastENSC_16StoreWithoutCastEEEviT_T0_T2_T3_T4_T5_,comdat
.Lfunc_end12:
	.size	_ZN2at6native27unrolled_elementwise_kernelIZZZNS0_23bitwise_not_kernel_cudaERNS_18TensorIteratorBaseEENKUlvE_clEvENKUlvE_clEvEUlhE_St5arrayIPcLm2EELi4E23TrivialOffsetCalculatorILi1EjESB_NS0_6memory15LoadWithoutCastENSC_16StoreWithoutCastEEEviT_T0_T2_T3_T4_T5_, .Lfunc_end12-_ZN2at6native27unrolled_elementwise_kernelIZZZNS0_23bitwise_not_kernel_cudaERNS_18TensorIteratorBaseEENKUlvE_clEvENKUlvE_clEvEUlhE_St5arrayIPcLm2EELi4E23TrivialOffsetCalculatorILi1EjESB_NS0_6memory15LoadWithoutCastENSC_16StoreWithoutCastEEEviT_T0_T2_T3_T4_T5_
                                        ; -- End function
	.section	.AMDGPU.csdata,"",@progbits
; Kernel info:
; codeLenInByte = 704
; NumSgprs: 18
; NumVgprs: 8
; ScratchSize: 0
; MemoryBound: 0
; FloatMode: 240
; IeeeMode: 1
; LDSByteSize: 0 bytes/workgroup (compile time only)
; SGPRBlocks: 2
; VGPRBlocks: 0
; NumSGPRsForWavesPerEU: 18
; NumVGPRsForWavesPerEU: 8
; Occupancy: 16
; WaveLimiterHint : 0
; COMPUTE_PGM_RSRC2:SCRATCH_EN: 0
; COMPUTE_PGM_RSRC2:USER_SGPR: 15
; COMPUTE_PGM_RSRC2:TRAP_HANDLER: 0
; COMPUTE_PGM_RSRC2:TGID_X_EN: 1
; COMPUTE_PGM_RSRC2:TGID_Y_EN: 0
; COMPUTE_PGM_RSRC2:TGID_Z_EN: 0
; COMPUTE_PGM_RSRC2:TIDIG_COMP_CNT: 0
	.section	.text._ZN2at6native32elementwise_kernel_manual_unrollILi128ELi8EZNS0_22gpu_kernel_impl_nocastIZZZNS0_23bitwise_not_kernel_cudaERNS_18TensorIteratorBaseEENKUlvE_clEvENKUlvE_clEvEUlhE_EEvS4_RKT_EUlibE_EEviT1_,"axG",@progbits,_ZN2at6native32elementwise_kernel_manual_unrollILi128ELi8EZNS0_22gpu_kernel_impl_nocastIZZZNS0_23bitwise_not_kernel_cudaERNS_18TensorIteratorBaseEENKUlvE_clEvENKUlvE_clEvEUlhE_EEvS4_RKT_EUlibE_EEviT1_,comdat
	.globl	_ZN2at6native32elementwise_kernel_manual_unrollILi128ELi8EZNS0_22gpu_kernel_impl_nocastIZZZNS0_23bitwise_not_kernel_cudaERNS_18TensorIteratorBaseEENKUlvE_clEvENKUlvE_clEvEUlhE_EEvS4_RKT_EUlibE_EEviT1_ ; -- Begin function _ZN2at6native32elementwise_kernel_manual_unrollILi128ELi8EZNS0_22gpu_kernel_impl_nocastIZZZNS0_23bitwise_not_kernel_cudaERNS_18TensorIteratorBaseEENKUlvE_clEvENKUlvE_clEvEUlhE_EEvS4_RKT_EUlibE_EEviT1_
	.p2align	8
	.type	_ZN2at6native32elementwise_kernel_manual_unrollILi128ELi8EZNS0_22gpu_kernel_impl_nocastIZZZNS0_23bitwise_not_kernel_cudaERNS_18TensorIteratorBaseEENKUlvE_clEvENKUlvE_clEvEUlhE_EEvS4_RKT_EUlibE_EEviT1_,@function
_ZN2at6native32elementwise_kernel_manual_unrollILi128ELi8EZNS0_22gpu_kernel_impl_nocastIZZZNS0_23bitwise_not_kernel_cudaERNS_18TensorIteratorBaseEENKUlvE_clEvENKUlvE_clEvEUlhE_EEvS4_RKT_EUlibE_EEviT1_: ; @_ZN2at6native32elementwise_kernel_manual_unrollILi128ELi8EZNS0_22gpu_kernel_impl_nocastIZZZNS0_23bitwise_not_kernel_cudaERNS_18TensorIteratorBaseEENKUlvE_clEvENKUlvE_clEvEUlhE_EEvS4_RKT_EUlibE_EEviT1_
; %bb.0:
	s_clause 0x1
	s_load_b32 s22, s[0:1], 0x8
	s_load_b32 s27, s[0:1], 0x0
	v_lshl_or_b32 v12, s15, 10, v0
	s_or_b32 s0, s0, 8
	s_mov_b32 s2, exec_lo
	s_delay_alu instid0(VALU_DEP_1) | instskip(SKIP_2) | instid1(SALU_CYCLE_1)
	v_or_b32_e32 v16, 0x380, v12
	s_waitcnt lgkmcnt(0)
	s_add_i32 s23, s22, -1
	s_cmp_gt_u32 s23, 1
	s_cselect_b32 s24, -1, 0
	v_cmpx_le_i32_e64 s27, v16
	s_xor_b32 s25, exec_lo, s2
	s_cbranch_execz .LBB13_7
; %bb.1:
	s_clause 0x3
	s_load_b128 s[12:15], s[0:1], 0x4
	s_load_b64 s[2:3], s[0:1], 0x14
	s_load_b128 s[8:11], s[0:1], 0xc4
	s_load_b128 s[4:7], s[0:1], 0x148
	s_cmp_lg_u32 s22, 0
	s_mov_b32 s30, exec_lo
	s_cselect_b32 s29, -1, 0
	s_add_u32 s16, s0, 0xc4
	s_addc_u32 s17, s1, 0
	s_min_u32 s28, s23, 15
	s_cmp_gt_u32 s22, 1
	s_cselect_b32 s26, -1, 0
	v_cmpx_gt_i32_e64 s27, v12
	s_cbranch_execz .LBB13_14
; %bb.2:
	s_and_not1_b32 vcc_lo, exec_lo, s24
	s_cbranch_vccnz .LBB13_21
; %bb.3:
	v_dual_mov_b32 v0, 0 :: v_dual_mov_b32 v1, 0
	s_and_not1_b32 vcc_lo, exec_lo, s29
	s_mov_b32 s31, 0
	s_cbranch_vccnz .LBB13_125
; %bb.4:
	v_mov_b32_e32 v0, 0
	s_add_i32 s34, s28, 1
	s_cmp_eq_u32 s23, 2
	s_mov_b32 s33, 0
	s_cbranch_scc1 .LBB13_121
; %bb.5:
	v_dual_mov_b32 v1, 0 :: v_dual_mov_b32 v0, 0
	v_mov_b32_e32 v2, v12
	s_and_b32 s33, s34, 28
	s_mov_b32 s35, 0
	s_mov_b64 s[18:19], s[16:17]
	s_mov_b64 s[20:21], s[0:1]
.LBB13_6:                               ; =>This Inner Loop Header: Depth=1
	s_clause 0x1
	s_load_b256 s[36:43], s[20:21], 0x4
	s_load_b128 s[52:55], s[20:21], 0x24
	s_load_b256 s[44:51], s[18:19], 0x0
	s_add_u32 s20, s20, 48
	s_addc_u32 s21, s21, 0
	s_add_i32 s35, s35, 4
	s_add_u32 s18, s18, 32
	s_addc_u32 s19, s19, 0
	s_cmp_lg_u32 s33, s35
	s_waitcnt lgkmcnt(0)
	v_mul_hi_u32 v3, s37, v2
	s_delay_alu instid0(VALU_DEP_1) | instskip(NEXT) | instid1(VALU_DEP_1)
	v_add_nc_u32_e32 v3, v2, v3
	v_lshrrev_b32_e32 v3, s38, v3
	s_delay_alu instid0(VALU_DEP_1) | instskip(SKIP_1) | instid1(VALU_DEP_2)
	v_mul_hi_u32 v4, s40, v3
	v_mul_lo_u32 v6, v3, s36
	v_add_nc_u32_e32 v4, v3, v4
	s_delay_alu instid0(VALU_DEP_2) | instskip(NEXT) | instid1(VALU_DEP_2)
	v_sub_nc_u32_e32 v2, v2, v6
	v_lshrrev_b32_e32 v4, s41, v4
	s_delay_alu instid0(VALU_DEP_2) | instskip(SKIP_1) | instid1(VALU_DEP_3)
	v_mul_lo_u32 v6, v2, s44
	v_mul_lo_u32 v8, v2, s45
	v_mul_hi_u32 v5, s43, v4
	s_delay_alu instid0(VALU_DEP_1) | instskip(NEXT) | instid1(VALU_DEP_1)
	v_add_nc_u32_e32 v5, v4, v5
	v_lshrrev_b32_e32 v5, s52, v5
	s_delay_alu instid0(VALU_DEP_1) | instskip(SKIP_1) | instid1(VALU_DEP_2)
	v_mul_hi_u32 v7, s54, v5
	v_mul_lo_u32 v9, v5, s42
	v_add_nc_u32_e32 v2, v5, v7
	v_mul_lo_u32 v7, v4, s39
	s_delay_alu instid0(VALU_DEP_3) | instskip(NEXT) | instid1(VALU_DEP_3)
	v_sub_nc_u32_e32 v4, v4, v9
	v_lshrrev_b32_e32 v2, s55, v2
	s_delay_alu instid0(VALU_DEP_2) | instskip(SKIP_2) | instid1(VALU_DEP_4)
	v_mul_lo_u32 v9, v4, s48
	v_mul_lo_u32 v4, v4, s49
	v_sub_nc_u32_e32 v3, v3, v7
	v_mul_lo_u32 v10, v2, s53
	s_delay_alu instid0(VALU_DEP_2) | instskip(SKIP_1) | instid1(VALU_DEP_3)
	v_mul_lo_u32 v7, v3, s46
	v_mul_lo_u32 v3, v3, s47
	v_sub_nc_u32_e32 v5, v5, v10
	s_delay_alu instid0(VALU_DEP_3) | instskip(NEXT) | instid1(VALU_DEP_2)
	v_add3_u32 v0, v6, v0, v7
	v_mul_lo_u32 v10, v5, s50
	v_mul_lo_u32 v5, v5, s51
	v_add3_u32 v1, v8, v1, v3
	s_delay_alu instid0(VALU_DEP_3) | instskip(NEXT) | instid1(VALU_DEP_2)
	v_add3_u32 v0, v9, v0, v10
	v_add3_u32 v1, v4, v1, v5
	s_cbranch_scc1 .LBB13_6
	s_branch .LBB13_122
.LBB13_7:
	s_and_not1_saveexec_b32 s2, s25
	s_cbranch_execz .LBB13_206
.LBB13_8:
	v_cndmask_b32_e64 v14, 0, 1, s24
	s_and_not1_b32 vcc_lo, exec_lo, s24
	s_cbranch_vccnz .LBB13_20
; %bb.9:
	v_dual_mov_b32 v0, 0 :: v_dual_mov_b32 v1, 0
	s_cmp_lg_u32 s22, 0
	s_mov_b32 s6, 0
	s_cbranch_scc0 .LBB13_26
; %bb.10:
	s_min_u32 s7, s23, 15
	v_mov_b32_e32 v0, 0
	s_add_i32 s7, s7, 1
	s_cmp_eq_u32 s23, 2
	s_mov_b32 s8, 0
	s_cbranch_scc1 .LBB13_23
; %bb.11:
	v_dual_mov_b32 v1, 0 :: v_dual_mov_b32 v0, 0
	v_mov_b32_e32 v2, v12
	s_add_u32 s2, s0, 0xc4
	s_addc_u32 s3, s1, 0
	s_and_b32 s8, s7, 28
	s_mov_b32 s9, 0
	s_mov_b64 s[4:5], s[0:1]
.LBB13_12:                              ; =>This Inner Loop Header: Depth=1
	s_clause 0x1
	s_load_b256 s[12:19], s[4:5], 0x4
	s_load_b128 s[36:39], s[4:5], 0x24
	s_load_b256 s[24:31], s[2:3], 0x0
	s_add_u32 s4, s4, 48
	s_addc_u32 s5, s5, 0
	s_add_i32 s9, s9, 4
	s_add_u32 s2, s2, 32
	s_addc_u32 s3, s3, 0
	s_cmp_lg_u32 s8, s9
	s_waitcnt lgkmcnt(0)
	v_mul_hi_u32 v3, s13, v2
	s_delay_alu instid0(VALU_DEP_1) | instskip(NEXT) | instid1(VALU_DEP_1)
	v_add_nc_u32_e32 v3, v2, v3
	v_lshrrev_b32_e32 v3, s14, v3
	s_delay_alu instid0(VALU_DEP_1) | instskip(SKIP_1) | instid1(VALU_DEP_2)
	v_mul_hi_u32 v4, s16, v3
	v_mul_lo_u32 v6, v3, s12
	v_add_nc_u32_e32 v4, v3, v4
	s_delay_alu instid0(VALU_DEP_2) | instskip(NEXT) | instid1(VALU_DEP_2)
	v_sub_nc_u32_e32 v2, v2, v6
	v_lshrrev_b32_e32 v4, s17, v4
	s_delay_alu instid0(VALU_DEP_2) | instskip(SKIP_1) | instid1(VALU_DEP_3)
	v_mul_lo_u32 v6, v2, s24
	v_mul_lo_u32 v8, v2, s25
	v_mul_hi_u32 v5, s19, v4
	s_delay_alu instid0(VALU_DEP_1) | instskip(NEXT) | instid1(VALU_DEP_1)
	v_add_nc_u32_e32 v5, v4, v5
	v_lshrrev_b32_e32 v5, s36, v5
	s_delay_alu instid0(VALU_DEP_1) | instskip(SKIP_1) | instid1(VALU_DEP_2)
	v_mul_hi_u32 v7, s38, v5
	v_mul_lo_u32 v9, v5, s18
	v_add_nc_u32_e32 v2, v5, v7
	v_mul_lo_u32 v7, v4, s15
	s_delay_alu instid0(VALU_DEP_3) | instskip(NEXT) | instid1(VALU_DEP_3)
	v_sub_nc_u32_e32 v4, v4, v9
	v_lshrrev_b32_e32 v2, s39, v2
	s_delay_alu instid0(VALU_DEP_2) | instskip(SKIP_2) | instid1(VALU_DEP_4)
	v_mul_lo_u32 v9, v4, s28
	v_mul_lo_u32 v4, v4, s29
	v_sub_nc_u32_e32 v3, v3, v7
	v_mul_lo_u32 v10, v2, s37
	s_delay_alu instid0(VALU_DEP_2) | instskip(SKIP_1) | instid1(VALU_DEP_3)
	v_mul_lo_u32 v7, v3, s26
	v_mul_lo_u32 v3, v3, s27
	v_sub_nc_u32_e32 v5, v5, v10
	s_delay_alu instid0(VALU_DEP_3) | instskip(NEXT) | instid1(VALU_DEP_2)
	v_add3_u32 v0, v6, v0, v7
	v_mul_lo_u32 v10, v5, s30
	v_mul_lo_u32 v5, v5, s31
	v_add3_u32 v1, v8, v1, v3
	s_delay_alu instid0(VALU_DEP_3) | instskip(NEXT) | instid1(VALU_DEP_2)
	v_add3_u32 v0, v9, v0, v10
	v_add3_u32 v1, v4, v1, v5
	s_cbranch_scc1 .LBB13_12
; %bb.13:
	s_and_b32 s7, s7, 3
	s_delay_alu instid0(SALU_CYCLE_1)
	s_cmp_eq_u32 s7, 0
	s_cbranch_scc0 .LBB13_24
	s_branch .LBB13_26
.LBB13_14:
	s_or_b32 exec_lo, exec_lo, s30
	s_delay_alu instid0(SALU_CYCLE_1)
	s_mov_b32 s30, exec_lo
	v_cmpx_gt_i32_e64 s27, v12
	s_cbranch_execz .LBB13_129
.LBB13_15:
	s_and_not1_b32 vcc_lo, exec_lo, s24
	s_cbranch_vccnz .LBB13_22
; %bb.16:
	v_dual_mov_b32 v0, 0 :: v_dual_mov_b32 v1, 0
	s_and_not1_b32 vcc_lo, exec_lo, s29
	s_mov_b32 s31, 0
	s_cbranch_vccnz .LBB13_140
; %bb.17:
	v_mov_b32_e32 v0, 0
	s_add_i32 s34, s28, 1
	s_cmp_eq_u32 s23, 2
	s_mov_b32 s33, 0
	s_cbranch_scc1 .LBB13_136
; %bb.18:
	v_dual_mov_b32 v1, 0 :: v_dual_mov_b32 v0, 0
	v_mov_b32_e32 v2, v12
	s_and_b32 s33, s34, 28
	s_mov_b32 s35, 0
	s_mov_b64 s[18:19], s[16:17]
	s_mov_b64 s[20:21], s[0:1]
.LBB13_19:                              ; =>This Inner Loop Header: Depth=1
	s_clause 0x1
	s_load_b256 s[36:43], s[20:21], 0x4
	s_load_b128 s[52:55], s[20:21], 0x24
	s_load_b256 s[44:51], s[18:19], 0x0
	s_add_u32 s20, s20, 48
	s_addc_u32 s21, s21, 0
	s_add_i32 s35, s35, 4
	s_add_u32 s18, s18, 32
	s_addc_u32 s19, s19, 0
	s_cmp_eq_u32 s33, s35
	s_waitcnt lgkmcnt(0)
	v_mul_hi_u32 v3, s37, v2
	s_delay_alu instid0(VALU_DEP_1) | instskip(NEXT) | instid1(VALU_DEP_1)
	v_add_nc_u32_e32 v3, v2, v3
	v_lshrrev_b32_e32 v3, s38, v3
	s_delay_alu instid0(VALU_DEP_1) | instskip(SKIP_1) | instid1(VALU_DEP_2)
	v_mul_hi_u32 v4, s40, v3
	v_mul_lo_u32 v6, v3, s36
	v_add_nc_u32_e32 v4, v3, v4
	s_delay_alu instid0(VALU_DEP_2) | instskip(NEXT) | instid1(VALU_DEP_2)
	v_sub_nc_u32_e32 v2, v2, v6
	v_lshrrev_b32_e32 v4, s41, v4
	s_delay_alu instid0(VALU_DEP_2) | instskip(SKIP_1) | instid1(VALU_DEP_3)
	v_mul_lo_u32 v6, v2, s44
	v_mul_lo_u32 v8, v2, s45
	v_mul_hi_u32 v5, s43, v4
	s_delay_alu instid0(VALU_DEP_1) | instskip(NEXT) | instid1(VALU_DEP_1)
	v_add_nc_u32_e32 v5, v4, v5
	v_lshrrev_b32_e32 v5, s52, v5
	s_delay_alu instid0(VALU_DEP_1) | instskip(SKIP_1) | instid1(VALU_DEP_2)
	v_mul_hi_u32 v7, s54, v5
	v_mul_lo_u32 v9, v5, s42
	v_add_nc_u32_e32 v2, v5, v7
	v_mul_lo_u32 v7, v4, s39
	s_delay_alu instid0(VALU_DEP_3) | instskip(NEXT) | instid1(VALU_DEP_3)
	v_sub_nc_u32_e32 v4, v4, v9
	v_lshrrev_b32_e32 v2, s55, v2
	s_delay_alu instid0(VALU_DEP_2) | instskip(SKIP_2) | instid1(VALU_DEP_4)
	v_mul_lo_u32 v9, v4, s48
	v_mul_lo_u32 v4, v4, s49
	v_sub_nc_u32_e32 v3, v3, v7
	v_mul_lo_u32 v10, v2, s53
	s_delay_alu instid0(VALU_DEP_2) | instskip(SKIP_1) | instid1(VALU_DEP_3)
	v_mul_lo_u32 v7, v3, s46
	v_mul_lo_u32 v3, v3, s47
	v_sub_nc_u32_e32 v5, v5, v10
	s_delay_alu instid0(VALU_DEP_3) | instskip(NEXT) | instid1(VALU_DEP_2)
	v_add3_u32 v0, v6, v0, v7
	v_mul_lo_u32 v10, v5, s50
	v_mul_lo_u32 v5, v5, s51
	v_add3_u32 v1, v8, v1, v3
	s_delay_alu instid0(VALU_DEP_3) | instskip(NEXT) | instid1(VALU_DEP_2)
	v_add3_u32 v0, v9, v0, v10
	v_add3_u32 v1, v4, v1, v5
	s_cbranch_scc0 .LBB13_19
	s_branch .LBB13_137
.LBB13_20:
	s_mov_b32 s6, -1
                                        ; implicit-def: $vgpr0
                                        ; implicit-def: $vgpr1
	s_branch .LBB13_26
.LBB13_21:
	s_mov_b32 s31, -1
                                        ; implicit-def: $vgpr0
                                        ; implicit-def: $vgpr1
	s_branch .LBB13_125
.LBB13_22:
	s_mov_b32 s31, -1
                                        ; implicit-def: $vgpr0
                                        ; implicit-def: $vgpr1
	s_branch .LBB13_140
.LBB13_23:
	v_dual_mov_b32 v2, v12 :: v_dual_mov_b32 v1, 0
	s_and_b32 s7, s7, 3
	s_delay_alu instid0(SALU_CYCLE_1)
	s_cmp_eq_u32 s7, 0
	s_cbranch_scc1 .LBB13_26
.LBB13_24:
	s_lshl_b32 s2, s8, 3
	s_mul_i32 s4, s8, 12
	s_add_u32 s2, s2, s0
	s_addc_u32 s3, 0, s1
	s_add_u32 s2, s2, 0xc4
	s_addc_u32 s3, s3, 0
	;; [unrolled: 2-line block ×3, first 2 shown]
	.p2align	6
.LBB13_25:                              ; =>This Inner Loop Header: Depth=1
	s_clause 0x1
	s_load_b64 s[8:9], s[4:5], 0x4
	s_load_b32 s12, s[4:5], 0xc
	s_load_b64 s[10:11], s[2:3], 0x0
	s_add_u32 s4, s4, 12
	s_addc_u32 s5, s5, 0
	s_add_u32 s2, s2, 8
	s_addc_u32 s3, s3, 0
	s_add_i32 s7, s7, -1
	s_delay_alu instid0(SALU_CYCLE_1) | instskip(SKIP_2) | instid1(VALU_DEP_1)
	s_cmp_lg_u32 s7, 0
	s_waitcnt lgkmcnt(0)
	v_mul_hi_u32 v3, s9, v2
	v_add_nc_u32_e32 v3, v2, v3
	s_delay_alu instid0(VALU_DEP_1) | instskip(NEXT) | instid1(VALU_DEP_1)
	v_lshrrev_b32_e32 v6, s12, v3
	v_mul_lo_u32 v3, v6, s8
	s_delay_alu instid0(VALU_DEP_1) | instskip(NEXT) | instid1(VALU_DEP_1)
	v_sub_nc_u32_e32 v2, v2, v3
	v_mad_u64_u32 v[3:4], null, v2, s10, v[0:1]
	v_mad_u64_u32 v[4:5], null, v2, s11, v[1:2]
	v_mov_b32_e32 v2, v6
	s_delay_alu instid0(VALU_DEP_2)
	v_dual_mov_b32 v0, v3 :: v_dual_mov_b32 v1, v4
	s_cbranch_scc1 .LBB13_25
.LBB13_26:
	s_and_not1_b32 vcc_lo, exec_lo, s6
	s_cbranch_vccnz .LBB13_29
; %bb.27:
	s_clause 0x1
	s_load_b128 s[4:7], s[0:1], 0x4
	s_load_b64 s[2:3], s[0:1], 0xc4
	s_cmp_lt_u32 s22, 2
	s_waitcnt lgkmcnt(0)
	v_mul_hi_u32 v0, s5, v12
	s_delay_alu instid0(VALU_DEP_1) | instskip(NEXT) | instid1(VALU_DEP_1)
	v_add_nc_u32_e32 v0, v12, v0
	v_lshrrev_b32_e32 v2, s6, v0
	s_delay_alu instid0(VALU_DEP_1) | instskip(NEXT) | instid1(VALU_DEP_1)
	v_mul_lo_u32 v0, v2, s4
	v_sub_nc_u32_e32 v1, v12, v0
	s_delay_alu instid0(VALU_DEP_1)
	v_mul_lo_u32 v0, v1, s2
	v_mul_lo_u32 v1, v1, s3
	s_cbranch_scc1 .LBB13_29
; %bb.28:
	s_clause 0x1
	s_load_b128 s[4:7], s[0:1], 0x10
	s_load_b64 s[2:3], s[0:1], 0xcc
	s_waitcnt lgkmcnt(0)
	v_mul_hi_u32 v3, s5, v2
	s_delay_alu instid0(VALU_DEP_1) | instskip(NEXT) | instid1(VALU_DEP_1)
	v_add_nc_u32_e32 v3, v2, v3
	v_lshrrev_b32_e32 v3, s6, v3
	s_delay_alu instid0(VALU_DEP_1) | instskip(NEXT) | instid1(VALU_DEP_1)
	v_mul_lo_u32 v3, v3, s4
	v_sub_nc_u32_e32 v5, v2, v3
	s_delay_alu instid0(VALU_DEP_1) | instskip(NEXT) | instid1(VALU_DEP_1)
	v_mad_u64_u32 v[2:3], null, v5, s2, v[0:1]
	v_mad_u64_u32 v[3:4], null, v5, s3, v[1:2]
	s_delay_alu instid0(VALU_DEP_1)
	v_dual_mov_b32 v0, v2 :: v_dual_mov_b32 v1, v3
.LBB13_29:
	v_cmp_ne_u32_e32 vcc_lo, 1, v14
	v_add_nc_u32_e32 v4, 0x80, v12
	s_cbranch_vccnz .LBB13_35
; %bb.30:
	v_dual_mov_b32 v2, 0 :: v_dual_mov_b32 v3, 0
	s_cmp_lg_u32 s22, 0
	s_mov_b32 s6, 0
	s_cbranch_scc0 .LBB13_39
; %bb.31:
	s_min_u32 s7, s23, 15
	v_mov_b32_e32 v2, 0
	s_add_i32 s7, s7, 1
	s_cmp_eq_u32 s23, 2
	s_mov_b32 s8, 0
	s_cbranch_scc1 .LBB13_36
; %bb.32:
	v_dual_mov_b32 v3, 0 :: v_dual_mov_b32 v2, 0
	v_mov_b32_e32 v5, v4
	s_add_u32 s2, s0, 0xc4
	s_addc_u32 s3, s1, 0
	s_and_b32 s8, s7, 28
	s_mov_b32 s9, 0
	s_mov_b64 s[4:5], s[0:1]
.LBB13_33:                              ; =>This Inner Loop Header: Depth=1
	s_clause 0x1
	s_load_b256 s[12:19], s[4:5], 0x4
	s_load_b128 s[36:39], s[4:5], 0x24
	s_load_b256 s[24:31], s[2:3], 0x0
	s_add_u32 s4, s4, 48
	s_addc_u32 s5, s5, 0
	s_add_i32 s9, s9, 4
	s_add_u32 s2, s2, 32
	s_addc_u32 s3, s3, 0
	s_cmp_lg_u32 s8, s9
	s_waitcnt lgkmcnt(0)
	v_mul_hi_u32 v6, s13, v5
	s_delay_alu instid0(VALU_DEP_1) | instskip(NEXT) | instid1(VALU_DEP_1)
	v_add_nc_u32_e32 v6, v5, v6
	v_lshrrev_b32_e32 v6, s14, v6
	s_delay_alu instid0(VALU_DEP_1) | instskip(SKIP_1) | instid1(VALU_DEP_2)
	v_mul_hi_u32 v7, s16, v6
	v_mul_lo_u32 v9, v6, s12
	v_add_nc_u32_e32 v7, v6, v7
	s_delay_alu instid0(VALU_DEP_2) | instskip(NEXT) | instid1(VALU_DEP_2)
	v_sub_nc_u32_e32 v5, v5, v9
	v_lshrrev_b32_e32 v7, s17, v7
	s_delay_alu instid0(VALU_DEP_2) | instskip(SKIP_1) | instid1(VALU_DEP_3)
	v_mul_lo_u32 v9, v5, s24
	v_mul_lo_u32 v11, v5, s25
	v_mul_hi_u32 v8, s19, v7
	s_delay_alu instid0(VALU_DEP_1) | instskip(NEXT) | instid1(VALU_DEP_1)
	v_add_nc_u32_e32 v8, v7, v8
	v_lshrrev_b32_e32 v8, s36, v8
	s_delay_alu instid0(VALU_DEP_1) | instskip(SKIP_1) | instid1(VALU_DEP_2)
	v_mul_hi_u32 v10, s38, v8
	v_mul_lo_u32 v13, v8, s18
	v_add_nc_u32_e32 v5, v8, v10
	v_mul_lo_u32 v10, v7, s15
	s_delay_alu instid0(VALU_DEP_3) | instskip(NEXT) | instid1(VALU_DEP_3)
	v_sub_nc_u32_e32 v7, v7, v13
	v_lshrrev_b32_e32 v5, s39, v5
	s_delay_alu instid0(VALU_DEP_2) | instskip(SKIP_2) | instid1(VALU_DEP_4)
	v_mul_lo_u32 v13, v7, s28
	v_mul_lo_u32 v7, v7, s29
	v_sub_nc_u32_e32 v6, v6, v10
	v_mul_lo_u32 v15, v5, s37
	s_delay_alu instid0(VALU_DEP_2) | instskip(SKIP_1) | instid1(VALU_DEP_3)
	v_mul_lo_u32 v10, v6, s26
	v_mul_lo_u32 v6, v6, s27
	v_sub_nc_u32_e32 v8, v8, v15
	s_delay_alu instid0(VALU_DEP_3) | instskip(NEXT) | instid1(VALU_DEP_2)
	v_add3_u32 v2, v9, v2, v10
	v_mul_lo_u32 v15, v8, s30
	v_mul_lo_u32 v8, v8, s31
	v_add3_u32 v3, v11, v3, v6
	s_delay_alu instid0(VALU_DEP_3) | instskip(NEXT) | instid1(VALU_DEP_2)
	v_add3_u32 v2, v13, v2, v15
	v_add3_u32 v3, v7, v3, v8
	s_cbranch_scc1 .LBB13_33
; %bb.34:
	s_and_b32 s7, s7, 3
	s_delay_alu instid0(SALU_CYCLE_1)
	s_cmp_eq_u32 s7, 0
	s_cbranch_scc0 .LBB13_37
	s_branch .LBB13_39
.LBB13_35:
	s_mov_b32 s6, -1
                                        ; implicit-def: $vgpr2
                                        ; implicit-def: $vgpr3
	s_branch .LBB13_39
.LBB13_36:
	v_mov_b32_e32 v5, v4
	v_mov_b32_e32 v3, 0
	s_and_b32 s7, s7, 3
	s_delay_alu instid0(SALU_CYCLE_1)
	s_cmp_eq_u32 s7, 0
	s_cbranch_scc1 .LBB13_39
.LBB13_37:
	s_lshl_b32 s2, s8, 3
	s_mul_i32 s4, s8, 12
	s_add_u32 s2, s2, s0
	s_addc_u32 s3, 0, s1
	s_add_u32 s2, s2, 0xc4
	s_addc_u32 s3, s3, 0
	;; [unrolled: 2-line block ×3, first 2 shown]
	.p2align	6
.LBB13_38:                              ; =>This Inner Loop Header: Depth=1
	s_clause 0x1
	s_load_b64 s[8:9], s[4:5], 0x4
	s_load_b32 s12, s[4:5], 0xc
	s_load_b64 s[10:11], s[2:3], 0x0
	s_add_u32 s4, s4, 12
	s_addc_u32 s5, s5, 0
	s_add_u32 s2, s2, 8
	s_addc_u32 s3, s3, 0
	s_add_i32 s7, s7, -1
	s_delay_alu instid0(SALU_CYCLE_1) | instskip(SKIP_2) | instid1(VALU_DEP_1)
	s_cmp_lg_u32 s7, 0
	s_waitcnt lgkmcnt(0)
	v_mul_hi_u32 v6, s9, v5
	v_add_nc_u32_e32 v6, v5, v6
	s_delay_alu instid0(VALU_DEP_1) | instskip(NEXT) | instid1(VALU_DEP_1)
	v_lshrrev_b32_e32 v9, s12, v6
	v_mul_lo_u32 v6, v9, s8
	s_delay_alu instid0(VALU_DEP_1) | instskip(NEXT) | instid1(VALU_DEP_1)
	v_sub_nc_u32_e32 v5, v5, v6
	v_mad_u64_u32 v[6:7], null, v5, s10, v[2:3]
	v_mad_u64_u32 v[7:8], null, v5, s11, v[3:4]
	s_delay_alu instid0(VALU_DEP_2) | instskip(NEXT) | instid1(VALU_DEP_2)
	v_dual_mov_b32 v5, v9 :: v_dual_mov_b32 v2, v6
	v_mov_b32_e32 v3, v7
	s_cbranch_scc1 .LBB13_38
.LBB13_39:
	s_and_not1_b32 vcc_lo, exec_lo, s6
	s_cbranch_vccnz .LBB13_42
; %bb.40:
	s_clause 0x1
	s_load_b128 s[4:7], s[0:1], 0x4
	s_load_b64 s[2:3], s[0:1], 0xc4
	s_cmp_lt_u32 s22, 2
	s_waitcnt lgkmcnt(0)
	v_mul_hi_u32 v2, s5, v4
	s_delay_alu instid0(VALU_DEP_1) | instskip(NEXT) | instid1(VALU_DEP_1)
	v_add_nc_u32_e32 v2, v4, v2
	v_lshrrev_b32_e32 v5, s6, v2
	s_delay_alu instid0(VALU_DEP_1) | instskip(NEXT) | instid1(VALU_DEP_1)
	v_mul_lo_u32 v2, v5, s4
	v_sub_nc_u32_e32 v3, v4, v2
	s_delay_alu instid0(VALU_DEP_1)
	v_mul_lo_u32 v2, v3, s2
	v_mul_lo_u32 v3, v3, s3
	s_cbranch_scc1 .LBB13_42
; %bb.41:
	s_clause 0x1
	s_load_b128 s[4:7], s[0:1], 0x10
	s_load_b64 s[2:3], s[0:1], 0xcc
	s_waitcnt lgkmcnt(0)
	v_mul_hi_u32 v4, s5, v5
	s_delay_alu instid0(VALU_DEP_1) | instskip(NEXT) | instid1(VALU_DEP_1)
	v_add_nc_u32_e32 v4, v5, v4
	v_lshrrev_b32_e32 v4, s6, v4
	s_delay_alu instid0(VALU_DEP_1) | instskip(NEXT) | instid1(VALU_DEP_1)
	v_mul_lo_u32 v4, v4, s4
	v_sub_nc_u32_e32 v7, v5, v4
	s_delay_alu instid0(VALU_DEP_1) | instskip(NEXT) | instid1(VALU_DEP_1)
	v_mad_u64_u32 v[4:5], null, v7, s2, v[2:3]
	v_mad_u64_u32 v[5:6], null, v7, s3, v[3:4]
	s_delay_alu instid0(VALU_DEP_1)
	v_dual_mov_b32 v2, v4 :: v_dual_mov_b32 v3, v5
.LBB13_42:
	v_cmp_ne_u32_e32 vcc_lo, 1, v14
	v_add_nc_u32_e32 v6, 0x100, v12
	s_cbranch_vccnz .LBB13_48
; %bb.43:
	v_dual_mov_b32 v4, 0 :: v_dual_mov_b32 v5, 0
	s_cmp_lg_u32 s22, 0
	s_mov_b32 s6, 0
	s_cbranch_scc0 .LBB13_52
; %bb.44:
	s_min_u32 s7, s23, 15
	v_mov_b32_e32 v4, 0
	s_add_i32 s7, s7, 1
	s_cmp_eq_u32 s23, 2
	s_mov_b32 s8, 0
	s_cbranch_scc1 .LBB13_49
; %bb.45:
	v_dual_mov_b32 v5, 0 :: v_dual_mov_b32 v4, 0
	v_mov_b32_e32 v7, v6
	s_add_u32 s2, s0, 0xc4
	s_addc_u32 s3, s1, 0
	s_and_b32 s8, s7, 28
	s_mov_b32 s9, 0
	s_mov_b64 s[4:5], s[0:1]
.LBB13_46:                              ; =>This Inner Loop Header: Depth=1
	s_clause 0x1
	s_load_b256 s[12:19], s[4:5], 0x4
	s_load_b128 s[36:39], s[4:5], 0x24
	s_load_b256 s[24:31], s[2:3], 0x0
	s_add_u32 s4, s4, 48
	s_addc_u32 s5, s5, 0
	s_add_i32 s9, s9, 4
	s_add_u32 s2, s2, 32
	s_addc_u32 s3, s3, 0
	s_cmp_lg_u32 s8, s9
	s_waitcnt lgkmcnt(0)
	v_mul_hi_u32 v8, s13, v7
	s_delay_alu instid0(VALU_DEP_1) | instskip(NEXT) | instid1(VALU_DEP_1)
	v_add_nc_u32_e32 v8, v7, v8
	v_lshrrev_b32_e32 v8, s14, v8
	s_delay_alu instid0(VALU_DEP_1) | instskip(SKIP_1) | instid1(VALU_DEP_2)
	v_mul_hi_u32 v9, s16, v8
	v_mul_lo_u32 v11, v8, s12
	v_add_nc_u32_e32 v9, v8, v9
	s_delay_alu instid0(VALU_DEP_2) | instskip(NEXT) | instid1(VALU_DEP_2)
	v_sub_nc_u32_e32 v7, v7, v11
	v_lshrrev_b32_e32 v9, s17, v9
	s_delay_alu instid0(VALU_DEP_2) | instskip(SKIP_1) | instid1(VALU_DEP_3)
	v_mul_lo_u32 v11, v7, s24
	v_mul_lo_u32 v15, v7, s25
	v_mul_hi_u32 v10, s19, v9
	s_delay_alu instid0(VALU_DEP_1) | instskip(NEXT) | instid1(VALU_DEP_1)
	v_add_nc_u32_e32 v10, v9, v10
	v_lshrrev_b32_e32 v10, s36, v10
	s_delay_alu instid0(VALU_DEP_1) | instskip(SKIP_1) | instid1(VALU_DEP_2)
	v_mul_hi_u32 v13, s38, v10
	v_mul_lo_u32 v17, v10, s18
	v_add_nc_u32_e32 v7, v10, v13
	v_mul_lo_u32 v13, v9, s15
	s_delay_alu instid0(VALU_DEP_3) | instskip(NEXT) | instid1(VALU_DEP_3)
	v_sub_nc_u32_e32 v9, v9, v17
	v_lshrrev_b32_e32 v7, s39, v7
	s_delay_alu instid0(VALU_DEP_2) | instskip(SKIP_2) | instid1(VALU_DEP_4)
	v_mul_lo_u32 v17, v9, s28
	v_mul_lo_u32 v9, v9, s29
	v_sub_nc_u32_e32 v8, v8, v13
	v_mul_lo_u32 v18, v7, s37
	s_delay_alu instid0(VALU_DEP_2) | instskip(SKIP_1) | instid1(VALU_DEP_3)
	v_mul_lo_u32 v13, v8, s26
	v_mul_lo_u32 v8, v8, s27
	v_sub_nc_u32_e32 v10, v10, v18
	s_delay_alu instid0(VALU_DEP_3) | instskip(NEXT) | instid1(VALU_DEP_2)
	v_add3_u32 v4, v11, v4, v13
	v_mul_lo_u32 v18, v10, s30
	v_mul_lo_u32 v10, v10, s31
	v_add3_u32 v5, v15, v5, v8
	s_delay_alu instid0(VALU_DEP_3) | instskip(NEXT) | instid1(VALU_DEP_2)
	v_add3_u32 v4, v17, v4, v18
	v_add3_u32 v5, v9, v5, v10
	s_cbranch_scc1 .LBB13_46
; %bb.47:
	s_and_b32 s7, s7, 3
	s_delay_alu instid0(SALU_CYCLE_1)
	s_cmp_eq_u32 s7, 0
	s_cbranch_scc0 .LBB13_50
	s_branch .LBB13_52
.LBB13_48:
	s_mov_b32 s6, -1
                                        ; implicit-def: $vgpr4
                                        ; implicit-def: $vgpr5
	s_branch .LBB13_52
.LBB13_49:
	v_mov_b32_e32 v7, v6
	v_mov_b32_e32 v5, 0
	s_and_b32 s7, s7, 3
	s_delay_alu instid0(SALU_CYCLE_1)
	s_cmp_eq_u32 s7, 0
	s_cbranch_scc1 .LBB13_52
.LBB13_50:
	s_lshl_b32 s2, s8, 3
	s_mul_i32 s4, s8, 12
	s_add_u32 s2, s2, s0
	s_addc_u32 s3, 0, s1
	s_add_u32 s2, s2, 0xc4
	s_addc_u32 s3, s3, 0
	;; [unrolled: 2-line block ×3, first 2 shown]
	.p2align	6
.LBB13_51:                              ; =>This Inner Loop Header: Depth=1
	s_clause 0x1
	s_load_b64 s[8:9], s[4:5], 0x4
	s_load_b32 s12, s[4:5], 0xc
	s_load_b64 s[10:11], s[2:3], 0x0
	s_add_u32 s4, s4, 12
	s_addc_u32 s5, s5, 0
	s_add_u32 s2, s2, 8
	s_addc_u32 s3, s3, 0
	s_add_i32 s7, s7, -1
	s_delay_alu instid0(SALU_CYCLE_1) | instskip(SKIP_2) | instid1(VALU_DEP_1)
	s_cmp_lg_u32 s7, 0
	s_waitcnt lgkmcnt(0)
	v_mul_hi_u32 v8, s9, v7
	v_add_nc_u32_e32 v8, v7, v8
	s_delay_alu instid0(VALU_DEP_1) | instskip(NEXT) | instid1(VALU_DEP_1)
	v_lshrrev_b32_e32 v11, s12, v8
	v_mul_lo_u32 v8, v11, s8
	s_delay_alu instid0(VALU_DEP_1) | instskip(NEXT) | instid1(VALU_DEP_1)
	v_sub_nc_u32_e32 v7, v7, v8
	v_mad_u64_u32 v[8:9], null, v7, s10, v[4:5]
	v_mad_u64_u32 v[9:10], null, v7, s11, v[5:6]
	s_delay_alu instid0(VALU_DEP_2) | instskip(NEXT) | instid1(VALU_DEP_2)
	v_dual_mov_b32 v7, v11 :: v_dual_mov_b32 v4, v8
	v_mov_b32_e32 v5, v9
	s_cbranch_scc1 .LBB13_51
.LBB13_52:
	s_and_not1_b32 vcc_lo, exec_lo, s6
	s_cbranch_vccnz .LBB13_55
; %bb.53:
	s_clause 0x1
	s_load_b128 s[4:7], s[0:1], 0x4
	s_load_b64 s[2:3], s[0:1], 0xc4
	s_cmp_lt_u32 s22, 2
	s_waitcnt lgkmcnt(0)
	v_mul_hi_u32 v4, s5, v6
	s_delay_alu instid0(VALU_DEP_1) | instskip(NEXT) | instid1(VALU_DEP_1)
	v_add_nc_u32_e32 v4, v6, v4
	v_lshrrev_b32_e32 v7, s6, v4
	s_delay_alu instid0(VALU_DEP_1) | instskip(NEXT) | instid1(VALU_DEP_1)
	v_mul_lo_u32 v4, v7, s4
	v_sub_nc_u32_e32 v5, v6, v4
	s_delay_alu instid0(VALU_DEP_1)
	v_mul_lo_u32 v4, v5, s2
	v_mul_lo_u32 v5, v5, s3
	s_cbranch_scc1 .LBB13_55
; %bb.54:
	s_clause 0x1
	s_load_b128 s[4:7], s[0:1], 0x10
	s_load_b64 s[2:3], s[0:1], 0xcc
	s_waitcnt lgkmcnt(0)
	v_mul_hi_u32 v6, s5, v7
	s_delay_alu instid0(VALU_DEP_1) | instskip(NEXT) | instid1(VALU_DEP_1)
	v_add_nc_u32_e32 v6, v7, v6
	v_lshrrev_b32_e32 v6, s6, v6
	s_delay_alu instid0(VALU_DEP_1) | instskip(NEXT) | instid1(VALU_DEP_1)
	v_mul_lo_u32 v6, v6, s4
	v_sub_nc_u32_e32 v9, v7, v6
	s_delay_alu instid0(VALU_DEP_1) | instskip(NEXT) | instid1(VALU_DEP_1)
	v_mad_u64_u32 v[6:7], null, v9, s2, v[4:5]
	v_mad_u64_u32 v[7:8], null, v9, s3, v[5:6]
	s_delay_alu instid0(VALU_DEP_1)
	v_dual_mov_b32 v4, v6 :: v_dual_mov_b32 v5, v7
.LBB13_55:
	v_cmp_ne_u32_e32 vcc_lo, 1, v14
	v_add_nc_u32_e32 v8, 0x180, v12
	s_cbranch_vccnz .LBB13_61
; %bb.56:
	v_dual_mov_b32 v6, 0 :: v_dual_mov_b32 v7, 0
	s_cmp_lg_u32 s22, 0
	s_mov_b32 s6, 0
	s_cbranch_scc0 .LBB13_65
; %bb.57:
	s_min_u32 s7, s23, 15
	v_mov_b32_e32 v6, 0
	s_add_i32 s7, s7, 1
	s_cmp_eq_u32 s23, 2
	s_mov_b32 s8, 0
	s_cbranch_scc1 .LBB13_62
; %bb.58:
	v_dual_mov_b32 v7, 0 :: v_dual_mov_b32 v6, 0
	v_mov_b32_e32 v9, v8
	s_add_u32 s2, s0, 0xc4
	s_addc_u32 s3, s1, 0
	s_and_b32 s8, s7, 28
	s_mov_b32 s9, 0
	s_mov_b64 s[4:5], s[0:1]
.LBB13_59:                              ; =>This Inner Loop Header: Depth=1
	s_clause 0x1
	s_load_b256 s[12:19], s[4:5], 0x4
	s_load_b128 s[36:39], s[4:5], 0x24
	s_load_b256 s[24:31], s[2:3], 0x0
	s_add_u32 s4, s4, 48
	s_addc_u32 s5, s5, 0
	s_add_i32 s9, s9, 4
	s_add_u32 s2, s2, 32
	s_addc_u32 s3, s3, 0
	s_cmp_lg_u32 s8, s9
	s_waitcnt lgkmcnt(0)
	v_mul_hi_u32 v10, s13, v9
	s_delay_alu instid0(VALU_DEP_1) | instskip(NEXT) | instid1(VALU_DEP_1)
	v_add_nc_u32_e32 v10, v9, v10
	v_lshrrev_b32_e32 v10, s14, v10
	s_delay_alu instid0(VALU_DEP_1) | instskip(SKIP_1) | instid1(VALU_DEP_2)
	v_mul_hi_u32 v11, s16, v10
	v_mul_lo_u32 v15, v10, s12
	v_add_nc_u32_e32 v11, v10, v11
	s_delay_alu instid0(VALU_DEP_2) | instskip(NEXT) | instid1(VALU_DEP_2)
	v_sub_nc_u32_e32 v9, v9, v15
	v_lshrrev_b32_e32 v11, s17, v11
	s_delay_alu instid0(VALU_DEP_2) | instskip(SKIP_1) | instid1(VALU_DEP_3)
	v_mul_lo_u32 v15, v9, s24
	v_mul_lo_u32 v18, v9, s25
	v_mul_hi_u32 v13, s19, v11
	s_delay_alu instid0(VALU_DEP_1) | instskip(NEXT) | instid1(VALU_DEP_1)
	v_add_nc_u32_e32 v13, v11, v13
	v_lshrrev_b32_e32 v13, s36, v13
	s_delay_alu instid0(VALU_DEP_1) | instskip(SKIP_1) | instid1(VALU_DEP_2)
	v_mul_hi_u32 v17, s38, v13
	v_mul_lo_u32 v19, v13, s18
	v_add_nc_u32_e32 v9, v13, v17
	v_mul_lo_u32 v17, v11, s15
	s_delay_alu instid0(VALU_DEP_3) | instskip(NEXT) | instid1(VALU_DEP_3)
	v_sub_nc_u32_e32 v11, v11, v19
	v_lshrrev_b32_e32 v9, s39, v9
	s_delay_alu instid0(VALU_DEP_2) | instskip(SKIP_2) | instid1(VALU_DEP_4)
	v_mul_lo_u32 v19, v11, s28
	v_mul_lo_u32 v11, v11, s29
	v_sub_nc_u32_e32 v10, v10, v17
	v_mul_lo_u32 v20, v9, s37
	s_delay_alu instid0(VALU_DEP_2) | instskip(SKIP_1) | instid1(VALU_DEP_3)
	v_mul_lo_u32 v17, v10, s26
	v_mul_lo_u32 v10, v10, s27
	v_sub_nc_u32_e32 v13, v13, v20
	s_delay_alu instid0(VALU_DEP_3) | instskip(NEXT) | instid1(VALU_DEP_2)
	v_add3_u32 v6, v15, v6, v17
	v_mul_lo_u32 v20, v13, s30
	v_mul_lo_u32 v13, v13, s31
	v_add3_u32 v7, v18, v7, v10
	s_delay_alu instid0(VALU_DEP_3) | instskip(NEXT) | instid1(VALU_DEP_2)
	v_add3_u32 v6, v19, v6, v20
	v_add3_u32 v7, v11, v7, v13
	s_cbranch_scc1 .LBB13_59
; %bb.60:
	s_and_b32 s7, s7, 3
	s_delay_alu instid0(SALU_CYCLE_1)
	s_cmp_eq_u32 s7, 0
	s_cbranch_scc0 .LBB13_63
	s_branch .LBB13_65
.LBB13_61:
	s_mov_b32 s6, -1
                                        ; implicit-def: $vgpr6
                                        ; implicit-def: $vgpr7
	s_branch .LBB13_65
.LBB13_62:
	v_mov_b32_e32 v9, v8
	v_mov_b32_e32 v7, 0
	s_and_b32 s7, s7, 3
	s_delay_alu instid0(SALU_CYCLE_1)
	s_cmp_eq_u32 s7, 0
	s_cbranch_scc1 .LBB13_65
.LBB13_63:
	s_lshl_b32 s2, s8, 3
	s_mul_i32 s4, s8, 12
	s_add_u32 s2, s2, s0
	s_addc_u32 s3, 0, s1
	s_add_u32 s2, s2, 0xc4
	s_addc_u32 s3, s3, 0
	;; [unrolled: 2-line block ×3, first 2 shown]
	.p2align	6
.LBB13_64:                              ; =>This Inner Loop Header: Depth=1
	s_clause 0x1
	s_load_b64 s[8:9], s[4:5], 0x4
	s_load_b32 s12, s[4:5], 0xc
	s_load_b64 s[10:11], s[2:3], 0x0
	s_add_u32 s4, s4, 12
	s_addc_u32 s5, s5, 0
	s_add_u32 s2, s2, 8
	s_addc_u32 s3, s3, 0
	s_add_i32 s7, s7, -1
	s_delay_alu instid0(SALU_CYCLE_1) | instskip(SKIP_2) | instid1(VALU_DEP_1)
	s_cmp_lg_u32 s7, 0
	s_waitcnt lgkmcnt(0)
	v_mul_hi_u32 v10, s9, v9
	v_add_nc_u32_e32 v10, v9, v10
	s_delay_alu instid0(VALU_DEP_1) | instskip(NEXT) | instid1(VALU_DEP_1)
	v_lshrrev_b32_e32 v13, s12, v10
	v_mul_lo_u32 v10, v13, s8
	s_delay_alu instid0(VALU_DEP_1) | instskip(NEXT) | instid1(VALU_DEP_1)
	v_sub_nc_u32_e32 v9, v9, v10
	v_mad_u64_u32 v[10:11], null, v9, s10, v[6:7]
	v_mad_u64_u32 v[17:18], null, v9, s11, v[7:8]
	s_delay_alu instid0(VALU_DEP_2) | instskip(NEXT) | instid1(VALU_DEP_2)
	v_dual_mov_b32 v9, v13 :: v_dual_mov_b32 v6, v10
	v_mov_b32_e32 v7, v17
	s_cbranch_scc1 .LBB13_64
.LBB13_65:
	s_and_not1_b32 vcc_lo, exec_lo, s6
	s_cbranch_vccnz .LBB13_68
; %bb.66:
	s_clause 0x1
	s_load_b128 s[4:7], s[0:1], 0x4
	s_load_b64 s[2:3], s[0:1], 0xc4
	s_cmp_lt_u32 s22, 2
	s_waitcnt lgkmcnt(0)
	v_mul_hi_u32 v6, s5, v8
	s_delay_alu instid0(VALU_DEP_1) | instskip(NEXT) | instid1(VALU_DEP_1)
	v_add_nc_u32_e32 v6, v8, v6
	v_lshrrev_b32_e32 v9, s6, v6
	s_delay_alu instid0(VALU_DEP_1) | instskip(NEXT) | instid1(VALU_DEP_1)
	v_mul_lo_u32 v6, v9, s4
	v_sub_nc_u32_e32 v7, v8, v6
	s_delay_alu instid0(VALU_DEP_1)
	v_mul_lo_u32 v6, v7, s2
	v_mul_lo_u32 v7, v7, s3
	s_cbranch_scc1 .LBB13_68
; %bb.67:
	s_clause 0x1
	s_load_b128 s[4:7], s[0:1], 0x10
	s_load_b64 s[2:3], s[0:1], 0xcc
	s_waitcnt lgkmcnt(0)
	v_mul_hi_u32 v8, s5, v9
	s_delay_alu instid0(VALU_DEP_1) | instskip(NEXT) | instid1(VALU_DEP_1)
	v_add_nc_u32_e32 v8, v9, v8
	v_lshrrev_b32_e32 v8, s6, v8
	s_delay_alu instid0(VALU_DEP_1) | instskip(NEXT) | instid1(VALU_DEP_1)
	v_mul_lo_u32 v8, v8, s4
	v_sub_nc_u32_e32 v11, v9, v8
	s_delay_alu instid0(VALU_DEP_1) | instskip(NEXT) | instid1(VALU_DEP_1)
	v_mad_u64_u32 v[8:9], null, v11, s2, v[6:7]
	v_mad_u64_u32 v[9:10], null, v11, s3, v[7:8]
	s_delay_alu instid0(VALU_DEP_1)
	v_dual_mov_b32 v6, v8 :: v_dual_mov_b32 v7, v9
.LBB13_68:
	v_cmp_ne_u32_e32 vcc_lo, 1, v14
	v_add_nc_u32_e32 v10, 0x200, v12
	s_cbranch_vccnz .LBB13_74
; %bb.69:
	v_dual_mov_b32 v8, 0 :: v_dual_mov_b32 v9, 0
	s_cmp_lg_u32 s22, 0
	s_mov_b32 s6, 0
	s_cbranch_scc0 .LBB13_78
; %bb.70:
	s_min_u32 s7, s23, 15
	v_mov_b32_e32 v8, 0
	s_add_i32 s7, s7, 1
	s_cmp_eq_u32 s23, 2
	s_mov_b32 s8, 0
	s_cbranch_scc1 .LBB13_75
; %bb.71:
	v_dual_mov_b32 v9, 0 :: v_dual_mov_b32 v8, 0
	v_mov_b32_e32 v11, v10
	s_add_u32 s2, s0, 0xc4
	s_addc_u32 s3, s1, 0
	s_and_b32 s8, s7, 28
	s_mov_b32 s9, 0
	s_mov_b64 s[4:5], s[0:1]
.LBB13_72:                              ; =>This Inner Loop Header: Depth=1
	s_clause 0x1
	s_load_b256 s[12:19], s[4:5], 0x4
	s_load_b128 s[36:39], s[4:5], 0x24
	s_load_b256 s[24:31], s[2:3], 0x0
	s_add_u32 s4, s4, 48
	s_addc_u32 s5, s5, 0
	s_add_i32 s9, s9, 4
	s_add_u32 s2, s2, 32
	s_addc_u32 s3, s3, 0
	s_cmp_lg_u32 s8, s9
	s_waitcnt lgkmcnt(0)
	v_mul_hi_u32 v13, s13, v11
	s_delay_alu instid0(VALU_DEP_1) | instskip(NEXT) | instid1(VALU_DEP_1)
	v_add_nc_u32_e32 v13, v11, v13
	v_lshrrev_b32_e32 v13, s14, v13
	s_delay_alu instid0(VALU_DEP_1) | instskip(SKIP_1) | instid1(VALU_DEP_2)
	v_mul_hi_u32 v15, s16, v13
	v_mul_lo_u32 v18, v13, s12
	v_add_nc_u32_e32 v15, v13, v15
	s_delay_alu instid0(VALU_DEP_2) | instskip(NEXT) | instid1(VALU_DEP_2)
	v_sub_nc_u32_e32 v11, v11, v18
	v_lshrrev_b32_e32 v15, s17, v15
	s_delay_alu instid0(VALU_DEP_2) | instskip(SKIP_1) | instid1(VALU_DEP_3)
	v_mul_lo_u32 v18, v11, s24
	v_mul_lo_u32 v20, v11, s25
	v_mul_hi_u32 v17, s19, v15
	s_delay_alu instid0(VALU_DEP_1) | instskip(NEXT) | instid1(VALU_DEP_1)
	v_add_nc_u32_e32 v17, v15, v17
	v_lshrrev_b32_e32 v17, s36, v17
	s_delay_alu instid0(VALU_DEP_1) | instskip(SKIP_1) | instid1(VALU_DEP_2)
	v_mul_hi_u32 v19, s38, v17
	v_mul_lo_u32 v21, v17, s18
	v_add_nc_u32_e32 v11, v17, v19
	v_mul_lo_u32 v19, v15, s15
	s_delay_alu instid0(VALU_DEP_3) | instskip(NEXT) | instid1(VALU_DEP_3)
	v_sub_nc_u32_e32 v15, v15, v21
	v_lshrrev_b32_e32 v11, s39, v11
	s_delay_alu instid0(VALU_DEP_2) | instskip(SKIP_2) | instid1(VALU_DEP_4)
	v_mul_lo_u32 v21, v15, s28
	v_mul_lo_u32 v15, v15, s29
	v_sub_nc_u32_e32 v13, v13, v19
	v_mul_lo_u32 v22, v11, s37
	s_delay_alu instid0(VALU_DEP_2) | instskip(SKIP_1) | instid1(VALU_DEP_3)
	v_mul_lo_u32 v19, v13, s26
	v_mul_lo_u32 v13, v13, s27
	v_sub_nc_u32_e32 v17, v17, v22
	s_delay_alu instid0(VALU_DEP_3) | instskip(NEXT) | instid1(VALU_DEP_2)
	v_add3_u32 v8, v18, v8, v19
	v_mul_lo_u32 v22, v17, s30
	v_mul_lo_u32 v17, v17, s31
	v_add3_u32 v9, v20, v9, v13
	s_delay_alu instid0(VALU_DEP_3) | instskip(NEXT) | instid1(VALU_DEP_2)
	v_add3_u32 v8, v21, v8, v22
	v_add3_u32 v9, v15, v9, v17
	s_cbranch_scc1 .LBB13_72
; %bb.73:
	s_and_b32 s7, s7, 3
	s_delay_alu instid0(SALU_CYCLE_1)
	s_cmp_eq_u32 s7, 0
	s_cbranch_scc0 .LBB13_76
	s_branch .LBB13_78
.LBB13_74:
	s_mov_b32 s6, -1
                                        ; implicit-def: $vgpr8
                                        ; implicit-def: $vgpr9
	s_branch .LBB13_78
.LBB13_75:
	v_mov_b32_e32 v11, v10
	v_mov_b32_e32 v9, 0
	s_and_b32 s7, s7, 3
	s_delay_alu instid0(SALU_CYCLE_1)
	s_cmp_eq_u32 s7, 0
	s_cbranch_scc1 .LBB13_78
.LBB13_76:
	s_lshl_b32 s2, s8, 3
	s_mul_i32 s4, s8, 12
	s_add_u32 s2, s2, s0
	s_addc_u32 s3, 0, s1
	s_add_u32 s2, s2, 0xc4
	s_addc_u32 s3, s3, 0
	;; [unrolled: 2-line block ×3, first 2 shown]
	.p2align	6
.LBB13_77:                              ; =>This Inner Loop Header: Depth=1
	s_clause 0x1
	s_load_b64 s[8:9], s[4:5], 0x4
	s_load_b32 s12, s[4:5], 0xc
	s_load_b64 s[10:11], s[2:3], 0x0
	s_add_u32 s4, s4, 12
	s_addc_u32 s5, s5, 0
	s_add_u32 s2, s2, 8
	s_addc_u32 s3, s3, 0
	s_add_i32 s7, s7, -1
	s_delay_alu instid0(SALU_CYCLE_1) | instskip(SKIP_2) | instid1(VALU_DEP_1)
	s_cmp_lg_u32 s7, 0
	s_waitcnt lgkmcnt(0)
	v_mul_hi_u32 v13, s9, v11
	v_add_nc_u32_e32 v13, v11, v13
	s_delay_alu instid0(VALU_DEP_1) | instskip(NEXT) | instid1(VALU_DEP_1)
	v_lshrrev_b32_e32 v13, s12, v13
	v_mul_lo_u32 v15, v13, s8
	s_delay_alu instid0(VALU_DEP_1) | instskip(NEXT) | instid1(VALU_DEP_1)
	v_sub_nc_u32_e32 v11, v11, v15
	v_mad_u64_u32 v[17:18], null, v11, s10, v[8:9]
	v_mad_u64_u32 v[18:19], null, v11, s11, v[9:10]
	v_mov_b32_e32 v11, v13
	s_delay_alu instid0(VALU_DEP_2)
	v_dual_mov_b32 v8, v17 :: v_dual_mov_b32 v9, v18
	s_cbranch_scc1 .LBB13_77
.LBB13_78:
	s_and_not1_b32 vcc_lo, exec_lo, s6
	s_cbranch_vccnz .LBB13_81
; %bb.79:
	s_clause 0x1
	s_load_b128 s[4:7], s[0:1], 0x4
	s_load_b64 s[2:3], s[0:1], 0xc4
	s_cmp_lt_u32 s22, 2
	s_waitcnt lgkmcnt(0)
	v_mul_hi_u32 v8, s5, v10
	s_delay_alu instid0(VALU_DEP_1) | instskip(NEXT) | instid1(VALU_DEP_1)
	v_add_nc_u32_e32 v8, v10, v8
	v_lshrrev_b32_e32 v11, s6, v8
	s_delay_alu instid0(VALU_DEP_1) | instskip(NEXT) | instid1(VALU_DEP_1)
	v_mul_lo_u32 v8, v11, s4
	v_sub_nc_u32_e32 v9, v10, v8
	s_delay_alu instid0(VALU_DEP_1)
	v_mul_lo_u32 v8, v9, s2
	v_mul_lo_u32 v9, v9, s3
	s_cbranch_scc1 .LBB13_81
; %bb.80:
	s_clause 0x1
	s_load_b128 s[4:7], s[0:1], 0x10
	s_load_b64 s[2:3], s[0:1], 0xcc
	s_waitcnt lgkmcnt(0)
	v_mul_hi_u32 v10, s5, v11
	s_delay_alu instid0(VALU_DEP_1) | instskip(NEXT) | instid1(VALU_DEP_1)
	v_add_nc_u32_e32 v10, v11, v10
	v_lshrrev_b32_e32 v10, s6, v10
	s_delay_alu instid0(VALU_DEP_1) | instskip(NEXT) | instid1(VALU_DEP_1)
	v_mul_lo_u32 v10, v10, s4
	v_sub_nc_u32_e32 v13, v11, v10
	s_delay_alu instid0(VALU_DEP_1) | instskip(NEXT) | instid1(VALU_DEP_1)
	v_mad_u64_u32 v[10:11], null, v13, s2, v[8:9]
	v_mad_u64_u32 v[17:18], null, v13, s3, v[9:10]
	s_delay_alu instid0(VALU_DEP_1)
	v_dual_mov_b32 v8, v10 :: v_dual_mov_b32 v9, v17
.LBB13_81:
	v_cmp_ne_u32_e32 vcc_lo, 1, v14
	v_add_nc_u32_e32 v13, 0x280, v12
	s_cbranch_vccnz .LBB13_87
; %bb.82:
	v_dual_mov_b32 v10, 0 :: v_dual_mov_b32 v11, 0
	s_cmp_lg_u32 s22, 0
	s_mov_b32 s6, 0
	s_cbranch_scc0 .LBB13_91
; %bb.83:
	s_min_u32 s7, s23, 15
	v_mov_b32_e32 v10, 0
	s_add_i32 s7, s7, 1
	s_cmp_eq_u32 s23, 2
	s_mov_b32 s8, 0
	s_cbranch_scc1 .LBB13_88
; %bb.84:
	v_dual_mov_b32 v11, 0 :: v_dual_mov_b32 v10, 0
	v_mov_b32_e32 v15, v13
	s_add_u32 s2, s0, 0xc4
	s_addc_u32 s3, s1, 0
	s_and_b32 s8, s7, 28
	s_mov_b32 s9, 0
	s_mov_b64 s[4:5], s[0:1]
.LBB13_85:                              ; =>This Inner Loop Header: Depth=1
	s_clause 0x1
	s_load_b256 s[12:19], s[4:5], 0x4
	s_load_b128 s[36:39], s[4:5], 0x24
	s_load_b256 s[24:31], s[2:3], 0x0
	s_add_u32 s4, s4, 48
	s_addc_u32 s5, s5, 0
	s_add_i32 s9, s9, 4
	s_add_u32 s2, s2, 32
	s_addc_u32 s3, s3, 0
	s_cmp_lg_u32 s8, s9
	s_waitcnt lgkmcnt(0)
	v_mul_hi_u32 v17, s13, v15
	s_delay_alu instid0(VALU_DEP_1) | instskip(NEXT) | instid1(VALU_DEP_1)
	v_add_nc_u32_e32 v17, v15, v17
	v_lshrrev_b32_e32 v17, s14, v17
	s_delay_alu instid0(VALU_DEP_1) | instskip(SKIP_1) | instid1(VALU_DEP_2)
	v_mul_hi_u32 v18, s16, v17
	v_mul_lo_u32 v20, v17, s12
	v_add_nc_u32_e32 v18, v17, v18
	s_delay_alu instid0(VALU_DEP_2) | instskip(NEXT) | instid1(VALU_DEP_2)
	v_sub_nc_u32_e32 v15, v15, v20
	v_lshrrev_b32_e32 v18, s17, v18
	s_delay_alu instid0(VALU_DEP_2) | instskip(SKIP_1) | instid1(VALU_DEP_3)
	v_mul_lo_u32 v20, v15, s24
	v_mul_lo_u32 v22, v15, s25
	v_mul_hi_u32 v19, s19, v18
	s_delay_alu instid0(VALU_DEP_1) | instskip(NEXT) | instid1(VALU_DEP_1)
	v_add_nc_u32_e32 v19, v18, v19
	v_lshrrev_b32_e32 v19, s36, v19
	s_delay_alu instid0(VALU_DEP_1) | instskip(SKIP_1) | instid1(VALU_DEP_2)
	v_mul_hi_u32 v21, s38, v19
	v_mul_lo_u32 v23, v19, s18
	v_add_nc_u32_e32 v15, v19, v21
	v_mul_lo_u32 v21, v18, s15
	s_delay_alu instid0(VALU_DEP_3) | instskip(NEXT) | instid1(VALU_DEP_3)
	v_sub_nc_u32_e32 v18, v18, v23
	v_lshrrev_b32_e32 v15, s39, v15
	s_delay_alu instid0(VALU_DEP_2) | instskip(SKIP_2) | instid1(VALU_DEP_4)
	v_mul_lo_u32 v23, v18, s28
	v_mul_lo_u32 v18, v18, s29
	v_sub_nc_u32_e32 v17, v17, v21
	v_mul_lo_u32 v24, v15, s37
	s_delay_alu instid0(VALU_DEP_2) | instskip(SKIP_1) | instid1(VALU_DEP_3)
	v_mul_lo_u32 v21, v17, s26
	v_mul_lo_u32 v17, v17, s27
	v_sub_nc_u32_e32 v19, v19, v24
	s_delay_alu instid0(VALU_DEP_3) | instskip(NEXT) | instid1(VALU_DEP_2)
	v_add3_u32 v10, v20, v10, v21
	v_mul_lo_u32 v24, v19, s30
	v_mul_lo_u32 v19, v19, s31
	v_add3_u32 v11, v22, v11, v17
	s_delay_alu instid0(VALU_DEP_3) | instskip(NEXT) | instid1(VALU_DEP_2)
	v_add3_u32 v10, v23, v10, v24
	v_add3_u32 v11, v18, v11, v19
	s_cbranch_scc1 .LBB13_85
; %bb.86:
	s_and_b32 s7, s7, 3
	s_delay_alu instid0(SALU_CYCLE_1)
	s_cmp_eq_u32 s7, 0
	s_cbranch_scc0 .LBB13_89
	s_branch .LBB13_91
.LBB13_87:
	s_mov_b32 s6, -1
                                        ; implicit-def: $vgpr10
                                        ; implicit-def: $vgpr11
	s_branch .LBB13_91
.LBB13_88:
	v_mov_b32_e32 v15, v13
	v_mov_b32_e32 v11, 0
	s_and_b32 s7, s7, 3
	s_delay_alu instid0(SALU_CYCLE_1)
	s_cmp_eq_u32 s7, 0
	s_cbranch_scc1 .LBB13_91
.LBB13_89:
	s_lshl_b32 s2, s8, 3
	s_mul_i32 s4, s8, 12
	s_add_u32 s2, s2, s0
	s_addc_u32 s3, 0, s1
	s_add_u32 s2, s2, 0xc4
	s_addc_u32 s3, s3, 0
	;; [unrolled: 2-line block ×3, first 2 shown]
	.p2align	6
.LBB13_90:                              ; =>This Inner Loop Header: Depth=1
	s_clause 0x1
	s_load_b64 s[8:9], s[4:5], 0x4
	s_load_b32 s12, s[4:5], 0xc
	s_load_b64 s[10:11], s[2:3], 0x0
	s_add_u32 s4, s4, 12
	s_addc_u32 s5, s5, 0
	s_add_u32 s2, s2, 8
	s_addc_u32 s3, s3, 0
	s_add_i32 s7, s7, -1
	s_delay_alu instid0(SALU_CYCLE_1) | instskip(SKIP_2) | instid1(VALU_DEP_1)
	s_cmp_lg_u32 s7, 0
	s_waitcnt lgkmcnt(0)
	v_mul_hi_u32 v17, s9, v15
	v_add_nc_u32_e32 v17, v15, v17
	s_delay_alu instid0(VALU_DEP_1) | instskip(NEXT) | instid1(VALU_DEP_1)
	v_lshrrev_b32_e32 v20, s12, v17
	v_mul_lo_u32 v17, v20, s8
	s_delay_alu instid0(VALU_DEP_1) | instskip(NEXT) | instid1(VALU_DEP_1)
	v_sub_nc_u32_e32 v15, v15, v17
	v_mad_u64_u32 v[17:18], null, v15, s10, v[10:11]
	v_mad_u64_u32 v[18:19], null, v15, s11, v[11:12]
	s_delay_alu instid0(VALU_DEP_2) | instskip(NEXT) | instid1(VALU_DEP_2)
	v_dual_mov_b32 v15, v20 :: v_dual_mov_b32 v10, v17
	v_mov_b32_e32 v11, v18
	s_cbranch_scc1 .LBB13_90
.LBB13_91:
	s_and_not1_b32 vcc_lo, exec_lo, s6
	s_cbranch_vccnz .LBB13_94
; %bb.92:
	s_clause 0x1
	s_load_b128 s[4:7], s[0:1], 0x4
	s_load_b64 s[2:3], s[0:1], 0xc4
	s_cmp_lt_u32 s22, 2
	s_waitcnt lgkmcnt(0)
	v_mul_hi_u32 v10, s5, v13
	s_delay_alu instid0(VALU_DEP_1) | instskip(NEXT) | instid1(VALU_DEP_1)
	v_add_nc_u32_e32 v10, v13, v10
	v_lshrrev_b32_e32 v15, s6, v10
	s_delay_alu instid0(VALU_DEP_1) | instskip(NEXT) | instid1(VALU_DEP_1)
	v_mul_lo_u32 v10, v15, s4
	v_sub_nc_u32_e32 v11, v13, v10
	s_delay_alu instid0(VALU_DEP_1)
	v_mul_lo_u32 v10, v11, s2
	v_mul_lo_u32 v11, v11, s3
	s_cbranch_scc1 .LBB13_94
; %bb.93:
	s_clause 0x1
	s_load_b128 s[4:7], s[0:1], 0x10
	s_load_b64 s[2:3], s[0:1], 0xcc
	s_waitcnt lgkmcnt(0)
	v_mul_hi_u32 v13, s5, v15
	s_delay_alu instid0(VALU_DEP_1) | instskip(NEXT) | instid1(VALU_DEP_1)
	v_add_nc_u32_e32 v13, v15, v13
	v_lshrrev_b32_e32 v13, s6, v13
	s_delay_alu instid0(VALU_DEP_1) | instskip(NEXT) | instid1(VALU_DEP_1)
	v_mul_lo_u32 v13, v13, s4
	v_sub_nc_u32_e32 v13, v15, v13
	s_delay_alu instid0(VALU_DEP_1) | instskip(SKIP_1) | instid1(VALU_DEP_1)
	v_mad_u64_u32 v[17:18], null, v13, s2, v[10:11]
	v_mad_u64_u32 v[18:19], null, v13, s3, v[11:12]
	v_dual_mov_b32 v10, v17 :: v_dual_mov_b32 v11, v18
.LBB13_94:
	v_cmp_ne_u32_e32 vcc_lo, 1, v14
	v_add_nc_u32_e32 v15, 0x300, v12
	s_cbranch_vccnz .LBB13_100
; %bb.95:
	v_dual_mov_b32 v12, 0 :: v_dual_mov_b32 v13, 0
	s_cmp_lg_u32 s22, 0
	s_mov_b32 s6, 0
	s_cbranch_scc0 .LBB13_104
; %bb.96:
	s_min_u32 s7, s23, 15
	v_mov_b32_e32 v12, 0
	s_add_i32 s7, s7, 1
	s_cmp_eq_u32 s23, 2
	s_mov_b32 s8, 0
	s_cbranch_scc1 .LBB13_101
; %bb.97:
	v_dual_mov_b32 v13, 0 :: v_dual_mov_b32 v12, 0
	v_mov_b32_e32 v17, v15
	s_add_u32 s2, s0, 0xc4
	s_addc_u32 s3, s1, 0
	s_and_b32 s8, s7, 28
	s_mov_b32 s9, 0
	s_mov_b64 s[4:5], s[0:1]
.LBB13_98:                              ; =>This Inner Loop Header: Depth=1
	s_clause 0x1
	s_load_b256 s[12:19], s[4:5], 0x4
	s_load_b128 s[36:39], s[4:5], 0x24
	s_load_b256 s[24:31], s[2:3], 0x0
	s_add_u32 s4, s4, 48
	s_addc_u32 s5, s5, 0
	s_add_i32 s9, s9, 4
	s_add_u32 s2, s2, 32
	s_addc_u32 s3, s3, 0
	s_cmp_lg_u32 s8, s9
	s_waitcnt lgkmcnt(0)
	v_mul_hi_u32 v18, s13, v17
	s_delay_alu instid0(VALU_DEP_1) | instskip(NEXT) | instid1(VALU_DEP_1)
	v_add_nc_u32_e32 v18, v17, v18
	v_lshrrev_b32_e32 v18, s14, v18
	s_delay_alu instid0(VALU_DEP_1) | instskip(SKIP_1) | instid1(VALU_DEP_2)
	v_mul_hi_u32 v19, s16, v18
	v_mul_lo_u32 v21, v18, s12
	v_add_nc_u32_e32 v19, v18, v19
	s_delay_alu instid0(VALU_DEP_2) | instskip(NEXT) | instid1(VALU_DEP_2)
	v_sub_nc_u32_e32 v17, v17, v21
	v_lshrrev_b32_e32 v19, s17, v19
	s_delay_alu instid0(VALU_DEP_2) | instskip(SKIP_1) | instid1(VALU_DEP_3)
	v_mul_lo_u32 v21, v17, s24
	v_mul_lo_u32 v23, v17, s25
	v_mul_hi_u32 v20, s19, v19
	s_delay_alu instid0(VALU_DEP_1) | instskip(NEXT) | instid1(VALU_DEP_1)
	v_add_nc_u32_e32 v20, v19, v20
	v_lshrrev_b32_e32 v20, s36, v20
	s_delay_alu instid0(VALU_DEP_1) | instskip(SKIP_1) | instid1(VALU_DEP_2)
	v_mul_hi_u32 v22, s38, v20
	v_mul_lo_u32 v24, v20, s18
	v_add_nc_u32_e32 v17, v20, v22
	v_mul_lo_u32 v22, v19, s15
	s_delay_alu instid0(VALU_DEP_3) | instskip(NEXT) | instid1(VALU_DEP_3)
	v_sub_nc_u32_e32 v19, v19, v24
	v_lshrrev_b32_e32 v17, s39, v17
	s_delay_alu instid0(VALU_DEP_2) | instskip(SKIP_2) | instid1(VALU_DEP_4)
	v_mul_lo_u32 v24, v19, s28
	v_mul_lo_u32 v19, v19, s29
	v_sub_nc_u32_e32 v18, v18, v22
	v_mul_lo_u32 v25, v17, s37
	s_delay_alu instid0(VALU_DEP_2) | instskip(SKIP_1) | instid1(VALU_DEP_3)
	v_mul_lo_u32 v22, v18, s26
	v_mul_lo_u32 v18, v18, s27
	v_sub_nc_u32_e32 v20, v20, v25
	s_delay_alu instid0(VALU_DEP_3) | instskip(NEXT) | instid1(VALU_DEP_2)
	v_add3_u32 v12, v21, v12, v22
	v_mul_lo_u32 v25, v20, s30
	v_mul_lo_u32 v20, v20, s31
	v_add3_u32 v13, v23, v13, v18
	s_delay_alu instid0(VALU_DEP_3) | instskip(NEXT) | instid1(VALU_DEP_2)
	v_add3_u32 v12, v24, v12, v25
	v_add3_u32 v13, v19, v13, v20
	s_cbranch_scc1 .LBB13_98
; %bb.99:
	s_and_b32 s7, s7, 3
	s_delay_alu instid0(SALU_CYCLE_1)
	s_cmp_eq_u32 s7, 0
	s_cbranch_scc0 .LBB13_102
	s_branch .LBB13_104
.LBB13_100:
	s_mov_b32 s6, -1
                                        ; implicit-def: $vgpr12
                                        ; implicit-def: $vgpr13
	s_branch .LBB13_104
.LBB13_101:
	v_mov_b32_e32 v17, v15
	v_mov_b32_e32 v13, 0
	s_and_b32 s7, s7, 3
	s_delay_alu instid0(SALU_CYCLE_1)
	s_cmp_eq_u32 s7, 0
	s_cbranch_scc1 .LBB13_104
.LBB13_102:
	s_lshl_b32 s2, s8, 3
	s_mul_i32 s4, s8, 12
	s_add_u32 s2, s2, s0
	s_addc_u32 s3, 0, s1
	s_add_u32 s2, s2, 0xc4
	s_addc_u32 s3, s3, 0
	;; [unrolled: 2-line block ×3, first 2 shown]
	.p2align	6
.LBB13_103:                             ; =>This Inner Loop Header: Depth=1
	s_clause 0x1
	s_load_b64 s[8:9], s[4:5], 0x4
	s_load_b32 s12, s[4:5], 0xc
	s_load_b64 s[10:11], s[2:3], 0x0
	s_add_u32 s4, s4, 12
	s_addc_u32 s5, s5, 0
	s_add_u32 s2, s2, 8
	s_addc_u32 s3, s3, 0
	s_add_i32 s7, s7, -1
	s_delay_alu instid0(SALU_CYCLE_1) | instskip(SKIP_2) | instid1(VALU_DEP_1)
	s_cmp_lg_u32 s7, 0
	s_waitcnt lgkmcnt(0)
	v_mul_hi_u32 v18, s9, v17
	v_add_nc_u32_e32 v18, v17, v18
	s_delay_alu instid0(VALU_DEP_1) | instskip(NEXT) | instid1(VALU_DEP_1)
	v_lshrrev_b32_e32 v21, s12, v18
	v_mul_lo_u32 v18, v21, s8
	s_delay_alu instid0(VALU_DEP_1) | instskip(NEXT) | instid1(VALU_DEP_1)
	v_sub_nc_u32_e32 v17, v17, v18
	v_mad_u64_u32 v[18:19], null, v17, s10, v[12:13]
	v_mad_u64_u32 v[19:20], null, v17, s11, v[13:14]
	s_delay_alu instid0(VALU_DEP_2) | instskip(NEXT) | instid1(VALU_DEP_2)
	v_dual_mov_b32 v17, v21 :: v_dual_mov_b32 v12, v18
	v_mov_b32_e32 v13, v19
	s_cbranch_scc1 .LBB13_103
.LBB13_104:
	s_and_not1_b32 vcc_lo, exec_lo, s6
	s_cbranch_vccnz .LBB13_107
; %bb.105:
	s_clause 0x1
	s_load_b128 s[4:7], s[0:1], 0x4
	s_load_b64 s[2:3], s[0:1], 0xc4
	s_cmp_lt_u32 s22, 2
	s_waitcnt lgkmcnt(0)
	v_mul_hi_u32 v12, s5, v15
	s_delay_alu instid0(VALU_DEP_1) | instskip(NEXT) | instid1(VALU_DEP_1)
	v_add_nc_u32_e32 v12, v15, v12
	v_lshrrev_b32_e32 v17, s6, v12
	s_delay_alu instid0(VALU_DEP_1) | instskip(NEXT) | instid1(VALU_DEP_1)
	v_mul_lo_u32 v12, v17, s4
	v_sub_nc_u32_e32 v13, v15, v12
	s_delay_alu instid0(VALU_DEP_1)
	v_mul_lo_u32 v12, v13, s2
	v_mul_lo_u32 v13, v13, s3
	s_cbranch_scc1 .LBB13_107
; %bb.106:
	s_clause 0x1
	s_load_b128 s[4:7], s[0:1], 0x10
	s_load_b64 s[2:3], s[0:1], 0xcc
	s_waitcnt lgkmcnt(0)
	v_mul_hi_u32 v15, s5, v17
	s_delay_alu instid0(VALU_DEP_1) | instskip(NEXT) | instid1(VALU_DEP_1)
	v_add_nc_u32_e32 v15, v17, v15
	v_lshrrev_b32_e32 v15, s6, v15
	s_delay_alu instid0(VALU_DEP_1) | instskip(NEXT) | instid1(VALU_DEP_1)
	v_mul_lo_u32 v15, v15, s4
	v_sub_nc_u32_e32 v15, v17, v15
	s_delay_alu instid0(VALU_DEP_1) | instskip(SKIP_1) | instid1(VALU_DEP_1)
	v_mad_u64_u32 v[17:18], null, v15, s2, v[12:13]
	v_mad_u64_u32 v[18:19], null, v15, s3, v[13:14]
	v_dual_mov_b32 v12, v17 :: v_dual_mov_b32 v13, v18
.LBB13_107:
	v_cmp_ne_u32_e32 vcc_lo, 1, v14
	s_cbranch_vccnz .LBB13_113
; %bb.108:
	v_dual_mov_b32 v14, 0 :: v_dual_mov_b32 v15, 0
	s_cmp_lg_u32 s22, 0
	s_mov_b32 s6, 0
	s_cbranch_scc0 .LBB13_117
; %bb.109:
	s_min_u32 s7, s23, 15
	v_mov_b32_e32 v14, 0
	s_add_i32 s7, s7, 1
	s_cmp_eq_u32 s23, 2
	s_mov_b32 s8, 0
	s_cbranch_scc1 .LBB13_114
; %bb.110:
	v_dual_mov_b32 v15, 0 :: v_dual_mov_b32 v14, 0
	v_mov_b32_e32 v17, v16
	s_add_u32 s2, s0, 0xc4
	s_addc_u32 s3, s1, 0
	s_and_b32 s8, s7, 28
	s_mov_b32 s9, 0
	s_mov_b64 s[4:5], s[0:1]
.LBB13_111:                             ; =>This Inner Loop Header: Depth=1
	s_clause 0x1
	s_load_b256 s[12:19], s[4:5], 0x4
	s_load_b128 s[36:39], s[4:5], 0x24
	s_load_b256 s[24:31], s[2:3], 0x0
	s_add_u32 s4, s4, 48
	s_addc_u32 s5, s5, 0
	s_add_i32 s9, s9, 4
	s_add_u32 s2, s2, 32
	s_addc_u32 s3, s3, 0
	s_cmp_lg_u32 s8, s9
	s_waitcnt lgkmcnt(0)
	v_mul_hi_u32 v18, s13, v17
	s_delay_alu instid0(VALU_DEP_1) | instskip(NEXT) | instid1(VALU_DEP_1)
	v_add_nc_u32_e32 v18, v17, v18
	v_lshrrev_b32_e32 v18, s14, v18
	s_delay_alu instid0(VALU_DEP_1) | instskip(SKIP_1) | instid1(VALU_DEP_2)
	v_mul_hi_u32 v19, s16, v18
	v_mul_lo_u32 v21, v18, s12
	v_add_nc_u32_e32 v19, v18, v19
	s_delay_alu instid0(VALU_DEP_2) | instskip(NEXT) | instid1(VALU_DEP_2)
	v_sub_nc_u32_e32 v17, v17, v21
	v_lshrrev_b32_e32 v19, s17, v19
	s_delay_alu instid0(VALU_DEP_2) | instskip(SKIP_1) | instid1(VALU_DEP_3)
	v_mul_lo_u32 v21, v17, s24
	v_mul_lo_u32 v23, v17, s25
	v_mul_hi_u32 v20, s19, v19
	s_delay_alu instid0(VALU_DEP_1) | instskip(NEXT) | instid1(VALU_DEP_1)
	v_add_nc_u32_e32 v20, v19, v20
	v_lshrrev_b32_e32 v20, s36, v20
	s_delay_alu instid0(VALU_DEP_1) | instskip(SKIP_1) | instid1(VALU_DEP_2)
	v_mul_hi_u32 v22, s38, v20
	v_mul_lo_u32 v24, v20, s18
	v_add_nc_u32_e32 v17, v20, v22
	v_mul_lo_u32 v22, v19, s15
	s_delay_alu instid0(VALU_DEP_3) | instskip(NEXT) | instid1(VALU_DEP_3)
	v_sub_nc_u32_e32 v19, v19, v24
	v_lshrrev_b32_e32 v17, s39, v17
	s_delay_alu instid0(VALU_DEP_2) | instskip(SKIP_2) | instid1(VALU_DEP_4)
	v_mul_lo_u32 v24, v19, s28
	v_mul_lo_u32 v19, v19, s29
	v_sub_nc_u32_e32 v18, v18, v22
	v_mul_lo_u32 v25, v17, s37
	s_delay_alu instid0(VALU_DEP_2) | instskip(SKIP_1) | instid1(VALU_DEP_3)
	v_mul_lo_u32 v22, v18, s26
	v_mul_lo_u32 v18, v18, s27
	v_sub_nc_u32_e32 v20, v20, v25
	s_delay_alu instid0(VALU_DEP_3) | instskip(NEXT) | instid1(VALU_DEP_2)
	v_add3_u32 v14, v21, v14, v22
	v_mul_lo_u32 v25, v20, s30
	v_mul_lo_u32 v20, v20, s31
	v_add3_u32 v15, v23, v15, v18
	s_delay_alu instid0(VALU_DEP_3) | instskip(NEXT) | instid1(VALU_DEP_2)
	v_add3_u32 v14, v24, v14, v25
	v_add3_u32 v15, v19, v15, v20
	s_cbranch_scc1 .LBB13_111
; %bb.112:
	s_and_b32 s7, s7, 3
	s_delay_alu instid0(SALU_CYCLE_1)
	s_cmp_eq_u32 s7, 0
	s_cbranch_scc0 .LBB13_115
	s_branch .LBB13_117
.LBB13_113:
	s_mov_b32 s6, -1
                                        ; implicit-def: $vgpr14
                                        ; implicit-def: $vgpr15
	s_branch .LBB13_117
.LBB13_114:
	v_mov_b32_e32 v17, v16
	v_mov_b32_e32 v15, 0
	s_and_b32 s7, s7, 3
	s_delay_alu instid0(SALU_CYCLE_1)
	s_cmp_eq_u32 s7, 0
	s_cbranch_scc1 .LBB13_117
.LBB13_115:
	s_lshl_b32 s2, s8, 3
	s_mul_i32 s4, s8, 12
	s_add_u32 s2, s2, s0
	s_addc_u32 s3, 0, s1
	s_add_u32 s2, s2, 0xc4
	s_addc_u32 s3, s3, 0
	;; [unrolled: 2-line block ×3, first 2 shown]
	.p2align	6
.LBB13_116:                             ; =>This Inner Loop Header: Depth=1
	s_clause 0x1
	s_load_b64 s[8:9], s[4:5], 0x4
	s_load_b32 s12, s[4:5], 0xc
	s_load_b64 s[10:11], s[2:3], 0x0
	s_add_u32 s4, s4, 12
	s_addc_u32 s5, s5, 0
	s_add_u32 s2, s2, 8
	s_addc_u32 s3, s3, 0
	s_add_i32 s7, s7, -1
	s_delay_alu instid0(SALU_CYCLE_1) | instskip(SKIP_2) | instid1(VALU_DEP_1)
	s_cmp_lg_u32 s7, 0
	s_waitcnt lgkmcnt(0)
	v_mul_hi_u32 v18, s9, v17
	v_add_nc_u32_e32 v18, v17, v18
	s_delay_alu instid0(VALU_DEP_1) | instskip(NEXT) | instid1(VALU_DEP_1)
	v_lshrrev_b32_e32 v21, s12, v18
	v_mul_lo_u32 v18, v21, s8
	s_delay_alu instid0(VALU_DEP_1) | instskip(NEXT) | instid1(VALU_DEP_1)
	v_sub_nc_u32_e32 v17, v17, v18
	v_mad_u64_u32 v[18:19], null, v17, s10, v[14:15]
	v_mad_u64_u32 v[19:20], null, v17, s11, v[15:16]
	s_delay_alu instid0(VALU_DEP_2) | instskip(NEXT) | instid1(VALU_DEP_2)
	v_dual_mov_b32 v17, v21 :: v_dual_mov_b32 v14, v18
	v_mov_b32_e32 v15, v19
	s_cbranch_scc1 .LBB13_116
.LBB13_117:
	s_and_not1_b32 vcc_lo, exec_lo, s6
	s_cbranch_vccnz .LBB13_120
; %bb.118:
	s_clause 0x1
	s_load_b128 s[4:7], s[0:1], 0x4
	s_load_b64 s[2:3], s[0:1], 0xc4
	s_cmp_lt_u32 s22, 2
	s_waitcnt lgkmcnt(0)
	v_mul_hi_u32 v14, s5, v16
	s_delay_alu instid0(VALU_DEP_1) | instskip(NEXT) | instid1(VALU_DEP_1)
	v_add_nc_u32_e32 v14, v16, v14
	v_lshrrev_b32_e32 v17, s6, v14
	s_delay_alu instid0(VALU_DEP_1) | instskip(NEXT) | instid1(VALU_DEP_1)
	v_mul_lo_u32 v14, v17, s4
	v_sub_nc_u32_e32 v15, v16, v14
	s_delay_alu instid0(VALU_DEP_1)
	v_mul_lo_u32 v14, v15, s2
	v_mul_lo_u32 v15, v15, s3
	s_cbranch_scc1 .LBB13_120
; %bb.119:
	s_clause 0x1
	s_load_b128 s[4:7], s[0:1], 0x10
	s_load_b64 s[2:3], s[0:1], 0xcc
	s_waitcnt lgkmcnt(0)
	v_mul_hi_u32 v16, s5, v17
	s_delay_alu instid0(VALU_DEP_1) | instskip(NEXT) | instid1(VALU_DEP_1)
	v_add_nc_u32_e32 v16, v17, v16
	v_lshrrev_b32_e32 v16, s6, v16
	s_delay_alu instid0(VALU_DEP_1) | instskip(NEXT) | instid1(VALU_DEP_1)
	v_mul_lo_u32 v16, v16, s4
	v_sub_nc_u32_e32 v19, v17, v16
	s_delay_alu instid0(VALU_DEP_1) | instskip(NEXT) | instid1(VALU_DEP_1)
	v_mad_u64_u32 v[16:17], null, v19, s2, v[14:15]
	v_mad_u64_u32 v[17:18], null, v19, s3, v[15:16]
	s_delay_alu instid0(VALU_DEP_1)
	v_dual_mov_b32 v14, v16 :: v_dual_mov_b32 v15, v17
.LBB13_120:
	s_load_b128 s[0:3], s[0:1], 0x148
	s_waitcnt lgkmcnt(0)
	s_clause 0x7
	global_load_u8 v1, v1, s[2:3]
	global_load_u8 v3, v3, s[2:3]
	;; [unrolled: 1-line block ×8, first 2 shown]
	s_waitcnt vmcnt(7)
	v_xor_b32_e32 v1, -1, v1
	s_waitcnt vmcnt(6)
	v_xor_b32_e32 v3, -1, v3
	;; [unrolled: 2-line block ×8, first 2 shown]
	s_clause 0x7
	global_store_b8 v0, v1, s[0:1]
	global_store_b8 v2, v3, s[0:1]
	;; [unrolled: 1-line block ×8, first 2 shown]
	s_nop 0
	s_sendmsg sendmsg(MSG_DEALLOC_VGPRS)
	s_endpgm
.LBB13_121:
	v_dual_mov_b32 v2, v12 :: v_dual_mov_b32 v1, 0
.LBB13_122:
	s_and_b32 s34, s34, 3
	s_delay_alu instid0(SALU_CYCLE_1)
	s_cmp_eq_u32 s34, 0
	s_cbranch_scc1 .LBB13_125
; %bb.123:
	s_lshl_b32 s18, s33, 3
	s_mul_i32 s20, s33, 12
	s_add_u32 s18, s18, s0
	s_addc_u32 s19, s1, 0
	s_add_u32 s18, s18, 0xc4
	s_addc_u32 s19, s19, 0
	;; [unrolled: 2-line block ×3, first 2 shown]
	.p2align	6
.LBB13_124:                             ; =>This Inner Loop Header: Depth=1
	s_clause 0x1
	s_load_b64 s[36:37], s[20:21], 0x4
	s_load_b32 s33, s[20:21], 0xc
	s_load_b64 s[38:39], s[18:19], 0x0
	s_add_u32 s20, s20, 12
	s_addc_u32 s21, s21, 0
	s_add_u32 s18, s18, 8
	s_addc_u32 s19, s19, 0
	s_add_i32 s34, s34, -1
	s_delay_alu instid0(SALU_CYCLE_1) | instskip(SKIP_2) | instid1(VALU_DEP_1)
	s_cmp_lg_u32 s34, 0
	s_waitcnt lgkmcnt(0)
	v_mul_hi_u32 v3, s37, v2
	v_add_nc_u32_e32 v3, v2, v3
	s_delay_alu instid0(VALU_DEP_1) | instskip(NEXT) | instid1(VALU_DEP_1)
	v_lshrrev_b32_e32 v6, s33, v3
	v_mul_lo_u32 v3, v6, s36
	s_delay_alu instid0(VALU_DEP_1) | instskip(NEXT) | instid1(VALU_DEP_1)
	v_sub_nc_u32_e32 v2, v2, v3
	v_mad_u64_u32 v[3:4], null, v2, s38, v[0:1]
	v_mad_u64_u32 v[4:5], null, v2, s39, v[1:2]
	v_mov_b32_e32 v2, v6
	s_delay_alu instid0(VALU_DEP_2)
	v_dual_mov_b32 v0, v3 :: v_dual_mov_b32 v1, v4
	s_cbranch_scc1 .LBB13_124
.LBB13_125:
	s_and_not1_b32 vcc_lo, exec_lo, s31
	s_cbranch_vccnz .LBB13_128
; %bb.126:
	s_waitcnt lgkmcnt(0)
	v_mul_hi_u32 v0, s13, v12
	s_and_not1_b32 vcc_lo, exec_lo, s26
	s_delay_alu instid0(VALU_DEP_1) | instskip(NEXT) | instid1(VALU_DEP_1)
	v_add_nc_u32_e32 v0, v12, v0
	v_lshrrev_b32_e32 v2, s14, v0
	s_delay_alu instid0(VALU_DEP_1) | instskip(NEXT) | instid1(VALU_DEP_1)
	v_mul_lo_u32 v0, v2, s12
	v_sub_nc_u32_e32 v1, v12, v0
	s_delay_alu instid0(VALU_DEP_1)
	v_mul_lo_u32 v0, v1, s8
	v_mul_lo_u32 v1, v1, s9
	s_cbranch_vccnz .LBB13_128
; %bb.127:
	v_mul_hi_u32 v3, s2, v2
	s_delay_alu instid0(VALU_DEP_1) | instskip(NEXT) | instid1(VALU_DEP_1)
	v_add_nc_u32_e32 v3, v2, v3
	v_lshrrev_b32_e32 v3, s3, v3
	s_delay_alu instid0(VALU_DEP_1) | instskip(NEXT) | instid1(VALU_DEP_1)
	v_mul_lo_u32 v3, v3, s15
	v_sub_nc_u32_e32 v5, v2, v3
	s_delay_alu instid0(VALU_DEP_1) | instskip(NEXT) | instid1(VALU_DEP_1)
	v_mad_u64_u32 v[2:3], null, v5, s10, v[0:1]
	v_mad_u64_u32 v[3:4], null, v5, s11, v[1:2]
	s_delay_alu instid0(VALU_DEP_1)
	v_dual_mov_b32 v0, v2 :: v_dual_mov_b32 v1, v3
.LBB13_128:
	s_waitcnt lgkmcnt(0)
	global_load_u8 v1, v1, s[6:7]
	v_add_nc_u32_e32 v12, 0x80, v12
	s_waitcnt vmcnt(0)
	v_xor_b32_e32 v1, -1, v1
	global_store_b8 v0, v1, s[4:5]
	s_or_b32 exec_lo, exec_lo, s30
	s_delay_alu instid0(SALU_CYCLE_1)
	s_mov_b32 s30, exec_lo
	v_cmpx_gt_i32_e64 s27, v12
	s_cbranch_execnz .LBB13_15
.LBB13_129:
	s_or_b32 exec_lo, exec_lo, s30
	s_delay_alu instid0(SALU_CYCLE_1)
	s_mov_b32 s30, exec_lo
	v_cmpx_gt_i32_e64 s27, v12
	s_cbranch_execz .LBB13_144
.LBB13_130:
	s_and_not1_b32 vcc_lo, exec_lo, s24
	s_cbranch_vccnz .LBB13_135
; %bb.131:
	v_dual_mov_b32 v0, 0 :: v_dual_mov_b32 v1, 0
	s_and_not1_b32 vcc_lo, exec_lo, s29
	s_mov_b32 s31, 0
	s_cbranch_vccnz .LBB13_155
; %bb.132:
	v_mov_b32_e32 v0, 0
	s_add_i32 s34, s28, 1
	s_cmp_eq_u32 s23, 2
	s_mov_b32 s33, 0
	s_cbranch_scc1 .LBB13_151
; %bb.133:
	v_dual_mov_b32 v1, 0 :: v_dual_mov_b32 v0, 0
	v_mov_b32_e32 v2, v12
	s_and_b32 s33, s34, 28
	s_mov_b32 s35, 0
	s_mov_b64 s[18:19], s[16:17]
	s_mov_b64 s[20:21], s[0:1]
.LBB13_134:                             ; =>This Inner Loop Header: Depth=1
	s_clause 0x1
	s_load_b256 s[36:43], s[20:21], 0x4
	s_load_b128 s[52:55], s[20:21], 0x24
	s_load_b256 s[44:51], s[18:19], 0x0
	s_add_u32 s20, s20, 48
	s_addc_u32 s21, s21, 0
	s_add_i32 s35, s35, 4
	s_add_u32 s18, s18, 32
	s_addc_u32 s19, s19, 0
	s_cmp_eq_u32 s33, s35
	s_waitcnt lgkmcnt(0)
	v_mul_hi_u32 v3, s37, v2
	s_delay_alu instid0(VALU_DEP_1) | instskip(NEXT) | instid1(VALU_DEP_1)
	v_add_nc_u32_e32 v3, v2, v3
	v_lshrrev_b32_e32 v3, s38, v3
	s_delay_alu instid0(VALU_DEP_1) | instskip(SKIP_1) | instid1(VALU_DEP_2)
	v_mul_hi_u32 v4, s40, v3
	v_mul_lo_u32 v6, v3, s36
	v_add_nc_u32_e32 v4, v3, v4
	s_delay_alu instid0(VALU_DEP_2) | instskip(NEXT) | instid1(VALU_DEP_2)
	v_sub_nc_u32_e32 v2, v2, v6
	v_lshrrev_b32_e32 v4, s41, v4
	s_delay_alu instid0(VALU_DEP_2) | instskip(SKIP_1) | instid1(VALU_DEP_3)
	v_mul_lo_u32 v6, v2, s44
	v_mul_lo_u32 v8, v2, s45
	v_mul_hi_u32 v5, s43, v4
	s_delay_alu instid0(VALU_DEP_1) | instskip(NEXT) | instid1(VALU_DEP_1)
	v_add_nc_u32_e32 v5, v4, v5
	v_lshrrev_b32_e32 v5, s52, v5
	s_delay_alu instid0(VALU_DEP_1) | instskip(SKIP_1) | instid1(VALU_DEP_2)
	v_mul_hi_u32 v7, s54, v5
	v_mul_lo_u32 v9, v5, s42
	v_add_nc_u32_e32 v2, v5, v7
	v_mul_lo_u32 v7, v4, s39
	s_delay_alu instid0(VALU_DEP_3) | instskip(NEXT) | instid1(VALU_DEP_3)
	v_sub_nc_u32_e32 v4, v4, v9
	v_lshrrev_b32_e32 v2, s55, v2
	s_delay_alu instid0(VALU_DEP_2) | instskip(SKIP_2) | instid1(VALU_DEP_4)
	v_mul_lo_u32 v9, v4, s48
	v_mul_lo_u32 v4, v4, s49
	v_sub_nc_u32_e32 v3, v3, v7
	v_mul_lo_u32 v10, v2, s53
	s_delay_alu instid0(VALU_DEP_2) | instskip(SKIP_1) | instid1(VALU_DEP_3)
	v_mul_lo_u32 v7, v3, s46
	v_mul_lo_u32 v3, v3, s47
	v_sub_nc_u32_e32 v5, v5, v10
	s_delay_alu instid0(VALU_DEP_3) | instskip(NEXT) | instid1(VALU_DEP_2)
	v_add3_u32 v0, v6, v0, v7
	v_mul_lo_u32 v10, v5, s50
	v_mul_lo_u32 v5, v5, s51
	v_add3_u32 v1, v8, v1, v3
	s_delay_alu instid0(VALU_DEP_3) | instskip(NEXT) | instid1(VALU_DEP_2)
	v_add3_u32 v0, v9, v0, v10
	v_add3_u32 v1, v4, v1, v5
	s_cbranch_scc0 .LBB13_134
	s_branch .LBB13_152
.LBB13_135:
	s_mov_b32 s31, -1
                                        ; implicit-def: $vgpr0
                                        ; implicit-def: $vgpr1
	s_branch .LBB13_155
.LBB13_136:
	v_dual_mov_b32 v2, v12 :: v_dual_mov_b32 v1, 0
.LBB13_137:
	s_and_b32 s34, s34, 3
	s_delay_alu instid0(SALU_CYCLE_1)
	s_cmp_eq_u32 s34, 0
	s_cbranch_scc1 .LBB13_140
; %bb.138:
	s_lshl_b32 s18, s33, 3
	s_mul_i32 s20, s33, 12
	s_add_u32 s18, s18, s0
	s_addc_u32 s19, s1, 0
	s_add_u32 s18, s18, 0xc4
	s_addc_u32 s19, s19, 0
	;; [unrolled: 2-line block ×3, first 2 shown]
	.p2align	6
.LBB13_139:                             ; =>This Inner Loop Header: Depth=1
	s_clause 0x1
	s_load_b64 s[36:37], s[20:21], 0x4
	s_load_b32 s33, s[20:21], 0xc
	s_load_b64 s[38:39], s[18:19], 0x0
	s_add_u32 s20, s20, 12
	s_addc_u32 s21, s21, 0
	s_add_u32 s18, s18, 8
	s_addc_u32 s19, s19, 0
	s_add_i32 s34, s34, -1
	s_delay_alu instid0(SALU_CYCLE_1) | instskip(SKIP_2) | instid1(VALU_DEP_1)
	s_cmp_lg_u32 s34, 0
	s_waitcnt lgkmcnt(0)
	v_mul_hi_u32 v3, s37, v2
	v_add_nc_u32_e32 v3, v2, v3
	s_delay_alu instid0(VALU_DEP_1) | instskip(NEXT) | instid1(VALU_DEP_1)
	v_lshrrev_b32_e32 v6, s33, v3
	v_mul_lo_u32 v3, v6, s36
	s_delay_alu instid0(VALU_DEP_1) | instskip(NEXT) | instid1(VALU_DEP_1)
	v_sub_nc_u32_e32 v2, v2, v3
	v_mad_u64_u32 v[3:4], null, v2, s38, v[0:1]
	v_mad_u64_u32 v[4:5], null, v2, s39, v[1:2]
	v_mov_b32_e32 v2, v6
	s_delay_alu instid0(VALU_DEP_2)
	v_dual_mov_b32 v0, v3 :: v_dual_mov_b32 v1, v4
	s_cbranch_scc1 .LBB13_139
.LBB13_140:
	s_and_not1_b32 vcc_lo, exec_lo, s31
	s_cbranch_vccnz .LBB13_143
; %bb.141:
	s_waitcnt lgkmcnt(0)
	v_mul_hi_u32 v0, s13, v12
	s_and_not1_b32 vcc_lo, exec_lo, s26
	s_delay_alu instid0(VALU_DEP_1) | instskip(NEXT) | instid1(VALU_DEP_1)
	v_add_nc_u32_e32 v0, v12, v0
	v_lshrrev_b32_e32 v2, s14, v0
	s_delay_alu instid0(VALU_DEP_1) | instskip(NEXT) | instid1(VALU_DEP_1)
	v_mul_lo_u32 v0, v2, s12
	v_sub_nc_u32_e32 v1, v12, v0
	s_delay_alu instid0(VALU_DEP_1)
	v_mul_lo_u32 v0, v1, s8
	v_mul_lo_u32 v1, v1, s9
	s_cbranch_vccnz .LBB13_143
; %bb.142:
	v_mul_hi_u32 v3, s2, v2
	s_delay_alu instid0(VALU_DEP_1) | instskip(NEXT) | instid1(VALU_DEP_1)
	v_add_nc_u32_e32 v3, v2, v3
	v_lshrrev_b32_e32 v3, s3, v3
	s_delay_alu instid0(VALU_DEP_1) | instskip(NEXT) | instid1(VALU_DEP_1)
	v_mul_lo_u32 v3, v3, s15
	v_sub_nc_u32_e32 v5, v2, v3
	s_delay_alu instid0(VALU_DEP_1) | instskip(NEXT) | instid1(VALU_DEP_1)
	v_mad_u64_u32 v[2:3], null, v5, s10, v[0:1]
	v_mad_u64_u32 v[3:4], null, v5, s11, v[1:2]
	s_delay_alu instid0(VALU_DEP_1)
	v_dual_mov_b32 v0, v2 :: v_dual_mov_b32 v1, v3
.LBB13_143:
	s_waitcnt lgkmcnt(0)
	global_load_u8 v1, v1, s[6:7]
	v_add_nc_u32_e32 v12, 0x80, v12
	s_waitcnt vmcnt(0)
	v_xor_b32_e32 v1, -1, v1
	global_store_b8 v0, v1, s[4:5]
	s_or_b32 exec_lo, exec_lo, s30
	s_delay_alu instid0(SALU_CYCLE_1)
	s_mov_b32 s30, exec_lo
	v_cmpx_gt_i32_e64 s27, v12
	s_cbranch_execnz .LBB13_130
.LBB13_144:
	s_or_b32 exec_lo, exec_lo, s30
	s_delay_alu instid0(SALU_CYCLE_1)
	s_mov_b32 s30, exec_lo
	v_cmpx_gt_i32_e64 s27, v12
	s_cbranch_execz .LBB13_159
.LBB13_145:
	s_and_not1_b32 vcc_lo, exec_lo, s24
	s_cbranch_vccnz .LBB13_150
; %bb.146:
	v_dual_mov_b32 v0, 0 :: v_dual_mov_b32 v1, 0
	s_and_not1_b32 vcc_lo, exec_lo, s29
	s_mov_b32 s31, 0
	s_cbranch_vccnz .LBB13_170
; %bb.147:
	v_mov_b32_e32 v0, 0
	s_add_i32 s34, s28, 1
	s_cmp_eq_u32 s23, 2
	s_mov_b32 s33, 0
	s_cbranch_scc1 .LBB13_166
; %bb.148:
	v_dual_mov_b32 v1, 0 :: v_dual_mov_b32 v0, 0
	v_mov_b32_e32 v2, v12
	s_and_b32 s33, s34, 28
	s_mov_b32 s35, 0
	s_mov_b64 s[18:19], s[16:17]
	s_mov_b64 s[20:21], s[0:1]
.LBB13_149:                             ; =>This Inner Loop Header: Depth=1
	s_clause 0x1
	s_load_b256 s[36:43], s[20:21], 0x4
	s_load_b128 s[52:55], s[20:21], 0x24
	s_load_b256 s[44:51], s[18:19], 0x0
	s_add_u32 s20, s20, 48
	s_addc_u32 s21, s21, 0
	s_add_i32 s35, s35, 4
	s_add_u32 s18, s18, 32
	s_addc_u32 s19, s19, 0
	s_cmp_eq_u32 s33, s35
	s_waitcnt lgkmcnt(0)
	v_mul_hi_u32 v3, s37, v2
	s_delay_alu instid0(VALU_DEP_1) | instskip(NEXT) | instid1(VALU_DEP_1)
	v_add_nc_u32_e32 v3, v2, v3
	v_lshrrev_b32_e32 v3, s38, v3
	s_delay_alu instid0(VALU_DEP_1) | instskip(SKIP_1) | instid1(VALU_DEP_2)
	v_mul_hi_u32 v4, s40, v3
	v_mul_lo_u32 v6, v3, s36
	v_add_nc_u32_e32 v4, v3, v4
	s_delay_alu instid0(VALU_DEP_2) | instskip(NEXT) | instid1(VALU_DEP_2)
	v_sub_nc_u32_e32 v2, v2, v6
	v_lshrrev_b32_e32 v4, s41, v4
	s_delay_alu instid0(VALU_DEP_2) | instskip(SKIP_1) | instid1(VALU_DEP_3)
	v_mul_lo_u32 v6, v2, s44
	v_mul_lo_u32 v8, v2, s45
	v_mul_hi_u32 v5, s43, v4
	s_delay_alu instid0(VALU_DEP_1) | instskip(NEXT) | instid1(VALU_DEP_1)
	v_add_nc_u32_e32 v5, v4, v5
	v_lshrrev_b32_e32 v5, s52, v5
	s_delay_alu instid0(VALU_DEP_1) | instskip(SKIP_1) | instid1(VALU_DEP_2)
	v_mul_hi_u32 v7, s54, v5
	v_mul_lo_u32 v9, v5, s42
	v_add_nc_u32_e32 v2, v5, v7
	v_mul_lo_u32 v7, v4, s39
	s_delay_alu instid0(VALU_DEP_3) | instskip(NEXT) | instid1(VALU_DEP_3)
	v_sub_nc_u32_e32 v4, v4, v9
	v_lshrrev_b32_e32 v2, s55, v2
	s_delay_alu instid0(VALU_DEP_2) | instskip(SKIP_2) | instid1(VALU_DEP_4)
	v_mul_lo_u32 v9, v4, s48
	v_mul_lo_u32 v4, v4, s49
	v_sub_nc_u32_e32 v3, v3, v7
	v_mul_lo_u32 v10, v2, s53
	s_delay_alu instid0(VALU_DEP_2) | instskip(SKIP_1) | instid1(VALU_DEP_3)
	v_mul_lo_u32 v7, v3, s46
	v_mul_lo_u32 v3, v3, s47
	v_sub_nc_u32_e32 v5, v5, v10
	s_delay_alu instid0(VALU_DEP_3) | instskip(NEXT) | instid1(VALU_DEP_2)
	v_add3_u32 v0, v6, v0, v7
	v_mul_lo_u32 v10, v5, s50
	v_mul_lo_u32 v5, v5, s51
	v_add3_u32 v1, v8, v1, v3
	s_delay_alu instid0(VALU_DEP_3) | instskip(NEXT) | instid1(VALU_DEP_2)
	v_add3_u32 v0, v9, v0, v10
	v_add3_u32 v1, v4, v1, v5
	s_cbranch_scc0 .LBB13_149
	s_branch .LBB13_167
.LBB13_150:
	s_mov_b32 s31, -1
                                        ; implicit-def: $vgpr0
                                        ; implicit-def: $vgpr1
	s_branch .LBB13_170
.LBB13_151:
	v_dual_mov_b32 v2, v12 :: v_dual_mov_b32 v1, 0
.LBB13_152:
	s_and_b32 s34, s34, 3
	s_delay_alu instid0(SALU_CYCLE_1)
	s_cmp_eq_u32 s34, 0
	s_cbranch_scc1 .LBB13_155
; %bb.153:
	s_lshl_b32 s18, s33, 3
	s_mul_i32 s20, s33, 12
	s_add_u32 s18, s18, s0
	s_addc_u32 s19, s1, 0
	s_add_u32 s18, s18, 0xc4
	s_addc_u32 s19, s19, 0
	;; [unrolled: 2-line block ×3, first 2 shown]
	.p2align	6
.LBB13_154:                             ; =>This Inner Loop Header: Depth=1
	s_clause 0x1
	s_load_b64 s[36:37], s[20:21], 0x4
	s_load_b32 s33, s[20:21], 0xc
	s_load_b64 s[38:39], s[18:19], 0x0
	s_add_u32 s20, s20, 12
	s_addc_u32 s21, s21, 0
	s_add_u32 s18, s18, 8
	s_addc_u32 s19, s19, 0
	s_add_i32 s34, s34, -1
	s_delay_alu instid0(SALU_CYCLE_1) | instskip(SKIP_2) | instid1(VALU_DEP_1)
	s_cmp_lg_u32 s34, 0
	s_waitcnt lgkmcnt(0)
	v_mul_hi_u32 v3, s37, v2
	v_add_nc_u32_e32 v3, v2, v3
	s_delay_alu instid0(VALU_DEP_1) | instskip(NEXT) | instid1(VALU_DEP_1)
	v_lshrrev_b32_e32 v6, s33, v3
	v_mul_lo_u32 v3, v6, s36
	s_delay_alu instid0(VALU_DEP_1) | instskip(NEXT) | instid1(VALU_DEP_1)
	v_sub_nc_u32_e32 v2, v2, v3
	v_mad_u64_u32 v[3:4], null, v2, s38, v[0:1]
	v_mad_u64_u32 v[4:5], null, v2, s39, v[1:2]
	v_mov_b32_e32 v2, v6
	s_delay_alu instid0(VALU_DEP_2)
	v_dual_mov_b32 v0, v3 :: v_dual_mov_b32 v1, v4
	s_cbranch_scc1 .LBB13_154
.LBB13_155:
	s_and_not1_b32 vcc_lo, exec_lo, s31
	s_cbranch_vccnz .LBB13_158
; %bb.156:
	s_waitcnt lgkmcnt(0)
	v_mul_hi_u32 v0, s13, v12
	s_and_not1_b32 vcc_lo, exec_lo, s26
	s_delay_alu instid0(VALU_DEP_1) | instskip(NEXT) | instid1(VALU_DEP_1)
	v_add_nc_u32_e32 v0, v12, v0
	v_lshrrev_b32_e32 v2, s14, v0
	s_delay_alu instid0(VALU_DEP_1) | instskip(NEXT) | instid1(VALU_DEP_1)
	v_mul_lo_u32 v0, v2, s12
	v_sub_nc_u32_e32 v1, v12, v0
	s_delay_alu instid0(VALU_DEP_1)
	v_mul_lo_u32 v0, v1, s8
	v_mul_lo_u32 v1, v1, s9
	s_cbranch_vccnz .LBB13_158
; %bb.157:
	v_mul_hi_u32 v3, s2, v2
	s_delay_alu instid0(VALU_DEP_1) | instskip(NEXT) | instid1(VALU_DEP_1)
	v_add_nc_u32_e32 v3, v2, v3
	v_lshrrev_b32_e32 v3, s3, v3
	s_delay_alu instid0(VALU_DEP_1) | instskip(NEXT) | instid1(VALU_DEP_1)
	v_mul_lo_u32 v3, v3, s15
	v_sub_nc_u32_e32 v5, v2, v3
	s_delay_alu instid0(VALU_DEP_1) | instskip(NEXT) | instid1(VALU_DEP_1)
	v_mad_u64_u32 v[2:3], null, v5, s10, v[0:1]
	v_mad_u64_u32 v[3:4], null, v5, s11, v[1:2]
	s_delay_alu instid0(VALU_DEP_1)
	v_dual_mov_b32 v0, v2 :: v_dual_mov_b32 v1, v3
.LBB13_158:
	s_waitcnt lgkmcnt(0)
	global_load_u8 v1, v1, s[6:7]
	v_add_nc_u32_e32 v12, 0x80, v12
	s_waitcnt vmcnt(0)
	v_xor_b32_e32 v1, -1, v1
	global_store_b8 v0, v1, s[4:5]
	s_or_b32 exec_lo, exec_lo, s30
	s_delay_alu instid0(SALU_CYCLE_1)
	s_mov_b32 s30, exec_lo
	v_cmpx_gt_i32_e64 s27, v12
	s_cbranch_execnz .LBB13_145
.LBB13_159:
	s_or_b32 exec_lo, exec_lo, s30
	s_delay_alu instid0(SALU_CYCLE_1)
	s_mov_b32 s30, exec_lo
	v_cmpx_gt_i32_e64 s27, v12
	s_cbranch_execz .LBB13_174
.LBB13_160:
	s_and_not1_b32 vcc_lo, exec_lo, s24
	s_cbranch_vccnz .LBB13_165
; %bb.161:
	v_dual_mov_b32 v0, 0 :: v_dual_mov_b32 v1, 0
	s_and_not1_b32 vcc_lo, exec_lo, s29
	s_mov_b32 s31, 0
	s_cbranch_vccnz .LBB13_185
; %bb.162:
	v_mov_b32_e32 v0, 0
	s_add_i32 s34, s28, 1
	s_cmp_eq_u32 s23, 2
	s_mov_b32 s33, 0
	s_cbranch_scc1 .LBB13_181
; %bb.163:
	v_dual_mov_b32 v1, 0 :: v_dual_mov_b32 v0, 0
	v_mov_b32_e32 v2, v12
	s_and_b32 s33, s34, 28
	s_mov_b32 s35, 0
	s_mov_b64 s[18:19], s[16:17]
	s_mov_b64 s[20:21], s[0:1]
.LBB13_164:                             ; =>This Inner Loop Header: Depth=1
	s_clause 0x1
	s_load_b256 s[36:43], s[20:21], 0x4
	s_load_b128 s[52:55], s[20:21], 0x24
	s_load_b256 s[44:51], s[18:19], 0x0
	s_add_u32 s20, s20, 48
	s_addc_u32 s21, s21, 0
	s_add_i32 s35, s35, 4
	s_add_u32 s18, s18, 32
	s_addc_u32 s19, s19, 0
	s_cmp_eq_u32 s33, s35
	s_waitcnt lgkmcnt(0)
	v_mul_hi_u32 v3, s37, v2
	s_delay_alu instid0(VALU_DEP_1) | instskip(NEXT) | instid1(VALU_DEP_1)
	v_add_nc_u32_e32 v3, v2, v3
	v_lshrrev_b32_e32 v3, s38, v3
	s_delay_alu instid0(VALU_DEP_1) | instskip(SKIP_1) | instid1(VALU_DEP_2)
	v_mul_hi_u32 v4, s40, v3
	v_mul_lo_u32 v6, v3, s36
	v_add_nc_u32_e32 v4, v3, v4
	s_delay_alu instid0(VALU_DEP_2) | instskip(NEXT) | instid1(VALU_DEP_2)
	v_sub_nc_u32_e32 v2, v2, v6
	v_lshrrev_b32_e32 v4, s41, v4
	s_delay_alu instid0(VALU_DEP_2) | instskip(SKIP_1) | instid1(VALU_DEP_3)
	v_mul_lo_u32 v6, v2, s44
	v_mul_lo_u32 v8, v2, s45
	v_mul_hi_u32 v5, s43, v4
	s_delay_alu instid0(VALU_DEP_1) | instskip(NEXT) | instid1(VALU_DEP_1)
	v_add_nc_u32_e32 v5, v4, v5
	v_lshrrev_b32_e32 v5, s52, v5
	s_delay_alu instid0(VALU_DEP_1) | instskip(SKIP_1) | instid1(VALU_DEP_2)
	v_mul_hi_u32 v7, s54, v5
	v_mul_lo_u32 v9, v5, s42
	v_add_nc_u32_e32 v2, v5, v7
	v_mul_lo_u32 v7, v4, s39
	s_delay_alu instid0(VALU_DEP_3) | instskip(NEXT) | instid1(VALU_DEP_3)
	v_sub_nc_u32_e32 v4, v4, v9
	v_lshrrev_b32_e32 v2, s55, v2
	s_delay_alu instid0(VALU_DEP_2) | instskip(SKIP_2) | instid1(VALU_DEP_4)
	v_mul_lo_u32 v9, v4, s48
	v_mul_lo_u32 v4, v4, s49
	v_sub_nc_u32_e32 v3, v3, v7
	v_mul_lo_u32 v10, v2, s53
	s_delay_alu instid0(VALU_DEP_2) | instskip(SKIP_1) | instid1(VALU_DEP_3)
	v_mul_lo_u32 v7, v3, s46
	v_mul_lo_u32 v3, v3, s47
	v_sub_nc_u32_e32 v5, v5, v10
	s_delay_alu instid0(VALU_DEP_3) | instskip(NEXT) | instid1(VALU_DEP_2)
	v_add3_u32 v0, v6, v0, v7
	v_mul_lo_u32 v10, v5, s50
	v_mul_lo_u32 v5, v5, s51
	v_add3_u32 v1, v8, v1, v3
	s_delay_alu instid0(VALU_DEP_3) | instskip(NEXT) | instid1(VALU_DEP_2)
	v_add3_u32 v0, v9, v0, v10
	v_add3_u32 v1, v4, v1, v5
	s_cbranch_scc0 .LBB13_164
	s_branch .LBB13_182
.LBB13_165:
	s_mov_b32 s31, -1
                                        ; implicit-def: $vgpr0
                                        ; implicit-def: $vgpr1
	s_branch .LBB13_185
.LBB13_166:
	v_dual_mov_b32 v2, v12 :: v_dual_mov_b32 v1, 0
.LBB13_167:
	s_and_b32 s34, s34, 3
	s_delay_alu instid0(SALU_CYCLE_1)
	s_cmp_eq_u32 s34, 0
	s_cbranch_scc1 .LBB13_170
; %bb.168:
	s_lshl_b32 s18, s33, 3
	s_mul_i32 s20, s33, 12
	s_add_u32 s18, s18, s0
	s_addc_u32 s19, s1, 0
	s_add_u32 s18, s18, 0xc4
	s_addc_u32 s19, s19, 0
	;; [unrolled: 2-line block ×3, first 2 shown]
	.p2align	6
.LBB13_169:                             ; =>This Inner Loop Header: Depth=1
	s_clause 0x1
	s_load_b64 s[36:37], s[20:21], 0x4
	s_load_b32 s33, s[20:21], 0xc
	s_load_b64 s[38:39], s[18:19], 0x0
	s_add_u32 s20, s20, 12
	s_addc_u32 s21, s21, 0
	s_add_u32 s18, s18, 8
	s_addc_u32 s19, s19, 0
	s_add_i32 s34, s34, -1
	s_delay_alu instid0(SALU_CYCLE_1) | instskip(SKIP_2) | instid1(VALU_DEP_1)
	s_cmp_lg_u32 s34, 0
	s_waitcnt lgkmcnt(0)
	v_mul_hi_u32 v3, s37, v2
	v_add_nc_u32_e32 v3, v2, v3
	s_delay_alu instid0(VALU_DEP_1) | instskip(NEXT) | instid1(VALU_DEP_1)
	v_lshrrev_b32_e32 v6, s33, v3
	v_mul_lo_u32 v3, v6, s36
	s_delay_alu instid0(VALU_DEP_1) | instskip(NEXT) | instid1(VALU_DEP_1)
	v_sub_nc_u32_e32 v2, v2, v3
	v_mad_u64_u32 v[3:4], null, v2, s38, v[0:1]
	v_mad_u64_u32 v[4:5], null, v2, s39, v[1:2]
	v_mov_b32_e32 v2, v6
	s_delay_alu instid0(VALU_DEP_2)
	v_dual_mov_b32 v0, v3 :: v_dual_mov_b32 v1, v4
	s_cbranch_scc1 .LBB13_169
.LBB13_170:
	s_and_not1_b32 vcc_lo, exec_lo, s31
	s_cbranch_vccnz .LBB13_173
; %bb.171:
	s_waitcnt lgkmcnt(0)
	v_mul_hi_u32 v0, s13, v12
	s_and_not1_b32 vcc_lo, exec_lo, s26
	s_delay_alu instid0(VALU_DEP_1) | instskip(NEXT) | instid1(VALU_DEP_1)
	v_add_nc_u32_e32 v0, v12, v0
	v_lshrrev_b32_e32 v2, s14, v0
	s_delay_alu instid0(VALU_DEP_1) | instskip(NEXT) | instid1(VALU_DEP_1)
	v_mul_lo_u32 v0, v2, s12
	v_sub_nc_u32_e32 v1, v12, v0
	s_delay_alu instid0(VALU_DEP_1)
	v_mul_lo_u32 v0, v1, s8
	v_mul_lo_u32 v1, v1, s9
	s_cbranch_vccnz .LBB13_173
; %bb.172:
	v_mul_hi_u32 v3, s2, v2
	s_delay_alu instid0(VALU_DEP_1) | instskip(NEXT) | instid1(VALU_DEP_1)
	v_add_nc_u32_e32 v3, v2, v3
	v_lshrrev_b32_e32 v3, s3, v3
	s_delay_alu instid0(VALU_DEP_1) | instskip(NEXT) | instid1(VALU_DEP_1)
	v_mul_lo_u32 v3, v3, s15
	v_sub_nc_u32_e32 v5, v2, v3
	s_delay_alu instid0(VALU_DEP_1) | instskip(NEXT) | instid1(VALU_DEP_1)
	v_mad_u64_u32 v[2:3], null, v5, s10, v[0:1]
	v_mad_u64_u32 v[3:4], null, v5, s11, v[1:2]
	s_delay_alu instid0(VALU_DEP_1)
	v_dual_mov_b32 v0, v2 :: v_dual_mov_b32 v1, v3
.LBB13_173:
	s_waitcnt lgkmcnt(0)
	global_load_u8 v1, v1, s[6:7]
	v_add_nc_u32_e32 v12, 0x80, v12
	s_waitcnt vmcnt(0)
	v_xor_b32_e32 v1, -1, v1
	global_store_b8 v0, v1, s[4:5]
	s_or_b32 exec_lo, exec_lo, s30
	s_delay_alu instid0(SALU_CYCLE_1)
	s_mov_b32 s30, exec_lo
	v_cmpx_gt_i32_e64 s27, v12
	s_cbranch_execnz .LBB13_160
.LBB13_174:
	s_or_b32 exec_lo, exec_lo, s30
	s_delay_alu instid0(SALU_CYCLE_1)
	s_mov_b32 s30, exec_lo
	v_cmpx_gt_i32_e64 s27, v12
	s_cbranch_execz .LBB13_189
.LBB13_175:
	s_and_not1_b32 vcc_lo, exec_lo, s24
	s_cbranch_vccnz .LBB13_180
; %bb.176:
	v_dual_mov_b32 v0, 0 :: v_dual_mov_b32 v1, 0
	s_and_not1_b32 vcc_lo, exec_lo, s29
	s_mov_b32 s31, 0
	s_cbranch_vccnz .LBB13_200
; %bb.177:
	v_mov_b32_e32 v0, 0
	s_add_i32 s34, s28, 1
	s_cmp_eq_u32 s23, 2
	s_mov_b32 s33, 0
	s_cbranch_scc1 .LBB13_196
; %bb.178:
	v_dual_mov_b32 v1, 0 :: v_dual_mov_b32 v0, 0
	v_mov_b32_e32 v2, v12
	s_and_b32 s33, s34, 28
	s_mov_b32 s35, 0
	s_mov_b64 s[18:19], s[16:17]
	s_mov_b64 s[20:21], s[0:1]
.LBB13_179:                             ; =>This Inner Loop Header: Depth=1
	s_clause 0x1
	s_load_b256 s[36:43], s[20:21], 0x4
	s_load_b128 s[52:55], s[20:21], 0x24
	s_load_b256 s[44:51], s[18:19], 0x0
	s_add_u32 s20, s20, 48
	s_addc_u32 s21, s21, 0
	s_add_i32 s35, s35, 4
	s_add_u32 s18, s18, 32
	s_addc_u32 s19, s19, 0
	s_cmp_eq_u32 s33, s35
	s_waitcnt lgkmcnt(0)
	v_mul_hi_u32 v3, s37, v2
	s_delay_alu instid0(VALU_DEP_1) | instskip(NEXT) | instid1(VALU_DEP_1)
	v_add_nc_u32_e32 v3, v2, v3
	v_lshrrev_b32_e32 v3, s38, v3
	s_delay_alu instid0(VALU_DEP_1) | instskip(SKIP_1) | instid1(VALU_DEP_2)
	v_mul_hi_u32 v4, s40, v3
	v_mul_lo_u32 v6, v3, s36
	v_add_nc_u32_e32 v4, v3, v4
	s_delay_alu instid0(VALU_DEP_2) | instskip(NEXT) | instid1(VALU_DEP_2)
	v_sub_nc_u32_e32 v2, v2, v6
	v_lshrrev_b32_e32 v4, s41, v4
	s_delay_alu instid0(VALU_DEP_2) | instskip(SKIP_1) | instid1(VALU_DEP_3)
	v_mul_lo_u32 v6, v2, s44
	v_mul_lo_u32 v8, v2, s45
	v_mul_hi_u32 v5, s43, v4
	s_delay_alu instid0(VALU_DEP_1) | instskip(NEXT) | instid1(VALU_DEP_1)
	v_add_nc_u32_e32 v5, v4, v5
	v_lshrrev_b32_e32 v5, s52, v5
	s_delay_alu instid0(VALU_DEP_1) | instskip(SKIP_1) | instid1(VALU_DEP_2)
	v_mul_hi_u32 v7, s54, v5
	v_mul_lo_u32 v9, v5, s42
	v_add_nc_u32_e32 v2, v5, v7
	v_mul_lo_u32 v7, v4, s39
	s_delay_alu instid0(VALU_DEP_3) | instskip(NEXT) | instid1(VALU_DEP_3)
	v_sub_nc_u32_e32 v4, v4, v9
	v_lshrrev_b32_e32 v2, s55, v2
	s_delay_alu instid0(VALU_DEP_2) | instskip(SKIP_2) | instid1(VALU_DEP_4)
	v_mul_lo_u32 v9, v4, s48
	v_mul_lo_u32 v4, v4, s49
	v_sub_nc_u32_e32 v3, v3, v7
	v_mul_lo_u32 v10, v2, s53
	s_delay_alu instid0(VALU_DEP_2) | instskip(SKIP_1) | instid1(VALU_DEP_3)
	v_mul_lo_u32 v7, v3, s46
	v_mul_lo_u32 v3, v3, s47
	v_sub_nc_u32_e32 v5, v5, v10
	s_delay_alu instid0(VALU_DEP_3) | instskip(NEXT) | instid1(VALU_DEP_2)
	v_add3_u32 v0, v6, v0, v7
	v_mul_lo_u32 v10, v5, s50
	v_mul_lo_u32 v5, v5, s51
	v_add3_u32 v1, v8, v1, v3
	s_delay_alu instid0(VALU_DEP_3) | instskip(NEXT) | instid1(VALU_DEP_2)
	v_add3_u32 v0, v9, v0, v10
	v_add3_u32 v1, v4, v1, v5
	s_cbranch_scc0 .LBB13_179
	s_branch .LBB13_197
.LBB13_180:
	s_mov_b32 s31, -1
                                        ; implicit-def: $vgpr0
                                        ; implicit-def: $vgpr1
	s_branch .LBB13_200
.LBB13_181:
	v_dual_mov_b32 v2, v12 :: v_dual_mov_b32 v1, 0
.LBB13_182:
	s_and_b32 s34, s34, 3
	s_delay_alu instid0(SALU_CYCLE_1)
	s_cmp_eq_u32 s34, 0
	s_cbranch_scc1 .LBB13_185
; %bb.183:
	s_lshl_b32 s18, s33, 3
	s_mul_i32 s20, s33, 12
	s_add_u32 s18, s18, s0
	s_addc_u32 s19, s1, 0
	s_add_u32 s18, s18, 0xc4
	s_addc_u32 s19, s19, 0
	s_add_u32 s20, s0, s20
	s_addc_u32 s21, s1, 0
	.p2align	6
.LBB13_184:                             ; =>This Inner Loop Header: Depth=1
	s_clause 0x1
	s_load_b64 s[36:37], s[20:21], 0x4
	s_load_b32 s33, s[20:21], 0xc
	s_load_b64 s[38:39], s[18:19], 0x0
	s_add_u32 s20, s20, 12
	s_addc_u32 s21, s21, 0
	s_add_u32 s18, s18, 8
	s_addc_u32 s19, s19, 0
	s_add_i32 s34, s34, -1
	s_delay_alu instid0(SALU_CYCLE_1) | instskip(SKIP_2) | instid1(VALU_DEP_1)
	s_cmp_lg_u32 s34, 0
	s_waitcnt lgkmcnt(0)
	v_mul_hi_u32 v3, s37, v2
	v_add_nc_u32_e32 v3, v2, v3
	s_delay_alu instid0(VALU_DEP_1) | instskip(NEXT) | instid1(VALU_DEP_1)
	v_lshrrev_b32_e32 v6, s33, v3
	v_mul_lo_u32 v3, v6, s36
	s_delay_alu instid0(VALU_DEP_1) | instskip(NEXT) | instid1(VALU_DEP_1)
	v_sub_nc_u32_e32 v2, v2, v3
	v_mad_u64_u32 v[3:4], null, v2, s38, v[0:1]
	v_mad_u64_u32 v[4:5], null, v2, s39, v[1:2]
	v_mov_b32_e32 v2, v6
	s_delay_alu instid0(VALU_DEP_2)
	v_dual_mov_b32 v0, v3 :: v_dual_mov_b32 v1, v4
	s_cbranch_scc1 .LBB13_184
.LBB13_185:
	s_and_not1_b32 vcc_lo, exec_lo, s31
	s_cbranch_vccnz .LBB13_188
; %bb.186:
	s_waitcnt lgkmcnt(0)
	v_mul_hi_u32 v0, s13, v12
	s_and_not1_b32 vcc_lo, exec_lo, s26
	s_delay_alu instid0(VALU_DEP_1) | instskip(NEXT) | instid1(VALU_DEP_1)
	v_add_nc_u32_e32 v0, v12, v0
	v_lshrrev_b32_e32 v2, s14, v0
	s_delay_alu instid0(VALU_DEP_1) | instskip(NEXT) | instid1(VALU_DEP_1)
	v_mul_lo_u32 v0, v2, s12
	v_sub_nc_u32_e32 v1, v12, v0
	s_delay_alu instid0(VALU_DEP_1)
	v_mul_lo_u32 v0, v1, s8
	v_mul_lo_u32 v1, v1, s9
	s_cbranch_vccnz .LBB13_188
; %bb.187:
	v_mul_hi_u32 v3, s2, v2
	s_delay_alu instid0(VALU_DEP_1) | instskip(NEXT) | instid1(VALU_DEP_1)
	v_add_nc_u32_e32 v3, v2, v3
	v_lshrrev_b32_e32 v3, s3, v3
	s_delay_alu instid0(VALU_DEP_1) | instskip(NEXT) | instid1(VALU_DEP_1)
	v_mul_lo_u32 v3, v3, s15
	v_sub_nc_u32_e32 v5, v2, v3
	s_delay_alu instid0(VALU_DEP_1) | instskip(NEXT) | instid1(VALU_DEP_1)
	v_mad_u64_u32 v[2:3], null, v5, s10, v[0:1]
	v_mad_u64_u32 v[3:4], null, v5, s11, v[1:2]
	s_delay_alu instid0(VALU_DEP_1)
	v_dual_mov_b32 v0, v2 :: v_dual_mov_b32 v1, v3
.LBB13_188:
	s_waitcnt lgkmcnt(0)
	global_load_u8 v1, v1, s[6:7]
	v_add_nc_u32_e32 v12, 0x80, v12
	s_waitcnt vmcnt(0)
	v_xor_b32_e32 v1, -1, v1
	global_store_b8 v0, v1, s[4:5]
	s_or_b32 exec_lo, exec_lo, s30
	s_delay_alu instid0(SALU_CYCLE_1)
	s_mov_b32 s30, exec_lo
	v_cmpx_gt_i32_e64 s27, v12
	s_cbranch_execnz .LBB13_175
.LBB13_189:
	s_or_b32 exec_lo, exec_lo, s30
	s_delay_alu instid0(SALU_CYCLE_1)
	s_mov_b32 s30, exec_lo
	v_cmpx_gt_i32_e64 s27, v12
	s_cbranch_execz .LBB13_204
.LBB13_190:
	s_and_not1_b32 vcc_lo, exec_lo, s24
	s_cbranch_vccnz .LBB13_195
; %bb.191:
	v_dual_mov_b32 v0, 0 :: v_dual_mov_b32 v1, 0
	s_and_not1_b32 vcc_lo, exec_lo, s29
	s_mov_b32 s31, 0
	s_cbranch_vccnz .LBB13_211
; %bb.192:
	v_mov_b32_e32 v0, 0
	s_add_i32 s34, s28, 1
	s_cmp_eq_u32 s23, 2
	s_mov_b32 s33, 0
	s_cbranch_scc1 .LBB13_207
; %bb.193:
	v_dual_mov_b32 v1, 0 :: v_dual_mov_b32 v0, 0
	v_mov_b32_e32 v2, v12
	s_and_b32 s33, s34, 28
	s_mov_b32 s35, 0
	s_mov_b64 s[18:19], s[16:17]
	s_mov_b64 s[20:21], s[0:1]
.LBB13_194:                             ; =>This Inner Loop Header: Depth=1
	s_clause 0x1
	s_load_b256 s[36:43], s[20:21], 0x4
	s_load_b128 s[52:55], s[20:21], 0x24
	s_load_b256 s[44:51], s[18:19], 0x0
	s_add_u32 s20, s20, 48
	s_addc_u32 s21, s21, 0
	s_add_i32 s35, s35, 4
	s_add_u32 s18, s18, 32
	s_addc_u32 s19, s19, 0
	s_cmp_eq_u32 s33, s35
	s_waitcnt lgkmcnt(0)
	v_mul_hi_u32 v3, s37, v2
	s_delay_alu instid0(VALU_DEP_1) | instskip(NEXT) | instid1(VALU_DEP_1)
	v_add_nc_u32_e32 v3, v2, v3
	v_lshrrev_b32_e32 v3, s38, v3
	s_delay_alu instid0(VALU_DEP_1) | instskip(SKIP_1) | instid1(VALU_DEP_2)
	v_mul_hi_u32 v4, s40, v3
	v_mul_lo_u32 v6, v3, s36
	v_add_nc_u32_e32 v4, v3, v4
	s_delay_alu instid0(VALU_DEP_2) | instskip(NEXT) | instid1(VALU_DEP_2)
	v_sub_nc_u32_e32 v2, v2, v6
	v_lshrrev_b32_e32 v4, s41, v4
	s_delay_alu instid0(VALU_DEP_2) | instskip(SKIP_1) | instid1(VALU_DEP_3)
	v_mul_lo_u32 v6, v2, s44
	v_mul_lo_u32 v8, v2, s45
	v_mul_hi_u32 v5, s43, v4
	s_delay_alu instid0(VALU_DEP_1) | instskip(NEXT) | instid1(VALU_DEP_1)
	v_add_nc_u32_e32 v5, v4, v5
	v_lshrrev_b32_e32 v5, s52, v5
	s_delay_alu instid0(VALU_DEP_1) | instskip(SKIP_1) | instid1(VALU_DEP_2)
	v_mul_hi_u32 v7, s54, v5
	v_mul_lo_u32 v9, v5, s42
	v_add_nc_u32_e32 v2, v5, v7
	v_mul_lo_u32 v7, v4, s39
	s_delay_alu instid0(VALU_DEP_3) | instskip(NEXT) | instid1(VALU_DEP_3)
	v_sub_nc_u32_e32 v4, v4, v9
	v_lshrrev_b32_e32 v2, s55, v2
	s_delay_alu instid0(VALU_DEP_2) | instskip(SKIP_2) | instid1(VALU_DEP_4)
	v_mul_lo_u32 v9, v4, s48
	v_mul_lo_u32 v4, v4, s49
	v_sub_nc_u32_e32 v3, v3, v7
	v_mul_lo_u32 v10, v2, s53
	s_delay_alu instid0(VALU_DEP_2) | instskip(SKIP_1) | instid1(VALU_DEP_3)
	v_mul_lo_u32 v7, v3, s46
	v_mul_lo_u32 v3, v3, s47
	v_sub_nc_u32_e32 v5, v5, v10
	s_delay_alu instid0(VALU_DEP_3) | instskip(NEXT) | instid1(VALU_DEP_2)
	v_add3_u32 v0, v6, v0, v7
	v_mul_lo_u32 v10, v5, s50
	v_mul_lo_u32 v5, v5, s51
	v_add3_u32 v1, v8, v1, v3
	s_delay_alu instid0(VALU_DEP_3) | instskip(NEXT) | instid1(VALU_DEP_2)
	v_add3_u32 v0, v9, v0, v10
	v_add3_u32 v1, v4, v1, v5
	s_cbranch_scc0 .LBB13_194
	s_branch .LBB13_208
.LBB13_195:
	s_mov_b32 s31, -1
                                        ; implicit-def: $vgpr0
                                        ; implicit-def: $vgpr1
	s_branch .LBB13_211
.LBB13_196:
	v_dual_mov_b32 v2, v12 :: v_dual_mov_b32 v1, 0
.LBB13_197:
	s_and_b32 s34, s34, 3
	s_delay_alu instid0(SALU_CYCLE_1)
	s_cmp_eq_u32 s34, 0
	s_cbranch_scc1 .LBB13_200
; %bb.198:
	s_lshl_b32 s18, s33, 3
	s_mul_i32 s20, s33, 12
	s_add_u32 s18, s18, s0
	s_addc_u32 s19, s1, 0
	s_add_u32 s18, s18, 0xc4
	s_addc_u32 s19, s19, 0
	;; [unrolled: 2-line block ×3, first 2 shown]
	.p2align	6
.LBB13_199:                             ; =>This Inner Loop Header: Depth=1
	s_clause 0x1
	s_load_b64 s[36:37], s[20:21], 0x4
	s_load_b32 s33, s[20:21], 0xc
	s_load_b64 s[38:39], s[18:19], 0x0
	s_add_u32 s20, s20, 12
	s_addc_u32 s21, s21, 0
	s_add_u32 s18, s18, 8
	s_addc_u32 s19, s19, 0
	s_add_i32 s34, s34, -1
	s_delay_alu instid0(SALU_CYCLE_1) | instskip(SKIP_2) | instid1(VALU_DEP_1)
	s_cmp_lg_u32 s34, 0
	s_waitcnt lgkmcnt(0)
	v_mul_hi_u32 v3, s37, v2
	v_add_nc_u32_e32 v3, v2, v3
	s_delay_alu instid0(VALU_DEP_1) | instskip(NEXT) | instid1(VALU_DEP_1)
	v_lshrrev_b32_e32 v6, s33, v3
	v_mul_lo_u32 v3, v6, s36
	s_delay_alu instid0(VALU_DEP_1) | instskip(NEXT) | instid1(VALU_DEP_1)
	v_sub_nc_u32_e32 v2, v2, v3
	v_mad_u64_u32 v[3:4], null, v2, s38, v[0:1]
	v_mad_u64_u32 v[4:5], null, v2, s39, v[1:2]
	v_mov_b32_e32 v2, v6
	s_delay_alu instid0(VALU_DEP_2)
	v_dual_mov_b32 v0, v3 :: v_dual_mov_b32 v1, v4
	s_cbranch_scc1 .LBB13_199
.LBB13_200:
	s_and_not1_b32 vcc_lo, exec_lo, s31
	s_cbranch_vccnz .LBB13_203
; %bb.201:
	s_waitcnt lgkmcnt(0)
	v_mul_hi_u32 v0, s13, v12
	s_and_not1_b32 vcc_lo, exec_lo, s26
	s_delay_alu instid0(VALU_DEP_1) | instskip(NEXT) | instid1(VALU_DEP_1)
	v_add_nc_u32_e32 v0, v12, v0
	v_lshrrev_b32_e32 v2, s14, v0
	s_delay_alu instid0(VALU_DEP_1) | instskip(NEXT) | instid1(VALU_DEP_1)
	v_mul_lo_u32 v0, v2, s12
	v_sub_nc_u32_e32 v1, v12, v0
	s_delay_alu instid0(VALU_DEP_1)
	v_mul_lo_u32 v0, v1, s8
	v_mul_lo_u32 v1, v1, s9
	s_cbranch_vccnz .LBB13_203
; %bb.202:
	v_mul_hi_u32 v3, s2, v2
	s_delay_alu instid0(VALU_DEP_1) | instskip(NEXT) | instid1(VALU_DEP_1)
	v_add_nc_u32_e32 v3, v2, v3
	v_lshrrev_b32_e32 v3, s3, v3
	s_delay_alu instid0(VALU_DEP_1) | instskip(NEXT) | instid1(VALU_DEP_1)
	v_mul_lo_u32 v3, v3, s15
	v_sub_nc_u32_e32 v5, v2, v3
	s_delay_alu instid0(VALU_DEP_1) | instskip(NEXT) | instid1(VALU_DEP_1)
	v_mad_u64_u32 v[2:3], null, v5, s10, v[0:1]
	v_mad_u64_u32 v[3:4], null, v5, s11, v[1:2]
	s_delay_alu instid0(VALU_DEP_1)
	v_dual_mov_b32 v0, v2 :: v_dual_mov_b32 v1, v3
.LBB13_203:
	s_waitcnt lgkmcnt(0)
	global_load_u8 v1, v1, s[6:7]
	v_add_nc_u32_e32 v12, 0x80, v12
	s_waitcnt vmcnt(0)
	v_xor_b32_e32 v1, -1, v1
	global_store_b8 v0, v1, s[4:5]
	s_or_b32 exec_lo, exec_lo, s30
	s_delay_alu instid0(SALU_CYCLE_1)
	s_mov_b32 s30, exec_lo
	v_cmpx_gt_i32_e64 s27, v12
	s_cbranch_execnz .LBB13_190
.LBB13_204:
	s_or_b32 exec_lo, exec_lo, s30
	s_delay_alu instid0(SALU_CYCLE_1)
	s_mov_b32 s20, exec_lo
	v_cmpx_gt_i32_e64 s27, v12
	s_cbranch_execnz .LBB13_215
.LBB13_205:
	s_or_b32 exec_lo, exec_lo, s20
                                        ; implicit-def: $vgpr16
                                        ; implicit-def: $vgpr12
	s_waitcnt lgkmcnt(0)
	s_and_not1_saveexec_b32 s2, s25
	s_cbranch_execnz .LBB13_8
.LBB13_206:
	s_nop 0
	s_sendmsg sendmsg(MSG_DEALLOC_VGPRS)
	s_endpgm
.LBB13_207:
	v_dual_mov_b32 v2, v12 :: v_dual_mov_b32 v1, 0
.LBB13_208:
	s_and_b32 s34, s34, 3
	s_delay_alu instid0(SALU_CYCLE_1)
	s_cmp_eq_u32 s34, 0
	s_cbranch_scc1 .LBB13_211
; %bb.209:
	s_lshl_b32 s18, s33, 3
	s_mul_i32 s20, s33, 12
	s_add_u32 s18, s18, s0
	s_addc_u32 s19, s1, 0
	s_add_u32 s18, s18, 0xc4
	s_addc_u32 s19, s19, 0
	;; [unrolled: 2-line block ×3, first 2 shown]
	.p2align	6
.LBB13_210:                             ; =>This Inner Loop Header: Depth=1
	s_clause 0x1
	s_load_b64 s[36:37], s[20:21], 0x4
	s_load_b32 s33, s[20:21], 0xc
	s_load_b64 s[38:39], s[18:19], 0x0
	s_add_u32 s20, s20, 12
	s_addc_u32 s21, s21, 0
	s_add_u32 s18, s18, 8
	s_addc_u32 s19, s19, 0
	s_add_i32 s34, s34, -1
	s_delay_alu instid0(SALU_CYCLE_1) | instskip(SKIP_2) | instid1(VALU_DEP_1)
	s_cmp_lg_u32 s34, 0
	s_waitcnt lgkmcnt(0)
	v_mul_hi_u32 v3, s37, v2
	v_add_nc_u32_e32 v3, v2, v3
	s_delay_alu instid0(VALU_DEP_1) | instskip(NEXT) | instid1(VALU_DEP_1)
	v_lshrrev_b32_e32 v6, s33, v3
	v_mul_lo_u32 v3, v6, s36
	s_delay_alu instid0(VALU_DEP_1) | instskip(NEXT) | instid1(VALU_DEP_1)
	v_sub_nc_u32_e32 v2, v2, v3
	v_mad_u64_u32 v[3:4], null, v2, s38, v[0:1]
	v_mad_u64_u32 v[4:5], null, v2, s39, v[1:2]
	v_mov_b32_e32 v2, v6
	s_delay_alu instid0(VALU_DEP_2)
	v_dual_mov_b32 v0, v3 :: v_dual_mov_b32 v1, v4
	s_cbranch_scc1 .LBB13_210
.LBB13_211:
	s_and_not1_b32 vcc_lo, exec_lo, s31
	s_cbranch_vccnz .LBB13_214
; %bb.212:
	s_waitcnt lgkmcnt(0)
	v_mul_hi_u32 v0, s13, v12
	s_and_not1_b32 vcc_lo, exec_lo, s26
	s_delay_alu instid0(VALU_DEP_1) | instskip(NEXT) | instid1(VALU_DEP_1)
	v_add_nc_u32_e32 v0, v12, v0
	v_lshrrev_b32_e32 v2, s14, v0
	s_delay_alu instid0(VALU_DEP_1) | instskip(NEXT) | instid1(VALU_DEP_1)
	v_mul_lo_u32 v0, v2, s12
	v_sub_nc_u32_e32 v1, v12, v0
	s_delay_alu instid0(VALU_DEP_1)
	v_mul_lo_u32 v0, v1, s8
	v_mul_lo_u32 v1, v1, s9
	s_cbranch_vccnz .LBB13_214
; %bb.213:
	v_mul_hi_u32 v3, s2, v2
	s_delay_alu instid0(VALU_DEP_1) | instskip(NEXT) | instid1(VALU_DEP_1)
	v_add_nc_u32_e32 v3, v2, v3
	v_lshrrev_b32_e32 v3, s3, v3
	s_delay_alu instid0(VALU_DEP_1) | instskip(NEXT) | instid1(VALU_DEP_1)
	v_mul_lo_u32 v3, v3, s15
	v_sub_nc_u32_e32 v5, v2, v3
	s_delay_alu instid0(VALU_DEP_1) | instskip(NEXT) | instid1(VALU_DEP_1)
	v_mad_u64_u32 v[2:3], null, v5, s10, v[0:1]
	v_mad_u64_u32 v[3:4], null, v5, s11, v[1:2]
	s_delay_alu instid0(VALU_DEP_1)
	v_dual_mov_b32 v0, v2 :: v_dual_mov_b32 v1, v3
.LBB13_214:
	s_waitcnt lgkmcnt(0)
	global_load_u8 v1, v1, s[6:7]
	v_add_nc_u32_e32 v12, 0x80, v12
	s_waitcnt vmcnt(0)
	v_xor_b32_e32 v1, -1, v1
	global_store_b8 v0, v1, s[4:5]
	s_or_b32 exec_lo, exec_lo, s30
	s_delay_alu instid0(SALU_CYCLE_1)
	s_mov_b32 s20, exec_lo
	v_cmpx_gt_i32_e64 s27, v12
	s_cbranch_execz .LBB13_205
.LBB13_215:
	s_and_not1_b32 vcc_lo, exec_lo, s24
	s_cbranch_vccnz .LBB13_220
; %bb.216:
	v_dual_mov_b32 v0, 0 :: v_dual_mov_b32 v1, 0
	s_and_not1_b32 vcc_lo, exec_lo, s29
	s_mov_b32 s21, 0
	s_cbranch_vccnz .LBB13_225
; %bb.217:
	v_mov_b32_e32 v0, 0
	s_add_i32 s28, s28, 1
	s_cmp_eq_u32 s23, 2
	s_mov_b32 s27, 0
	s_cbranch_scc1 .LBB13_221
; %bb.218:
	v_dual_mov_b32 v1, 0 :: v_dual_mov_b32 v0, 0
	v_mov_b32_e32 v2, v12
	s_and_b32 s27, s28, 28
	s_mov_b32 s29, 0
	s_mov_b64 s[18:19], s[0:1]
.LBB13_219:                             ; =>This Inner Loop Header: Depth=1
	s_clause 0x1
	s_load_b256 s[36:43], s[18:19], 0x4
	s_load_b128 s[52:55], s[18:19], 0x24
	s_load_b256 s[44:51], s[16:17], 0x0
	s_add_u32 s18, s18, 48
	s_addc_u32 s19, s19, 0
	s_add_i32 s29, s29, 4
	s_add_u32 s16, s16, 32
	s_addc_u32 s17, s17, 0
	s_cmp_eq_u32 s27, s29
	s_waitcnt lgkmcnt(0)
	v_mul_hi_u32 v3, s37, v2
	s_delay_alu instid0(VALU_DEP_1) | instskip(NEXT) | instid1(VALU_DEP_1)
	v_add_nc_u32_e32 v3, v2, v3
	v_lshrrev_b32_e32 v3, s38, v3
	s_delay_alu instid0(VALU_DEP_1) | instskip(SKIP_1) | instid1(VALU_DEP_2)
	v_mul_hi_u32 v4, s40, v3
	v_mul_lo_u32 v6, v3, s36
	v_add_nc_u32_e32 v4, v3, v4
	s_delay_alu instid0(VALU_DEP_2) | instskip(NEXT) | instid1(VALU_DEP_2)
	v_sub_nc_u32_e32 v2, v2, v6
	v_lshrrev_b32_e32 v4, s41, v4
	s_delay_alu instid0(VALU_DEP_2) | instskip(SKIP_1) | instid1(VALU_DEP_3)
	v_mul_lo_u32 v6, v2, s44
	v_mul_lo_u32 v8, v2, s45
	v_mul_hi_u32 v5, s43, v4
	s_delay_alu instid0(VALU_DEP_1) | instskip(NEXT) | instid1(VALU_DEP_1)
	v_add_nc_u32_e32 v5, v4, v5
	v_lshrrev_b32_e32 v5, s52, v5
	s_delay_alu instid0(VALU_DEP_1) | instskip(SKIP_1) | instid1(VALU_DEP_2)
	v_mul_hi_u32 v7, s54, v5
	v_mul_lo_u32 v9, v5, s42
	v_add_nc_u32_e32 v2, v5, v7
	v_mul_lo_u32 v7, v4, s39
	s_delay_alu instid0(VALU_DEP_3) | instskip(NEXT) | instid1(VALU_DEP_3)
	v_sub_nc_u32_e32 v4, v4, v9
	v_lshrrev_b32_e32 v2, s55, v2
	s_delay_alu instid0(VALU_DEP_2) | instskip(SKIP_2) | instid1(VALU_DEP_4)
	v_mul_lo_u32 v9, v4, s48
	v_mul_lo_u32 v4, v4, s49
	v_sub_nc_u32_e32 v3, v3, v7
	v_mul_lo_u32 v10, v2, s53
	s_delay_alu instid0(VALU_DEP_2) | instskip(SKIP_1) | instid1(VALU_DEP_3)
	v_mul_lo_u32 v7, v3, s46
	v_mul_lo_u32 v3, v3, s47
	v_sub_nc_u32_e32 v5, v5, v10
	s_delay_alu instid0(VALU_DEP_3) | instskip(NEXT) | instid1(VALU_DEP_2)
	v_add3_u32 v0, v6, v0, v7
	v_mul_lo_u32 v10, v5, s50
	v_mul_lo_u32 v5, v5, s51
	v_add3_u32 v1, v8, v1, v3
	s_delay_alu instid0(VALU_DEP_3) | instskip(NEXT) | instid1(VALU_DEP_2)
	v_add3_u32 v0, v9, v0, v10
	v_add3_u32 v1, v4, v1, v5
	s_cbranch_scc0 .LBB13_219
	s_branch .LBB13_222
.LBB13_220:
	s_mov_b32 s21, -1
                                        ; implicit-def: $vgpr0
                                        ; implicit-def: $vgpr1
	s_branch .LBB13_225
.LBB13_221:
	v_dual_mov_b32 v2, v12 :: v_dual_mov_b32 v1, 0
.LBB13_222:
	s_and_b32 s28, s28, 3
	s_delay_alu instid0(SALU_CYCLE_1)
	s_cmp_eq_u32 s28, 0
	s_cbranch_scc1 .LBB13_225
; %bb.223:
	s_lshl_b32 s16, s27, 3
	s_mul_i32 s18, s27, 12
	s_add_u32 s16, s16, s0
	s_addc_u32 s17, s1, 0
	s_add_u32 s16, s16, 0xc4
	s_addc_u32 s17, s17, 0
	;; [unrolled: 2-line block ×3, first 2 shown]
	.p2align	6
.LBB13_224:                             ; =>This Inner Loop Header: Depth=1
	s_clause 0x1
	s_load_b64 s[30:31], s[18:19], 0x4
	s_load_b32 s27, s[18:19], 0xc
	s_load_b64 s[34:35], s[16:17], 0x0
	s_add_u32 s18, s18, 12
	s_addc_u32 s19, s19, 0
	s_add_u32 s16, s16, 8
	s_addc_u32 s17, s17, 0
	s_add_i32 s28, s28, -1
	s_delay_alu instid0(SALU_CYCLE_1) | instskip(SKIP_2) | instid1(VALU_DEP_1)
	s_cmp_lg_u32 s28, 0
	s_waitcnt lgkmcnt(0)
	v_mul_hi_u32 v3, s31, v2
	v_add_nc_u32_e32 v3, v2, v3
	s_delay_alu instid0(VALU_DEP_1) | instskip(NEXT) | instid1(VALU_DEP_1)
	v_lshrrev_b32_e32 v6, s27, v3
	v_mul_lo_u32 v3, v6, s30
	s_delay_alu instid0(VALU_DEP_1) | instskip(NEXT) | instid1(VALU_DEP_1)
	v_sub_nc_u32_e32 v2, v2, v3
	v_mad_u64_u32 v[3:4], null, v2, s34, v[0:1]
	v_mad_u64_u32 v[4:5], null, v2, s35, v[1:2]
	v_mov_b32_e32 v2, v6
	s_delay_alu instid0(VALU_DEP_2)
	v_dual_mov_b32 v0, v3 :: v_dual_mov_b32 v1, v4
	s_cbranch_scc1 .LBB13_224
.LBB13_225:
	s_and_not1_b32 vcc_lo, exec_lo, s21
	s_cbranch_vccnz .LBB13_228
; %bb.226:
	s_waitcnt lgkmcnt(0)
	v_mul_hi_u32 v0, s13, v12
	s_and_not1_b32 vcc_lo, exec_lo, s26
	s_delay_alu instid0(VALU_DEP_1) | instskip(NEXT) | instid1(VALU_DEP_1)
	v_add_nc_u32_e32 v0, v12, v0
	v_lshrrev_b32_e32 v2, s14, v0
	s_delay_alu instid0(VALU_DEP_1) | instskip(NEXT) | instid1(VALU_DEP_1)
	v_mul_lo_u32 v0, v2, s12
	v_sub_nc_u32_e32 v1, v12, v0
	s_delay_alu instid0(VALU_DEP_1)
	v_mul_lo_u32 v0, v1, s8
	v_mul_lo_u32 v1, v1, s9
	s_cbranch_vccnz .LBB13_228
; %bb.227:
	v_mul_hi_u32 v3, s2, v2
	s_delay_alu instid0(VALU_DEP_1) | instskip(NEXT) | instid1(VALU_DEP_1)
	v_add_nc_u32_e32 v3, v2, v3
	v_lshrrev_b32_e32 v3, s3, v3
	s_delay_alu instid0(VALU_DEP_1) | instskip(NEXT) | instid1(VALU_DEP_1)
	v_mul_lo_u32 v3, v3, s15
	v_sub_nc_u32_e32 v5, v2, v3
	s_delay_alu instid0(VALU_DEP_1) | instskip(NEXT) | instid1(VALU_DEP_1)
	v_mad_u64_u32 v[2:3], null, v5, s10, v[0:1]
	v_mad_u64_u32 v[3:4], null, v5, s11, v[1:2]
	s_delay_alu instid0(VALU_DEP_1)
	v_dual_mov_b32 v0, v2 :: v_dual_mov_b32 v1, v3
.LBB13_228:
	s_waitcnt lgkmcnt(0)
	global_load_u8 v1, v1, s[6:7]
	s_waitcnt vmcnt(0)
	v_xor_b32_e32 v1, -1, v1
	global_store_b8 v0, v1, s[4:5]
	s_or_b32 exec_lo, exec_lo, s20
                                        ; implicit-def: $vgpr16
                                        ; implicit-def: $vgpr12
	s_and_not1_saveexec_b32 s2, s25
	s_cbranch_execz .LBB13_206
	s_branch .LBB13_8
	.section	.rodata,"a",@progbits
	.p2align	6, 0x0
	.amdhsa_kernel _ZN2at6native32elementwise_kernel_manual_unrollILi128ELi8EZNS0_22gpu_kernel_impl_nocastIZZZNS0_23bitwise_not_kernel_cudaERNS_18TensorIteratorBaseEENKUlvE_clEvENKUlvE_clEvEUlhE_EEvS4_RKT_EUlibE_EEviT1_
		.amdhsa_group_segment_fixed_size 0
		.amdhsa_private_segment_fixed_size 0
		.amdhsa_kernarg_size 360
		.amdhsa_user_sgpr_count 15
		.amdhsa_user_sgpr_dispatch_ptr 0
		.amdhsa_user_sgpr_queue_ptr 0
		.amdhsa_user_sgpr_kernarg_segment_ptr 1
		.amdhsa_user_sgpr_dispatch_id 0
		.amdhsa_user_sgpr_private_segment_size 0
		.amdhsa_wavefront_size32 1
		.amdhsa_uses_dynamic_stack 0
		.amdhsa_enable_private_segment 0
		.amdhsa_system_sgpr_workgroup_id_x 1
		.amdhsa_system_sgpr_workgroup_id_y 0
		.amdhsa_system_sgpr_workgroup_id_z 0
		.amdhsa_system_sgpr_workgroup_info 0
		.amdhsa_system_vgpr_workitem_id 0
		.amdhsa_next_free_vgpr 26
		.amdhsa_next_free_sgpr 56
		.amdhsa_reserve_vcc 1
		.amdhsa_float_round_mode_32 0
		.amdhsa_float_round_mode_16_64 0
		.amdhsa_float_denorm_mode_32 3
		.amdhsa_float_denorm_mode_16_64 3
		.amdhsa_dx10_clamp 1
		.amdhsa_ieee_mode 1
		.amdhsa_fp16_overflow 0
		.amdhsa_workgroup_processor_mode 1
		.amdhsa_memory_ordered 1
		.amdhsa_forward_progress 0
		.amdhsa_shared_vgpr_count 0
		.amdhsa_exception_fp_ieee_invalid_op 0
		.amdhsa_exception_fp_denorm_src 0
		.amdhsa_exception_fp_ieee_div_zero 0
		.amdhsa_exception_fp_ieee_overflow 0
		.amdhsa_exception_fp_ieee_underflow 0
		.amdhsa_exception_fp_ieee_inexact 0
		.amdhsa_exception_int_div_zero 0
	.end_amdhsa_kernel
	.section	.text._ZN2at6native32elementwise_kernel_manual_unrollILi128ELi8EZNS0_22gpu_kernel_impl_nocastIZZZNS0_23bitwise_not_kernel_cudaERNS_18TensorIteratorBaseEENKUlvE_clEvENKUlvE_clEvEUlhE_EEvS4_RKT_EUlibE_EEviT1_,"axG",@progbits,_ZN2at6native32elementwise_kernel_manual_unrollILi128ELi8EZNS0_22gpu_kernel_impl_nocastIZZZNS0_23bitwise_not_kernel_cudaERNS_18TensorIteratorBaseEENKUlvE_clEvENKUlvE_clEvEUlhE_EEvS4_RKT_EUlibE_EEviT1_,comdat
.Lfunc_end13:
	.size	_ZN2at6native32elementwise_kernel_manual_unrollILi128ELi8EZNS0_22gpu_kernel_impl_nocastIZZZNS0_23bitwise_not_kernel_cudaERNS_18TensorIteratorBaseEENKUlvE_clEvENKUlvE_clEvEUlhE_EEvS4_RKT_EUlibE_EEviT1_, .Lfunc_end13-_ZN2at6native32elementwise_kernel_manual_unrollILi128ELi8EZNS0_22gpu_kernel_impl_nocastIZZZNS0_23bitwise_not_kernel_cudaERNS_18TensorIteratorBaseEENKUlvE_clEvENKUlvE_clEvEUlhE_EEvS4_RKT_EUlibE_EEviT1_
                                        ; -- End function
	.section	.AMDGPU.csdata,"",@progbits
; Kernel info:
; codeLenInByte = 13452
; NumSgprs: 58
; NumVgprs: 26
; ScratchSize: 0
; MemoryBound: 0
; FloatMode: 240
; IeeeMode: 1
; LDSByteSize: 0 bytes/workgroup (compile time only)
; SGPRBlocks: 7
; VGPRBlocks: 3
; NumSGPRsForWavesPerEU: 58
; NumVGPRsForWavesPerEU: 26
; Occupancy: 16
; WaveLimiterHint : 1
; COMPUTE_PGM_RSRC2:SCRATCH_EN: 0
; COMPUTE_PGM_RSRC2:USER_SGPR: 15
; COMPUTE_PGM_RSRC2:TRAP_HANDLER: 0
; COMPUTE_PGM_RSRC2:TGID_X_EN: 1
; COMPUTE_PGM_RSRC2:TGID_Y_EN: 0
; COMPUTE_PGM_RSRC2:TGID_Z_EN: 0
; COMPUTE_PGM_RSRC2:TIDIG_COMP_CNT: 0
	.section	.text._ZN2at6native32elementwise_kernel_manual_unrollILi128ELi4EZNS0_15gpu_kernel_implIZZZNS0_23bitwise_not_kernel_cudaERNS_18TensorIteratorBaseEENKUlvE_clEvENKUlvE_clEvEUlhE_EEvS4_RKT_EUlibE_EEviT1_,"axG",@progbits,_ZN2at6native32elementwise_kernel_manual_unrollILi128ELi4EZNS0_15gpu_kernel_implIZZZNS0_23bitwise_not_kernel_cudaERNS_18TensorIteratorBaseEENKUlvE_clEvENKUlvE_clEvEUlhE_EEvS4_RKT_EUlibE_EEviT1_,comdat
	.globl	_ZN2at6native32elementwise_kernel_manual_unrollILi128ELi4EZNS0_15gpu_kernel_implIZZZNS0_23bitwise_not_kernel_cudaERNS_18TensorIteratorBaseEENKUlvE_clEvENKUlvE_clEvEUlhE_EEvS4_RKT_EUlibE_EEviT1_ ; -- Begin function _ZN2at6native32elementwise_kernel_manual_unrollILi128ELi4EZNS0_15gpu_kernel_implIZZZNS0_23bitwise_not_kernel_cudaERNS_18TensorIteratorBaseEENKUlvE_clEvENKUlvE_clEvEUlhE_EEvS4_RKT_EUlibE_EEviT1_
	.p2align	8
	.type	_ZN2at6native32elementwise_kernel_manual_unrollILi128ELi4EZNS0_15gpu_kernel_implIZZZNS0_23bitwise_not_kernel_cudaERNS_18TensorIteratorBaseEENKUlvE_clEvENKUlvE_clEvEUlhE_EEvS4_RKT_EUlibE_EEviT1_,@function
_ZN2at6native32elementwise_kernel_manual_unrollILi128ELi4EZNS0_15gpu_kernel_implIZZZNS0_23bitwise_not_kernel_cudaERNS_18TensorIteratorBaseEENKUlvE_clEvENKUlvE_clEvEUlhE_EEvS4_RKT_EUlibE_EEviT1_: ; @_ZN2at6native32elementwise_kernel_manual_unrollILi128ELi4EZNS0_15gpu_kernel_implIZZZNS0_23bitwise_not_kernel_cudaERNS_18TensorIteratorBaseEENKUlvE_clEvENKUlvE_clEvEUlhE_EEvS4_RKT_EUlibE_EEviT1_
; %bb.0:
	v_mov_b32_e32 v1, 0
	s_clause 0x2
	s_load_b32 s10, s[0:1], 0x0
	s_load_b64 s[2:3], s[0:1], 0x18
	s_load_b128 s[4:7], s[0:1], 0x8
	v_lshl_or_b32 v8, s15, 9, v0
	s_mov_b32 s9, 0
	global_load_u16 v7, v1, s[0:1] offset:33
	s_mov_b32 s1, 0
	v_or_b32_e32 v0, 0x180, v8
	s_mov_b32 s0, exec_lo
	s_waitcnt vmcnt(0)
	v_lshrrev_b16 v9, 8, v7
	s_waitcnt lgkmcnt(0)
	v_cmpx_le_i32_e64 s10, v0
	s_xor_b32 s8, exec_lo, s0
	s_cbranch_execz .LBB14_1008
; %bb.1:
	s_mov_b32 s15, -1
	s_mov_b32 s13, 0
	s_mov_b32 s11, 0
	s_mov_b32 s12, exec_lo
	v_cmpx_gt_i32_e64 s10, v8
	s_cbranch_execz .LBB14_246
; %bb.2:
	v_mul_lo_u32 v0, v8, s3
	v_cmp_gt_i16_e32 vcc_lo, 11, v9
	s_delay_alu instid0(VALU_DEP_2) | instskip(SKIP_1) | instid1(VALU_DEP_1)
	v_ashrrev_i32_e32 v1, 31, v0
	v_add_co_u32 v2, s0, s6, v0
	v_add_co_ci_u32_e64 v3, s0, s7, v1, s0
	s_cbranch_vccnz .LBB14_9
; %bb.3:
	v_cmp_lt_i16_e32 vcc_lo, 25, v9
	s_cbranch_vccz .LBB14_128
; %bb.4:
	v_cmp_lt_i16_e32 vcc_lo, 28, v9
	s_cbranch_vccz .LBB14_129
	;; [unrolled: 3-line block ×4, first 2 shown]
; %bb.7:
	v_cmp_eq_u16_e32 vcc_lo, 46, v9
	s_cbranch_vccz .LBB14_132
; %bb.8:
	global_load_b32 v0, v[2:3], off
	s_mov_b32 s0, -1
	s_waitcnt vmcnt(0)
	v_lshlrev_b32_e32 v0, 16, v0
	s_delay_alu instid0(VALU_DEP_1) | instskip(NEXT) | instid1(VALU_DEP_1)
	v_trunc_f32_e32 v0, v0
	v_mul_f32_e64 v1, 0x2f800000, |v0|
	s_delay_alu instid0(VALU_DEP_1) | instskip(NEXT) | instid1(VALU_DEP_1)
	v_floor_f32_e32 v1, v1
	v_fma_f32 v1, 0xcf800000, v1, |v0|
	v_ashrrev_i32_e32 v0, 31, v0
	s_delay_alu instid0(VALU_DEP_2) | instskip(NEXT) | instid1(VALU_DEP_1)
	v_cvt_u32_f32_e32 v1, v1
	v_xor_b32_e32 v1, v1, v0
	s_delay_alu instid0(VALU_DEP_1)
	v_sub_nc_u32_e32 v0, v1, v0
	s_branch .LBB14_134
.LBB14_9:
	s_mov_b32 s0, 0
                                        ; implicit-def: $vgpr0
	s_cbranch_execnz .LBB14_196
.LBB14_10:
	s_and_not1_b32 vcc_lo, exec_lo, s0
	s_cbranch_vccnz .LBB14_243
.LBB14_11:
	s_waitcnt vmcnt(0)
	v_mul_lo_u32 v1, v8, s2
	v_and_b32_e32 v4, 0xff, v7
	s_delay_alu instid0(VALU_DEP_3) | instskip(SKIP_2) | instid1(VALU_DEP_2)
	v_xor_b32_e32 v3, -1, v0
	s_mov_b32 s14, -1
	s_mov_b32 s9, 0
	v_cmp_gt_i16_e32 vcc_lo, 11, v4
	s_delay_alu instid0(VALU_DEP_4) | instskip(SKIP_1) | instid1(VALU_DEP_1)
	v_ashrrev_i32_e32 v2, 31, v1
	v_add_co_u32 v1, s0, s4, v1
	v_add_co_ci_u32_e64 v2, s0, s5, v2, s0
	s_mov_b32 s0, 0
	s_cbranch_vccnz .LBB14_88
; %bb.12:
	v_cmp_lt_i16_e32 vcc_lo, 25, v4
	s_cbranch_vccz .LBB14_45
; %bb.13:
	v_cmp_lt_i16_e32 vcc_lo, 28, v4
	s_cbranch_vccz .LBB14_28
	;; [unrolled: 3-line block ×4, first 2 shown]
; %bb.16:
	v_cmp_eq_u16_e32 vcc_lo, 46, v4
	s_mov_b32 s14, 0
	s_mov_b32 s9, -1
	s_cbranch_vccz .LBB14_18
; %bb.17:
	v_cvt_f32_ubyte0_e32 v5, v3
	s_mov_b32 s0, -1
	s_mov_b32 s9, 0
	s_delay_alu instid0(VALU_DEP_1) | instskip(NEXT) | instid1(VALU_DEP_1)
	v_bfe_u32 v6, v5, 16, 1
	v_add3_u32 v5, v5, v6, 0x7fff
	s_delay_alu instid0(VALU_DEP_1)
	v_lshrrev_b32_e32 v5, 16, v5
	global_store_b32 v[1:2], v5, off
.LBB14_18:
	s_and_b32 vcc_lo, exec_lo, s14
	s_cbranch_vccz .LBB14_23
; %bb.19:
	v_cmp_eq_u16_e32 vcc_lo, 44, v4
	s_mov_b32 s9, -1
	s_cbranch_vccz .LBB14_23
; %bb.20:
	v_cvt_f32_ubyte0_e32 v10, v3
	v_mov_b32_e32 v6, 0xff
	s_mov_b32 s9, exec_lo
	s_delay_alu instid0(VALU_DEP_2) | instskip(NEXT) | instid1(VALU_DEP_1)
	v_lshrrev_b32_e32 v5, 23, v10
	v_cmpx_ne_u32_e32 0xff, v5
; %bb.21:
	v_and_b32_e32 v6, 0x400000, v10
	v_and_or_b32 v10, 0x3fffff, v10, v5
	s_delay_alu instid0(VALU_DEP_2) | instskip(NEXT) | instid1(VALU_DEP_2)
	v_cmp_ne_u32_e32 vcc_lo, 0, v6
	v_cmp_ne_u32_e64 s0, 0, v10
	s_delay_alu instid0(VALU_DEP_1) | instskip(NEXT) | instid1(SALU_CYCLE_1)
	s_and_b32 s0, vcc_lo, s0
	v_cndmask_b32_e64 v6, 0, 1, s0
	s_delay_alu instid0(VALU_DEP_1)
	v_add_nc_u32_e32 v6, v5, v6
; %bb.22:
	s_or_b32 exec_lo, exec_lo, s9
	s_mov_b32 s0, -1
	s_mov_b32 s9, 0
	global_store_b8 v[1:2], v6, off
.LBB14_23:
	s_mov_b32 s14, 0
.LBB14_24:
	s_delay_alu instid0(SALU_CYCLE_1)
	s_and_b32 vcc_lo, exec_lo, s14
	s_cbranch_vccz .LBB14_27
; %bb.25:
	v_cmp_eq_u16_e32 vcc_lo, 29, v4
	s_mov_b32 s9, -1
	s_cbranch_vccz .LBB14_27
; %bb.26:
	v_dual_mov_b32 v6, 0 :: v_dual_and_b32 v5, 0xff, v3
	s_mov_b32 s0, -1
	s_mov_b32 s9, 0
	global_store_b64 v[1:2], v[5:6], off
.LBB14_27:
	s_mov_b32 s14, 0
.LBB14_28:
	s_delay_alu instid0(SALU_CYCLE_1)
	s_and_b32 vcc_lo, exec_lo, s14
	s_cbranch_vccz .LBB14_44
; %bb.29:
	v_cmp_gt_i16_e32 vcc_lo, 27, v4
	s_mov_b32 s0, -1
	s_cbranch_vccnz .LBB14_35
; %bb.30:
	v_cmp_lt_i16_e32 vcc_lo, 27, v4
	s_cbranch_vccz .LBB14_32
; %bb.31:
	v_and_b32_e32 v5, 0xff, v3
	s_mov_b32 s0, 0
	global_store_b32 v[1:2], v5, off
.LBB14_32:
	s_and_not1_b32 vcc_lo, exec_lo, s0
	s_cbranch_vccnz .LBB14_34
; %bb.33:
	v_and_b32_e32 v5, 0xff, v3
	global_store_b16 v[1:2], v5, off
.LBB14_34:
	s_mov_b32 s0, 0
.LBB14_35:
	s_delay_alu instid0(SALU_CYCLE_1)
	s_and_not1_b32 vcc_lo, exec_lo, s0
	s_cbranch_vccnz .LBB14_43
; %bb.36:
	v_cvt_f32_ubyte0_e32 v6, v3
	v_mov_b32_e32 v10, 0x80
	s_mov_b32 s0, exec_lo
	s_delay_alu instid0(VALU_DEP_2)
	v_cmpx_gt_u32_e32 0x43800000, v6
	s_cbranch_execz .LBB14_42
; %bb.37:
	s_mov_b32 s14, 0
	s_mov_b32 s15, exec_lo
                                        ; implicit-def: $vgpr5
	v_cmpx_lt_u32_e32 0x3bffffff, v6
	s_xor_b32 s15, exec_lo, s15
	s_cbranch_execz .LBB14_137
; %bb.38:
	v_bfe_u32 v5, v6, 20, 1
	s_mov_b32 s14, exec_lo
	s_delay_alu instid0(VALU_DEP_1) | instskip(NEXT) | instid1(VALU_DEP_1)
	v_add3_u32 v5, v6, v5, 0x487ffff
                                        ; implicit-def: $vgpr6
	v_lshrrev_b32_e32 v5, 20, v5
	s_or_saveexec_b32 s15, s15
                                        ; implicit-def: $sgpr16
	s_delay_alu instid0(SALU_CYCLE_1)
	s_xor_b32 exec_lo, exec_lo, s15
	s_cbranch_execnz .LBB14_138
.LBB14_39:
	s_or_b32 exec_lo, exec_lo, s15
	v_mov_b32_e32 v10, s16
	s_and_saveexec_b32 s15, s14
.LBB14_40:
	v_mov_b32_e32 v10, v5
.LBB14_41:
	s_or_b32 exec_lo, exec_lo, s15
.LBB14_42:
	s_delay_alu instid0(SALU_CYCLE_1)
	s_or_b32 exec_lo, exec_lo, s0
	global_store_b8 v[1:2], v10, off
.LBB14_43:
	s_mov_b32 s0, -1
.LBB14_44:
	s_mov_b32 s14, 0
.LBB14_45:
	s_delay_alu instid0(SALU_CYCLE_1)
	s_and_b32 vcc_lo, exec_lo, s14
	s_cbranch_vccz .LBB14_86
; %bb.46:
	v_cmp_lt_i16_e32 vcc_lo, 22, v4
	s_mov_b32 s14, -1
	s_cbranch_vccz .LBB14_78
; %bb.47:
	v_cmp_gt_i16_e32 vcc_lo, 24, v4
	s_mov_b32 s0, -1
	s_cbranch_vccnz .LBB14_67
; %bb.48:
	v_cmp_lt_i16_e32 vcc_lo, 24, v4
	s_cbranch_vccz .LBB14_56
; %bb.49:
	v_cvt_f32_ubyte0_e32 v6, v3
	v_mov_b32_e32 v10, 0x80
	s_mov_b32 s0, exec_lo
	s_delay_alu instid0(VALU_DEP_2)
	v_cmpx_gt_u32_e32 0x47800000, v6
	s_cbranch_execz .LBB14_55
; %bb.50:
	s_mov_b32 s14, 0
	s_mov_b32 s15, exec_lo
                                        ; implicit-def: $vgpr5
	v_cmpx_lt_u32_e32 0x37ffffff, v6
	s_xor_b32 s15, exec_lo, s15
	s_cbranch_execz .LBB14_311
; %bb.51:
	v_bfe_u32 v5, v6, 21, 1
	s_mov_b32 s14, exec_lo
	s_delay_alu instid0(VALU_DEP_1) | instskip(NEXT) | instid1(VALU_DEP_1)
	v_add3_u32 v5, v6, v5, 0x88fffff
                                        ; implicit-def: $vgpr6
	v_lshrrev_b32_e32 v5, 21, v5
	s_or_saveexec_b32 s15, s15
                                        ; implicit-def: $sgpr16
	s_delay_alu instid0(SALU_CYCLE_1)
	s_xor_b32 exec_lo, exec_lo, s15
	s_cbranch_execnz .LBB14_312
.LBB14_52:
	s_or_b32 exec_lo, exec_lo, s15
	v_mov_b32_e32 v10, s16
	s_and_saveexec_b32 s15, s14
.LBB14_53:
	v_mov_b32_e32 v10, v5
.LBB14_54:
	s_or_b32 exec_lo, exec_lo, s15
.LBB14_55:
	s_delay_alu instid0(SALU_CYCLE_1)
	s_or_b32 exec_lo, exec_lo, s0
	s_mov_b32 s0, 0
	global_store_b8 v[1:2], v10, off
.LBB14_56:
	s_and_b32 vcc_lo, exec_lo, s0
	s_cbranch_vccz .LBB14_66
; %bb.57:
	v_cvt_f32_ubyte0_e32 v6, v3
	s_mov_b32 s0, exec_lo
                                        ; implicit-def: $vgpr5
	s_delay_alu instid0(VALU_DEP_1)
	v_cmpx_gt_u32_e32 0x43f00000, v6
	s_xor_b32 s0, exec_lo, s0
	s_cbranch_execz .LBB14_63
; %bb.58:
	s_mov_b32 s14, exec_lo
                                        ; implicit-def: $vgpr5
	v_cmpx_lt_u32_e32 0x3c7fffff, v6
	s_xor_b32 s14, exec_lo, s14
; %bb.59:
	v_bfe_u32 v5, v6, 20, 1
	s_delay_alu instid0(VALU_DEP_1) | instskip(NEXT) | instid1(VALU_DEP_1)
	v_add3_u32 v5, v6, v5, 0x407ffff
	v_and_b32_e32 v6, 0xff00000, v5
	v_lshrrev_b32_e32 v5, 20, v5
	s_delay_alu instid0(VALU_DEP_2) | instskip(NEXT) | instid1(VALU_DEP_2)
	v_cmp_ne_u32_e32 vcc_lo, 0x7f00000, v6
                                        ; implicit-def: $vgpr6
	v_cndmask_b32_e32 v5, 0x7e, v5, vcc_lo
; %bb.60:
	s_and_not1_saveexec_b32 s14, s14
; %bb.61:
	v_add_f32_e32 v5, 0x46800000, v6
; %bb.62:
	s_or_b32 exec_lo, exec_lo, s14
                                        ; implicit-def: $vgpr6
.LBB14_63:
	s_and_not1_saveexec_b32 s0, s0
; %bb.64:
	v_mov_b32_e32 v5, 0x7f
	v_cmp_lt_u32_e32 vcc_lo, 0x7f800000, v6
	s_delay_alu instid0(VALU_DEP_2)
	v_cndmask_b32_e32 v5, 0x7e, v5, vcc_lo
; %bb.65:
	s_or_b32 exec_lo, exec_lo, s0
	global_store_b8 v[1:2], v5, off
.LBB14_66:
	s_mov_b32 s0, 0
.LBB14_67:
	s_delay_alu instid0(SALU_CYCLE_1)
	s_and_not1_b32 vcc_lo, exec_lo, s0
	s_cbranch_vccnz .LBB14_77
; %bb.68:
	v_cvt_f32_ubyte0_e32 v6, v3
	s_mov_b32 s0, exec_lo
                                        ; implicit-def: $vgpr5
	s_delay_alu instid0(VALU_DEP_1)
	v_cmpx_gt_u32_e32 0x47800000, v6
	s_xor_b32 s0, exec_lo, s0
	s_cbranch_execz .LBB14_74
; %bb.69:
	s_mov_b32 s14, exec_lo
                                        ; implicit-def: $vgpr5
	v_cmpx_lt_u32_e32 0x387fffff, v6
	s_xor_b32 s14, exec_lo, s14
; %bb.70:
	v_bfe_u32 v5, v6, 21, 1
	s_delay_alu instid0(VALU_DEP_1) | instskip(NEXT) | instid1(VALU_DEP_1)
	v_add3_u32 v5, v6, v5, 0x80fffff
                                        ; implicit-def: $vgpr6
	v_lshrrev_b32_e32 v5, 21, v5
; %bb.71:
	s_and_not1_saveexec_b32 s14, s14
; %bb.72:
	v_add_f32_e32 v5, 0x43000000, v6
; %bb.73:
	s_or_b32 exec_lo, exec_lo, s14
                                        ; implicit-def: $vgpr6
.LBB14_74:
	s_and_not1_saveexec_b32 s0, s0
; %bb.75:
	v_mov_b32_e32 v5, 0x7f
	v_cmp_lt_u32_e32 vcc_lo, 0x7f800000, v6
	s_delay_alu instid0(VALU_DEP_2)
	v_cndmask_b32_e32 v5, 0x7c, v5, vcc_lo
; %bb.76:
	s_or_b32 exec_lo, exec_lo, s0
	global_store_b8 v[1:2], v5, off
.LBB14_77:
	s_mov_b32 s14, 0
	s_mov_b32 s0, -1
.LBB14_78:
	s_and_not1_b32 vcc_lo, exec_lo, s14
	s_cbranch_vccnz .LBB14_86
; %bb.79:
	v_cmp_lt_i16_e32 vcc_lo, 14, v4
	s_mov_b32 s14, -1
	s_cbranch_vccz .LBB14_83
; %bb.80:
	v_cmp_eq_u16_e32 vcc_lo, 15, v4
	s_mov_b32 s9, -1
	s_cbranch_vccz .LBB14_82
; %bb.81:
	v_cvt_f32_ubyte0_e32 v5, v3
	s_mov_b32 s0, -1
	s_mov_b32 s9, 0
	s_delay_alu instid0(VALU_DEP_1) | instskip(NEXT) | instid1(VALU_DEP_1)
	v_bfe_u32 v6, v5, 16, 1
	v_add3_u32 v5, v5, v6, 0x7fff
	global_store_d16_hi_b16 v[1:2], v5, off
.LBB14_82:
	s_mov_b32 s14, 0
.LBB14_83:
	s_delay_alu instid0(SALU_CYCLE_1)
	s_and_b32 vcc_lo, exec_lo, s14
	s_cbranch_vccz .LBB14_86
; %bb.84:
	v_cmp_eq_u16_e32 vcc_lo, 11, v4
	s_mov_b32 s9, -1
	s_cbranch_vccz .LBB14_86
; %bb.85:
	v_and_b32_e32 v0, 0xff, v0
	s_mov_b32 s0, -1
	s_mov_b32 s9, 0
	s_delay_alu instid0(VALU_DEP_1)
	v_cmp_ne_u16_e32 vcc_lo, 0xff, v0
	v_cndmask_b32_e64 v0, 0, 1, vcc_lo
	global_store_b8 v[1:2], v0, off
.LBB14_86:
.LBB14_87:
	s_and_not1_b32 vcc_lo, exec_lo, s0
	s_cbranch_vccnz .LBB14_244
	s_branch .LBB14_127
.LBB14_88:
	s_and_b32 vcc_lo, exec_lo, s14
	s_cbranch_vccz .LBB14_87
; %bb.89:
	v_cmp_gt_i16_e32 vcc_lo, 5, v4
	s_mov_b32 s0, -1
	s_cbranch_vccnz .LBB14_110
; %bb.90:
	v_cmp_gt_i16_e32 vcc_lo, 8, v4
	s_cbranch_vccnz .LBB14_100
; %bb.91:
	v_cmp_gt_i16_e32 vcc_lo, 9, v4
	s_cbranch_vccnz .LBB14_97
; %bb.92:
	v_cmp_lt_i16_e32 vcc_lo, 9, v4
	s_cbranch_vccz .LBB14_94
; %bb.93:
	v_mov_b32_e32 v12, 0
	v_and_b32_e32 v0, 0xff, v3
	s_mov_b32 s0, 0
	s_delay_alu instid0(VALU_DEP_1) | instskip(NEXT) | instid1(VALU_DEP_1)
	v_dual_mov_b32 v13, v12 :: v_dual_and_b32 v0, 0xffff, v0
	v_cvt_f64_u32_e32 v[10:11], v0
	global_store_b128 v[1:2], v[10:13], off
.LBB14_94:
	s_and_not1_b32 vcc_lo, exec_lo, s0
	s_cbranch_vccnz .LBB14_96
; %bb.95:
	v_cvt_f32_ubyte0_e32 v5, v3
	v_mov_b32_e32 v6, 0
	global_store_b64 v[1:2], v[5:6], off
.LBB14_96:
	s_mov_b32 s0, 0
.LBB14_97:
	s_delay_alu instid0(SALU_CYCLE_1)
	s_and_not1_b32 vcc_lo, exec_lo, s0
	s_cbranch_vccnz .LBB14_99
; %bb.98:
	v_and_b32_e32 v0, 0xff, v3
	s_delay_alu instid0(VALU_DEP_1) | instskip(NEXT) | instid1(VALU_DEP_1)
	v_cvt_f16_u16_e32 v0, v0
	v_and_b32_e32 v0, 0xffff, v0
	global_store_b32 v[1:2], v0, off
.LBB14_99:
	s_mov_b32 s0, 0
.LBB14_100:
	s_delay_alu instid0(SALU_CYCLE_1)
	s_and_not1_b32 vcc_lo, exec_lo, s0
	s_cbranch_vccnz .LBB14_109
; %bb.101:
	v_cmp_gt_i16_e32 vcc_lo, 6, v4
	s_mov_b32 s0, -1
	s_cbranch_vccnz .LBB14_107
; %bb.102:
	v_cmp_lt_i16_e32 vcc_lo, 6, v4
	s_cbranch_vccz .LBB14_104
; %bb.103:
	v_and_b32_e32 v0, 0xff, v3
	s_mov_b32 s0, 0
	s_delay_alu instid0(VALU_DEP_1) | instskip(NEXT) | instid1(VALU_DEP_1)
	v_and_b32_e32 v0, 0xffff, v0
	v_cvt_f64_u32_e32 v[5:6], v0
	global_store_b64 v[1:2], v[5:6], off
.LBB14_104:
	s_and_not1_b32 vcc_lo, exec_lo, s0
	s_cbranch_vccnz .LBB14_106
; %bb.105:
	v_cvt_f32_ubyte0_e32 v0, v3
	global_store_b32 v[1:2], v0, off
.LBB14_106:
	s_mov_b32 s0, 0
.LBB14_107:
	s_delay_alu instid0(SALU_CYCLE_1)
	s_and_not1_b32 vcc_lo, exec_lo, s0
	s_cbranch_vccnz .LBB14_109
; %bb.108:
	v_and_b32_e32 v0, 0xff, v3
	s_delay_alu instid0(VALU_DEP_1)
	v_cvt_f16_u16_e32 v0, v0
	global_store_b16 v[1:2], v0, off
.LBB14_109:
	s_mov_b32 s0, 0
.LBB14_110:
	s_delay_alu instid0(SALU_CYCLE_1)
	s_and_not1_b32 vcc_lo, exec_lo, s0
	s_cbranch_vccnz .LBB14_126
; %bb.111:
	v_cmp_gt_i16_e32 vcc_lo, 2, v4
	s_mov_b32 s0, -1
	s_cbranch_vccnz .LBB14_121
; %bb.112:
	v_cmp_gt_i16_e32 vcc_lo, 3, v4
	s_cbranch_vccnz .LBB14_118
; %bb.113:
	v_cmp_lt_i16_e32 vcc_lo, 3, v4
	s_cbranch_vccz .LBB14_115
; %bb.114:
	v_dual_mov_b32 v6, 0 :: v_dual_and_b32 v5, 0xff, v3
	s_mov_b32 s0, 0
	global_store_b64 v[1:2], v[5:6], off
.LBB14_115:
	s_and_not1_b32 vcc_lo, exec_lo, s0
	s_cbranch_vccnz .LBB14_117
; %bb.116:
	v_and_b32_e32 v0, 0xff, v3
	global_store_b32 v[1:2], v0, off
.LBB14_117:
	s_mov_b32 s0, 0
.LBB14_118:
	s_delay_alu instid0(SALU_CYCLE_1)
	s_and_not1_b32 vcc_lo, exec_lo, s0
	s_cbranch_vccnz .LBB14_120
; %bb.119:
	v_and_b32_e32 v0, 0xff, v3
	global_store_b16 v[1:2], v0, off
.LBB14_120:
	s_mov_b32 s0, 0
.LBB14_121:
	s_delay_alu instid0(SALU_CYCLE_1)
	s_and_not1_b32 vcc_lo, exec_lo, s0
	s_cbranch_vccnz .LBB14_126
; %bb.122:
	v_cmp_lt_i16_e32 vcc_lo, 0, v4
	s_mov_b32 s0, -1
	s_cbranch_vccz .LBB14_124
; %bb.123:
	s_mov_b32 s0, 0
	global_store_b8 v[1:2], v3, off
.LBB14_124:
	s_and_not1_b32 vcc_lo, exec_lo, s0
	s_cbranch_vccnz .LBB14_126
; %bb.125:
	global_store_b8 v[1:2], v3, off
.LBB14_126:
.LBB14_127:
	v_add_nc_u32_e32 v8, 0x80, v8
	s_mov_b32 s0, -1
	s_branch .LBB14_245
.LBB14_128:
	s_mov_b32 s0, 0
                                        ; implicit-def: $vgpr0
	s_cbranch_execnz .LBB14_163
	s_branch .LBB14_195
.LBB14_129:
	s_mov_b32 s9, -1
	s_mov_b32 s0, 0
                                        ; implicit-def: $vgpr0
	s_branch .LBB14_146
.LBB14_130:
	s_mov_b32 s9, -1
	s_mov_b32 s0, 0
                                        ; implicit-def: $vgpr0
	s_branch .LBB14_141
.LBB14_131:
	s_mov_b32 s9, -1
	s_branch .LBB14_133
.LBB14_132:
	s_mov_b32 s11, -1
.LBB14_133:
	s_mov_b32 s0, 0
                                        ; implicit-def: $vgpr0
.LBB14_134:
	s_and_b32 vcc_lo, exec_lo, s9
	s_cbranch_vccz .LBB14_140
; %bb.135:
	v_cmp_eq_u16_e32 vcc_lo, 44, v9
	s_cbranch_vccz .LBB14_139
; %bb.136:
	global_load_u8 v0, v[2:3], off
	s_mov_b32 s11, 0
	s_mov_b32 s0, -1
	s_waitcnt vmcnt(0)
	v_lshlrev_b32_e32 v1, 23, v0
	v_cmp_ne_u32_e32 vcc_lo, 0, v0
	s_delay_alu instid0(VALU_DEP_2) | instskip(NEXT) | instid1(VALU_DEP_1)
	v_trunc_f32_e32 v1, v1
	v_mul_f32_e64 v4, 0x2f800000, |v1|
	s_delay_alu instid0(VALU_DEP_1) | instskip(NEXT) | instid1(VALU_DEP_1)
	v_floor_f32_e32 v4, v4
	v_fma_f32 v4, 0xcf800000, v4, |v1|
	v_ashrrev_i32_e32 v1, 31, v1
	s_delay_alu instid0(VALU_DEP_2) | instskip(NEXT) | instid1(VALU_DEP_1)
	v_cvt_u32_f32_e32 v4, v4
	v_xor_b32_e32 v4, v4, v1
	s_delay_alu instid0(VALU_DEP_1) | instskip(NEXT) | instid1(VALU_DEP_1)
	v_sub_nc_u32_e32 v1, v4, v1
	v_cndmask_b32_e32 v0, 0, v1, vcc_lo
	s_branch .LBB14_140
.LBB14_137:
	s_or_saveexec_b32 s15, s15
                                        ; implicit-def: $sgpr16
	s_delay_alu instid0(SALU_CYCLE_1)
	s_xor_b32 exec_lo, exec_lo, s15
	s_cbranch_execz .LBB14_39
.LBB14_138:
	v_add_f32_e32 v5, 0x46000000, v6
	s_and_not1_b32 s14, s14, exec_lo
	s_mov_b32 s16, 0
	s_delay_alu instid0(VALU_DEP_1) | instskip(NEXT) | instid1(VALU_DEP_1)
	v_and_b32_e32 v5, 0xff, v5
	v_cmp_ne_u32_e32 vcc_lo, 0, v5
	s_and_b32 s17, vcc_lo, exec_lo
	s_delay_alu instid0(SALU_CYCLE_1)
	s_or_b32 s14, s14, s17
	s_or_b32 exec_lo, exec_lo, s15
	v_mov_b32_e32 v10, s16
	s_and_saveexec_b32 s15, s14
	s_cbranch_execnz .LBB14_40
	s_branch .LBB14_41
.LBB14_139:
	s_mov_b32 s11, -1
                                        ; implicit-def: $vgpr0
.LBB14_140:
	s_mov_b32 s9, 0
.LBB14_141:
	s_delay_alu instid0(SALU_CYCLE_1)
	s_and_b32 vcc_lo, exec_lo, s9
	s_cbranch_vccz .LBB14_145
; %bb.142:
	v_cmp_eq_u16_e32 vcc_lo, 29, v9
	s_cbranch_vccz .LBB14_144
; %bb.143:
	global_load_b64 v[0:1], v[2:3], off
	s_mov_b32 s0, -1
	s_mov_b32 s11, 0
	s_branch .LBB14_145
.LBB14_144:
	s_mov_b32 s11, -1
                                        ; implicit-def: $vgpr0
.LBB14_145:
	s_mov_b32 s9, 0
.LBB14_146:
	s_delay_alu instid0(SALU_CYCLE_1)
	s_and_b32 vcc_lo, exec_lo, s9
	s_cbranch_vccz .LBB14_162
; %bb.147:
	v_cmp_gt_i16_e32 vcc_lo, 27, v9
	s_cbranch_vccnz .LBB14_150
; %bb.148:
	v_cmp_lt_i16_e32 vcc_lo, 27, v9
	s_cbranch_vccz .LBB14_151
; %bb.149:
	global_load_b32 v0, v[2:3], off
	s_mov_b32 s0, 0
	s_branch .LBB14_152
.LBB14_150:
	s_mov_b32 s0, -1
                                        ; implicit-def: $vgpr0
	s_branch .LBB14_155
.LBB14_151:
	s_mov_b32 s0, -1
                                        ; implicit-def: $vgpr0
.LBB14_152:
	s_delay_alu instid0(SALU_CYCLE_1)
	s_and_not1_b32 vcc_lo, exec_lo, s0
	s_cbranch_vccnz .LBB14_154
; %bb.153:
	global_load_u16 v0, v[2:3], off
.LBB14_154:
	s_mov_b32 s0, 0
.LBB14_155:
	s_delay_alu instid0(SALU_CYCLE_1)
	s_and_not1_b32 vcc_lo, exec_lo, s0
	s_cbranch_vccnz .LBB14_161
; %bb.156:
	global_load_u8 v1, v[2:3], off
	s_mov_b32 s9, 0
	s_mov_b32 s0, exec_lo
                                        ; implicit-def: $sgpr14
	s_waitcnt vmcnt(0)
	v_cmpx_lt_i16_e32 0x7f, v1
	s_xor_b32 s0, exec_lo, s0
	s_cbranch_execz .LBB14_172
; %bb.157:
	v_cmp_ne_u16_e32 vcc_lo, 0x80, v1
	s_mov_b32 s14, 0
	s_and_b32 s9, vcc_lo, exec_lo
	s_or_saveexec_b32 s0, s0
	v_mov_b32_e32 v0, s14
	s_xor_b32 exec_lo, exec_lo, s0
	s_cbranch_execnz .LBB14_173
.LBB14_158:
	s_or_b32 exec_lo, exec_lo, s0
	s_and_saveexec_b32 s0, s9
	s_cbranch_execz .LBB14_160
.LBB14_159:
	v_and_b32_e32 v0, 0xffff, v1
	s_delay_alu instid0(VALU_DEP_1) | instskip(NEXT) | instid1(VALU_DEP_1)
	v_and_b32_e32 v4, 7, v0
	v_clz_i32_u32_e32 v5, v4
	s_delay_alu instid0(VALU_DEP_1) | instskip(NEXT) | instid1(VALU_DEP_1)
	v_min_u32_e32 v5, 32, v5
	v_subrev_nc_u32_e32 v6, 28, v5
	v_sub_nc_u32_e32 v5, 29, v5
	s_delay_alu instid0(VALU_DEP_2) | instskip(SKIP_1) | instid1(VALU_DEP_2)
	v_lshlrev_b32_e32 v6, v6, v0
	v_bfe_u32 v0, v0, 3, 4
	v_and_b32_e32 v6, 7, v6
	s_delay_alu instid0(VALU_DEP_2) | instskip(NEXT) | instid1(VALU_DEP_2)
	v_cmp_eq_u32_e32 vcc_lo, 0, v0
	v_dual_cndmask_b32 v4, v4, v6 :: v_dual_lshlrev_b32 v1, 24, v1
	v_cndmask_b32_e32 v0, v0, v5, vcc_lo
	s_delay_alu instid0(VALU_DEP_2) | instskip(NEXT) | instid1(VALU_DEP_3)
	v_and_b32_e32 v1, 0x80000000, v1
	v_lshlrev_b32_e32 v4, 20, v4
	s_delay_alu instid0(VALU_DEP_3) | instskip(NEXT) | instid1(VALU_DEP_1)
	v_lshl_add_u32 v0, v0, 23, 0x3b800000
	v_or3_b32 v0, v1, v0, v4
	s_delay_alu instid0(VALU_DEP_1) | instskip(NEXT) | instid1(VALU_DEP_1)
	v_trunc_f32_e32 v0, v0
	v_mul_f32_e64 v1, 0x2f800000, |v0|
	s_delay_alu instid0(VALU_DEP_1) | instskip(NEXT) | instid1(VALU_DEP_1)
	v_floor_f32_e32 v1, v1
	v_fma_f32 v1, 0xcf800000, v1, |v0|
	v_ashrrev_i32_e32 v0, 31, v0
	s_delay_alu instid0(VALU_DEP_2) | instskip(NEXT) | instid1(VALU_DEP_1)
	v_cvt_u32_f32_e32 v1, v1
	v_xor_b32_e32 v1, v1, v0
	s_delay_alu instid0(VALU_DEP_1)
	v_sub_nc_u32_e32 v0, v1, v0
.LBB14_160:
	s_or_b32 exec_lo, exec_lo, s0
.LBB14_161:
	s_mov_b32 s0, -1
.LBB14_162:
	s_branch .LBB14_195
.LBB14_163:
	v_cmp_lt_i16_e32 vcc_lo, 22, v9
	s_cbranch_vccz .LBB14_171
; %bb.164:
	v_cmp_gt_i16_e32 vcc_lo, 24, v9
	s_cbranch_vccnz .LBB14_174
; %bb.165:
	v_cmp_lt_i16_e32 vcc_lo, 24, v9
	s_cbranch_vccz .LBB14_175
; %bb.166:
	global_load_u8 v1, v[2:3], off
	s_mov_b32 s9, 0
	s_mov_b32 s0, exec_lo
                                        ; implicit-def: $sgpr14
	s_waitcnt vmcnt(0)
	v_cmpx_lt_i16_e32 0x7f, v1
	s_xor_b32 s0, exec_lo, s0
	s_cbranch_execz .LBB14_187
; %bb.167:
	v_cmp_ne_u16_e32 vcc_lo, 0x80, v1
	s_mov_b32 s14, 0
	s_and_b32 s9, vcc_lo, exec_lo
	s_or_saveexec_b32 s0, s0
	v_mov_b32_e32 v0, s14
	s_xor_b32 exec_lo, exec_lo, s0
	s_cbranch_execnz .LBB14_188
.LBB14_168:
	s_or_b32 exec_lo, exec_lo, s0
	s_and_saveexec_b32 s0, s9
	s_cbranch_execz .LBB14_170
.LBB14_169:
	v_and_b32_e32 v0, 0xffff, v1
	s_delay_alu instid0(VALU_DEP_1) | instskip(NEXT) | instid1(VALU_DEP_1)
	v_and_b32_e32 v4, 3, v0
	v_clz_i32_u32_e32 v5, v4
	s_delay_alu instid0(VALU_DEP_1) | instskip(NEXT) | instid1(VALU_DEP_1)
	v_min_u32_e32 v5, 32, v5
	v_subrev_nc_u32_e32 v6, 29, v5
	v_sub_nc_u32_e32 v5, 30, v5
	s_delay_alu instid0(VALU_DEP_2) | instskip(SKIP_1) | instid1(VALU_DEP_2)
	v_lshlrev_b32_e32 v6, v6, v0
	v_bfe_u32 v0, v0, 2, 5
	v_and_b32_e32 v6, 3, v6
	s_delay_alu instid0(VALU_DEP_2) | instskip(NEXT) | instid1(VALU_DEP_2)
	v_cmp_eq_u32_e32 vcc_lo, 0, v0
	v_dual_cndmask_b32 v4, v4, v6 :: v_dual_lshlrev_b32 v1, 24, v1
	v_cndmask_b32_e32 v0, v0, v5, vcc_lo
	s_delay_alu instid0(VALU_DEP_2) | instskip(NEXT) | instid1(VALU_DEP_3)
	v_and_b32_e32 v1, 0x80000000, v1
	v_lshlrev_b32_e32 v4, 21, v4
	s_delay_alu instid0(VALU_DEP_3) | instskip(NEXT) | instid1(VALU_DEP_1)
	v_lshl_add_u32 v0, v0, 23, 0x37800000
	v_or3_b32 v0, v1, v0, v4
	s_delay_alu instid0(VALU_DEP_1) | instskip(NEXT) | instid1(VALU_DEP_1)
	v_trunc_f32_e32 v0, v0
	v_mul_f32_e64 v1, 0x2f800000, |v0|
	s_delay_alu instid0(VALU_DEP_1) | instskip(NEXT) | instid1(VALU_DEP_1)
	v_floor_f32_e32 v1, v1
	v_fma_f32 v1, 0xcf800000, v1, |v0|
	v_ashrrev_i32_e32 v0, 31, v0
	s_delay_alu instid0(VALU_DEP_2) | instskip(NEXT) | instid1(VALU_DEP_1)
	v_cvt_u32_f32_e32 v1, v1
	v_xor_b32_e32 v1, v1, v0
	s_delay_alu instid0(VALU_DEP_1)
	v_sub_nc_u32_e32 v0, v1, v0
.LBB14_170:
	s_or_b32 exec_lo, exec_lo, s0
	s_mov_b32 s0, 0
	s_branch .LBB14_176
.LBB14_171:
	s_mov_b32 s9, -1
                                        ; implicit-def: $vgpr0
	s_branch .LBB14_182
.LBB14_172:
	s_or_saveexec_b32 s0, s0
	v_mov_b32_e32 v0, s14
	s_xor_b32 exec_lo, exec_lo, s0
	s_cbranch_execz .LBB14_158
.LBB14_173:
	v_cmp_ne_u16_e32 vcc_lo, 0, v1
	v_mov_b32_e32 v0, 0
	s_and_not1_b32 s9, s9, exec_lo
	s_and_b32 s14, vcc_lo, exec_lo
	s_delay_alu instid0(SALU_CYCLE_1)
	s_or_b32 s9, s9, s14
	s_or_b32 exec_lo, exec_lo, s0
	s_and_saveexec_b32 s0, s9
	s_cbranch_execnz .LBB14_159
	s_branch .LBB14_160
.LBB14_174:
	s_mov_b32 s0, -1
                                        ; implicit-def: $vgpr0
	s_branch .LBB14_179
.LBB14_175:
	s_mov_b32 s0, -1
                                        ; implicit-def: $vgpr0
.LBB14_176:
	s_delay_alu instid0(SALU_CYCLE_1)
	s_and_b32 vcc_lo, exec_lo, s0
	s_cbranch_vccz .LBB14_178
; %bb.177:
	global_load_u8 v0, v[2:3], off
	s_waitcnt vmcnt(0)
	v_lshlrev_b32_e32 v0, 24, v0
	s_delay_alu instid0(VALU_DEP_1) | instskip(NEXT) | instid1(VALU_DEP_1)
	v_and_b32_e32 v1, 0x7f000000, v0
	v_clz_i32_u32_e32 v4, v1
	v_cmp_ne_u32_e32 vcc_lo, 0, v1
	v_add_nc_u32_e32 v6, 0x1000000, v1
	s_delay_alu instid0(VALU_DEP_3) | instskip(NEXT) | instid1(VALU_DEP_1)
	v_min_u32_e32 v4, 32, v4
	v_sub_nc_u32_e64 v4, v4, 4 clamp
	s_delay_alu instid0(VALU_DEP_1) | instskip(SKIP_1) | instid1(VALU_DEP_2)
	v_lshlrev_b32_e32 v5, v4, v1
	v_lshlrev_b32_e32 v4, 23, v4
	v_lshrrev_b32_e32 v5, 4, v5
	s_delay_alu instid0(VALU_DEP_1) | instskip(SKIP_1) | instid1(VALU_DEP_2)
	v_sub_nc_u32_e32 v4, v5, v4
	v_ashrrev_i32_e32 v5, 8, v6
	v_add_nc_u32_e32 v4, 0x3c000000, v4
	s_delay_alu instid0(VALU_DEP_1) | instskip(NEXT) | instid1(VALU_DEP_1)
	v_and_or_b32 v4, 0x7f800000, v5, v4
	v_cndmask_b32_e32 v1, 0, v4, vcc_lo
	s_delay_alu instid0(VALU_DEP_1) | instskip(NEXT) | instid1(VALU_DEP_1)
	v_and_or_b32 v0, 0x80000000, v0, v1
	v_trunc_f32_e32 v0, v0
	s_delay_alu instid0(VALU_DEP_1) | instskip(NEXT) | instid1(VALU_DEP_1)
	v_mul_f32_e64 v1, 0x2f800000, |v0|
	v_floor_f32_e32 v1, v1
	s_delay_alu instid0(VALU_DEP_1) | instskip(SKIP_1) | instid1(VALU_DEP_2)
	v_fma_f32 v1, 0xcf800000, v1, |v0|
	v_ashrrev_i32_e32 v0, 31, v0
	v_cvt_u32_f32_e32 v1, v1
	s_delay_alu instid0(VALU_DEP_1) | instskip(NEXT) | instid1(VALU_DEP_1)
	v_xor_b32_e32 v1, v1, v0
	v_sub_nc_u32_e32 v0, v1, v0
.LBB14_178:
	s_mov_b32 s0, 0
.LBB14_179:
	s_delay_alu instid0(SALU_CYCLE_1)
	s_and_not1_b32 vcc_lo, exec_lo, s0
	s_cbranch_vccnz .LBB14_181
; %bb.180:
	global_load_u8 v0, v[2:3], off
	s_waitcnt vmcnt(0)
	v_lshlrev_b32_e32 v1, 25, v0
	v_lshlrev_b16 v0, 8, v0
	s_delay_alu instid0(VALU_DEP_2) | instskip(NEXT) | instid1(VALU_DEP_2)
	v_lshrrev_b32_e32 v4, 4, v1
	v_and_or_b32 v5, 0x7f00, v0, 0.5
	v_cmp_gt_u32_e32 vcc_lo, 0x8000000, v1
	v_bfe_i32 v0, v0, 0, 16
	s_delay_alu instid0(VALU_DEP_4) | instskip(NEXT) | instid1(VALU_DEP_1)
	v_or_b32_e32 v4, 0x70000000, v4
	v_dual_add_f32 v5, -0.5, v5 :: v_dual_mul_f32 v4, 0x7800000, v4
	s_delay_alu instid0(VALU_DEP_1) | instskip(NEXT) | instid1(VALU_DEP_1)
	v_cndmask_b32_e32 v1, v4, v5, vcc_lo
	v_and_or_b32 v0, 0x80000000, v0, v1
	s_delay_alu instid0(VALU_DEP_1) | instskip(NEXT) | instid1(VALU_DEP_1)
	v_trunc_f32_e32 v0, v0
	v_mul_f32_e64 v1, 0x2f800000, |v0|
	s_delay_alu instid0(VALU_DEP_1) | instskip(NEXT) | instid1(VALU_DEP_1)
	v_floor_f32_e32 v1, v1
	v_fma_f32 v1, 0xcf800000, v1, |v0|
	v_ashrrev_i32_e32 v0, 31, v0
	s_delay_alu instid0(VALU_DEP_2) | instskip(NEXT) | instid1(VALU_DEP_1)
	v_cvt_u32_f32_e32 v1, v1
	v_xor_b32_e32 v1, v1, v0
	s_delay_alu instid0(VALU_DEP_1)
	v_sub_nc_u32_e32 v0, v1, v0
.LBB14_181:
	s_mov_b32 s9, 0
	s_mov_b32 s0, -1
.LBB14_182:
	s_and_not1_b32 vcc_lo, exec_lo, s9
	s_cbranch_vccnz .LBB14_195
; %bb.183:
	v_cmp_lt_i16_e32 vcc_lo, 14, v9
	s_cbranch_vccz .LBB14_186
; %bb.184:
	v_cmp_eq_u16_e32 vcc_lo, 15, v9
	s_cbranch_vccz .LBB14_189
; %bb.185:
	global_load_u16 v0, v[2:3], off
	s_mov_b32 s0, -1
	s_mov_b32 s11, 0
	s_waitcnt vmcnt(0)
	v_lshlrev_b32_e32 v0, 16, v0
	s_delay_alu instid0(VALU_DEP_1) | instskip(NEXT) | instid1(VALU_DEP_1)
	v_trunc_f32_e32 v0, v0
	v_mul_f32_e64 v1, 0x2f800000, |v0|
	s_delay_alu instid0(VALU_DEP_1) | instskip(NEXT) | instid1(VALU_DEP_1)
	v_floor_f32_e32 v1, v1
	v_fma_f32 v1, 0xcf800000, v1, |v0|
	v_ashrrev_i32_e32 v0, 31, v0
	s_delay_alu instid0(VALU_DEP_2) | instskip(NEXT) | instid1(VALU_DEP_1)
	v_cvt_u32_f32_e32 v1, v1
	v_xor_b32_e32 v1, v1, v0
	s_delay_alu instid0(VALU_DEP_1)
	v_sub_nc_u32_e32 v0, v1, v0
	s_branch .LBB14_190
.LBB14_186:
	s_mov_b32 s9, -1
                                        ; implicit-def: $vgpr0
	s_branch .LBB14_191
.LBB14_187:
	s_or_saveexec_b32 s0, s0
	v_mov_b32_e32 v0, s14
	s_xor_b32 exec_lo, exec_lo, s0
	s_cbranch_execz .LBB14_168
.LBB14_188:
	v_cmp_ne_u16_e32 vcc_lo, 0, v1
	v_mov_b32_e32 v0, 0
	s_and_not1_b32 s9, s9, exec_lo
	s_and_b32 s14, vcc_lo, exec_lo
	s_delay_alu instid0(SALU_CYCLE_1)
	s_or_b32 s9, s9, s14
	s_or_b32 exec_lo, exec_lo, s0
	s_and_saveexec_b32 s0, s9
	s_cbranch_execnz .LBB14_169
	s_branch .LBB14_170
.LBB14_189:
	s_mov_b32 s11, -1
                                        ; implicit-def: $vgpr0
.LBB14_190:
	s_mov_b32 s9, 0
.LBB14_191:
	s_delay_alu instid0(SALU_CYCLE_1)
	s_and_b32 vcc_lo, exec_lo, s9
	s_cbranch_vccz .LBB14_195
; %bb.192:
	v_cmp_eq_u16_e32 vcc_lo, 11, v9
	s_cbranch_vccz .LBB14_194
; %bb.193:
	global_load_u8 v0, v[2:3], off
	s_mov_b32 s11, 0
	s_mov_b32 s0, -1
	s_waitcnt vmcnt(0)
	v_cmp_ne_u16_e32 vcc_lo, 0, v0
	v_cndmask_b32_e64 v0, 0, 1, vcc_lo
	s_branch .LBB14_195
.LBB14_194:
	s_mov_b32 s11, -1
                                        ; implicit-def: $vgpr0
.LBB14_195:
	s_branch .LBB14_10
.LBB14_196:
	v_cmp_gt_i16_e32 vcc_lo, 5, v9
	s_cbranch_vccnz .LBB14_201
; %bb.197:
	v_cmp_gt_i16_e32 vcc_lo, 8, v9
	s_cbranch_vccnz .LBB14_202
; %bb.198:
	;; [unrolled: 3-line block ×3, first 2 shown]
	v_cmp_lt_i16_e32 vcc_lo, 9, v9
	s_cbranch_vccz .LBB14_204
; %bb.200:
	global_load_b64 v[0:1], v[2:3], off
	s_mov_b32 s0, 0
	s_waitcnt vmcnt(0)
	v_trunc_f64_e32 v[0:1], v[0:1]
	s_delay_alu instid0(VALU_DEP_1) | instskip(NEXT) | instid1(VALU_DEP_1)
	v_ldexp_f64 v[4:5], v[0:1], 0xffffffe0
	v_floor_f64_e32 v[4:5], v[4:5]
	s_delay_alu instid0(VALU_DEP_1) | instskip(NEXT) | instid1(VALU_DEP_1)
	v_fma_f64 v[0:1], 0xc1f00000, v[4:5], v[0:1]
	v_cvt_u32_f64_e32 v0, v[0:1]
	s_branch .LBB14_205
.LBB14_201:
                                        ; implicit-def: $vgpr0
	s_branch .LBB14_223
.LBB14_202:
	s_mov_b32 s0, -1
                                        ; implicit-def: $vgpr0
	s_branch .LBB14_211
.LBB14_203:
	s_mov_b32 s0, -1
                                        ; implicit-def: $vgpr0
	s_branch .LBB14_208
.LBB14_204:
	s_mov_b32 s0, -1
                                        ; implicit-def: $vgpr0
.LBB14_205:
	s_delay_alu instid0(SALU_CYCLE_1)
	s_and_not1_b32 vcc_lo, exec_lo, s0
	s_cbranch_vccnz .LBB14_207
; %bb.206:
	global_load_b32 v0, v[2:3], off
	s_waitcnt vmcnt(0)
	v_trunc_f32_e32 v0, v0
	s_delay_alu instid0(VALU_DEP_1) | instskip(NEXT) | instid1(VALU_DEP_1)
	v_mul_f32_e64 v1, 0x2f800000, |v0|
	v_floor_f32_e32 v1, v1
	s_delay_alu instid0(VALU_DEP_1) | instskip(SKIP_1) | instid1(VALU_DEP_2)
	v_fma_f32 v1, 0xcf800000, v1, |v0|
	v_ashrrev_i32_e32 v0, 31, v0
	v_cvt_u32_f32_e32 v1, v1
	s_delay_alu instid0(VALU_DEP_1) | instskip(NEXT) | instid1(VALU_DEP_1)
	v_xor_b32_e32 v1, v1, v0
	v_sub_nc_u32_e32 v0, v1, v0
.LBB14_207:
	s_mov_b32 s0, 0
.LBB14_208:
	s_delay_alu instid0(SALU_CYCLE_1)
	s_and_not1_b32 vcc_lo, exec_lo, s0
	s_cbranch_vccnz .LBB14_210
; %bb.209:
	global_load_b32 v0, v[2:3], off
	s_waitcnt vmcnt(0)
	v_cvt_f32_f16_e32 v0, v0
	s_delay_alu instid0(VALU_DEP_1)
	v_cvt_i32_f32_e32 v0, v0
.LBB14_210:
	s_mov_b32 s0, 0
.LBB14_211:
	s_delay_alu instid0(SALU_CYCLE_1)
	s_and_not1_b32 vcc_lo, exec_lo, s0
	s_cbranch_vccnz .LBB14_222
; %bb.212:
	v_cmp_gt_i16_e32 vcc_lo, 6, v9
	s_cbranch_vccnz .LBB14_215
; %bb.213:
	v_cmp_lt_i16_e32 vcc_lo, 6, v9
	s_cbranch_vccz .LBB14_216
; %bb.214:
	global_load_b64 v[0:1], v[2:3], off
	s_mov_b32 s0, 0
	s_waitcnt vmcnt(0)
	v_trunc_f64_e32 v[0:1], v[0:1]
	s_delay_alu instid0(VALU_DEP_1) | instskip(NEXT) | instid1(VALU_DEP_1)
	v_ldexp_f64 v[4:5], v[0:1], 0xffffffe0
	v_floor_f64_e32 v[4:5], v[4:5]
	s_delay_alu instid0(VALU_DEP_1) | instskip(NEXT) | instid1(VALU_DEP_1)
	v_fma_f64 v[0:1], 0xc1f00000, v[4:5], v[0:1]
	v_cvt_u32_f64_e32 v0, v[0:1]
	s_branch .LBB14_217
.LBB14_215:
	s_mov_b32 s0, -1
                                        ; implicit-def: $vgpr0
	s_branch .LBB14_220
.LBB14_216:
	s_mov_b32 s0, -1
                                        ; implicit-def: $vgpr0
.LBB14_217:
	s_delay_alu instid0(SALU_CYCLE_1)
	s_and_not1_b32 vcc_lo, exec_lo, s0
	s_cbranch_vccnz .LBB14_219
; %bb.218:
	global_load_b32 v0, v[2:3], off
	s_waitcnt vmcnt(0)
	v_trunc_f32_e32 v0, v0
	s_delay_alu instid0(VALU_DEP_1) | instskip(NEXT) | instid1(VALU_DEP_1)
	v_mul_f32_e64 v1, 0x2f800000, |v0|
	v_floor_f32_e32 v1, v1
	s_delay_alu instid0(VALU_DEP_1) | instskip(SKIP_1) | instid1(VALU_DEP_2)
	v_fma_f32 v1, 0xcf800000, v1, |v0|
	v_ashrrev_i32_e32 v0, 31, v0
	v_cvt_u32_f32_e32 v1, v1
	s_delay_alu instid0(VALU_DEP_1) | instskip(NEXT) | instid1(VALU_DEP_1)
	v_xor_b32_e32 v1, v1, v0
	v_sub_nc_u32_e32 v0, v1, v0
.LBB14_219:
	s_mov_b32 s0, 0
.LBB14_220:
	s_delay_alu instid0(SALU_CYCLE_1)
	s_and_not1_b32 vcc_lo, exec_lo, s0
	s_cbranch_vccnz .LBB14_222
; %bb.221:
	global_load_u16 v0, v[2:3], off
	s_waitcnt vmcnt(0)
	v_cvt_f32_f16_e32 v0, v0
	s_delay_alu instid0(VALU_DEP_1)
	v_cvt_i32_f32_e32 v0, v0
.LBB14_222:
	s_cbranch_execnz .LBB14_242
.LBB14_223:
	v_cmp_gt_i16_e32 vcc_lo, 2, v9
	s_cbranch_vccnz .LBB14_227
; %bb.224:
	v_cmp_gt_i16_e32 vcc_lo, 3, v9
	s_cbranch_vccnz .LBB14_228
; %bb.225:
	v_cmp_lt_i16_e32 vcc_lo, 3, v9
	s_cbranch_vccz .LBB14_229
; %bb.226:
	global_load_b64 v[0:1], v[2:3], off
	s_mov_b32 s0, 0
	s_branch .LBB14_230
.LBB14_227:
	s_mov_b32 s0, -1
                                        ; implicit-def: $vgpr0
	s_branch .LBB14_236
.LBB14_228:
	s_mov_b32 s0, -1
                                        ; implicit-def: $vgpr0
	s_branch .LBB14_233
.LBB14_229:
	s_mov_b32 s0, -1
                                        ; implicit-def: $vgpr0
.LBB14_230:
	s_delay_alu instid0(SALU_CYCLE_1)
	s_and_not1_b32 vcc_lo, exec_lo, s0
	s_cbranch_vccnz .LBB14_232
; %bb.231:
	global_load_b32 v0, v[2:3], off
.LBB14_232:
	s_mov_b32 s0, 0
.LBB14_233:
	s_delay_alu instid0(SALU_CYCLE_1)
	s_and_not1_b32 vcc_lo, exec_lo, s0
	s_cbranch_vccnz .LBB14_235
; %bb.234:
	global_load_u16 v0, v[2:3], off
.LBB14_235:
	s_mov_b32 s0, 0
.LBB14_236:
	s_delay_alu instid0(SALU_CYCLE_1)
	s_and_not1_b32 vcc_lo, exec_lo, s0
	s_cbranch_vccnz .LBB14_242
; %bb.237:
	v_cmp_lt_i16_e32 vcc_lo, 0, v9
	s_mov_b32 s0, 0
	s_cbranch_vccz .LBB14_239
; %bb.238:
	global_load_u8 v0, v[2:3], off
	s_branch .LBB14_240
.LBB14_239:
	s_mov_b32 s0, -1
                                        ; implicit-def: $vgpr0
.LBB14_240:
	s_delay_alu instid0(SALU_CYCLE_1)
	s_and_not1_b32 vcc_lo, exec_lo, s0
	s_cbranch_vccnz .LBB14_242
; %bb.241:
	global_load_u8 v0, v[2:3], off
.LBB14_242:
	s_branch .LBB14_11
.LBB14_243:
	s_mov_b32 s9, 0
.LBB14_244:
	s_mov_b32 s0, 0
                                        ; implicit-def: $vgpr8
.LBB14_245:
	s_and_b32 s9, s9, exec_lo
	s_and_b32 s11, s11, exec_lo
	s_or_not1_b32 s15, s0, exec_lo
.LBB14_246:
	s_or_b32 exec_lo, exec_lo, s12
	s_mov_b32 s14, 0
	s_mov_b32 s0, 0
                                        ; implicit-def: $vgpr2_vgpr3
                                        ; implicit-def: $vgpr0
	s_and_saveexec_b32 s12, s15
	s_cbranch_execz .LBB14_838
; %bb.247:
	s_mov_b32 s17, -1
	s_mov_b32 s13, s11
	s_mov_b32 s14, s9
	s_mov_b32 s15, exec_lo
	v_cmpx_gt_i32_e64 s10, v8
	s_cbranch_execz .LBB14_499
; %bb.248:
	s_waitcnt vmcnt(0)
	v_mul_lo_u32 v0, v8, s3
	v_cmp_gt_i16_e32 vcc_lo, 11, v9
	s_delay_alu instid0(VALU_DEP_2) | instskip(SKIP_1) | instid1(VALU_DEP_1)
	v_ashrrev_i32_e32 v1, 31, v0
	v_add_co_u32 v2, s0, s6, v0
	v_add_co_ci_u32_e64 v3, s0, s7, v1, s0
	s_cbranch_vccnz .LBB14_255
; %bb.249:
	v_cmp_lt_i16_e32 vcc_lo, 25, v9
	s_cbranch_vccz .LBB14_304
; %bb.250:
	v_cmp_lt_i16_e32 vcc_lo, 28, v9
	s_cbranch_vccz .LBB14_305
	;; [unrolled: 3-line block ×4, first 2 shown]
; %bb.253:
	v_cmp_eq_u16_e32 vcc_lo, 46, v9
	s_mov_b32 s14, 0
	s_cbranch_vccz .LBB14_313
; %bb.254:
	global_load_b32 v0, v[2:3], off
	s_mov_b32 s0, -1
	s_mov_b32 s13, 0
	s_waitcnt vmcnt(0)
	v_lshlrev_b32_e32 v0, 16, v0
	s_delay_alu instid0(VALU_DEP_1) | instskip(NEXT) | instid1(VALU_DEP_1)
	v_trunc_f32_e32 v0, v0
	v_mul_f32_e64 v1, 0x2f800000, |v0|
	s_delay_alu instid0(VALU_DEP_1) | instskip(NEXT) | instid1(VALU_DEP_1)
	v_floor_f32_e32 v1, v1
	v_fma_f32 v1, 0xcf800000, v1, |v0|
	v_ashrrev_i32_e32 v0, 31, v0
	s_delay_alu instid0(VALU_DEP_2) | instskip(NEXT) | instid1(VALU_DEP_1)
	v_cvt_u32_f32_e32 v1, v1
	v_xor_b32_e32 v1, v1, v0
	s_delay_alu instid0(VALU_DEP_1)
	v_sub_nc_u32_e32 v0, v1, v0
	s_branch .LBB14_315
.LBB14_255:
	s_mov_b32 s0, 0
	s_mov_b32 s13, s11
                                        ; implicit-def: $vgpr0
	s_cbranch_execnz .LBB14_448
.LBB14_256:
	s_and_not1_b32 vcc_lo, exec_lo, s0
	s_cbranch_vccnz .LBB14_496
.LBB14_257:
	s_waitcnt vmcnt(0)
	v_mul_lo_u32 v1, v8, s2
	v_and_b32_e32 v4, 0xff, v7
	s_delay_alu instid0(VALU_DEP_3) | instskip(SKIP_2) | instid1(VALU_DEP_2)
	v_xor_b32_e32 v3, -1, v0
	s_mov_b32 s16, -1
	s_mov_b32 s14, 0
	v_cmp_gt_i16_e32 vcc_lo, 11, v4
	s_delay_alu instid0(VALU_DEP_4) | instskip(SKIP_1) | instid1(VALU_DEP_1)
	v_ashrrev_i32_e32 v2, 31, v1
	v_add_co_u32 v1, s0, s4, v1
	v_add_co_ci_u32_e64 v2, s0, s5, v2, s0
	s_mov_b32 s0, s9
	s_cbranch_vccnz .LBB14_264
; %bb.258:
	v_cmp_lt_i16_e32 vcc_lo, 25, v4
	s_cbranch_vccz .LBB14_306
; %bb.259:
	v_cmp_lt_i16_e32 vcc_lo, 28, v4
	s_cbranch_vccz .LBB14_308
	;; [unrolled: 3-line block ×4, first 2 shown]
; %bb.262:
	v_cmp_eq_u16_e32 vcc_lo, 46, v4
	s_mov_b32 s16, 0
	s_mov_b32 s0, -1
	s_cbranch_vccz .LBB14_319
; %bb.263:
	v_cvt_f32_ubyte0_e32 v5, v3
	s_mov_b32 s14, -1
	s_mov_b32 s0, 0
	s_delay_alu instid0(VALU_DEP_1) | instskip(NEXT) | instid1(VALU_DEP_1)
	v_bfe_u32 v6, v5, 16, 1
	v_add3_u32 v5, v5, v6, 0x7fff
	s_delay_alu instid0(VALU_DEP_1)
	v_lshrrev_b32_e32 v5, 16, v5
	global_store_b32 v[1:2], v5, off
	s_branch .LBB14_319
.LBB14_264:
	s_and_b32 vcc_lo, exec_lo, s16
	s_cbranch_vccz .LBB14_388
; %bb.265:
	v_cmp_gt_i16_e32 vcc_lo, 5, v4
	s_mov_b32 s14, -1
	s_cbranch_vccnz .LBB14_286
; %bb.266:
	v_cmp_gt_i16_e32 vcc_lo, 8, v4
	s_cbranch_vccnz .LBB14_276
; %bb.267:
	v_cmp_gt_i16_e32 vcc_lo, 9, v4
	s_cbranch_vccnz .LBB14_273
; %bb.268:
	v_cmp_lt_i16_e32 vcc_lo, 9, v4
	s_cbranch_vccz .LBB14_270
; %bb.269:
	v_mov_b32_e32 v12, 0
	v_and_b32_e32 v0, 0xff, v3
	s_mov_b32 s14, 0
	s_delay_alu instid0(VALU_DEP_1) | instskip(NEXT) | instid1(VALU_DEP_1)
	v_dual_mov_b32 v13, v12 :: v_dual_and_b32 v0, 0xffff, v0
	v_cvt_f64_u32_e32 v[10:11], v0
	global_store_b128 v[1:2], v[10:13], off
.LBB14_270:
	s_and_not1_b32 vcc_lo, exec_lo, s14
	s_cbranch_vccnz .LBB14_272
; %bb.271:
	v_cvt_f32_ubyte0_e32 v5, v3
	v_mov_b32_e32 v6, 0
	global_store_b64 v[1:2], v[5:6], off
.LBB14_272:
	s_mov_b32 s14, 0
.LBB14_273:
	s_delay_alu instid0(SALU_CYCLE_1)
	s_and_not1_b32 vcc_lo, exec_lo, s14
	s_cbranch_vccnz .LBB14_275
; %bb.274:
	v_and_b32_e32 v0, 0xff, v3
	s_delay_alu instid0(VALU_DEP_1) | instskip(NEXT) | instid1(VALU_DEP_1)
	v_cvt_f16_u16_e32 v0, v0
	v_and_b32_e32 v0, 0xffff, v0
	global_store_b32 v[1:2], v0, off
.LBB14_275:
	s_mov_b32 s14, 0
.LBB14_276:
	s_delay_alu instid0(SALU_CYCLE_1)
	s_and_not1_b32 vcc_lo, exec_lo, s14
	s_cbranch_vccnz .LBB14_285
; %bb.277:
	v_cmp_gt_i16_e32 vcc_lo, 6, v4
	s_mov_b32 s14, -1
	s_cbranch_vccnz .LBB14_283
; %bb.278:
	v_cmp_lt_i16_e32 vcc_lo, 6, v4
	s_cbranch_vccz .LBB14_280
; %bb.279:
	v_and_b32_e32 v0, 0xff, v3
	s_mov_b32 s14, 0
	s_delay_alu instid0(VALU_DEP_1) | instskip(NEXT) | instid1(VALU_DEP_1)
	v_and_b32_e32 v0, 0xffff, v0
	v_cvt_f64_u32_e32 v[5:6], v0
	global_store_b64 v[1:2], v[5:6], off
.LBB14_280:
	s_and_not1_b32 vcc_lo, exec_lo, s14
	s_cbranch_vccnz .LBB14_282
; %bb.281:
	v_cvt_f32_ubyte0_e32 v0, v3
	global_store_b32 v[1:2], v0, off
.LBB14_282:
	s_mov_b32 s14, 0
.LBB14_283:
	s_delay_alu instid0(SALU_CYCLE_1)
	s_and_not1_b32 vcc_lo, exec_lo, s14
	s_cbranch_vccnz .LBB14_285
; %bb.284:
	v_and_b32_e32 v0, 0xff, v3
	s_delay_alu instid0(VALU_DEP_1)
	v_cvt_f16_u16_e32 v0, v0
	global_store_b16 v[1:2], v0, off
.LBB14_285:
	s_mov_b32 s14, 0
.LBB14_286:
	s_delay_alu instid0(SALU_CYCLE_1)
	s_and_not1_b32 vcc_lo, exec_lo, s14
	s_cbranch_vccnz .LBB14_302
; %bb.287:
	v_cmp_gt_i16_e32 vcc_lo, 2, v4
	s_mov_b32 s14, -1
	s_cbranch_vccnz .LBB14_297
; %bb.288:
	v_cmp_gt_i16_e32 vcc_lo, 3, v4
	s_cbranch_vccnz .LBB14_294
; %bb.289:
	v_cmp_lt_i16_e32 vcc_lo, 3, v4
	s_cbranch_vccz .LBB14_291
; %bb.290:
	v_dual_mov_b32 v6, 0 :: v_dual_and_b32 v5, 0xff, v3
	s_mov_b32 s14, 0
	global_store_b64 v[1:2], v[5:6], off
.LBB14_291:
	s_and_not1_b32 vcc_lo, exec_lo, s14
	s_cbranch_vccnz .LBB14_293
; %bb.292:
	v_and_b32_e32 v0, 0xff, v3
	global_store_b32 v[1:2], v0, off
.LBB14_293:
	s_mov_b32 s14, 0
.LBB14_294:
	s_delay_alu instid0(SALU_CYCLE_1)
	s_and_not1_b32 vcc_lo, exec_lo, s14
	s_cbranch_vccnz .LBB14_296
; %bb.295:
	v_and_b32_e32 v0, 0xff, v3
	global_store_b16 v[1:2], v0, off
.LBB14_296:
	s_mov_b32 s14, 0
.LBB14_297:
	s_delay_alu instid0(SALU_CYCLE_1)
	s_and_not1_b32 vcc_lo, exec_lo, s14
	s_cbranch_vccnz .LBB14_302
; %bb.298:
	v_cmp_lt_i16_e32 vcc_lo, 0, v4
	s_mov_b32 s14, -1
	s_cbranch_vccz .LBB14_300
; %bb.299:
	s_mov_b32 s14, 0
	global_store_b8 v[1:2], v3, off
.LBB14_300:
	s_and_not1_b32 vcc_lo, exec_lo, s14
	s_cbranch_vccnz .LBB14_302
; %bb.301:
	global_store_b8 v[1:2], v3, off
.LBB14_302:
	s_branch .LBB14_389
.LBB14_303:
	s_mov_b32 s16, 0
	s_branch .LBB14_497
.LBB14_304:
	s_mov_b32 s14, -1
	s_mov_b32 s0, 0
	s_mov_b32 s13, s11
                                        ; implicit-def: $vgpr0
	s_branch .LBB14_414
.LBB14_305:
	s_mov_b32 s14, -1
	s_mov_b32 s0, 0
	s_mov_b32 s13, s11
                                        ; implicit-def: $vgpr0
	s_branch .LBB14_397
.LBB14_306:
	s_mov_b32 s0, s9
	s_branch .LBB14_346
.LBB14_307:
	s_mov_b32 s14, -1
	s_mov_b32 s0, 0
	s_mov_b32 s13, s11
                                        ; implicit-def: $vgpr0
	s_branch .LBB14_392
.LBB14_308:
	s_mov_b32 s0, s9
	s_branch .LBB14_329
.LBB14_309:
	s_mov_b32 s14, -1
	s_mov_b32 s0, 0
	s_mov_b32 s13, s11
	s_branch .LBB14_314
.LBB14_310:
	s_mov_b32 s0, s9
	s_branch .LBB14_325
.LBB14_311:
	s_or_saveexec_b32 s15, s15
                                        ; implicit-def: $sgpr16
	s_delay_alu instid0(SALU_CYCLE_1)
	s_xor_b32 exec_lo, exec_lo, s15
	s_cbranch_execz .LBB14_52
.LBB14_312:
	v_add_f32_e32 v5, 0x42800000, v6
	s_and_not1_b32 s14, s14, exec_lo
	s_mov_b32 s16, 0
	s_delay_alu instid0(VALU_DEP_1) | instskip(NEXT) | instid1(VALU_DEP_1)
	v_and_b32_e32 v5, 0xff, v5
	v_cmp_ne_u32_e32 vcc_lo, 0, v5
	s_and_b32 s17, vcc_lo, exec_lo
	s_delay_alu instid0(SALU_CYCLE_1)
	s_or_b32 s14, s14, s17
	s_or_b32 exec_lo, exec_lo, s15
	v_mov_b32_e32 v10, s16
	s_and_saveexec_b32 s15, s14
	s_cbranch_execnz .LBB14_53
	s_branch .LBB14_54
.LBB14_313:
	s_mov_b32 s13, -1
	s_mov_b32 s0, 0
.LBB14_314:
                                        ; implicit-def: $vgpr0
.LBB14_315:
	s_and_b32 vcc_lo, exec_lo, s14
	s_cbranch_vccz .LBB14_391
; %bb.316:
	v_cmp_eq_u16_e32 vcc_lo, 44, v9
	s_cbranch_vccz .LBB14_390
; %bb.317:
	global_load_u8 v0, v[2:3], off
	s_mov_b32 s13, 0
	s_mov_b32 s0, -1
	s_waitcnt vmcnt(0)
	v_lshlrev_b32_e32 v1, 23, v0
	v_cmp_ne_u32_e32 vcc_lo, 0, v0
	s_delay_alu instid0(VALU_DEP_2) | instskip(NEXT) | instid1(VALU_DEP_1)
	v_trunc_f32_e32 v1, v1
	v_mul_f32_e64 v4, 0x2f800000, |v1|
	s_delay_alu instid0(VALU_DEP_1) | instskip(NEXT) | instid1(VALU_DEP_1)
	v_floor_f32_e32 v4, v4
	v_fma_f32 v4, 0xcf800000, v4, |v1|
	v_ashrrev_i32_e32 v1, 31, v1
	s_delay_alu instid0(VALU_DEP_2) | instskip(NEXT) | instid1(VALU_DEP_1)
	v_cvt_u32_f32_e32 v4, v4
	v_xor_b32_e32 v4, v4, v1
	s_delay_alu instid0(VALU_DEP_1) | instskip(NEXT) | instid1(VALU_DEP_1)
	v_sub_nc_u32_e32 v1, v4, v1
	v_cndmask_b32_e32 v0, 0, v1, vcc_lo
	s_branch .LBB14_391
.LBB14_318:
	s_mov_b32 s0, s9
.LBB14_319:
	s_and_b32 vcc_lo, exec_lo, s16
	s_cbranch_vccz .LBB14_324
; %bb.320:
	v_cmp_eq_u16_e32 vcc_lo, 44, v4
	s_mov_b32 s0, -1
	s_cbranch_vccz .LBB14_324
; %bb.321:
	v_cvt_f32_ubyte0_e32 v10, v3
	v_mov_b32_e32 v6, 0xff
	s_mov_b32 s14, exec_lo
	s_delay_alu instid0(VALU_DEP_2) | instskip(NEXT) | instid1(VALU_DEP_1)
	v_lshrrev_b32_e32 v5, 23, v10
	v_cmpx_ne_u32_e32 0xff, v5
; %bb.322:
	v_and_b32_e32 v6, 0x400000, v10
	v_and_or_b32 v10, 0x3fffff, v10, v5
	s_delay_alu instid0(VALU_DEP_2) | instskip(NEXT) | instid1(VALU_DEP_2)
	v_cmp_ne_u32_e32 vcc_lo, 0, v6
	v_cmp_ne_u32_e64 s0, 0, v10
	s_delay_alu instid0(VALU_DEP_1) | instskip(NEXT) | instid1(SALU_CYCLE_1)
	s_and_b32 s0, vcc_lo, s0
	v_cndmask_b32_e64 v6, 0, 1, s0
	s_delay_alu instid0(VALU_DEP_1)
	v_add_nc_u32_e32 v6, v5, v6
; %bb.323:
	s_or_b32 exec_lo, exec_lo, s14
	s_mov_b32 s14, -1
	s_mov_b32 s0, 0
	global_store_b8 v[1:2], v6, off
.LBB14_324:
	s_mov_b32 s16, 0
.LBB14_325:
	s_delay_alu instid0(SALU_CYCLE_1)
	s_and_b32 vcc_lo, exec_lo, s16
	s_cbranch_vccz .LBB14_328
; %bb.326:
	v_cmp_eq_u16_e32 vcc_lo, 29, v4
	s_mov_b32 s0, -1
	s_cbranch_vccz .LBB14_328
; %bb.327:
	v_dual_mov_b32 v6, 0 :: v_dual_and_b32 v5, 0xff, v3
	s_mov_b32 s14, -1
	s_mov_b32 s0, 0
	s_mov_b32 s16, 0
	global_store_b64 v[1:2], v[5:6], off
	s_branch .LBB14_329
.LBB14_328:
	s_mov_b32 s16, 0
.LBB14_329:
	s_delay_alu instid0(SALU_CYCLE_1)
	s_and_b32 vcc_lo, exec_lo, s16
	s_cbranch_vccz .LBB14_345
; %bb.330:
	v_cmp_gt_i16_e32 vcc_lo, 27, v4
	s_mov_b32 s14, -1
	s_cbranch_vccnz .LBB14_336
; %bb.331:
	v_cmp_lt_i16_e32 vcc_lo, 27, v4
	s_cbranch_vccz .LBB14_333
; %bb.332:
	v_and_b32_e32 v5, 0xff, v3
	s_mov_b32 s14, 0
	global_store_b32 v[1:2], v5, off
.LBB14_333:
	s_and_not1_b32 vcc_lo, exec_lo, s14
	s_cbranch_vccnz .LBB14_335
; %bb.334:
	v_and_b32_e32 v5, 0xff, v3
	global_store_b16 v[1:2], v5, off
.LBB14_335:
	s_mov_b32 s14, 0
.LBB14_336:
	s_delay_alu instid0(SALU_CYCLE_1)
	s_and_not1_b32 vcc_lo, exec_lo, s14
	s_cbranch_vccnz .LBB14_344
; %bb.337:
	v_cvt_f32_ubyte0_e32 v6, v3
	v_mov_b32_e32 v10, 0x80
	s_mov_b32 s14, exec_lo
	s_delay_alu instid0(VALU_DEP_2)
	v_cmpx_gt_u32_e32 0x43800000, v6
	s_cbranch_execz .LBB14_343
; %bb.338:
	s_mov_b32 s16, 0
	s_mov_b32 s17, exec_lo
                                        ; implicit-def: $vgpr5
	v_cmpx_lt_u32_e32 0x3bffffff, v6
	s_xor_b32 s17, exec_lo, s17
	s_cbranch_execz .LBB14_512
; %bb.339:
	v_bfe_u32 v5, v6, 20, 1
	s_mov_b32 s16, exec_lo
	s_delay_alu instid0(VALU_DEP_1) | instskip(NEXT) | instid1(VALU_DEP_1)
	v_add3_u32 v5, v6, v5, 0x487ffff
                                        ; implicit-def: $vgpr6
	v_lshrrev_b32_e32 v5, 20, v5
	s_or_saveexec_b32 s17, s17
                                        ; implicit-def: $sgpr18
	s_delay_alu instid0(SALU_CYCLE_1)
	s_xor_b32 exec_lo, exec_lo, s17
	s_cbranch_execnz .LBB14_513
.LBB14_340:
	s_or_b32 exec_lo, exec_lo, s17
	v_mov_b32_e32 v10, s18
	s_and_saveexec_b32 s17, s16
.LBB14_341:
	v_mov_b32_e32 v10, v5
.LBB14_342:
	s_or_b32 exec_lo, exec_lo, s17
.LBB14_343:
	s_delay_alu instid0(SALU_CYCLE_1)
	s_or_b32 exec_lo, exec_lo, s14
	global_store_b8 v[1:2], v10, off
.LBB14_344:
	s_mov_b32 s14, -1
.LBB14_345:
	s_mov_b32 s16, 0
.LBB14_346:
	s_delay_alu instid0(SALU_CYCLE_1)
	s_and_b32 vcc_lo, exec_lo, s16
	s_cbranch_vccz .LBB14_387
; %bb.347:
	v_cmp_lt_i16_e32 vcc_lo, 22, v4
	s_mov_b32 s16, -1
	s_cbranch_vccz .LBB14_379
; %bb.348:
	v_cmp_gt_i16_e32 vcc_lo, 24, v4
	s_mov_b32 s14, -1
	s_cbranch_vccnz .LBB14_368
; %bb.349:
	v_cmp_lt_i16_e32 vcc_lo, 24, v4
	s_cbranch_vccz .LBB14_357
; %bb.350:
	v_cvt_f32_ubyte0_e32 v6, v3
	v_mov_b32_e32 v10, 0x80
	s_mov_b32 s14, exec_lo
	s_delay_alu instid0(VALU_DEP_2)
	v_cmpx_gt_u32_e32 0x47800000, v6
	s_cbranch_execz .LBB14_356
; %bb.351:
	s_mov_b32 s16, 0
	s_mov_b32 s17, exec_lo
                                        ; implicit-def: $vgpr5
	v_cmpx_lt_u32_e32 0x37ffffff, v6
	s_xor_b32 s17, exec_lo, s17
	s_cbranch_execz .LBB14_515
; %bb.352:
	v_bfe_u32 v5, v6, 21, 1
	s_mov_b32 s16, exec_lo
	s_delay_alu instid0(VALU_DEP_1) | instskip(NEXT) | instid1(VALU_DEP_1)
	v_add3_u32 v5, v6, v5, 0x88fffff
                                        ; implicit-def: $vgpr6
	v_lshrrev_b32_e32 v5, 21, v5
	s_or_saveexec_b32 s17, s17
                                        ; implicit-def: $sgpr18
	s_delay_alu instid0(SALU_CYCLE_1)
	s_xor_b32 exec_lo, exec_lo, s17
	s_cbranch_execnz .LBB14_516
.LBB14_353:
	s_or_b32 exec_lo, exec_lo, s17
	v_mov_b32_e32 v10, s18
	s_and_saveexec_b32 s17, s16
.LBB14_354:
	v_mov_b32_e32 v10, v5
.LBB14_355:
	s_or_b32 exec_lo, exec_lo, s17
.LBB14_356:
	s_delay_alu instid0(SALU_CYCLE_1)
	s_or_b32 exec_lo, exec_lo, s14
	s_mov_b32 s14, 0
	global_store_b8 v[1:2], v10, off
.LBB14_357:
	s_and_b32 vcc_lo, exec_lo, s14
	s_cbranch_vccz .LBB14_367
; %bb.358:
	v_cvt_f32_ubyte0_e32 v6, v3
	s_mov_b32 s14, exec_lo
                                        ; implicit-def: $vgpr5
	s_delay_alu instid0(VALU_DEP_1)
	v_cmpx_gt_u32_e32 0x43f00000, v6
	s_xor_b32 s14, exec_lo, s14
	s_cbranch_execz .LBB14_364
; %bb.359:
	s_mov_b32 s16, exec_lo
                                        ; implicit-def: $vgpr5
	v_cmpx_lt_u32_e32 0x3c7fffff, v6
	s_xor_b32 s16, exec_lo, s16
; %bb.360:
	v_bfe_u32 v5, v6, 20, 1
	s_delay_alu instid0(VALU_DEP_1) | instskip(NEXT) | instid1(VALU_DEP_1)
	v_add3_u32 v5, v6, v5, 0x407ffff
	v_and_b32_e32 v6, 0xff00000, v5
	v_lshrrev_b32_e32 v5, 20, v5
	s_delay_alu instid0(VALU_DEP_2) | instskip(NEXT) | instid1(VALU_DEP_2)
	v_cmp_ne_u32_e32 vcc_lo, 0x7f00000, v6
                                        ; implicit-def: $vgpr6
	v_cndmask_b32_e32 v5, 0x7e, v5, vcc_lo
; %bb.361:
	s_and_not1_saveexec_b32 s16, s16
; %bb.362:
	v_add_f32_e32 v5, 0x46800000, v6
; %bb.363:
	s_or_b32 exec_lo, exec_lo, s16
                                        ; implicit-def: $vgpr6
.LBB14_364:
	s_and_not1_saveexec_b32 s14, s14
; %bb.365:
	v_mov_b32_e32 v5, 0x7f
	v_cmp_lt_u32_e32 vcc_lo, 0x7f800000, v6
	s_delay_alu instid0(VALU_DEP_2)
	v_cndmask_b32_e32 v5, 0x7e, v5, vcc_lo
; %bb.366:
	s_or_b32 exec_lo, exec_lo, s14
	global_store_b8 v[1:2], v5, off
.LBB14_367:
	s_mov_b32 s14, 0
.LBB14_368:
	s_delay_alu instid0(SALU_CYCLE_1)
	s_and_not1_b32 vcc_lo, exec_lo, s14
	s_cbranch_vccnz .LBB14_378
; %bb.369:
	v_cvt_f32_ubyte0_e32 v6, v3
	s_mov_b32 s14, exec_lo
                                        ; implicit-def: $vgpr5
	s_delay_alu instid0(VALU_DEP_1)
	v_cmpx_gt_u32_e32 0x47800000, v6
	s_xor_b32 s14, exec_lo, s14
	s_cbranch_execz .LBB14_375
; %bb.370:
	s_mov_b32 s16, exec_lo
                                        ; implicit-def: $vgpr5
	v_cmpx_lt_u32_e32 0x387fffff, v6
	s_xor_b32 s16, exec_lo, s16
; %bb.371:
	v_bfe_u32 v5, v6, 21, 1
	s_delay_alu instid0(VALU_DEP_1) | instskip(NEXT) | instid1(VALU_DEP_1)
	v_add3_u32 v5, v6, v5, 0x80fffff
                                        ; implicit-def: $vgpr6
	v_lshrrev_b32_e32 v5, 21, v5
; %bb.372:
	s_and_not1_saveexec_b32 s16, s16
; %bb.373:
	v_add_f32_e32 v5, 0x43000000, v6
; %bb.374:
	s_or_b32 exec_lo, exec_lo, s16
                                        ; implicit-def: $vgpr6
.LBB14_375:
	s_and_not1_saveexec_b32 s14, s14
; %bb.376:
	v_mov_b32_e32 v5, 0x7f
	v_cmp_lt_u32_e32 vcc_lo, 0x7f800000, v6
	s_delay_alu instid0(VALU_DEP_2)
	v_cndmask_b32_e32 v5, 0x7c, v5, vcc_lo
; %bb.377:
	s_or_b32 exec_lo, exec_lo, s14
	global_store_b8 v[1:2], v5, off
.LBB14_378:
	s_mov_b32 s16, 0
	s_mov_b32 s14, -1
.LBB14_379:
	s_and_not1_b32 vcc_lo, exec_lo, s16
	s_cbranch_vccnz .LBB14_387
; %bb.380:
	v_cmp_lt_i16_e32 vcc_lo, 14, v4
	s_mov_b32 s16, -1
	s_cbranch_vccz .LBB14_384
; %bb.381:
	v_cmp_eq_u16_e32 vcc_lo, 15, v4
	s_mov_b32 s0, -1
	s_cbranch_vccz .LBB14_383
; %bb.382:
	v_cvt_f32_ubyte0_e32 v5, v3
	s_mov_b32 s14, -1
	s_mov_b32 s0, 0
	s_delay_alu instid0(VALU_DEP_1) | instskip(NEXT) | instid1(VALU_DEP_1)
	v_bfe_u32 v6, v5, 16, 1
	v_add3_u32 v5, v5, v6, 0x7fff
	global_store_d16_hi_b16 v[1:2], v5, off
.LBB14_383:
	s_mov_b32 s16, 0
.LBB14_384:
	s_delay_alu instid0(SALU_CYCLE_1)
	s_and_b32 vcc_lo, exec_lo, s16
	s_cbranch_vccz .LBB14_387
; %bb.385:
	v_cmp_eq_u16_e32 vcc_lo, 11, v4
	s_mov_b32 s0, -1
	s_cbranch_vccz .LBB14_387
; %bb.386:
	v_and_b32_e32 v0, 0xff, v0
	s_mov_b32 s14, -1
	s_mov_b32 s0, 0
	s_delay_alu instid0(VALU_DEP_1)
	v_cmp_ne_u16_e32 vcc_lo, 0xff, v0
	v_cndmask_b32_e64 v0, 0, 1, vcc_lo
	global_store_b8 v[1:2], v0, off
.LBB14_387:
.LBB14_388:
	s_and_not1_b32 vcc_lo, exec_lo, s14
	s_cbranch_vccnz .LBB14_303
.LBB14_389:
	v_add_nc_u32_e32 v8, 0x80, v8
	s_mov_b32 s16, -1
	s_branch .LBB14_498
.LBB14_390:
	s_mov_b32 s13, -1
                                        ; implicit-def: $vgpr0
.LBB14_391:
	s_mov_b32 s14, 0
.LBB14_392:
	s_delay_alu instid0(SALU_CYCLE_1)
	s_and_b32 vcc_lo, exec_lo, s14
	s_cbranch_vccz .LBB14_396
; %bb.393:
	v_cmp_eq_u16_e32 vcc_lo, 29, v9
	s_cbranch_vccz .LBB14_395
; %bb.394:
	global_load_b64 v[0:1], v[2:3], off
	s_mov_b32 s0, -1
	s_mov_b32 s13, 0
	s_branch .LBB14_396
.LBB14_395:
	s_mov_b32 s13, -1
                                        ; implicit-def: $vgpr0
.LBB14_396:
	s_mov_b32 s14, 0
.LBB14_397:
	s_delay_alu instid0(SALU_CYCLE_1)
	s_and_b32 vcc_lo, exec_lo, s14
	s_cbranch_vccz .LBB14_413
; %bb.398:
	v_cmp_gt_i16_e32 vcc_lo, 27, v9
	s_cbranch_vccnz .LBB14_401
; %bb.399:
	v_cmp_lt_i16_e32 vcc_lo, 27, v9
	s_cbranch_vccz .LBB14_402
; %bb.400:
	global_load_b32 v0, v[2:3], off
	s_mov_b32 s0, 0
	s_branch .LBB14_403
.LBB14_401:
	s_mov_b32 s0, -1
                                        ; implicit-def: $vgpr0
	s_branch .LBB14_406
.LBB14_402:
	s_mov_b32 s0, -1
                                        ; implicit-def: $vgpr0
.LBB14_403:
	s_delay_alu instid0(SALU_CYCLE_1)
	s_and_not1_b32 vcc_lo, exec_lo, s0
	s_cbranch_vccnz .LBB14_405
; %bb.404:
	global_load_u16 v0, v[2:3], off
.LBB14_405:
	s_mov_b32 s0, 0
.LBB14_406:
	s_delay_alu instid0(SALU_CYCLE_1)
	s_and_not1_b32 vcc_lo, exec_lo, s0
	s_cbranch_vccnz .LBB14_412
; %bb.407:
	global_load_u8 v1, v[2:3], off
	s_mov_b32 s14, 0
	s_mov_b32 s0, exec_lo
                                        ; implicit-def: $sgpr16
	s_waitcnt vmcnt(0)
	v_cmpx_lt_i16_e32 0x7f, v1
	s_xor_b32 s0, exec_lo, s0
	s_cbranch_execz .LBB14_424
; %bb.408:
	v_cmp_ne_u16_e32 vcc_lo, 0x80, v1
	s_mov_b32 s16, 0
	s_and_b32 s14, vcc_lo, exec_lo
	s_or_saveexec_b32 s0, s0
	v_mov_b32_e32 v0, s16
	s_xor_b32 exec_lo, exec_lo, s0
	s_cbranch_execnz .LBB14_425
.LBB14_409:
	s_or_b32 exec_lo, exec_lo, s0
	s_and_saveexec_b32 s0, s14
	s_cbranch_execz .LBB14_411
.LBB14_410:
	v_and_b32_e32 v0, 0xffff, v1
	s_delay_alu instid0(VALU_DEP_1) | instskip(NEXT) | instid1(VALU_DEP_1)
	v_and_b32_e32 v4, 7, v0
	v_clz_i32_u32_e32 v5, v4
	s_delay_alu instid0(VALU_DEP_1) | instskip(NEXT) | instid1(VALU_DEP_1)
	v_min_u32_e32 v5, 32, v5
	v_subrev_nc_u32_e32 v6, 28, v5
	v_sub_nc_u32_e32 v5, 29, v5
	s_delay_alu instid0(VALU_DEP_2) | instskip(SKIP_1) | instid1(VALU_DEP_2)
	v_lshlrev_b32_e32 v6, v6, v0
	v_bfe_u32 v0, v0, 3, 4
	v_and_b32_e32 v6, 7, v6
	s_delay_alu instid0(VALU_DEP_2) | instskip(NEXT) | instid1(VALU_DEP_2)
	v_cmp_eq_u32_e32 vcc_lo, 0, v0
	v_dual_cndmask_b32 v4, v4, v6 :: v_dual_lshlrev_b32 v1, 24, v1
	v_cndmask_b32_e32 v0, v0, v5, vcc_lo
	s_delay_alu instid0(VALU_DEP_2) | instskip(NEXT) | instid1(VALU_DEP_3)
	v_and_b32_e32 v1, 0x80000000, v1
	v_lshlrev_b32_e32 v4, 20, v4
	s_delay_alu instid0(VALU_DEP_3) | instskip(NEXT) | instid1(VALU_DEP_1)
	v_lshl_add_u32 v0, v0, 23, 0x3b800000
	v_or3_b32 v0, v1, v0, v4
	s_delay_alu instid0(VALU_DEP_1) | instskip(NEXT) | instid1(VALU_DEP_1)
	v_trunc_f32_e32 v0, v0
	v_mul_f32_e64 v1, 0x2f800000, |v0|
	s_delay_alu instid0(VALU_DEP_1) | instskip(NEXT) | instid1(VALU_DEP_1)
	v_floor_f32_e32 v1, v1
	v_fma_f32 v1, 0xcf800000, v1, |v0|
	v_ashrrev_i32_e32 v0, 31, v0
	s_delay_alu instid0(VALU_DEP_2) | instskip(NEXT) | instid1(VALU_DEP_1)
	v_cvt_u32_f32_e32 v1, v1
	v_xor_b32_e32 v1, v1, v0
	s_delay_alu instid0(VALU_DEP_1)
	v_sub_nc_u32_e32 v0, v1, v0
.LBB14_411:
	s_or_b32 exec_lo, exec_lo, s0
.LBB14_412:
	s_mov_b32 s0, -1
.LBB14_413:
	s_mov_b32 s14, 0
.LBB14_414:
	s_delay_alu instid0(SALU_CYCLE_1)
	s_and_b32 vcc_lo, exec_lo, s14
	s_cbranch_vccz .LBB14_447
; %bb.415:
	v_cmp_lt_i16_e32 vcc_lo, 22, v9
	s_cbranch_vccz .LBB14_423
; %bb.416:
	v_cmp_gt_i16_e32 vcc_lo, 24, v9
	s_cbranch_vccnz .LBB14_426
; %bb.417:
	v_cmp_lt_i16_e32 vcc_lo, 24, v9
	s_cbranch_vccz .LBB14_427
; %bb.418:
	global_load_u8 v1, v[2:3], off
	s_mov_b32 s14, 0
	s_mov_b32 s0, exec_lo
                                        ; implicit-def: $sgpr16
	s_waitcnt vmcnt(0)
	v_cmpx_lt_i16_e32 0x7f, v1
	s_xor_b32 s0, exec_lo, s0
	s_cbranch_execz .LBB14_439
; %bb.419:
	v_cmp_ne_u16_e32 vcc_lo, 0x80, v1
	s_mov_b32 s16, 0
	s_and_b32 s14, vcc_lo, exec_lo
	s_or_saveexec_b32 s0, s0
	v_mov_b32_e32 v0, s16
	s_xor_b32 exec_lo, exec_lo, s0
	s_cbranch_execnz .LBB14_440
.LBB14_420:
	s_or_b32 exec_lo, exec_lo, s0
	s_and_saveexec_b32 s0, s14
	s_cbranch_execz .LBB14_422
.LBB14_421:
	v_and_b32_e32 v0, 0xffff, v1
	s_delay_alu instid0(VALU_DEP_1) | instskip(NEXT) | instid1(VALU_DEP_1)
	v_and_b32_e32 v4, 3, v0
	v_clz_i32_u32_e32 v5, v4
	s_delay_alu instid0(VALU_DEP_1) | instskip(NEXT) | instid1(VALU_DEP_1)
	v_min_u32_e32 v5, 32, v5
	v_subrev_nc_u32_e32 v6, 29, v5
	v_sub_nc_u32_e32 v5, 30, v5
	s_delay_alu instid0(VALU_DEP_2) | instskip(SKIP_1) | instid1(VALU_DEP_2)
	v_lshlrev_b32_e32 v6, v6, v0
	v_bfe_u32 v0, v0, 2, 5
	v_and_b32_e32 v6, 3, v6
	s_delay_alu instid0(VALU_DEP_2) | instskip(NEXT) | instid1(VALU_DEP_2)
	v_cmp_eq_u32_e32 vcc_lo, 0, v0
	v_dual_cndmask_b32 v4, v4, v6 :: v_dual_lshlrev_b32 v1, 24, v1
	v_cndmask_b32_e32 v0, v0, v5, vcc_lo
	s_delay_alu instid0(VALU_DEP_2) | instskip(NEXT) | instid1(VALU_DEP_3)
	v_and_b32_e32 v1, 0x80000000, v1
	v_lshlrev_b32_e32 v4, 21, v4
	s_delay_alu instid0(VALU_DEP_3) | instskip(NEXT) | instid1(VALU_DEP_1)
	v_lshl_add_u32 v0, v0, 23, 0x37800000
	v_or3_b32 v0, v1, v0, v4
	s_delay_alu instid0(VALU_DEP_1) | instskip(NEXT) | instid1(VALU_DEP_1)
	v_trunc_f32_e32 v0, v0
	v_mul_f32_e64 v1, 0x2f800000, |v0|
	s_delay_alu instid0(VALU_DEP_1) | instskip(NEXT) | instid1(VALU_DEP_1)
	v_floor_f32_e32 v1, v1
	v_fma_f32 v1, 0xcf800000, v1, |v0|
	v_ashrrev_i32_e32 v0, 31, v0
	s_delay_alu instid0(VALU_DEP_2) | instskip(NEXT) | instid1(VALU_DEP_1)
	v_cvt_u32_f32_e32 v1, v1
	v_xor_b32_e32 v1, v1, v0
	s_delay_alu instid0(VALU_DEP_1)
	v_sub_nc_u32_e32 v0, v1, v0
.LBB14_422:
	s_or_b32 exec_lo, exec_lo, s0
	s_mov_b32 s0, 0
	s_branch .LBB14_428
.LBB14_423:
	s_mov_b32 s14, -1
                                        ; implicit-def: $vgpr0
	s_branch .LBB14_434
.LBB14_424:
	s_or_saveexec_b32 s0, s0
	v_mov_b32_e32 v0, s16
	s_xor_b32 exec_lo, exec_lo, s0
	s_cbranch_execz .LBB14_409
.LBB14_425:
	v_cmp_ne_u16_e32 vcc_lo, 0, v1
	v_mov_b32_e32 v0, 0
	s_and_not1_b32 s14, s14, exec_lo
	s_and_b32 s16, vcc_lo, exec_lo
	s_delay_alu instid0(SALU_CYCLE_1)
	s_or_b32 s14, s14, s16
	s_or_b32 exec_lo, exec_lo, s0
	s_and_saveexec_b32 s0, s14
	s_cbranch_execnz .LBB14_410
	s_branch .LBB14_411
.LBB14_426:
	s_mov_b32 s0, -1
                                        ; implicit-def: $vgpr0
	s_branch .LBB14_431
.LBB14_427:
	s_mov_b32 s0, -1
                                        ; implicit-def: $vgpr0
.LBB14_428:
	s_delay_alu instid0(SALU_CYCLE_1)
	s_and_b32 vcc_lo, exec_lo, s0
	s_cbranch_vccz .LBB14_430
; %bb.429:
	global_load_u8 v0, v[2:3], off
	s_waitcnt vmcnt(0)
	v_lshlrev_b32_e32 v0, 24, v0
	s_delay_alu instid0(VALU_DEP_1) | instskip(NEXT) | instid1(VALU_DEP_1)
	v_and_b32_e32 v1, 0x7f000000, v0
	v_clz_i32_u32_e32 v4, v1
	v_cmp_ne_u32_e32 vcc_lo, 0, v1
	v_add_nc_u32_e32 v6, 0x1000000, v1
	s_delay_alu instid0(VALU_DEP_3) | instskip(NEXT) | instid1(VALU_DEP_1)
	v_min_u32_e32 v4, 32, v4
	v_sub_nc_u32_e64 v4, v4, 4 clamp
	s_delay_alu instid0(VALU_DEP_1) | instskip(SKIP_1) | instid1(VALU_DEP_2)
	v_lshlrev_b32_e32 v5, v4, v1
	v_lshlrev_b32_e32 v4, 23, v4
	v_lshrrev_b32_e32 v5, 4, v5
	s_delay_alu instid0(VALU_DEP_1) | instskip(SKIP_1) | instid1(VALU_DEP_2)
	v_sub_nc_u32_e32 v4, v5, v4
	v_ashrrev_i32_e32 v5, 8, v6
	v_add_nc_u32_e32 v4, 0x3c000000, v4
	s_delay_alu instid0(VALU_DEP_1) | instskip(NEXT) | instid1(VALU_DEP_1)
	v_and_or_b32 v4, 0x7f800000, v5, v4
	v_cndmask_b32_e32 v1, 0, v4, vcc_lo
	s_delay_alu instid0(VALU_DEP_1) | instskip(NEXT) | instid1(VALU_DEP_1)
	v_and_or_b32 v0, 0x80000000, v0, v1
	v_trunc_f32_e32 v0, v0
	s_delay_alu instid0(VALU_DEP_1) | instskip(NEXT) | instid1(VALU_DEP_1)
	v_mul_f32_e64 v1, 0x2f800000, |v0|
	v_floor_f32_e32 v1, v1
	s_delay_alu instid0(VALU_DEP_1) | instskip(SKIP_1) | instid1(VALU_DEP_2)
	v_fma_f32 v1, 0xcf800000, v1, |v0|
	v_ashrrev_i32_e32 v0, 31, v0
	v_cvt_u32_f32_e32 v1, v1
	s_delay_alu instid0(VALU_DEP_1) | instskip(NEXT) | instid1(VALU_DEP_1)
	v_xor_b32_e32 v1, v1, v0
	v_sub_nc_u32_e32 v0, v1, v0
.LBB14_430:
	s_mov_b32 s0, 0
.LBB14_431:
	s_delay_alu instid0(SALU_CYCLE_1)
	s_and_not1_b32 vcc_lo, exec_lo, s0
	s_cbranch_vccnz .LBB14_433
; %bb.432:
	global_load_u8 v0, v[2:3], off
	s_waitcnt vmcnt(0)
	v_lshlrev_b32_e32 v1, 25, v0
	v_lshlrev_b16 v0, 8, v0
	s_delay_alu instid0(VALU_DEP_2) | instskip(NEXT) | instid1(VALU_DEP_2)
	v_lshrrev_b32_e32 v4, 4, v1
	v_and_or_b32 v5, 0x7f00, v0, 0.5
	v_cmp_gt_u32_e32 vcc_lo, 0x8000000, v1
	v_bfe_i32 v0, v0, 0, 16
	s_delay_alu instid0(VALU_DEP_4) | instskip(NEXT) | instid1(VALU_DEP_1)
	v_or_b32_e32 v4, 0x70000000, v4
	v_dual_add_f32 v5, -0.5, v5 :: v_dual_mul_f32 v4, 0x7800000, v4
	s_delay_alu instid0(VALU_DEP_1) | instskip(NEXT) | instid1(VALU_DEP_1)
	v_cndmask_b32_e32 v1, v4, v5, vcc_lo
	v_and_or_b32 v0, 0x80000000, v0, v1
	s_delay_alu instid0(VALU_DEP_1) | instskip(NEXT) | instid1(VALU_DEP_1)
	v_trunc_f32_e32 v0, v0
	v_mul_f32_e64 v1, 0x2f800000, |v0|
	s_delay_alu instid0(VALU_DEP_1) | instskip(NEXT) | instid1(VALU_DEP_1)
	v_floor_f32_e32 v1, v1
	v_fma_f32 v1, 0xcf800000, v1, |v0|
	v_ashrrev_i32_e32 v0, 31, v0
	s_delay_alu instid0(VALU_DEP_2) | instskip(NEXT) | instid1(VALU_DEP_1)
	v_cvt_u32_f32_e32 v1, v1
	v_xor_b32_e32 v1, v1, v0
	s_delay_alu instid0(VALU_DEP_1)
	v_sub_nc_u32_e32 v0, v1, v0
.LBB14_433:
	s_mov_b32 s14, 0
	s_mov_b32 s0, -1
.LBB14_434:
	s_and_not1_b32 vcc_lo, exec_lo, s14
	s_cbranch_vccnz .LBB14_447
; %bb.435:
	v_cmp_lt_i16_e32 vcc_lo, 14, v9
	s_cbranch_vccz .LBB14_438
; %bb.436:
	v_cmp_eq_u16_e32 vcc_lo, 15, v9
	s_cbranch_vccz .LBB14_441
; %bb.437:
	global_load_u16 v0, v[2:3], off
	s_mov_b32 s0, -1
	s_mov_b32 s13, 0
	s_waitcnt vmcnt(0)
	v_lshlrev_b32_e32 v0, 16, v0
	s_delay_alu instid0(VALU_DEP_1) | instskip(NEXT) | instid1(VALU_DEP_1)
	v_trunc_f32_e32 v0, v0
	v_mul_f32_e64 v1, 0x2f800000, |v0|
	s_delay_alu instid0(VALU_DEP_1) | instskip(NEXT) | instid1(VALU_DEP_1)
	v_floor_f32_e32 v1, v1
	v_fma_f32 v1, 0xcf800000, v1, |v0|
	v_ashrrev_i32_e32 v0, 31, v0
	s_delay_alu instid0(VALU_DEP_2) | instskip(NEXT) | instid1(VALU_DEP_1)
	v_cvt_u32_f32_e32 v1, v1
	v_xor_b32_e32 v1, v1, v0
	s_delay_alu instid0(VALU_DEP_1)
	v_sub_nc_u32_e32 v0, v1, v0
	s_branch .LBB14_442
.LBB14_438:
	s_mov_b32 s14, -1
                                        ; implicit-def: $vgpr0
	s_branch .LBB14_443
.LBB14_439:
	s_or_saveexec_b32 s0, s0
	v_mov_b32_e32 v0, s16
	s_xor_b32 exec_lo, exec_lo, s0
	s_cbranch_execz .LBB14_420
.LBB14_440:
	v_cmp_ne_u16_e32 vcc_lo, 0, v1
	v_mov_b32_e32 v0, 0
	s_and_not1_b32 s14, s14, exec_lo
	s_and_b32 s16, vcc_lo, exec_lo
	s_delay_alu instid0(SALU_CYCLE_1)
	s_or_b32 s14, s14, s16
	s_or_b32 exec_lo, exec_lo, s0
	s_and_saveexec_b32 s0, s14
	s_cbranch_execnz .LBB14_421
	s_branch .LBB14_422
.LBB14_441:
	s_mov_b32 s13, -1
                                        ; implicit-def: $vgpr0
.LBB14_442:
	s_mov_b32 s14, 0
.LBB14_443:
	s_delay_alu instid0(SALU_CYCLE_1)
	s_and_b32 vcc_lo, exec_lo, s14
	s_cbranch_vccz .LBB14_447
; %bb.444:
	v_cmp_eq_u16_e32 vcc_lo, 11, v9
	s_cbranch_vccz .LBB14_446
; %bb.445:
	global_load_u8 v0, v[2:3], off
	s_mov_b32 s13, 0
	s_mov_b32 s0, -1
	s_waitcnt vmcnt(0)
	v_cmp_ne_u16_e32 vcc_lo, 0, v0
	v_cndmask_b32_e64 v0, 0, 1, vcc_lo
	s_branch .LBB14_447
.LBB14_446:
	s_mov_b32 s13, -1
                                        ; implicit-def: $vgpr0
.LBB14_447:
	s_branch .LBB14_256
.LBB14_448:
	v_cmp_gt_i16_e32 vcc_lo, 5, v9
	s_cbranch_vccnz .LBB14_453
; %bb.449:
	v_cmp_gt_i16_e32 vcc_lo, 8, v9
	s_cbranch_vccnz .LBB14_454
; %bb.450:
	;; [unrolled: 3-line block ×3, first 2 shown]
	v_cmp_lt_i16_e32 vcc_lo, 9, v9
	s_cbranch_vccz .LBB14_456
; %bb.452:
	global_load_b64 v[0:1], v[2:3], off
	s_mov_b32 s0, 0
	s_waitcnt vmcnt(0)
	v_trunc_f64_e32 v[0:1], v[0:1]
	s_delay_alu instid0(VALU_DEP_1) | instskip(NEXT) | instid1(VALU_DEP_1)
	v_ldexp_f64 v[4:5], v[0:1], 0xffffffe0
	v_floor_f64_e32 v[4:5], v[4:5]
	s_delay_alu instid0(VALU_DEP_1) | instskip(NEXT) | instid1(VALU_DEP_1)
	v_fma_f64 v[0:1], 0xc1f00000, v[4:5], v[0:1]
	v_cvt_u32_f64_e32 v0, v[0:1]
	s_branch .LBB14_457
.LBB14_453:
	s_mov_b32 s0, -1
                                        ; implicit-def: $vgpr0
	s_branch .LBB14_475
.LBB14_454:
	s_mov_b32 s0, -1
                                        ; implicit-def: $vgpr0
	s_branch .LBB14_463
.LBB14_455:
	s_mov_b32 s0, -1
                                        ; implicit-def: $vgpr0
	s_branch .LBB14_460
.LBB14_456:
	s_mov_b32 s0, -1
                                        ; implicit-def: $vgpr0
.LBB14_457:
	s_delay_alu instid0(SALU_CYCLE_1)
	s_and_not1_b32 vcc_lo, exec_lo, s0
	s_cbranch_vccnz .LBB14_459
; %bb.458:
	global_load_b32 v0, v[2:3], off
	s_waitcnt vmcnt(0)
	v_trunc_f32_e32 v0, v0
	s_delay_alu instid0(VALU_DEP_1) | instskip(NEXT) | instid1(VALU_DEP_1)
	v_mul_f32_e64 v1, 0x2f800000, |v0|
	v_floor_f32_e32 v1, v1
	s_delay_alu instid0(VALU_DEP_1) | instskip(SKIP_1) | instid1(VALU_DEP_2)
	v_fma_f32 v1, 0xcf800000, v1, |v0|
	v_ashrrev_i32_e32 v0, 31, v0
	v_cvt_u32_f32_e32 v1, v1
	s_delay_alu instid0(VALU_DEP_1) | instskip(NEXT) | instid1(VALU_DEP_1)
	v_xor_b32_e32 v1, v1, v0
	v_sub_nc_u32_e32 v0, v1, v0
.LBB14_459:
	s_mov_b32 s0, 0
.LBB14_460:
	s_delay_alu instid0(SALU_CYCLE_1)
	s_and_not1_b32 vcc_lo, exec_lo, s0
	s_cbranch_vccnz .LBB14_462
; %bb.461:
	global_load_b32 v0, v[2:3], off
	s_waitcnt vmcnt(0)
	v_cvt_f32_f16_e32 v0, v0
	s_delay_alu instid0(VALU_DEP_1)
	v_cvt_i32_f32_e32 v0, v0
.LBB14_462:
	s_mov_b32 s0, 0
.LBB14_463:
	s_delay_alu instid0(SALU_CYCLE_1)
	s_and_not1_b32 vcc_lo, exec_lo, s0
	s_cbranch_vccnz .LBB14_474
; %bb.464:
	v_cmp_gt_i16_e32 vcc_lo, 6, v9
	s_cbranch_vccnz .LBB14_467
; %bb.465:
	v_cmp_lt_i16_e32 vcc_lo, 6, v9
	s_cbranch_vccz .LBB14_468
; %bb.466:
	global_load_b64 v[0:1], v[2:3], off
	s_mov_b32 s0, 0
	s_waitcnt vmcnt(0)
	v_trunc_f64_e32 v[0:1], v[0:1]
	s_delay_alu instid0(VALU_DEP_1) | instskip(NEXT) | instid1(VALU_DEP_1)
	v_ldexp_f64 v[4:5], v[0:1], 0xffffffe0
	v_floor_f64_e32 v[4:5], v[4:5]
	s_delay_alu instid0(VALU_DEP_1) | instskip(NEXT) | instid1(VALU_DEP_1)
	v_fma_f64 v[0:1], 0xc1f00000, v[4:5], v[0:1]
	v_cvt_u32_f64_e32 v0, v[0:1]
	s_branch .LBB14_469
.LBB14_467:
	s_mov_b32 s0, -1
                                        ; implicit-def: $vgpr0
	s_branch .LBB14_472
.LBB14_468:
	s_mov_b32 s0, -1
                                        ; implicit-def: $vgpr0
.LBB14_469:
	s_delay_alu instid0(SALU_CYCLE_1)
	s_and_not1_b32 vcc_lo, exec_lo, s0
	s_cbranch_vccnz .LBB14_471
; %bb.470:
	global_load_b32 v0, v[2:3], off
	s_waitcnt vmcnt(0)
	v_trunc_f32_e32 v0, v0
	s_delay_alu instid0(VALU_DEP_1) | instskip(NEXT) | instid1(VALU_DEP_1)
	v_mul_f32_e64 v1, 0x2f800000, |v0|
	v_floor_f32_e32 v1, v1
	s_delay_alu instid0(VALU_DEP_1) | instskip(SKIP_1) | instid1(VALU_DEP_2)
	v_fma_f32 v1, 0xcf800000, v1, |v0|
	v_ashrrev_i32_e32 v0, 31, v0
	v_cvt_u32_f32_e32 v1, v1
	s_delay_alu instid0(VALU_DEP_1) | instskip(NEXT) | instid1(VALU_DEP_1)
	v_xor_b32_e32 v1, v1, v0
	v_sub_nc_u32_e32 v0, v1, v0
.LBB14_471:
	s_mov_b32 s0, 0
.LBB14_472:
	s_delay_alu instid0(SALU_CYCLE_1)
	s_and_not1_b32 vcc_lo, exec_lo, s0
	s_cbranch_vccnz .LBB14_474
; %bb.473:
	global_load_u16 v0, v[2:3], off
	s_waitcnt vmcnt(0)
	v_cvt_f32_f16_e32 v0, v0
	s_delay_alu instid0(VALU_DEP_1)
	v_cvt_i32_f32_e32 v0, v0
.LBB14_474:
	s_mov_b32 s0, 0
.LBB14_475:
	s_delay_alu instid0(SALU_CYCLE_1)
	s_and_not1_b32 vcc_lo, exec_lo, s0
	s_cbranch_vccnz .LBB14_495
; %bb.476:
	v_cmp_gt_i16_e32 vcc_lo, 2, v9
	s_cbranch_vccnz .LBB14_480
; %bb.477:
	v_cmp_gt_i16_e32 vcc_lo, 3, v9
	s_cbranch_vccnz .LBB14_481
; %bb.478:
	v_cmp_lt_i16_e32 vcc_lo, 3, v9
	s_cbranch_vccz .LBB14_482
; %bb.479:
	global_load_b64 v[0:1], v[2:3], off
	s_mov_b32 s0, 0
	s_branch .LBB14_483
.LBB14_480:
	s_mov_b32 s0, -1
                                        ; implicit-def: $vgpr0
	s_branch .LBB14_489
.LBB14_481:
	s_mov_b32 s0, -1
                                        ; implicit-def: $vgpr0
	s_branch .LBB14_486
.LBB14_482:
	s_mov_b32 s0, -1
                                        ; implicit-def: $vgpr0
.LBB14_483:
	s_delay_alu instid0(SALU_CYCLE_1)
	s_and_not1_b32 vcc_lo, exec_lo, s0
	s_cbranch_vccnz .LBB14_485
; %bb.484:
	global_load_b32 v0, v[2:3], off
.LBB14_485:
	s_mov_b32 s0, 0
.LBB14_486:
	s_delay_alu instid0(SALU_CYCLE_1)
	s_and_not1_b32 vcc_lo, exec_lo, s0
	s_cbranch_vccnz .LBB14_488
; %bb.487:
	global_load_u16 v0, v[2:3], off
.LBB14_488:
	s_mov_b32 s0, 0
.LBB14_489:
	s_delay_alu instid0(SALU_CYCLE_1)
	s_and_not1_b32 vcc_lo, exec_lo, s0
	s_cbranch_vccnz .LBB14_495
; %bb.490:
	v_cmp_lt_i16_e32 vcc_lo, 0, v9
	s_mov_b32 s0, 0
	s_cbranch_vccz .LBB14_492
; %bb.491:
	global_load_u8 v0, v[2:3], off
	s_branch .LBB14_493
.LBB14_492:
	s_mov_b32 s0, -1
                                        ; implicit-def: $vgpr0
.LBB14_493:
	s_delay_alu instid0(SALU_CYCLE_1)
	s_and_not1_b32 vcc_lo, exec_lo, s0
	s_cbranch_vccnz .LBB14_495
; %bb.494:
	global_load_u8 v0, v[2:3], off
.LBB14_495:
	s_branch .LBB14_257
.LBB14_496:
	s_mov_b32 s16, 0
	s_mov_b32 s0, s9
.LBB14_497:
                                        ; implicit-def: $vgpr8
.LBB14_498:
	s_and_not1_b32 s14, s9, exec_lo
	s_and_b32 s0, s0, exec_lo
	s_and_not1_b32 s17, s11, exec_lo
	s_and_b32 s13, s13, exec_lo
	s_or_b32 s14, s14, s0
	s_or_b32 s13, s17, s13
	s_or_not1_b32 s17, s16, exec_lo
.LBB14_499:
	s_or_b32 exec_lo, exec_lo, s15
	s_mov_b32 s16, 0
	s_mov_b32 s18, 0
	;; [unrolled: 1-line block ×3, first 2 shown]
                                        ; implicit-def: $vgpr2_vgpr3
                                        ; implicit-def: $vgpr0
	s_and_saveexec_b32 s15, s17
	s_cbranch_execz .LBB14_837
; %bb.500:
	s_mov_b32 s0, -1
	s_mov_b32 s17, s13
	s_mov_b32 s18, s14
	s_mov_b32 s16, exec_lo
	v_cmpx_gt_i32_e64 s10, v8
	s_cbranch_execz .LBB14_755
; %bb.501:
	s_waitcnt vmcnt(0)
	v_mul_lo_u32 v0, v8, s3
	v_cmp_gt_i16_e32 vcc_lo, 11, v9
	s_delay_alu instid0(VALU_DEP_2) | instskip(SKIP_1) | instid1(VALU_DEP_1)
	v_ashrrev_i32_e32 v1, 31, v0
	v_add_co_u32 v2, s0, s6, v0
	v_add_co_ci_u32_e64 v3, s0, s7, v1, s0
	s_cbranch_vccnz .LBB14_508
; %bb.502:
	v_cmp_lt_i16_e32 vcc_lo, 25, v9
	s_cbranch_vccz .LBB14_509
; %bb.503:
	v_cmp_lt_i16_e32 vcc_lo, 28, v9
	s_cbranch_vccz .LBB14_510
	;; [unrolled: 3-line block ×4, first 2 shown]
; %bb.506:
	v_cmp_eq_u16_e32 vcc_lo, 46, v9
	s_mov_b32 s18, 0
	s_cbranch_vccz .LBB14_517
; %bb.507:
	global_load_b32 v0, v[2:3], off
	s_mov_b32 s0, -1
	s_mov_b32 s17, 0
	s_waitcnt vmcnt(0)
	v_lshlrev_b32_e32 v0, 16, v0
	s_delay_alu instid0(VALU_DEP_1) | instskip(NEXT) | instid1(VALU_DEP_1)
	v_trunc_f32_e32 v0, v0
	v_mul_f32_e64 v1, 0x2f800000, |v0|
	s_delay_alu instid0(VALU_DEP_1) | instskip(NEXT) | instid1(VALU_DEP_1)
	v_floor_f32_e32 v1, v1
	v_fma_f32 v1, 0xcf800000, v1, |v0|
	v_ashrrev_i32_e32 v0, 31, v0
	s_delay_alu instid0(VALU_DEP_2) | instskip(NEXT) | instid1(VALU_DEP_1)
	v_cvt_u32_f32_e32 v1, v1
	v_xor_b32_e32 v1, v1, v0
	s_delay_alu instid0(VALU_DEP_1)
	v_sub_nc_u32_e32 v0, v1, v0
	s_branch .LBB14_519
.LBB14_508:
	s_mov_b32 s18, -1
	s_mov_b32 s0, 0
	s_mov_b32 s17, s13
                                        ; implicit-def: $vgpr0
	s_branch .LBB14_580
.LBB14_509:
	s_mov_b32 s18, -1
	s_mov_b32 s0, 0
	s_mov_b32 s17, s13
                                        ; implicit-def: $vgpr0
	s_branch .LBB14_546
.LBB14_510:
	s_mov_b32 s18, -1
	s_mov_b32 s0, 0
	s_mov_b32 s17, s13
                                        ; implicit-def: $vgpr0
	s_branch .LBB14_529
.LBB14_511:
	s_mov_b32 s18, -1
	s_mov_b32 s0, 0
	s_mov_b32 s17, s13
                                        ; implicit-def: $vgpr0
	s_branch .LBB14_524
.LBB14_512:
	s_or_saveexec_b32 s17, s17
                                        ; implicit-def: $sgpr18
	s_delay_alu instid0(SALU_CYCLE_1)
	s_xor_b32 exec_lo, exec_lo, s17
	s_cbranch_execz .LBB14_340
.LBB14_513:
	v_add_f32_e32 v5, 0x46000000, v6
	s_and_not1_b32 s16, s16, exec_lo
	s_mov_b32 s18, 0
	s_delay_alu instid0(VALU_DEP_1) | instskip(NEXT) | instid1(VALU_DEP_1)
	v_and_b32_e32 v5, 0xff, v5
	v_cmp_ne_u32_e32 vcc_lo, 0, v5
	s_and_b32 s19, vcc_lo, exec_lo
	s_delay_alu instid0(SALU_CYCLE_1)
	s_or_b32 s16, s16, s19
	s_or_b32 exec_lo, exec_lo, s17
	v_mov_b32_e32 v10, s18
	s_and_saveexec_b32 s17, s16
	s_cbranch_execnz .LBB14_341
	s_branch .LBB14_342
.LBB14_514:
	s_mov_b32 s18, -1
	s_mov_b32 s0, 0
	s_mov_b32 s17, s13
	s_branch .LBB14_518
.LBB14_515:
	s_or_saveexec_b32 s17, s17
                                        ; implicit-def: $sgpr18
	s_delay_alu instid0(SALU_CYCLE_1)
	s_xor_b32 exec_lo, exec_lo, s17
	s_cbranch_execz .LBB14_353
.LBB14_516:
	v_add_f32_e32 v5, 0x42800000, v6
	s_and_not1_b32 s16, s16, exec_lo
	s_mov_b32 s18, 0
	s_delay_alu instid0(VALU_DEP_1) | instskip(NEXT) | instid1(VALU_DEP_1)
	v_and_b32_e32 v5, 0xff, v5
	v_cmp_ne_u32_e32 vcc_lo, 0, v5
	s_and_b32 s19, vcc_lo, exec_lo
	s_delay_alu instid0(SALU_CYCLE_1)
	s_or_b32 s16, s16, s19
	s_or_b32 exec_lo, exec_lo, s17
	v_mov_b32_e32 v10, s18
	s_and_saveexec_b32 s17, s16
	s_cbranch_execnz .LBB14_354
	s_branch .LBB14_355
.LBB14_517:
	s_mov_b32 s17, -1
	s_mov_b32 s0, 0
.LBB14_518:
                                        ; implicit-def: $vgpr0
.LBB14_519:
	s_and_b32 vcc_lo, exec_lo, s18
	s_cbranch_vccz .LBB14_523
; %bb.520:
	v_cmp_eq_u16_e32 vcc_lo, 44, v9
	s_cbranch_vccz .LBB14_522
; %bb.521:
	global_load_u8 v0, v[2:3], off
	s_mov_b32 s17, 0
	s_mov_b32 s0, -1
	s_waitcnt vmcnt(0)
	v_lshlrev_b32_e32 v1, 23, v0
	v_cmp_ne_u32_e32 vcc_lo, 0, v0
	s_delay_alu instid0(VALU_DEP_2) | instskip(NEXT) | instid1(VALU_DEP_1)
	v_trunc_f32_e32 v1, v1
	v_mul_f32_e64 v4, 0x2f800000, |v1|
	s_delay_alu instid0(VALU_DEP_1) | instskip(NEXT) | instid1(VALU_DEP_1)
	v_floor_f32_e32 v4, v4
	v_fma_f32 v4, 0xcf800000, v4, |v1|
	v_ashrrev_i32_e32 v1, 31, v1
	s_delay_alu instid0(VALU_DEP_2) | instskip(NEXT) | instid1(VALU_DEP_1)
	v_cvt_u32_f32_e32 v4, v4
	v_xor_b32_e32 v4, v4, v1
	s_delay_alu instid0(VALU_DEP_1) | instskip(NEXT) | instid1(VALU_DEP_1)
	v_sub_nc_u32_e32 v1, v4, v1
	v_cndmask_b32_e32 v0, 0, v1, vcc_lo
	s_branch .LBB14_523
.LBB14_522:
	s_mov_b32 s17, -1
                                        ; implicit-def: $vgpr0
.LBB14_523:
	s_mov_b32 s18, 0
.LBB14_524:
	s_delay_alu instid0(SALU_CYCLE_1)
	s_and_b32 vcc_lo, exec_lo, s18
	s_cbranch_vccz .LBB14_528
; %bb.525:
	v_cmp_eq_u16_e32 vcc_lo, 29, v9
	s_cbranch_vccz .LBB14_527
; %bb.526:
	global_load_b64 v[0:1], v[2:3], off
	s_mov_b32 s0, -1
	s_mov_b32 s17, 0
	s_branch .LBB14_528
.LBB14_527:
	s_mov_b32 s17, -1
                                        ; implicit-def: $vgpr0
.LBB14_528:
	s_mov_b32 s18, 0
.LBB14_529:
	s_delay_alu instid0(SALU_CYCLE_1)
	s_and_b32 vcc_lo, exec_lo, s18
	s_cbranch_vccz .LBB14_545
; %bb.530:
	v_cmp_gt_i16_e32 vcc_lo, 27, v9
	s_cbranch_vccnz .LBB14_533
; %bb.531:
	v_cmp_lt_i16_e32 vcc_lo, 27, v9
	s_cbranch_vccz .LBB14_534
; %bb.532:
	global_load_b32 v0, v[2:3], off
	s_mov_b32 s0, 0
	s_branch .LBB14_535
.LBB14_533:
	s_mov_b32 s0, -1
                                        ; implicit-def: $vgpr0
	s_branch .LBB14_538
.LBB14_534:
	s_mov_b32 s0, -1
                                        ; implicit-def: $vgpr0
.LBB14_535:
	s_delay_alu instid0(SALU_CYCLE_1)
	s_and_not1_b32 vcc_lo, exec_lo, s0
	s_cbranch_vccnz .LBB14_537
; %bb.536:
	global_load_u16 v0, v[2:3], off
.LBB14_537:
	s_mov_b32 s0, 0
.LBB14_538:
	s_delay_alu instid0(SALU_CYCLE_1)
	s_and_not1_b32 vcc_lo, exec_lo, s0
	s_cbranch_vccnz .LBB14_544
; %bb.539:
	global_load_u8 v1, v[2:3], off
	s_mov_b32 s18, 0
	s_mov_b32 s0, exec_lo
                                        ; implicit-def: $sgpr19
	s_waitcnt vmcnt(0)
	v_cmpx_lt_i16_e32 0x7f, v1
	s_xor_b32 s0, exec_lo, s0
	s_cbranch_execz .LBB14_556
; %bb.540:
	v_cmp_ne_u16_e32 vcc_lo, 0x80, v1
	s_mov_b32 s19, 0
	s_and_b32 s18, vcc_lo, exec_lo
	s_or_saveexec_b32 s0, s0
	v_mov_b32_e32 v0, s19
	s_xor_b32 exec_lo, exec_lo, s0
	s_cbranch_execnz .LBB14_557
.LBB14_541:
	s_or_b32 exec_lo, exec_lo, s0
	s_and_saveexec_b32 s0, s18
	s_cbranch_execz .LBB14_543
.LBB14_542:
	v_and_b32_e32 v0, 0xffff, v1
	s_delay_alu instid0(VALU_DEP_1) | instskip(NEXT) | instid1(VALU_DEP_1)
	v_and_b32_e32 v4, 7, v0
	v_clz_i32_u32_e32 v5, v4
	s_delay_alu instid0(VALU_DEP_1) | instskip(NEXT) | instid1(VALU_DEP_1)
	v_min_u32_e32 v5, 32, v5
	v_subrev_nc_u32_e32 v6, 28, v5
	v_sub_nc_u32_e32 v5, 29, v5
	s_delay_alu instid0(VALU_DEP_2) | instskip(SKIP_1) | instid1(VALU_DEP_2)
	v_lshlrev_b32_e32 v6, v6, v0
	v_bfe_u32 v0, v0, 3, 4
	v_and_b32_e32 v6, 7, v6
	s_delay_alu instid0(VALU_DEP_2) | instskip(NEXT) | instid1(VALU_DEP_2)
	v_cmp_eq_u32_e32 vcc_lo, 0, v0
	v_dual_cndmask_b32 v4, v4, v6 :: v_dual_lshlrev_b32 v1, 24, v1
	v_cndmask_b32_e32 v0, v0, v5, vcc_lo
	s_delay_alu instid0(VALU_DEP_2) | instskip(NEXT) | instid1(VALU_DEP_3)
	v_and_b32_e32 v1, 0x80000000, v1
	v_lshlrev_b32_e32 v4, 20, v4
	s_delay_alu instid0(VALU_DEP_3) | instskip(NEXT) | instid1(VALU_DEP_1)
	v_lshl_add_u32 v0, v0, 23, 0x3b800000
	v_or3_b32 v0, v1, v0, v4
	s_delay_alu instid0(VALU_DEP_1) | instskip(NEXT) | instid1(VALU_DEP_1)
	v_trunc_f32_e32 v0, v0
	v_mul_f32_e64 v1, 0x2f800000, |v0|
	s_delay_alu instid0(VALU_DEP_1) | instskip(NEXT) | instid1(VALU_DEP_1)
	v_floor_f32_e32 v1, v1
	v_fma_f32 v1, 0xcf800000, v1, |v0|
	v_ashrrev_i32_e32 v0, 31, v0
	s_delay_alu instid0(VALU_DEP_2) | instskip(NEXT) | instid1(VALU_DEP_1)
	v_cvt_u32_f32_e32 v1, v1
	v_xor_b32_e32 v1, v1, v0
	s_delay_alu instid0(VALU_DEP_1)
	v_sub_nc_u32_e32 v0, v1, v0
.LBB14_543:
	s_or_b32 exec_lo, exec_lo, s0
.LBB14_544:
	s_mov_b32 s0, -1
.LBB14_545:
	s_mov_b32 s18, 0
.LBB14_546:
	s_delay_alu instid0(SALU_CYCLE_1)
	s_and_b32 vcc_lo, exec_lo, s18
	s_cbranch_vccz .LBB14_579
; %bb.547:
	v_cmp_lt_i16_e32 vcc_lo, 22, v9
	s_cbranch_vccz .LBB14_555
; %bb.548:
	v_cmp_gt_i16_e32 vcc_lo, 24, v9
	s_cbranch_vccnz .LBB14_558
; %bb.549:
	v_cmp_lt_i16_e32 vcc_lo, 24, v9
	s_cbranch_vccz .LBB14_559
; %bb.550:
	global_load_u8 v1, v[2:3], off
	s_mov_b32 s18, 0
	s_mov_b32 s0, exec_lo
                                        ; implicit-def: $sgpr19
	s_waitcnt vmcnt(0)
	v_cmpx_lt_i16_e32 0x7f, v1
	s_xor_b32 s0, exec_lo, s0
	s_cbranch_execz .LBB14_571
; %bb.551:
	v_cmp_ne_u16_e32 vcc_lo, 0x80, v1
	s_mov_b32 s19, 0
	s_and_b32 s18, vcc_lo, exec_lo
	s_or_saveexec_b32 s0, s0
	v_mov_b32_e32 v0, s19
	s_xor_b32 exec_lo, exec_lo, s0
	s_cbranch_execnz .LBB14_572
.LBB14_552:
	s_or_b32 exec_lo, exec_lo, s0
	s_and_saveexec_b32 s0, s18
	s_cbranch_execz .LBB14_554
.LBB14_553:
	v_and_b32_e32 v0, 0xffff, v1
	s_delay_alu instid0(VALU_DEP_1) | instskip(NEXT) | instid1(VALU_DEP_1)
	v_and_b32_e32 v4, 3, v0
	v_clz_i32_u32_e32 v5, v4
	s_delay_alu instid0(VALU_DEP_1) | instskip(NEXT) | instid1(VALU_DEP_1)
	v_min_u32_e32 v5, 32, v5
	v_subrev_nc_u32_e32 v6, 29, v5
	v_sub_nc_u32_e32 v5, 30, v5
	s_delay_alu instid0(VALU_DEP_2) | instskip(SKIP_1) | instid1(VALU_DEP_2)
	v_lshlrev_b32_e32 v6, v6, v0
	v_bfe_u32 v0, v0, 2, 5
	v_and_b32_e32 v6, 3, v6
	s_delay_alu instid0(VALU_DEP_2) | instskip(NEXT) | instid1(VALU_DEP_2)
	v_cmp_eq_u32_e32 vcc_lo, 0, v0
	v_dual_cndmask_b32 v4, v4, v6 :: v_dual_lshlrev_b32 v1, 24, v1
	v_cndmask_b32_e32 v0, v0, v5, vcc_lo
	s_delay_alu instid0(VALU_DEP_2) | instskip(NEXT) | instid1(VALU_DEP_3)
	v_and_b32_e32 v1, 0x80000000, v1
	v_lshlrev_b32_e32 v4, 21, v4
	s_delay_alu instid0(VALU_DEP_3) | instskip(NEXT) | instid1(VALU_DEP_1)
	v_lshl_add_u32 v0, v0, 23, 0x37800000
	v_or3_b32 v0, v1, v0, v4
	s_delay_alu instid0(VALU_DEP_1) | instskip(NEXT) | instid1(VALU_DEP_1)
	v_trunc_f32_e32 v0, v0
	v_mul_f32_e64 v1, 0x2f800000, |v0|
	s_delay_alu instid0(VALU_DEP_1) | instskip(NEXT) | instid1(VALU_DEP_1)
	v_floor_f32_e32 v1, v1
	v_fma_f32 v1, 0xcf800000, v1, |v0|
	v_ashrrev_i32_e32 v0, 31, v0
	s_delay_alu instid0(VALU_DEP_2) | instskip(NEXT) | instid1(VALU_DEP_1)
	v_cvt_u32_f32_e32 v1, v1
	v_xor_b32_e32 v1, v1, v0
	s_delay_alu instid0(VALU_DEP_1)
	v_sub_nc_u32_e32 v0, v1, v0
.LBB14_554:
	s_or_b32 exec_lo, exec_lo, s0
	s_mov_b32 s0, 0
	s_branch .LBB14_560
.LBB14_555:
	s_mov_b32 s18, -1
                                        ; implicit-def: $vgpr0
	s_branch .LBB14_566
.LBB14_556:
	s_or_saveexec_b32 s0, s0
	v_mov_b32_e32 v0, s19
	s_xor_b32 exec_lo, exec_lo, s0
	s_cbranch_execz .LBB14_541
.LBB14_557:
	v_cmp_ne_u16_e32 vcc_lo, 0, v1
	v_mov_b32_e32 v0, 0
	s_and_not1_b32 s18, s18, exec_lo
	s_and_b32 s19, vcc_lo, exec_lo
	s_delay_alu instid0(SALU_CYCLE_1)
	s_or_b32 s18, s18, s19
	s_or_b32 exec_lo, exec_lo, s0
	s_and_saveexec_b32 s0, s18
	s_cbranch_execnz .LBB14_542
	s_branch .LBB14_543
.LBB14_558:
	s_mov_b32 s0, -1
                                        ; implicit-def: $vgpr0
	s_branch .LBB14_563
.LBB14_559:
	s_mov_b32 s0, -1
                                        ; implicit-def: $vgpr0
.LBB14_560:
	s_delay_alu instid0(SALU_CYCLE_1)
	s_and_b32 vcc_lo, exec_lo, s0
	s_cbranch_vccz .LBB14_562
; %bb.561:
	global_load_u8 v0, v[2:3], off
	s_waitcnt vmcnt(0)
	v_lshlrev_b32_e32 v0, 24, v0
	s_delay_alu instid0(VALU_DEP_1) | instskip(NEXT) | instid1(VALU_DEP_1)
	v_and_b32_e32 v1, 0x7f000000, v0
	v_clz_i32_u32_e32 v4, v1
	v_cmp_ne_u32_e32 vcc_lo, 0, v1
	v_add_nc_u32_e32 v6, 0x1000000, v1
	s_delay_alu instid0(VALU_DEP_3) | instskip(NEXT) | instid1(VALU_DEP_1)
	v_min_u32_e32 v4, 32, v4
	v_sub_nc_u32_e64 v4, v4, 4 clamp
	s_delay_alu instid0(VALU_DEP_1) | instskip(SKIP_1) | instid1(VALU_DEP_2)
	v_lshlrev_b32_e32 v5, v4, v1
	v_lshlrev_b32_e32 v4, 23, v4
	v_lshrrev_b32_e32 v5, 4, v5
	s_delay_alu instid0(VALU_DEP_1) | instskip(SKIP_1) | instid1(VALU_DEP_2)
	v_sub_nc_u32_e32 v4, v5, v4
	v_ashrrev_i32_e32 v5, 8, v6
	v_add_nc_u32_e32 v4, 0x3c000000, v4
	s_delay_alu instid0(VALU_DEP_1) | instskip(NEXT) | instid1(VALU_DEP_1)
	v_and_or_b32 v4, 0x7f800000, v5, v4
	v_cndmask_b32_e32 v1, 0, v4, vcc_lo
	s_delay_alu instid0(VALU_DEP_1) | instskip(NEXT) | instid1(VALU_DEP_1)
	v_and_or_b32 v0, 0x80000000, v0, v1
	v_trunc_f32_e32 v0, v0
	s_delay_alu instid0(VALU_DEP_1) | instskip(NEXT) | instid1(VALU_DEP_1)
	v_mul_f32_e64 v1, 0x2f800000, |v0|
	v_floor_f32_e32 v1, v1
	s_delay_alu instid0(VALU_DEP_1) | instskip(SKIP_1) | instid1(VALU_DEP_2)
	v_fma_f32 v1, 0xcf800000, v1, |v0|
	v_ashrrev_i32_e32 v0, 31, v0
	v_cvt_u32_f32_e32 v1, v1
	s_delay_alu instid0(VALU_DEP_1) | instskip(NEXT) | instid1(VALU_DEP_1)
	v_xor_b32_e32 v1, v1, v0
	v_sub_nc_u32_e32 v0, v1, v0
.LBB14_562:
	s_mov_b32 s0, 0
.LBB14_563:
	s_delay_alu instid0(SALU_CYCLE_1)
	s_and_not1_b32 vcc_lo, exec_lo, s0
	s_cbranch_vccnz .LBB14_565
; %bb.564:
	global_load_u8 v0, v[2:3], off
	s_waitcnt vmcnt(0)
	v_lshlrev_b32_e32 v1, 25, v0
	v_lshlrev_b16 v0, 8, v0
	s_delay_alu instid0(VALU_DEP_2) | instskip(NEXT) | instid1(VALU_DEP_2)
	v_lshrrev_b32_e32 v4, 4, v1
	v_and_or_b32 v5, 0x7f00, v0, 0.5
	v_cmp_gt_u32_e32 vcc_lo, 0x8000000, v1
	v_bfe_i32 v0, v0, 0, 16
	s_delay_alu instid0(VALU_DEP_4) | instskip(NEXT) | instid1(VALU_DEP_1)
	v_or_b32_e32 v4, 0x70000000, v4
	v_dual_add_f32 v5, -0.5, v5 :: v_dual_mul_f32 v4, 0x7800000, v4
	s_delay_alu instid0(VALU_DEP_1) | instskip(NEXT) | instid1(VALU_DEP_1)
	v_cndmask_b32_e32 v1, v4, v5, vcc_lo
	v_and_or_b32 v0, 0x80000000, v0, v1
	s_delay_alu instid0(VALU_DEP_1) | instskip(NEXT) | instid1(VALU_DEP_1)
	v_trunc_f32_e32 v0, v0
	v_mul_f32_e64 v1, 0x2f800000, |v0|
	s_delay_alu instid0(VALU_DEP_1) | instskip(NEXT) | instid1(VALU_DEP_1)
	v_floor_f32_e32 v1, v1
	v_fma_f32 v1, 0xcf800000, v1, |v0|
	v_ashrrev_i32_e32 v0, 31, v0
	s_delay_alu instid0(VALU_DEP_2) | instskip(NEXT) | instid1(VALU_DEP_1)
	v_cvt_u32_f32_e32 v1, v1
	v_xor_b32_e32 v1, v1, v0
	s_delay_alu instid0(VALU_DEP_1)
	v_sub_nc_u32_e32 v0, v1, v0
.LBB14_565:
	s_mov_b32 s18, 0
	s_mov_b32 s0, -1
.LBB14_566:
	s_and_not1_b32 vcc_lo, exec_lo, s18
	s_cbranch_vccnz .LBB14_579
; %bb.567:
	v_cmp_lt_i16_e32 vcc_lo, 14, v9
	s_cbranch_vccz .LBB14_570
; %bb.568:
	v_cmp_eq_u16_e32 vcc_lo, 15, v9
	s_cbranch_vccz .LBB14_573
; %bb.569:
	global_load_u16 v0, v[2:3], off
	s_mov_b32 s0, -1
	s_mov_b32 s17, 0
	s_waitcnt vmcnt(0)
	v_lshlrev_b32_e32 v0, 16, v0
	s_delay_alu instid0(VALU_DEP_1) | instskip(NEXT) | instid1(VALU_DEP_1)
	v_trunc_f32_e32 v0, v0
	v_mul_f32_e64 v1, 0x2f800000, |v0|
	s_delay_alu instid0(VALU_DEP_1) | instskip(NEXT) | instid1(VALU_DEP_1)
	v_floor_f32_e32 v1, v1
	v_fma_f32 v1, 0xcf800000, v1, |v0|
	v_ashrrev_i32_e32 v0, 31, v0
	s_delay_alu instid0(VALU_DEP_2) | instskip(NEXT) | instid1(VALU_DEP_1)
	v_cvt_u32_f32_e32 v1, v1
	v_xor_b32_e32 v1, v1, v0
	s_delay_alu instid0(VALU_DEP_1)
	v_sub_nc_u32_e32 v0, v1, v0
	s_branch .LBB14_574
.LBB14_570:
	s_mov_b32 s18, -1
                                        ; implicit-def: $vgpr0
	s_branch .LBB14_575
.LBB14_571:
	s_or_saveexec_b32 s0, s0
	v_mov_b32_e32 v0, s19
	s_xor_b32 exec_lo, exec_lo, s0
	s_cbranch_execz .LBB14_552
.LBB14_572:
	v_cmp_ne_u16_e32 vcc_lo, 0, v1
	v_mov_b32_e32 v0, 0
	s_and_not1_b32 s18, s18, exec_lo
	s_and_b32 s19, vcc_lo, exec_lo
	s_delay_alu instid0(SALU_CYCLE_1)
	s_or_b32 s18, s18, s19
	s_or_b32 exec_lo, exec_lo, s0
	s_and_saveexec_b32 s0, s18
	s_cbranch_execnz .LBB14_553
	s_branch .LBB14_554
.LBB14_573:
	s_mov_b32 s17, -1
                                        ; implicit-def: $vgpr0
.LBB14_574:
	s_mov_b32 s18, 0
.LBB14_575:
	s_delay_alu instid0(SALU_CYCLE_1)
	s_and_b32 vcc_lo, exec_lo, s18
	s_cbranch_vccz .LBB14_579
; %bb.576:
	v_cmp_eq_u16_e32 vcc_lo, 11, v9
	s_cbranch_vccz .LBB14_578
; %bb.577:
	global_load_u8 v0, v[2:3], off
	s_mov_b32 s17, 0
	s_mov_b32 s0, -1
	s_waitcnt vmcnt(0)
	v_cmp_ne_u16_e32 vcc_lo, 0, v0
	v_cndmask_b32_e64 v0, 0, 1, vcc_lo
	s_branch .LBB14_579
.LBB14_578:
	s_mov_b32 s17, -1
                                        ; implicit-def: $vgpr0
.LBB14_579:
	s_mov_b32 s18, 0
.LBB14_580:
	s_delay_alu instid0(SALU_CYCLE_1)
	s_and_b32 vcc_lo, exec_lo, s18
	s_cbranch_vccz .LBB14_629
; %bb.581:
	v_cmp_gt_i16_e32 vcc_lo, 5, v9
	s_cbranch_vccnz .LBB14_586
; %bb.582:
	v_cmp_gt_i16_e32 vcc_lo, 8, v9
	s_cbranch_vccnz .LBB14_587
	;; [unrolled: 3-line block ×3, first 2 shown]
; %bb.584:
	v_cmp_lt_i16_e32 vcc_lo, 9, v9
	s_cbranch_vccz .LBB14_589
; %bb.585:
	global_load_b64 v[0:1], v[2:3], off
	s_mov_b32 s0, 0
	s_waitcnt vmcnt(0)
	v_trunc_f64_e32 v[0:1], v[0:1]
	s_delay_alu instid0(VALU_DEP_1) | instskip(NEXT) | instid1(VALU_DEP_1)
	v_ldexp_f64 v[4:5], v[0:1], 0xffffffe0
	v_floor_f64_e32 v[4:5], v[4:5]
	s_delay_alu instid0(VALU_DEP_1) | instskip(NEXT) | instid1(VALU_DEP_1)
	v_fma_f64 v[0:1], 0xc1f00000, v[4:5], v[0:1]
	v_cvt_u32_f64_e32 v0, v[0:1]
	s_branch .LBB14_590
.LBB14_586:
	s_mov_b32 s0, -1
                                        ; implicit-def: $vgpr0
	s_branch .LBB14_608
.LBB14_587:
	s_mov_b32 s0, -1
                                        ; implicit-def: $vgpr0
	s_branch .LBB14_596
.LBB14_588:
	s_mov_b32 s0, -1
                                        ; implicit-def: $vgpr0
	s_branch .LBB14_593
.LBB14_589:
	s_mov_b32 s0, -1
                                        ; implicit-def: $vgpr0
.LBB14_590:
	s_delay_alu instid0(SALU_CYCLE_1)
	s_and_not1_b32 vcc_lo, exec_lo, s0
	s_cbranch_vccnz .LBB14_592
; %bb.591:
	global_load_b32 v0, v[2:3], off
	s_waitcnt vmcnt(0)
	v_trunc_f32_e32 v0, v0
	s_delay_alu instid0(VALU_DEP_1) | instskip(NEXT) | instid1(VALU_DEP_1)
	v_mul_f32_e64 v1, 0x2f800000, |v0|
	v_floor_f32_e32 v1, v1
	s_delay_alu instid0(VALU_DEP_1) | instskip(SKIP_1) | instid1(VALU_DEP_2)
	v_fma_f32 v1, 0xcf800000, v1, |v0|
	v_ashrrev_i32_e32 v0, 31, v0
	v_cvt_u32_f32_e32 v1, v1
	s_delay_alu instid0(VALU_DEP_1) | instskip(NEXT) | instid1(VALU_DEP_1)
	v_xor_b32_e32 v1, v1, v0
	v_sub_nc_u32_e32 v0, v1, v0
.LBB14_592:
	s_mov_b32 s0, 0
.LBB14_593:
	s_delay_alu instid0(SALU_CYCLE_1)
	s_and_not1_b32 vcc_lo, exec_lo, s0
	s_cbranch_vccnz .LBB14_595
; %bb.594:
	global_load_b32 v0, v[2:3], off
	s_waitcnt vmcnt(0)
	v_cvt_f32_f16_e32 v0, v0
	s_delay_alu instid0(VALU_DEP_1)
	v_cvt_i32_f32_e32 v0, v0
.LBB14_595:
	s_mov_b32 s0, 0
.LBB14_596:
	s_delay_alu instid0(SALU_CYCLE_1)
	s_and_not1_b32 vcc_lo, exec_lo, s0
	s_cbranch_vccnz .LBB14_607
; %bb.597:
	v_cmp_gt_i16_e32 vcc_lo, 6, v9
	s_cbranch_vccnz .LBB14_600
; %bb.598:
	v_cmp_lt_i16_e32 vcc_lo, 6, v9
	s_cbranch_vccz .LBB14_601
; %bb.599:
	global_load_b64 v[0:1], v[2:3], off
	s_mov_b32 s0, 0
	s_waitcnt vmcnt(0)
	v_trunc_f64_e32 v[0:1], v[0:1]
	s_delay_alu instid0(VALU_DEP_1) | instskip(NEXT) | instid1(VALU_DEP_1)
	v_ldexp_f64 v[4:5], v[0:1], 0xffffffe0
	v_floor_f64_e32 v[4:5], v[4:5]
	s_delay_alu instid0(VALU_DEP_1) | instskip(NEXT) | instid1(VALU_DEP_1)
	v_fma_f64 v[0:1], 0xc1f00000, v[4:5], v[0:1]
	v_cvt_u32_f64_e32 v0, v[0:1]
	s_branch .LBB14_602
.LBB14_600:
	s_mov_b32 s0, -1
                                        ; implicit-def: $vgpr0
	s_branch .LBB14_605
.LBB14_601:
	s_mov_b32 s0, -1
                                        ; implicit-def: $vgpr0
.LBB14_602:
	s_delay_alu instid0(SALU_CYCLE_1)
	s_and_not1_b32 vcc_lo, exec_lo, s0
	s_cbranch_vccnz .LBB14_604
; %bb.603:
	global_load_b32 v0, v[2:3], off
	s_waitcnt vmcnt(0)
	v_trunc_f32_e32 v0, v0
	s_delay_alu instid0(VALU_DEP_1) | instskip(NEXT) | instid1(VALU_DEP_1)
	v_mul_f32_e64 v1, 0x2f800000, |v0|
	v_floor_f32_e32 v1, v1
	s_delay_alu instid0(VALU_DEP_1) | instskip(SKIP_1) | instid1(VALU_DEP_2)
	v_fma_f32 v1, 0xcf800000, v1, |v0|
	v_ashrrev_i32_e32 v0, 31, v0
	v_cvt_u32_f32_e32 v1, v1
	s_delay_alu instid0(VALU_DEP_1) | instskip(NEXT) | instid1(VALU_DEP_1)
	v_xor_b32_e32 v1, v1, v0
	v_sub_nc_u32_e32 v0, v1, v0
.LBB14_604:
	s_mov_b32 s0, 0
.LBB14_605:
	s_delay_alu instid0(SALU_CYCLE_1)
	s_and_not1_b32 vcc_lo, exec_lo, s0
	s_cbranch_vccnz .LBB14_607
; %bb.606:
	global_load_u16 v0, v[2:3], off
	s_waitcnt vmcnt(0)
	v_cvt_f32_f16_e32 v0, v0
	s_delay_alu instid0(VALU_DEP_1)
	v_cvt_i32_f32_e32 v0, v0
.LBB14_607:
	s_mov_b32 s0, 0
.LBB14_608:
	s_delay_alu instid0(SALU_CYCLE_1)
	s_and_not1_b32 vcc_lo, exec_lo, s0
	s_cbranch_vccnz .LBB14_628
; %bb.609:
	v_cmp_gt_i16_e32 vcc_lo, 2, v9
	s_cbranch_vccnz .LBB14_613
; %bb.610:
	v_cmp_gt_i16_e32 vcc_lo, 3, v9
	s_cbranch_vccnz .LBB14_614
; %bb.611:
	v_cmp_lt_i16_e32 vcc_lo, 3, v9
	s_cbranch_vccz .LBB14_615
; %bb.612:
	global_load_b64 v[0:1], v[2:3], off
	s_mov_b32 s0, 0
	s_branch .LBB14_616
.LBB14_613:
	s_mov_b32 s0, -1
                                        ; implicit-def: $vgpr0
	s_branch .LBB14_622
.LBB14_614:
	s_mov_b32 s0, -1
                                        ; implicit-def: $vgpr0
	s_branch .LBB14_619
.LBB14_615:
	s_mov_b32 s0, -1
                                        ; implicit-def: $vgpr0
.LBB14_616:
	s_delay_alu instid0(SALU_CYCLE_1)
	s_and_not1_b32 vcc_lo, exec_lo, s0
	s_cbranch_vccnz .LBB14_618
; %bb.617:
	global_load_b32 v0, v[2:3], off
.LBB14_618:
	s_mov_b32 s0, 0
.LBB14_619:
	s_delay_alu instid0(SALU_CYCLE_1)
	s_and_not1_b32 vcc_lo, exec_lo, s0
	s_cbranch_vccnz .LBB14_621
; %bb.620:
	global_load_u16 v0, v[2:3], off
.LBB14_621:
	s_mov_b32 s0, 0
.LBB14_622:
	s_delay_alu instid0(SALU_CYCLE_1)
	s_and_not1_b32 vcc_lo, exec_lo, s0
	s_cbranch_vccnz .LBB14_628
; %bb.623:
	v_cmp_lt_i16_e32 vcc_lo, 0, v9
	s_mov_b32 s0, 0
	s_cbranch_vccz .LBB14_625
; %bb.624:
	global_load_u8 v0, v[2:3], off
	s_branch .LBB14_626
.LBB14_625:
	s_mov_b32 s0, -1
                                        ; implicit-def: $vgpr0
.LBB14_626:
	s_delay_alu instid0(SALU_CYCLE_1)
	s_and_not1_b32 vcc_lo, exec_lo, s0
	s_cbranch_vccnz .LBB14_628
; %bb.627:
	global_load_u8 v0, v[2:3], off
.LBB14_628:
	s_mov_b32 s0, -1
.LBB14_629:
	s_delay_alu instid0(SALU_CYCLE_1)
	s_and_not1_b32 vcc_lo, exec_lo, s0
	s_cbranch_vccnz .LBB14_637
; %bb.630:
	s_waitcnt vmcnt(0)
	v_mul_lo_u32 v1, v8, s2
	v_and_b32_e32 v4, 0xff, v7
	s_delay_alu instid0(VALU_DEP_3) | instskip(SKIP_2) | instid1(VALU_DEP_2)
	v_xor_b32_e32 v3, -1, v0
	s_mov_b32 s19, -1
	s_mov_b32 s18, 0
	v_cmp_gt_i16_e32 vcc_lo, 11, v4
	s_delay_alu instid0(VALU_DEP_4) | instskip(SKIP_1) | instid1(VALU_DEP_1)
	v_ashrrev_i32_e32 v2, 31, v1
	v_add_co_u32 v1, s0, s4, v1
	v_add_co_ci_u32_e64 v2, s0, s5, v2, s0
	s_mov_b32 s0, s14
	s_cbranch_vccnz .LBB14_638
; %bb.631:
	v_cmp_lt_i16_e32 vcc_lo, 25, v4
	s_cbranch_vccz .LBB14_679
; %bb.632:
	v_cmp_lt_i16_e32 vcc_lo, 28, v4
	s_cbranch_vccz .LBB14_680
	;; [unrolled: 3-line block ×4, first 2 shown]
; %bb.635:
	v_cmp_eq_u16_e32 vcc_lo, 46, v4
	s_mov_b32 s19, 0
	s_mov_b32 s0, -1
	s_cbranch_vccz .LBB14_683
; %bb.636:
	v_cvt_f32_ubyte0_e32 v5, v3
	s_mov_b32 s18, -1
	s_mov_b32 s0, 0
	s_delay_alu instid0(VALU_DEP_1) | instskip(NEXT) | instid1(VALU_DEP_1)
	v_bfe_u32 v6, v5, 16, 1
	v_add3_u32 v5, v5, v6, 0x7fff
	s_delay_alu instid0(VALU_DEP_1)
	v_lshrrev_b32_e32 v5, 16, v5
	global_store_b32 v[1:2], v5, off
	s_branch .LBB14_683
.LBB14_637:
	s_mov_b32 s19, 0
	s_mov_b32 s0, s14
	s_branch .LBB14_678
.LBB14_638:
	s_and_b32 vcc_lo, exec_lo, s19
	s_cbranch_vccz .LBB14_752
; %bb.639:
	v_cmp_gt_i16_e32 vcc_lo, 5, v4
	s_mov_b32 s18, -1
	s_cbranch_vccnz .LBB14_660
; %bb.640:
	v_cmp_gt_i16_e32 vcc_lo, 8, v4
	s_cbranch_vccnz .LBB14_650
; %bb.641:
	v_cmp_gt_i16_e32 vcc_lo, 9, v4
	s_cbranch_vccnz .LBB14_647
; %bb.642:
	v_cmp_lt_i16_e32 vcc_lo, 9, v4
	s_cbranch_vccz .LBB14_644
; %bb.643:
	v_mov_b32_e32 v12, 0
	v_and_b32_e32 v0, 0xff, v3
	s_mov_b32 s18, 0
	s_delay_alu instid0(VALU_DEP_1) | instskip(NEXT) | instid1(VALU_DEP_1)
	v_dual_mov_b32 v13, v12 :: v_dual_and_b32 v0, 0xffff, v0
	v_cvt_f64_u32_e32 v[10:11], v0
	global_store_b128 v[1:2], v[10:13], off
.LBB14_644:
	s_and_not1_b32 vcc_lo, exec_lo, s18
	s_cbranch_vccnz .LBB14_646
; %bb.645:
	v_cvt_f32_ubyte0_e32 v5, v3
	v_mov_b32_e32 v6, 0
	global_store_b64 v[1:2], v[5:6], off
.LBB14_646:
	s_mov_b32 s18, 0
.LBB14_647:
	s_delay_alu instid0(SALU_CYCLE_1)
	s_and_not1_b32 vcc_lo, exec_lo, s18
	s_cbranch_vccnz .LBB14_649
; %bb.648:
	v_and_b32_e32 v0, 0xff, v3
	s_delay_alu instid0(VALU_DEP_1) | instskip(NEXT) | instid1(VALU_DEP_1)
	v_cvt_f16_u16_e32 v0, v0
	v_and_b32_e32 v0, 0xffff, v0
	global_store_b32 v[1:2], v0, off
.LBB14_649:
	s_mov_b32 s18, 0
.LBB14_650:
	s_delay_alu instid0(SALU_CYCLE_1)
	s_and_not1_b32 vcc_lo, exec_lo, s18
	s_cbranch_vccnz .LBB14_659
; %bb.651:
	v_cmp_gt_i16_e32 vcc_lo, 6, v4
	s_mov_b32 s18, -1
	s_cbranch_vccnz .LBB14_657
; %bb.652:
	v_cmp_lt_i16_e32 vcc_lo, 6, v4
	s_cbranch_vccz .LBB14_654
; %bb.653:
	v_and_b32_e32 v0, 0xff, v3
	s_mov_b32 s18, 0
	s_delay_alu instid0(VALU_DEP_1) | instskip(NEXT) | instid1(VALU_DEP_1)
	v_and_b32_e32 v0, 0xffff, v0
	v_cvt_f64_u32_e32 v[5:6], v0
	global_store_b64 v[1:2], v[5:6], off
.LBB14_654:
	s_and_not1_b32 vcc_lo, exec_lo, s18
	s_cbranch_vccnz .LBB14_656
; %bb.655:
	v_cvt_f32_ubyte0_e32 v0, v3
	global_store_b32 v[1:2], v0, off
.LBB14_656:
	s_mov_b32 s18, 0
.LBB14_657:
	s_delay_alu instid0(SALU_CYCLE_1)
	s_and_not1_b32 vcc_lo, exec_lo, s18
	s_cbranch_vccnz .LBB14_659
; %bb.658:
	v_and_b32_e32 v0, 0xff, v3
	s_delay_alu instid0(VALU_DEP_1)
	v_cvt_f16_u16_e32 v0, v0
	global_store_b16 v[1:2], v0, off
.LBB14_659:
	s_mov_b32 s18, 0
.LBB14_660:
	s_delay_alu instid0(SALU_CYCLE_1)
	s_and_not1_b32 vcc_lo, exec_lo, s18
	s_cbranch_vccnz .LBB14_676
; %bb.661:
	v_cmp_gt_i16_e32 vcc_lo, 2, v4
	s_mov_b32 s18, -1
	s_cbranch_vccnz .LBB14_671
; %bb.662:
	v_cmp_gt_i16_e32 vcc_lo, 3, v4
	s_cbranch_vccnz .LBB14_668
; %bb.663:
	v_cmp_lt_i16_e32 vcc_lo, 3, v4
	s_cbranch_vccz .LBB14_665
; %bb.664:
	v_dual_mov_b32 v6, 0 :: v_dual_and_b32 v5, 0xff, v3
	s_mov_b32 s18, 0
	global_store_b64 v[1:2], v[5:6], off
.LBB14_665:
	s_and_not1_b32 vcc_lo, exec_lo, s18
	s_cbranch_vccnz .LBB14_667
; %bb.666:
	v_and_b32_e32 v0, 0xff, v3
	global_store_b32 v[1:2], v0, off
.LBB14_667:
	s_mov_b32 s18, 0
.LBB14_668:
	s_delay_alu instid0(SALU_CYCLE_1)
	s_and_not1_b32 vcc_lo, exec_lo, s18
	s_cbranch_vccnz .LBB14_670
; %bb.669:
	v_and_b32_e32 v0, 0xff, v3
	global_store_b16 v[1:2], v0, off
.LBB14_670:
	s_mov_b32 s18, 0
.LBB14_671:
	s_delay_alu instid0(SALU_CYCLE_1)
	s_and_not1_b32 vcc_lo, exec_lo, s18
	s_cbranch_vccnz .LBB14_676
; %bb.672:
	v_cmp_lt_i16_e32 vcc_lo, 0, v4
	s_mov_b32 s18, -1
	s_cbranch_vccz .LBB14_674
; %bb.673:
	s_mov_b32 s18, 0
	global_store_b8 v[1:2], v3, off
.LBB14_674:
	s_and_not1_b32 vcc_lo, exec_lo, s18
	s_cbranch_vccnz .LBB14_676
; %bb.675:
	global_store_b8 v[1:2], v3, off
.LBB14_676:
	s_branch .LBB14_753
.LBB14_677:
	s_mov_b32 s19, 0
.LBB14_678:
                                        ; implicit-def: $vgpr8
	s_branch .LBB14_754
.LBB14_679:
	s_mov_b32 s0, s14
	s_branch .LBB14_710
.LBB14_680:
	s_mov_b32 s0, s14
	s_branch .LBB14_693
.LBB14_681:
	s_mov_b32 s0, s14
	s_branch .LBB14_689
.LBB14_682:
	s_mov_b32 s0, s14
.LBB14_683:
	s_and_b32 vcc_lo, exec_lo, s19
	s_cbranch_vccz .LBB14_688
; %bb.684:
	v_cmp_eq_u16_e32 vcc_lo, 44, v4
	s_mov_b32 s0, -1
	s_cbranch_vccz .LBB14_688
; %bb.685:
	v_cvt_f32_ubyte0_e32 v10, v3
	v_mov_b32_e32 v6, 0xff
	s_mov_b32 s18, exec_lo
	s_delay_alu instid0(VALU_DEP_2) | instskip(NEXT) | instid1(VALU_DEP_1)
	v_lshrrev_b32_e32 v5, 23, v10
	v_cmpx_ne_u32_e32 0xff, v5
; %bb.686:
	v_and_b32_e32 v6, 0x400000, v10
	v_and_or_b32 v10, 0x3fffff, v10, v5
	s_delay_alu instid0(VALU_DEP_2) | instskip(NEXT) | instid1(VALU_DEP_2)
	v_cmp_ne_u32_e32 vcc_lo, 0, v6
	v_cmp_ne_u32_e64 s0, 0, v10
	s_delay_alu instid0(VALU_DEP_1) | instskip(NEXT) | instid1(SALU_CYCLE_1)
	s_and_b32 s0, vcc_lo, s0
	v_cndmask_b32_e64 v6, 0, 1, s0
	s_delay_alu instid0(VALU_DEP_1)
	v_add_nc_u32_e32 v6, v5, v6
; %bb.687:
	s_or_b32 exec_lo, exec_lo, s18
	s_mov_b32 s18, -1
	s_mov_b32 s0, 0
	global_store_b8 v[1:2], v6, off
.LBB14_688:
	s_mov_b32 s19, 0
.LBB14_689:
	s_delay_alu instid0(SALU_CYCLE_1)
	s_and_b32 vcc_lo, exec_lo, s19
	s_cbranch_vccz .LBB14_692
; %bb.690:
	v_cmp_eq_u16_e32 vcc_lo, 29, v4
	s_mov_b32 s0, -1
	s_cbranch_vccz .LBB14_692
; %bb.691:
	v_dual_mov_b32 v6, 0 :: v_dual_and_b32 v5, 0xff, v3
	s_mov_b32 s18, -1
	s_mov_b32 s0, 0
	s_mov_b32 s19, 0
	global_store_b64 v[1:2], v[5:6], off
	s_branch .LBB14_693
.LBB14_692:
	s_mov_b32 s19, 0
.LBB14_693:
	s_delay_alu instid0(SALU_CYCLE_1)
	s_and_b32 vcc_lo, exec_lo, s19
	s_cbranch_vccz .LBB14_709
; %bb.694:
	v_cmp_gt_i16_e32 vcc_lo, 27, v4
	s_mov_b32 s18, -1
	s_cbranch_vccnz .LBB14_700
; %bb.695:
	v_cmp_lt_i16_e32 vcc_lo, 27, v4
	s_cbranch_vccz .LBB14_697
; %bb.696:
	v_and_b32_e32 v5, 0xff, v3
	s_mov_b32 s18, 0
	global_store_b32 v[1:2], v5, off
.LBB14_697:
	s_and_not1_b32 vcc_lo, exec_lo, s18
	s_cbranch_vccnz .LBB14_699
; %bb.698:
	v_and_b32_e32 v5, 0xff, v3
	global_store_b16 v[1:2], v5, off
.LBB14_699:
	s_mov_b32 s18, 0
.LBB14_700:
	s_delay_alu instid0(SALU_CYCLE_1)
	s_and_not1_b32 vcc_lo, exec_lo, s18
	s_cbranch_vccnz .LBB14_708
; %bb.701:
	v_cvt_f32_ubyte0_e32 v6, v3
	v_mov_b32_e32 v10, 0x80
	s_mov_b32 s18, exec_lo
	s_delay_alu instid0(VALU_DEP_2)
	v_cmpx_gt_u32_e32 0x43800000, v6
	s_cbranch_execz .LBB14_707
; %bb.702:
	s_mov_b32 s19, 0
	s_mov_b32 s20, exec_lo
                                        ; implicit-def: $vgpr5
	v_cmpx_lt_u32_e32 0x3bffffff, v6
	s_xor_b32 s20, exec_lo, s20
	s_cbranch_execz .LBB14_768
; %bb.703:
	v_bfe_u32 v5, v6, 20, 1
	s_mov_b32 s19, exec_lo
	s_delay_alu instid0(VALU_DEP_1) | instskip(NEXT) | instid1(VALU_DEP_1)
	v_add3_u32 v5, v6, v5, 0x487ffff
                                        ; implicit-def: $vgpr6
	v_lshrrev_b32_e32 v5, 20, v5
	s_or_saveexec_b32 s20, s20
                                        ; implicit-def: $sgpr21
	s_delay_alu instid0(SALU_CYCLE_1)
	s_xor_b32 exec_lo, exec_lo, s20
	s_cbranch_execnz .LBB14_769
.LBB14_704:
	s_or_b32 exec_lo, exec_lo, s20
	v_mov_b32_e32 v10, s21
	s_and_saveexec_b32 s20, s19
.LBB14_705:
	v_mov_b32_e32 v10, v5
.LBB14_706:
	s_or_b32 exec_lo, exec_lo, s20
.LBB14_707:
	s_delay_alu instid0(SALU_CYCLE_1)
	s_or_b32 exec_lo, exec_lo, s18
	global_store_b8 v[1:2], v10, off
.LBB14_708:
	s_mov_b32 s18, -1
.LBB14_709:
	s_mov_b32 s19, 0
.LBB14_710:
	s_delay_alu instid0(SALU_CYCLE_1)
	s_and_b32 vcc_lo, exec_lo, s19
	s_cbranch_vccz .LBB14_751
; %bb.711:
	v_cmp_lt_i16_e32 vcc_lo, 22, v4
	s_mov_b32 s19, -1
	s_cbranch_vccz .LBB14_743
; %bb.712:
	v_cmp_gt_i16_e32 vcc_lo, 24, v4
	s_mov_b32 s18, -1
	s_cbranch_vccnz .LBB14_732
; %bb.713:
	v_cmp_lt_i16_e32 vcc_lo, 24, v4
	s_cbranch_vccz .LBB14_721
; %bb.714:
	v_cvt_f32_ubyte0_e32 v6, v3
	v_mov_b32_e32 v10, 0x80
	s_mov_b32 s18, exec_lo
	s_delay_alu instid0(VALU_DEP_2)
	v_cmpx_gt_u32_e32 0x47800000, v6
	s_cbranch_execz .LBB14_720
; %bb.715:
	s_mov_b32 s19, 0
	s_mov_b32 s20, exec_lo
                                        ; implicit-def: $vgpr5
	v_cmpx_lt_u32_e32 0x37ffffff, v6
	s_xor_b32 s20, exec_lo, s20
	s_cbranch_execz .LBB14_771
; %bb.716:
	v_bfe_u32 v5, v6, 21, 1
	s_mov_b32 s19, exec_lo
	s_delay_alu instid0(VALU_DEP_1) | instskip(NEXT) | instid1(VALU_DEP_1)
	v_add3_u32 v5, v6, v5, 0x88fffff
                                        ; implicit-def: $vgpr6
	v_lshrrev_b32_e32 v5, 21, v5
	s_or_saveexec_b32 s20, s20
                                        ; implicit-def: $sgpr21
	s_delay_alu instid0(SALU_CYCLE_1)
	s_xor_b32 exec_lo, exec_lo, s20
	s_cbranch_execnz .LBB14_772
.LBB14_717:
	s_or_b32 exec_lo, exec_lo, s20
	v_mov_b32_e32 v10, s21
	s_and_saveexec_b32 s20, s19
.LBB14_718:
	v_mov_b32_e32 v10, v5
.LBB14_719:
	s_or_b32 exec_lo, exec_lo, s20
.LBB14_720:
	s_delay_alu instid0(SALU_CYCLE_1)
	s_or_b32 exec_lo, exec_lo, s18
	s_mov_b32 s18, 0
	global_store_b8 v[1:2], v10, off
.LBB14_721:
	s_and_b32 vcc_lo, exec_lo, s18
	s_cbranch_vccz .LBB14_731
; %bb.722:
	v_cvt_f32_ubyte0_e32 v6, v3
	s_mov_b32 s18, exec_lo
                                        ; implicit-def: $vgpr5
	s_delay_alu instid0(VALU_DEP_1)
	v_cmpx_gt_u32_e32 0x43f00000, v6
	s_xor_b32 s18, exec_lo, s18
	s_cbranch_execz .LBB14_728
; %bb.723:
	s_mov_b32 s19, exec_lo
                                        ; implicit-def: $vgpr5
	v_cmpx_lt_u32_e32 0x3c7fffff, v6
	s_xor_b32 s19, exec_lo, s19
; %bb.724:
	v_bfe_u32 v5, v6, 20, 1
	s_delay_alu instid0(VALU_DEP_1) | instskip(NEXT) | instid1(VALU_DEP_1)
	v_add3_u32 v5, v6, v5, 0x407ffff
	v_and_b32_e32 v6, 0xff00000, v5
	v_lshrrev_b32_e32 v5, 20, v5
	s_delay_alu instid0(VALU_DEP_2) | instskip(NEXT) | instid1(VALU_DEP_2)
	v_cmp_ne_u32_e32 vcc_lo, 0x7f00000, v6
                                        ; implicit-def: $vgpr6
	v_cndmask_b32_e32 v5, 0x7e, v5, vcc_lo
; %bb.725:
	s_and_not1_saveexec_b32 s19, s19
; %bb.726:
	v_add_f32_e32 v5, 0x46800000, v6
; %bb.727:
	s_or_b32 exec_lo, exec_lo, s19
                                        ; implicit-def: $vgpr6
.LBB14_728:
	s_and_not1_saveexec_b32 s18, s18
; %bb.729:
	v_mov_b32_e32 v5, 0x7f
	v_cmp_lt_u32_e32 vcc_lo, 0x7f800000, v6
	s_delay_alu instid0(VALU_DEP_2)
	v_cndmask_b32_e32 v5, 0x7e, v5, vcc_lo
; %bb.730:
	s_or_b32 exec_lo, exec_lo, s18
	global_store_b8 v[1:2], v5, off
.LBB14_731:
	s_mov_b32 s18, 0
.LBB14_732:
	s_delay_alu instid0(SALU_CYCLE_1)
	s_and_not1_b32 vcc_lo, exec_lo, s18
	s_cbranch_vccnz .LBB14_742
; %bb.733:
	v_cvt_f32_ubyte0_e32 v6, v3
	s_mov_b32 s18, exec_lo
                                        ; implicit-def: $vgpr5
	s_delay_alu instid0(VALU_DEP_1)
	v_cmpx_gt_u32_e32 0x47800000, v6
	s_xor_b32 s18, exec_lo, s18
	s_cbranch_execz .LBB14_739
; %bb.734:
	s_mov_b32 s19, exec_lo
                                        ; implicit-def: $vgpr5
	v_cmpx_lt_u32_e32 0x387fffff, v6
	s_xor_b32 s19, exec_lo, s19
; %bb.735:
	v_bfe_u32 v5, v6, 21, 1
	s_delay_alu instid0(VALU_DEP_1) | instskip(NEXT) | instid1(VALU_DEP_1)
	v_add3_u32 v5, v6, v5, 0x80fffff
                                        ; implicit-def: $vgpr6
	v_lshrrev_b32_e32 v5, 21, v5
; %bb.736:
	s_and_not1_saveexec_b32 s19, s19
; %bb.737:
	v_add_f32_e32 v5, 0x43000000, v6
; %bb.738:
	s_or_b32 exec_lo, exec_lo, s19
                                        ; implicit-def: $vgpr6
.LBB14_739:
	s_and_not1_saveexec_b32 s18, s18
; %bb.740:
	v_mov_b32_e32 v5, 0x7f
	v_cmp_lt_u32_e32 vcc_lo, 0x7f800000, v6
	s_delay_alu instid0(VALU_DEP_2)
	v_cndmask_b32_e32 v5, 0x7c, v5, vcc_lo
; %bb.741:
	s_or_b32 exec_lo, exec_lo, s18
	global_store_b8 v[1:2], v5, off
.LBB14_742:
	s_mov_b32 s19, 0
	s_mov_b32 s18, -1
.LBB14_743:
	s_and_not1_b32 vcc_lo, exec_lo, s19
	s_cbranch_vccnz .LBB14_751
; %bb.744:
	v_cmp_lt_i16_e32 vcc_lo, 14, v4
	s_mov_b32 s19, -1
	s_cbranch_vccz .LBB14_748
; %bb.745:
	v_cmp_eq_u16_e32 vcc_lo, 15, v4
	s_mov_b32 s0, -1
	s_cbranch_vccz .LBB14_747
; %bb.746:
	v_cvt_f32_ubyte0_e32 v5, v3
	s_mov_b32 s18, -1
	s_mov_b32 s0, 0
	s_delay_alu instid0(VALU_DEP_1) | instskip(NEXT) | instid1(VALU_DEP_1)
	v_bfe_u32 v6, v5, 16, 1
	v_add3_u32 v5, v5, v6, 0x7fff
	global_store_d16_hi_b16 v[1:2], v5, off
.LBB14_747:
	s_mov_b32 s19, 0
.LBB14_748:
	s_delay_alu instid0(SALU_CYCLE_1)
	s_and_b32 vcc_lo, exec_lo, s19
	s_cbranch_vccz .LBB14_751
; %bb.749:
	v_cmp_eq_u16_e32 vcc_lo, 11, v4
	s_mov_b32 s0, -1
	s_cbranch_vccz .LBB14_751
; %bb.750:
	v_and_b32_e32 v0, 0xff, v0
	s_mov_b32 s18, -1
	s_mov_b32 s0, 0
	s_delay_alu instid0(VALU_DEP_1)
	v_cmp_ne_u16_e32 vcc_lo, 0xff, v0
	v_cndmask_b32_e64 v0, 0, 1, vcc_lo
	global_store_b8 v[1:2], v0, off
.LBB14_751:
.LBB14_752:
	s_and_not1_b32 vcc_lo, exec_lo, s18
	s_cbranch_vccnz .LBB14_677
.LBB14_753:
	v_add_nc_u32_e32 v8, 0x80, v8
	s_mov_b32 s19, -1
.LBB14_754:
	s_and_not1_b32 s18, s14, exec_lo
	s_and_b32 s0, s0, exec_lo
	s_and_not1_b32 s20, s13, exec_lo
	s_and_b32 s17, s17, exec_lo
	s_or_b32 s18, s18, s0
	s_or_b32 s17, s20, s17
	s_or_not1_b32 s0, s19, exec_lo
.LBB14_755:
	s_or_b32 exec_lo, exec_lo, s16
	s_mov_b32 s19, 0
	s_mov_b32 s20, 0
	;; [unrolled: 1-line block ×3, first 2 shown]
                                        ; implicit-def: $vgpr2_vgpr3
                                        ; implicit-def: $vgpr0
	s_and_saveexec_b32 s16, s0
	s_cbranch_execz .LBB14_836
; %bb.756:
	v_cmp_gt_i32_e32 vcc_lo, s10, v8
	s_mov_b32 s0, 0
	s_mov_b32 s19, s17
                                        ; implicit-def: $vgpr2_vgpr3
                                        ; implicit-def: $vgpr0
	s_and_saveexec_b32 s10, vcc_lo
	s_cbranch_execz .LBB14_835
; %bb.757:
	s_waitcnt vmcnt(0)
	v_mul_lo_u32 v0, v8, s3
	v_cmp_gt_i16_e32 vcc_lo, 11, v9
	s_delay_alu instid0(VALU_DEP_2) | instskip(SKIP_1) | instid1(VALU_DEP_1)
	v_ashrrev_i32_e32 v1, 31, v0
	v_add_co_u32 v2, s0, s6, v0
	v_add_co_ci_u32_e64 v3, s0, s7, v1, s0
	s_cbranch_vccnz .LBB14_764
; %bb.758:
	v_cmp_lt_i16_e32 vcc_lo, 25, v9
	s_mov_b32 s19, 0
	s_cbranch_vccz .LBB14_765
; %bb.759:
	v_cmp_lt_i16_e32 vcc_lo, 28, v9
	s_cbranch_vccz .LBB14_766
; %bb.760:
	v_cmp_lt_i16_e32 vcc_lo, 43, v9
	s_cbranch_vccz .LBB14_767
; %bb.761:
	v_cmp_lt_i16_e32 vcc_lo, 45, v9
	s_cbranch_vccz .LBB14_770
; %bb.762:
	v_cmp_eq_u16_e32 vcc_lo, 46, v9
	s_cbranch_vccz .LBB14_773
; %bb.763:
	global_load_b32 v0, v[2:3], off
	s_mov_b32 s0, 0
	s_mov_b32 s20, -1
	s_waitcnt vmcnt(0)
	v_lshlrev_b32_e32 v0, 16, v0
	s_delay_alu instid0(VALU_DEP_1) | instskip(NEXT) | instid1(VALU_DEP_1)
	v_trunc_f32_e32 v0, v0
	v_mul_f32_e64 v1, 0x2f800000, |v0|
	s_delay_alu instid0(VALU_DEP_1) | instskip(NEXT) | instid1(VALU_DEP_1)
	v_floor_f32_e32 v1, v1
	v_fma_f32 v1, 0xcf800000, v1, |v0|
	v_ashrrev_i32_e32 v0, 31, v0
	s_delay_alu instid0(VALU_DEP_2) | instskip(NEXT) | instid1(VALU_DEP_1)
	v_cvt_u32_f32_e32 v1, v1
	v_xor_b32_e32 v1, v1, v0
	s_delay_alu instid0(VALU_DEP_1)
	v_sub_nc_u32_e32 v0, v1, v0
	s_branch .LBB14_775
.LBB14_764:
	s_mov_b32 s22, -1
	s_mov_b32 s19, 0
	s_mov_b32 s0, s17
                                        ; implicit-def: $vgpr0
	s_branch .LBB14_834
.LBB14_765:
	s_mov_b32 s21, -1
	s_mov_b32 s0, s17
                                        ; implicit-def: $vgpr0
	s_branch .LBB14_802
.LBB14_766:
	s_mov_b32 s21, -1
	s_mov_b32 s0, s17
                                        ; implicit-def: $vgpr0
	s_branch .LBB14_785
.LBB14_767:
	s_mov_b32 s21, -1
	s_mov_b32 s0, s17
                                        ; implicit-def: $vgpr0
	s_branch .LBB14_780
.LBB14_768:
	s_or_saveexec_b32 s20, s20
                                        ; implicit-def: $sgpr21
	s_delay_alu instid0(SALU_CYCLE_1)
	s_xor_b32 exec_lo, exec_lo, s20
	s_cbranch_execz .LBB14_704
.LBB14_769:
	v_add_f32_e32 v5, 0x46000000, v6
	s_and_not1_b32 s19, s19, exec_lo
	s_mov_b32 s21, 0
	s_delay_alu instid0(VALU_DEP_1) | instskip(NEXT) | instid1(VALU_DEP_1)
	v_and_b32_e32 v5, 0xff, v5
	v_cmp_ne_u32_e32 vcc_lo, 0, v5
	s_and_b32 s22, vcc_lo, exec_lo
	s_delay_alu instid0(SALU_CYCLE_1)
	s_or_b32 s19, s19, s22
	s_or_b32 exec_lo, exec_lo, s20
	v_mov_b32_e32 v10, s21
	s_and_saveexec_b32 s20, s19
	s_cbranch_execnz .LBB14_705
	s_branch .LBB14_706
.LBB14_770:
	s_mov_b32 s21, -1
	s_mov_b32 s0, s17
	s_branch .LBB14_774
.LBB14_771:
	s_or_saveexec_b32 s20, s20
                                        ; implicit-def: $sgpr21
	s_delay_alu instid0(SALU_CYCLE_1)
	s_xor_b32 exec_lo, exec_lo, s20
	s_cbranch_execz .LBB14_717
.LBB14_772:
	v_add_f32_e32 v5, 0x42800000, v6
	s_and_not1_b32 s19, s19, exec_lo
	s_mov_b32 s21, 0
	s_delay_alu instid0(VALU_DEP_1) | instskip(NEXT) | instid1(VALU_DEP_1)
	v_and_b32_e32 v5, 0xff, v5
	v_cmp_ne_u32_e32 vcc_lo, 0, v5
	s_and_b32 s22, vcc_lo, exec_lo
	s_delay_alu instid0(SALU_CYCLE_1)
	s_or_b32 s19, s19, s22
	s_or_b32 exec_lo, exec_lo, s20
	v_mov_b32_e32 v10, s21
	s_and_saveexec_b32 s20, s19
	s_cbranch_execnz .LBB14_718
	s_branch .LBB14_719
.LBB14_773:
	s_mov_b32 s0, -1
.LBB14_774:
                                        ; implicit-def: $vgpr0
.LBB14_775:
	s_and_b32 vcc_lo, exec_lo, s21
	s_cbranch_vccz .LBB14_779
; %bb.776:
	v_cmp_eq_u16_e32 vcc_lo, 44, v9
	s_cbranch_vccz .LBB14_778
; %bb.777:
	global_load_u8 v0, v[2:3], off
	s_mov_b32 s0, 0
	s_mov_b32 s20, -1
	s_waitcnt vmcnt(0)
	v_lshlrev_b32_e32 v1, 23, v0
	v_cmp_ne_u32_e32 vcc_lo, 0, v0
	s_delay_alu instid0(VALU_DEP_2) | instskip(NEXT) | instid1(VALU_DEP_1)
	v_trunc_f32_e32 v1, v1
	v_mul_f32_e64 v4, 0x2f800000, |v1|
	s_delay_alu instid0(VALU_DEP_1) | instskip(NEXT) | instid1(VALU_DEP_1)
	v_floor_f32_e32 v4, v4
	v_fma_f32 v4, 0xcf800000, v4, |v1|
	v_ashrrev_i32_e32 v1, 31, v1
	s_delay_alu instid0(VALU_DEP_2) | instskip(NEXT) | instid1(VALU_DEP_1)
	v_cvt_u32_f32_e32 v4, v4
	v_xor_b32_e32 v4, v4, v1
	s_delay_alu instid0(VALU_DEP_1) | instskip(NEXT) | instid1(VALU_DEP_1)
	v_sub_nc_u32_e32 v1, v4, v1
	v_cndmask_b32_e32 v0, 0, v1, vcc_lo
	s_branch .LBB14_779
.LBB14_778:
	s_mov_b32 s0, -1
                                        ; implicit-def: $vgpr0
.LBB14_779:
	s_mov_b32 s21, 0
.LBB14_780:
	s_delay_alu instid0(SALU_CYCLE_1)
	s_and_b32 vcc_lo, exec_lo, s21
	s_cbranch_vccz .LBB14_784
; %bb.781:
	v_cmp_eq_u16_e32 vcc_lo, 29, v9
	s_cbranch_vccz .LBB14_783
; %bb.782:
	global_load_b64 v[0:1], v[2:3], off
	s_mov_b32 s0, 0
	s_mov_b32 s20, -1
	s_branch .LBB14_784
.LBB14_783:
	s_mov_b32 s0, -1
                                        ; implicit-def: $vgpr0
.LBB14_784:
	s_mov_b32 s21, 0
.LBB14_785:
	s_delay_alu instid0(SALU_CYCLE_1)
	s_and_b32 vcc_lo, exec_lo, s21
	s_cbranch_vccz .LBB14_801
; %bb.786:
	v_cmp_gt_i16_e32 vcc_lo, 27, v9
	s_cbranch_vccnz .LBB14_789
; %bb.787:
	v_cmp_lt_i16_e32 vcc_lo, 27, v9
	s_cbranch_vccz .LBB14_790
; %bb.788:
	global_load_b32 v0, v[2:3], off
	s_mov_b32 s20, 0
	s_branch .LBB14_791
.LBB14_789:
	s_mov_b32 s20, -1
                                        ; implicit-def: $vgpr0
	s_branch .LBB14_794
.LBB14_790:
	s_mov_b32 s20, -1
                                        ; implicit-def: $vgpr0
.LBB14_791:
	s_delay_alu instid0(SALU_CYCLE_1)
	s_and_not1_b32 vcc_lo, exec_lo, s20
	s_cbranch_vccnz .LBB14_793
; %bb.792:
	global_load_u16 v0, v[2:3], off
.LBB14_793:
	s_mov_b32 s20, 0
.LBB14_794:
	s_delay_alu instid0(SALU_CYCLE_1)
	s_and_not1_b32 vcc_lo, exec_lo, s20
	s_cbranch_vccnz .LBB14_800
; %bb.795:
	global_load_u8 v1, v[2:3], off
	s_mov_b32 s21, 0
	s_mov_b32 s20, exec_lo
                                        ; implicit-def: $sgpr22
	s_waitcnt vmcnt(0)
	v_cmpx_lt_i16_e32 0x7f, v1
	s_xor_b32 s20, exec_lo, s20
	s_cbranch_execz .LBB14_812
; %bb.796:
	v_cmp_ne_u16_e32 vcc_lo, 0x80, v1
	s_mov_b32 s22, 0
	s_and_b32 s21, vcc_lo, exec_lo
	s_or_saveexec_b32 s20, s20
	v_mov_b32_e32 v0, s22
	s_xor_b32 exec_lo, exec_lo, s20
	s_cbranch_execnz .LBB14_813
.LBB14_797:
	s_or_b32 exec_lo, exec_lo, s20
	s_and_saveexec_b32 s20, s21
	s_cbranch_execz .LBB14_799
.LBB14_798:
	v_and_b32_e32 v0, 0xffff, v1
	s_delay_alu instid0(VALU_DEP_1) | instskip(NEXT) | instid1(VALU_DEP_1)
	v_and_b32_e32 v4, 7, v0
	v_clz_i32_u32_e32 v5, v4
	s_delay_alu instid0(VALU_DEP_1) | instskip(NEXT) | instid1(VALU_DEP_1)
	v_min_u32_e32 v5, 32, v5
	v_subrev_nc_u32_e32 v6, 28, v5
	v_sub_nc_u32_e32 v5, 29, v5
	s_delay_alu instid0(VALU_DEP_2) | instskip(SKIP_1) | instid1(VALU_DEP_2)
	v_lshlrev_b32_e32 v6, v6, v0
	v_bfe_u32 v0, v0, 3, 4
	v_and_b32_e32 v6, 7, v6
	s_delay_alu instid0(VALU_DEP_2) | instskip(NEXT) | instid1(VALU_DEP_2)
	v_cmp_eq_u32_e32 vcc_lo, 0, v0
	v_dual_cndmask_b32 v4, v4, v6 :: v_dual_lshlrev_b32 v1, 24, v1
	v_cndmask_b32_e32 v0, v0, v5, vcc_lo
	s_delay_alu instid0(VALU_DEP_2) | instskip(NEXT) | instid1(VALU_DEP_3)
	v_and_b32_e32 v1, 0x80000000, v1
	v_lshlrev_b32_e32 v4, 20, v4
	s_delay_alu instid0(VALU_DEP_3) | instskip(NEXT) | instid1(VALU_DEP_1)
	v_lshl_add_u32 v0, v0, 23, 0x3b800000
	v_or3_b32 v0, v1, v0, v4
	s_delay_alu instid0(VALU_DEP_1) | instskip(NEXT) | instid1(VALU_DEP_1)
	v_trunc_f32_e32 v0, v0
	v_mul_f32_e64 v1, 0x2f800000, |v0|
	s_delay_alu instid0(VALU_DEP_1) | instskip(NEXT) | instid1(VALU_DEP_1)
	v_floor_f32_e32 v1, v1
	v_fma_f32 v1, 0xcf800000, v1, |v0|
	v_ashrrev_i32_e32 v0, 31, v0
	s_delay_alu instid0(VALU_DEP_2) | instskip(NEXT) | instid1(VALU_DEP_1)
	v_cvt_u32_f32_e32 v1, v1
	v_xor_b32_e32 v1, v1, v0
	s_delay_alu instid0(VALU_DEP_1)
	v_sub_nc_u32_e32 v0, v1, v0
.LBB14_799:
	s_or_b32 exec_lo, exec_lo, s20
.LBB14_800:
	s_mov_b32 s20, -1
.LBB14_801:
	s_mov_b32 s21, 0
.LBB14_802:
	s_delay_alu instid0(SALU_CYCLE_1)
	s_and_b32 vcc_lo, exec_lo, s21
	s_cbranch_vccz .LBB14_833
; %bb.803:
	v_cmp_lt_i16_e32 vcc_lo, 22, v9
	s_cbranch_vccz .LBB14_811
; %bb.804:
	v_cmp_gt_i16_e32 vcc_lo, 24, v9
	s_cbranch_vccnz .LBB14_814
; %bb.805:
	v_cmp_lt_i16_e32 vcc_lo, 24, v9
	s_cbranch_vccz .LBB14_815
; %bb.806:
	global_load_u8 v1, v[2:3], off
	s_mov_b32 s20, 0
	s_mov_b32 s19, exec_lo
                                        ; implicit-def: $sgpr21
	s_waitcnt vmcnt(0)
	v_cmpx_lt_i16_e32 0x7f, v1
	s_xor_b32 s19, exec_lo, s19
	s_cbranch_execz .LBB14_827
; %bb.807:
	v_cmp_ne_u16_e32 vcc_lo, 0x80, v1
	s_mov_b32 s21, 0
	s_and_b32 s20, vcc_lo, exec_lo
	s_or_saveexec_b32 s19, s19
	v_mov_b32_e32 v0, s21
	s_xor_b32 exec_lo, exec_lo, s19
	s_cbranch_execnz .LBB14_828
.LBB14_808:
	s_or_b32 exec_lo, exec_lo, s19
	s_and_saveexec_b32 s19, s20
	s_cbranch_execz .LBB14_810
.LBB14_809:
	v_and_b32_e32 v0, 0xffff, v1
	s_delay_alu instid0(VALU_DEP_1) | instskip(NEXT) | instid1(VALU_DEP_1)
	v_and_b32_e32 v4, 3, v0
	v_clz_i32_u32_e32 v5, v4
	s_delay_alu instid0(VALU_DEP_1) | instskip(NEXT) | instid1(VALU_DEP_1)
	v_min_u32_e32 v5, 32, v5
	v_subrev_nc_u32_e32 v6, 29, v5
	v_sub_nc_u32_e32 v5, 30, v5
	s_delay_alu instid0(VALU_DEP_2) | instskip(SKIP_1) | instid1(VALU_DEP_2)
	v_lshlrev_b32_e32 v6, v6, v0
	v_bfe_u32 v0, v0, 2, 5
	v_and_b32_e32 v6, 3, v6
	s_delay_alu instid0(VALU_DEP_2) | instskip(NEXT) | instid1(VALU_DEP_2)
	v_cmp_eq_u32_e32 vcc_lo, 0, v0
	v_dual_cndmask_b32 v4, v4, v6 :: v_dual_lshlrev_b32 v1, 24, v1
	v_cndmask_b32_e32 v0, v0, v5, vcc_lo
	s_delay_alu instid0(VALU_DEP_2) | instskip(NEXT) | instid1(VALU_DEP_3)
	v_and_b32_e32 v1, 0x80000000, v1
	v_lshlrev_b32_e32 v4, 21, v4
	s_delay_alu instid0(VALU_DEP_3) | instskip(NEXT) | instid1(VALU_DEP_1)
	v_lshl_add_u32 v0, v0, 23, 0x37800000
	v_or3_b32 v0, v1, v0, v4
	s_delay_alu instid0(VALU_DEP_1) | instskip(NEXT) | instid1(VALU_DEP_1)
	v_trunc_f32_e32 v0, v0
	v_mul_f32_e64 v1, 0x2f800000, |v0|
	s_delay_alu instid0(VALU_DEP_1) | instskip(NEXT) | instid1(VALU_DEP_1)
	v_floor_f32_e32 v1, v1
	v_fma_f32 v1, 0xcf800000, v1, |v0|
	v_ashrrev_i32_e32 v0, 31, v0
	s_delay_alu instid0(VALU_DEP_2) | instskip(NEXT) | instid1(VALU_DEP_1)
	v_cvt_u32_f32_e32 v1, v1
	v_xor_b32_e32 v1, v1, v0
	s_delay_alu instid0(VALU_DEP_1)
	v_sub_nc_u32_e32 v0, v1, v0
.LBB14_810:
	s_or_b32 exec_lo, exec_lo, s19
	s_mov_b32 s19, 0
	s_branch .LBB14_816
.LBB14_811:
	s_mov_b32 s19, -1
                                        ; implicit-def: $vgpr0
	s_branch .LBB14_822
.LBB14_812:
	s_or_saveexec_b32 s20, s20
	v_mov_b32_e32 v0, s22
	s_xor_b32 exec_lo, exec_lo, s20
	s_cbranch_execz .LBB14_797
.LBB14_813:
	v_cmp_ne_u16_e32 vcc_lo, 0, v1
	v_mov_b32_e32 v0, 0
	s_and_not1_b32 s21, s21, exec_lo
	s_and_b32 s22, vcc_lo, exec_lo
	s_delay_alu instid0(SALU_CYCLE_1)
	s_or_b32 s21, s21, s22
	s_or_b32 exec_lo, exec_lo, s20
	s_and_saveexec_b32 s20, s21
	s_cbranch_execnz .LBB14_798
	s_branch .LBB14_799
.LBB14_814:
	s_mov_b32 s19, -1
                                        ; implicit-def: $vgpr0
	s_branch .LBB14_819
.LBB14_815:
	s_mov_b32 s19, -1
                                        ; implicit-def: $vgpr0
.LBB14_816:
	s_delay_alu instid0(SALU_CYCLE_1)
	s_and_b32 vcc_lo, exec_lo, s19
	s_cbranch_vccz .LBB14_818
; %bb.817:
	global_load_u8 v0, v[2:3], off
	s_waitcnt vmcnt(0)
	v_lshlrev_b32_e32 v0, 24, v0
	s_delay_alu instid0(VALU_DEP_1) | instskip(NEXT) | instid1(VALU_DEP_1)
	v_and_b32_e32 v1, 0x7f000000, v0
	v_clz_i32_u32_e32 v4, v1
	v_cmp_ne_u32_e32 vcc_lo, 0, v1
	v_add_nc_u32_e32 v6, 0x1000000, v1
	s_delay_alu instid0(VALU_DEP_3) | instskip(NEXT) | instid1(VALU_DEP_1)
	v_min_u32_e32 v4, 32, v4
	v_sub_nc_u32_e64 v4, v4, 4 clamp
	s_delay_alu instid0(VALU_DEP_1) | instskip(SKIP_1) | instid1(VALU_DEP_2)
	v_lshlrev_b32_e32 v5, v4, v1
	v_lshlrev_b32_e32 v4, 23, v4
	v_lshrrev_b32_e32 v5, 4, v5
	s_delay_alu instid0(VALU_DEP_1) | instskip(SKIP_1) | instid1(VALU_DEP_2)
	v_sub_nc_u32_e32 v4, v5, v4
	v_ashrrev_i32_e32 v5, 8, v6
	v_add_nc_u32_e32 v4, 0x3c000000, v4
	s_delay_alu instid0(VALU_DEP_1) | instskip(NEXT) | instid1(VALU_DEP_1)
	v_and_or_b32 v4, 0x7f800000, v5, v4
	v_cndmask_b32_e32 v1, 0, v4, vcc_lo
	s_delay_alu instid0(VALU_DEP_1) | instskip(NEXT) | instid1(VALU_DEP_1)
	v_and_or_b32 v0, 0x80000000, v0, v1
	v_trunc_f32_e32 v0, v0
	s_delay_alu instid0(VALU_DEP_1) | instskip(NEXT) | instid1(VALU_DEP_1)
	v_mul_f32_e64 v1, 0x2f800000, |v0|
	v_floor_f32_e32 v1, v1
	s_delay_alu instid0(VALU_DEP_1) | instskip(SKIP_1) | instid1(VALU_DEP_2)
	v_fma_f32 v1, 0xcf800000, v1, |v0|
	v_ashrrev_i32_e32 v0, 31, v0
	v_cvt_u32_f32_e32 v1, v1
	s_delay_alu instid0(VALU_DEP_1) | instskip(NEXT) | instid1(VALU_DEP_1)
	v_xor_b32_e32 v1, v1, v0
	v_sub_nc_u32_e32 v0, v1, v0
.LBB14_818:
	s_mov_b32 s19, 0
.LBB14_819:
	s_delay_alu instid0(SALU_CYCLE_1)
	s_and_not1_b32 vcc_lo, exec_lo, s19
	s_cbranch_vccnz .LBB14_821
; %bb.820:
	global_load_u8 v0, v[2:3], off
	s_waitcnt vmcnt(0)
	v_lshlrev_b32_e32 v1, 25, v0
	v_lshlrev_b16 v0, 8, v0
	s_delay_alu instid0(VALU_DEP_2) | instskip(NEXT) | instid1(VALU_DEP_2)
	v_lshrrev_b32_e32 v4, 4, v1
	v_and_or_b32 v5, 0x7f00, v0, 0.5
	v_cmp_gt_u32_e32 vcc_lo, 0x8000000, v1
	v_bfe_i32 v0, v0, 0, 16
	s_delay_alu instid0(VALU_DEP_4) | instskip(NEXT) | instid1(VALU_DEP_1)
	v_or_b32_e32 v4, 0x70000000, v4
	v_dual_add_f32 v5, -0.5, v5 :: v_dual_mul_f32 v4, 0x7800000, v4
	s_delay_alu instid0(VALU_DEP_1) | instskip(NEXT) | instid1(VALU_DEP_1)
	v_cndmask_b32_e32 v1, v4, v5, vcc_lo
	v_and_or_b32 v0, 0x80000000, v0, v1
	s_delay_alu instid0(VALU_DEP_1) | instskip(NEXT) | instid1(VALU_DEP_1)
	v_trunc_f32_e32 v0, v0
	v_mul_f32_e64 v1, 0x2f800000, |v0|
	s_delay_alu instid0(VALU_DEP_1) | instskip(NEXT) | instid1(VALU_DEP_1)
	v_floor_f32_e32 v1, v1
	v_fma_f32 v1, 0xcf800000, v1, |v0|
	v_ashrrev_i32_e32 v0, 31, v0
	s_delay_alu instid0(VALU_DEP_2) | instskip(NEXT) | instid1(VALU_DEP_1)
	v_cvt_u32_f32_e32 v1, v1
	v_xor_b32_e32 v1, v1, v0
	s_delay_alu instid0(VALU_DEP_1)
	v_sub_nc_u32_e32 v0, v1, v0
.LBB14_821:
	s_mov_b32 s19, 0
	s_mov_b32 s20, -1
.LBB14_822:
	s_and_not1_b32 vcc_lo, exec_lo, s19
	s_mov_b32 s19, 0
	s_cbranch_vccnz .LBB14_833
; %bb.823:
	v_cmp_lt_i16_e32 vcc_lo, 14, v9
	s_cbranch_vccz .LBB14_826
; %bb.824:
	v_cmp_eq_u16_e32 vcc_lo, 15, v9
	s_cbranch_vccz .LBB14_829
; %bb.825:
	global_load_u16 v0, v[2:3], off
	s_mov_b32 s0, 0
	s_mov_b32 s20, -1
	s_waitcnt vmcnt(0)
	v_lshlrev_b32_e32 v0, 16, v0
	s_delay_alu instid0(VALU_DEP_1) | instskip(NEXT) | instid1(VALU_DEP_1)
	v_trunc_f32_e32 v0, v0
	v_mul_f32_e64 v1, 0x2f800000, |v0|
	s_delay_alu instid0(VALU_DEP_1) | instskip(NEXT) | instid1(VALU_DEP_1)
	v_floor_f32_e32 v1, v1
	v_fma_f32 v1, 0xcf800000, v1, |v0|
	v_ashrrev_i32_e32 v0, 31, v0
	s_delay_alu instid0(VALU_DEP_2) | instskip(NEXT) | instid1(VALU_DEP_1)
	v_cvt_u32_f32_e32 v1, v1
	v_xor_b32_e32 v1, v1, v0
	s_delay_alu instid0(VALU_DEP_1)
	v_sub_nc_u32_e32 v0, v1, v0
	s_branch .LBB14_831
.LBB14_826:
	s_mov_b32 s19, -1
	s_branch .LBB14_830
.LBB14_827:
	s_or_saveexec_b32 s19, s19
	v_mov_b32_e32 v0, s21
	s_xor_b32 exec_lo, exec_lo, s19
	s_cbranch_execz .LBB14_808
.LBB14_828:
	v_cmp_ne_u16_e32 vcc_lo, 0, v1
	v_mov_b32_e32 v0, 0
	s_and_not1_b32 s20, s20, exec_lo
	s_and_b32 s21, vcc_lo, exec_lo
	s_delay_alu instid0(SALU_CYCLE_1)
	s_or_b32 s20, s20, s21
	s_or_b32 exec_lo, exec_lo, s19
	s_and_saveexec_b32 s19, s20
	s_cbranch_execnz .LBB14_809
	s_branch .LBB14_810
.LBB14_829:
	s_mov_b32 s0, -1
.LBB14_830:
                                        ; implicit-def: $vgpr0
.LBB14_831:
	s_and_b32 vcc_lo, exec_lo, s19
	s_mov_b32 s19, 0
	s_cbranch_vccz .LBB14_833
; %bb.832:
	v_cmp_ne_u16_e32 vcc_lo, 11, v9
	s_and_not1_b32 s0, s0, exec_lo
	s_mov_b32 s19, -1
                                        ; implicit-def: $vgpr0
	s_and_b32 s21, vcc_lo, exec_lo
	s_delay_alu instid0(SALU_CYCLE_1)
	s_or_b32 s0, s0, s21
.LBB14_833:
	s_mov_b32 s22, 0
.LBB14_834:
	s_and_b32 s21, s20, exec_lo
	s_and_b32 s20, s22, exec_lo
	s_and_not1_b32 s22, s17, exec_lo
	s_and_b32 s23, s0, exec_lo
	s_and_b32 s0, s19, exec_lo
	s_or_b32 s19, s22, s23
.LBB14_835:
	s_or_b32 exec_lo, exec_lo, s10
	s_delay_alu instid0(SALU_CYCLE_1)
	s_and_not1_b32 s10, s17, exec_lo
	s_and_b32 s17, s19, exec_lo
	s_and_b32 s21, s21, exec_lo
	s_and_b32 s20, s20, exec_lo
	s_and_b32 s19, s0, exec_lo
	s_or_b32 s17, s10, s17
.LBB14_836:
	s_or_b32 exec_lo, exec_lo, s16
	s_delay_alu instid0(SALU_CYCLE_1)
	s_and_not1_b32 s0, s14, exec_lo
	s_and_b32 s10, s18, exec_lo
	s_and_b32 s18, s20, exec_lo
	s_or_b32 s14, s0, s10
	s_and_not1_b32 s10, s13, exec_lo
	s_and_b32 s13, s17, exec_lo
	s_and_b32 s0, s21, exec_lo
	;; [unrolled: 1-line block ×3, first 2 shown]
	s_or_b32 s13, s10, s13
.LBB14_837:
	s_or_b32 exec_lo, exec_lo, s15
	s_delay_alu instid0(SALU_CYCLE_1)
	s_and_not1_b32 s9, s9, exec_lo
	s_and_b32 s10, s14, exec_lo
	s_and_b32 s0, s0, exec_lo
	s_or_b32 s9, s9, s10
	s_and_not1_b32 s10, s11, exec_lo
	s_and_b32 s11, s13, exec_lo
	s_and_b32 s14, s18, exec_lo
	;; [unrolled: 1-line block ×3, first 2 shown]
	s_or_b32 s11, s10, s11
.LBB14_838:
	s_or_b32 exec_lo, exec_lo, s12
	s_mov_b32 s10, 0
	s_and_saveexec_b32 s12, s11
	s_cbranch_execnz .LBB14_850
; %bb.839:
	s_or_b32 exec_lo, exec_lo, s12
	s_and_saveexec_b32 s11, s13
	s_delay_alu instid0(SALU_CYCLE_1)
	s_xor_b32 s11, exec_lo, s11
	s_cbranch_execz .LBB14_841
.LBB14_840:
	global_load_u8 v0, v[2:3], off
	s_or_b32 s0, s0, exec_lo
	s_waitcnt vmcnt(0)
	v_cmp_ne_u16_e32 vcc_lo, 0, v0
	v_cndmask_b32_e64 v0, 0, 1, vcc_lo
.LBB14_841:
	s_or_b32 exec_lo, exec_lo, s11
	s_and_saveexec_b32 s11, s14
	s_cbranch_execz .LBB14_889
; %bb.842:
	v_cmp_gt_i16_e32 vcc_lo, 5, v9
	s_cbranch_vccnz .LBB14_847
; %bb.843:
	v_cmp_gt_i16_e32 vcc_lo, 8, v9
	s_cbranch_vccnz .LBB14_848
	;; [unrolled: 3-line block ×3, first 2 shown]
; %bb.845:
	v_cmp_lt_i16_e32 vcc_lo, 9, v9
	s_cbranch_vccz .LBB14_852
; %bb.846:
	global_load_b64 v[0:1], v[2:3], off
	s_mov_b32 s12, 0
	s_waitcnt vmcnt(0)
	v_trunc_f64_e32 v[0:1], v[0:1]
	s_delay_alu instid0(VALU_DEP_1) | instskip(NEXT) | instid1(VALU_DEP_1)
	v_ldexp_f64 v[4:5], v[0:1], 0xffffffe0
	v_floor_f64_e32 v[4:5], v[4:5]
	s_delay_alu instid0(VALU_DEP_1) | instskip(NEXT) | instid1(VALU_DEP_1)
	v_fma_f64 v[0:1], 0xc1f00000, v[4:5], v[0:1]
	v_cvt_u32_f64_e32 v0, v[0:1]
	s_branch .LBB14_853
.LBB14_847:
                                        ; implicit-def: $vgpr0
	s_branch .LBB14_870
.LBB14_848:
                                        ; implicit-def: $vgpr0
	s_branch .LBB14_859
.LBB14_849:
	s_mov_b32 s12, -1
                                        ; implicit-def: $vgpr0
	s_branch .LBB14_856
.LBB14_850:
	s_cbranch_execnz .LBB14_1068
; %bb.851:
	s_mov_b32 s10, exec_lo
	s_and_not1_b32 s13, s13, exec_lo
                                        ; implicit-def: $vgpr0
	s_or_b32 exec_lo, exec_lo, s12
	s_and_saveexec_b32 s11, s13
	s_delay_alu instid0(SALU_CYCLE_1)
	s_xor_b32 s11, exec_lo, s11
	s_cbranch_execnz .LBB14_840
	s_branch .LBB14_841
.LBB14_852:
	s_mov_b32 s12, -1
                                        ; implicit-def: $vgpr0
.LBB14_853:
	s_delay_alu instid0(SALU_CYCLE_1)
	s_and_not1_b32 vcc_lo, exec_lo, s12
	s_cbranch_vccnz .LBB14_855
; %bb.854:
	global_load_b32 v0, v[2:3], off
	s_waitcnt vmcnt(0)
	v_trunc_f32_e32 v0, v0
	s_delay_alu instid0(VALU_DEP_1) | instskip(NEXT) | instid1(VALU_DEP_1)
	v_mul_f32_e64 v1, 0x2f800000, |v0|
	v_floor_f32_e32 v1, v1
	s_delay_alu instid0(VALU_DEP_1) | instskip(SKIP_1) | instid1(VALU_DEP_2)
	v_fma_f32 v1, 0xcf800000, v1, |v0|
	v_ashrrev_i32_e32 v0, 31, v0
	v_cvt_u32_f32_e32 v1, v1
	s_delay_alu instid0(VALU_DEP_1) | instskip(NEXT) | instid1(VALU_DEP_1)
	v_xor_b32_e32 v1, v1, v0
	v_sub_nc_u32_e32 v0, v1, v0
.LBB14_855:
	s_mov_b32 s12, 0
.LBB14_856:
	s_delay_alu instid0(SALU_CYCLE_1)
	s_and_not1_b32 vcc_lo, exec_lo, s12
	s_cbranch_vccnz .LBB14_858
; %bb.857:
	global_load_b32 v0, v[2:3], off
	s_waitcnt vmcnt(0)
	v_cvt_f32_f16_e32 v0, v0
	s_delay_alu instid0(VALU_DEP_1)
	v_cvt_i32_f32_e32 v0, v0
.LBB14_858:
	s_cbranch_execnz .LBB14_869
.LBB14_859:
	v_cmp_gt_i16_e32 vcc_lo, 6, v9
	s_cbranch_vccnz .LBB14_862
; %bb.860:
	v_cmp_lt_i16_e32 vcc_lo, 6, v9
	s_cbranch_vccz .LBB14_863
; %bb.861:
	global_load_b64 v[0:1], v[2:3], off
	s_mov_b32 s12, 0
	s_waitcnt vmcnt(0)
	v_trunc_f64_e32 v[0:1], v[0:1]
	s_delay_alu instid0(VALU_DEP_1) | instskip(NEXT) | instid1(VALU_DEP_1)
	v_ldexp_f64 v[4:5], v[0:1], 0xffffffe0
	v_floor_f64_e32 v[4:5], v[4:5]
	s_delay_alu instid0(VALU_DEP_1) | instskip(NEXT) | instid1(VALU_DEP_1)
	v_fma_f64 v[0:1], 0xc1f00000, v[4:5], v[0:1]
	v_cvt_u32_f64_e32 v0, v[0:1]
	s_branch .LBB14_864
.LBB14_862:
	s_mov_b32 s12, -1
                                        ; implicit-def: $vgpr0
	s_branch .LBB14_867
.LBB14_863:
	s_mov_b32 s12, -1
                                        ; implicit-def: $vgpr0
.LBB14_864:
	s_delay_alu instid0(SALU_CYCLE_1)
	s_and_not1_b32 vcc_lo, exec_lo, s12
	s_cbranch_vccnz .LBB14_866
; %bb.865:
	global_load_b32 v0, v[2:3], off
	s_waitcnt vmcnt(0)
	v_trunc_f32_e32 v0, v0
	s_delay_alu instid0(VALU_DEP_1) | instskip(NEXT) | instid1(VALU_DEP_1)
	v_mul_f32_e64 v1, 0x2f800000, |v0|
	v_floor_f32_e32 v1, v1
	s_delay_alu instid0(VALU_DEP_1) | instskip(SKIP_1) | instid1(VALU_DEP_2)
	v_fma_f32 v1, 0xcf800000, v1, |v0|
	v_ashrrev_i32_e32 v0, 31, v0
	v_cvt_u32_f32_e32 v1, v1
	s_delay_alu instid0(VALU_DEP_1) | instskip(NEXT) | instid1(VALU_DEP_1)
	v_xor_b32_e32 v1, v1, v0
	v_sub_nc_u32_e32 v0, v1, v0
.LBB14_866:
	s_mov_b32 s12, 0
.LBB14_867:
	s_delay_alu instid0(SALU_CYCLE_1)
	s_and_not1_b32 vcc_lo, exec_lo, s12
	s_cbranch_vccnz .LBB14_869
; %bb.868:
	global_load_u16 v0, v[2:3], off
	s_waitcnt vmcnt(0)
	v_cvt_f32_f16_e32 v0, v0
	s_delay_alu instid0(VALU_DEP_1)
	v_cvt_i32_f32_e32 v0, v0
.LBB14_869:
	s_cbranch_execnz .LBB14_888
.LBB14_870:
	v_cmp_gt_i16_e32 vcc_lo, 2, v9
	s_cbranch_vccnz .LBB14_874
; %bb.871:
	v_cmp_gt_i16_e32 vcc_lo, 3, v9
	s_cbranch_vccnz .LBB14_875
; %bb.872:
	v_cmp_lt_i16_e32 vcc_lo, 3, v9
	s_cbranch_vccz .LBB14_876
; %bb.873:
	global_load_b64 v[0:1], v[2:3], off
	s_mov_b32 s12, 0
	s_branch .LBB14_877
.LBB14_874:
                                        ; implicit-def: $vgpr0
	s_branch .LBB14_883
.LBB14_875:
	s_mov_b32 s12, -1
                                        ; implicit-def: $vgpr0
	s_branch .LBB14_880
.LBB14_876:
	s_mov_b32 s12, -1
                                        ; implicit-def: $vgpr0
.LBB14_877:
	s_delay_alu instid0(SALU_CYCLE_1)
	s_and_not1_b32 vcc_lo, exec_lo, s12
	s_cbranch_vccnz .LBB14_879
; %bb.878:
	global_load_b32 v0, v[2:3], off
.LBB14_879:
	s_mov_b32 s12, 0
.LBB14_880:
	s_delay_alu instid0(SALU_CYCLE_1)
	s_and_not1_b32 vcc_lo, exec_lo, s12
	s_cbranch_vccnz .LBB14_882
; %bb.881:
	global_load_u16 v0, v[2:3], off
.LBB14_882:
	s_cbranch_execnz .LBB14_888
.LBB14_883:
	v_cmp_lt_i16_e32 vcc_lo, 0, v9
	s_mov_b32 s12, 0
	s_cbranch_vccz .LBB14_885
; %bb.884:
	global_load_u8 v0, v[2:3], off
	s_branch .LBB14_886
.LBB14_885:
	s_mov_b32 s12, -1
                                        ; implicit-def: $vgpr0
.LBB14_886:
	s_delay_alu instid0(SALU_CYCLE_1)
	s_and_not1_b32 vcc_lo, exec_lo, s12
	s_cbranch_vccnz .LBB14_888
; %bb.887:
	global_load_u8 v0, v[2:3], off
.LBB14_888:
	s_or_b32 s0, s0, exec_lo
.LBB14_889:
	s_or_b32 exec_lo, exec_lo, s11
	s_mov_b32 s13, 0
	s_mov_b32 s12, 0
                                        ; implicit-def: $vgpr4
                                        ; implicit-def: $vgpr1_vgpr2
                                        ; implicit-def: $vgpr3
	s_and_saveexec_b32 s11, s0
	s_cbranch_execz .LBB14_966
; %bb.890:
	s_waitcnt vmcnt(0)
	v_mul_lo_u32 v1, v8, s2
	v_and_b32_e32 v4, 0xff, v7
	s_delay_alu instid0(VALU_DEP_3) | instskip(SKIP_1) | instid1(VALU_DEP_2)
	v_xor_b32_e32 v3, -1, v0
	s_mov_b32 s12, -1
	v_cmp_gt_i16_e32 vcc_lo, 11, v4
	s_delay_alu instid0(VALU_DEP_4) | instskip(SKIP_1) | instid1(VALU_DEP_1)
	v_ashrrev_i32_e32 v2, 31, v1
	v_add_co_u32 v1, s0, s4, v1
	v_add_co_ci_u32_e64 v2, s0, s5, v2, s0
	s_mov_b32 s0, s9
	s_cbranch_vccnz .LBB14_965
; %bb.891:
	v_cmp_lt_i16_e32 vcc_lo, 25, v4
	s_mov_b32 s0, s9
	s_cbranch_vccz .LBB14_924
; %bb.892:
	v_cmp_lt_i16_e32 vcc_lo, 28, v4
	s_mov_b32 s0, s9
	s_cbranch_vccz .LBB14_908
	;; [unrolled: 4-line block ×4, first 2 shown]
; %bb.895:
	v_cmp_eq_u16_e32 vcc_lo, 46, v4
	s_mov_b32 s0, -1
	s_cbranch_vccz .LBB14_897
; %bb.896:
	v_cvt_f32_ubyte0_e32 v5, v3
	s_mov_b32 s0, 0
	s_delay_alu instid0(VALU_DEP_1) | instskip(NEXT) | instid1(VALU_DEP_1)
	v_bfe_u32 v6, v5, 16, 1
	v_add3_u32 v5, v5, v6, 0x7fff
	s_delay_alu instid0(VALU_DEP_1)
	v_lshrrev_b32_e32 v5, 16, v5
	global_store_b32 v[1:2], v5, off
.LBB14_897:
	s_mov_b32 s12, 0
.LBB14_898:
	s_delay_alu instid0(SALU_CYCLE_1)
	s_and_b32 vcc_lo, exec_lo, s12
	s_cbranch_vccz .LBB14_903
; %bb.899:
	v_cmp_eq_u16_e32 vcc_lo, 44, v4
	s_mov_b32 s0, -1
	s_cbranch_vccz .LBB14_903
; %bb.900:
	v_cvt_f32_ubyte0_e32 v7, v3
	v_mov_b32_e32 v6, 0xff
	s_mov_b32 s12, exec_lo
	s_delay_alu instid0(VALU_DEP_2) | instskip(NEXT) | instid1(VALU_DEP_1)
	v_lshrrev_b32_e32 v5, 23, v7
	v_cmpx_ne_u32_e32 0xff, v5
; %bb.901:
	v_and_b32_e32 v6, 0x400000, v7
	v_and_or_b32 v7, 0x3fffff, v7, v5
	s_delay_alu instid0(VALU_DEP_2) | instskip(NEXT) | instid1(VALU_DEP_2)
	v_cmp_ne_u32_e32 vcc_lo, 0, v6
	v_cmp_ne_u32_e64 s0, 0, v7
	s_delay_alu instid0(VALU_DEP_1) | instskip(NEXT) | instid1(SALU_CYCLE_1)
	s_and_b32 s0, vcc_lo, s0
	v_cndmask_b32_e64 v6, 0, 1, s0
	s_delay_alu instid0(VALU_DEP_1)
	v_add_nc_u32_e32 v6, v5, v6
; %bb.902:
	s_or_b32 exec_lo, exec_lo, s12
	s_mov_b32 s0, 0
	global_store_b8 v[1:2], v6, off
.LBB14_903:
	s_mov_b32 s12, 0
.LBB14_904:
	s_delay_alu instid0(SALU_CYCLE_1)
	s_and_b32 vcc_lo, exec_lo, s12
	s_cbranch_vccz .LBB14_907
; %bb.905:
	v_cmp_eq_u16_e32 vcc_lo, 29, v4
	s_mov_b32 s0, -1
	s_cbranch_vccz .LBB14_907
; %bb.906:
	v_dual_mov_b32 v6, 0 :: v_dual_and_b32 v5, 0xff, v3
	s_mov_b32 s0, 0
	global_store_b64 v[1:2], v[5:6], off
.LBB14_907:
	s_mov_b32 s12, 0
.LBB14_908:
	s_delay_alu instid0(SALU_CYCLE_1)
	s_and_b32 vcc_lo, exec_lo, s12
	s_cbranch_vccz .LBB14_923
; %bb.909:
	v_cmp_gt_i16_e32 vcc_lo, 27, v4
	s_mov_b32 s12, -1
	s_cbranch_vccnz .LBB14_915
; %bb.910:
	v_cmp_lt_i16_e32 vcc_lo, 27, v4
	v_and_b32_e32 v5, 0xff, v3
	s_cbranch_vccz .LBB14_912
; %bb.911:
	s_mov_b32 s12, 0
	global_store_b32 v[1:2], v5, off
.LBB14_912:
	s_and_not1_b32 vcc_lo, exec_lo, s12
	s_cbranch_vccnz .LBB14_914
; %bb.913:
	global_store_b16 v[1:2], v5, off
.LBB14_914:
	s_mov_b32 s12, 0
.LBB14_915:
	s_delay_alu instid0(SALU_CYCLE_1)
	s_and_not1_b32 vcc_lo, exec_lo, s12
	s_cbranch_vccnz .LBB14_923
; %bb.916:
	v_cvt_f32_ubyte0_e32 v6, v3
	v_mov_b32_e32 v7, 0x80
	s_mov_b32 s12, exec_lo
	s_delay_alu instid0(VALU_DEP_2)
	v_cmpx_gt_u32_e32 0x43800000, v6
	s_cbranch_execz .LBB14_922
; %bb.917:
	s_mov_b32 s14, exec_lo
                                        ; implicit-def: $vgpr5
	v_cmpx_lt_u32_e32 0x3bffffff, v6
	s_xor_b32 s14, exec_lo, s14
	s_cbranch_execz .LBB14_1154
; %bb.918:
	v_bfe_u32 v5, v6, 20, 1
	s_mov_b32 s13, exec_lo
	s_delay_alu instid0(VALU_DEP_1) | instskip(NEXT) | instid1(VALU_DEP_1)
	v_add3_u32 v5, v6, v5, 0x487ffff
                                        ; implicit-def: $vgpr6
	v_lshrrev_b32_e32 v5, 20, v5
	s_or_saveexec_b32 s14, s14
                                        ; implicit-def: $sgpr15
	s_delay_alu instid0(SALU_CYCLE_1)
	s_xor_b32 exec_lo, exec_lo, s14
	s_cbranch_execnz .LBB14_1155
.LBB14_919:
	s_or_b32 exec_lo, exec_lo, s14
	v_mov_b32_e32 v7, s15
	s_and_saveexec_b32 s14, s13
.LBB14_920:
	v_mov_b32_e32 v7, v5
.LBB14_921:
	s_or_b32 exec_lo, exec_lo, s14
.LBB14_922:
	s_delay_alu instid0(SALU_CYCLE_1)
	s_or_b32 exec_lo, exec_lo, s12
	global_store_b8 v[1:2], v7, off
.LBB14_923:
	s_mov_b32 s12, 0
.LBB14_924:
	s_delay_alu instid0(SALU_CYCLE_1)
	s_and_b32 vcc_lo, exec_lo, s12
	s_mov_b32 s12, 0
	s_cbranch_vccz .LBB14_964
; %bb.925:
	v_cmp_lt_i16_e32 vcc_lo, 22, v4
	s_mov_b32 s13, -1
	s_cbranch_vccz .LBB14_957
; %bb.926:
	v_cmp_gt_i16_e32 vcc_lo, 24, v4
	s_cbranch_vccnz .LBB14_946
; %bb.927:
	v_cmp_lt_i16_e32 vcc_lo, 24, v4
	s_cbranch_vccz .LBB14_935
; %bb.928:
	v_cvt_f32_ubyte0_e32 v6, v3
	v_mov_b32_e32 v7, 0x80
	s_mov_b32 s13, exec_lo
	s_delay_alu instid0(VALU_DEP_2)
	v_cmpx_gt_u32_e32 0x47800000, v6
	s_cbranch_execz .LBB14_934
; %bb.929:
	s_mov_b32 s14, 0
	s_mov_b32 s15, exec_lo
                                        ; implicit-def: $vgpr5
	v_cmpx_lt_u32_e32 0x37ffffff, v6
	s_xor_b32 s15, exec_lo, s15
	s_cbranch_execz .LBB14_1198
; %bb.930:
	v_bfe_u32 v5, v6, 21, 1
	s_mov_b32 s14, exec_lo
	s_delay_alu instid0(VALU_DEP_1) | instskip(NEXT) | instid1(VALU_DEP_1)
	v_add3_u32 v5, v6, v5, 0x88fffff
                                        ; implicit-def: $vgpr6
	v_lshrrev_b32_e32 v5, 21, v5
	s_or_saveexec_b32 s15, s15
                                        ; implicit-def: $sgpr16
	s_delay_alu instid0(SALU_CYCLE_1)
	s_xor_b32 exec_lo, exec_lo, s15
	s_cbranch_execnz .LBB14_1199
.LBB14_931:
	s_or_b32 exec_lo, exec_lo, s15
	v_mov_b32_e32 v7, s16
	s_and_saveexec_b32 s15, s14
.LBB14_932:
	v_mov_b32_e32 v7, v5
.LBB14_933:
	s_or_b32 exec_lo, exec_lo, s15
.LBB14_934:
	s_delay_alu instid0(SALU_CYCLE_1)
	s_or_b32 exec_lo, exec_lo, s13
	s_mov_b32 s13, 0
	global_store_b8 v[1:2], v7, off
.LBB14_935:
	s_and_b32 vcc_lo, exec_lo, s13
	s_cbranch_vccz .LBB14_945
; %bb.936:
	v_cvt_f32_ubyte0_e32 v6, v3
	s_mov_b32 s13, exec_lo
                                        ; implicit-def: $vgpr5
	s_delay_alu instid0(VALU_DEP_1)
	v_cmpx_gt_u32_e32 0x43f00000, v6
	s_xor_b32 s13, exec_lo, s13
	s_cbranch_execz .LBB14_942
; %bb.937:
	s_mov_b32 s14, exec_lo
                                        ; implicit-def: $vgpr5
	v_cmpx_lt_u32_e32 0x3c7fffff, v6
	s_xor_b32 s14, exec_lo, s14
; %bb.938:
	v_bfe_u32 v5, v6, 20, 1
	s_delay_alu instid0(VALU_DEP_1) | instskip(NEXT) | instid1(VALU_DEP_1)
	v_add3_u32 v5, v6, v5, 0x407ffff
	v_and_b32_e32 v6, 0xff00000, v5
	v_lshrrev_b32_e32 v5, 20, v5
	s_delay_alu instid0(VALU_DEP_2) | instskip(NEXT) | instid1(VALU_DEP_2)
	v_cmp_ne_u32_e32 vcc_lo, 0x7f00000, v6
                                        ; implicit-def: $vgpr6
	v_cndmask_b32_e32 v5, 0x7e, v5, vcc_lo
; %bb.939:
	s_and_not1_saveexec_b32 s14, s14
; %bb.940:
	v_add_f32_e32 v5, 0x46800000, v6
; %bb.941:
	s_or_b32 exec_lo, exec_lo, s14
                                        ; implicit-def: $vgpr6
.LBB14_942:
	s_and_not1_saveexec_b32 s13, s13
; %bb.943:
	v_mov_b32_e32 v5, 0x7f
	v_cmp_lt_u32_e32 vcc_lo, 0x7f800000, v6
	s_delay_alu instid0(VALU_DEP_2)
	v_cndmask_b32_e32 v5, 0x7e, v5, vcc_lo
; %bb.944:
	s_or_b32 exec_lo, exec_lo, s13
	global_store_b8 v[1:2], v5, off
.LBB14_945:
	s_mov_b32 s13, 0
.LBB14_946:
	s_delay_alu instid0(SALU_CYCLE_1)
	s_and_not1_b32 vcc_lo, exec_lo, s13
	s_cbranch_vccnz .LBB14_956
; %bb.947:
	v_cvt_f32_ubyte0_e32 v6, v3
	s_mov_b32 s13, exec_lo
                                        ; implicit-def: $vgpr5
	s_delay_alu instid0(VALU_DEP_1)
	v_cmpx_gt_u32_e32 0x47800000, v6
	s_xor_b32 s13, exec_lo, s13
	s_cbranch_execz .LBB14_953
; %bb.948:
	s_mov_b32 s14, exec_lo
                                        ; implicit-def: $vgpr5
	v_cmpx_lt_u32_e32 0x387fffff, v6
	s_xor_b32 s14, exec_lo, s14
; %bb.949:
	v_bfe_u32 v5, v6, 21, 1
	s_delay_alu instid0(VALU_DEP_1) | instskip(NEXT) | instid1(VALU_DEP_1)
	v_add3_u32 v5, v6, v5, 0x80fffff
                                        ; implicit-def: $vgpr6
	v_lshrrev_b32_e32 v5, 21, v5
; %bb.950:
	s_and_not1_saveexec_b32 s14, s14
; %bb.951:
	v_add_f32_e32 v5, 0x43000000, v6
; %bb.952:
	s_or_b32 exec_lo, exec_lo, s14
                                        ; implicit-def: $vgpr6
.LBB14_953:
	s_and_not1_saveexec_b32 s13, s13
; %bb.954:
	v_mov_b32_e32 v5, 0x7f
	v_cmp_lt_u32_e32 vcc_lo, 0x7f800000, v6
	s_delay_alu instid0(VALU_DEP_2)
	v_cndmask_b32_e32 v5, 0x7c, v5, vcc_lo
; %bb.955:
	s_or_b32 exec_lo, exec_lo, s13
	global_store_b8 v[1:2], v5, off
.LBB14_956:
	s_mov_b32 s13, 0
.LBB14_957:
	s_delay_alu instid0(SALU_CYCLE_1)
	s_and_not1_b32 vcc_lo, exec_lo, s13
	s_mov_b32 s13, 0
	s_cbranch_vccnz .LBB14_965
; %bb.958:
	v_cmp_lt_i16_e32 vcc_lo, 14, v4
	s_mov_b32 s13, -1
	s_cbranch_vccz .LBB14_962
; %bb.959:
	v_cmp_eq_u16_e32 vcc_lo, 15, v4
	s_mov_b32 s0, -1
	s_cbranch_vccz .LBB14_961
; %bb.960:
	v_cvt_f32_ubyte0_e32 v5, v3
	s_mov_b32 s0, 0
	s_delay_alu instid0(VALU_DEP_1) | instskip(NEXT) | instid1(VALU_DEP_1)
	v_bfe_u32 v6, v5, 16, 1
	v_add3_u32 v5, v5, v6, 0x7fff
	global_store_d16_hi_b16 v[1:2], v5, off
.LBB14_961:
	s_mov_b32 s13, 0
.LBB14_962:
	s_delay_alu instid0(SALU_CYCLE_1)
	s_and_b32 vcc_lo, exec_lo, s13
	s_mov_b32 s13, 0
	s_cbranch_vccz .LBB14_965
; %bb.963:
	v_cmp_ne_u16_e32 vcc_lo, 11, v4
	s_and_not1_b32 s0, s0, exec_lo
	s_mov_b32 s13, -1
	s_and_b32 s14, vcc_lo, exec_lo
	s_delay_alu instid0(SALU_CYCLE_1)
	s_or_b32 s0, s0, s14
	s_branch .LBB14_965
.LBB14_964:
	s_mov_b32 s13, 0
.LBB14_965:
	s_and_not1_b32 s9, s9, exec_lo
	s_and_b32 s0, s0, exec_lo
	s_and_b32 s12, s12, exec_lo
	;; [unrolled: 1-line block ×3, first 2 shown]
	s_or_b32 s9, s9, s0
.LBB14_966:
	s_or_b32 exec_lo, exec_lo, s11
	s_and_saveexec_b32 s0, s9
	s_cbranch_execnz .LBB14_1028
; %bb.967:
	s_or_b32 exec_lo, exec_lo, s0
	s_and_saveexec_b32 s0, s13
	s_delay_alu instid0(SALU_CYCLE_1)
	s_xor_b32 s0, exec_lo, s0
	s_cbranch_execz .LBB14_969
.LBB14_968:
	s_waitcnt vmcnt(0)
	s_delay_alu instid0(VALU_DEP_1) | instskip(NEXT) | instid1(VALU_DEP_1)
	v_and_b32_e32 v0, 0xff, v0
	v_cmp_ne_u16_e32 vcc_lo, 0xff, v0
	v_cndmask_b32_e64 v0, 0, 1, vcc_lo
	global_store_b8 v[1:2], v0, off
.LBB14_969:
	s_or_b32 exec_lo, exec_lo, s0
	s_and_saveexec_b32 s0, s12
	s_delay_alu instid0(SALU_CYCLE_1)
	s_xor_b32 s0, exec_lo, s0
	s_cbranch_execz .LBB14_1007
; %bb.970:
	v_cmp_gt_i16_e32 vcc_lo, 5, v4
	s_mov_b32 s9, -1
	s_cbranch_vccnz .LBB14_991
; %bb.971:
	v_cmp_gt_i16_e32 vcc_lo, 8, v4
	s_cbranch_vccnz .LBB14_981
; %bb.972:
	v_cmp_gt_i16_e32 vcc_lo, 9, v4
	s_cbranch_vccnz .LBB14_978
; %bb.973:
	v_cmp_lt_i16_e32 vcc_lo, 9, v4
	s_cbranch_vccz .LBB14_975
; %bb.974:
	s_waitcnt vmcnt(0)
	v_dual_mov_b32 v7, 0 :: v_dual_and_b32 v0, 0xff, v3
	s_mov_b32 s9, 0
	s_delay_alu instid0(VALU_DEP_1) | instskip(NEXT) | instid1(VALU_DEP_2)
	v_and_b32_e32 v0, 0xffff, v0
	v_mov_b32_e32 v8, v7
	s_delay_alu instid0(VALU_DEP_2)
	v_cvt_f64_u32_e32 v[5:6], v0
	global_store_b128 v[1:2], v[5:8], off
.LBB14_975:
	s_and_not1_b32 vcc_lo, exec_lo, s9
	s_cbranch_vccnz .LBB14_977
; %bb.976:
	v_cvt_f32_ubyte0_e32 v5, v3
	v_mov_b32_e32 v6, 0
	s_waitcnt vmcnt(0)
	global_store_b64 v[1:2], v[5:6], off
.LBB14_977:
	s_mov_b32 s9, 0
.LBB14_978:
	s_delay_alu instid0(SALU_CYCLE_1)
	s_and_not1_b32 vcc_lo, exec_lo, s9
	s_cbranch_vccnz .LBB14_980
; %bb.979:
	s_waitcnt vmcnt(0)
	v_and_b32_e32 v0, 0xff, v3
	s_delay_alu instid0(VALU_DEP_1) | instskip(NEXT) | instid1(VALU_DEP_1)
	v_cvt_f16_u16_e32 v0, v0
	v_and_b32_e32 v0, 0xffff, v0
	global_store_b32 v[1:2], v0, off
.LBB14_980:
	s_mov_b32 s9, 0
.LBB14_981:
	s_delay_alu instid0(SALU_CYCLE_1)
	s_and_not1_b32 vcc_lo, exec_lo, s9
	s_cbranch_vccnz .LBB14_990
; %bb.982:
	v_cmp_gt_i16_e32 vcc_lo, 6, v4
	s_mov_b32 s9, -1
	s_cbranch_vccnz .LBB14_988
; %bb.983:
	v_cmp_lt_i16_e32 vcc_lo, 6, v4
	s_cbranch_vccz .LBB14_985
; %bb.984:
	s_waitcnt vmcnt(0)
	v_and_b32_e32 v0, 0xff, v3
	s_mov_b32 s9, 0
	s_delay_alu instid0(VALU_DEP_1) | instskip(NEXT) | instid1(VALU_DEP_1)
	v_and_b32_e32 v0, 0xffff, v0
	v_cvt_f64_u32_e32 v[5:6], v0
	global_store_b64 v[1:2], v[5:6], off
.LBB14_985:
	s_and_not1_b32 vcc_lo, exec_lo, s9
	s_cbranch_vccnz .LBB14_987
; %bb.986:
	s_waitcnt vmcnt(0)
	v_cvt_f32_ubyte0_e32 v0, v3
	global_store_b32 v[1:2], v0, off
.LBB14_987:
	s_mov_b32 s9, 0
.LBB14_988:
	s_delay_alu instid0(SALU_CYCLE_1)
	s_and_not1_b32 vcc_lo, exec_lo, s9
	s_cbranch_vccnz .LBB14_990
; %bb.989:
	s_waitcnt vmcnt(0)
	v_and_b32_e32 v0, 0xff, v3
	s_delay_alu instid0(VALU_DEP_1)
	v_cvt_f16_u16_e32 v0, v0
	global_store_b16 v[1:2], v0, off
.LBB14_990:
	s_mov_b32 s9, 0
.LBB14_991:
	s_delay_alu instid0(SALU_CYCLE_1)
	s_and_not1_b32 vcc_lo, exec_lo, s9
	s_cbranch_vccnz .LBB14_1007
; %bb.992:
	v_cmp_gt_i16_e32 vcc_lo, 2, v4
	s_mov_b32 s9, -1
	s_cbranch_vccnz .LBB14_1002
; %bb.993:
	v_cmp_gt_i16_e32 vcc_lo, 3, v4
	s_cbranch_vccnz .LBB14_999
; %bb.994:
	v_cmp_lt_i16_e32 vcc_lo, 3, v4
	s_cbranch_vccz .LBB14_996
; %bb.995:
	v_dual_mov_b32 v6, 0 :: v_dual_and_b32 v5, 0xff, v3
	s_mov_b32 s9, 0
	s_waitcnt vmcnt(0)
	global_store_b64 v[1:2], v[5:6], off
.LBB14_996:
	s_and_not1_b32 vcc_lo, exec_lo, s9
	s_cbranch_vccnz .LBB14_998
; %bb.997:
	s_waitcnt vmcnt(0)
	v_and_b32_e32 v0, 0xff, v3
	global_store_b32 v[1:2], v0, off
.LBB14_998:
	s_mov_b32 s9, 0
.LBB14_999:
	s_delay_alu instid0(SALU_CYCLE_1)
	s_and_not1_b32 vcc_lo, exec_lo, s9
	s_cbranch_vccnz .LBB14_1001
; %bb.1000:
	s_waitcnt vmcnt(0)
	v_and_b32_e32 v0, 0xff, v3
	global_store_b16 v[1:2], v0, off
.LBB14_1001:
	s_mov_b32 s9, 0
.LBB14_1002:
	s_delay_alu instid0(SALU_CYCLE_1)
	s_and_not1_b32 vcc_lo, exec_lo, s9
	s_cbranch_vccnz .LBB14_1007
; %bb.1003:
	v_cmp_lt_i16_e32 vcc_lo, 0, v4
	s_mov_b32 s9, -1
	s_cbranch_vccz .LBB14_1005
; %bb.1004:
	s_mov_b32 s9, 0
	s_waitcnt vmcnt(0)
	global_store_b8 v[1:2], v3, off
.LBB14_1005:
	s_and_not1_b32 vcc_lo, exec_lo, s9
	s_cbranch_vccnz .LBB14_1007
; %bb.1006:
	s_waitcnt vmcnt(0)
	global_store_b8 v[1:2], v3, off
.LBB14_1007:
	s_or_b32 exec_lo, exec_lo, s0
	s_delay_alu instid0(SALU_CYCLE_1)
	s_and_b32 s9, s10, exec_lo
                                        ; implicit-def: $vgpr8
                                        ; implicit-def: $vgpr9
                                        ; implicit-def: $vgpr7
.LBB14_1008:
	s_or_saveexec_b32 s8, s8
	s_mov_b32 s0, 0
                                        ; implicit-def: $vgpr10
                                        ; implicit-def: $vgpr2_vgpr3
                                        ; implicit-def: $vgpr0
                                        ; implicit-def: $vgpr1
	s_xor_b32 exec_lo, exec_lo, s8
	s_cbranch_execz .LBB14_1328
; %bb.1009:
	v_mul_lo_u32 v4, s3, v8
	v_cmp_gt_i16_e32 vcc_lo, 11, v9
	s_and_b32 vcc_lo, exec_lo, vcc_lo
	s_waitcnt vmcnt(0)
	s_delay_alu instid0(VALU_DEP_2) | instskip(SKIP_1) | instid1(VALU_DEP_1)
	v_ashrrev_i32_e32 v0, 31, v4
	v_add_co_u32 v2, s0, s6, v4
	v_add_co_ci_u32_e64 v3, s0, s7, v0, s0
	s_cbranch_vccnz .LBB14_1016
; %bb.1010:
	v_cmp_lt_i16_e32 vcc_lo, 25, v9
	s_mov_b32 s10, 0
	s_cbranch_vccz .LBB14_1022
; %bb.1011:
	v_cmp_lt_i16_e32 vcc_lo, 28, v9
	s_cbranch_vccz .LBB14_1024
; %bb.1012:
	v_cmp_lt_i16_e32 vcc_lo, 43, v9
	;; [unrolled: 3-line block ×3, first 2 shown]
	s_cbranch_vccz .LBB14_1030
; %bb.1014:
	v_cmp_eq_u16_e32 vcc_lo, 46, v9
	s_cbranch_vccz .LBB14_1072
; %bb.1015:
	global_load_b32 v0, v[2:3], off
	s_mov_b32 s0, 0
	s_mov_b32 s11, -1
	s_waitcnt vmcnt(0)
	v_lshlrev_b32_e32 v0, 16, v0
	s_delay_alu instid0(VALU_DEP_1) | instskip(NEXT) | instid1(VALU_DEP_1)
	v_trunc_f32_e32 v0, v0
	v_mul_f32_e64 v1, 0x2f800000, |v0|
	s_delay_alu instid0(VALU_DEP_1) | instskip(NEXT) | instid1(VALU_DEP_1)
	v_floor_f32_e32 v1, v1
	v_fma_f32 v1, 0xcf800000, v1, |v0|
	v_ashrrev_i32_e32 v0, 31, v0
	s_delay_alu instid0(VALU_DEP_2) | instskip(NEXT) | instid1(VALU_DEP_1)
	v_cvt_u32_f32_e32 v1, v1
	v_xor_b32_e32 v1, v1, v0
	s_delay_alu instid0(VALU_DEP_1)
	v_sub_nc_u32_e32 v0, v1, v0
	s_branch .LBB14_1074
.LBB14_1016:
	s_mov_b32 s11, 0
	s_mov_b32 s1, s9
                                        ; implicit-def: $vgpr0
	s_cbranch_execz .LBB14_1132
; %bb.1017:
	v_cmp_gt_i16_e32 vcc_lo, 5, v9
	s_cbranch_vccnz .LBB14_1023
; %bb.1018:
	v_cmp_gt_i16_e32 vcc_lo, 8, v9
	s_cbranch_vccnz .LBB14_1025
; %bb.1019:
	v_cmp_gt_i16_e32 vcc_lo, 9, v9
	s_cbranch_vccnz .LBB14_1027
; %bb.1020:
	v_cmp_lt_i16_e32 vcc_lo, 9, v9
	s_cbranch_vccz .LBB14_1031
; %bb.1021:
	global_load_b64 v[0:1], v[2:3], off
	s_mov_b32 s0, 0
	s_waitcnt vmcnt(0)
	v_trunc_f64_e32 v[0:1], v[0:1]
	s_delay_alu instid0(VALU_DEP_1) | instskip(NEXT) | instid1(VALU_DEP_1)
	v_ldexp_f64 v[5:6], v[0:1], 0xffffffe0
	v_floor_f64_e32 v[5:6], v[5:6]
	s_delay_alu instid0(VALU_DEP_1) | instskip(NEXT) | instid1(VALU_DEP_1)
	v_fma_f64 v[0:1], 0xc1f00000, v[5:6], v[0:1]
	v_cvt_u32_f64_e32 v0, v[0:1]
	s_branch .LBB14_1032
.LBB14_1022:
	s_mov_b32 s11, 0
	s_mov_b32 s0, 0
                                        ; implicit-def: $vgpr0
	s_cbranch_execnz .LBB14_1099
	s_branch .LBB14_1128
.LBB14_1023:
                                        ; implicit-def: $vgpr0
	s_branch .LBB14_1049
.LBB14_1024:
	s_mov_b32 s11, 0
	s_mov_b32 s0, 0
                                        ; implicit-def: $vgpr0
	s_cbranch_execz .LBB14_1098
	s_branch .LBB14_1083
.LBB14_1025:
                                        ; implicit-def: $vgpr0
	s_branch .LBB14_1038
.LBB14_1026:
	s_mov_b32 s11, 0
	s_mov_b32 s0, 0
                                        ; implicit-def: $vgpr0
	s_cbranch_execnz .LBB14_1079
	s_branch .LBB14_1082
.LBB14_1027:
	s_mov_b32 s0, -1
                                        ; implicit-def: $vgpr0
	s_branch .LBB14_1035
.LBB14_1028:
	s_cbranch_execnz .LBB14_1070
; %bb.1029:
	s_or_b32 s10, s10, exec_lo
	s_and_not1_b32 s13, s13, exec_lo
	s_or_b32 exec_lo, exec_lo, s0
	s_and_saveexec_b32 s0, s13
	s_delay_alu instid0(SALU_CYCLE_1)
	s_xor_b32 s0, exec_lo, s0
	s_cbranch_execnz .LBB14_968
	s_branch .LBB14_969
.LBB14_1030:
	s_mov_b32 s1, -1
	s_mov_b32 s11, 0
	s_mov_b32 s0, 0
	s_branch .LBB14_1073
.LBB14_1031:
	s_mov_b32 s0, -1
                                        ; implicit-def: $vgpr0
.LBB14_1032:
	s_delay_alu instid0(SALU_CYCLE_1)
	s_and_not1_b32 vcc_lo, exec_lo, s0
	s_cbranch_vccnz .LBB14_1034
; %bb.1033:
	global_load_b32 v0, v[2:3], off
	s_waitcnt vmcnt(0)
	v_trunc_f32_e32 v0, v0
	s_delay_alu instid0(VALU_DEP_1) | instskip(NEXT) | instid1(VALU_DEP_1)
	v_mul_f32_e64 v1, 0x2f800000, |v0|
	v_floor_f32_e32 v1, v1
	s_delay_alu instid0(VALU_DEP_1) | instskip(SKIP_1) | instid1(VALU_DEP_2)
	v_fma_f32 v1, 0xcf800000, v1, |v0|
	v_ashrrev_i32_e32 v0, 31, v0
	v_cvt_u32_f32_e32 v1, v1
	s_delay_alu instid0(VALU_DEP_1) | instskip(NEXT) | instid1(VALU_DEP_1)
	v_xor_b32_e32 v1, v1, v0
	v_sub_nc_u32_e32 v0, v1, v0
.LBB14_1034:
	s_mov_b32 s0, 0
.LBB14_1035:
	s_delay_alu instid0(SALU_CYCLE_1)
	s_and_not1_b32 vcc_lo, exec_lo, s0
	s_cbranch_vccnz .LBB14_1037
; %bb.1036:
	global_load_b32 v0, v[2:3], off
	s_waitcnt vmcnt(0)
	v_cvt_f32_f16_e32 v0, v0
	s_delay_alu instid0(VALU_DEP_1)
	v_cvt_i32_f32_e32 v0, v0
.LBB14_1037:
	s_cbranch_execnz .LBB14_1048
.LBB14_1038:
	v_cmp_gt_i16_e32 vcc_lo, 6, v9
	s_cbranch_vccnz .LBB14_1041
; %bb.1039:
	v_cmp_lt_i16_e32 vcc_lo, 6, v9
	s_cbranch_vccz .LBB14_1042
; %bb.1040:
	global_load_b64 v[0:1], v[2:3], off
	s_mov_b32 s0, 0
	s_waitcnt vmcnt(0)
	v_trunc_f64_e32 v[0:1], v[0:1]
	s_delay_alu instid0(VALU_DEP_1) | instskip(NEXT) | instid1(VALU_DEP_1)
	v_ldexp_f64 v[5:6], v[0:1], 0xffffffe0
	v_floor_f64_e32 v[5:6], v[5:6]
	s_delay_alu instid0(VALU_DEP_1) | instskip(NEXT) | instid1(VALU_DEP_1)
	v_fma_f64 v[0:1], 0xc1f00000, v[5:6], v[0:1]
	v_cvt_u32_f64_e32 v0, v[0:1]
	s_branch .LBB14_1043
.LBB14_1041:
	s_mov_b32 s0, -1
                                        ; implicit-def: $vgpr0
	s_branch .LBB14_1046
.LBB14_1042:
	s_mov_b32 s0, -1
                                        ; implicit-def: $vgpr0
.LBB14_1043:
	s_delay_alu instid0(SALU_CYCLE_1)
	s_and_not1_b32 vcc_lo, exec_lo, s0
	s_cbranch_vccnz .LBB14_1045
; %bb.1044:
	global_load_b32 v0, v[2:3], off
	s_waitcnt vmcnt(0)
	v_trunc_f32_e32 v0, v0
	s_delay_alu instid0(VALU_DEP_1) | instskip(NEXT) | instid1(VALU_DEP_1)
	v_mul_f32_e64 v1, 0x2f800000, |v0|
	v_floor_f32_e32 v1, v1
	s_delay_alu instid0(VALU_DEP_1) | instskip(SKIP_1) | instid1(VALU_DEP_2)
	v_fma_f32 v1, 0xcf800000, v1, |v0|
	v_ashrrev_i32_e32 v0, 31, v0
	v_cvt_u32_f32_e32 v1, v1
	s_delay_alu instid0(VALU_DEP_1) | instskip(NEXT) | instid1(VALU_DEP_1)
	v_xor_b32_e32 v1, v1, v0
	v_sub_nc_u32_e32 v0, v1, v0
.LBB14_1045:
	s_mov_b32 s0, 0
.LBB14_1046:
	s_delay_alu instid0(SALU_CYCLE_1)
	s_and_not1_b32 vcc_lo, exec_lo, s0
	s_cbranch_vccnz .LBB14_1048
; %bb.1047:
	global_load_u16 v0, v[2:3], off
	s_waitcnt vmcnt(0)
	v_cvt_f32_f16_e32 v0, v0
	s_delay_alu instid0(VALU_DEP_1)
	v_cvt_i32_f32_e32 v0, v0
.LBB14_1048:
	s_cbranch_execnz .LBB14_1067
.LBB14_1049:
	v_cmp_gt_i16_e32 vcc_lo, 2, v9
	s_cbranch_vccnz .LBB14_1053
; %bb.1050:
	v_cmp_gt_i16_e32 vcc_lo, 3, v9
	s_cbranch_vccnz .LBB14_1054
; %bb.1051:
	v_cmp_lt_i16_e32 vcc_lo, 3, v9
	s_cbranch_vccz .LBB14_1055
; %bb.1052:
	global_load_b64 v[0:1], v[2:3], off
	s_mov_b32 s0, 0
	s_branch .LBB14_1056
.LBB14_1053:
                                        ; implicit-def: $vgpr0
	s_branch .LBB14_1062
.LBB14_1054:
	s_mov_b32 s0, -1
                                        ; implicit-def: $vgpr0
	s_branch .LBB14_1059
.LBB14_1055:
	s_mov_b32 s0, -1
                                        ; implicit-def: $vgpr0
.LBB14_1056:
	s_delay_alu instid0(SALU_CYCLE_1)
	s_and_not1_b32 vcc_lo, exec_lo, s0
	s_cbranch_vccnz .LBB14_1058
; %bb.1057:
	global_load_b32 v0, v[2:3], off
.LBB14_1058:
	s_mov_b32 s0, 0
.LBB14_1059:
	s_delay_alu instid0(SALU_CYCLE_1)
	s_and_not1_b32 vcc_lo, exec_lo, s0
	s_cbranch_vccnz .LBB14_1061
; %bb.1060:
	global_load_u16 v0, v[2:3], off
.LBB14_1061:
	s_cbranch_execnz .LBB14_1067
.LBB14_1062:
	v_cmp_lt_i16_e32 vcc_lo, 0, v9
	s_mov_b32 s0, 0
	s_cbranch_vccz .LBB14_1064
; %bb.1063:
	global_load_u8 v0, v[2:3], off
	s_branch .LBB14_1065
.LBB14_1064:
	s_mov_b32 s0, -1
                                        ; implicit-def: $vgpr0
.LBB14_1065:
	s_delay_alu instid0(SALU_CYCLE_1)
	s_and_not1_b32 vcc_lo, exec_lo, s0
	s_cbranch_vccnz .LBB14_1067
; %bb.1066:
	global_load_u8 v0, v[2:3], off
.LBB14_1067:
	s_branch .LBB14_1133
.LBB14_1068:
	s_trap 2
	s_sendmsg_rtn_b32 s0, sendmsg(MSG_RTN_GET_DOORBELL)
	s_mov_b32 ttmp2, m0
	s_waitcnt lgkmcnt(0)
	s_and_b32 s0, s0, 0x3ff
	s_delay_alu instid0(SALU_CYCLE_1) | instskip(NEXT) | instid1(SALU_CYCLE_1)
	s_bitset1_b32 s0, 10
	s_mov_b32 m0, s0
	s_sendmsg sendmsg(MSG_INTERRUPT)
	s_mov_b32 m0, ttmp2
.LBB14_1069:                            ; =>This Inner Loop Header: Depth=1
	s_sethalt 5
	s_branch .LBB14_1069
.LBB14_1070:
	s_trap 2
	s_sendmsg_rtn_b32 s0, sendmsg(MSG_RTN_GET_DOORBELL)
	s_mov_b32 ttmp2, m0
	s_waitcnt lgkmcnt(0)
	s_and_b32 s0, s0, 0x3ff
	s_delay_alu instid0(SALU_CYCLE_1) | instskip(NEXT) | instid1(SALU_CYCLE_1)
	s_bitset1_b32 s0, 10
	s_mov_b32 m0, s0
	s_sendmsg sendmsg(MSG_INTERRUPT)
	s_mov_b32 m0, ttmp2
.LBB14_1071:                            ; =>This Inner Loop Header: Depth=1
	s_sethalt 5
	s_branch .LBB14_1071
.LBB14_1072:
	s_mov_b32 s0, -1
	s_mov_b32 s11, 0
.LBB14_1073:
                                        ; implicit-def: $vgpr0
.LBB14_1074:
	s_and_b32 vcc_lo, exec_lo, s1
	s_cbranch_vccz .LBB14_1077
; %bb.1075:
	v_cmp_eq_u16_e32 vcc_lo, 44, v9
	s_cbranch_vccz .LBB14_1078
; %bb.1076:
	global_load_u8 v0, v[2:3], off
	s_mov_b32 s0, 0
	s_mov_b32 s11, -1
	s_waitcnt vmcnt(0)
	v_lshlrev_b32_e32 v1, 23, v0
	v_cmp_ne_u32_e32 vcc_lo, 0, v0
	s_delay_alu instid0(VALU_DEP_2) | instskip(NEXT) | instid1(VALU_DEP_1)
	v_trunc_f32_e32 v1, v1
	v_mul_f32_e64 v5, 0x2f800000, |v1|
	s_delay_alu instid0(VALU_DEP_1) | instskip(NEXT) | instid1(VALU_DEP_1)
	v_floor_f32_e32 v5, v5
	v_fma_f32 v5, 0xcf800000, v5, |v1|
	v_ashrrev_i32_e32 v1, 31, v1
	s_delay_alu instid0(VALU_DEP_2) | instskip(NEXT) | instid1(VALU_DEP_1)
	v_cvt_u32_f32_e32 v5, v5
	v_xor_b32_e32 v5, v5, v1
	s_delay_alu instid0(VALU_DEP_1) | instskip(NEXT) | instid1(VALU_DEP_1)
	v_sub_nc_u32_e32 v1, v5, v1
	v_cndmask_b32_e32 v0, 0, v1, vcc_lo
.LBB14_1077:
	s_branch .LBB14_1082
.LBB14_1078:
	s_mov_b32 s0, -1
                                        ; implicit-def: $vgpr0
	s_branch .LBB14_1082
.LBB14_1079:
	v_cmp_eq_u16_e32 vcc_lo, 29, v9
	s_cbranch_vccz .LBB14_1081
; %bb.1080:
	global_load_b64 v[0:1], v[2:3], off
	s_mov_b32 s0, 0
	s_mov_b32 s11, -1
	s_branch .LBB14_1082
.LBB14_1081:
	s_mov_b32 s0, -1
                                        ; implicit-def: $vgpr0
.LBB14_1082:
	s_branch .LBB14_1098
.LBB14_1083:
	v_cmp_gt_i16_e32 vcc_lo, 27, v9
	s_cbranch_vccnz .LBB14_1086
; %bb.1084:
	v_cmp_lt_i16_e32 vcc_lo, 27, v9
	s_cbranch_vccz .LBB14_1087
; %bb.1085:
	global_load_b32 v0, v[2:3], off
	s_mov_b32 s1, 0
	s_branch .LBB14_1088
.LBB14_1086:
	s_mov_b32 s1, -1
                                        ; implicit-def: $vgpr0
	s_branch .LBB14_1091
.LBB14_1087:
	s_mov_b32 s1, -1
                                        ; implicit-def: $vgpr0
.LBB14_1088:
	s_delay_alu instid0(SALU_CYCLE_1)
	s_and_not1_b32 vcc_lo, exec_lo, s1
	s_cbranch_vccnz .LBB14_1090
; %bb.1089:
	global_load_u16 v0, v[2:3], off
.LBB14_1090:
	s_mov_b32 s1, 0
.LBB14_1091:
	s_delay_alu instid0(SALU_CYCLE_1)
	s_and_not1_b32 vcc_lo, exec_lo, s1
	s_cbranch_vccnz .LBB14_1097
; %bb.1092:
	global_load_u8 v1, v[2:3], off
	s_mov_b32 s11, 0
	s_mov_b32 s1, exec_lo
                                        ; implicit-def: $sgpr12
	s_waitcnt vmcnt(0)
	v_cmpx_lt_i16_e32 0x7f, v1
	s_xor_b32 s1, exec_lo, s1
	s_cbranch_execz .LBB14_1108
; %bb.1093:
	v_cmp_ne_u16_e32 vcc_lo, 0x80, v1
	s_mov_b32 s12, 0
	s_and_b32 s11, vcc_lo, exec_lo
	s_or_saveexec_b32 s1, s1
	v_mov_b32_e32 v0, s12
	s_xor_b32 exec_lo, exec_lo, s1
	s_cbranch_execnz .LBB14_1109
.LBB14_1094:
	s_or_b32 exec_lo, exec_lo, s1
	s_and_saveexec_b32 s1, s11
	s_cbranch_execz .LBB14_1096
.LBB14_1095:
	v_and_b32_e32 v0, 0xffff, v1
	v_lshlrev_b32_e32 v1, 24, v1
	s_delay_alu instid0(VALU_DEP_2) | instskip(NEXT) | instid1(VALU_DEP_2)
	v_and_b32_e32 v5, 7, v0
	v_and_b32_e32 v1, 0x80000000, v1
	s_delay_alu instid0(VALU_DEP_2) | instskip(NEXT) | instid1(VALU_DEP_1)
	v_clz_i32_u32_e32 v6, v5
	v_min_u32_e32 v6, 32, v6
	s_delay_alu instid0(VALU_DEP_1) | instskip(SKIP_1) | instid1(VALU_DEP_2)
	v_subrev_nc_u32_e32 v10, 28, v6
	v_sub_nc_u32_e32 v6, 29, v6
	v_lshlrev_b32_e32 v10, v10, v0
	v_bfe_u32 v0, v0, 3, 4
	s_delay_alu instid0(VALU_DEP_2) | instskip(NEXT) | instid1(VALU_DEP_2)
	v_and_b32_e32 v10, 7, v10
	v_cmp_eq_u32_e32 vcc_lo, 0, v0
	v_cndmask_b32_e32 v0, v0, v6, vcc_lo
	s_delay_alu instid0(VALU_DEP_3) | instskip(NEXT) | instid1(VALU_DEP_2)
	v_cndmask_b32_e32 v5, v5, v10, vcc_lo
	v_lshl_add_u32 v0, v0, 23, 0x3b800000
	s_delay_alu instid0(VALU_DEP_2) | instskip(NEXT) | instid1(VALU_DEP_1)
	v_lshlrev_b32_e32 v5, 20, v5
	v_or3_b32 v0, v1, v0, v5
	s_delay_alu instid0(VALU_DEP_1) | instskip(NEXT) | instid1(VALU_DEP_1)
	v_trunc_f32_e32 v0, v0
	v_mul_f32_e64 v1, 0x2f800000, |v0|
	s_delay_alu instid0(VALU_DEP_1) | instskip(NEXT) | instid1(VALU_DEP_1)
	v_floor_f32_e32 v1, v1
	v_fma_f32 v1, 0xcf800000, v1, |v0|
	v_ashrrev_i32_e32 v0, 31, v0
	s_delay_alu instid0(VALU_DEP_2) | instskip(NEXT) | instid1(VALU_DEP_1)
	v_cvt_u32_f32_e32 v1, v1
	v_xor_b32_e32 v1, v1, v0
	s_delay_alu instid0(VALU_DEP_1)
	v_sub_nc_u32_e32 v0, v1, v0
.LBB14_1096:
	s_or_b32 exec_lo, exec_lo, s1
.LBB14_1097:
	s_mov_b32 s11, -1
.LBB14_1098:
	s_branch .LBB14_1128
.LBB14_1099:
	v_cmp_lt_i16_e32 vcc_lo, 22, v9
	s_cbranch_vccz .LBB14_1107
; %bb.1100:
	v_cmp_gt_i16_e32 vcc_lo, 24, v9
	s_cbranch_vccnz .LBB14_1110
; %bb.1101:
	v_cmp_lt_i16_e32 vcc_lo, 24, v9
	s_cbranch_vccz .LBB14_1111
; %bb.1102:
	global_load_u8 v1, v[2:3], off
	s_mov_b32 s1, exec_lo
                                        ; implicit-def: $sgpr11
	s_waitcnt vmcnt(0)
	v_cmpx_lt_i16_e32 0x7f, v1
	s_xor_b32 s1, exec_lo, s1
	s_cbranch_execz .LBB14_1122
; %bb.1103:
	v_cmp_ne_u16_e32 vcc_lo, 0x80, v1
	s_mov_b32 s11, 0
	s_and_b32 s10, vcc_lo, exec_lo
	s_or_saveexec_b32 s1, s1
	v_mov_b32_e32 v0, s11
	s_xor_b32 exec_lo, exec_lo, s1
	s_cbranch_execnz .LBB14_1123
.LBB14_1104:
	s_or_b32 exec_lo, exec_lo, s1
	s_and_saveexec_b32 s1, s10
	s_cbranch_execz .LBB14_1106
.LBB14_1105:
	v_and_b32_e32 v0, 0xffff, v1
	v_lshlrev_b32_e32 v1, 24, v1
	s_delay_alu instid0(VALU_DEP_2) | instskip(NEXT) | instid1(VALU_DEP_2)
	v_and_b32_e32 v5, 3, v0
	v_and_b32_e32 v1, 0x80000000, v1
	s_delay_alu instid0(VALU_DEP_2) | instskip(NEXT) | instid1(VALU_DEP_1)
	v_clz_i32_u32_e32 v6, v5
	v_min_u32_e32 v6, 32, v6
	s_delay_alu instid0(VALU_DEP_1) | instskip(SKIP_1) | instid1(VALU_DEP_2)
	v_subrev_nc_u32_e32 v10, 29, v6
	v_sub_nc_u32_e32 v6, 30, v6
	v_lshlrev_b32_e32 v10, v10, v0
	v_bfe_u32 v0, v0, 2, 5
	s_delay_alu instid0(VALU_DEP_2) | instskip(NEXT) | instid1(VALU_DEP_2)
	v_and_b32_e32 v10, 3, v10
	v_cmp_eq_u32_e32 vcc_lo, 0, v0
	v_cndmask_b32_e32 v0, v0, v6, vcc_lo
	s_delay_alu instid0(VALU_DEP_3) | instskip(NEXT) | instid1(VALU_DEP_2)
	v_cndmask_b32_e32 v5, v5, v10, vcc_lo
	v_lshl_add_u32 v0, v0, 23, 0x37800000
	s_delay_alu instid0(VALU_DEP_2) | instskip(NEXT) | instid1(VALU_DEP_1)
	v_lshlrev_b32_e32 v5, 21, v5
	v_or3_b32 v0, v1, v0, v5
	s_delay_alu instid0(VALU_DEP_1) | instskip(NEXT) | instid1(VALU_DEP_1)
	v_trunc_f32_e32 v0, v0
	v_mul_f32_e64 v1, 0x2f800000, |v0|
	s_delay_alu instid0(VALU_DEP_1) | instskip(NEXT) | instid1(VALU_DEP_1)
	v_floor_f32_e32 v1, v1
	v_fma_f32 v1, 0xcf800000, v1, |v0|
	v_ashrrev_i32_e32 v0, 31, v0
	s_delay_alu instid0(VALU_DEP_2) | instskip(NEXT) | instid1(VALU_DEP_1)
	v_cvt_u32_f32_e32 v1, v1
	v_xor_b32_e32 v1, v1, v0
	s_delay_alu instid0(VALU_DEP_1)
	v_sub_nc_u32_e32 v0, v1, v0
.LBB14_1106:
	s_or_b32 exec_lo, exec_lo, s1
	s_mov_b32 s1, 0
	s_branch .LBB14_1112
.LBB14_1107:
                                        ; implicit-def: $vgpr0
	s_mov_b32 s10, 0
	s_branch .LBB14_1118
.LBB14_1108:
	s_or_saveexec_b32 s1, s1
	v_mov_b32_e32 v0, s12
	s_xor_b32 exec_lo, exec_lo, s1
	s_cbranch_execz .LBB14_1094
.LBB14_1109:
	v_cmp_ne_u16_e32 vcc_lo, 0, v1
	v_mov_b32_e32 v0, 0
	s_and_not1_b32 s11, s11, exec_lo
	s_and_b32 s12, vcc_lo, exec_lo
	s_delay_alu instid0(SALU_CYCLE_1)
	s_or_b32 s11, s11, s12
	s_or_b32 exec_lo, exec_lo, s1
	s_and_saveexec_b32 s1, s11
	s_cbranch_execnz .LBB14_1095
	s_branch .LBB14_1096
.LBB14_1110:
	s_mov_b32 s1, -1
                                        ; implicit-def: $vgpr0
	s_branch .LBB14_1115
.LBB14_1111:
	s_mov_b32 s1, -1
                                        ; implicit-def: $vgpr0
.LBB14_1112:
	s_delay_alu instid0(SALU_CYCLE_1)
	s_and_b32 vcc_lo, exec_lo, s1
	s_cbranch_vccz .LBB14_1114
; %bb.1113:
	global_load_u8 v0, v[2:3], off
	s_waitcnt vmcnt(0)
	v_lshlrev_b32_e32 v0, 24, v0
	s_delay_alu instid0(VALU_DEP_1) | instskip(NEXT) | instid1(VALU_DEP_1)
	v_and_b32_e32 v1, 0x7f000000, v0
	v_clz_i32_u32_e32 v5, v1
	v_add_nc_u32_e32 v10, 0x1000000, v1
	v_cmp_ne_u32_e32 vcc_lo, 0, v1
	s_delay_alu instid0(VALU_DEP_3) | instskip(NEXT) | instid1(VALU_DEP_1)
	v_min_u32_e32 v5, 32, v5
	v_sub_nc_u32_e64 v5, v5, 4 clamp
	s_delay_alu instid0(VALU_DEP_1) | instskip(SKIP_1) | instid1(VALU_DEP_2)
	v_lshlrev_b32_e32 v6, v5, v1
	v_lshlrev_b32_e32 v5, 23, v5
	v_lshrrev_b32_e32 v6, 4, v6
	s_delay_alu instid0(VALU_DEP_1) | instskip(SKIP_1) | instid1(VALU_DEP_2)
	v_sub_nc_u32_e32 v5, v6, v5
	v_ashrrev_i32_e32 v6, 8, v10
	v_add_nc_u32_e32 v5, 0x3c000000, v5
	s_delay_alu instid0(VALU_DEP_1) | instskip(NEXT) | instid1(VALU_DEP_1)
	v_and_or_b32 v5, 0x7f800000, v6, v5
	v_cndmask_b32_e32 v1, 0, v5, vcc_lo
	s_delay_alu instid0(VALU_DEP_1) | instskip(NEXT) | instid1(VALU_DEP_1)
	v_and_or_b32 v0, 0x80000000, v0, v1
	v_trunc_f32_e32 v0, v0
	s_delay_alu instid0(VALU_DEP_1) | instskip(NEXT) | instid1(VALU_DEP_1)
	v_mul_f32_e64 v1, 0x2f800000, |v0|
	v_floor_f32_e32 v1, v1
	s_delay_alu instid0(VALU_DEP_1) | instskip(SKIP_1) | instid1(VALU_DEP_2)
	v_fma_f32 v1, 0xcf800000, v1, |v0|
	v_ashrrev_i32_e32 v0, 31, v0
	v_cvt_u32_f32_e32 v1, v1
	s_delay_alu instid0(VALU_DEP_1) | instskip(NEXT) | instid1(VALU_DEP_1)
	v_xor_b32_e32 v1, v1, v0
	v_sub_nc_u32_e32 v0, v1, v0
.LBB14_1114:
	s_mov_b32 s1, 0
.LBB14_1115:
	s_delay_alu instid0(SALU_CYCLE_1)
	s_and_not1_b32 vcc_lo, exec_lo, s1
	s_cbranch_vccnz .LBB14_1117
; %bb.1116:
	global_load_u8 v0, v[2:3], off
	s_waitcnt vmcnt(0)
	v_lshlrev_b32_e32 v1, 25, v0
	v_lshlrev_b16 v0, 8, v0
	s_delay_alu instid0(VALU_DEP_1) | instskip(SKIP_1) | instid1(VALU_DEP_2)
	v_and_or_b32 v6, 0x7f00, v0, 0.5
	v_bfe_i32 v0, v0, 0, 16
	v_add_f32_e32 v6, -0.5, v6
	v_lshrrev_b32_e32 v5, 4, v1
	v_cmp_gt_u32_e32 vcc_lo, 0x8000000, v1
	s_delay_alu instid0(VALU_DEP_2) | instskip(NEXT) | instid1(VALU_DEP_1)
	v_or_b32_e32 v5, 0x70000000, v5
	v_mul_f32_e32 v5, 0x7800000, v5
	s_delay_alu instid0(VALU_DEP_1) | instskip(NEXT) | instid1(VALU_DEP_1)
	v_cndmask_b32_e32 v1, v5, v6, vcc_lo
	v_and_or_b32 v0, 0x80000000, v0, v1
	s_delay_alu instid0(VALU_DEP_1) | instskip(NEXT) | instid1(VALU_DEP_1)
	v_trunc_f32_e32 v0, v0
	v_mul_f32_e64 v1, 0x2f800000, |v0|
	s_delay_alu instid0(VALU_DEP_1) | instskip(NEXT) | instid1(VALU_DEP_1)
	v_floor_f32_e32 v1, v1
	v_fma_f32 v1, 0xcf800000, v1, |v0|
	v_ashrrev_i32_e32 v0, 31, v0
	s_delay_alu instid0(VALU_DEP_2) | instskip(NEXT) | instid1(VALU_DEP_1)
	v_cvt_u32_f32_e32 v1, v1
	v_xor_b32_e32 v1, v1, v0
	s_delay_alu instid0(VALU_DEP_1)
	v_sub_nc_u32_e32 v0, v1, v0
.LBB14_1117:
	s_mov_b32 s11, -1
	s_mov_b32 s10, 0
	s_cbranch_execnz .LBB14_1128
.LBB14_1118:
	v_cmp_lt_i16_e32 vcc_lo, 14, v9
	s_cbranch_vccz .LBB14_1121
; %bb.1119:
	v_cmp_eq_u16_e32 vcc_lo, 15, v9
	s_cbranch_vccz .LBB14_1124
; %bb.1120:
	global_load_u16 v0, v[2:3], off
	s_mov_b32 s0, 0
	s_mov_b32 s11, -1
	s_waitcnt vmcnt(0)
	v_lshlrev_b32_e32 v0, 16, v0
	s_delay_alu instid0(VALU_DEP_1) | instskip(NEXT) | instid1(VALU_DEP_1)
	v_trunc_f32_e32 v0, v0
	v_mul_f32_e64 v1, 0x2f800000, |v0|
	s_delay_alu instid0(VALU_DEP_1) | instskip(NEXT) | instid1(VALU_DEP_1)
	v_floor_f32_e32 v1, v1
	v_fma_f32 v1, 0xcf800000, v1, |v0|
	v_ashrrev_i32_e32 v0, 31, v0
	s_delay_alu instid0(VALU_DEP_2) | instskip(NEXT) | instid1(VALU_DEP_1)
	v_cvt_u32_f32_e32 v1, v1
	v_xor_b32_e32 v1, v1, v0
	s_delay_alu instid0(VALU_DEP_1)
	v_sub_nc_u32_e32 v0, v1, v0
	s_branch .LBB14_1125
.LBB14_1121:
	s_mov_b32 s1, -1
                                        ; implicit-def: $vgpr0
	s_branch .LBB14_1126
.LBB14_1122:
	s_or_saveexec_b32 s1, s1
	v_mov_b32_e32 v0, s11
	s_xor_b32 exec_lo, exec_lo, s1
	s_cbranch_execz .LBB14_1104
.LBB14_1123:
	v_cmp_ne_u16_e32 vcc_lo, 0, v1
	v_mov_b32_e32 v0, 0
	s_and_not1_b32 s10, s10, exec_lo
	s_and_b32 s11, vcc_lo, exec_lo
	s_delay_alu instid0(SALU_CYCLE_1)
	s_or_b32 s10, s10, s11
	s_or_b32 exec_lo, exec_lo, s1
	s_and_saveexec_b32 s1, s10
	s_cbranch_execnz .LBB14_1105
	s_branch .LBB14_1106
.LBB14_1124:
	s_mov_b32 s0, -1
                                        ; implicit-def: $vgpr0
.LBB14_1125:
	s_mov_b32 s1, 0
.LBB14_1126:
	s_delay_alu instid0(SALU_CYCLE_1)
	s_and_b32 vcc_lo, exec_lo, s1
	s_cbranch_vccz .LBB14_1128
; %bb.1127:
	v_cmp_ne_u16_e64 s0, 11, v9
	s_mov_b32 s10, -1
                                        ; implicit-def: $vgpr0
.LBB14_1128:
	s_delay_alu instid0(VALU_DEP_1)
	s_and_b32 vcc_lo, exec_lo, s0
	s_mov_b32 s1, s9
	s_cbranch_vccnz .LBB14_1152
; %bb.1129:
	s_and_not1_b32 vcc_lo, exec_lo, s10
	s_cbranch_vccnz .LBB14_1131
.LBB14_1130:
	global_load_u8 v0, v[2:3], off
	s_mov_b32 s11, -1
	s_waitcnt vmcnt(0)
	v_cmp_ne_u16_e32 vcc_lo, 0, v0
	v_cndmask_b32_e64 v0, 0, 1, vcc_lo
.LBB14_1131:
.LBB14_1132:
	s_and_not1_b32 vcc_lo, exec_lo, s11
	s_cbranch_vccnz .LBB14_1326
.LBB14_1133:
	s_lshl_b32 s3, s3, 7
	v_cmp_gt_i16_e32 vcc_lo, 11, v9
	v_add_nc_u32_e32 v5, s3, v4
	s_and_b32 vcc_lo, exec_lo, vcc_lo
	s_delay_alu instid0(VALU_DEP_1) | instskip(SKIP_2) | instid1(VALU_DEP_1)
	v_ashrrev_i32_e32 v2, 31, v5
	s_waitcnt vmcnt(0)
	v_add_co_u32 v1, s0, s6, v5
	v_add_co_ci_u32_e64 v2, s0, s7, v2, s0
	s_cbranch_vccnz .LBB14_1140
; %bb.1134:
	v_cmp_lt_i16_e32 vcc_lo, 25, v9
	s_mov_b32 s10, 0
	s_cbranch_vccz .LBB14_1146
; %bb.1135:
	v_cmp_lt_i16_e32 vcc_lo, 28, v9
	s_cbranch_vccz .LBB14_1148
; %bb.1136:
	v_cmp_lt_i16_e32 vcc_lo, 43, v9
	;; [unrolled: 3-line block ×3, first 2 shown]
	s_cbranch_vccz .LBB14_1156
; %bb.1138:
	v_cmp_eq_u16_e32 vcc_lo, 46, v9
	s_mov_b32 s12, 0
	s_cbranch_vccz .LBB14_1200
; %bb.1139:
	global_load_b32 v3, v[1:2], off
	s_mov_b32 s0, 0
	s_mov_b32 s11, -1
	s_waitcnt vmcnt(0)
	v_lshlrev_b32_e32 v3, 16, v3
	s_delay_alu instid0(VALU_DEP_1) | instskip(NEXT) | instid1(VALU_DEP_1)
	v_trunc_f32_e32 v3, v3
	v_mul_f32_e64 v4, 0x2f800000, |v3|
	s_delay_alu instid0(VALU_DEP_1) | instskip(NEXT) | instid1(VALU_DEP_1)
	v_floor_f32_e32 v4, v4
	v_fma_f32 v4, 0xcf800000, v4, |v3|
	v_ashrrev_i32_e32 v3, 31, v3
	s_delay_alu instid0(VALU_DEP_2) | instskip(NEXT) | instid1(VALU_DEP_1)
	v_cvt_u32_f32_e32 v4, v4
	v_xor_b32_e32 v4, v4, v3
	s_delay_alu instid0(VALU_DEP_1)
	v_sub_nc_u32_e32 v3, v4, v3
	s_branch .LBB14_1202
.LBB14_1140:
	s_mov_b32 s11, 0
                                        ; implicit-def: $vgpr3
	s_cbranch_execz .LBB14_1263
; %bb.1141:
	v_cmp_gt_i16_e32 vcc_lo, 5, v9
	s_cbranch_vccnz .LBB14_1147
; %bb.1142:
	v_cmp_gt_i16_e32 vcc_lo, 8, v9
	s_cbranch_vccnz .LBB14_1149
	;; [unrolled: 3-line block ×3, first 2 shown]
; %bb.1144:
	v_cmp_lt_i16_e32 vcc_lo, 9, v9
	s_cbranch_vccz .LBB14_1157
; %bb.1145:
	global_load_b64 v[3:4], v[1:2], off
	s_mov_b32 s0, 0
	s_waitcnt vmcnt(0)
	v_trunc_f64_e32 v[3:4], v[3:4]
	s_delay_alu instid0(VALU_DEP_1) | instskip(NEXT) | instid1(VALU_DEP_1)
	v_ldexp_f64 v[10:11], v[3:4], 0xffffffe0
	v_floor_f64_e32 v[10:11], v[10:11]
	s_delay_alu instid0(VALU_DEP_1) | instskip(NEXT) | instid1(VALU_DEP_1)
	v_fma_f64 v[3:4], 0xc1f00000, v[10:11], v[3:4]
	v_cvt_u32_f64_e32 v3, v[3:4]
	s_branch .LBB14_1158
.LBB14_1146:
	s_mov_b32 s11, 0
	s_mov_b32 s0, 0
                                        ; implicit-def: $vgpr3
	s_cbranch_execnz .LBB14_1229
	s_branch .LBB14_1259
.LBB14_1147:
                                        ; implicit-def: $vgpr3
	s_branch .LBB14_1176
.LBB14_1148:
	s_mov_b32 s12, -1
	s_mov_b32 s11, 0
	s_mov_b32 s0, 0
                                        ; implicit-def: $vgpr3
	s_branch .LBB14_1212
.LBB14_1149:
	s_mov_b32 s0, -1
                                        ; implicit-def: $vgpr3
	s_branch .LBB14_1164
.LBB14_1150:
	s_mov_b32 s12, -1
	s_mov_b32 s11, 0
	s_mov_b32 s0, 0
                                        ; implicit-def: $vgpr3
	s_branch .LBB14_1207
.LBB14_1151:
	s_mov_b32 s0, -1
                                        ; implicit-def: $vgpr3
	s_branch .LBB14_1161
.LBB14_1152:
	s_cbranch_execnz .LBB14_1196
; %bb.1153:
	s_or_b32 s1, s9, exec_lo
                                        ; implicit-def: $vgpr0
	s_cbranch_execz .LBB14_1130
	s_branch .LBB14_1131
.LBB14_1154:
	s_or_saveexec_b32 s14, s14
                                        ; implicit-def: $sgpr15
	s_delay_alu instid0(SALU_CYCLE_1)
	s_xor_b32 exec_lo, exec_lo, s14
	s_cbranch_execz .LBB14_919
.LBB14_1155:
	v_add_f32_e32 v5, 0x46000000, v6
	s_and_not1_b32 s13, s13, exec_lo
	s_mov_b32 s15, 0
	s_delay_alu instid0(VALU_DEP_1) | instskip(NEXT) | instid1(VALU_DEP_1)
	v_and_b32_e32 v5, 0xff, v5
	v_cmp_ne_u32_e32 vcc_lo, 0, v5
	s_and_b32 s16, vcc_lo, exec_lo
	s_delay_alu instid0(SALU_CYCLE_1)
	s_or_b32 s13, s13, s16
	s_or_b32 exec_lo, exec_lo, s14
	v_mov_b32_e32 v7, s15
	s_and_saveexec_b32 s14, s13
	s_cbranch_execnz .LBB14_920
	s_branch .LBB14_921
.LBB14_1156:
	s_mov_b32 s12, -1
	s_mov_b32 s11, 0
	s_mov_b32 s0, 0
	s_branch .LBB14_1201
.LBB14_1157:
	s_mov_b32 s0, -1
                                        ; implicit-def: $vgpr3
.LBB14_1158:
	s_delay_alu instid0(SALU_CYCLE_1)
	s_and_not1_b32 vcc_lo, exec_lo, s0
	s_cbranch_vccnz .LBB14_1160
; %bb.1159:
	global_load_b32 v3, v[1:2], off
	s_waitcnt vmcnt(0)
	v_trunc_f32_e32 v3, v3
	s_delay_alu instid0(VALU_DEP_1) | instskip(NEXT) | instid1(VALU_DEP_1)
	v_mul_f32_e64 v4, 0x2f800000, |v3|
	v_floor_f32_e32 v4, v4
	s_delay_alu instid0(VALU_DEP_1) | instskip(SKIP_1) | instid1(VALU_DEP_2)
	v_fma_f32 v4, 0xcf800000, v4, |v3|
	v_ashrrev_i32_e32 v3, 31, v3
	v_cvt_u32_f32_e32 v4, v4
	s_delay_alu instid0(VALU_DEP_1) | instskip(NEXT) | instid1(VALU_DEP_1)
	v_xor_b32_e32 v4, v4, v3
	v_sub_nc_u32_e32 v3, v4, v3
.LBB14_1160:
	s_mov_b32 s0, 0
.LBB14_1161:
	s_delay_alu instid0(SALU_CYCLE_1)
	s_and_not1_b32 vcc_lo, exec_lo, s0
	s_cbranch_vccnz .LBB14_1163
; %bb.1162:
	global_load_b32 v3, v[1:2], off
	s_waitcnt vmcnt(0)
	v_cvt_f32_f16_e32 v3, v3
	s_delay_alu instid0(VALU_DEP_1)
	v_cvt_i32_f32_e32 v3, v3
.LBB14_1163:
	s_mov_b32 s0, 0
.LBB14_1164:
	s_delay_alu instid0(SALU_CYCLE_1)
	s_and_not1_b32 vcc_lo, exec_lo, s0
	s_cbranch_vccnz .LBB14_1175
; %bb.1165:
	v_cmp_gt_i16_e32 vcc_lo, 6, v9
	s_cbranch_vccnz .LBB14_1168
; %bb.1166:
	v_cmp_lt_i16_e32 vcc_lo, 6, v9
	s_cbranch_vccz .LBB14_1169
; %bb.1167:
	global_load_b64 v[3:4], v[1:2], off
	s_mov_b32 s0, 0
	s_waitcnt vmcnt(0)
	v_trunc_f64_e32 v[3:4], v[3:4]
	s_delay_alu instid0(VALU_DEP_1) | instskip(NEXT) | instid1(VALU_DEP_1)
	v_ldexp_f64 v[10:11], v[3:4], 0xffffffe0
	v_floor_f64_e32 v[10:11], v[10:11]
	s_delay_alu instid0(VALU_DEP_1) | instskip(NEXT) | instid1(VALU_DEP_1)
	v_fma_f64 v[3:4], 0xc1f00000, v[10:11], v[3:4]
	v_cvt_u32_f64_e32 v3, v[3:4]
	s_branch .LBB14_1170
.LBB14_1168:
	s_mov_b32 s0, -1
                                        ; implicit-def: $vgpr3
	s_branch .LBB14_1173
.LBB14_1169:
	s_mov_b32 s0, -1
                                        ; implicit-def: $vgpr3
.LBB14_1170:
	s_delay_alu instid0(SALU_CYCLE_1)
	s_and_not1_b32 vcc_lo, exec_lo, s0
	s_cbranch_vccnz .LBB14_1172
; %bb.1171:
	global_load_b32 v3, v[1:2], off
	s_waitcnt vmcnt(0)
	v_trunc_f32_e32 v3, v3
	s_delay_alu instid0(VALU_DEP_1) | instskip(NEXT) | instid1(VALU_DEP_1)
	v_mul_f32_e64 v4, 0x2f800000, |v3|
	v_floor_f32_e32 v4, v4
	s_delay_alu instid0(VALU_DEP_1) | instskip(SKIP_1) | instid1(VALU_DEP_2)
	v_fma_f32 v4, 0xcf800000, v4, |v3|
	v_ashrrev_i32_e32 v3, 31, v3
	v_cvt_u32_f32_e32 v4, v4
	s_delay_alu instid0(VALU_DEP_1) | instskip(NEXT) | instid1(VALU_DEP_1)
	v_xor_b32_e32 v4, v4, v3
	v_sub_nc_u32_e32 v3, v4, v3
.LBB14_1172:
	s_mov_b32 s0, 0
.LBB14_1173:
	s_delay_alu instid0(SALU_CYCLE_1)
	s_and_not1_b32 vcc_lo, exec_lo, s0
	s_cbranch_vccnz .LBB14_1175
; %bb.1174:
	global_load_u16 v3, v[1:2], off
	s_waitcnt vmcnt(0)
	v_cvt_f32_f16_e32 v3, v3
	s_delay_alu instid0(VALU_DEP_1)
	v_cvt_i32_f32_e32 v3, v3
.LBB14_1175:
	s_cbranch_execnz .LBB14_1195
.LBB14_1176:
	v_cmp_gt_i16_e32 vcc_lo, 2, v9
	s_cbranch_vccnz .LBB14_1180
; %bb.1177:
	v_cmp_gt_i16_e32 vcc_lo, 3, v9
	s_cbranch_vccnz .LBB14_1181
; %bb.1178:
	v_cmp_lt_i16_e32 vcc_lo, 3, v9
	s_cbranch_vccz .LBB14_1182
; %bb.1179:
	global_load_b64 v[3:4], v[1:2], off
	s_mov_b32 s0, 0
	s_branch .LBB14_1183
.LBB14_1180:
	s_mov_b32 s0, -1
                                        ; implicit-def: $vgpr3
	s_branch .LBB14_1189
.LBB14_1181:
	s_mov_b32 s0, -1
                                        ; implicit-def: $vgpr3
	s_branch .LBB14_1186
.LBB14_1182:
	s_mov_b32 s0, -1
                                        ; implicit-def: $vgpr3
.LBB14_1183:
	s_delay_alu instid0(SALU_CYCLE_1)
	s_and_not1_b32 vcc_lo, exec_lo, s0
	s_cbranch_vccnz .LBB14_1185
; %bb.1184:
	global_load_b32 v3, v[1:2], off
.LBB14_1185:
	s_mov_b32 s0, 0
.LBB14_1186:
	s_delay_alu instid0(SALU_CYCLE_1)
	s_and_not1_b32 vcc_lo, exec_lo, s0
	s_cbranch_vccnz .LBB14_1188
; %bb.1187:
	global_load_u16 v3, v[1:2], off
.LBB14_1188:
	s_mov_b32 s0, 0
.LBB14_1189:
	s_delay_alu instid0(SALU_CYCLE_1)
	s_and_not1_b32 vcc_lo, exec_lo, s0
	s_cbranch_vccnz .LBB14_1195
; %bb.1190:
	v_cmp_lt_i16_e32 vcc_lo, 0, v9
	s_mov_b32 s0, 0
	s_cbranch_vccz .LBB14_1192
; %bb.1191:
	global_load_u8 v3, v[1:2], off
	s_branch .LBB14_1193
.LBB14_1192:
	s_mov_b32 s0, -1
                                        ; implicit-def: $vgpr3
.LBB14_1193:
	s_delay_alu instid0(SALU_CYCLE_1)
	s_and_not1_b32 vcc_lo, exec_lo, s0
	s_cbranch_vccnz .LBB14_1195
; %bb.1194:
	global_load_u8 v3, v[1:2], off
.LBB14_1195:
	s_branch .LBB14_1264
.LBB14_1196:
	s_trap 2
	s_sendmsg_rtn_b32 s0, sendmsg(MSG_RTN_GET_DOORBELL)
	s_mov_b32 ttmp2, m0
	s_waitcnt lgkmcnt(0)
	s_and_b32 s0, s0, 0x3ff
	s_delay_alu instid0(SALU_CYCLE_1) | instskip(NEXT) | instid1(SALU_CYCLE_1)
	s_bitset1_b32 s0, 10
	s_mov_b32 m0, s0
	s_sendmsg sendmsg(MSG_INTERRUPT)
	s_mov_b32 m0, ttmp2
.LBB14_1197:                            ; =>This Inner Loop Header: Depth=1
	s_sethalt 5
	s_branch .LBB14_1197
.LBB14_1198:
	s_or_saveexec_b32 s15, s15
                                        ; implicit-def: $sgpr16
	s_delay_alu instid0(SALU_CYCLE_1)
	s_xor_b32 exec_lo, exec_lo, s15
	s_cbranch_execz .LBB14_931
.LBB14_1199:
	v_add_f32_e32 v5, 0x42800000, v6
	s_and_not1_b32 s14, s14, exec_lo
	s_mov_b32 s16, 0
	s_delay_alu instid0(VALU_DEP_1) | instskip(NEXT) | instid1(VALU_DEP_1)
	v_and_b32_e32 v5, 0xff, v5
	v_cmp_ne_u32_e32 vcc_lo, 0, v5
	s_and_b32 s17, vcc_lo, exec_lo
	s_delay_alu instid0(SALU_CYCLE_1)
	s_or_b32 s14, s14, s17
	s_or_b32 exec_lo, exec_lo, s15
	v_mov_b32_e32 v7, s16
	s_and_saveexec_b32 s15, s14
	s_cbranch_execnz .LBB14_932
	s_branch .LBB14_933
.LBB14_1200:
	s_mov_b32 s0, -1
	s_mov_b32 s11, 0
.LBB14_1201:
                                        ; implicit-def: $vgpr3
.LBB14_1202:
	s_and_b32 vcc_lo, exec_lo, s12
	s_cbranch_vccz .LBB14_1206
; %bb.1203:
	v_cmp_eq_u16_e32 vcc_lo, 44, v9
	s_cbranch_vccz .LBB14_1205
; %bb.1204:
	global_load_u8 v3, v[1:2], off
	s_mov_b32 s0, 0
	s_mov_b32 s11, -1
	s_waitcnt vmcnt(0)
	v_lshlrev_b32_e32 v4, 23, v3
	v_cmp_ne_u32_e32 vcc_lo, 0, v3
	s_delay_alu instid0(VALU_DEP_2) | instskip(NEXT) | instid1(VALU_DEP_1)
	v_trunc_f32_e32 v4, v4
	v_mul_f32_e64 v6, 0x2f800000, |v4|
	s_delay_alu instid0(VALU_DEP_1) | instskip(NEXT) | instid1(VALU_DEP_1)
	v_floor_f32_e32 v6, v6
	v_fma_f32 v6, 0xcf800000, v6, |v4|
	v_ashrrev_i32_e32 v4, 31, v4
	s_delay_alu instid0(VALU_DEP_2) | instskip(NEXT) | instid1(VALU_DEP_1)
	v_cvt_u32_f32_e32 v6, v6
	v_xor_b32_e32 v6, v6, v4
	s_delay_alu instid0(VALU_DEP_1) | instskip(NEXT) | instid1(VALU_DEP_1)
	v_sub_nc_u32_e32 v4, v6, v4
	v_cndmask_b32_e32 v3, 0, v4, vcc_lo
	s_branch .LBB14_1206
.LBB14_1205:
	s_mov_b32 s0, -1
                                        ; implicit-def: $vgpr3
.LBB14_1206:
	s_mov_b32 s12, 0
.LBB14_1207:
	s_delay_alu instid0(SALU_CYCLE_1)
	s_and_b32 vcc_lo, exec_lo, s12
	s_cbranch_vccz .LBB14_1211
; %bb.1208:
	v_cmp_eq_u16_e32 vcc_lo, 29, v9
	s_cbranch_vccz .LBB14_1210
; %bb.1209:
	global_load_b64 v[3:4], v[1:2], off
	s_mov_b32 s0, 0
	s_mov_b32 s11, -1
	s_branch .LBB14_1211
.LBB14_1210:
	s_mov_b32 s0, -1
                                        ; implicit-def: $vgpr3
.LBB14_1211:
	s_mov_b32 s12, 0
.LBB14_1212:
	s_delay_alu instid0(SALU_CYCLE_1)
	s_and_b32 vcc_lo, exec_lo, s12
	s_cbranch_vccz .LBB14_1228
; %bb.1213:
	v_cmp_gt_i16_e32 vcc_lo, 27, v9
	s_cbranch_vccnz .LBB14_1216
; %bb.1214:
	v_cmp_lt_i16_e32 vcc_lo, 27, v9
	s_cbranch_vccz .LBB14_1217
; %bb.1215:
	global_load_b32 v3, v[1:2], off
	s_mov_b32 s11, 0
	s_branch .LBB14_1218
.LBB14_1216:
	s_mov_b32 s11, -1
                                        ; implicit-def: $vgpr3
	s_branch .LBB14_1221
.LBB14_1217:
	s_mov_b32 s11, -1
                                        ; implicit-def: $vgpr3
.LBB14_1218:
	s_delay_alu instid0(SALU_CYCLE_1)
	s_and_not1_b32 vcc_lo, exec_lo, s11
	s_cbranch_vccnz .LBB14_1220
; %bb.1219:
	global_load_u16 v3, v[1:2], off
.LBB14_1220:
	s_mov_b32 s11, 0
.LBB14_1221:
	s_delay_alu instid0(SALU_CYCLE_1)
	s_and_not1_b32 vcc_lo, exec_lo, s11
	s_cbranch_vccnz .LBB14_1227
; %bb.1222:
	global_load_u8 v4, v[1:2], off
	s_mov_b32 s12, 0
	s_mov_b32 s11, exec_lo
                                        ; implicit-def: $sgpr13
	s_waitcnt vmcnt(0)
	v_cmpx_lt_i16_e32 0x7f, v4
	s_xor_b32 s11, exec_lo, s11
	s_cbranch_execz .LBB14_1238
; %bb.1223:
	v_cmp_ne_u16_e32 vcc_lo, 0x80, v4
	s_mov_b32 s13, 0
	s_and_b32 s12, vcc_lo, exec_lo
	s_or_saveexec_b32 s11, s11
	v_mov_b32_e32 v3, s13
	s_xor_b32 exec_lo, exec_lo, s11
	s_cbranch_execnz .LBB14_1239
.LBB14_1224:
	s_or_b32 exec_lo, exec_lo, s11
	s_and_saveexec_b32 s11, s12
	s_cbranch_execz .LBB14_1226
.LBB14_1225:
	v_and_b32_e32 v3, 0xffff, v4
	v_lshlrev_b32_e32 v4, 24, v4
	s_delay_alu instid0(VALU_DEP_2) | instskip(NEXT) | instid1(VALU_DEP_2)
	v_and_b32_e32 v6, 7, v3
	v_and_b32_e32 v4, 0x80000000, v4
	s_delay_alu instid0(VALU_DEP_2) | instskip(NEXT) | instid1(VALU_DEP_1)
	v_clz_i32_u32_e32 v10, v6
	v_min_u32_e32 v10, 32, v10
	s_delay_alu instid0(VALU_DEP_1) | instskip(SKIP_1) | instid1(VALU_DEP_2)
	v_subrev_nc_u32_e32 v11, 28, v10
	v_sub_nc_u32_e32 v10, 29, v10
	v_lshlrev_b32_e32 v11, v11, v3
	v_bfe_u32 v3, v3, 3, 4
	s_delay_alu instid0(VALU_DEP_2) | instskip(NEXT) | instid1(VALU_DEP_2)
	v_and_b32_e32 v11, 7, v11
	v_cmp_eq_u32_e32 vcc_lo, 0, v3
	s_delay_alu instid0(VALU_DEP_2) | instskip(NEXT) | instid1(VALU_DEP_1)
	v_dual_cndmask_b32 v3, v3, v10 :: v_dual_cndmask_b32 v6, v6, v11
	v_lshl_add_u32 v3, v3, 23, 0x3b800000
	s_delay_alu instid0(VALU_DEP_2) | instskip(NEXT) | instid1(VALU_DEP_1)
	v_lshlrev_b32_e32 v6, 20, v6
	v_or3_b32 v3, v4, v3, v6
	s_delay_alu instid0(VALU_DEP_1) | instskip(NEXT) | instid1(VALU_DEP_1)
	v_trunc_f32_e32 v3, v3
	v_mul_f32_e64 v4, 0x2f800000, |v3|
	s_delay_alu instid0(VALU_DEP_1) | instskip(NEXT) | instid1(VALU_DEP_1)
	v_floor_f32_e32 v4, v4
	v_fma_f32 v4, 0xcf800000, v4, |v3|
	v_ashrrev_i32_e32 v3, 31, v3
	s_delay_alu instid0(VALU_DEP_2) | instskip(NEXT) | instid1(VALU_DEP_1)
	v_cvt_u32_f32_e32 v4, v4
	v_xor_b32_e32 v4, v4, v3
	s_delay_alu instid0(VALU_DEP_1)
	v_sub_nc_u32_e32 v3, v4, v3
.LBB14_1226:
	s_or_b32 exec_lo, exec_lo, s11
.LBB14_1227:
	s_mov_b32 s11, -1
.LBB14_1228:
	s_branch .LBB14_1259
.LBB14_1229:
	v_cmp_lt_i16_e32 vcc_lo, 22, v9
	s_cbranch_vccz .LBB14_1237
; %bb.1230:
	v_cmp_gt_i16_e32 vcc_lo, 24, v9
	s_cbranch_vccnz .LBB14_1240
; %bb.1231:
	v_cmp_lt_i16_e32 vcc_lo, 24, v9
	s_cbranch_vccz .LBB14_1241
; %bb.1232:
	global_load_u8 v4, v[1:2], off
	s_mov_b32 s11, 0
	s_mov_b32 s10, exec_lo
                                        ; implicit-def: $sgpr12
	s_waitcnt vmcnt(0)
	v_cmpx_lt_i16_e32 0x7f, v4
	s_xor_b32 s10, exec_lo, s10
	s_cbranch_execz .LBB14_1253
; %bb.1233:
	v_cmp_ne_u16_e32 vcc_lo, 0x80, v4
	s_mov_b32 s12, 0
	s_and_b32 s11, vcc_lo, exec_lo
	s_or_saveexec_b32 s10, s10
	v_mov_b32_e32 v3, s12
	s_xor_b32 exec_lo, exec_lo, s10
	s_cbranch_execnz .LBB14_1254
.LBB14_1234:
	s_or_b32 exec_lo, exec_lo, s10
	s_and_saveexec_b32 s10, s11
	s_cbranch_execz .LBB14_1236
.LBB14_1235:
	v_and_b32_e32 v3, 0xffff, v4
	v_lshlrev_b32_e32 v4, 24, v4
	s_delay_alu instid0(VALU_DEP_2) | instskip(NEXT) | instid1(VALU_DEP_2)
	v_and_b32_e32 v6, 3, v3
	v_and_b32_e32 v4, 0x80000000, v4
	s_delay_alu instid0(VALU_DEP_2) | instskip(NEXT) | instid1(VALU_DEP_1)
	v_clz_i32_u32_e32 v10, v6
	v_min_u32_e32 v10, 32, v10
	s_delay_alu instid0(VALU_DEP_1) | instskip(SKIP_1) | instid1(VALU_DEP_2)
	v_subrev_nc_u32_e32 v11, 29, v10
	v_sub_nc_u32_e32 v10, 30, v10
	v_lshlrev_b32_e32 v11, v11, v3
	v_bfe_u32 v3, v3, 2, 5
	s_delay_alu instid0(VALU_DEP_2) | instskip(NEXT) | instid1(VALU_DEP_2)
	v_and_b32_e32 v11, 3, v11
	v_cmp_eq_u32_e32 vcc_lo, 0, v3
	s_delay_alu instid0(VALU_DEP_2) | instskip(NEXT) | instid1(VALU_DEP_1)
	v_dual_cndmask_b32 v3, v3, v10 :: v_dual_cndmask_b32 v6, v6, v11
	v_lshl_add_u32 v3, v3, 23, 0x37800000
	s_delay_alu instid0(VALU_DEP_2) | instskip(NEXT) | instid1(VALU_DEP_1)
	v_lshlrev_b32_e32 v6, 21, v6
	v_or3_b32 v3, v4, v3, v6
	s_delay_alu instid0(VALU_DEP_1) | instskip(NEXT) | instid1(VALU_DEP_1)
	v_trunc_f32_e32 v3, v3
	v_mul_f32_e64 v4, 0x2f800000, |v3|
	s_delay_alu instid0(VALU_DEP_1) | instskip(NEXT) | instid1(VALU_DEP_1)
	v_floor_f32_e32 v4, v4
	v_fma_f32 v4, 0xcf800000, v4, |v3|
	v_ashrrev_i32_e32 v3, 31, v3
	s_delay_alu instid0(VALU_DEP_2) | instskip(NEXT) | instid1(VALU_DEP_1)
	v_cvt_u32_f32_e32 v4, v4
	v_xor_b32_e32 v4, v4, v3
	s_delay_alu instid0(VALU_DEP_1)
	v_sub_nc_u32_e32 v3, v4, v3
.LBB14_1236:
	s_or_b32 exec_lo, exec_lo, s10
	s_mov_b32 s10, 0
	s_branch .LBB14_1242
.LBB14_1237:
	s_mov_b32 s10, -1
                                        ; implicit-def: $vgpr3
	s_branch .LBB14_1248
.LBB14_1238:
	s_or_saveexec_b32 s11, s11
	v_mov_b32_e32 v3, s13
	s_xor_b32 exec_lo, exec_lo, s11
	s_cbranch_execz .LBB14_1224
.LBB14_1239:
	v_cmp_ne_u16_e32 vcc_lo, 0, v4
	v_mov_b32_e32 v3, 0
	s_and_not1_b32 s12, s12, exec_lo
	s_and_b32 s13, vcc_lo, exec_lo
	s_delay_alu instid0(SALU_CYCLE_1)
	s_or_b32 s12, s12, s13
	s_or_b32 exec_lo, exec_lo, s11
	s_and_saveexec_b32 s11, s12
	s_cbranch_execnz .LBB14_1225
	s_branch .LBB14_1226
.LBB14_1240:
	s_mov_b32 s10, -1
                                        ; implicit-def: $vgpr3
	s_branch .LBB14_1245
.LBB14_1241:
	s_mov_b32 s10, -1
                                        ; implicit-def: $vgpr3
.LBB14_1242:
	s_delay_alu instid0(SALU_CYCLE_1)
	s_and_b32 vcc_lo, exec_lo, s10
	s_cbranch_vccz .LBB14_1244
; %bb.1243:
	global_load_u8 v3, v[1:2], off
	s_waitcnt vmcnt(0)
	v_lshlrev_b32_e32 v3, 24, v3
	s_delay_alu instid0(VALU_DEP_1) | instskip(NEXT) | instid1(VALU_DEP_1)
	v_and_b32_e32 v4, 0x7f000000, v3
	v_clz_i32_u32_e32 v6, v4
	v_add_nc_u32_e32 v11, 0x1000000, v4
	v_cmp_ne_u32_e32 vcc_lo, 0, v4
	s_delay_alu instid0(VALU_DEP_3) | instskip(NEXT) | instid1(VALU_DEP_1)
	v_min_u32_e32 v6, 32, v6
	v_sub_nc_u32_e64 v6, v6, 4 clamp
	s_delay_alu instid0(VALU_DEP_1) | instskip(SKIP_1) | instid1(VALU_DEP_2)
	v_lshlrev_b32_e32 v10, v6, v4
	v_lshlrev_b32_e32 v6, 23, v6
	v_lshrrev_b32_e32 v10, 4, v10
	s_delay_alu instid0(VALU_DEP_1) | instskip(SKIP_1) | instid1(VALU_DEP_2)
	v_sub_nc_u32_e32 v6, v10, v6
	v_ashrrev_i32_e32 v10, 8, v11
	v_add_nc_u32_e32 v6, 0x3c000000, v6
	s_delay_alu instid0(VALU_DEP_1) | instskip(NEXT) | instid1(VALU_DEP_1)
	v_and_or_b32 v6, 0x7f800000, v10, v6
	v_cndmask_b32_e32 v4, 0, v6, vcc_lo
	s_delay_alu instid0(VALU_DEP_1) | instskip(NEXT) | instid1(VALU_DEP_1)
	v_and_or_b32 v3, 0x80000000, v3, v4
	v_trunc_f32_e32 v3, v3
	s_delay_alu instid0(VALU_DEP_1) | instskip(NEXT) | instid1(VALU_DEP_1)
	v_mul_f32_e64 v4, 0x2f800000, |v3|
	v_floor_f32_e32 v4, v4
	s_delay_alu instid0(VALU_DEP_1) | instskip(SKIP_1) | instid1(VALU_DEP_2)
	v_fma_f32 v4, 0xcf800000, v4, |v3|
	v_ashrrev_i32_e32 v3, 31, v3
	v_cvt_u32_f32_e32 v4, v4
	s_delay_alu instid0(VALU_DEP_1) | instskip(NEXT) | instid1(VALU_DEP_1)
	v_xor_b32_e32 v4, v4, v3
	v_sub_nc_u32_e32 v3, v4, v3
.LBB14_1244:
	s_mov_b32 s10, 0
.LBB14_1245:
	s_delay_alu instid0(SALU_CYCLE_1)
	s_and_not1_b32 vcc_lo, exec_lo, s10
	s_cbranch_vccnz .LBB14_1247
; %bb.1246:
	global_load_u8 v3, v[1:2], off
	s_waitcnt vmcnt(0)
	v_lshlrev_b32_e32 v4, 25, v3
	v_lshlrev_b16 v3, 8, v3
	s_delay_alu instid0(VALU_DEP_2) | instskip(NEXT) | instid1(VALU_DEP_2)
	v_lshrrev_b32_e32 v6, 4, v4
	v_and_or_b32 v10, 0x7f00, v3, 0.5
	v_cmp_gt_u32_e32 vcc_lo, 0x8000000, v4
	v_bfe_i32 v3, v3, 0, 16
	s_delay_alu instid0(VALU_DEP_4) | instskip(NEXT) | instid1(VALU_DEP_4)
	v_or_b32_e32 v6, 0x70000000, v6
	v_add_f32_e32 v10, -0.5, v10
	s_delay_alu instid0(VALU_DEP_2) | instskip(NEXT) | instid1(VALU_DEP_1)
	v_mul_f32_e32 v6, 0x7800000, v6
	v_cndmask_b32_e32 v4, v6, v10, vcc_lo
	s_delay_alu instid0(VALU_DEP_1) | instskip(NEXT) | instid1(VALU_DEP_1)
	v_and_or_b32 v3, 0x80000000, v3, v4
	v_trunc_f32_e32 v3, v3
	s_delay_alu instid0(VALU_DEP_1) | instskip(NEXT) | instid1(VALU_DEP_1)
	v_mul_f32_e64 v4, 0x2f800000, |v3|
	v_floor_f32_e32 v4, v4
	s_delay_alu instid0(VALU_DEP_1) | instskip(SKIP_1) | instid1(VALU_DEP_2)
	v_fma_f32 v4, 0xcf800000, v4, |v3|
	v_ashrrev_i32_e32 v3, 31, v3
	v_cvt_u32_f32_e32 v4, v4
	s_delay_alu instid0(VALU_DEP_1) | instskip(NEXT) | instid1(VALU_DEP_1)
	v_xor_b32_e32 v4, v4, v3
	v_sub_nc_u32_e32 v3, v4, v3
.LBB14_1247:
	s_mov_b32 s10, 0
	s_mov_b32 s11, -1
.LBB14_1248:
	s_and_not1_b32 vcc_lo, exec_lo, s10
	s_mov_b32 s10, 0
	s_cbranch_vccnz .LBB14_1259
; %bb.1249:
	v_cmp_lt_i16_e32 vcc_lo, 14, v9
	s_cbranch_vccz .LBB14_1252
; %bb.1250:
	v_cmp_eq_u16_e32 vcc_lo, 15, v9
	s_cbranch_vccz .LBB14_1255
; %bb.1251:
	global_load_u16 v3, v[1:2], off
	s_mov_b32 s0, 0
	s_mov_b32 s11, -1
	s_waitcnt vmcnt(0)
	v_lshlrev_b32_e32 v3, 16, v3
	s_delay_alu instid0(VALU_DEP_1) | instskip(NEXT) | instid1(VALU_DEP_1)
	v_trunc_f32_e32 v3, v3
	v_mul_f32_e64 v4, 0x2f800000, |v3|
	s_delay_alu instid0(VALU_DEP_1) | instskip(NEXT) | instid1(VALU_DEP_1)
	v_floor_f32_e32 v4, v4
	v_fma_f32 v4, 0xcf800000, v4, |v3|
	v_ashrrev_i32_e32 v3, 31, v3
	s_delay_alu instid0(VALU_DEP_2) | instskip(NEXT) | instid1(VALU_DEP_1)
	v_cvt_u32_f32_e32 v4, v4
	v_xor_b32_e32 v4, v4, v3
	s_delay_alu instid0(VALU_DEP_1)
	v_sub_nc_u32_e32 v3, v4, v3
	s_branch .LBB14_1257
.LBB14_1252:
	s_mov_b32 s10, -1
	s_branch .LBB14_1256
.LBB14_1253:
	s_or_saveexec_b32 s10, s10
	v_mov_b32_e32 v3, s12
	s_xor_b32 exec_lo, exec_lo, s10
	s_cbranch_execz .LBB14_1234
.LBB14_1254:
	v_cmp_ne_u16_e32 vcc_lo, 0, v4
	v_mov_b32_e32 v3, 0
	s_and_not1_b32 s11, s11, exec_lo
	s_and_b32 s12, vcc_lo, exec_lo
	s_delay_alu instid0(SALU_CYCLE_1)
	s_or_b32 s11, s11, s12
	s_or_b32 exec_lo, exec_lo, s10
	s_and_saveexec_b32 s10, s11
	s_cbranch_execnz .LBB14_1235
	s_branch .LBB14_1236
.LBB14_1255:
	s_mov_b32 s0, -1
.LBB14_1256:
                                        ; implicit-def: $vgpr3
.LBB14_1257:
	s_and_b32 vcc_lo, exec_lo, s10
	s_mov_b32 s10, 0
	s_cbranch_vccz .LBB14_1259
; %bb.1258:
	v_cmp_ne_u16_e64 s0, 11, v9
	s_mov_b32 s10, -1
                                        ; implicit-def: $vgpr3
.LBB14_1259:
	s_delay_alu instid0(VALU_DEP_1)
	s_and_b32 vcc_lo, exec_lo, s0
	s_cbranch_vccnz .LBB14_1283
; %bb.1260:
	s_and_not1_b32 vcc_lo, exec_lo, s10
	s_cbranch_vccnz .LBB14_1262
.LBB14_1261:
	global_load_u8 v3, v[1:2], off
	s_mov_b32 s11, -1
	s_waitcnt vmcnt(0)
	v_cmp_ne_u16_e32 vcc_lo, 0, v3
	v_cndmask_b32_e64 v3, 0, 1, vcc_lo
.LBB14_1262:
.LBB14_1263:
	s_and_not1_b32 vcc_lo, exec_lo, s11
	s_cbranch_vccnz .LBB14_1326
.LBB14_1264:
	v_add_nc_u32_e32 v6, s3, v5
	v_cmp_gt_i16_e32 vcc_lo, 11, v9
	s_delay_alu instid0(VALU_DEP_2) | instskip(SKIP_1) | instid1(VALU_DEP_1)
	v_ashrrev_i32_e32 v2, 31, v6
	v_add_co_u32 v1, s0, s6, v6
	v_add_co_ci_u32_e64 v2, s0, s7, v2, s0
	s_cbranch_vccnz .LBB14_1271
; %bb.1265:
	v_cmp_lt_i16_e32 vcc_lo, 25, v9
	s_mov_b32 s10, 0
	s_cbranch_vccz .LBB14_1277
; %bb.1266:
	v_cmp_lt_i16_e32 vcc_lo, 28, v9
	s_cbranch_vccz .LBB14_1279
; %bb.1267:
	v_cmp_lt_i16_e32 vcc_lo, 43, v9
	;; [unrolled: 3-line block ×3, first 2 shown]
	s_cbranch_vccz .LBB14_1285
; %bb.1269:
	v_cmp_eq_u16_e32 vcc_lo, 46, v9
	s_mov_b32 s12, 0
	s_cbranch_vccz .LBB14_1373
; %bb.1270:
	global_load_b32 v4, v[1:2], off
	s_mov_b32 s0, 0
	s_mov_b32 s11, -1
	s_waitcnt vmcnt(0)
	v_lshlrev_b32_e32 v4, 16, v4
	s_delay_alu instid0(VALU_DEP_1) | instskip(NEXT) | instid1(VALU_DEP_1)
	v_trunc_f32_e32 v4, v4
	v_mul_f32_e64 v5, 0x2f800000, |v4|
	s_delay_alu instid0(VALU_DEP_1) | instskip(NEXT) | instid1(VALU_DEP_1)
	v_floor_f32_e32 v5, v5
	v_fma_f32 v5, 0xcf800000, v5, |v4|
	v_ashrrev_i32_e32 v4, 31, v4
	s_delay_alu instid0(VALU_DEP_2) | instskip(NEXT) | instid1(VALU_DEP_1)
	v_cvt_u32_f32_e32 v5, v5
	v_xor_b32_e32 v5, v5, v4
	s_delay_alu instid0(VALU_DEP_1)
	v_sub_nc_u32_e32 v4, v5, v4
	s_branch .LBB14_1375
.LBB14_1271:
	s_mov_b32 s11, 0
                                        ; implicit-def: $vgpr4
	s_cbranch_execz .LBB14_1437
; %bb.1272:
	v_cmp_gt_i16_e32 vcc_lo, 5, v9
	s_cbranch_vccnz .LBB14_1278
; %bb.1273:
	v_cmp_gt_i16_e32 vcc_lo, 8, v9
	s_cbranch_vccnz .LBB14_1280
; %bb.1274:
	v_cmp_gt_i16_e32 vcc_lo, 9, v9
	s_cbranch_vccnz .LBB14_1282
; %bb.1275:
	v_cmp_lt_i16_e32 vcc_lo, 9, v9
	s_cbranch_vccz .LBB14_1286
; %bb.1276:
	global_load_b64 v[4:5], v[1:2], off
	s_mov_b32 s0, 0
	s_waitcnt vmcnt(0)
	v_trunc_f64_e32 v[4:5], v[4:5]
	s_delay_alu instid0(VALU_DEP_1) | instskip(NEXT) | instid1(VALU_DEP_1)
	v_ldexp_f64 v[10:11], v[4:5], 0xffffffe0
	v_floor_f64_e32 v[10:11], v[10:11]
	s_delay_alu instid0(VALU_DEP_1) | instskip(NEXT) | instid1(VALU_DEP_1)
	v_fma_f64 v[4:5], 0xc1f00000, v[10:11], v[4:5]
	v_cvt_u32_f64_e32 v4, v[4:5]
	s_branch .LBB14_1287
.LBB14_1277:
	s_mov_b32 s12, -1
	s_mov_b32 s11, 0
	s_mov_b32 s0, 0
                                        ; implicit-def: $vgpr4
	s_branch .LBB14_1402
.LBB14_1278:
	s_mov_b32 s0, -1
                                        ; implicit-def: $vgpr4
	s_branch .LBB14_1305
.LBB14_1279:
	s_mov_b32 s12, -1
	s_mov_b32 s11, 0
	s_mov_b32 s0, 0
                                        ; implicit-def: $vgpr4
	s_branch .LBB14_1385
.LBB14_1280:
	s_mov_b32 s0, -1
                                        ; implicit-def: $vgpr4
	s_branch .LBB14_1293
.LBB14_1281:
	s_mov_b32 s12, -1
	s_mov_b32 s11, 0
	s_mov_b32 s0, 0
                                        ; implicit-def: $vgpr4
	s_branch .LBB14_1380
.LBB14_1282:
	s_mov_b32 s0, -1
                                        ; implicit-def: $vgpr4
	s_branch .LBB14_1290
.LBB14_1283:
	s_cbranch_execnz .LBB14_1371
; %bb.1284:
	s_or_b32 s1, s1, exec_lo
                                        ; implicit-def: $vgpr3
	s_cbranch_execz .LBB14_1261
	s_branch .LBB14_1262
.LBB14_1285:
	s_mov_b32 s12, -1
	s_mov_b32 s11, 0
	s_mov_b32 s0, 0
	s_branch .LBB14_1374
.LBB14_1286:
	s_mov_b32 s0, -1
                                        ; implicit-def: $vgpr4
.LBB14_1287:
	s_delay_alu instid0(SALU_CYCLE_1)
	s_and_not1_b32 vcc_lo, exec_lo, s0
	s_cbranch_vccnz .LBB14_1289
; %bb.1288:
	global_load_b32 v4, v[1:2], off
	s_waitcnt vmcnt(0)
	v_trunc_f32_e32 v4, v4
	s_delay_alu instid0(VALU_DEP_1) | instskip(NEXT) | instid1(VALU_DEP_1)
	v_mul_f32_e64 v5, 0x2f800000, |v4|
	v_floor_f32_e32 v5, v5
	s_delay_alu instid0(VALU_DEP_1) | instskip(SKIP_1) | instid1(VALU_DEP_2)
	v_fma_f32 v5, 0xcf800000, v5, |v4|
	v_ashrrev_i32_e32 v4, 31, v4
	v_cvt_u32_f32_e32 v5, v5
	s_delay_alu instid0(VALU_DEP_1) | instskip(NEXT) | instid1(VALU_DEP_1)
	v_xor_b32_e32 v5, v5, v4
	v_sub_nc_u32_e32 v4, v5, v4
.LBB14_1289:
	s_mov_b32 s0, 0
.LBB14_1290:
	s_delay_alu instid0(SALU_CYCLE_1)
	s_and_not1_b32 vcc_lo, exec_lo, s0
	s_cbranch_vccnz .LBB14_1292
; %bb.1291:
	global_load_b32 v4, v[1:2], off
	s_waitcnt vmcnt(0)
	v_cvt_f32_f16_e32 v4, v4
	s_delay_alu instid0(VALU_DEP_1)
	v_cvt_i32_f32_e32 v4, v4
.LBB14_1292:
	s_mov_b32 s0, 0
.LBB14_1293:
	s_delay_alu instid0(SALU_CYCLE_1)
	s_and_not1_b32 vcc_lo, exec_lo, s0
	s_cbranch_vccnz .LBB14_1304
; %bb.1294:
	v_cmp_gt_i16_e32 vcc_lo, 6, v9
	s_cbranch_vccnz .LBB14_1297
; %bb.1295:
	v_cmp_lt_i16_e32 vcc_lo, 6, v9
	s_cbranch_vccz .LBB14_1298
; %bb.1296:
	global_load_b64 v[4:5], v[1:2], off
	s_mov_b32 s0, 0
	s_waitcnt vmcnt(0)
	v_trunc_f64_e32 v[4:5], v[4:5]
	s_delay_alu instid0(VALU_DEP_1) | instskip(NEXT) | instid1(VALU_DEP_1)
	v_ldexp_f64 v[10:11], v[4:5], 0xffffffe0
	v_floor_f64_e32 v[10:11], v[10:11]
	s_delay_alu instid0(VALU_DEP_1) | instskip(NEXT) | instid1(VALU_DEP_1)
	v_fma_f64 v[4:5], 0xc1f00000, v[10:11], v[4:5]
	v_cvt_u32_f64_e32 v4, v[4:5]
	s_branch .LBB14_1299
.LBB14_1297:
	s_mov_b32 s0, -1
                                        ; implicit-def: $vgpr4
	s_branch .LBB14_1302
.LBB14_1298:
	s_mov_b32 s0, -1
                                        ; implicit-def: $vgpr4
.LBB14_1299:
	s_delay_alu instid0(SALU_CYCLE_1)
	s_and_not1_b32 vcc_lo, exec_lo, s0
	s_cbranch_vccnz .LBB14_1301
; %bb.1300:
	global_load_b32 v4, v[1:2], off
	s_waitcnt vmcnt(0)
	v_trunc_f32_e32 v4, v4
	s_delay_alu instid0(VALU_DEP_1) | instskip(NEXT) | instid1(VALU_DEP_1)
	v_mul_f32_e64 v5, 0x2f800000, |v4|
	v_floor_f32_e32 v5, v5
	s_delay_alu instid0(VALU_DEP_1) | instskip(SKIP_1) | instid1(VALU_DEP_2)
	v_fma_f32 v5, 0xcf800000, v5, |v4|
	v_ashrrev_i32_e32 v4, 31, v4
	v_cvt_u32_f32_e32 v5, v5
	s_delay_alu instid0(VALU_DEP_1) | instskip(NEXT) | instid1(VALU_DEP_1)
	v_xor_b32_e32 v5, v5, v4
	v_sub_nc_u32_e32 v4, v5, v4
.LBB14_1301:
	s_mov_b32 s0, 0
.LBB14_1302:
	s_delay_alu instid0(SALU_CYCLE_1)
	s_and_not1_b32 vcc_lo, exec_lo, s0
	s_cbranch_vccnz .LBB14_1304
; %bb.1303:
	global_load_u16 v4, v[1:2], off
	s_waitcnt vmcnt(0)
	v_cvt_f32_f16_e32 v4, v4
	s_delay_alu instid0(VALU_DEP_1)
	v_cvt_i32_f32_e32 v4, v4
.LBB14_1304:
	s_mov_b32 s0, 0
.LBB14_1305:
	s_delay_alu instid0(SALU_CYCLE_1)
	s_and_not1_b32 vcc_lo, exec_lo, s0
	s_cbranch_vccnz .LBB14_1325
; %bb.1306:
	v_cmp_gt_i16_e32 vcc_lo, 2, v9
	s_cbranch_vccnz .LBB14_1310
; %bb.1307:
	v_cmp_gt_i16_e32 vcc_lo, 3, v9
	s_cbranch_vccnz .LBB14_1311
; %bb.1308:
	v_cmp_lt_i16_e32 vcc_lo, 3, v9
	s_cbranch_vccz .LBB14_1312
; %bb.1309:
	global_load_b64 v[4:5], v[1:2], off
	s_mov_b32 s0, 0
	s_branch .LBB14_1313
.LBB14_1310:
	s_mov_b32 s0, -1
                                        ; implicit-def: $vgpr4
	s_branch .LBB14_1319
.LBB14_1311:
	s_mov_b32 s0, -1
                                        ; implicit-def: $vgpr4
	s_branch .LBB14_1316
.LBB14_1312:
	s_mov_b32 s0, -1
                                        ; implicit-def: $vgpr4
.LBB14_1313:
	s_delay_alu instid0(SALU_CYCLE_1)
	s_and_not1_b32 vcc_lo, exec_lo, s0
	s_cbranch_vccnz .LBB14_1315
; %bb.1314:
	global_load_b32 v4, v[1:2], off
.LBB14_1315:
	s_mov_b32 s0, 0
.LBB14_1316:
	s_delay_alu instid0(SALU_CYCLE_1)
	s_and_not1_b32 vcc_lo, exec_lo, s0
	s_cbranch_vccnz .LBB14_1318
; %bb.1317:
	global_load_u16 v4, v[1:2], off
.LBB14_1318:
	s_mov_b32 s0, 0
.LBB14_1319:
	s_delay_alu instid0(SALU_CYCLE_1)
	s_and_not1_b32 vcc_lo, exec_lo, s0
	s_cbranch_vccnz .LBB14_1325
; %bb.1320:
	v_cmp_lt_i16_e32 vcc_lo, 0, v9
	s_mov_b32 s0, 0
	s_cbranch_vccz .LBB14_1322
; %bb.1321:
	global_load_u8 v4, v[1:2], off
	s_branch .LBB14_1323
.LBB14_1322:
	s_mov_b32 s0, -1
                                        ; implicit-def: $vgpr4
.LBB14_1323:
	s_delay_alu instid0(SALU_CYCLE_1)
	s_and_not1_b32 vcc_lo, exec_lo, s0
	s_cbranch_vccnz .LBB14_1325
; %bb.1324:
	global_load_u8 v4, v[1:2], off
.LBB14_1325:
	s_branch .LBB14_1438
.LBB14_1326:
	s_mov_b32 s3, 0
	s_mov_b32 s2, 0
                                        ; implicit-def: $vgpr10
                                        ; implicit-def: $vgpr2_vgpr3
                                        ; implicit-def: $vgpr0
                                        ; implicit-def: $vgpr1
.LBB14_1327:
	s_and_b32 s0, s3, exec_lo
	s_and_not1_b32 s3, s9, exec_lo
	s_and_b32 s4, s1, exec_lo
	s_and_b32 s1, s2, exec_lo
	s_or_b32 s9, s3, s4
.LBB14_1328:
	s_or_b32 exec_lo, exec_lo, s8
	s_and_saveexec_b32 s2, s9
	s_cbranch_execz .LBB14_1331
; %bb.1329:
	; divergent unreachable
	s_or_b32 exec_lo, exec_lo, s2
	s_and_saveexec_b32 s2, s1
	s_delay_alu instid0(SALU_CYCLE_1)
	s_xor_b32 s1, exec_lo, s2
	s_cbranch_execnz .LBB14_1332
.LBB14_1330:
	s_or_b32 exec_lo, exec_lo, s1
	s_and_saveexec_b32 s1, s0
	s_cbranch_execnz .LBB14_1333
	s_branch .LBB14_1370
.LBB14_1331:
	s_or_b32 exec_lo, exec_lo, s2
	s_and_saveexec_b32 s2, s1
	s_delay_alu instid0(SALU_CYCLE_1)
	s_xor_b32 s1, exec_lo, s2
	s_cbranch_execz .LBB14_1330
.LBB14_1332:
	s_waitcnt vmcnt(0)
	s_delay_alu instid0(VALU_DEP_1) | instskip(NEXT) | instid1(VALU_DEP_1)
	v_and_b32_e32 v1, 0xff, v1
	v_cmp_ne_u16_e32 vcc_lo, 0xff, v1
	v_cndmask_b32_e64 v1, 0, 1, vcc_lo
	global_store_b8 v[2:3], v1, off
	s_or_b32 exec_lo, exec_lo, s1
	s_and_saveexec_b32 s1, s0
	s_cbranch_execz .LBB14_1370
.LBB14_1333:
	v_cmp_gt_i16_e32 vcc_lo, 5, v10
	s_mov_b32 s0, -1
	s_cbranch_vccnz .LBB14_1354
; %bb.1334:
	v_cmp_gt_i16_e32 vcc_lo, 8, v10
	s_cbranch_vccnz .LBB14_1344
; %bb.1335:
	v_cmp_gt_i16_e32 vcc_lo, 9, v10
	s_cbranch_vccnz .LBB14_1341
; %bb.1336:
	v_cmp_lt_i16_e32 vcc_lo, 9, v10
	s_cbranch_vccz .LBB14_1338
; %bb.1337:
	s_waitcnt vmcnt(0)
	v_dual_mov_b32 v6, 0 :: v_dual_and_b32 v1, 0xff, v0
	s_mov_b32 s0, 0
	s_delay_alu instid0(VALU_DEP_1) | instskip(NEXT) | instid1(VALU_DEP_2)
	v_and_b32_e32 v1, 0xffff, v1
	v_mov_b32_e32 v7, v6
	s_delay_alu instid0(VALU_DEP_2)
	v_cvt_f64_u32_e32 v[4:5], v1
	global_store_b128 v[2:3], v[4:7], off
.LBB14_1338:
	s_and_not1_b32 vcc_lo, exec_lo, s0
	s_cbranch_vccnz .LBB14_1340
; %bb.1339:
	s_waitcnt vmcnt(0)
	v_cvt_f32_ubyte0_e32 v4, v0
	v_mov_b32_e32 v5, 0
	global_store_b64 v[2:3], v[4:5], off
.LBB14_1340:
	s_mov_b32 s0, 0
.LBB14_1341:
	s_delay_alu instid0(SALU_CYCLE_1)
	s_and_not1_b32 vcc_lo, exec_lo, s0
	s_cbranch_vccnz .LBB14_1343
; %bb.1342:
	s_waitcnt vmcnt(0)
	v_and_b32_e32 v1, 0xff, v0
	s_delay_alu instid0(VALU_DEP_1) | instskip(NEXT) | instid1(VALU_DEP_1)
	v_cvt_f16_u16_e32 v1, v1
	v_and_b32_e32 v1, 0xffff, v1
	global_store_b32 v[2:3], v1, off
.LBB14_1343:
	s_mov_b32 s0, 0
.LBB14_1344:
	s_delay_alu instid0(SALU_CYCLE_1)
	s_and_not1_b32 vcc_lo, exec_lo, s0
	s_cbranch_vccnz .LBB14_1353
; %bb.1345:
	v_cmp_gt_i16_e32 vcc_lo, 6, v10
	s_mov_b32 s0, -1
	s_cbranch_vccnz .LBB14_1351
; %bb.1346:
	v_cmp_lt_i16_e32 vcc_lo, 6, v10
	s_cbranch_vccz .LBB14_1348
; %bb.1347:
	s_waitcnt vmcnt(0)
	v_and_b32_e32 v1, 0xff, v0
	s_mov_b32 s0, 0
	s_delay_alu instid0(VALU_DEP_1) | instskip(NEXT) | instid1(VALU_DEP_1)
	v_and_b32_e32 v1, 0xffff, v1
	v_cvt_f64_u32_e32 v[4:5], v1
	global_store_b64 v[2:3], v[4:5], off
.LBB14_1348:
	s_and_not1_b32 vcc_lo, exec_lo, s0
	s_cbranch_vccnz .LBB14_1350
; %bb.1349:
	s_waitcnt vmcnt(0)
	v_cvt_f32_ubyte0_e32 v1, v0
	global_store_b32 v[2:3], v1, off
.LBB14_1350:
	s_mov_b32 s0, 0
.LBB14_1351:
	s_delay_alu instid0(SALU_CYCLE_1)
	s_and_not1_b32 vcc_lo, exec_lo, s0
	s_cbranch_vccnz .LBB14_1353
; %bb.1352:
	s_waitcnt vmcnt(0)
	v_and_b32_e32 v1, 0xff, v0
	s_delay_alu instid0(VALU_DEP_1)
	v_cvt_f16_u16_e32 v1, v1
	global_store_b16 v[2:3], v1, off
.LBB14_1353:
	s_mov_b32 s0, 0
.LBB14_1354:
	s_delay_alu instid0(SALU_CYCLE_1)
	s_and_not1_b32 vcc_lo, exec_lo, s0
	s_cbranch_vccnz .LBB14_1370
; %bb.1355:
	v_cmp_gt_i16_e32 vcc_lo, 2, v10
	s_mov_b32 s0, -1
	s_cbranch_vccnz .LBB14_1365
; %bb.1356:
	v_cmp_gt_i16_e32 vcc_lo, 3, v10
	s_cbranch_vccnz .LBB14_1362
; %bb.1357:
	v_cmp_lt_i16_e32 vcc_lo, 3, v10
	s_cbranch_vccz .LBB14_1359
; %bb.1358:
	s_waitcnt vmcnt(0)
	v_dual_mov_b32 v5, 0 :: v_dual_and_b32 v4, 0xff, v0
	s_mov_b32 s0, 0
	global_store_b64 v[2:3], v[4:5], off
.LBB14_1359:
	s_and_not1_b32 vcc_lo, exec_lo, s0
	s_cbranch_vccnz .LBB14_1361
; %bb.1360:
	s_waitcnt vmcnt(0)
	v_and_b32_e32 v1, 0xff, v0
	global_store_b32 v[2:3], v1, off
.LBB14_1361:
	s_mov_b32 s0, 0
.LBB14_1362:
	s_delay_alu instid0(SALU_CYCLE_1)
	s_and_not1_b32 vcc_lo, exec_lo, s0
	s_cbranch_vccnz .LBB14_1364
; %bb.1363:
	s_waitcnt vmcnt(0)
	v_and_b32_e32 v1, 0xff, v0
	global_store_b16 v[2:3], v1, off
.LBB14_1364:
	s_mov_b32 s0, 0
.LBB14_1365:
	s_delay_alu instid0(SALU_CYCLE_1)
	s_and_not1_b32 vcc_lo, exec_lo, s0
	s_cbranch_vccnz .LBB14_1370
; %bb.1366:
	v_cmp_lt_i16_e32 vcc_lo, 0, v10
	s_mov_b32 s0, -1
	s_cbranch_vccz .LBB14_1368
; %bb.1367:
	s_mov_b32 s0, 0
	s_waitcnt vmcnt(0)
	global_store_b8 v[2:3], v0, off
.LBB14_1368:
	s_and_not1_b32 vcc_lo, exec_lo, s0
	s_cbranch_vccnz .LBB14_1370
; %bb.1369:
	s_waitcnt vmcnt(0)
	global_store_b8 v[2:3], v0, off
	s_nop 0
	s_sendmsg sendmsg(MSG_DEALLOC_VGPRS)
	s_endpgm
.LBB14_1370:
	s_nop 0
	s_sendmsg sendmsg(MSG_DEALLOC_VGPRS)
	s_endpgm
.LBB14_1371:
	s_trap 2
	s_sendmsg_rtn_b32 s0, sendmsg(MSG_RTN_GET_DOORBELL)
	s_mov_b32 ttmp2, m0
	s_waitcnt lgkmcnt(0)
	s_and_b32 s0, s0, 0x3ff
	s_delay_alu instid0(SALU_CYCLE_1) | instskip(NEXT) | instid1(SALU_CYCLE_1)
	s_bitset1_b32 s0, 10
	s_mov_b32 m0, s0
	s_sendmsg sendmsg(MSG_INTERRUPT)
	s_mov_b32 m0, ttmp2
.LBB14_1372:                            ; =>This Inner Loop Header: Depth=1
	s_sethalt 5
	s_branch .LBB14_1372
.LBB14_1373:
	s_mov_b32 s0, -1
	s_mov_b32 s11, 0
.LBB14_1374:
                                        ; implicit-def: $vgpr4
.LBB14_1375:
	s_and_b32 vcc_lo, exec_lo, s12
	s_cbranch_vccz .LBB14_1379
; %bb.1376:
	v_cmp_eq_u16_e32 vcc_lo, 44, v9
	s_cbranch_vccz .LBB14_1378
; %bb.1377:
	global_load_u8 v4, v[1:2], off
	s_mov_b32 s0, 0
	s_mov_b32 s11, -1
	s_waitcnt vmcnt(0)
	v_lshlrev_b32_e32 v5, 23, v4
	v_cmp_ne_u32_e32 vcc_lo, 0, v4
	s_delay_alu instid0(VALU_DEP_2) | instskip(NEXT) | instid1(VALU_DEP_1)
	v_trunc_f32_e32 v5, v5
	v_mul_f32_e64 v10, 0x2f800000, |v5|
	s_delay_alu instid0(VALU_DEP_1) | instskip(NEXT) | instid1(VALU_DEP_1)
	v_floor_f32_e32 v10, v10
	v_fma_f32 v10, 0xcf800000, v10, |v5|
	v_ashrrev_i32_e32 v5, 31, v5
	s_delay_alu instid0(VALU_DEP_2) | instskip(NEXT) | instid1(VALU_DEP_1)
	v_cvt_u32_f32_e32 v10, v10
	v_xor_b32_e32 v10, v10, v5
	s_delay_alu instid0(VALU_DEP_1) | instskip(NEXT) | instid1(VALU_DEP_1)
	v_sub_nc_u32_e32 v5, v10, v5
	v_cndmask_b32_e32 v4, 0, v5, vcc_lo
	s_branch .LBB14_1379
.LBB14_1378:
	s_mov_b32 s0, -1
                                        ; implicit-def: $vgpr4
.LBB14_1379:
	s_mov_b32 s12, 0
.LBB14_1380:
	s_delay_alu instid0(SALU_CYCLE_1)
	s_and_b32 vcc_lo, exec_lo, s12
	s_cbranch_vccz .LBB14_1384
; %bb.1381:
	v_cmp_eq_u16_e32 vcc_lo, 29, v9
	s_cbranch_vccz .LBB14_1383
; %bb.1382:
	global_load_b64 v[4:5], v[1:2], off
	s_mov_b32 s0, 0
	s_mov_b32 s11, -1
	s_branch .LBB14_1384
.LBB14_1383:
	s_mov_b32 s0, -1
                                        ; implicit-def: $vgpr4
.LBB14_1384:
	s_mov_b32 s12, 0
.LBB14_1385:
	s_delay_alu instid0(SALU_CYCLE_1)
	s_and_b32 vcc_lo, exec_lo, s12
	s_cbranch_vccz .LBB14_1401
; %bb.1386:
	v_cmp_gt_i16_e32 vcc_lo, 27, v9
	s_cbranch_vccnz .LBB14_1389
; %bb.1387:
	v_cmp_lt_i16_e32 vcc_lo, 27, v9
	s_cbranch_vccz .LBB14_1390
; %bb.1388:
	global_load_b32 v4, v[1:2], off
	s_mov_b32 s11, 0
	s_branch .LBB14_1391
.LBB14_1389:
	s_mov_b32 s11, -1
                                        ; implicit-def: $vgpr4
	s_branch .LBB14_1394
.LBB14_1390:
	s_mov_b32 s11, -1
                                        ; implicit-def: $vgpr4
.LBB14_1391:
	s_delay_alu instid0(SALU_CYCLE_1)
	s_and_not1_b32 vcc_lo, exec_lo, s11
	s_cbranch_vccnz .LBB14_1393
; %bb.1392:
	global_load_u16 v4, v[1:2], off
.LBB14_1393:
	s_mov_b32 s11, 0
.LBB14_1394:
	s_delay_alu instid0(SALU_CYCLE_1)
	s_and_not1_b32 vcc_lo, exec_lo, s11
	s_cbranch_vccnz .LBB14_1400
; %bb.1395:
	global_load_u8 v5, v[1:2], off
	s_mov_b32 s12, 0
	s_mov_b32 s11, exec_lo
                                        ; implicit-def: $sgpr13
	s_waitcnt vmcnt(0)
	v_cmpx_lt_i16_e32 0x7f, v5
	s_xor_b32 s11, exec_lo, s11
	s_cbranch_execz .LBB14_1412
; %bb.1396:
	v_cmp_ne_u16_e32 vcc_lo, 0x80, v5
	s_mov_b32 s13, 0
	s_and_b32 s12, vcc_lo, exec_lo
	s_or_saveexec_b32 s11, s11
	v_mov_b32_e32 v4, s13
	s_xor_b32 exec_lo, exec_lo, s11
	s_cbranch_execnz .LBB14_1413
.LBB14_1397:
	s_or_b32 exec_lo, exec_lo, s11
	s_and_saveexec_b32 s11, s12
	s_cbranch_execz .LBB14_1399
.LBB14_1398:
	v_and_b32_e32 v4, 0xffff, v5
	s_delay_alu instid0(VALU_DEP_1) | instskip(NEXT) | instid1(VALU_DEP_1)
	v_and_b32_e32 v10, 7, v4
	v_clz_i32_u32_e32 v11, v10
	s_delay_alu instid0(VALU_DEP_1) | instskip(NEXT) | instid1(VALU_DEP_1)
	v_min_u32_e32 v11, 32, v11
	v_subrev_nc_u32_e32 v12, 28, v11
	v_sub_nc_u32_e32 v11, 29, v11
	s_delay_alu instid0(VALU_DEP_2) | instskip(SKIP_1) | instid1(VALU_DEP_2)
	v_lshlrev_b32_e32 v12, v12, v4
	v_bfe_u32 v4, v4, 3, 4
	v_and_b32_e32 v12, 7, v12
	s_delay_alu instid0(VALU_DEP_2) | instskip(SKIP_1) | instid1(VALU_DEP_1)
	v_cmp_eq_u32_e32 vcc_lo, 0, v4
	v_dual_cndmask_b32 v4, v4, v11 :: v_dual_lshlrev_b32 v5, 24, v5
	v_dual_cndmask_b32 v10, v10, v12 :: v_dual_and_b32 v5, 0x80000000, v5
	s_delay_alu instid0(VALU_DEP_2) | instskip(NEXT) | instid1(VALU_DEP_2)
	v_lshl_add_u32 v4, v4, 23, 0x3b800000
	v_lshlrev_b32_e32 v10, 20, v10
	s_delay_alu instid0(VALU_DEP_1) | instskip(NEXT) | instid1(VALU_DEP_1)
	v_or3_b32 v4, v5, v4, v10
	v_trunc_f32_e32 v4, v4
	s_delay_alu instid0(VALU_DEP_1) | instskip(NEXT) | instid1(VALU_DEP_1)
	v_mul_f32_e64 v5, 0x2f800000, |v4|
	v_floor_f32_e32 v5, v5
	s_delay_alu instid0(VALU_DEP_1) | instskip(SKIP_1) | instid1(VALU_DEP_2)
	v_fma_f32 v5, 0xcf800000, v5, |v4|
	v_ashrrev_i32_e32 v4, 31, v4
	v_cvt_u32_f32_e32 v5, v5
	s_delay_alu instid0(VALU_DEP_1) | instskip(NEXT) | instid1(VALU_DEP_1)
	v_xor_b32_e32 v5, v5, v4
	v_sub_nc_u32_e32 v4, v5, v4
.LBB14_1399:
	s_or_b32 exec_lo, exec_lo, s11
.LBB14_1400:
	s_mov_b32 s11, -1
.LBB14_1401:
	s_mov_b32 s12, 0
.LBB14_1402:
	s_delay_alu instid0(SALU_CYCLE_1)
	s_and_b32 vcc_lo, exec_lo, s12
	s_cbranch_vccz .LBB14_1433
; %bb.1403:
	v_cmp_lt_i16_e32 vcc_lo, 22, v9
	s_cbranch_vccz .LBB14_1411
; %bb.1404:
	v_cmp_gt_i16_e32 vcc_lo, 24, v9
	s_cbranch_vccnz .LBB14_1414
; %bb.1405:
	v_cmp_lt_i16_e32 vcc_lo, 24, v9
	s_cbranch_vccz .LBB14_1415
; %bb.1406:
	global_load_u8 v5, v[1:2], off
	s_mov_b32 s11, 0
	s_mov_b32 s10, exec_lo
                                        ; implicit-def: $sgpr12
	s_waitcnt vmcnt(0)
	v_cmpx_lt_i16_e32 0x7f, v5
	s_xor_b32 s10, exec_lo, s10
	s_cbranch_execz .LBB14_1427
; %bb.1407:
	v_cmp_ne_u16_e32 vcc_lo, 0x80, v5
	s_mov_b32 s12, 0
	s_and_b32 s11, vcc_lo, exec_lo
	s_or_saveexec_b32 s10, s10
	v_mov_b32_e32 v4, s12
	s_xor_b32 exec_lo, exec_lo, s10
	s_cbranch_execnz .LBB14_1428
.LBB14_1408:
	s_or_b32 exec_lo, exec_lo, s10
	s_and_saveexec_b32 s10, s11
	s_cbranch_execz .LBB14_1410
.LBB14_1409:
	v_and_b32_e32 v4, 0xffff, v5
	s_delay_alu instid0(VALU_DEP_1) | instskip(NEXT) | instid1(VALU_DEP_1)
	v_and_b32_e32 v10, 3, v4
	v_clz_i32_u32_e32 v11, v10
	s_delay_alu instid0(VALU_DEP_1) | instskip(NEXT) | instid1(VALU_DEP_1)
	v_min_u32_e32 v11, 32, v11
	v_subrev_nc_u32_e32 v12, 29, v11
	v_sub_nc_u32_e32 v11, 30, v11
	s_delay_alu instid0(VALU_DEP_2) | instskip(SKIP_1) | instid1(VALU_DEP_2)
	v_lshlrev_b32_e32 v12, v12, v4
	v_bfe_u32 v4, v4, 2, 5
	v_and_b32_e32 v12, 3, v12
	s_delay_alu instid0(VALU_DEP_2) | instskip(SKIP_1) | instid1(VALU_DEP_1)
	v_cmp_eq_u32_e32 vcc_lo, 0, v4
	v_dual_cndmask_b32 v4, v4, v11 :: v_dual_lshlrev_b32 v5, 24, v5
	v_dual_cndmask_b32 v10, v10, v12 :: v_dual_and_b32 v5, 0x80000000, v5
	s_delay_alu instid0(VALU_DEP_2) | instskip(NEXT) | instid1(VALU_DEP_2)
	v_lshl_add_u32 v4, v4, 23, 0x37800000
	v_lshlrev_b32_e32 v10, 21, v10
	s_delay_alu instid0(VALU_DEP_1) | instskip(NEXT) | instid1(VALU_DEP_1)
	v_or3_b32 v4, v5, v4, v10
	v_trunc_f32_e32 v4, v4
	s_delay_alu instid0(VALU_DEP_1) | instskip(NEXT) | instid1(VALU_DEP_1)
	v_mul_f32_e64 v5, 0x2f800000, |v4|
	v_floor_f32_e32 v5, v5
	s_delay_alu instid0(VALU_DEP_1) | instskip(SKIP_1) | instid1(VALU_DEP_2)
	v_fma_f32 v5, 0xcf800000, v5, |v4|
	v_ashrrev_i32_e32 v4, 31, v4
	v_cvt_u32_f32_e32 v5, v5
	s_delay_alu instid0(VALU_DEP_1) | instskip(NEXT) | instid1(VALU_DEP_1)
	v_xor_b32_e32 v5, v5, v4
	v_sub_nc_u32_e32 v4, v5, v4
.LBB14_1410:
	s_or_b32 exec_lo, exec_lo, s10
	s_mov_b32 s10, 0
	s_branch .LBB14_1416
.LBB14_1411:
	s_mov_b32 s10, -1
                                        ; implicit-def: $vgpr4
	s_branch .LBB14_1422
.LBB14_1412:
	s_or_saveexec_b32 s11, s11
	v_mov_b32_e32 v4, s13
	s_xor_b32 exec_lo, exec_lo, s11
	s_cbranch_execz .LBB14_1397
.LBB14_1413:
	v_cmp_ne_u16_e32 vcc_lo, 0, v5
	v_mov_b32_e32 v4, 0
	s_and_not1_b32 s12, s12, exec_lo
	s_and_b32 s13, vcc_lo, exec_lo
	s_delay_alu instid0(SALU_CYCLE_1)
	s_or_b32 s12, s12, s13
	s_or_b32 exec_lo, exec_lo, s11
	s_and_saveexec_b32 s11, s12
	s_cbranch_execnz .LBB14_1398
	s_branch .LBB14_1399
.LBB14_1414:
	s_mov_b32 s10, -1
                                        ; implicit-def: $vgpr4
	s_branch .LBB14_1419
.LBB14_1415:
	s_mov_b32 s10, -1
                                        ; implicit-def: $vgpr4
.LBB14_1416:
	s_delay_alu instid0(SALU_CYCLE_1)
	s_and_b32 vcc_lo, exec_lo, s10
	s_cbranch_vccz .LBB14_1418
; %bb.1417:
	global_load_u8 v4, v[1:2], off
	s_waitcnt vmcnt(0)
	v_lshlrev_b32_e32 v4, 24, v4
	s_delay_alu instid0(VALU_DEP_1) | instskip(NEXT) | instid1(VALU_DEP_1)
	v_and_b32_e32 v5, 0x7f000000, v4
	v_clz_i32_u32_e32 v10, v5
	v_add_nc_u32_e32 v12, 0x1000000, v5
	v_cmp_ne_u32_e32 vcc_lo, 0, v5
	s_delay_alu instid0(VALU_DEP_3) | instskip(NEXT) | instid1(VALU_DEP_1)
	v_min_u32_e32 v10, 32, v10
	v_sub_nc_u32_e64 v10, v10, 4 clamp
	s_delay_alu instid0(VALU_DEP_1) | instskip(SKIP_1) | instid1(VALU_DEP_2)
	v_lshlrev_b32_e32 v11, v10, v5
	v_lshlrev_b32_e32 v10, 23, v10
	v_lshrrev_b32_e32 v11, 4, v11
	s_delay_alu instid0(VALU_DEP_1) | instskip(SKIP_1) | instid1(VALU_DEP_2)
	v_sub_nc_u32_e32 v10, v11, v10
	v_ashrrev_i32_e32 v11, 8, v12
	v_add_nc_u32_e32 v10, 0x3c000000, v10
	s_delay_alu instid0(VALU_DEP_1) | instskip(NEXT) | instid1(VALU_DEP_1)
	v_and_or_b32 v10, 0x7f800000, v11, v10
	v_cndmask_b32_e32 v5, 0, v10, vcc_lo
	s_delay_alu instid0(VALU_DEP_1) | instskip(NEXT) | instid1(VALU_DEP_1)
	v_and_or_b32 v4, 0x80000000, v4, v5
	v_trunc_f32_e32 v4, v4
	s_delay_alu instid0(VALU_DEP_1) | instskip(NEXT) | instid1(VALU_DEP_1)
	v_mul_f32_e64 v5, 0x2f800000, |v4|
	v_floor_f32_e32 v5, v5
	s_delay_alu instid0(VALU_DEP_1) | instskip(SKIP_1) | instid1(VALU_DEP_2)
	v_fma_f32 v5, 0xcf800000, v5, |v4|
	v_ashrrev_i32_e32 v4, 31, v4
	v_cvt_u32_f32_e32 v5, v5
	s_delay_alu instid0(VALU_DEP_1) | instskip(NEXT) | instid1(VALU_DEP_1)
	v_xor_b32_e32 v5, v5, v4
	v_sub_nc_u32_e32 v4, v5, v4
.LBB14_1418:
	s_mov_b32 s10, 0
.LBB14_1419:
	s_delay_alu instid0(SALU_CYCLE_1)
	s_and_not1_b32 vcc_lo, exec_lo, s10
	s_cbranch_vccnz .LBB14_1421
; %bb.1420:
	global_load_u8 v4, v[1:2], off
	s_waitcnt vmcnt(0)
	v_lshlrev_b32_e32 v5, 25, v4
	v_lshlrev_b16 v4, 8, v4
	s_delay_alu instid0(VALU_DEP_2) | instskip(NEXT) | instid1(VALU_DEP_2)
	v_lshrrev_b32_e32 v10, 4, v5
	v_and_or_b32 v11, 0x7f00, v4, 0.5
	v_bfe_i32 v4, v4, 0, 16
	s_delay_alu instid0(VALU_DEP_3) | instskip(NEXT) | instid1(VALU_DEP_1)
	v_or_b32_e32 v10, 0x70000000, v10
	v_dual_add_f32 v11, -0.5, v11 :: v_dual_mul_f32 v10, 0x7800000, v10
	v_cmp_gt_u32_e32 vcc_lo, 0x8000000, v5
	s_delay_alu instid0(VALU_DEP_2) | instskip(NEXT) | instid1(VALU_DEP_1)
	v_cndmask_b32_e32 v5, v10, v11, vcc_lo
	v_and_or_b32 v4, 0x80000000, v4, v5
	s_delay_alu instid0(VALU_DEP_1) | instskip(NEXT) | instid1(VALU_DEP_1)
	v_trunc_f32_e32 v4, v4
	v_mul_f32_e64 v5, 0x2f800000, |v4|
	s_delay_alu instid0(VALU_DEP_1) | instskip(NEXT) | instid1(VALU_DEP_1)
	v_floor_f32_e32 v5, v5
	v_fma_f32 v5, 0xcf800000, v5, |v4|
	v_ashrrev_i32_e32 v4, 31, v4
	s_delay_alu instid0(VALU_DEP_2) | instskip(NEXT) | instid1(VALU_DEP_1)
	v_cvt_u32_f32_e32 v5, v5
	v_xor_b32_e32 v5, v5, v4
	s_delay_alu instid0(VALU_DEP_1)
	v_sub_nc_u32_e32 v4, v5, v4
.LBB14_1421:
	s_mov_b32 s10, 0
	s_mov_b32 s11, -1
.LBB14_1422:
	s_and_not1_b32 vcc_lo, exec_lo, s10
	s_mov_b32 s10, 0
	s_cbranch_vccnz .LBB14_1433
; %bb.1423:
	v_cmp_lt_i16_e32 vcc_lo, 14, v9
	s_cbranch_vccz .LBB14_1426
; %bb.1424:
	v_cmp_eq_u16_e32 vcc_lo, 15, v9
	s_cbranch_vccz .LBB14_1429
; %bb.1425:
	global_load_u16 v4, v[1:2], off
	s_mov_b32 s0, 0
	s_mov_b32 s11, -1
	s_waitcnt vmcnt(0)
	v_lshlrev_b32_e32 v4, 16, v4
	s_delay_alu instid0(VALU_DEP_1) | instskip(NEXT) | instid1(VALU_DEP_1)
	v_trunc_f32_e32 v4, v4
	v_mul_f32_e64 v5, 0x2f800000, |v4|
	s_delay_alu instid0(VALU_DEP_1) | instskip(NEXT) | instid1(VALU_DEP_1)
	v_floor_f32_e32 v5, v5
	v_fma_f32 v5, 0xcf800000, v5, |v4|
	v_ashrrev_i32_e32 v4, 31, v4
	s_delay_alu instid0(VALU_DEP_2) | instskip(NEXT) | instid1(VALU_DEP_1)
	v_cvt_u32_f32_e32 v5, v5
	v_xor_b32_e32 v5, v5, v4
	s_delay_alu instid0(VALU_DEP_1)
	v_sub_nc_u32_e32 v4, v5, v4
	s_branch .LBB14_1431
.LBB14_1426:
	s_mov_b32 s10, -1
	s_branch .LBB14_1430
.LBB14_1427:
	s_or_saveexec_b32 s10, s10
	v_mov_b32_e32 v4, s12
	s_xor_b32 exec_lo, exec_lo, s10
	s_cbranch_execz .LBB14_1408
.LBB14_1428:
	v_cmp_ne_u16_e32 vcc_lo, 0, v5
	v_mov_b32_e32 v4, 0
	s_and_not1_b32 s11, s11, exec_lo
	s_and_b32 s12, vcc_lo, exec_lo
	s_delay_alu instid0(SALU_CYCLE_1)
	s_or_b32 s11, s11, s12
	s_or_b32 exec_lo, exec_lo, s10
	s_and_saveexec_b32 s10, s11
	s_cbranch_execnz .LBB14_1409
	s_branch .LBB14_1410
.LBB14_1429:
	s_mov_b32 s0, -1
.LBB14_1430:
                                        ; implicit-def: $vgpr4
.LBB14_1431:
	s_and_b32 vcc_lo, exec_lo, s10
	s_mov_b32 s10, 0
	s_cbranch_vccz .LBB14_1433
; %bb.1432:
	v_cmp_ne_u16_e64 s0, 11, v9
	s_mov_b32 s10, -1
                                        ; implicit-def: $vgpr4
.LBB14_1433:
	s_delay_alu instid0(VALU_DEP_1)
	s_and_b32 vcc_lo, exec_lo, s0
	s_cbranch_vccnz .LBB14_1449
; %bb.1434:
	s_and_not1_b32 vcc_lo, exec_lo, s10
	s_cbranch_vccnz .LBB14_1436
.LBB14_1435:
	global_load_u8 v4, v[1:2], off
	s_mov_b32 s11, -1
	s_waitcnt vmcnt(0)
	v_cmp_ne_u16_e32 vcc_lo, 0, v4
	v_cndmask_b32_e64 v4, 0, 1, vcc_lo
.LBB14_1436:
.LBB14_1437:
	s_and_not1_b32 vcc_lo, exec_lo, s11
	s_cbranch_vccnz .LBB14_1326
.LBB14_1438:
	v_add_nc_u32_e32 v1, s3, v6
	v_cmp_gt_i16_e32 vcc_lo, 11, v9
	s_delay_alu instid0(VALU_DEP_2) | instskip(SKIP_2) | instid1(VALU_DEP_1)
	v_ashrrev_i32_e32 v2, 31, v1
	s_waitcnt vmcnt(0)
	v_add_co_u32 v5, s0, s6, v1
	v_add_co_ci_u32_e64 v6, s0, s7, v2, s0
	s_cbranch_vccnz .LBB14_1445
; %bb.1439:
	v_cmp_lt_i16_e32 vcc_lo, 25, v9
	s_mov_b32 s3, 0
	s_cbranch_vccz .LBB14_1446
; %bb.1440:
	v_cmp_lt_i16_e32 vcc_lo, 28, v9
	s_cbranch_vccz .LBB14_1447
; %bb.1441:
	v_cmp_lt_i16_e32 vcc_lo, 43, v9
	;; [unrolled: 3-line block ×3, first 2 shown]
	s_cbranch_vccz .LBB14_1451
; %bb.1443:
	v_cmp_eq_u16_e32 vcc_lo, 46, v9
	s_mov_b32 s7, 0
	s_cbranch_vccz .LBB14_1454
; %bb.1444:
	global_load_b32 v1, v[5:6], off
	s_mov_b32 s0, 0
	s_mov_b32 s6, -1
	s_waitcnt vmcnt(0)
	v_lshlrev_b32_e32 v1, 16, v1
	s_delay_alu instid0(VALU_DEP_1) | instskip(NEXT) | instid1(VALU_DEP_1)
	v_trunc_f32_e32 v1, v1
	v_mul_f32_e64 v2, 0x2f800000, |v1|
	s_delay_alu instid0(VALU_DEP_1) | instskip(NEXT) | instid1(VALU_DEP_1)
	v_floor_f32_e32 v2, v2
	v_fma_f32 v2, 0xcf800000, v2, |v1|
	v_ashrrev_i32_e32 v1, 31, v1
	s_delay_alu instid0(VALU_DEP_2) | instskip(NEXT) | instid1(VALU_DEP_1)
	v_cvt_u32_f32_e32 v2, v2
	v_xor_b32_e32 v2, v2, v1
	s_delay_alu instid0(VALU_DEP_1)
	v_sub_nc_u32_e32 v1, v2, v1
	s_branch .LBB14_1456
.LBB14_1445:
	s_mov_b32 s0, -1
	s_mov_b32 s6, 0
                                        ; implicit-def: $vgpr1
	s_branch .LBB14_1518
.LBB14_1446:
	s_mov_b32 s7, -1
	s_mov_b32 s6, 0
	s_mov_b32 s0, 0
                                        ; implicit-def: $vgpr1
	s_branch .LBB14_1483
.LBB14_1447:
	s_mov_b32 s7, -1
	s_mov_b32 s6, 0
	s_mov_b32 s0, 0
                                        ; implicit-def: $vgpr1
	s_branch .LBB14_1466
.LBB14_1448:
	s_mov_b32 s7, -1
	s_mov_b32 s6, 0
	s_mov_b32 s0, 0
                                        ; implicit-def: $vgpr1
	s_branch .LBB14_1461
.LBB14_1449:
	s_cbranch_execnz .LBB14_1452
; %bb.1450:
	s_or_b32 s1, s1, exec_lo
                                        ; implicit-def: $vgpr4
	s_cbranch_execz .LBB14_1435
	s_branch .LBB14_1436
.LBB14_1451:
	s_mov_b32 s7, -1
	s_mov_b32 s6, 0
	s_mov_b32 s0, 0
	s_branch .LBB14_1455
.LBB14_1452:
	s_trap 2
	s_sendmsg_rtn_b32 s0, sendmsg(MSG_RTN_GET_DOORBELL)
	s_mov_b32 ttmp2, m0
	s_waitcnt lgkmcnt(0)
	s_and_b32 s0, s0, 0x3ff
	s_delay_alu instid0(SALU_CYCLE_1) | instskip(NEXT) | instid1(SALU_CYCLE_1)
	s_bitset1_b32 s0, 10
	s_mov_b32 m0, s0
	s_sendmsg sendmsg(MSG_INTERRUPT)
	s_mov_b32 m0, ttmp2
.LBB14_1453:                            ; =>This Inner Loop Header: Depth=1
	s_sethalt 5
	s_branch .LBB14_1453
.LBB14_1454:
	s_mov_b32 s0, -1
	s_mov_b32 s6, 0
.LBB14_1455:
                                        ; implicit-def: $vgpr1
.LBB14_1456:
	s_and_b32 vcc_lo, exec_lo, s7
	s_cbranch_vccz .LBB14_1460
; %bb.1457:
	v_cmp_eq_u16_e32 vcc_lo, 44, v9
	s_cbranch_vccz .LBB14_1459
; %bb.1458:
	global_load_u8 v1, v[5:6], off
	s_mov_b32 s0, 0
	s_mov_b32 s6, -1
	s_waitcnt vmcnt(0)
	v_lshlrev_b32_e32 v2, 23, v1
	v_cmp_ne_u32_e32 vcc_lo, 0, v1
	s_delay_alu instid0(VALU_DEP_2) | instskip(NEXT) | instid1(VALU_DEP_1)
	v_trunc_f32_e32 v2, v2
	v_mul_f32_e64 v10, 0x2f800000, |v2|
	s_delay_alu instid0(VALU_DEP_1) | instskip(NEXT) | instid1(VALU_DEP_1)
	v_floor_f32_e32 v10, v10
	v_fma_f32 v10, 0xcf800000, v10, |v2|
	v_ashrrev_i32_e32 v2, 31, v2
	s_delay_alu instid0(VALU_DEP_2) | instskip(NEXT) | instid1(VALU_DEP_1)
	v_cvt_u32_f32_e32 v10, v10
	v_xor_b32_e32 v10, v10, v2
	s_delay_alu instid0(VALU_DEP_1) | instskip(NEXT) | instid1(VALU_DEP_1)
	v_sub_nc_u32_e32 v2, v10, v2
	v_cndmask_b32_e32 v1, 0, v2, vcc_lo
	s_branch .LBB14_1460
.LBB14_1459:
	s_mov_b32 s0, -1
                                        ; implicit-def: $vgpr1
.LBB14_1460:
	s_mov_b32 s7, 0
.LBB14_1461:
	s_delay_alu instid0(SALU_CYCLE_1)
	s_and_b32 vcc_lo, exec_lo, s7
	s_cbranch_vccz .LBB14_1465
; %bb.1462:
	v_cmp_eq_u16_e32 vcc_lo, 29, v9
	s_cbranch_vccz .LBB14_1464
; %bb.1463:
	global_load_b64 v[1:2], v[5:6], off
	s_mov_b32 s0, 0
	s_mov_b32 s6, -1
	s_branch .LBB14_1465
.LBB14_1464:
	s_mov_b32 s0, -1
                                        ; implicit-def: $vgpr1
.LBB14_1465:
	s_mov_b32 s7, 0
.LBB14_1466:
	s_delay_alu instid0(SALU_CYCLE_1)
	s_and_b32 vcc_lo, exec_lo, s7
	s_cbranch_vccz .LBB14_1482
; %bb.1467:
	v_cmp_gt_i16_e32 vcc_lo, 27, v9
	s_cbranch_vccnz .LBB14_1470
; %bb.1468:
	v_cmp_lt_i16_e32 vcc_lo, 27, v9
	s_cbranch_vccz .LBB14_1471
; %bb.1469:
	global_load_b32 v1, v[5:6], off
	s_mov_b32 s6, 0
	s_branch .LBB14_1472
.LBB14_1470:
	s_mov_b32 s6, -1
                                        ; implicit-def: $vgpr1
	s_branch .LBB14_1475
.LBB14_1471:
	s_mov_b32 s6, -1
                                        ; implicit-def: $vgpr1
.LBB14_1472:
	s_delay_alu instid0(SALU_CYCLE_1)
	s_and_not1_b32 vcc_lo, exec_lo, s6
	s_cbranch_vccnz .LBB14_1474
; %bb.1473:
	global_load_u16 v1, v[5:6], off
.LBB14_1474:
	s_mov_b32 s6, 0
.LBB14_1475:
	s_delay_alu instid0(SALU_CYCLE_1)
	s_and_not1_b32 vcc_lo, exec_lo, s6
	s_cbranch_vccnz .LBB14_1481
; %bb.1476:
	global_load_u8 v2, v[5:6], off
	s_mov_b32 s7, 0
	s_mov_b32 s6, exec_lo
                                        ; implicit-def: $sgpr10
	s_waitcnt vmcnt(0)
	v_cmpx_lt_i16_e32 0x7f, v2
	s_xor_b32 s6, exec_lo, s6
	s_cbranch_execz .LBB14_1493
; %bb.1477:
	v_cmp_ne_u16_e32 vcc_lo, 0x80, v2
	s_mov_b32 s10, 0
	s_and_b32 s7, vcc_lo, exec_lo
	s_or_saveexec_b32 s6, s6
	v_mov_b32_e32 v1, s10
	s_xor_b32 exec_lo, exec_lo, s6
	s_cbranch_execnz .LBB14_1494
.LBB14_1478:
	s_or_b32 exec_lo, exec_lo, s6
	s_and_saveexec_b32 s6, s7
	s_cbranch_execz .LBB14_1480
.LBB14_1479:
	v_and_b32_e32 v1, 0xffff, v2
	v_lshlrev_b32_e32 v2, 24, v2
	s_delay_alu instid0(VALU_DEP_2) | instskip(NEXT) | instid1(VALU_DEP_2)
	v_and_b32_e32 v10, 7, v1
	v_and_b32_e32 v2, 0x80000000, v2
	s_delay_alu instid0(VALU_DEP_2) | instskip(NEXT) | instid1(VALU_DEP_1)
	v_clz_i32_u32_e32 v11, v10
	v_min_u32_e32 v11, 32, v11
	s_delay_alu instid0(VALU_DEP_1) | instskip(SKIP_1) | instid1(VALU_DEP_2)
	v_subrev_nc_u32_e32 v12, 28, v11
	v_sub_nc_u32_e32 v11, 29, v11
	v_lshlrev_b32_e32 v12, v12, v1
	v_bfe_u32 v1, v1, 3, 4
	s_delay_alu instid0(VALU_DEP_2) | instskip(NEXT) | instid1(VALU_DEP_2)
	v_and_b32_e32 v12, 7, v12
	v_cmp_eq_u32_e32 vcc_lo, 0, v1
	s_delay_alu instid0(VALU_DEP_2) | instskip(NEXT) | instid1(VALU_DEP_1)
	v_dual_cndmask_b32 v1, v1, v11 :: v_dual_cndmask_b32 v10, v10, v12
	v_lshl_add_u32 v1, v1, 23, 0x3b800000
	s_delay_alu instid0(VALU_DEP_2) | instskip(NEXT) | instid1(VALU_DEP_1)
	v_lshlrev_b32_e32 v10, 20, v10
	v_or3_b32 v1, v2, v1, v10
	s_delay_alu instid0(VALU_DEP_1) | instskip(NEXT) | instid1(VALU_DEP_1)
	v_trunc_f32_e32 v1, v1
	v_mul_f32_e64 v2, 0x2f800000, |v1|
	s_delay_alu instid0(VALU_DEP_1) | instskip(NEXT) | instid1(VALU_DEP_1)
	v_floor_f32_e32 v2, v2
	v_fma_f32 v2, 0xcf800000, v2, |v1|
	v_ashrrev_i32_e32 v1, 31, v1
	s_delay_alu instid0(VALU_DEP_2) | instskip(NEXT) | instid1(VALU_DEP_1)
	v_cvt_u32_f32_e32 v2, v2
	v_xor_b32_e32 v2, v2, v1
	s_delay_alu instid0(VALU_DEP_1)
	v_sub_nc_u32_e32 v1, v2, v1
.LBB14_1480:
	s_or_b32 exec_lo, exec_lo, s6
.LBB14_1481:
	s_mov_b32 s6, -1
.LBB14_1482:
	s_mov_b32 s7, 0
.LBB14_1483:
	s_delay_alu instid0(SALU_CYCLE_1)
	s_and_b32 vcc_lo, exec_lo, s7
	s_cbranch_vccz .LBB14_1514
; %bb.1484:
	v_cmp_lt_i16_e32 vcc_lo, 22, v9
	s_cbranch_vccz .LBB14_1492
; %bb.1485:
	v_cmp_gt_i16_e32 vcc_lo, 24, v9
	s_cbranch_vccnz .LBB14_1495
; %bb.1486:
	v_cmp_lt_i16_e32 vcc_lo, 24, v9
	s_cbranch_vccz .LBB14_1496
; %bb.1487:
	global_load_u8 v2, v[5:6], off
	s_mov_b32 s6, 0
	s_mov_b32 s3, exec_lo
                                        ; implicit-def: $sgpr7
	s_waitcnt vmcnt(0)
	v_cmpx_lt_i16_e32 0x7f, v2
	s_xor_b32 s3, exec_lo, s3
	s_cbranch_execz .LBB14_1508
; %bb.1488:
	v_cmp_ne_u16_e32 vcc_lo, 0x80, v2
	s_mov_b32 s7, 0
	s_and_b32 s6, vcc_lo, exec_lo
	s_or_saveexec_b32 s3, s3
	v_mov_b32_e32 v1, s7
	s_xor_b32 exec_lo, exec_lo, s3
	s_cbranch_execnz .LBB14_1509
.LBB14_1489:
	s_or_b32 exec_lo, exec_lo, s3
	s_and_saveexec_b32 s3, s6
	s_cbranch_execz .LBB14_1491
.LBB14_1490:
	v_and_b32_e32 v1, 0xffff, v2
	v_lshlrev_b32_e32 v2, 24, v2
	s_delay_alu instid0(VALU_DEP_2) | instskip(NEXT) | instid1(VALU_DEP_2)
	v_and_b32_e32 v10, 3, v1
	v_and_b32_e32 v2, 0x80000000, v2
	s_delay_alu instid0(VALU_DEP_2) | instskip(NEXT) | instid1(VALU_DEP_1)
	v_clz_i32_u32_e32 v11, v10
	v_min_u32_e32 v11, 32, v11
	s_delay_alu instid0(VALU_DEP_1) | instskip(SKIP_1) | instid1(VALU_DEP_2)
	v_subrev_nc_u32_e32 v12, 29, v11
	v_sub_nc_u32_e32 v11, 30, v11
	v_lshlrev_b32_e32 v12, v12, v1
	v_bfe_u32 v1, v1, 2, 5
	s_delay_alu instid0(VALU_DEP_2) | instskip(NEXT) | instid1(VALU_DEP_2)
	v_and_b32_e32 v12, 3, v12
	v_cmp_eq_u32_e32 vcc_lo, 0, v1
	s_delay_alu instid0(VALU_DEP_2) | instskip(NEXT) | instid1(VALU_DEP_1)
	v_dual_cndmask_b32 v1, v1, v11 :: v_dual_cndmask_b32 v10, v10, v12
	v_lshl_add_u32 v1, v1, 23, 0x37800000
	s_delay_alu instid0(VALU_DEP_2) | instskip(NEXT) | instid1(VALU_DEP_1)
	v_lshlrev_b32_e32 v10, 21, v10
	v_or3_b32 v1, v2, v1, v10
	s_delay_alu instid0(VALU_DEP_1) | instskip(NEXT) | instid1(VALU_DEP_1)
	v_trunc_f32_e32 v1, v1
	v_mul_f32_e64 v2, 0x2f800000, |v1|
	s_delay_alu instid0(VALU_DEP_1) | instskip(NEXT) | instid1(VALU_DEP_1)
	v_floor_f32_e32 v2, v2
	v_fma_f32 v2, 0xcf800000, v2, |v1|
	v_ashrrev_i32_e32 v1, 31, v1
	s_delay_alu instid0(VALU_DEP_2) | instskip(NEXT) | instid1(VALU_DEP_1)
	v_cvt_u32_f32_e32 v2, v2
	v_xor_b32_e32 v2, v2, v1
	s_delay_alu instid0(VALU_DEP_1)
	v_sub_nc_u32_e32 v1, v2, v1
.LBB14_1491:
	s_or_b32 exec_lo, exec_lo, s3
	s_mov_b32 s3, 0
	s_branch .LBB14_1497
.LBB14_1492:
	s_mov_b32 s3, -1
                                        ; implicit-def: $vgpr1
	s_branch .LBB14_1503
.LBB14_1493:
	s_or_saveexec_b32 s6, s6
	v_mov_b32_e32 v1, s10
	s_xor_b32 exec_lo, exec_lo, s6
	s_cbranch_execz .LBB14_1478
.LBB14_1494:
	v_cmp_ne_u16_e32 vcc_lo, 0, v2
	v_mov_b32_e32 v1, 0
	s_and_not1_b32 s7, s7, exec_lo
	s_and_b32 s10, vcc_lo, exec_lo
	s_delay_alu instid0(SALU_CYCLE_1)
	s_or_b32 s7, s7, s10
	s_or_b32 exec_lo, exec_lo, s6
	s_and_saveexec_b32 s6, s7
	s_cbranch_execnz .LBB14_1479
	s_branch .LBB14_1480
.LBB14_1495:
	s_mov_b32 s3, -1
                                        ; implicit-def: $vgpr1
	s_branch .LBB14_1500
.LBB14_1496:
	s_mov_b32 s3, -1
                                        ; implicit-def: $vgpr1
.LBB14_1497:
	s_delay_alu instid0(SALU_CYCLE_1)
	s_and_b32 vcc_lo, exec_lo, s3
	s_cbranch_vccz .LBB14_1499
; %bb.1498:
	global_load_u8 v1, v[5:6], off
	s_waitcnt vmcnt(0)
	v_lshlrev_b32_e32 v1, 24, v1
	s_delay_alu instid0(VALU_DEP_1) | instskip(NEXT) | instid1(VALU_DEP_1)
	v_and_b32_e32 v2, 0x7f000000, v1
	v_clz_i32_u32_e32 v10, v2
	v_add_nc_u32_e32 v12, 0x1000000, v2
	v_cmp_ne_u32_e32 vcc_lo, 0, v2
	s_delay_alu instid0(VALU_DEP_3) | instskip(NEXT) | instid1(VALU_DEP_1)
	v_min_u32_e32 v10, 32, v10
	v_sub_nc_u32_e64 v10, v10, 4 clamp
	s_delay_alu instid0(VALU_DEP_1) | instskip(SKIP_1) | instid1(VALU_DEP_2)
	v_lshlrev_b32_e32 v11, v10, v2
	v_lshlrev_b32_e32 v10, 23, v10
	v_lshrrev_b32_e32 v11, 4, v11
	s_delay_alu instid0(VALU_DEP_1) | instskip(SKIP_1) | instid1(VALU_DEP_2)
	v_sub_nc_u32_e32 v10, v11, v10
	v_ashrrev_i32_e32 v11, 8, v12
	v_add_nc_u32_e32 v10, 0x3c000000, v10
	s_delay_alu instid0(VALU_DEP_1) | instskip(NEXT) | instid1(VALU_DEP_1)
	v_and_or_b32 v10, 0x7f800000, v11, v10
	v_cndmask_b32_e32 v2, 0, v10, vcc_lo
	s_delay_alu instid0(VALU_DEP_1) | instskip(NEXT) | instid1(VALU_DEP_1)
	v_and_or_b32 v1, 0x80000000, v1, v2
	v_trunc_f32_e32 v1, v1
	s_delay_alu instid0(VALU_DEP_1) | instskip(NEXT) | instid1(VALU_DEP_1)
	v_mul_f32_e64 v2, 0x2f800000, |v1|
	v_floor_f32_e32 v2, v2
	s_delay_alu instid0(VALU_DEP_1) | instskip(SKIP_1) | instid1(VALU_DEP_2)
	v_fma_f32 v2, 0xcf800000, v2, |v1|
	v_ashrrev_i32_e32 v1, 31, v1
	v_cvt_u32_f32_e32 v2, v2
	s_delay_alu instid0(VALU_DEP_1) | instskip(NEXT) | instid1(VALU_DEP_1)
	v_xor_b32_e32 v2, v2, v1
	v_sub_nc_u32_e32 v1, v2, v1
.LBB14_1499:
	s_mov_b32 s3, 0
.LBB14_1500:
	s_delay_alu instid0(SALU_CYCLE_1)
	s_and_not1_b32 vcc_lo, exec_lo, s3
	s_cbranch_vccnz .LBB14_1502
; %bb.1501:
	global_load_u8 v1, v[5:6], off
	s_waitcnt vmcnt(0)
	v_lshlrev_b32_e32 v2, 25, v1
	v_lshlrev_b16 v1, 8, v1
	s_delay_alu instid0(VALU_DEP_1) | instskip(SKIP_1) | instid1(VALU_DEP_2)
	v_and_or_b32 v11, 0x7f00, v1, 0.5
	v_bfe_i32 v1, v1, 0, 16
	v_add_f32_e32 v11, -0.5, v11
	v_lshrrev_b32_e32 v10, 4, v2
	v_cmp_gt_u32_e32 vcc_lo, 0x8000000, v2
	s_delay_alu instid0(VALU_DEP_2) | instskip(NEXT) | instid1(VALU_DEP_1)
	v_or_b32_e32 v10, 0x70000000, v10
	v_mul_f32_e32 v10, 0x7800000, v10
	s_delay_alu instid0(VALU_DEP_1) | instskip(NEXT) | instid1(VALU_DEP_1)
	v_cndmask_b32_e32 v2, v10, v11, vcc_lo
	v_and_or_b32 v1, 0x80000000, v1, v2
	s_delay_alu instid0(VALU_DEP_1) | instskip(NEXT) | instid1(VALU_DEP_1)
	v_trunc_f32_e32 v1, v1
	v_mul_f32_e64 v2, 0x2f800000, |v1|
	s_delay_alu instid0(VALU_DEP_1) | instskip(NEXT) | instid1(VALU_DEP_1)
	v_floor_f32_e32 v2, v2
	v_fma_f32 v2, 0xcf800000, v2, |v1|
	v_ashrrev_i32_e32 v1, 31, v1
	s_delay_alu instid0(VALU_DEP_2) | instskip(NEXT) | instid1(VALU_DEP_1)
	v_cvt_u32_f32_e32 v2, v2
	v_xor_b32_e32 v2, v2, v1
	s_delay_alu instid0(VALU_DEP_1)
	v_sub_nc_u32_e32 v1, v2, v1
.LBB14_1502:
	s_mov_b32 s3, 0
	s_mov_b32 s6, -1
.LBB14_1503:
	s_and_not1_b32 vcc_lo, exec_lo, s3
	s_mov_b32 s3, 0
	s_cbranch_vccnz .LBB14_1514
; %bb.1504:
	v_cmp_lt_i16_e32 vcc_lo, 14, v9
	s_cbranch_vccz .LBB14_1507
; %bb.1505:
	v_cmp_eq_u16_e32 vcc_lo, 15, v9
	s_cbranch_vccz .LBB14_1510
; %bb.1506:
	global_load_u16 v1, v[5:6], off
	s_mov_b32 s0, 0
	s_mov_b32 s6, -1
	s_waitcnt vmcnt(0)
	v_lshlrev_b32_e32 v1, 16, v1
	s_delay_alu instid0(VALU_DEP_1) | instskip(NEXT) | instid1(VALU_DEP_1)
	v_trunc_f32_e32 v1, v1
	v_mul_f32_e64 v2, 0x2f800000, |v1|
	s_delay_alu instid0(VALU_DEP_1) | instskip(NEXT) | instid1(VALU_DEP_1)
	v_floor_f32_e32 v2, v2
	v_fma_f32 v2, 0xcf800000, v2, |v1|
	v_ashrrev_i32_e32 v1, 31, v1
	s_delay_alu instid0(VALU_DEP_2) | instskip(NEXT) | instid1(VALU_DEP_1)
	v_cvt_u32_f32_e32 v2, v2
	v_xor_b32_e32 v2, v2, v1
	s_delay_alu instid0(VALU_DEP_1)
	v_sub_nc_u32_e32 v1, v2, v1
	s_branch .LBB14_1512
.LBB14_1507:
	s_mov_b32 s3, -1
	s_branch .LBB14_1511
.LBB14_1508:
	s_or_saveexec_b32 s3, s3
	v_mov_b32_e32 v1, s7
	s_xor_b32 exec_lo, exec_lo, s3
	s_cbranch_execz .LBB14_1489
.LBB14_1509:
	v_cmp_ne_u16_e32 vcc_lo, 0, v2
	v_mov_b32_e32 v1, 0
	s_and_not1_b32 s6, s6, exec_lo
	s_and_b32 s7, vcc_lo, exec_lo
	s_delay_alu instid0(SALU_CYCLE_1)
	s_or_b32 s6, s6, s7
	s_or_b32 exec_lo, exec_lo, s3
	s_and_saveexec_b32 s3, s6
	s_cbranch_execnz .LBB14_1490
	s_branch .LBB14_1491
.LBB14_1510:
	s_mov_b32 s0, -1
.LBB14_1511:
                                        ; implicit-def: $vgpr1
.LBB14_1512:
	s_and_b32 vcc_lo, exec_lo, s3
	s_mov_b32 s3, 0
	s_cbranch_vccz .LBB14_1514
; %bb.1513:
	v_cmp_ne_u16_e64 s0, 11, v9
	s_mov_b32 s3, -1
                                        ; implicit-def: $vgpr1
.LBB14_1514:
	s_delay_alu instid0(VALU_DEP_1)
	s_and_b32 vcc_lo, exec_lo, s0
	s_cbranch_vccnz .LBB14_1999
; %bb.1515:
	s_and_not1_b32 vcc_lo, exec_lo, s3
	s_cbranch_vccnz .LBB14_1517
.LBB14_1516:
	global_load_u8 v1, v[5:6], off
	s_mov_b32 s6, -1
	s_waitcnt vmcnt(0)
	v_cmp_ne_u16_e32 vcc_lo, 0, v1
	v_cndmask_b32_e64 v1, 0, 1, vcc_lo
.LBB14_1517:
	s_mov_b32 s0, 0
.LBB14_1518:
	s_delay_alu instid0(SALU_CYCLE_1)
	s_and_b32 vcc_lo, exec_lo, s0
	s_cbranch_vccz .LBB14_1567
; %bb.1519:
	v_cmp_gt_i16_e32 vcc_lo, 5, v9
	s_cbranch_vccnz .LBB14_1524
; %bb.1520:
	v_cmp_gt_i16_e32 vcc_lo, 8, v9
	s_cbranch_vccnz .LBB14_1525
	;; [unrolled: 3-line block ×3, first 2 shown]
; %bb.1522:
	v_cmp_lt_i16_e32 vcc_lo, 9, v9
	s_cbranch_vccz .LBB14_1527
; %bb.1523:
	global_load_b64 v[1:2], v[5:6], off
	s_mov_b32 s0, 0
	s_waitcnt vmcnt(0)
	v_trunc_f64_e32 v[1:2], v[1:2]
	s_delay_alu instid0(VALU_DEP_1) | instskip(NEXT) | instid1(VALU_DEP_1)
	v_ldexp_f64 v[10:11], v[1:2], 0xffffffe0
	v_floor_f64_e32 v[10:11], v[10:11]
	s_delay_alu instid0(VALU_DEP_1) | instskip(NEXT) | instid1(VALU_DEP_1)
	v_fma_f64 v[1:2], 0xc1f00000, v[10:11], v[1:2]
	v_cvt_u32_f64_e32 v1, v[1:2]
	s_branch .LBB14_1528
.LBB14_1524:
	s_mov_b32 s0, -1
                                        ; implicit-def: $vgpr1
	s_branch .LBB14_1546
.LBB14_1525:
	s_mov_b32 s0, -1
                                        ; implicit-def: $vgpr1
	s_branch .LBB14_1534
.LBB14_1526:
	s_mov_b32 s0, -1
                                        ; implicit-def: $vgpr1
	s_branch .LBB14_1531
.LBB14_1527:
	s_mov_b32 s0, -1
                                        ; implicit-def: $vgpr1
.LBB14_1528:
	s_delay_alu instid0(SALU_CYCLE_1)
	s_and_not1_b32 vcc_lo, exec_lo, s0
	s_cbranch_vccnz .LBB14_1530
; %bb.1529:
	global_load_b32 v1, v[5:6], off
	s_waitcnt vmcnt(0)
	v_trunc_f32_e32 v1, v1
	s_delay_alu instid0(VALU_DEP_1) | instskip(NEXT) | instid1(VALU_DEP_1)
	v_mul_f32_e64 v2, 0x2f800000, |v1|
	v_floor_f32_e32 v2, v2
	s_delay_alu instid0(VALU_DEP_1) | instskip(SKIP_1) | instid1(VALU_DEP_2)
	v_fma_f32 v2, 0xcf800000, v2, |v1|
	v_ashrrev_i32_e32 v1, 31, v1
	v_cvt_u32_f32_e32 v2, v2
	s_delay_alu instid0(VALU_DEP_1) | instskip(NEXT) | instid1(VALU_DEP_1)
	v_xor_b32_e32 v2, v2, v1
	v_sub_nc_u32_e32 v1, v2, v1
.LBB14_1530:
	s_mov_b32 s0, 0
.LBB14_1531:
	s_delay_alu instid0(SALU_CYCLE_1)
	s_and_not1_b32 vcc_lo, exec_lo, s0
	s_cbranch_vccnz .LBB14_1533
; %bb.1532:
	global_load_b32 v1, v[5:6], off
	s_waitcnt vmcnt(0)
	v_cvt_f32_f16_e32 v1, v1
	s_delay_alu instid0(VALU_DEP_1)
	v_cvt_i32_f32_e32 v1, v1
.LBB14_1533:
	s_mov_b32 s0, 0
.LBB14_1534:
	s_delay_alu instid0(SALU_CYCLE_1)
	s_and_not1_b32 vcc_lo, exec_lo, s0
	s_cbranch_vccnz .LBB14_1545
; %bb.1535:
	v_cmp_gt_i16_e32 vcc_lo, 6, v9
	s_cbranch_vccnz .LBB14_1538
; %bb.1536:
	v_cmp_lt_i16_e32 vcc_lo, 6, v9
	s_cbranch_vccz .LBB14_1539
; %bb.1537:
	global_load_b64 v[1:2], v[5:6], off
	s_mov_b32 s0, 0
	s_waitcnt vmcnt(0)
	v_trunc_f64_e32 v[1:2], v[1:2]
	s_delay_alu instid0(VALU_DEP_1) | instskip(NEXT) | instid1(VALU_DEP_1)
	v_ldexp_f64 v[10:11], v[1:2], 0xffffffe0
	v_floor_f64_e32 v[10:11], v[10:11]
	s_delay_alu instid0(VALU_DEP_1) | instskip(NEXT) | instid1(VALU_DEP_1)
	v_fma_f64 v[1:2], 0xc1f00000, v[10:11], v[1:2]
	v_cvt_u32_f64_e32 v1, v[1:2]
	s_branch .LBB14_1540
.LBB14_1538:
	s_mov_b32 s0, -1
                                        ; implicit-def: $vgpr1
	s_branch .LBB14_1543
.LBB14_1539:
	s_mov_b32 s0, -1
                                        ; implicit-def: $vgpr1
.LBB14_1540:
	s_delay_alu instid0(SALU_CYCLE_1)
	s_and_not1_b32 vcc_lo, exec_lo, s0
	s_cbranch_vccnz .LBB14_1542
; %bb.1541:
	global_load_b32 v1, v[5:6], off
	s_waitcnt vmcnt(0)
	v_trunc_f32_e32 v1, v1
	s_delay_alu instid0(VALU_DEP_1) | instskip(NEXT) | instid1(VALU_DEP_1)
	v_mul_f32_e64 v2, 0x2f800000, |v1|
	v_floor_f32_e32 v2, v2
	s_delay_alu instid0(VALU_DEP_1) | instskip(SKIP_1) | instid1(VALU_DEP_2)
	v_fma_f32 v2, 0xcf800000, v2, |v1|
	v_ashrrev_i32_e32 v1, 31, v1
	v_cvt_u32_f32_e32 v2, v2
	s_delay_alu instid0(VALU_DEP_1) | instskip(NEXT) | instid1(VALU_DEP_1)
	v_xor_b32_e32 v2, v2, v1
	v_sub_nc_u32_e32 v1, v2, v1
.LBB14_1542:
	s_mov_b32 s0, 0
.LBB14_1543:
	s_delay_alu instid0(SALU_CYCLE_1)
	s_and_not1_b32 vcc_lo, exec_lo, s0
	s_cbranch_vccnz .LBB14_1545
; %bb.1544:
	global_load_u16 v1, v[5:6], off
	s_waitcnt vmcnt(0)
	v_cvt_f32_f16_e32 v1, v1
	s_delay_alu instid0(VALU_DEP_1)
	v_cvt_i32_f32_e32 v1, v1
.LBB14_1545:
	s_mov_b32 s0, 0
.LBB14_1546:
	s_delay_alu instid0(SALU_CYCLE_1)
	s_and_not1_b32 vcc_lo, exec_lo, s0
	s_cbranch_vccnz .LBB14_1566
; %bb.1547:
	v_cmp_gt_i16_e32 vcc_lo, 2, v9
	s_cbranch_vccnz .LBB14_1551
; %bb.1548:
	v_cmp_gt_i16_e32 vcc_lo, 3, v9
	s_cbranch_vccnz .LBB14_1552
; %bb.1549:
	v_cmp_lt_i16_e32 vcc_lo, 3, v9
	s_cbranch_vccz .LBB14_1553
; %bb.1550:
	global_load_b64 v[1:2], v[5:6], off
	s_mov_b32 s0, 0
	s_branch .LBB14_1554
.LBB14_1551:
	s_mov_b32 s0, -1
                                        ; implicit-def: $vgpr1
	s_branch .LBB14_1560
.LBB14_1552:
	s_mov_b32 s0, -1
                                        ; implicit-def: $vgpr1
	s_branch .LBB14_1557
.LBB14_1553:
	s_mov_b32 s0, -1
                                        ; implicit-def: $vgpr1
.LBB14_1554:
	s_delay_alu instid0(SALU_CYCLE_1)
	s_and_not1_b32 vcc_lo, exec_lo, s0
	s_cbranch_vccnz .LBB14_1556
; %bb.1555:
	global_load_b32 v1, v[5:6], off
.LBB14_1556:
	s_mov_b32 s0, 0
.LBB14_1557:
	s_delay_alu instid0(SALU_CYCLE_1)
	s_and_not1_b32 vcc_lo, exec_lo, s0
	s_cbranch_vccnz .LBB14_1559
; %bb.1558:
	global_load_u16 v1, v[5:6], off
.LBB14_1559:
	s_mov_b32 s0, 0
.LBB14_1560:
	s_delay_alu instid0(SALU_CYCLE_1)
	s_and_not1_b32 vcc_lo, exec_lo, s0
	s_cbranch_vccnz .LBB14_1566
; %bb.1561:
	v_cmp_lt_i16_e32 vcc_lo, 0, v9
	s_mov_b32 s0, 0
	s_cbranch_vccz .LBB14_1563
; %bb.1562:
	global_load_u8 v1, v[5:6], off
	s_branch .LBB14_1564
.LBB14_1563:
	s_mov_b32 s0, -1
                                        ; implicit-def: $vgpr1
.LBB14_1564:
	s_delay_alu instid0(SALU_CYCLE_1)
	s_and_not1_b32 vcc_lo, exec_lo, s0
	s_cbranch_vccnz .LBB14_1566
; %bb.1565:
	global_load_u8 v1, v[5:6], off
.LBB14_1566:
	s_mov_b32 s6, -1
.LBB14_1567:
	s_delay_alu instid0(SALU_CYCLE_1)
	s_and_not1_b32 vcc_lo, exec_lo, s6
	s_cbranch_vccnz .LBB14_1998
; %bb.1568:
	s_waitcnt vmcnt(0)
	v_mul_lo_u32 v2, s2, v8
	v_and_b32_e32 v10, 0xff, v7
	v_xor_b32_e32 v7, -1, v0
	s_mov_b32 s3, -1
	s_mov_b32 s6, 0
	s_delay_alu instid0(VALU_DEP_2) | instskip(NEXT) | instid1(VALU_DEP_4)
	v_cmp_gt_i16_e32 vcc_lo, 11, v10
	v_ashrrev_i32_e32 v6, 31, v2
	v_add_co_u32 v5, s0, s4, v2
	s_delay_alu instid0(VALU_DEP_1)
	v_add_co_ci_u32_e64 v6, s0, s5, v6, s0
	s_cbranch_vccnz .LBB14_1646
; %bb.1569:
	v_cmp_lt_i16_e32 vcc_lo, 25, v10
	s_mov_b32 s7, -1
	s_mov_b32 s3, 0
	s_mov_b32 s0, 0
	s_cbranch_vccz .LBB14_1602
; %bb.1570:
	v_cmp_lt_i16_e32 vcc_lo, 28, v10
	s_cbranch_vccz .LBB14_1585
; %bb.1571:
	v_cmp_lt_i16_e32 vcc_lo, 43, v10
	;; [unrolled: 3-line block ×3, first 2 shown]
	s_cbranch_vccz .LBB14_1575
; %bb.1573:
	v_cmp_eq_u16_e32 vcc_lo, 46, v10
	s_mov_b32 s0, -1
	s_mov_b32 s7, 0
	s_cbranch_vccz .LBB14_1575
; %bb.1574:
	v_cvt_f32_ubyte0_e32 v8, v7
	s_mov_b32 s0, 0
	s_mov_b32 s6, -1
	s_delay_alu instid0(VALU_DEP_1) | instskip(NEXT) | instid1(VALU_DEP_1)
	v_bfe_u32 v9, v8, 16, 1
	v_add3_u32 v8, v8, v9, 0x7fff
	s_delay_alu instid0(VALU_DEP_1)
	v_lshrrev_b32_e32 v8, 16, v8
	global_store_b32 v[5:6], v8, off
.LBB14_1575:
	s_and_b32 vcc_lo, exec_lo, s7
	s_cbranch_vccz .LBB14_1580
; %bb.1576:
	v_cmp_eq_u16_e32 vcc_lo, 44, v10
	s_mov_b32 s0, -1
	s_cbranch_vccz .LBB14_1580
; %bb.1577:
	v_cvt_f32_ubyte0_e32 v11, v7
	v_mov_b32_e32 v9, 0xff
	s_mov_b32 s6, exec_lo
	s_delay_alu instid0(VALU_DEP_2) | instskip(NEXT) | instid1(VALU_DEP_1)
	v_lshrrev_b32_e32 v8, 23, v11
	v_cmpx_ne_u32_e32 0xff, v8
; %bb.1578:
	v_and_b32_e32 v9, 0x400000, v11
	v_and_or_b32 v11, 0x3fffff, v11, v8
	s_delay_alu instid0(VALU_DEP_2) | instskip(NEXT) | instid1(VALU_DEP_2)
	v_cmp_ne_u32_e32 vcc_lo, 0, v9
	v_cmp_ne_u32_e64 s0, 0, v11
	s_delay_alu instid0(VALU_DEP_1) | instskip(NEXT) | instid1(SALU_CYCLE_1)
	s_and_b32 s0, vcc_lo, s0
	v_cndmask_b32_e64 v9, 0, 1, s0
	s_delay_alu instid0(VALU_DEP_1)
	v_add_nc_u32_e32 v9, v8, v9
; %bb.1579:
	s_or_b32 exec_lo, exec_lo, s6
	s_mov_b32 s0, 0
	s_mov_b32 s6, -1
	global_store_b8 v[5:6], v9, off
.LBB14_1580:
	s_mov_b32 s7, 0
.LBB14_1581:
	s_delay_alu instid0(SALU_CYCLE_1)
	s_and_b32 vcc_lo, exec_lo, s7
	s_cbranch_vccz .LBB14_1584
; %bb.1582:
	v_cmp_eq_u16_e32 vcc_lo, 29, v10
	s_mov_b32 s0, -1
	s_cbranch_vccz .LBB14_1584
; %bb.1583:
	v_dual_mov_b32 v9, 0 :: v_dual_and_b32 v8, 0xff, v7
	s_mov_b32 s0, 0
	s_mov_b32 s6, -1
	global_store_b64 v[5:6], v[8:9], off
.LBB14_1584:
	s_mov_b32 s7, 0
.LBB14_1585:
	s_delay_alu instid0(SALU_CYCLE_1)
	s_and_b32 vcc_lo, exec_lo, s7
	s_cbranch_vccz .LBB14_1601
; %bb.1586:
	v_cmp_gt_i16_e32 vcc_lo, 27, v10
	s_mov_b32 s6, -1
	s_cbranch_vccnz .LBB14_1592
; %bb.1587:
	v_cmp_lt_i16_e32 vcc_lo, 27, v10
	s_cbranch_vccz .LBB14_1589
; %bb.1588:
	v_and_b32_e32 v8, 0xff, v7
	s_mov_b32 s6, 0
	global_store_b32 v[5:6], v8, off
.LBB14_1589:
	s_and_not1_b32 vcc_lo, exec_lo, s6
	s_cbranch_vccnz .LBB14_1591
; %bb.1590:
	v_and_b32_e32 v8, 0xff, v7
	global_store_b16 v[5:6], v8, off
.LBB14_1591:
	s_mov_b32 s6, 0
.LBB14_1592:
	s_delay_alu instid0(SALU_CYCLE_1)
	s_and_not1_b32 vcc_lo, exec_lo, s6
	s_cbranch_vccnz .LBB14_1600
; %bb.1593:
	v_cvt_f32_ubyte0_e32 v9, v7
	v_mov_b32_e32 v11, 0x80
	s_mov_b32 s6, exec_lo
	s_delay_alu instid0(VALU_DEP_2)
	v_cmpx_gt_u32_e32 0x43800000, v9
	s_cbranch_execz .LBB14_1599
; %bb.1594:
	s_mov_b32 s7, 0
	s_mov_b32 s10, exec_lo
                                        ; implicit-def: $vgpr8
	v_cmpx_lt_u32_e32 0x3bffffff, v9
	s_xor_b32 s10, exec_lo, s10
	s_cbranch_execz .LBB14_2001
; %bb.1595:
	v_bfe_u32 v8, v9, 20, 1
	s_mov_b32 s7, exec_lo
	s_delay_alu instid0(VALU_DEP_1) | instskip(NEXT) | instid1(VALU_DEP_1)
	v_add3_u32 v8, v9, v8, 0x487ffff
                                        ; implicit-def: $vgpr9
	v_lshrrev_b32_e32 v8, 20, v8
	s_or_saveexec_b32 s10, s10
                                        ; implicit-def: $sgpr11
	s_delay_alu instid0(SALU_CYCLE_1)
	s_xor_b32 exec_lo, exec_lo, s10
	s_cbranch_execnz .LBB14_2002
.LBB14_1596:
	s_or_b32 exec_lo, exec_lo, s10
	v_mov_b32_e32 v11, s11
	s_and_saveexec_b32 s10, s7
.LBB14_1597:
	v_mov_b32_e32 v11, v8
.LBB14_1598:
	s_or_b32 exec_lo, exec_lo, s10
.LBB14_1599:
	s_delay_alu instid0(SALU_CYCLE_1)
	s_or_b32 exec_lo, exec_lo, s6
	global_store_b8 v[5:6], v11, off
.LBB14_1600:
	s_mov_b32 s6, -1
.LBB14_1601:
	s_mov_b32 s7, 0
.LBB14_1602:
	s_delay_alu instid0(SALU_CYCLE_1)
	s_and_b32 vcc_lo, exec_lo, s7
	s_cbranch_vccz .LBB14_1642
; %bb.1603:
	v_cmp_lt_i16_e32 vcc_lo, 22, v10
	s_mov_b32 s3, -1
	s_cbranch_vccz .LBB14_1635
; %bb.1604:
	v_cmp_gt_i16_e32 vcc_lo, 24, v10
	s_cbranch_vccnz .LBB14_1624
; %bb.1605:
	v_cmp_lt_i16_e32 vcc_lo, 24, v10
	s_cbranch_vccz .LBB14_1613
; %bb.1606:
	v_cvt_f32_ubyte0_e32 v9, v7
	v_mov_b32_e32 v11, 0x80
	s_mov_b32 s3, exec_lo
	s_delay_alu instid0(VALU_DEP_2)
	v_cmpx_gt_u32_e32 0x47800000, v9
	s_cbranch_execz .LBB14_1612
; %bb.1607:
	s_mov_b32 s6, 0
	s_mov_b32 s7, exec_lo
                                        ; implicit-def: $vgpr8
	v_cmpx_lt_u32_e32 0x37ffffff, v9
	s_xor_b32 s7, exec_lo, s7
	s_cbranch_execz .LBB14_2007
; %bb.1608:
	v_bfe_u32 v8, v9, 21, 1
	s_mov_b32 s6, exec_lo
	s_delay_alu instid0(VALU_DEP_1) | instskip(NEXT) | instid1(VALU_DEP_1)
	v_add3_u32 v8, v9, v8, 0x88fffff
                                        ; implicit-def: $vgpr9
	v_lshrrev_b32_e32 v8, 21, v8
	s_or_saveexec_b32 s7, s7
                                        ; implicit-def: $sgpr10
	s_delay_alu instid0(SALU_CYCLE_1)
	s_xor_b32 exec_lo, exec_lo, s7
	s_cbranch_execnz .LBB14_2008
.LBB14_1609:
	s_or_b32 exec_lo, exec_lo, s7
	v_mov_b32_e32 v11, s10
	s_and_saveexec_b32 s7, s6
.LBB14_1610:
	v_mov_b32_e32 v11, v8
.LBB14_1611:
	s_or_b32 exec_lo, exec_lo, s7
.LBB14_1612:
	s_delay_alu instid0(SALU_CYCLE_1)
	s_or_b32 exec_lo, exec_lo, s3
	s_mov_b32 s3, 0
	global_store_b8 v[5:6], v11, off
.LBB14_1613:
	s_and_b32 vcc_lo, exec_lo, s3
	s_cbranch_vccz .LBB14_1623
; %bb.1614:
	v_cvt_f32_ubyte0_e32 v9, v7
	s_mov_b32 s3, exec_lo
                                        ; implicit-def: $vgpr8
	s_delay_alu instid0(VALU_DEP_1)
	v_cmpx_gt_u32_e32 0x43f00000, v9
	s_xor_b32 s3, exec_lo, s3
	s_cbranch_execz .LBB14_1620
; %bb.1615:
	s_mov_b32 s6, exec_lo
                                        ; implicit-def: $vgpr8
	v_cmpx_lt_u32_e32 0x3c7fffff, v9
	s_xor_b32 s6, exec_lo, s6
; %bb.1616:
	v_bfe_u32 v8, v9, 20, 1
	s_delay_alu instid0(VALU_DEP_1) | instskip(NEXT) | instid1(VALU_DEP_1)
	v_add3_u32 v8, v9, v8, 0x407ffff
	v_and_b32_e32 v9, 0xff00000, v8
	v_lshrrev_b32_e32 v8, 20, v8
	s_delay_alu instid0(VALU_DEP_2) | instskip(NEXT) | instid1(VALU_DEP_2)
	v_cmp_ne_u32_e32 vcc_lo, 0x7f00000, v9
                                        ; implicit-def: $vgpr9
	v_cndmask_b32_e32 v8, 0x7e, v8, vcc_lo
; %bb.1617:
	s_and_not1_saveexec_b32 s6, s6
; %bb.1618:
	v_add_f32_e32 v8, 0x46800000, v9
; %bb.1619:
	s_or_b32 exec_lo, exec_lo, s6
                                        ; implicit-def: $vgpr9
.LBB14_1620:
	s_and_not1_saveexec_b32 s3, s3
; %bb.1621:
	v_mov_b32_e32 v8, 0x7f
	v_cmp_lt_u32_e32 vcc_lo, 0x7f800000, v9
	s_delay_alu instid0(VALU_DEP_2)
	v_cndmask_b32_e32 v8, 0x7e, v8, vcc_lo
; %bb.1622:
	s_or_b32 exec_lo, exec_lo, s3
	global_store_b8 v[5:6], v8, off
.LBB14_1623:
	s_mov_b32 s3, 0
.LBB14_1624:
	s_delay_alu instid0(SALU_CYCLE_1)
	s_and_not1_b32 vcc_lo, exec_lo, s3
	s_cbranch_vccnz .LBB14_1634
; %bb.1625:
	v_cvt_f32_ubyte0_e32 v9, v7
	s_mov_b32 s3, exec_lo
                                        ; implicit-def: $vgpr8
	s_delay_alu instid0(VALU_DEP_1)
	v_cmpx_gt_u32_e32 0x47800000, v9
	s_xor_b32 s3, exec_lo, s3
	s_cbranch_execz .LBB14_1631
; %bb.1626:
	s_mov_b32 s6, exec_lo
                                        ; implicit-def: $vgpr8
	v_cmpx_lt_u32_e32 0x387fffff, v9
	s_xor_b32 s6, exec_lo, s6
; %bb.1627:
	v_bfe_u32 v8, v9, 21, 1
	s_delay_alu instid0(VALU_DEP_1) | instskip(NEXT) | instid1(VALU_DEP_1)
	v_add3_u32 v8, v9, v8, 0x80fffff
                                        ; implicit-def: $vgpr9
	v_lshrrev_b32_e32 v8, 21, v8
; %bb.1628:
	s_and_not1_saveexec_b32 s6, s6
; %bb.1629:
	v_add_f32_e32 v8, 0x43000000, v9
; %bb.1630:
	s_or_b32 exec_lo, exec_lo, s6
                                        ; implicit-def: $vgpr9
.LBB14_1631:
	s_and_not1_saveexec_b32 s3, s3
; %bb.1632:
	v_mov_b32_e32 v8, 0x7f
	v_cmp_lt_u32_e32 vcc_lo, 0x7f800000, v9
	s_delay_alu instid0(VALU_DEP_2)
	v_cndmask_b32_e32 v8, 0x7c, v8, vcc_lo
; %bb.1633:
	s_or_b32 exec_lo, exec_lo, s3
	global_store_b8 v[5:6], v8, off
.LBB14_1634:
	s_mov_b32 s3, 0
	s_mov_b32 s6, -1
.LBB14_1635:
	s_and_not1_b32 vcc_lo, exec_lo, s3
	s_mov_b32 s3, 0
	s_cbranch_vccnz .LBB14_1642
; %bb.1636:
	v_cmp_lt_i16_e32 vcc_lo, 14, v10
	s_mov_b32 s3, -1
	s_cbranch_vccz .LBB14_1640
; %bb.1637:
	v_cmp_eq_u16_e32 vcc_lo, 15, v10
	s_mov_b32 s0, -1
	s_cbranch_vccz .LBB14_1639
; %bb.1638:
	v_cvt_f32_ubyte0_e32 v8, v7
	s_mov_b32 s0, 0
	s_mov_b32 s6, -1
	s_delay_alu instid0(VALU_DEP_1) | instskip(NEXT) | instid1(VALU_DEP_1)
	v_bfe_u32 v9, v8, 16, 1
	v_add3_u32 v8, v8, v9, 0x7fff
	global_store_d16_hi_b16 v[5:6], v8, off
.LBB14_1639:
	s_mov_b32 s3, 0
.LBB14_1640:
	s_delay_alu instid0(SALU_CYCLE_1)
	s_and_b32 vcc_lo, exec_lo, s3
	s_mov_b32 s3, 0
	s_cbranch_vccz .LBB14_1642
; %bb.1641:
	v_cmp_ne_u16_e64 s0, 11, v10
	s_mov_b32 s3, -1
.LBB14_1642:
	s_delay_alu instid0(VALU_DEP_1)
	s_and_b32 vcc_lo, exec_lo, s0
	s_cbranch_vccnz .LBB14_2005
; %bb.1643:
	s_and_not1_b32 vcc_lo, exec_lo, s3
	s_cbranch_vccnz .LBB14_1645
.LBB14_1644:
	v_and_b32_e32 v0, 0xff, v0
	s_mov_b32 s6, -1
	s_delay_alu instid0(VALU_DEP_1)
	v_cmp_ne_u16_e32 vcc_lo, 0xff, v0
	v_cndmask_b32_e64 v0, 0, 1, vcc_lo
	global_store_b8 v[5:6], v0, off
.LBB14_1645:
	s_mov_b32 s3, 0
.LBB14_1646:
	s_delay_alu instid0(SALU_CYCLE_1)
	s_and_b32 vcc_lo, exec_lo, s3
	s_cbranch_vccz .LBB14_1685
; %bb.1647:
	v_cmp_gt_i16_e32 vcc_lo, 5, v10
	s_mov_b32 s0, -1
	s_cbranch_vccnz .LBB14_1668
; %bb.1648:
	v_cmp_gt_i16_e32 vcc_lo, 8, v10
	s_cbranch_vccnz .LBB14_1658
; %bb.1649:
	v_cmp_gt_i16_e32 vcc_lo, 9, v10
	s_cbranch_vccnz .LBB14_1655
; %bb.1650:
	v_cmp_lt_i16_e32 vcc_lo, 9, v10
	s_cbranch_vccz .LBB14_1652
; %bb.1651:
	v_dual_mov_b32 v13, 0 :: v_dual_and_b32 v0, 0xff, v7
	s_mov_b32 s0, 0
	s_delay_alu instid0(VALU_DEP_1) | instskip(NEXT) | instid1(VALU_DEP_2)
	v_and_b32_e32 v0, 0xffff, v0
	v_mov_b32_e32 v14, v13
	s_delay_alu instid0(VALU_DEP_2)
	v_cvt_f64_u32_e32 v[11:12], v0
	global_store_b128 v[5:6], v[11:14], off
.LBB14_1652:
	s_and_not1_b32 vcc_lo, exec_lo, s0
	s_cbranch_vccnz .LBB14_1654
; %bb.1653:
	v_cvt_f32_ubyte0_e32 v8, v7
	v_mov_b32_e32 v9, 0
	global_store_b64 v[5:6], v[8:9], off
.LBB14_1654:
	s_mov_b32 s0, 0
.LBB14_1655:
	s_delay_alu instid0(SALU_CYCLE_1)
	s_and_not1_b32 vcc_lo, exec_lo, s0
	s_cbranch_vccnz .LBB14_1657
; %bb.1656:
	v_and_b32_e32 v0, 0xff, v7
	s_delay_alu instid0(VALU_DEP_1) | instskip(NEXT) | instid1(VALU_DEP_1)
	v_cvt_f16_u16_e32 v0, v0
	v_and_b32_e32 v0, 0xffff, v0
	global_store_b32 v[5:6], v0, off
.LBB14_1657:
	s_mov_b32 s0, 0
.LBB14_1658:
	s_delay_alu instid0(SALU_CYCLE_1)
	s_and_not1_b32 vcc_lo, exec_lo, s0
	s_cbranch_vccnz .LBB14_1667
; %bb.1659:
	v_cmp_gt_i16_e32 vcc_lo, 6, v10
	s_mov_b32 s0, -1
	s_cbranch_vccnz .LBB14_1665
; %bb.1660:
	v_cmp_lt_i16_e32 vcc_lo, 6, v10
	s_cbranch_vccz .LBB14_1662
; %bb.1661:
	v_and_b32_e32 v0, 0xff, v7
	s_mov_b32 s0, 0
	s_delay_alu instid0(VALU_DEP_1) | instskip(NEXT) | instid1(VALU_DEP_1)
	v_and_b32_e32 v0, 0xffff, v0
	v_cvt_f64_u32_e32 v[8:9], v0
	global_store_b64 v[5:6], v[8:9], off
.LBB14_1662:
	s_and_not1_b32 vcc_lo, exec_lo, s0
	s_cbranch_vccnz .LBB14_1664
; %bb.1663:
	v_cvt_f32_ubyte0_e32 v0, v7
	global_store_b32 v[5:6], v0, off
.LBB14_1664:
	s_mov_b32 s0, 0
.LBB14_1665:
	s_delay_alu instid0(SALU_CYCLE_1)
	s_and_not1_b32 vcc_lo, exec_lo, s0
	s_cbranch_vccnz .LBB14_1667
; %bb.1666:
	v_and_b32_e32 v0, 0xff, v7
	s_delay_alu instid0(VALU_DEP_1)
	v_cvt_f16_u16_e32 v0, v0
	global_store_b16 v[5:6], v0, off
.LBB14_1667:
	s_mov_b32 s0, 0
.LBB14_1668:
	s_delay_alu instid0(SALU_CYCLE_1)
	s_and_not1_b32 vcc_lo, exec_lo, s0
	s_cbranch_vccnz .LBB14_1684
; %bb.1669:
	v_cmp_gt_i16_e32 vcc_lo, 2, v10
	s_mov_b32 s0, -1
	s_cbranch_vccnz .LBB14_1679
; %bb.1670:
	v_cmp_gt_i16_e32 vcc_lo, 3, v10
	s_cbranch_vccnz .LBB14_1676
; %bb.1671:
	v_cmp_lt_i16_e32 vcc_lo, 3, v10
	s_cbranch_vccz .LBB14_1673
; %bb.1672:
	v_dual_mov_b32 v9, 0 :: v_dual_and_b32 v8, 0xff, v7
	s_mov_b32 s0, 0
	global_store_b64 v[5:6], v[8:9], off
.LBB14_1673:
	s_and_not1_b32 vcc_lo, exec_lo, s0
	s_cbranch_vccnz .LBB14_1675
; %bb.1674:
	v_and_b32_e32 v0, 0xff, v7
	global_store_b32 v[5:6], v0, off
.LBB14_1675:
	s_mov_b32 s0, 0
.LBB14_1676:
	s_delay_alu instid0(SALU_CYCLE_1)
	s_and_not1_b32 vcc_lo, exec_lo, s0
	s_cbranch_vccnz .LBB14_1678
; %bb.1677:
	v_and_b32_e32 v0, 0xff, v7
	global_store_b16 v[5:6], v0, off
.LBB14_1678:
	s_mov_b32 s0, 0
.LBB14_1679:
	s_delay_alu instid0(SALU_CYCLE_1)
	s_and_not1_b32 vcc_lo, exec_lo, s0
	s_cbranch_vccnz .LBB14_1684
; %bb.1680:
	v_cmp_lt_i16_e32 vcc_lo, 0, v10
	s_mov_b32 s0, -1
	s_cbranch_vccz .LBB14_1682
; %bb.1681:
	s_mov_b32 s0, 0
	global_store_b8 v[5:6], v7, off
.LBB14_1682:
	s_and_not1_b32 vcc_lo, exec_lo, s0
	s_cbranch_vccnz .LBB14_1684
; %bb.1683:
	global_store_b8 v[5:6], v7, off
.LBB14_1684:
	s_mov_b32 s6, -1
.LBB14_1685:
	s_delay_alu instid0(SALU_CYCLE_1)
	s_and_not1_b32 vcc_lo, exec_lo, s6
	s_cbranch_vccnz .LBB14_1998
; %bb.1686:
	s_lshl_b32 s2, s2, 7
	v_cmp_gt_i16_e32 vcc_lo, 11, v10
	v_add_nc_u32_e32 v0, s2, v2
	v_xor_b32_e32 v2, -1, v3
	s_mov_b32 s3, -1
	s_mov_b32 s6, 0
	s_delay_alu instid0(VALU_DEP_2) | instskip(SKIP_1) | instid1(VALU_DEP_1)
	v_ashrrev_i32_e32 v6, 31, v0
	v_add_co_u32 v5, s0, s4, v0
	v_add_co_ci_u32_e64 v6, s0, s5, v6, s0
	s_cbranch_vccnz .LBB14_1764
; %bb.1687:
	v_cmp_lt_i16_e32 vcc_lo, 25, v10
	s_mov_b32 s7, -1
	s_mov_b32 s3, 0
	s_mov_b32 s0, 0
	s_cbranch_vccz .LBB14_1720
; %bb.1688:
	v_cmp_lt_i16_e32 vcc_lo, 28, v10
	s_cbranch_vccz .LBB14_1703
; %bb.1689:
	v_cmp_lt_i16_e32 vcc_lo, 43, v10
	s_cbranch_vccz .LBB14_1699
; %bb.1690:
	v_cmp_lt_i16_e32 vcc_lo, 45, v10
	s_cbranch_vccz .LBB14_1693
; %bb.1691:
	v_cmp_eq_u16_e32 vcc_lo, 46, v10
	s_mov_b32 s0, -1
	s_mov_b32 s7, 0
	s_cbranch_vccz .LBB14_1693
; %bb.1692:
	v_cvt_f32_ubyte0_e32 v7, v2
	s_mov_b32 s0, 0
	s_mov_b32 s6, -1
	s_delay_alu instid0(VALU_DEP_1) | instskip(NEXT) | instid1(VALU_DEP_1)
	v_bfe_u32 v8, v7, 16, 1
	v_add3_u32 v7, v7, v8, 0x7fff
	s_delay_alu instid0(VALU_DEP_1)
	v_lshrrev_b32_e32 v7, 16, v7
	global_store_b32 v[5:6], v7, off
.LBB14_1693:
	s_and_b32 vcc_lo, exec_lo, s7
	s_cbranch_vccz .LBB14_1698
; %bb.1694:
	v_cmp_eq_u16_e32 vcc_lo, 44, v10
	s_mov_b32 s0, -1
	s_cbranch_vccz .LBB14_1698
; %bb.1695:
	v_cvt_f32_ubyte0_e32 v9, v2
	v_mov_b32_e32 v8, 0xff
	s_mov_b32 s6, exec_lo
	s_delay_alu instid0(VALU_DEP_2) | instskip(NEXT) | instid1(VALU_DEP_1)
	v_lshrrev_b32_e32 v7, 23, v9
	v_cmpx_ne_u32_e32 0xff, v7
; %bb.1696:
	v_and_b32_e32 v8, 0x400000, v9
	v_and_or_b32 v9, 0x3fffff, v9, v7
	s_delay_alu instid0(VALU_DEP_2) | instskip(NEXT) | instid1(VALU_DEP_2)
	v_cmp_ne_u32_e32 vcc_lo, 0, v8
	v_cmp_ne_u32_e64 s0, 0, v9
	s_delay_alu instid0(VALU_DEP_1) | instskip(NEXT) | instid1(SALU_CYCLE_1)
	s_and_b32 s0, vcc_lo, s0
	v_cndmask_b32_e64 v8, 0, 1, s0
	s_delay_alu instid0(VALU_DEP_1)
	v_add_nc_u32_e32 v8, v7, v8
; %bb.1697:
	s_or_b32 exec_lo, exec_lo, s6
	s_mov_b32 s0, 0
	s_mov_b32 s6, -1
	global_store_b8 v[5:6], v8, off
.LBB14_1698:
	s_mov_b32 s7, 0
.LBB14_1699:
	s_delay_alu instid0(SALU_CYCLE_1)
	s_and_b32 vcc_lo, exec_lo, s7
	s_cbranch_vccz .LBB14_1702
; %bb.1700:
	v_cmp_eq_u16_e32 vcc_lo, 29, v10
	s_mov_b32 s0, -1
	s_cbranch_vccz .LBB14_1702
; %bb.1701:
	v_dual_mov_b32 v8, 0 :: v_dual_and_b32 v7, 0xff, v2
	s_mov_b32 s0, 0
	s_mov_b32 s6, -1
	global_store_b64 v[5:6], v[7:8], off
.LBB14_1702:
	s_mov_b32 s7, 0
.LBB14_1703:
	s_delay_alu instid0(SALU_CYCLE_1)
	s_and_b32 vcc_lo, exec_lo, s7
	s_cbranch_vccz .LBB14_1719
; %bb.1704:
	v_cmp_gt_i16_e32 vcc_lo, 27, v10
	s_mov_b32 s6, -1
	s_cbranch_vccnz .LBB14_1710
; %bb.1705:
	v_cmp_lt_i16_e32 vcc_lo, 27, v10
	s_cbranch_vccz .LBB14_1707
; %bb.1706:
	v_and_b32_e32 v7, 0xff, v2
	s_mov_b32 s6, 0
	global_store_b32 v[5:6], v7, off
.LBB14_1707:
	s_and_not1_b32 vcc_lo, exec_lo, s6
	s_cbranch_vccnz .LBB14_1709
; %bb.1708:
	v_and_b32_e32 v7, 0xff, v2
	global_store_b16 v[5:6], v7, off
.LBB14_1709:
	s_mov_b32 s6, 0
.LBB14_1710:
	s_delay_alu instid0(SALU_CYCLE_1)
	s_and_not1_b32 vcc_lo, exec_lo, s6
	s_cbranch_vccnz .LBB14_1718
; %bb.1711:
	v_cvt_f32_ubyte0_e32 v8, v2
	v_mov_b32_e32 v9, 0x80
	s_mov_b32 s6, exec_lo
	s_delay_alu instid0(VALU_DEP_2)
	v_cmpx_gt_u32_e32 0x43800000, v8
	s_cbranch_execz .LBB14_1717
; %bb.1712:
	s_mov_b32 s7, 0
	s_mov_b32 s10, exec_lo
                                        ; implicit-def: $vgpr7
	v_cmpx_lt_u32_e32 0x3bffffff, v8
	s_xor_b32 s10, exec_lo, s10
	s_cbranch_execz .LBB14_2009
; %bb.1713:
	v_bfe_u32 v7, v8, 20, 1
	s_mov_b32 s7, exec_lo
	s_delay_alu instid0(VALU_DEP_1) | instskip(NEXT) | instid1(VALU_DEP_1)
	v_add3_u32 v7, v8, v7, 0x487ffff
                                        ; implicit-def: $vgpr8
	v_lshrrev_b32_e32 v7, 20, v7
	s_or_saveexec_b32 s10, s10
                                        ; implicit-def: $sgpr11
	s_delay_alu instid0(SALU_CYCLE_1)
	s_xor_b32 exec_lo, exec_lo, s10
	s_cbranch_execnz .LBB14_2010
.LBB14_1714:
	s_or_b32 exec_lo, exec_lo, s10
	v_mov_b32_e32 v9, s11
	s_and_saveexec_b32 s10, s7
.LBB14_1715:
	v_mov_b32_e32 v9, v7
.LBB14_1716:
	s_or_b32 exec_lo, exec_lo, s10
.LBB14_1717:
	s_delay_alu instid0(SALU_CYCLE_1)
	s_or_b32 exec_lo, exec_lo, s6
	global_store_b8 v[5:6], v9, off
.LBB14_1718:
	s_mov_b32 s6, -1
.LBB14_1719:
	s_mov_b32 s7, 0
.LBB14_1720:
	s_delay_alu instid0(SALU_CYCLE_1)
	s_and_b32 vcc_lo, exec_lo, s7
	s_cbranch_vccz .LBB14_1760
; %bb.1721:
	v_cmp_lt_i16_e32 vcc_lo, 22, v10
	s_mov_b32 s3, -1
	s_cbranch_vccz .LBB14_1753
; %bb.1722:
	v_cmp_gt_i16_e32 vcc_lo, 24, v10
	s_cbranch_vccnz .LBB14_1742
; %bb.1723:
	v_cmp_lt_i16_e32 vcc_lo, 24, v10
	s_cbranch_vccz .LBB14_1731
; %bb.1724:
	v_cvt_f32_ubyte0_e32 v8, v2
	v_mov_b32_e32 v9, 0x80
	s_mov_b32 s3, exec_lo
	s_delay_alu instid0(VALU_DEP_2)
	v_cmpx_gt_u32_e32 0x47800000, v8
	s_cbranch_execz .LBB14_1730
; %bb.1725:
	s_mov_b32 s6, 0
	s_mov_b32 s7, exec_lo
                                        ; implicit-def: $vgpr7
	v_cmpx_lt_u32_e32 0x37ffffff, v8
	s_xor_b32 s7, exec_lo, s7
	s_cbranch_execz .LBB14_2015
; %bb.1726:
	v_bfe_u32 v7, v8, 21, 1
	s_mov_b32 s6, exec_lo
	s_delay_alu instid0(VALU_DEP_1) | instskip(NEXT) | instid1(VALU_DEP_1)
	v_add3_u32 v7, v8, v7, 0x88fffff
                                        ; implicit-def: $vgpr8
	v_lshrrev_b32_e32 v7, 21, v7
	s_or_saveexec_b32 s7, s7
                                        ; implicit-def: $sgpr10
	s_delay_alu instid0(SALU_CYCLE_1)
	s_xor_b32 exec_lo, exec_lo, s7
	s_cbranch_execnz .LBB14_2016
.LBB14_1727:
	s_or_b32 exec_lo, exec_lo, s7
	v_mov_b32_e32 v9, s10
	s_and_saveexec_b32 s7, s6
.LBB14_1728:
	v_mov_b32_e32 v9, v7
.LBB14_1729:
	s_or_b32 exec_lo, exec_lo, s7
.LBB14_1730:
	s_delay_alu instid0(SALU_CYCLE_1)
	s_or_b32 exec_lo, exec_lo, s3
	s_mov_b32 s3, 0
	global_store_b8 v[5:6], v9, off
.LBB14_1731:
	s_and_b32 vcc_lo, exec_lo, s3
	s_cbranch_vccz .LBB14_1741
; %bb.1732:
	v_cvt_f32_ubyte0_e32 v8, v2
	s_mov_b32 s3, exec_lo
                                        ; implicit-def: $vgpr7
	s_delay_alu instid0(VALU_DEP_1)
	v_cmpx_gt_u32_e32 0x43f00000, v8
	s_xor_b32 s3, exec_lo, s3
	s_cbranch_execz .LBB14_1738
; %bb.1733:
	s_mov_b32 s6, exec_lo
                                        ; implicit-def: $vgpr7
	v_cmpx_lt_u32_e32 0x3c7fffff, v8
	s_xor_b32 s6, exec_lo, s6
; %bb.1734:
	v_bfe_u32 v7, v8, 20, 1
	s_delay_alu instid0(VALU_DEP_1) | instskip(NEXT) | instid1(VALU_DEP_1)
	v_add3_u32 v7, v8, v7, 0x407ffff
	v_and_b32_e32 v8, 0xff00000, v7
	v_lshrrev_b32_e32 v7, 20, v7
	s_delay_alu instid0(VALU_DEP_2) | instskip(NEXT) | instid1(VALU_DEP_2)
	v_cmp_ne_u32_e32 vcc_lo, 0x7f00000, v8
                                        ; implicit-def: $vgpr8
	v_cndmask_b32_e32 v7, 0x7e, v7, vcc_lo
; %bb.1735:
	s_and_not1_saveexec_b32 s6, s6
; %bb.1736:
	v_add_f32_e32 v7, 0x46800000, v8
; %bb.1737:
	s_or_b32 exec_lo, exec_lo, s6
                                        ; implicit-def: $vgpr8
.LBB14_1738:
	s_and_not1_saveexec_b32 s3, s3
; %bb.1739:
	v_mov_b32_e32 v7, 0x7f
	v_cmp_lt_u32_e32 vcc_lo, 0x7f800000, v8
	s_delay_alu instid0(VALU_DEP_2)
	v_cndmask_b32_e32 v7, 0x7e, v7, vcc_lo
; %bb.1740:
	s_or_b32 exec_lo, exec_lo, s3
	global_store_b8 v[5:6], v7, off
.LBB14_1741:
	s_mov_b32 s3, 0
.LBB14_1742:
	s_delay_alu instid0(SALU_CYCLE_1)
	s_and_not1_b32 vcc_lo, exec_lo, s3
	s_cbranch_vccnz .LBB14_1752
; %bb.1743:
	v_cvt_f32_ubyte0_e32 v8, v2
	s_mov_b32 s3, exec_lo
                                        ; implicit-def: $vgpr7
	s_delay_alu instid0(VALU_DEP_1)
	v_cmpx_gt_u32_e32 0x47800000, v8
	s_xor_b32 s3, exec_lo, s3
	s_cbranch_execz .LBB14_1749
; %bb.1744:
	s_mov_b32 s6, exec_lo
                                        ; implicit-def: $vgpr7
	v_cmpx_lt_u32_e32 0x387fffff, v8
	s_xor_b32 s6, exec_lo, s6
; %bb.1745:
	v_bfe_u32 v7, v8, 21, 1
	s_delay_alu instid0(VALU_DEP_1) | instskip(NEXT) | instid1(VALU_DEP_1)
	v_add3_u32 v7, v8, v7, 0x80fffff
                                        ; implicit-def: $vgpr8
	v_lshrrev_b32_e32 v7, 21, v7
; %bb.1746:
	s_and_not1_saveexec_b32 s6, s6
; %bb.1747:
	v_add_f32_e32 v7, 0x43000000, v8
; %bb.1748:
	s_or_b32 exec_lo, exec_lo, s6
                                        ; implicit-def: $vgpr8
.LBB14_1749:
	s_and_not1_saveexec_b32 s3, s3
; %bb.1750:
	v_mov_b32_e32 v7, 0x7f
	v_cmp_lt_u32_e32 vcc_lo, 0x7f800000, v8
	s_delay_alu instid0(VALU_DEP_2)
	v_cndmask_b32_e32 v7, 0x7c, v7, vcc_lo
; %bb.1751:
	s_or_b32 exec_lo, exec_lo, s3
	global_store_b8 v[5:6], v7, off
.LBB14_1752:
	s_mov_b32 s3, 0
	s_mov_b32 s6, -1
.LBB14_1753:
	s_and_not1_b32 vcc_lo, exec_lo, s3
	s_mov_b32 s3, 0
	s_cbranch_vccnz .LBB14_1760
; %bb.1754:
	v_cmp_lt_i16_e32 vcc_lo, 14, v10
	s_mov_b32 s3, -1
	s_cbranch_vccz .LBB14_1758
; %bb.1755:
	v_cmp_eq_u16_e32 vcc_lo, 15, v10
	s_mov_b32 s0, -1
	s_cbranch_vccz .LBB14_1757
; %bb.1756:
	v_cvt_f32_ubyte0_e32 v7, v2
	s_mov_b32 s0, 0
	s_mov_b32 s6, -1
	s_delay_alu instid0(VALU_DEP_1) | instskip(NEXT) | instid1(VALU_DEP_1)
	v_bfe_u32 v8, v7, 16, 1
	v_add3_u32 v7, v7, v8, 0x7fff
	global_store_d16_hi_b16 v[5:6], v7, off
.LBB14_1757:
	s_mov_b32 s3, 0
.LBB14_1758:
	s_delay_alu instid0(SALU_CYCLE_1)
	s_and_b32 vcc_lo, exec_lo, s3
	s_mov_b32 s3, 0
	s_cbranch_vccz .LBB14_1760
; %bb.1759:
	v_cmp_ne_u16_e64 s0, 11, v10
	s_mov_b32 s3, -1
.LBB14_1760:
	s_delay_alu instid0(VALU_DEP_1)
	s_and_b32 vcc_lo, exec_lo, s0
	s_cbranch_vccnz .LBB14_2013
; %bb.1761:
	s_and_not1_b32 vcc_lo, exec_lo, s3
	s_cbranch_vccnz .LBB14_1763
.LBB14_1762:
	v_and_b32_e32 v3, 0xff, v3
	s_mov_b32 s6, -1
	s_delay_alu instid0(VALU_DEP_1)
	v_cmp_ne_u16_e32 vcc_lo, 0xff, v3
	v_cndmask_b32_e64 v3, 0, 1, vcc_lo
	global_store_b8 v[5:6], v3, off
.LBB14_1763:
	s_mov_b32 s3, 0
.LBB14_1764:
	s_delay_alu instid0(SALU_CYCLE_1)
	s_and_b32 vcc_lo, exec_lo, s3
	s_cbranch_vccz .LBB14_1803
; %bb.1765:
	v_cmp_gt_i16_e32 vcc_lo, 5, v10
	s_mov_b32 s0, -1
	s_cbranch_vccnz .LBB14_1786
; %bb.1766:
	v_cmp_gt_i16_e32 vcc_lo, 8, v10
	s_cbranch_vccnz .LBB14_1776
; %bb.1767:
	v_cmp_gt_i16_e32 vcc_lo, 9, v10
	s_cbranch_vccnz .LBB14_1773
; %bb.1768:
	v_cmp_lt_i16_e32 vcc_lo, 9, v10
	s_cbranch_vccz .LBB14_1770
; %bb.1769:
	v_mov_b32_e32 v13, 0
	v_and_b32_e32 v3, 0xff, v2
	s_mov_b32 s0, 0
	s_delay_alu instid0(VALU_DEP_1) | instskip(NEXT) | instid1(VALU_DEP_1)
	v_dual_mov_b32 v14, v13 :: v_dual_and_b32 v3, 0xffff, v3
	v_cvt_f64_u32_e32 v[11:12], v3
	global_store_b128 v[5:6], v[11:14], off
.LBB14_1770:
	s_and_not1_b32 vcc_lo, exec_lo, s0
	s_cbranch_vccnz .LBB14_1772
; %bb.1771:
	v_cvt_f32_ubyte0_e32 v7, v2
	v_mov_b32_e32 v8, 0
	global_store_b64 v[5:6], v[7:8], off
.LBB14_1772:
	s_mov_b32 s0, 0
.LBB14_1773:
	s_delay_alu instid0(SALU_CYCLE_1)
	s_and_not1_b32 vcc_lo, exec_lo, s0
	s_cbranch_vccnz .LBB14_1775
; %bb.1774:
	v_and_b32_e32 v3, 0xff, v2
	s_delay_alu instid0(VALU_DEP_1) | instskip(NEXT) | instid1(VALU_DEP_1)
	v_cvt_f16_u16_e32 v3, v3
	v_and_b32_e32 v3, 0xffff, v3
	global_store_b32 v[5:6], v3, off
.LBB14_1775:
	s_mov_b32 s0, 0
.LBB14_1776:
	s_delay_alu instid0(SALU_CYCLE_1)
	s_and_not1_b32 vcc_lo, exec_lo, s0
	s_cbranch_vccnz .LBB14_1785
; %bb.1777:
	v_cmp_gt_i16_e32 vcc_lo, 6, v10
	s_mov_b32 s0, -1
	s_cbranch_vccnz .LBB14_1783
; %bb.1778:
	v_cmp_lt_i16_e32 vcc_lo, 6, v10
	s_cbranch_vccz .LBB14_1780
; %bb.1779:
	v_and_b32_e32 v3, 0xff, v2
	s_mov_b32 s0, 0
	s_delay_alu instid0(VALU_DEP_1) | instskip(NEXT) | instid1(VALU_DEP_1)
	v_and_b32_e32 v3, 0xffff, v3
	v_cvt_f64_u32_e32 v[7:8], v3
	global_store_b64 v[5:6], v[7:8], off
.LBB14_1780:
	s_and_not1_b32 vcc_lo, exec_lo, s0
	s_cbranch_vccnz .LBB14_1782
; %bb.1781:
	v_cvt_f32_ubyte0_e32 v3, v2
	global_store_b32 v[5:6], v3, off
.LBB14_1782:
	s_mov_b32 s0, 0
.LBB14_1783:
	s_delay_alu instid0(SALU_CYCLE_1)
	s_and_not1_b32 vcc_lo, exec_lo, s0
	s_cbranch_vccnz .LBB14_1785
; %bb.1784:
	v_and_b32_e32 v3, 0xff, v2
	s_delay_alu instid0(VALU_DEP_1)
	v_cvt_f16_u16_e32 v3, v3
	global_store_b16 v[5:6], v3, off
.LBB14_1785:
	s_mov_b32 s0, 0
.LBB14_1786:
	s_delay_alu instid0(SALU_CYCLE_1)
	s_and_not1_b32 vcc_lo, exec_lo, s0
	s_cbranch_vccnz .LBB14_1802
; %bb.1787:
	v_cmp_gt_i16_e32 vcc_lo, 2, v10
	s_mov_b32 s0, -1
	s_cbranch_vccnz .LBB14_1797
; %bb.1788:
	v_cmp_gt_i16_e32 vcc_lo, 3, v10
	s_cbranch_vccnz .LBB14_1794
; %bb.1789:
	v_cmp_lt_i16_e32 vcc_lo, 3, v10
	s_cbranch_vccz .LBB14_1791
; %bb.1790:
	v_dual_mov_b32 v8, 0 :: v_dual_and_b32 v7, 0xff, v2
	s_mov_b32 s0, 0
	global_store_b64 v[5:6], v[7:8], off
.LBB14_1791:
	s_and_not1_b32 vcc_lo, exec_lo, s0
	s_cbranch_vccnz .LBB14_1793
; %bb.1792:
	v_and_b32_e32 v3, 0xff, v2
	global_store_b32 v[5:6], v3, off
.LBB14_1793:
	s_mov_b32 s0, 0
.LBB14_1794:
	s_delay_alu instid0(SALU_CYCLE_1)
	s_and_not1_b32 vcc_lo, exec_lo, s0
	s_cbranch_vccnz .LBB14_1796
; %bb.1795:
	v_and_b32_e32 v3, 0xff, v2
	global_store_b16 v[5:6], v3, off
.LBB14_1796:
	s_mov_b32 s0, 0
.LBB14_1797:
	s_delay_alu instid0(SALU_CYCLE_1)
	s_and_not1_b32 vcc_lo, exec_lo, s0
	s_cbranch_vccnz .LBB14_1802
; %bb.1798:
	v_cmp_lt_i16_e32 vcc_lo, 0, v10
	s_mov_b32 s0, -1
	s_cbranch_vccz .LBB14_1800
; %bb.1799:
	s_mov_b32 s0, 0
	global_store_b8 v[5:6], v2, off
.LBB14_1800:
	s_and_not1_b32 vcc_lo, exec_lo, s0
	s_cbranch_vccnz .LBB14_1802
; %bb.1801:
	global_store_b8 v[5:6], v2, off
.LBB14_1802:
	s_mov_b32 s6, -1
.LBB14_1803:
	s_delay_alu instid0(SALU_CYCLE_1)
	s_and_not1_b32 vcc_lo, exec_lo, s6
	s_cbranch_vccnz .LBB14_1998
; %bb.1804:
	v_add_nc_u32_e32 v0, s2, v0
	v_cmp_gt_i16_e32 vcc_lo, 11, v10
	v_xor_b32_e32 v5, -1, v4
	s_mov_b32 s3, -1
	s_mov_b32 s6, 0
	v_ashrrev_i32_e32 v3, 31, v0
	v_add_co_u32 v2, s0, s4, v0
	s_delay_alu instid0(VALU_DEP_1)
	v_add_co_ci_u32_e64 v3, s0, s5, v3, s0
	s_cbranch_vccnz .LBB14_1882
; %bb.1805:
	v_cmp_lt_i16_e32 vcc_lo, 25, v10
	s_mov_b32 s7, -1
	s_mov_b32 s3, 0
	s_mov_b32 s0, 0
	s_cbranch_vccz .LBB14_1838
; %bb.1806:
	v_cmp_lt_i16_e32 vcc_lo, 28, v10
	s_cbranch_vccz .LBB14_1821
; %bb.1807:
	v_cmp_lt_i16_e32 vcc_lo, 43, v10
	;; [unrolled: 3-line block ×3, first 2 shown]
	s_cbranch_vccz .LBB14_1811
; %bb.1809:
	v_cmp_eq_u16_e32 vcc_lo, 46, v10
	s_mov_b32 s0, -1
	s_mov_b32 s7, 0
	s_cbranch_vccz .LBB14_1811
; %bb.1810:
	v_cvt_f32_ubyte0_e32 v6, v5
	s_mov_b32 s0, 0
	s_mov_b32 s6, -1
	s_delay_alu instid0(VALU_DEP_1) | instskip(NEXT) | instid1(VALU_DEP_1)
	v_bfe_u32 v7, v6, 16, 1
	v_add3_u32 v6, v6, v7, 0x7fff
	s_delay_alu instid0(VALU_DEP_1)
	v_lshrrev_b32_e32 v6, 16, v6
	global_store_b32 v[2:3], v6, off
.LBB14_1811:
	s_and_b32 vcc_lo, exec_lo, s7
	s_cbranch_vccz .LBB14_1816
; %bb.1812:
	v_cmp_eq_u16_e32 vcc_lo, 44, v10
	s_mov_b32 s0, -1
	s_cbranch_vccz .LBB14_1816
; %bb.1813:
	v_cvt_f32_ubyte0_e32 v8, v5
	v_mov_b32_e32 v7, 0xff
	s_mov_b32 s6, exec_lo
	s_delay_alu instid0(VALU_DEP_2) | instskip(NEXT) | instid1(VALU_DEP_1)
	v_lshrrev_b32_e32 v6, 23, v8
	v_cmpx_ne_u32_e32 0xff, v6
; %bb.1814:
	v_and_b32_e32 v7, 0x400000, v8
	v_and_or_b32 v8, 0x3fffff, v8, v6
	s_delay_alu instid0(VALU_DEP_2) | instskip(NEXT) | instid1(VALU_DEP_2)
	v_cmp_ne_u32_e32 vcc_lo, 0, v7
	v_cmp_ne_u32_e64 s0, 0, v8
	s_delay_alu instid0(VALU_DEP_1) | instskip(NEXT) | instid1(SALU_CYCLE_1)
	s_and_b32 s0, vcc_lo, s0
	v_cndmask_b32_e64 v7, 0, 1, s0
	s_delay_alu instid0(VALU_DEP_1)
	v_add_nc_u32_e32 v7, v6, v7
; %bb.1815:
	s_or_b32 exec_lo, exec_lo, s6
	s_mov_b32 s0, 0
	s_mov_b32 s6, -1
	global_store_b8 v[2:3], v7, off
.LBB14_1816:
	s_mov_b32 s7, 0
.LBB14_1817:
	s_delay_alu instid0(SALU_CYCLE_1)
	s_and_b32 vcc_lo, exec_lo, s7
	s_cbranch_vccz .LBB14_1820
; %bb.1818:
	v_cmp_eq_u16_e32 vcc_lo, 29, v10
	s_mov_b32 s0, -1
	s_cbranch_vccz .LBB14_1820
; %bb.1819:
	v_dual_mov_b32 v7, 0 :: v_dual_and_b32 v6, 0xff, v5
	s_mov_b32 s0, 0
	s_mov_b32 s6, -1
	global_store_b64 v[2:3], v[6:7], off
.LBB14_1820:
	s_mov_b32 s7, 0
.LBB14_1821:
	s_delay_alu instid0(SALU_CYCLE_1)
	s_and_b32 vcc_lo, exec_lo, s7
	s_cbranch_vccz .LBB14_1837
; %bb.1822:
	v_cmp_gt_i16_e32 vcc_lo, 27, v10
	s_mov_b32 s6, -1
	s_cbranch_vccnz .LBB14_1828
; %bb.1823:
	v_cmp_lt_i16_e32 vcc_lo, 27, v10
	s_cbranch_vccz .LBB14_1825
; %bb.1824:
	v_and_b32_e32 v6, 0xff, v5
	s_mov_b32 s6, 0
	global_store_b32 v[2:3], v6, off
.LBB14_1825:
	s_and_not1_b32 vcc_lo, exec_lo, s6
	s_cbranch_vccnz .LBB14_1827
; %bb.1826:
	v_and_b32_e32 v6, 0xff, v5
	global_store_b16 v[2:3], v6, off
.LBB14_1827:
	s_mov_b32 s6, 0
.LBB14_1828:
	s_delay_alu instid0(SALU_CYCLE_1)
	s_and_not1_b32 vcc_lo, exec_lo, s6
	s_cbranch_vccnz .LBB14_1836
; %bb.1829:
	v_cvt_f32_ubyte0_e32 v7, v5
	v_mov_b32_e32 v8, 0x80
	s_mov_b32 s6, exec_lo
	s_delay_alu instid0(VALU_DEP_2)
	v_cmpx_gt_u32_e32 0x43800000, v7
	s_cbranch_execz .LBB14_1835
; %bb.1830:
	s_mov_b32 s7, 0
	s_mov_b32 s10, exec_lo
                                        ; implicit-def: $vgpr6
	v_cmpx_lt_u32_e32 0x3bffffff, v7
	s_xor_b32 s10, exec_lo, s10
	s_cbranch_execz .LBB14_2017
; %bb.1831:
	v_bfe_u32 v6, v7, 20, 1
	s_mov_b32 s7, exec_lo
	s_delay_alu instid0(VALU_DEP_1) | instskip(NEXT) | instid1(VALU_DEP_1)
	v_add3_u32 v6, v7, v6, 0x487ffff
                                        ; implicit-def: $vgpr7
	v_lshrrev_b32_e32 v6, 20, v6
	s_or_saveexec_b32 s10, s10
                                        ; implicit-def: $sgpr11
	s_delay_alu instid0(SALU_CYCLE_1)
	s_xor_b32 exec_lo, exec_lo, s10
	s_cbranch_execnz .LBB14_2018
.LBB14_1832:
	s_or_b32 exec_lo, exec_lo, s10
	v_mov_b32_e32 v8, s11
	s_and_saveexec_b32 s10, s7
.LBB14_1833:
	v_mov_b32_e32 v8, v6
.LBB14_1834:
	s_or_b32 exec_lo, exec_lo, s10
.LBB14_1835:
	s_delay_alu instid0(SALU_CYCLE_1)
	s_or_b32 exec_lo, exec_lo, s6
	global_store_b8 v[2:3], v8, off
.LBB14_1836:
	s_mov_b32 s6, -1
.LBB14_1837:
	s_mov_b32 s7, 0
.LBB14_1838:
	s_delay_alu instid0(SALU_CYCLE_1)
	s_and_b32 vcc_lo, exec_lo, s7
	s_cbranch_vccz .LBB14_1878
; %bb.1839:
	v_cmp_lt_i16_e32 vcc_lo, 22, v10
	s_mov_b32 s3, -1
	s_cbranch_vccz .LBB14_1871
; %bb.1840:
	v_cmp_gt_i16_e32 vcc_lo, 24, v10
	s_cbranch_vccnz .LBB14_1860
; %bb.1841:
	v_cmp_lt_i16_e32 vcc_lo, 24, v10
	s_cbranch_vccz .LBB14_1849
; %bb.1842:
	v_cvt_f32_ubyte0_e32 v7, v5
	v_mov_b32_e32 v8, 0x80
	s_mov_b32 s3, exec_lo
	s_delay_alu instid0(VALU_DEP_2)
	v_cmpx_gt_u32_e32 0x47800000, v7
	s_cbranch_execz .LBB14_1848
; %bb.1843:
	s_mov_b32 s6, 0
	s_mov_b32 s7, exec_lo
                                        ; implicit-def: $vgpr6
	v_cmpx_lt_u32_e32 0x37ffffff, v7
	s_xor_b32 s7, exec_lo, s7
	s_cbranch_execz .LBB14_2023
; %bb.1844:
	v_bfe_u32 v6, v7, 21, 1
	s_mov_b32 s6, exec_lo
	s_delay_alu instid0(VALU_DEP_1) | instskip(NEXT) | instid1(VALU_DEP_1)
	v_add3_u32 v6, v7, v6, 0x88fffff
                                        ; implicit-def: $vgpr7
	v_lshrrev_b32_e32 v6, 21, v6
	s_or_saveexec_b32 s7, s7
                                        ; implicit-def: $sgpr10
	s_delay_alu instid0(SALU_CYCLE_1)
	s_xor_b32 exec_lo, exec_lo, s7
	s_cbranch_execnz .LBB14_2024
.LBB14_1845:
	s_or_b32 exec_lo, exec_lo, s7
	v_mov_b32_e32 v8, s10
	s_and_saveexec_b32 s7, s6
.LBB14_1846:
	v_mov_b32_e32 v8, v6
.LBB14_1847:
	s_or_b32 exec_lo, exec_lo, s7
.LBB14_1848:
	s_delay_alu instid0(SALU_CYCLE_1)
	s_or_b32 exec_lo, exec_lo, s3
	s_mov_b32 s3, 0
	global_store_b8 v[2:3], v8, off
.LBB14_1849:
	s_and_b32 vcc_lo, exec_lo, s3
	s_cbranch_vccz .LBB14_1859
; %bb.1850:
	v_cvt_f32_ubyte0_e32 v7, v5
	s_mov_b32 s3, exec_lo
                                        ; implicit-def: $vgpr6
	s_delay_alu instid0(VALU_DEP_1)
	v_cmpx_gt_u32_e32 0x43f00000, v7
	s_xor_b32 s3, exec_lo, s3
	s_cbranch_execz .LBB14_1856
; %bb.1851:
	s_mov_b32 s6, exec_lo
                                        ; implicit-def: $vgpr6
	v_cmpx_lt_u32_e32 0x3c7fffff, v7
	s_xor_b32 s6, exec_lo, s6
; %bb.1852:
	v_bfe_u32 v6, v7, 20, 1
	s_delay_alu instid0(VALU_DEP_1) | instskip(NEXT) | instid1(VALU_DEP_1)
	v_add3_u32 v6, v7, v6, 0x407ffff
	v_and_b32_e32 v7, 0xff00000, v6
	v_lshrrev_b32_e32 v6, 20, v6
	s_delay_alu instid0(VALU_DEP_2) | instskip(NEXT) | instid1(VALU_DEP_2)
	v_cmp_ne_u32_e32 vcc_lo, 0x7f00000, v7
                                        ; implicit-def: $vgpr7
	v_cndmask_b32_e32 v6, 0x7e, v6, vcc_lo
; %bb.1853:
	s_and_not1_saveexec_b32 s6, s6
; %bb.1854:
	v_add_f32_e32 v6, 0x46800000, v7
; %bb.1855:
	s_or_b32 exec_lo, exec_lo, s6
                                        ; implicit-def: $vgpr7
.LBB14_1856:
	s_and_not1_saveexec_b32 s3, s3
; %bb.1857:
	v_mov_b32_e32 v6, 0x7f
	v_cmp_lt_u32_e32 vcc_lo, 0x7f800000, v7
	s_delay_alu instid0(VALU_DEP_2)
	v_cndmask_b32_e32 v6, 0x7e, v6, vcc_lo
; %bb.1858:
	s_or_b32 exec_lo, exec_lo, s3
	global_store_b8 v[2:3], v6, off
.LBB14_1859:
	s_mov_b32 s3, 0
.LBB14_1860:
	s_delay_alu instid0(SALU_CYCLE_1)
	s_and_not1_b32 vcc_lo, exec_lo, s3
	s_cbranch_vccnz .LBB14_1870
; %bb.1861:
	v_cvt_f32_ubyte0_e32 v7, v5
	s_mov_b32 s3, exec_lo
                                        ; implicit-def: $vgpr6
	s_delay_alu instid0(VALU_DEP_1)
	v_cmpx_gt_u32_e32 0x47800000, v7
	s_xor_b32 s3, exec_lo, s3
	s_cbranch_execz .LBB14_1867
; %bb.1862:
	s_mov_b32 s6, exec_lo
                                        ; implicit-def: $vgpr6
	v_cmpx_lt_u32_e32 0x387fffff, v7
	s_xor_b32 s6, exec_lo, s6
; %bb.1863:
	v_bfe_u32 v6, v7, 21, 1
	s_delay_alu instid0(VALU_DEP_1) | instskip(NEXT) | instid1(VALU_DEP_1)
	v_add3_u32 v6, v7, v6, 0x80fffff
                                        ; implicit-def: $vgpr7
	v_lshrrev_b32_e32 v6, 21, v6
; %bb.1864:
	s_and_not1_saveexec_b32 s6, s6
; %bb.1865:
	v_add_f32_e32 v6, 0x43000000, v7
; %bb.1866:
	s_or_b32 exec_lo, exec_lo, s6
                                        ; implicit-def: $vgpr7
.LBB14_1867:
	s_and_not1_saveexec_b32 s3, s3
; %bb.1868:
	v_mov_b32_e32 v6, 0x7f
	v_cmp_lt_u32_e32 vcc_lo, 0x7f800000, v7
	s_delay_alu instid0(VALU_DEP_2)
	v_cndmask_b32_e32 v6, 0x7c, v6, vcc_lo
; %bb.1869:
	s_or_b32 exec_lo, exec_lo, s3
	global_store_b8 v[2:3], v6, off
.LBB14_1870:
	s_mov_b32 s3, 0
	s_mov_b32 s6, -1
.LBB14_1871:
	s_and_not1_b32 vcc_lo, exec_lo, s3
	s_mov_b32 s3, 0
	s_cbranch_vccnz .LBB14_1878
; %bb.1872:
	v_cmp_lt_i16_e32 vcc_lo, 14, v10
	s_mov_b32 s3, -1
	s_cbranch_vccz .LBB14_1876
; %bb.1873:
	v_cmp_eq_u16_e32 vcc_lo, 15, v10
	s_mov_b32 s0, -1
	s_cbranch_vccz .LBB14_1875
; %bb.1874:
	v_cvt_f32_ubyte0_e32 v6, v5
	s_mov_b32 s0, 0
	s_mov_b32 s6, -1
	s_delay_alu instid0(VALU_DEP_1) | instskip(NEXT) | instid1(VALU_DEP_1)
	v_bfe_u32 v7, v6, 16, 1
	v_add3_u32 v6, v6, v7, 0x7fff
	global_store_d16_hi_b16 v[2:3], v6, off
.LBB14_1875:
	s_mov_b32 s3, 0
.LBB14_1876:
	s_delay_alu instid0(SALU_CYCLE_1)
	s_and_b32 vcc_lo, exec_lo, s3
	s_mov_b32 s3, 0
	s_cbranch_vccz .LBB14_1878
; %bb.1877:
	v_cmp_ne_u16_e64 s0, 11, v10
	s_mov_b32 s3, -1
.LBB14_1878:
	s_delay_alu instid0(VALU_DEP_1)
	s_and_b32 vcc_lo, exec_lo, s0
	s_cbranch_vccnz .LBB14_2021
; %bb.1879:
	s_and_not1_b32 vcc_lo, exec_lo, s3
	s_cbranch_vccnz .LBB14_1881
.LBB14_1880:
	v_and_b32_e32 v4, 0xff, v4
	s_mov_b32 s6, -1
	s_delay_alu instid0(VALU_DEP_1)
	v_cmp_ne_u16_e32 vcc_lo, 0xff, v4
	v_cndmask_b32_e64 v4, 0, 1, vcc_lo
	global_store_b8 v[2:3], v4, off
.LBB14_1881:
	s_mov_b32 s3, 0
.LBB14_1882:
	s_delay_alu instid0(SALU_CYCLE_1)
	s_and_b32 vcc_lo, exec_lo, s3
	s_cbranch_vccz .LBB14_1921
; %bb.1883:
	v_cmp_gt_i16_e32 vcc_lo, 5, v10
	s_mov_b32 s0, -1
	s_cbranch_vccnz .LBB14_1904
; %bb.1884:
	v_cmp_gt_i16_e32 vcc_lo, 8, v10
	s_cbranch_vccnz .LBB14_1894
; %bb.1885:
	v_cmp_gt_i16_e32 vcc_lo, 9, v10
	s_cbranch_vccnz .LBB14_1891
; %bb.1886:
	v_cmp_lt_i16_e32 vcc_lo, 9, v10
	s_cbranch_vccz .LBB14_1888
; %bb.1887:
	v_mov_b32_e32 v8, 0
	v_and_b32_e32 v4, 0xff, v5
	s_mov_b32 s0, 0
	s_delay_alu instid0(VALU_DEP_1) | instskip(NEXT) | instid1(VALU_DEP_1)
	v_dual_mov_b32 v9, v8 :: v_dual_and_b32 v4, 0xffff, v4
	v_cvt_f64_u32_e32 v[6:7], v4
	global_store_b128 v[2:3], v[6:9], off
.LBB14_1888:
	s_and_not1_b32 vcc_lo, exec_lo, s0
	s_cbranch_vccnz .LBB14_1890
; %bb.1889:
	v_cvt_f32_ubyte0_e32 v6, v5
	v_mov_b32_e32 v7, 0
	global_store_b64 v[2:3], v[6:7], off
.LBB14_1890:
	s_mov_b32 s0, 0
.LBB14_1891:
	s_delay_alu instid0(SALU_CYCLE_1)
	s_and_not1_b32 vcc_lo, exec_lo, s0
	s_cbranch_vccnz .LBB14_1893
; %bb.1892:
	v_and_b32_e32 v4, 0xff, v5
	s_delay_alu instid0(VALU_DEP_1) | instskip(NEXT) | instid1(VALU_DEP_1)
	v_cvt_f16_u16_e32 v4, v4
	v_and_b32_e32 v4, 0xffff, v4
	global_store_b32 v[2:3], v4, off
.LBB14_1893:
	s_mov_b32 s0, 0
.LBB14_1894:
	s_delay_alu instid0(SALU_CYCLE_1)
	s_and_not1_b32 vcc_lo, exec_lo, s0
	s_cbranch_vccnz .LBB14_1903
; %bb.1895:
	v_cmp_gt_i16_e32 vcc_lo, 6, v10
	s_mov_b32 s0, -1
	s_cbranch_vccnz .LBB14_1901
; %bb.1896:
	v_cmp_lt_i16_e32 vcc_lo, 6, v10
	s_cbranch_vccz .LBB14_1898
; %bb.1897:
	v_and_b32_e32 v4, 0xff, v5
	s_mov_b32 s0, 0
	s_delay_alu instid0(VALU_DEP_1) | instskip(NEXT) | instid1(VALU_DEP_1)
	v_and_b32_e32 v4, 0xffff, v4
	v_cvt_f64_u32_e32 v[6:7], v4
	global_store_b64 v[2:3], v[6:7], off
.LBB14_1898:
	s_and_not1_b32 vcc_lo, exec_lo, s0
	s_cbranch_vccnz .LBB14_1900
; %bb.1899:
	v_cvt_f32_ubyte0_e32 v4, v5
	global_store_b32 v[2:3], v4, off
.LBB14_1900:
	s_mov_b32 s0, 0
.LBB14_1901:
	s_delay_alu instid0(SALU_CYCLE_1)
	s_and_not1_b32 vcc_lo, exec_lo, s0
	s_cbranch_vccnz .LBB14_1903
; %bb.1902:
	v_and_b32_e32 v4, 0xff, v5
	s_delay_alu instid0(VALU_DEP_1)
	v_cvt_f16_u16_e32 v4, v4
	global_store_b16 v[2:3], v4, off
.LBB14_1903:
	s_mov_b32 s0, 0
.LBB14_1904:
	s_delay_alu instid0(SALU_CYCLE_1)
	s_and_not1_b32 vcc_lo, exec_lo, s0
	s_cbranch_vccnz .LBB14_1920
; %bb.1905:
	v_cmp_gt_i16_e32 vcc_lo, 2, v10
	s_mov_b32 s0, -1
	s_cbranch_vccnz .LBB14_1915
; %bb.1906:
	v_cmp_gt_i16_e32 vcc_lo, 3, v10
	s_cbranch_vccnz .LBB14_1912
; %bb.1907:
	v_cmp_lt_i16_e32 vcc_lo, 3, v10
	s_cbranch_vccz .LBB14_1909
; %bb.1908:
	v_dual_mov_b32 v7, 0 :: v_dual_and_b32 v6, 0xff, v5
	s_mov_b32 s0, 0
	global_store_b64 v[2:3], v[6:7], off
.LBB14_1909:
	s_and_not1_b32 vcc_lo, exec_lo, s0
	s_cbranch_vccnz .LBB14_1911
; %bb.1910:
	v_and_b32_e32 v4, 0xff, v5
	global_store_b32 v[2:3], v4, off
.LBB14_1911:
	s_mov_b32 s0, 0
.LBB14_1912:
	s_delay_alu instid0(SALU_CYCLE_1)
	s_and_not1_b32 vcc_lo, exec_lo, s0
	s_cbranch_vccnz .LBB14_1914
; %bb.1913:
	v_and_b32_e32 v4, 0xff, v5
	global_store_b16 v[2:3], v4, off
.LBB14_1914:
	s_mov_b32 s0, 0
.LBB14_1915:
	s_delay_alu instid0(SALU_CYCLE_1)
	s_and_not1_b32 vcc_lo, exec_lo, s0
	s_cbranch_vccnz .LBB14_1920
; %bb.1916:
	v_cmp_lt_i16_e32 vcc_lo, 0, v10
	s_mov_b32 s0, -1
	s_cbranch_vccz .LBB14_1918
; %bb.1917:
	s_mov_b32 s0, 0
	global_store_b8 v[2:3], v5, off
.LBB14_1918:
	s_and_not1_b32 vcc_lo, exec_lo, s0
	s_cbranch_vccnz .LBB14_1920
; %bb.1919:
	global_store_b8 v[2:3], v5, off
.LBB14_1920:
	s_mov_b32 s6, -1
.LBB14_1921:
	s_delay_alu instid0(SALU_CYCLE_1)
	s_and_not1_b32 vcc_lo, exec_lo, s6
	s_cbranch_vccnz .LBB14_1998
; %bb.1922:
	v_add_nc_u32_e32 v2, s2, v0
	v_cmp_gt_i16_e32 vcc_lo, 11, v10
	v_xor_b32_e32 v0, -1, v1
	s_mov_b32 s3, -1
	s_mov_b32 s2, 0
	v_ashrrev_i32_e32 v3, 31, v2
	v_add_co_u32 v2, s0, s4, v2
	s_delay_alu instid0(VALU_DEP_1)
	v_add_co_ci_u32_e64 v3, s0, s5, v3, s0
	s_cbranch_vccnz .LBB14_1327
; %bb.1923:
	v_cmp_lt_i16_e32 vcc_lo, 25, v10
	s_mov_b32 s0, 0
	s_cbranch_vccz .LBB14_1956
; %bb.1924:
	v_cmp_lt_i16_e32 vcc_lo, 28, v10
	s_cbranch_vccz .LBB14_1940
; %bb.1925:
	v_cmp_lt_i16_e32 vcc_lo, 43, v10
	;; [unrolled: 3-line block ×3, first 2 shown]
	s_cbranch_vccz .LBB14_1930
; %bb.1927:
	v_cmp_eq_u16_e32 vcc_lo, 46, v10
	s_mov_b32 s0, -1
	s_cbranch_vccz .LBB14_1929
; %bb.1928:
	v_cvt_f32_ubyte0_e32 v4, v0
	s_mov_b32 s0, 0
	s_delay_alu instid0(VALU_DEP_1) | instskip(NEXT) | instid1(VALU_DEP_1)
	v_bfe_u32 v5, v4, 16, 1
	v_add3_u32 v4, v4, v5, 0x7fff
	s_delay_alu instid0(VALU_DEP_1)
	v_lshrrev_b32_e32 v4, 16, v4
	global_store_b32 v[2:3], v4, off
.LBB14_1929:
	s_mov_b32 s3, 0
.LBB14_1930:
	s_delay_alu instid0(SALU_CYCLE_1)
	s_and_b32 vcc_lo, exec_lo, s3
	s_cbranch_vccz .LBB14_1935
; %bb.1931:
	v_cmp_eq_u16_e32 vcc_lo, 44, v10
	s_mov_b32 s0, -1
	s_cbranch_vccz .LBB14_1935
; %bb.1932:
	v_cvt_f32_ubyte0_e32 v6, v0
	v_mov_b32_e32 v5, 0xff
	s_mov_b32 s3, exec_lo
	s_delay_alu instid0(VALU_DEP_2) | instskip(NEXT) | instid1(VALU_DEP_1)
	v_lshrrev_b32_e32 v4, 23, v6
	v_cmpx_ne_u32_e32 0xff, v4
; %bb.1933:
	v_and_b32_e32 v5, 0x400000, v6
	v_and_or_b32 v6, 0x3fffff, v6, v4
	s_delay_alu instid0(VALU_DEP_2) | instskip(NEXT) | instid1(VALU_DEP_2)
	v_cmp_ne_u32_e32 vcc_lo, 0, v5
	v_cmp_ne_u32_e64 s0, 0, v6
	s_delay_alu instid0(VALU_DEP_1) | instskip(NEXT) | instid1(SALU_CYCLE_1)
	s_and_b32 s0, vcc_lo, s0
	v_cndmask_b32_e64 v5, 0, 1, s0
	s_delay_alu instid0(VALU_DEP_1)
	v_add_nc_u32_e32 v5, v4, v5
; %bb.1934:
	s_or_b32 exec_lo, exec_lo, s3
	s_mov_b32 s0, 0
	global_store_b8 v[2:3], v5, off
.LBB14_1935:
	s_mov_b32 s3, 0
.LBB14_1936:
	s_delay_alu instid0(SALU_CYCLE_1)
	s_and_b32 vcc_lo, exec_lo, s3
	s_cbranch_vccz .LBB14_1939
; %bb.1937:
	v_cmp_eq_u16_e32 vcc_lo, 29, v10
	s_mov_b32 s0, -1
	s_cbranch_vccz .LBB14_1939
; %bb.1938:
	v_dual_mov_b32 v5, 0 :: v_dual_and_b32 v4, 0xff, v0
	s_mov_b32 s0, 0
	global_store_b64 v[2:3], v[4:5], off
.LBB14_1939:
	s_mov_b32 s3, 0
.LBB14_1940:
	s_delay_alu instid0(SALU_CYCLE_1)
	s_and_b32 vcc_lo, exec_lo, s3
	s_cbranch_vccz .LBB14_1955
; %bb.1941:
	v_cmp_gt_i16_e32 vcc_lo, 27, v10
	s_mov_b32 s3, -1
	s_cbranch_vccnz .LBB14_1947
; %bb.1942:
	v_cmp_lt_i16_e32 vcc_lo, 27, v10
	v_and_b32_e32 v4, 0xff, v0
	s_cbranch_vccz .LBB14_1944
; %bb.1943:
	s_mov_b32 s3, 0
	global_store_b32 v[2:3], v4, off
.LBB14_1944:
	s_and_not1_b32 vcc_lo, exec_lo, s3
	s_cbranch_vccnz .LBB14_1946
; %bb.1945:
	global_store_b16 v[2:3], v4, off
.LBB14_1946:
	s_mov_b32 s3, 0
.LBB14_1947:
	s_delay_alu instid0(SALU_CYCLE_1)
	s_and_not1_b32 vcc_lo, exec_lo, s3
	s_cbranch_vccnz .LBB14_1955
; %bb.1948:
	v_cvt_f32_ubyte0_e32 v5, v0
	v_mov_b32_e32 v6, 0x80
	s_mov_b32 s3, exec_lo
	s_delay_alu instid0(VALU_DEP_2)
	v_cmpx_gt_u32_e32 0x43800000, v5
	s_cbranch_execz .LBB14_1954
; %bb.1949:
	s_mov_b32 s4, 0
	s_mov_b32 s5, exec_lo
                                        ; implicit-def: $vgpr4
	v_cmpx_lt_u32_e32 0x3bffffff, v5
	s_xor_b32 s5, exec_lo, s5
	s_cbranch_execz .LBB14_2025
; %bb.1950:
	v_bfe_u32 v4, v5, 20, 1
	s_mov_b32 s4, exec_lo
	s_delay_alu instid0(VALU_DEP_1) | instskip(NEXT) | instid1(VALU_DEP_1)
	v_add3_u32 v4, v5, v4, 0x487ffff
                                        ; implicit-def: $vgpr5
	v_lshrrev_b32_e32 v4, 20, v4
	s_or_saveexec_b32 s5, s5
                                        ; implicit-def: $sgpr6
	s_delay_alu instid0(SALU_CYCLE_1)
	s_xor_b32 exec_lo, exec_lo, s5
	s_cbranch_execnz .LBB14_2026
.LBB14_1951:
	s_or_b32 exec_lo, exec_lo, s5
	v_mov_b32_e32 v6, s6
	s_and_saveexec_b32 s5, s4
.LBB14_1952:
	v_mov_b32_e32 v6, v4
.LBB14_1953:
	s_or_b32 exec_lo, exec_lo, s5
.LBB14_1954:
	s_delay_alu instid0(SALU_CYCLE_1)
	s_or_b32 exec_lo, exec_lo, s3
	global_store_b8 v[2:3], v6, off
.LBB14_1955:
	s_mov_b32 s3, 0
.LBB14_1956:
	s_delay_alu instid0(SALU_CYCLE_1)
	s_and_b32 vcc_lo, exec_lo, s3
	s_cbranch_vccz .LBB14_1996
; %bb.1957:
	v_cmp_lt_i16_e32 vcc_lo, 22, v10
	s_mov_b32 s2, -1
	s_cbranch_vccz .LBB14_1989
; %bb.1958:
	v_cmp_gt_i16_e32 vcc_lo, 24, v10
	s_cbranch_vccnz .LBB14_1978
; %bb.1959:
	v_cmp_lt_i16_e32 vcc_lo, 24, v10
	s_cbranch_vccz .LBB14_1967
; %bb.1960:
	v_cvt_f32_ubyte0_e32 v5, v0
	v_mov_b32_e32 v6, 0x80
	s_mov_b32 s2, exec_lo
	s_delay_alu instid0(VALU_DEP_2)
	v_cmpx_gt_u32_e32 0x47800000, v5
	s_cbranch_execz .LBB14_1966
; %bb.1961:
	s_mov_b32 s3, 0
	s_mov_b32 s4, exec_lo
                                        ; implicit-def: $vgpr4
	v_cmpx_lt_u32_e32 0x37ffffff, v5
	s_xor_b32 s4, exec_lo, s4
	s_cbranch_execz .LBB14_2031
; %bb.1962:
	v_bfe_u32 v4, v5, 21, 1
	s_mov_b32 s3, exec_lo
	s_delay_alu instid0(VALU_DEP_1) | instskip(NEXT) | instid1(VALU_DEP_1)
	v_add3_u32 v4, v5, v4, 0x88fffff
                                        ; implicit-def: $vgpr5
	v_lshrrev_b32_e32 v4, 21, v4
	s_or_saveexec_b32 s4, s4
                                        ; implicit-def: $sgpr5
	s_delay_alu instid0(SALU_CYCLE_1)
	s_xor_b32 exec_lo, exec_lo, s4
	s_cbranch_execnz .LBB14_2032
.LBB14_1963:
	s_or_b32 exec_lo, exec_lo, s4
	v_mov_b32_e32 v6, s5
	s_and_saveexec_b32 s4, s3
.LBB14_1964:
	v_mov_b32_e32 v6, v4
.LBB14_1965:
	s_or_b32 exec_lo, exec_lo, s4
.LBB14_1966:
	s_delay_alu instid0(SALU_CYCLE_1)
	s_or_b32 exec_lo, exec_lo, s2
	s_mov_b32 s2, 0
	global_store_b8 v[2:3], v6, off
.LBB14_1967:
	s_and_b32 vcc_lo, exec_lo, s2
	s_cbranch_vccz .LBB14_1977
; %bb.1968:
	v_cvt_f32_ubyte0_e32 v5, v0
	s_mov_b32 s2, exec_lo
                                        ; implicit-def: $vgpr4
	s_delay_alu instid0(VALU_DEP_1)
	v_cmpx_gt_u32_e32 0x43f00000, v5
	s_xor_b32 s2, exec_lo, s2
	s_cbranch_execz .LBB14_1974
; %bb.1969:
	s_mov_b32 s3, exec_lo
                                        ; implicit-def: $vgpr4
	v_cmpx_lt_u32_e32 0x3c7fffff, v5
	s_xor_b32 s3, exec_lo, s3
; %bb.1970:
	v_bfe_u32 v4, v5, 20, 1
	s_delay_alu instid0(VALU_DEP_1) | instskip(NEXT) | instid1(VALU_DEP_1)
	v_add3_u32 v4, v5, v4, 0x407ffff
	v_and_b32_e32 v5, 0xff00000, v4
	v_lshrrev_b32_e32 v4, 20, v4
	s_delay_alu instid0(VALU_DEP_2) | instskip(NEXT) | instid1(VALU_DEP_2)
	v_cmp_ne_u32_e32 vcc_lo, 0x7f00000, v5
                                        ; implicit-def: $vgpr5
	v_cndmask_b32_e32 v4, 0x7e, v4, vcc_lo
; %bb.1971:
	s_and_not1_saveexec_b32 s3, s3
; %bb.1972:
	v_add_f32_e32 v4, 0x46800000, v5
; %bb.1973:
	s_or_b32 exec_lo, exec_lo, s3
                                        ; implicit-def: $vgpr5
.LBB14_1974:
	s_and_not1_saveexec_b32 s2, s2
; %bb.1975:
	v_mov_b32_e32 v4, 0x7f
	v_cmp_lt_u32_e32 vcc_lo, 0x7f800000, v5
	s_delay_alu instid0(VALU_DEP_2)
	v_cndmask_b32_e32 v4, 0x7e, v4, vcc_lo
; %bb.1976:
	s_or_b32 exec_lo, exec_lo, s2
	global_store_b8 v[2:3], v4, off
.LBB14_1977:
	s_mov_b32 s2, 0
.LBB14_1978:
	s_delay_alu instid0(SALU_CYCLE_1)
	s_and_not1_b32 vcc_lo, exec_lo, s2
	s_cbranch_vccnz .LBB14_1988
; %bb.1979:
	v_cvt_f32_ubyte0_e32 v5, v0
	s_mov_b32 s2, exec_lo
                                        ; implicit-def: $vgpr4
	s_delay_alu instid0(VALU_DEP_1)
	v_cmpx_gt_u32_e32 0x47800000, v5
	s_xor_b32 s2, exec_lo, s2
	s_cbranch_execz .LBB14_1985
; %bb.1980:
	s_mov_b32 s3, exec_lo
                                        ; implicit-def: $vgpr4
	v_cmpx_lt_u32_e32 0x387fffff, v5
	s_xor_b32 s3, exec_lo, s3
; %bb.1981:
	v_bfe_u32 v4, v5, 21, 1
	s_delay_alu instid0(VALU_DEP_1) | instskip(NEXT) | instid1(VALU_DEP_1)
	v_add3_u32 v4, v5, v4, 0x80fffff
                                        ; implicit-def: $vgpr5
	v_lshrrev_b32_e32 v4, 21, v4
; %bb.1982:
	s_and_not1_saveexec_b32 s3, s3
; %bb.1983:
	v_add_f32_e32 v4, 0x43000000, v5
; %bb.1984:
	s_or_b32 exec_lo, exec_lo, s3
                                        ; implicit-def: $vgpr5
.LBB14_1985:
	s_and_not1_saveexec_b32 s2, s2
; %bb.1986:
	v_mov_b32_e32 v4, 0x7f
	v_cmp_lt_u32_e32 vcc_lo, 0x7f800000, v5
	s_delay_alu instid0(VALU_DEP_2)
	v_cndmask_b32_e32 v4, 0x7c, v4, vcc_lo
; %bb.1987:
	s_or_b32 exec_lo, exec_lo, s2
	global_store_b8 v[2:3], v4, off
.LBB14_1988:
	s_mov_b32 s2, 0
.LBB14_1989:
	s_delay_alu instid0(SALU_CYCLE_1)
	s_and_not1_b32 vcc_lo, exec_lo, s2
	s_mov_b32 s2, 0
	s_cbranch_vccnz .LBB14_1996
; %bb.1990:
	v_cmp_lt_i16_e32 vcc_lo, 14, v10
	s_mov_b32 s2, -1
	s_cbranch_vccz .LBB14_1994
; %bb.1991:
	v_cmp_eq_u16_e32 vcc_lo, 15, v10
	s_mov_b32 s0, -1
	s_cbranch_vccz .LBB14_1993
; %bb.1992:
	v_cvt_f32_ubyte0_e32 v4, v0
	s_mov_b32 s0, 0
	s_delay_alu instid0(VALU_DEP_1) | instskip(NEXT) | instid1(VALU_DEP_1)
	v_bfe_u32 v5, v4, 16, 1
	v_add3_u32 v4, v4, v5, 0x7fff
	global_store_d16_hi_b16 v[2:3], v4, off
.LBB14_1993:
	s_mov_b32 s2, 0
.LBB14_1994:
	s_delay_alu instid0(SALU_CYCLE_1)
	s_and_b32 vcc_lo, exec_lo, s2
	s_mov_b32 s2, 0
	s_cbranch_vccz .LBB14_1996
; %bb.1995:
	v_cmp_ne_u16_e64 s0, 11, v10
	s_mov_b32 s2, -1
.LBB14_1996:
	s_delay_alu instid0(VALU_DEP_1)
	s_and_b32 vcc_lo, exec_lo, s0
	s_cbranch_vccnz .LBB14_2029
.LBB14_1997:
	s_mov_b32 s3, 0
	s_branch .LBB14_1327
.LBB14_1998:
	s_mov_b32 s3, 0
	s_mov_b32 s2, 0
                                        ; implicit-def: $vgpr10
                                        ; implicit-def: $vgpr2_vgpr3
                                        ; implicit-def: $vgpr0
	s_branch .LBB14_1327
.LBB14_1999:
	s_cbranch_execnz .LBB14_2003
; %bb.2000:
	s_or_b32 s1, s1, exec_lo
                                        ; implicit-def: $vgpr1
	s_cbranch_execz .LBB14_1516
	s_branch .LBB14_1517
.LBB14_2001:
	s_or_saveexec_b32 s10, s10
                                        ; implicit-def: $sgpr11
	s_delay_alu instid0(SALU_CYCLE_1)
	s_xor_b32 exec_lo, exec_lo, s10
	s_cbranch_execz .LBB14_1596
.LBB14_2002:
	v_add_f32_e32 v8, 0x46000000, v9
	s_and_not1_b32 s7, s7, exec_lo
	s_mov_b32 s11, 0
	s_delay_alu instid0(VALU_DEP_1) | instskip(NEXT) | instid1(VALU_DEP_1)
	v_and_b32_e32 v8, 0xff, v8
	v_cmp_ne_u32_e32 vcc_lo, 0, v8
	s_and_b32 s12, vcc_lo, exec_lo
	s_delay_alu instid0(SALU_CYCLE_1)
	s_or_b32 s7, s7, s12
	s_or_b32 exec_lo, exec_lo, s10
	v_mov_b32_e32 v11, s11
	s_and_saveexec_b32 s10, s7
	s_cbranch_execnz .LBB14_1597
	s_branch .LBB14_1598
.LBB14_2003:
	s_trap 2
	s_sendmsg_rtn_b32 s0, sendmsg(MSG_RTN_GET_DOORBELL)
	s_mov_b32 ttmp2, m0
	s_waitcnt lgkmcnt(0)
	s_and_b32 s0, s0, 0x3ff
	s_delay_alu instid0(SALU_CYCLE_1) | instskip(NEXT) | instid1(SALU_CYCLE_1)
	s_bitset1_b32 s0, 10
	s_mov_b32 m0, s0
	s_sendmsg sendmsg(MSG_INTERRUPT)
	s_mov_b32 m0, ttmp2
.LBB14_2004:                            ; =>This Inner Loop Header: Depth=1
	s_sethalt 5
	s_branch .LBB14_2004
.LBB14_2005:
	s_cbranch_execnz .LBB14_2011
; %bb.2006:
	s_or_b32 s1, s1, exec_lo
	s_cbranch_execz .LBB14_1644
	s_branch .LBB14_1645
.LBB14_2007:
	s_or_saveexec_b32 s7, s7
                                        ; implicit-def: $sgpr10
	s_delay_alu instid0(SALU_CYCLE_1)
	s_xor_b32 exec_lo, exec_lo, s7
	s_cbranch_execz .LBB14_1609
.LBB14_2008:
	v_add_f32_e32 v8, 0x42800000, v9
	s_and_not1_b32 s6, s6, exec_lo
	s_mov_b32 s10, 0
	s_delay_alu instid0(VALU_DEP_1) | instskip(NEXT) | instid1(VALU_DEP_1)
	v_and_b32_e32 v8, 0xff, v8
	v_cmp_ne_u32_e32 vcc_lo, 0, v8
	s_and_b32 s11, vcc_lo, exec_lo
	s_delay_alu instid0(SALU_CYCLE_1)
	s_or_b32 s6, s6, s11
	s_or_b32 exec_lo, exec_lo, s7
	v_mov_b32_e32 v11, s10
	s_and_saveexec_b32 s7, s6
	s_cbranch_execnz .LBB14_1610
	s_branch .LBB14_1611
.LBB14_2009:
	s_or_saveexec_b32 s10, s10
                                        ; implicit-def: $sgpr11
	s_delay_alu instid0(SALU_CYCLE_1)
	s_xor_b32 exec_lo, exec_lo, s10
	s_cbranch_execz .LBB14_1714
.LBB14_2010:
	v_add_f32_e32 v7, 0x46000000, v8
	s_and_not1_b32 s7, s7, exec_lo
	s_mov_b32 s11, 0
	s_delay_alu instid0(VALU_DEP_1) | instskip(NEXT) | instid1(VALU_DEP_1)
	v_and_b32_e32 v7, 0xff, v7
	v_cmp_ne_u32_e32 vcc_lo, 0, v7
	s_and_b32 s12, vcc_lo, exec_lo
	s_delay_alu instid0(SALU_CYCLE_1)
	s_or_b32 s7, s7, s12
	s_or_b32 exec_lo, exec_lo, s10
	v_mov_b32_e32 v9, s11
	s_and_saveexec_b32 s10, s7
	s_cbranch_execnz .LBB14_1715
	s_branch .LBB14_1716
.LBB14_2011:
	s_trap 2
	s_sendmsg_rtn_b32 s0, sendmsg(MSG_RTN_GET_DOORBELL)
	s_mov_b32 ttmp2, m0
	s_waitcnt lgkmcnt(0)
	s_and_b32 s0, s0, 0x3ff
	s_delay_alu instid0(SALU_CYCLE_1) | instskip(NEXT) | instid1(SALU_CYCLE_1)
	s_bitset1_b32 s0, 10
	s_mov_b32 m0, s0
	s_sendmsg sendmsg(MSG_INTERRUPT)
	s_mov_b32 m0, ttmp2
.LBB14_2012:                            ; =>This Inner Loop Header: Depth=1
	s_sethalt 5
	s_branch .LBB14_2012
.LBB14_2013:
	s_cbranch_execnz .LBB14_2019
; %bb.2014:
	s_or_b32 s1, s1, exec_lo
	s_cbranch_execz .LBB14_1762
	s_branch .LBB14_1763
.LBB14_2015:
	s_or_saveexec_b32 s7, s7
                                        ; implicit-def: $sgpr10
	s_delay_alu instid0(SALU_CYCLE_1)
	s_xor_b32 exec_lo, exec_lo, s7
	s_cbranch_execz .LBB14_1727
.LBB14_2016:
	v_add_f32_e32 v7, 0x42800000, v8
	s_and_not1_b32 s6, s6, exec_lo
	s_mov_b32 s10, 0
	s_delay_alu instid0(VALU_DEP_1) | instskip(NEXT) | instid1(VALU_DEP_1)
	v_and_b32_e32 v7, 0xff, v7
	v_cmp_ne_u32_e32 vcc_lo, 0, v7
	s_and_b32 s11, vcc_lo, exec_lo
	s_delay_alu instid0(SALU_CYCLE_1)
	s_or_b32 s6, s6, s11
	s_or_b32 exec_lo, exec_lo, s7
	v_mov_b32_e32 v9, s10
	s_and_saveexec_b32 s7, s6
	s_cbranch_execnz .LBB14_1728
	s_branch .LBB14_1729
.LBB14_2017:
	s_or_saveexec_b32 s10, s10
                                        ; implicit-def: $sgpr11
	s_delay_alu instid0(SALU_CYCLE_1)
	s_xor_b32 exec_lo, exec_lo, s10
	s_cbranch_execz .LBB14_1832
.LBB14_2018:
	v_add_f32_e32 v6, 0x46000000, v7
	s_and_not1_b32 s7, s7, exec_lo
	s_mov_b32 s11, 0
	s_delay_alu instid0(VALU_DEP_1) | instskip(NEXT) | instid1(VALU_DEP_1)
	v_and_b32_e32 v6, 0xff, v6
	v_cmp_ne_u32_e32 vcc_lo, 0, v6
	s_and_b32 s12, vcc_lo, exec_lo
	s_delay_alu instid0(SALU_CYCLE_1)
	s_or_b32 s7, s7, s12
	s_or_b32 exec_lo, exec_lo, s10
	v_mov_b32_e32 v8, s11
	s_and_saveexec_b32 s10, s7
	s_cbranch_execnz .LBB14_1833
	s_branch .LBB14_1834
.LBB14_2019:
	s_trap 2
	s_sendmsg_rtn_b32 s0, sendmsg(MSG_RTN_GET_DOORBELL)
	s_mov_b32 ttmp2, m0
	s_waitcnt lgkmcnt(0)
	s_and_b32 s0, s0, 0x3ff
	s_delay_alu instid0(SALU_CYCLE_1) | instskip(NEXT) | instid1(SALU_CYCLE_1)
	s_bitset1_b32 s0, 10
	s_mov_b32 m0, s0
	s_sendmsg sendmsg(MSG_INTERRUPT)
	s_mov_b32 m0, ttmp2
.LBB14_2020:                            ; =>This Inner Loop Header: Depth=1
	s_sethalt 5
	s_branch .LBB14_2020
.LBB14_2021:
	s_cbranch_execnz .LBB14_2027
; %bb.2022:
	s_or_b32 s1, s1, exec_lo
	s_cbranch_execz .LBB14_1880
	s_branch .LBB14_1881
.LBB14_2023:
	s_or_saveexec_b32 s7, s7
                                        ; implicit-def: $sgpr10
	s_delay_alu instid0(SALU_CYCLE_1)
	s_xor_b32 exec_lo, exec_lo, s7
	s_cbranch_execz .LBB14_1845
.LBB14_2024:
	v_add_f32_e32 v6, 0x42800000, v7
	s_and_not1_b32 s6, s6, exec_lo
	s_mov_b32 s10, 0
	s_delay_alu instid0(VALU_DEP_1) | instskip(NEXT) | instid1(VALU_DEP_1)
	v_and_b32_e32 v6, 0xff, v6
	v_cmp_ne_u32_e32 vcc_lo, 0, v6
	s_and_b32 s11, vcc_lo, exec_lo
	s_delay_alu instid0(SALU_CYCLE_1)
	s_or_b32 s6, s6, s11
	s_or_b32 exec_lo, exec_lo, s7
	v_mov_b32_e32 v8, s10
	s_and_saveexec_b32 s7, s6
	s_cbranch_execnz .LBB14_1846
	s_branch .LBB14_1847
.LBB14_2025:
	s_or_saveexec_b32 s5, s5
                                        ; implicit-def: $sgpr6
	s_delay_alu instid0(SALU_CYCLE_1)
	s_xor_b32 exec_lo, exec_lo, s5
	s_cbranch_execz .LBB14_1951
.LBB14_2026:
	v_add_f32_e32 v4, 0x46000000, v5
	s_and_not1_b32 s4, s4, exec_lo
	s_mov_b32 s6, 0
	s_delay_alu instid0(VALU_DEP_1) | instskip(NEXT) | instid1(VALU_DEP_1)
	v_and_b32_e32 v4, 0xff, v4
	v_cmp_ne_u32_e32 vcc_lo, 0, v4
	s_and_b32 s7, vcc_lo, exec_lo
	s_delay_alu instid0(SALU_CYCLE_1)
	s_or_b32 s4, s4, s7
	s_or_b32 exec_lo, exec_lo, s5
	v_mov_b32_e32 v6, s6
	s_and_saveexec_b32 s5, s4
	s_cbranch_execnz .LBB14_1952
	s_branch .LBB14_1953
.LBB14_2027:
	s_trap 2
	s_sendmsg_rtn_b32 s0, sendmsg(MSG_RTN_GET_DOORBELL)
	s_mov_b32 ttmp2, m0
	s_waitcnt lgkmcnt(0)
	s_and_b32 s0, s0, 0x3ff
	s_delay_alu instid0(SALU_CYCLE_1) | instskip(NEXT) | instid1(SALU_CYCLE_1)
	s_bitset1_b32 s0, 10
	s_mov_b32 m0, s0
	s_sendmsg sendmsg(MSG_INTERRUPT)
	s_mov_b32 m0, ttmp2
.LBB14_2028:                            ; =>This Inner Loop Header: Depth=1
	s_sethalt 5
	s_branch .LBB14_2028
.LBB14_2029:
	s_cbranch_execnz .LBB14_2033
; %bb.2030:
	s_mov_b32 s2, 0
	s_or_b32 s1, s1, exec_lo
	s_branch .LBB14_1997
.LBB14_2031:
	s_or_saveexec_b32 s4, s4
                                        ; implicit-def: $sgpr5
	s_delay_alu instid0(SALU_CYCLE_1)
	s_xor_b32 exec_lo, exec_lo, s4
	s_cbranch_execz .LBB14_1963
.LBB14_2032:
	v_add_f32_e32 v4, 0x42800000, v5
	s_and_not1_b32 s3, s3, exec_lo
	s_mov_b32 s5, 0
	s_delay_alu instid0(VALU_DEP_1) | instskip(NEXT) | instid1(VALU_DEP_1)
	v_and_b32_e32 v4, 0xff, v4
	v_cmp_ne_u32_e32 vcc_lo, 0, v4
	s_and_b32 s6, vcc_lo, exec_lo
	s_delay_alu instid0(SALU_CYCLE_1)
	s_or_b32 s3, s3, s6
	s_or_b32 exec_lo, exec_lo, s4
	v_mov_b32_e32 v6, s5
	s_and_saveexec_b32 s4, s3
	s_cbranch_execnz .LBB14_1964
	s_branch .LBB14_1965
.LBB14_2033:
	s_trap 2
	s_sendmsg_rtn_b32 s0, sendmsg(MSG_RTN_GET_DOORBELL)
	s_mov_b32 ttmp2, m0
	s_waitcnt lgkmcnt(0)
	s_and_b32 s0, s0, 0x3ff
	s_delay_alu instid0(SALU_CYCLE_1) | instskip(NEXT) | instid1(SALU_CYCLE_1)
	s_bitset1_b32 s0, 10
	s_mov_b32 m0, s0
	s_sendmsg sendmsg(MSG_INTERRUPT)
	s_mov_b32 m0, ttmp2
.LBB14_2034:                            ; =>This Inner Loop Header: Depth=1
	s_sethalt 5
	s_branch .LBB14_2034
	.section	.rodata,"a",@progbits
	.p2align	6, 0x0
	.amdhsa_kernel _ZN2at6native32elementwise_kernel_manual_unrollILi128ELi4EZNS0_15gpu_kernel_implIZZZNS0_23bitwise_not_kernel_cudaERNS_18TensorIteratorBaseEENKUlvE_clEvENKUlvE_clEvEUlhE_EEvS4_RKT_EUlibE_EEviT1_
		.amdhsa_group_segment_fixed_size 0
		.amdhsa_private_segment_fixed_size 0
		.amdhsa_kernarg_size 40
		.amdhsa_user_sgpr_count 15
		.amdhsa_user_sgpr_dispatch_ptr 0
		.amdhsa_user_sgpr_queue_ptr 0
		.amdhsa_user_sgpr_kernarg_segment_ptr 1
		.amdhsa_user_sgpr_dispatch_id 0
		.amdhsa_user_sgpr_private_segment_size 0
		.amdhsa_wavefront_size32 1
		.amdhsa_uses_dynamic_stack 0
		.amdhsa_enable_private_segment 0
		.amdhsa_system_sgpr_workgroup_id_x 1
		.amdhsa_system_sgpr_workgroup_id_y 0
		.amdhsa_system_sgpr_workgroup_id_z 0
		.amdhsa_system_sgpr_workgroup_info 0
		.amdhsa_system_vgpr_workitem_id 0
		.amdhsa_next_free_vgpr 15
		.amdhsa_next_free_sgpr 24
		.amdhsa_reserve_vcc 1
		.amdhsa_float_round_mode_32 0
		.amdhsa_float_round_mode_16_64 0
		.amdhsa_float_denorm_mode_32 3
		.amdhsa_float_denorm_mode_16_64 3
		.amdhsa_dx10_clamp 1
		.amdhsa_ieee_mode 1
		.amdhsa_fp16_overflow 0
		.amdhsa_workgroup_processor_mode 1
		.amdhsa_memory_ordered 1
		.amdhsa_forward_progress 0
		.amdhsa_shared_vgpr_count 0
		.amdhsa_exception_fp_ieee_invalid_op 0
		.amdhsa_exception_fp_denorm_src 0
		.amdhsa_exception_fp_ieee_div_zero 0
		.amdhsa_exception_fp_ieee_overflow 0
		.amdhsa_exception_fp_ieee_underflow 0
		.amdhsa_exception_fp_ieee_inexact 0
		.amdhsa_exception_int_div_zero 0
	.end_amdhsa_kernel
	.section	.text._ZN2at6native32elementwise_kernel_manual_unrollILi128ELi4EZNS0_15gpu_kernel_implIZZZNS0_23bitwise_not_kernel_cudaERNS_18TensorIteratorBaseEENKUlvE_clEvENKUlvE_clEvEUlhE_EEvS4_RKT_EUlibE_EEviT1_,"axG",@progbits,_ZN2at6native32elementwise_kernel_manual_unrollILi128ELi4EZNS0_15gpu_kernel_implIZZZNS0_23bitwise_not_kernel_cudaERNS_18TensorIteratorBaseEENKUlvE_clEvENKUlvE_clEvEUlhE_EEvS4_RKT_EUlibE_EEviT1_,comdat
.Lfunc_end14:
	.size	_ZN2at6native32elementwise_kernel_manual_unrollILi128ELi4EZNS0_15gpu_kernel_implIZZZNS0_23bitwise_not_kernel_cudaERNS_18TensorIteratorBaseEENKUlvE_clEvENKUlvE_clEvEUlhE_EEvS4_RKT_EUlibE_EEviT1_, .Lfunc_end14-_ZN2at6native32elementwise_kernel_manual_unrollILi128ELi4EZNS0_15gpu_kernel_implIZZZNS0_23bitwise_not_kernel_cudaERNS_18TensorIteratorBaseEENKUlvE_clEvENKUlvE_clEvEUlhE_EEvS4_RKT_EUlibE_EEviT1_
                                        ; -- End function
	.section	.AMDGPU.csdata,"",@progbits
; Kernel info:
; codeLenInByte = 36956
; NumSgprs: 26
; NumVgprs: 15
; ScratchSize: 0
; MemoryBound: 1
; FloatMode: 240
; IeeeMode: 1
; LDSByteSize: 0 bytes/workgroup (compile time only)
; SGPRBlocks: 3
; VGPRBlocks: 1
; NumSGPRsForWavesPerEU: 26
; NumVGPRsForWavesPerEU: 15
; Occupancy: 16
; WaveLimiterHint : 0
; COMPUTE_PGM_RSRC2:SCRATCH_EN: 0
; COMPUTE_PGM_RSRC2:USER_SGPR: 15
; COMPUTE_PGM_RSRC2:TRAP_HANDLER: 0
; COMPUTE_PGM_RSRC2:TGID_X_EN: 1
; COMPUTE_PGM_RSRC2:TGID_Y_EN: 0
; COMPUTE_PGM_RSRC2:TGID_Z_EN: 0
; COMPUTE_PGM_RSRC2:TIDIG_COMP_CNT: 0
	.section	.text._ZN2at6native32elementwise_kernel_manual_unrollILi128ELi4EZNS0_15gpu_kernel_implIZZZNS0_23bitwise_not_kernel_cudaERNS_18TensorIteratorBaseEENKUlvE_clEvENKUlvE_clEvEUlhE_EEvS4_RKT_EUlibE0_EEviT1_,"axG",@progbits,_ZN2at6native32elementwise_kernel_manual_unrollILi128ELi4EZNS0_15gpu_kernel_implIZZZNS0_23bitwise_not_kernel_cudaERNS_18TensorIteratorBaseEENKUlvE_clEvENKUlvE_clEvEUlhE_EEvS4_RKT_EUlibE0_EEviT1_,comdat
	.globl	_ZN2at6native32elementwise_kernel_manual_unrollILi128ELi4EZNS0_15gpu_kernel_implIZZZNS0_23bitwise_not_kernel_cudaERNS_18TensorIteratorBaseEENKUlvE_clEvENKUlvE_clEvEUlhE_EEvS4_RKT_EUlibE0_EEviT1_ ; -- Begin function _ZN2at6native32elementwise_kernel_manual_unrollILi128ELi4EZNS0_15gpu_kernel_implIZZZNS0_23bitwise_not_kernel_cudaERNS_18TensorIteratorBaseEENKUlvE_clEvENKUlvE_clEvEUlhE_EEvS4_RKT_EUlibE0_EEviT1_
	.p2align	8
	.type	_ZN2at6native32elementwise_kernel_manual_unrollILi128ELi4EZNS0_15gpu_kernel_implIZZZNS0_23bitwise_not_kernel_cudaERNS_18TensorIteratorBaseEENKUlvE_clEvENKUlvE_clEvEUlhE_EEvS4_RKT_EUlibE0_EEviT1_,@function
_ZN2at6native32elementwise_kernel_manual_unrollILi128ELi4EZNS0_15gpu_kernel_implIZZZNS0_23bitwise_not_kernel_cudaERNS_18TensorIteratorBaseEENKUlvE_clEvENKUlvE_clEvEUlhE_EEvS4_RKT_EUlibE0_EEviT1_: ; @_ZN2at6native32elementwise_kernel_manual_unrollILi128ELi4EZNS0_15gpu_kernel_implIZZZNS0_23bitwise_not_kernel_cudaERNS_18TensorIteratorBaseEENKUlvE_clEvENKUlvE_clEvEUlhE_EEvS4_RKT_EUlibE0_EEviT1_
; %bb.0:
	s_clause 0x1
	s_load_b32 s24, s[0:1], 0x8
	s_load_b32 s30, s[0:1], 0x0
	v_lshl_or_b32 v8, s15, 9, v0
	s_or_b32 s16, s0, 8
	s_mov_b32 s3, -1
	s_mov_b32 s26, 0
	s_mov_b32 s17, s1
	v_or_b32_e32 v10, 0x180, v8
	s_mov_b32 s8, 0
	s_mov_b32 s2, exec_lo
	s_waitcnt lgkmcnt(0)
	s_add_i32 s25, s24, -1
	s_delay_alu instid0(SALU_CYCLE_1)
	s_cmp_gt_u32 s25, 1
	s_cselect_b32 s27, -1, 0
	v_cmpx_le_i32_e64 s30, v10
	s_xor_b32 s28, exec_lo, s2
	s_cbranch_execz .LBB15_1060
; %bb.1:
	v_mov_b32_e32 v0, 0
	s_clause 0x3
	s_load_b128 s[12:15], s[16:17], 0x4
	s_load_b64 s[18:19], s[16:17], 0x14
	s_load_b128 s[8:11], s[16:17], 0xc4
	s_load_b128 s[4:7], s[16:17], 0x148
	s_cmp_lg_u32 s24, 0
	s_mov_b32 s37, 0
	s_cselect_b32 s33, -1, 0
	global_load_u16 v5, v0, s[16:17] offset:345
	s_add_u32 s20, s16, 0xc4
	s_addc_u32 s21, s17, 0
	s_min_u32 s31, s25, 15
	s_cmp_gt_u32 s24, 1
	s_mov_b32 s35, 0
	s_cselect_b32 s29, -1, 0
	s_mov_b32 s34, 0
	s_mov_b32 s36, exec_lo
	s_waitcnt vmcnt(0)
	v_lshrrev_b16 v6, 8, v5
	v_cmpx_gt_i32_e64 s30, v8
	s_cbranch_execz .LBB15_259
; %bb.2:
	s_and_not1_b32 vcc_lo, exec_lo, s27
	s_cbranch_vccnz .LBB15_7
; %bb.3:
	v_mov_b32_e32 v2, 0
	v_mov_b32_e32 v0, 0
	s_and_not1_b32 vcc_lo, exec_lo, s33
	s_cbranch_vccnz .LBB15_12
; %bb.4:
	v_mov_b32_e32 v2, 0
	s_add_i32 s38, s31, 1
	s_cmp_eq_u32 s25, 2
	s_cbranch_scc1 .LBB15_8
; %bb.5:
	v_dual_mov_b32 v0, 0 :: v_dual_mov_b32 v1, v8
	v_mov_b32_e32 v2, 0
	s_and_b32 s35, s38, 28
	s_mov_b32 s39, 0
	s_mov_b64 s[2:3], s[20:21]
	s_mov_b64 s[22:23], s[16:17]
.LBB15_6:                               ; =>This Inner Loop Header: Depth=1
	s_clause 0x1
	s_load_b256 s[40:47], s[22:23], 0x4
	s_load_b128 s[56:59], s[22:23], 0x24
	s_load_b256 s[48:55], s[2:3], 0x0
	s_add_u32 s22, s22, 48
	s_addc_u32 s23, s23, 0
	s_add_i32 s39, s39, 4
	s_add_u32 s2, s2, 32
	s_addc_u32 s3, s3, 0
	s_cmp_lg_u32 s35, s39
	s_waitcnt lgkmcnt(0)
	v_mul_hi_u32 v3, s41, v1
	s_delay_alu instid0(VALU_DEP_1) | instskip(NEXT) | instid1(VALU_DEP_1)
	v_add_nc_u32_e32 v3, v1, v3
	v_lshrrev_b32_e32 v3, s42, v3
	s_delay_alu instid0(VALU_DEP_1) | instskip(SKIP_1) | instid1(VALU_DEP_2)
	v_mul_hi_u32 v4, s44, v3
	v_mul_lo_u32 v9, v3, s40
	v_add_nc_u32_e32 v4, v3, v4
	s_delay_alu instid0(VALU_DEP_2) | instskip(NEXT) | instid1(VALU_DEP_2)
	v_sub_nc_u32_e32 v1, v1, v9
	v_lshrrev_b32_e32 v4, s45, v4
	s_delay_alu instid0(VALU_DEP_2) | instskip(SKIP_1) | instid1(VALU_DEP_3)
	v_mul_lo_u32 v9, v1, s48
	v_mul_lo_u32 v11, v1, s49
	v_mul_hi_u32 v7, s47, v4
	s_delay_alu instid0(VALU_DEP_1) | instskip(NEXT) | instid1(VALU_DEP_1)
	v_add_nc_u32_e32 v7, v4, v7
	v_lshrrev_b32_e32 v7, s56, v7
	s_delay_alu instid0(VALU_DEP_1) | instskip(SKIP_1) | instid1(VALU_DEP_2)
	v_mul_hi_u32 v10, s58, v7
	v_mul_lo_u32 v12, v7, s46
	v_add_nc_u32_e32 v1, v7, v10
	v_mul_lo_u32 v10, v4, s43
	s_delay_alu instid0(VALU_DEP_3) | instskip(NEXT) | instid1(VALU_DEP_3)
	v_sub_nc_u32_e32 v4, v4, v12
	v_lshrrev_b32_e32 v1, s59, v1
	s_delay_alu instid0(VALU_DEP_2) | instskip(SKIP_2) | instid1(VALU_DEP_4)
	v_mul_lo_u32 v12, v4, s52
	v_mul_lo_u32 v4, v4, s53
	v_sub_nc_u32_e32 v3, v3, v10
	v_mul_lo_u32 v13, v1, s57
	s_delay_alu instid0(VALU_DEP_2) | instskip(SKIP_1) | instid1(VALU_DEP_3)
	v_mul_lo_u32 v10, v3, s50
	v_mul_lo_u32 v3, v3, s51
	v_sub_nc_u32_e32 v7, v7, v13
	s_delay_alu instid0(VALU_DEP_3) | instskip(NEXT) | instid1(VALU_DEP_2)
	v_add3_u32 v2, v9, v2, v10
	v_mul_lo_u32 v13, v7, s54
	v_mul_lo_u32 v7, v7, s55
	v_add3_u32 v0, v11, v0, v3
	s_delay_alu instid0(VALU_DEP_3) | instskip(NEXT) | instid1(VALU_DEP_2)
	v_add3_u32 v2, v12, v2, v13
	v_add3_u32 v0, v4, v0, v7
	s_cbranch_scc1 .LBB15_6
	s_branch .LBB15_9
.LBB15_7:
	s_mov_b32 s34, -1
                                        ; implicit-def: $vgpr2
                                        ; implicit-def: $vgpr0
	s_branch .LBB15_12
.LBB15_8:
	v_dual_mov_b32 v1, v8 :: v_dual_mov_b32 v0, 0
.LBB15_9:
	s_and_b32 s38, s38, 3
	s_delay_alu instid0(SALU_CYCLE_1)
	s_cmp_eq_u32 s38, 0
	s_cbranch_scc1 .LBB15_12
; %bb.10:
	s_lshl_b32 s2, s35, 3
	s_mul_i32 s22, s35, 12
	s_add_u32 s2, s2, s16
	s_addc_u32 s3, s17, 0
	s_add_u32 s2, s2, 0xc4
	s_addc_u32 s3, s3, 0
	s_add_u32 s22, s16, s22
	s_addc_u32 s23, s17, 0
	.p2align	6
.LBB15_11:                              ; =>This Inner Loop Header: Depth=1
	s_clause 0x1
	s_load_b64 s[40:41], s[22:23], 0x4
	s_load_b32 s35, s[22:23], 0xc
	s_load_b64 s[42:43], s[2:3], 0x0
	s_add_u32 s22, s22, 12
	s_addc_u32 s23, s23, 0
	s_add_u32 s2, s2, 8
	s_addc_u32 s3, s3, 0
	s_add_i32 s38, s38, -1
	s_delay_alu instid0(SALU_CYCLE_1) | instskip(SKIP_2) | instid1(VALU_DEP_1)
	s_cmp_lg_u32 s38, 0
	s_waitcnt lgkmcnt(0)
	v_mul_hi_u32 v3, s41, v1
	v_add_nc_u32_e32 v3, v1, v3
	s_delay_alu instid0(VALU_DEP_1) | instskip(NEXT) | instid1(VALU_DEP_1)
	v_lshrrev_b32_e32 v7, s35, v3
	v_mul_lo_u32 v3, v7, s40
	s_delay_alu instid0(VALU_DEP_1) | instskip(NEXT) | instid1(VALU_DEP_1)
	v_sub_nc_u32_e32 v1, v1, v3
	v_mad_u64_u32 v[3:4], null, v1, s42, v[2:3]
	v_mad_u64_u32 v[9:10], null, v1, s43, v[0:1]
	v_mov_b32_e32 v1, v7
	s_delay_alu instid0(VALU_DEP_3) | instskip(NEXT) | instid1(VALU_DEP_3)
	v_mov_b32_e32 v2, v3
	v_mov_b32_e32 v0, v9
	s_cbranch_scc1 .LBB15_11
.LBB15_12:
	s_and_not1_b32 vcc_lo, exec_lo, s34
	s_cbranch_vccnz .LBB15_15
; %bb.13:
	s_waitcnt lgkmcnt(0)
	v_mul_hi_u32 v0, s13, v8
	s_and_not1_b32 vcc_lo, exec_lo, s29
	s_delay_alu instid0(VALU_DEP_1) | instskip(NEXT) | instid1(VALU_DEP_1)
	v_add_nc_u32_e32 v0, v8, v0
	v_lshrrev_b32_e32 v1, s14, v0
	s_delay_alu instid0(VALU_DEP_1) | instskip(NEXT) | instid1(VALU_DEP_1)
	v_mul_lo_u32 v0, v1, s12
	v_sub_nc_u32_e32 v0, v8, v0
	s_delay_alu instid0(VALU_DEP_1)
	v_mul_lo_u32 v2, v0, s8
	v_mul_lo_u32 v0, v0, s9
	s_cbranch_vccnz .LBB15_15
; %bb.14:
	v_mul_hi_u32 v3, s18, v1
	s_delay_alu instid0(VALU_DEP_1) | instskip(NEXT) | instid1(VALU_DEP_1)
	v_add_nc_u32_e32 v3, v1, v3
	v_lshrrev_b32_e32 v3, s19, v3
	s_delay_alu instid0(VALU_DEP_1) | instskip(NEXT) | instid1(VALU_DEP_1)
	v_mul_lo_u32 v3, v3, s15
	v_sub_nc_u32_e32 v7, v1, v3
	s_delay_alu instid0(VALU_DEP_1) | instskip(SKIP_1) | instid1(VALU_DEP_2)
	v_mad_u64_u32 v[3:4], null, v7, s10, v[2:3]
	v_mad_u64_u32 v[1:2], null, v7, s11, v[0:1]
	v_mov_b32_e32 v2, v3
	s_delay_alu instid0(VALU_DEP_2)
	v_mov_b32_e32 v0, v1
.LBB15_15:
	v_cmp_gt_i16_e32 vcc_lo, 11, v6
	s_waitcnt lgkmcnt(0)
	s_delay_alu instid0(VALU_DEP_2) | instskip(NEXT) | instid1(VALU_DEP_1)
	v_add_co_u32 v3, s2, s6, v0
	v_add_co_ci_u32_e64 v4, null, s7, 0, s2
	s_mov_b32 s3, 0
	s_cbranch_vccnz .LBB15_22
; %bb.16:
	v_cmp_lt_i16_e32 vcc_lo, 25, v6
	s_cbranch_vccz .LBB15_141
; %bb.17:
	v_cmp_lt_i16_e32 vcc_lo, 28, v6
	s_cbranch_vccz .LBB15_142
; %bb.18:
	v_cmp_lt_i16_e32 vcc_lo, 43, v6
	s_cbranch_vccz .LBB15_143
; %bb.19:
	v_cmp_lt_i16_e32 vcc_lo, 45, v6
	s_cbranch_vccz .LBB15_144
; %bb.20:
	v_cmp_eq_u16_e32 vcc_lo, 46, v6
	s_mov_b32 s22, 0
	s_cbranch_vccz .LBB15_145
; %bb.21:
	global_load_b32 v0, v[3:4], off
	s_mov_b32 s2, -1
	s_waitcnt vmcnt(0)
	v_lshlrev_b32_e32 v0, 16, v0
	s_delay_alu instid0(VALU_DEP_1) | instskip(NEXT) | instid1(VALU_DEP_1)
	v_trunc_f32_e32 v0, v0
	v_mul_f32_e64 v1, 0x2f800000, |v0|
	s_delay_alu instid0(VALU_DEP_1) | instskip(NEXT) | instid1(VALU_DEP_1)
	v_floor_f32_e32 v1, v1
	v_fma_f32 v1, 0xcf800000, v1, |v0|
	v_ashrrev_i32_e32 v0, 31, v0
	s_delay_alu instid0(VALU_DEP_2) | instskip(NEXT) | instid1(VALU_DEP_1)
	v_cvt_u32_f32_e32 v1, v1
	v_xor_b32_e32 v1, v1, v0
	s_delay_alu instid0(VALU_DEP_1)
	v_sub_nc_u32_e32 v0, v1, v0
	s_branch .LBB15_147
.LBB15_22:
	s_mov_b32 s2, 0
                                        ; implicit-def: $vgpr0
	s_cbranch_execnz .LBB15_209
.LBB15_23:
	s_and_not1_b32 vcc_lo, exec_lo, s2
	s_cbranch_vccnz .LBB15_256
.LBB15_24:
	v_and_b32_e32 v4, 0xff, v5
	s_waitcnt vmcnt(0)
	v_add_co_u32 v1, s22, s4, v2
	s_delay_alu instid0(VALU_DEP_3)
	v_xor_b32_e32 v3, -1, v0
	v_add_co_ci_u32_e64 v2, null, s5, 0, s22
	v_cmp_gt_i16_e32 vcc_lo, 11, v4
	s_mov_b32 s23, -1
	s_mov_b32 s2, 0
	s_mov_b32 s22, 0
	s_cbranch_vccnz .LBB15_101
; %bb.25:
	v_cmp_lt_i16_e32 vcc_lo, 25, v4
	s_cbranch_vccz .LBB15_58
; %bb.26:
	v_cmp_lt_i16_e32 vcc_lo, 28, v4
	s_cbranch_vccz .LBB15_41
	;; [unrolled: 3-line block ×4, first 2 shown]
; %bb.29:
	v_cmp_eq_u16_e32 vcc_lo, 46, v4
	s_mov_b32 s23, 0
	s_mov_b32 s2, -1
	s_cbranch_vccz .LBB15_31
; %bb.30:
	v_cvt_f32_ubyte0_e32 v7, v3
	s_mov_b32 s22, -1
	s_mov_b32 s2, 0
	s_delay_alu instid0(VALU_DEP_1) | instskip(NEXT) | instid1(VALU_DEP_1)
	v_bfe_u32 v9, v7, 16, 1
	v_add3_u32 v7, v7, v9, 0x7fff
	s_delay_alu instid0(VALU_DEP_1)
	v_lshrrev_b32_e32 v7, 16, v7
	global_store_b32 v[1:2], v7, off
.LBB15_31:
	s_and_b32 vcc_lo, exec_lo, s23
	s_cbranch_vccz .LBB15_36
; %bb.32:
	v_cmp_eq_u16_e32 vcc_lo, 44, v4
	s_mov_b32 s2, -1
	s_cbranch_vccz .LBB15_36
; %bb.33:
	v_cvt_f32_ubyte0_e32 v10, v3
	v_mov_b32_e32 v9, 0xff
	s_mov_b32 s22, exec_lo
	s_delay_alu instid0(VALU_DEP_2) | instskip(NEXT) | instid1(VALU_DEP_1)
	v_lshrrev_b32_e32 v7, 23, v10
	v_cmpx_ne_u32_e32 0xff, v7
; %bb.34:
	v_and_b32_e32 v9, 0x400000, v10
	v_and_or_b32 v10, 0x3fffff, v10, v7
	s_delay_alu instid0(VALU_DEP_2) | instskip(NEXT) | instid1(VALU_DEP_2)
	v_cmp_ne_u32_e32 vcc_lo, 0, v9
	v_cmp_ne_u32_e64 s2, 0, v10
	s_delay_alu instid0(VALU_DEP_1) | instskip(NEXT) | instid1(SALU_CYCLE_1)
	s_and_b32 s2, vcc_lo, s2
	v_cndmask_b32_e64 v9, 0, 1, s2
	s_delay_alu instid0(VALU_DEP_1)
	v_add_nc_u32_e32 v9, v7, v9
; %bb.35:
	s_or_b32 exec_lo, exec_lo, s22
	s_mov_b32 s22, -1
	s_mov_b32 s2, 0
	global_store_b8 v[1:2], v9, off
.LBB15_36:
	s_mov_b32 s23, 0
.LBB15_37:
	s_delay_alu instid0(SALU_CYCLE_1)
	s_and_b32 vcc_lo, exec_lo, s23
	s_cbranch_vccz .LBB15_40
; %bb.38:
	v_cmp_eq_u16_e32 vcc_lo, 29, v4
	s_mov_b32 s2, -1
	s_cbranch_vccz .LBB15_40
; %bb.39:
	v_dual_mov_b32 v10, 0 :: v_dual_and_b32 v9, 0xff, v3
	s_mov_b32 s22, -1
	s_mov_b32 s2, 0
	global_store_b64 v[1:2], v[9:10], off
.LBB15_40:
	s_mov_b32 s23, 0
.LBB15_41:
	s_delay_alu instid0(SALU_CYCLE_1)
	s_and_b32 vcc_lo, exec_lo, s23
	s_cbranch_vccz .LBB15_57
; %bb.42:
	v_cmp_gt_i16_e32 vcc_lo, 27, v4
	s_mov_b32 s22, -1
	s_cbranch_vccnz .LBB15_48
; %bb.43:
	v_cmp_lt_i16_e32 vcc_lo, 27, v4
	s_cbranch_vccz .LBB15_45
; %bb.44:
	v_and_b32_e32 v7, 0xff, v3
	s_mov_b32 s22, 0
	global_store_b32 v[1:2], v7, off
.LBB15_45:
	s_and_not1_b32 vcc_lo, exec_lo, s22
	s_cbranch_vccnz .LBB15_47
; %bb.46:
	v_and_b32_e32 v7, 0xff, v3
	global_store_b16 v[1:2], v7, off
.LBB15_47:
	s_mov_b32 s22, 0
.LBB15_48:
	s_delay_alu instid0(SALU_CYCLE_1)
	s_and_not1_b32 vcc_lo, exec_lo, s22
	s_cbranch_vccnz .LBB15_56
; %bb.49:
	v_cvt_f32_ubyte0_e32 v9, v3
	v_mov_b32_e32 v10, 0x80
	s_mov_b32 s22, exec_lo
	s_delay_alu instid0(VALU_DEP_2)
	v_cmpx_gt_u32_e32 0x43800000, v9
	s_cbranch_execz .LBB15_55
; %bb.50:
	s_mov_b32 s23, 0
	s_mov_b32 s34, exec_lo
                                        ; implicit-def: $vgpr7
	v_cmpx_lt_u32_e32 0x3bffffff, v9
	s_xor_b32 s34, exec_lo, s34
	s_cbranch_execz .LBB15_150
; %bb.51:
	v_bfe_u32 v7, v9, 20, 1
	s_mov_b32 s23, exec_lo
	s_delay_alu instid0(VALU_DEP_1) | instskip(NEXT) | instid1(VALU_DEP_1)
	v_add3_u32 v7, v9, v7, 0x487ffff
                                        ; implicit-def: $vgpr9
	v_lshrrev_b32_e32 v7, 20, v7
	s_or_saveexec_b32 s34, s34
                                        ; implicit-def: $sgpr35
	s_delay_alu instid0(SALU_CYCLE_1)
	s_xor_b32 exec_lo, exec_lo, s34
	s_cbranch_execnz .LBB15_151
.LBB15_52:
	s_or_b32 exec_lo, exec_lo, s34
	v_mov_b32_e32 v10, s35
	s_and_saveexec_b32 s34, s23
.LBB15_53:
	v_mov_b32_e32 v10, v7
.LBB15_54:
	s_or_b32 exec_lo, exec_lo, s34
.LBB15_55:
	s_delay_alu instid0(SALU_CYCLE_1)
	s_or_b32 exec_lo, exec_lo, s22
	global_store_b8 v[1:2], v10, off
.LBB15_56:
	s_mov_b32 s22, -1
.LBB15_57:
	s_mov_b32 s23, 0
.LBB15_58:
	s_delay_alu instid0(SALU_CYCLE_1)
	s_and_b32 vcc_lo, exec_lo, s23
	s_cbranch_vccz .LBB15_99
; %bb.59:
	v_cmp_lt_i16_e32 vcc_lo, 22, v4
	s_mov_b32 s23, -1
	s_cbranch_vccz .LBB15_91
; %bb.60:
	v_cmp_gt_i16_e32 vcc_lo, 24, v4
	s_mov_b32 s22, -1
	s_cbranch_vccnz .LBB15_80
; %bb.61:
	v_cmp_lt_i16_e32 vcc_lo, 24, v4
	s_cbranch_vccz .LBB15_69
; %bb.62:
	v_cvt_f32_ubyte0_e32 v9, v3
	v_mov_b32_e32 v10, 0x80
	s_mov_b32 s22, exec_lo
	s_delay_alu instid0(VALU_DEP_2)
	v_cmpx_gt_u32_e32 0x47800000, v9
	s_cbranch_execz .LBB15_68
; %bb.63:
	s_mov_b32 s23, 0
	s_mov_b32 s34, exec_lo
                                        ; implicit-def: $vgpr7
	v_cmpx_lt_u32_e32 0x37ffffff, v9
	s_xor_b32 s34, exec_lo, s34
	s_cbranch_execz .LBB15_337
; %bb.64:
	v_bfe_u32 v7, v9, 21, 1
	s_mov_b32 s23, exec_lo
	s_delay_alu instid0(VALU_DEP_1) | instskip(NEXT) | instid1(VALU_DEP_1)
	v_add3_u32 v7, v9, v7, 0x88fffff
                                        ; implicit-def: $vgpr9
	v_lshrrev_b32_e32 v7, 21, v7
	s_or_saveexec_b32 s34, s34
                                        ; implicit-def: $sgpr35
	s_delay_alu instid0(SALU_CYCLE_1)
	s_xor_b32 exec_lo, exec_lo, s34
	s_cbranch_execnz .LBB15_338
.LBB15_65:
	s_or_b32 exec_lo, exec_lo, s34
	v_mov_b32_e32 v10, s35
	s_and_saveexec_b32 s34, s23
.LBB15_66:
	v_mov_b32_e32 v10, v7
.LBB15_67:
	s_or_b32 exec_lo, exec_lo, s34
.LBB15_68:
	s_delay_alu instid0(SALU_CYCLE_1)
	s_or_b32 exec_lo, exec_lo, s22
	s_mov_b32 s22, 0
	global_store_b8 v[1:2], v10, off
.LBB15_69:
	s_and_b32 vcc_lo, exec_lo, s22
	s_cbranch_vccz .LBB15_79
; %bb.70:
	v_cvt_f32_ubyte0_e32 v9, v3
	s_mov_b32 s22, exec_lo
                                        ; implicit-def: $vgpr7
	s_delay_alu instid0(VALU_DEP_1)
	v_cmpx_gt_u32_e32 0x43f00000, v9
	s_xor_b32 s22, exec_lo, s22
	s_cbranch_execz .LBB15_76
; %bb.71:
	s_mov_b32 s23, exec_lo
                                        ; implicit-def: $vgpr7
	v_cmpx_lt_u32_e32 0x3c7fffff, v9
	s_xor_b32 s23, exec_lo, s23
; %bb.72:
	v_bfe_u32 v7, v9, 20, 1
	s_delay_alu instid0(VALU_DEP_1) | instskip(NEXT) | instid1(VALU_DEP_1)
	v_add3_u32 v7, v9, v7, 0x407ffff
	v_and_b32_e32 v9, 0xff00000, v7
	v_lshrrev_b32_e32 v7, 20, v7
	s_delay_alu instid0(VALU_DEP_2) | instskip(NEXT) | instid1(VALU_DEP_2)
	v_cmp_ne_u32_e32 vcc_lo, 0x7f00000, v9
                                        ; implicit-def: $vgpr9
	v_cndmask_b32_e32 v7, 0x7e, v7, vcc_lo
; %bb.73:
	s_and_not1_saveexec_b32 s23, s23
; %bb.74:
	v_add_f32_e32 v7, 0x46800000, v9
; %bb.75:
	s_or_b32 exec_lo, exec_lo, s23
                                        ; implicit-def: $vgpr9
.LBB15_76:
	s_and_not1_saveexec_b32 s22, s22
; %bb.77:
	v_mov_b32_e32 v7, 0x7f
	v_cmp_lt_u32_e32 vcc_lo, 0x7f800000, v9
	s_delay_alu instid0(VALU_DEP_2)
	v_cndmask_b32_e32 v7, 0x7e, v7, vcc_lo
; %bb.78:
	s_or_b32 exec_lo, exec_lo, s22
	global_store_b8 v[1:2], v7, off
.LBB15_79:
	s_mov_b32 s22, 0
.LBB15_80:
	s_delay_alu instid0(SALU_CYCLE_1)
	s_and_not1_b32 vcc_lo, exec_lo, s22
	s_cbranch_vccnz .LBB15_90
; %bb.81:
	v_cvt_f32_ubyte0_e32 v9, v3
	s_mov_b32 s22, exec_lo
                                        ; implicit-def: $vgpr7
	s_delay_alu instid0(VALU_DEP_1)
	v_cmpx_gt_u32_e32 0x47800000, v9
	s_xor_b32 s22, exec_lo, s22
	s_cbranch_execz .LBB15_87
; %bb.82:
	s_mov_b32 s23, exec_lo
                                        ; implicit-def: $vgpr7
	v_cmpx_lt_u32_e32 0x387fffff, v9
	s_xor_b32 s23, exec_lo, s23
; %bb.83:
	v_bfe_u32 v7, v9, 21, 1
	s_delay_alu instid0(VALU_DEP_1) | instskip(NEXT) | instid1(VALU_DEP_1)
	v_add3_u32 v7, v9, v7, 0x80fffff
                                        ; implicit-def: $vgpr9
	v_lshrrev_b32_e32 v7, 21, v7
; %bb.84:
	s_and_not1_saveexec_b32 s23, s23
; %bb.85:
	v_add_f32_e32 v7, 0x43000000, v9
; %bb.86:
	s_or_b32 exec_lo, exec_lo, s23
                                        ; implicit-def: $vgpr9
.LBB15_87:
	s_and_not1_saveexec_b32 s22, s22
; %bb.88:
	v_mov_b32_e32 v7, 0x7f
	v_cmp_lt_u32_e32 vcc_lo, 0x7f800000, v9
	s_delay_alu instid0(VALU_DEP_2)
	v_cndmask_b32_e32 v7, 0x7c, v7, vcc_lo
; %bb.89:
	s_or_b32 exec_lo, exec_lo, s22
	global_store_b8 v[1:2], v7, off
.LBB15_90:
	s_mov_b32 s23, 0
	s_mov_b32 s22, -1
.LBB15_91:
	s_and_not1_b32 vcc_lo, exec_lo, s23
	s_cbranch_vccnz .LBB15_99
; %bb.92:
	v_cmp_lt_i16_e32 vcc_lo, 14, v4
	s_mov_b32 s23, -1
	s_cbranch_vccz .LBB15_96
; %bb.93:
	v_cmp_eq_u16_e32 vcc_lo, 15, v4
	s_mov_b32 s2, -1
	s_cbranch_vccz .LBB15_95
; %bb.94:
	v_cvt_f32_ubyte0_e32 v7, v3
	s_mov_b32 s22, -1
	s_mov_b32 s2, 0
	s_delay_alu instid0(VALU_DEP_1) | instskip(NEXT) | instid1(VALU_DEP_1)
	v_bfe_u32 v9, v7, 16, 1
	v_add3_u32 v7, v7, v9, 0x7fff
	global_store_d16_hi_b16 v[1:2], v7, off
.LBB15_95:
	s_mov_b32 s23, 0
.LBB15_96:
	s_delay_alu instid0(SALU_CYCLE_1)
	s_and_b32 vcc_lo, exec_lo, s23
	s_cbranch_vccz .LBB15_99
; %bb.97:
	v_cmp_eq_u16_e32 vcc_lo, 11, v4
	s_mov_b32 s2, -1
	s_cbranch_vccz .LBB15_99
; %bb.98:
	v_and_b32_e32 v0, 0xff, v0
	s_mov_b32 s22, -1
	s_mov_b32 s2, 0
	s_delay_alu instid0(VALU_DEP_1)
	v_cmp_ne_u16_e32 vcc_lo, 0xff, v0
	v_cndmask_b32_e64 v0, 0, 1, vcc_lo
	global_store_b8 v[1:2], v0, off
.LBB15_99:
.LBB15_100:
	s_and_not1_b32 vcc_lo, exec_lo, s22
	s_cbranch_vccz .LBB15_140
	s_branch .LBB15_257
.LBB15_101:
	s_and_b32 vcc_lo, exec_lo, s23
	s_cbranch_vccz .LBB15_100
; %bb.102:
	v_cmp_gt_i16_e32 vcc_lo, 5, v4
	s_mov_b32 s22, -1
	s_cbranch_vccnz .LBB15_123
; %bb.103:
	v_cmp_gt_i16_e32 vcc_lo, 8, v4
	s_cbranch_vccnz .LBB15_113
; %bb.104:
	v_cmp_gt_i16_e32 vcc_lo, 9, v4
	s_cbranch_vccnz .LBB15_110
; %bb.105:
	v_cmp_lt_i16_e32 vcc_lo, 9, v4
	s_cbranch_vccz .LBB15_107
; %bb.106:
	v_dual_mov_b32 v11, 0 :: v_dual_and_b32 v0, 0xff, v3
	s_mov_b32 s22, 0
	s_delay_alu instid0(VALU_DEP_1) | instskip(NEXT) | instid1(VALU_DEP_2)
	v_and_b32_e32 v0, 0xffff, v0
	v_mov_b32_e32 v12, v11
	s_delay_alu instid0(VALU_DEP_2)
	v_cvt_f64_u32_e32 v[9:10], v0
	global_store_b128 v[1:2], v[9:12], off
.LBB15_107:
	s_and_not1_b32 vcc_lo, exec_lo, s22
	s_cbranch_vccnz .LBB15_109
; %bb.108:
	v_cvt_f32_ubyte0_e32 v9, v3
	v_mov_b32_e32 v10, 0
	global_store_b64 v[1:2], v[9:10], off
.LBB15_109:
	s_mov_b32 s22, 0
.LBB15_110:
	s_delay_alu instid0(SALU_CYCLE_1)
	s_and_not1_b32 vcc_lo, exec_lo, s22
	s_cbranch_vccnz .LBB15_112
; %bb.111:
	v_and_b32_e32 v0, 0xff, v3
	s_delay_alu instid0(VALU_DEP_1) | instskip(NEXT) | instid1(VALU_DEP_1)
	v_cvt_f16_u16_e32 v0, v0
	v_and_b32_e32 v0, 0xffff, v0
	global_store_b32 v[1:2], v0, off
.LBB15_112:
	s_mov_b32 s22, 0
.LBB15_113:
	s_delay_alu instid0(SALU_CYCLE_1)
	s_and_not1_b32 vcc_lo, exec_lo, s22
	s_cbranch_vccnz .LBB15_122
; %bb.114:
	v_cmp_gt_i16_e32 vcc_lo, 6, v4
	s_mov_b32 s22, -1
	s_cbranch_vccnz .LBB15_120
; %bb.115:
	v_cmp_lt_i16_e32 vcc_lo, 6, v4
	s_cbranch_vccz .LBB15_117
; %bb.116:
	v_and_b32_e32 v0, 0xff, v3
	s_mov_b32 s22, 0
	s_delay_alu instid0(VALU_DEP_1) | instskip(NEXT) | instid1(VALU_DEP_1)
	v_and_b32_e32 v0, 0xffff, v0
	v_cvt_f64_u32_e32 v[9:10], v0
	global_store_b64 v[1:2], v[9:10], off
.LBB15_117:
	s_and_not1_b32 vcc_lo, exec_lo, s22
	s_cbranch_vccnz .LBB15_119
; %bb.118:
	v_cvt_f32_ubyte0_e32 v0, v3
	global_store_b32 v[1:2], v0, off
.LBB15_119:
	s_mov_b32 s22, 0
.LBB15_120:
	s_delay_alu instid0(SALU_CYCLE_1)
	s_and_not1_b32 vcc_lo, exec_lo, s22
	s_cbranch_vccnz .LBB15_122
; %bb.121:
	v_and_b32_e32 v0, 0xff, v3
	s_delay_alu instid0(VALU_DEP_1)
	v_cvt_f16_u16_e32 v0, v0
	global_store_b16 v[1:2], v0, off
.LBB15_122:
	s_mov_b32 s22, 0
.LBB15_123:
	s_delay_alu instid0(SALU_CYCLE_1)
	s_and_not1_b32 vcc_lo, exec_lo, s22
	s_cbranch_vccnz .LBB15_139
; %bb.124:
	v_cmp_gt_i16_e32 vcc_lo, 2, v4
	s_mov_b32 s22, -1
	s_cbranch_vccnz .LBB15_134
; %bb.125:
	v_cmp_gt_i16_e32 vcc_lo, 3, v4
	s_cbranch_vccnz .LBB15_131
; %bb.126:
	v_cmp_lt_i16_e32 vcc_lo, 3, v4
	s_cbranch_vccz .LBB15_128
; %bb.127:
	v_dual_mov_b32 v10, 0 :: v_dual_and_b32 v9, 0xff, v3
	s_mov_b32 s22, 0
	global_store_b64 v[1:2], v[9:10], off
.LBB15_128:
	s_and_not1_b32 vcc_lo, exec_lo, s22
	s_cbranch_vccnz .LBB15_130
; %bb.129:
	v_and_b32_e32 v0, 0xff, v3
	global_store_b32 v[1:2], v0, off
.LBB15_130:
	s_mov_b32 s22, 0
.LBB15_131:
	s_delay_alu instid0(SALU_CYCLE_1)
	s_and_not1_b32 vcc_lo, exec_lo, s22
	s_cbranch_vccnz .LBB15_133
; %bb.132:
	v_and_b32_e32 v0, 0xff, v3
	global_store_b16 v[1:2], v0, off
.LBB15_133:
	s_mov_b32 s22, 0
.LBB15_134:
	s_delay_alu instid0(SALU_CYCLE_1)
	s_and_not1_b32 vcc_lo, exec_lo, s22
	s_cbranch_vccnz .LBB15_139
; %bb.135:
	v_cmp_lt_i16_e32 vcc_lo, 0, v4
	s_mov_b32 s22, -1
	s_cbranch_vccz .LBB15_137
; %bb.136:
	s_mov_b32 s22, 0
	global_store_b8 v[1:2], v3, off
.LBB15_137:
	s_and_not1_b32 vcc_lo, exec_lo, s22
	s_cbranch_vccnz .LBB15_139
; %bb.138:
	global_store_b8 v[1:2], v3, off
.LBB15_139:
.LBB15_140:
	v_add_nc_u32_e32 v8, 0x80, v8
	s_mov_b32 s22, -1
	s_branch .LBB15_258
.LBB15_141:
	s_mov_b32 s2, 0
                                        ; implicit-def: $vgpr0
	s_cbranch_execnz .LBB15_176
	s_branch .LBB15_208
.LBB15_142:
	s_mov_b32 s22, -1
	s_mov_b32 s2, 0
                                        ; implicit-def: $vgpr0
	s_branch .LBB15_159
.LBB15_143:
	s_mov_b32 s22, -1
	s_mov_b32 s2, 0
                                        ; implicit-def: $vgpr0
	s_branch .LBB15_154
.LBB15_144:
	s_mov_b32 s22, -1
	s_branch .LBB15_146
.LBB15_145:
	s_mov_b32 s3, -1
.LBB15_146:
	s_mov_b32 s2, 0
                                        ; implicit-def: $vgpr0
.LBB15_147:
	s_and_b32 vcc_lo, exec_lo, s22
	s_cbranch_vccz .LBB15_153
; %bb.148:
	v_cmp_eq_u16_e32 vcc_lo, 44, v6
	s_cbranch_vccz .LBB15_152
; %bb.149:
	global_load_u8 v0, v[3:4], off
	s_mov_b32 s3, 0
	s_mov_b32 s2, -1
	s_waitcnt vmcnt(0)
	v_lshlrev_b32_e32 v1, 23, v0
	v_cmp_ne_u32_e32 vcc_lo, 0, v0
	s_delay_alu instid0(VALU_DEP_2) | instskip(NEXT) | instid1(VALU_DEP_1)
	v_trunc_f32_e32 v1, v1
	v_mul_f32_e64 v7, 0x2f800000, |v1|
	s_delay_alu instid0(VALU_DEP_1) | instskip(NEXT) | instid1(VALU_DEP_1)
	v_floor_f32_e32 v7, v7
	v_fma_f32 v7, 0xcf800000, v7, |v1|
	v_ashrrev_i32_e32 v1, 31, v1
	s_delay_alu instid0(VALU_DEP_2) | instskip(NEXT) | instid1(VALU_DEP_1)
	v_cvt_u32_f32_e32 v7, v7
	v_xor_b32_e32 v7, v7, v1
	s_delay_alu instid0(VALU_DEP_1) | instskip(NEXT) | instid1(VALU_DEP_1)
	v_sub_nc_u32_e32 v1, v7, v1
	v_cndmask_b32_e32 v0, 0, v1, vcc_lo
	s_branch .LBB15_153
.LBB15_150:
	s_or_saveexec_b32 s34, s34
                                        ; implicit-def: $sgpr35
	s_delay_alu instid0(SALU_CYCLE_1)
	s_xor_b32 exec_lo, exec_lo, s34
	s_cbranch_execz .LBB15_52
.LBB15_151:
	v_add_f32_e32 v7, 0x46000000, v9
	s_and_not1_b32 s23, s23, exec_lo
	s_mov_b32 s35, 0
	s_delay_alu instid0(VALU_DEP_1) | instskip(NEXT) | instid1(VALU_DEP_1)
	v_and_b32_e32 v7, 0xff, v7
	v_cmp_ne_u32_e32 vcc_lo, 0, v7
	s_and_b32 s38, vcc_lo, exec_lo
	s_delay_alu instid0(SALU_CYCLE_1)
	s_or_b32 s23, s23, s38
	s_or_b32 exec_lo, exec_lo, s34
	v_mov_b32_e32 v10, s35
	s_and_saveexec_b32 s34, s23
	s_cbranch_execnz .LBB15_53
	s_branch .LBB15_54
.LBB15_152:
	s_mov_b32 s3, -1
                                        ; implicit-def: $vgpr0
.LBB15_153:
	s_mov_b32 s22, 0
.LBB15_154:
	s_delay_alu instid0(SALU_CYCLE_1)
	s_and_b32 vcc_lo, exec_lo, s22
	s_cbranch_vccz .LBB15_158
; %bb.155:
	v_cmp_eq_u16_e32 vcc_lo, 29, v6
	s_cbranch_vccz .LBB15_157
; %bb.156:
	global_load_b64 v[0:1], v[3:4], off
	s_mov_b32 s2, -1
	s_mov_b32 s3, 0
	s_branch .LBB15_158
.LBB15_157:
	s_mov_b32 s3, -1
                                        ; implicit-def: $vgpr0
.LBB15_158:
	s_mov_b32 s22, 0
.LBB15_159:
	s_delay_alu instid0(SALU_CYCLE_1)
	s_and_b32 vcc_lo, exec_lo, s22
	s_cbranch_vccz .LBB15_175
; %bb.160:
	v_cmp_gt_i16_e32 vcc_lo, 27, v6
	s_cbranch_vccnz .LBB15_163
; %bb.161:
	v_cmp_lt_i16_e32 vcc_lo, 27, v6
	s_cbranch_vccz .LBB15_164
; %bb.162:
	global_load_b32 v0, v[3:4], off
	s_mov_b32 s2, 0
	s_branch .LBB15_165
.LBB15_163:
	s_mov_b32 s2, -1
                                        ; implicit-def: $vgpr0
	s_branch .LBB15_168
.LBB15_164:
	s_mov_b32 s2, -1
                                        ; implicit-def: $vgpr0
.LBB15_165:
	s_delay_alu instid0(SALU_CYCLE_1)
	s_and_not1_b32 vcc_lo, exec_lo, s2
	s_cbranch_vccnz .LBB15_167
; %bb.166:
	global_load_u16 v0, v[3:4], off
.LBB15_167:
	s_mov_b32 s2, 0
.LBB15_168:
	s_delay_alu instid0(SALU_CYCLE_1)
	s_and_not1_b32 vcc_lo, exec_lo, s2
	s_cbranch_vccnz .LBB15_174
; %bb.169:
	global_load_u8 v1, v[3:4], off
	s_mov_b32 s22, 0
	s_mov_b32 s2, exec_lo
                                        ; implicit-def: $sgpr23
	s_waitcnt vmcnt(0)
	v_cmpx_lt_i16_e32 0x7f, v1
	s_xor_b32 s2, exec_lo, s2
	s_cbranch_execz .LBB15_185
; %bb.170:
	v_cmp_ne_u16_e32 vcc_lo, 0x80, v1
	s_mov_b32 s23, 0
	s_and_b32 s22, vcc_lo, exec_lo
	s_or_saveexec_b32 s2, s2
	v_mov_b32_e32 v0, s23
	s_xor_b32 exec_lo, exec_lo, s2
	s_cbranch_execnz .LBB15_186
.LBB15_171:
	s_or_b32 exec_lo, exec_lo, s2
	s_and_saveexec_b32 s2, s22
	s_cbranch_execz .LBB15_173
.LBB15_172:
	v_and_b32_e32 v0, 0xffff, v1
	v_lshlrev_b32_e32 v1, 24, v1
	s_delay_alu instid0(VALU_DEP_2) | instskip(NEXT) | instid1(VALU_DEP_2)
	v_and_b32_e32 v7, 7, v0
	v_and_b32_e32 v1, 0x80000000, v1
	s_delay_alu instid0(VALU_DEP_2) | instskip(NEXT) | instid1(VALU_DEP_1)
	v_clz_i32_u32_e32 v9, v7
	v_min_u32_e32 v9, 32, v9
	s_delay_alu instid0(VALU_DEP_1) | instskip(SKIP_1) | instid1(VALU_DEP_2)
	v_subrev_nc_u32_e32 v10, 28, v9
	v_sub_nc_u32_e32 v9, 29, v9
	v_lshlrev_b32_e32 v10, v10, v0
	v_bfe_u32 v0, v0, 3, 4
	s_delay_alu instid0(VALU_DEP_2) | instskip(NEXT) | instid1(VALU_DEP_2)
	v_and_b32_e32 v10, 7, v10
	v_cmp_eq_u32_e32 vcc_lo, 0, v0
	s_delay_alu instid0(VALU_DEP_2) | instskip(NEXT) | instid1(VALU_DEP_1)
	v_dual_cndmask_b32 v0, v0, v9 :: v_dual_cndmask_b32 v7, v7, v10
	v_lshl_add_u32 v0, v0, 23, 0x3b800000
	s_delay_alu instid0(VALU_DEP_2) | instskip(NEXT) | instid1(VALU_DEP_1)
	v_lshlrev_b32_e32 v7, 20, v7
	v_or3_b32 v0, v1, v0, v7
	s_delay_alu instid0(VALU_DEP_1) | instskip(NEXT) | instid1(VALU_DEP_1)
	v_trunc_f32_e32 v0, v0
	v_mul_f32_e64 v1, 0x2f800000, |v0|
	s_delay_alu instid0(VALU_DEP_1) | instskip(NEXT) | instid1(VALU_DEP_1)
	v_floor_f32_e32 v1, v1
	v_fma_f32 v1, 0xcf800000, v1, |v0|
	v_ashrrev_i32_e32 v0, 31, v0
	s_delay_alu instid0(VALU_DEP_2) | instskip(NEXT) | instid1(VALU_DEP_1)
	v_cvt_u32_f32_e32 v1, v1
	v_xor_b32_e32 v1, v1, v0
	s_delay_alu instid0(VALU_DEP_1)
	v_sub_nc_u32_e32 v0, v1, v0
.LBB15_173:
	s_or_b32 exec_lo, exec_lo, s2
.LBB15_174:
	s_mov_b32 s2, -1
.LBB15_175:
	s_branch .LBB15_208
.LBB15_176:
	v_cmp_lt_i16_e32 vcc_lo, 22, v6
	s_cbranch_vccz .LBB15_184
; %bb.177:
	v_cmp_gt_i16_e32 vcc_lo, 24, v6
	s_cbranch_vccnz .LBB15_187
; %bb.178:
	v_cmp_lt_i16_e32 vcc_lo, 24, v6
	s_cbranch_vccz .LBB15_188
; %bb.179:
	global_load_u8 v1, v[3:4], off
	s_mov_b32 s22, 0
	s_mov_b32 s2, exec_lo
                                        ; implicit-def: $sgpr23
	s_waitcnt vmcnt(0)
	v_cmpx_lt_i16_e32 0x7f, v1
	s_xor_b32 s2, exec_lo, s2
	s_cbranch_execz .LBB15_200
; %bb.180:
	v_cmp_ne_u16_e32 vcc_lo, 0x80, v1
	s_mov_b32 s23, 0
	s_and_b32 s22, vcc_lo, exec_lo
	s_or_saveexec_b32 s2, s2
	v_mov_b32_e32 v0, s23
	s_xor_b32 exec_lo, exec_lo, s2
	s_cbranch_execnz .LBB15_201
.LBB15_181:
	s_or_b32 exec_lo, exec_lo, s2
	s_and_saveexec_b32 s2, s22
	s_cbranch_execz .LBB15_183
.LBB15_182:
	v_and_b32_e32 v0, 0xffff, v1
	v_lshlrev_b32_e32 v1, 24, v1
	s_delay_alu instid0(VALU_DEP_2) | instskip(NEXT) | instid1(VALU_DEP_2)
	v_and_b32_e32 v7, 3, v0
	v_and_b32_e32 v1, 0x80000000, v1
	s_delay_alu instid0(VALU_DEP_2) | instskip(NEXT) | instid1(VALU_DEP_1)
	v_clz_i32_u32_e32 v9, v7
	v_min_u32_e32 v9, 32, v9
	s_delay_alu instid0(VALU_DEP_1) | instskip(SKIP_1) | instid1(VALU_DEP_2)
	v_subrev_nc_u32_e32 v10, 29, v9
	v_sub_nc_u32_e32 v9, 30, v9
	v_lshlrev_b32_e32 v10, v10, v0
	v_bfe_u32 v0, v0, 2, 5
	s_delay_alu instid0(VALU_DEP_2) | instskip(NEXT) | instid1(VALU_DEP_2)
	v_and_b32_e32 v10, 3, v10
	v_cmp_eq_u32_e32 vcc_lo, 0, v0
	s_delay_alu instid0(VALU_DEP_2) | instskip(NEXT) | instid1(VALU_DEP_1)
	v_dual_cndmask_b32 v0, v0, v9 :: v_dual_cndmask_b32 v7, v7, v10
	v_lshl_add_u32 v0, v0, 23, 0x37800000
	s_delay_alu instid0(VALU_DEP_2) | instskip(NEXT) | instid1(VALU_DEP_1)
	v_lshlrev_b32_e32 v7, 21, v7
	v_or3_b32 v0, v1, v0, v7
	s_delay_alu instid0(VALU_DEP_1) | instskip(NEXT) | instid1(VALU_DEP_1)
	v_trunc_f32_e32 v0, v0
	v_mul_f32_e64 v1, 0x2f800000, |v0|
	s_delay_alu instid0(VALU_DEP_1) | instskip(NEXT) | instid1(VALU_DEP_1)
	v_floor_f32_e32 v1, v1
	v_fma_f32 v1, 0xcf800000, v1, |v0|
	v_ashrrev_i32_e32 v0, 31, v0
	s_delay_alu instid0(VALU_DEP_2) | instskip(NEXT) | instid1(VALU_DEP_1)
	v_cvt_u32_f32_e32 v1, v1
	v_xor_b32_e32 v1, v1, v0
	s_delay_alu instid0(VALU_DEP_1)
	v_sub_nc_u32_e32 v0, v1, v0
.LBB15_183:
	s_or_b32 exec_lo, exec_lo, s2
	s_mov_b32 s2, 0
	s_branch .LBB15_189
.LBB15_184:
	s_mov_b32 s22, -1
                                        ; implicit-def: $vgpr0
	s_branch .LBB15_195
.LBB15_185:
	s_or_saveexec_b32 s2, s2
	v_mov_b32_e32 v0, s23
	s_xor_b32 exec_lo, exec_lo, s2
	s_cbranch_execz .LBB15_171
.LBB15_186:
	v_cmp_ne_u16_e32 vcc_lo, 0, v1
	v_mov_b32_e32 v0, 0
	s_and_not1_b32 s22, s22, exec_lo
	s_and_b32 s23, vcc_lo, exec_lo
	s_delay_alu instid0(SALU_CYCLE_1)
	s_or_b32 s22, s22, s23
	s_or_b32 exec_lo, exec_lo, s2
	s_and_saveexec_b32 s2, s22
	s_cbranch_execnz .LBB15_172
	s_branch .LBB15_173
.LBB15_187:
	s_mov_b32 s2, -1
                                        ; implicit-def: $vgpr0
	s_branch .LBB15_192
.LBB15_188:
	s_mov_b32 s2, -1
                                        ; implicit-def: $vgpr0
.LBB15_189:
	s_delay_alu instid0(SALU_CYCLE_1)
	s_and_b32 vcc_lo, exec_lo, s2
	s_cbranch_vccz .LBB15_191
; %bb.190:
	global_load_u8 v0, v[3:4], off
	s_waitcnt vmcnt(0)
	v_lshlrev_b32_e32 v0, 24, v0
	s_delay_alu instid0(VALU_DEP_1) | instskip(NEXT) | instid1(VALU_DEP_1)
	v_and_b32_e32 v1, 0x7f000000, v0
	v_clz_i32_u32_e32 v7, v1
	v_add_nc_u32_e32 v10, 0x1000000, v1
	v_cmp_ne_u32_e32 vcc_lo, 0, v1
	s_delay_alu instid0(VALU_DEP_3) | instskip(NEXT) | instid1(VALU_DEP_1)
	v_min_u32_e32 v7, 32, v7
	v_sub_nc_u32_e64 v7, v7, 4 clamp
	s_delay_alu instid0(VALU_DEP_1) | instskip(SKIP_1) | instid1(VALU_DEP_2)
	v_lshlrev_b32_e32 v9, v7, v1
	v_lshlrev_b32_e32 v7, 23, v7
	v_lshrrev_b32_e32 v9, 4, v9
	s_delay_alu instid0(VALU_DEP_1) | instskip(SKIP_1) | instid1(VALU_DEP_2)
	v_sub_nc_u32_e32 v7, v9, v7
	v_ashrrev_i32_e32 v9, 8, v10
	v_add_nc_u32_e32 v7, 0x3c000000, v7
	s_delay_alu instid0(VALU_DEP_1) | instskip(NEXT) | instid1(VALU_DEP_1)
	v_and_or_b32 v7, 0x7f800000, v9, v7
	v_cndmask_b32_e32 v1, 0, v7, vcc_lo
	s_delay_alu instid0(VALU_DEP_1) | instskip(NEXT) | instid1(VALU_DEP_1)
	v_and_or_b32 v0, 0x80000000, v0, v1
	v_trunc_f32_e32 v0, v0
	s_delay_alu instid0(VALU_DEP_1) | instskip(NEXT) | instid1(VALU_DEP_1)
	v_mul_f32_e64 v1, 0x2f800000, |v0|
	v_floor_f32_e32 v1, v1
	s_delay_alu instid0(VALU_DEP_1) | instskip(SKIP_1) | instid1(VALU_DEP_2)
	v_fma_f32 v1, 0xcf800000, v1, |v0|
	v_ashrrev_i32_e32 v0, 31, v0
	v_cvt_u32_f32_e32 v1, v1
	s_delay_alu instid0(VALU_DEP_1) | instskip(NEXT) | instid1(VALU_DEP_1)
	v_xor_b32_e32 v1, v1, v0
	v_sub_nc_u32_e32 v0, v1, v0
.LBB15_191:
	s_mov_b32 s2, 0
.LBB15_192:
	s_delay_alu instid0(SALU_CYCLE_1)
	s_and_not1_b32 vcc_lo, exec_lo, s2
	s_cbranch_vccnz .LBB15_194
; %bb.193:
	global_load_u8 v0, v[3:4], off
	s_waitcnt vmcnt(0)
	v_lshlrev_b32_e32 v1, 25, v0
	v_lshlrev_b16 v0, 8, v0
	s_delay_alu instid0(VALU_DEP_2) | instskip(NEXT) | instid1(VALU_DEP_2)
	v_lshrrev_b32_e32 v7, 4, v1
	v_and_or_b32 v9, 0x7f00, v0, 0.5
	v_cmp_gt_u32_e32 vcc_lo, 0x8000000, v1
	v_bfe_i32 v0, v0, 0, 16
	s_delay_alu instid0(VALU_DEP_4) | instskip(NEXT) | instid1(VALU_DEP_4)
	v_or_b32_e32 v7, 0x70000000, v7
	v_add_f32_e32 v9, -0.5, v9
	s_delay_alu instid0(VALU_DEP_2) | instskip(NEXT) | instid1(VALU_DEP_1)
	v_mul_f32_e32 v7, 0x7800000, v7
	v_cndmask_b32_e32 v1, v7, v9, vcc_lo
	s_delay_alu instid0(VALU_DEP_1) | instskip(NEXT) | instid1(VALU_DEP_1)
	v_and_or_b32 v0, 0x80000000, v0, v1
	v_trunc_f32_e32 v0, v0
	s_delay_alu instid0(VALU_DEP_1) | instskip(NEXT) | instid1(VALU_DEP_1)
	v_mul_f32_e64 v1, 0x2f800000, |v0|
	v_floor_f32_e32 v1, v1
	s_delay_alu instid0(VALU_DEP_1) | instskip(SKIP_1) | instid1(VALU_DEP_2)
	v_fma_f32 v1, 0xcf800000, v1, |v0|
	v_ashrrev_i32_e32 v0, 31, v0
	v_cvt_u32_f32_e32 v1, v1
	s_delay_alu instid0(VALU_DEP_1) | instskip(NEXT) | instid1(VALU_DEP_1)
	v_xor_b32_e32 v1, v1, v0
	v_sub_nc_u32_e32 v0, v1, v0
.LBB15_194:
	s_mov_b32 s22, 0
	s_mov_b32 s2, -1
.LBB15_195:
	s_and_not1_b32 vcc_lo, exec_lo, s22
	s_cbranch_vccnz .LBB15_208
; %bb.196:
	v_cmp_lt_i16_e32 vcc_lo, 14, v6
	s_cbranch_vccz .LBB15_199
; %bb.197:
	v_cmp_eq_u16_e32 vcc_lo, 15, v6
	s_cbranch_vccz .LBB15_202
; %bb.198:
	global_load_u16 v0, v[3:4], off
	s_mov_b32 s2, -1
	s_mov_b32 s3, 0
	s_waitcnt vmcnt(0)
	v_lshlrev_b32_e32 v0, 16, v0
	s_delay_alu instid0(VALU_DEP_1) | instskip(NEXT) | instid1(VALU_DEP_1)
	v_trunc_f32_e32 v0, v0
	v_mul_f32_e64 v1, 0x2f800000, |v0|
	s_delay_alu instid0(VALU_DEP_1) | instskip(NEXT) | instid1(VALU_DEP_1)
	v_floor_f32_e32 v1, v1
	v_fma_f32 v1, 0xcf800000, v1, |v0|
	v_ashrrev_i32_e32 v0, 31, v0
	s_delay_alu instid0(VALU_DEP_2) | instskip(NEXT) | instid1(VALU_DEP_1)
	v_cvt_u32_f32_e32 v1, v1
	v_xor_b32_e32 v1, v1, v0
	s_delay_alu instid0(VALU_DEP_1)
	v_sub_nc_u32_e32 v0, v1, v0
	s_branch .LBB15_203
.LBB15_199:
	s_mov_b32 s22, -1
                                        ; implicit-def: $vgpr0
	s_branch .LBB15_204
.LBB15_200:
	s_or_saveexec_b32 s2, s2
	v_mov_b32_e32 v0, s23
	s_xor_b32 exec_lo, exec_lo, s2
	s_cbranch_execz .LBB15_181
.LBB15_201:
	v_cmp_ne_u16_e32 vcc_lo, 0, v1
	v_mov_b32_e32 v0, 0
	s_and_not1_b32 s22, s22, exec_lo
	s_and_b32 s23, vcc_lo, exec_lo
	s_delay_alu instid0(SALU_CYCLE_1)
	s_or_b32 s22, s22, s23
	s_or_b32 exec_lo, exec_lo, s2
	s_and_saveexec_b32 s2, s22
	s_cbranch_execnz .LBB15_182
	s_branch .LBB15_183
.LBB15_202:
	s_mov_b32 s3, -1
                                        ; implicit-def: $vgpr0
.LBB15_203:
	s_mov_b32 s22, 0
.LBB15_204:
	s_delay_alu instid0(SALU_CYCLE_1)
	s_and_b32 vcc_lo, exec_lo, s22
	s_cbranch_vccz .LBB15_208
; %bb.205:
	v_cmp_eq_u16_e32 vcc_lo, 11, v6
	s_cbranch_vccz .LBB15_207
; %bb.206:
	global_load_u8 v0, v[3:4], off
	s_mov_b32 s3, 0
	s_mov_b32 s2, -1
	s_waitcnt vmcnt(0)
	v_cmp_ne_u16_e32 vcc_lo, 0, v0
	v_cndmask_b32_e64 v0, 0, 1, vcc_lo
	s_branch .LBB15_208
.LBB15_207:
	s_mov_b32 s3, -1
                                        ; implicit-def: $vgpr0
.LBB15_208:
	s_branch .LBB15_23
.LBB15_209:
	v_cmp_gt_i16_e32 vcc_lo, 5, v6
	s_cbranch_vccnz .LBB15_214
; %bb.210:
	v_cmp_gt_i16_e32 vcc_lo, 8, v6
	s_cbranch_vccnz .LBB15_215
; %bb.211:
	;; [unrolled: 3-line block ×3, first 2 shown]
	v_cmp_lt_i16_e32 vcc_lo, 9, v6
	s_cbranch_vccz .LBB15_217
; %bb.213:
	global_load_b64 v[0:1], v[3:4], off
	s_mov_b32 s2, 0
	s_waitcnt vmcnt(0)
	v_trunc_f64_e32 v[0:1], v[0:1]
	s_delay_alu instid0(VALU_DEP_1) | instskip(NEXT) | instid1(VALU_DEP_1)
	v_ldexp_f64 v[9:10], v[0:1], 0xffffffe0
	v_floor_f64_e32 v[9:10], v[9:10]
	s_delay_alu instid0(VALU_DEP_1) | instskip(NEXT) | instid1(VALU_DEP_1)
	v_fma_f64 v[0:1], 0xc1f00000, v[9:10], v[0:1]
	v_cvt_u32_f64_e32 v0, v[0:1]
	s_branch .LBB15_218
.LBB15_214:
                                        ; implicit-def: $vgpr0
	s_branch .LBB15_236
.LBB15_215:
	s_mov_b32 s2, -1
                                        ; implicit-def: $vgpr0
	s_branch .LBB15_224
.LBB15_216:
	s_mov_b32 s2, -1
                                        ; implicit-def: $vgpr0
	s_branch .LBB15_221
.LBB15_217:
	s_mov_b32 s2, -1
                                        ; implicit-def: $vgpr0
.LBB15_218:
	s_delay_alu instid0(SALU_CYCLE_1)
	s_and_not1_b32 vcc_lo, exec_lo, s2
	s_cbranch_vccnz .LBB15_220
; %bb.219:
	global_load_b32 v0, v[3:4], off
	s_waitcnt vmcnt(0)
	v_trunc_f32_e32 v0, v0
	s_delay_alu instid0(VALU_DEP_1) | instskip(NEXT) | instid1(VALU_DEP_1)
	v_mul_f32_e64 v1, 0x2f800000, |v0|
	v_floor_f32_e32 v1, v1
	s_delay_alu instid0(VALU_DEP_1) | instskip(SKIP_1) | instid1(VALU_DEP_2)
	v_fma_f32 v1, 0xcf800000, v1, |v0|
	v_ashrrev_i32_e32 v0, 31, v0
	v_cvt_u32_f32_e32 v1, v1
	s_delay_alu instid0(VALU_DEP_1) | instskip(NEXT) | instid1(VALU_DEP_1)
	v_xor_b32_e32 v1, v1, v0
	v_sub_nc_u32_e32 v0, v1, v0
.LBB15_220:
	s_mov_b32 s2, 0
.LBB15_221:
	s_delay_alu instid0(SALU_CYCLE_1)
	s_and_not1_b32 vcc_lo, exec_lo, s2
	s_cbranch_vccnz .LBB15_223
; %bb.222:
	global_load_b32 v0, v[3:4], off
	s_waitcnt vmcnt(0)
	v_cvt_f32_f16_e32 v0, v0
	s_delay_alu instid0(VALU_DEP_1)
	v_cvt_i32_f32_e32 v0, v0
.LBB15_223:
	s_mov_b32 s2, 0
.LBB15_224:
	s_delay_alu instid0(SALU_CYCLE_1)
	s_and_not1_b32 vcc_lo, exec_lo, s2
	s_cbranch_vccnz .LBB15_235
; %bb.225:
	v_cmp_gt_i16_e32 vcc_lo, 6, v6
	s_cbranch_vccnz .LBB15_228
; %bb.226:
	v_cmp_lt_i16_e32 vcc_lo, 6, v6
	s_cbranch_vccz .LBB15_229
; %bb.227:
	global_load_b64 v[0:1], v[3:4], off
	s_mov_b32 s2, 0
	s_waitcnt vmcnt(0)
	v_trunc_f64_e32 v[0:1], v[0:1]
	s_delay_alu instid0(VALU_DEP_1) | instskip(NEXT) | instid1(VALU_DEP_1)
	v_ldexp_f64 v[9:10], v[0:1], 0xffffffe0
	v_floor_f64_e32 v[9:10], v[9:10]
	s_delay_alu instid0(VALU_DEP_1) | instskip(NEXT) | instid1(VALU_DEP_1)
	v_fma_f64 v[0:1], 0xc1f00000, v[9:10], v[0:1]
	v_cvt_u32_f64_e32 v0, v[0:1]
	s_branch .LBB15_230
.LBB15_228:
	s_mov_b32 s2, -1
                                        ; implicit-def: $vgpr0
	s_branch .LBB15_233
.LBB15_229:
	s_mov_b32 s2, -1
                                        ; implicit-def: $vgpr0
.LBB15_230:
	s_delay_alu instid0(SALU_CYCLE_1)
	s_and_not1_b32 vcc_lo, exec_lo, s2
	s_cbranch_vccnz .LBB15_232
; %bb.231:
	global_load_b32 v0, v[3:4], off
	s_waitcnt vmcnt(0)
	v_trunc_f32_e32 v0, v0
	s_delay_alu instid0(VALU_DEP_1) | instskip(NEXT) | instid1(VALU_DEP_1)
	v_mul_f32_e64 v1, 0x2f800000, |v0|
	v_floor_f32_e32 v1, v1
	s_delay_alu instid0(VALU_DEP_1) | instskip(SKIP_1) | instid1(VALU_DEP_2)
	v_fma_f32 v1, 0xcf800000, v1, |v0|
	v_ashrrev_i32_e32 v0, 31, v0
	v_cvt_u32_f32_e32 v1, v1
	s_delay_alu instid0(VALU_DEP_1) | instskip(NEXT) | instid1(VALU_DEP_1)
	v_xor_b32_e32 v1, v1, v0
	v_sub_nc_u32_e32 v0, v1, v0
.LBB15_232:
	s_mov_b32 s2, 0
.LBB15_233:
	s_delay_alu instid0(SALU_CYCLE_1)
	s_and_not1_b32 vcc_lo, exec_lo, s2
	s_cbranch_vccnz .LBB15_235
; %bb.234:
	global_load_u16 v0, v[3:4], off
	s_waitcnt vmcnt(0)
	v_cvt_f32_f16_e32 v0, v0
	s_delay_alu instid0(VALU_DEP_1)
	v_cvt_i32_f32_e32 v0, v0
.LBB15_235:
	s_cbranch_execnz .LBB15_255
.LBB15_236:
	v_cmp_gt_i16_e32 vcc_lo, 2, v6
	s_cbranch_vccnz .LBB15_240
; %bb.237:
	v_cmp_gt_i16_e32 vcc_lo, 3, v6
	s_cbranch_vccnz .LBB15_241
; %bb.238:
	v_cmp_lt_i16_e32 vcc_lo, 3, v6
	s_cbranch_vccz .LBB15_242
; %bb.239:
	global_load_b64 v[0:1], v[3:4], off
	s_mov_b32 s2, 0
	s_branch .LBB15_243
.LBB15_240:
	s_mov_b32 s2, -1
                                        ; implicit-def: $vgpr0
	s_branch .LBB15_249
.LBB15_241:
	s_mov_b32 s2, -1
                                        ; implicit-def: $vgpr0
	s_branch .LBB15_246
.LBB15_242:
	s_mov_b32 s2, -1
                                        ; implicit-def: $vgpr0
.LBB15_243:
	s_delay_alu instid0(SALU_CYCLE_1)
	s_and_not1_b32 vcc_lo, exec_lo, s2
	s_cbranch_vccnz .LBB15_245
; %bb.244:
	global_load_b32 v0, v[3:4], off
.LBB15_245:
	s_mov_b32 s2, 0
.LBB15_246:
	s_delay_alu instid0(SALU_CYCLE_1)
	s_and_not1_b32 vcc_lo, exec_lo, s2
	s_cbranch_vccnz .LBB15_248
; %bb.247:
	global_load_u16 v0, v[3:4], off
.LBB15_248:
	s_mov_b32 s2, 0
.LBB15_249:
	s_delay_alu instid0(SALU_CYCLE_1)
	s_and_not1_b32 vcc_lo, exec_lo, s2
	s_cbranch_vccnz .LBB15_255
; %bb.250:
	v_cmp_lt_i16_e32 vcc_lo, 0, v6
	s_mov_b32 s2, 0
	s_cbranch_vccz .LBB15_252
; %bb.251:
	global_load_u8 v0, v[3:4], off
	s_branch .LBB15_253
.LBB15_252:
	s_mov_b32 s2, -1
                                        ; implicit-def: $vgpr0
.LBB15_253:
	s_delay_alu instid0(SALU_CYCLE_1)
	s_and_not1_b32 vcc_lo, exec_lo, s2
	s_cbranch_vccnz .LBB15_255
; %bb.254:
	global_load_u8 v0, v[3:4], off
.LBB15_255:
	s_branch .LBB15_24
.LBB15_256:
	s_mov_b32 s2, 0
.LBB15_257:
	s_mov_b32 s22, 0
                                        ; implicit-def: $vgpr8
.LBB15_258:
	s_and_b32 s34, s2, exec_lo
	s_and_b32 s35, s3, exec_lo
	s_or_not1_b32 s3, s22, exec_lo
.LBB15_259:
	s_or_b32 exec_lo, exec_lo, s36
	s_mov_b32 s22, 0
	s_mov_b32 s2, 0
                                        ; implicit-def: $vgpr3_vgpr4
                                        ; implicit-def: $vgpr2
                                        ; implicit-def: $vgpr0
	s_and_saveexec_b32 s36, s3
	s_cbranch_execz .LBB15_890
; %bb.260:
	s_mov_b32 s2, -1
	s_mov_b32 s37, s35
	s_mov_b32 s38, s34
	s_mov_b32 s39, exec_lo
	v_cmpx_gt_i32_e64 s30, v8
	s_cbranch_execz .LBB15_525
; %bb.261:
	s_and_not1_b32 vcc_lo, exec_lo, s27
	s_cbranch_vccnz .LBB15_266
; %bb.262:
	v_mov_b32_e32 v2, 0
	s_waitcnt vmcnt(0)
	v_mov_b32_e32 v0, 0
	s_and_not1_b32 vcc_lo, exec_lo, s33
	s_mov_b32 s37, 0
	s_cbranch_vccnz .LBB15_271
; %bb.263:
	v_mov_b32_e32 v2, 0
	s_add_i32 s40, s31, 1
	s_cmp_eq_u32 s25, 2
	s_mov_b32 s38, 0
	s_cbranch_scc1 .LBB15_267
; %bb.264:
	v_dual_mov_b32 v0, 0 :: v_dual_mov_b32 v1, v8
	v_mov_b32_e32 v2, 0
	s_and_b32 s38, s40, 28
	s_mov_b32 s41, 0
	s_mov_b64 s[2:3], s[20:21]
	s_mov_b64 s[22:23], s[16:17]
.LBB15_265:                             ; =>This Inner Loop Header: Depth=1
	s_clause 0x1
	s_load_b256 s[44:51], s[22:23], 0x4
	s_load_b128 s[60:63], s[22:23], 0x24
	s_load_b256 s[52:59], s[2:3], 0x0
	s_add_u32 s22, s22, 48
	s_addc_u32 s23, s23, 0
	s_add_i32 s41, s41, 4
	s_add_u32 s2, s2, 32
	s_addc_u32 s3, s3, 0
	s_cmp_eq_u32 s38, s41
	s_waitcnt lgkmcnt(0)
	v_mul_hi_u32 v3, s45, v1
	s_delay_alu instid0(VALU_DEP_1) | instskip(NEXT) | instid1(VALU_DEP_1)
	v_add_nc_u32_e32 v3, v1, v3
	v_lshrrev_b32_e32 v3, s46, v3
	s_delay_alu instid0(VALU_DEP_1) | instskip(SKIP_1) | instid1(VALU_DEP_2)
	v_mul_hi_u32 v4, s48, v3
	v_mul_lo_u32 v9, v3, s44
	v_add_nc_u32_e32 v4, v3, v4
	s_delay_alu instid0(VALU_DEP_2) | instskip(NEXT) | instid1(VALU_DEP_2)
	v_sub_nc_u32_e32 v1, v1, v9
	v_lshrrev_b32_e32 v4, s49, v4
	s_delay_alu instid0(VALU_DEP_2) | instskip(SKIP_1) | instid1(VALU_DEP_3)
	v_mul_lo_u32 v9, v1, s52
	v_mul_lo_u32 v11, v1, s53
	v_mul_hi_u32 v7, s51, v4
	s_delay_alu instid0(VALU_DEP_1) | instskip(NEXT) | instid1(VALU_DEP_1)
	v_add_nc_u32_e32 v7, v4, v7
	v_lshrrev_b32_e32 v7, s60, v7
	s_delay_alu instid0(VALU_DEP_1) | instskip(SKIP_1) | instid1(VALU_DEP_2)
	v_mul_hi_u32 v10, s62, v7
	v_mul_lo_u32 v12, v7, s50
	v_add_nc_u32_e32 v1, v7, v10
	v_mul_lo_u32 v10, v4, s47
	s_delay_alu instid0(VALU_DEP_3) | instskip(NEXT) | instid1(VALU_DEP_3)
	v_sub_nc_u32_e32 v4, v4, v12
	v_lshrrev_b32_e32 v1, s63, v1
	s_delay_alu instid0(VALU_DEP_2) | instskip(SKIP_2) | instid1(VALU_DEP_4)
	v_mul_lo_u32 v12, v4, s56
	v_mul_lo_u32 v4, v4, s57
	v_sub_nc_u32_e32 v3, v3, v10
	v_mul_lo_u32 v13, v1, s61
	s_delay_alu instid0(VALU_DEP_2) | instskip(SKIP_1) | instid1(VALU_DEP_3)
	v_mul_lo_u32 v10, v3, s54
	v_mul_lo_u32 v3, v3, s55
	v_sub_nc_u32_e32 v7, v7, v13
	s_delay_alu instid0(VALU_DEP_3) | instskip(NEXT) | instid1(VALU_DEP_2)
	v_add3_u32 v2, v9, v2, v10
	v_mul_lo_u32 v13, v7, s58
	v_mul_lo_u32 v7, v7, s59
	v_add3_u32 v0, v11, v0, v3
	s_delay_alu instid0(VALU_DEP_3) | instskip(NEXT) | instid1(VALU_DEP_2)
	v_add3_u32 v2, v12, v2, v13
	v_add3_u32 v0, v4, v0, v7
	s_cbranch_scc0 .LBB15_265
	s_branch .LBB15_268
.LBB15_266:
	s_mov_b32 s37, -1
                                        ; implicit-def: $vgpr2
                                        ; implicit-def: $vgpr0
	s_branch .LBB15_271
.LBB15_267:
	v_dual_mov_b32 v1, v8 :: v_dual_mov_b32 v0, 0
.LBB15_268:
	s_and_b32 s40, s40, 3
	s_delay_alu instid0(SALU_CYCLE_1)
	s_cmp_eq_u32 s40, 0
	s_cbranch_scc1 .LBB15_271
; %bb.269:
	s_lshl_b32 s2, s38, 3
	s_mul_i32 s22, s38, 12
	s_add_u32 s2, s2, s16
	s_addc_u32 s3, s17, 0
	s_add_u32 s2, s2, 0xc4
	s_addc_u32 s3, s3, 0
	;; [unrolled: 2-line block ×3, first 2 shown]
	.p2align	6
.LBB15_270:                             ; =>This Inner Loop Header: Depth=1
	s_clause 0x1
	s_load_b64 s[42:43], s[22:23], 0x4
	s_load_b32 s38, s[22:23], 0xc
	s_load_b64 s[44:45], s[2:3], 0x0
	s_add_u32 s22, s22, 12
	s_addc_u32 s23, s23, 0
	s_add_u32 s2, s2, 8
	s_addc_u32 s3, s3, 0
	s_add_i32 s40, s40, -1
	s_delay_alu instid0(SALU_CYCLE_1) | instskip(SKIP_2) | instid1(VALU_DEP_1)
	s_cmp_lg_u32 s40, 0
	s_waitcnt lgkmcnt(0)
	v_mul_hi_u32 v3, s43, v1
	v_add_nc_u32_e32 v3, v1, v3
	s_delay_alu instid0(VALU_DEP_1) | instskip(NEXT) | instid1(VALU_DEP_1)
	v_lshrrev_b32_e32 v7, s38, v3
	v_mul_lo_u32 v3, v7, s42
	s_delay_alu instid0(VALU_DEP_1) | instskip(NEXT) | instid1(VALU_DEP_1)
	v_sub_nc_u32_e32 v1, v1, v3
	v_mad_u64_u32 v[3:4], null, v1, s44, v[2:3]
	v_mad_u64_u32 v[9:10], null, v1, s45, v[0:1]
	v_mov_b32_e32 v1, v7
	s_delay_alu instid0(VALU_DEP_3) | instskip(NEXT) | instid1(VALU_DEP_3)
	v_mov_b32_e32 v2, v3
	v_mov_b32_e32 v0, v9
	s_cbranch_scc1 .LBB15_270
.LBB15_271:
	s_and_not1_b32 vcc_lo, exec_lo, s37
	s_cbranch_vccnz .LBB15_274
; %bb.272:
	s_waitcnt vmcnt(0) lgkmcnt(0)
	v_mul_hi_u32 v0, s13, v8
	s_and_not1_b32 vcc_lo, exec_lo, s29
	s_delay_alu instid0(VALU_DEP_1) | instskip(NEXT) | instid1(VALU_DEP_1)
	v_add_nc_u32_e32 v0, v8, v0
	v_lshrrev_b32_e32 v1, s14, v0
	s_delay_alu instid0(VALU_DEP_1) | instskip(NEXT) | instid1(VALU_DEP_1)
	v_mul_lo_u32 v0, v1, s12
	v_sub_nc_u32_e32 v0, v8, v0
	s_delay_alu instid0(VALU_DEP_1)
	v_mul_lo_u32 v2, v0, s8
	v_mul_lo_u32 v0, v0, s9
	s_cbranch_vccnz .LBB15_274
; %bb.273:
	v_mul_hi_u32 v3, s18, v1
	s_delay_alu instid0(VALU_DEP_1) | instskip(NEXT) | instid1(VALU_DEP_1)
	v_add_nc_u32_e32 v3, v1, v3
	v_lshrrev_b32_e32 v3, s19, v3
	s_delay_alu instid0(VALU_DEP_1) | instskip(NEXT) | instid1(VALU_DEP_1)
	v_mul_lo_u32 v3, v3, s15
	v_sub_nc_u32_e32 v7, v1, v3
	s_delay_alu instid0(VALU_DEP_1) | instskip(SKIP_1) | instid1(VALU_DEP_2)
	v_mad_u64_u32 v[3:4], null, v7, s10, v[2:3]
	v_mad_u64_u32 v[1:2], null, v7, s11, v[0:1]
	v_mov_b32_e32 v2, v3
	s_delay_alu instid0(VALU_DEP_2)
	v_mov_b32_e32 v0, v1
.LBB15_274:
	v_cmp_gt_i16_e32 vcc_lo, 11, v6
	s_waitcnt vmcnt(0) lgkmcnt(0)
	s_delay_alu instid0(VALU_DEP_2) | instskip(NEXT) | instid1(VALU_DEP_1)
	v_add_co_u32 v3, s2, s6, v0
	v_add_co_ci_u32_e64 v4, null, s7, 0, s2
	s_mov_b32 s2, 0
	s_cbranch_vccnz .LBB15_281
; %bb.275:
	v_cmp_lt_i16_e32 vcc_lo, 25, v6
	s_cbranch_vccz .LBB15_330
; %bb.276:
	v_cmp_lt_i16_e32 vcc_lo, 28, v6
	s_cbranch_vccz .LBB15_331
	;; [unrolled: 3-line block ×4, first 2 shown]
; %bb.279:
	v_cmp_eq_u16_e32 vcc_lo, 46, v6
	s_mov_b32 s22, 0
	s_cbranch_vccz .LBB15_339
; %bb.280:
	global_load_b32 v0, v[3:4], off
	s_mov_b32 s2, -1
	s_mov_b32 s3, 0
	s_waitcnt vmcnt(0)
	v_lshlrev_b32_e32 v0, 16, v0
	s_delay_alu instid0(VALU_DEP_1) | instskip(NEXT) | instid1(VALU_DEP_1)
	v_trunc_f32_e32 v0, v0
	v_mul_f32_e64 v1, 0x2f800000, |v0|
	s_delay_alu instid0(VALU_DEP_1) | instskip(NEXT) | instid1(VALU_DEP_1)
	v_floor_f32_e32 v1, v1
	v_fma_f32 v1, 0xcf800000, v1, |v0|
	v_ashrrev_i32_e32 v0, 31, v0
	s_delay_alu instid0(VALU_DEP_2) | instskip(NEXT) | instid1(VALU_DEP_1)
	v_cvt_u32_f32_e32 v1, v1
	v_xor_b32_e32 v1, v1, v0
	s_delay_alu instid0(VALU_DEP_1)
	v_sub_nc_u32_e32 v0, v1, v0
	s_branch .LBB15_341
.LBB15_281:
	s_mov_b32 s3, s35
                                        ; implicit-def: $vgpr0
	s_cbranch_execnz .LBB15_474
.LBB15_282:
	s_and_not1_b32 vcc_lo, exec_lo, s2
	s_cbranch_vccnz .LBB15_522
.LBB15_283:
	v_and_b32_e32 v4, 0xff, v5
	s_waitcnt vmcnt(0)
	v_add_co_u32 v1, s2, s4, v2
	s_delay_alu instid0(VALU_DEP_3)
	v_xor_b32_e32 v3, -1, v0
	v_add_co_ci_u32_e64 v2, null, s5, 0, s2
	v_cmp_gt_i16_e32 vcc_lo, 11, v4
	s_mov_b32 s23, -1
	s_mov_b32 s22, 0
	s_mov_b32 s2, s34
	s_cbranch_vccnz .LBB15_290
; %bb.284:
	v_cmp_lt_i16_e32 vcc_lo, 25, v4
	s_cbranch_vccz .LBB15_332
; %bb.285:
	v_cmp_lt_i16_e32 vcc_lo, 28, v4
	s_cbranch_vccz .LBB15_334
	;; [unrolled: 3-line block ×4, first 2 shown]
; %bb.288:
	v_cmp_eq_u16_e32 vcc_lo, 46, v4
	s_mov_b32 s23, 0
	s_mov_b32 s2, -1
	s_cbranch_vccz .LBB15_345
; %bb.289:
	v_cvt_f32_ubyte0_e32 v7, v3
	s_mov_b32 s22, -1
	s_mov_b32 s2, 0
	s_delay_alu instid0(VALU_DEP_1) | instskip(NEXT) | instid1(VALU_DEP_1)
	v_bfe_u32 v9, v7, 16, 1
	v_add3_u32 v7, v7, v9, 0x7fff
	s_delay_alu instid0(VALU_DEP_1)
	v_lshrrev_b32_e32 v7, 16, v7
	global_store_b32 v[1:2], v7, off
	s_branch .LBB15_345
.LBB15_290:
	s_and_b32 vcc_lo, exec_lo, s23
	s_cbranch_vccz .LBB15_414
; %bb.291:
	v_cmp_gt_i16_e32 vcc_lo, 5, v4
	s_mov_b32 s22, -1
	s_cbranch_vccnz .LBB15_312
; %bb.292:
	v_cmp_gt_i16_e32 vcc_lo, 8, v4
	s_cbranch_vccnz .LBB15_302
; %bb.293:
	v_cmp_gt_i16_e32 vcc_lo, 9, v4
	s_cbranch_vccnz .LBB15_299
; %bb.294:
	v_cmp_lt_i16_e32 vcc_lo, 9, v4
	s_cbranch_vccz .LBB15_296
; %bb.295:
	v_dual_mov_b32 v11, 0 :: v_dual_and_b32 v0, 0xff, v3
	s_mov_b32 s22, 0
	s_delay_alu instid0(VALU_DEP_1) | instskip(NEXT) | instid1(VALU_DEP_2)
	v_and_b32_e32 v0, 0xffff, v0
	v_mov_b32_e32 v12, v11
	s_delay_alu instid0(VALU_DEP_2)
	v_cvt_f64_u32_e32 v[9:10], v0
	global_store_b128 v[1:2], v[9:12], off
.LBB15_296:
	s_and_not1_b32 vcc_lo, exec_lo, s22
	s_cbranch_vccnz .LBB15_298
; %bb.297:
	v_cvt_f32_ubyte0_e32 v9, v3
	v_mov_b32_e32 v10, 0
	global_store_b64 v[1:2], v[9:10], off
.LBB15_298:
	s_mov_b32 s22, 0
.LBB15_299:
	s_delay_alu instid0(SALU_CYCLE_1)
	s_and_not1_b32 vcc_lo, exec_lo, s22
	s_cbranch_vccnz .LBB15_301
; %bb.300:
	v_and_b32_e32 v0, 0xff, v3
	s_delay_alu instid0(VALU_DEP_1) | instskip(NEXT) | instid1(VALU_DEP_1)
	v_cvt_f16_u16_e32 v0, v0
	v_and_b32_e32 v0, 0xffff, v0
	global_store_b32 v[1:2], v0, off
.LBB15_301:
	s_mov_b32 s22, 0
.LBB15_302:
	s_delay_alu instid0(SALU_CYCLE_1)
	s_and_not1_b32 vcc_lo, exec_lo, s22
	s_cbranch_vccnz .LBB15_311
; %bb.303:
	v_cmp_gt_i16_e32 vcc_lo, 6, v4
	s_mov_b32 s22, -1
	s_cbranch_vccnz .LBB15_309
; %bb.304:
	v_cmp_lt_i16_e32 vcc_lo, 6, v4
	s_cbranch_vccz .LBB15_306
; %bb.305:
	v_and_b32_e32 v0, 0xff, v3
	s_mov_b32 s22, 0
	s_delay_alu instid0(VALU_DEP_1) | instskip(NEXT) | instid1(VALU_DEP_1)
	v_and_b32_e32 v0, 0xffff, v0
	v_cvt_f64_u32_e32 v[9:10], v0
	global_store_b64 v[1:2], v[9:10], off
.LBB15_306:
	s_and_not1_b32 vcc_lo, exec_lo, s22
	s_cbranch_vccnz .LBB15_308
; %bb.307:
	v_cvt_f32_ubyte0_e32 v0, v3
	global_store_b32 v[1:2], v0, off
.LBB15_308:
	s_mov_b32 s22, 0
.LBB15_309:
	s_delay_alu instid0(SALU_CYCLE_1)
	s_and_not1_b32 vcc_lo, exec_lo, s22
	s_cbranch_vccnz .LBB15_311
; %bb.310:
	v_and_b32_e32 v0, 0xff, v3
	s_delay_alu instid0(VALU_DEP_1)
	v_cvt_f16_u16_e32 v0, v0
	global_store_b16 v[1:2], v0, off
.LBB15_311:
	s_mov_b32 s22, 0
.LBB15_312:
	s_delay_alu instid0(SALU_CYCLE_1)
	s_and_not1_b32 vcc_lo, exec_lo, s22
	s_cbranch_vccnz .LBB15_328
; %bb.313:
	v_cmp_gt_i16_e32 vcc_lo, 2, v4
	s_mov_b32 s22, -1
	s_cbranch_vccnz .LBB15_323
; %bb.314:
	v_cmp_gt_i16_e32 vcc_lo, 3, v4
	s_cbranch_vccnz .LBB15_320
; %bb.315:
	v_cmp_lt_i16_e32 vcc_lo, 3, v4
	s_cbranch_vccz .LBB15_317
; %bb.316:
	v_dual_mov_b32 v10, 0 :: v_dual_and_b32 v9, 0xff, v3
	s_mov_b32 s22, 0
	global_store_b64 v[1:2], v[9:10], off
.LBB15_317:
	s_and_not1_b32 vcc_lo, exec_lo, s22
	s_cbranch_vccnz .LBB15_319
; %bb.318:
	v_and_b32_e32 v0, 0xff, v3
	global_store_b32 v[1:2], v0, off
.LBB15_319:
	s_mov_b32 s22, 0
.LBB15_320:
	s_delay_alu instid0(SALU_CYCLE_1)
	s_and_not1_b32 vcc_lo, exec_lo, s22
	s_cbranch_vccnz .LBB15_322
; %bb.321:
	v_and_b32_e32 v0, 0xff, v3
	global_store_b16 v[1:2], v0, off
.LBB15_322:
	s_mov_b32 s22, 0
.LBB15_323:
	s_delay_alu instid0(SALU_CYCLE_1)
	s_and_not1_b32 vcc_lo, exec_lo, s22
	s_cbranch_vccnz .LBB15_328
; %bb.324:
	v_cmp_lt_i16_e32 vcc_lo, 0, v4
	s_mov_b32 s22, -1
	s_cbranch_vccz .LBB15_326
; %bb.325:
	s_mov_b32 s22, 0
	global_store_b8 v[1:2], v3, off
.LBB15_326:
	s_and_not1_b32 vcc_lo, exec_lo, s22
	s_cbranch_vccnz .LBB15_328
; %bb.327:
	global_store_b8 v[1:2], v3, off
.LBB15_328:
	s_branch .LBB15_415
.LBB15_329:
	s_mov_b32 s22, 0
	s_branch .LBB15_523
.LBB15_330:
	s_mov_b32 s22, -1
	s_mov_b32 s3, s35
                                        ; implicit-def: $vgpr0
	s_branch .LBB15_440
.LBB15_331:
	s_mov_b32 s22, -1
	s_mov_b32 s3, s35
                                        ; implicit-def: $vgpr0
	s_branch .LBB15_423
.LBB15_332:
	s_mov_b32 s2, s34
	s_branch .LBB15_372
.LBB15_333:
	s_mov_b32 s22, -1
	s_mov_b32 s3, s35
                                        ; implicit-def: $vgpr0
	s_branch .LBB15_418
.LBB15_334:
	s_mov_b32 s2, s34
	s_branch .LBB15_355
.LBB15_335:
	s_mov_b32 s22, -1
	s_mov_b32 s3, s35
	s_branch .LBB15_340
.LBB15_336:
	s_mov_b32 s2, s34
	s_branch .LBB15_351
.LBB15_337:
	s_or_saveexec_b32 s34, s34
                                        ; implicit-def: $sgpr35
	s_delay_alu instid0(SALU_CYCLE_1)
	s_xor_b32 exec_lo, exec_lo, s34
	s_cbranch_execz .LBB15_65
.LBB15_338:
	v_add_f32_e32 v7, 0x42800000, v9
	s_and_not1_b32 s23, s23, exec_lo
	s_mov_b32 s35, 0
	s_delay_alu instid0(VALU_DEP_1) | instskip(NEXT) | instid1(VALU_DEP_1)
	v_and_b32_e32 v7, 0xff, v7
	v_cmp_ne_u32_e32 vcc_lo, 0, v7
	s_and_b32 s38, vcc_lo, exec_lo
	s_delay_alu instid0(SALU_CYCLE_1)
	s_or_b32 s23, s23, s38
	s_or_b32 exec_lo, exec_lo, s34
	v_mov_b32_e32 v10, s35
	s_and_saveexec_b32 s34, s23
	s_cbranch_execnz .LBB15_66
	s_branch .LBB15_67
.LBB15_339:
	s_mov_b32 s3, -1
.LBB15_340:
                                        ; implicit-def: $vgpr0
.LBB15_341:
	s_and_b32 vcc_lo, exec_lo, s22
	s_cbranch_vccz .LBB15_417
; %bb.342:
	v_cmp_eq_u16_e32 vcc_lo, 44, v6
	s_cbranch_vccz .LBB15_416
; %bb.343:
	global_load_u8 v0, v[3:4], off
	s_mov_b32 s3, 0
	s_mov_b32 s2, -1
	s_waitcnt vmcnt(0)
	v_lshlrev_b32_e32 v1, 23, v0
	v_cmp_ne_u32_e32 vcc_lo, 0, v0
	s_delay_alu instid0(VALU_DEP_2) | instskip(NEXT) | instid1(VALU_DEP_1)
	v_trunc_f32_e32 v1, v1
	v_mul_f32_e64 v7, 0x2f800000, |v1|
	s_delay_alu instid0(VALU_DEP_1) | instskip(NEXT) | instid1(VALU_DEP_1)
	v_floor_f32_e32 v7, v7
	v_fma_f32 v7, 0xcf800000, v7, |v1|
	v_ashrrev_i32_e32 v1, 31, v1
	s_delay_alu instid0(VALU_DEP_2) | instskip(NEXT) | instid1(VALU_DEP_1)
	v_cvt_u32_f32_e32 v7, v7
	v_xor_b32_e32 v7, v7, v1
	s_delay_alu instid0(VALU_DEP_1) | instskip(NEXT) | instid1(VALU_DEP_1)
	v_sub_nc_u32_e32 v1, v7, v1
	v_cndmask_b32_e32 v0, 0, v1, vcc_lo
	s_branch .LBB15_417
.LBB15_344:
	s_mov_b32 s2, s34
.LBB15_345:
	s_and_b32 vcc_lo, exec_lo, s23
	s_cbranch_vccz .LBB15_350
; %bb.346:
	v_cmp_eq_u16_e32 vcc_lo, 44, v4
	s_mov_b32 s2, -1
	s_cbranch_vccz .LBB15_350
; %bb.347:
	v_cvt_f32_ubyte0_e32 v10, v3
	v_mov_b32_e32 v9, 0xff
	s_mov_b32 s22, exec_lo
	s_delay_alu instid0(VALU_DEP_2) | instskip(NEXT) | instid1(VALU_DEP_1)
	v_lshrrev_b32_e32 v7, 23, v10
	v_cmpx_ne_u32_e32 0xff, v7
; %bb.348:
	v_and_b32_e32 v9, 0x400000, v10
	v_and_or_b32 v10, 0x3fffff, v10, v7
	s_delay_alu instid0(VALU_DEP_2) | instskip(NEXT) | instid1(VALU_DEP_2)
	v_cmp_ne_u32_e32 vcc_lo, 0, v9
	v_cmp_ne_u32_e64 s2, 0, v10
	s_delay_alu instid0(VALU_DEP_1) | instskip(NEXT) | instid1(SALU_CYCLE_1)
	s_and_b32 s2, vcc_lo, s2
	v_cndmask_b32_e64 v9, 0, 1, s2
	s_delay_alu instid0(VALU_DEP_1)
	v_add_nc_u32_e32 v9, v7, v9
; %bb.349:
	s_or_b32 exec_lo, exec_lo, s22
	s_mov_b32 s22, -1
	s_mov_b32 s2, 0
	global_store_b8 v[1:2], v9, off
.LBB15_350:
	s_mov_b32 s23, 0
.LBB15_351:
	s_delay_alu instid0(SALU_CYCLE_1)
	s_and_b32 vcc_lo, exec_lo, s23
	s_cbranch_vccz .LBB15_354
; %bb.352:
	v_cmp_eq_u16_e32 vcc_lo, 29, v4
	s_mov_b32 s2, -1
	s_cbranch_vccz .LBB15_354
; %bb.353:
	v_dual_mov_b32 v10, 0 :: v_dual_and_b32 v9, 0xff, v3
	s_mov_b32 s22, -1
	s_mov_b32 s2, 0
	s_mov_b32 s23, 0
	global_store_b64 v[1:2], v[9:10], off
	s_branch .LBB15_355
.LBB15_354:
	s_mov_b32 s23, 0
.LBB15_355:
	s_delay_alu instid0(SALU_CYCLE_1)
	s_and_b32 vcc_lo, exec_lo, s23
	s_cbranch_vccz .LBB15_371
; %bb.356:
	v_cmp_gt_i16_e32 vcc_lo, 27, v4
	s_mov_b32 s22, -1
	s_cbranch_vccnz .LBB15_362
; %bb.357:
	v_cmp_lt_i16_e32 vcc_lo, 27, v4
	s_cbranch_vccz .LBB15_359
; %bb.358:
	v_and_b32_e32 v7, 0xff, v3
	s_mov_b32 s22, 0
	global_store_b32 v[1:2], v7, off
.LBB15_359:
	s_and_not1_b32 vcc_lo, exec_lo, s22
	s_cbranch_vccnz .LBB15_361
; %bb.360:
	v_and_b32_e32 v7, 0xff, v3
	global_store_b16 v[1:2], v7, off
.LBB15_361:
	s_mov_b32 s22, 0
.LBB15_362:
	s_delay_alu instid0(SALU_CYCLE_1)
	s_and_not1_b32 vcc_lo, exec_lo, s22
	s_cbranch_vccnz .LBB15_370
; %bb.363:
	v_cvt_f32_ubyte0_e32 v9, v3
	v_mov_b32_e32 v10, 0x80
	s_mov_b32 s22, exec_lo
	s_delay_alu instid0(VALU_DEP_2)
	v_cmpx_gt_u32_e32 0x43800000, v9
	s_cbranch_execz .LBB15_369
; %bb.364:
	s_mov_b32 s23, 0
	s_mov_b32 s37, exec_lo
                                        ; implicit-def: $vgpr7
	v_cmpx_lt_u32_e32 0x3bffffff, v9
	s_xor_b32 s37, exec_lo, s37
	s_cbranch_execz .LBB15_551
; %bb.365:
	v_bfe_u32 v7, v9, 20, 1
	s_mov_b32 s23, exec_lo
	s_delay_alu instid0(VALU_DEP_1) | instskip(NEXT) | instid1(VALU_DEP_1)
	v_add3_u32 v7, v9, v7, 0x487ffff
                                        ; implicit-def: $vgpr9
	v_lshrrev_b32_e32 v7, 20, v7
	s_or_saveexec_b32 s37, s37
                                        ; implicit-def: $sgpr38
	s_delay_alu instid0(SALU_CYCLE_1)
	s_xor_b32 exec_lo, exec_lo, s37
	s_cbranch_execnz .LBB15_552
.LBB15_366:
	s_or_b32 exec_lo, exec_lo, s37
	v_mov_b32_e32 v10, s38
	s_and_saveexec_b32 s37, s23
.LBB15_367:
	v_mov_b32_e32 v10, v7
.LBB15_368:
	s_or_b32 exec_lo, exec_lo, s37
.LBB15_369:
	s_delay_alu instid0(SALU_CYCLE_1)
	s_or_b32 exec_lo, exec_lo, s22
	global_store_b8 v[1:2], v10, off
.LBB15_370:
	s_mov_b32 s22, -1
.LBB15_371:
	s_mov_b32 s23, 0
.LBB15_372:
	s_delay_alu instid0(SALU_CYCLE_1)
	s_and_b32 vcc_lo, exec_lo, s23
	s_cbranch_vccz .LBB15_413
; %bb.373:
	v_cmp_lt_i16_e32 vcc_lo, 22, v4
	s_mov_b32 s23, -1
	s_cbranch_vccz .LBB15_405
; %bb.374:
	v_cmp_gt_i16_e32 vcc_lo, 24, v4
	s_mov_b32 s22, -1
	s_cbranch_vccnz .LBB15_394
; %bb.375:
	v_cmp_lt_i16_e32 vcc_lo, 24, v4
	s_cbranch_vccz .LBB15_383
; %bb.376:
	v_cvt_f32_ubyte0_e32 v9, v3
	v_mov_b32_e32 v10, 0x80
	s_mov_b32 s22, exec_lo
	s_delay_alu instid0(VALU_DEP_2)
	v_cmpx_gt_u32_e32 0x47800000, v9
	s_cbranch_execz .LBB15_382
; %bb.377:
	s_mov_b32 s23, 0
	s_mov_b32 s37, exec_lo
                                        ; implicit-def: $vgpr7
	v_cmpx_lt_u32_e32 0x37ffffff, v9
	s_xor_b32 s37, exec_lo, s37
	s_cbranch_execz .LBB15_554
; %bb.378:
	v_bfe_u32 v7, v9, 21, 1
	s_mov_b32 s23, exec_lo
	s_delay_alu instid0(VALU_DEP_1) | instskip(NEXT) | instid1(VALU_DEP_1)
	v_add3_u32 v7, v9, v7, 0x88fffff
                                        ; implicit-def: $vgpr9
	v_lshrrev_b32_e32 v7, 21, v7
	s_or_saveexec_b32 s37, s37
                                        ; implicit-def: $sgpr38
	s_delay_alu instid0(SALU_CYCLE_1)
	s_xor_b32 exec_lo, exec_lo, s37
	s_cbranch_execnz .LBB15_555
.LBB15_379:
	s_or_b32 exec_lo, exec_lo, s37
	v_mov_b32_e32 v10, s38
	s_and_saveexec_b32 s37, s23
.LBB15_380:
	v_mov_b32_e32 v10, v7
.LBB15_381:
	s_or_b32 exec_lo, exec_lo, s37
.LBB15_382:
	s_delay_alu instid0(SALU_CYCLE_1)
	s_or_b32 exec_lo, exec_lo, s22
	s_mov_b32 s22, 0
	global_store_b8 v[1:2], v10, off
.LBB15_383:
	s_and_b32 vcc_lo, exec_lo, s22
	s_cbranch_vccz .LBB15_393
; %bb.384:
	v_cvt_f32_ubyte0_e32 v9, v3
	s_mov_b32 s22, exec_lo
                                        ; implicit-def: $vgpr7
	s_delay_alu instid0(VALU_DEP_1)
	v_cmpx_gt_u32_e32 0x43f00000, v9
	s_xor_b32 s22, exec_lo, s22
	s_cbranch_execz .LBB15_390
; %bb.385:
	s_mov_b32 s23, exec_lo
                                        ; implicit-def: $vgpr7
	v_cmpx_lt_u32_e32 0x3c7fffff, v9
	s_xor_b32 s23, exec_lo, s23
; %bb.386:
	v_bfe_u32 v7, v9, 20, 1
	s_delay_alu instid0(VALU_DEP_1) | instskip(NEXT) | instid1(VALU_DEP_1)
	v_add3_u32 v7, v9, v7, 0x407ffff
	v_and_b32_e32 v9, 0xff00000, v7
	v_lshrrev_b32_e32 v7, 20, v7
	s_delay_alu instid0(VALU_DEP_2) | instskip(NEXT) | instid1(VALU_DEP_2)
	v_cmp_ne_u32_e32 vcc_lo, 0x7f00000, v9
                                        ; implicit-def: $vgpr9
	v_cndmask_b32_e32 v7, 0x7e, v7, vcc_lo
; %bb.387:
	s_and_not1_saveexec_b32 s23, s23
; %bb.388:
	v_add_f32_e32 v7, 0x46800000, v9
; %bb.389:
	s_or_b32 exec_lo, exec_lo, s23
                                        ; implicit-def: $vgpr9
.LBB15_390:
	s_and_not1_saveexec_b32 s22, s22
; %bb.391:
	v_mov_b32_e32 v7, 0x7f
	v_cmp_lt_u32_e32 vcc_lo, 0x7f800000, v9
	s_delay_alu instid0(VALU_DEP_2)
	v_cndmask_b32_e32 v7, 0x7e, v7, vcc_lo
; %bb.392:
	s_or_b32 exec_lo, exec_lo, s22
	global_store_b8 v[1:2], v7, off
.LBB15_393:
	s_mov_b32 s22, 0
.LBB15_394:
	s_delay_alu instid0(SALU_CYCLE_1)
	s_and_not1_b32 vcc_lo, exec_lo, s22
	s_cbranch_vccnz .LBB15_404
; %bb.395:
	v_cvt_f32_ubyte0_e32 v9, v3
	s_mov_b32 s22, exec_lo
                                        ; implicit-def: $vgpr7
	s_delay_alu instid0(VALU_DEP_1)
	v_cmpx_gt_u32_e32 0x47800000, v9
	s_xor_b32 s22, exec_lo, s22
	s_cbranch_execz .LBB15_401
; %bb.396:
	s_mov_b32 s23, exec_lo
                                        ; implicit-def: $vgpr7
	v_cmpx_lt_u32_e32 0x387fffff, v9
	s_xor_b32 s23, exec_lo, s23
; %bb.397:
	v_bfe_u32 v7, v9, 21, 1
	s_delay_alu instid0(VALU_DEP_1) | instskip(NEXT) | instid1(VALU_DEP_1)
	v_add3_u32 v7, v9, v7, 0x80fffff
                                        ; implicit-def: $vgpr9
	v_lshrrev_b32_e32 v7, 21, v7
; %bb.398:
	s_and_not1_saveexec_b32 s23, s23
; %bb.399:
	v_add_f32_e32 v7, 0x43000000, v9
; %bb.400:
	s_or_b32 exec_lo, exec_lo, s23
                                        ; implicit-def: $vgpr9
.LBB15_401:
	s_and_not1_saveexec_b32 s22, s22
; %bb.402:
	v_mov_b32_e32 v7, 0x7f
	v_cmp_lt_u32_e32 vcc_lo, 0x7f800000, v9
	s_delay_alu instid0(VALU_DEP_2)
	v_cndmask_b32_e32 v7, 0x7c, v7, vcc_lo
; %bb.403:
	s_or_b32 exec_lo, exec_lo, s22
	global_store_b8 v[1:2], v7, off
.LBB15_404:
	s_mov_b32 s23, 0
	s_mov_b32 s22, -1
.LBB15_405:
	s_and_not1_b32 vcc_lo, exec_lo, s23
	s_cbranch_vccnz .LBB15_413
; %bb.406:
	v_cmp_lt_i16_e32 vcc_lo, 14, v4
	s_mov_b32 s23, -1
	s_cbranch_vccz .LBB15_410
; %bb.407:
	v_cmp_eq_u16_e32 vcc_lo, 15, v4
	s_mov_b32 s2, -1
	s_cbranch_vccz .LBB15_409
; %bb.408:
	v_cvt_f32_ubyte0_e32 v7, v3
	s_mov_b32 s22, -1
	s_mov_b32 s2, 0
	s_delay_alu instid0(VALU_DEP_1) | instskip(NEXT) | instid1(VALU_DEP_1)
	v_bfe_u32 v9, v7, 16, 1
	v_add3_u32 v7, v7, v9, 0x7fff
	global_store_d16_hi_b16 v[1:2], v7, off
.LBB15_409:
	s_mov_b32 s23, 0
.LBB15_410:
	s_delay_alu instid0(SALU_CYCLE_1)
	s_and_b32 vcc_lo, exec_lo, s23
	s_cbranch_vccz .LBB15_413
; %bb.411:
	v_cmp_eq_u16_e32 vcc_lo, 11, v4
	s_mov_b32 s2, -1
	s_cbranch_vccz .LBB15_413
; %bb.412:
	v_and_b32_e32 v0, 0xff, v0
	s_mov_b32 s22, -1
	s_mov_b32 s2, 0
	s_delay_alu instid0(VALU_DEP_1)
	v_cmp_ne_u16_e32 vcc_lo, 0xff, v0
	v_cndmask_b32_e64 v0, 0, 1, vcc_lo
	global_store_b8 v[1:2], v0, off
.LBB15_413:
.LBB15_414:
	s_and_not1_b32 vcc_lo, exec_lo, s22
	s_cbranch_vccnz .LBB15_329
.LBB15_415:
	v_add_nc_u32_e32 v8, 0x80, v8
	s_mov_b32 s22, -1
	s_branch .LBB15_524
.LBB15_416:
	s_mov_b32 s3, -1
                                        ; implicit-def: $vgpr0
.LBB15_417:
	s_mov_b32 s22, 0
.LBB15_418:
	s_delay_alu instid0(SALU_CYCLE_1)
	s_and_b32 vcc_lo, exec_lo, s22
	s_cbranch_vccz .LBB15_422
; %bb.419:
	v_cmp_eq_u16_e32 vcc_lo, 29, v6
	s_cbranch_vccz .LBB15_421
; %bb.420:
	global_load_b64 v[0:1], v[3:4], off
	s_mov_b32 s2, -1
	s_mov_b32 s3, 0
	s_branch .LBB15_422
.LBB15_421:
	s_mov_b32 s3, -1
                                        ; implicit-def: $vgpr0
.LBB15_422:
	s_mov_b32 s22, 0
.LBB15_423:
	s_delay_alu instid0(SALU_CYCLE_1)
	s_and_b32 vcc_lo, exec_lo, s22
	s_cbranch_vccz .LBB15_439
; %bb.424:
	v_cmp_gt_i16_e32 vcc_lo, 27, v6
	s_cbranch_vccnz .LBB15_427
; %bb.425:
	v_cmp_lt_i16_e32 vcc_lo, 27, v6
	s_cbranch_vccz .LBB15_428
; %bb.426:
	global_load_b32 v0, v[3:4], off
	s_mov_b32 s2, 0
	s_branch .LBB15_429
.LBB15_427:
	s_mov_b32 s2, -1
                                        ; implicit-def: $vgpr0
	s_branch .LBB15_432
.LBB15_428:
	s_mov_b32 s2, -1
                                        ; implicit-def: $vgpr0
.LBB15_429:
	s_delay_alu instid0(SALU_CYCLE_1)
	s_and_not1_b32 vcc_lo, exec_lo, s2
	s_cbranch_vccnz .LBB15_431
; %bb.430:
	global_load_u16 v0, v[3:4], off
.LBB15_431:
	s_mov_b32 s2, 0
.LBB15_432:
	s_delay_alu instid0(SALU_CYCLE_1)
	s_and_not1_b32 vcc_lo, exec_lo, s2
	s_cbranch_vccnz .LBB15_438
; %bb.433:
	global_load_u8 v1, v[3:4], off
	s_mov_b32 s22, 0
	s_mov_b32 s2, exec_lo
                                        ; implicit-def: $sgpr23
	s_waitcnt vmcnt(0)
	v_cmpx_lt_i16_e32 0x7f, v1
	s_xor_b32 s2, exec_lo, s2
	s_cbranch_execz .LBB15_450
; %bb.434:
	v_cmp_ne_u16_e32 vcc_lo, 0x80, v1
	s_mov_b32 s23, 0
	s_and_b32 s22, vcc_lo, exec_lo
	s_or_saveexec_b32 s2, s2
	v_mov_b32_e32 v0, s23
	s_xor_b32 exec_lo, exec_lo, s2
	s_cbranch_execnz .LBB15_451
.LBB15_435:
	s_or_b32 exec_lo, exec_lo, s2
	s_and_saveexec_b32 s2, s22
	s_cbranch_execz .LBB15_437
.LBB15_436:
	v_and_b32_e32 v0, 0xffff, v1
	v_lshlrev_b32_e32 v1, 24, v1
	s_delay_alu instid0(VALU_DEP_2) | instskip(NEXT) | instid1(VALU_DEP_2)
	v_and_b32_e32 v7, 7, v0
	v_and_b32_e32 v1, 0x80000000, v1
	s_delay_alu instid0(VALU_DEP_2) | instskip(NEXT) | instid1(VALU_DEP_1)
	v_clz_i32_u32_e32 v9, v7
	v_min_u32_e32 v9, 32, v9
	s_delay_alu instid0(VALU_DEP_1) | instskip(SKIP_1) | instid1(VALU_DEP_2)
	v_subrev_nc_u32_e32 v10, 28, v9
	v_sub_nc_u32_e32 v9, 29, v9
	v_lshlrev_b32_e32 v10, v10, v0
	v_bfe_u32 v0, v0, 3, 4
	s_delay_alu instid0(VALU_DEP_2) | instskip(NEXT) | instid1(VALU_DEP_2)
	v_and_b32_e32 v10, 7, v10
	v_cmp_eq_u32_e32 vcc_lo, 0, v0
	s_delay_alu instid0(VALU_DEP_2) | instskip(NEXT) | instid1(VALU_DEP_1)
	v_dual_cndmask_b32 v0, v0, v9 :: v_dual_cndmask_b32 v7, v7, v10
	v_lshl_add_u32 v0, v0, 23, 0x3b800000
	s_delay_alu instid0(VALU_DEP_2) | instskip(NEXT) | instid1(VALU_DEP_1)
	v_lshlrev_b32_e32 v7, 20, v7
	v_or3_b32 v0, v1, v0, v7
	s_delay_alu instid0(VALU_DEP_1) | instskip(NEXT) | instid1(VALU_DEP_1)
	v_trunc_f32_e32 v0, v0
	v_mul_f32_e64 v1, 0x2f800000, |v0|
	s_delay_alu instid0(VALU_DEP_1) | instskip(NEXT) | instid1(VALU_DEP_1)
	v_floor_f32_e32 v1, v1
	v_fma_f32 v1, 0xcf800000, v1, |v0|
	v_ashrrev_i32_e32 v0, 31, v0
	s_delay_alu instid0(VALU_DEP_2) | instskip(NEXT) | instid1(VALU_DEP_1)
	v_cvt_u32_f32_e32 v1, v1
	v_xor_b32_e32 v1, v1, v0
	s_delay_alu instid0(VALU_DEP_1)
	v_sub_nc_u32_e32 v0, v1, v0
.LBB15_437:
	s_or_b32 exec_lo, exec_lo, s2
.LBB15_438:
	s_mov_b32 s2, -1
.LBB15_439:
	s_mov_b32 s22, 0
.LBB15_440:
	s_delay_alu instid0(SALU_CYCLE_1)
	s_and_b32 vcc_lo, exec_lo, s22
	s_cbranch_vccz .LBB15_473
; %bb.441:
	v_cmp_lt_i16_e32 vcc_lo, 22, v6
	s_cbranch_vccz .LBB15_449
; %bb.442:
	v_cmp_gt_i16_e32 vcc_lo, 24, v6
	s_cbranch_vccnz .LBB15_452
; %bb.443:
	v_cmp_lt_i16_e32 vcc_lo, 24, v6
	s_cbranch_vccz .LBB15_453
; %bb.444:
	global_load_u8 v1, v[3:4], off
	s_mov_b32 s22, 0
	s_mov_b32 s2, exec_lo
                                        ; implicit-def: $sgpr23
	s_waitcnt vmcnt(0)
	v_cmpx_lt_i16_e32 0x7f, v1
	s_xor_b32 s2, exec_lo, s2
	s_cbranch_execz .LBB15_465
; %bb.445:
	v_cmp_ne_u16_e32 vcc_lo, 0x80, v1
	s_mov_b32 s23, 0
	s_and_b32 s22, vcc_lo, exec_lo
	s_or_saveexec_b32 s2, s2
	v_mov_b32_e32 v0, s23
	s_xor_b32 exec_lo, exec_lo, s2
	s_cbranch_execnz .LBB15_466
.LBB15_446:
	s_or_b32 exec_lo, exec_lo, s2
	s_and_saveexec_b32 s2, s22
	s_cbranch_execz .LBB15_448
.LBB15_447:
	v_and_b32_e32 v0, 0xffff, v1
	v_lshlrev_b32_e32 v1, 24, v1
	s_delay_alu instid0(VALU_DEP_2) | instskip(NEXT) | instid1(VALU_DEP_2)
	v_and_b32_e32 v7, 3, v0
	v_and_b32_e32 v1, 0x80000000, v1
	s_delay_alu instid0(VALU_DEP_2) | instskip(NEXT) | instid1(VALU_DEP_1)
	v_clz_i32_u32_e32 v9, v7
	v_min_u32_e32 v9, 32, v9
	s_delay_alu instid0(VALU_DEP_1) | instskip(SKIP_1) | instid1(VALU_DEP_2)
	v_subrev_nc_u32_e32 v10, 29, v9
	v_sub_nc_u32_e32 v9, 30, v9
	v_lshlrev_b32_e32 v10, v10, v0
	v_bfe_u32 v0, v0, 2, 5
	s_delay_alu instid0(VALU_DEP_2) | instskip(NEXT) | instid1(VALU_DEP_2)
	v_and_b32_e32 v10, 3, v10
	v_cmp_eq_u32_e32 vcc_lo, 0, v0
	s_delay_alu instid0(VALU_DEP_2) | instskip(NEXT) | instid1(VALU_DEP_1)
	v_dual_cndmask_b32 v0, v0, v9 :: v_dual_cndmask_b32 v7, v7, v10
	v_lshl_add_u32 v0, v0, 23, 0x37800000
	s_delay_alu instid0(VALU_DEP_2) | instskip(NEXT) | instid1(VALU_DEP_1)
	v_lshlrev_b32_e32 v7, 21, v7
	v_or3_b32 v0, v1, v0, v7
	s_delay_alu instid0(VALU_DEP_1) | instskip(NEXT) | instid1(VALU_DEP_1)
	v_trunc_f32_e32 v0, v0
	v_mul_f32_e64 v1, 0x2f800000, |v0|
	s_delay_alu instid0(VALU_DEP_1) | instskip(NEXT) | instid1(VALU_DEP_1)
	v_floor_f32_e32 v1, v1
	v_fma_f32 v1, 0xcf800000, v1, |v0|
	v_ashrrev_i32_e32 v0, 31, v0
	s_delay_alu instid0(VALU_DEP_2) | instskip(NEXT) | instid1(VALU_DEP_1)
	v_cvt_u32_f32_e32 v1, v1
	v_xor_b32_e32 v1, v1, v0
	s_delay_alu instid0(VALU_DEP_1)
	v_sub_nc_u32_e32 v0, v1, v0
.LBB15_448:
	s_or_b32 exec_lo, exec_lo, s2
	s_mov_b32 s2, 0
	s_branch .LBB15_454
.LBB15_449:
	s_mov_b32 s22, -1
                                        ; implicit-def: $vgpr0
	s_branch .LBB15_460
.LBB15_450:
	s_or_saveexec_b32 s2, s2
	v_mov_b32_e32 v0, s23
	s_xor_b32 exec_lo, exec_lo, s2
	s_cbranch_execz .LBB15_435
.LBB15_451:
	v_cmp_ne_u16_e32 vcc_lo, 0, v1
	v_mov_b32_e32 v0, 0
	s_and_not1_b32 s22, s22, exec_lo
	s_and_b32 s23, vcc_lo, exec_lo
	s_delay_alu instid0(SALU_CYCLE_1)
	s_or_b32 s22, s22, s23
	s_or_b32 exec_lo, exec_lo, s2
	s_and_saveexec_b32 s2, s22
	s_cbranch_execnz .LBB15_436
	s_branch .LBB15_437
.LBB15_452:
	s_mov_b32 s2, -1
                                        ; implicit-def: $vgpr0
	s_branch .LBB15_457
.LBB15_453:
	s_mov_b32 s2, -1
                                        ; implicit-def: $vgpr0
.LBB15_454:
	s_delay_alu instid0(SALU_CYCLE_1)
	s_and_b32 vcc_lo, exec_lo, s2
	s_cbranch_vccz .LBB15_456
; %bb.455:
	global_load_u8 v0, v[3:4], off
	s_waitcnt vmcnt(0)
	v_lshlrev_b32_e32 v0, 24, v0
	s_delay_alu instid0(VALU_DEP_1) | instskip(NEXT) | instid1(VALU_DEP_1)
	v_and_b32_e32 v1, 0x7f000000, v0
	v_clz_i32_u32_e32 v7, v1
	v_add_nc_u32_e32 v10, 0x1000000, v1
	v_cmp_ne_u32_e32 vcc_lo, 0, v1
	s_delay_alu instid0(VALU_DEP_3) | instskip(NEXT) | instid1(VALU_DEP_1)
	v_min_u32_e32 v7, 32, v7
	v_sub_nc_u32_e64 v7, v7, 4 clamp
	s_delay_alu instid0(VALU_DEP_1) | instskip(SKIP_1) | instid1(VALU_DEP_2)
	v_lshlrev_b32_e32 v9, v7, v1
	v_lshlrev_b32_e32 v7, 23, v7
	v_lshrrev_b32_e32 v9, 4, v9
	s_delay_alu instid0(VALU_DEP_1) | instskip(SKIP_1) | instid1(VALU_DEP_2)
	v_sub_nc_u32_e32 v7, v9, v7
	v_ashrrev_i32_e32 v9, 8, v10
	v_add_nc_u32_e32 v7, 0x3c000000, v7
	s_delay_alu instid0(VALU_DEP_1) | instskip(NEXT) | instid1(VALU_DEP_1)
	v_and_or_b32 v7, 0x7f800000, v9, v7
	v_cndmask_b32_e32 v1, 0, v7, vcc_lo
	s_delay_alu instid0(VALU_DEP_1) | instskip(NEXT) | instid1(VALU_DEP_1)
	v_and_or_b32 v0, 0x80000000, v0, v1
	v_trunc_f32_e32 v0, v0
	s_delay_alu instid0(VALU_DEP_1) | instskip(NEXT) | instid1(VALU_DEP_1)
	v_mul_f32_e64 v1, 0x2f800000, |v0|
	v_floor_f32_e32 v1, v1
	s_delay_alu instid0(VALU_DEP_1) | instskip(SKIP_1) | instid1(VALU_DEP_2)
	v_fma_f32 v1, 0xcf800000, v1, |v0|
	v_ashrrev_i32_e32 v0, 31, v0
	v_cvt_u32_f32_e32 v1, v1
	s_delay_alu instid0(VALU_DEP_1) | instskip(NEXT) | instid1(VALU_DEP_1)
	v_xor_b32_e32 v1, v1, v0
	v_sub_nc_u32_e32 v0, v1, v0
.LBB15_456:
	s_mov_b32 s2, 0
.LBB15_457:
	s_delay_alu instid0(SALU_CYCLE_1)
	s_and_not1_b32 vcc_lo, exec_lo, s2
	s_cbranch_vccnz .LBB15_459
; %bb.458:
	global_load_u8 v0, v[3:4], off
	s_waitcnt vmcnt(0)
	v_lshlrev_b32_e32 v1, 25, v0
	v_lshlrev_b16 v0, 8, v0
	s_delay_alu instid0(VALU_DEP_2) | instskip(NEXT) | instid1(VALU_DEP_2)
	v_lshrrev_b32_e32 v7, 4, v1
	v_and_or_b32 v9, 0x7f00, v0, 0.5
	v_cmp_gt_u32_e32 vcc_lo, 0x8000000, v1
	v_bfe_i32 v0, v0, 0, 16
	s_delay_alu instid0(VALU_DEP_4) | instskip(NEXT) | instid1(VALU_DEP_4)
	v_or_b32_e32 v7, 0x70000000, v7
	v_add_f32_e32 v9, -0.5, v9
	s_delay_alu instid0(VALU_DEP_2) | instskip(NEXT) | instid1(VALU_DEP_1)
	v_mul_f32_e32 v7, 0x7800000, v7
	v_cndmask_b32_e32 v1, v7, v9, vcc_lo
	s_delay_alu instid0(VALU_DEP_1) | instskip(NEXT) | instid1(VALU_DEP_1)
	v_and_or_b32 v0, 0x80000000, v0, v1
	v_trunc_f32_e32 v0, v0
	s_delay_alu instid0(VALU_DEP_1) | instskip(NEXT) | instid1(VALU_DEP_1)
	v_mul_f32_e64 v1, 0x2f800000, |v0|
	v_floor_f32_e32 v1, v1
	s_delay_alu instid0(VALU_DEP_1) | instskip(SKIP_1) | instid1(VALU_DEP_2)
	v_fma_f32 v1, 0xcf800000, v1, |v0|
	v_ashrrev_i32_e32 v0, 31, v0
	v_cvt_u32_f32_e32 v1, v1
	s_delay_alu instid0(VALU_DEP_1) | instskip(NEXT) | instid1(VALU_DEP_1)
	v_xor_b32_e32 v1, v1, v0
	v_sub_nc_u32_e32 v0, v1, v0
.LBB15_459:
	s_mov_b32 s22, 0
	s_mov_b32 s2, -1
.LBB15_460:
	s_and_not1_b32 vcc_lo, exec_lo, s22
	s_cbranch_vccnz .LBB15_473
; %bb.461:
	v_cmp_lt_i16_e32 vcc_lo, 14, v6
	s_cbranch_vccz .LBB15_464
; %bb.462:
	v_cmp_eq_u16_e32 vcc_lo, 15, v6
	s_cbranch_vccz .LBB15_467
; %bb.463:
	global_load_u16 v0, v[3:4], off
	s_mov_b32 s2, -1
	s_mov_b32 s3, 0
	s_waitcnt vmcnt(0)
	v_lshlrev_b32_e32 v0, 16, v0
	s_delay_alu instid0(VALU_DEP_1) | instskip(NEXT) | instid1(VALU_DEP_1)
	v_trunc_f32_e32 v0, v0
	v_mul_f32_e64 v1, 0x2f800000, |v0|
	s_delay_alu instid0(VALU_DEP_1) | instskip(NEXT) | instid1(VALU_DEP_1)
	v_floor_f32_e32 v1, v1
	v_fma_f32 v1, 0xcf800000, v1, |v0|
	v_ashrrev_i32_e32 v0, 31, v0
	s_delay_alu instid0(VALU_DEP_2) | instskip(NEXT) | instid1(VALU_DEP_1)
	v_cvt_u32_f32_e32 v1, v1
	v_xor_b32_e32 v1, v1, v0
	s_delay_alu instid0(VALU_DEP_1)
	v_sub_nc_u32_e32 v0, v1, v0
	s_branch .LBB15_468
.LBB15_464:
	s_mov_b32 s22, -1
                                        ; implicit-def: $vgpr0
	s_branch .LBB15_469
.LBB15_465:
	s_or_saveexec_b32 s2, s2
	v_mov_b32_e32 v0, s23
	s_xor_b32 exec_lo, exec_lo, s2
	s_cbranch_execz .LBB15_446
.LBB15_466:
	v_cmp_ne_u16_e32 vcc_lo, 0, v1
	v_mov_b32_e32 v0, 0
	s_and_not1_b32 s22, s22, exec_lo
	s_and_b32 s23, vcc_lo, exec_lo
	s_delay_alu instid0(SALU_CYCLE_1)
	s_or_b32 s22, s22, s23
	s_or_b32 exec_lo, exec_lo, s2
	s_and_saveexec_b32 s2, s22
	s_cbranch_execnz .LBB15_447
	s_branch .LBB15_448
.LBB15_467:
	s_mov_b32 s3, -1
                                        ; implicit-def: $vgpr0
.LBB15_468:
	s_mov_b32 s22, 0
.LBB15_469:
	s_delay_alu instid0(SALU_CYCLE_1)
	s_and_b32 vcc_lo, exec_lo, s22
	s_cbranch_vccz .LBB15_473
; %bb.470:
	v_cmp_eq_u16_e32 vcc_lo, 11, v6
	s_cbranch_vccz .LBB15_472
; %bb.471:
	global_load_u8 v0, v[3:4], off
	s_mov_b32 s3, 0
	s_mov_b32 s2, -1
	s_waitcnt vmcnt(0)
	v_cmp_ne_u16_e32 vcc_lo, 0, v0
	v_cndmask_b32_e64 v0, 0, 1, vcc_lo
	s_branch .LBB15_473
.LBB15_472:
	s_mov_b32 s3, -1
                                        ; implicit-def: $vgpr0
.LBB15_473:
	s_branch .LBB15_282
.LBB15_474:
	v_cmp_gt_i16_e32 vcc_lo, 5, v6
	s_cbranch_vccnz .LBB15_479
; %bb.475:
	v_cmp_gt_i16_e32 vcc_lo, 8, v6
	s_cbranch_vccnz .LBB15_480
; %bb.476:
	;; [unrolled: 3-line block ×3, first 2 shown]
	v_cmp_lt_i16_e32 vcc_lo, 9, v6
	s_cbranch_vccz .LBB15_482
; %bb.478:
	global_load_b64 v[0:1], v[3:4], off
	s_mov_b32 s2, 0
	s_waitcnt vmcnt(0)
	v_trunc_f64_e32 v[0:1], v[0:1]
	s_delay_alu instid0(VALU_DEP_1) | instskip(NEXT) | instid1(VALU_DEP_1)
	v_ldexp_f64 v[9:10], v[0:1], 0xffffffe0
	v_floor_f64_e32 v[9:10], v[9:10]
	s_delay_alu instid0(VALU_DEP_1) | instskip(NEXT) | instid1(VALU_DEP_1)
	v_fma_f64 v[0:1], 0xc1f00000, v[9:10], v[0:1]
	v_cvt_u32_f64_e32 v0, v[0:1]
	s_branch .LBB15_483
.LBB15_479:
	s_mov_b32 s2, -1
                                        ; implicit-def: $vgpr0
	s_branch .LBB15_501
.LBB15_480:
	s_mov_b32 s2, -1
                                        ; implicit-def: $vgpr0
	s_branch .LBB15_489
.LBB15_481:
	s_mov_b32 s2, -1
                                        ; implicit-def: $vgpr0
	s_branch .LBB15_486
.LBB15_482:
	s_mov_b32 s2, -1
                                        ; implicit-def: $vgpr0
.LBB15_483:
	s_delay_alu instid0(SALU_CYCLE_1)
	s_and_not1_b32 vcc_lo, exec_lo, s2
	s_cbranch_vccnz .LBB15_485
; %bb.484:
	global_load_b32 v0, v[3:4], off
	s_waitcnt vmcnt(0)
	v_trunc_f32_e32 v0, v0
	s_delay_alu instid0(VALU_DEP_1) | instskip(NEXT) | instid1(VALU_DEP_1)
	v_mul_f32_e64 v1, 0x2f800000, |v0|
	v_floor_f32_e32 v1, v1
	s_delay_alu instid0(VALU_DEP_1) | instskip(SKIP_1) | instid1(VALU_DEP_2)
	v_fma_f32 v1, 0xcf800000, v1, |v0|
	v_ashrrev_i32_e32 v0, 31, v0
	v_cvt_u32_f32_e32 v1, v1
	s_delay_alu instid0(VALU_DEP_1) | instskip(NEXT) | instid1(VALU_DEP_1)
	v_xor_b32_e32 v1, v1, v0
	v_sub_nc_u32_e32 v0, v1, v0
.LBB15_485:
	s_mov_b32 s2, 0
.LBB15_486:
	s_delay_alu instid0(SALU_CYCLE_1)
	s_and_not1_b32 vcc_lo, exec_lo, s2
	s_cbranch_vccnz .LBB15_488
; %bb.487:
	global_load_b32 v0, v[3:4], off
	s_waitcnt vmcnt(0)
	v_cvt_f32_f16_e32 v0, v0
	s_delay_alu instid0(VALU_DEP_1)
	v_cvt_i32_f32_e32 v0, v0
.LBB15_488:
	s_mov_b32 s2, 0
.LBB15_489:
	s_delay_alu instid0(SALU_CYCLE_1)
	s_and_not1_b32 vcc_lo, exec_lo, s2
	s_cbranch_vccnz .LBB15_500
; %bb.490:
	v_cmp_gt_i16_e32 vcc_lo, 6, v6
	s_cbranch_vccnz .LBB15_493
; %bb.491:
	v_cmp_lt_i16_e32 vcc_lo, 6, v6
	s_cbranch_vccz .LBB15_494
; %bb.492:
	global_load_b64 v[0:1], v[3:4], off
	s_mov_b32 s2, 0
	s_waitcnt vmcnt(0)
	v_trunc_f64_e32 v[0:1], v[0:1]
	s_delay_alu instid0(VALU_DEP_1) | instskip(NEXT) | instid1(VALU_DEP_1)
	v_ldexp_f64 v[9:10], v[0:1], 0xffffffe0
	v_floor_f64_e32 v[9:10], v[9:10]
	s_delay_alu instid0(VALU_DEP_1) | instskip(NEXT) | instid1(VALU_DEP_1)
	v_fma_f64 v[0:1], 0xc1f00000, v[9:10], v[0:1]
	v_cvt_u32_f64_e32 v0, v[0:1]
	s_branch .LBB15_495
.LBB15_493:
	s_mov_b32 s2, -1
                                        ; implicit-def: $vgpr0
	s_branch .LBB15_498
.LBB15_494:
	s_mov_b32 s2, -1
                                        ; implicit-def: $vgpr0
.LBB15_495:
	s_delay_alu instid0(SALU_CYCLE_1)
	s_and_not1_b32 vcc_lo, exec_lo, s2
	s_cbranch_vccnz .LBB15_497
; %bb.496:
	global_load_b32 v0, v[3:4], off
	s_waitcnt vmcnt(0)
	v_trunc_f32_e32 v0, v0
	s_delay_alu instid0(VALU_DEP_1) | instskip(NEXT) | instid1(VALU_DEP_1)
	v_mul_f32_e64 v1, 0x2f800000, |v0|
	v_floor_f32_e32 v1, v1
	s_delay_alu instid0(VALU_DEP_1) | instskip(SKIP_1) | instid1(VALU_DEP_2)
	v_fma_f32 v1, 0xcf800000, v1, |v0|
	v_ashrrev_i32_e32 v0, 31, v0
	v_cvt_u32_f32_e32 v1, v1
	s_delay_alu instid0(VALU_DEP_1) | instskip(NEXT) | instid1(VALU_DEP_1)
	v_xor_b32_e32 v1, v1, v0
	v_sub_nc_u32_e32 v0, v1, v0
.LBB15_497:
	s_mov_b32 s2, 0
.LBB15_498:
	s_delay_alu instid0(SALU_CYCLE_1)
	s_and_not1_b32 vcc_lo, exec_lo, s2
	s_cbranch_vccnz .LBB15_500
; %bb.499:
	global_load_u16 v0, v[3:4], off
	s_waitcnt vmcnt(0)
	v_cvt_f32_f16_e32 v0, v0
	s_delay_alu instid0(VALU_DEP_1)
	v_cvt_i32_f32_e32 v0, v0
.LBB15_500:
	s_mov_b32 s2, 0
.LBB15_501:
	s_delay_alu instid0(SALU_CYCLE_1)
	s_and_not1_b32 vcc_lo, exec_lo, s2
	s_cbranch_vccnz .LBB15_521
; %bb.502:
	v_cmp_gt_i16_e32 vcc_lo, 2, v6
	s_cbranch_vccnz .LBB15_506
; %bb.503:
	v_cmp_gt_i16_e32 vcc_lo, 3, v6
	s_cbranch_vccnz .LBB15_507
; %bb.504:
	v_cmp_lt_i16_e32 vcc_lo, 3, v6
	s_cbranch_vccz .LBB15_508
; %bb.505:
	global_load_b64 v[0:1], v[3:4], off
	s_mov_b32 s2, 0
	s_branch .LBB15_509
.LBB15_506:
	s_mov_b32 s2, -1
                                        ; implicit-def: $vgpr0
	s_branch .LBB15_515
.LBB15_507:
	s_mov_b32 s2, -1
                                        ; implicit-def: $vgpr0
	s_branch .LBB15_512
.LBB15_508:
	s_mov_b32 s2, -1
                                        ; implicit-def: $vgpr0
.LBB15_509:
	s_delay_alu instid0(SALU_CYCLE_1)
	s_and_not1_b32 vcc_lo, exec_lo, s2
	s_cbranch_vccnz .LBB15_511
; %bb.510:
	global_load_b32 v0, v[3:4], off
.LBB15_511:
	s_mov_b32 s2, 0
.LBB15_512:
	s_delay_alu instid0(SALU_CYCLE_1)
	s_and_not1_b32 vcc_lo, exec_lo, s2
	s_cbranch_vccnz .LBB15_514
; %bb.513:
	global_load_u16 v0, v[3:4], off
.LBB15_514:
	s_mov_b32 s2, 0
.LBB15_515:
	s_delay_alu instid0(SALU_CYCLE_1)
	s_and_not1_b32 vcc_lo, exec_lo, s2
	s_cbranch_vccnz .LBB15_521
; %bb.516:
	v_cmp_lt_i16_e32 vcc_lo, 0, v6
	s_mov_b32 s2, 0
	s_cbranch_vccz .LBB15_518
; %bb.517:
	global_load_u8 v0, v[3:4], off
	s_branch .LBB15_519
.LBB15_518:
	s_mov_b32 s2, -1
                                        ; implicit-def: $vgpr0
.LBB15_519:
	s_delay_alu instid0(SALU_CYCLE_1)
	s_and_not1_b32 vcc_lo, exec_lo, s2
	s_cbranch_vccnz .LBB15_521
; %bb.520:
	global_load_u8 v0, v[3:4], off
.LBB15_521:
	s_branch .LBB15_283
.LBB15_522:
	s_mov_b32 s22, 0
	s_mov_b32 s2, s34
.LBB15_523:
                                        ; implicit-def: $vgpr8
.LBB15_524:
	s_and_not1_b32 s23, s34, exec_lo
	s_and_b32 s2, s2, exec_lo
	s_and_not1_b32 s37, s35, exec_lo
	s_and_b32 s3, s3, exec_lo
	s_or_b32 s38, s23, s2
	s_or_b32 s37, s37, s3
	s_or_not1_b32 s2, s22, exec_lo
.LBB15_525:
	s_or_b32 exec_lo, exec_lo, s39
	s_mov_b32 s3, 0
	s_mov_b32 s23, 0
	;; [unrolled: 1-line block ×3, first 2 shown]
                                        ; implicit-def: $vgpr3_vgpr4
                                        ; implicit-def: $vgpr2
                                        ; implicit-def: $vgpr0
	s_and_saveexec_b32 s39, s2
	s_cbranch_execz .LBB15_889
; %bb.526:
	s_mov_b32 s42, -1
	s_mov_b32 s22, s37
	s_mov_b32 s23, s38
	s_mov_b32 s40, exec_lo
	v_cmpx_gt_i32_e64 s30, v8
	s_cbranch_execz .LBB15_794
; %bb.527:
	s_and_not1_b32 vcc_lo, exec_lo, s27
	s_cbranch_vccnz .LBB15_532
; %bb.528:
	v_mov_b32_e32 v2, 0
	s_waitcnt vmcnt(0)
	v_mov_b32_e32 v0, 0
	s_and_not1_b32 vcc_lo, exec_lo, s33
	s_mov_b32 s41, 0
	s_cbranch_vccnz .LBB15_537
; %bb.529:
	v_mov_b32_e32 v2, 0
	s_add_i32 s43, s31, 1
	s_cmp_eq_u32 s25, 2
	s_mov_b32 s42, 0
	s_cbranch_scc1 .LBB15_533
; %bb.530:
	v_dual_mov_b32 v0, 0 :: v_dual_mov_b32 v1, v8
	v_mov_b32_e32 v2, 0
	s_and_b32 s42, s43, 28
	s_mov_b32 s44, 0
	s_mov_b64 s[2:3], s[20:21]
	s_mov_b64 s[22:23], s[16:17]
.LBB15_531:                             ; =>This Inner Loop Header: Depth=1
	s_clause 0x1
	s_load_b256 s[48:55], s[22:23], 0x4
	s_load_b128 s[64:67], s[22:23], 0x24
	s_load_b256 s[56:63], s[2:3], 0x0
	s_add_u32 s22, s22, 48
	s_addc_u32 s23, s23, 0
	s_add_i32 s44, s44, 4
	s_add_u32 s2, s2, 32
	s_addc_u32 s3, s3, 0
	s_cmp_eq_u32 s42, s44
	s_waitcnt lgkmcnt(0)
	v_mul_hi_u32 v3, s49, v1
	s_delay_alu instid0(VALU_DEP_1) | instskip(NEXT) | instid1(VALU_DEP_1)
	v_add_nc_u32_e32 v3, v1, v3
	v_lshrrev_b32_e32 v3, s50, v3
	s_delay_alu instid0(VALU_DEP_1) | instskip(SKIP_1) | instid1(VALU_DEP_2)
	v_mul_hi_u32 v4, s52, v3
	v_mul_lo_u32 v9, v3, s48
	v_add_nc_u32_e32 v4, v3, v4
	s_delay_alu instid0(VALU_DEP_2) | instskip(NEXT) | instid1(VALU_DEP_2)
	v_sub_nc_u32_e32 v1, v1, v9
	v_lshrrev_b32_e32 v4, s53, v4
	s_delay_alu instid0(VALU_DEP_2) | instskip(SKIP_1) | instid1(VALU_DEP_3)
	v_mul_lo_u32 v9, v1, s56
	v_mul_lo_u32 v11, v1, s57
	v_mul_hi_u32 v7, s55, v4
	s_delay_alu instid0(VALU_DEP_1) | instskip(NEXT) | instid1(VALU_DEP_1)
	v_add_nc_u32_e32 v7, v4, v7
	v_lshrrev_b32_e32 v7, s64, v7
	s_delay_alu instid0(VALU_DEP_1) | instskip(SKIP_1) | instid1(VALU_DEP_2)
	v_mul_hi_u32 v10, s66, v7
	v_mul_lo_u32 v12, v7, s54
	v_add_nc_u32_e32 v1, v7, v10
	v_mul_lo_u32 v10, v4, s51
	s_delay_alu instid0(VALU_DEP_3) | instskip(NEXT) | instid1(VALU_DEP_3)
	v_sub_nc_u32_e32 v4, v4, v12
	v_lshrrev_b32_e32 v1, s67, v1
	s_delay_alu instid0(VALU_DEP_2) | instskip(SKIP_2) | instid1(VALU_DEP_4)
	v_mul_lo_u32 v12, v4, s60
	v_mul_lo_u32 v4, v4, s61
	v_sub_nc_u32_e32 v3, v3, v10
	v_mul_lo_u32 v13, v1, s65
	s_delay_alu instid0(VALU_DEP_2) | instskip(SKIP_1) | instid1(VALU_DEP_3)
	v_mul_lo_u32 v10, v3, s58
	v_mul_lo_u32 v3, v3, s59
	v_sub_nc_u32_e32 v7, v7, v13
	s_delay_alu instid0(VALU_DEP_3) | instskip(NEXT) | instid1(VALU_DEP_2)
	v_add3_u32 v2, v9, v2, v10
	v_mul_lo_u32 v13, v7, s62
	v_mul_lo_u32 v7, v7, s63
	v_add3_u32 v0, v11, v0, v3
	s_delay_alu instid0(VALU_DEP_3) | instskip(NEXT) | instid1(VALU_DEP_2)
	v_add3_u32 v2, v12, v2, v13
	v_add3_u32 v0, v4, v0, v7
	s_cbranch_scc0 .LBB15_531
	s_branch .LBB15_534
.LBB15_532:
	s_mov_b32 s41, -1
                                        ; implicit-def: $vgpr2
                                        ; implicit-def: $vgpr0
	s_branch .LBB15_537
.LBB15_533:
	v_dual_mov_b32 v1, v8 :: v_dual_mov_b32 v0, 0
.LBB15_534:
	s_and_b32 s43, s43, 3
	s_delay_alu instid0(SALU_CYCLE_1)
	s_cmp_eq_u32 s43, 0
	s_cbranch_scc1 .LBB15_537
; %bb.535:
	s_lshl_b32 s2, s42, 3
	s_mul_i32 s22, s42, 12
	s_add_u32 s2, s2, s16
	s_addc_u32 s3, s17, 0
	s_add_u32 s2, s2, 0xc4
	s_addc_u32 s3, s3, 0
	;; [unrolled: 2-line block ×3, first 2 shown]
	.p2align	6
.LBB15_536:                             ; =>This Inner Loop Header: Depth=1
	s_clause 0x1
	s_load_b64 s[44:45], s[22:23], 0x4
	s_load_b32 s42, s[22:23], 0xc
	s_load_b64 s[46:47], s[2:3], 0x0
	s_add_u32 s22, s22, 12
	s_addc_u32 s23, s23, 0
	s_add_u32 s2, s2, 8
	s_addc_u32 s3, s3, 0
	s_add_i32 s43, s43, -1
	s_delay_alu instid0(SALU_CYCLE_1) | instskip(SKIP_2) | instid1(VALU_DEP_1)
	s_cmp_lg_u32 s43, 0
	s_waitcnt lgkmcnt(0)
	v_mul_hi_u32 v3, s45, v1
	v_add_nc_u32_e32 v3, v1, v3
	s_delay_alu instid0(VALU_DEP_1) | instskip(NEXT) | instid1(VALU_DEP_1)
	v_lshrrev_b32_e32 v7, s42, v3
	v_mul_lo_u32 v3, v7, s44
	s_delay_alu instid0(VALU_DEP_1) | instskip(NEXT) | instid1(VALU_DEP_1)
	v_sub_nc_u32_e32 v1, v1, v3
	v_mad_u64_u32 v[3:4], null, v1, s46, v[2:3]
	v_mad_u64_u32 v[9:10], null, v1, s47, v[0:1]
	v_mov_b32_e32 v1, v7
	s_delay_alu instid0(VALU_DEP_3) | instskip(NEXT) | instid1(VALU_DEP_3)
	v_mov_b32_e32 v2, v3
	v_mov_b32_e32 v0, v9
	s_cbranch_scc1 .LBB15_536
.LBB15_537:
	s_and_not1_b32 vcc_lo, exec_lo, s41
	s_cbranch_vccnz .LBB15_540
; %bb.538:
	s_waitcnt vmcnt(0) lgkmcnt(0)
	v_mul_hi_u32 v0, s13, v8
	s_and_not1_b32 vcc_lo, exec_lo, s29
	s_delay_alu instid0(VALU_DEP_1) | instskip(NEXT) | instid1(VALU_DEP_1)
	v_add_nc_u32_e32 v0, v8, v0
	v_lshrrev_b32_e32 v1, s14, v0
	s_delay_alu instid0(VALU_DEP_1) | instskip(NEXT) | instid1(VALU_DEP_1)
	v_mul_lo_u32 v0, v1, s12
	v_sub_nc_u32_e32 v0, v8, v0
	s_delay_alu instid0(VALU_DEP_1)
	v_mul_lo_u32 v2, v0, s8
	v_mul_lo_u32 v0, v0, s9
	s_cbranch_vccnz .LBB15_540
; %bb.539:
	v_mul_hi_u32 v3, s18, v1
	s_delay_alu instid0(VALU_DEP_1) | instskip(NEXT) | instid1(VALU_DEP_1)
	v_add_nc_u32_e32 v3, v1, v3
	v_lshrrev_b32_e32 v3, s19, v3
	s_delay_alu instid0(VALU_DEP_1) | instskip(NEXT) | instid1(VALU_DEP_1)
	v_mul_lo_u32 v3, v3, s15
	v_sub_nc_u32_e32 v7, v1, v3
	s_delay_alu instid0(VALU_DEP_1) | instskip(SKIP_1) | instid1(VALU_DEP_2)
	v_mad_u64_u32 v[3:4], null, v7, s10, v[2:3]
	v_mad_u64_u32 v[1:2], null, v7, s11, v[0:1]
	v_mov_b32_e32 v2, v3
	s_delay_alu instid0(VALU_DEP_2)
	v_mov_b32_e32 v0, v1
.LBB15_540:
	v_cmp_gt_i16_e32 vcc_lo, 11, v6
	s_waitcnt vmcnt(0) lgkmcnt(0)
	s_delay_alu instid0(VALU_DEP_2) | instskip(NEXT) | instid1(VALU_DEP_1)
	v_add_co_u32 v3, s2, s6, v0
	v_add_co_ci_u32_e64 v4, null, s7, 0, s2
	s_mov_b32 s2, 0
	s_cbranch_vccnz .LBB15_547
; %bb.541:
	v_cmp_lt_i16_e32 vcc_lo, 25, v6
	s_cbranch_vccz .LBB15_548
; %bb.542:
	v_cmp_lt_i16_e32 vcc_lo, 28, v6
	s_cbranch_vccz .LBB15_549
	;; [unrolled: 3-line block ×4, first 2 shown]
; %bb.545:
	v_cmp_eq_u16_e32 vcc_lo, 46, v6
	s_mov_b32 s22, 0
	s_cbranch_vccz .LBB15_556
; %bb.546:
	global_load_b32 v0, v[3:4], off
	s_mov_b32 s2, -1
	s_mov_b32 s3, 0
	s_waitcnt vmcnt(0)
	v_lshlrev_b32_e32 v0, 16, v0
	s_delay_alu instid0(VALU_DEP_1) | instskip(NEXT) | instid1(VALU_DEP_1)
	v_trunc_f32_e32 v0, v0
	v_mul_f32_e64 v1, 0x2f800000, |v0|
	s_delay_alu instid0(VALU_DEP_1) | instskip(NEXT) | instid1(VALU_DEP_1)
	v_floor_f32_e32 v1, v1
	v_fma_f32 v1, 0xcf800000, v1, |v0|
	v_ashrrev_i32_e32 v0, 31, v0
	s_delay_alu instid0(VALU_DEP_2) | instskip(NEXT) | instid1(VALU_DEP_1)
	v_cvt_u32_f32_e32 v1, v1
	v_xor_b32_e32 v1, v1, v0
	s_delay_alu instid0(VALU_DEP_1)
	v_sub_nc_u32_e32 v0, v1, v0
	s_branch .LBB15_558
.LBB15_547:
	s_mov_b32 s22, -1
	s_mov_b32 s3, s37
                                        ; implicit-def: $vgpr0
	s_branch .LBB15_619
.LBB15_548:
	s_mov_b32 s22, -1
	s_mov_b32 s3, s37
                                        ; implicit-def: $vgpr0
	s_branch .LBB15_585
.LBB15_549:
	s_mov_b32 s22, -1
	s_mov_b32 s3, s37
                                        ; implicit-def: $vgpr0
	s_branch .LBB15_568
.LBB15_550:
	s_mov_b32 s22, -1
	s_mov_b32 s3, s37
                                        ; implicit-def: $vgpr0
	s_branch .LBB15_563
.LBB15_551:
	s_or_saveexec_b32 s37, s37
                                        ; implicit-def: $sgpr38
	s_delay_alu instid0(SALU_CYCLE_1)
	s_xor_b32 exec_lo, exec_lo, s37
	s_cbranch_execz .LBB15_366
.LBB15_552:
	v_add_f32_e32 v7, 0x46000000, v9
	s_and_not1_b32 s23, s23, exec_lo
	s_mov_b32 s38, 0
	s_delay_alu instid0(VALU_DEP_1) | instskip(NEXT) | instid1(VALU_DEP_1)
	v_and_b32_e32 v7, 0xff, v7
	v_cmp_ne_u32_e32 vcc_lo, 0, v7
	s_and_b32 s40, vcc_lo, exec_lo
	s_delay_alu instid0(SALU_CYCLE_1)
	s_or_b32 s23, s23, s40
	s_or_b32 exec_lo, exec_lo, s37
	v_mov_b32_e32 v10, s38
	s_and_saveexec_b32 s37, s23
	s_cbranch_execnz .LBB15_367
	s_branch .LBB15_368
.LBB15_553:
	s_mov_b32 s22, -1
	s_mov_b32 s3, s37
	s_branch .LBB15_557
.LBB15_554:
	s_or_saveexec_b32 s37, s37
                                        ; implicit-def: $sgpr38
	s_delay_alu instid0(SALU_CYCLE_1)
	s_xor_b32 exec_lo, exec_lo, s37
	s_cbranch_execz .LBB15_379
.LBB15_555:
	v_add_f32_e32 v7, 0x42800000, v9
	s_and_not1_b32 s23, s23, exec_lo
	s_mov_b32 s38, 0
	s_delay_alu instid0(VALU_DEP_1) | instskip(NEXT) | instid1(VALU_DEP_1)
	v_and_b32_e32 v7, 0xff, v7
	v_cmp_ne_u32_e32 vcc_lo, 0, v7
	s_and_b32 s40, vcc_lo, exec_lo
	s_delay_alu instid0(SALU_CYCLE_1)
	s_or_b32 s23, s23, s40
	s_or_b32 exec_lo, exec_lo, s37
	v_mov_b32_e32 v10, s38
	s_and_saveexec_b32 s37, s23
	s_cbranch_execnz .LBB15_380
	s_branch .LBB15_381
.LBB15_556:
	s_mov_b32 s3, -1
.LBB15_557:
                                        ; implicit-def: $vgpr0
.LBB15_558:
	s_and_b32 vcc_lo, exec_lo, s22
	s_cbranch_vccz .LBB15_562
; %bb.559:
	v_cmp_eq_u16_e32 vcc_lo, 44, v6
	s_cbranch_vccz .LBB15_561
; %bb.560:
	global_load_u8 v0, v[3:4], off
	s_mov_b32 s3, 0
	s_mov_b32 s2, -1
	s_waitcnt vmcnt(0)
	v_lshlrev_b32_e32 v1, 23, v0
	v_cmp_ne_u32_e32 vcc_lo, 0, v0
	s_delay_alu instid0(VALU_DEP_2) | instskip(NEXT) | instid1(VALU_DEP_1)
	v_trunc_f32_e32 v1, v1
	v_mul_f32_e64 v7, 0x2f800000, |v1|
	s_delay_alu instid0(VALU_DEP_1) | instskip(NEXT) | instid1(VALU_DEP_1)
	v_floor_f32_e32 v7, v7
	v_fma_f32 v7, 0xcf800000, v7, |v1|
	v_ashrrev_i32_e32 v1, 31, v1
	s_delay_alu instid0(VALU_DEP_2) | instskip(NEXT) | instid1(VALU_DEP_1)
	v_cvt_u32_f32_e32 v7, v7
	v_xor_b32_e32 v7, v7, v1
	s_delay_alu instid0(VALU_DEP_1) | instskip(NEXT) | instid1(VALU_DEP_1)
	v_sub_nc_u32_e32 v1, v7, v1
	v_cndmask_b32_e32 v0, 0, v1, vcc_lo
	s_branch .LBB15_562
.LBB15_561:
	s_mov_b32 s3, -1
                                        ; implicit-def: $vgpr0
.LBB15_562:
	s_mov_b32 s22, 0
.LBB15_563:
	s_delay_alu instid0(SALU_CYCLE_1)
	s_and_b32 vcc_lo, exec_lo, s22
	s_cbranch_vccz .LBB15_567
; %bb.564:
	v_cmp_eq_u16_e32 vcc_lo, 29, v6
	s_cbranch_vccz .LBB15_566
; %bb.565:
	global_load_b64 v[0:1], v[3:4], off
	s_mov_b32 s2, -1
	s_mov_b32 s3, 0
	s_branch .LBB15_567
.LBB15_566:
	s_mov_b32 s3, -1
                                        ; implicit-def: $vgpr0
.LBB15_567:
	s_mov_b32 s22, 0
.LBB15_568:
	s_delay_alu instid0(SALU_CYCLE_1)
	s_and_b32 vcc_lo, exec_lo, s22
	s_cbranch_vccz .LBB15_584
; %bb.569:
	v_cmp_gt_i16_e32 vcc_lo, 27, v6
	s_cbranch_vccnz .LBB15_572
; %bb.570:
	v_cmp_lt_i16_e32 vcc_lo, 27, v6
	s_cbranch_vccz .LBB15_573
; %bb.571:
	global_load_b32 v0, v[3:4], off
	s_mov_b32 s2, 0
	s_branch .LBB15_574
.LBB15_572:
	s_mov_b32 s2, -1
                                        ; implicit-def: $vgpr0
	s_branch .LBB15_577
.LBB15_573:
	s_mov_b32 s2, -1
                                        ; implicit-def: $vgpr0
.LBB15_574:
	s_delay_alu instid0(SALU_CYCLE_1)
	s_and_not1_b32 vcc_lo, exec_lo, s2
	s_cbranch_vccnz .LBB15_576
; %bb.575:
	global_load_u16 v0, v[3:4], off
.LBB15_576:
	s_mov_b32 s2, 0
.LBB15_577:
	s_delay_alu instid0(SALU_CYCLE_1)
	s_and_not1_b32 vcc_lo, exec_lo, s2
	s_cbranch_vccnz .LBB15_583
; %bb.578:
	global_load_u8 v1, v[3:4], off
	s_mov_b32 s22, 0
	s_mov_b32 s2, exec_lo
                                        ; implicit-def: $sgpr23
	s_waitcnt vmcnt(0)
	v_cmpx_lt_i16_e32 0x7f, v1
	s_xor_b32 s2, exec_lo, s2
	s_cbranch_execz .LBB15_595
; %bb.579:
	v_cmp_ne_u16_e32 vcc_lo, 0x80, v1
	s_mov_b32 s23, 0
	s_and_b32 s22, vcc_lo, exec_lo
	s_or_saveexec_b32 s2, s2
	v_mov_b32_e32 v0, s23
	s_xor_b32 exec_lo, exec_lo, s2
	s_cbranch_execnz .LBB15_596
.LBB15_580:
	s_or_b32 exec_lo, exec_lo, s2
	s_and_saveexec_b32 s2, s22
	s_cbranch_execz .LBB15_582
.LBB15_581:
	v_and_b32_e32 v0, 0xffff, v1
	v_lshlrev_b32_e32 v1, 24, v1
	s_delay_alu instid0(VALU_DEP_2) | instskip(NEXT) | instid1(VALU_DEP_2)
	v_and_b32_e32 v7, 7, v0
	v_and_b32_e32 v1, 0x80000000, v1
	s_delay_alu instid0(VALU_DEP_2) | instskip(NEXT) | instid1(VALU_DEP_1)
	v_clz_i32_u32_e32 v9, v7
	v_min_u32_e32 v9, 32, v9
	s_delay_alu instid0(VALU_DEP_1) | instskip(SKIP_1) | instid1(VALU_DEP_2)
	v_subrev_nc_u32_e32 v10, 28, v9
	v_sub_nc_u32_e32 v9, 29, v9
	v_lshlrev_b32_e32 v10, v10, v0
	v_bfe_u32 v0, v0, 3, 4
	s_delay_alu instid0(VALU_DEP_2) | instskip(NEXT) | instid1(VALU_DEP_2)
	v_and_b32_e32 v10, 7, v10
	v_cmp_eq_u32_e32 vcc_lo, 0, v0
	s_delay_alu instid0(VALU_DEP_2) | instskip(NEXT) | instid1(VALU_DEP_1)
	v_dual_cndmask_b32 v0, v0, v9 :: v_dual_cndmask_b32 v7, v7, v10
	v_lshl_add_u32 v0, v0, 23, 0x3b800000
	s_delay_alu instid0(VALU_DEP_2) | instskip(NEXT) | instid1(VALU_DEP_1)
	v_lshlrev_b32_e32 v7, 20, v7
	v_or3_b32 v0, v1, v0, v7
	s_delay_alu instid0(VALU_DEP_1) | instskip(NEXT) | instid1(VALU_DEP_1)
	v_trunc_f32_e32 v0, v0
	v_mul_f32_e64 v1, 0x2f800000, |v0|
	s_delay_alu instid0(VALU_DEP_1) | instskip(NEXT) | instid1(VALU_DEP_1)
	v_floor_f32_e32 v1, v1
	v_fma_f32 v1, 0xcf800000, v1, |v0|
	v_ashrrev_i32_e32 v0, 31, v0
	s_delay_alu instid0(VALU_DEP_2) | instskip(NEXT) | instid1(VALU_DEP_1)
	v_cvt_u32_f32_e32 v1, v1
	v_xor_b32_e32 v1, v1, v0
	s_delay_alu instid0(VALU_DEP_1)
	v_sub_nc_u32_e32 v0, v1, v0
.LBB15_582:
	s_or_b32 exec_lo, exec_lo, s2
.LBB15_583:
	s_mov_b32 s2, -1
.LBB15_584:
	s_mov_b32 s22, 0
.LBB15_585:
	s_delay_alu instid0(SALU_CYCLE_1)
	s_and_b32 vcc_lo, exec_lo, s22
	s_cbranch_vccz .LBB15_618
; %bb.586:
	v_cmp_lt_i16_e32 vcc_lo, 22, v6
	s_cbranch_vccz .LBB15_594
; %bb.587:
	v_cmp_gt_i16_e32 vcc_lo, 24, v6
	s_cbranch_vccnz .LBB15_597
; %bb.588:
	v_cmp_lt_i16_e32 vcc_lo, 24, v6
	s_cbranch_vccz .LBB15_598
; %bb.589:
	global_load_u8 v1, v[3:4], off
	s_mov_b32 s22, 0
	s_mov_b32 s2, exec_lo
                                        ; implicit-def: $sgpr23
	s_waitcnt vmcnt(0)
	v_cmpx_lt_i16_e32 0x7f, v1
	s_xor_b32 s2, exec_lo, s2
	s_cbranch_execz .LBB15_610
; %bb.590:
	v_cmp_ne_u16_e32 vcc_lo, 0x80, v1
	s_mov_b32 s23, 0
	s_and_b32 s22, vcc_lo, exec_lo
	s_or_saveexec_b32 s2, s2
	v_mov_b32_e32 v0, s23
	s_xor_b32 exec_lo, exec_lo, s2
	s_cbranch_execnz .LBB15_611
.LBB15_591:
	s_or_b32 exec_lo, exec_lo, s2
	s_and_saveexec_b32 s2, s22
	s_cbranch_execz .LBB15_593
.LBB15_592:
	v_and_b32_e32 v0, 0xffff, v1
	v_lshlrev_b32_e32 v1, 24, v1
	s_delay_alu instid0(VALU_DEP_2) | instskip(NEXT) | instid1(VALU_DEP_2)
	v_and_b32_e32 v7, 3, v0
	v_and_b32_e32 v1, 0x80000000, v1
	s_delay_alu instid0(VALU_DEP_2) | instskip(NEXT) | instid1(VALU_DEP_1)
	v_clz_i32_u32_e32 v9, v7
	v_min_u32_e32 v9, 32, v9
	s_delay_alu instid0(VALU_DEP_1) | instskip(SKIP_1) | instid1(VALU_DEP_2)
	v_subrev_nc_u32_e32 v10, 29, v9
	v_sub_nc_u32_e32 v9, 30, v9
	v_lshlrev_b32_e32 v10, v10, v0
	v_bfe_u32 v0, v0, 2, 5
	s_delay_alu instid0(VALU_DEP_2) | instskip(NEXT) | instid1(VALU_DEP_2)
	v_and_b32_e32 v10, 3, v10
	v_cmp_eq_u32_e32 vcc_lo, 0, v0
	s_delay_alu instid0(VALU_DEP_2) | instskip(NEXT) | instid1(VALU_DEP_1)
	v_dual_cndmask_b32 v0, v0, v9 :: v_dual_cndmask_b32 v7, v7, v10
	v_lshl_add_u32 v0, v0, 23, 0x37800000
	s_delay_alu instid0(VALU_DEP_2) | instskip(NEXT) | instid1(VALU_DEP_1)
	v_lshlrev_b32_e32 v7, 21, v7
	v_or3_b32 v0, v1, v0, v7
	s_delay_alu instid0(VALU_DEP_1) | instskip(NEXT) | instid1(VALU_DEP_1)
	v_trunc_f32_e32 v0, v0
	v_mul_f32_e64 v1, 0x2f800000, |v0|
	s_delay_alu instid0(VALU_DEP_1) | instskip(NEXT) | instid1(VALU_DEP_1)
	v_floor_f32_e32 v1, v1
	v_fma_f32 v1, 0xcf800000, v1, |v0|
	v_ashrrev_i32_e32 v0, 31, v0
	s_delay_alu instid0(VALU_DEP_2) | instskip(NEXT) | instid1(VALU_DEP_1)
	v_cvt_u32_f32_e32 v1, v1
	v_xor_b32_e32 v1, v1, v0
	s_delay_alu instid0(VALU_DEP_1)
	v_sub_nc_u32_e32 v0, v1, v0
.LBB15_593:
	s_or_b32 exec_lo, exec_lo, s2
	s_mov_b32 s2, 0
	s_branch .LBB15_599
.LBB15_594:
	s_mov_b32 s22, -1
                                        ; implicit-def: $vgpr0
	s_branch .LBB15_605
.LBB15_595:
	s_or_saveexec_b32 s2, s2
	v_mov_b32_e32 v0, s23
	s_xor_b32 exec_lo, exec_lo, s2
	s_cbranch_execz .LBB15_580
.LBB15_596:
	v_cmp_ne_u16_e32 vcc_lo, 0, v1
	v_mov_b32_e32 v0, 0
	s_and_not1_b32 s22, s22, exec_lo
	s_and_b32 s23, vcc_lo, exec_lo
	s_delay_alu instid0(SALU_CYCLE_1)
	s_or_b32 s22, s22, s23
	s_or_b32 exec_lo, exec_lo, s2
	s_and_saveexec_b32 s2, s22
	s_cbranch_execnz .LBB15_581
	s_branch .LBB15_582
.LBB15_597:
	s_mov_b32 s2, -1
                                        ; implicit-def: $vgpr0
	s_branch .LBB15_602
.LBB15_598:
	s_mov_b32 s2, -1
                                        ; implicit-def: $vgpr0
.LBB15_599:
	s_delay_alu instid0(SALU_CYCLE_1)
	s_and_b32 vcc_lo, exec_lo, s2
	s_cbranch_vccz .LBB15_601
; %bb.600:
	global_load_u8 v0, v[3:4], off
	s_waitcnt vmcnt(0)
	v_lshlrev_b32_e32 v0, 24, v0
	s_delay_alu instid0(VALU_DEP_1) | instskip(NEXT) | instid1(VALU_DEP_1)
	v_and_b32_e32 v1, 0x7f000000, v0
	v_clz_i32_u32_e32 v7, v1
	v_add_nc_u32_e32 v10, 0x1000000, v1
	v_cmp_ne_u32_e32 vcc_lo, 0, v1
	s_delay_alu instid0(VALU_DEP_3) | instskip(NEXT) | instid1(VALU_DEP_1)
	v_min_u32_e32 v7, 32, v7
	v_sub_nc_u32_e64 v7, v7, 4 clamp
	s_delay_alu instid0(VALU_DEP_1) | instskip(SKIP_1) | instid1(VALU_DEP_2)
	v_lshlrev_b32_e32 v9, v7, v1
	v_lshlrev_b32_e32 v7, 23, v7
	v_lshrrev_b32_e32 v9, 4, v9
	s_delay_alu instid0(VALU_DEP_1) | instskip(SKIP_1) | instid1(VALU_DEP_2)
	v_sub_nc_u32_e32 v7, v9, v7
	v_ashrrev_i32_e32 v9, 8, v10
	v_add_nc_u32_e32 v7, 0x3c000000, v7
	s_delay_alu instid0(VALU_DEP_1) | instskip(NEXT) | instid1(VALU_DEP_1)
	v_and_or_b32 v7, 0x7f800000, v9, v7
	v_cndmask_b32_e32 v1, 0, v7, vcc_lo
	s_delay_alu instid0(VALU_DEP_1) | instskip(NEXT) | instid1(VALU_DEP_1)
	v_and_or_b32 v0, 0x80000000, v0, v1
	v_trunc_f32_e32 v0, v0
	s_delay_alu instid0(VALU_DEP_1) | instskip(NEXT) | instid1(VALU_DEP_1)
	v_mul_f32_e64 v1, 0x2f800000, |v0|
	v_floor_f32_e32 v1, v1
	s_delay_alu instid0(VALU_DEP_1) | instskip(SKIP_1) | instid1(VALU_DEP_2)
	v_fma_f32 v1, 0xcf800000, v1, |v0|
	v_ashrrev_i32_e32 v0, 31, v0
	v_cvt_u32_f32_e32 v1, v1
	s_delay_alu instid0(VALU_DEP_1) | instskip(NEXT) | instid1(VALU_DEP_1)
	v_xor_b32_e32 v1, v1, v0
	v_sub_nc_u32_e32 v0, v1, v0
.LBB15_601:
	s_mov_b32 s2, 0
.LBB15_602:
	s_delay_alu instid0(SALU_CYCLE_1)
	s_and_not1_b32 vcc_lo, exec_lo, s2
	s_cbranch_vccnz .LBB15_604
; %bb.603:
	global_load_u8 v0, v[3:4], off
	s_waitcnt vmcnt(0)
	v_lshlrev_b32_e32 v1, 25, v0
	v_lshlrev_b16 v0, 8, v0
	s_delay_alu instid0(VALU_DEP_2) | instskip(NEXT) | instid1(VALU_DEP_2)
	v_lshrrev_b32_e32 v7, 4, v1
	v_and_or_b32 v9, 0x7f00, v0, 0.5
	v_cmp_gt_u32_e32 vcc_lo, 0x8000000, v1
	v_bfe_i32 v0, v0, 0, 16
	s_delay_alu instid0(VALU_DEP_4) | instskip(NEXT) | instid1(VALU_DEP_4)
	v_or_b32_e32 v7, 0x70000000, v7
	v_add_f32_e32 v9, -0.5, v9
	s_delay_alu instid0(VALU_DEP_2) | instskip(NEXT) | instid1(VALU_DEP_1)
	v_mul_f32_e32 v7, 0x7800000, v7
	v_cndmask_b32_e32 v1, v7, v9, vcc_lo
	s_delay_alu instid0(VALU_DEP_1) | instskip(NEXT) | instid1(VALU_DEP_1)
	v_and_or_b32 v0, 0x80000000, v0, v1
	v_trunc_f32_e32 v0, v0
	s_delay_alu instid0(VALU_DEP_1) | instskip(NEXT) | instid1(VALU_DEP_1)
	v_mul_f32_e64 v1, 0x2f800000, |v0|
	v_floor_f32_e32 v1, v1
	s_delay_alu instid0(VALU_DEP_1) | instskip(SKIP_1) | instid1(VALU_DEP_2)
	v_fma_f32 v1, 0xcf800000, v1, |v0|
	v_ashrrev_i32_e32 v0, 31, v0
	v_cvt_u32_f32_e32 v1, v1
	s_delay_alu instid0(VALU_DEP_1) | instskip(NEXT) | instid1(VALU_DEP_1)
	v_xor_b32_e32 v1, v1, v0
	v_sub_nc_u32_e32 v0, v1, v0
.LBB15_604:
	s_mov_b32 s22, 0
	s_mov_b32 s2, -1
.LBB15_605:
	s_and_not1_b32 vcc_lo, exec_lo, s22
	s_cbranch_vccnz .LBB15_618
; %bb.606:
	v_cmp_lt_i16_e32 vcc_lo, 14, v6
	s_cbranch_vccz .LBB15_609
; %bb.607:
	v_cmp_eq_u16_e32 vcc_lo, 15, v6
	s_cbranch_vccz .LBB15_612
; %bb.608:
	global_load_u16 v0, v[3:4], off
	s_mov_b32 s2, -1
	s_mov_b32 s3, 0
	s_waitcnt vmcnt(0)
	v_lshlrev_b32_e32 v0, 16, v0
	s_delay_alu instid0(VALU_DEP_1) | instskip(NEXT) | instid1(VALU_DEP_1)
	v_trunc_f32_e32 v0, v0
	v_mul_f32_e64 v1, 0x2f800000, |v0|
	s_delay_alu instid0(VALU_DEP_1) | instskip(NEXT) | instid1(VALU_DEP_1)
	v_floor_f32_e32 v1, v1
	v_fma_f32 v1, 0xcf800000, v1, |v0|
	v_ashrrev_i32_e32 v0, 31, v0
	s_delay_alu instid0(VALU_DEP_2) | instskip(NEXT) | instid1(VALU_DEP_1)
	v_cvt_u32_f32_e32 v1, v1
	v_xor_b32_e32 v1, v1, v0
	s_delay_alu instid0(VALU_DEP_1)
	v_sub_nc_u32_e32 v0, v1, v0
	s_branch .LBB15_613
.LBB15_609:
	s_mov_b32 s22, -1
                                        ; implicit-def: $vgpr0
	s_branch .LBB15_614
.LBB15_610:
	s_or_saveexec_b32 s2, s2
	v_mov_b32_e32 v0, s23
	s_xor_b32 exec_lo, exec_lo, s2
	s_cbranch_execz .LBB15_591
.LBB15_611:
	v_cmp_ne_u16_e32 vcc_lo, 0, v1
	v_mov_b32_e32 v0, 0
	s_and_not1_b32 s22, s22, exec_lo
	s_and_b32 s23, vcc_lo, exec_lo
	s_delay_alu instid0(SALU_CYCLE_1)
	s_or_b32 s22, s22, s23
	s_or_b32 exec_lo, exec_lo, s2
	s_and_saveexec_b32 s2, s22
	s_cbranch_execnz .LBB15_592
	s_branch .LBB15_593
.LBB15_612:
	s_mov_b32 s3, -1
                                        ; implicit-def: $vgpr0
.LBB15_613:
	s_mov_b32 s22, 0
.LBB15_614:
	s_delay_alu instid0(SALU_CYCLE_1)
	s_and_b32 vcc_lo, exec_lo, s22
	s_cbranch_vccz .LBB15_618
; %bb.615:
	v_cmp_eq_u16_e32 vcc_lo, 11, v6
	s_cbranch_vccz .LBB15_617
; %bb.616:
	global_load_u8 v0, v[3:4], off
	s_mov_b32 s3, 0
	s_mov_b32 s2, -1
	s_waitcnt vmcnt(0)
	v_cmp_ne_u16_e32 vcc_lo, 0, v0
	v_cndmask_b32_e64 v0, 0, 1, vcc_lo
	s_branch .LBB15_618
.LBB15_617:
	s_mov_b32 s3, -1
                                        ; implicit-def: $vgpr0
.LBB15_618:
	s_mov_b32 s22, 0
.LBB15_619:
	s_delay_alu instid0(SALU_CYCLE_1)
	s_and_b32 vcc_lo, exec_lo, s22
	s_cbranch_vccz .LBB15_668
; %bb.620:
	v_cmp_gt_i16_e32 vcc_lo, 5, v6
	s_cbranch_vccnz .LBB15_625
; %bb.621:
	v_cmp_gt_i16_e32 vcc_lo, 8, v6
	s_cbranch_vccnz .LBB15_626
	;; [unrolled: 3-line block ×3, first 2 shown]
; %bb.623:
	v_cmp_lt_i16_e32 vcc_lo, 9, v6
	s_cbranch_vccz .LBB15_628
; %bb.624:
	global_load_b64 v[0:1], v[3:4], off
	s_mov_b32 s2, 0
	s_waitcnt vmcnt(0)
	v_trunc_f64_e32 v[0:1], v[0:1]
	s_delay_alu instid0(VALU_DEP_1) | instskip(NEXT) | instid1(VALU_DEP_1)
	v_ldexp_f64 v[9:10], v[0:1], 0xffffffe0
	v_floor_f64_e32 v[9:10], v[9:10]
	s_delay_alu instid0(VALU_DEP_1) | instskip(NEXT) | instid1(VALU_DEP_1)
	v_fma_f64 v[0:1], 0xc1f00000, v[9:10], v[0:1]
	v_cvt_u32_f64_e32 v0, v[0:1]
	s_branch .LBB15_629
.LBB15_625:
	s_mov_b32 s2, -1
                                        ; implicit-def: $vgpr0
	s_branch .LBB15_647
.LBB15_626:
	s_mov_b32 s2, -1
                                        ; implicit-def: $vgpr0
	s_branch .LBB15_635
.LBB15_627:
	s_mov_b32 s2, -1
                                        ; implicit-def: $vgpr0
	s_branch .LBB15_632
.LBB15_628:
	s_mov_b32 s2, -1
                                        ; implicit-def: $vgpr0
.LBB15_629:
	s_delay_alu instid0(SALU_CYCLE_1)
	s_and_not1_b32 vcc_lo, exec_lo, s2
	s_cbranch_vccnz .LBB15_631
; %bb.630:
	global_load_b32 v0, v[3:4], off
	s_waitcnt vmcnt(0)
	v_trunc_f32_e32 v0, v0
	s_delay_alu instid0(VALU_DEP_1) | instskip(NEXT) | instid1(VALU_DEP_1)
	v_mul_f32_e64 v1, 0x2f800000, |v0|
	v_floor_f32_e32 v1, v1
	s_delay_alu instid0(VALU_DEP_1) | instskip(SKIP_1) | instid1(VALU_DEP_2)
	v_fma_f32 v1, 0xcf800000, v1, |v0|
	v_ashrrev_i32_e32 v0, 31, v0
	v_cvt_u32_f32_e32 v1, v1
	s_delay_alu instid0(VALU_DEP_1) | instskip(NEXT) | instid1(VALU_DEP_1)
	v_xor_b32_e32 v1, v1, v0
	v_sub_nc_u32_e32 v0, v1, v0
.LBB15_631:
	s_mov_b32 s2, 0
.LBB15_632:
	s_delay_alu instid0(SALU_CYCLE_1)
	s_and_not1_b32 vcc_lo, exec_lo, s2
	s_cbranch_vccnz .LBB15_634
; %bb.633:
	global_load_b32 v0, v[3:4], off
	s_waitcnt vmcnt(0)
	v_cvt_f32_f16_e32 v0, v0
	s_delay_alu instid0(VALU_DEP_1)
	v_cvt_i32_f32_e32 v0, v0
.LBB15_634:
	s_mov_b32 s2, 0
.LBB15_635:
	s_delay_alu instid0(SALU_CYCLE_1)
	s_and_not1_b32 vcc_lo, exec_lo, s2
	s_cbranch_vccnz .LBB15_646
; %bb.636:
	v_cmp_gt_i16_e32 vcc_lo, 6, v6
	s_cbranch_vccnz .LBB15_639
; %bb.637:
	v_cmp_lt_i16_e32 vcc_lo, 6, v6
	s_cbranch_vccz .LBB15_640
; %bb.638:
	global_load_b64 v[0:1], v[3:4], off
	s_mov_b32 s2, 0
	s_waitcnt vmcnt(0)
	v_trunc_f64_e32 v[0:1], v[0:1]
	s_delay_alu instid0(VALU_DEP_1) | instskip(NEXT) | instid1(VALU_DEP_1)
	v_ldexp_f64 v[9:10], v[0:1], 0xffffffe0
	v_floor_f64_e32 v[9:10], v[9:10]
	s_delay_alu instid0(VALU_DEP_1) | instskip(NEXT) | instid1(VALU_DEP_1)
	v_fma_f64 v[0:1], 0xc1f00000, v[9:10], v[0:1]
	v_cvt_u32_f64_e32 v0, v[0:1]
	s_branch .LBB15_641
.LBB15_639:
	s_mov_b32 s2, -1
                                        ; implicit-def: $vgpr0
	s_branch .LBB15_644
.LBB15_640:
	s_mov_b32 s2, -1
                                        ; implicit-def: $vgpr0
.LBB15_641:
	s_delay_alu instid0(SALU_CYCLE_1)
	s_and_not1_b32 vcc_lo, exec_lo, s2
	s_cbranch_vccnz .LBB15_643
; %bb.642:
	global_load_b32 v0, v[3:4], off
	s_waitcnt vmcnt(0)
	v_trunc_f32_e32 v0, v0
	s_delay_alu instid0(VALU_DEP_1) | instskip(NEXT) | instid1(VALU_DEP_1)
	v_mul_f32_e64 v1, 0x2f800000, |v0|
	v_floor_f32_e32 v1, v1
	s_delay_alu instid0(VALU_DEP_1) | instskip(SKIP_1) | instid1(VALU_DEP_2)
	v_fma_f32 v1, 0xcf800000, v1, |v0|
	v_ashrrev_i32_e32 v0, 31, v0
	v_cvt_u32_f32_e32 v1, v1
	s_delay_alu instid0(VALU_DEP_1) | instskip(NEXT) | instid1(VALU_DEP_1)
	v_xor_b32_e32 v1, v1, v0
	v_sub_nc_u32_e32 v0, v1, v0
.LBB15_643:
	s_mov_b32 s2, 0
.LBB15_644:
	s_delay_alu instid0(SALU_CYCLE_1)
	s_and_not1_b32 vcc_lo, exec_lo, s2
	s_cbranch_vccnz .LBB15_646
; %bb.645:
	global_load_u16 v0, v[3:4], off
	s_waitcnt vmcnt(0)
	v_cvt_f32_f16_e32 v0, v0
	s_delay_alu instid0(VALU_DEP_1)
	v_cvt_i32_f32_e32 v0, v0
.LBB15_646:
	s_mov_b32 s2, 0
.LBB15_647:
	s_delay_alu instid0(SALU_CYCLE_1)
	s_and_not1_b32 vcc_lo, exec_lo, s2
	s_cbranch_vccnz .LBB15_667
; %bb.648:
	v_cmp_gt_i16_e32 vcc_lo, 2, v6
	s_cbranch_vccnz .LBB15_652
; %bb.649:
	v_cmp_gt_i16_e32 vcc_lo, 3, v6
	s_cbranch_vccnz .LBB15_653
; %bb.650:
	v_cmp_lt_i16_e32 vcc_lo, 3, v6
	s_cbranch_vccz .LBB15_654
; %bb.651:
	global_load_b64 v[0:1], v[3:4], off
	s_mov_b32 s2, 0
	s_branch .LBB15_655
.LBB15_652:
	s_mov_b32 s2, -1
                                        ; implicit-def: $vgpr0
	s_branch .LBB15_661
.LBB15_653:
	s_mov_b32 s2, -1
                                        ; implicit-def: $vgpr0
	s_branch .LBB15_658
.LBB15_654:
	s_mov_b32 s2, -1
                                        ; implicit-def: $vgpr0
.LBB15_655:
	s_delay_alu instid0(SALU_CYCLE_1)
	s_and_not1_b32 vcc_lo, exec_lo, s2
	s_cbranch_vccnz .LBB15_657
; %bb.656:
	global_load_b32 v0, v[3:4], off
.LBB15_657:
	s_mov_b32 s2, 0
.LBB15_658:
	s_delay_alu instid0(SALU_CYCLE_1)
	s_and_not1_b32 vcc_lo, exec_lo, s2
	s_cbranch_vccnz .LBB15_660
; %bb.659:
	global_load_u16 v0, v[3:4], off
.LBB15_660:
	s_mov_b32 s2, 0
.LBB15_661:
	s_delay_alu instid0(SALU_CYCLE_1)
	s_and_not1_b32 vcc_lo, exec_lo, s2
	s_cbranch_vccnz .LBB15_667
; %bb.662:
	v_cmp_lt_i16_e32 vcc_lo, 0, v6
	s_mov_b32 s2, 0
	s_cbranch_vccz .LBB15_664
; %bb.663:
	global_load_u8 v0, v[3:4], off
	s_branch .LBB15_665
.LBB15_664:
	s_mov_b32 s2, -1
                                        ; implicit-def: $vgpr0
.LBB15_665:
	s_delay_alu instid0(SALU_CYCLE_1)
	s_and_not1_b32 vcc_lo, exec_lo, s2
	s_cbranch_vccnz .LBB15_667
; %bb.666:
	global_load_u8 v0, v[3:4], off
.LBB15_667:
	s_mov_b32 s2, -1
.LBB15_668:
	s_delay_alu instid0(SALU_CYCLE_1)
	s_and_not1_b32 vcc_lo, exec_lo, s2
	s_cbranch_vccnz .LBB15_676
; %bb.669:
	v_and_b32_e32 v4, 0xff, v5
	s_waitcnt vmcnt(0)
	v_add_co_u32 v1, s2, s4, v2
	s_delay_alu instid0(VALU_DEP_3)
	v_xor_b32_e32 v3, -1, v0
	v_add_co_ci_u32_e64 v2, null, s5, 0, s2
	v_cmp_gt_i16_e32 vcc_lo, 11, v4
	s_mov_b32 s23, -1
	s_mov_b32 s22, 0
	s_mov_b32 s2, s38
	s_cbranch_vccnz .LBB15_677
; %bb.670:
	v_cmp_lt_i16_e32 vcc_lo, 25, v4
	s_cbranch_vccz .LBB15_718
; %bb.671:
	v_cmp_lt_i16_e32 vcc_lo, 28, v4
	s_cbranch_vccz .LBB15_719
	;; [unrolled: 3-line block ×4, first 2 shown]
; %bb.674:
	v_cmp_eq_u16_e32 vcc_lo, 46, v4
	s_mov_b32 s23, 0
	s_mov_b32 s2, -1
	s_cbranch_vccz .LBB15_722
; %bb.675:
	v_cvt_f32_ubyte0_e32 v7, v3
	s_mov_b32 s22, -1
	s_mov_b32 s2, 0
	s_delay_alu instid0(VALU_DEP_1) | instskip(NEXT) | instid1(VALU_DEP_1)
	v_bfe_u32 v9, v7, 16, 1
	v_add3_u32 v7, v7, v9, 0x7fff
	s_delay_alu instid0(VALU_DEP_1)
	v_lshrrev_b32_e32 v7, 16, v7
	global_store_b32 v[1:2], v7, off
	s_branch .LBB15_722
.LBB15_676:
	s_mov_b32 s41, 0
	s_mov_b32 s2, s38
	s_branch .LBB15_717
.LBB15_677:
	s_and_b32 vcc_lo, exec_lo, s23
	s_cbranch_vccz .LBB15_791
; %bb.678:
	v_cmp_gt_i16_e32 vcc_lo, 5, v4
	s_mov_b32 s22, -1
	s_cbranch_vccnz .LBB15_699
; %bb.679:
	v_cmp_gt_i16_e32 vcc_lo, 8, v4
	s_cbranch_vccnz .LBB15_689
; %bb.680:
	v_cmp_gt_i16_e32 vcc_lo, 9, v4
	s_cbranch_vccnz .LBB15_686
; %bb.681:
	v_cmp_lt_i16_e32 vcc_lo, 9, v4
	s_cbranch_vccz .LBB15_683
; %bb.682:
	v_dual_mov_b32 v11, 0 :: v_dual_and_b32 v0, 0xff, v3
	s_mov_b32 s22, 0
	s_delay_alu instid0(VALU_DEP_1) | instskip(NEXT) | instid1(VALU_DEP_2)
	v_and_b32_e32 v0, 0xffff, v0
	v_mov_b32_e32 v12, v11
	s_delay_alu instid0(VALU_DEP_2)
	v_cvt_f64_u32_e32 v[9:10], v0
	global_store_b128 v[1:2], v[9:12], off
.LBB15_683:
	s_and_not1_b32 vcc_lo, exec_lo, s22
	s_cbranch_vccnz .LBB15_685
; %bb.684:
	v_cvt_f32_ubyte0_e32 v9, v3
	v_mov_b32_e32 v10, 0
	global_store_b64 v[1:2], v[9:10], off
.LBB15_685:
	s_mov_b32 s22, 0
.LBB15_686:
	s_delay_alu instid0(SALU_CYCLE_1)
	s_and_not1_b32 vcc_lo, exec_lo, s22
	s_cbranch_vccnz .LBB15_688
; %bb.687:
	v_and_b32_e32 v0, 0xff, v3
	s_delay_alu instid0(VALU_DEP_1) | instskip(NEXT) | instid1(VALU_DEP_1)
	v_cvt_f16_u16_e32 v0, v0
	v_and_b32_e32 v0, 0xffff, v0
	global_store_b32 v[1:2], v0, off
.LBB15_688:
	s_mov_b32 s22, 0
.LBB15_689:
	s_delay_alu instid0(SALU_CYCLE_1)
	s_and_not1_b32 vcc_lo, exec_lo, s22
	s_cbranch_vccnz .LBB15_698
; %bb.690:
	v_cmp_gt_i16_e32 vcc_lo, 6, v4
	s_mov_b32 s22, -1
	s_cbranch_vccnz .LBB15_696
; %bb.691:
	v_cmp_lt_i16_e32 vcc_lo, 6, v4
	s_cbranch_vccz .LBB15_693
; %bb.692:
	v_and_b32_e32 v0, 0xff, v3
	s_mov_b32 s22, 0
	s_delay_alu instid0(VALU_DEP_1) | instskip(NEXT) | instid1(VALU_DEP_1)
	v_and_b32_e32 v0, 0xffff, v0
	v_cvt_f64_u32_e32 v[9:10], v0
	global_store_b64 v[1:2], v[9:10], off
.LBB15_693:
	s_and_not1_b32 vcc_lo, exec_lo, s22
	s_cbranch_vccnz .LBB15_695
; %bb.694:
	v_cvt_f32_ubyte0_e32 v0, v3
	global_store_b32 v[1:2], v0, off
.LBB15_695:
	s_mov_b32 s22, 0
.LBB15_696:
	s_delay_alu instid0(SALU_CYCLE_1)
	s_and_not1_b32 vcc_lo, exec_lo, s22
	s_cbranch_vccnz .LBB15_698
; %bb.697:
	v_and_b32_e32 v0, 0xff, v3
	s_delay_alu instid0(VALU_DEP_1)
	v_cvt_f16_u16_e32 v0, v0
	global_store_b16 v[1:2], v0, off
.LBB15_698:
	s_mov_b32 s22, 0
.LBB15_699:
	s_delay_alu instid0(SALU_CYCLE_1)
	s_and_not1_b32 vcc_lo, exec_lo, s22
	s_cbranch_vccnz .LBB15_715
; %bb.700:
	v_cmp_gt_i16_e32 vcc_lo, 2, v4
	s_mov_b32 s22, -1
	s_cbranch_vccnz .LBB15_710
; %bb.701:
	v_cmp_gt_i16_e32 vcc_lo, 3, v4
	s_cbranch_vccnz .LBB15_707
; %bb.702:
	v_cmp_lt_i16_e32 vcc_lo, 3, v4
	s_cbranch_vccz .LBB15_704
; %bb.703:
	v_dual_mov_b32 v10, 0 :: v_dual_and_b32 v9, 0xff, v3
	s_mov_b32 s22, 0
	global_store_b64 v[1:2], v[9:10], off
.LBB15_704:
	s_and_not1_b32 vcc_lo, exec_lo, s22
	s_cbranch_vccnz .LBB15_706
; %bb.705:
	v_and_b32_e32 v0, 0xff, v3
	global_store_b32 v[1:2], v0, off
.LBB15_706:
	s_mov_b32 s22, 0
.LBB15_707:
	s_delay_alu instid0(SALU_CYCLE_1)
	s_and_not1_b32 vcc_lo, exec_lo, s22
	s_cbranch_vccnz .LBB15_709
; %bb.708:
	v_and_b32_e32 v0, 0xff, v3
	global_store_b16 v[1:2], v0, off
.LBB15_709:
	s_mov_b32 s22, 0
.LBB15_710:
	s_delay_alu instid0(SALU_CYCLE_1)
	s_and_not1_b32 vcc_lo, exec_lo, s22
	s_cbranch_vccnz .LBB15_715
; %bb.711:
	v_cmp_lt_i16_e32 vcc_lo, 0, v4
	s_mov_b32 s22, -1
	s_cbranch_vccz .LBB15_713
; %bb.712:
	s_mov_b32 s22, 0
	global_store_b8 v[1:2], v3, off
.LBB15_713:
	s_and_not1_b32 vcc_lo, exec_lo, s22
	s_cbranch_vccnz .LBB15_715
; %bb.714:
	global_store_b8 v[1:2], v3, off
.LBB15_715:
	s_branch .LBB15_792
.LBB15_716:
	s_mov_b32 s41, 0
.LBB15_717:
                                        ; implicit-def: $vgpr8
	s_branch .LBB15_793
.LBB15_718:
	s_mov_b32 s2, s38
	s_branch .LBB15_749
.LBB15_719:
	s_mov_b32 s2, s38
	s_branch .LBB15_732
.LBB15_720:
	s_mov_b32 s2, s38
	s_branch .LBB15_728
.LBB15_721:
	s_mov_b32 s2, s38
.LBB15_722:
	s_and_b32 vcc_lo, exec_lo, s23
	s_cbranch_vccz .LBB15_727
; %bb.723:
	v_cmp_eq_u16_e32 vcc_lo, 44, v4
	s_mov_b32 s2, -1
	s_cbranch_vccz .LBB15_727
; %bb.724:
	v_cvt_f32_ubyte0_e32 v10, v3
	v_mov_b32_e32 v9, 0xff
	s_mov_b32 s22, exec_lo
	s_delay_alu instid0(VALU_DEP_2) | instskip(NEXT) | instid1(VALU_DEP_1)
	v_lshrrev_b32_e32 v7, 23, v10
	v_cmpx_ne_u32_e32 0xff, v7
; %bb.725:
	v_and_b32_e32 v9, 0x400000, v10
	v_and_or_b32 v10, 0x3fffff, v10, v7
	s_delay_alu instid0(VALU_DEP_2) | instskip(NEXT) | instid1(VALU_DEP_2)
	v_cmp_ne_u32_e32 vcc_lo, 0, v9
	v_cmp_ne_u32_e64 s2, 0, v10
	s_delay_alu instid0(VALU_DEP_1) | instskip(NEXT) | instid1(SALU_CYCLE_1)
	s_and_b32 s2, vcc_lo, s2
	v_cndmask_b32_e64 v9, 0, 1, s2
	s_delay_alu instid0(VALU_DEP_1)
	v_add_nc_u32_e32 v9, v7, v9
; %bb.726:
	s_or_b32 exec_lo, exec_lo, s22
	s_mov_b32 s22, -1
	s_mov_b32 s2, 0
	global_store_b8 v[1:2], v9, off
.LBB15_727:
	s_mov_b32 s23, 0
.LBB15_728:
	s_delay_alu instid0(SALU_CYCLE_1)
	s_and_b32 vcc_lo, exec_lo, s23
	s_cbranch_vccz .LBB15_731
; %bb.729:
	v_cmp_eq_u16_e32 vcc_lo, 29, v4
	s_mov_b32 s2, -1
	s_cbranch_vccz .LBB15_731
; %bb.730:
	v_dual_mov_b32 v10, 0 :: v_dual_and_b32 v9, 0xff, v3
	s_mov_b32 s22, -1
	s_mov_b32 s2, 0
	s_mov_b32 s23, 0
	global_store_b64 v[1:2], v[9:10], off
	s_branch .LBB15_732
.LBB15_731:
	s_mov_b32 s23, 0
.LBB15_732:
	s_delay_alu instid0(SALU_CYCLE_1)
	s_and_b32 vcc_lo, exec_lo, s23
	s_cbranch_vccz .LBB15_748
; %bb.733:
	v_cmp_gt_i16_e32 vcc_lo, 27, v4
	s_mov_b32 s22, -1
	s_cbranch_vccnz .LBB15_739
; %bb.734:
	v_cmp_lt_i16_e32 vcc_lo, 27, v4
	s_cbranch_vccz .LBB15_736
; %bb.735:
	v_and_b32_e32 v7, 0xff, v3
	s_mov_b32 s22, 0
	global_store_b32 v[1:2], v7, off
.LBB15_736:
	s_and_not1_b32 vcc_lo, exec_lo, s22
	s_cbranch_vccnz .LBB15_738
; %bb.737:
	v_and_b32_e32 v7, 0xff, v3
	global_store_b16 v[1:2], v7, off
.LBB15_738:
	s_mov_b32 s22, 0
.LBB15_739:
	s_delay_alu instid0(SALU_CYCLE_1)
	s_and_not1_b32 vcc_lo, exec_lo, s22
	s_cbranch_vccnz .LBB15_747
; %bb.740:
	v_cvt_f32_ubyte0_e32 v9, v3
	v_mov_b32_e32 v10, 0x80
	s_mov_b32 s22, exec_lo
	s_delay_alu instid0(VALU_DEP_2)
	v_cmpx_gt_u32_e32 0x43800000, v9
	s_cbranch_execz .LBB15_746
; %bb.741:
	s_mov_b32 s23, 0
	s_mov_b32 s41, exec_lo
                                        ; implicit-def: $vgpr7
	v_cmpx_lt_u32_e32 0x3bffffff, v9
	s_xor_b32 s41, exec_lo, s41
	s_cbranch_execz .LBB15_820
; %bb.742:
	v_bfe_u32 v7, v9, 20, 1
	s_mov_b32 s23, exec_lo
	s_delay_alu instid0(VALU_DEP_1) | instskip(NEXT) | instid1(VALU_DEP_1)
	v_add3_u32 v7, v9, v7, 0x487ffff
                                        ; implicit-def: $vgpr9
	v_lshrrev_b32_e32 v7, 20, v7
	s_or_saveexec_b32 s41, s41
                                        ; implicit-def: $sgpr42
	s_delay_alu instid0(SALU_CYCLE_1)
	s_xor_b32 exec_lo, exec_lo, s41
	s_cbranch_execnz .LBB15_821
.LBB15_743:
	s_or_b32 exec_lo, exec_lo, s41
	v_mov_b32_e32 v10, s42
	s_and_saveexec_b32 s41, s23
.LBB15_744:
	v_mov_b32_e32 v10, v7
.LBB15_745:
	s_or_b32 exec_lo, exec_lo, s41
.LBB15_746:
	s_delay_alu instid0(SALU_CYCLE_1)
	s_or_b32 exec_lo, exec_lo, s22
	global_store_b8 v[1:2], v10, off
.LBB15_747:
	s_mov_b32 s22, -1
.LBB15_748:
	s_mov_b32 s23, 0
.LBB15_749:
	s_delay_alu instid0(SALU_CYCLE_1)
	s_and_b32 vcc_lo, exec_lo, s23
	s_cbranch_vccz .LBB15_790
; %bb.750:
	v_cmp_lt_i16_e32 vcc_lo, 22, v4
	s_mov_b32 s23, -1
	s_cbranch_vccz .LBB15_782
; %bb.751:
	v_cmp_gt_i16_e32 vcc_lo, 24, v4
	s_mov_b32 s22, -1
	s_cbranch_vccnz .LBB15_771
; %bb.752:
	v_cmp_lt_i16_e32 vcc_lo, 24, v4
	s_cbranch_vccz .LBB15_760
; %bb.753:
	v_cvt_f32_ubyte0_e32 v9, v3
	v_mov_b32_e32 v10, 0x80
	s_mov_b32 s22, exec_lo
	s_delay_alu instid0(VALU_DEP_2)
	v_cmpx_gt_u32_e32 0x47800000, v9
	s_cbranch_execz .LBB15_759
; %bb.754:
	s_mov_b32 s23, 0
	s_mov_b32 s41, exec_lo
                                        ; implicit-def: $vgpr7
	v_cmpx_lt_u32_e32 0x37ffffff, v9
	s_xor_b32 s41, exec_lo, s41
	s_cbranch_execz .LBB15_823
; %bb.755:
	v_bfe_u32 v7, v9, 21, 1
	s_mov_b32 s23, exec_lo
	s_delay_alu instid0(VALU_DEP_1) | instskip(NEXT) | instid1(VALU_DEP_1)
	v_add3_u32 v7, v9, v7, 0x88fffff
                                        ; implicit-def: $vgpr9
	v_lshrrev_b32_e32 v7, 21, v7
	s_or_saveexec_b32 s41, s41
                                        ; implicit-def: $sgpr42
	s_delay_alu instid0(SALU_CYCLE_1)
	s_xor_b32 exec_lo, exec_lo, s41
	s_cbranch_execnz .LBB15_824
.LBB15_756:
	s_or_b32 exec_lo, exec_lo, s41
	v_mov_b32_e32 v10, s42
	s_and_saveexec_b32 s41, s23
.LBB15_757:
	v_mov_b32_e32 v10, v7
.LBB15_758:
	s_or_b32 exec_lo, exec_lo, s41
.LBB15_759:
	s_delay_alu instid0(SALU_CYCLE_1)
	s_or_b32 exec_lo, exec_lo, s22
	s_mov_b32 s22, 0
	global_store_b8 v[1:2], v10, off
.LBB15_760:
	s_and_b32 vcc_lo, exec_lo, s22
	s_cbranch_vccz .LBB15_770
; %bb.761:
	v_cvt_f32_ubyte0_e32 v9, v3
	s_mov_b32 s22, exec_lo
                                        ; implicit-def: $vgpr7
	s_delay_alu instid0(VALU_DEP_1)
	v_cmpx_gt_u32_e32 0x43f00000, v9
	s_xor_b32 s22, exec_lo, s22
	s_cbranch_execz .LBB15_767
; %bb.762:
	s_mov_b32 s23, exec_lo
                                        ; implicit-def: $vgpr7
	v_cmpx_lt_u32_e32 0x3c7fffff, v9
	s_xor_b32 s23, exec_lo, s23
; %bb.763:
	v_bfe_u32 v7, v9, 20, 1
	s_delay_alu instid0(VALU_DEP_1) | instskip(NEXT) | instid1(VALU_DEP_1)
	v_add3_u32 v7, v9, v7, 0x407ffff
	v_and_b32_e32 v9, 0xff00000, v7
	v_lshrrev_b32_e32 v7, 20, v7
	s_delay_alu instid0(VALU_DEP_2) | instskip(NEXT) | instid1(VALU_DEP_2)
	v_cmp_ne_u32_e32 vcc_lo, 0x7f00000, v9
                                        ; implicit-def: $vgpr9
	v_cndmask_b32_e32 v7, 0x7e, v7, vcc_lo
; %bb.764:
	s_and_not1_saveexec_b32 s23, s23
; %bb.765:
	v_add_f32_e32 v7, 0x46800000, v9
; %bb.766:
	s_or_b32 exec_lo, exec_lo, s23
                                        ; implicit-def: $vgpr9
.LBB15_767:
	s_and_not1_saveexec_b32 s22, s22
; %bb.768:
	v_mov_b32_e32 v7, 0x7f
	v_cmp_lt_u32_e32 vcc_lo, 0x7f800000, v9
	s_delay_alu instid0(VALU_DEP_2)
	v_cndmask_b32_e32 v7, 0x7e, v7, vcc_lo
; %bb.769:
	s_or_b32 exec_lo, exec_lo, s22
	global_store_b8 v[1:2], v7, off
.LBB15_770:
	s_mov_b32 s22, 0
.LBB15_771:
	s_delay_alu instid0(SALU_CYCLE_1)
	s_and_not1_b32 vcc_lo, exec_lo, s22
	s_cbranch_vccnz .LBB15_781
; %bb.772:
	v_cvt_f32_ubyte0_e32 v9, v3
	s_mov_b32 s22, exec_lo
                                        ; implicit-def: $vgpr7
	s_delay_alu instid0(VALU_DEP_1)
	v_cmpx_gt_u32_e32 0x47800000, v9
	s_xor_b32 s22, exec_lo, s22
	s_cbranch_execz .LBB15_778
; %bb.773:
	s_mov_b32 s23, exec_lo
                                        ; implicit-def: $vgpr7
	v_cmpx_lt_u32_e32 0x387fffff, v9
	s_xor_b32 s23, exec_lo, s23
; %bb.774:
	v_bfe_u32 v7, v9, 21, 1
	s_delay_alu instid0(VALU_DEP_1) | instskip(NEXT) | instid1(VALU_DEP_1)
	v_add3_u32 v7, v9, v7, 0x80fffff
                                        ; implicit-def: $vgpr9
	v_lshrrev_b32_e32 v7, 21, v7
; %bb.775:
	s_and_not1_saveexec_b32 s23, s23
; %bb.776:
	v_add_f32_e32 v7, 0x43000000, v9
; %bb.777:
	s_or_b32 exec_lo, exec_lo, s23
                                        ; implicit-def: $vgpr9
.LBB15_778:
	s_and_not1_saveexec_b32 s22, s22
; %bb.779:
	v_mov_b32_e32 v7, 0x7f
	v_cmp_lt_u32_e32 vcc_lo, 0x7f800000, v9
	s_delay_alu instid0(VALU_DEP_2)
	v_cndmask_b32_e32 v7, 0x7c, v7, vcc_lo
; %bb.780:
	s_or_b32 exec_lo, exec_lo, s22
	global_store_b8 v[1:2], v7, off
.LBB15_781:
	s_mov_b32 s23, 0
	s_mov_b32 s22, -1
.LBB15_782:
	s_and_not1_b32 vcc_lo, exec_lo, s23
	s_cbranch_vccnz .LBB15_790
; %bb.783:
	v_cmp_lt_i16_e32 vcc_lo, 14, v4
	s_mov_b32 s23, -1
	s_cbranch_vccz .LBB15_787
; %bb.784:
	v_cmp_eq_u16_e32 vcc_lo, 15, v4
	s_mov_b32 s2, -1
	s_cbranch_vccz .LBB15_786
; %bb.785:
	v_cvt_f32_ubyte0_e32 v7, v3
	s_mov_b32 s22, -1
	s_mov_b32 s2, 0
	s_delay_alu instid0(VALU_DEP_1) | instskip(NEXT) | instid1(VALU_DEP_1)
	v_bfe_u32 v9, v7, 16, 1
	v_add3_u32 v7, v7, v9, 0x7fff
	global_store_d16_hi_b16 v[1:2], v7, off
.LBB15_786:
	s_mov_b32 s23, 0
.LBB15_787:
	s_delay_alu instid0(SALU_CYCLE_1)
	s_and_b32 vcc_lo, exec_lo, s23
	s_cbranch_vccz .LBB15_790
; %bb.788:
	v_cmp_eq_u16_e32 vcc_lo, 11, v4
	s_mov_b32 s2, -1
	s_cbranch_vccz .LBB15_790
; %bb.789:
	v_and_b32_e32 v0, 0xff, v0
	s_mov_b32 s22, -1
	s_mov_b32 s2, 0
	s_delay_alu instid0(VALU_DEP_1)
	v_cmp_ne_u16_e32 vcc_lo, 0xff, v0
	v_cndmask_b32_e64 v0, 0, 1, vcc_lo
	global_store_b8 v[1:2], v0, off
.LBB15_790:
.LBB15_791:
	s_and_not1_b32 vcc_lo, exec_lo, s22
	s_cbranch_vccnz .LBB15_716
.LBB15_792:
	v_add_nc_u32_e32 v8, 0x80, v8
	s_mov_b32 s41, -1
.LBB15_793:
	s_and_not1_b32 s22, s38, exec_lo
	s_and_b32 s2, s2, exec_lo
	s_and_not1_b32 s42, s37, exec_lo
	s_and_b32 s3, s3, exec_lo
	s_or_b32 s23, s22, s2
	s_or_b32 s22, s42, s3
	s_or_not1_b32 s42, s41, exec_lo
.LBB15_794:
	s_or_b32 exec_lo, exec_lo, s40
	s_mov_b32 s2, 0
	s_mov_b32 s3, 0
	;; [unrolled: 1-line block ×3, first 2 shown]
                                        ; implicit-def: $vgpr3_vgpr4
                                        ; implicit-def: $vgpr2
                                        ; implicit-def: $vgpr0
	s_and_saveexec_b32 s40, s42
	s_cbranch_execz .LBB15_888
; %bb.795:
	v_cmp_gt_i32_e32 vcc_lo, s30, v8
	s_mov_b32 s43, s22
	s_mov_b32 s42, 0
                                        ; implicit-def: $vgpr3_vgpr4
                                        ; implicit-def: $vgpr2
                                        ; implicit-def: $vgpr0
	s_and_saveexec_b32 s30, vcc_lo
	s_cbranch_execz .LBB15_887
; %bb.796:
	s_and_not1_b32 vcc_lo, exec_lo, s27
	s_cbranch_vccnz .LBB15_801
; %bb.797:
	v_mov_b32_e32 v2, 0
	s_waitcnt vmcnt(0)
	v_mov_b32_e32 v0, 0
	s_and_not1_b32 vcc_lo, exec_lo, s33
	s_mov_b32 s33, 0
	s_cbranch_vccnz .LBB15_806
; %bb.798:
	v_mov_b32_e32 v2, 0
	s_add_i32 s41, s31, 1
	s_cmp_eq_u32 s25, 2
	s_mov_b32 s31, 0
	s_cbranch_scc1 .LBB15_802
; %bb.799:
	v_dual_mov_b32 v0, 0 :: v_dual_mov_b32 v1, v8
	v_mov_b32_e32 v2, 0
	s_and_b32 s31, s41, 28
	s_mov_b64 s[2:3], s[16:17]
.LBB15_800:                             ; =>This Inner Loop Header: Depth=1
	s_clause 0x1
	s_load_b256 s[44:51], s[2:3], 0x4
	s_load_b128 s[60:63], s[2:3], 0x24
	s_load_b256 s[52:59], s[20:21], 0x0
	s_add_u32 s2, s2, 48
	s_addc_u32 s3, s3, 0
	s_add_i32 s42, s42, 4
	s_add_u32 s20, s20, 32
	s_addc_u32 s21, s21, 0
	s_cmp_eq_u32 s31, s42
	s_waitcnt lgkmcnt(0)
	v_mul_hi_u32 v3, s45, v1
	s_delay_alu instid0(VALU_DEP_1) | instskip(NEXT) | instid1(VALU_DEP_1)
	v_add_nc_u32_e32 v3, v1, v3
	v_lshrrev_b32_e32 v3, s46, v3
	s_delay_alu instid0(VALU_DEP_1) | instskip(SKIP_1) | instid1(VALU_DEP_2)
	v_mul_hi_u32 v4, s48, v3
	v_mul_lo_u32 v9, v3, s44
	v_add_nc_u32_e32 v4, v3, v4
	s_delay_alu instid0(VALU_DEP_2) | instskip(NEXT) | instid1(VALU_DEP_2)
	v_sub_nc_u32_e32 v1, v1, v9
	v_lshrrev_b32_e32 v4, s49, v4
	s_delay_alu instid0(VALU_DEP_2) | instskip(SKIP_1) | instid1(VALU_DEP_3)
	v_mul_lo_u32 v9, v1, s52
	v_mul_lo_u32 v11, v1, s53
	v_mul_hi_u32 v7, s51, v4
	s_delay_alu instid0(VALU_DEP_1) | instskip(NEXT) | instid1(VALU_DEP_1)
	v_add_nc_u32_e32 v7, v4, v7
	v_lshrrev_b32_e32 v7, s60, v7
	s_delay_alu instid0(VALU_DEP_1) | instskip(SKIP_1) | instid1(VALU_DEP_2)
	v_mul_hi_u32 v10, s62, v7
	v_mul_lo_u32 v12, v7, s50
	v_add_nc_u32_e32 v1, v7, v10
	v_mul_lo_u32 v10, v4, s47
	s_delay_alu instid0(VALU_DEP_3) | instskip(NEXT) | instid1(VALU_DEP_3)
	v_sub_nc_u32_e32 v4, v4, v12
	v_lshrrev_b32_e32 v1, s63, v1
	s_delay_alu instid0(VALU_DEP_2) | instskip(SKIP_2) | instid1(VALU_DEP_4)
	v_mul_lo_u32 v12, v4, s56
	v_mul_lo_u32 v4, v4, s57
	v_sub_nc_u32_e32 v3, v3, v10
	v_mul_lo_u32 v13, v1, s61
	s_delay_alu instid0(VALU_DEP_2) | instskip(SKIP_1) | instid1(VALU_DEP_3)
	v_mul_lo_u32 v10, v3, s54
	v_mul_lo_u32 v3, v3, s55
	v_sub_nc_u32_e32 v7, v7, v13
	s_delay_alu instid0(VALU_DEP_3) | instskip(NEXT) | instid1(VALU_DEP_2)
	v_add3_u32 v2, v9, v2, v10
	v_mul_lo_u32 v13, v7, s58
	v_mul_lo_u32 v7, v7, s59
	v_add3_u32 v0, v11, v0, v3
	s_delay_alu instid0(VALU_DEP_3) | instskip(NEXT) | instid1(VALU_DEP_2)
	v_add3_u32 v2, v12, v2, v13
	v_add3_u32 v0, v4, v0, v7
	s_cbranch_scc0 .LBB15_800
	s_branch .LBB15_803
.LBB15_801:
	s_mov_b32 s33, -1
                                        ; implicit-def: $vgpr2
                                        ; implicit-def: $vgpr0
	s_branch .LBB15_806
.LBB15_802:
	v_dual_mov_b32 v1, v8 :: v_dual_mov_b32 v0, 0
.LBB15_803:
	s_and_b32 s41, s41, 3
	s_delay_alu instid0(SALU_CYCLE_1)
	s_cmp_eq_u32 s41, 0
	s_cbranch_scc1 .LBB15_806
; %bb.804:
	s_lshl_b32 s2, s31, 3
	s_mul_i32 s20, s31, 12
	s_add_u32 s2, s2, s16
	s_addc_u32 s3, s17, 0
	s_add_u32 s2, s2, 0xc4
	s_addc_u32 s3, s3, 0
	;; [unrolled: 2-line block ×3, first 2 shown]
.LBB15_805:                             ; =>This Inner Loop Header: Depth=1
	s_clause 0x1
	s_load_b64 s[42:43], s[20:21], 0x4
	s_load_b32 s31, s[20:21], 0xc
	s_load_b64 s[44:45], s[2:3], 0x0
	s_add_u32 s20, s20, 12
	s_addc_u32 s21, s21, 0
	s_add_u32 s2, s2, 8
	s_addc_u32 s3, s3, 0
	s_add_i32 s41, s41, -1
	s_delay_alu instid0(SALU_CYCLE_1) | instskip(SKIP_2) | instid1(VALU_DEP_1)
	s_cmp_lg_u32 s41, 0
	s_waitcnt lgkmcnt(0)
	v_mul_hi_u32 v3, s43, v1
	v_add_nc_u32_e32 v3, v1, v3
	s_delay_alu instid0(VALU_DEP_1) | instskip(NEXT) | instid1(VALU_DEP_1)
	v_lshrrev_b32_e32 v7, s31, v3
	v_mul_lo_u32 v3, v7, s42
	s_delay_alu instid0(VALU_DEP_1) | instskip(NEXT) | instid1(VALU_DEP_1)
	v_sub_nc_u32_e32 v1, v1, v3
	v_mad_u64_u32 v[3:4], null, v1, s44, v[2:3]
	v_mad_u64_u32 v[9:10], null, v1, s45, v[0:1]
	v_mov_b32_e32 v1, v7
	s_delay_alu instid0(VALU_DEP_3) | instskip(NEXT) | instid1(VALU_DEP_3)
	v_mov_b32_e32 v2, v3
	v_mov_b32_e32 v0, v9
	s_cbranch_scc1 .LBB15_805
.LBB15_806:
	s_and_not1_b32 vcc_lo, exec_lo, s33
	s_cbranch_vccnz .LBB15_809
; %bb.807:
	s_waitcnt vmcnt(0) lgkmcnt(0)
	v_mul_hi_u32 v0, s13, v8
	s_and_not1_b32 vcc_lo, exec_lo, s29
	s_delay_alu instid0(VALU_DEP_1) | instskip(NEXT) | instid1(VALU_DEP_1)
	v_add_nc_u32_e32 v0, v8, v0
	v_lshrrev_b32_e32 v1, s14, v0
	s_delay_alu instid0(VALU_DEP_1) | instskip(NEXT) | instid1(VALU_DEP_1)
	v_mul_lo_u32 v0, v1, s12
	v_sub_nc_u32_e32 v0, v8, v0
	s_delay_alu instid0(VALU_DEP_1)
	v_mul_lo_u32 v2, v0, s8
	v_mul_lo_u32 v0, v0, s9
	s_cbranch_vccnz .LBB15_809
; %bb.808:
	v_mul_hi_u32 v3, s18, v1
	s_delay_alu instid0(VALU_DEP_1) | instskip(NEXT) | instid1(VALU_DEP_1)
	v_add_nc_u32_e32 v3, v1, v3
	v_lshrrev_b32_e32 v3, s19, v3
	s_delay_alu instid0(VALU_DEP_1) | instskip(NEXT) | instid1(VALU_DEP_1)
	v_mul_lo_u32 v3, v3, s15
	v_sub_nc_u32_e32 v7, v1, v3
	s_delay_alu instid0(VALU_DEP_1) | instskip(SKIP_1) | instid1(VALU_DEP_2)
	v_mad_u64_u32 v[3:4], null, v7, s10, v[2:3]
	v_mad_u64_u32 v[1:2], null, v7, s11, v[0:1]
	v_mov_b32_e32 v2, v3
	s_delay_alu instid0(VALU_DEP_2)
	v_mov_b32_e32 v0, v1
.LBB15_809:
	v_cmp_gt_i16_e32 vcc_lo, 11, v6
	s_waitcnt vmcnt(0) lgkmcnt(0)
	s_delay_alu instid0(VALU_DEP_2) | instskip(NEXT) | instid1(VALU_DEP_1)
	v_add_co_u32 v3, s2, s6, v0
	v_add_co_ci_u32_e64 v4, null, s7, 0, s2
	s_mov_b32 s6, 0
	s_cbranch_vccnz .LBB15_816
; %bb.810:
	v_cmp_lt_i16_e32 vcc_lo, 25, v6
	s_mov_b32 s3, 0
	s_cbranch_vccz .LBB15_817
; %bb.811:
	v_cmp_lt_i16_e32 vcc_lo, 28, v6
	s_cbranch_vccz .LBB15_818
; %bb.812:
	v_cmp_lt_i16_e32 vcc_lo, 43, v6
	;; [unrolled: 3-line block ×3, first 2 shown]
	s_cbranch_vccz .LBB15_822
; %bb.814:
	v_cmp_eq_u16_e32 vcc_lo, 46, v6
	s_mov_b32 s7, 0
	s_cbranch_vccz .LBB15_825
; %bb.815:
	global_load_b32 v0, v[3:4], off
	s_mov_b32 s2, 0
	s_mov_b32 s6, -1
	s_waitcnt vmcnt(0)
	v_lshlrev_b32_e32 v0, 16, v0
	s_delay_alu instid0(VALU_DEP_1) | instskip(NEXT) | instid1(VALU_DEP_1)
	v_trunc_f32_e32 v0, v0
	v_mul_f32_e64 v1, 0x2f800000, |v0|
	s_delay_alu instid0(VALU_DEP_1) | instskip(NEXT) | instid1(VALU_DEP_1)
	v_floor_f32_e32 v1, v1
	v_fma_f32 v1, 0xcf800000, v1, |v0|
	v_ashrrev_i32_e32 v0, 31, v0
	s_delay_alu instid0(VALU_DEP_2) | instskip(NEXT) | instid1(VALU_DEP_1)
	v_cvt_u32_f32_e32 v1, v1
	v_xor_b32_e32 v1, v1, v0
	s_delay_alu instid0(VALU_DEP_1)
	v_sub_nc_u32_e32 v0, v1, v0
	s_branch .LBB15_827
.LBB15_816:
	s_mov_b32 s7, -1
	s_mov_b32 s3, 0
	s_mov_b32 s2, s22
                                        ; implicit-def: $vgpr0
	s_branch .LBB15_886
.LBB15_817:
	s_mov_b32 s7, -1
	s_mov_b32 s2, s22
                                        ; implicit-def: $vgpr0
	s_branch .LBB15_854
.LBB15_818:
	s_mov_b32 s7, -1
	s_mov_b32 s2, s22
                                        ; implicit-def: $vgpr0
	s_branch .LBB15_837
.LBB15_819:
	s_mov_b32 s7, -1
	s_mov_b32 s2, s22
                                        ; implicit-def: $vgpr0
	s_branch .LBB15_832
.LBB15_820:
	s_or_saveexec_b32 s41, s41
                                        ; implicit-def: $sgpr42
	s_delay_alu instid0(SALU_CYCLE_1)
	s_xor_b32 exec_lo, exec_lo, s41
	s_cbranch_execz .LBB15_743
.LBB15_821:
	v_add_f32_e32 v7, 0x46000000, v9
	s_and_not1_b32 s23, s23, exec_lo
	s_mov_b32 s42, 0
	s_delay_alu instid0(VALU_DEP_1) | instskip(NEXT) | instid1(VALU_DEP_1)
	v_and_b32_e32 v7, 0xff, v7
	v_cmp_ne_u32_e32 vcc_lo, 0, v7
	s_and_b32 s43, vcc_lo, exec_lo
	s_delay_alu instid0(SALU_CYCLE_1)
	s_or_b32 s23, s23, s43
	s_or_b32 exec_lo, exec_lo, s41
	v_mov_b32_e32 v10, s42
	s_and_saveexec_b32 s41, s23
	s_cbranch_execnz .LBB15_744
	s_branch .LBB15_745
.LBB15_822:
	s_mov_b32 s7, -1
	s_mov_b32 s2, s22
	s_branch .LBB15_826
.LBB15_823:
	s_or_saveexec_b32 s41, s41
                                        ; implicit-def: $sgpr42
	s_delay_alu instid0(SALU_CYCLE_1)
	s_xor_b32 exec_lo, exec_lo, s41
	s_cbranch_execz .LBB15_756
.LBB15_824:
	v_add_f32_e32 v7, 0x42800000, v9
	s_and_not1_b32 s23, s23, exec_lo
	s_mov_b32 s42, 0
	s_delay_alu instid0(VALU_DEP_1) | instskip(NEXT) | instid1(VALU_DEP_1)
	v_and_b32_e32 v7, 0xff, v7
	v_cmp_ne_u32_e32 vcc_lo, 0, v7
	s_and_b32 s43, vcc_lo, exec_lo
	s_delay_alu instid0(SALU_CYCLE_1)
	s_or_b32 s23, s23, s43
	s_or_b32 exec_lo, exec_lo, s41
	v_mov_b32_e32 v10, s42
	s_and_saveexec_b32 s41, s23
	s_cbranch_execnz .LBB15_757
	s_branch .LBB15_758
.LBB15_825:
	s_mov_b32 s2, -1
.LBB15_826:
                                        ; implicit-def: $vgpr0
.LBB15_827:
	s_and_b32 vcc_lo, exec_lo, s7
	s_cbranch_vccz .LBB15_831
; %bb.828:
	v_cmp_eq_u16_e32 vcc_lo, 44, v6
	s_cbranch_vccz .LBB15_830
; %bb.829:
	global_load_u8 v0, v[3:4], off
	s_mov_b32 s2, 0
	s_mov_b32 s6, -1
	s_waitcnt vmcnt(0)
	v_lshlrev_b32_e32 v1, 23, v0
	v_cmp_ne_u32_e32 vcc_lo, 0, v0
	s_delay_alu instid0(VALU_DEP_2) | instskip(NEXT) | instid1(VALU_DEP_1)
	v_trunc_f32_e32 v1, v1
	v_mul_f32_e64 v7, 0x2f800000, |v1|
	s_delay_alu instid0(VALU_DEP_1) | instskip(NEXT) | instid1(VALU_DEP_1)
	v_floor_f32_e32 v7, v7
	v_fma_f32 v7, 0xcf800000, v7, |v1|
	v_ashrrev_i32_e32 v1, 31, v1
	s_delay_alu instid0(VALU_DEP_2) | instskip(NEXT) | instid1(VALU_DEP_1)
	v_cvt_u32_f32_e32 v7, v7
	v_xor_b32_e32 v7, v7, v1
	s_delay_alu instid0(VALU_DEP_1) | instskip(NEXT) | instid1(VALU_DEP_1)
	v_sub_nc_u32_e32 v1, v7, v1
	v_cndmask_b32_e32 v0, 0, v1, vcc_lo
	s_branch .LBB15_831
.LBB15_830:
	s_mov_b32 s2, -1
                                        ; implicit-def: $vgpr0
.LBB15_831:
	s_mov_b32 s7, 0
.LBB15_832:
	s_delay_alu instid0(SALU_CYCLE_1)
	s_and_b32 vcc_lo, exec_lo, s7
	s_cbranch_vccz .LBB15_836
; %bb.833:
	v_cmp_eq_u16_e32 vcc_lo, 29, v6
	s_cbranch_vccz .LBB15_835
; %bb.834:
	global_load_b64 v[0:1], v[3:4], off
	s_mov_b32 s2, 0
	s_mov_b32 s6, -1
	s_branch .LBB15_836
.LBB15_835:
	s_mov_b32 s2, -1
                                        ; implicit-def: $vgpr0
.LBB15_836:
	s_mov_b32 s7, 0
.LBB15_837:
	s_delay_alu instid0(SALU_CYCLE_1)
	s_and_b32 vcc_lo, exec_lo, s7
	s_cbranch_vccz .LBB15_853
; %bb.838:
	v_cmp_gt_i16_e32 vcc_lo, 27, v6
	s_cbranch_vccnz .LBB15_841
; %bb.839:
	v_cmp_lt_i16_e32 vcc_lo, 27, v6
	s_cbranch_vccz .LBB15_842
; %bb.840:
	global_load_b32 v0, v[3:4], off
	s_mov_b32 s6, 0
	s_branch .LBB15_843
.LBB15_841:
	s_mov_b32 s6, -1
                                        ; implicit-def: $vgpr0
	s_branch .LBB15_846
.LBB15_842:
	s_mov_b32 s6, -1
                                        ; implicit-def: $vgpr0
.LBB15_843:
	s_delay_alu instid0(SALU_CYCLE_1)
	s_and_not1_b32 vcc_lo, exec_lo, s6
	s_cbranch_vccnz .LBB15_845
; %bb.844:
	global_load_u16 v0, v[3:4], off
.LBB15_845:
	s_mov_b32 s6, 0
.LBB15_846:
	s_delay_alu instid0(SALU_CYCLE_1)
	s_and_not1_b32 vcc_lo, exec_lo, s6
	s_cbranch_vccnz .LBB15_852
; %bb.847:
	global_load_u8 v1, v[3:4], off
	s_mov_b32 s7, 0
	s_mov_b32 s6, exec_lo
                                        ; implicit-def: $sgpr8
	s_waitcnt vmcnt(0)
	v_cmpx_lt_i16_e32 0x7f, v1
	s_xor_b32 s6, exec_lo, s6
	s_cbranch_execz .LBB15_864
; %bb.848:
	v_cmp_ne_u16_e32 vcc_lo, 0x80, v1
	s_mov_b32 s8, 0
	s_and_b32 s7, vcc_lo, exec_lo
	s_or_saveexec_b32 s6, s6
	v_mov_b32_e32 v0, s8
	s_xor_b32 exec_lo, exec_lo, s6
	s_cbranch_execnz .LBB15_865
.LBB15_849:
	s_or_b32 exec_lo, exec_lo, s6
	s_and_saveexec_b32 s6, s7
	s_cbranch_execz .LBB15_851
.LBB15_850:
	v_and_b32_e32 v0, 0xffff, v1
	v_lshlrev_b32_e32 v1, 24, v1
	s_delay_alu instid0(VALU_DEP_2) | instskip(NEXT) | instid1(VALU_DEP_2)
	v_and_b32_e32 v7, 7, v0
	v_and_b32_e32 v1, 0x80000000, v1
	s_delay_alu instid0(VALU_DEP_2) | instskip(NEXT) | instid1(VALU_DEP_1)
	v_clz_i32_u32_e32 v8, v7
	v_min_u32_e32 v8, 32, v8
	s_delay_alu instid0(VALU_DEP_1) | instskip(SKIP_1) | instid1(VALU_DEP_2)
	v_subrev_nc_u32_e32 v9, 28, v8
	v_sub_nc_u32_e32 v8, 29, v8
	v_lshlrev_b32_e32 v9, v9, v0
	v_bfe_u32 v0, v0, 3, 4
	s_delay_alu instid0(VALU_DEP_1) | instskip(NEXT) | instid1(VALU_DEP_3)
	v_cmp_eq_u32_e32 vcc_lo, 0, v0
	v_dual_cndmask_b32 v0, v0, v8 :: v_dual_and_b32 v9, 7, v9
	s_delay_alu instid0(VALU_DEP_1) | instskip(NEXT) | instid1(VALU_DEP_2)
	v_cndmask_b32_e32 v7, v7, v9, vcc_lo
	v_lshl_add_u32 v0, v0, 23, 0x3b800000
	s_delay_alu instid0(VALU_DEP_2) | instskip(NEXT) | instid1(VALU_DEP_1)
	v_lshlrev_b32_e32 v7, 20, v7
	v_or3_b32 v0, v1, v0, v7
	s_delay_alu instid0(VALU_DEP_1) | instskip(NEXT) | instid1(VALU_DEP_1)
	v_trunc_f32_e32 v0, v0
	v_mul_f32_e64 v1, 0x2f800000, |v0|
	s_delay_alu instid0(VALU_DEP_1) | instskip(NEXT) | instid1(VALU_DEP_1)
	v_floor_f32_e32 v1, v1
	v_fma_f32 v1, 0xcf800000, v1, |v0|
	v_ashrrev_i32_e32 v0, 31, v0
	s_delay_alu instid0(VALU_DEP_2) | instskip(NEXT) | instid1(VALU_DEP_1)
	v_cvt_u32_f32_e32 v1, v1
	v_xor_b32_e32 v1, v1, v0
	s_delay_alu instid0(VALU_DEP_1)
	v_sub_nc_u32_e32 v0, v1, v0
.LBB15_851:
	s_or_b32 exec_lo, exec_lo, s6
.LBB15_852:
	s_mov_b32 s6, -1
.LBB15_853:
	s_mov_b32 s7, 0
.LBB15_854:
	s_delay_alu instid0(SALU_CYCLE_1)
	s_and_b32 vcc_lo, exec_lo, s7
	s_cbranch_vccz .LBB15_885
; %bb.855:
	v_cmp_lt_i16_e32 vcc_lo, 22, v6
	s_cbranch_vccz .LBB15_863
; %bb.856:
	v_cmp_gt_i16_e32 vcc_lo, 24, v6
	s_cbranch_vccnz .LBB15_866
; %bb.857:
	v_cmp_lt_i16_e32 vcc_lo, 24, v6
	s_cbranch_vccz .LBB15_867
; %bb.858:
	global_load_u8 v1, v[3:4], off
	s_mov_b32 s6, 0
	s_mov_b32 s3, exec_lo
                                        ; implicit-def: $sgpr7
	s_waitcnt vmcnt(0)
	v_cmpx_lt_i16_e32 0x7f, v1
	s_xor_b32 s3, exec_lo, s3
	s_cbranch_execz .LBB15_879
; %bb.859:
	v_cmp_ne_u16_e32 vcc_lo, 0x80, v1
	s_mov_b32 s7, 0
	s_and_b32 s6, vcc_lo, exec_lo
	s_or_saveexec_b32 s3, s3
	v_mov_b32_e32 v0, s7
	s_xor_b32 exec_lo, exec_lo, s3
	s_cbranch_execnz .LBB15_880
.LBB15_860:
	s_or_b32 exec_lo, exec_lo, s3
	s_and_saveexec_b32 s3, s6
	s_cbranch_execz .LBB15_862
.LBB15_861:
	v_and_b32_e32 v0, 0xffff, v1
	v_lshlrev_b32_e32 v1, 24, v1
	s_delay_alu instid0(VALU_DEP_2) | instskip(NEXT) | instid1(VALU_DEP_2)
	v_and_b32_e32 v7, 3, v0
	v_and_b32_e32 v1, 0x80000000, v1
	s_delay_alu instid0(VALU_DEP_2) | instskip(NEXT) | instid1(VALU_DEP_1)
	v_clz_i32_u32_e32 v8, v7
	v_min_u32_e32 v8, 32, v8
	s_delay_alu instid0(VALU_DEP_1) | instskip(SKIP_1) | instid1(VALU_DEP_2)
	v_subrev_nc_u32_e32 v9, 29, v8
	v_sub_nc_u32_e32 v8, 30, v8
	v_lshlrev_b32_e32 v9, v9, v0
	v_bfe_u32 v0, v0, 2, 5
	s_delay_alu instid0(VALU_DEP_1) | instskip(NEXT) | instid1(VALU_DEP_3)
	v_cmp_eq_u32_e32 vcc_lo, 0, v0
	v_dual_cndmask_b32 v0, v0, v8 :: v_dual_and_b32 v9, 3, v9
	s_delay_alu instid0(VALU_DEP_1) | instskip(NEXT) | instid1(VALU_DEP_2)
	v_cndmask_b32_e32 v7, v7, v9, vcc_lo
	v_lshl_add_u32 v0, v0, 23, 0x37800000
	s_delay_alu instid0(VALU_DEP_2) | instskip(NEXT) | instid1(VALU_DEP_1)
	v_lshlrev_b32_e32 v7, 21, v7
	v_or3_b32 v0, v1, v0, v7
	s_delay_alu instid0(VALU_DEP_1) | instskip(NEXT) | instid1(VALU_DEP_1)
	v_trunc_f32_e32 v0, v0
	v_mul_f32_e64 v1, 0x2f800000, |v0|
	s_delay_alu instid0(VALU_DEP_1) | instskip(NEXT) | instid1(VALU_DEP_1)
	v_floor_f32_e32 v1, v1
	v_fma_f32 v1, 0xcf800000, v1, |v0|
	v_ashrrev_i32_e32 v0, 31, v0
	s_delay_alu instid0(VALU_DEP_2) | instskip(NEXT) | instid1(VALU_DEP_1)
	v_cvt_u32_f32_e32 v1, v1
	v_xor_b32_e32 v1, v1, v0
	s_delay_alu instid0(VALU_DEP_1)
	v_sub_nc_u32_e32 v0, v1, v0
.LBB15_862:
	s_or_b32 exec_lo, exec_lo, s3
	s_mov_b32 s3, 0
	s_branch .LBB15_868
.LBB15_863:
	s_mov_b32 s3, -1
                                        ; implicit-def: $vgpr0
	s_branch .LBB15_874
.LBB15_864:
	s_or_saveexec_b32 s6, s6
	v_mov_b32_e32 v0, s8
	s_xor_b32 exec_lo, exec_lo, s6
	s_cbranch_execz .LBB15_849
.LBB15_865:
	v_cmp_ne_u16_e32 vcc_lo, 0, v1
	v_mov_b32_e32 v0, 0
	s_and_not1_b32 s7, s7, exec_lo
	s_and_b32 s8, vcc_lo, exec_lo
	s_delay_alu instid0(SALU_CYCLE_1)
	s_or_b32 s7, s7, s8
	s_or_b32 exec_lo, exec_lo, s6
	s_and_saveexec_b32 s6, s7
	s_cbranch_execnz .LBB15_850
	s_branch .LBB15_851
.LBB15_866:
	s_mov_b32 s3, -1
                                        ; implicit-def: $vgpr0
	s_branch .LBB15_871
.LBB15_867:
	s_mov_b32 s3, -1
                                        ; implicit-def: $vgpr0
.LBB15_868:
	s_delay_alu instid0(SALU_CYCLE_1)
	s_and_b32 vcc_lo, exec_lo, s3
	s_cbranch_vccz .LBB15_870
; %bb.869:
	global_load_u8 v0, v[3:4], off
	s_waitcnt vmcnt(0)
	v_lshlrev_b32_e32 v0, 24, v0
	s_delay_alu instid0(VALU_DEP_1) | instskip(NEXT) | instid1(VALU_DEP_1)
	v_and_b32_e32 v1, 0x7f000000, v0
	v_clz_i32_u32_e32 v7, v1
	v_add_nc_u32_e32 v9, 0x1000000, v1
	v_cmp_ne_u32_e32 vcc_lo, 0, v1
	s_delay_alu instid0(VALU_DEP_3) | instskip(NEXT) | instid1(VALU_DEP_1)
	v_min_u32_e32 v7, 32, v7
	v_sub_nc_u32_e64 v7, v7, 4 clamp
	s_delay_alu instid0(VALU_DEP_1) | instskip(SKIP_1) | instid1(VALU_DEP_2)
	v_lshlrev_b32_e32 v8, v7, v1
	v_lshlrev_b32_e32 v7, 23, v7
	v_lshrrev_b32_e32 v8, 4, v8
	s_delay_alu instid0(VALU_DEP_1) | instskip(SKIP_1) | instid1(VALU_DEP_2)
	v_sub_nc_u32_e32 v7, v8, v7
	v_ashrrev_i32_e32 v8, 8, v9
	v_add_nc_u32_e32 v7, 0x3c000000, v7
	s_delay_alu instid0(VALU_DEP_1) | instskip(NEXT) | instid1(VALU_DEP_1)
	v_and_or_b32 v7, 0x7f800000, v8, v7
	v_cndmask_b32_e32 v1, 0, v7, vcc_lo
	s_delay_alu instid0(VALU_DEP_1) | instskip(NEXT) | instid1(VALU_DEP_1)
	v_and_or_b32 v0, 0x80000000, v0, v1
	v_trunc_f32_e32 v0, v0
	s_delay_alu instid0(VALU_DEP_1) | instskip(NEXT) | instid1(VALU_DEP_1)
	v_mul_f32_e64 v1, 0x2f800000, |v0|
	v_floor_f32_e32 v1, v1
	s_delay_alu instid0(VALU_DEP_1) | instskip(SKIP_1) | instid1(VALU_DEP_2)
	v_fma_f32 v1, 0xcf800000, v1, |v0|
	v_ashrrev_i32_e32 v0, 31, v0
	v_cvt_u32_f32_e32 v1, v1
	s_delay_alu instid0(VALU_DEP_1) | instskip(NEXT) | instid1(VALU_DEP_1)
	v_xor_b32_e32 v1, v1, v0
	v_sub_nc_u32_e32 v0, v1, v0
.LBB15_870:
	s_mov_b32 s3, 0
.LBB15_871:
	s_delay_alu instid0(SALU_CYCLE_1)
	s_and_not1_b32 vcc_lo, exec_lo, s3
	s_cbranch_vccnz .LBB15_873
; %bb.872:
	global_load_u8 v0, v[3:4], off
	s_waitcnt vmcnt(0)
	v_lshlrev_b32_e32 v1, 25, v0
	v_lshlrev_b16 v0, 8, v0
	s_delay_alu instid0(VALU_DEP_2) | instskip(NEXT) | instid1(VALU_DEP_2)
	v_lshrrev_b32_e32 v7, 4, v1
	v_and_or_b32 v8, 0x7f00, v0, 0.5
	v_cmp_gt_u32_e32 vcc_lo, 0x8000000, v1
	v_bfe_i32 v0, v0, 0, 16
	s_delay_alu instid0(VALU_DEP_4) | instskip(NEXT) | instid1(VALU_DEP_1)
	v_or_b32_e32 v7, 0x70000000, v7
	v_dual_add_f32 v8, -0.5, v8 :: v_dual_mul_f32 v7, 0x7800000, v7
	s_delay_alu instid0(VALU_DEP_1) | instskip(NEXT) | instid1(VALU_DEP_1)
	v_cndmask_b32_e32 v1, v7, v8, vcc_lo
	v_and_or_b32 v0, 0x80000000, v0, v1
	s_delay_alu instid0(VALU_DEP_1) | instskip(NEXT) | instid1(VALU_DEP_1)
	v_trunc_f32_e32 v0, v0
	v_mul_f32_e64 v1, 0x2f800000, |v0|
	s_delay_alu instid0(VALU_DEP_1) | instskip(NEXT) | instid1(VALU_DEP_1)
	v_floor_f32_e32 v1, v1
	v_fma_f32 v1, 0xcf800000, v1, |v0|
	v_ashrrev_i32_e32 v0, 31, v0
	s_delay_alu instid0(VALU_DEP_2) | instskip(NEXT) | instid1(VALU_DEP_1)
	v_cvt_u32_f32_e32 v1, v1
	v_xor_b32_e32 v1, v1, v0
	s_delay_alu instid0(VALU_DEP_1)
	v_sub_nc_u32_e32 v0, v1, v0
.LBB15_873:
	s_mov_b32 s3, 0
	s_mov_b32 s6, -1
.LBB15_874:
	s_and_not1_b32 vcc_lo, exec_lo, s3
	s_mov_b32 s3, 0
	s_cbranch_vccnz .LBB15_885
; %bb.875:
	v_cmp_lt_i16_e32 vcc_lo, 14, v6
	s_cbranch_vccz .LBB15_878
; %bb.876:
	v_cmp_eq_u16_e32 vcc_lo, 15, v6
	s_cbranch_vccz .LBB15_881
; %bb.877:
	global_load_u16 v0, v[3:4], off
	s_mov_b32 s2, 0
	s_mov_b32 s6, -1
	s_waitcnt vmcnt(0)
	v_lshlrev_b32_e32 v0, 16, v0
	s_delay_alu instid0(VALU_DEP_1) | instskip(NEXT) | instid1(VALU_DEP_1)
	v_trunc_f32_e32 v0, v0
	v_mul_f32_e64 v1, 0x2f800000, |v0|
	s_delay_alu instid0(VALU_DEP_1) | instskip(NEXT) | instid1(VALU_DEP_1)
	v_floor_f32_e32 v1, v1
	v_fma_f32 v1, 0xcf800000, v1, |v0|
	v_ashrrev_i32_e32 v0, 31, v0
	s_delay_alu instid0(VALU_DEP_2) | instskip(NEXT) | instid1(VALU_DEP_1)
	v_cvt_u32_f32_e32 v1, v1
	v_xor_b32_e32 v1, v1, v0
	s_delay_alu instid0(VALU_DEP_1)
	v_sub_nc_u32_e32 v0, v1, v0
	s_branch .LBB15_883
.LBB15_878:
	s_mov_b32 s3, -1
	s_branch .LBB15_882
.LBB15_879:
	s_or_saveexec_b32 s3, s3
	v_mov_b32_e32 v0, s7
	s_xor_b32 exec_lo, exec_lo, s3
	s_cbranch_execz .LBB15_860
.LBB15_880:
	v_cmp_ne_u16_e32 vcc_lo, 0, v1
	v_mov_b32_e32 v0, 0
	s_and_not1_b32 s6, s6, exec_lo
	s_and_b32 s7, vcc_lo, exec_lo
	s_delay_alu instid0(SALU_CYCLE_1)
	s_or_b32 s6, s6, s7
	s_or_b32 exec_lo, exec_lo, s3
	s_and_saveexec_b32 s3, s6
	s_cbranch_execnz .LBB15_861
	s_branch .LBB15_862
.LBB15_881:
	s_mov_b32 s2, -1
.LBB15_882:
                                        ; implicit-def: $vgpr0
.LBB15_883:
	s_and_b32 vcc_lo, exec_lo, s3
	s_mov_b32 s3, 0
	s_cbranch_vccz .LBB15_885
; %bb.884:
	v_cmp_ne_u16_e32 vcc_lo, 11, v6
	s_and_not1_b32 s2, s2, exec_lo
	s_mov_b32 s3, -1
                                        ; implicit-def: $vgpr0
	s_and_b32 s7, vcc_lo, exec_lo
	s_delay_alu instid0(SALU_CYCLE_1)
	s_or_b32 s2, s2, s7
.LBB15_885:
	s_mov_b32 s7, 0
.LBB15_886:
	s_and_b32 s41, s6, exec_lo
	s_and_b32 s42, s7, exec_lo
	s_and_not1_b32 s6, s22, exec_lo
	s_and_b32 s7, s2, exec_lo
	s_and_b32 s2, s3, exec_lo
	s_or_b32 s43, s6, s7
.LBB15_887:
	s_or_b32 exec_lo, exec_lo, s30
	s_waitcnt lgkmcnt(0)
	s_and_not1_b32 s6, s22, exec_lo
	s_and_b32 s7, s43, exec_lo
	s_and_b32 s41, s41, exec_lo
	;; [unrolled: 1-line block ×4, first 2 shown]
	s_or_b32 s22, s6, s7
.LBB15_888:
	s_or_b32 exec_lo, exec_lo, s40
	s_waitcnt lgkmcnt(0)
	s_and_not1_b32 s6, s38, exec_lo
	s_and_b32 s7, s23, exec_lo
	s_and_b32 s40, s41, exec_lo
	s_or_b32 s38, s6, s7
	s_and_not1_b32 s6, s37, exec_lo
	s_and_b32 s7, s22, exec_lo
	s_and_b32 s23, s3, exec_lo
	s_and_b32 s3, s2, exec_lo
	s_or_b32 s37, s6, s7
.LBB15_889:
	s_or_b32 exec_lo, exec_lo, s39
	s_delay_alu instid0(SALU_CYCLE_1)
	s_and_not1_b32 s2, s34, exec_lo
	s_waitcnt lgkmcnt(0)
	s_and_b32 s6, s38, exec_lo
	s_and_b32 s7, s37, exec_lo
	s_or_b32 s34, s2, s6
	s_and_not1_b32 s6, s35, exec_lo
	s_and_b32 s2, s40, exec_lo
	s_and_b32 s22, s23, exec_lo
	;; [unrolled: 1-line block ×3, first 2 shown]
	s_or_b32 s35, s6, s7
.LBB15_890:
	s_or_b32 exec_lo, exec_lo, s36
	s_mov_b32 s3, 0
	s_waitcnt lgkmcnt(0)
	s_and_saveexec_b32 s6, s35
	s_cbranch_execnz .LBB15_902
; %bb.891:
	s_or_b32 exec_lo, exec_lo, s6
	s_and_saveexec_b32 s6, s37
	s_delay_alu instid0(SALU_CYCLE_1)
	s_xor_b32 s6, exec_lo, s6
	s_cbranch_execz .LBB15_893
.LBB15_892:
	global_load_u8 v0, v[3:4], off
	s_or_b32 s2, s2, exec_lo
	s_waitcnt vmcnt(0)
	v_cmp_ne_u16_e32 vcc_lo, 0, v0
	v_cndmask_b32_e64 v0, 0, 1, vcc_lo
.LBB15_893:
	s_or_b32 exec_lo, exec_lo, s6
	s_and_saveexec_b32 s6, s22
	s_cbranch_execz .LBB15_941
; %bb.894:
	v_cmp_gt_i16_e32 vcc_lo, 5, v6
	s_cbranch_vccnz .LBB15_899
; %bb.895:
	v_cmp_gt_i16_e32 vcc_lo, 8, v6
	s_cbranch_vccnz .LBB15_900
	;; [unrolled: 3-line block ×3, first 2 shown]
; %bb.897:
	v_cmp_lt_i16_e32 vcc_lo, 9, v6
	s_cbranch_vccz .LBB15_904
; %bb.898:
	global_load_b64 v[0:1], v[3:4], off
	s_mov_b32 s7, 0
	s_waitcnt vmcnt(0)
	v_trunc_f64_e32 v[0:1], v[0:1]
	s_delay_alu instid0(VALU_DEP_1) | instskip(NEXT) | instid1(VALU_DEP_1)
	v_ldexp_f64 v[7:8], v[0:1], 0xffffffe0
	v_floor_f64_e32 v[7:8], v[7:8]
	s_delay_alu instid0(VALU_DEP_1) | instskip(NEXT) | instid1(VALU_DEP_1)
	v_fma_f64 v[0:1], 0xc1f00000, v[7:8], v[0:1]
	v_cvt_u32_f64_e32 v0, v[0:1]
	s_branch .LBB15_905
.LBB15_899:
                                        ; implicit-def: $vgpr0
	s_branch .LBB15_922
.LBB15_900:
                                        ; implicit-def: $vgpr0
	s_branch .LBB15_911
.LBB15_901:
	s_mov_b32 s7, -1
                                        ; implicit-def: $vgpr0
	s_branch .LBB15_908
.LBB15_902:
	s_cbranch_execnz .LBB15_1172
; %bb.903:
	s_mov_b32 s3, exec_lo
	s_and_not1_b32 s37, s37, exec_lo
                                        ; implicit-def: $vgpr0
	s_or_b32 exec_lo, exec_lo, s6
	s_and_saveexec_b32 s6, s37
	s_delay_alu instid0(SALU_CYCLE_1)
	s_xor_b32 s6, exec_lo, s6
	s_cbranch_execnz .LBB15_892
	s_branch .LBB15_893
.LBB15_904:
	s_mov_b32 s7, -1
                                        ; implicit-def: $vgpr0
.LBB15_905:
	s_delay_alu instid0(SALU_CYCLE_1)
	s_and_not1_b32 vcc_lo, exec_lo, s7
	s_cbranch_vccnz .LBB15_907
; %bb.906:
	global_load_b32 v0, v[3:4], off
	s_waitcnt vmcnt(0)
	v_trunc_f32_e32 v0, v0
	s_delay_alu instid0(VALU_DEP_1) | instskip(NEXT) | instid1(VALU_DEP_1)
	v_mul_f32_e64 v1, 0x2f800000, |v0|
	v_floor_f32_e32 v1, v1
	s_delay_alu instid0(VALU_DEP_1) | instskip(SKIP_1) | instid1(VALU_DEP_2)
	v_fma_f32 v1, 0xcf800000, v1, |v0|
	v_ashrrev_i32_e32 v0, 31, v0
	v_cvt_u32_f32_e32 v1, v1
	s_delay_alu instid0(VALU_DEP_1) | instskip(NEXT) | instid1(VALU_DEP_1)
	v_xor_b32_e32 v1, v1, v0
	v_sub_nc_u32_e32 v0, v1, v0
.LBB15_907:
	s_mov_b32 s7, 0
.LBB15_908:
	s_delay_alu instid0(SALU_CYCLE_1)
	s_and_not1_b32 vcc_lo, exec_lo, s7
	s_cbranch_vccnz .LBB15_910
; %bb.909:
	global_load_b32 v0, v[3:4], off
	s_waitcnt vmcnt(0)
	v_cvt_f32_f16_e32 v0, v0
	s_delay_alu instid0(VALU_DEP_1)
	v_cvt_i32_f32_e32 v0, v0
.LBB15_910:
	s_cbranch_execnz .LBB15_921
.LBB15_911:
	v_cmp_gt_i16_e32 vcc_lo, 6, v6
	s_cbranch_vccnz .LBB15_914
; %bb.912:
	v_cmp_lt_i16_e32 vcc_lo, 6, v6
	s_cbranch_vccz .LBB15_915
; %bb.913:
	global_load_b64 v[0:1], v[3:4], off
	s_mov_b32 s7, 0
	s_waitcnt vmcnt(0)
	v_trunc_f64_e32 v[0:1], v[0:1]
	s_delay_alu instid0(VALU_DEP_1) | instskip(NEXT) | instid1(VALU_DEP_1)
	v_ldexp_f64 v[7:8], v[0:1], 0xffffffe0
	v_floor_f64_e32 v[7:8], v[7:8]
	s_delay_alu instid0(VALU_DEP_1) | instskip(NEXT) | instid1(VALU_DEP_1)
	v_fma_f64 v[0:1], 0xc1f00000, v[7:8], v[0:1]
	v_cvt_u32_f64_e32 v0, v[0:1]
	s_branch .LBB15_916
.LBB15_914:
	s_mov_b32 s7, -1
                                        ; implicit-def: $vgpr0
	s_branch .LBB15_919
.LBB15_915:
	s_mov_b32 s7, -1
                                        ; implicit-def: $vgpr0
.LBB15_916:
	s_delay_alu instid0(SALU_CYCLE_1)
	s_and_not1_b32 vcc_lo, exec_lo, s7
	s_cbranch_vccnz .LBB15_918
; %bb.917:
	global_load_b32 v0, v[3:4], off
	s_waitcnt vmcnt(0)
	v_trunc_f32_e32 v0, v0
	s_delay_alu instid0(VALU_DEP_1) | instskip(NEXT) | instid1(VALU_DEP_1)
	v_mul_f32_e64 v1, 0x2f800000, |v0|
	v_floor_f32_e32 v1, v1
	s_delay_alu instid0(VALU_DEP_1) | instskip(SKIP_1) | instid1(VALU_DEP_2)
	v_fma_f32 v1, 0xcf800000, v1, |v0|
	v_ashrrev_i32_e32 v0, 31, v0
	v_cvt_u32_f32_e32 v1, v1
	s_delay_alu instid0(VALU_DEP_1) | instskip(NEXT) | instid1(VALU_DEP_1)
	v_xor_b32_e32 v1, v1, v0
	v_sub_nc_u32_e32 v0, v1, v0
.LBB15_918:
	s_mov_b32 s7, 0
.LBB15_919:
	s_delay_alu instid0(SALU_CYCLE_1)
	s_and_not1_b32 vcc_lo, exec_lo, s7
	s_cbranch_vccnz .LBB15_921
; %bb.920:
	global_load_u16 v0, v[3:4], off
	s_waitcnt vmcnt(0)
	v_cvt_f32_f16_e32 v0, v0
	s_delay_alu instid0(VALU_DEP_1)
	v_cvt_i32_f32_e32 v0, v0
.LBB15_921:
	s_cbranch_execnz .LBB15_940
.LBB15_922:
	v_cmp_gt_i16_e32 vcc_lo, 2, v6
	s_cbranch_vccnz .LBB15_926
; %bb.923:
	v_cmp_gt_i16_e32 vcc_lo, 3, v6
	s_cbranch_vccnz .LBB15_927
; %bb.924:
	v_cmp_lt_i16_e32 vcc_lo, 3, v6
	s_cbranch_vccz .LBB15_928
; %bb.925:
	global_load_b64 v[0:1], v[3:4], off
	s_mov_b32 s7, 0
	s_branch .LBB15_929
.LBB15_926:
                                        ; implicit-def: $vgpr0
	s_branch .LBB15_935
.LBB15_927:
	s_mov_b32 s7, -1
                                        ; implicit-def: $vgpr0
	s_branch .LBB15_932
.LBB15_928:
	s_mov_b32 s7, -1
                                        ; implicit-def: $vgpr0
.LBB15_929:
	s_delay_alu instid0(SALU_CYCLE_1)
	s_and_not1_b32 vcc_lo, exec_lo, s7
	s_cbranch_vccnz .LBB15_931
; %bb.930:
	global_load_b32 v0, v[3:4], off
.LBB15_931:
	s_mov_b32 s7, 0
.LBB15_932:
	s_delay_alu instid0(SALU_CYCLE_1)
	s_and_not1_b32 vcc_lo, exec_lo, s7
	s_cbranch_vccnz .LBB15_934
; %bb.933:
	global_load_u16 v0, v[3:4], off
.LBB15_934:
	s_cbranch_execnz .LBB15_940
.LBB15_935:
	v_cmp_lt_i16_e32 vcc_lo, 0, v6
	s_mov_b32 s7, 0
	s_cbranch_vccz .LBB15_937
; %bb.936:
	global_load_u8 v0, v[3:4], off
	s_branch .LBB15_938
.LBB15_937:
	s_mov_b32 s7, -1
                                        ; implicit-def: $vgpr0
.LBB15_938:
	s_delay_alu instid0(SALU_CYCLE_1)
	s_and_not1_b32 vcc_lo, exec_lo, s7
	s_cbranch_vccnz .LBB15_940
; %bb.939:
	global_load_u8 v0, v[3:4], off
.LBB15_940:
	s_or_b32 s2, s2, exec_lo
.LBB15_941:
	s_or_b32 exec_lo, exec_lo, s6
	s_mov_b32 s8, 0
	s_mov_b32 s7, 0
                                        ; implicit-def: $vgpr6
                                        ; implicit-def: $vgpr3_vgpr4
                                        ; implicit-def: $vgpr1
	s_and_saveexec_b32 s6, s2
	s_cbranch_execz .LBB15_1018
; %bb.942:
	v_and_b32_e32 v6, 0xff, v5
	v_add_co_u32 v3, s2, s4, v2
	s_waitcnt vmcnt(0)
	s_delay_alu instid0(VALU_DEP_3)
	v_xor_b32_e32 v1, -1, v0
	v_add_co_ci_u32_e64 v4, null, s5, 0, s2
	v_cmp_gt_i16_e32 vcc_lo, 11, v6
	s_mov_b32 s7, -1
	s_mov_b32 s2, s34
	s_cbranch_vccnz .LBB15_1017
; %bb.943:
	v_cmp_lt_i16_e32 vcc_lo, 25, v6
	s_mov_b32 s4, -1
	s_mov_b32 s2, s34
	s_cbranch_vccz .LBB15_976
; %bb.944:
	v_cmp_lt_i16_e32 vcc_lo, 28, v6
	s_mov_b32 s2, s34
	s_cbranch_vccz .LBB15_960
; %bb.945:
	v_cmp_lt_i16_e32 vcc_lo, 43, v6
	;; [unrolled: 4-line block ×3, first 2 shown]
	s_mov_b32 s2, s34
	s_cbranch_vccz .LBB15_950
; %bb.947:
	v_cmp_eq_u16_e32 vcc_lo, 46, v6
	s_mov_b32 s2, -1
	s_cbranch_vccz .LBB15_949
; %bb.948:
	v_cvt_f32_ubyte0_e32 v2, v1
	s_mov_b32 s2, 0
	s_delay_alu instid0(VALU_DEP_1) | instskip(NEXT) | instid1(VALU_DEP_1)
	v_bfe_u32 v5, v2, 16, 1
	v_add3_u32 v2, v2, v5, 0x7fff
	s_delay_alu instid0(VALU_DEP_1)
	v_lshrrev_b32_e32 v2, 16, v2
	global_store_b32 v[3:4], v2, off
.LBB15_949:
	s_mov_b32 s4, 0
.LBB15_950:
	s_delay_alu instid0(SALU_CYCLE_1)
	s_and_b32 vcc_lo, exec_lo, s4
	s_cbranch_vccz .LBB15_955
; %bb.951:
	v_cmp_eq_u16_e32 vcc_lo, 44, v6
	s_mov_b32 s2, -1
	s_cbranch_vccz .LBB15_955
; %bb.952:
	v_cvt_f32_ubyte0_e32 v7, v1
	v_mov_b32_e32 v5, 0xff
	s_mov_b32 s4, exec_lo
	s_delay_alu instid0(VALU_DEP_2) | instskip(NEXT) | instid1(VALU_DEP_1)
	v_lshrrev_b32_e32 v2, 23, v7
	v_cmpx_ne_u32_e32 0xff, v2
; %bb.953:
	v_and_b32_e32 v5, 0x400000, v7
	v_and_or_b32 v7, 0x3fffff, v7, v2
	s_delay_alu instid0(VALU_DEP_2) | instskip(NEXT) | instid1(VALU_DEP_2)
	v_cmp_ne_u32_e32 vcc_lo, 0, v5
	v_cmp_ne_u32_e64 s2, 0, v7
	s_delay_alu instid0(VALU_DEP_1) | instskip(NEXT) | instid1(SALU_CYCLE_1)
	s_and_b32 s2, vcc_lo, s2
	v_cndmask_b32_e64 v5, 0, 1, s2
	s_delay_alu instid0(VALU_DEP_1)
	v_add_nc_u32_e32 v5, v2, v5
; %bb.954:
	s_or_b32 exec_lo, exec_lo, s4
	s_mov_b32 s2, 0
	global_store_b8 v[3:4], v5, off
.LBB15_955:
	s_mov_b32 s4, 0
.LBB15_956:
	s_delay_alu instid0(SALU_CYCLE_1)
	s_and_b32 vcc_lo, exec_lo, s4
	s_cbranch_vccz .LBB15_959
; %bb.957:
	v_cmp_eq_u16_e32 vcc_lo, 29, v6
	s_mov_b32 s2, -1
	s_cbranch_vccz .LBB15_959
; %bb.958:
	v_dual_mov_b32 v8, 0 :: v_dual_and_b32 v7, 0xff, v1
	s_mov_b32 s2, 0
	global_store_b64 v[3:4], v[7:8], off
.LBB15_959:
	s_mov_b32 s4, 0
.LBB15_960:
	s_delay_alu instid0(SALU_CYCLE_1)
	s_and_b32 vcc_lo, exec_lo, s4
	s_cbranch_vccz .LBB15_975
; %bb.961:
	v_cmp_gt_i16_e32 vcc_lo, 27, v6
	s_mov_b32 s4, -1
	s_cbranch_vccnz .LBB15_967
; %bb.962:
	v_cmp_lt_i16_e32 vcc_lo, 27, v6
	v_and_b32_e32 v2, 0xff, v1
	s_cbranch_vccz .LBB15_964
; %bb.963:
	s_mov_b32 s4, 0
	global_store_b32 v[3:4], v2, off
.LBB15_964:
	s_and_not1_b32 vcc_lo, exec_lo, s4
	s_cbranch_vccnz .LBB15_966
; %bb.965:
	global_store_b16 v[3:4], v2, off
.LBB15_966:
	s_mov_b32 s4, 0
.LBB15_967:
	s_delay_alu instid0(SALU_CYCLE_1)
	s_and_not1_b32 vcc_lo, exec_lo, s4
	s_cbranch_vccnz .LBB15_975
; %bb.968:
	v_cvt_f32_ubyte0_e32 v5, v1
	v_mov_b32_e32 v7, 0x80
	s_mov_b32 s4, exec_lo
	s_delay_alu instid0(VALU_DEP_2)
	v_cmpx_gt_u32_e32 0x43800000, v5
	s_cbranch_execz .LBB15_974
; %bb.969:
	s_mov_b32 s5, 0
	s_mov_b32 s7, exec_lo
                                        ; implicit-def: $vgpr2
	v_cmpx_lt_u32_e32 0x3bffffff, v5
	s_xor_b32 s7, exec_lo, s7
	s_cbranch_execz .LBB15_1258
; %bb.970:
	v_bfe_u32 v2, v5, 20, 1
	s_mov_b32 s5, exec_lo
	s_delay_alu instid0(VALU_DEP_1) | instskip(NEXT) | instid1(VALU_DEP_1)
	v_add3_u32 v2, v5, v2, 0x487ffff
                                        ; implicit-def: $vgpr5
	v_lshrrev_b32_e32 v2, 20, v2
	s_or_saveexec_b32 s7, s7
                                        ; implicit-def: $sgpr8
	s_delay_alu instid0(SALU_CYCLE_1)
	s_xor_b32 exec_lo, exec_lo, s7
	s_cbranch_execnz .LBB15_1259
.LBB15_971:
	s_or_b32 exec_lo, exec_lo, s7
	v_mov_b32_e32 v7, s8
	s_and_saveexec_b32 s7, s5
.LBB15_972:
	v_mov_b32_e32 v7, v2
.LBB15_973:
	s_or_b32 exec_lo, exec_lo, s7
.LBB15_974:
	s_delay_alu instid0(SALU_CYCLE_1)
	s_or_b32 exec_lo, exec_lo, s4
	global_store_b8 v[3:4], v7, off
.LBB15_975:
	s_mov_b32 s4, 0
.LBB15_976:
	s_delay_alu instid0(SALU_CYCLE_1)
	s_and_b32 vcc_lo, exec_lo, s4
	s_mov_b32 s7, 0
	s_cbranch_vccz .LBB15_1016
; %bb.977:
	v_cmp_lt_i16_e32 vcc_lo, 22, v6
	s_mov_b32 s4, -1
	s_cbranch_vccz .LBB15_1009
; %bb.978:
	v_cmp_gt_i16_e32 vcc_lo, 24, v6
	s_cbranch_vccnz .LBB15_998
; %bb.979:
	v_cmp_lt_i16_e32 vcc_lo, 24, v6
	s_cbranch_vccz .LBB15_987
; %bb.980:
	v_cvt_f32_ubyte0_e32 v5, v1
	v_mov_b32_e32 v7, 0x80
	s_mov_b32 s4, exec_lo
	s_delay_alu instid0(VALU_DEP_2)
	v_cmpx_gt_u32_e32 0x47800000, v5
	s_cbranch_execz .LBB15_986
; %bb.981:
	s_mov_b32 s5, 0
	s_mov_b32 s8, exec_lo
                                        ; implicit-def: $vgpr2
	v_cmpx_lt_u32_e32 0x37ffffff, v5
	s_xor_b32 s8, exec_lo, s8
	s_cbranch_execz .LBB15_1302
; %bb.982:
	v_bfe_u32 v2, v5, 21, 1
	s_mov_b32 s5, exec_lo
	s_delay_alu instid0(VALU_DEP_1) | instskip(NEXT) | instid1(VALU_DEP_1)
	v_add3_u32 v2, v5, v2, 0x88fffff
                                        ; implicit-def: $vgpr5
	v_lshrrev_b32_e32 v2, 21, v2
	s_or_saveexec_b32 s8, s8
                                        ; implicit-def: $sgpr9
	s_delay_alu instid0(SALU_CYCLE_1)
	s_xor_b32 exec_lo, exec_lo, s8
	s_cbranch_execnz .LBB15_1303
.LBB15_983:
	s_or_b32 exec_lo, exec_lo, s8
	v_mov_b32_e32 v7, s9
	s_and_saveexec_b32 s8, s5
.LBB15_984:
	v_mov_b32_e32 v7, v2
.LBB15_985:
	s_or_b32 exec_lo, exec_lo, s8
.LBB15_986:
	s_delay_alu instid0(SALU_CYCLE_1)
	s_or_b32 exec_lo, exec_lo, s4
	s_mov_b32 s4, 0
	global_store_b8 v[3:4], v7, off
.LBB15_987:
	s_and_b32 vcc_lo, exec_lo, s4
	s_cbranch_vccz .LBB15_997
; %bb.988:
	v_cvt_f32_ubyte0_e32 v5, v1
	s_mov_b32 s4, exec_lo
                                        ; implicit-def: $vgpr2
	s_delay_alu instid0(VALU_DEP_1)
	v_cmpx_gt_u32_e32 0x43f00000, v5
	s_xor_b32 s4, exec_lo, s4
	s_cbranch_execz .LBB15_994
; %bb.989:
	s_mov_b32 s5, exec_lo
                                        ; implicit-def: $vgpr2
	v_cmpx_lt_u32_e32 0x3c7fffff, v5
	s_xor_b32 s5, exec_lo, s5
; %bb.990:
	v_bfe_u32 v2, v5, 20, 1
	s_delay_alu instid0(VALU_DEP_1) | instskip(NEXT) | instid1(VALU_DEP_1)
	v_add3_u32 v2, v5, v2, 0x407ffff
	v_and_b32_e32 v5, 0xff00000, v2
	v_lshrrev_b32_e32 v2, 20, v2
	s_delay_alu instid0(VALU_DEP_2) | instskip(NEXT) | instid1(VALU_DEP_2)
	v_cmp_ne_u32_e32 vcc_lo, 0x7f00000, v5
                                        ; implicit-def: $vgpr5
	v_cndmask_b32_e32 v2, 0x7e, v2, vcc_lo
; %bb.991:
	s_and_not1_saveexec_b32 s5, s5
; %bb.992:
	v_add_f32_e32 v2, 0x46800000, v5
; %bb.993:
	s_or_b32 exec_lo, exec_lo, s5
                                        ; implicit-def: $vgpr5
.LBB15_994:
	s_and_not1_saveexec_b32 s4, s4
; %bb.995:
	v_mov_b32_e32 v2, 0x7f
	v_cmp_lt_u32_e32 vcc_lo, 0x7f800000, v5
	s_delay_alu instid0(VALU_DEP_2)
	v_cndmask_b32_e32 v2, 0x7e, v2, vcc_lo
; %bb.996:
	s_or_b32 exec_lo, exec_lo, s4
	global_store_b8 v[3:4], v2, off
.LBB15_997:
	s_mov_b32 s4, 0
.LBB15_998:
	s_delay_alu instid0(SALU_CYCLE_1)
	s_and_not1_b32 vcc_lo, exec_lo, s4
	s_cbranch_vccnz .LBB15_1008
; %bb.999:
	v_cvt_f32_ubyte0_e32 v5, v1
	s_mov_b32 s4, exec_lo
                                        ; implicit-def: $vgpr2
	s_delay_alu instid0(VALU_DEP_1)
	v_cmpx_gt_u32_e32 0x47800000, v5
	s_xor_b32 s4, exec_lo, s4
	s_cbranch_execz .LBB15_1005
; %bb.1000:
	s_mov_b32 s5, exec_lo
                                        ; implicit-def: $vgpr2
	v_cmpx_lt_u32_e32 0x387fffff, v5
	s_xor_b32 s5, exec_lo, s5
; %bb.1001:
	v_bfe_u32 v2, v5, 21, 1
	s_delay_alu instid0(VALU_DEP_1) | instskip(NEXT) | instid1(VALU_DEP_1)
	v_add3_u32 v2, v5, v2, 0x80fffff
                                        ; implicit-def: $vgpr5
	v_lshrrev_b32_e32 v2, 21, v2
; %bb.1002:
	s_and_not1_saveexec_b32 s5, s5
; %bb.1003:
	v_add_f32_e32 v2, 0x43000000, v5
; %bb.1004:
	s_or_b32 exec_lo, exec_lo, s5
                                        ; implicit-def: $vgpr5
.LBB15_1005:
	s_and_not1_saveexec_b32 s4, s4
; %bb.1006:
	v_mov_b32_e32 v2, 0x7f
	v_cmp_lt_u32_e32 vcc_lo, 0x7f800000, v5
	s_delay_alu instid0(VALU_DEP_2)
	v_cndmask_b32_e32 v2, 0x7c, v2, vcc_lo
; %bb.1007:
	s_or_b32 exec_lo, exec_lo, s4
	global_store_b8 v[3:4], v2, off
.LBB15_1008:
	s_mov_b32 s4, 0
.LBB15_1009:
	s_delay_alu instid0(SALU_CYCLE_1)
	s_and_not1_b32 vcc_lo, exec_lo, s4
	s_mov_b32 s8, 0
	s_cbranch_vccnz .LBB15_1017
; %bb.1010:
	v_cmp_lt_i16_e32 vcc_lo, 14, v6
	s_mov_b32 s4, -1
	s_cbranch_vccz .LBB15_1014
; %bb.1011:
	v_cmp_eq_u16_e32 vcc_lo, 15, v6
	s_mov_b32 s2, -1
	s_cbranch_vccz .LBB15_1013
; %bb.1012:
	v_cvt_f32_ubyte0_e32 v2, v1
	s_mov_b32 s2, 0
	s_delay_alu instid0(VALU_DEP_1) | instskip(NEXT) | instid1(VALU_DEP_1)
	v_bfe_u32 v5, v2, 16, 1
	v_add3_u32 v2, v2, v5, 0x7fff
	global_store_d16_hi_b16 v[3:4], v2, off
.LBB15_1013:
	s_mov_b32 s4, 0
.LBB15_1014:
	s_delay_alu instid0(SALU_CYCLE_1)
	s_and_b32 vcc_lo, exec_lo, s4
	s_cbranch_vccz .LBB15_1017
; %bb.1015:
	v_cmp_ne_u16_e32 vcc_lo, 11, v6
	s_and_not1_b32 s2, s2, exec_lo
	s_mov_b32 s8, -1
	s_and_b32 s4, vcc_lo, exec_lo
	s_delay_alu instid0(SALU_CYCLE_1)
	s_or_b32 s2, s2, s4
	s_branch .LBB15_1017
.LBB15_1016:
	s_mov_b32 s8, 0
.LBB15_1017:
	s_and_not1_b32 s4, s34, exec_lo
	s_and_b32 s2, s2, exec_lo
	s_and_b32 s7, s7, exec_lo
	;; [unrolled: 1-line block ×3, first 2 shown]
	s_or_b32 s34, s4, s2
.LBB15_1018:
	s_or_b32 exec_lo, exec_lo, s6
	s_and_saveexec_b32 s2, s34
	s_cbranch_execnz .LBB15_1132
; %bb.1019:
	s_or_b32 exec_lo, exec_lo, s2
	s_and_saveexec_b32 s2, s8
	s_delay_alu instid0(SALU_CYCLE_1)
	s_xor_b32 s2, exec_lo, s2
	s_cbranch_execz .LBB15_1021
.LBB15_1020:
	s_waitcnt vmcnt(0)
	s_delay_alu instid0(VALU_DEP_1) | instskip(NEXT) | instid1(VALU_DEP_1)
	v_and_b32_e32 v0, 0xff, v0
	v_cmp_ne_u16_e32 vcc_lo, 0xff, v0
	v_cndmask_b32_e64 v0, 0, 1, vcc_lo
	global_store_b8 v[3:4], v0, off
.LBB15_1021:
	s_or_b32 exec_lo, exec_lo, s2
	s_and_saveexec_b32 s2, s7
	s_delay_alu instid0(SALU_CYCLE_1)
	s_xor_b32 s2, exec_lo, s2
	s_cbranch_execz .LBB15_1059
; %bb.1022:
	v_cmp_gt_i16_e32 vcc_lo, 5, v6
	s_mov_b32 s4, -1
	s_cbranch_vccnz .LBB15_1043
; %bb.1023:
	v_cmp_gt_i16_e32 vcc_lo, 8, v6
	s_cbranch_vccnz .LBB15_1033
; %bb.1024:
	v_cmp_gt_i16_e32 vcc_lo, 9, v6
	s_cbranch_vccnz .LBB15_1030
; %bb.1025:
	v_cmp_lt_i16_e32 vcc_lo, 9, v6
	s_cbranch_vccz .LBB15_1027
; %bb.1026:
	s_waitcnt vmcnt(0)
	v_dual_mov_b32 v9, 0 :: v_dual_and_b32 v0, 0xff, v1
	s_mov_b32 s4, 0
	s_delay_alu instid0(VALU_DEP_1) | instskip(NEXT) | instid1(VALU_DEP_2)
	v_and_b32_e32 v0, 0xffff, v0
	v_mov_b32_e32 v10, v9
	s_delay_alu instid0(VALU_DEP_2)
	v_cvt_f64_u32_e32 v[7:8], v0
	global_store_b128 v[3:4], v[7:10], off
.LBB15_1027:
	s_and_not1_b32 vcc_lo, exec_lo, s4
	s_cbranch_vccnz .LBB15_1029
; %bb.1028:
	s_waitcnt vmcnt(0)
	v_cvt_f32_ubyte0_e32 v7, v1
	v_mov_b32_e32 v8, 0
	global_store_b64 v[3:4], v[7:8], off
.LBB15_1029:
	s_mov_b32 s4, 0
.LBB15_1030:
	s_delay_alu instid0(SALU_CYCLE_1)
	s_and_not1_b32 vcc_lo, exec_lo, s4
	s_cbranch_vccnz .LBB15_1032
; %bb.1031:
	s_waitcnt vmcnt(0)
	v_and_b32_e32 v0, 0xff, v1
	s_delay_alu instid0(VALU_DEP_1) | instskip(NEXT) | instid1(VALU_DEP_1)
	v_cvt_f16_u16_e32 v0, v0
	v_and_b32_e32 v0, 0xffff, v0
	global_store_b32 v[3:4], v0, off
.LBB15_1032:
	s_mov_b32 s4, 0
.LBB15_1033:
	s_delay_alu instid0(SALU_CYCLE_1)
	s_and_not1_b32 vcc_lo, exec_lo, s4
	s_cbranch_vccnz .LBB15_1042
; %bb.1034:
	v_cmp_gt_i16_e32 vcc_lo, 6, v6
	s_mov_b32 s4, -1
	s_cbranch_vccnz .LBB15_1040
; %bb.1035:
	v_cmp_lt_i16_e32 vcc_lo, 6, v6
	s_cbranch_vccz .LBB15_1037
; %bb.1036:
	s_waitcnt vmcnt(0)
	v_and_b32_e32 v0, 0xff, v1
	s_mov_b32 s4, 0
	s_delay_alu instid0(VALU_DEP_1) | instskip(NEXT) | instid1(VALU_DEP_1)
	v_and_b32_e32 v0, 0xffff, v0
	v_cvt_f64_u32_e32 v[7:8], v0
	global_store_b64 v[3:4], v[7:8], off
.LBB15_1037:
	s_and_not1_b32 vcc_lo, exec_lo, s4
	s_cbranch_vccnz .LBB15_1039
; %bb.1038:
	s_waitcnt vmcnt(0)
	v_cvt_f32_ubyte0_e32 v0, v1
	global_store_b32 v[3:4], v0, off
.LBB15_1039:
	s_mov_b32 s4, 0
.LBB15_1040:
	s_delay_alu instid0(SALU_CYCLE_1)
	s_and_not1_b32 vcc_lo, exec_lo, s4
	s_cbranch_vccnz .LBB15_1042
; %bb.1041:
	s_waitcnt vmcnt(0)
	v_and_b32_e32 v0, 0xff, v1
	s_delay_alu instid0(VALU_DEP_1)
	v_cvt_f16_u16_e32 v0, v0
	global_store_b16 v[3:4], v0, off
.LBB15_1042:
	s_mov_b32 s4, 0
.LBB15_1043:
	s_delay_alu instid0(SALU_CYCLE_1)
	s_and_not1_b32 vcc_lo, exec_lo, s4
	s_cbranch_vccnz .LBB15_1059
; %bb.1044:
	v_cmp_gt_i16_e32 vcc_lo, 2, v6
	s_mov_b32 s4, -1
	s_cbranch_vccnz .LBB15_1054
; %bb.1045:
	v_cmp_gt_i16_e32 vcc_lo, 3, v6
	s_cbranch_vccnz .LBB15_1051
; %bb.1046:
	v_cmp_lt_i16_e32 vcc_lo, 3, v6
	s_cbranch_vccz .LBB15_1048
; %bb.1047:
	s_waitcnt vmcnt(0)
	v_dual_mov_b32 v8, 0 :: v_dual_and_b32 v7, 0xff, v1
	s_mov_b32 s4, 0
	global_store_b64 v[3:4], v[7:8], off
.LBB15_1048:
	s_and_not1_b32 vcc_lo, exec_lo, s4
	s_cbranch_vccnz .LBB15_1050
; %bb.1049:
	s_waitcnt vmcnt(0)
	v_and_b32_e32 v0, 0xff, v1
	global_store_b32 v[3:4], v0, off
.LBB15_1050:
	s_mov_b32 s4, 0
.LBB15_1051:
	s_delay_alu instid0(SALU_CYCLE_1)
	s_and_not1_b32 vcc_lo, exec_lo, s4
	s_cbranch_vccnz .LBB15_1053
; %bb.1052:
	s_waitcnt vmcnt(0)
	v_and_b32_e32 v0, 0xff, v1
	global_store_b16 v[3:4], v0, off
.LBB15_1053:
	s_mov_b32 s4, 0
.LBB15_1054:
	s_delay_alu instid0(SALU_CYCLE_1)
	s_and_not1_b32 vcc_lo, exec_lo, s4
	s_cbranch_vccnz .LBB15_1059
; %bb.1055:
	v_cmp_lt_i16_e32 vcc_lo, 0, v6
	s_mov_b32 s4, -1
	s_cbranch_vccz .LBB15_1057
; %bb.1056:
	s_mov_b32 s4, 0
	s_waitcnt vmcnt(0)
	global_store_b8 v[3:4], v1, off
.LBB15_1057:
	s_and_not1_b32 vcc_lo, exec_lo, s4
	s_cbranch_vccnz .LBB15_1059
; %bb.1058:
	s_waitcnt vmcnt(0)
	global_store_b8 v[3:4], v1, off
.LBB15_1059:
	s_or_b32 exec_lo, exec_lo, s2
	s_delay_alu instid0(SALU_CYCLE_1)
	s_and_b32 s8, s3, exec_lo
                                        ; implicit-def: $vgpr10
                                        ; implicit-def: $vgpr8
.LBB15_1060:
	s_or_saveexec_b32 s9, s28
	s_mov_b32 s3, 0
                                        ; implicit-def: $vgpr0_vgpr1
                                        ; implicit-def: $vgpr6
                                        ; implicit-def: $vgpr2
                                        ; implicit-def: $vgpr5
	s_xor_b32 exec_lo, exec_lo, s9
	s_cbranch_execz .LBB15_1432
; %bb.1061:
	s_waitcnt vmcnt(0)
	v_cndmask_b32_e64 v0, 0, 1, s27
	s_and_not1_b32 vcc_lo, exec_lo, s27
	s_cbranch_vccnz .LBB15_1067
; %bb.1062:
	v_dual_mov_b32 v3, 0 :: v_dual_mov_b32 v4, 0
	s_cmp_lg_u32 s24, 0
	s_mov_b32 s6, 0
	s_cbranch_scc0 .LBB15_1071
; %bb.1063:
	s_min_u32 s7, s25, 15
	v_mov_b32_e32 v3, 0
	s_add_i32 s7, s7, 1
	s_cmp_eq_u32 s25, 2
	s_mov_b32 s10, 0
	s_cbranch_scc1 .LBB15_1068
; %bb.1064:
	v_dual_mov_b32 v4, 0 :: v_dual_mov_b32 v3, 0
	v_mov_b32_e32 v1, v8
	s_add_u32 s2, s16, 0xc4
	s_addc_u32 s3, s17, 0
	s_and_b32 s10, s7, 28
	s_mov_b32 s11, 0
	s_mov_b64 s[4:5], s[16:17]
.LBB15_1065:                            ; =>This Inner Loop Header: Depth=1
	s_clause 0x1
	s_load_b256 s[36:43], s[4:5], 0x4
	s_load_b128 s[12:15], s[4:5], 0x24
	s_load_b256 s[44:51], s[2:3], 0x0
	s_add_u32 s4, s4, 48
	s_addc_u32 s5, s5, 0
	s_add_i32 s11, s11, 4
	s_add_u32 s2, s2, 32
	s_addc_u32 s3, s3, 0
	s_cmp_lg_u32 s10, s11
	s_waitcnt lgkmcnt(0)
	v_mul_hi_u32 v2, s37, v1
	s_delay_alu instid0(VALU_DEP_1) | instskip(NEXT) | instid1(VALU_DEP_1)
	v_add_nc_u32_e32 v2, v1, v2
	v_lshrrev_b32_e32 v2, s38, v2
	s_delay_alu instid0(VALU_DEP_1) | instskip(SKIP_1) | instid1(VALU_DEP_2)
	v_mul_hi_u32 v5, s40, v2
	v_mul_lo_u32 v7, v2, s36
	v_add_nc_u32_e32 v5, v2, v5
	s_delay_alu instid0(VALU_DEP_2) | instskip(NEXT) | instid1(VALU_DEP_2)
	v_sub_nc_u32_e32 v1, v1, v7
	v_lshrrev_b32_e32 v5, s41, v5
	s_delay_alu instid0(VALU_DEP_2) | instskip(SKIP_1) | instid1(VALU_DEP_3)
	v_mul_lo_u32 v7, v1, s44
	v_mul_lo_u32 v11, v1, s45
	v_mul_hi_u32 v6, s43, v5
	s_delay_alu instid0(VALU_DEP_1) | instskip(NEXT) | instid1(VALU_DEP_1)
	v_add_nc_u32_e32 v6, v5, v6
	v_lshrrev_b32_e32 v6, s12, v6
	s_delay_alu instid0(VALU_DEP_1) | instskip(SKIP_1) | instid1(VALU_DEP_2)
	v_mul_hi_u32 v9, s14, v6
	v_mul_lo_u32 v12, v6, s42
	v_add_nc_u32_e32 v1, v6, v9
	v_mul_lo_u32 v9, v5, s39
	s_delay_alu instid0(VALU_DEP_3) | instskip(NEXT) | instid1(VALU_DEP_3)
	v_sub_nc_u32_e32 v5, v5, v12
	v_lshrrev_b32_e32 v1, s15, v1
	s_delay_alu instid0(VALU_DEP_2) | instskip(SKIP_2) | instid1(VALU_DEP_4)
	v_mul_lo_u32 v12, v5, s48
	v_mul_lo_u32 v5, v5, s49
	v_sub_nc_u32_e32 v2, v2, v9
	v_mul_lo_u32 v13, v1, s13
	s_delay_alu instid0(VALU_DEP_2) | instskip(SKIP_1) | instid1(VALU_DEP_3)
	v_mul_lo_u32 v9, v2, s46
	v_mul_lo_u32 v2, v2, s47
	v_sub_nc_u32_e32 v6, v6, v13
	s_delay_alu instid0(VALU_DEP_3) | instskip(NEXT) | instid1(VALU_DEP_2)
	v_add3_u32 v3, v7, v3, v9
	v_mul_lo_u32 v13, v6, s50
	v_mul_lo_u32 v6, v6, s51
	v_add3_u32 v2, v11, v4, v2
	s_delay_alu instid0(VALU_DEP_3) | instskip(NEXT) | instid1(VALU_DEP_2)
	v_add3_u32 v3, v12, v3, v13
	v_add3_u32 v4, v5, v2, v6
	s_cbranch_scc1 .LBB15_1065
; %bb.1066:
	s_and_b32 s7, s7, 3
	s_delay_alu instid0(SALU_CYCLE_1)
	s_cmp_eq_u32 s7, 0
	s_cbranch_scc0 .LBB15_1069
	s_branch .LBB15_1071
.LBB15_1067:
	s_mov_b32 s6, -1
                                        ; implicit-def: $vgpr3
                                        ; implicit-def: $vgpr4
	s_branch .LBB15_1071
.LBB15_1068:
	v_dual_mov_b32 v1, v8 :: v_dual_mov_b32 v4, 0
	s_and_b32 s7, s7, 3
	s_delay_alu instid0(SALU_CYCLE_1)
	s_cmp_eq_u32 s7, 0
	s_cbranch_scc1 .LBB15_1071
.LBB15_1069:
	s_lshl_b32 s2, s10, 3
	s_mul_i32 s4, s10, 12
	s_add_u32 s2, s2, s16
	s_addc_u32 s3, 0, s17
	s_add_u32 s2, s2, 0xc4
	s_addc_u32 s3, s3, 0
	s_add_u32 s4, s16, s4
	s_addc_u32 s5, 0, s17
	.p2align	6
.LBB15_1070:                            ; =>This Inner Loop Header: Depth=1
	s_clause 0x1
	s_load_b64 s[10:11], s[4:5], 0x4
	s_load_b32 s14, s[4:5], 0xc
	s_load_b64 s[12:13], s[2:3], 0x0
	s_add_u32 s4, s4, 12
	s_addc_u32 s5, s5, 0
	s_add_u32 s2, s2, 8
	s_addc_u32 s3, s3, 0
	s_add_i32 s7, s7, -1
	s_delay_alu instid0(SALU_CYCLE_1) | instskip(SKIP_2) | instid1(VALU_DEP_1)
	s_cmp_lg_u32 s7, 0
	s_waitcnt lgkmcnt(0)
	v_mul_hi_u32 v2, s11, v1
	v_add_nc_u32_e32 v2, v1, v2
	s_delay_alu instid0(VALU_DEP_1) | instskip(NEXT) | instid1(VALU_DEP_1)
	v_lshrrev_b32_e32 v7, s14, v2
	v_mul_lo_u32 v2, v7, s10
	s_delay_alu instid0(VALU_DEP_1) | instskip(NEXT) | instid1(VALU_DEP_1)
	v_sub_nc_u32_e32 v1, v1, v2
	v_mad_u64_u32 v[5:6], null, v1, s12, v[3:4]
	s_delay_alu instid0(VALU_DEP_1) | instskip(SKIP_1) | instid1(VALU_DEP_2)
	v_mad_u64_u32 v[2:3], null, v1, s13, v[4:5]
	v_mov_b32_e32 v1, v7
	v_dual_mov_b32 v3, v5 :: v_dual_mov_b32 v4, v2
	s_cbranch_scc1 .LBB15_1070
.LBB15_1071:
	s_and_not1_b32 vcc_lo, exec_lo, s6
	s_cbranch_vccnz .LBB15_1074
; %bb.1072:
	s_clause 0x1
	s_load_b128 s[4:7], s[16:17], 0x4
	s_load_b64 s[2:3], s[16:17], 0xc4
	s_cmp_lt_u32 s24, 2
	s_waitcnt lgkmcnt(0)
	v_mul_hi_u32 v1, s5, v8
	s_delay_alu instid0(VALU_DEP_1) | instskip(NEXT) | instid1(VALU_DEP_1)
	v_add_nc_u32_e32 v1, v8, v1
	v_lshrrev_b32_e32 v1, s6, v1
	s_delay_alu instid0(VALU_DEP_1) | instskip(NEXT) | instid1(VALU_DEP_1)
	v_mul_lo_u32 v2, v1, s4
	v_sub_nc_u32_e32 v2, v8, v2
	s_delay_alu instid0(VALU_DEP_1)
	v_mul_lo_u32 v3, v2, s2
	v_mul_lo_u32 v4, v2, s3
	s_cbranch_scc1 .LBB15_1074
; %bb.1073:
	s_clause 0x1
	s_load_b128 s[4:7], s[16:17], 0x10
	s_load_b64 s[2:3], s[16:17], 0xcc
	s_waitcnt lgkmcnt(0)
	v_mul_hi_u32 v2, s5, v1
	s_delay_alu instid0(VALU_DEP_1) | instskip(NEXT) | instid1(VALU_DEP_1)
	v_add_nc_u32_e32 v2, v1, v2
	v_lshrrev_b32_e32 v2, s6, v2
	s_delay_alu instid0(VALU_DEP_1) | instskip(NEXT) | instid1(VALU_DEP_1)
	v_mul_lo_u32 v2, v2, s4
	v_sub_nc_u32_e32 v5, v1, v2
	s_delay_alu instid0(VALU_DEP_1) | instskip(SKIP_1) | instid1(VALU_DEP_1)
	v_mad_u64_u32 v[1:2], null, v5, s2, v[3:4]
	v_mad_u64_u32 v[2:3], null, v5, s3, v[4:5]
	v_dual_mov_b32 v3, v1 :: v_dual_mov_b32 v4, v2
.LBB15_1074:
	v_cmp_ne_u32_e32 vcc_lo, 1, v0
	v_add_nc_u32_e32 v1, 0x80, v8
	s_cbranch_vccnz .LBB15_1080
; %bb.1075:
	v_dual_mov_b32 v2, 0 :: v_dual_mov_b32 v7, 0
	s_cmp_lg_u32 s24, 0
	s_mov_b32 s6, 0
	s_cbranch_scc0 .LBB15_1084
; %bb.1076:
	s_min_u32 s7, s25, 15
	v_mov_b32_e32 v2, 0
	s_add_i32 s7, s7, 1
	s_cmp_eq_u32 s25, 2
	s_mov_b32 s10, 0
	s_cbranch_scc1 .LBB15_1081
; %bb.1077:
	v_dual_mov_b32 v7, 0 :: v_dual_mov_b32 v2, 0
	v_mov_b32_e32 v5, v1
	s_add_u32 s2, s16, 0xc4
	s_addc_u32 s3, s17, 0
	s_and_b32 s10, s7, 28
	s_mov_b32 s11, 0
	s_mov_b64 s[4:5], s[16:17]
.LBB15_1078:                            ; =>This Inner Loop Header: Depth=1
	s_clause 0x1
	s_load_b256 s[36:43], s[4:5], 0x4
	s_load_b128 s[12:15], s[4:5], 0x24
	s_load_b256 s[44:51], s[2:3], 0x0
	s_add_u32 s4, s4, 48
	s_addc_u32 s5, s5, 0
	s_add_i32 s11, s11, 4
	s_add_u32 s2, s2, 32
	s_addc_u32 s3, s3, 0
	s_cmp_lg_u32 s10, s11
	s_waitcnt lgkmcnt(0)
	v_mul_hi_u32 v6, s37, v5
	s_delay_alu instid0(VALU_DEP_1) | instskip(NEXT) | instid1(VALU_DEP_1)
	v_add_nc_u32_e32 v6, v5, v6
	v_lshrrev_b32_e32 v6, s38, v6
	s_delay_alu instid0(VALU_DEP_1) | instskip(SKIP_1) | instid1(VALU_DEP_2)
	v_mul_hi_u32 v9, s40, v6
	v_mul_lo_u32 v12, v6, s36
	v_add_nc_u32_e32 v9, v6, v9
	s_delay_alu instid0(VALU_DEP_2) | instskip(NEXT) | instid1(VALU_DEP_2)
	v_sub_nc_u32_e32 v5, v5, v12
	v_lshrrev_b32_e32 v9, s41, v9
	s_delay_alu instid0(VALU_DEP_2) | instskip(SKIP_1) | instid1(VALU_DEP_3)
	v_mul_lo_u32 v12, v5, s44
	v_mul_lo_u32 v14, v5, s45
	v_mul_hi_u32 v11, s43, v9
	s_delay_alu instid0(VALU_DEP_1) | instskip(NEXT) | instid1(VALU_DEP_1)
	v_add_nc_u32_e32 v11, v9, v11
	v_lshrrev_b32_e32 v11, s12, v11
	s_delay_alu instid0(VALU_DEP_1) | instskip(SKIP_1) | instid1(VALU_DEP_2)
	v_mul_hi_u32 v13, s14, v11
	v_mul_lo_u32 v15, v11, s42
	v_add_nc_u32_e32 v5, v11, v13
	v_mul_lo_u32 v13, v9, s39
	s_delay_alu instid0(VALU_DEP_3) | instskip(NEXT) | instid1(VALU_DEP_3)
	v_sub_nc_u32_e32 v9, v9, v15
	v_lshrrev_b32_e32 v5, s15, v5
	s_delay_alu instid0(VALU_DEP_2) | instskip(SKIP_2) | instid1(VALU_DEP_4)
	v_mul_lo_u32 v15, v9, s48
	v_mul_lo_u32 v9, v9, s49
	v_sub_nc_u32_e32 v6, v6, v13
	v_mul_lo_u32 v16, v5, s13
	s_delay_alu instid0(VALU_DEP_2) | instskip(SKIP_1) | instid1(VALU_DEP_3)
	v_mul_lo_u32 v13, v6, s46
	v_mul_lo_u32 v6, v6, s47
	v_sub_nc_u32_e32 v11, v11, v16
	s_delay_alu instid0(VALU_DEP_3) | instskip(NEXT) | instid1(VALU_DEP_2)
	v_add3_u32 v2, v12, v2, v13
	v_mul_lo_u32 v16, v11, s50
	v_mul_lo_u32 v11, v11, s51
	v_add3_u32 v6, v14, v7, v6
	s_delay_alu instid0(VALU_DEP_3) | instskip(NEXT) | instid1(VALU_DEP_2)
	v_add3_u32 v2, v15, v2, v16
	v_add3_u32 v7, v9, v6, v11
	s_cbranch_scc1 .LBB15_1078
; %bb.1079:
	s_and_b32 s7, s7, 3
	s_delay_alu instid0(SALU_CYCLE_1)
	s_cmp_eq_u32 s7, 0
	s_cbranch_scc0 .LBB15_1082
	s_branch .LBB15_1084
.LBB15_1080:
	s_mov_b32 s6, -1
                                        ; implicit-def: $vgpr2
                                        ; implicit-def: $vgpr7
	s_branch .LBB15_1084
.LBB15_1081:
	v_mov_b32_e32 v5, v1
	v_mov_b32_e32 v7, 0
	s_and_b32 s7, s7, 3
	s_delay_alu instid0(SALU_CYCLE_1)
	s_cmp_eq_u32 s7, 0
	s_cbranch_scc1 .LBB15_1084
.LBB15_1082:
	s_lshl_b32 s2, s10, 3
	s_mul_i32 s4, s10, 12
	s_add_u32 s2, s2, s16
	s_addc_u32 s3, 0, s17
	s_add_u32 s2, s2, 0xc4
	s_addc_u32 s3, s3, 0
	;; [unrolled: 2-line block ×3, first 2 shown]
	.p2align	6
.LBB15_1083:                            ; =>This Inner Loop Header: Depth=1
	s_clause 0x1
	s_load_b64 s[10:11], s[4:5], 0x4
	s_load_b32 s14, s[4:5], 0xc
	s_load_b64 s[12:13], s[2:3], 0x0
	s_add_u32 s4, s4, 12
	s_addc_u32 s5, s5, 0
	s_add_u32 s2, s2, 8
	s_addc_u32 s3, s3, 0
	s_add_i32 s7, s7, -1
	s_delay_alu instid0(SALU_CYCLE_1) | instskip(SKIP_2) | instid1(VALU_DEP_1)
	s_cmp_lg_u32 s7, 0
	s_waitcnt lgkmcnt(0)
	v_mul_hi_u32 v6, s11, v5
	v_add_nc_u32_e32 v6, v5, v6
	s_delay_alu instid0(VALU_DEP_1) | instskip(NEXT) | instid1(VALU_DEP_1)
	v_lshrrev_b32_e32 v6, s14, v6
	v_mul_lo_u32 v9, v6, s10
	s_delay_alu instid0(VALU_DEP_1) | instskip(NEXT) | instid1(VALU_DEP_1)
	v_sub_nc_u32_e32 v5, v5, v9
	v_mad_u64_u32 v[11:12], null, v5, s12, v[2:3]
	v_mad_u64_u32 v[12:13], null, v5, s13, v[7:8]
	s_delay_alu instid0(VALU_DEP_2) | instskip(NEXT) | instid1(VALU_DEP_2)
	v_dual_mov_b32 v5, v6 :: v_dual_mov_b32 v2, v11
	v_mov_b32_e32 v7, v12
	s_cbranch_scc1 .LBB15_1083
.LBB15_1084:
	s_and_not1_b32 vcc_lo, exec_lo, s6
	s_cbranch_vccnz .LBB15_1087
; %bb.1085:
	s_clause 0x1
	s_load_b128 s[4:7], s[16:17], 0x4
	s_load_b64 s[2:3], s[16:17], 0xc4
	s_cmp_lt_u32 s24, 2
	s_waitcnt lgkmcnt(0)
	v_mul_hi_u32 v2, s5, v1
	s_delay_alu instid0(VALU_DEP_1) | instskip(NEXT) | instid1(VALU_DEP_1)
	v_add_nc_u32_e32 v2, v1, v2
	v_lshrrev_b32_e32 v5, s6, v2
	s_delay_alu instid0(VALU_DEP_1) | instskip(NEXT) | instid1(VALU_DEP_1)
	v_mul_lo_u32 v2, v5, s4
	v_sub_nc_u32_e32 v1, v1, v2
	s_delay_alu instid0(VALU_DEP_1)
	v_mul_lo_u32 v2, v1, s2
	v_mul_lo_u32 v7, v1, s3
	s_cbranch_scc1 .LBB15_1087
; %bb.1086:
	s_clause 0x1
	s_load_b128 s[4:7], s[16:17], 0x10
	s_load_b64 s[2:3], s[16:17], 0xcc
	s_waitcnt lgkmcnt(0)
	v_mul_hi_u32 v1, s5, v5
	s_delay_alu instid0(VALU_DEP_1) | instskip(NEXT) | instid1(VALU_DEP_1)
	v_add_nc_u32_e32 v1, v5, v1
	v_lshrrev_b32_e32 v1, s6, v1
	s_delay_alu instid0(VALU_DEP_1) | instskip(NEXT) | instid1(VALU_DEP_1)
	v_mul_lo_u32 v1, v1, s4
	v_sub_nc_u32_e32 v9, v5, v1
	s_delay_alu instid0(VALU_DEP_1) | instskip(SKIP_1) | instid1(VALU_DEP_2)
	v_mad_u64_u32 v[5:6], null, v9, s2, v[2:3]
	v_mad_u64_u32 v[1:2], null, v9, s3, v[7:8]
	v_mov_b32_e32 v2, v5
	s_delay_alu instid0(VALU_DEP_2)
	v_mov_b32_e32 v7, v1
.LBB15_1087:
	v_cmp_ne_u32_e32 vcc_lo, 1, v0
	v_add_nc_u32_e32 v5, 0x100, v8
	s_cbranch_vccnz .LBB15_1093
; %bb.1088:
	v_mov_b32_e32 v1, 0
	v_mov_b32_e32 v9, 0
	s_cmp_lg_u32 s24, 0
	s_mov_b32 s6, 0
	s_cbranch_scc0 .LBB15_1097
; %bb.1089:
	s_min_u32 s7, s25, 15
	v_mov_b32_e32 v1, 0
	s_add_i32 s7, s7, 1
	s_cmp_eq_u32 s25, 2
	s_mov_b32 s10, 0
	s_cbranch_scc1 .LBB15_1094
; %bb.1090:
	v_dual_mov_b32 v9, 0 :: v_dual_mov_b32 v6, v5
	v_mov_b32_e32 v1, 0
	s_add_u32 s2, s16, 0xc4
	s_addc_u32 s3, s17, 0
	s_and_b32 s10, s7, 28
	s_mov_b32 s11, 0
	s_mov_b64 s[4:5], s[16:17]
.LBB15_1091:                            ; =>This Inner Loop Header: Depth=1
	s_clause 0x1
	s_load_b256 s[36:43], s[4:5], 0x4
	s_load_b128 s[12:15], s[4:5], 0x24
	s_load_b256 s[44:51], s[2:3], 0x0
	s_add_u32 s4, s4, 48
	s_addc_u32 s5, s5, 0
	s_add_i32 s11, s11, 4
	s_add_u32 s2, s2, 32
	s_addc_u32 s3, s3, 0
	s_cmp_lg_u32 s10, s11
	s_waitcnt lgkmcnt(0)
	v_mul_hi_u32 v8, s37, v6
	s_delay_alu instid0(VALU_DEP_1) | instskip(NEXT) | instid1(VALU_DEP_1)
	v_add_nc_u32_e32 v8, v6, v8
	v_lshrrev_b32_e32 v8, s38, v8
	s_delay_alu instid0(VALU_DEP_1) | instskip(SKIP_1) | instid1(VALU_DEP_2)
	v_mul_hi_u32 v11, s40, v8
	v_mul_lo_u32 v13, v8, s36
	v_add_nc_u32_e32 v11, v8, v11
	s_delay_alu instid0(VALU_DEP_2) | instskip(NEXT) | instid1(VALU_DEP_2)
	v_sub_nc_u32_e32 v6, v6, v13
	v_lshrrev_b32_e32 v11, s41, v11
	s_delay_alu instid0(VALU_DEP_2) | instskip(SKIP_1) | instid1(VALU_DEP_3)
	v_mul_lo_u32 v13, v6, s44
	v_mul_lo_u32 v15, v6, s45
	v_mul_hi_u32 v12, s43, v11
	s_delay_alu instid0(VALU_DEP_1) | instskip(NEXT) | instid1(VALU_DEP_1)
	v_add_nc_u32_e32 v12, v11, v12
	v_lshrrev_b32_e32 v12, s12, v12
	s_delay_alu instid0(VALU_DEP_1) | instskip(SKIP_1) | instid1(VALU_DEP_2)
	v_mul_hi_u32 v14, s14, v12
	v_mul_lo_u32 v16, v12, s42
	v_add_nc_u32_e32 v6, v12, v14
	v_mul_lo_u32 v14, v11, s39
	s_delay_alu instid0(VALU_DEP_3) | instskip(NEXT) | instid1(VALU_DEP_3)
	v_sub_nc_u32_e32 v11, v11, v16
	v_lshrrev_b32_e32 v6, s15, v6
	s_delay_alu instid0(VALU_DEP_2) | instskip(SKIP_2) | instid1(VALU_DEP_4)
	v_mul_lo_u32 v16, v11, s48
	v_mul_lo_u32 v11, v11, s49
	v_sub_nc_u32_e32 v8, v8, v14
	v_mul_lo_u32 v17, v6, s13
	s_delay_alu instid0(VALU_DEP_2) | instskip(SKIP_1) | instid1(VALU_DEP_3)
	v_mul_lo_u32 v14, v8, s46
	v_mul_lo_u32 v8, v8, s47
	v_sub_nc_u32_e32 v12, v12, v17
	s_delay_alu instid0(VALU_DEP_3) | instskip(NEXT) | instid1(VALU_DEP_2)
	v_add3_u32 v1, v13, v1, v14
	v_mul_lo_u32 v17, v12, s50
	v_mul_lo_u32 v12, v12, s51
	v_add3_u32 v8, v15, v9, v8
	s_delay_alu instid0(VALU_DEP_3) | instskip(NEXT) | instid1(VALU_DEP_2)
	v_add3_u32 v1, v16, v1, v17
	v_add3_u32 v9, v11, v8, v12
	s_cbranch_scc1 .LBB15_1091
; %bb.1092:
	s_and_b32 s7, s7, 3
	s_delay_alu instid0(SALU_CYCLE_1)
	s_cmp_eq_u32 s7, 0
	s_cbranch_scc0 .LBB15_1095
	s_branch .LBB15_1097
.LBB15_1093:
	s_mov_b32 s6, -1
                                        ; implicit-def: $vgpr1
                                        ; implicit-def: $vgpr9
	s_branch .LBB15_1097
.LBB15_1094:
	v_dual_mov_b32 v6, v5 :: v_dual_mov_b32 v9, 0
	s_and_b32 s7, s7, 3
	s_delay_alu instid0(SALU_CYCLE_1)
	s_cmp_eq_u32 s7, 0
	s_cbranch_scc1 .LBB15_1097
.LBB15_1095:
	s_lshl_b32 s2, s10, 3
	s_mul_i32 s4, s10, 12
	s_add_u32 s2, s2, s16
	s_addc_u32 s3, 0, s17
	s_add_u32 s2, s2, 0xc4
	s_addc_u32 s3, s3, 0
	;; [unrolled: 2-line block ×3, first 2 shown]
	.p2align	6
.LBB15_1096:                            ; =>This Inner Loop Header: Depth=1
	s_clause 0x1
	s_load_b64 s[10:11], s[4:5], 0x4
	s_load_b32 s14, s[4:5], 0xc
	s_load_b64 s[12:13], s[2:3], 0x0
	s_add_u32 s4, s4, 12
	s_addc_u32 s5, s5, 0
	s_add_u32 s2, s2, 8
	s_addc_u32 s3, s3, 0
	s_add_i32 s7, s7, -1
	s_delay_alu instid0(SALU_CYCLE_1) | instskip(SKIP_2) | instid1(VALU_DEP_1)
	s_cmp_lg_u32 s7, 0
	s_waitcnt lgkmcnt(0)
	v_mul_hi_u32 v8, s11, v6
	v_add_nc_u32_e32 v8, v6, v8
	s_delay_alu instid0(VALU_DEP_1) | instskip(NEXT) | instid1(VALU_DEP_1)
	v_lshrrev_b32_e32 v8, s14, v8
	v_mul_lo_u32 v11, v8, s10
	s_delay_alu instid0(VALU_DEP_1) | instskip(NEXT) | instid1(VALU_DEP_1)
	v_sub_nc_u32_e32 v6, v6, v11
	v_mad_u64_u32 v[11:12], null, v6, s12, v[1:2]
	v_mad_u64_u32 v[12:13], null, v6, s13, v[9:10]
	s_delay_alu instid0(VALU_DEP_2) | instskip(NEXT) | instid1(VALU_DEP_2)
	v_dual_mov_b32 v6, v8 :: v_dual_mov_b32 v1, v11
	v_mov_b32_e32 v9, v12
	s_cbranch_scc1 .LBB15_1096
.LBB15_1097:
	s_and_not1_b32 vcc_lo, exec_lo, s6
	s_cbranch_vccnz .LBB15_1100
; %bb.1098:
	s_clause 0x1
	s_load_b128 s[4:7], s[16:17], 0x4
	s_load_b64 s[2:3], s[16:17], 0xc4
	s_cmp_lt_u32 s24, 2
	s_waitcnt lgkmcnt(0)
	v_mul_hi_u32 v1, s5, v5
	s_delay_alu instid0(VALU_DEP_1) | instskip(NEXT) | instid1(VALU_DEP_1)
	v_add_nc_u32_e32 v1, v5, v1
	v_lshrrev_b32_e32 v6, s6, v1
	s_delay_alu instid0(VALU_DEP_1) | instskip(NEXT) | instid1(VALU_DEP_1)
	v_mul_lo_u32 v1, v6, s4
	v_sub_nc_u32_e32 v5, v5, v1
	s_delay_alu instid0(VALU_DEP_1)
	v_mul_lo_u32 v1, v5, s2
	v_mul_lo_u32 v9, v5, s3
	s_cbranch_scc1 .LBB15_1100
; %bb.1099:
	s_clause 0x1
	s_load_b128 s[4:7], s[16:17], 0x10
	s_load_b64 s[2:3], s[16:17], 0xcc
	s_waitcnt lgkmcnt(0)
	v_mul_hi_u32 v5, s5, v6
	s_delay_alu instid0(VALU_DEP_1) | instskip(NEXT) | instid1(VALU_DEP_1)
	v_add_nc_u32_e32 v5, v6, v5
	v_lshrrev_b32_e32 v5, s6, v5
	s_delay_alu instid0(VALU_DEP_1) | instskip(NEXT) | instid1(VALU_DEP_1)
	v_mul_lo_u32 v5, v5, s4
	v_sub_nc_u32_e32 v8, v6, v5
	s_delay_alu instid0(VALU_DEP_1) | instskip(SKIP_1) | instid1(VALU_DEP_2)
	v_mad_u64_u32 v[5:6], null, v8, s2, v[1:2]
	v_mad_u64_u32 v[11:12], null, v8, s3, v[9:10]
	v_mov_b32_e32 v1, v5
	s_delay_alu instid0(VALU_DEP_2)
	v_mov_b32_e32 v9, v11
.LBB15_1100:
	v_cmp_ne_u32_e32 vcc_lo, 1, v0
	s_cbranch_vccnz .LBB15_1106
; %bb.1101:
	v_mov_b32_e32 v0, 0
	v_mov_b32_e32 v6, 0
	s_cmp_lg_u32 s24, 0
	s_mov_b32 s6, 0
	s_cbranch_scc0 .LBB15_1110
; %bb.1102:
	s_min_u32 s7, s25, 15
	v_mov_b32_e32 v0, 0
	s_add_i32 s7, s7, 1
	s_cmp_eq_u32 s25, 2
	s_mov_b32 s10, 0
	s_cbranch_scc1 .LBB15_1107
; %bb.1103:
	v_dual_mov_b32 v6, 0 :: v_dual_mov_b32 v5, v10
	v_mov_b32_e32 v0, 0
	s_add_u32 s2, s16, 0xc4
	s_addc_u32 s3, s17, 0
	s_and_b32 s10, s7, 28
	s_mov_b32 s11, 0
	s_mov_b64 s[4:5], s[16:17]
.LBB15_1104:                            ; =>This Inner Loop Header: Depth=1
	s_clause 0x1
	s_load_b256 s[36:43], s[4:5], 0x4
	s_load_b128 s[12:15], s[4:5], 0x24
	s_load_b256 s[44:51], s[2:3], 0x0
	s_add_u32 s4, s4, 48
	s_addc_u32 s5, s5, 0
	s_add_i32 s11, s11, 4
	s_add_u32 s2, s2, 32
	s_addc_u32 s3, s3, 0
	s_cmp_lg_u32 s10, s11
	s_waitcnt lgkmcnt(0)
	v_mul_hi_u32 v8, s37, v5
	s_delay_alu instid0(VALU_DEP_1) | instskip(NEXT) | instid1(VALU_DEP_1)
	v_add_nc_u32_e32 v8, v5, v8
	v_lshrrev_b32_e32 v8, s38, v8
	s_delay_alu instid0(VALU_DEP_1) | instskip(SKIP_1) | instid1(VALU_DEP_2)
	v_mul_hi_u32 v11, s40, v8
	v_mul_lo_u32 v13, v8, s36
	v_add_nc_u32_e32 v11, v8, v11
	s_delay_alu instid0(VALU_DEP_2) | instskip(NEXT) | instid1(VALU_DEP_2)
	v_sub_nc_u32_e32 v5, v5, v13
	v_lshrrev_b32_e32 v11, s41, v11
	s_delay_alu instid0(VALU_DEP_2) | instskip(SKIP_1) | instid1(VALU_DEP_3)
	v_mul_lo_u32 v13, v5, s44
	v_mul_lo_u32 v15, v5, s45
	v_mul_hi_u32 v12, s43, v11
	s_delay_alu instid0(VALU_DEP_1) | instskip(NEXT) | instid1(VALU_DEP_1)
	v_add_nc_u32_e32 v12, v11, v12
	v_lshrrev_b32_e32 v12, s12, v12
	s_delay_alu instid0(VALU_DEP_1) | instskip(SKIP_1) | instid1(VALU_DEP_2)
	v_mul_hi_u32 v14, s14, v12
	v_mul_lo_u32 v16, v12, s42
	v_add_nc_u32_e32 v5, v12, v14
	v_mul_lo_u32 v14, v11, s39
	s_delay_alu instid0(VALU_DEP_3) | instskip(NEXT) | instid1(VALU_DEP_3)
	v_sub_nc_u32_e32 v11, v11, v16
	v_lshrrev_b32_e32 v5, s15, v5
	s_delay_alu instid0(VALU_DEP_2) | instskip(SKIP_2) | instid1(VALU_DEP_4)
	v_mul_lo_u32 v16, v11, s48
	v_mul_lo_u32 v11, v11, s49
	v_sub_nc_u32_e32 v8, v8, v14
	v_mul_lo_u32 v17, v5, s13
	s_delay_alu instid0(VALU_DEP_2) | instskip(SKIP_1) | instid1(VALU_DEP_3)
	v_mul_lo_u32 v14, v8, s46
	v_mul_lo_u32 v8, v8, s47
	v_sub_nc_u32_e32 v12, v12, v17
	s_delay_alu instid0(VALU_DEP_3) | instskip(NEXT) | instid1(VALU_DEP_2)
	v_add3_u32 v0, v13, v0, v14
	v_mul_lo_u32 v17, v12, s50
	v_mul_lo_u32 v12, v12, s51
	v_add3_u32 v6, v15, v6, v8
	s_delay_alu instid0(VALU_DEP_3) | instskip(NEXT) | instid1(VALU_DEP_2)
	v_add3_u32 v0, v16, v0, v17
	v_add3_u32 v6, v11, v6, v12
	s_cbranch_scc1 .LBB15_1104
; %bb.1105:
	s_and_b32 s7, s7, 3
	s_delay_alu instid0(SALU_CYCLE_1)
	s_cmp_eq_u32 s7, 0
	s_cbranch_scc0 .LBB15_1108
	s_branch .LBB15_1110
.LBB15_1106:
	s_mov_b32 s6, -1
                                        ; implicit-def: $vgpr0
                                        ; implicit-def: $vgpr6
	s_branch .LBB15_1110
.LBB15_1107:
	v_dual_mov_b32 v5, v10 :: v_dual_mov_b32 v6, 0
	s_and_b32 s7, s7, 3
	s_delay_alu instid0(SALU_CYCLE_1)
	s_cmp_eq_u32 s7, 0
	s_cbranch_scc1 .LBB15_1110
.LBB15_1108:
	s_lshl_b32 s2, s10, 3
	s_mul_i32 s4, s10, 12
	s_add_u32 s2, s2, s16
	s_addc_u32 s3, 0, s17
	s_add_u32 s2, s2, 0xc4
	s_addc_u32 s3, s3, 0
	;; [unrolled: 2-line block ×3, first 2 shown]
	.p2align	6
.LBB15_1109:                            ; =>This Inner Loop Header: Depth=1
	s_clause 0x1
	s_load_b64 s[10:11], s[4:5], 0x4
	s_load_b32 s14, s[4:5], 0xc
	s_load_b64 s[12:13], s[2:3], 0x0
	s_add_u32 s4, s4, 12
	s_addc_u32 s5, s5, 0
	s_add_u32 s2, s2, 8
	s_addc_u32 s3, s3, 0
	s_add_i32 s7, s7, -1
	s_delay_alu instid0(SALU_CYCLE_1) | instskip(SKIP_2) | instid1(VALU_DEP_1)
	s_cmp_lg_u32 s7, 0
	s_waitcnt lgkmcnt(0)
	v_mul_hi_u32 v8, s11, v5
	v_add_nc_u32_e32 v8, v5, v8
	s_delay_alu instid0(VALU_DEP_1) | instskip(NEXT) | instid1(VALU_DEP_1)
	v_lshrrev_b32_e32 v8, s14, v8
	v_mul_lo_u32 v11, v8, s10
	s_delay_alu instid0(VALU_DEP_1) | instskip(NEXT) | instid1(VALU_DEP_1)
	v_sub_nc_u32_e32 v5, v5, v11
	v_mad_u64_u32 v[11:12], null, v5, s12, v[0:1]
	v_mad_u64_u32 v[12:13], null, v5, s13, v[6:7]
	s_delay_alu instid0(VALU_DEP_2) | instskip(NEXT) | instid1(VALU_DEP_2)
	v_dual_mov_b32 v5, v8 :: v_dual_mov_b32 v0, v11
	v_mov_b32_e32 v6, v12
	s_cbranch_scc1 .LBB15_1109
.LBB15_1110:
	s_and_not1_b32 vcc_lo, exec_lo, s6
	s_cbranch_vccnz .LBB15_1113
; %bb.1111:
	s_clause 0x1
	s_load_b128 s[4:7], s[16:17], 0x4
	s_load_b64 s[2:3], s[16:17], 0xc4
	s_cmp_lt_u32 s24, 2
	s_waitcnt lgkmcnt(0)
	v_mul_hi_u32 v0, s5, v10
	s_delay_alu instid0(VALU_DEP_1) | instskip(NEXT) | instid1(VALU_DEP_1)
	v_add_nc_u32_e32 v0, v10, v0
	v_lshrrev_b32_e32 v5, s6, v0
	s_delay_alu instid0(VALU_DEP_1) | instskip(NEXT) | instid1(VALU_DEP_1)
	v_mul_lo_u32 v0, v5, s4
	v_sub_nc_u32_e32 v6, v10, v0
	s_delay_alu instid0(VALU_DEP_1)
	v_mul_lo_u32 v0, v6, s2
	v_mul_lo_u32 v6, v6, s3
	s_cbranch_scc1 .LBB15_1113
; %bb.1112:
	s_clause 0x1
	s_load_b128 s[4:7], s[16:17], 0x10
	s_load_b64 s[2:3], s[16:17], 0xcc
	s_waitcnt lgkmcnt(0)
	v_mul_hi_u32 v8, s5, v5
	s_delay_alu instid0(VALU_DEP_1) | instskip(NEXT) | instid1(VALU_DEP_1)
	v_add_nc_u32_e32 v8, v5, v8
	v_lshrrev_b32_e32 v8, s6, v8
	s_delay_alu instid0(VALU_DEP_1) | instskip(NEXT) | instid1(VALU_DEP_1)
	v_mul_lo_u32 v8, v8, s4
	v_sub_nc_u32_e32 v5, v5, v8
	s_delay_alu instid0(VALU_DEP_1) | instskip(SKIP_1) | instid1(VALU_DEP_2)
	v_mad_u64_u32 v[10:11], null, v5, s2, v[0:1]
	v_mad_u64_u32 v[11:12], null, v5, s3, v[6:7]
	v_mov_b32_e32 v0, v10
	s_delay_alu instid0(VALU_DEP_2)
	v_mov_b32_e32 v6, v11
.LBB15_1113:
	s_clause 0x1
	s_load_b32 s0, s[0:1], 0x160
	s_load_b128 s[4:7], s[16:17], 0x148
	s_mov_b32 s3, 0
	s_waitcnt lgkmcnt(0)
	s_lshr_b32 s1, s0, 16
	s_delay_alu instid0(SALU_CYCLE_1) | instskip(SKIP_1) | instid1(VALU_DEP_1)
	v_and_b32_e64 v12, 0xff, s1
	v_add_co_u32 v10, s1, s6, v4
	v_add_co_ci_u32_e64 v11, null, s7, 0, s1
	s_delay_alu instid0(VALU_DEP_3)
	v_cmp_gt_i16_e32 vcc_lo, 11, v12
	s_cbranch_vccnz .LBB15_1120
; %bb.1114:
	v_cmp_lt_i16_e32 vcc_lo, 25, v12
	s_mov_b32 s2, 0
	s_cbranch_vccz .LBB15_1126
; %bb.1115:
	v_cmp_lt_i16_e32 vcc_lo, 28, v12
	s_cbranch_vccz .LBB15_1128
; %bb.1116:
	v_cmp_lt_i16_e32 vcc_lo, 43, v12
	;; [unrolled: 3-line block ×3, first 2 shown]
	s_cbranch_vccz .LBB15_1134
; %bb.1118:
	v_cmp_eq_u16_e32 vcc_lo, 46, v12
	s_mov_b32 s10, 0
	s_cbranch_vccz .LBB15_1176
; %bb.1119:
	global_load_b32 v4, v[10:11], off
	s_mov_b32 s1, 0
	s_mov_b32 s3, -1
	s_waitcnt vmcnt(0)
	v_lshlrev_b32_e32 v4, 16, v4
	s_delay_alu instid0(VALU_DEP_1) | instskip(NEXT) | instid1(VALU_DEP_1)
	v_trunc_f32_e32 v4, v4
	v_mul_f32_e64 v5, 0x2f800000, |v4|
	s_delay_alu instid0(VALU_DEP_1) | instskip(NEXT) | instid1(VALU_DEP_1)
	v_floor_f32_e32 v5, v5
	v_fma_f32 v5, 0xcf800000, v5, |v4|
	v_ashrrev_i32_e32 v4, 31, v4
	s_delay_alu instid0(VALU_DEP_2) | instskip(NEXT) | instid1(VALU_DEP_1)
	v_cvt_u32_f32_e32 v5, v5
	v_xor_b32_e32 v5, v5, v4
	s_delay_alu instid0(VALU_DEP_1)
	v_sub_nc_u32_e32 v4, v5, v4
	s_branch .LBB15_1178
.LBB15_1120:
	s_mov_b32 s1, s8
                                        ; implicit-def: $vgpr4
	s_cbranch_execz .LBB15_1236
; %bb.1121:
	v_cmp_gt_i16_e32 vcc_lo, 5, v12
	s_cbranch_vccnz .LBB15_1127
; %bb.1122:
	v_cmp_gt_i16_e32 vcc_lo, 8, v12
	s_cbranch_vccnz .LBB15_1129
	;; [unrolled: 3-line block ×3, first 2 shown]
; %bb.1124:
	v_cmp_lt_i16_e32 vcc_lo, 9, v12
	s_cbranch_vccz .LBB15_1135
; %bb.1125:
	global_load_b64 v[4:5], v[10:11], off
	s_mov_b32 s2, 0
	s_waitcnt vmcnt(0)
	v_trunc_f64_e32 v[4:5], v[4:5]
	s_delay_alu instid0(VALU_DEP_1) | instskip(NEXT) | instid1(VALU_DEP_1)
	v_ldexp_f64 v[13:14], v[4:5], 0xffffffe0
	v_floor_f64_e32 v[13:14], v[13:14]
	s_delay_alu instid0(VALU_DEP_1) | instskip(NEXT) | instid1(VALU_DEP_1)
	v_fma_f64 v[4:5], 0xc1f00000, v[13:14], v[4:5]
	v_cvt_u32_f64_e32 v4, v[4:5]
	s_branch .LBB15_1136
.LBB15_1126:
	s_mov_b32 s1, 0
                                        ; implicit-def: $vgpr4
	s_cbranch_execnz .LBB15_1203
	s_branch .LBB15_1232
.LBB15_1127:
                                        ; implicit-def: $vgpr4
	s_branch .LBB15_1153
.LBB15_1128:
	s_mov_b32 s1, 0
                                        ; implicit-def: $vgpr4
	s_cbranch_execz .LBB15_1202
	s_branch .LBB15_1187
.LBB15_1129:
                                        ; implicit-def: $vgpr4
	s_branch .LBB15_1142
.LBB15_1130:
	s_mov_b32 s1, 0
                                        ; implicit-def: $vgpr4
	s_cbranch_execnz .LBB15_1183
	s_branch .LBB15_1186
.LBB15_1131:
	s_mov_b32 s2, -1
                                        ; implicit-def: $vgpr4
	s_branch .LBB15_1139
.LBB15_1132:
	s_cbranch_execnz .LBB15_1174
; %bb.1133:
	s_or_b32 s3, s3, exec_lo
	s_and_not1_b32 s8, s8, exec_lo
	s_or_b32 exec_lo, exec_lo, s2
	s_and_saveexec_b32 s2, s8
	s_delay_alu instid0(SALU_CYCLE_1)
	s_xor_b32 s2, exec_lo, s2
	s_cbranch_execnz .LBB15_1020
	s_branch .LBB15_1021
.LBB15_1134:
	s_mov_b32 s10, -1
	s_mov_b32 s1, 0
	s_branch .LBB15_1177
.LBB15_1135:
	s_mov_b32 s2, -1
                                        ; implicit-def: $vgpr4
.LBB15_1136:
	s_delay_alu instid0(SALU_CYCLE_1)
	s_and_not1_b32 vcc_lo, exec_lo, s2
	s_cbranch_vccnz .LBB15_1138
; %bb.1137:
	global_load_b32 v4, v[10:11], off
	s_waitcnt vmcnt(0)
	v_trunc_f32_e32 v4, v4
	s_delay_alu instid0(VALU_DEP_1) | instskip(NEXT) | instid1(VALU_DEP_1)
	v_mul_f32_e64 v5, 0x2f800000, |v4|
	v_floor_f32_e32 v5, v5
	s_delay_alu instid0(VALU_DEP_1) | instskip(SKIP_1) | instid1(VALU_DEP_2)
	v_fma_f32 v5, 0xcf800000, v5, |v4|
	v_ashrrev_i32_e32 v4, 31, v4
	v_cvt_u32_f32_e32 v5, v5
	s_delay_alu instid0(VALU_DEP_1) | instskip(NEXT) | instid1(VALU_DEP_1)
	v_xor_b32_e32 v5, v5, v4
	v_sub_nc_u32_e32 v4, v5, v4
.LBB15_1138:
	s_mov_b32 s2, 0
.LBB15_1139:
	s_delay_alu instid0(SALU_CYCLE_1)
	s_and_not1_b32 vcc_lo, exec_lo, s2
	s_cbranch_vccnz .LBB15_1141
; %bb.1140:
	global_load_b32 v4, v[10:11], off
	s_waitcnt vmcnt(0)
	v_cvt_f32_f16_e32 v4, v4
	s_delay_alu instid0(VALU_DEP_1)
	v_cvt_i32_f32_e32 v4, v4
.LBB15_1141:
	s_cbranch_execnz .LBB15_1152
.LBB15_1142:
	v_cmp_gt_i16_e32 vcc_lo, 6, v12
	s_cbranch_vccnz .LBB15_1145
; %bb.1143:
	v_cmp_lt_i16_e32 vcc_lo, 6, v12
	s_cbranch_vccz .LBB15_1146
; %bb.1144:
	global_load_b64 v[4:5], v[10:11], off
	s_mov_b32 s2, 0
	s_waitcnt vmcnt(0)
	v_trunc_f64_e32 v[4:5], v[4:5]
	s_delay_alu instid0(VALU_DEP_1) | instskip(NEXT) | instid1(VALU_DEP_1)
	v_ldexp_f64 v[13:14], v[4:5], 0xffffffe0
	v_floor_f64_e32 v[13:14], v[13:14]
	s_delay_alu instid0(VALU_DEP_1) | instskip(NEXT) | instid1(VALU_DEP_1)
	v_fma_f64 v[4:5], 0xc1f00000, v[13:14], v[4:5]
	v_cvt_u32_f64_e32 v4, v[4:5]
	s_branch .LBB15_1147
.LBB15_1145:
	s_mov_b32 s2, -1
                                        ; implicit-def: $vgpr4
	s_branch .LBB15_1150
.LBB15_1146:
	s_mov_b32 s2, -1
                                        ; implicit-def: $vgpr4
.LBB15_1147:
	s_delay_alu instid0(SALU_CYCLE_1)
	s_and_not1_b32 vcc_lo, exec_lo, s2
	s_cbranch_vccnz .LBB15_1149
; %bb.1148:
	global_load_b32 v4, v[10:11], off
	s_waitcnt vmcnt(0)
	v_trunc_f32_e32 v4, v4
	s_delay_alu instid0(VALU_DEP_1) | instskip(NEXT) | instid1(VALU_DEP_1)
	v_mul_f32_e64 v5, 0x2f800000, |v4|
	v_floor_f32_e32 v5, v5
	s_delay_alu instid0(VALU_DEP_1) | instskip(SKIP_1) | instid1(VALU_DEP_2)
	v_fma_f32 v5, 0xcf800000, v5, |v4|
	v_ashrrev_i32_e32 v4, 31, v4
	v_cvt_u32_f32_e32 v5, v5
	s_delay_alu instid0(VALU_DEP_1) | instskip(NEXT) | instid1(VALU_DEP_1)
	v_xor_b32_e32 v5, v5, v4
	v_sub_nc_u32_e32 v4, v5, v4
.LBB15_1149:
	s_mov_b32 s2, 0
.LBB15_1150:
	s_delay_alu instid0(SALU_CYCLE_1)
	s_and_not1_b32 vcc_lo, exec_lo, s2
	s_cbranch_vccnz .LBB15_1152
; %bb.1151:
	global_load_u16 v4, v[10:11], off
	s_waitcnt vmcnt(0)
	v_cvt_f32_f16_e32 v4, v4
	s_delay_alu instid0(VALU_DEP_1)
	v_cvt_i32_f32_e32 v4, v4
.LBB15_1152:
	s_cbranch_execnz .LBB15_1171
.LBB15_1153:
	v_cmp_gt_i16_e32 vcc_lo, 2, v12
	s_cbranch_vccnz .LBB15_1157
; %bb.1154:
	v_cmp_gt_i16_e32 vcc_lo, 3, v12
	s_cbranch_vccnz .LBB15_1158
; %bb.1155:
	v_cmp_lt_i16_e32 vcc_lo, 3, v12
	s_cbranch_vccz .LBB15_1159
; %bb.1156:
	global_load_b64 v[4:5], v[10:11], off
	s_mov_b32 s2, 0
	s_branch .LBB15_1160
.LBB15_1157:
                                        ; implicit-def: $vgpr4
	s_branch .LBB15_1166
.LBB15_1158:
	s_mov_b32 s2, -1
                                        ; implicit-def: $vgpr4
	s_branch .LBB15_1163
.LBB15_1159:
	s_mov_b32 s2, -1
                                        ; implicit-def: $vgpr4
.LBB15_1160:
	s_delay_alu instid0(SALU_CYCLE_1)
	s_and_not1_b32 vcc_lo, exec_lo, s2
	s_cbranch_vccnz .LBB15_1162
; %bb.1161:
	global_load_b32 v4, v[10:11], off
.LBB15_1162:
	s_mov_b32 s2, 0
.LBB15_1163:
	s_delay_alu instid0(SALU_CYCLE_1)
	s_and_not1_b32 vcc_lo, exec_lo, s2
	s_cbranch_vccnz .LBB15_1165
; %bb.1164:
	global_load_u16 v4, v[10:11], off
.LBB15_1165:
	s_cbranch_execnz .LBB15_1171
.LBB15_1166:
	v_cmp_lt_i16_e32 vcc_lo, 0, v12
	s_mov_b32 s2, 0
	s_cbranch_vccz .LBB15_1168
; %bb.1167:
	global_load_u8 v4, v[10:11], off
	s_branch .LBB15_1169
.LBB15_1168:
	s_mov_b32 s2, -1
                                        ; implicit-def: $vgpr4
.LBB15_1169:
	s_delay_alu instid0(SALU_CYCLE_1)
	s_and_not1_b32 vcc_lo, exec_lo, s2
	s_cbranch_vccnz .LBB15_1171
; %bb.1170:
	global_load_u8 v4, v[10:11], off
.LBB15_1171:
	s_branch .LBB15_1237
.LBB15_1172:
	s_trap 2
	s_sendmsg_rtn_b32 s0, sendmsg(MSG_RTN_GET_DOORBELL)
	s_mov_b32 ttmp2, m0
	s_waitcnt lgkmcnt(0)
	s_and_b32 s0, s0, 0x3ff
	s_delay_alu instid0(SALU_CYCLE_1) | instskip(NEXT) | instid1(SALU_CYCLE_1)
	s_bitset1_b32 s0, 10
	s_mov_b32 m0, s0
	s_sendmsg sendmsg(MSG_INTERRUPT)
	s_mov_b32 m0, ttmp2
.LBB15_1173:                            ; =>This Inner Loop Header: Depth=1
	s_sethalt 5
	s_branch .LBB15_1173
.LBB15_1174:
	s_trap 2
	s_sendmsg_rtn_b32 s0, sendmsg(MSG_RTN_GET_DOORBELL)
	s_mov_b32 ttmp2, m0
	s_waitcnt lgkmcnt(0)
	s_and_b32 s0, s0, 0x3ff
	s_delay_alu instid0(SALU_CYCLE_1) | instskip(NEXT) | instid1(SALU_CYCLE_1)
	s_bitset1_b32 s0, 10
	s_mov_b32 m0, s0
	s_sendmsg sendmsg(MSG_INTERRUPT)
	s_mov_b32 m0, ttmp2
.LBB15_1175:                            ; =>This Inner Loop Header: Depth=1
	s_sethalt 5
	s_branch .LBB15_1175
.LBB15_1176:
	s_mov_b32 s1, -1
.LBB15_1177:
                                        ; implicit-def: $vgpr4
.LBB15_1178:
	s_and_b32 vcc_lo, exec_lo, s10
	s_cbranch_vccz .LBB15_1181
; %bb.1179:
	v_cmp_eq_u16_e32 vcc_lo, 44, v12
	s_cbranch_vccz .LBB15_1182
; %bb.1180:
	global_load_u8 v4, v[10:11], off
	s_mov_b32 s1, 0
	s_mov_b32 s3, -1
	s_waitcnt vmcnt(0)
	v_lshlrev_b32_e32 v5, 23, v4
	v_cmp_ne_u32_e32 vcc_lo, 0, v4
	s_delay_alu instid0(VALU_DEP_2) | instskip(NEXT) | instid1(VALU_DEP_1)
	v_trunc_f32_e32 v5, v5
	v_mul_f32_e64 v8, 0x2f800000, |v5|
	s_delay_alu instid0(VALU_DEP_1) | instskip(NEXT) | instid1(VALU_DEP_1)
	v_floor_f32_e32 v8, v8
	v_fma_f32 v8, 0xcf800000, v8, |v5|
	v_ashrrev_i32_e32 v5, 31, v5
	s_delay_alu instid0(VALU_DEP_2) | instskip(NEXT) | instid1(VALU_DEP_1)
	v_cvt_u32_f32_e32 v8, v8
	v_xor_b32_e32 v8, v8, v5
	s_delay_alu instid0(VALU_DEP_1) | instskip(NEXT) | instid1(VALU_DEP_1)
	v_sub_nc_u32_e32 v5, v8, v5
	v_cndmask_b32_e32 v4, 0, v5, vcc_lo
.LBB15_1181:
	s_branch .LBB15_1186
.LBB15_1182:
	s_mov_b32 s1, -1
                                        ; implicit-def: $vgpr4
	s_branch .LBB15_1186
.LBB15_1183:
	v_cmp_eq_u16_e32 vcc_lo, 29, v12
	s_cbranch_vccz .LBB15_1185
; %bb.1184:
	global_load_b64 v[4:5], v[10:11], off
	s_mov_b32 s1, 0
	s_mov_b32 s3, -1
	s_branch .LBB15_1186
.LBB15_1185:
	s_mov_b32 s1, -1
                                        ; implicit-def: $vgpr4
.LBB15_1186:
	s_branch .LBB15_1202
.LBB15_1187:
	v_cmp_gt_i16_e32 vcc_lo, 27, v12
	s_cbranch_vccnz .LBB15_1190
; %bb.1188:
	v_cmp_lt_i16_e32 vcc_lo, 27, v12
	s_cbranch_vccz .LBB15_1191
; %bb.1189:
	global_load_b32 v4, v[10:11], off
	s_mov_b32 s3, 0
	s_branch .LBB15_1192
.LBB15_1190:
	s_mov_b32 s3, -1
                                        ; implicit-def: $vgpr4
	s_branch .LBB15_1195
.LBB15_1191:
	s_mov_b32 s3, -1
                                        ; implicit-def: $vgpr4
.LBB15_1192:
	s_delay_alu instid0(SALU_CYCLE_1)
	s_and_not1_b32 vcc_lo, exec_lo, s3
	s_cbranch_vccnz .LBB15_1194
; %bb.1193:
	global_load_u16 v4, v[10:11], off
.LBB15_1194:
	s_mov_b32 s3, 0
.LBB15_1195:
	s_delay_alu instid0(SALU_CYCLE_1)
	s_and_not1_b32 vcc_lo, exec_lo, s3
	s_cbranch_vccnz .LBB15_1201
; %bb.1196:
	global_load_u8 v5, v[10:11], off
	s_mov_b32 s10, 0
	s_mov_b32 s3, exec_lo
                                        ; implicit-def: $sgpr11
	s_waitcnt vmcnt(0)
	v_cmpx_lt_i16_e32 0x7f, v5
	s_xor_b32 s3, exec_lo, s3
	s_cbranch_execz .LBB15_1212
; %bb.1197:
	v_cmp_ne_u16_e32 vcc_lo, 0x80, v5
	s_mov_b32 s11, 0
	s_and_b32 s10, vcc_lo, exec_lo
	s_or_saveexec_b32 s3, s3
	v_mov_b32_e32 v4, s11
	s_xor_b32 exec_lo, exec_lo, s3
	s_cbranch_execnz .LBB15_1213
.LBB15_1198:
	s_or_b32 exec_lo, exec_lo, s3
	s_and_saveexec_b32 s3, s10
	s_cbranch_execz .LBB15_1200
.LBB15_1199:
	v_and_b32_e32 v4, 0xffff, v5
	s_delay_alu instid0(VALU_DEP_1) | instskip(NEXT) | instid1(VALU_DEP_1)
	v_and_b32_e32 v8, 7, v4
	v_clz_i32_u32_e32 v13, v8
	s_delay_alu instid0(VALU_DEP_1) | instskip(NEXT) | instid1(VALU_DEP_1)
	v_min_u32_e32 v13, 32, v13
	v_subrev_nc_u32_e32 v14, 28, v13
	v_sub_nc_u32_e32 v13, 29, v13
	s_delay_alu instid0(VALU_DEP_2) | instskip(SKIP_1) | instid1(VALU_DEP_2)
	v_lshlrev_b32_e32 v14, v14, v4
	v_bfe_u32 v4, v4, 3, 4
	v_and_b32_e32 v14, 7, v14
	s_delay_alu instid0(VALU_DEP_2) | instskip(NEXT) | instid1(VALU_DEP_2)
	v_cmp_eq_u32_e32 vcc_lo, 0, v4
	v_dual_cndmask_b32 v8, v8, v14 :: v_dual_lshlrev_b32 v5, 24, v5
	v_cndmask_b32_e32 v4, v4, v13, vcc_lo
	s_delay_alu instid0(VALU_DEP_2) | instskip(NEXT) | instid1(VALU_DEP_3)
	v_and_b32_e32 v5, 0x80000000, v5
	v_lshlrev_b32_e32 v8, 20, v8
	s_delay_alu instid0(VALU_DEP_3) | instskip(NEXT) | instid1(VALU_DEP_1)
	v_lshl_add_u32 v4, v4, 23, 0x3b800000
	v_or3_b32 v4, v5, v4, v8
	s_delay_alu instid0(VALU_DEP_1) | instskip(NEXT) | instid1(VALU_DEP_1)
	v_trunc_f32_e32 v4, v4
	v_mul_f32_e64 v5, 0x2f800000, |v4|
	s_delay_alu instid0(VALU_DEP_1) | instskip(NEXT) | instid1(VALU_DEP_1)
	v_floor_f32_e32 v5, v5
	v_fma_f32 v5, 0xcf800000, v5, |v4|
	v_ashrrev_i32_e32 v4, 31, v4
	s_delay_alu instid0(VALU_DEP_2) | instskip(NEXT) | instid1(VALU_DEP_1)
	v_cvt_u32_f32_e32 v5, v5
	v_xor_b32_e32 v5, v5, v4
	s_delay_alu instid0(VALU_DEP_1)
	v_sub_nc_u32_e32 v4, v5, v4
.LBB15_1200:
	s_or_b32 exec_lo, exec_lo, s3
.LBB15_1201:
	s_mov_b32 s3, -1
.LBB15_1202:
	s_branch .LBB15_1232
.LBB15_1203:
	v_cmp_lt_i16_e32 vcc_lo, 22, v12
	s_cbranch_vccz .LBB15_1211
; %bb.1204:
	v_cmp_gt_i16_e32 vcc_lo, 24, v12
	s_cbranch_vccnz .LBB15_1214
; %bb.1205:
	v_cmp_lt_i16_e32 vcc_lo, 24, v12
	s_cbranch_vccz .LBB15_1215
; %bb.1206:
	global_load_u8 v5, v[10:11], off
	s_mov_b32 s3, 0
	s_mov_b32 s2, exec_lo
                                        ; implicit-def: $sgpr10
	s_waitcnt vmcnt(0)
	v_cmpx_lt_i16_e32 0x7f, v5
	s_xor_b32 s2, exec_lo, s2
	s_cbranch_execz .LBB15_1226
; %bb.1207:
	v_cmp_ne_u16_e32 vcc_lo, 0x80, v5
	s_mov_b32 s10, 0
	s_and_b32 s3, vcc_lo, exec_lo
	s_or_saveexec_b32 s2, s2
	v_mov_b32_e32 v4, s10
	s_xor_b32 exec_lo, exec_lo, s2
	s_cbranch_execnz .LBB15_1227
.LBB15_1208:
	s_or_b32 exec_lo, exec_lo, s2
	s_and_saveexec_b32 s2, s3
	s_cbranch_execz .LBB15_1210
.LBB15_1209:
	v_and_b32_e32 v4, 0xffff, v5
	s_delay_alu instid0(VALU_DEP_1) | instskip(NEXT) | instid1(VALU_DEP_1)
	v_and_b32_e32 v8, 3, v4
	v_clz_i32_u32_e32 v13, v8
	s_delay_alu instid0(VALU_DEP_1) | instskip(NEXT) | instid1(VALU_DEP_1)
	v_min_u32_e32 v13, 32, v13
	v_subrev_nc_u32_e32 v14, 29, v13
	v_sub_nc_u32_e32 v13, 30, v13
	s_delay_alu instid0(VALU_DEP_2) | instskip(SKIP_1) | instid1(VALU_DEP_2)
	v_lshlrev_b32_e32 v14, v14, v4
	v_bfe_u32 v4, v4, 2, 5
	v_and_b32_e32 v14, 3, v14
	s_delay_alu instid0(VALU_DEP_2) | instskip(NEXT) | instid1(VALU_DEP_2)
	v_cmp_eq_u32_e32 vcc_lo, 0, v4
	v_dual_cndmask_b32 v8, v8, v14 :: v_dual_lshlrev_b32 v5, 24, v5
	v_cndmask_b32_e32 v4, v4, v13, vcc_lo
	s_delay_alu instid0(VALU_DEP_2) | instskip(NEXT) | instid1(VALU_DEP_3)
	v_and_b32_e32 v5, 0x80000000, v5
	v_lshlrev_b32_e32 v8, 21, v8
	s_delay_alu instid0(VALU_DEP_3) | instskip(NEXT) | instid1(VALU_DEP_1)
	v_lshl_add_u32 v4, v4, 23, 0x37800000
	v_or3_b32 v4, v5, v4, v8
	s_delay_alu instid0(VALU_DEP_1) | instskip(NEXT) | instid1(VALU_DEP_1)
	v_trunc_f32_e32 v4, v4
	v_mul_f32_e64 v5, 0x2f800000, |v4|
	s_delay_alu instid0(VALU_DEP_1) | instskip(NEXT) | instid1(VALU_DEP_1)
	v_floor_f32_e32 v5, v5
	v_fma_f32 v5, 0xcf800000, v5, |v4|
	v_ashrrev_i32_e32 v4, 31, v4
	s_delay_alu instid0(VALU_DEP_2) | instskip(NEXT) | instid1(VALU_DEP_1)
	v_cvt_u32_f32_e32 v5, v5
	v_xor_b32_e32 v5, v5, v4
	s_delay_alu instid0(VALU_DEP_1)
	v_sub_nc_u32_e32 v4, v5, v4
.LBB15_1210:
	s_or_b32 exec_lo, exec_lo, s2
	s_mov_b32 s2, 0
	s_branch .LBB15_1216
.LBB15_1211:
                                        ; implicit-def: $vgpr4
	s_mov_b32 s2, 0
	s_branch .LBB15_1222
.LBB15_1212:
	s_or_saveexec_b32 s3, s3
	v_mov_b32_e32 v4, s11
	s_xor_b32 exec_lo, exec_lo, s3
	s_cbranch_execz .LBB15_1198
.LBB15_1213:
	v_cmp_ne_u16_e32 vcc_lo, 0, v5
	v_mov_b32_e32 v4, 0
	s_and_not1_b32 s10, s10, exec_lo
	s_and_b32 s11, vcc_lo, exec_lo
	s_delay_alu instid0(SALU_CYCLE_1)
	s_or_b32 s10, s10, s11
	s_or_b32 exec_lo, exec_lo, s3
	s_and_saveexec_b32 s3, s10
	s_cbranch_execnz .LBB15_1199
	s_branch .LBB15_1200
.LBB15_1214:
	s_mov_b32 s2, -1
                                        ; implicit-def: $vgpr4
	s_branch .LBB15_1219
.LBB15_1215:
	s_mov_b32 s2, -1
                                        ; implicit-def: $vgpr4
.LBB15_1216:
	s_delay_alu instid0(SALU_CYCLE_1)
	s_and_b32 vcc_lo, exec_lo, s2
	s_cbranch_vccz .LBB15_1218
; %bb.1217:
	global_load_u8 v4, v[10:11], off
	s_waitcnt vmcnt(0)
	v_lshlrev_b32_e32 v4, 24, v4
	s_delay_alu instid0(VALU_DEP_1) | instskip(NEXT) | instid1(VALU_DEP_1)
	v_and_b32_e32 v5, 0x7f000000, v4
	v_clz_i32_u32_e32 v8, v5
	v_cmp_ne_u32_e32 vcc_lo, 0, v5
	v_add_nc_u32_e32 v14, 0x1000000, v5
	s_delay_alu instid0(VALU_DEP_3) | instskip(NEXT) | instid1(VALU_DEP_1)
	v_min_u32_e32 v8, 32, v8
	v_sub_nc_u32_e64 v8, v8, 4 clamp
	s_delay_alu instid0(VALU_DEP_1) | instskip(SKIP_1) | instid1(VALU_DEP_2)
	v_lshlrev_b32_e32 v13, v8, v5
	v_lshlrev_b32_e32 v8, 23, v8
	v_lshrrev_b32_e32 v13, 4, v13
	s_delay_alu instid0(VALU_DEP_1) | instskip(SKIP_1) | instid1(VALU_DEP_2)
	v_sub_nc_u32_e32 v8, v13, v8
	v_ashrrev_i32_e32 v13, 8, v14
	v_add_nc_u32_e32 v8, 0x3c000000, v8
	s_delay_alu instid0(VALU_DEP_1) | instskip(NEXT) | instid1(VALU_DEP_1)
	v_and_or_b32 v8, 0x7f800000, v13, v8
	v_cndmask_b32_e32 v5, 0, v8, vcc_lo
	s_delay_alu instid0(VALU_DEP_1) | instskip(NEXT) | instid1(VALU_DEP_1)
	v_and_or_b32 v4, 0x80000000, v4, v5
	v_trunc_f32_e32 v4, v4
	s_delay_alu instid0(VALU_DEP_1) | instskip(NEXT) | instid1(VALU_DEP_1)
	v_mul_f32_e64 v5, 0x2f800000, |v4|
	v_floor_f32_e32 v5, v5
	s_delay_alu instid0(VALU_DEP_1) | instskip(SKIP_1) | instid1(VALU_DEP_2)
	v_fma_f32 v5, 0xcf800000, v5, |v4|
	v_ashrrev_i32_e32 v4, 31, v4
	v_cvt_u32_f32_e32 v5, v5
	s_delay_alu instid0(VALU_DEP_1) | instskip(NEXT) | instid1(VALU_DEP_1)
	v_xor_b32_e32 v5, v5, v4
	v_sub_nc_u32_e32 v4, v5, v4
.LBB15_1218:
	s_mov_b32 s2, 0
.LBB15_1219:
	s_delay_alu instid0(SALU_CYCLE_1)
	s_and_not1_b32 vcc_lo, exec_lo, s2
	s_cbranch_vccnz .LBB15_1221
; %bb.1220:
	global_load_u8 v4, v[10:11], off
	s_waitcnt vmcnt(0)
	v_lshlrev_b32_e32 v5, 25, v4
	v_lshlrev_b16 v4, 8, v4
	s_delay_alu instid0(VALU_DEP_2) | instskip(NEXT) | instid1(VALU_DEP_2)
	v_lshrrev_b32_e32 v8, 4, v5
	v_and_or_b32 v13, 0x7f00, v4, 0.5
	v_cmp_gt_u32_e32 vcc_lo, 0x8000000, v5
	v_bfe_i32 v4, v4, 0, 16
	s_delay_alu instid0(VALU_DEP_4) | instskip(NEXT) | instid1(VALU_DEP_1)
	v_or_b32_e32 v8, 0x70000000, v8
	v_dual_add_f32 v13, -0.5, v13 :: v_dual_mul_f32 v8, 0x7800000, v8
	s_delay_alu instid0(VALU_DEP_1) | instskip(NEXT) | instid1(VALU_DEP_1)
	v_cndmask_b32_e32 v5, v8, v13, vcc_lo
	v_and_or_b32 v4, 0x80000000, v4, v5
	s_delay_alu instid0(VALU_DEP_1) | instskip(NEXT) | instid1(VALU_DEP_1)
	v_trunc_f32_e32 v4, v4
	v_mul_f32_e64 v5, 0x2f800000, |v4|
	s_delay_alu instid0(VALU_DEP_1) | instskip(NEXT) | instid1(VALU_DEP_1)
	v_floor_f32_e32 v5, v5
	v_fma_f32 v5, 0xcf800000, v5, |v4|
	v_ashrrev_i32_e32 v4, 31, v4
	s_delay_alu instid0(VALU_DEP_2) | instskip(NEXT) | instid1(VALU_DEP_1)
	v_cvt_u32_f32_e32 v5, v5
	v_xor_b32_e32 v5, v5, v4
	s_delay_alu instid0(VALU_DEP_1)
	v_sub_nc_u32_e32 v4, v5, v4
.LBB15_1221:
	s_mov_b32 s3, -1
	s_mov_b32 s2, 0
	s_cbranch_execnz .LBB15_1232
.LBB15_1222:
	v_cmp_lt_i16_e32 vcc_lo, 14, v12
	s_cbranch_vccz .LBB15_1225
; %bb.1223:
	v_cmp_eq_u16_e32 vcc_lo, 15, v12
	s_cbranch_vccz .LBB15_1228
; %bb.1224:
	global_load_u16 v4, v[10:11], off
	s_mov_b32 s1, 0
	s_mov_b32 s3, -1
	s_waitcnt vmcnt(0)
	v_lshlrev_b32_e32 v4, 16, v4
	s_delay_alu instid0(VALU_DEP_1) | instskip(NEXT) | instid1(VALU_DEP_1)
	v_trunc_f32_e32 v4, v4
	v_mul_f32_e64 v5, 0x2f800000, |v4|
	s_delay_alu instid0(VALU_DEP_1) | instskip(NEXT) | instid1(VALU_DEP_1)
	v_floor_f32_e32 v5, v5
	v_fma_f32 v5, 0xcf800000, v5, |v4|
	v_ashrrev_i32_e32 v4, 31, v4
	s_delay_alu instid0(VALU_DEP_2) | instskip(NEXT) | instid1(VALU_DEP_1)
	v_cvt_u32_f32_e32 v5, v5
	v_xor_b32_e32 v5, v5, v4
	s_delay_alu instid0(VALU_DEP_1)
	v_sub_nc_u32_e32 v4, v5, v4
	s_branch .LBB15_1230
.LBB15_1225:
	s_mov_b32 s2, -1
	s_branch .LBB15_1229
.LBB15_1226:
	s_or_saveexec_b32 s2, s2
	v_mov_b32_e32 v4, s10
	s_xor_b32 exec_lo, exec_lo, s2
	s_cbranch_execz .LBB15_1208
.LBB15_1227:
	v_cmp_ne_u16_e32 vcc_lo, 0, v5
	v_mov_b32_e32 v4, 0
	s_and_not1_b32 s3, s3, exec_lo
	s_and_b32 s10, vcc_lo, exec_lo
	s_delay_alu instid0(SALU_CYCLE_1)
	s_or_b32 s3, s3, s10
	s_or_b32 exec_lo, exec_lo, s2
	s_and_saveexec_b32 s2, s3
	s_cbranch_execnz .LBB15_1209
	s_branch .LBB15_1210
.LBB15_1228:
	s_mov_b32 s1, -1
.LBB15_1229:
                                        ; implicit-def: $vgpr4
.LBB15_1230:
	s_and_b32 vcc_lo, exec_lo, s2
	s_mov_b32 s2, 0
	s_cbranch_vccz .LBB15_1232
; %bb.1231:
	v_cmp_ne_u16_e64 s1, 11, v12
	s_mov_b32 s2, -1
                                        ; implicit-def: $vgpr4
.LBB15_1232:
	s_delay_alu instid0(VALU_DEP_1)
	s_and_b32 vcc_lo, exec_lo, s1
	s_mov_b32 s1, s8
	s_cbranch_vccnz .LBB15_1256
; %bb.1233:
	s_and_not1_b32 vcc_lo, exec_lo, s2
	s_cbranch_vccnz .LBB15_1235
.LBB15_1234:
	global_load_u8 v4, v[10:11], off
	s_mov_b32 s3, -1
	s_waitcnt vmcnt(0)
	v_cmp_ne_u16_e32 vcc_lo, 0, v4
	v_cndmask_b32_e64 v4, 0, 1, vcc_lo
.LBB15_1235:
.LBB15_1236:
	s_and_not1_b32 vcc_lo, exec_lo, s3
	s_cbranch_vccnz .LBB15_1430
.LBB15_1237:
	v_cmp_gt_i16_e32 vcc_lo, 11, v12
	v_add_co_u32 v10, s2, s6, v7
	s_delay_alu instid0(VALU_DEP_1)
	v_add_co_ci_u32_e64 v11, null, s7, 0, s2
	s_mov_b32 s10, 0
	s_cbranch_vccnz .LBB15_1244
; %bb.1238:
	v_cmp_lt_i16_e32 vcc_lo, 25, v12
	s_mov_b32 s3, 0
	s_cbranch_vccz .LBB15_1250
; %bb.1239:
	v_cmp_lt_i16_e32 vcc_lo, 28, v12
	s_cbranch_vccz .LBB15_1252
; %bb.1240:
	v_cmp_lt_i16_e32 vcc_lo, 43, v12
	;; [unrolled: 3-line block ×3, first 2 shown]
	s_cbranch_vccz .LBB15_1260
; %bb.1242:
	v_cmp_eq_u16_e32 vcc_lo, 46, v12
	s_mov_b32 s11, 0
	s_cbranch_vccz .LBB15_1304
; %bb.1243:
	global_load_b32 v5, v[10:11], off
	s_mov_b32 s2, 0
	s_mov_b32 s10, -1
	s_waitcnt vmcnt(0)
	v_lshlrev_b32_e32 v5, 16, v5
	s_delay_alu instid0(VALU_DEP_1) | instskip(NEXT) | instid1(VALU_DEP_1)
	v_trunc_f32_e32 v5, v5
	v_mul_f32_e64 v7, 0x2f800000, |v5|
	s_delay_alu instid0(VALU_DEP_1) | instskip(NEXT) | instid1(VALU_DEP_1)
	v_floor_f32_e32 v7, v7
	v_fma_f32 v7, 0xcf800000, v7, |v5|
	v_ashrrev_i32_e32 v5, 31, v5
	s_delay_alu instid0(VALU_DEP_2) | instskip(NEXT) | instid1(VALU_DEP_1)
	v_cvt_u32_f32_e32 v7, v7
	v_xor_b32_e32 v7, v7, v5
	s_delay_alu instid0(VALU_DEP_1)
	v_sub_nc_u32_e32 v7, v7, v5
	s_branch .LBB15_1306
.LBB15_1244:
                                        ; implicit-def: $vgpr7
	s_cbranch_execz .LBB15_1367
; %bb.1245:
	v_cmp_gt_i16_e32 vcc_lo, 5, v12
	s_cbranch_vccnz .LBB15_1251
; %bb.1246:
	v_cmp_gt_i16_e32 vcc_lo, 8, v12
	s_cbranch_vccnz .LBB15_1253
	;; [unrolled: 3-line block ×3, first 2 shown]
; %bb.1248:
	v_cmp_lt_i16_e32 vcc_lo, 9, v12
	s_cbranch_vccz .LBB15_1261
; %bb.1249:
	global_load_b64 v[7:8], v[10:11], off
	s_mov_b32 s2, 0
	s_waitcnt vmcnt(0)
	v_trunc_f64_e32 v[7:8], v[7:8]
	s_delay_alu instid0(VALU_DEP_1) | instskip(NEXT) | instid1(VALU_DEP_1)
	v_ldexp_f64 v[13:14], v[7:8], 0xffffffe0
	v_floor_f64_e32 v[13:14], v[13:14]
	s_delay_alu instid0(VALU_DEP_1) | instskip(NEXT) | instid1(VALU_DEP_1)
	v_fma_f64 v[7:8], 0xc1f00000, v[13:14], v[7:8]
	v_cvt_u32_f64_e32 v7, v[7:8]
	s_branch .LBB15_1262
.LBB15_1250:
	s_mov_b32 s2, 0
                                        ; implicit-def: $vgpr7
	s_cbranch_execnz .LBB15_1333
	s_branch .LBB15_1363
.LBB15_1251:
                                        ; implicit-def: $vgpr7
	s_branch .LBB15_1280
.LBB15_1252:
	s_mov_b32 s11, -1
	s_mov_b32 s2, 0
                                        ; implicit-def: $vgpr7
	s_branch .LBB15_1316
.LBB15_1253:
	s_mov_b32 s2, -1
                                        ; implicit-def: $vgpr7
	s_branch .LBB15_1268
.LBB15_1254:
	s_mov_b32 s11, -1
	s_mov_b32 s2, 0
                                        ; implicit-def: $vgpr7
	s_branch .LBB15_1311
.LBB15_1255:
	s_mov_b32 s2, -1
                                        ; implicit-def: $vgpr7
	s_branch .LBB15_1265
.LBB15_1256:
	s_cbranch_execnz .LBB15_1300
; %bb.1257:
	s_or_b32 s1, s8, exec_lo
                                        ; implicit-def: $vgpr4
	s_cbranch_execz .LBB15_1234
	s_branch .LBB15_1235
.LBB15_1258:
	s_or_saveexec_b32 s7, s7
                                        ; implicit-def: $sgpr8
	s_delay_alu instid0(SALU_CYCLE_1)
	s_xor_b32 exec_lo, exec_lo, s7
	s_cbranch_execz .LBB15_971
.LBB15_1259:
	v_add_f32_e32 v2, 0x46000000, v5
	s_and_not1_b32 s5, s5, exec_lo
	s_mov_b32 s8, 0
	s_delay_alu instid0(VALU_DEP_1) | instskip(NEXT) | instid1(VALU_DEP_1)
	v_and_b32_e32 v2, 0xff, v2
	v_cmp_ne_u32_e32 vcc_lo, 0, v2
	s_and_b32 s9, vcc_lo, exec_lo
	s_delay_alu instid0(SALU_CYCLE_1)
	s_or_b32 s5, s5, s9
	s_or_b32 exec_lo, exec_lo, s7
	v_mov_b32_e32 v7, s8
	s_and_saveexec_b32 s7, s5
	s_cbranch_execnz .LBB15_972
	s_branch .LBB15_973
.LBB15_1260:
	s_mov_b32 s11, -1
	s_mov_b32 s2, 0
	s_branch .LBB15_1305
.LBB15_1261:
	s_mov_b32 s2, -1
                                        ; implicit-def: $vgpr7
.LBB15_1262:
	s_delay_alu instid0(SALU_CYCLE_1)
	s_and_not1_b32 vcc_lo, exec_lo, s2
	s_cbranch_vccnz .LBB15_1264
; %bb.1263:
	global_load_b32 v5, v[10:11], off
	s_waitcnt vmcnt(0)
	v_trunc_f32_e32 v5, v5
	s_delay_alu instid0(VALU_DEP_1) | instskip(NEXT) | instid1(VALU_DEP_1)
	v_mul_f32_e64 v7, 0x2f800000, |v5|
	v_floor_f32_e32 v7, v7
	s_delay_alu instid0(VALU_DEP_1) | instskip(SKIP_1) | instid1(VALU_DEP_2)
	v_fma_f32 v7, 0xcf800000, v7, |v5|
	v_ashrrev_i32_e32 v5, 31, v5
	v_cvt_u32_f32_e32 v7, v7
	s_delay_alu instid0(VALU_DEP_1) | instskip(NEXT) | instid1(VALU_DEP_1)
	v_xor_b32_e32 v7, v7, v5
	v_sub_nc_u32_e32 v7, v7, v5
.LBB15_1264:
	s_mov_b32 s2, 0
.LBB15_1265:
	s_delay_alu instid0(SALU_CYCLE_1)
	s_and_not1_b32 vcc_lo, exec_lo, s2
	s_cbranch_vccnz .LBB15_1267
; %bb.1266:
	global_load_b32 v5, v[10:11], off
	s_waitcnt vmcnt(0)
	v_cvt_f32_f16_e32 v5, v5
	s_delay_alu instid0(VALU_DEP_1)
	v_cvt_i32_f32_e32 v7, v5
.LBB15_1267:
	s_mov_b32 s2, 0
.LBB15_1268:
	s_delay_alu instid0(SALU_CYCLE_1)
	s_and_not1_b32 vcc_lo, exec_lo, s2
	s_cbranch_vccnz .LBB15_1279
; %bb.1269:
	v_cmp_gt_i16_e32 vcc_lo, 6, v12
	s_cbranch_vccnz .LBB15_1272
; %bb.1270:
	v_cmp_lt_i16_e32 vcc_lo, 6, v12
	s_cbranch_vccz .LBB15_1273
; %bb.1271:
	global_load_b64 v[7:8], v[10:11], off
	s_mov_b32 s2, 0
	s_waitcnt vmcnt(0)
	v_trunc_f64_e32 v[7:8], v[7:8]
	s_delay_alu instid0(VALU_DEP_1) | instskip(NEXT) | instid1(VALU_DEP_1)
	v_ldexp_f64 v[13:14], v[7:8], 0xffffffe0
	v_floor_f64_e32 v[13:14], v[13:14]
	s_delay_alu instid0(VALU_DEP_1) | instskip(NEXT) | instid1(VALU_DEP_1)
	v_fma_f64 v[7:8], 0xc1f00000, v[13:14], v[7:8]
	v_cvt_u32_f64_e32 v7, v[7:8]
	s_branch .LBB15_1274
.LBB15_1272:
	s_mov_b32 s2, -1
                                        ; implicit-def: $vgpr7
	s_branch .LBB15_1277
.LBB15_1273:
	s_mov_b32 s2, -1
                                        ; implicit-def: $vgpr7
.LBB15_1274:
	s_delay_alu instid0(SALU_CYCLE_1)
	s_and_not1_b32 vcc_lo, exec_lo, s2
	s_cbranch_vccnz .LBB15_1276
; %bb.1275:
	global_load_b32 v5, v[10:11], off
	s_waitcnt vmcnt(0)
	v_trunc_f32_e32 v5, v5
	s_delay_alu instid0(VALU_DEP_1) | instskip(NEXT) | instid1(VALU_DEP_1)
	v_mul_f32_e64 v7, 0x2f800000, |v5|
	v_floor_f32_e32 v7, v7
	s_delay_alu instid0(VALU_DEP_1) | instskip(SKIP_1) | instid1(VALU_DEP_2)
	v_fma_f32 v7, 0xcf800000, v7, |v5|
	v_ashrrev_i32_e32 v5, 31, v5
	v_cvt_u32_f32_e32 v7, v7
	s_delay_alu instid0(VALU_DEP_1) | instskip(NEXT) | instid1(VALU_DEP_1)
	v_xor_b32_e32 v7, v7, v5
	v_sub_nc_u32_e32 v7, v7, v5
.LBB15_1276:
	s_mov_b32 s2, 0
.LBB15_1277:
	s_delay_alu instid0(SALU_CYCLE_1)
	s_and_not1_b32 vcc_lo, exec_lo, s2
	s_cbranch_vccnz .LBB15_1279
; %bb.1278:
	global_load_u16 v5, v[10:11], off
	s_waitcnt vmcnt(0)
	v_cvt_f32_f16_e32 v5, v5
	s_delay_alu instid0(VALU_DEP_1)
	v_cvt_i32_f32_e32 v7, v5
.LBB15_1279:
	s_cbranch_execnz .LBB15_1299
.LBB15_1280:
	v_cmp_gt_i16_e32 vcc_lo, 2, v12
	s_cbranch_vccnz .LBB15_1284
; %bb.1281:
	v_cmp_gt_i16_e32 vcc_lo, 3, v12
	s_cbranch_vccnz .LBB15_1285
; %bb.1282:
	v_cmp_lt_i16_e32 vcc_lo, 3, v12
	s_cbranch_vccz .LBB15_1286
; %bb.1283:
	global_load_b64 v[7:8], v[10:11], off
	s_mov_b32 s2, 0
	s_branch .LBB15_1287
.LBB15_1284:
	s_mov_b32 s2, -1
                                        ; implicit-def: $vgpr7
	s_branch .LBB15_1293
.LBB15_1285:
	s_mov_b32 s2, -1
                                        ; implicit-def: $vgpr7
	s_branch .LBB15_1290
.LBB15_1286:
	s_mov_b32 s2, -1
                                        ; implicit-def: $vgpr7
.LBB15_1287:
	s_delay_alu instid0(SALU_CYCLE_1)
	s_and_not1_b32 vcc_lo, exec_lo, s2
	s_cbranch_vccnz .LBB15_1289
; %bb.1288:
	global_load_b32 v7, v[10:11], off
.LBB15_1289:
	s_mov_b32 s2, 0
.LBB15_1290:
	s_delay_alu instid0(SALU_CYCLE_1)
	s_and_not1_b32 vcc_lo, exec_lo, s2
	s_cbranch_vccnz .LBB15_1292
; %bb.1291:
	global_load_u16 v7, v[10:11], off
.LBB15_1292:
	s_mov_b32 s2, 0
.LBB15_1293:
	s_delay_alu instid0(SALU_CYCLE_1)
	s_and_not1_b32 vcc_lo, exec_lo, s2
	s_cbranch_vccnz .LBB15_1299
; %bb.1294:
	v_cmp_lt_i16_e32 vcc_lo, 0, v12
	s_mov_b32 s2, 0
	s_cbranch_vccz .LBB15_1296
; %bb.1295:
	global_load_u8 v7, v[10:11], off
	s_branch .LBB15_1297
.LBB15_1296:
	s_mov_b32 s2, -1
                                        ; implicit-def: $vgpr7
.LBB15_1297:
	s_delay_alu instid0(SALU_CYCLE_1)
	s_and_not1_b32 vcc_lo, exec_lo, s2
	s_cbranch_vccnz .LBB15_1299
; %bb.1298:
	global_load_u8 v7, v[10:11], off
.LBB15_1299:
	s_branch .LBB15_1368
.LBB15_1300:
	s_trap 2
	s_sendmsg_rtn_b32 s0, sendmsg(MSG_RTN_GET_DOORBELL)
	s_mov_b32 ttmp2, m0
	s_waitcnt lgkmcnt(0)
	s_and_b32 s0, s0, 0x3ff
	s_delay_alu instid0(SALU_CYCLE_1) | instskip(NEXT) | instid1(SALU_CYCLE_1)
	s_bitset1_b32 s0, 10
	s_mov_b32 m0, s0
	s_sendmsg sendmsg(MSG_INTERRUPT)
	s_mov_b32 m0, ttmp2
.LBB15_1301:                            ; =>This Inner Loop Header: Depth=1
	s_sethalt 5
	s_branch .LBB15_1301
.LBB15_1302:
	s_or_saveexec_b32 s8, s8
                                        ; implicit-def: $sgpr9
	s_delay_alu instid0(SALU_CYCLE_1)
	s_xor_b32 exec_lo, exec_lo, s8
	s_cbranch_execz .LBB15_983
.LBB15_1303:
	v_add_f32_e32 v2, 0x42800000, v5
	s_and_not1_b32 s5, s5, exec_lo
	s_mov_b32 s9, 0
	s_delay_alu instid0(VALU_DEP_1) | instskip(NEXT) | instid1(VALU_DEP_1)
	v_and_b32_e32 v2, 0xff, v2
	v_cmp_ne_u32_e32 vcc_lo, 0, v2
	s_and_b32 s10, vcc_lo, exec_lo
	s_delay_alu instid0(SALU_CYCLE_1)
	s_or_b32 s5, s5, s10
	s_or_b32 exec_lo, exec_lo, s8
	v_mov_b32_e32 v7, s9
	s_and_saveexec_b32 s8, s5
	s_cbranch_execnz .LBB15_984
	s_branch .LBB15_985
.LBB15_1304:
	s_mov_b32 s2, -1
.LBB15_1305:
                                        ; implicit-def: $vgpr7
.LBB15_1306:
	s_and_b32 vcc_lo, exec_lo, s11
	s_cbranch_vccz .LBB15_1310
; %bb.1307:
	v_cmp_eq_u16_e32 vcc_lo, 44, v12
	s_cbranch_vccz .LBB15_1309
; %bb.1308:
	global_load_u8 v5, v[10:11], off
	s_mov_b32 s2, 0
	s_mov_b32 s10, -1
	s_waitcnt vmcnt(0)
	v_lshlrev_b32_e32 v7, 23, v5
	v_cmp_ne_u32_e32 vcc_lo, 0, v5
	s_delay_alu instid0(VALU_DEP_2) | instskip(NEXT) | instid1(VALU_DEP_1)
	v_trunc_f32_e32 v7, v7
	v_mul_f32_e64 v8, 0x2f800000, |v7|
	s_delay_alu instid0(VALU_DEP_1) | instskip(NEXT) | instid1(VALU_DEP_1)
	v_floor_f32_e32 v8, v8
	v_fma_f32 v8, 0xcf800000, v8, |v7|
	v_ashrrev_i32_e32 v7, 31, v7
	s_delay_alu instid0(VALU_DEP_2) | instskip(NEXT) | instid1(VALU_DEP_1)
	v_cvt_u32_f32_e32 v8, v8
	v_xor_b32_e32 v8, v8, v7
	s_delay_alu instid0(VALU_DEP_1) | instskip(NEXT) | instid1(VALU_DEP_1)
	v_sub_nc_u32_e32 v7, v8, v7
	v_cndmask_b32_e32 v7, 0, v7, vcc_lo
	s_branch .LBB15_1310
.LBB15_1309:
	s_mov_b32 s2, -1
                                        ; implicit-def: $vgpr7
.LBB15_1310:
	s_mov_b32 s11, 0
.LBB15_1311:
	s_delay_alu instid0(SALU_CYCLE_1)
	s_and_b32 vcc_lo, exec_lo, s11
	s_cbranch_vccz .LBB15_1315
; %bb.1312:
	v_cmp_eq_u16_e32 vcc_lo, 29, v12
	s_cbranch_vccz .LBB15_1314
; %bb.1313:
	global_load_b64 v[7:8], v[10:11], off
	s_mov_b32 s2, 0
	s_mov_b32 s10, -1
	s_branch .LBB15_1315
.LBB15_1314:
	s_mov_b32 s2, -1
                                        ; implicit-def: $vgpr7
.LBB15_1315:
	s_mov_b32 s11, 0
.LBB15_1316:
	s_delay_alu instid0(SALU_CYCLE_1)
	s_and_b32 vcc_lo, exec_lo, s11
	s_cbranch_vccz .LBB15_1332
; %bb.1317:
	v_cmp_gt_i16_e32 vcc_lo, 27, v12
	s_cbranch_vccnz .LBB15_1320
; %bb.1318:
	v_cmp_lt_i16_e32 vcc_lo, 27, v12
	s_cbranch_vccz .LBB15_1321
; %bb.1319:
	global_load_b32 v7, v[10:11], off
	s_mov_b32 s10, 0
	s_branch .LBB15_1322
.LBB15_1320:
	s_mov_b32 s10, -1
                                        ; implicit-def: $vgpr7
	s_branch .LBB15_1325
.LBB15_1321:
	s_mov_b32 s10, -1
                                        ; implicit-def: $vgpr7
.LBB15_1322:
	s_delay_alu instid0(SALU_CYCLE_1)
	s_and_not1_b32 vcc_lo, exec_lo, s10
	s_cbranch_vccnz .LBB15_1324
; %bb.1323:
	global_load_u16 v7, v[10:11], off
.LBB15_1324:
	s_mov_b32 s10, 0
.LBB15_1325:
	s_delay_alu instid0(SALU_CYCLE_1)
	s_and_not1_b32 vcc_lo, exec_lo, s10
	s_cbranch_vccnz .LBB15_1331
; %bb.1326:
	global_load_u8 v5, v[10:11], off
	s_mov_b32 s11, 0
	s_mov_b32 s10, exec_lo
                                        ; implicit-def: $sgpr12
	s_waitcnt vmcnt(0)
	v_cmpx_lt_i16_e32 0x7f, v5
	s_xor_b32 s10, exec_lo, s10
	s_cbranch_execz .LBB15_1342
; %bb.1327:
	v_cmp_ne_u16_e32 vcc_lo, 0x80, v5
	s_mov_b32 s12, 0
	s_and_b32 s11, vcc_lo, exec_lo
	s_or_saveexec_b32 s10, s10
	v_mov_b32_e32 v7, s12
	s_xor_b32 exec_lo, exec_lo, s10
	s_cbranch_execnz .LBB15_1343
.LBB15_1328:
	s_or_b32 exec_lo, exec_lo, s10
	s_and_saveexec_b32 s10, s11
	s_cbranch_execz .LBB15_1330
.LBB15_1329:
	v_and_b32_e32 v7, 0xffff, v5
	v_lshlrev_b32_e32 v5, 24, v5
	s_delay_alu instid0(VALU_DEP_2) | instskip(NEXT) | instid1(VALU_DEP_2)
	v_and_b32_e32 v8, 7, v7
	v_and_b32_e32 v5, 0x80000000, v5
	s_delay_alu instid0(VALU_DEP_2) | instskip(NEXT) | instid1(VALU_DEP_1)
	v_clz_i32_u32_e32 v13, v8
	v_min_u32_e32 v13, 32, v13
	s_delay_alu instid0(VALU_DEP_1) | instskip(SKIP_1) | instid1(VALU_DEP_2)
	v_subrev_nc_u32_e32 v14, 28, v13
	v_sub_nc_u32_e32 v13, 29, v13
	v_lshlrev_b32_e32 v14, v14, v7
	v_bfe_u32 v7, v7, 3, 4
	s_delay_alu instid0(VALU_DEP_2) | instskip(NEXT) | instid1(VALU_DEP_2)
	v_and_b32_e32 v14, 7, v14
	v_cmp_eq_u32_e32 vcc_lo, 0, v7
	s_delay_alu instid0(VALU_DEP_2) | instskip(NEXT) | instid1(VALU_DEP_1)
	v_dual_cndmask_b32 v7, v7, v13 :: v_dual_cndmask_b32 v8, v8, v14
	v_lshl_add_u32 v7, v7, 23, 0x3b800000
	s_delay_alu instid0(VALU_DEP_2) | instskip(NEXT) | instid1(VALU_DEP_1)
	v_lshlrev_b32_e32 v8, 20, v8
	v_or3_b32 v5, v5, v7, v8
	s_delay_alu instid0(VALU_DEP_1) | instskip(NEXT) | instid1(VALU_DEP_1)
	v_trunc_f32_e32 v5, v5
	v_mul_f32_e64 v7, 0x2f800000, |v5|
	s_delay_alu instid0(VALU_DEP_1) | instskip(NEXT) | instid1(VALU_DEP_1)
	v_floor_f32_e32 v7, v7
	v_fma_f32 v7, 0xcf800000, v7, |v5|
	v_ashrrev_i32_e32 v5, 31, v5
	s_delay_alu instid0(VALU_DEP_2) | instskip(NEXT) | instid1(VALU_DEP_1)
	v_cvt_u32_f32_e32 v7, v7
	v_xor_b32_e32 v7, v7, v5
	s_delay_alu instid0(VALU_DEP_1)
	v_sub_nc_u32_e32 v7, v7, v5
.LBB15_1330:
	s_or_b32 exec_lo, exec_lo, s10
.LBB15_1331:
	s_mov_b32 s10, -1
.LBB15_1332:
	s_branch .LBB15_1363
.LBB15_1333:
	v_cmp_lt_i16_e32 vcc_lo, 22, v12
	s_cbranch_vccz .LBB15_1341
; %bb.1334:
	v_cmp_gt_i16_e32 vcc_lo, 24, v12
	s_cbranch_vccnz .LBB15_1344
; %bb.1335:
	v_cmp_lt_i16_e32 vcc_lo, 24, v12
	s_cbranch_vccz .LBB15_1345
; %bb.1336:
	global_load_u8 v5, v[10:11], off
	s_mov_b32 s10, 0
	s_mov_b32 s3, exec_lo
                                        ; implicit-def: $sgpr11
	s_waitcnt vmcnt(0)
	v_cmpx_lt_i16_e32 0x7f, v5
	s_xor_b32 s3, exec_lo, s3
	s_cbranch_execz .LBB15_1357
; %bb.1337:
	v_cmp_ne_u16_e32 vcc_lo, 0x80, v5
	s_mov_b32 s11, 0
	s_and_b32 s10, vcc_lo, exec_lo
	s_or_saveexec_b32 s3, s3
	v_mov_b32_e32 v7, s11
	s_xor_b32 exec_lo, exec_lo, s3
	s_cbranch_execnz .LBB15_1358
.LBB15_1338:
	s_or_b32 exec_lo, exec_lo, s3
	s_and_saveexec_b32 s3, s10
	s_cbranch_execz .LBB15_1340
.LBB15_1339:
	v_and_b32_e32 v7, 0xffff, v5
	v_lshlrev_b32_e32 v5, 24, v5
	s_delay_alu instid0(VALU_DEP_2) | instskip(NEXT) | instid1(VALU_DEP_2)
	v_and_b32_e32 v8, 3, v7
	v_and_b32_e32 v5, 0x80000000, v5
	s_delay_alu instid0(VALU_DEP_2) | instskip(NEXT) | instid1(VALU_DEP_1)
	v_clz_i32_u32_e32 v13, v8
	v_min_u32_e32 v13, 32, v13
	s_delay_alu instid0(VALU_DEP_1) | instskip(SKIP_1) | instid1(VALU_DEP_2)
	v_subrev_nc_u32_e32 v14, 29, v13
	v_sub_nc_u32_e32 v13, 30, v13
	v_lshlrev_b32_e32 v14, v14, v7
	v_bfe_u32 v7, v7, 2, 5
	s_delay_alu instid0(VALU_DEP_2) | instskip(NEXT) | instid1(VALU_DEP_2)
	v_and_b32_e32 v14, 3, v14
	v_cmp_eq_u32_e32 vcc_lo, 0, v7
	s_delay_alu instid0(VALU_DEP_2) | instskip(NEXT) | instid1(VALU_DEP_1)
	v_dual_cndmask_b32 v7, v7, v13 :: v_dual_cndmask_b32 v8, v8, v14
	v_lshl_add_u32 v7, v7, 23, 0x37800000
	s_delay_alu instid0(VALU_DEP_2) | instskip(NEXT) | instid1(VALU_DEP_1)
	v_lshlrev_b32_e32 v8, 21, v8
	v_or3_b32 v5, v5, v7, v8
	s_delay_alu instid0(VALU_DEP_1) | instskip(NEXT) | instid1(VALU_DEP_1)
	v_trunc_f32_e32 v5, v5
	v_mul_f32_e64 v7, 0x2f800000, |v5|
	s_delay_alu instid0(VALU_DEP_1) | instskip(NEXT) | instid1(VALU_DEP_1)
	v_floor_f32_e32 v7, v7
	v_fma_f32 v7, 0xcf800000, v7, |v5|
	v_ashrrev_i32_e32 v5, 31, v5
	s_delay_alu instid0(VALU_DEP_2) | instskip(NEXT) | instid1(VALU_DEP_1)
	v_cvt_u32_f32_e32 v7, v7
	v_xor_b32_e32 v7, v7, v5
	s_delay_alu instid0(VALU_DEP_1)
	v_sub_nc_u32_e32 v7, v7, v5
.LBB15_1340:
	s_or_b32 exec_lo, exec_lo, s3
	s_mov_b32 s3, 0
	s_branch .LBB15_1346
.LBB15_1341:
	s_mov_b32 s3, -1
                                        ; implicit-def: $vgpr7
	s_branch .LBB15_1352
.LBB15_1342:
	s_or_saveexec_b32 s10, s10
	v_mov_b32_e32 v7, s12
	s_xor_b32 exec_lo, exec_lo, s10
	s_cbranch_execz .LBB15_1328
.LBB15_1343:
	v_cmp_ne_u16_e32 vcc_lo, 0, v5
	v_mov_b32_e32 v7, 0
	s_and_not1_b32 s11, s11, exec_lo
	s_and_b32 s12, vcc_lo, exec_lo
	s_delay_alu instid0(SALU_CYCLE_1)
	s_or_b32 s11, s11, s12
	s_or_b32 exec_lo, exec_lo, s10
	s_and_saveexec_b32 s10, s11
	s_cbranch_execnz .LBB15_1329
	s_branch .LBB15_1330
.LBB15_1344:
	s_mov_b32 s3, -1
                                        ; implicit-def: $vgpr7
	s_branch .LBB15_1349
.LBB15_1345:
	s_mov_b32 s3, -1
                                        ; implicit-def: $vgpr7
.LBB15_1346:
	s_delay_alu instid0(SALU_CYCLE_1)
	s_and_b32 vcc_lo, exec_lo, s3
	s_cbranch_vccz .LBB15_1348
; %bb.1347:
	global_load_u8 v5, v[10:11], off
	s_waitcnt vmcnt(0)
	v_lshlrev_b32_e32 v5, 24, v5
	s_delay_alu instid0(VALU_DEP_1) | instskip(NEXT) | instid1(VALU_DEP_1)
	v_and_b32_e32 v7, 0x7f000000, v5
	v_clz_i32_u32_e32 v8, v7
	v_cmp_ne_u32_e32 vcc_lo, 0, v7
	v_add_nc_u32_e32 v14, 0x1000000, v7
	s_delay_alu instid0(VALU_DEP_3) | instskip(NEXT) | instid1(VALU_DEP_1)
	v_min_u32_e32 v8, 32, v8
	v_sub_nc_u32_e64 v8, v8, 4 clamp
	s_delay_alu instid0(VALU_DEP_1) | instskip(SKIP_1) | instid1(VALU_DEP_2)
	v_lshlrev_b32_e32 v13, v8, v7
	v_lshlrev_b32_e32 v8, 23, v8
	v_lshrrev_b32_e32 v13, 4, v13
	s_delay_alu instid0(VALU_DEP_1) | instskip(SKIP_1) | instid1(VALU_DEP_2)
	v_sub_nc_u32_e32 v8, v13, v8
	v_ashrrev_i32_e32 v13, 8, v14
	v_add_nc_u32_e32 v8, 0x3c000000, v8
	s_delay_alu instid0(VALU_DEP_1) | instskip(NEXT) | instid1(VALU_DEP_1)
	v_and_or_b32 v8, 0x7f800000, v13, v8
	v_cndmask_b32_e32 v7, 0, v8, vcc_lo
	s_delay_alu instid0(VALU_DEP_1) | instskip(NEXT) | instid1(VALU_DEP_1)
	v_and_or_b32 v5, 0x80000000, v5, v7
	v_trunc_f32_e32 v5, v5
	s_delay_alu instid0(VALU_DEP_1) | instskip(NEXT) | instid1(VALU_DEP_1)
	v_mul_f32_e64 v7, 0x2f800000, |v5|
	v_floor_f32_e32 v7, v7
	s_delay_alu instid0(VALU_DEP_1) | instskip(SKIP_1) | instid1(VALU_DEP_2)
	v_fma_f32 v7, 0xcf800000, v7, |v5|
	v_ashrrev_i32_e32 v5, 31, v5
	v_cvt_u32_f32_e32 v7, v7
	s_delay_alu instid0(VALU_DEP_1) | instskip(NEXT) | instid1(VALU_DEP_1)
	v_xor_b32_e32 v7, v7, v5
	v_sub_nc_u32_e32 v7, v7, v5
.LBB15_1348:
	s_mov_b32 s3, 0
.LBB15_1349:
	s_delay_alu instid0(SALU_CYCLE_1)
	s_and_not1_b32 vcc_lo, exec_lo, s3
	s_cbranch_vccnz .LBB15_1351
; %bb.1350:
	global_load_u8 v5, v[10:11], off
	s_waitcnt vmcnt(0)
	v_lshlrev_b32_e32 v7, 25, v5
	v_lshlrev_b16 v5, 8, v5
	s_delay_alu instid0(VALU_DEP_2) | instskip(NEXT) | instid1(VALU_DEP_2)
	v_lshrrev_b32_e32 v8, 4, v7
	v_and_or_b32 v13, 0x7f00, v5, 0.5
	v_bfe_i32 v5, v5, 0, 16
	s_delay_alu instid0(VALU_DEP_3) | instskip(NEXT) | instid1(VALU_DEP_1)
	v_or_b32_e32 v8, 0x70000000, v8
	v_dual_add_f32 v13, -0.5, v13 :: v_dual_mul_f32 v8, 0x7800000, v8
	v_cmp_gt_u32_e32 vcc_lo, 0x8000000, v7
	s_delay_alu instid0(VALU_DEP_2) | instskip(NEXT) | instid1(VALU_DEP_1)
	v_cndmask_b32_e32 v7, v8, v13, vcc_lo
	v_and_or_b32 v5, 0x80000000, v5, v7
	s_delay_alu instid0(VALU_DEP_1) | instskip(NEXT) | instid1(VALU_DEP_1)
	v_trunc_f32_e32 v5, v5
	v_mul_f32_e64 v7, 0x2f800000, |v5|
	s_delay_alu instid0(VALU_DEP_1) | instskip(NEXT) | instid1(VALU_DEP_1)
	v_floor_f32_e32 v7, v7
	v_fma_f32 v7, 0xcf800000, v7, |v5|
	v_ashrrev_i32_e32 v5, 31, v5
	s_delay_alu instid0(VALU_DEP_2) | instskip(NEXT) | instid1(VALU_DEP_1)
	v_cvt_u32_f32_e32 v7, v7
	v_xor_b32_e32 v7, v7, v5
	s_delay_alu instid0(VALU_DEP_1)
	v_sub_nc_u32_e32 v7, v7, v5
.LBB15_1351:
	s_mov_b32 s3, 0
	s_mov_b32 s10, -1
.LBB15_1352:
	s_and_not1_b32 vcc_lo, exec_lo, s3
	s_mov_b32 s3, 0
	s_cbranch_vccnz .LBB15_1363
; %bb.1353:
	v_cmp_lt_i16_e32 vcc_lo, 14, v12
	s_cbranch_vccz .LBB15_1356
; %bb.1354:
	v_cmp_eq_u16_e32 vcc_lo, 15, v12
	s_cbranch_vccz .LBB15_1359
; %bb.1355:
	global_load_u16 v5, v[10:11], off
	s_mov_b32 s2, 0
	s_mov_b32 s10, -1
	s_waitcnt vmcnt(0)
	v_lshlrev_b32_e32 v5, 16, v5
	s_delay_alu instid0(VALU_DEP_1) | instskip(NEXT) | instid1(VALU_DEP_1)
	v_trunc_f32_e32 v5, v5
	v_mul_f32_e64 v7, 0x2f800000, |v5|
	s_delay_alu instid0(VALU_DEP_1) | instskip(NEXT) | instid1(VALU_DEP_1)
	v_floor_f32_e32 v7, v7
	v_fma_f32 v7, 0xcf800000, v7, |v5|
	v_ashrrev_i32_e32 v5, 31, v5
	s_delay_alu instid0(VALU_DEP_2) | instskip(NEXT) | instid1(VALU_DEP_1)
	v_cvt_u32_f32_e32 v7, v7
	v_xor_b32_e32 v7, v7, v5
	s_delay_alu instid0(VALU_DEP_1)
	v_sub_nc_u32_e32 v7, v7, v5
	s_branch .LBB15_1361
.LBB15_1356:
	s_mov_b32 s3, -1
	s_branch .LBB15_1360
.LBB15_1357:
	s_or_saveexec_b32 s3, s3
	v_mov_b32_e32 v7, s11
	s_xor_b32 exec_lo, exec_lo, s3
	s_cbranch_execz .LBB15_1338
.LBB15_1358:
	v_cmp_ne_u16_e32 vcc_lo, 0, v5
	v_mov_b32_e32 v7, 0
	s_and_not1_b32 s10, s10, exec_lo
	s_and_b32 s11, vcc_lo, exec_lo
	s_delay_alu instid0(SALU_CYCLE_1)
	s_or_b32 s10, s10, s11
	s_or_b32 exec_lo, exec_lo, s3
	s_and_saveexec_b32 s3, s10
	s_cbranch_execnz .LBB15_1339
	s_branch .LBB15_1340
.LBB15_1359:
	s_mov_b32 s2, -1
.LBB15_1360:
                                        ; implicit-def: $vgpr7
.LBB15_1361:
	s_and_b32 vcc_lo, exec_lo, s3
	s_mov_b32 s3, 0
	s_cbranch_vccz .LBB15_1363
; %bb.1362:
	v_cmp_ne_u16_e64 s2, 11, v12
	s_mov_b32 s3, -1
                                        ; implicit-def: $vgpr7
.LBB15_1363:
	s_delay_alu instid0(VALU_DEP_1)
	s_and_b32 vcc_lo, exec_lo, s2
	s_cbranch_vccnz .LBB15_1387
; %bb.1364:
	s_and_not1_b32 vcc_lo, exec_lo, s3
	s_cbranch_vccnz .LBB15_1366
.LBB15_1365:
	global_load_u8 v5, v[10:11], off
	s_mov_b32 s10, -1
	s_waitcnt vmcnt(0)
	v_cmp_ne_u16_e32 vcc_lo, 0, v5
	v_cndmask_b32_e64 v7, 0, 1, vcc_lo
.LBB15_1366:
.LBB15_1367:
	s_and_not1_b32 vcc_lo, exec_lo, s10
	s_cbranch_vccnz .LBB15_1430
.LBB15_1368:
	v_cmp_gt_i16_e32 vcc_lo, 11, v12
	v_add_co_u32 v10, s2, s6, v9
	s_delay_alu instid0(VALU_DEP_1)
	v_add_co_ci_u32_e64 v11, null, s7, 0, s2
	s_mov_b32 s10, 0
	s_cbranch_vccnz .LBB15_1375
; %bb.1369:
	v_cmp_lt_i16_e32 vcc_lo, 25, v12
	s_mov_b32 s3, 0
	s_cbranch_vccz .LBB15_1381
; %bb.1370:
	v_cmp_lt_i16_e32 vcc_lo, 28, v12
	s_cbranch_vccz .LBB15_1383
; %bb.1371:
	v_cmp_lt_i16_e32 vcc_lo, 43, v12
	s_cbranch_vccz .LBB15_1385
; %bb.1372:
	v_cmp_lt_i16_e32 vcc_lo, 45, v12
	s_cbranch_vccz .LBB15_1389
; %bb.1373:
	v_cmp_eq_u16_e32 vcc_lo, 46, v12
	s_mov_b32 s11, 0
	s_cbranch_vccz .LBB15_1477
; %bb.1374:
	global_load_b32 v5, v[10:11], off
	s_mov_b32 s2, 0
	s_mov_b32 s10, -1
	s_waitcnt vmcnt(0)
	v_lshlrev_b32_e32 v5, 16, v5
	s_delay_alu instid0(VALU_DEP_1) | instskip(NEXT) | instid1(VALU_DEP_1)
	v_trunc_f32_e32 v5, v5
	v_mul_f32_e64 v8, 0x2f800000, |v5|
	s_delay_alu instid0(VALU_DEP_1) | instskip(NEXT) | instid1(VALU_DEP_1)
	v_floor_f32_e32 v8, v8
	v_fma_f32 v8, 0xcf800000, v8, |v5|
	v_ashrrev_i32_e32 v5, 31, v5
	s_delay_alu instid0(VALU_DEP_2) | instskip(NEXT) | instid1(VALU_DEP_1)
	v_cvt_u32_f32_e32 v8, v8
	v_xor_b32_e32 v8, v8, v5
	s_delay_alu instid0(VALU_DEP_1)
	v_sub_nc_u32_e32 v8, v8, v5
	s_branch .LBB15_1479
.LBB15_1375:
                                        ; implicit-def: $vgpr8
	s_cbranch_execz .LBB15_1541
; %bb.1376:
	v_cmp_gt_i16_e32 vcc_lo, 5, v12
	s_cbranch_vccnz .LBB15_1382
; %bb.1377:
	v_cmp_gt_i16_e32 vcc_lo, 8, v12
	s_cbranch_vccnz .LBB15_1384
	;; [unrolled: 3-line block ×3, first 2 shown]
; %bb.1379:
	v_cmp_lt_i16_e32 vcc_lo, 9, v12
	s_cbranch_vccz .LBB15_1390
; %bb.1380:
	global_load_b64 v[8:9], v[10:11], off
	s_mov_b32 s2, 0
	s_waitcnt vmcnt(0)
	v_trunc_f64_e32 v[8:9], v[8:9]
	s_delay_alu instid0(VALU_DEP_1) | instskip(NEXT) | instid1(VALU_DEP_1)
	v_ldexp_f64 v[13:14], v[8:9], 0xffffffe0
	v_floor_f64_e32 v[13:14], v[13:14]
	s_delay_alu instid0(VALU_DEP_1) | instskip(NEXT) | instid1(VALU_DEP_1)
	v_fma_f64 v[8:9], 0xc1f00000, v[13:14], v[8:9]
	v_cvt_u32_f64_e32 v8, v[8:9]
	s_branch .LBB15_1391
.LBB15_1381:
	s_mov_b32 s11, -1
	s_mov_b32 s2, 0
                                        ; implicit-def: $vgpr8
	s_branch .LBB15_1506
.LBB15_1382:
	s_mov_b32 s2, -1
                                        ; implicit-def: $vgpr8
	s_branch .LBB15_1409
.LBB15_1383:
	s_mov_b32 s11, -1
	s_mov_b32 s2, 0
                                        ; implicit-def: $vgpr8
	s_branch .LBB15_1489
.LBB15_1384:
	s_mov_b32 s2, -1
                                        ; implicit-def: $vgpr8
	s_branch .LBB15_1397
.LBB15_1385:
	s_mov_b32 s11, -1
	s_mov_b32 s2, 0
                                        ; implicit-def: $vgpr8
	s_branch .LBB15_1484
.LBB15_1386:
	s_mov_b32 s2, -1
                                        ; implicit-def: $vgpr8
	s_branch .LBB15_1394
.LBB15_1387:
	s_cbranch_execnz .LBB15_1475
; %bb.1388:
	s_or_b32 s1, s1, exec_lo
                                        ; implicit-def: $vgpr7
	s_cbranch_execz .LBB15_1365
	s_branch .LBB15_1366
.LBB15_1389:
	s_mov_b32 s11, -1
	s_mov_b32 s2, 0
	s_branch .LBB15_1478
.LBB15_1390:
	s_mov_b32 s2, -1
                                        ; implicit-def: $vgpr8
.LBB15_1391:
	s_delay_alu instid0(SALU_CYCLE_1)
	s_and_not1_b32 vcc_lo, exec_lo, s2
	s_cbranch_vccnz .LBB15_1393
; %bb.1392:
	global_load_b32 v5, v[10:11], off
	s_waitcnt vmcnt(0)
	v_trunc_f32_e32 v5, v5
	s_delay_alu instid0(VALU_DEP_1) | instskip(NEXT) | instid1(VALU_DEP_1)
	v_mul_f32_e64 v8, 0x2f800000, |v5|
	v_floor_f32_e32 v8, v8
	s_delay_alu instid0(VALU_DEP_1) | instskip(SKIP_1) | instid1(VALU_DEP_2)
	v_fma_f32 v8, 0xcf800000, v8, |v5|
	v_ashrrev_i32_e32 v5, 31, v5
	v_cvt_u32_f32_e32 v8, v8
	s_delay_alu instid0(VALU_DEP_1) | instskip(NEXT) | instid1(VALU_DEP_1)
	v_xor_b32_e32 v8, v8, v5
	v_sub_nc_u32_e32 v8, v8, v5
.LBB15_1393:
	s_mov_b32 s2, 0
.LBB15_1394:
	s_delay_alu instid0(SALU_CYCLE_1)
	s_and_not1_b32 vcc_lo, exec_lo, s2
	s_cbranch_vccnz .LBB15_1396
; %bb.1395:
	global_load_b32 v5, v[10:11], off
	s_waitcnt vmcnt(0)
	v_cvt_f32_f16_e32 v5, v5
	s_delay_alu instid0(VALU_DEP_1)
	v_cvt_i32_f32_e32 v8, v5
.LBB15_1396:
	s_mov_b32 s2, 0
.LBB15_1397:
	s_delay_alu instid0(SALU_CYCLE_1)
	s_and_not1_b32 vcc_lo, exec_lo, s2
	s_cbranch_vccnz .LBB15_1408
; %bb.1398:
	v_cmp_gt_i16_e32 vcc_lo, 6, v12
	s_cbranch_vccnz .LBB15_1401
; %bb.1399:
	v_cmp_lt_i16_e32 vcc_lo, 6, v12
	s_cbranch_vccz .LBB15_1402
; %bb.1400:
	global_load_b64 v[8:9], v[10:11], off
	s_mov_b32 s2, 0
	s_waitcnt vmcnt(0)
	v_trunc_f64_e32 v[8:9], v[8:9]
	s_delay_alu instid0(VALU_DEP_1) | instskip(NEXT) | instid1(VALU_DEP_1)
	v_ldexp_f64 v[13:14], v[8:9], 0xffffffe0
	v_floor_f64_e32 v[13:14], v[13:14]
	s_delay_alu instid0(VALU_DEP_1) | instskip(NEXT) | instid1(VALU_DEP_1)
	v_fma_f64 v[8:9], 0xc1f00000, v[13:14], v[8:9]
	v_cvt_u32_f64_e32 v8, v[8:9]
	s_branch .LBB15_1403
.LBB15_1401:
	s_mov_b32 s2, -1
                                        ; implicit-def: $vgpr8
	s_branch .LBB15_1406
.LBB15_1402:
	s_mov_b32 s2, -1
                                        ; implicit-def: $vgpr8
.LBB15_1403:
	s_delay_alu instid0(SALU_CYCLE_1)
	s_and_not1_b32 vcc_lo, exec_lo, s2
	s_cbranch_vccnz .LBB15_1405
; %bb.1404:
	global_load_b32 v5, v[10:11], off
	s_waitcnt vmcnt(0)
	v_trunc_f32_e32 v5, v5
	s_delay_alu instid0(VALU_DEP_1) | instskip(NEXT) | instid1(VALU_DEP_1)
	v_mul_f32_e64 v8, 0x2f800000, |v5|
	v_floor_f32_e32 v8, v8
	s_delay_alu instid0(VALU_DEP_1) | instskip(SKIP_1) | instid1(VALU_DEP_2)
	v_fma_f32 v8, 0xcf800000, v8, |v5|
	v_ashrrev_i32_e32 v5, 31, v5
	v_cvt_u32_f32_e32 v8, v8
	s_delay_alu instid0(VALU_DEP_1) | instskip(NEXT) | instid1(VALU_DEP_1)
	v_xor_b32_e32 v8, v8, v5
	v_sub_nc_u32_e32 v8, v8, v5
.LBB15_1405:
	s_mov_b32 s2, 0
.LBB15_1406:
	s_delay_alu instid0(SALU_CYCLE_1)
	s_and_not1_b32 vcc_lo, exec_lo, s2
	s_cbranch_vccnz .LBB15_1408
; %bb.1407:
	global_load_u16 v5, v[10:11], off
	s_waitcnt vmcnt(0)
	v_cvt_f32_f16_e32 v5, v5
	s_delay_alu instid0(VALU_DEP_1)
	v_cvt_i32_f32_e32 v8, v5
.LBB15_1408:
	s_mov_b32 s2, 0
.LBB15_1409:
	s_delay_alu instid0(SALU_CYCLE_1)
	s_and_not1_b32 vcc_lo, exec_lo, s2
	s_cbranch_vccnz .LBB15_1429
; %bb.1410:
	v_cmp_gt_i16_e32 vcc_lo, 2, v12
	s_cbranch_vccnz .LBB15_1414
; %bb.1411:
	v_cmp_gt_i16_e32 vcc_lo, 3, v12
	s_cbranch_vccnz .LBB15_1415
; %bb.1412:
	v_cmp_lt_i16_e32 vcc_lo, 3, v12
	s_cbranch_vccz .LBB15_1416
; %bb.1413:
	global_load_b64 v[8:9], v[10:11], off
	s_mov_b32 s2, 0
	s_branch .LBB15_1417
.LBB15_1414:
	s_mov_b32 s2, -1
                                        ; implicit-def: $vgpr8
	s_branch .LBB15_1423
.LBB15_1415:
	s_mov_b32 s2, -1
                                        ; implicit-def: $vgpr8
	s_branch .LBB15_1420
.LBB15_1416:
	s_mov_b32 s2, -1
                                        ; implicit-def: $vgpr8
.LBB15_1417:
	s_delay_alu instid0(SALU_CYCLE_1)
	s_and_not1_b32 vcc_lo, exec_lo, s2
	s_cbranch_vccnz .LBB15_1419
; %bb.1418:
	global_load_b32 v8, v[10:11], off
.LBB15_1419:
	s_mov_b32 s2, 0
.LBB15_1420:
	s_delay_alu instid0(SALU_CYCLE_1)
	s_and_not1_b32 vcc_lo, exec_lo, s2
	s_cbranch_vccnz .LBB15_1422
; %bb.1421:
	global_load_u16 v8, v[10:11], off
.LBB15_1422:
	s_mov_b32 s2, 0
.LBB15_1423:
	s_delay_alu instid0(SALU_CYCLE_1)
	s_and_not1_b32 vcc_lo, exec_lo, s2
	s_cbranch_vccnz .LBB15_1429
; %bb.1424:
	v_cmp_lt_i16_e32 vcc_lo, 0, v12
	s_mov_b32 s2, 0
	s_cbranch_vccz .LBB15_1426
; %bb.1425:
	global_load_u8 v8, v[10:11], off
	s_branch .LBB15_1427
.LBB15_1426:
	s_mov_b32 s2, -1
                                        ; implicit-def: $vgpr8
.LBB15_1427:
	s_delay_alu instid0(SALU_CYCLE_1)
	s_and_not1_b32 vcc_lo, exec_lo, s2
	s_cbranch_vccnz .LBB15_1429
; %bb.1428:
	global_load_u8 v8, v[10:11], off
.LBB15_1429:
	s_branch .LBB15_1542
.LBB15_1430:
	s_mov_b32 s0, 0
	s_mov_b32 s2, 0
                                        ; implicit-def: $vgpr0_vgpr1
                                        ; implicit-def: $vgpr6
                                        ; implicit-def: $vgpr2
                                        ; implicit-def: $vgpr5
.LBB15_1431:
	s_and_b32 s3, s0, exec_lo
	s_and_not1_b32 s0, s8, exec_lo
	s_and_b32 s1, s1, exec_lo
	s_and_b32 s26, s2, exec_lo
	s_or_b32 s8, s0, s1
.LBB15_1432:
	s_or_b32 exec_lo, exec_lo, s9
	s_and_saveexec_b32 s0, s8
	s_cbranch_execz .LBB15_1435
; %bb.1433:
	; divergent unreachable
	s_or_b32 exec_lo, exec_lo, s0
	s_and_saveexec_b32 s0, s26
	s_delay_alu instid0(SALU_CYCLE_1)
	s_xor_b32 s0, exec_lo, s0
	s_cbranch_execnz .LBB15_1436
.LBB15_1434:
	s_or_b32 exec_lo, exec_lo, s0
	s_and_saveexec_b32 s0, s3
	s_cbranch_execnz .LBB15_1437
	s_branch .LBB15_1474
.LBB15_1435:
	s_or_b32 exec_lo, exec_lo, s0
	s_and_saveexec_b32 s0, s26
	s_delay_alu instid0(SALU_CYCLE_1)
	s_xor_b32 s0, exec_lo, s0
	s_cbranch_execz .LBB15_1434
.LBB15_1436:
	s_waitcnt vmcnt(0)
	s_delay_alu instid0(VALU_DEP_1) | instskip(NEXT) | instid1(VALU_DEP_1)
	v_and_b32_e32 v3, 0xff, v5
	v_cmp_ne_u16_e32 vcc_lo, 0xff, v3
	v_cndmask_b32_e64 v3, 0, 1, vcc_lo
	global_store_b8 v[0:1], v3, off
	s_or_b32 exec_lo, exec_lo, s0
	s_and_saveexec_b32 s0, s3
	s_cbranch_execz .LBB15_1474
.LBB15_1437:
	s_waitcnt vmcnt(0)
	v_cmp_gt_i16_e32 vcc_lo, 5, v6
	s_mov_b32 s0, -1
	s_cbranch_vccnz .LBB15_1458
; %bb.1438:
	v_cmp_gt_i16_e32 vcc_lo, 8, v6
	s_cbranch_vccnz .LBB15_1448
; %bb.1439:
	v_cmp_gt_i16_e32 vcc_lo, 9, v6
	s_cbranch_vccnz .LBB15_1445
; %bb.1440:
	v_cmp_lt_i16_e32 vcc_lo, 9, v6
	s_cbranch_vccz .LBB15_1442
; %bb.1441:
	v_mov_b32_e32 v9, 0
	v_and_b32_e32 v3, 0xff, v2
	s_mov_b32 s0, 0
	s_delay_alu instid0(VALU_DEP_1) | instskip(NEXT) | instid1(VALU_DEP_1)
	v_dual_mov_b32 v10, v9 :: v_dual_and_b32 v3, 0xffff, v3
	v_cvt_f64_u32_e32 v[7:8], v3
	global_store_b128 v[0:1], v[7:10], off
.LBB15_1442:
	s_and_not1_b32 vcc_lo, exec_lo, s0
	s_cbranch_vccnz .LBB15_1444
; %bb.1443:
	v_cvt_f32_ubyte0_e32 v3, v2
	v_mov_b32_e32 v4, 0
	global_store_b64 v[0:1], v[3:4], off
.LBB15_1444:
	s_mov_b32 s0, 0
.LBB15_1445:
	s_delay_alu instid0(SALU_CYCLE_1)
	s_and_not1_b32 vcc_lo, exec_lo, s0
	s_cbranch_vccnz .LBB15_1447
; %bb.1446:
	v_and_b32_e32 v3, 0xff, v2
	s_delay_alu instid0(VALU_DEP_1) | instskip(NEXT) | instid1(VALU_DEP_1)
	v_cvt_f16_u16_e32 v3, v3
	v_and_b32_e32 v3, 0xffff, v3
	global_store_b32 v[0:1], v3, off
.LBB15_1447:
	s_mov_b32 s0, 0
.LBB15_1448:
	s_delay_alu instid0(SALU_CYCLE_1)
	s_and_not1_b32 vcc_lo, exec_lo, s0
	s_cbranch_vccnz .LBB15_1457
; %bb.1449:
	v_cmp_gt_i16_e32 vcc_lo, 6, v6
	s_mov_b32 s0, -1
	s_cbranch_vccnz .LBB15_1455
; %bb.1450:
	v_cmp_lt_i16_e32 vcc_lo, 6, v6
	s_cbranch_vccz .LBB15_1452
; %bb.1451:
	v_and_b32_e32 v3, 0xff, v2
	s_mov_b32 s0, 0
	s_delay_alu instid0(VALU_DEP_1) | instskip(NEXT) | instid1(VALU_DEP_1)
	v_and_b32_e32 v3, 0xffff, v3
	v_cvt_f64_u32_e32 v[3:4], v3
	global_store_b64 v[0:1], v[3:4], off
.LBB15_1452:
	s_and_not1_b32 vcc_lo, exec_lo, s0
	s_cbranch_vccnz .LBB15_1454
; %bb.1453:
	v_cvt_f32_ubyte0_e32 v3, v2
	global_store_b32 v[0:1], v3, off
.LBB15_1454:
	s_mov_b32 s0, 0
.LBB15_1455:
	s_delay_alu instid0(SALU_CYCLE_1)
	s_and_not1_b32 vcc_lo, exec_lo, s0
	s_cbranch_vccnz .LBB15_1457
; %bb.1456:
	v_and_b32_e32 v3, 0xff, v2
	s_delay_alu instid0(VALU_DEP_1)
	v_cvt_f16_u16_e32 v3, v3
	global_store_b16 v[0:1], v3, off
.LBB15_1457:
	s_mov_b32 s0, 0
.LBB15_1458:
	s_delay_alu instid0(SALU_CYCLE_1)
	s_and_not1_b32 vcc_lo, exec_lo, s0
	s_cbranch_vccnz .LBB15_1474
; %bb.1459:
	v_cmp_gt_i16_e32 vcc_lo, 2, v6
	s_mov_b32 s0, -1
	s_cbranch_vccnz .LBB15_1469
; %bb.1460:
	v_cmp_gt_i16_e32 vcc_lo, 3, v6
	s_cbranch_vccnz .LBB15_1466
; %bb.1461:
	v_cmp_lt_i16_e32 vcc_lo, 3, v6
	s_cbranch_vccz .LBB15_1463
; %bb.1462:
	v_dual_mov_b32 v4, 0 :: v_dual_and_b32 v3, 0xff, v2
	s_mov_b32 s0, 0
	global_store_b64 v[0:1], v[3:4], off
.LBB15_1463:
	s_and_not1_b32 vcc_lo, exec_lo, s0
	s_cbranch_vccnz .LBB15_1465
; %bb.1464:
	v_and_b32_e32 v3, 0xff, v2
	global_store_b32 v[0:1], v3, off
.LBB15_1465:
	s_mov_b32 s0, 0
.LBB15_1466:
	s_delay_alu instid0(SALU_CYCLE_1)
	s_and_not1_b32 vcc_lo, exec_lo, s0
	s_cbranch_vccnz .LBB15_1468
; %bb.1467:
	v_and_b32_e32 v3, 0xff, v2
	global_store_b16 v[0:1], v3, off
.LBB15_1468:
	s_mov_b32 s0, 0
.LBB15_1469:
	s_delay_alu instid0(SALU_CYCLE_1)
	s_and_not1_b32 vcc_lo, exec_lo, s0
	s_cbranch_vccnz .LBB15_1474
; %bb.1470:
	v_cmp_lt_i16_e32 vcc_lo, 0, v6
	s_mov_b32 s0, -1
	s_cbranch_vccz .LBB15_1472
; %bb.1471:
	s_mov_b32 s0, 0
	global_store_b8 v[0:1], v2, off
.LBB15_1472:
	s_and_not1_b32 vcc_lo, exec_lo, s0
	s_cbranch_vccnz .LBB15_1474
; %bb.1473:
	global_store_b8 v[0:1], v2, off
	s_nop 0
	s_sendmsg sendmsg(MSG_DEALLOC_VGPRS)
	s_endpgm
.LBB15_1474:
	s_nop 0
	s_sendmsg sendmsg(MSG_DEALLOC_VGPRS)
	s_endpgm
.LBB15_1475:
	s_trap 2
	s_sendmsg_rtn_b32 s0, sendmsg(MSG_RTN_GET_DOORBELL)
	s_mov_b32 ttmp2, m0
	s_waitcnt lgkmcnt(0)
	s_and_b32 s0, s0, 0x3ff
	s_delay_alu instid0(SALU_CYCLE_1) | instskip(NEXT) | instid1(SALU_CYCLE_1)
	s_bitset1_b32 s0, 10
	s_mov_b32 m0, s0
	s_sendmsg sendmsg(MSG_INTERRUPT)
	s_mov_b32 m0, ttmp2
.LBB15_1476:                            ; =>This Inner Loop Header: Depth=1
	s_sethalt 5
	s_branch .LBB15_1476
.LBB15_1477:
	s_mov_b32 s2, -1
.LBB15_1478:
                                        ; implicit-def: $vgpr8
.LBB15_1479:
	s_and_b32 vcc_lo, exec_lo, s11
	s_cbranch_vccz .LBB15_1483
; %bb.1480:
	v_cmp_eq_u16_e32 vcc_lo, 44, v12
	s_cbranch_vccz .LBB15_1482
; %bb.1481:
	global_load_u8 v5, v[10:11], off
	s_mov_b32 s2, 0
	s_mov_b32 s10, -1
	s_waitcnt vmcnt(0)
	v_lshlrev_b32_e32 v8, 23, v5
	v_cmp_ne_u32_e32 vcc_lo, 0, v5
	s_delay_alu instid0(VALU_DEP_2) | instskip(NEXT) | instid1(VALU_DEP_1)
	v_trunc_f32_e32 v8, v8
	v_mul_f32_e64 v9, 0x2f800000, |v8|
	s_delay_alu instid0(VALU_DEP_1) | instskip(NEXT) | instid1(VALU_DEP_1)
	v_floor_f32_e32 v9, v9
	v_fma_f32 v9, 0xcf800000, v9, |v8|
	v_ashrrev_i32_e32 v8, 31, v8
	s_delay_alu instid0(VALU_DEP_2) | instskip(NEXT) | instid1(VALU_DEP_1)
	v_cvt_u32_f32_e32 v9, v9
	v_xor_b32_e32 v9, v9, v8
	s_delay_alu instid0(VALU_DEP_1) | instskip(NEXT) | instid1(VALU_DEP_1)
	v_sub_nc_u32_e32 v8, v9, v8
	v_cndmask_b32_e32 v8, 0, v8, vcc_lo
	s_branch .LBB15_1483
.LBB15_1482:
	s_mov_b32 s2, -1
                                        ; implicit-def: $vgpr8
.LBB15_1483:
	s_mov_b32 s11, 0
.LBB15_1484:
	s_delay_alu instid0(SALU_CYCLE_1)
	s_and_b32 vcc_lo, exec_lo, s11
	s_cbranch_vccz .LBB15_1488
; %bb.1485:
	v_cmp_eq_u16_e32 vcc_lo, 29, v12
	s_cbranch_vccz .LBB15_1487
; %bb.1486:
	global_load_b64 v[8:9], v[10:11], off
	s_mov_b32 s2, 0
	s_mov_b32 s10, -1
	s_branch .LBB15_1488
.LBB15_1487:
	s_mov_b32 s2, -1
                                        ; implicit-def: $vgpr8
.LBB15_1488:
	s_mov_b32 s11, 0
.LBB15_1489:
	s_delay_alu instid0(SALU_CYCLE_1)
	s_and_b32 vcc_lo, exec_lo, s11
	s_cbranch_vccz .LBB15_1505
; %bb.1490:
	v_cmp_gt_i16_e32 vcc_lo, 27, v12
	s_cbranch_vccnz .LBB15_1493
; %bb.1491:
	v_cmp_lt_i16_e32 vcc_lo, 27, v12
	s_cbranch_vccz .LBB15_1494
; %bb.1492:
	global_load_b32 v8, v[10:11], off
	s_mov_b32 s10, 0
	s_branch .LBB15_1495
.LBB15_1493:
	s_mov_b32 s10, -1
                                        ; implicit-def: $vgpr8
	s_branch .LBB15_1498
.LBB15_1494:
	s_mov_b32 s10, -1
                                        ; implicit-def: $vgpr8
.LBB15_1495:
	s_delay_alu instid0(SALU_CYCLE_1)
	s_and_not1_b32 vcc_lo, exec_lo, s10
	s_cbranch_vccnz .LBB15_1497
; %bb.1496:
	global_load_u16 v8, v[10:11], off
.LBB15_1497:
	s_mov_b32 s10, 0
.LBB15_1498:
	s_delay_alu instid0(SALU_CYCLE_1)
	s_and_not1_b32 vcc_lo, exec_lo, s10
	s_cbranch_vccnz .LBB15_1504
; %bb.1499:
	global_load_u8 v5, v[10:11], off
	s_mov_b32 s11, 0
	s_mov_b32 s10, exec_lo
                                        ; implicit-def: $sgpr12
	s_waitcnt vmcnt(0)
	v_cmpx_lt_i16_e32 0x7f, v5
	s_xor_b32 s10, exec_lo, s10
	s_cbranch_execz .LBB15_1516
; %bb.1500:
	v_cmp_ne_u16_e32 vcc_lo, 0x80, v5
	s_mov_b32 s12, 0
	s_and_b32 s11, vcc_lo, exec_lo
	s_or_saveexec_b32 s10, s10
	v_mov_b32_e32 v8, s12
	s_xor_b32 exec_lo, exec_lo, s10
	s_cbranch_execnz .LBB15_1517
.LBB15_1501:
	s_or_b32 exec_lo, exec_lo, s10
	s_and_saveexec_b32 s10, s11
	s_cbranch_execz .LBB15_1503
.LBB15_1502:
	v_and_b32_e32 v8, 0xffff, v5
	v_lshlrev_b32_e32 v5, 24, v5
	s_delay_alu instid0(VALU_DEP_2) | instskip(NEXT) | instid1(VALU_DEP_2)
	v_and_b32_e32 v9, 7, v8
	v_and_b32_e32 v5, 0x80000000, v5
	s_delay_alu instid0(VALU_DEP_2) | instskip(NEXT) | instid1(VALU_DEP_1)
	v_clz_i32_u32_e32 v13, v9
	v_min_u32_e32 v13, 32, v13
	s_delay_alu instid0(VALU_DEP_1) | instskip(SKIP_1) | instid1(VALU_DEP_2)
	v_subrev_nc_u32_e32 v14, 28, v13
	v_sub_nc_u32_e32 v13, 29, v13
	v_lshlrev_b32_e32 v14, v14, v8
	v_bfe_u32 v8, v8, 3, 4
	s_delay_alu instid0(VALU_DEP_2) | instskip(NEXT) | instid1(VALU_DEP_2)
	v_and_b32_e32 v14, 7, v14
	v_cmp_eq_u32_e32 vcc_lo, 0, v8
	s_delay_alu instid0(VALU_DEP_2) | instskip(NEXT) | instid1(VALU_DEP_1)
	v_dual_cndmask_b32 v8, v8, v13 :: v_dual_cndmask_b32 v9, v9, v14
	v_lshl_add_u32 v8, v8, 23, 0x3b800000
	s_delay_alu instid0(VALU_DEP_2) | instskip(NEXT) | instid1(VALU_DEP_1)
	v_lshlrev_b32_e32 v9, 20, v9
	v_or3_b32 v5, v5, v8, v9
	s_delay_alu instid0(VALU_DEP_1) | instskip(NEXT) | instid1(VALU_DEP_1)
	v_trunc_f32_e32 v5, v5
	v_mul_f32_e64 v8, 0x2f800000, |v5|
	s_delay_alu instid0(VALU_DEP_1) | instskip(NEXT) | instid1(VALU_DEP_1)
	v_floor_f32_e32 v8, v8
	v_fma_f32 v8, 0xcf800000, v8, |v5|
	v_ashrrev_i32_e32 v5, 31, v5
	s_delay_alu instid0(VALU_DEP_2) | instskip(NEXT) | instid1(VALU_DEP_1)
	v_cvt_u32_f32_e32 v8, v8
	v_xor_b32_e32 v8, v8, v5
	s_delay_alu instid0(VALU_DEP_1)
	v_sub_nc_u32_e32 v8, v8, v5
.LBB15_1503:
	s_or_b32 exec_lo, exec_lo, s10
.LBB15_1504:
	s_mov_b32 s10, -1
.LBB15_1505:
	s_mov_b32 s11, 0
.LBB15_1506:
	s_delay_alu instid0(SALU_CYCLE_1)
	s_and_b32 vcc_lo, exec_lo, s11
	s_cbranch_vccz .LBB15_1537
; %bb.1507:
	v_cmp_lt_i16_e32 vcc_lo, 22, v12
	s_cbranch_vccz .LBB15_1515
; %bb.1508:
	v_cmp_gt_i16_e32 vcc_lo, 24, v12
	s_cbranch_vccnz .LBB15_1518
; %bb.1509:
	v_cmp_lt_i16_e32 vcc_lo, 24, v12
	s_cbranch_vccz .LBB15_1519
; %bb.1510:
	global_load_u8 v5, v[10:11], off
	s_mov_b32 s10, 0
	s_mov_b32 s3, exec_lo
                                        ; implicit-def: $sgpr11
	s_waitcnt vmcnt(0)
	v_cmpx_lt_i16_e32 0x7f, v5
	s_xor_b32 s3, exec_lo, s3
	s_cbranch_execz .LBB15_1531
; %bb.1511:
	v_cmp_ne_u16_e32 vcc_lo, 0x80, v5
	s_mov_b32 s11, 0
	s_and_b32 s10, vcc_lo, exec_lo
	s_or_saveexec_b32 s3, s3
	v_mov_b32_e32 v8, s11
	s_xor_b32 exec_lo, exec_lo, s3
	s_cbranch_execnz .LBB15_1532
.LBB15_1512:
	s_or_b32 exec_lo, exec_lo, s3
	s_and_saveexec_b32 s3, s10
	s_cbranch_execz .LBB15_1514
.LBB15_1513:
	v_and_b32_e32 v8, 0xffff, v5
	v_lshlrev_b32_e32 v5, 24, v5
	s_delay_alu instid0(VALU_DEP_2) | instskip(NEXT) | instid1(VALU_DEP_2)
	v_and_b32_e32 v9, 3, v8
	v_and_b32_e32 v5, 0x80000000, v5
	s_delay_alu instid0(VALU_DEP_2) | instskip(NEXT) | instid1(VALU_DEP_1)
	v_clz_i32_u32_e32 v13, v9
	v_min_u32_e32 v13, 32, v13
	s_delay_alu instid0(VALU_DEP_1) | instskip(SKIP_1) | instid1(VALU_DEP_2)
	v_subrev_nc_u32_e32 v14, 29, v13
	v_sub_nc_u32_e32 v13, 30, v13
	v_lshlrev_b32_e32 v14, v14, v8
	v_bfe_u32 v8, v8, 2, 5
	s_delay_alu instid0(VALU_DEP_2) | instskip(NEXT) | instid1(VALU_DEP_2)
	v_and_b32_e32 v14, 3, v14
	v_cmp_eq_u32_e32 vcc_lo, 0, v8
	s_delay_alu instid0(VALU_DEP_2) | instskip(NEXT) | instid1(VALU_DEP_1)
	v_dual_cndmask_b32 v8, v8, v13 :: v_dual_cndmask_b32 v9, v9, v14
	v_lshl_add_u32 v8, v8, 23, 0x37800000
	s_delay_alu instid0(VALU_DEP_2) | instskip(NEXT) | instid1(VALU_DEP_1)
	v_lshlrev_b32_e32 v9, 21, v9
	v_or3_b32 v5, v5, v8, v9
	s_delay_alu instid0(VALU_DEP_1) | instskip(NEXT) | instid1(VALU_DEP_1)
	v_trunc_f32_e32 v5, v5
	v_mul_f32_e64 v8, 0x2f800000, |v5|
	s_delay_alu instid0(VALU_DEP_1) | instskip(NEXT) | instid1(VALU_DEP_1)
	v_floor_f32_e32 v8, v8
	v_fma_f32 v8, 0xcf800000, v8, |v5|
	v_ashrrev_i32_e32 v5, 31, v5
	s_delay_alu instid0(VALU_DEP_2) | instskip(NEXT) | instid1(VALU_DEP_1)
	v_cvt_u32_f32_e32 v8, v8
	v_xor_b32_e32 v8, v8, v5
	s_delay_alu instid0(VALU_DEP_1)
	v_sub_nc_u32_e32 v8, v8, v5
.LBB15_1514:
	s_or_b32 exec_lo, exec_lo, s3
	s_mov_b32 s3, 0
	s_branch .LBB15_1520
.LBB15_1515:
	s_mov_b32 s3, -1
                                        ; implicit-def: $vgpr8
	s_branch .LBB15_1526
.LBB15_1516:
	s_or_saveexec_b32 s10, s10
	v_mov_b32_e32 v8, s12
	s_xor_b32 exec_lo, exec_lo, s10
	s_cbranch_execz .LBB15_1501
.LBB15_1517:
	v_cmp_ne_u16_e32 vcc_lo, 0, v5
	v_mov_b32_e32 v8, 0
	s_and_not1_b32 s11, s11, exec_lo
	s_and_b32 s12, vcc_lo, exec_lo
	s_delay_alu instid0(SALU_CYCLE_1)
	s_or_b32 s11, s11, s12
	s_or_b32 exec_lo, exec_lo, s10
	s_and_saveexec_b32 s10, s11
	s_cbranch_execnz .LBB15_1502
	s_branch .LBB15_1503
.LBB15_1518:
	s_mov_b32 s3, -1
                                        ; implicit-def: $vgpr8
	s_branch .LBB15_1523
.LBB15_1519:
	s_mov_b32 s3, -1
                                        ; implicit-def: $vgpr8
.LBB15_1520:
	s_delay_alu instid0(SALU_CYCLE_1)
	s_and_b32 vcc_lo, exec_lo, s3
	s_cbranch_vccz .LBB15_1522
; %bb.1521:
	global_load_u8 v5, v[10:11], off
	s_waitcnt vmcnt(0)
	v_lshlrev_b32_e32 v5, 24, v5
	s_delay_alu instid0(VALU_DEP_1) | instskip(NEXT) | instid1(VALU_DEP_1)
	v_and_b32_e32 v8, 0x7f000000, v5
	v_clz_i32_u32_e32 v9, v8
	v_cmp_ne_u32_e32 vcc_lo, 0, v8
	v_add_nc_u32_e32 v14, 0x1000000, v8
	s_delay_alu instid0(VALU_DEP_3) | instskip(NEXT) | instid1(VALU_DEP_1)
	v_min_u32_e32 v9, 32, v9
	v_sub_nc_u32_e64 v9, v9, 4 clamp
	s_delay_alu instid0(VALU_DEP_1) | instskip(SKIP_1) | instid1(VALU_DEP_2)
	v_lshlrev_b32_e32 v13, v9, v8
	v_lshlrev_b32_e32 v9, 23, v9
	v_lshrrev_b32_e32 v13, 4, v13
	s_delay_alu instid0(VALU_DEP_1) | instskip(SKIP_1) | instid1(VALU_DEP_2)
	v_sub_nc_u32_e32 v9, v13, v9
	v_ashrrev_i32_e32 v13, 8, v14
	v_add_nc_u32_e32 v9, 0x3c000000, v9
	s_delay_alu instid0(VALU_DEP_1) | instskip(NEXT) | instid1(VALU_DEP_1)
	v_and_or_b32 v9, 0x7f800000, v13, v9
	v_cndmask_b32_e32 v8, 0, v9, vcc_lo
	s_delay_alu instid0(VALU_DEP_1) | instskip(NEXT) | instid1(VALU_DEP_1)
	v_and_or_b32 v5, 0x80000000, v5, v8
	v_trunc_f32_e32 v5, v5
	s_delay_alu instid0(VALU_DEP_1) | instskip(NEXT) | instid1(VALU_DEP_1)
	v_mul_f32_e64 v8, 0x2f800000, |v5|
	v_floor_f32_e32 v8, v8
	s_delay_alu instid0(VALU_DEP_1) | instskip(SKIP_1) | instid1(VALU_DEP_2)
	v_fma_f32 v8, 0xcf800000, v8, |v5|
	v_ashrrev_i32_e32 v5, 31, v5
	v_cvt_u32_f32_e32 v8, v8
	s_delay_alu instid0(VALU_DEP_1) | instskip(NEXT) | instid1(VALU_DEP_1)
	v_xor_b32_e32 v8, v8, v5
	v_sub_nc_u32_e32 v8, v8, v5
.LBB15_1522:
	s_mov_b32 s3, 0
.LBB15_1523:
	s_delay_alu instid0(SALU_CYCLE_1)
	s_and_not1_b32 vcc_lo, exec_lo, s3
	s_cbranch_vccnz .LBB15_1525
; %bb.1524:
	global_load_u8 v5, v[10:11], off
	s_waitcnt vmcnt(0)
	v_lshlrev_b32_e32 v8, 25, v5
	v_lshlrev_b16 v5, 8, v5
	s_delay_alu instid0(VALU_DEP_2) | instskip(NEXT) | instid1(VALU_DEP_2)
	v_lshrrev_b32_e32 v9, 4, v8
	v_and_or_b32 v13, 0x7f00, v5, 0.5
	v_cmp_gt_u32_e32 vcc_lo, 0x8000000, v8
	v_bfe_i32 v5, v5, 0, 16
	s_delay_alu instid0(VALU_DEP_4) | instskip(NEXT) | instid1(VALU_DEP_4)
	v_or_b32_e32 v9, 0x70000000, v9
	v_add_f32_e32 v13, -0.5, v13
	s_delay_alu instid0(VALU_DEP_2) | instskip(NEXT) | instid1(VALU_DEP_1)
	v_mul_f32_e32 v9, 0x7800000, v9
	v_cndmask_b32_e32 v8, v9, v13, vcc_lo
	s_delay_alu instid0(VALU_DEP_1) | instskip(NEXT) | instid1(VALU_DEP_1)
	v_and_or_b32 v5, 0x80000000, v5, v8
	v_trunc_f32_e32 v5, v5
	s_delay_alu instid0(VALU_DEP_1) | instskip(NEXT) | instid1(VALU_DEP_1)
	v_mul_f32_e64 v8, 0x2f800000, |v5|
	v_floor_f32_e32 v8, v8
	s_delay_alu instid0(VALU_DEP_1) | instskip(SKIP_1) | instid1(VALU_DEP_2)
	v_fma_f32 v8, 0xcf800000, v8, |v5|
	v_ashrrev_i32_e32 v5, 31, v5
	v_cvt_u32_f32_e32 v8, v8
	s_delay_alu instid0(VALU_DEP_1) | instskip(NEXT) | instid1(VALU_DEP_1)
	v_xor_b32_e32 v8, v8, v5
	v_sub_nc_u32_e32 v8, v8, v5
.LBB15_1525:
	s_mov_b32 s3, 0
	s_mov_b32 s10, -1
.LBB15_1526:
	s_and_not1_b32 vcc_lo, exec_lo, s3
	s_mov_b32 s3, 0
	s_cbranch_vccnz .LBB15_1537
; %bb.1527:
	v_cmp_lt_i16_e32 vcc_lo, 14, v12
	s_cbranch_vccz .LBB15_1530
; %bb.1528:
	v_cmp_eq_u16_e32 vcc_lo, 15, v12
	s_cbranch_vccz .LBB15_1533
; %bb.1529:
	global_load_u16 v5, v[10:11], off
	s_mov_b32 s2, 0
	s_mov_b32 s10, -1
	s_waitcnt vmcnt(0)
	v_lshlrev_b32_e32 v5, 16, v5
	s_delay_alu instid0(VALU_DEP_1) | instskip(NEXT) | instid1(VALU_DEP_1)
	v_trunc_f32_e32 v5, v5
	v_mul_f32_e64 v8, 0x2f800000, |v5|
	s_delay_alu instid0(VALU_DEP_1) | instskip(NEXT) | instid1(VALU_DEP_1)
	v_floor_f32_e32 v8, v8
	v_fma_f32 v8, 0xcf800000, v8, |v5|
	v_ashrrev_i32_e32 v5, 31, v5
	s_delay_alu instid0(VALU_DEP_2) | instskip(NEXT) | instid1(VALU_DEP_1)
	v_cvt_u32_f32_e32 v8, v8
	v_xor_b32_e32 v8, v8, v5
	s_delay_alu instid0(VALU_DEP_1)
	v_sub_nc_u32_e32 v8, v8, v5
	s_branch .LBB15_1535
.LBB15_1530:
	s_mov_b32 s3, -1
	s_branch .LBB15_1534
.LBB15_1531:
	s_or_saveexec_b32 s3, s3
	v_mov_b32_e32 v8, s11
	s_xor_b32 exec_lo, exec_lo, s3
	s_cbranch_execz .LBB15_1512
.LBB15_1532:
	v_cmp_ne_u16_e32 vcc_lo, 0, v5
	v_mov_b32_e32 v8, 0
	s_and_not1_b32 s10, s10, exec_lo
	s_and_b32 s11, vcc_lo, exec_lo
	s_delay_alu instid0(SALU_CYCLE_1)
	s_or_b32 s10, s10, s11
	s_or_b32 exec_lo, exec_lo, s3
	s_and_saveexec_b32 s3, s10
	s_cbranch_execnz .LBB15_1513
	s_branch .LBB15_1514
.LBB15_1533:
	s_mov_b32 s2, -1
.LBB15_1534:
                                        ; implicit-def: $vgpr8
.LBB15_1535:
	s_and_b32 vcc_lo, exec_lo, s3
	s_mov_b32 s3, 0
	s_cbranch_vccz .LBB15_1537
; %bb.1536:
	v_cmp_ne_u16_e64 s2, 11, v12
	s_mov_b32 s3, -1
                                        ; implicit-def: $vgpr8
.LBB15_1537:
	s_delay_alu instid0(VALU_DEP_1)
	s_and_b32 vcc_lo, exec_lo, s2
	s_cbranch_vccnz .LBB15_1553
; %bb.1538:
	s_and_not1_b32 vcc_lo, exec_lo, s3
	s_cbranch_vccnz .LBB15_1540
.LBB15_1539:
	global_load_u8 v5, v[10:11], off
	s_mov_b32 s10, -1
	s_waitcnt vmcnt(0)
	v_cmp_ne_u16_e32 vcc_lo, 0, v5
	v_cndmask_b32_e64 v8, 0, 1, vcc_lo
.LBB15_1540:
.LBB15_1541:
	s_and_not1_b32 vcc_lo, exec_lo, s10
	s_cbranch_vccnz .LBB15_1430
.LBB15_1542:
	v_cmp_gt_i16_e32 vcc_lo, 11, v12
	s_waitcnt vmcnt(0)
	v_add_co_u32 v9, s2, s6, v6
	s_delay_alu instid0(VALU_DEP_1)
	v_add_co_ci_u32_e64 v10, null, s7, 0, s2
	s_mov_b32 s6, 0
	s_cbranch_vccnz .LBB15_1549
; %bb.1543:
	v_cmp_lt_i16_e32 vcc_lo, 25, v12
	s_mov_b32 s3, 0
	s_cbranch_vccz .LBB15_1550
; %bb.1544:
	v_cmp_lt_i16_e32 vcc_lo, 28, v12
	s_cbranch_vccz .LBB15_1551
; %bb.1545:
	v_cmp_lt_i16_e32 vcc_lo, 43, v12
	;; [unrolled: 3-line block ×3, first 2 shown]
	s_cbranch_vccz .LBB15_1555
; %bb.1547:
	v_cmp_eq_u16_e32 vcc_lo, 46, v12
	s_mov_b32 s7, 0
	s_cbranch_vccz .LBB15_1558
; %bb.1548:
	global_load_b32 v5, v[9:10], off
	s_mov_b32 s2, 0
	s_mov_b32 s6, -1
	s_waitcnt vmcnt(0)
	v_lshlrev_b32_e32 v5, 16, v5
	s_delay_alu instid0(VALU_DEP_1) | instskip(NEXT) | instid1(VALU_DEP_1)
	v_trunc_f32_e32 v5, v5
	v_mul_f32_e64 v6, 0x2f800000, |v5|
	s_delay_alu instid0(VALU_DEP_1) | instskip(NEXT) | instid1(VALU_DEP_1)
	v_floor_f32_e32 v6, v6
	v_fma_f32 v6, 0xcf800000, v6, |v5|
	v_ashrrev_i32_e32 v5, 31, v5
	s_delay_alu instid0(VALU_DEP_2) | instskip(NEXT) | instid1(VALU_DEP_1)
	v_cvt_u32_f32_e32 v6, v6
	v_xor_b32_e32 v6, v6, v5
	s_delay_alu instid0(VALU_DEP_1)
	v_sub_nc_u32_e32 v5, v6, v5
	s_branch .LBB15_1560
.LBB15_1549:
	s_mov_b32 s2, -1
                                        ; implicit-def: $vgpr5
	s_branch .LBB15_1622
.LBB15_1550:
	s_mov_b32 s7, -1
	s_mov_b32 s2, 0
                                        ; implicit-def: $vgpr5
	s_branch .LBB15_1587
.LBB15_1551:
	s_mov_b32 s7, -1
	s_mov_b32 s2, 0
                                        ; implicit-def: $vgpr5
	s_branch .LBB15_1570
.LBB15_1552:
	s_mov_b32 s7, -1
	s_mov_b32 s2, 0
                                        ; implicit-def: $vgpr5
	s_branch .LBB15_1565
.LBB15_1553:
	s_cbranch_execnz .LBB15_1556
; %bb.1554:
	s_or_b32 s1, s1, exec_lo
                                        ; implicit-def: $vgpr8
	s_cbranch_execz .LBB15_1539
	s_branch .LBB15_1540
.LBB15_1555:
	s_mov_b32 s7, -1
	s_mov_b32 s2, 0
	s_branch .LBB15_1559
.LBB15_1556:
	s_trap 2
	s_sendmsg_rtn_b32 s0, sendmsg(MSG_RTN_GET_DOORBELL)
	s_mov_b32 ttmp2, m0
	s_waitcnt lgkmcnt(0)
	s_and_b32 s0, s0, 0x3ff
	s_delay_alu instid0(SALU_CYCLE_1) | instskip(NEXT) | instid1(SALU_CYCLE_1)
	s_bitset1_b32 s0, 10
	s_mov_b32 m0, s0
	s_sendmsg sendmsg(MSG_INTERRUPT)
	s_mov_b32 m0, ttmp2
.LBB15_1557:                            ; =>This Inner Loop Header: Depth=1
	s_sethalt 5
	s_branch .LBB15_1557
.LBB15_1558:
	s_mov_b32 s2, -1
.LBB15_1559:
                                        ; implicit-def: $vgpr5
.LBB15_1560:
	s_and_b32 vcc_lo, exec_lo, s7
	s_cbranch_vccz .LBB15_1564
; %bb.1561:
	v_cmp_eq_u16_e32 vcc_lo, 44, v12
	s_cbranch_vccz .LBB15_1563
; %bb.1562:
	global_load_u8 v5, v[9:10], off
	s_mov_b32 s2, 0
	s_mov_b32 s6, -1
	s_waitcnt vmcnt(0)
	v_lshlrev_b32_e32 v6, 23, v5
	v_cmp_ne_u32_e32 vcc_lo, 0, v5
	s_delay_alu instid0(VALU_DEP_2) | instskip(NEXT) | instid1(VALU_DEP_1)
	v_trunc_f32_e32 v6, v6
	v_mul_f32_e64 v11, 0x2f800000, |v6|
	s_delay_alu instid0(VALU_DEP_1) | instskip(NEXT) | instid1(VALU_DEP_1)
	v_floor_f32_e32 v11, v11
	v_fma_f32 v11, 0xcf800000, v11, |v6|
	v_ashrrev_i32_e32 v6, 31, v6
	s_delay_alu instid0(VALU_DEP_2) | instskip(NEXT) | instid1(VALU_DEP_1)
	v_cvt_u32_f32_e32 v11, v11
	v_xor_b32_e32 v11, v11, v6
	s_delay_alu instid0(VALU_DEP_1) | instskip(NEXT) | instid1(VALU_DEP_1)
	v_sub_nc_u32_e32 v6, v11, v6
	v_cndmask_b32_e32 v5, 0, v6, vcc_lo
	s_branch .LBB15_1564
.LBB15_1563:
	s_mov_b32 s2, -1
                                        ; implicit-def: $vgpr5
.LBB15_1564:
	s_mov_b32 s7, 0
.LBB15_1565:
	s_delay_alu instid0(SALU_CYCLE_1)
	s_and_b32 vcc_lo, exec_lo, s7
	s_cbranch_vccz .LBB15_1569
; %bb.1566:
	v_cmp_eq_u16_e32 vcc_lo, 29, v12
	s_cbranch_vccz .LBB15_1568
; %bb.1567:
	global_load_b64 v[5:6], v[9:10], off
	s_mov_b32 s2, 0
	s_mov_b32 s6, -1
	s_branch .LBB15_1569
.LBB15_1568:
	s_mov_b32 s2, -1
                                        ; implicit-def: $vgpr5
.LBB15_1569:
	s_mov_b32 s7, 0
.LBB15_1570:
	s_delay_alu instid0(SALU_CYCLE_1)
	s_and_b32 vcc_lo, exec_lo, s7
	s_cbranch_vccz .LBB15_1586
; %bb.1571:
	v_cmp_gt_i16_e32 vcc_lo, 27, v12
	s_cbranch_vccnz .LBB15_1574
; %bb.1572:
	v_cmp_lt_i16_e32 vcc_lo, 27, v12
	s_cbranch_vccz .LBB15_1575
; %bb.1573:
	global_load_b32 v5, v[9:10], off
	s_mov_b32 s6, 0
	s_branch .LBB15_1576
.LBB15_1574:
	s_mov_b32 s6, -1
                                        ; implicit-def: $vgpr5
	s_branch .LBB15_1579
.LBB15_1575:
	s_mov_b32 s6, -1
                                        ; implicit-def: $vgpr5
.LBB15_1576:
	s_delay_alu instid0(SALU_CYCLE_1)
	s_and_not1_b32 vcc_lo, exec_lo, s6
	s_cbranch_vccnz .LBB15_1578
; %bb.1577:
	global_load_u16 v5, v[9:10], off
.LBB15_1578:
	s_mov_b32 s6, 0
.LBB15_1579:
	s_delay_alu instid0(SALU_CYCLE_1)
	s_and_not1_b32 vcc_lo, exec_lo, s6
	s_cbranch_vccnz .LBB15_1585
; %bb.1580:
	global_load_u8 v6, v[9:10], off
	s_mov_b32 s7, 0
	s_mov_b32 s6, exec_lo
                                        ; implicit-def: $sgpr10
	s_waitcnt vmcnt(0)
	v_cmpx_lt_i16_e32 0x7f, v6
	s_xor_b32 s6, exec_lo, s6
	s_cbranch_execz .LBB15_1597
; %bb.1581:
	v_cmp_ne_u16_e32 vcc_lo, 0x80, v6
	s_mov_b32 s10, 0
	s_and_b32 s7, vcc_lo, exec_lo
	s_or_saveexec_b32 s6, s6
	v_mov_b32_e32 v5, s10
	s_xor_b32 exec_lo, exec_lo, s6
	s_cbranch_execnz .LBB15_1598
.LBB15_1582:
	s_or_b32 exec_lo, exec_lo, s6
	s_and_saveexec_b32 s6, s7
	s_cbranch_execz .LBB15_1584
.LBB15_1583:
	v_and_b32_e32 v5, 0xffff, v6
	v_lshlrev_b32_e32 v6, 24, v6
	s_delay_alu instid0(VALU_DEP_2) | instskip(NEXT) | instid1(VALU_DEP_2)
	v_and_b32_e32 v11, 7, v5
	v_and_b32_e32 v6, 0x80000000, v6
	s_delay_alu instid0(VALU_DEP_2) | instskip(NEXT) | instid1(VALU_DEP_1)
	v_clz_i32_u32_e32 v13, v11
	v_min_u32_e32 v13, 32, v13
	s_delay_alu instid0(VALU_DEP_1) | instskip(SKIP_1) | instid1(VALU_DEP_2)
	v_subrev_nc_u32_e32 v14, 28, v13
	v_sub_nc_u32_e32 v13, 29, v13
	v_lshlrev_b32_e32 v14, v14, v5
	v_bfe_u32 v5, v5, 3, 4
	s_delay_alu instid0(VALU_DEP_1) | instskip(NEXT) | instid1(VALU_DEP_3)
	v_cmp_eq_u32_e32 vcc_lo, 0, v5
	v_dual_cndmask_b32 v5, v5, v13 :: v_dual_and_b32 v14, 7, v14
	s_delay_alu instid0(VALU_DEP_1) | instskip(NEXT) | instid1(VALU_DEP_2)
	v_cndmask_b32_e32 v11, v11, v14, vcc_lo
	v_lshl_add_u32 v5, v5, 23, 0x3b800000
	s_delay_alu instid0(VALU_DEP_2) | instskip(NEXT) | instid1(VALU_DEP_1)
	v_lshlrev_b32_e32 v11, 20, v11
	v_or3_b32 v5, v6, v5, v11
	s_delay_alu instid0(VALU_DEP_1) | instskip(NEXT) | instid1(VALU_DEP_1)
	v_trunc_f32_e32 v5, v5
	v_mul_f32_e64 v6, 0x2f800000, |v5|
	s_delay_alu instid0(VALU_DEP_1) | instskip(NEXT) | instid1(VALU_DEP_1)
	v_floor_f32_e32 v6, v6
	v_fma_f32 v6, 0xcf800000, v6, |v5|
	v_ashrrev_i32_e32 v5, 31, v5
	s_delay_alu instid0(VALU_DEP_2) | instskip(NEXT) | instid1(VALU_DEP_1)
	v_cvt_u32_f32_e32 v6, v6
	v_xor_b32_e32 v6, v6, v5
	s_delay_alu instid0(VALU_DEP_1)
	v_sub_nc_u32_e32 v5, v6, v5
.LBB15_1584:
	s_or_b32 exec_lo, exec_lo, s6
.LBB15_1585:
	s_mov_b32 s6, -1
.LBB15_1586:
	s_mov_b32 s7, 0
.LBB15_1587:
	s_delay_alu instid0(SALU_CYCLE_1)
	s_and_b32 vcc_lo, exec_lo, s7
	s_cbranch_vccz .LBB15_1618
; %bb.1588:
	v_cmp_lt_i16_e32 vcc_lo, 22, v12
	s_cbranch_vccz .LBB15_1596
; %bb.1589:
	v_cmp_gt_i16_e32 vcc_lo, 24, v12
	s_cbranch_vccnz .LBB15_1599
; %bb.1590:
	v_cmp_lt_i16_e32 vcc_lo, 24, v12
	s_cbranch_vccz .LBB15_1600
; %bb.1591:
	global_load_u8 v6, v[9:10], off
	s_mov_b32 s6, 0
	s_mov_b32 s3, exec_lo
                                        ; implicit-def: $sgpr7
	s_waitcnt vmcnt(0)
	v_cmpx_lt_i16_e32 0x7f, v6
	s_xor_b32 s3, exec_lo, s3
	s_cbranch_execz .LBB15_1612
; %bb.1592:
	v_cmp_ne_u16_e32 vcc_lo, 0x80, v6
	s_mov_b32 s7, 0
	s_and_b32 s6, vcc_lo, exec_lo
	s_or_saveexec_b32 s3, s3
	v_mov_b32_e32 v5, s7
	s_xor_b32 exec_lo, exec_lo, s3
	s_cbranch_execnz .LBB15_1613
.LBB15_1593:
	s_or_b32 exec_lo, exec_lo, s3
	s_and_saveexec_b32 s3, s6
	s_cbranch_execz .LBB15_1595
.LBB15_1594:
	v_and_b32_e32 v5, 0xffff, v6
	v_lshlrev_b32_e32 v6, 24, v6
	s_delay_alu instid0(VALU_DEP_2) | instskip(NEXT) | instid1(VALU_DEP_2)
	v_and_b32_e32 v11, 3, v5
	v_and_b32_e32 v6, 0x80000000, v6
	s_delay_alu instid0(VALU_DEP_2) | instskip(NEXT) | instid1(VALU_DEP_1)
	v_clz_i32_u32_e32 v13, v11
	v_min_u32_e32 v13, 32, v13
	s_delay_alu instid0(VALU_DEP_1) | instskip(SKIP_1) | instid1(VALU_DEP_2)
	v_subrev_nc_u32_e32 v14, 29, v13
	v_sub_nc_u32_e32 v13, 30, v13
	v_lshlrev_b32_e32 v14, v14, v5
	v_bfe_u32 v5, v5, 2, 5
	s_delay_alu instid0(VALU_DEP_1) | instskip(NEXT) | instid1(VALU_DEP_3)
	v_cmp_eq_u32_e32 vcc_lo, 0, v5
	v_dual_cndmask_b32 v5, v5, v13 :: v_dual_and_b32 v14, 3, v14
	s_delay_alu instid0(VALU_DEP_1) | instskip(NEXT) | instid1(VALU_DEP_2)
	v_cndmask_b32_e32 v11, v11, v14, vcc_lo
	v_lshl_add_u32 v5, v5, 23, 0x37800000
	s_delay_alu instid0(VALU_DEP_2) | instskip(NEXT) | instid1(VALU_DEP_1)
	v_lshlrev_b32_e32 v11, 21, v11
	v_or3_b32 v5, v6, v5, v11
	s_delay_alu instid0(VALU_DEP_1) | instskip(NEXT) | instid1(VALU_DEP_1)
	v_trunc_f32_e32 v5, v5
	v_mul_f32_e64 v6, 0x2f800000, |v5|
	s_delay_alu instid0(VALU_DEP_1) | instskip(NEXT) | instid1(VALU_DEP_1)
	v_floor_f32_e32 v6, v6
	v_fma_f32 v6, 0xcf800000, v6, |v5|
	v_ashrrev_i32_e32 v5, 31, v5
	s_delay_alu instid0(VALU_DEP_2) | instskip(NEXT) | instid1(VALU_DEP_1)
	v_cvt_u32_f32_e32 v6, v6
	v_xor_b32_e32 v6, v6, v5
	s_delay_alu instid0(VALU_DEP_1)
	v_sub_nc_u32_e32 v5, v6, v5
.LBB15_1595:
	s_or_b32 exec_lo, exec_lo, s3
	s_mov_b32 s3, 0
	s_branch .LBB15_1601
.LBB15_1596:
	s_mov_b32 s3, -1
                                        ; implicit-def: $vgpr5
	s_branch .LBB15_1607
.LBB15_1597:
	s_or_saveexec_b32 s6, s6
	v_mov_b32_e32 v5, s10
	s_xor_b32 exec_lo, exec_lo, s6
	s_cbranch_execz .LBB15_1582
.LBB15_1598:
	v_cmp_ne_u16_e32 vcc_lo, 0, v6
	v_mov_b32_e32 v5, 0
	s_and_not1_b32 s7, s7, exec_lo
	s_and_b32 s10, vcc_lo, exec_lo
	s_delay_alu instid0(SALU_CYCLE_1)
	s_or_b32 s7, s7, s10
	s_or_b32 exec_lo, exec_lo, s6
	s_and_saveexec_b32 s6, s7
	s_cbranch_execnz .LBB15_1583
	s_branch .LBB15_1584
.LBB15_1599:
	s_mov_b32 s3, -1
                                        ; implicit-def: $vgpr5
	s_branch .LBB15_1604
.LBB15_1600:
	s_mov_b32 s3, -1
                                        ; implicit-def: $vgpr5
.LBB15_1601:
	s_delay_alu instid0(SALU_CYCLE_1)
	s_and_b32 vcc_lo, exec_lo, s3
	s_cbranch_vccz .LBB15_1603
; %bb.1602:
	global_load_u8 v5, v[9:10], off
	s_waitcnt vmcnt(0)
	v_lshlrev_b32_e32 v5, 24, v5
	s_delay_alu instid0(VALU_DEP_1) | instskip(NEXT) | instid1(VALU_DEP_1)
	v_and_b32_e32 v6, 0x7f000000, v5
	v_clz_i32_u32_e32 v11, v6
	v_add_nc_u32_e32 v14, 0x1000000, v6
	v_cmp_ne_u32_e32 vcc_lo, 0, v6
	s_delay_alu instid0(VALU_DEP_3) | instskip(NEXT) | instid1(VALU_DEP_1)
	v_min_u32_e32 v11, 32, v11
	v_sub_nc_u32_e64 v11, v11, 4 clamp
	s_delay_alu instid0(VALU_DEP_1) | instskip(SKIP_1) | instid1(VALU_DEP_2)
	v_lshlrev_b32_e32 v13, v11, v6
	v_lshlrev_b32_e32 v11, 23, v11
	v_lshrrev_b32_e32 v13, 4, v13
	s_delay_alu instid0(VALU_DEP_1) | instskip(SKIP_1) | instid1(VALU_DEP_2)
	v_sub_nc_u32_e32 v11, v13, v11
	v_ashrrev_i32_e32 v13, 8, v14
	v_add_nc_u32_e32 v11, 0x3c000000, v11
	s_delay_alu instid0(VALU_DEP_1) | instskip(NEXT) | instid1(VALU_DEP_1)
	v_and_or_b32 v11, 0x7f800000, v13, v11
	v_cndmask_b32_e32 v6, 0, v11, vcc_lo
	s_delay_alu instid0(VALU_DEP_1) | instskip(NEXT) | instid1(VALU_DEP_1)
	v_and_or_b32 v5, 0x80000000, v5, v6
	v_trunc_f32_e32 v5, v5
	s_delay_alu instid0(VALU_DEP_1) | instskip(NEXT) | instid1(VALU_DEP_1)
	v_mul_f32_e64 v6, 0x2f800000, |v5|
	v_floor_f32_e32 v6, v6
	s_delay_alu instid0(VALU_DEP_1) | instskip(SKIP_1) | instid1(VALU_DEP_2)
	v_fma_f32 v6, 0xcf800000, v6, |v5|
	v_ashrrev_i32_e32 v5, 31, v5
	v_cvt_u32_f32_e32 v6, v6
	s_delay_alu instid0(VALU_DEP_1) | instskip(NEXT) | instid1(VALU_DEP_1)
	v_xor_b32_e32 v6, v6, v5
	v_sub_nc_u32_e32 v5, v6, v5
.LBB15_1603:
	s_mov_b32 s3, 0
.LBB15_1604:
	s_delay_alu instid0(SALU_CYCLE_1)
	s_and_not1_b32 vcc_lo, exec_lo, s3
	s_cbranch_vccnz .LBB15_1606
; %bb.1605:
	global_load_u8 v5, v[9:10], off
	s_waitcnt vmcnt(0)
	v_lshlrev_b32_e32 v6, 25, v5
	v_lshlrev_b16 v5, 8, v5
	s_delay_alu instid0(VALU_DEP_2) | instskip(NEXT) | instid1(VALU_DEP_2)
	v_lshrrev_b32_e32 v11, 4, v6
	v_and_or_b32 v13, 0x7f00, v5, 0.5
	v_bfe_i32 v5, v5, 0, 16
	s_delay_alu instid0(VALU_DEP_3) | instskip(NEXT) | instid1(VALU_DEP_3)
	v_or_b32_e32 v11, 0x70000000, v11
	v_add_f32_e32 v13, -0.5, v13
	s_delay_alu instid0(VALU_DEP_2) | instskip(SKIP_1) | instid1(VALU_DEP_2)
	v_mul_f32_e32 v11, 0x7800000, v11
	v_cmp_gt_u32_e32 vcc_lo, 0x8000000, v6
	v_cndmask_b32_e32 v6, v11, v13, vcc_lo
	s_delay_alu instid0(VALU_DEP_1) | instskip(NEXT) | instid1(VALU_DEP_1)
	v_and_or_b32 v5, 0x80000000, v5, v6
	v_trunc_f32_e32 v5, v5
	s_delay_alu instid0(VALU_DEP_1) | instskip(NEXT) | instid1(VALU_DEP_1)
	v_mul_f32_e64 v6, 0x2f800000, |v5|
	v_floor_f32_e32 v6, v6
	s_delay_alu instid0(VALU_DEP_1) | instskip(SKIP_1) | instid1(VALU_DEP_2)
	v_fma_f32 v6, 0xcf800000, v6, |v5|
	v_ashrrev_i32_e32 v5, 31, v5
	v_cvt_u32_f32_e32 v6, v6
	s_delay_alu instid0(VALU_DEP_1) | instskip(NEXT) | instid1(VALU_DEP_1)
	v_xor_b32_e32 v6, v6, v5
	v_sub_nc_u32_e32 v5, v6, v5
.LBB15_1606:
	s_mov_b32 s3, 0
	s_mov_b32 s6, -1
.LBB15_1607:
	s_and_not1_b32 vcc_lo, exec_lo, s3
	s_mov_b32 s3, 0
	s_cbranch_vccnz .LBB15_1618
; %bb.1608:
	v_cmp_lt_i16_e32 vcc_lo, 14, v12
	s_cbranch_vccz .LBB15_1611
; %bb.1609:
	v_cmp_eq_u16_e32 vcc_lo, 15, v12
	s_cbranch_vccz .LBB15_1614
; %bb.1610:
	global_load_u16 v5, v[9:10], off
	s_mov_b32 s2, 0
	s_mov_b32 s6, -1
	s_waitcnt vmcnt(0)
	v_lshlrev_b32_e32 v5, 16, v5
	s_delay_alu instid0(VALU_DEP_1) | instskip(NEXT) | instid1(VALU_DEP_1)
	v_trunc_f32_e32 v5, v5
	v_mul_f32_e64 v6, 0x2f800000, |v5|
	s_delay_alu instid0(VALU_DEP_1) | instskip(NEXT) | instid1(VALU_DEP_1)
	v_floor_f32_e32 v6, v6
	v_fma_f32 v6, 0xcf800000, v6, |v5|
	v_ashrrev_i32_e32 v5, 31, v5
	s_delay_alu instid0(VALU_DEP_2) | instskip(NEXT) | instid1(VALU_DEP_1)
	v_cvt_u32_f32_e32 v6, v6
	v_xor_b32_e32 v6, v6, v5
	s_delay_alu instid0(VALU_DEP_1)
	v_sub_nc_u32_e32 v5, v6, v5
	s_branch .LBB15_1616
.LBB15_1611:
	s_mov_b32 s3, -1
	s_branch .LBB15_1615
.LBB15_1612:
	s_or_saveexec_b32 s3, s3
	v_mov_b32_e32 v5, s7
	s_xor_b32 exec_lo, exec_lo, s3
	s_cbranch_execz .LBB15_1593
.LBB15_1613:
	v_cmp_ne_u16_e32 vcc_lo, 0, v6
	v_mov_b32_e32 v5, 0
	s_and_not1_b32 s6, s6, exec_lo
	s_and_b32 s7, vcc_lo, exec_lo
	s_delay_alu instid0(SALU_CYCLE_1)
	s_or_b32 s6, s6, s7
	s_or_b32 exec_lo, exec_lo, s3
	s_and_saveexec_b32 s3, s6
	s_cbranch_execnz .LBB15_1594
	s_branch .LBB15_1595
.LBB15_1614:
	s_mov_b32 s2, -1
.LBB15_1615:
                                        ; implicit-def: $vgpr5
.LBB15_1616:
	s_and_b32 vcc_lo, exec_lo, s3
	s_mov_b32 s3, 0
	s_cbranch_vccz .LBB15_1618
; %bb.1617:
	v_cmp_ne_u16_e64 s2, 11, v12
	s_mov_b32 s3, -1
                                        ; implicit-def: $vgpr5
.LBB15_1618:
	s_delay_alu instid0(VALU_DEP_1)
	s_and_b32 vcc_lo, exec_lo, s2
	s_cbranch_vccnz .LBB15_2103
; %bb.1619:
	s_and_not1_b32 vcc_lo, exec_lo, s3
	s_cbranch_vccnz .LBB15_1621
.LBB15_1620:
	global_load_u8 v5, v[9:10], off
	s_mov_b32 s6, -1
	s_waitcnt vmcnt(0)
	v_cmp_ne_u16_e32 vcc_lo, 0, v5
	v_cndmask_b32_e64 v5, 0, 1, vcc_lo
.LBB15_1621:
	s_mov_b32 s2, 0
.LBB15_1622:
	s_delay_alu instid0(SALU_CYCLE_1)
	s_and_b32 vcc_lo, exec_lo, s2
	s_cbranch_vccz .LBB15_1671
; %bb.1623:
	v_cmp_gt_i16_e32 vcc_lo, 5, v12
	s_cbranch_vccnz .LBB15_1628
; %bb.1624:
	v_cmp_gt_i16_e32 vcc_lo, 8, v12
	s_cbranch_vccnz .LBB15_1629
; %bb.1625:
	v_cmp_gt_i16_e32 vcc_lo, 9, v12
	s_cbranch_vccnz .LBB15_1630
; %bb.1626:
	v_cmp_lt_i16_e32 vcc_lo, 9, v12
	s_cbranch_vccz .LBB15_1631
; %bb.1627:
	global_load_b64 v[5:6], v[9:10], off
	s_mov_b32 s2, 0
	s_waitcnt vmcnt(0)
	v_trunc_f64_e32 v[5:6], v[5:6]
	s_delay_alu instid0(VALU_DEP_1) | instskip(NEXT) | instid1(VALU_DEP_1)
	v_ldexp_f64 v[13:14], v[5:6], 0xffffffe0
	v_floor_f64_e32 v[13:14], v[13:14]
	s_delay_alu instid0(VALU_DEP_1) | instskip(NEXT) | instid1(VALU_DEP_1)
	v_fma_f64 v[5:6], 0xc1f00000, v[13:14], v[5:6]
	v_cvt_u32_f64_e32 v5, v[5:6]
	s_branch .LBB15_1632
.LBB15_1628:
	s_mov_b32 s2, -1
                                        ; implicit-def: $vgpr5
	s_branch .LBB15_1650
.LBB15_1629:
	s_mov_b32 s2, -1
                                        ; implicit-def: $vgpr5
	s_branch .LBB15_1638
.LBB15_1630:
	s_mov_b32 s2, -1
                                        ; implicit-def: $vgpr5
	s_branch .LBB15_1635
.LBB15_1631:
	s_mov_b32 s2, -1
                                        ; implicit-def: $vgpr5
.LBB15_1632:
	s_delay_alu instid0(SALU_CYCLE_1)
	s_and_not1_b32 vcc_lo, exec_lo, s2
	s_cbranch_vccnz .LBB15_1634
; %bb.1633:
	global_load_b32 v5, v[9:10], off
	s_waitcnt vmcnt(0)
	v_trunc_f32_e32 v5, v5
	s_delay_alu instid0(VALU_DEP_1) | instskip(NEXT) | instid1(VALU_DEP_1)
	v_mul_f32_e64 v6, 0x2f800000, |v5|
	v_floor_f32_e32 v6, v6
	s_delay_alu instid0(VALU_DEP_1) | instskip(SKIP_1) | instid1(VALU_DEP_2)
	v_fma_f32 v6, 0xcf800000, v6, |v5|
	v_ashrrev_i32_e32 v5, 31, v5
	v_cvt_u32_f32_e32 v6, v6
	s_delay_alu instid0(VALU_DEP_1) | instskip(NEXT) | instid1(VALU_DEP_1)
	v_xor_b32_e32 v6, v6, v5
	v_sub_nc_u32_e32 v5, v6, v5
.LBB15_1634:
	s_mov_b32 s2, 0
.LBB15_1635:
	s_delay_alu instid0(SALU_CYCLE_1)
	s_and_not1_b32 vcc_lo, exec_lo, s2
	s_cbranch_vccnz .LBB15_1637
; %bb.1636:
	global_load_b32 v5, v[9:10], off
	s_waitcnt vmcnt(0)
	v_cvt_f32_f16_e32 v5, v5
	s_delay_alu instid0(VALU_DEP_1)
	v_cvt_i32_f32_e32 v5, v5
.LBB15_1637:
	s_mov_b32 s2, 0
.LBB15_1638:
	s_delay_alu instid0(SALU_CYCLE_1)
	s_and_not1_b32 vcc_lo, exec_lo, s2
	s_cbranch_vccnz .LBB15_1649
; %bb.1639:
	v_cmp_gt_i16_e32 vcc_lo, 6, v12
	s_cbranch_vccnz .LBB15_1642
; %bb.1640:
	v_cmp_lt_i16_e32 vcc_lo, 6, v12
	s_cbranch_vccz .LBB15_1643
; %bb.1641:
	global_load_b64 v[5:6], v[9:10], off
	s_mov_b32 s2, 0
	s_waitcnt vmcnt(0)
	v_trunc_f64_e32 v[5:6], v[5:6]
	s_delay_alu instid0(VALU_DEP_1) | instskip(NEXT) | instid1(VALU_DEP_1)
	v_ldexp_f64 v[13:14], v[5:6], 0xffffffe0
	v_floor_f64_e32 v[13:14], v[13:14]
	s_delay_alu instid0(VALU_DEP_1) | instskip(NEXT) | instid1(VALU_DEP_1)
	v_fma_f64 v[5:6], 0xc1f00000, v[13:14], v[5:6]
	v_cvt_u32_f64_e32 v5, v[5:6]
	s_branch .LBB15_1644
.LBB15_1642:
	s_mov_b32 s2, -1
                                        ; implicit-def: $vgpr5
	s_branch .LBB15_1647
.LBB15_1643:
	s_mov_b32 s2, -1
                                        ; implicit-def: $vgpr5
.LBB15_1644:
	s_delay_alu instid0(SALU_CYCLE_1)
	s_and_not1_b32 vcc_lo, exec_lo, s2
	s_cbranch_vccnz .LBB15_1646
; %bb.1645:
	global_load_b32 v5, v[9:10], off
	s_waitcnt vmcnt(0)
	v_trunc_f32_e32 v5, v5
	s_delay_alu instid0(VALU_DEP_1) | instskip(NEXT) | instid1(VALU_DEP_1)
	v_mul_f32_e64 v6, 0x2f800000, |v5|
	v_floor_f32_e32 v6, v6
	s_delay_alu instid0(VALU_DEP_1) | instskip(SKIP_1) | instid1(VALU_DEP_2)
	v_fma_f32 v6, 0xcf800000, v6, |v5|
	v_ashrrev_i32_e32 v5, 31, v5
	v_cvt_u32_f32_e32 v6, v6
	s_delay_alu instid0(VALU_DEP_1) | instskip(NEXT) | instid1(VALU_DEP_1)
	v_xor_b32_e32 v6, v6, v5
	v_sub_nc_u32_e32 v5, v6, v5
.LBB15_1646:
	s_mov_b32 s2, 0
.LBB15_1647:
	s_delay_alu instid0(SALU_CYCLE_1)
	s_and_not1_b32 vcc_lo, exec_lo, s2
	s_cbranch_vccnz .LBB15_1649
; %bb.1648:
	global_load_u16 v5, v[9:10], off
	s_waitcnt vmcnt(0)
	v_cvt_f32_f16_e32 v5, v5
	s_delay_alu instid0(VALU_DEP_1)
	v_cvt_i32_f32_e32 v5, v5
.LBB15_1649:
	s_mov_b32 s2, 0
.LBB15_1650:
	s_delay_alu instid0(SALU_CYCLE_1)
	s_and_not1_b32 vcc_lo, exec_lo, s2
	s_cbranch_vccnz .LBB15_1670
; %bb.1651:
	v_cmp_gt_i16_e32 vcc_lo, 2, v12
	s_cbranch_vccnz .LBB15_1655
; %bb.1652:
	v_cmp_gt_i16_e32 vcc_lo, 3, v12
	s_cbranch_vccnz .LBB15_1656
; %bb.1653:
	v_cmp_lt_i16_e32 vcc_lo, 3, v12
	s_cbranch_vccz .LBB15_1657
; %bb.1654:
	global_load_b64 v[5:6], v[9:10], off
	s_mov_b32 s2, 0
	s_branch .LBB15_1658
.LBB15_1655:
	s_mov_b32 s2, -1
                                        ; implicit-def: $vgpr5
	s_branch .LBB15_1664
.LBB15_1656:
	s_mov_b32 s2, -1
                                        ; implicit-def: $vgpr5
	s_branch .LBB15_1661
.LBB15_1657:
	s_mov_b32 s2, -1
                                        ; implicit-def: $vgpr5
.LBB15_1658:
	s_delay_alu instid0(SALU_CYCLE_1)
	s_and_not1_b32 vcc_lo, exec_lo, s2
	s_cbranch_vccnz .LBB15_1660
; %bb.1659:
	global_load_b32 v5, v[9:10], off
.LBB15_1660:
	s_mov_b32 s2, 0
.LBB15_1661:
	s_delay_alu instid0(SALU_CYCLE_1)
	s_and_not1_b32 vcc_lo, exec_lo, s2
	s_cbranch_vccnz .LBB15_1663
; %bb.1662:
	global_load_u16 v5, v[9:10], off
.LBB15_1663:
	s_mov_b32 s2, 0
.LBB15_1664:
	s_delay_alu instid0(SALU_CYCLE_1)
	s_and_not1_b32 vcc_lo, exec_lo, s2
	s_cbranch_vccnz .LBB15_1670
; %bb.1665:
	v_cmp_lt_i16_e32 vcc_lo, 0, v12
	s_mov_b32 s2, 0
	s_cbranch_vccz .LBB15_1667
; %bb.1666:
	global_load_u8 v5, v[9:10], off
	s_branch .LBB15_1668
.LBB15_1667:
	s_mov_b32 s2, -1
                                        ; implicit-def: $vgpr5
.LBB15_1668:
	s_delay_alu instid0(SALU_CYCLE_1)
	s_and_not1_b32 vcc_lo, exec_lo, s2
	s_cbranch_vccnz .LBB15_1670
; %bb.1669:
	global_load_u8 v5, v[9:10], off
.LBB15_1670:
	s_mov_b32 s6, -1
.LBB15_1671:
	s_delay_alu instid0(SALU_CYCLE_1)
	s_and_not1_b32 vcc_lo, exec_lo, s6
	s_cbranch_vccnz .LBB15_2102
; %bb.1672:
	s_lshr_b32 s0, s0, 8
	v_add_co_u32 v9, s2, s4, v3
	s_waitcnt vmcnt(0)
	v_and_b32_e64 v6, 0xff, s0
	v_xor_b32_e32 v11, -1, v4
	v_add_co_ci_u32_e64 v10, null, s5, 0, s2
	s_mov_b32 s0, -1
	s_delay_alu instid0(VALU_DEP_3)
	v_cmp_gt_i16_e32 vcc_lo, 11, v6
	s_mov_b32 s3, 0
	s_cbranch_vccnz .LBB15_1750
; %bb.1673:
	v_cmp_lt_i16_e32 vcc_lo, 25, v6
	s_mov_b32 s6, -1
	s_mov_b32 s2, 0
	s_mov_b32 s0, 0
	s_cbranch_vccz .LBB15_1706
; %bb.1674:
	v_cmp_lt_i16_e32 vcc_lo, 28, v6
	s_cbranch_vccz .LBB15_1689
; %bb.1675:
	v_cmp_lt_i16_e32 vcc_lo, 43, v6
	;; [unrolled: 3-line block ×3, first 2 shown]
	s_cbranch_vccz .LBB15_1679
; %bb.1677:
	v_cmp_eq_u16_e32 vcc_lo, 46, v6
	s_mov_b32 s0, -1
	s_mov_b32 s6, 0
	s_cbranch_vccz .LBB15_1679
; %bb.1678:
	v_cvt_f32_ubyte0_e32 v3, v11
	s_mov_b32 s0, 0
	s_mov_b32 s3, -1
	s_delay_alu instid0(VALU_DEP_1) | instskip(NEXT) | instid1(VALU_DEP_1)
	v_bfe_u32 v12, v3, 16, 1
	v_add3_u32 v3, v3, v12, 0x7fff
	s_delay_alu instid0(VALU_DEP_1)
	v_lshrrev_b32_e32 v3, 16, v3
	global_store_b32 v[9:10], v3, off
.LBB15_1679:
	s_and_b32 vcc_lo, exec_lo, s6
	s_cbranch_vccz .LBB15_1684
; %bb.1680:
	v_cmp_eq_u16_e32 vcc_lo, 44, v6
	s_mov_b32 s0, -1
	s_cbranch_vccz .LBB15_1684
; %bb.1681:
	v_cvt_f32_ubyte0_e32 v13, v11
	v_mov_b32_e32 v12, 0xff
	s_mov_b32 s3, exec_lo
	s_delay_alu instid0(VALU_DEP_2) | instskip(NEXT) | instid1(VALU_DEP_1)
	v_lshrrev_b32_e32 v3, 23, v13
	v_cmpx_ne_u32_e32 0xff, v3
; %bb.1682:
	v_and_b32_e32 v12, 0x400000, v13
	v_and_or_b32 v13, 0x3fffff, v13, v3
	s_delay_alu instid0(VALU_DEP_2) | instskip(NEXT) | instid1(VALU_DEP_2)
	v_cmp_ne_u32_e32 vcc_lo, 0, v12
	v_cmp_ne_u32_e64 s0, 0, v13
	s_delay_alu instid0(VALU_DEP_1) | instskip(NEXT) | instid1(SALU_CYCLE_1)
	s_and_b32 s0, vcc_lo, s0
	v_cndmask_b32_e64 v12, 0, 1, s0
	s_delay_alu instid0(VALU_DEP_1)
	v_add_nc_u32_e32 v12, v3, v12
; %bb.1683:
	s_or_b32 exec_lo, exec_lo, s3
	s_mov_b32 s0, 0
	s_mov_b32 s3, -1
	global_store_b8 v[9:10], v12, off
.LBB15_1684:
	s_mov_b32 s6, 0
.LBB15_1685:
	s_delay_alu instid0(SALU_CYCLE_1)
	s_and_b32 vcc_lo, exec_lo, s6
	s_cbranch_vccz .LBB15_1688
; %bb.1686:
	v_cmp_eq_u16_e32 vcc_lo, 29, v6
	s_mov_b32 s0, -1
	s_cbranch_vccz .LBB15_1688
; %bb.1687:
	v_dual_mov_b32 v13, 0 :: v_dual_and_b32 v12, 0xff, v11
	s_mov_b32 s0, 0
	s_mov_b32 s3, -1
	global_store_b64 v[9:10], v[12:13], off
.LBB15_1688:
	s_mov_b32 s6, 0
.LBB15_1689:
	s_delay_alu instid0(SALU_CYCLE_1)
	s_and_b32 vcc_lo, exec_lo, s6
	s_cbranch_vccz .LBB15_1705
; %bb.1690:
	v_cmp_gt_i16_e32 vcc_lo, 27, v6
	s_mov_b32 s3, -1
	s_cbranch_vccnz .LBB15_1696
; %bb.1691:
	v_cmp_lt_i16_e32 vcc_lo, 27, v6
	s_cbranch_vccz .LBB15_1693
; %bb.1692:
	v_and_b32_e32 v3, 0xff, v11
	s_mov_b32 s3, 0
	global_store_b32 v[9:10], v3, off
.LBB15_1693:
	s_and_not1_b32 vcc_lo, exec_lo, s3
	s_cbranch_vccnz .LBB15_1695
; %bb.1694:
	v_and_b32_e32 v3, 0xff, v11
	global_store_b16 v[9:10], v3, off
.LBB15_1695:
	s_mov_b32 s3, 0
.LBB15_1696:
	s_delay_alu instid0(SALU_CYCLE_1)
	s_and_not1_b32 vcc_lo, exec_lo, s3
	s_cbranch_vccnz .LBB15_1704
; %bb.1697:
	v_cvt_f32_ubyte0_e32 v12, v11
	v_mov_b32_e32 v13, 0x80
	s_mov_b32 s3, exec_lo
	s_delay_alu instid0(VALU_DEP_2)
	v_cmpx_gt_u32_e32 0x43800000, v12
	s_cbranch_execz .LBB15_1703
; %bb.1698:
	s_mov_b32 s6, 0
	s_mov_b32 s7, exec_lo
                                        ; implicit-def: $vgpr3
	v_cmpx_lt_u32_e32 0x3bffffff, v12
	s_xor_b32 s7, exec_lo, s7
	s_cbranch_execz .LBB15_2105
; %bb.1699:
	v_bfe_u32 v3, v12, 20, 1
	s_mov_b32 s6, exec_lo
	s_delay_alu instid0(VALU_DEP_1) | instskip(NEXT) | instid1(VALU_DEP_1)
	v_add3_u32 v3, v12, v3, 0x487ffff
                                        ; implicit-def: $vgpr12
	v_lshrrev_b32_e32 v3, 20, v3
	s_or_saveexec_b32 s7, s7
                                        ; implicit-def: $sgpr10
	s_delay_alu instid0(SALU_CYCLE_1)
	s_xor_b32 exec_lo, exec_lo, s7
	s_cbranch_execnz .LBB15_2106
.LBB15_1700:
	s_or_b32 exec_lo, exec_lo, s7
	v_mov_b32_e32 v13, s10
	s_and_saveexec_b32 s7, s6
.LBB15_1701:
	v_mov_b32_e32 v13, v3
.LBB15_1702:
	s_or_b32 exec_lo, exec_lo, s7
.LBB15_1703:
	s_delay_alu instid0(SALU_CYCLE_1)
	s_or_b32 exec_lo, exec_lo, s3
	global_store_b8 v[9:10], v13, off
.LBB15_1704:
	s_mov_b32 s3, -1
.LBB15_1705:
	s_mov_b32 s6, 0
.LBB15_1706:
	s_delay_alu instid0(SALU_CYCLE_1)
	s_and_b32 vcc_lo, exec_lo, s6
	s_cbranch_vccz .LBB15_1746
; %bb.1707:
	v_cmp_lt_i16_e32 vcc_lo, 22, v6
	s_mov_b32 s2, -1
	s_cbranch_vccz .LBB15_1739
; %bb.1708:
	v_cmp_gt_i16_e32 vcc_lo, 24, v6
	s_cbranch_vccnz .LBB15_1728
; %bb.1709:
	v_cmp_lt_i16_e32 vcc_lo, 24, v6
	s_cbranch_vccz .LBB15_1717
; %bb.1710:
	v_cvt_f32_ubyte0_e32 v12, v11
	v_mov_b32_e32 v13, 0x80
	s_mov_b32 s2, exec_lo
	s_delay_alu instid0(VALU_DEP_2)
	v_cmpx_gt_u32_e32 0x47800000, v12
	s_cbranch_execz .LBB15_1716
; %bb.1711:
	s_mov_b32 s3, 0
	s_mov_b32 s6, exec_lo
                                        ; implicit-def: $vgpr3
	v_cmpx_lt_u32_e32 0x37ffffff, v12
	s_xor_b32 s6, exec_lo, s6
	s_cbranch_execz .LBB15_2111
; %bb.1712:
	v_bfe_u32 v3, v12, 21, 1
	s_mov_b32 s3, exec_lo
	s_delay_alu instid0(VALU_DEP_1) | instskip(NEXT) | instid1(VALU_DEP_1)
	v_add3_u32 v3, v12, v3, 0x88fffff
                                        ; implicit-def: $vgpr12
	v_lshrrev_b32_e32 v3, 21, v3
	s_or_saveexec_b32 s6, s6
                                        ; implicit-def: $sgpr7
	s_delay_alu instid0(SALU_CYCLE_1)
	s_xor_b32 exec_lo, exec_lo, s6
	s_cbranch_execnz .LBB15_2112
.LBB15_1713:
	s_or_b32 exec_lo, exec_lo, s6
	v_mov_b32_e32 v13, s7
	s_and_saveexec_b32 s6, s3
.LBB15_1714:
	v_mov_b32_e32 v13, v3
.LBB15_1715:
	s_or_b32 exec_lo, exec_lo, s6
.LBB15_1716:
	s_delay_alu instid0(SALU_CYCLE_1)
	s_or_b32 exec_lo, exec_lo, s2
	s_mov_b32 s2, 0
	global_store_b8 v[9:10], v13, off
.LBB15_1717:
	s_and_b32 vcc_lo, exec_lo, s2
	s_cbranch_vccz .LBB15_1727
; %bb.1718:
	v_cvt_f32_ubyte0_e32 v12, v11
	s_mov_b32 s2, exec_lo
                                        ; implicit-def: $vgpr3
	s_delay_alu instid0(VALU_DEP_1)
	v_cmpx_gt_u32_e32 0x43f00000, v12
	s_xor_b32 s2, exec_lo, s2
	s_cbranch_execz .LBB15_1724
; %bb.1719:
	s_mov_b32 s3, exec_lo
                                        ; implicit-def: $vgpr3
	v_cmpx_lt_u32_e32 0x3c7fffff, v12
	s_xor_b32 s3, exec_lo, s3
; %bb.1720:
	v_bfe_u32 v3, v12, 20, 1
	s_delay_alu instid0(VALU_DEP_1) | instskip(NEXT) | instid1(VALU_DEP_1)
	v_add3_u32 v3, v12, v3, 0x407ffff
	v_and_b32_e32 v12, 0xff00000, v3
	v_lshrrev_b32_e32 v3, 20, v3
	s_delay_alu instid0(VALU_DEP_2) | instskip(NEXT) | instid1(VALU_DEP_2)
	v_cmp_ne_u32_e32 vcc_lo, 0x7f00000, v12
                                        ; implicit-def: $vgpr12
	v_cndmask_b32_e32 v3, 0x7e, v3, vcc_lo
; %bb.1721:
	s_and_not1_saveexec_b32 s3, s3
; %bb.1722:
	v_add_f32_e32 v3, 0x46800000, v12
; %bb.1723:
	s_or_b32 exec_lo, exec_lo, s3
                                        ; implicit-def: $vgpr12
.LBB15_1724:
	s_and_not1_saveexec_b32 s2, s2
; %bb.1725:
	v_mov_b32_e32 v3, 0x7f
	v_cmp_lt_u32_e32 vcc_lo, 0x7f800000, v12
	s_delay_alu instid0(VALU_DEP_2)
	v_cndmask_b32_e32 v3, 0x7e, v3, vcc_lo
; %bb.1726:
	s_or_b32 exec_lo, exec_lo, s2
	global_store_b8 v[9:10], v3, off
.LBB15_1727:
	s_mov_b32 s2, 0
.LBB15_1728:
	s_delay_alu instid0(SALU_CYCLE_1)
	s_and_not1_b32 vcc_lo, exec_lo, s2
	s_cbranch_vccnz .LBB15_1738
; %bb.1729:
	v_cvt_f32_ubyte0_e32 v12, v11
	s_mov_b32 s2, exec_lo
                                        ; implicit-def: $vgpr3
	s_delay_alu instid0(VALU_DEP_1)
	v_cmpx_gt_u32_e32 0x47800000, v12
	s_xor_b32 s2, exec_lo, s2
	s_cbranch_execz .LBB15_1735
; %bb.1730:
	s_mov_b32 s3, exec_lo
                                        ; implicit-def: $vgpr3
	v_cmpx_lt_u32_e32 0x387fffff, v12
	s_xor_b32 s3, exec_lo, s3
; %bb.1731:
	v_bfe_u32 v3, v12, 21, 1
	s_delay_alu instid0(VALU_DEP_1) | instskip(NEXT) | instid1(VALU_DEP_1)
	v_add3_u32 v3, v12, v3, 0x80fffff
                                        ; implicit-def: $vgpr12
	v_lshrrev_b32_e32 v3, 21, v3
; %bb.1732:
	s_and_not1_saveexec_b32 s3, s3
; %bb.1733:
	v_add_f32_e32 v3, 0x43000000, v12
; %bb.1734:
	s_or_b32 exec_lo, exec_lo, s3
                                        ; implicit-def: $vgpr12
.LBB15_1735:
	s_and_not1_saveexec_b32 s2, s2
; %bb.1736:
	v_mov_b32_e32 v3, 0x7f
	v_cmp_lt_u32_e32 vcc_lo, 0x7f800000, v12
	s_delay_alu instid0(VALU_DEP_2)
	v_cndmask_b32_e32 v3, 0x7c, v3, vcc_lo
; %bb.1737:
	s_or_b32 exec_lo, exec_lo, s2
	global_store_b8 v[9:10], v3, off
.LBB15_1738:
	s_mov_b32 s2, 0
	s_mov_b32 s3, -1
.LBB15_1739:
	s_and_not1_b32 vcc_lo, exec_lo, s2
	s_mov_b32 s2, 0
	s_cbranch_vccnz .LBB15_1746
; %bb.1740:
	v_cmp_lt_i16_e32 vcc_lo, 14, v6
	s_mov_b32 s2, -1
	s_cbranch_vccz .LBB15_1744
; %bb.1741:
	v_cmp_eq_u16_e32 vcc_lo, 15, v6
	s_mov_b32 s0, -1
	s_cbranch_vccz .LBB15_1743
; %bb.1742:
	v_cvt_f32_ubyte0_e32 v3, v11
	s_mov_b32 s0, 0
	s_mov_b32 s3, -1
	s_delay_alu instid0(VALU_DEP_1) | instskip(NEXT) | instid1(VALU_DEP_1)
	v_bfe_u32 v12, v3, 16, 1
	v_add3_u32 v3, v3, v12, 0x7fff
	global_store_d16_hi_b16 v[9:10], v3, off
.LBB15_1743:
	s_mov_b32 s2, 0
.LBB15_1744:
	s_delay_alu instid0(SALU_CYCLE_1)
	s_and_b32 vcc_lo, exec_lo, s2
	s_mov_b32 s2, 0
	s_cbranch_vccz .LBB15_1746
; %bb.1745:
	v_cmp_ne_u16_e64 s0, 11, v6
	s_mov_b32 s2, -1
.LBB15_1746:
	s_delay_alu instid0(VALU_DEP_1)
	s_and_b32 vcc_lo, exec_lo, s0
	s_cbranch_vccnz .LBB15_2109
; %bb.1747:
	s_and_not1_b32 vcc_lo, exec_lo, s2
	s_cbranch_vccnz .LBB15_1749
.LBB15_1748:
	v_and_b32_e32 v3, 0xff, v4
	s_mov_b32 s3, -1
	s_delay_alu instid0(VALU_DEP_1)
	v_cmp_ne_u16_e32 vcc_lo, 0xff, v3
	v_cndmask_b32_e64 v3, 0, 1, vcc_lo
	global_store_b8 v[9:10], v3, off
.LBB15_1749:
	s_mov_b32 s0, 0
.LBB15_1750:
	s_delay_alu instid0(SALU_CYCLE_1)
	s_and_b32 vcc_lo, exec_lo, s0
	s_cbranch_vccz .LBB15_1789
; %bb.1751:
	v_cmp_gt_i16_e32 vcc_lo, 5, v6
	s_mov_b32 s0, -1
	s_cbranch_vccnz .LBB15_1772
; %bb.1752:
	v_cmp_gt_i16_e32 vcc_lo, 8, v6
	s_cbranch_vccnz .LBB15_1762
; %bb.1753:
	v_cmp_gt_i16_e32 vcc_lo, 9, v6
	s_cbranch_vccnz .LBB15_1759
; %bb.1754:
	v_cmp_lt_i16_e32 vcc_lo, 9, v6
	s_cbranch_vccz .LBB15_1756
; %bb.1755:
	v_dual_mov_b32 v14, 0 :: v_dual_and_b32 v3, 0xff, v11
	s_mov_b32 s0, 0
	s_delay_alu instid0(VALU_DEP_1) | instskip(NEXT) | instid1(VALU_DEP_2)
	v_and_b32_e32 v3, 0xffff, v3
	v_mov_b32_e32 v15, v14
	s_delay_alu instid0(VALU_DEP_2)
	v_cvt_f64_u32_e32 v[12:13], v3
	global_store_b128 v[9:10], v[12:15], off
.LBB15_1756:
	s_and_not1_b32 vcc_lo, exec_lo, s0
	s_cbranch_vccnz .LBB15_1758
; %bb.1757:
	v_cvt_f32_ubyte0_e32 v3, v11
	v_mov_b32_e32 v4, 0
	global_store_b64 v[9:10], v[3:4], off
.LBB15_1758:
	s_mov_b32 s0, 0
.LBB15_1759:
	s_delay_alu instid0(SALU_CYCLE_1)
	s_and_not1_b32 vcc_lo, exec_lo, s0
	s_cbranch_vccnz .LBB15_1761
; %bb.1760:
	v_and_b32_e32 v3, 0xff, v11
	s_delay_alu instid0(VALU_DEP_1) | instskip(NEXT) | instid1(VALU_DEP_1)
	v_cvt_f16_u16_e32 v3, v3
	v_and_b32_e32 v3, 0xffff, v3
	global_store_b32 v[9:10], v3, off
.LBB15_1761:
	s_mov_b32 s0, 0
.LBB15_1762:
	s_delay_alu instid0(SALU_CYCLE_1)
	s_and_not1_b32 vcc_lo, exec_lo, s0
	s_cbranch_vccnz .LBB15_1771
; %bb.1763:
	v_cmp_gt_i16_e32 vcc_lo, 6, v6
	s_mov_b32 s0, -1
	s_cbranch_vccnz .LBB15_1769
; %bb.1764:
	v_cmp_lt_i16_e32 vcc_lo, 6, v6
	s_cbranch_vccz .LBB15_1766
; %bb.1765:
	v_and_b32_e32 v3, 0xff, v11
	s_mov_b32 s0, 0
	s_delay_alu instid0(VALU_DEP_1) | instskip(NEXT) | instid1(VALU_DEP_1)
	v_and_b32_e32 v3, 0xffff, v3
	v_cvt_f64_u32_e32 v[3:4], v3
	global_store_b64 v[9:10], v[3:4], off
.LBB15_1766:
	s_and_not1_b32 vcc_lo, exec_lo, s0
	s_cbranch_vccnz .LBB15_1768
; %bb.1767:
	v_cvt_f32_ubyte0_e32 v3, v11
	global_store_b32 v[9:10], v3, off
.LBB15_1768:
	s_mov_b32 s0, 0
.LBB15_1769:
	s_delay_alu instid0(SALU_CYCLE_1)
	s_and_not1_b32 vcc_lo, exec_lo, s0
	s_cbranch_vccnz .LBB15_1771
; %bb.1770:
	v_and_b32_e32 v3, 0xff, v11
	s_delay_alu instid0(VALU_DEP_1)
	v_cvt_f16_u16_e32 v3, v3
	global_store_b16 v[9:10], v3, off
.LBB15_1771:
	s_mov_b32 s0, 0
.LBB15_1772:
	s_delay_alu instid0(SALU_CYCLE_1)
	s_and_not1_b32 vcc_lo, exec_lo, s0
	s_cbranch_vccnz .LBB15_1788
; %bb.1773:
	v_cmp_gt_i16_e32 vcc_lo, 2, v6
	s_mov_b32 s0, -1
	s_cbranch_vccnz .LBB15_1783
; %bb.1774:
	v_cmp_gt_i16_e32 vcc_lo, 3, v6
	s_cbranch_vccnz .LBB15_1780
; %bb.1775:
	v_cmp_lt_i16_e32 vcc_lo, 3, v6
	s_cbranch_vccz .LBB15_1777
; %bb.1776:
	v_dual_mov_b32 v4, 0 :: v_dual_and_b32 v3, 0xff, v11
	s_mov_b32 s0, 0
	global_store_b64 v[9:10], v[3:4], off
.LBB15_1777:
	s_and_not1_b32 vcc_lo, exec_lo, s0
	s_cbranch_vccnz .LBB15_1779
; %bb.1778:
	v_and_b32_e32 v3, 0xff, v11
	global_store_b32 v[9:10], v3, off
.LBB15_1779:
	s_mov_b32 s0, 0
.LBB15_1780:
	s_delay_alu instid0(SALU_CYCLE_1)
	s_and_not1_b32 vcc_lo, exec_lo, s0
	s_cbranch_vccnz .LBB15_1782
; %bb.1781:
	v_and_b32_e32 v3, 0xff, v11
	global_store_b16 v[9:10], v3, off
.LBB15_1782:
	s_mov_b32 s0, 0
.LBB15_1783:
	s_delay_alu instid0(SALU_CYCLE_1)
	s_and_not1_b32 vcc_lo, exec_lo, s0
	s_cbranch_vccnz .LBB15_1788
; %bb.1784:
	v_cmp_lt_i16_e32 vcc_lo, 0, v6
	s_mov_b32 s0, -1
	s_cbranch_vccz .LBB15_1786
; %bb.1785:
	s_mov_b32 s0, 0
	global_store_b8 v[9:10], v11, off
.LBB15_1786:
	s_and_not1_b32 vcc_lo, exec_lo, s0
	s_cbranch_vccnz .LBB15_1788
; %bb.1787:
	global_store_b8 v[9:10], v11, off
.LBB15_1788:
	s_mov_b32 s3, -1
.LBB15_1789:
	s_delay_alu instid0(SALU_CYCLE_1)
	s_and_not1_b32 vcc_lo, exec_lo, s3
	s_cbranch_vccnz .LBB15_2102
; %bb.1790:
	v_cmp_gt_i16_e32 vcc_lo, 11, v6
	v_add_co_u32 v2, s2, s4, v2
	v_xor_b32_e32 v4, -1, v7
	v_add_co_ci_u32_e64 v3, null, s5, 0, s2
	s_mov_b32 s0, -1
	s_mov_b32 s3, 0
	s_cbranch_vccnz .LBB15_1868
; %bb.1791:
	v_cmp_lt_i16_e32 vcc_lo, 25, v6
	s_mov_b32 s6, -1
	s_mov_b32 s2, 0
	s_mov_b32 s0, 0
	s_cbranch_vccz .LBB15_1824
; %bb.1792:
	v_cmp_lt_i16_e32 vcc_lo, 28, v6
	s_cbranch_vccz .LBB15_1807
; %bb.1793:
	v_cmp_lt_i16_e32 vcc_lo, 43, v6
	;; [unrolled: 3-line block ×3, first 2 shown]
	s_cbranch_vccz .LBB15_1797
; %bb.1795:
	v_cmp_eq_u16_e32 vcc_lo, 46, v6
	s_mov_b32 s0, -1
	s_mov_b32 s6, 0
	s_cbranch_vccz .LBB15_1797
; %bb.1796:
	v_cvt_f32_ubyte0_e32 v9, v4
	s_mov_b32 s0, 0
	s_mov_b32 s3, -1
	s_delay_alu instid0(VALU_DEP_1) | instskip(NEXT) | instid1(VALU_DEP_1)
	v_bfe_u32 v10, v9, 16, 1
	v_add3_u32 v9, v9, v10, 0x7fff
	s_delay_alu instid0(VALU_DEP_1)
	v_lshrrev_b32_e32 v9, 16, v9
	global_store_b32 v[2:3], v9, off
.LBB15_1797:
	s_and_b32 vcc_lo, exec_lo, s6
	s_cbranch_vccz .LBB15_1802
; %bb.1798:
	v_cmp_eq_u16_e32 vcc_lo, 44, v6
	s_mov_b32 s0, -1
	s_cbranch_vccz .LBB15_1802
; %bb.1799:
	v_cvt_f32_ubyte0_e32 v11, v4
	v_mov_b32_e32 v10, 0xff
	s_mov_b32 s3, exec_lo
	s_delay_alu instid0(VALU_DEP_2) | instskip(NEXT) | instid1(VALU_DEP_1)
	v_lshrrev_b32_e32 v9, 23, v11
	v_cmpx_ne_u32_e32 0xff, v9
; %bb.1800:
	v_and_b32_e32 v10, 0x400000, v11
	v_and_or_b32 v11, 0x3fffff, v11, v9
	s_delay_alu instid0(VALU_DEP_2) | instskip(NEXT) | instid1(VALU_DEP_2)
	v_cmp_ne_u32_e32 vcc_lo, 0, v10
	v_cmp_ne_u32_e64 s0, 0, v11
	s_delay_alu instid0(VALU_DEP_1) | instskip(NEXT) | instid1(SALU_CYCLE_1)
	s_and_b32 s0, vcc_lo, s0
	v_cndmask_b32_e64 v10, 0, 1, s0
	s_delay_alu instid0(VALU_DEP_1)
	v_add_nc_u32_e32 v10, v9, v10
; %bb.1801:
	s_or_b32 exec_lo, exec_lo, s3
	s_mov_b32 s0, 0
	s_mov_b32 s3, -1
	global_store_b8 v[2:3], v10, off
.LBB15_1802:
	s_mov_b32 s6, 0
.LBB15_1803:
	s_delay_alu instid0(SALU_CYCLE_1)
	s_and_b32 vcc_lo, exec_lo, s6
	s_cbranch_vccz .LBB15_1806
; %bb.1804:
	v_cmp_eq_u16_e32 vcc_lo, 29, v6
	s_mov_b32 s0, -1
	s_cbranch_vccz .LBB15_1806
; %bb.1805:
	v_dual_mov_b32 v10, 0 :: v_dual_and_b32 v9, 0xff, v4
	s_mov_b32 s0, 0
	s_mov_b32 s3, -1
	global_store_b64 v[2:3], v[9:10], off
.LBB15_1806:
	s_mov_b32 s6, 0
.LBB15_1807:
	s_delay_alu instid0(SALU_CYCLE_1)
	s_and_b32 vcc_lo, exec_lo, s6
	s_cbranch_vccz .LBB15_1823
; %bb.1808:
	v_cmp_gt_i16_e32 vcc_lo, 27, v6
	s_mov_b32 s3, -1
	s_cbranch_vccnz .LBB15_1814
; %bb.1809:
	v_cmp_lt_i16_e32 vcc_lo, 27, v6
	s_cbranch_vccz .LBB15_1811
; %bb.1810:
	v_and_b32_e32 v9, 0xff, v4
	s_mov_b32 s3, 0
	global_store_b32 v[2:3], v9, off
.LBB15_1811:
	s_and_not1_b32 vcc_lo, exec_lo, s3
	s_cbranch_vccnz .LBB15_1813
; %bb.1812:
	v_and_b32_e32 v9, 0xff, v4
	global_store_b16 v[2:3], v9, off
.LBB15_1813:
	s_mov_b32 s3, 0
.LBB15_1814:
	s_delay_alu instid0(SALU_CYCLE_1)
	s_and_not1_b32 vcc_lo, exec_lo, s3
	s_cbranch_vccnz .LBB15_1822
; %bb.1815:
	v_cvt_f32_ubyte0_e32 v10, v4
	v_mov_b32_e32 v11, 0x80
	s_mov_b32 s3, exec_lo
	s_delay_alu instid0(VALU_DEP_2)
	v_cmpx_gt_u32_e32 0x43800000, v10
	s_cbranch_execz .LBB15_1821
; %bb.1816:
	s_mov_b32 s6, 0
	s_mov_b32 s7, exec_lo
                                        ; implicit-def: $vgpr9
	v_cmpx_lt_u32_e32 0x3bffffff, v10
	s_xor_b32 s7, exec_lo, s7
	s_cbranch_execz .LBB15_2113
; %bb.1817:
	v_bfe_u32 v9, v10, 20, 1
	s_mov_b32 s6, exec_lo
	s_delay_alu instid0(VALU_DEP_1) | instskip(NEXT) | instid1(VALU_DEP_1)
	v_add3_u32 v9, v10, v9, 0x487ffff
                                        ; implicit-def: $vgpr10
	v_lshrrev_b32_e32 v9, 20, v9
	s_or_saveexec_b32 s7, s7
                                        ; implicit-def: $sgpr10
	s_delay_alu instid0(SALU_CYCLE_1)
	s_xor_b32 exec_lo, exec_lo, s7
	s_cbranch_execnz .LBB15_2114
.LBB15_1818:
	s_or_b32 exec_lo, exec_lo, s7
	v_mov_b32_e32 v11, s10
	s_and_saveexec_b32 s7, s6
.LBB15_1819:
	v_mov_b32_e32 v11, v9
.LBB15_1820:
	s_or_b32 exec_lo, exec_lo, s7
.LBB15_1821:
	s_delay_alu instid0(SALU_CYCLE_1)
	s_or_b32 exec_lo, exec_lo, s3
	global_store_b8 v[2:3], v11, off
.LBB15_1822:
	s_mov_b32 s3, -1
.LBB15_1823:
	s_mov_b32 s6, 0
.LBB15_1824:
	s_delay_alu instid0(SALU_CYCLE_1)
	s_and_b32 vcc_lo, exec_lo, s6
	s_cbranch_vccz .LBB15_1864
; %bb.1825:
	v_cmp_lt_i16_e32 vcc_lo, 22, v6
	s_mov_b32 s2, -1
	s_cbranch_vccz .LBB15_1857
; %bb.1826:
	v_cmp_gt_i16_e32 vcc_lo, 24, v6
	s_cbranch_vccnz .LBB15_1846
; %bb.1827:
	v_cmp_lt_i16_e32 vcc_lo, 24, v6
	s_cbranch_vccz .LBB15_1835
; %bb.1828:
	v_cvt_f32_ubyte0_e32 v10, v4
	v_mov_b32_e32 v11, 0x80
	s_mov_b32 s2, exec_lo
	s_delay_alu instid0(VALU_DEP_2)
	v_cmpx_gt_u32_e32 0x47800000, v10
	s_cbranch_execz .LBB15_1834
; %bb.1829:
	s_mov_b32 s3, 0
	s_mov_b32 s6, exec_lo
                                        ; implicit-def: $vgpr9
	v_cmpx_lt_u32_e32 0x37ffffff, v10
	s_xor_b32 s6, exec_lo, s6
	s_cbranch_execz .LBB15_2119
; %bb.1830:
	v_bfe_u32 v9, v10, 21, 1
	s_mov_b32 s3, exec_lo
	s_delay_alu instid0(VALU_DEP_1) | instskip(NEXT) | instid1(VALU_DEP_1)
	v_add3_u32 v9, v10, v9, 0x88fffff
                                        ; implicit-def: $vgpr10
	v_lshrrev_b32_e32 v9, 21, v9
	s_or_saveexec_b32 s6, s6
                                        ; implicit-def: $sgpr7
	s_delay_alu instid0(SALU_CYCLE_1)
	s_xor_b32 exec_lo, exec_lo, s6
	s_cbranch_execnz .LBB15_2120
.LBB15_1831:
	s_or_b32 exec_lo, exec_lo, s6
	v_mov_b32_e32 v11, s7
	s_and_saveexec_b32 s6, s3
.LBB15_1832:
	v_mov_b32_e32 v11, v9
.LBB15_1833:
	s_or_b32 exec_lo, exec_lo, s6
.LBB15_1834:
	s_delay_alu instid0(SALU_CYCLE_1)
	s_or_b32 exec_lo, exec_lo, s2
	s_mov_b32 s2, 0
	global_store_b8 v[2:3], v11, off
.LBB15_1835:
	s_and_b32 vcc_lo, exec_lo, s2
	s_cbranch_vccz .LBB15_1845
; %bb.1836:
	v_cvt_f32_ubyte0_e32 v10, v4
	s_mov_b32 s2, exec_lo
                                        ; implicit-def: $vgpr9
	s_delay_alu instid0(VALU_DEP_1)
	v_cmpx_gt_u32_e32 0x43f00000, v10
	s_xor_b32 s2, exec_lo, s2
	s_cbranch_execz .LBB15_1842
; %bb.1837:
	s_mov_b32 s3, exec_lo
                                        ; implicit-def: $vgpr9
	v_cmpx_lt_u32_e32 0x3c7fffff, v10
	s_xor_b32 s3, exec_lo, s3
; %bb.1838:
	v_bfe_u32 v9, v10, 20, 1
	s_delay_alu instid0(VALU_DEP_1) | instskip(NEXT) | instid1(VALU_DEP_1)
	v_add3_u32 v9, v10, v9, 0x407ffff
	v_and_b32_e32 v10, 0xff00000, v9
	v_lshrrev_b32_e32 v9, 20, v9
	s_delay_alu instid0(VALU_DEP_2) | instskip(NEXT) | instid1(VALU_DEP_2)
	v_cmp_ne_u32_e32 vcc_lo, 0x7f00000, v10
                                        ; implicit-def: $vgpr10
	v_cndmask_b32_e32 v9, 0x7e, v9, vcc_lo
; %bb.1839:
	s_and_not1_saveexec_b32 s3, s3
; %bb.1840:
	v_add_f32_e32 v9, 0x46800000, v10
; %bb.1841:
	s_or_b32 exec_lo, exec_lo, s3
                                        ; implicit-def: $vgpr10
.LBB15_1842:
	s_and_not1_saveexec_b32 s2, s2
; %bb.1843:
	v_mov_b32_e32 v9, 0x7f
	v_cmp_lt_u32_e32 vcc_lo, 0x7f800000, v10
	s_delay_alu instid0(VALU_DEP_2)
	v_cndmask_b32_e32 v9, 0x7e, v9, vcc_lo
; %bb.1844:
	s_or_b32 exec_lo, exec_lo, s2
	global_store_b8 v[2:3], v9, off
.LBB15_1845:
	s_mov_b32 s2, 0
.LBB15_1846:
	s_delay_alu instid0(SALU_CYCLE_1)
	s_and_not1_b32 vcc_lo, exec_lo, s2
	s_cbranch_vccnz .LBB15_1856
; %bb.1847:
	v_cvt_f32_ubyte0_e32 v10, v4
	s_mov_b32 s2, exec_lo
                                        ; implicit-def: $vgpr9
	s_delay_alu instid0(VALU_DEP_1)
	v_cmpx_gt_u32_e32 0x47800000, v10
	s_xor_b32 s2, exec_lo, s2
	s_cbranch_execz .LBB15_1853
; %bb.1848:
	s_mov_b32 s3, exec_lo
                                        ; implicit-def: $vgpr9
	v_cmpx_lt_u32_e32 0x387fffff, v10
	s_xor_b32 s3, exec_lo, s3
; %bb.1849:
	v_bfe_u32 v9, v10, 21, 1
	s_delay_alu instid0(VALU_DEP_1) | instskip(NEXT) | instid1(VALU_DEP_1)
	v_add3_u32 v9, v10, v9, 0x80fffff
                                        ; implicit-def: $vgpr10
	v_lshrrev_b32_e32 v9, 21, v9
; %bb.1850:
	s_and_not1_saveexec_b32 s3, s3
; %bb.1851:
	v_add_f32_e32 v9, 0x43000000, v10
; %bb.1852:
	s_or_b32 exec_lo, exec_lo, s3
                                        ; implicit-def: $vgpr10
.LBB15_1853:
	s_and_not1_saveexec_b32 s2, s2
; %bb.1854:
	v_mov_b32_e32 v9, 0x7f
	v_cmp_lt_u32_e32 vcc_lo, 0x7f800000, v10
	s_delay_alu instid0(VALU_DEP_2)
	v_cndmask_b32_e32 v9, 0x7c, v9, vcc_lo
; %bb.1855:
	s_or_b32 exec_lo, exec_lo, s2
	global_store_b8 v[2:3], v9, off
.LBB15_1856:
	s_mov_b32 s2, 0
	s_mov_b32 s3, -1
.LBB15_1857:
	s_and_not1_b32 vcc_lo, exec_lo, s2
	s_mov_b32 s2, 0
	s_cbranch_vccnz .LBB15_1864
; %bb.1858:
	v_cmp_lt_i16_e32 vcc_lo, 14, v6
	s_mov_b32 s2, -1
	s_cbranch_vccz .LBB15_1862
; %bb.1859:
	v_cmp_eq_u16_e32 vcc_lo, 15, v6
	s_mov_b32 s0, -1
	s_cbranch_vccz .LBB15_1861
; %bb.1860:
	v_cvt_f32_ubyte0_e32 v9, v4
	s_mov_b32 s0, 0
	s_mov_b32 s3, -1
	s_delay_alu instid0(VALU_DEP_1) | instskip(NEXT) | instid1(VALU_DEP_1)
	v_bfe_u32 v10, v9, 16, 1
	v_add3_u32 v9, v9, v10, 0x7fff
	global_store_d16_hi_b16 v[2:3], v9, off
.LBB15_1861:
	s_mov_b32 s2, 0
.LBB15_1862:
	s_delay_alu instid0(SALU_CYCLE_1)
	s_and_b32 vcc_lo, exec_lo, s2
	s_mov_b32 s2, 0
	s_cbranch_vccz .LBB15_1864
; %bb.1863:
	v_cmp_ne_u16_e64 s0, 11, v6
	s_mov_b32 s2, -1
.LBB15_1864:
	s_delay_alu instid0(VALU_DEP_1)
	s_and_b32 vcc_lo, exec_lo, s0
	s_cbranch_vccnz .LBB15_2117
; %bb.1865:
	s_and_not1_b32 vcc_lo, exec_lo, s2
	s_cbranch_vccnz .LBB15_1867
.LBB15_1866:
	v_and_b32_e32 v7, 0xff, v7
	s_mov_b32 s3, -1
	s_delay_alu instid0(VALU_DEP_1)
	v_cmp_ne_u16_e32 vcc_lo, 0xff, v7
	v_cndmask_b32_e64 v7, 0, 1, vcc_lo
	global_store_b8 v[2:3], v7, off
.LBB15_1867:
	s_mov_b32 s0, 0
.LBB15_1868:
	s_delay_alu instid0(SALU_CYCLE_1)
	s_and_b32 vcc_lo, exec_lo, s0
	s_cbranch_vccz .LBB15_1907
; %bb.1869:
	v_cmp_gt_i16_e32 vcc_lo, 5, v6
	s_mov_b32 s0, -1
	s_cbranch_vccnz .LBB15_1890
; %bb.1870:
	v_cmp_gt_i16_e32 vcc_lo, 8, v6
	s_cbranch_vccnz .LBB15_1880
; %bb.1871:
	v_cmp_gt_i16_e32 vcc_lo, 9, v6
	s_cbranch_vccnz .LBB15_1877
; %bb.1872:
	v_cmp_lt_i16_e32 vcc_lo, 9, v6
	s_cbranch_vccz .LBB15_1874
; %bb.1873:
	v_mov_b32_e32 v11, 0
	v_and_b32_e32 v7, 0xff, v4
	s_mov_b32 s0, 0
	s_delay_alu instid0(VALU_DEP_1) | instskip(NEXT) | instid1(VALU_DEP_1)
	v_dual_mov_b32 v12, v11 :: v_dual_and_b32 v7, 0xffff, v7
	v_cvt_f64_u32_e32 v[9:10], v7
	global_store_b128 v[2:3], v[9:12], off
.LBB15_1874:
	s_and_not1_b32 vcc_lo, exec_lo, s0
	s_cbranch_vccnz .LBB15_1876
; %bb.1875:
	v_cvt_f32_ubyte0_e32 v9, v4
	v_mov_b32_e32 v10, 0
	global_store_b64 v[2:3], v[9:10], off
.LBB15_1876:
	s_mov_b32 s0, 0
.LBB15_1877:
	s_delay_alu instid0(SALU_CYCLE_1)
	s_and_not1_b32 vcc_lo, exec_lo, s0
	s_cbranch_vccnz .LBB15_1879
; %bb.1878:
	v_and_b32_e32 v7, 0xff, v4
	s_delay_alu instid0(VALU_DEP_1) | instskip(NEXT) | instid1(VALU_DEP_1)
	v_cvt_f16_u16_e32 v7, v7
	v_and_b32_e32 v7, 0xffff, v7
	global_store_b32 v[2:3], v7, off
.LBB15_1879:
	s_mov_b32 s0, 0
.LBB15_1880:
	s_delay_alu instid0(SALU_CYCLE_1)
	s_and_not1_b32 vcc_lo, exec_lo, s0
	s_cbranch_vccnz .LBB15_1889
; %bb.1881:
	v_cmp_gt_i16_e32 vcc_lo, 6, v6
	s_mov_b32 s0, -1
	s_cbranch_vccnz .LBB15_1887
; %bb.1882:
	v_cmp_lt_i16_e32 vcc_lo, 6, v6
	s_cbranch_vccz .LBB15_1884
; %bb.1883:
	v_and_b32_e32 v7, 0xff, v4
	s_mov_b32 s0, 0
	s_delay_alu instid0(VALU_DEP_1) | instskip(NEXT) | instid1(VALU_DEP_1)
	v_and_b32_e32 v7, 0xffff, v7
	v_cvt_f64_u32_e32 v[9:10], v7
	global_store_b64 v[2:3], v[9:10], off
.LBB15_1884:
	s_and_not1_b32 vcc_lo, exec_lo, s0
	s_cbranch_vccnz .LBB15_1886
; %bb.1885:
	v_cvt_f32_ubyte0_e32 v7, v4
	global_store_b32 v[2:3], v7, off
.LBB15_1886:
	s_mov_b32 s0, 0
.LBB15_1887:
	s_delay_alu instid0(SALU_CYCLE_1)
	s_and_not1_b32 vcc_lo, exec_lo, s0
	s_cbranch_vccnz .LBB15_1889
; %bb.1888:
	v_and_b32_e32 v7, 0xff, v4
	s_delay_alu instid0(VALU_DEP_1)
	v_cvt_f16_u16_e32 v7, v7
	global_store_b16 v[2:3], v7, off
.LBB15_1889:
	s_mov_b32 s0, 0
.LBB15_1890:
	s_delay_alu instid0(SALU_CYCLE_1)
	s_and_not1_b32 vcc_lo, exec_lo, s0
	s_cbranch_vccnz .LBB15_1906
; %bb.1891:
	v_cmp_gt_i16_e32 vcc_lo, 2, v6
	s_mov_b32 s0, -1
	s_cbranch_vccnz .LBB15_1901
; %bb.1892:
	v_cmp_gt_i16_e32 vcc_lo, 3, v6
	s_cbranch_vccnz .LBB15_1898
; %bb.1893:
	v_cmp_lt_i16_e32 vcc_lo, 3, v6
	s_cbranch_vccz .LBB15_1895
; %bb.1894:
	v_dual_mov_b32 v10, 0 :: v_dual_and_b32 v9, 0xff, v4
	s_mov_b32 s0, 0
	global_store_b64 v[2:3], v[9:10], off
.LBB15_1895:
	s_and_not1_b32 vcc_lo, exec_lo, s0
	s_cbranch_vccnz .LBB15_1897
; %bb.1896:
	v_and_b32_e32 v7, 0xff, v4
	global_store_b32 v[2:3], v7, off
.LBB15_1897:
	s_mov_b32 s0, 0
.LBB15_1898:
	s_delay_alu instid0(SALU_CYCLE_1)
	s_and_not1_b32 vcc_lo, exec_lo, s0
	s_cbranch_vccnz .LBB15_1900
; %bb.1899:
	v_and_b32_e32 v7, 0xff, v4
	global_store_b16 v[2:3], v7, off
.LBB15_1900:
	s_mov_b32 s0, 0
.LBB15_1901:
	s_delay_alu instid0(SALU_CYCLE_1)
	s_and_not1_b32 vcc_lo, exec_lo, s0
	s_cbranch_vccnz .LBB15_1906
; %bb.1902:
	v_cmp_lt_i16_e32 vcc_lo, 0, v6
	s_mov_b32 s0, -1
	s_cbranch_vccz .LBB15_1904
; %bb.1903:
	s_mov_b32 s0, 0
	global_store_b8 v[2:3], v4, off
.LBB15_1904:
	s_and_not1_b32 vcc_lo, exec_lo, s0
	s_cbranch_vccnz .LBB15_1906
; %bb.1905:
	global_store_b8 v[2:3], v4, off
.LBB15_1906:
	s_mov_b32 s3, -1
.LBB15_1907:
	s_delay_alu instid0(SALU_CYCLE_1)
	s_and_not1_b32 vcc_lo, exec_lo, s3
	s_cbranch_vccnz .LBB15_2102
; %bb.1908:
	v_cmp_gt_i16_e32 vcc_lo, 11, v6
	v_add_co_u32 v1, s2, s4, v1
	v_xor_b32_e32 v3, -1, v8
	v_add_co_ci_u32_e64 v2, null, s5, 0, s2
	s_mov_b32 s0, -1
	s_mov_b32 s3, 0
	s_cbranch_vccnz .LBB15_1986
; %bb.1909:
	v_cmp_lt_i16_e32 vcc_lo, 25, v6
	s_mov_b32 s6, -1
	s_mov_b32 s2, 0
	s_mov_b32 s0, 0
	s_cbranch_vccz .LBB15_1942
; %bb.1910:
	v_cmp_lt_i16_e32 vcc_lo, 28, v6
	s_cbranch_vccz .LBB15_1925
; %bb.1911:
	v_cmp_lt_i16_e32 vcc_lo, 43, v6
	;; [unrolled: 3-line block ×3, first 2 shown]
	s_cbranch_vccz .LBB15_1915
; %bb.1913:
	v_cmp_eq_u16_e32 vcc_lo, 46, v6
	s_mov_b32 s0, -1
	s_mov_b32 s6, 0
	s_cbranch_vccz .LBB15_1915
; %bb.1914:
	v_cvt_f32_ubyte0_e32 v4, v3
	s_mov_b32 s0, 0
	s_mov_b32 s3, -1
	s_delay_alu instid0(VALU_DEP_1) | instskip(NEXT) | instid1(VALU_DEP_1)
	v_bfe_u32 v7, v4, 16, 1
	v_add3_u32 v4, v4, v7, 0x7fff
	s_delay_alu instid0(VALU_DEP_1)
	v_lshrrev_b32_e32 v4, 16, v4
	global_store_b32 v[1:2], v4, off
.LBB15_1915:
	s_and_b32 vcc_lo, exec_lo, s6
	s_cbranch_vccz .LBB15_1920
; %bb.1916:
	v_cmp_eq_u16_e32 vcc_lo, 44, v6
	s_mov_b32 s0, -1
	s_cbranch_vccz .LBB15_1920
; %bb.1917:
	v_cvt_f32_ubyte0_e32 v9, v3
	v_mov_b32_e32 v7, 0xff
	s_mov_b32 s3, exec_lo
	s_delay_alu instid0(VALU_DEP_2) | instskip(NEXT) | instid1(VALU_DEP_1)
	v_lshrrev_b32_e32 v4, 23, v9
	v_cmpx_ne_u32_e32 0xff, v4
; %bb.1918:
	v_and_b32_e32 v7, 0x400000, v9
	v_and_or_b32 v9, 0x3fffff, v9, v4
	s_delay_alu instid0(VALU_DEP_2) | instskip(NEXT) | instid1(VALU_DEP_2)
	v_cmp_ne_u32_e32 vcc_lo, 0, v7
	v_cmp_ne_u32_e64 s0, 0, v9
	s_delay_alu instid0(VALU_DEP_1) | instskip(NEXT) | instid1(SALU_CYCLE_1)
	s_and_b32 s0, vcc_lo, s0
	v_cndmask_b32_e64 v7, 0, 1, s0
	s_delay_alu instid0(VALU_DEP_1)
	v_add_nc_u32_e32 v7, v4, v7
; %bb.1919:
	s_or_b32 exec_lo, exec_lo, s3
	s_mov_b32 s0, 0
	s_mov_b32 s3, -1
	global_store_b8 v[1:2], v7, off
.LBB15_1920:
	s_mov_b32 s6, 0
.LBB15_1921:
	s_delay_alu instid0(SALU_CYCLE_1)
	s_and_b32 vcc_lo, exec_lo, s6
	s_cbranch_vccz .LBB15_1924
; %bb.1922:
	v_cmp_eq_u16_e32 vcc_lo, 29, v6
	s_mov_b32 s0, -1
	s_cbranch_vccz .LBB15_1924
; %bb.1923:
	v_dual_mov_b32 v10, 0 :: v_dual_and_b32 v9, 0xff, v3
	s_mov_b32 s0, 0
	s_mov_b32 s3, -1
	global_store_b64 v[1:2], v[9:10], off
.LBB15_1924:
	s_mov_b32 s6, 0
.LBB15_1925:
	s_delay_alu instid0(SALU_CYCLE_1)
	s_and_b32 vcc_lo, exec_lo, s6
	s_cbranch_vccz .LBB15_1941
; %bb.1926:
	v_cmp_gt_i16_e32 vcc_lo, 27, v6
	s_mov_b32 s3, -1
	s_cbranch_vccnz .LBB15_1932
; %bb.1927:
	v_cmp_lt_i16_e32 vcc_lo, 27, v6
	s_cbranch_vccz .LBB15_1929
; %bb.1928:
	v_and_b32_e32 v4, 0xff, v3
	s_mov_b32 s3, 0
	global_store_b32 v[1:2], v4, off
.LBB15_1929:
	s_and_not1_b32 vcc_lo, exec_lo, s3
	s_cbranch_vccnz .LBB15_1931
; %bb.1930:
	v_and_b32_e32 v4, 0xff, v3
	global_store_b16 v[1:2], v4, off
.LBB15_1931:
	s_mov_b32 s3, 0
.LBB15_1932:
	s_delay_alu instid0(SALU_CYCLE_1)
	s_and_not1_b32 vcc_lo, exec_lo, s3
	s_cbranch_vccnz .LBB15_1940
; %bb.1933:
	v_cvt_f32_ubyte0_e32 v7, v3
	v_mov_b32_e32 v9, 0x80
	s_mov_b32 s3, exec_lo
	s_delay_alu instid0(VALU_DEP_2)
	v_cmpx_gt_u32_e32 0x43800000, v7
	s_cbranch_execz .LBB15_1939
; %bb.1934:
	s_mov_b32 s6, 0
	s_mov_b32 s7, exec_lo
                                        ; implicit-def: $vgpr4
	v_cmpx_lt_u32_e32 0x3bffffff, v7
	s_xor_b32 s7, exec_lo, s7
	s_cbranch_execz .LBB15_2121
; %bb.1935:
	v_bfe_u32 v4, v7, 20, 1
	s_mov_b32 s6, exec_lo
	s_delay_alu instid0(VALU_DEP_1) | instskip(NEXT) | instid1(VALU_DEP_1)
	v_add3_u32 v4, v7, v4, 0x487ffff
                                        ; implicit-def: $vgpr7
	v_lshrrev_b32_e32 v4, 20, v4
	s_or_saveexec_b32 s7, s7
                                        ; implicit-def: $sgpr10
	s_delay_alu instid0(SALU_CYCLE_1)
	s_xor_b32 exec_lo, exec_lo, s7
	s_cbranch_execnz .LBB15_2122
.LBB15_1936:
	s_or_b32 exec_lo, exec_lo, s7
	v_mov_b32_e32 v9, s10
	s_and_saveexec_b32 s7, s6
.LBB15_1937:
	v_mov_b32_e32 v9, v4
.LBB15_1938:
	s_or_b32 exec_lo, exec_lo, s7
.LBB15_1939:
	s_delay_alu instid0(SALU_CYCLE_1)
	s_or_b32 exec_lo, exec_lo, s3
	global_store_b8 v[1:2], v9, off
.LBB15_1940:
	s_mov_b32 s3, -1
.LBB15_1941:
	s_mov_b32 s6, 0
.LBB15_1942:
	s_delay_alu instid0(SALU_CYCLE_1)
	s_and_b32 vcc_lo, exec_lo, s6
	s_cbranch_vccz .LBB15_1982
; %bb.1943:
	v_cmp_lt_i16_e32 vcc_lo, 22, v6
	s_mov_b32 s2, -1
	s_cbranch_vccz .LBB15_1975
; %bb.1944:
	v_cmp_gt_i16_e32 vcc_lo, 24, v6
	s_cbranch_vccnz .LBB15_1964
; %bb.1945:
	v_cmp_lt_i16_e32 vcc_lo, 24, v6
	s_cbranch_vccz .LBB15_1953
; %bb.1946:
	v_cvt_f32_ubyte0_e32 v7, v3
	v_mov_b32_e32 v9, 0x80
	s_mov_b32 s2, exec_lo
	s_delay_alu instid0(VALU_DEP_2)
	v_cmpx_gt_u32_e32 0x47800000, v7
	s_cbranch_execz .LBB15_1952
; %bb.1947:
	s_mov_b32 s3, 0
	s_mov_b32 s6, exec_lo
                                        ; implicit-def: $vgpr4
	v_cmpx_lt_u32_e32 0x37ffffff, v7
	s_xor_b32 s6, exec_lo, s6
	s_cbranch_execz .LBB15_2127
; %bb.1948:
	v_bfe_u32 v4, v7, 21, 1
	s_mov_b32 s3, exec_lo
	s_delay_alu instid0(VALU_DEP_1) | instskip(NEXT) | instid1(VALU_DEP_1)
	v_add3_u32 v4, v7, v4, 0x88fffff
                                        ; implicit-def: $vgpr7
	v_lshrrev_b32_e32 v4, 21, v4
	s_or_saveexec_b32 s6, s6
                                        ; implicit-def: $sgpr7
	s_delay_alu instid0(SALU_CYCLE_1)
	s_xor_b32 exec_lo, exec_lo, s6
	s_cbranch_execnz .LBB15_2128
.LBB15_1949:
	s_or_b32 exec_lo, exec_lo, s6
	v_mov_b32_e32 v9, s7
	s_and_saveexec_b32 s6, s3
.LBB15_1950:
	v_mov_b32_e32 v9, v4
.LBB15_1951:
	s_or_b32 exec_lo, exec_lo, s6
.LBB15_1952:
	s_delay_alu instid0(SALU_CYCLE_1)
	s_or_b32 exec_lo, exec_lo, s2
	s_mov_b32 s2, 0
	global_store_b8 v[1:2], v9, off
.LBB15_1953:
	s_and_b32 vcc_lo, exec_lo, s2
	s_cbranch_vccz .LBB15_1963
; %bb.1954:
	v_cvt_f32_ubyte0_e32 v7, v3
	s_mov_b32 s2, exec_lo
                                        ; implicit-def: $vgpr4
	s_delay_alu instid0(VALU_DEP_1)
	v_cmpx_gt_u32_e32 0x43f00000, v7
	s_xor_b32 s2, exec_lo, s2
	s_cbranch_execz .LBB15_1960
; %bb.1955:
	s_mov_b32 s3, exec_lo
                                        ; implicit-def: $vgpr4
	v_cmpx_lt_u32_e32 0x3c7fffff, v7
	s_xor_b32 s3, exec_lo, s3
; %bb.1956:
	v_bfe_u32 v4, v7, 20, 1
	s_delay_alu instid0(VALU_DEP_1) | instskip(NEXT) | instid1(VALU_DEP_1)
	v_add3_u32 v4, v7, v4, 0x407ffff
	v_and_b32_e32 v7, 0xff00000, v4
	v_lshrrev_b32_e32 v4, 20, v4
	s_delay_alu instid0(VALU_DEP_2) | instskip(NEXT) | instid1(VALU_DEP_2)
	v_cmp_ne_u32_e32 vcc_lo, 0x7f00000, v7
                                        ; implicit-def: $vgpr7
	v_cndmask_b32_e32 v4, 0x7e, v4, vcc_lo
; %bb.1957:
	s_and_not1_saveexec_b32 s3, s3
; %bb.1958:
	v_add_f32_e32 v4, 0x46800000, v7
; %bb.1959:
	s_or_b32 exec_lo, exec_lo, s3
                                        ; implicit-def: $vgpr7
.LBB15_1960:
	s_and_not1_saveexec_b32 s2, s2
; %bb.1961:
	v_mov_b32_e32 v4, 0x7f
	v_cmp_lt_u32_e32 vcc_lo, 0x7f800000, v7
	s_delay_alu instid0(VALU_DEP_2)
	v_cndmask_b32_e32 v4, 0x7e, v4, vcc_lo
; %bb.1962:
	s_or_b32 exec_lo, exec_lo, s2
	global_store_b8 v[1:2], v4, off
.LBB15_1963:
	s_mov_b32 s2, 0
.LBB15_1964:
	s_delay_alu instid0(SALU_CYCLE_1)
	s_and_not1_b32 vcc_lo, exec_lo, s2
	s_cbranch_vccnz .LBB15_1974
; %bb.1965:
	v_cvt_f32_ubyte0_e32 v7, v3
	s_mov_b32 s2, exec_lo
                                        ; implicit-def: $vgpr4
	s_delay_alu instid0(VALU_DEP_1)
	v_cmpx_gt_u32_e32 0x47800000, v7
	s_xor_b32 s2, exec_lo, s2
	s_cbranch_execz .LBB15_1971
; %bb.1966:
	s_mov_b32 s3, exec_lo
                                        ; implicit-def: $vgpr4
	v_cmpx_lt_u32_e32 0x387fffff, v7
	s_xor_b32 s3, exec_lo, s3
; %bb.1967:
	v_bfe_u32 v4, v7, 21, 1
	s_delay_alu instid0(VALU_DEP_1) | instskip(NEXT) | instid1(VALU_DEP_1)
	v_add3_u32 v4, v7, v4, 0x80fffff
                                        ; implicit-def: $vgpr7
	v_lshrrev_b32_e32 v4, 21, v4
; %bb.1968:
	s_and_not1_saveexec_b32 s3, s3
; %bb.1969:
	v_add_f32_e32 v4, 0x43000000, v7
; %bb.1970:
	s_or_b32 exec_lo, exec_lo, s3
                                        ; implicit-def: $vgpr7
.LBB15_1971:
	s_and_not1_saveexec_b32 s2, s2
; %bb.1972:
	v_mov_b32_e32 v4, 0x7f
	v_cmp_lt_u32_e32 vcc_lo, 0x7f800000, v7
	s_delay_alu instid0(VALU_DEP_2)
	v_cndmask_b32_e32 v4, 0x7c, v4, vcc_lo
; %bb.1973:
	s_or_b32 exec_lo, exec_lo, s2
	global_store_b8 v[1:2], v4, off
.LBB15_1974:
	s_mov_b32 s2, 0
	s_mov_b32 s3, -1
.LBB15_1975:
	s_and_not1_b32 vcc_lo, exec_lo, s2
	s_mov_b32 s2, 0
	s_cbranch_vccnz .LBB15_1982
; %bb.1976:
	v_cmp_lt_i16_e32 vcc_lo, 14, v6
	s_mov_b32 s2, -1
	s_cbranch_vccz .LBB15_1980
; %bb.1977:
	v_cmp_eq_u16_e32 vcc_lo, 15, v6
	s_mov_b32 s0, -1
	s_cbranch_vccz .LBB15_1979
; %bb.1978:
	v_cvt_f32_ubyte0_e32 v4, v3
	s_mov_b32 s0, 0
	s_mov_b32 s3, -1
	s_delay_alu instid0(VALU_DEP_1) | instskip(NEXT) | instid1(VALU_DEP_1)
	v_bfe_u32 v7, v4, 16, 1
	v_add3_u32 v4, v4, v7, 0x7fff
	global_store_d16_hi_b16 v[1:2], v4, off
.LBB15_1979:
	s_mov_b32 s2, 0
.LBB15_1980:
	s_delay_alu instid0(SALU_CYCLE_1)
	s_and_b32 vcc_lo, exec_lo, s2
	s_mov_b32 s2, 0
	s_cbranch_vccz .LBB15_1982
; %bb.1981:
	v_cmp_ne_u16_e64 s0, 11, v6
	s_mov_b32 s2, -1
.LBB15_1982:
	s_delay_alu instid0(VALU_DEP_1)
	s_and_b32 vcc_lo, exec_lo, s0
	s_cbranch_vccnz .LBB15_2125
; %bb.1983:
	s_and_not1_b32 vcc_lo, exec_lo, s2
	s_cbranch_vccnz .LBB15_1985
.LBB15_1984:
	v_and_b32_e32 v4, 0xff, v8
	s_mov_b32 s3, -1
	s_delay_alu instid0(VALU_DEP_1)
	v_cmp_ne_u16_e32 vcc_lo, 0xff, v4
	v_cndmask_b32_e64 v4, 0, 1, vcc_lo
	global_store_b8 v[1:2], v4, off
.LBB15_1985:
	s_mov_b32 s0, 0
.LBB15_1986:
	s_delay_alu instid0(SALU_CYCLE_1)
	s_and_b32 vcc_lo, exec_lo, s0
	s_cbranch_vccz .LBB15_2025
; %bb.1987:
	v_cmp_gt_i16_e32 vcc_lo, 5, v6
	s_mov_b32 s0, -1
	s_cbranch_vccnz .LBB15_2008
; %bb.1988:
	v_cmp_gt_i16_e32 vcc_lo, 8, v6
	s_cbranch_vccnz .LBB15_1998
; %bb.1989:
	v_cmp_gt_i16_e32 vcc_lo, 9, v6
	s_cbranch_vccnz .LBB15_1995
; %bb.1990:
	v_cmp_lt_i16_e32 vcc_lo, 9, v6
	s_cbranch_vccz .LBB15_1992
; %bb.1991:
	v_dual_mov_b32 v9, 0 :: v_dual_and_b32 v4, 0xff, v3
	s_mov_b32 s0, 0
	s_delay_alu instid0(VALU_DEP_1) | instskip(NEXT) | instid1(VALU_DEP_2)
	v_and_b32_e32 v4, 0xffff, v4
	v_mov_b32_e32 v10, v9
	s_delay_alu instid0(VALU_DEP_2)
	v_cvt_f64_u32_e32 v[7:8], v4
	global_store_b128 v[1:2], v[7:10], off
.LBB15_1992:
	s_and_not1_b32 vcc_lo, exec_lo, s0
	s_cbranch_vccnz .LBB15_1994
; %bb.1993:
	v_cvt_f32_ubyte0_e32 v7, v3
	v_mov_b32_e32 v8, 0
	global_store_b64 v[1:2], v[7:8], off
.LBB15_1994:
	s_mov_b32 s0, 0
.LBB15_1995:
	s_delay_alu instid0(SALU_CYCLE_1)
	s_and_not1_b32 vcc_lo, exec_lo, s0
	s_cbranch_vccnz .LBB15_1997
; %bb.1996:
	v_and_b32_e32 v4, 0xff, v3
	s_delay_alu instid0(VALU_DEP_1) | instskip(NEXT) | instid1(VALU_DEP_1)
	v_cvt_f16_u16_e32 v4, v4
	v_and_b32_e32 v4, 0xffff, v4
	global_store_b32 v[1:2], v4, off
.LBB15_1997:
	s_mov_b32 s0, 0
.LBB15_1998:
	s_delay_alu instid0(SALU_CYCLE_1)
	s_and_not1_b32 vcc_lo, exec_lo, s0
	s_cbranch_vccnz .LBB15_2007
; %bb.1999:
	v_cmp_gt_i16_e32 vcc_lo, 6, v6
	s_mov_b32 s0, -1
	s_cbranch_vccnz .LBB15_2005
; %bb.2000:
	v_cmp_lt_i16_e32 vcc_lo, 6, v6
	s_cbranch_vccz .LBB15_2002
; %bb.2001:
	v_and_b32_e32 v4, 0xff, v3
	s_mov_b32 s0, 0
	s_delay_alu instid0(VALU_DEP_1) | instskip(NEXT) | instid1(VALU_DEP_1)
	v_and_b32_e32 v4, 0xffff, v4
	v_cvt_f64_u32_e32 v[7:8], v4
	global_store_b64 v[1:2], v[7:8], off
.LBB15_2002:
	s_and_not1_b32 vcc_lo, exec_lo, s0
	s_cbranch_vccnz .LBB15_2004
; %bb.2003:
	v_cvt_f32_ubyte0_e32 v4, v3
	global_store_b32 v[1:2], v4, off
.LBB15_2004:
	s_mov_b32 s0, 0
.LBB15_2005:
	s_delay_alu instid0(SALU_CYCLE_1)
	s_and_not1_b32 vcc_lo, exec_lo, s0
	s_cbranch_vccnz .LBB15_2007
; %bb.2006:
	v_and_b32_e32 v4, 0xff, v3
	s_delay_alu instid0(VALU_DEP_1)
	v_cvt_f16_u16_e32 v4, v4
	global_store_b16 v[1:2], v4, off
.LBB15_2007:
	s_mov_b32 s0, 0
.LBB15_2008:
	s_delay_alu instid0(SALU_CYCLE_1)
	s_and_not1_b32 vcc_lo, exec_lo, s0
	s_cbranch_vccnz .LBB15_2024
; %bb.2009:
	v_cmp_gt_i16_e32 vcc_lo, 2, v6
	s_mov_b32 s0, -1
	s_cbranch_vccnz .LBB15_2019
; %bb.2010:
	v_cmp_gt_i16_e32 vcc_lo, 3, v6
	s_cbranch_vccnz .LBB15_2016
; %bb.2011:
	v_cmp_lt_i16_e32 vcc_lo, 3, v6
	s_cbranch_vccz .LBB15_2013
; %bb.2012:
	v_dual_mov_b32 v8, 0 :: v_dual_and_b32 v7, 0xff, v3
	s_mov_b32 s0, 0
	global_store_b64 v[1:2], v[7:8], off
.LBB15_2013:
	s_and_not1_b32 vcc_lo, exec_lo, s0
	s_cbranch_vccnz .LBB15_2015
; %bb.2014:
	v_and_b32_e32 v4, 0xff, v3
	global_store_b32 v[1:2], v4, off
.LBB15_2015:
	s_mov_b32 s0, 0
.LBB15_2016:
	s_delay_alu instid0(SALU_CYCLE_1)
	s_and_not1_b32 vcc_lo, exec_lo, s0
	s_cbranch_vccnz .LBB15_2018
; %bb.2017:
	v_and_b32_e32 v4, 0xff, v3
	global_store_b16 v[1:2], v4, off
.LBB15_2018:
	s_mov_b32 s0, 0
.LBB15_2019:
	s_delay_alu instid0(SALU_CYCLE_1)
	s_and_not1_b32 vcc_lo, exec_lo, s0
	s_cbranch_vccnz .LBB15_2024
; %bb.2020:
	v_cmp_lt_i16_e32 vcc_lo, 0, v6
	s_mov_b32 s0, -1
	s_cbranch_vccz .LBB15_2022
; %bb.2021:
	s_mov_b32 s0, 0
	global_store_b8 v[1:2], v3, off
.LBB15_2022:
	s_and_not1_b32 vcc_lo, exec_lo, s0
	s_cbranch_vccnz .LBB15_2024
; %bb.2023:
	global_store_b8 v[1:2], v3, off
.LBB15_2024:
	s_mov_b32 s3, -1
.LBB15_2025:
	s_delay_alu instid0(SALU_CYCLE_1)
	s_and_not1_b32 vcc_lo, exec_lo, s3
	s_cbranch_vccnz .LBB15_2102
; %bb.2026:
	v_cmp_gt_i16_e32 vcc_lo, 11, v6
	v_add_co_u32 v0, s2, s4, v0
	v_xor_b32_e32 v2, -1, v5
	v_add_co_ci_u32_e64 v1, null, s5, 0, s2
	s_mov_b32 s0, -1
	s_mov_b32 s2, 0
	s_cbranch_vccnz .LBB15_1431
; %bb.2027:
	v_cmp_lt_i16_e32 vcc_lo, 25, v6
	s_mov_b32 s3, -1
	s_mov_b32 s0, 0
	s_cbranch_vccz .LBB15_2060
; %bb.2028:
	v_cmp_lt_i16_e32 vcc_lo, 28, v6
	s_cbranch_vccz .LBB15_2044
; %bb.2029:
	v_cmp_lt_i16_e32 vcc_lo, 43, v6
	;; [unrolled: 3-line block ×3, first 2 shown]
	s_cbranch_vccz .LBB15_2034
; %bb.2031:
	v_cmp_eq_u16_e32 vcc_lo, 46, v6
	s_mov_b32 s0, -1
	s_cbranch_vccz .LBB15_2033
; %bb.2032:
	v_cvt_f32_ubyte0_e32 v3, v2
	s_mov_b32 s0, 0
	s_delay_alu instid0(VALU_DEP_1) | instskip(NEXT) | instid1(VALU_DEP_1)
	v_bfe_u32 v4, v3, 16, 1
	v_add3_u32 v3, v3, v4, 0x7fff
	s_delay_alu instid0(VALU_DEP_1)
	v_lshrrev_b32_e32 v3, 16, v3
	global_store_b32 v[0:1], v3, off
.LBB15_2033:
	s_mov_b32 s3, 0
.LBB15_2034:
	s_delay_alu instid0(SALU_CYCLE_1)
	s_and_b32 vcc_lo, exec_lo, s3
	s_cbranch_vccz .LBB15_2039
; %bb.2035:
	v_cmp_eq_u16_e32 vcc_lo, 44, v6
	s_mov_b32 s0, -1
	s_cbranch_vccz .LBB15_2039
; %bb.2036:
	v_cvt_f32_ubyte0_e32 v7, v2
	v_mov_b32_e32 v4, 0xff
	s_mov_b32 s3, exec_lo
	s_delay_alu instid0(VALU_DEP_2) | instskip(NEXT) | instid1(VALU_DEP_1)
	v_lshrrev_b32_e32 v3, 23, v7
	v_cmpx_ne_u32_e32 0xff, v3
; %bb.2037:
	v_and_b32_e32 v4, 0x400000, v7
	v_and_or_b32 v7, 0x3fffff, v7, v3
	s_delay_alu instid0(VALU_DEP_2) | instskip(NEXT) | instid1(VALU_DEP_2)
	v_cmp_ne_u32_e32 vcc_lo, 0, v4
	v_cmp_ne_u32_e64 s0, 0, v7
	s_delay_alu instid0(VALU_DEP_1) | instskip(NEXT) | instid1(SALU_CYCLE_1)
	s_and_b32 s0, vcc_lo, s0
	v_cndmask_b32_e64 v4, 0, 1, s0
	s_delay_alu instid0(VALU_DEP_1)
	v_add_nc_u32_e32 v4, v3, v4
; %bb.2038:
	s_or_b32 exec_lo, exec_lo, s3
	s_mov_b32 s0, 0
	global_store_b8 v[0:1], v4, off
.LBB15_2039:
	s_mov_b32 s3, 0
.LBB15_2040:
	s_delay_alu instid0(SALU_CYCLE_1)
	s_and_b32 vcc_lo, exec_lo, s3
	s_cbranch_vccz .LBB15_2043
; %bb.2041:
	v_cmp_eq_u16_e32 vcc_lo, 29, v6
	s_mov_b32 s0, -1
	s_cbranch_vccz .LBB15_2043
; %bb.2042:
	v_dual_mov_b32 v4, 0 :: v_dual_and_b32 v3, 0xff, v2
	s_mov_b32 s0, 0
	global_store_b64 v[0:1], v[3:4], off
.LBB15_2043:
	s_mov_b32 s3, 0
.LBB15_2044:
	s_delay_alu instid0(SALU_CYCLE_1)
	s_and_b32 vcc_lo, exec_lo, s3
	s_cbranch_vccz .LBB15_2059
; %bb.2045:
	v_cmp_gt_i16_e32 vcc_lo, 27, v6
	s_mov_b32 s3, -1
	s_cbranch_vccnz .LBB15_2051
; %bb.2046:
	v_cmp_lt_i16_e32 vcc_lo, 27, v6
	v_and_b32_e32 v3, 0xff, v2
	s_cbranch_vccz .LBB15_2048
; %bb.2047:
	s_mov_b32 s3, 0
	global_store_b32 v[0:1], v3, off
.LBB15_2048:
	s_and_not1_b32 vcc_lo, exec_lo, s3
	s_cbranch_vccnz .LBB15_2050
; %bb.2049:
	global_store_b16 v[0:1], v3, off
.LBB15_2050:
	s_mov_b32 s3, 0
.LBB15_2051:
	s_delay_alu instid0(SALU_CYCLE_1)
	s_and_not1_b32 vcc_lo, exec_lo, s3
	s_cbranch_vccnz .LBB15_2059
; %bb.2052:
	v_cvt_f32_ubyte0_e32 v4, v2
	v_mov_b32_e32 v7, 0x80
	s_mov_b32 s3, exec_lo
	s_delay_alu instid0(VALU_DEP_2)
	v_cmpx_gt_u32_e32 0x43800000, v4
	s_cbranch_execz .LBB15_2058
; %bb.2053:
	s_mov_b32 s4, 0
	s_mov_b32 s5, exec_lo
                                        ; implicit-def: $vgpr3
	v_cmpx_lt_u32_e32 0x3bffffff, v4
	s_xor_b32 s5, exec_lo, s5
	s_cbranch_execz .LBB15_2129
; %bb.2054:
	v_bfe_u32 v3, v4, 20, 1
	s_mov_b32 s4, exec_lo
	s_delay_alu instid0(VALU_DEP_1) | instskip(NEXT) | instid1(VALU_DEP_1)
	v_add3_u32 v3, v4, v3, 0x487ffff
                                        ; implicit-def: $vgpr4
	v_lshrrev_b32_e32 v3, 20, v3
	s_or_saveexec_b32 s5, s5
                                        ; implicit-def: $sgpr6
	s_delay_alu instid0(SALU_CYCLE_1)
	s_xor_b32 exec_lo, exec_lo, s5
	s_cbranch_execnz .LBB15_2130
.LBB15_2055:
	s_or_b32 exec_lo, exec_lo, s5
	v_mov_b32_e32 v7, s6
	s_and_saveexec_b32 s5, s4
.LBB15_2056:
	v_mov_b32_e32 v7, v3
.LBB15_2057:
	s_or_b32 exec_lo, exec_lo, s5
.LBB15_2058:
	s_delay_alu instid0(SALU_CYCLE_1)
	s_or_b32 exec_lo, exec_lo, s3
	global_store_b8 v[0:1], v7, off
.LBB15_2059:
	s_mov_b32 s3, 0
.LBB15_2060:
	s_delay_alu instid0(SALU_CYCLE_1)
	s_and_b32 vcc_lo, exec_lo, s3
	s_cbranch_vccz .LBB15_2100
; %bb.2061:
	v_cmp_lt_i16_e32 vcc_lo, 22, v6
	s_mov_b32 s2, -1
	s_cbranch_vccz .LBB15_2093
; %bb.2062:
	v_cmp_gt_i16_e32 vcc_lo, 24, v6
	s_cbranch_vccnz .LBB15_2082
; %bb.2063:
	v_cmp_lt_i16_e32 vcc_lo, 24, v6
	s_cbranch_vccz .LBB15_2071
; %bb.2064:
	v_cvt_f32_ubyte0_e32 v4, v2
	v_mov_b32_e32 v7, 0x80
	s_mov_b32 s2, exec_lo
	s_delay_alu instid0(VALU_DEP_2)
	v_cmpx_gt_u32_e32 0x47800000, v4
	s_cbranch_execz .LBB15_2070
; %bb.2065:
	s_mov_b32 s3, 0
	s_mov_b32 s4, exec_lo
                                        ; implicit-def: $vgpr3
	v_cmpx_lt_u32_e32 0x37ffffff, v4
	s_xor_b32 s4, exec_lo, s4
	s_cbranch_execz .LBB15_2135
; %bb.2066:
	v_bfe_u32 v3, v4, 21, 1
	s_mov_b32 s3, exec_lo
	s_delay_alu instid0(VALU_DEP_1) | instskip(NEXT) | instid1(VALU_DEP_1)
	v_add3_u32 v3, v4, v3, 0x88fffff
                                        ; implicit-def: $vgpr4
	v_lshrrev_b32_e32 v3, 21, v3
	s_or_saveexec_b32 s4, s4
                                        ; implicit-def: $sgpr5
	s_delay_alu instid0(SALU_CYCLE_1)
	s_xor_b32 exec_lo, exec_lo, s4
	s_cbranch_execnz .LBB15_2136
.LBB15_2067:
	s_or_b32 exec_lo, exec_lo, s4
	v_mov_b32_e32 v7, s5
	s_and_saveexec_b32 s4, s3
.LBB15_2068:
	v_mov_b32_e32 v7, v3
.LBB15_2069:
	s_or_b32 exec_lo, exec_lo, s4
.LBB15_2070:
	s_delay_alu instid0(SALU_CYCLE_1)
	s_or_b32 exec_lo, exec_lo, s2
	s_mov_b32 s2, 0
	global_store_b8 v[0:1], v7, off
.LBB15_2071:
	s_and_b32 vcc_lo, exec_lo, s2
	s_cbranch_vccz .LBB15_2081
; %bb.2072:
	v_cvt_f32_ubyte0_e32 v4, v2
	s_mov_b32 s2, exec_lo
                                        ; implicit-def: $vgpr3
	s_delay_alu instid0(VALU_DEP_1)
	v_cmpx_gt_u32_e32 0x43f00000, v4
	s_xor_b32 s2, exec_lo, s2
	s_cbranch_execz .LBB15_2078
; %bb.2073:
	s_mov_b32 s3, exec_lo
                                        ; implicit-def: $vgpr3
	v_cmpx_lt_u32_e32 0x3c7fffff, v4
	s_xor_b32 s3, exec_lo, s3
; %bb.2074:
	v_bfe_u32 v3, v4, 20, 1
	s_delay_alu instid0(VALU_DEP_1) | instskip(NEXT) | instid1(VALU_DEP_1)
	v_add3_u32 v3, v4, v3, 0x407ffff
	v_and_b32_e32 v4, 0xff00000, v3
	v_lshrrev_b32_e32 v3, 20, v3
	s_delay_alu instid0(VALU_DEP_2) | instskip(NEXT) | instid1(VALU_DEP_2)
	v_cmp_ne_u32_e32 vcc_lo, 0x7f00000, v4
                                        ; implicit-def: $vgpr4
	v_cndmask_b32_e32 v3, 0x7e, v3, vcc_lo
; %bb.2075:
	s_and_not1_saveexec_b32 s3, s3
; %bb.2076:
	v_add_f32_e32 v3, 0x46800000, v4
; %bb.2077:
	s_or_b32 exec_lo, exec_lo, s3
                                        ; implicit-def: $vgpr4
.LBB15_2078:
	s_and_not1_saveexec_b32 s2, s2
; %bb.2079:
	v_mov_b32_e32 v3, 0x7f
	v_cmp_lt_u32_e32 vcc_lo, 0x7f800000, v4
	s_delay_alu instid0(VALU_DEP_2)
	v_cndmask_b32_e32 v3, 0x7e, v3, vcc_lo
; %bb.2080:
	s_or_b32 exec_lo, exec_lo, s2
	global_store_b8 v[0:1], v3, off
.LBB15_2081:
	s_mov_b32 s2, 0
.LBB15_2082:
	s_delay_alu instid0(SALU_CYCLE_1)
	s_and_not1_b32 vcc_lo, exec_lo, s2
	s_cbranch_vccnz .LBB15_2092
; %bb.2083:
	v_cvt_f32_ubyte0_e32 v4, v2
	s_mov_b32 s2, exec_lo
                                        ; implicit-def: $vgpr3
	s_delay_alu instid0(VALU_DEP_1)
	v_cmpx_gt_u32_e32 0x47800000, v4
	s_xor_b32 s2, exec_lo, s2
	s_cbranch_execz .LBB15_2089
; %bb.2084:
	s_mov_b32 s3, exec_lo
                                        ; implicit-def: $vgpr3
	v_cmpx_lt_u32_e32 0x387fffff, v4
	s_xor_b32 s3, exec_lo, s3
; %bb.2085:
	v_bfe_u32 v3, v4, 21, 1
	s_delay_alu instid0(VALU_DEP_1) | instskip(NEXT) | instid1(VALU_DEP_1)
	v_add3_u32 v3, v4, v3, 0x80fffff
                                        ; implicit-def: $vgpr4
	v_lshrrev_b32_e32 v3, 21, v3
; %bb.2086:
	s_and_not1_saveexec_b32 s3, s3
; %bb.2087:
	v_add_f32_e32 v3, 0x43000000, v4
; %bb.2088:
	s_or_b32 exec_lo, exec_lo, s3
                                        ; implicit-def: $vgpr4
.LBB15_2089:
	s_and_not1_saveexec_b32 s2, s2
; %bb.2090:
	v_mov_b32_e32 v3, 0x7f
	v_cmp_lt_u32_e32 vcc_lo, 0x7f800000, v4
	s_delay_alu instid0(VALU_DEP_2)
	v_cndmask_b32_e32 v3, 0x7c, v3, vcc_lo
; %bb.2091:
	s_or_b32 exec_lo, exec_lo, s2
	global_store_b8 v[0:1], v3, off
.LBB15_2092:
	s_mov_b32 s2, 0
.LBB15_2093:
	s_delay_alu instid0(SALU_CYCLE_1)
	s_and_not1_b32 vcc_lo, exec_lo, s2
	s_mov_b32 s2, 0
	s_cbranch_vccnz .LBB15_2100
; %bb.2094:
	v_cmp_lt_i16_e32 vcc_lo, 14, v6
	s_mov_b32 s2, -1
	s_cbranch_vccz .LBB15_2098
; %bb.2095:
	v_cmp_eq_u16_e32 vcc_lo, 15, v6
	s_mov_b32 s0, -1
	s_cbranch_vccz .LBB15_2097
; %bb.2096:
	v_cvt_f32_ubyte0_e32 v3, v2
	s_mov_b32 s0, 0
	s_delay_alu instid0(VALU_DEP_1) | instskip(NEXT) | instid1(VALU_DEP_1)
	v_bfe_u32 v4, v3, 16, 1
	v_add3_u32 v3, v3, v4, 0x7fff
	global_store_d16_hi_b16 v[0:1], v3, off
.LBB15_2097:
	s_mov_b32 s2, 0
.LBB15_2098:
	s_delay_alu instid0(SALU_CYCLE_1)
	s_and_b32 vcc_lo, exec_lo, s2
	s_mov_b32 s2, 0
	s_cbranch_vccz .LBB15_2100
; %bb.2099:
	v_cmp_ne_u16_e64 s0, 11, v6
	s_mov_b32 s2, -1
.LBB15_2100:
	s_delay_alu instid0(VALU_DEP_1)
	s_and_b32 vcc_lo, exec_lo, s0
	s_cbranch_vccnz .LBB15_2133
.LBB15_2101:
	s_mov_b32 s0, 0
	s_branch .LBB15_1431
.LBB15_2102:
	s_mov_b32 s0, 0
	s_mov_b32 s2, 0
                                        ; implicit-def: $vgpr0_vgpr1
                                        ; implicit-def: $vgpr6
                                        ; implicit-def: $vgpr2
	s_branch .LBB15_1431
.LBB15_2103:
	s_cbranch_execnz .LBB15_2107
; %bb.2104:
	s_or_b32 s1, s1, exec_lo
                                        ; implicit-def: $vgpr5
	s_cbranch_execz .LBB15_1620
	s_branch .LBB15_1621
.LBB15_2105:
	s_or_saveexec_b32 s7, s7
                                        ; implicit-def: $sgpr10
	s_delay_alu instid0(SALU_CYCLE_1)
	s_xor_b32 exec_lo, exec_lo, s7
	s_cbranch_execz .LBB15_1700
.LBB15_2106:
	v_add_f32_e32 v3, 0x46000000, v12
	s_and_not1_b32 s6, s6, exec_lo
	s_mov_b32 s10, 0
	s_delay_alu instid0(VALU_DEP_1) | instskip(NEXT) | instid1(VALU_DEP_1)
	v_and_b32_e32 v3, 0xff, v3
	v_cmp_ne_u32_e32 vcc_lo, 0, v3
	s_and_b32 s11, vcc_lo, exec_lo
	s_delay_alu instid0(SALU_CYCLE_1)
	s_or_b32 s6, s6, s11
	s_or_b32 exec_lo, exec_lo, s7
	v_mov_b32_e32 v13, s10
	s_and_saveexec_b32 s7, s6
	s_cbranch_execnz .LBB15_1701
	s_branch .LBB15_1702
.LBB15_2107:
	s_trap 2
	s_sendmsg_rtn_b32 s0, sendmsg(MSG_RTN_GET_DOORBELL)
	s_mov_b32 ttmp2, m0
	s_waitcnt lgkmcnt(0)
	s_and_b32 s0, s0, 0x3ff
	s_delay_alu instid0(SALU_CYCLE_1) | instskip(NEXT) | instid1(SALU_CYCLE_1)
	s_bitset1_b32 s0, 10
	s_mov_b32 m0, s0
	s_sendmsg sendmsg(MSG_INTERRUPT)
	s_mov_b32 m0, ttmp2
.LBB15_2108:                            ; =>This Inner Loop Header: Depth=1
	s_sethalt 5
	s_branch .LBB15_2108
.LBB15_2109:
	s_cbranch_execnz .LBB15_2115
; %bb.2110:
	s_or_b32 s1, s1, exec_lo
	s_cbranch_execz .LBB15_1748
	s_branch .LBB15_1749
.LBB15_2111:
	s_or_saveexec_b32 s6, s6
                                        ; implicit-def: $sgpr7
	s_delay_alu instid0(SALU_CYCLE_1)
	s_xor_b32 exec_lo, exec_lo, s6
	s_cbranch_execz .LBB15_1713
.LBB15_2112:
	v_add_f32_e32 v3, 0x42800000, v12
	s_and_not1_b32 s3, s3, exec_lo
	s_mov_b32 s7, 0
	s_delay_alu instid0(VALU_DEP_1) | instskip(NEXT) | instid1(VALU_DEP_1)
	v_and_b32_e32 v3, 0xff, v3
	v_cmp_ne_u32_e32 vcc_lo, 0, v3
	s_and_b32 s10, vcc_lo, exec_lo
	s_delay_alu instid0(SALU_CYCLE_1)
	s_or_b32 s3, s3, s10
	s_or_b32 exec_lo, exec_lo, s6
	v_mov_b32_e32 v13, s7
	s_and_saveexec_b32 s6, s3
	s_cbranch_execnz .LBB15_1714
	s_branch .LBB15_1715
.LBB15_2113:
	s_or_saveexec_b32 s7, s7
                                        ; implicit-def: $sgpr10
	s_delay_alu instid0(SALU_CYCLE_1)
	s_xor_b32 exec_lo, exec_lo, s7
	s_cbranch_execz .LBB15_1818
.LBB15_2114:
	v_add_f32_e32 v9, 0x46000000, v10
	s_and_not1_b32 s6, s6, exec_lo
	s_mov_b32 s10, 0
	s_delay_alu instid0(VALU_DEP_1) | instskip(NEXT) | instid1(VALU_DEP_1)
	v_and_b32_e32 v9, 0xff, v9
	v_cmp_ne_u32_e32 vcc_lo, 0, v9
	s_and_b32 s11, vcc_lo, exec_lo
	s_delay_alu instid0(SALU_CYCLE_1)
	s_or_b32 s6, s6, s11
	s_or_b32 exec_lo, exec_lo, s7
	v_mov_b32_e32 v11, s10
	s_and_saveexec_b32 s7, s6
	s_cbranch_execnz .LBB15_1819
	s_branch .LBB15_1820
.LBB15_2115:
	s_trap 2
	s_sendmsg_rtn_b32 s0, sendmsg(MSG_RTN_GET_DOORBELL)
	s_mov_b32 ttmp2, m0
	s_waitcnt lgkmcnt(0)
	s_and_b32 s0, s0, 0x3ff
	s_delay_alu instid0(SALU_CYCLE_1) | instskip(NEXT) | instid1(SALU_CYCLE_1)
	s_bitset1_b32 s0, 10
	s_mov_b32 m0, s0
	s_sendmsg sendmsg(MSG_INTERRUPT)
	s_mov_b32 m0, ttmp2
.LBB15_2116:                            ; =>This Inner Loop Header: Depth=1
	s_sethalt 5
	s_branch .LBB15_2116
.LBB15_2117:
	s_cbranch_execnz .LBB15_2123
; %bb.2118:
	s_or_b32 s1, s1, exec_lo
	s_cbranch_execz .LBB15_1866
	s_branch .LBB15_1867
.LBB15_2119:
	s_or_saveexec_b32 s6, s6
                                        ; implicit-def: $sgpr7
	s_delay_alu instid0(SALU_CYCLE_1)
	s_xor_b32 exec_lo, exec_lo, s6
	s_cbranch_execz .LBB15_1831
.LBB15_2120:
	v_add_f32_e32 v9, 0x42800000, v10
	s_and_not1_b32 s3, s3, exec_lo
	s_mov_b32 s7, 0
	s_delay_alu instid0(VALU_DEP_1) | instskip(NEXT) | instid1(VALU_DEP_1)
	v_and_b32_e32 v9, 0xff, v9
	v_cmp_ne_u32_e32 vcc_lo, 0, v9
	s_and_b32 s10, vcc_lo, exec_lo
	s_delay_alu instid0(SALU_CYCLE_1)
	s_or_b32 s3, s3, s10
	s_or_b32 exec_lo, exec_lo, s6
	v_mov_b32_e32 v11, s7
	s_and_saveexec_b32 s6, s3
	s_cbranch_execnz .LBB15_1832
	s_branch .LBB15_1833
.LBB15_2121:
	s_or_saveexec_b32 s7, s7
                                        ; implicit-def: $sgpr10
	s_delay_alu instid0(SALU_CYCLE_1)
	s_xor_b32 exec_lo, exec_lo, s7
	s_cbranch_execz .LBB15_1936
.LBB15_2122:
	v_add_f32_e32 v4, 0x46000000, v7
	s_and_not1_b32 s6, s6, exec_lo
	s_mov_b32 s10, 0
	s_delay_alu instid0(VALU_DEP_1) | instskip(NEXT) | instid1(VALU_DEP_1)
	v_and_b32_e32 v4, 0xff, v4
	v_cmp_ne_u32_e32 vcc_lo, 0, v4
	s_and_b32 s11, vcc_lo, exec_lo
	s_delay_alu instid0(SALU_CYCLE_1)
	s_or_b32 s6, s6, s11
	s_or_b32 exec_lo, exec_lo, s7
	v_mov_b32_e32 v9, s10
	s_and_saveexec_b32 s7, s6
	s_cbranch_execnz .LBB15_1937
	s_branch .LBB15_1938
.LBB15_2123:
	s_trap 2
	s_sendmsg_rtn_b32 s0, sendmsg(MSG_RTN_GET_DOORBELL)
	s_mov_b32 ttmp2, m0
	s_waitcnt lgkmcnt(0)
	s_and_b32 s0, s0, 0x3ff
	s_delay_alu instid0(SALU_CYCLE_1) | instskip(NEXT) | instid1(SALU_CYCLE_1)
	s_bitset1_b32 s0, 10
	s_mov_b32 m0, s0
	s_sendmsg sendmsg(MSG_INTERRUPT)
	s_mov_b32 m0, ttmp2
.LBB15_2124:                            ; =>This Inner Loop Header: Depth=1
	s_sethalt 5
	s_branch .LBB15_2124
.LBB15_2125:
	s_cbranch_execnz .LBB15_2131
; %bb.2126:
	s_or_b32 s1, s1, exec_lo
	s_cbranch_execz .LBB15_1984
	s_branch .LBB15_1985
.LBB15_2127:
	s_or_saveexec_b32 s6, s6
                                        ; implicit-def: $sgpr7
	s_delay_alu instid0(SALU_CYCLE_1)
	s_xor_b32 exec_lo, exec_lo, s6
	s_cbranch_execz .LBB15_1949
.LBB15_2128:
	v_add_f32_e32 v4, 0x42800000, v7
	s_and_not1_b32 s3, s3, exec_lo
	s_mov_b32 s7, 0
	s_delay_alu instid0(VALU_DEP_1) | instskip(NEXT) | instid1(VALU_DEP_1)
	v_and_b32_e32 v4, 0xff, v4
	v_cmp_ne_u32_e32 vcc_lo, 0, v4
	s_and_b32 s10, vcc_lo, exec_lo
	s_delay_alu instid0(SALU_CYCLE_1)
	s_or_b32 s3, s3, s10
	s_or_b32 exec_lo, exec_lo, s6
	v_mov_b32_e32 v9, s7
	s_and_saveexec_b32 s6, s3
	s_cbranch_execnz .LBB15_1950
	s_branch .LBB15_1951
.LBB15_2129:
	s_or_saveexec_b32 s5, s5
                                        ; implicit-def: $sgpr6
	s_delay_alu instid0(SALU_CYCLE_1)
	s_xor_b32 exec_lo, exec_lo, s5
	s_cbranch_execz .LBB15_2055
.LBB15_2130:
	v_add_f32_e32 v3, 0x46000000, v4
	s_and_not1_b32 s4, s4, exec_lo
	s_mov_b32 s6, 0
	s_delay_alu instid0(VALU_DEP_1) | instskip(NEXT) | instid1(VALU_DEP_1)
	v_and_b32_e32 v3, 0xff, v3
	v_cmp_ne_u32_e32 vcc_lo, 0, v3
	s_and_b32 s7, vcc_lo, exec_lo
	s_delay_alu instid0(SALU_CYCLE_1)
	s_or_b32 s4, s4, s7
	s_or_b32 exec_lo, exec_lo, s5
	v_mov_b32_e32 v7, s6
	s_and_saveexec_b32 s5, s4
	s_cbranch_execnz .LBB15_2056
	s_branch .LBB15_2057
.LBB15_2131:
	s_trap 2
	s_sendmsg_rtn_b32 s0, sendmsg(MSG_RTN_GET_DOORBELL)
	s_mov_b32 ttmp2, m0
	s_waitcnt lgkmcnt(0)
	s_and_b32 s0, s0, 0x3ff
	s_delay_alu instid0(SALU_CYCLE_1) | instskip(NEXT) | instid1(SALU_CYCLE_1)
	s_bitset1_b32 s0, 10
	s_mov_b32 m0, s0
	s_sendmsg sendmsg(MSG_INTERRUPT)
	s_mov_b32 m0, ttmp2
.LBB15_2132:                            ; =>This Inner Loop Header: Depth=1
	s_sethalt 5
	s_branch .LBB15_2132
.LBB15_2133:
	s_cbranch_execnz .LBB15_2137
; %bb.2134:
	s_mov_b32 s2, 0
	s_or_b32 s1, s1, exec_lo
	s_branch .LBB15_2101
.LBB15_2135:
	s_or_saveexec_b32 s4, s4
                                        ; implicit-def: $sgpr5
	s_delay_alu instid0(SALU_CYCLE_1)
	s_xor_b32 exec_lo, exec_lo, s4
	s_cbranch_execz .LBB15_2067
.LBB15_2136:
	v_add_f32_e32 v3, 0x42800000, v4
	s_and_not1_b32 s3, s3, exec_lo
	s_mov_b32 s5, 0
	s_delay_alu instid0(VALU_DEP_1) | instskip(NEXT) | instid1(VALU_DEP_1)
	v_and_b32_e32 v3, 0xff, v3
	v_cmp_ne_u32_e32 vcc_lo, 0, v3
	s_and_b32 s6, vcc_lo, exec_lo
	s_delay_alu instid0(SALU_CYCLE_1)
	s_or_b32 s3, s3, s6
	s_or_b32 exec_lo, exec_lo, s4
	v_mov_b32_e32 v7, s5
	s_and_saveexec_b32 s4, s3
	s_cbranch_execnz .LBB15_2068
	s_branch .LBB15_2069
.LBB15_2137:
	s_trap 2
	s_sendmsg_rtn_b32 s0, sendmsg(MSG_RTN_GET_DOORBELL)
	s_mov_b32 ttmp2, m0
	s_waitcnt lgkmcnt(0)
	s_and_b32 s0, s0, 0x3ff
	s_delay_alu instid0(SALU_CYCLE_1) | instskip(NEXT) | instid1(SALU_CYCLE_1)
	s_bitset1_b32 s0, 10
	s_mov_b32 m0, s0
	s_sendmsg sendmsg(MSG_INTERRUPT)
	s_mov_b32 m0, ttmp2
.LBB15_2138:                            ; =>This Inner Loop Header: Depth=1
	s_sethalt 5
	s_branch .LBB15_2138
	.section	.rodata,"a",@progbits
	.p2align	6, 0x0
	.amdhsa_kernel _ZN2at6native32elementwise_kernel_manual_unrollILi128ELi4EZNS0_15gpu_kernel_implIZZZNS0_23bitwise_not_kernel_cudaERNS_18TensorIteratorBaseEENKUlvE_clEvENKUlvE_clEvEUlhE_EEvS4_RKT_EUlibE0_EEviT1_
		.amdhsa_group_segment_fixed_size 0
		.amdhsa_private_segment_fixed_size 0
		.amdhsa_kernarg_size 360
		.amdhsa_user_sgpr_count 15
		.amdhsa_user_sgpr_dispatch_ptr 0
		.amdhsa_user_sgpr_queue_ptr 0
		.amdhsa_user_sgpr_kernarg_segment_ptr 1
		.amdhsa_user_sgpr_dispatch_id 0
		.amdhsa_user_sgpr_private_segment_size 0
		.amdhsa_wavefront_size32 1
		.amdhsa_uses_dynamic_stack 0
		.amdhsa_enable_private_segment 0
		.amdhsa_system_sgpr_workgroup_id_x 1
		.amdhsa_system_sgpr_workgroup_id_y 0
		.amdhsa_system_sgpr_workgroup_id_z 0
		.amdhsa_system_sgpr_workgroup_info 0
		.amdhsa_system_vgpr_workitem_id 0
		.amdhsa_next_free_vgpr 18
		.amdhsa_next_free_sgpr 68
		.amdhsa_reserve_vcc 1
		.amdhsa_float_round_mode_32 0
		.amdhsa_float_round_mode_16_64 0
		.amdhsa_float_denorm_mode_32 3
		.amdhsa_float_denorm_mode_16_64 3
		.amdhsa_dx10_clamp 1
		.amdhsa_ieee_mode 1
		.amdhsa_fp16_overflow 0
		.amdhsa_workgroup_processor_mode 1
		.amdhsa_memory_ordered 1
		.amdhsa_forward_progress 0
		.amdhsa_shared_vgpr_count 0
		.amdhsa_exception_fp_ieee_invalid_op 0
		.amdhsa_exception_fp_denorm_src 0
		.amdhsa_exception_fp_ieee_div_zero 0
		.amdhsa_exception_fp_ieee_overflow 0
		.amdhsa_exception_fp_ieee_underflow 0
		.amdhsa_exception_fp_ieee_inexact 0
		.amdhsa_exception_int_div_zero 0
	.end_amdhsa_kernel
	.section	.text._ZN2at6native32elementwise_kernel_manual_unrollILi128ELi4EZNS0_15gpu_kernel_implIZZZNS0_23bitwise_not_kernel_cudaERNS_18TensorIteratorBaseEENKUlvE_clEvENKUlvE_clEvEUlhE_EEvS4_RKT_EUlibE0_EEviT1_,"axG",@progbits,_ZN2at6native32elementwise_kernel_manual_unrollILi128ELi4EZNS0_15gpu_kernel_implIZZZNS0_23bitwise_not_kernel_cudaERNS_18TensorIteratorBaseEENKUlvE_clEvENKUlvE_clEvEUlhE_EEvS4_RKT_EUlibE0_EEviT1_,comdat
.Lfunc_end15:
	.size	_ZN2at6native32elementwise_kernel_manual_unrollILi128ELi4EZNS0_15gpu_kernel_implIZZZNS0_23bitwise_not_kernel_cudaERNS_18TensorIteratorBaseEENKUlvE_clEvENKUlvE_clEvEUlhE_EEvS4_RKT_EUlibE0_EEviT1_, .Lfunc_end15-_ZN2at6native32elementwise_kernel_manual_unrollILi128ELi4EZNS0_15gpu_kernel_implIZZZNS0_23bitwise_not_kernel_cudaERNS_18TensorIteratorBaseEENKUlvE_clEvENKUlvE_clEvEUlhE_EEvS4_RKT_EUlibE0_EEviT1_
                                        ; -- End function
	.section	.AMDGPU.csdata,"",@progbits
; Kernel info:
; codeLenInByte = 42968
; NumSgprs: 70
; NumVgprs: 18
; ScratchSize: 0
; MemoryBound: 1
; FloatMode: 240
; IeeeMode: 1
; LDSByteSize: 0 bytes/workgroup (compile time only)
; SGPRBlocks: 8
; VGPRBlocks: 2
; NumSGPRsForWavesPerEU: 70
; NumVGPRsForWavesPerEU: 18
; Occupancy: 16
; WaveLimiterHint : 1
; COMPUTE_PGM_RSRC2:SCRATCH_EN: 0
; COMPUTE_PGM_RSRC2:USER_SGPR: 15
; COMPUTE_PGM_RSRC2:TRAP_HANDLER: 0
; COMPUTE_PGM_RSRC2:TGID_X_EN: 1
; COMPUTE_PGM_RSRC2:TGID_Y_EN: 0
; COMPUTE_PGM_RSRC2:TGID_Z_EN: 0
; COMPUTE_PGM_RSRC2:TIDIG_COMP_CNT: 0
	.section	.text._ZN2at6native29vectorized_elementwise_kernelILi16EZZZNS0_23bitwise_not_kernel_cudaERNS_18TensorIteratorBaseEENKUlvE_clEvENKUlvE0_clEvEUlaE_St5arrayIPcLm2EEEEviT0_T1_,"axG",@progbits,_ZN2at6native29vectorized_elementwise_kernelILi16EZZZNS0_23bitwise_not_kernel_cudaERNS_18TensorIteratorBaseEENKUlvE_clEvENKUlvE0_clEvEUlaE_St5arrayIPcLm2EEEEviT0_T1_,comdat
	.globl	_ZN2at6native29vectorized_elementwise_kernelILi16EZZZNS0_23bitwise_not_kernel_cudaERNS_18TensorIteratorBaseEENKUlvE_clEvENKUlvE0_clEvEUlaE_St5arrayIPcLm2EEEEviT0_T1_ ; -- Begin function _ZN2at6native29vectorized_elementwise_kernelILi16EZZZNS0_23bitwise_not_kernel_cudaERNS_18TensorIteratorBaseEENKUlvE_clEvENKUlvE0_clEvEUlaE_St5arrayIPcLm2EEEEviT0_T1_
	.p2align	8
	.type	_ZN2at6native29vectorized_elementwise_kernelILi16EZZZNS0_23bitwise_not_kernel_cudaERNS_18TensorIteratorBaseEENKUlvE_clEvENKUlvE0_clEvEUlaE_St5arrayIPcLm2EEEEviT0_T1_,@function
_ZN2at6native29vectorized_elementwise_kernelILi16EZZZNS0_23bitwise_not_kernel_cudaERNS_18TensorIteratorBaseEENKUlvE_clEvENKUlvE0_clEvEUlaE_St5arrayIPcLm2EEEEviT0_T1_: ; @_ZN2at6native29vectorized_elementwise_kernelILi16EZZZNS0_23bitwise_not_kernel_cudaERNS_18TensorIteratorBaseEENKUlvE_clEvENKUlvE0_clEvEUlaE_St5arrayIPcLm2EEEEviT0_T1_
; %bb.0:
	s_clause 0x1
	s_load_b32 s2, s[0:1], 0x0
	s_load_b128 s[4:7], s[0:1], 0x8
	s_lshl_b32 s1, s15, 12
	s_mov_b32 s0, -1
	s_waitcnt lgkmcnt(0)
	s_sub_i32 s2, s2, s1
	s_delay_alu instid0(SALU_CYCLE_1)
	s_cmpk_gt_i32 s2, 0xfff
	s_cbranch_scc0 .LBB16_2
; %bb.1:
	v_lshlrev_b32_e32 v5, 4, v0
	s_ashr_i32 s0, s1, 31
	s_add_u32 s8, s6, s1
	s_addc_u32 s9, s7, s0
	global_load_b128 v[1:4], v5, s[8:9]
	s_add_u32 s8, s4, s1
	s_addc_u32 s9, s5, s0
	s_mov_b32 s0, 0
	s_waitcnt vmcnt(0)
	v_lshrrev_b32_e32 v6, 8, v1
	v_lshrrev_b32_e32 v7, 16, v1
	;; [unrolled: 1-line block ×12, first 2 shown]
	v_xor_b32_e32 v1, -1, v1
	v_xor_b32_e32 v2, -1, v2
	;; [unrolled: 1-line block ×16, first 2 shown]
	v_and_b32_e32 v4, 0xff, v4
	v_and_b32_e32 v3, 0xff, v3
	;; [unrolled: 1-line block ×4, first 2 shown]
	v_lshlrev_b16 v15, 8, v15
	v_lshlrev_b16 v17, 8, v17
	v_and_b32_e32 v16, 0xff, v16
	v_lshlrev_b16 v12, 8, v12
	v_lshlrev_b16 v14, 8, v14
	v_and_b32_e32 v13, 0xff, v13
	;; [unrolled: 3-line block ×4, first 2 shown]
	v_or_b32_e32 v4, v4, v15
	v_or_b32_e32 v15, v16, v17
	;; [unrolled: 1-line block ×8, first 2 shown]
	v_and_b32_e32 v4, 0xffff, v4
	v_lshlrev_b32_e32 v7, 16, v15
	v_and_b32_e32 v3, 0xffff, v3
	v_lshlrev_b32_e32 v8, 16, v12
	;; [unrolled: 2-line block ×4, first 2 shown]
	v_or_b32_e32 v4, v4, v7
	v_or_b32_e32 v3, v3, v8
	;; [unrolled: 1-line block ×3, first 2 shown]
	s_delay_alu instid0(VALU_DEP_4)
	v_or_b32_e32 v1, v1, v6
	global_store_b128 v5, v[1:4], s[8:9]
.LBB16_2:
	s_and_not1_b32 vcc_lo, exec_lo, s0
	s_cbranch_vccnz .LBB16_52
; %bb.3:
	v_cmp_gt_i32_e32 vcc_lo, s2, v0
	v_dual_mov_b32 v4, 0 :: v_dual_mov_b32 v5, 0
	v_or_b32_e32 v1, s1, v0
	v_or_b32_e32 v2, 0x100, v0
	v_mov_b32_e32 v6, v0
	s_and_saveexec_b32 s0, vcc_lo
	s_cbranch_execz .LBB16_5
; %bb.4:
	global_load_u8 v5, v1, s[6:7]
	v_or_b32_e32 v6, 0x100, v0
.LBB16_5:
	s_or_b32 exec_lo, exec_lo, s0
	s_delay_alu instid0(SALU_CYCLE_1) | instskip(NEXT) | instid1(VALU_DEP_1)
	s_mov_b32 s3, exec_lo
	v_cmpx_gt_i32_e64 s2, v6
	s_cbranch_execz .LBB16_7
; %bb.6:
	v_add_nc_u32_e32 v3, s1, v6
	v_add_nc_u32_e32 v6, 0x100, v6
	global_load_u8 v4, v3, s[6:7]
.LBB16_7:
	s_or_b32 exec_lo, exec_lo, s3
	v_dual_mov_b32 v7, 0 :: v_dual_mov_b32 v8, 0
	s_mov_b32 s3, exec_lo
	v_cmpx_gt_i32_e64 s2, v6
	s_cbranch_execz .LBB16_9
; %bb.8:
	v_add_nc_u32_e32 v3, s1, v6
	v_add_nc_u32_e32 v6, 0x100, v6
	global_load_u8 v8, v3, s[6:7]
.LBB16_9:
	s_or_b32 exec_lo, exec_lo, s3
	s_delay_alu instid0(SALU_CYCLE_1)
	s_mov_b32 s3, exec_lo
	v_cmpx_gt_i32_e64 s2, v6
	s_cbranch_execz .LBB16_11
; %bb.10:
	v_add_nc_u32_e32 v3, s1, v6
	v_add_nc_u32_e32 v6, 0x100, v6
	global_load_u8 v7, v3, s[6:7]
.LBB16_11:
	s_or_b32 exec_lo, exec_lo, s3
	v_dual_mov_b32 v10, 0 :: v_dual_mov_b32 v11, 0
	s_mov_b32 s3, exec_lo
	v_cmpx_gt_i32_e64 s2, v6
	s_cbranch_execz .LBB16_13
; %bb.12:
	v_add_nc_u32_e32 v3, s1, v6
	v_add_nc_u32_e32 v6, 0x100, v6
	global_load_u8 v11, v3, s[6:7]
.LBB16_13:
	s_or_b32 exec_lo, exec_lo, s3
	s_delay_alu instid0(SALU_CYCLE_1)
	;; [unrolled: 20-line block ×4, first 2 shown]
	s_mov_b32 s3, exec_lo
	v_cmpx_gt_i32_e64 s2, v6
	s_cbranch_execz .LBB16_23
; %bb.22:
	v_add_nc_u32_e32 v9, s1, v6
	v_add_nc_u32_e32 v6, 0x100, v6
	global_load_u8 v14, v9, s[6:7]
.LBB16_23:
	s_or_b32 exec_lo, exec_lo, s3
	v_mov_b32_e32 v9, 0
	v_mov_b32_e32 v13, 0
	s_mov_b32 s3, exec_lo
	v_cmpx_gt_i32_e64 s2, v6
	s_cbranch_execz .LBB16_25
; %bb.24:
	v_add_nc_u32_e32 v13, s1, v6
	v_add_nc_u32_e32 v6, 0x100, v6
	global_load_u8 v13, v13, s[6:7]
.LBB16_25:
	s_or_b32 exec_lo, exec_lo, s3
	s_delay_alu instid0(SALU_CYCLE_1)
	s_mov_b32 s3, exec_lo
	v_cmpx_gt_i32_e64 s2, v6
	s_cbranch_execz .LBB16_27
; %bb.26:
	v_add_nc_u32_e32 v9, s1, v6
	v_add_nc_u32_e32 v6, 0x100, v6
	global_load_u8 v9, v9, s[6:7]
.LBB16_27:
	s_or_b32 exec_lo, exec_lo, s3
	v_mov_b32_e32 v17, 0
	v_mov_b32_e32 v19, 0
	s_mov_b32 s3, exec_lo
	v_cmpx_gt_i32_e64 s2, v6
	s_cbranch_execz .LBB16_29
; %bb.28:
	v_add_nc_u32_e32 v16, s1, v6
	v_add_nc_u32_e32 v6, 0x100, v6
	global_load_u8 v19, v16, s[6:7]
.LBB16_29:
	s_or_b32 exec_lo, exec_lo, s3
	s_delay_alu instid0(SALU_CYCLE_1)
	;; [unrolled: 21-line block ×3, first 2 shown]
	s_mov_b32 s3, exec_lo
	v_cmpx_gt_i32_e64 s2, v6
	s_cbranch_execz .LBB16_35
; %bb.34:
	v_add_nc_u32_e32 v6, s1, v6
	global_load_u8 v16, v6, s[6:7]
.LBB16_35:
	s_or_b32 exec_lo, exec_lo, s3
	s_waitcnt vmcnt(0)
	v_xor_b32_e32 v5, -1, v5
	v_xor_b32_e32 v4, -1, v4
	;; [unrolled: 1-line block ×3, first 2 shown]
	v_or_b32_e32 v20, 0x400, v0
	v_xor_b32_e32 v8, -1, v8
	v_and_b32_e32 v5, 0xff, v5
	v_lshlrev_b16 v4, 8, v4
	v_perm_b32 v11, v11, 0, 0x3020104
	v_cmp_gt_i32_e64 s0, s2, v20
	v_and_b32_e32 v8, 0xff, v8
	v_or_b32_e32 v6, 0x200, v0
	v_or_b32_e32 v4, v5, v4
	v_and_b32_e32 v5, 0xffff, v5
	v_cndmask_b32_e64 v11, 0, v11, s0
	v_cmp_gt_i32_e64 s0, s2, v2
	v_xor_b32_e32 v10, -1, v10
	v_and_b32_e32 v4, 0xffff, v4
	v_lshlrev_b32_e32 v8, 16, v8
	v_and_b32_e32 v20, 0xff, v11
	v_xor_b32_e32 v15, -1, v15
	v_lshlrev_b16 v10, 8, v10
	v_cndmask_b32_e64 v4, v5, v4, s0
	v_cmp_gt_i32_e64 s0, s2, v6
	v_xor_b32_e32 v6, -1, v14
	v_or_b32_e32 v14, 0xc00, v0
	v_or_b32_e32 v10, v20, v10
	;; [unrolled: 1-line block ×4, first 2 shown]
	v_xor_b32_e32 v17, -1, v17
	v_or_b32_e32 v21, 0x600, v0
	v_and_b32_e32 v10, 0xffff, v10
	v_cndmask_b32_e64 v4, v4, v8, s0
	v_xor_b32_e32 v8, -1, v19
	v_cmp_gt_i32_e64 s0, s2, v14
	v_xor_b32_e32 v12, -1, v12
	v_and_or_b32 v10, 0xffff0000, v11, v10
	v_and_b32_e32 v14, 0xff, v15
	v_perm_b32 v8, v8, 0, 0x3020104
	v_lshlrev_b16 v6, 8, v6
	v_xor_b32_e32 v7, -1, v7
	v_lshrrev_b32_e32 v19, 16, v4
	v_xor_b32_e32 v3, -1, v3
	v_cndmask_b32_e64 v8, 0, v8, s0
	v_cmp_gt_i32_e64 s0, s2, v5
	v_or_b32_e32 v6, v14, v6
	v_lshlrev_b16 v7, 8, v7
	v_and_b32_e32 v19, 0xff, v19
	v_lshlrev_b16 v3, 8, v3
	v_cndmask_b32_e64 v5, v11, v10, s0
	v_lshlrev_b16 v10, 8, v17
	v_and_b32_e32 v11, 0xff, v8
	v_cmp_gt_i32_e64 s0, s2, v21
	v_and_b32_e32 v6, 0xffff, v6
	v_perm_b32 v12, v5, v12, 0x7000504
	v_or_b32_e32 v7, v19, v7
	v_or_b32_e32 v10, v11, v10
	v_xor_b32_e32 v11, -1, v13
	v_or_b32_e32 v13, 0x900, v0
	v_cndmask_b32_e64 v5, v5, v12, s0
	v_and_b32_e32 v12, 0xffff, v14
	v_and_b32_e32 v10, 0xffff, v10
	;; [unrolled: 1-line block ×3, first 2 shown]
	v_or_b32_e32 v14, 0xd00, v0
	v_cmp_gt_i32_e64 s0, s2, v13
	v_or_b32_e32 v13, 0xa00, v0
	v_and_or_b32 v10, 0xffff0000, v8, v10
	v_lshlrev_b32_e32 v11, 16, v11
	v_lshlrev_b32_e32 v7, 16, v7
	v_cndmask_b32_e64 v6, v12, v6, s0
	v_cmp_gt_i32_e64 s0, s2, v14
	v_or_b32_e32 v14, 0xe00, v0
	v_lshrrev_b32_e32 v12, 16, v5
	v_xor_b32_e32 v9, -1, v9
	v_or_b32_e32 v11, v6, v11
	v_cndmask_b32_e64 v8, v8, v10, s0
	v_xor_b32_e32 v10, -1, v18
	v_cmp_gt_i32_e64 s0, s2, v13
	v_xor_b32_e32 v13, -1, v16
	v_lshlrev_b16 v9, 8, v9
	v_and_or_b32 v7, 0xffff, v4, v7
	v_perm_b32 v10, v8, v10, 0x7000504
	v_cndmask_b32_e64 v11, v6, v11, s0
	v_cmp_gt_i32_e64 s0, s2, v14
	v_and_b32_e32 v6, 0xff, v12
	s_delay_alu instid0(VALU_DEP_2) | instskip(NEXT) | instid1(VALU_DEP_4)
	v_cndmask_b32_e64 v8, v8, v10, s0
	v_lshrrev_b32_e32 v10, 16, v11
	s_delay_alu instid0(VALU_DEP_3) | instskip(NEXT) | instid1(VALU_DEP_3)
	v_or_b32_e32 v3, v6, v3
	v_lshrrev_b32_e32 v12, 16, v8
	s_delay_alu instid0(VALU_DEP_3) | instskip(NEXT) | instid1(VALU_DEP_3)
	v_and_b32_e32 v6, 0xff, v10
	v_lshlrev_b32_e32 v3, 16, v3
	s_delay_alu instid0(VALU_DEP_3) | instskip(SKIP_4) | instid1(VALU_DEP_4)
	v_and_b32_e32 v10, 0xff, v12
	v_lshlrev_b16 v12, 8, v13
	v_or_b32_e32 v13, 0x300, v0
	v_or_b32_e32 v9, v6, v9
	v_and_or_b32 v3, 0xffff, v5, v3
	v_or_b32_e32 v10, v10, v12
	s_delay_alu instid0(VALU_DEP_4) | instskip(SKIP_1) | instid1(VALU_DEP_2)
	v_cmp_gt_i32_e64 s0, s2, v13
	v_or_b32_e32 v12, 0xf00, v0
	v_cndmask_b32_e64 v6, v4, v7, s0
	v_or_b32_e32 v7, 0x700, v0
	v_lshlrev_b32_e32 v4, 16, v9
	v_lshlrev_b32_e32 v9, 16, v10
	v_or_b32_e32 v10, 0xb00, v0
	s_delay_alu instid0(VALU_DEP_4) | instskip(NEXT) | instid1(VALU_DEP_4)
	v_cmp_gt_i32_e64 s0, s2, v7
	v_and_or_b32 v4, 0xffff, v11, v4
	s_delay_alu instid0(VALU_DEP_4) | instskip(NEXT) | instid1(VALU_DEP_3)
	v_and_or_b32 v9, 0xffff, v8, v9
	v_cndmask_b32_e64 v5, v5, v3, s0
	v_cmp_gt_i32_e64 s0, s2, v10
	s_delay_alu instid0(VALU_DEP_1) | instskip(SKIP_1) | instid1(VALU_DEP_1)
	v_cndmask_b32_e64 v4, v11, v4, s0
	v_cmp_gt_i32_e64 s0, s2, v12
	v_cndmask_b32_e64 v3, v8, v9, s0
	s_and_saveexec_b32 s0, vcc_lo
	s_cbranch_execnz .LBB16_53
; %bb.36:
	s_or_b32 exec_lo, exec_lo, s0
	s_delay_alu instid0(SALU_CYCLE_1)
	s_mov_b32 s0, exec_lo
	v_cmpx_gt_i32_e64 s2, v0
	s_cbranch_execnz .LBB16_54
.LBB16_37:
	s_or_b32 exec_lo, exec_lo, s0
	s_delay_alu instid0(SALU_CYCLE_1)
	s_mov_b32 s0, exec_lo
	v_cmpx_gt_i32_e64 s2, v0
	s_cbranch_execnz .LBB16_55
.LBB16_38:
	s_or_b32 exec_lo, exec_lo, s0
	s_delay_alu instid0(SALU_CYCLE_1)
	s_mov_b32 s0, exec_lo
	v_cmpx_gt_i32_e64 s2, v0
	s_cbranch_execnz .LBB16_56
.LBB16_39:
	s_or_b32 exec_lo, exec_lo, s0
	s_delay_alu instid0(SALU_CYCLE_1)
	s_mov_b32 s0, exec_lo
	v_cmpx_gt_i32_e64 s2, v0
	s_cbranch_execnz .LBB16_57
.LBB16_40:
	s_or_b32 exec_lo, exec_lo, s0
	s_delay_alu instid0(SALU_CYCLE_1)
	s_mov_b32 s0, exec_lo
	v_cmpx_gt_i32_e64 s2, v0
	s_cbranch_execnz .LBB16_58
.LBB16_41:
	s_or_b32 exec_lo, exec_lo, s0
	s_delay_alu instid0(SALU_CYCLE_1)
	s_mov_b32 s0, exec_lo
	v_cmpx_gt_i32_e64 s2, v0
	s_cbranch_execnz .LBB16_59
.LBB16_42:
	s_or_b32 exec_lo, exec_lo, s0
	s_delay_alu instid0(SALU_CYCLE_1)
	s_mov_b32 s0, exec_lo
	v_cmpx_gt_i32_e64 s2, v0
	s_cbranch_execnz .LBB16_60
.LBB16_43:
	s_or_b32 exec_lo, exec_lo, s0
	s_delay_alu instid0(SALU_CYCLE_1)
	s_mov_b32 s0, exec_lo
	v_cmpx_gt_i32_e64 s2, v0
	s_cbranch_execnz .LBB16_61
.LBB16_44:
	s_or_b32 exec_lo, exec_lo, s0
	s_delay_alu instid0(SALU_CYCLE_1)
	s_mov_b32 s0, exec_lo
	v_cmpx_gt_i32_e64 s2, v0
	s_cbranch_execnz .LBB16_62
.LBB16_45:
	s_or_b32 exec_lo, exec_lo, s0
	s_delay_alu instid0(SALU_CYCLE_1)
	s_mov_b32 s0, exec_lo
	v_cmpx_gt_i32_e64 s2, v0
	s_cbranch_execnz .LBB16_63
.LBB16_46:
	s_or_b32 exec_lo, exec_lo, s0
	s_delay_alu instid0(SALU_CYCLE_1)
	s_mov_b32 s0, exec_lo
	v_cmpx_gt_i32_e64 s2, v0
	s_cbranch_execnz .LBB16_64
.LBB16_47:
	s_or_b32 exec_lo, exec_lo, s0
	s_delay_alu instid0(SALU_CYCLE_1)
	s_mov_b32 s0, exec_lo
	v_cmpx_gt_i32_e64 s2, v0
	s_cbranch_execnz .LBB16_65
.LBB16_48:
	s_or_b32 exec_lo, exec_lo, s0
	s_delay_alu instid0(SALU_CYCLE_1)
	s_mov_b32 s0, exec_lo
	v_cmpx_gt_i32_e64 s2, v0
	s_cbranch_execnz .LBB16_66
.LBB16_49:
	s_or_b32 exec_lo, exec_lo, s0
	s_delay_alu instid0(SALU_CYCLE_1)
	s_mov_b32 s0, exec_lo
	v_cmpx_gt_i32_e64 s2, v0
	s_cbranch_execnz .LBB16_67
.LBB16_50:
	s_or_b32 exec_lo, exec_lo, s0
	s_delay_alu instid0(SALU_CYCLE_1)
	s_mov_b32 s0, exec_lo
	v_cmpx_gt_i32_e64 s2, v0
	s_cbranch_execz .LBB16_52
.LBB16_51:
	v_add_nc_u32_e32 v0, s1, v0
	v_lshrrev_b32_e32 v1, 24, v3
	global_store_b8 v0, v1, s[4:5]
.LBB16_52:
	s_nop 0
	s_sendmsg sendmsg(MSG_DEALLOC_VGPRS)
	s_endpgm
.LBB16_53:
	v_mov_b32_e32 v0, v2
	global_store_b8 v1, v6, s[4:5]
	s_or_b32 exec_lo, exec_lo, s0
	s_delay_alu instid0(SALU_CYCLE_1)
	s_mov_b32 s0, exec_lo
	v_cmpx_gt_i32_e64 s2, v0
	s_cbranch_execz .LBB16_37
.LBB16_54:
	v_add_nc_u32_e32 v1, s1, v0
	v_lshrrev_b32_e32 v2, 8, v6
	v_add_nc_u32_e32 v0, 0x100, v0
	global_store_b8 v1, v2, s[4:5]
	s_or_b32 exec_lo, exec_lo, s0
	s_delay_alu instid0(SALU_CYCLE_1)
	s_mov_b32 s0, exec_lo
	v_cmpx_gt_i32_e64 s2, v0
	s_cbranch_execz .LBB16_38
.LBB16_55:
	v_add_nc_u32_e32 v1, s1, v0
	v_add_nc_u32_e32 v0, 0x100, v0
	global_store_d16_hi_b8 v1, v6, s[4:5]
	s_or_b32 exec_lo, exec_lo, s0
	s_delay_alu instid0(SALU_CYCLE_1)
	s_mov_b32 s0, exec_lo
	v_cmpx_gt_i32_e64 s2, v0
	s_cbranch_execz .LBB16_39
.LBB16_56:
	v_add_nc_u32_e32 v1, s1, v0
	v_lshrrev_b32_e32 v2, 24, v6
	v_add_nc_u32_e32 v0, 0x100, v0
	global_store_b8 v1, v2, s[4:5]
	s_or_b32 exec_lo, exec_lo, s0
	s_delay_alu instid0(SALU_CYCLE_1)
	s_mov_b32 s0, exec_lo
	v_cmpx_gt_i32_e64 s2, v0
	s_cbranch_execz .LBB16_40
.LBB16_57:
	v_add_nc_u32_e32 v1, s1, v0
	v_add_nc_u32_e32 v0, 0x100, v0
	global_store_b8 v1, v5, s[4:5]
	s_or_b32 exec_lo, exec_lo, s0
	s_delay_alu instid0(SALU_CYCLE_1)
	s_mov_b32 s0, exec_lo
	v_cmpx_gt_i32_e64 s2, v0
	s_cbranch_execz .LBB16_41
.LBB16_58:
	v_add_nc_u32_e32 v1, s1, v0
	v_lshrrev_b32_e32 v2, 8, v5
	v_add_nc_u32_e32 v0, 0x100, v0
	global_store_b8 v1, v2, s[4:5]
	s_or_b32 exec_lo, exec_lo, s0
	s_delay_alu instid0(SALU_CYCLE_1)
	s_mov_b32 s0, exec_lo
	v_cmpx_gt_i32_e64 s2, v0
	s_cbranch_execz .LBB16_42
.LBB16_59:
	v_add_nc_u32_e32 v1, s1, v0
	v_add_nc_u32_e32 v0, 0x100, v0
	global_store_d16_hi_b8 v1, v5, s[4:5]
	s_or_b32 exec_lo, exec_lo, s0
	s_delay_alu instid0(SALU_CYCLE_1)
	s_mov_b32 s0, exec_lo
	v_cmpx_gt_i32_e64 s2, v0
	s_cbranch_execz .LBB16_43
.LBB16_60:
	v_add_nc_u32_e32 v1, s1, v0
	v_lshrrev_b32_e32 v2, 24, v5
	v_add_nc_u32_e32 v0, 0x100, v0
	global_store_b8 v1, v2, s[4:5]
	s_or_b32 exec_lo, exec_lo, s0
	s_delay_alu instid0(SALU_CYCLE_1)
	s_mov_b32 s0, exec_lo
	v_cmpx_gt_i32_e64 s2, v0
	s_cbranch_execz .LBB16_44
.LBB16_61:
	v_add_nc_u32_e32 v1, s1, v0
	v_add_nc_u32_e32 v0, 0x100, v0
	global_store_b8 v1, v4, s[4:5]
	s_or_b32 exec_lo, exec_lo, s0
	s_delay_alu instid0(SALU_CYCLE_1)
	s_mov_b32 s0, exec_lo
	v_cmpx_gt_i32_e64 s2, v0
	s_cbranch_execz .LBB16_45
.LBB16_62:
	v_add_nc_u32_e32 v1, s1, v0
	v_lshrrev_b32_e32 v2, 8, v4
	v_add_nc_u32_e32 v0, 0x100, v0
	global_store_b8 v1, v2, s[4:5]
	s_or_b32 exec_lo, exec_lo, s0
	s_delay_alu instid0(SALU_CYCLE_1)
	s_mov_b32 s0, exec_lo
	v_cmpx_gt_i32_e64 s2, v0
	s_cbranch_execz .LBB16_46
.LBB16_63:
	v_add_nc_u32_e32 v1, s1, v0
	v_add_nc_u32_e32 v0, 0x100, v0
	global_store_d16_hi_b8 v1, v4, s[4:5]
	s_or_b32 exec_lo, exec_lo, s0
	s_delay_alu instid0(SALU_CYCLE_1)
	s_mov_b32 s0, exec_lo
	v_cmpx_gt_i32_e64 s2, v0
	s_cbranch_execz .LBB16_47
.LBB16_64:
	v_add_nc_u32_e32 v1, s1, v0
	v_lshrrev_b32_e32 v2, 24, v4
	v_add_nc_u32_e32 v0, 0x100, v0
	global_store_b8 v1, v2, s[4:5]
	s_or_b32 exec_lo, exec_lo, s0
	s_delay_alu instid0(SALU_CYCLE_1)
	s_mov_b32 s0, exec_lo
	v_cmpx_gt_i32_e64 s2, v0
	s_cbranch_execz .LBB16_48
.LBB16_65:
	v_add_nc_u32_e32 v1, s1, v0
	v_add_nc_u32_e32 v0, 0x100, v0
	global_store_b8 v1, v3, s[4:5]
	s_or_b32 exec_lo, exec_lo, s0
	s_delay_alu instid0(SALU_CYCLE_1)
	s_mov_b32 s0, exec_lo
	v_cmpx_gt_i32_e64 s2, v0
	s_cbranch_execz .LBB16_49
.LBB16_66:
	v_add_nc_u32_e32 v1, s1, v0
	v_lshrrev_b32_e32 v2, 8, v3
	v_add_nc_u32_e32 v0, 0x100, v0
	global_store_b8 v1, v2, s[4:5]
	s_or_b32 exec_lo, exec_lo, s0
	s_delay_alu instid0(SALU_CYCLE_1)
	s_mov_b32 s0, exec_lo
	v_cmpx_gt_i32_e64 s2, v0
	s_cbranch_execz .LBB16_50
.LBB16_67:
	v_add_nc_u32_e32 v1, s1, v0
	v_add_nc_u32_e32 v0, 0x100, v0
	global_store_d16_hi_b8 v1, v3, s[4:5]
	s_or_b32 exec_lo, exec_lo, s0
	s_delay_alu instid0(SALU_CYCLE_1)
	s_mov_b32 s0, exec_lo
	v_cmpx_gt_i32_e64 s2, v0
	s_cbranch_execnz .LBB16_51
	s_branch .LBB16_52
	.section	.rodata,"a",@progbits
	.p2align	6, 0x0
	.amdhsa_kernel _ZN2at6native29vectorized_elementwise_kernelILi16EZZZNS0_23bitwise_not_kernel_cudaERNS_18TensorIteratorBaseEENKUlvE_clEvENKUlvE0_clEvEUlaE_St5arrayIPcLm2EEEEviT0_T1_
		.amdhsa_group_segment_fixed_size 0
		.amdhsa_private_segment_fixed_size 0
		.amdhsa_kernarg_size 24
		.amdhsa_user_sgpr_count 15
		.amdhsa_user_sgpr_dispatch_ptr 0
		.amdhsa_user_sgpr_queue_ptr 0
		.amdhsa_user_sgpr_kernarg_segment_ptr 1
		.amdhsa_user_sgpr_dispatch_id 0
		.amdhsa_user_sgpr_private_segment_size 0
		.amdhsa_wavefront_size32 1
		.amdhsa_uses_dynamic_stack 0
		.amdhsa_enable_private_segment 0
		.amdhsa_system_sgpr_workgroup_id_x 1
		.amdhsa_system_sgpr_workgroup_id_y 0
		.amdhsa_system_sgpr_workgroup_id_z 0
		.amdhsa_system_sgpr_workgroup_info 0
		.amdhsa_system_vgpr_workitem_id 0
		.amdhsa_next_free_vgpr 22
		.amdhsa_next_free_sgpr 16
		.amdhsa_reserve_vcc 1
		.amdhsa_float_round_mode_32 0
		.amdhsa_float_round_mode_16_64 0
		.amdhsa_float_denorm_mode_32 3
		.amdhsa_float_denorm_mode_16_64 3
		.amdhsa_dx10_clamp 1
		.amdhsa_ieee_mode 1
		.amdhsa_fp16_overflow 0
		.amdhsa_workgroup_processor_mode 1
		.amdhsa_memory_ordered 1
		.amdhsa_forward_progress 0
		.amdhsa_shared_vgpr_count 0
		.amdhsa_exception_fp_ieee_invalid_op 0
		.amdhsa_exception_fp_denorm_src 0
		.amdhsa_exception_fp_ieee_div_zero 0
		.amdhsa_exception_fp_ieee_overflow 0
		.amdhsa_exception_fp_ieee_underflow 0
		.amdhsa_exception_fp_ieee_inexact 0
		.amdhsa_exception_int_div_zero 0
	.end_amdhsa_kernel
	.section	.text._ZN2at6native29vectorized_elementwise_kernelILi16EZZZNS0_23bitwise_not_kernel_cudaERNS_18TensorIteratorBaseEENKUlvE_clEvENKUlvE0_clEvEUlaE_St5arrayIPcLm2EEEEviT0_T1_,"axG",@progbits,_ZN2at6native29vectorized_elementwise_kernelILi16EZZZNS0_23bitwise_not_kernel_cudaERNS_18TensorIteratorBaseEENKUlvE_clEvENKUlvE0_clEvEUlaE_St5arrayIPcLm2EEEEviT0_T1_,comdat
.Lfunc_end16:
	.size	_ZN2at6native29vectorized_elementwise_kernelILi16EZZZNS0_23bitwise_not_kernel_cudaERNS_18TensorIteratorBaseEENKUlvE_clEvENKUlvE0_clEvEUlaE_St5arrayIPcLm2EEEEviT0_T1_, .Lfunc_end16-_ZN2at6native29vectorized_elementwise_kernelILi16EZZZNS0_23bitwise_not_kernel_cudaERNS_18TensorIteratorBaseEENKUlvE_clEvENKUlvE0_clEvEUlaE_St5arrayIPcLm2EEEEviT0_T1_
                                        ; -- End function
	.section	.AMDGPU.csdata,"",@progbits
; Kernel info:
; codeLenInByte = 3080
; NumSgprs: 18
; NumVgprs: 22
; ScratchSize: 0
; MemoryBound: 0
; FloatMode: 240
; IeeeMode: 1
; LDSByteSize: 0 bytes/workgroup (compile time only)
; SGPRBlocks: 2
; VGPRBlocks: 2
; NumSGPRsForWavesPerEU: 18
; NumVGPRsForWavesPerEU: 22
; Occupancy: 16
; WaveLimiterHint : 0
; COMPUTE_PGM_RSRC2:SCRATCH_EN: 0
; COMPUTE_PGM_RSRC2:USER_SGPR: 15
; COMPUTE_PGM_RSRC2:TRAP_HANDLER: 0
; COMPUTE_PGM_RSRC2:TGID_X_EN: 1
; COMPUTE_PGM_RSRC2:TGID_Y_EN: 0
; COMPUTE_PGM_RSRC2:TGID_Z_EN: 0
; COMPUTE_PGM_RSRC2:TIDIG_COMP_CNT: 0
	.section	.text._ZN2at6native29vectorized_elementwise_kernelILi8EZZZNS0_23bitwise_not_kernel_cudaERNS_18TensorIteratorBaseEENKUlvE_clEvENKUlvE0_clEvEUlaE_St5arrayIPcLm2EEEEviT0_T1_,"axG",@progbits,_ZN2at6native29vectorized_elementwise_kernelILi8EZZZNS0_23bitwise_not_kernel_cudaERNS_18TensorIteratorBaseEENKUlvE_clEvENKUlvE0_clEvEUlaE_St5arrayIPcLm2EEEEviT0_T1_,comdat
	.globl	_ZN2at6native29vectorized_elementwise_kernelILi8EZZZNS0_23bitwise_not_kernel_cudaERNS_18TensorIteratorBaseEENKUlvE_clEvENKUlvE0_clEvEUlaE_St5arrayIPcLm2EEEEviT0_T1_ ; -- Begin function _ZN2at6native29vectorized_elementwise_kernelILi8EZZZNS0_23bitwise_not_kernel_cudaERNS_18TensorIteratorBaseEENKUlvE_clEvENKUlvE0_clEvEUlaE_St5arrayIPcLm2EEEEviT0_T1_
	.p2align	8
	.type	_ZN2at6native29vectorized_elementwise_kernelILi8EZZZNS0_23bitwise_not_kernel_cudaERNS_18TensorIteratorBaseEENKUlvE_clEvENKUlvE0_clEvEUlaE_St5arrayIPcLm2EEEEviT0_T1_,@function
_ZN2at6native29vectorized_elementwise_kernelILi8EZZZNS0_23bitwise_not_kernel_cudaERNS_18TensorIteratorBaseEENKUlvE_clEvENKUlvE0_clEvEUlaE_St5arrayIPcLm2EEEEviT0_T1_: ; @_ZN2at6native29vectorized_elementwise_kernelILi8EZZZNS0_23bitwise_not_kernel_cudaERNS_18TensorIteratorBaseEENKUlvE_clEvENKUlvE0_clEvEUlaE_St5arrayIPcLm2EEEEviT0_T1_
; %bb.0:
	s_clause 0x1
	s_load_b32 s2, s[0:1], 0x0
	s_load_b128 s[4:7], s[0:1], 0x8
	s_lshl_b32 s1, s15, 12
	s_mov_b32 s0, -1
	s_waitcnt lgkmcnt(0)
	s_sub_i32 s2, s2, s1
	s_delay_alu instid0(SALU_CYCLE_1)
	s_cmpk_gt_i32 s2, 0xfff
	s_cbranch_scc0 .LBB17_2
; %bb.1:
	v_lshlrev_b32_e32 v5, 3, v0
	s_ashr_i32 s0, s1, 31
	s_add_u32 s8, s6, s1
	s_addc_u32 s9, s7, s0
	s_clause 0x1
	global_load_b64 v[1:2], v5, s[8:9]
	global_load_b64 v[3:4], v5, s[8:9] offset:2048
	s_add_u32 s8, s4, s1
	s_addc_u32 s9, s5, s0
	s_mov_b32 s0, 0
	s_waitcnt vmcnt(1)
	v_not_b32_e32 v2, v2
	s_waitcnt vmcnt(0)
	v_not_b32_e32 v4, v4
	v_not_b32_e32 v1, v1
	;; [unrolled: 1-line block ×3, first 2 shown]
	v_and_b32_e32 v6, 0xff000000, v2
	v_and_b32_e32 v7, 0xff0000, v2
	;; [unrolled: 1-line block ×6, first 2 shown]
	v_or_b32_e32 v6, v7, v6
	v_and_b32_e32 v11, 0xff00, v4
	v_and_b32_e32 v4, 0xff, v4
	v_or_b32_e32 v7, v10, v9
	s_delay_alu instid0(VALU_DEP_4) | instskip(NEXT) | instid1(VALU_DEP_2)
	v_or3_b32 v2, v6, v8, v2
	v_or3_b32 v4, v7, v11, v4
	s_clause 0x1
	global_store_b64 v5, v[1:2], s[8:9]
	global_store_b64 v5, v[3:4], s[8:9] offset:2048
.LBB17_2:
	s_and_not1_b32 vcc_lo, exec_lo, s0
	s_cbranch_vccnz .LBB17_52
; %bb.3:
	v_cmp_gt_i32_e32 vcc_lo, s2, v0
	v_dual_mov_b32 v4, 0 :: v_dual_mov_b32 v5, 0
	v_or_b32_e32 v1, s1, v0
	v_or_b32_e32 v2, 0x100, v0
	v_mov_b32_e32 v6, v0
	s_and_saveexec_b32 s0, vcc_lo
	s_cbranch_execz .LBB17_5
; %bb.4:
	global_load_u8 v5, v1, s[6:7]
	v_or_b32_e32 v6, 0x100, v0
.LBB17_5:
	s_or_b32 exec_lo, exec_lo, s0
	s_delay_alu instid0(SALU_CYCLE_1) | instskip(NEXT) | instid1(VALU_DEP_1)
	s_mov_b32 s3, exec_lo
	v_cmpx_gt_i32_e64 s2, v6
	s_cbranch_execz .LBB17_7
; %bb.6:
	v_add_nc_u32_e32 v3, s1, v6
	v_add_nc_u32_e32 v6, 0x100, v6
	global_load_u8 v4, v3, s[6:7]
.LBB17_7:
	s_or_b32 exec_lo, exec_lo, s3
	v_dual_mov_b32 v7, 0 :: v_dual_mov_b32 v8, 0
	s_mov_b32 s3, exec_lo
	v_cmpx_gt_i32_e64 s2, v6
	s_cbranch_execz .LBB17_9
; %bb.8:
	v_add_nc_u32_e32 v3, s1, v6
	v_add_nc_u32_e32 v6, 0x100, v6
	global_load_u8 v8, v3, s[6:7]
.LBB17_9:
	s_or_b32 exec_lo, exec_lo, s3
	s_delay_alu instid0(SALU_CYCLE_1)
	s_mov_b32 s3, exec_lo
	v_cmpx_gt_i32_e64 s2, v6
	s_cbranch_execz .LBB17_11
; %bb.10:
	v_add_nc_u32_e32 v3, s1, v6
	v_add_nc_u32_e32 v6, 0x100, v6
	global_load_u8 v7, v3, s[6:7]
.LBB17_11:
	s_or_b32 exec_lo, exec_lo, s3
	v_dual_mov_b32 v10, 0 :: v_dual_mov_b32 v11, 0
	s_mov_b32 s3, exec_lo
	v_cmpx_gt_i32_e64 s2, v6
	s_cbranch_execz .LBB17_13
; %bb.12:
	v_add_nc_u32_e32 v3, s1, v6
	v_add_nc_u32_e32 v6, 0x100, v6
	global_load_u8 v11, v3, s[6:7]
.LBB17_13:
	s_or_b32 exec_lo, exec_lo, s3
	s_delay_alu instid0(SALU_CYCLE_1)
	s_mov_b32 s3, exec_lo
	v_cmpx_gt_i32_e64 s2, v6
	s_cbranch_execz .LBB17_15
; %bb.14:
	v_add_nc_u32_e32 v3, s1, v6
	v_add_nc_u32_e32 v6, 0x100, v6
	global_load_u8 v10, v3, s[6:7]
.LBB17_15:
	s_or_b32 exec_lo, exec_lo, s3
	v_dual_mov_b32 v3, 0 :: v_dual_mov_b32 v12, 0
	s_mov_b32 s3, exec_lo
	v_cmpx_gt_i32_e64 s2, v6
	s_cbranch_execz .LBB17_17
; %bb.16:
	v_add_nc_u32_e32 v9, s1, v6
	v_add_nc_u32_e32 v6, 0x100, v6
	global_load_u8 v12, v9, s[6:7]
.LBB17_17:
	s_or_b32 exec_lo, exec_lo, s3
	s_delay_alu instid0(SALU_CYCLE_1)
	s_mov_b32 s3, exec_lo
	v_cmpx_gt_i32_e64 s2, v6
	s_cbranch_execz .LBB17_19
; %bb.18:
	v_add_nc_u32_e32 v3, s1, v6
	v_add_nc_u32_e32 v6, 0x100, v6
	global_load_u8 v3, v3, s[6:7]
.LBB17_19:
	s_or_b32 exec_lo, exec_lo, s3
	v_dual_mov_b32 v14, 0 :: v_dual_mov_b32 v15, 0
	s_mov_b32 s3, exec_lo
	v_cmpx_gt_i32_e64 s2, v6
	s_cbranch_execz .LBB17_21
; %bb.20:
	v_add_nc_u32_e32 v9, s1, v6
	v_add_nc_u32_e32 v6, 0x100, v6
	global_load_u8 v15, v9, s[6:7]
.LBB17_21:
	s_or_b32 exec_lo, exec_lo, s3
	s_delay_alu instid0(SALU_CYCLE_1)
	s_mov_b32 s3, exec_lo
	v_cmpx_gt_i32_e64 s2, v6
	s_cbranch_execz .LBB17_23
; %bb.22:
	v_add_nc_u32_e32 v9, s1, v6
	v_add_nc_u32_e32 v6, 0x100, v6
	global_load_u8 v14, v9, s[6:7]
.LBB17_23:
	s_or_b32 exec_lo, exec_lo, s3
	v_mov_b32_e32 v9, 0
	v_mov_b32_e32 v13, 0
	s_mov_b32 s3, exec_lo
	v_cmpx_gt_i32_e64 s2, v6
	s_cbranch_execz .LBB17_25
; %bb.24:
	v_add_nc_u32_e32 v13, s1, v6
	v_add_nc_u32_e32 v6, 0x100, v6
	global_load_u8 v13, v13, s[6:7]
.LBB17_25:
	s_or_b32 exec_lo, exec_lo, s3
	s_delay_alu instid0(SALU_CYCLE_1)
	s_mov_b32 s3, exec_lo
	v_cmpx_gt_i32_e64 s2, v6
	s_cbranch_execz .LBB17_27
; %bb.26:
	v_add_nc_u32_e32 v9, s1, v6
	v_add_nc_u32_e32 v6, 0x100, v6
	global_load_u8 v9, v9, s[6:7]
.LBB17_27:
	s_or_b32 exec_lo, exec_lo, s3
	v_mov_b32_e32 v17, 0
	v_mov_b32_e32 v19, 0
	s_mov_b32 s3, exec_lo
	v_cmpx_gt_i32_e64 s2, v6
	s_cbranch_execz .LBB17_29
; %bb.28:
	v_add_nc_u32_e32 v16, s1, v6
	v_add_nc_u32_e32 v6, 0x100, v6
	global_load_u8 v19, v16, s[6:7]
.LBB17_29:
	s_or_b32 exec_lo, exec_lo, s3
	s_delay_alu instid0(SALU_CYCLE_1)
	;; [unrolled: 21-line block ×3, first 2 shown]
	s_mov_b32 s3, exec_lo
	v_cmpx_gt_i32_e64 s2, v6
	s_cbranch_execz .LBB17_35
; %bb.34:
	v_add_nc_u32_e32 v6, s1, v6
	global_load_u8 v16, v6, s[6:7]
.LBB17_35:
	s_or_b32 exec_lo, exec_lo, s3
	s_waitcnt vmcnt(0)
	v_xor_b32_e32 v5, -1, v5
	v_xor_b32_e32 v4, -1, v4
	;; [unrolled: 1-line block ×3, first 2 shown]
	v_or_b32_e32 v20, 0x400, v0
	v_xor_b32_e32 v8, -1, v8
	v_and_b32_e32 v5, 0xff, v5
	v_lshlrev_b16 v4, 8, v4
	v_perm_b32 v11, v11, 0, 0x3020104
	v_cmp_gt_i32_e64 s0, s2, v20
	v_and_b32_e32 v8, 0xff, v8
	v_or_b32_e32 v6, 0x200, v0
	v_or_b32_e32 v4, v5, v4
	v_and_b32_e32 v5, 0xffff, v5
	v_cndmask_b32_e64 v11, 0, v11, s0
	v_cmp_gt_i32_e64 s0, s2, v2
	v_xor_b32_e32 v10, -1, v10
	v_and_b32_e32 v4, 0xffff, v4
	v_lshlrev_b32_e32 v8, 16, v8
	v_and_b32_e32 v20, 0xff, v11
	v_xor_b32_e32 v15, -1, v15
	v_lshlrev_b16 v10, 8, v10
	v_cndmask_b32_e64 v4, v5, v4, s0
	v_cmp_gt_i32_e64 s0, s2, v6
	v_xor_b32_e32 v6, -1, v14
	v_or_b32_e32 v14, 0xc00, v0
	v_or_b32_e32 v10, v20, v10
	;; [unrolled: 1-line block ×4, first 2 shown]
	v_xor_b32_e32 v17, -1, v17
	v_or_b32_e32 v21, 0x600, v0
	v_and_b32_e32 v10, 0xffff, v10
	v_cndmask_b32_e64 v4, v4, v8, s0
	v_xor_b32_e32 v8, -1, v19
	v_cmp_gt_i32_e64 s0, s2, v14
	v_xor_b32_e32 v12, -1, v12
	v_and_or_b32 v10, 0xffff0000, v11, v10
	v_and_b32_e32 v14, 0xff, v15
	v_perm_b32 v8, v8, 0, 0x3020104
	v_lshlrev_b16 v6, 8, v6
	v_xor_b32_e32 v7, -1, v7
	v_lshrrev_b32_e32 v19, 16, v4
	v_xor_b32_e32 v3, -1, v3
	v_cndmask_b32_e64 v8, 0, v8, s0
	v_cmp_gt_i32_e64 s0, s2, v5
	v_or_b32_e32 v6, v14, v6
	v_lshlrev_b16 v7, 8, v7
	v_and_b32_e32 v19, 0xff, v19
	v_lshlrev_b16 v3, 8, v3
	v_cndmask_b32_e64 v5, v11, v10, s0
	v_lshlrev_b16 v10, 8, v17
	v_and_b32_e32 v11, 0xff, v8
	v_cmp_gt_i32_e64 s0, s2, v21
	v_and_b32_e32 v6, 0xffff, v6
	v_perm_b32 v12, v5, v12, 0x7000504
	v_or_b32_e32 v7, v19, v7
	v_or_b32_e32 v10, v11, v10
	v_xor_b32_e32 v11, -1, v13
	v_or_b32_e32 v13, 0x900, v0
	v_cndmask_b32_e64 v5, v5, v12, s0
	v_and_b32_e32 v12, 0xffff, v14
	v_and_b32_e32 v10, 0xffff, v10
	;; [unrolled: 1-line block ×3, first 2 shown]
	v_or_b32_e32 v14, 0xd00, v0
	v_cmp_gt_i32_e64 s0, s2, v13
	v_or_b32_e32 v13, 0xa00, v0
	v_and_or_b32 v10, 0xffff0000, v8, v10
	v_lshlrev_b32_e32 v11, 16, v11
	v_lshlrev_b32_e32 v7, 16, v7
	v_cndmask_b32_e64 v6, v12, v6, s0
	v_cmp_gt_i32_e64 s0, s2, v14
	v_or_b32_e32 v14, 0xe00, v0
	v_lshrrev_b32_e32 v12, 16, v5
	v_xor_b32_e32 v9, -1, v9
	v_or_b32_e32 v11, v6, v11
	v_cndmask_b32_e64 v8, v8, v10, s0
	v_xor_b32_e32 v10, -1, v18
	v_cmp_gt_i32_e64 s0, s2, v13
	v_xor_b32_e32 v13, -1, v16
	v_lshlrev_b16 v9, 8, v9
	v_and_or_b32 v7, 0xffff, v4, v7
	v_perm_b32 v10, v8, v10, 0x7000504
	v_cndmask_b32_e64 v11, v6, v11, s0
	v_cmp_gt_i32_e64 s0, s2, v14
	v_and_b32_e32 v6, 0xff, v12
	s_delay_alu instid0(VALU_DEP_2) | instskip(NEXT) | instid1(VALU_DEP_4)
	v_cndmask_b32_e64 v8, v8, v10, s0
	v_lshrrev_b32_e32 v10, 16, v11
	s_delay_alu instid0(VALU_DEP_3) | instskip(NEXT) | instid1(VALU_DEP_3)
	v_or_b32_e32 v3, v6, v3
	v_lshrrev_b32_e32 v12, 16, v8
	s_delay_alu instid0(VALU_DEP_3) | instskip(NEXT) | instid1(VALU_DEP_3)
	v_and_b32_e32 v6, 0xff, v10
	v_lshlrev_b32_e32 v3, 16, v3
	s_delay_alu instid0(VALU_DEP_3) | instskip(SKIP_4) | instid1(VALU_DEP_4)
	v_and_b32_e32 v10, 0xff, v12
	v_lshlrev_b16 v12, 8, v13
	v_or_b32_e32 v13, 0x300, v0
	v_or_b32_e32 v9, v6, v9
	v_and_or_b32 v3, 0xffff, v5, v3
	v_or_b32_e32 v10, v10, v12
	s_delay_alu instid0(VALU_DEP_4) | instskip(SKIP_1) | instid1(VALU_DEP_2)
	v_cmp_gt_i32_e64 s0, s2, v13
	v_or_b32_e32 v12, 0xf00, v0
	v_cndmask_b32_e64 v6, v4, v7, s0
	v_or_b32_e32 v7, 0x700, v0
	v_lshlrev_b32_e32 v4, 16, v9
	v_lshlrev_b32_e32 v9, 16, v10
	v_or_b32_e32 v10, 0xb00, v0
	s_delay_alu instid0(VALU_DEP_4) | instskip(NEXT) | instid1(VALU_DEP_4)
	v_cmp_gt_i32_e64 s0, s2, v7
	v_and_or_b32 v4, 0xffff, v11, v4
	s_delay_alu instid0(VALU_DEP_4) | instskip(NEXT) | instid1(VALU_DEP_3)
	v_and_or_b32 v9, 0xffff, v8, v9
	v_cndmask_b32_e64 v5, v5, v3, s0
	v_cmp_gt_i32_e64 s0, s2, v10
	s_delay_alu instid0(VALU_DEP_1) | instskip(SKIP_1) | instid1(VALU_DEP_1)
	v_cndmask_b32_e64 v4, v11, v4, s0
	v_cmp_gt_i32_e64 s0, s2, v12
	v_cndmask_b32_e64 v3, v8, v9, s0
	s_and_saveexec_b32 s0, vcc_lo
	s_cbranch_execnz .LBB17_53
; %bb.36:
	s_or_b32 exec_lo, exec_lo, s0
	s_delay_alu instid0(SALU_CYCLE_1)
	s_mov_b32 s0, exec_lo
	v_cmpx_gt_i32_e64 s2, v0
	s_cbranch_execnz .LBB17_54
.LBB17_37:
	s_or_b32 exec_lo, exec_lo, s0
	s_delay_alu instid0(SALU_CYCLE_1)
	s_mov_b32 s0, exec_lo
	v_cmpx_gt_i32_e64 s2, v0
	s_cbranch_execnz .LBB17_55
.LBB17_38:
	s_or_b32 exec_lo, exec_lo, s0
	s_delay_alu instid0(SALU_CYCLE_1)
	s_mov_b32 s0, exec_lo
	v_cmpx_gt_i32_e64 s2, v0
	s_cbranch_execnz .LBB17_56
.LBB17_39:
	s_or_b32 exec_lo, exec_lo, s0
	s_delay_alu instid0(SALU_CYCLE_1)
	s_mov_b32 s0, exec_lo
	v_cmpx_gt_i32_e64 s2, v0
	s_cbranch_execnz .LBB17_57
.LBB17_40:
	s_or_b32 exec_lo, exec_lo, s0
	s_delay_alu instid0(SALU_CYCLE_1)
	s_mov_b32 s0, exec_lo
	v_cmpx_gt_i32_e64 s2, v0
	s_cbranch_execnz .LBB17_58
.LBB17_41:
	s_or_b32 exec_lo, exec_lo, s0
	s_delay_alu instid0(SALU_CYCLE_1)
	s_mov_b32 s0, exec_lo
	v_cmpx_gt_i32_e64 s2, v0
	s_cbranch_execnz .LBB17_59
.LBB17_42:
	s_or_b32 exec_lo, exec_lo, s0
	s_delay_alu instid0(SALU_CYCLE_1)
	s_mov_b32 s0, exec_lo
	v_cmpx_gt_i32_e64 s2, v0
	s_cbranch_execnz .LBB17_60
.LBB17_43:
	s_or_b32 exec_lo, exec_lo, s0
	s_delay_alu instid0(SALU_CYCLE_1)
	s_mov_b32 s0, exec_lo
	v_cmpx_gt_i32_e64 s2, v0
	s_cbranch_execnz .LBB17_61
.LBB17_44:
	s_or_b32 exec_lo, exec_lo, s0
	s_delay_alu instid0(SALU_CYCLE_1)
	s_mov_b32 s0, exec_lo
	v_cmpx_gt_i32_e64 s2, v0
	s_cbranch_execnz .LBB17_62
.LBB17_45:
	s_or_b32 exec_lo, exec_lo, s0
	s_delay_alu instid0(SALU_CYCLE_1)
	s_mov_b32 s0, exec_lo
	v_cmpx_gt_i32_e64 s2, v0
	s_cbranch_execnz .LBB17_63
.LBB17_46:
	s_or_b32 exec_lo, exec_lo, s0
	s_delay_alu instid0(SALU_CYCLE_1)
	s_mov_b32 s0, exec_lo
	v_cmpx_gt_i32_e64 s2, v0
	s_cbranch_execnz .LBB17_64
.LBB17_47:
	s_or_b32 exec_lo, exec_lo, s0
	s_delay_alu instid0(SALU_CYCLE_1)
	s_mov_b32 s0, exec_lo
	v_cmpx_gt_i32_e64 s2, v0
	s_cbranch_execnz .LBB17_65
.LBB17_48:
	s_or_b32 exec_lo, exec_lo, s0
	s_delay_alu instid0(SALU_CYCLE_1)
	s_mov_b32 s0, exec_lo
	v_cmpx_gt_i32_e64 s2, v0
	s_cbranch_execnz .LBB17_66
.LBB17_49:
	s_or_b32 exec_lo, exec_lo, s0
	s_delay_alu instid0(SALU_CYCLE_1)
	s_mov_b32 s0, exec_lo
	v_cmpx_gt_i32_e64 s2, v0
	s_cbranch_execnz .LBB17_67
.LBB17_50:
	s_or_b32 exec_lo, exec_lo, s0
	s_delay_alu instid0(SALU_CYCLE_1)
	s_mov_b32 s0, exec_lo
	v_cmpx_gt_i32_e64 s2, v0
	s_cbranch_execz .LBB17_52
.LBB17_51:
	v_add_nc_u32_e32 v0, s1, v0
	v_lshrrev_b32_e32 v1, 24, v3
	global_store_b8 v0, v1, s[4:5]
.LBB17_52:
	s_nop 0
	s_sendmsg sendmsg(MSG_DEALLOC_VGPRS)
	s_endpgm
.LBB17_53:
	v_mov_b32_e32 v0, v2
	global_store_b8 v1, v6, s[4:5]
	s_or_b32 exec_lo, exec_lo, s0
	s_delay_alu instid0(SALU_CYCLE_1)
	s_mov_b32 s0, exec_lo
	v_cmpx_gt_i32_e64 s2, v0
	s_cbranch_execz .LBB17_37
.LBB17_54:
	v_add_nc_u32_e32 v1, s1, v0
	v_lshrrev_b32_e32 v2, 8, v6
	v_add_nc_u32_e32 v0, 0x100, v0
	global_store_b8 v1, v2, s[4:5]
	s_or_b32 exec_lo, exec_lo, s0
	s_delay_alu instid0(SALU_CYCLE_1)
	s_mov_b32 s0, exec_lo
	v_cmpx_gt_i32_e64 s2, v0
	s_cbranch_execz .LBB17_38
.LBB17_55:
	v_add_nc_u32_e32 v1, s1, v0
	v_add_nc_u32_e32 v0, 0x100, v0
	global_store_d16_hi_b8 v1, v6, s[4:5]
	s_or_b32 exec_lo, exec_lo, s0
	s_delay_alu instid0(SALU_CYCLE_1)
	s_mov_b32 s0, exec_lo
	v_cmpx_gt_i32_e64 s2, v0
	s_cbranch_execz .LBB17_39
.LBB17_56:
	v_add_nc_u32_e32 v1, s1, v0
	v_lshrrev_b32_e32 v2, 24, v6
	v_add_nc_u32_e32 v0, 0x100, v0
	global_store_b8 v1, v2, s[4:5]
	s_or_b32 exec_lo, exec_lo, s0
	s_delay_alu instid0(SALU_CYCLE_1)
	s_mov_b32 s0, exec_lo
	v_cmpx_gt_i32_e64 s2, v0
	s_cbranch_execz .LBB17_40
.LBB17_57:
	v_add_nc_u32_e32 v1, s1, v0
	v_add_nc_u32_e32 v0, 0x100, v0
	global_store_b8 v1, v5, s[4:5]
	s_or_b32 exec_lo, exec_lo, s0
	s_delay_alu instid0(SALU_CYCLE_1)
	s_mov_b32 s0, exec_lo
	v_cmpx_gt_i32_e64 s2, v0
	s_cbranch_execz .LBB17_41
.LBB17_58:
	v_add_nc_u32_e32 v1, s1, v0
	v_lshrrev_b32_e32 v2, 8, v5
	v_add_nc_u32_e32 v0, 0x100, v0
	global_store_b8 v1, v2, s[4:5]
	s_or_b32 exec_lo, exec_lo, s0
	s_delay_alu instid0(SALU_CYCLE_1)
	s_mov_b32 s0, exec_lo
	v_cmpx_gt_i32_e64 s2, v0
	s_cbranch_execz .LBB17_42
.LBB17_59:
	v_add_nc_u32_e32 v1, s1, v0
	v_add_nc_u32_e32 v0, 0x100, v0
	global_store_d16_hi_b8 v1, v5, s[4:5]
	s_or_b32 exec_lo, exec_lo, s0
	s_delay_alu instid0(SALU_CYCLE_1)
	s_mov_b32 s0, exec_lo
	v_cmpx_gt_i32_e64 s2, v0
	s_cbranch_execz .LBB17_43
.LBB17_60:
	v_add_nc_u32_e32 v1, s1, v0
	v_lshrrev_b32_e32 v2, 24, v5
	v_add_nc_u32_e32 v0, 0x100, v0
	global_store_b8 v1, v2, s[4:5]
	s_or_b32 exec_lo, exec_lo, s0
	s_delay_alu instid0(SALU_CYCLE_1)
	s_mov_b32 s0, exec_lo
	v_cmpx_gt_i32_e64 s2, v0
	s_cbranch_execz .LBB17_44
.LBB17_61:
	v_add_nc_u32_e32 v1, s1, v0
	v_add_nc_u32_e32 v0, 0x100, v0
	global_store_b8 v1, v4, s[4:5]
	s_or_b32 exec_lo, exec_lo, s0
	s_delay_alu instid0(SALU_CYCLE_1)
	s_mov_b32 s0, exec_lo
	v_cmpx_gt_i32_e64 s2, v0
	s_cbranch_execz .LBB17_45
.LBB17_62:
	v_add_nc_u32_e32 v1, s1, v0
	v_lshrrev_b32_e32 v2, 8, v4
	v_add_nc_u32_e32 v0, 0x100, v0
	global_store_b8 v1, v2, s[4:5]
	s_or_b32 exec_lo, exec_lo, s0
	s_delay_alu instid0(SALU_CYCLE_1)
	s_mov_b32 s0, exec_lo
	v_cmpx_gt_i32_e64 s2, v0
	s_cbranch_execz .LBB17_46
.LBB17_63:
	v_add_nc_u32_e32 v1, s1, v0
	v_add_nc_u32_e32 v0, 0x100, v0
	global_store_d16_hi_b8 v1, v4, s[4:5]
	s_or_b32 exec_lo, exec_lo, s0
	s_delay_alu instid0(SALU_CYCLE_1)
	s_mov_b32 s0, exec_lo
	v_cmpx_gt_i32_e64 s2, v0
	s_cbranch_execz .LBB17_47
.LBB17_64:
	v_add_nc_u32_e32 v1, s1, v0
	v_lshrrev_b32_e32 v2, 24, v4
	v_add_nc_u32_e32 v0, 0x100, v0
	global_store_b8 v1, v2, s[4:5]
	s_or_b32 exec_lo, exec_lo, s0
	s_delay_alu instid0(SALU_CYCLE_1)
	s_mov_b32 s0, exec_lo
	v_cmpx_gt_i32_e64 s2, v0
	s_cbranch_execz .LBB17_48
.LBB17_65:
	v_add_nc_u32_e32 v1, s1, v0
	v_add_nc_u32_e32 v0, 0x100, v0
	global_store_b8 v1, v3, s[4:5]
	s_or_b32 exec_lo, exec_lo, s0
	s_delay_alu instid0(SALU_CYCLE_1)
	s_mov_b32 s0, exec_lo
	v_cmpx_gt_i32_e64 s2, v0
	s_cbranch_execz .LBB17_49
.LBB17_66:
	v_add_nc_u32_e32 v1, s1, v0
	v_lshrrev_b32_e32 v2, 8, v3
	v_add_nc_u32_e32 v0, 0x100, v0
	global_store_b8 v1, v2, s[4:5]
	s_or_b32 exec_lo, exec_lo, s0
	s_delay_alu instid0(SALU_CYCLE_1)
	s_mov_b32 s0, exec_lo
	v_cmpx_gt_i32_e64 s2, v0
	s_cbranch_execz .LBB17_50
.LBB17_67:
	v_add_nc_u32_e32 v1, s1, v0
	v_add_nc_u32_e32 v0, 0x100, v0
	global_store_d16_hi_b8 v1, v3, s[4:5]
	s_or_b32 exec_lo, exec_lo, s0
	s_delay_alu instid0(SALU_CYCLE_1)
	s_mov_b32 s0, exec_lo
	v_cmpx_gt_i32_e64 s2, v0
	s_cbranch_execnz .LBB17_51
	s_branch .LBB17_52
	.section	.rodata,"a",@progbits
	.p2align	6, 0x0
	.amdhsa_kernel _ZN2at6native29vectorized_elementwise_kernelILi8EZZZNS0_23bitwise_not_kernel_cudaERNS_18TensorIteratorBaseEENKUlvE_clEvENKUlvE0_clEvEUlaE_St5arrayIPcLm2EEEEviT0_T1_
		.amdhsa_group_segment_fixed_size 0
		.amdhsa_private_segment_fixed_size 0
		.amdhsa_kernarg_size 24
		.amdhsa_user_sgpr_count 15
		.amdhsa_user_sgpr_dispatch_ptr 0
		.amdhsa_user_sgpr_queue_ptr 0
		.amdhsa_user_sgpr_kernarg_segment_ptr 1
		.amdhsa_user_sgpr_dispatch_id 0
		.amdhsa_user_sgpr_private_segment_size 0
		.amdhsa_wavefront_size32 1
		.amdhsa_uses_dynamic_stack 0
		.amdhsa_enable_private_segment 0
		.amdhsa_system_sgpr_workgroup_id_x 1
		.amdhsa_system_sgpr_workgroup_id_y 0
		.amdhsa_system_sgpr_workgroup_id_z 0
		.amdhsa_system_sgpr_workgroup_info 0
		.amdhsa_system_vgpr_workitem_id 0
		.amdhsa_next_free_vgpr 22
		.amdhsa_next_free_sgpr 16
		.amdhsa_reserve_vcc 1
		.amdhsa_float_round_mode_32 0
		.amdhsa_float_round_mode_16_64 0
		.amdhsa_float_denorm_mode_32 3
		.amdhsa_float_denorm_mode_16_64 3
		.amdhsa_dx10_clamp 1
		.amdhsa_ieee_mode 1
		.amdhsa_fp16_overflow 0
		.amdhsa_workgroup_processor_mode 1
		.amdhsa_memory_ordered 1
		.amdhsa_forward_progress 0
		.amdhsa_shared_vgpr_count 0
		.amdhsa_exception_fp_ieee_invalid_op 0
		.amdhsa_exception_fp_denorm_src 0
		.amdhsa_exception_fp_ieee_div_zero 0
		.amdhsa_exception_fp_ieee_overflow 0
		.amdhsa_exception_fp_ieee_underflow 0
		.amdhsa_exception_fp_ieee_inexact 0
		.amdhsa_exception_int_div_zero 0
	.end_amdhsa_kernel
	.section	.text._ZN2at6native29vectorized_elementwise_kernelILi8EZZZNS0_23bitwise_not_kernel_cudaERNS_18TensorIteratorBaseEENKUlvE_clEvENKUlvE0_clEvEUlaE_St5arrayIPcLm2EEEEviT0_T1_,"axG",@progbits,_ZN2at6native29vectorized_elementwise_kernelILi8EZZZNS0_23bitwise_not_kernel_cudaERNS_18TensorIteratorBaseEENKUlvE_clEvENKUlvE0_clEvEUlaE_St5arrayIPcLm2EEEEviT0_T1_,comdat
.Lfunc_end17:
	.size	_ZN2at6native29vectorized_elementwise_kernelILi8EZZZNS0_23bitwise_not_kernel_cudaERNS_18TensorIteratorBaseEENKUlvE_clEvENKUlvE0_clEvEUlaE_St5arrayIPcLm2EEEEviT0_T1_, .Lfunc_end17-_ZN2at6native29vectorized_elementwise_kernelILi8EZZZNS0_23bitwise_not_kernel_cudaERNS_18TensorIteratorBaseEENKUlvE_clEvENKUlvE0_clEvEUlaE_St5arrayIPcLm2EEEEviT0_T1_
                                        ; -- End function
	.section	.AMDGPU.csdata,"",@progbits
; Kernel info:
; codeLenInByte = 2876
; NumSgprs: 18
; NumVgprs: 22
; ScratchSize: 0
; MemoryBound: 0
; FloatMode: 240
; IeeeMode: 1
; LDSByteSize: 0 bytes/workgroup (compile time only)
; SGPRBlocks: 2
; VGPRBlocks: 2
; NumSGPRsForWavesPerEU: 18
; NumVGPRsForWavesPerEU: 22
; Occupancy: 16
; WaveLimiterHint : 1
; COMPUTE_PGM_RSRC2:SCRATCH_EN: 0
; COMPUTE_PGM_RSRC2:USER_SGPR: 15
; COMPUTE_PGM_RSRC2:TRAP_HANDLER: 0
; COMPUTE_PGM_RSRC2:TGID_X_EN: 1
; COMPUTE_PGM_RSRC2:TGID_Y_EN: 0
; COMPUTE_PGM_RSRC2:TGID_Z_EN: 0
; COMPUTE_PGM_RSRC2:TIDIG_COMP_CNT: 0
	.section	.text._ZN2at6native29vectorized_elementwise_kernelILi4EZZZNS0_23bitwise_not_kernel_cudaERNS_18TensorIteratorBaseEENKUlvE_clEvENKUlvE0_clEvEUlaE_St5arrayIPcLm2EEEEviT0_T1_,"axG",@progbits,_ZN2at6native29vectorized_elementwise_kernelILi4EZZZNS0_23bitwise_not_kernel_cudaERNS_18TensorIteratorBaseEENKUlvE_clEvENKUlvE0_clEvEUlaE_St5arrayIPcLm2EEEEviT0_T1_,comdat
	.globl	_ZN2at6native29vectorized_elementwise_kernelILi4EZZZNS0_23bitwise_not_kernel_cudaERNS_18TensorIteratorBaseEENKUlvE_clEvENKUlvE0_clEvEUlaE_St5arrayIPcLm2EEEEviT0_T1_ ; -- Begin function _ZN2at6native29vectorized_elementwise_kernelILi4EZZZNS0_23bitwise_not_kernel_cudaERNS_18TensorIteratorBaseEENKUlvE_clEvENKUlvE0_clEvEUlaE_St5arrayIPcLm2EEEEviT0_T1_
	.p2align	8
	.type	_ZN2at6native29vectorized_elementwise_kernelILi4EZZZNS0_23bitwise_not_kernel_cudaERNS_18TensorIteratorBaseEENKUlvE_clEvENKUlvE0_clEvEUlaE_St5arrayIPcLm2EEEEviT0_T1_,@function
_ZN2at6native29vectorized_elementwise_kernelILi4EZZZNS0_23bitwise_not_kernel_cudaERNS_18TensorIteratorBaseEENKUlvE_clEvENKUlvE0_clEvEUlaE_St5arrayIPcLm2EEEEviT0_T1_: ; @_ZN2at6native29vectorized_elementwise_kernelILi4EZZZNS0_23bitwise_not_kernel_cudaERNS_18TensorIteratorBaseEENKUlvE_clEvENKUlvE0_clEvEUlaE_St5arrayIPcLm2EEEEviT0_T1_
; %bb.0:
	s_clause 0x1
	s_load_b32 s2, s[0:1], 0x0
	s_load_b128 s[4:7], s[0:1], 0x8
	s_lshl_b32 s1, s15, 12
	s_mov_b32 s0, -1
	s_waitcnt lgkmcnt(0)
	s_sub_i32 s2, s2, s1
	s_delay_alu instid0(SALU_CYCLE_1)
	s_cmpk_gt_i32 s2, 0xfff
	s_cbranch_scc0 .LBB18_2
; %bb.1:
	v_lshlrev_b32_e32 v1, 2, v0
	s_ashr_i32 s0, s1, 31
	s_add_u32 s8, s6, s1
	s_addc_u32 s9, s7, s0
	s_clause 0x3
	global_load_b32 v2, v1, s[8:9]
	global_load_b32 v3, v1, s[8:9] offset:1024
	global_load_b32 v4, v1, s[8:9] offset:2048
	global_load_b32 v5, v1, s[8:9] offset:3072
	s_add_u32 s8, s4, s1
	s_addc_u32 s9, s5, s0
	s_mov_b32 s0, 0
	s_waitcnt vmcnt(3)
	v_not_b32_e32 v2, v2
	s_waitcnt vmcnt(2)
	v_not_b32_e32 v3, v3
	;; [unrolled: 2-line block ×4, first 2 shown]
	s_clause 0x3
	global_store_b32 v1, v2, s[8:9]
	global_store_b32 v1, v3, s[8:9] offset:1024
	global_store_b32 v1, v4, s[8:9] offset:2048
	;; [unrolled: 1-line block ×3, first 2 shown]
.LBB18_2:
	s_and_not1_b32 vcc_lo, exec_lo, s0
	s_cbranch_vccnz .LBB18_52
; %bb.3:
	v_cmp_gt_i32_e32 vcc_lo, s2, v0
	v_dual_mov_b32 v4, 0 :: v_dual_mov_b32 v5, 0
	v_or_b32_e32 v1, s1, v0
	v_or_b32_e32 v2, 0x100, v0
	v_mov_b32_e32 v6, v0
	s_and_saveexec_b32 s0, vcc_lo
	s_cbranch_execz .LBB18_5
; %bb.4:
	global_load_u8 v5, v1, s[6:7]
	v_or_b32_e32 v6, 0x100, v0
.LBB18_5:
	s_or_b32 exec_lo, exec_lo, s0
	s_delay_alu instid0(SALU_CYCLE_1) | instskip(NEXT) | instid1(VALU_DEP_1)
	s_mov_b32 s3, exec_lo
	v_cmpx_gt_i32_e64 s2, v6
	s_cbranch_execz .LBB18_7
; %bb.6:
	v_add_nc_u32_e32 v3, s1, v6
	v_add_nc_u32_e32 v6, 0x100, v6
	global_load_u8 v4, v3, s[6:7]
.LBB18_7:
	s_or_b32 exec_lo, exec_lo, s3
	v_dual_mov_b32 v7, 0 :: v_dual_mov_b32 v8, 0
	s_mov_b32 s3, exec_lo
	v_cmpx_gt_i32_e64 s2, v6
	s_cbranch_execz .LBB18_9
; %bb.8:
	v_add_nc_u32_e32 v3, s1, v6
	v_add_nc_u32_e32 v6, 0x100, v6
	global_load_u8 v8, v3, s[6:7]
.LBB18_9:
	s_or_b32 exec_lo, exec_lo, s3
	s_delay_alu instid0(SALU_CYCLE_1)
	s_mov_b32 s3, exec_lo
	v_cmpx_gt_i32_e64 s2, v6
	s_cbranch_execz .LBB18_11
; %bb.10:
	v_add_nc_u32_e32 v3, s1, v6
	v_add_nc_u32_e32 v6, 0x100, v6
	global_load_u8 v7, v3, s[6:7]
.LBB18_11:
	s_or_b32 exec_lo, exec_lo, s3
	v_dual_mov_b32 v10, 0 :: v_dual_mov_b32 v11, 0
	s_mov_b32 s3, exec_lo
	v_cmpx_gt_i32_e64 s2, v6
	s_cbranch_execz .LBB18_13
; %bb.12:
	v_add_nc_u32_e32 v3, s1, v6
	v_add_nc_u32_e32 v6, 0x100, v6
	global_load_u8 v11, v3, s[6:7]
.LBB18_13:
	s_or_b32 exec_lo, exec_lo, s3
	s_delay_alu instid0(SALU_CYCLE_1)
	s_mov_b32 s3, exec_lo
	v_cmpx_gt_i32_e64 s2, v6
	s_cbranch_execz .LBB18_15
; %bb.14:
	v_add_nc_u32_e32 v3, s1, v6
	v_add_nc_u32_e32 v6, 0x100, v6
	global_load_u8 v10, v3, s[6:7]
.LBB18_15:
	s_or_b32 exec_lo, exec_lo, s3
	v_dual_mov_b32 v3, 0 :: v_dual_mov_b32 v12, 0
	s_mov_b32 s3, exec_lo
	v_cmpx_gt_i32_e64 s2, v6
	s_cbranch_execz .LBB18_17
; %bb.16:
	v_add_nc_u32_e32 v9, s1, v6
	v_add_nc_u32_e32 v6, 0x100, v6
	global_load_u8 v12, v9, s[6:7]
.LBB18_17:
	s_or_b32 exec_lo, exec_lo, s3
	s_delay_alu instid0(SALU_CYCLE_1)
	s_mov_b32 s3, exec_lo
	v_cmpx_gt_i32_e64 s2, v6
	s_cbranch_execz .LBB18_19
; %bb.18:
	v_add_nc_u32_e32 v3, s1, v6
	v_add_nc_u32_e32 v6, 0x100, v6
	global_load_u8 v3, v3, s[6:7]
.LBB18_19:
	s_or_b32 exec_lo, exec_lo, s3
	v_dual_mov_b32 v14, 0 :: v_dual_mov_b32 v15, 0
	s_mov_b32 s3, exec_lo
	v_cmpx_gt_i32_e64 s2, v6
	s_cbranch_execz .LBB18_21
; %bb.20:
	v_add_nc_u32_e32 v9, s1, v6
	v_add_nc_u32_e32 v6, 0x100, v6
	global_load_u8 v15, v9, s[6:7]
.LBB18_21:
	s_or_b32 exec_lo, exec_lo, s3
	s_delay_alu instid0(SALU_CYCLE_1)
	s_mov_b32 s3, exec_lo
	v_cmpx_gt_i32_e64 s2, v6
	s_cbranch_execz .LBB18_23
; %bb.22:
	v_add_nc_u32_e32 v9, s1, v6
	v_add_nc_u32_e32 v6, 0x100, v6
	global_load_u8 v14, v9, s[6:7]
.LBB18_23:
	s_or_b32 exec_lo, exec_lo, s3
	v_mov_b32_e32 v9, 0
	v_mov_b32_e32 v13, 0
	s_mov_b32 s3, exec_lo
	v_cmpx_gt_i32_e64 s2, v6
	s_cbranch_execz .LBB18_25
; %bb.24:
	v_add_nc_u32_e32 v13, s1, v6
	v_add_nc_u32_e32 v6, 0x100, v6
	global_load_u8 v13, v13, s[6:7]
.LBB18_25:
	s_or_b32 exec_lo, exec_lo, s3
	s_delay_alu instid0(SALU_CYCLE_1)
	s_mov_b32 s3, exec_lo
	v_cmpx_gt_i32_e64 s2, v6
	s_cbranch_execz .LBB18_27
; %bb.26:
	v_add_nc_u32_e32 v9, s1, v6
	v_add_nc_u32_e32 v6, 0x100, v6
	global_load_u8 v9, v9, s[6:7]
.LBB18_27:
	s_or_b32 exec_lo, exec_lo, s3
	v_mov_b32_e32 v17, 0
	v_mov_b32_e32 v19, 0
	s_mov_b32 s3, exec_lo
	v_cmpx_gt_i32_e64 s2, v6
	s_cbranch_execz .LBB18_29
; %bb.28:
	v_add_nc_u32_e32 v16, s1, v6
	v_add_nc_u32_e32 v6, 0x100, v6
	global_load_u8 v19, v16, s[6:7]
.LBB18_29:
	s_or_b32 exec_lo, exec_lo, s3
	s_delay_alu instid0(SALU_CYCLE_1)
	s_mov_b32 s3, exec_lo
	v_cmpx_gt_i32_e64 s2, v6
	s_cbranch_execz .LBB18_31
; %bb.30:
	v_add_nc_u32_e32 v16, s1, v6
	v_add_nc_u32_e32 v6, 0x100, v6
	global_load_u8 v17, v16, s[6:7]
.LBB18_31:
	s_or_b32 exec_lo, exec_lo, s3
	v_mov_b32_e32 v16, 0
	v_mov_b32_e32 v18, 0
	s_mov_b32 s3, exec_lo
	v_cmpx_gt_i32_e64 s2, v6
	s_cbranch_execz .LBB18_33
; %bb.32:
	v_add_nc_u32_e32 v18, s1, v6
	v_add_nc_u32_e32 v6, 0x100, v6
	global_load_u8 v18, v18, s[6:7]
.LBB18_33:
	s_or_b32 exec_lo, exec_lo, s3
	s_delay_alu instid0(SALU_CYCLE_1)
	s_mov_b32 s3, exec_lo
	v_cmpx_gt_i32_e64 s2, v6
	s_cbranch_execz .LBB18_35
; %bb.34:
	v_add_nc_u32_e32 v6, s1, v6
	global_load_u8 v16, v6, s[6:7]
.LBB18_35:
	s_or_b32 exec_lo, exec_lo, s3
	s_waitcnt vmcnt(0)
	v_xor_b32_e32 v5, -1, v5
	v_xor_b32_e32 v4, -1, v4
	;; [unrolled: 1-line block ×3, first 2 shown]
	v_or_b32_e32 v20, 0x400, v0
	v_xor_b32_e32 v8, -1, v8
	v_and_b32_e32 v5, 0xff, v5
	v_lshlrev_b16 v4, 8, v4
	v_perm_b32 v11, v11, 0, 0x3020104
	v_cmp_gt_i32_e64 s0, s2, v20
	v_and_b32_e32 v8, 0xff, v8
	v_or_b32_e32 v6, 0x200, v0
	v_or_b32_e32 v4, v5, v4
	v_and_b32_e32 v5, 0xffff, v5
	v_cndmask_b32_e64 v11, 0, v11, s0
	v_cmp_gt_i32_e64 s0, s2, v2
	v_xor_b32_e32 v10, -1, v10
	v_and_b32_e32 v4, 0xffff, v4
	v_lshlrev_b32_e32 v8, 16, v8
	v_and_b32_e32 v20, 0xff, v11
	v_xor_b32_e32 v15, -1, v15
	v_lshlrev_b16 v10, 8, v10
	v_cndmask_b32_e64 v4, v5, v4, s0
	v_cmp_gt_i32_e64 s0, s2, v6
	v_xor_b32_e32 v6, -1, v14
	v_or_b32_e32 v14, 0xc00, v0
	v_or_b32_e32 v10, v20, v10
	;; [unrolled: 1-line block ×4, first 2 shown]
	v_xor_b32_e32 v17, -1, v17
	v_or_b32_e32 v21, 0x600, v0
	v_and_b32_e32 v10, 0xffff, v10
	v_cndmask_b32_e64 v4, v4, v8, s0
	v_xor_b32_e32 v8, -1, v19
	v_cmp_gt_i32_e64 s0, s2, v14
	v_xor_b32_e32 v12, -1, v12
	v_and_or_b32 v10, 0xffff0000, v11, v10
	v_and_b32_e32 v14, 0xff, v15
	v_perm_b32 v8, v8, 0, 0x3020104
	v_lshlrev_b16 v6, 8, v6
	v_xor_b32_e32 v7, -1, v7
	v_lshrrev_b32_e32 v19, 16, v4
	v_xor_b32_e32 v3, -1, v3
	v_cndmask_b32_e64 v8, 0, v8, s0
	v_cmp_gt_i32_e64 s0, s2, v5
	v_or_b32_e32 v6, v14, v6
	v_lshlrev_b16 v7, 8, v7
	v_and_b32_e32 v19, 0xff, v19
	v_lshlrev_b16 v3, 8, v3
	v_cndmask_b32_e64 v5, v11, v10, s0
	v_lshlrev_b16 v10, 8, v17
	v_and_b32_e32 v11, 0xff, v8
	v_cmp_gt_i32_e64 s0, s2, v21
	v_and_b32_e32 v6, 0xffff, v6
	v_perm_b32 v12, v5, v12, 0x7000504
	v_or_b32_e32 v7, v19, v7
	v_or_b32_e32 v10, v11, v10
	v_xor_b32_e32 v11, -1, v13
	v_or_b32_e32 v13, 0x900, v0
	v_cndmask_b32_e64 v5, v5, v12, s0
	v_and_b32_e32 v12, 0xffff, v14
	v_and_b32_e32 v10, 0xffff, v10
	;; [unrolled: 1-line block ×3, first 2 shown]
	v_or_b32_e32 v14, 0xd00, v0
	v_cmp_gt_i32_e64 s0, s2, v13
	v_or_b32_e32 v13, 0xa00, v0
	v_and_or_b32 v10, 0xffff0000, v8, v10
	v_lshlrev_b32_e32 v11, 16, v11
	v_lshlrev_b32_e32 v7, 16, v7
	v_cndmask_b32_e64 v6, v12, v6, s0
	v_cmp_gt_i32_e64 s0, s2, v14
	v_or_b32_e32 v14, 0xe00, v0
	v_lshrrev_b32_e32 v12, 16, v5
	v_xor_b32_e32 v9, -1, v9
	v_or_b32_e32 v11, v6, v11
	v_cndmask_b32_e64 v8, v8, v10, s0
	v_xor_b32_e32 v10, -1, v18
	v_cmp_gt_i32_e64 s0, s2, v13
	v_xor_b32_e32 v13, -1, v16
	v_lshlrev_b16 v9, 8, v9
	v_and_or_b32 v7, 0xffff, v4, v7
	v_perm_b32 v10, v8, v10, 0x7000504
	v_cndmask_b32_e64 v11, v6, v11, s0
	v_cmp_gt_i32_e64 s0, s2, v14
	v_and_b32_e32 v6, 0xff, v12
	s_delay_alu instid0(VALU_DEP_2) | instskip(NEXT) | instid1(VALU_DEP_4)
	v_cndmask_b32_e64 v8, v8, v10, s0
	v_lshrrev_b32_e32 v10, 16, v11
	s_delay_alu instid0(VALU_DEP_3) | instskip(NEXT) | instid1(VALU_DEP_3)
	v_or_b32_e32 v3, v6, v3
	v_lshrrev_b32_e32 v12, 16, v8
	s_delay_alu instid0(VALU_DEP_3) | instskip(NEXT) | instid1(VALU_DEP_3)
	v_and_b32_e32 v6, 0xff, v10
	v_lshlrev_b32_e32 v3, 16, v3
	s_delay_alu instid0(VALU_DEP_3) | instskip(SKIP_4) | instid1(VALU_DEP_4)
	v_and_b32_e32 v10, 0xff, v12
	v_lshlrev_b16 v12, 8, v13
	v_or_b32_e32 v13, 0x300, v0
	v_or_b32_e32 v9, v6, v9
	v_and_or_b32 v3, 0xffff, v5, v3
	v_or_b32_e32 v10, v10, v12
	s_delay_alu instid0(VALU_DEP_4) | instskip(SKIP_1) | instid1(VALU_DEP_2)
	v_cmp_gt_i32_e64 s0, s2, v13
	v_or_b32_e32 v12, 0xf00, v0
	v_cndmask_b32_e64 v6, v4, v7, s0
	v_or_b32_e32 v7, 0x700, v0
	v_lshlrev_b32_e32 v4, 16, v9
	v_lshlrev_b32_e32 v9, 16, v10
	v_or_b32_e32 v10, 0xb00, v0
	s_delay_alu instid0(VALU_DEP_4) | instskip(NEXT) | instid1(VALU_DEP_4)
	v_cmp_gt_i32_e64 s0, s2, v7
	v_and_or_b32 v4, 0xffff, v11, v4
	s_delay_alu instid0(VALU_DEP_4) | instskip(NEXT) | instid1(VALU_DEP_3)
	v_and_or_b32 v9, 0xffff, v8, v9
	v_cndmask_b32_e64 v5, v5, v3, s0
	v_cmp_gt_i32_e64 s0, s2, v10
	s_delay_alu instid0(VALU_DEP_1) | instskip(SKIP_1) | instid1(VALU_DEP_1)
	v_cndmask_b32_e64 v4, v11, v4, s0
	v_cmp_gt_i32_e64 s0, s2, v12
	v_cndmask_b32_e64 v3, v8, v9, s0
	s_and_saveexec_b32 s0, vcc_lo
	s_cbranch_execnz .LBB18_53
; %bb.36:
	s_or_b32 exec_lo, exec_lo, s0
	s_delay_alu instid0(SALU_CYCLE_1)
	s_mov_b32 s0, exec_lo
	v_cmpx_gt_i32_e64 s2, v0
	s_cbranch_execnz .LBB18_54
.LBB18_37:
	s_or_b32 exec_lo, exec_lo, s0
	s_delay_alu instid0(SALU_CYCLE_1)
	s_mov_b32 s0, exec_lo
	v_cmpx_gt_i32_e64 s2, v0
	s_cbranch_execnz .LBB18_55
.LBB18_38:
	s_or_b32 exec_lo, exec_lo, s0
	s_delay_alu instid0(SALU_CYCLE_1)
	s_mov_b32 s0, exec_lo
	v_cmpx_gt_i32_e64 s2, v0
	s_cbranch_execnz .LBB18_56
.LBB18_39:
	s_or_b32 exec_lo, exec_lo, s0
	s_delay_alu instid0(SALU_CYCLE_1)
	s_mov_b32 s0, exec_lo
	v_cmpx_gt_i32_e64 s2, v0
	s_cbranch_execnz .LBB18_57
.LBB18_40:
	s_or_b32 exec_lo, exec_lo, s0
	s_delay_alu instid0(SALU_CYCLE_1)
	s_mov_b32 s0, exec_lo
	v_cmpx_gt_i32_e64 s2, v0
	s_cbranch_execnz .LBB18_58
.LBB18_41:
	s_or_b32 exec_lo, exec_lo, s0
	s_delay_alu instid0(SALU_CYCLE_1)
	s_mov_b32 s0, exec_lo
	v_cmpx_gt_i32_e64 s2, v0
	s_cbranch_execnz .LBB18_59
.LBB18_42:
	s_or_b32 exec_lo, exec_lo, s0
	s_delay_alu instid0(SALU_CYCLE_1)
	s_mov_b32 s0, exec_lo
	v_cmpx_gt_i32_e64 s2, v0
	s_cbranch_execnz .LBB18_60
.LBB18_43:
	s_or_b32 exec_lo, exec_lo, s0
	s_delay_alu instid0(SALU_CYCLE_1)
	s_mov_b32 s0, exec_lo
	v_cmpx_gt_i32_e64 s2, v0
	s_cbranch_execnz .LBB18_61
.LBB18_44:
	s_or_b32 exec_lo, exec_lo, s0
	s_delay_alu instid0(SALU_CYCLE_1)
	s_mov_b32 s0, exec_lo
	v_cmpx_gt_i32_e64 s2, v0
	s_cbranch_execnz .LBB18_62
.LBB18_45:
	s_or_b32 exec_lo, exec_lo, s0
	s_delay_alu instid0(SALU_CYCLE_1)
	s_mov_b32 s0, exec_lo
	v_cmpx_gt_i32_e64 s2, v0
	s_cbranch_execnz .LBB18_63
.LBB18_46:
	s_or_b32 exec_lo, exec_lo, s0
	s_delay_alu instid0(SALU_CYCLE_1)
	s_mov_b32 s0, exec_lo
	v_cmpx_gt_i32_e64 s2, v0
	s_cbranch_execnz .LBB18_64
.LBB18_47:
	s_or_b32 exec_lo, exec_lo, s0
	s_delay_alu instid0(SALU_CYCLE_1)
	s_mov_b32 s0, exec_lo
	v_cmpx_gt_i32_e64 s2, v0
	s_cbranch_execnz .LBB18_65
.LBB18_48:
	s_or_b32 exec_lo, exec_lo, s0
	s_delay_alu instid0(SALU_CYCLE_1)
	s_mov_b32 s0, exec_lo
	v_cmpx_gt_i32_e64 s2, v0
	s_cbranch_execnz .LBB18_66
.LBB18_49:
	s_or_b32 exec_lo, exec_lo, s0
	s_delay_alu instid0(SALU_CYCLE_1)
	s_mov_b32 s0, exec_lo
	v_cmpx_gt_i32_e64 s2, v0
	s_cbranch_execnz .LBB18_67
.LBB18_50:
	s_or_b32 exec_lo, exec_lo, s0
	s_delay_alu instid0(SALU_CYCLE_1)
	s_mov_b32 s0, exec_lo
	v_cmpx_gt_i32_e64 s2, v0
	s_cbranch_execz .LBB18_52
.LBB18_51:
	v_add_nc_u32_e32 v0, s1, v0
	v_lshrrev_b32_e32 v1, 24, v3
	global_store_b8 v0, v1, s[4:5]
.LBB18_52:
	s_nop 0
	s_sendmsg sendmsg(MSG_DEALLOC_VGPRS)
	s_endpgm
.LBB18_53:
	v_mov_b32_e32 v0, v2
	global_store_b8 v1, v6, s[4:5]
	s_or_b32 exec_lo, exec_lo, s0
	s_delay_alu instid0(SALU_CYCLE_1)
	s_mov_b32 s0, exec_lo
	v_cmpx_gt_i32_e64 s2, v0
	s_cbranch_execz .LBB18_37
.LBB18_54:
	v_add_nc_u32_e32 v1, s1, v0
	v_lshrrev_b32_e32 v2, 8, v6
	v_add_nc_u32_e32 v0, 0x100, v0
	global_store_b8 v1, v2, s[4:5]
	s_or_b32 exec_lo, exec_lo, s0
	s_delay_alu instid0(SALU_CYCLE_1)
	s_mov_b32 s0, exec_lo
	v_cmpx_gt_i32_e64 s2, v0
	s_cbranch_execz .LBB18_38
.LBB18_55:
	v_add_nc_u32_e32 v1, s1, v0
	v_add_nc_u32_e32 v0, 0x100, v0
	global_store_d16_hi_b8 v1, v6, s[4:5]
	s_or_b32 exec_lo, exec_lo, s0
	s_delay_alu instid0(SALU_CYCLE_1)
	s_mov_b32 s0, exec_lo
	v_cmpx_gt_i32_e64 s2, v0
	s_cbranch_execz .LBB18_39
.LBB18_56:
	v_add_nc_u32_e32 v1, s1, v0
	v_lshrrev_b32_e32 v2, 24, v6
	v_add_nc_u32_e32 v0, 0x100, v0
	global_store_b8 v1, v2, s[4:5]
	s_or_b32 exec_lo, exec_lo, s0
	s_delay_alu instid0(SALU_CYCLE_1)
	s_mov_b32 s0, exec_lo
	v_cmpx_gt_i32_e64 s2, v0
	s_cbranch_execz .LBB18_40
.LBB18_57:
	v_add_nc_u32_e32 v1, s1, v0
	v_add_nc_u32_e32 v0, 0x100, v0
	global_store_b8 v1, v5, s[4:5]
	s_or_b32 exec_lo, exec_lo, s0
	s_delay_alu instid0(SALU_CYCLE_1)
	s_mov_b32 s0, exec_lo
	v_cmpx_gt_i32_e64 s2, v0
	s_cbranch_execz .LBB18_41
.LBB18_58:
	v_add_nc_u32_e32 v1, s1, v0
	v_lshrrev_b32_e32 v2, 8, v5
	v_add_nc_u32_e32 v0, 0x100, v0
	global_store_b8 v1, v2, s[4:5]
	s_or_b32 exec_lo, exec_lo, s0
	s_delay_alu instid0(SALU_CYCLE_1)
	s_mov_b32 s0, exec_lo
	v_cmpx_gt_i32_e64 s2, v0
	s_cbranch_execz .LBB18_42
.LBB18_59:
	v_add_nc_u32_e32 v1, s1, v0
	v_add_nc_u32_e32 v0, 0x100, v0
	global_store_d16_hi_b8 v1, v5, s[4:5]
	s_or_b32 exec_lo, exec_lo, s0
	s_delay_alu instid0(SALU_CYCLE_1)
	s_mov_b32 s0, exec_lo
	v_cmpx_gt_i32_e64 s2, v0
	s_cbranch_execz .LBB18_43
.LBB18_60:
	v_add_nc_u32_e32 v1, s1, v0
	v_lshrrev_b32_e32 v2, 24, v5
	v_add_nc_u32_e32 v0, 0x100, v0
	global_store_b8 v1, v2, s[4:5]
	s_or_b32 exec_lo, exec_lo, s0
	s_delay_alu instid0(SALU_CYCLE_1)
	s_mov_b32 s0, exec_lo
	v_cmpx_gt_i32_e64 s2, v0
	s_cbranch_execz .LBB18_44
.LBB18_61:
	v_add_nc_u32_e32 v1, s1, v0
	v_add_nc_u32_e32 v0, 0x100, v0
	global_store_b8 v1, v4, s[4:5]
	s_or_b32 exec_lo, exec_lo, s0
	s_delay_alu instid0(SALU_CYCLE_1)
	s_mov_b32 s0, exec_lo
	v_cmpx_gt_i32_e64 s2, v0
	s_cbranch_execz .LBB18_45
.LBB18_62:
	v_add_nc_u32_e32 v1, s1, v0
	v_lshrrev_b32_e32 v2, 8, v4
	v_add_nc_u32_e32 v0, 0x100, v0
	global_store_b8 v1, v2, s[4:5]
	s_or_b32 exec_lo, exec_lo, s0
	s_delay_alu instid0(SALU_CYCLE_1)
	s_mov_b32 s0, exec_lo
	v_cmpx_gt_i32_e64 s2, v0
	s_cbranch_execz .LBB18_46
.LBB18_63:
	v_add_nc_u32_e32 v1, s1, v0
	v_add_nc_u32_e32 v0, 0x100, v0
	global_store_d16_hi_b8 v1, v4, s[4:5]
	s_or_b32 exec_lo, exec_lo, s0
	s_delay_alu instid0(SALU_CYCLE_1)
	s_mov_b32 s0, exec_lo
	v_cmpx_gt_i32_e64 s2, v0
	s_cbranch_execz .LBB18_47
.LBB18_64:
	v_add_nc_u32_e32 v1, s1, v0
	v_lshrrev_b32_e32 v2, 24, v4
	v_add_nc_u32_e32 v0, 0x100, v0
	global_store_b8 v1, v2, s[4:5]
	s_or_b32 exec_lo, exec_lo, s0
	s_delay_alu instid0(SALU_CYCLE_1)
	s_mov_b32 s0, exec_lo
	v_cmpx_gt_i32_e64 s2, v0
	s_cbranch_execz .LBB18_48
.LBB18_65:
	v_add_nc_u32_e32 v1, s1, v0
	v_add_nc_u32_e32 v0, 0x100, v0
	global_store_b8 v1, v3, s[4:5]
	s_or_b32 exec_lo, exec_lo, s0
	s_delay_alu instid0(SALU_CYCLE_1)
	s_mov_b32 s0, exec_lo
	v_cmpx_gt_i32_e64 s2, v0
	s_cbranch_execz .LBB18_49
.LBB18_66:
	v_add_nc_u32_e32 v1, s1, v0
	v_lshrrev_b32_e32 v2, 8, v3
	v_add_nc_u32_e32 v0, 0x100, v0
	global_store_b8 v1, v2, s[4:5]
	s_or_b32 exec_lo, exec_lo, s0
	s_delay_alu instid0(SALU_CYCLE_1)
	s_mov_b32 s0, exec_lo
	v_cmpx_gt_i32_e64 s2, v0
	s_cbranch_execz .LBB18_50
.LBB18_67:
	v_add_nc_u32_e32 v1, s1, v0
	v_add_nc_u32_e32 v0, 0x100, v0
	global_store_d16_hi_b8 v1, v3, s[4:5]
	s_or_b32 exec_lo, exec_lo, s0
	s_delay_alu instid0(SALU_CYCLE_1)
	s_mov_b32 s0, exec_lo
	v_cmpx_gt_i32_e64 s2, v0
	s_cbranch_execnz .LBB18_51
	s_branch .LBB18_52
	.section	.rodata,"a",@progbits
	.p2align	6, 0x0
	.amdhsa_kernel _ZN2at6native29vectorized_elementwise_kernelILi4EZZZNS0_23bitwise_not_kernel_cudaERNS_18TensorIteratorBaseEENKUlvE_clEvENKUlvE0_clEvEUlaE_St5arrayIPcLm2EEEEviT0_T1_
		.amdhsa_group_segment_fixed_size 0
		.amdhsa_private_segment_fixed_size 0
		.amdhsa_kernarg_size 24
		.amdhsa_user_sgpr_count 15
		.amdhsa_user_sgpr_dispatch_ptr 0
		.amdhsa_user_sgpr_queue_ptr 0
		.amdhsa_user_sgpr_kernarg_segment_ptr 1
		.amdhsa_user_sgpr_dispatch_id 0
		.amdhsa_user_sgpr_private_segment_size 0
		.amdhsa_wavefront_size32 1
		.amdhsa_uses_dynamic_stack 0
		.amdhsa_enable_private_segment 0
		.amdhsa_system_sgpr_workgroup_id_x 1
		.amdhsa_system_sgpr_workgroup_id_y 0
		.amdhsa_system_sgpr_workgroup_id_z 0
		.amdhsa_system_sgpr_workgroup_info 0
		.amdhsa_system_vgpr_workitem_id 0
		.amdhsa_next_free_vgpr 22
		.amdhsa_next_free_sgpr 16
		.amdhsa_reserve_vcc 1
		.amdhsa_float_round_mode_32 0
		.amdhsa_float_round_mode_16_64 0
		.amdhsa_float_denorm_mode_32 3
		.amdhsa_float_denorm_mode_16_64 3
		.amdhsa_dx10_clamp 1
		.amdhsa_ieee_mode 1
		.amdhsa_fp16_overflow 0
		.amdhsa_workgroup_processor_mode 1
		.amdhsa_memory_ordered 1
		.amdhsa_forward_progress 0
		.amdhsa_shared_vgpr_count 0
		.amdhsa_exception_fp_ieee_invalid_op 0
		.amdhsa_exception_fp_denorm_src 0
		.amdhsa_exception_fp_ieee_div_zero 0
		.amdhsa_exception_fp_ieee_overflow 0
		.amdhsa_exception_fp_ieee_underflow 0
		.amdhsa_exception_fp_ieee_inexact 0
		.amdhsa_exception_int_div_zero 0
	.end_amdhsa_kernel
	.section	.text._ZN2at6native29vectorized_elementwise_kernelILi4EZZZNS0_23bitwise_not_kernel_cudaERNS_18TensorIteratorBaseEENKUlvE_clEvENKUlvE0_clEvEUlaE_St5arrayIPcLm2EEEEviT0_T1_,"axG",@progbits,_ZN2at6native29vectorized_elementwise_kernelILi4EZZZNS0_23bitwise_not_kernel_cudaERNS_18TensorIteratorBaseEENKUlvE_clEvENKUlvE0_clEvEUlaE_St5arrayIPcLm2EEEEviT0_T1_,comdat
.Lfunc_end18:
	.size	_ZN2at6native29vectorized_elementwise_kernelILi4EZZZNS0_23bitwise_not_kernel_cudaERNS_18TensorIteratorBaseEENKUlvE_clEvENKUlvE0_clEvEUlaE_St5arrayIPcLm2EEEEviT0_T1_, .Lfunc_end18-_ZN2at6native29vectorized_elementwise_kernelILi4EZZZNS0_23bitwise_not_kernel_cudaERNS_18TensorIteratorBaseEENKUlvE_clEvENKUlvE0_clEvEUlaE_St5arrayIPcLm2EEEEviT0_T1_
                                        ; -- End function
	.section	.AMDGPU.csdata,"",@progbits
; Kernel info:
; codeLenInByte = 2824
; NumSgprs: 18
; NumVgprs: 22
; ScratchSize: 0
; MemoryBound: 0
; FloatMode: 240
; IeeeMode: 1
; LDSByteSize: 0 bytes/workgroup (compile time only)
; SGPRBlocks: 2
; VGPRBlocks: 2
; NumSGPRsForWavesPerEU: 18
; NumVGPRsForWavesPerEU: 22
; Occupancy: 16
; WaveLimiterHint : 1
; COMPUTE_PGM_RSRC2:SCRATCH_EN: 0
; COMPUTE_PGM_RSRC2:USER_SGPR: 15
; COMPUTE_PGM_RSRC2:TRAP_HANDLER: 0
; COMPUTE_PGM_RSRC2:TGID_X_EN: 1
; COMPUTE_PGM_RSRC2:TGID_Y_EN: 0
; COMPUTE_PGM_RSRC2:TGID_Z_EN: 0
; COMPUTE_PGM_RSRC2:TIDIG_COMP_CNT: 0
	.section	.text._ZN2at6native29vectorized_elementwise_kernelILi2EZZZNS0_23bitwise_not_kernel_cudaERNS_18TensorIteratorBaseEENKUlvE_clEvENKUlvE0_clEvEUlaE_St5arrayIPcLm2EEEEviT0_T1_,"axG",@progbits,_ZN2at6native29vectorized_elementwise_kernelILi2EZZZNS0_23bitwise_not_kernel_cudaERNS_18TensorIteratorBaseEENKUlvE_clEvENKUlvE0_clEvEUlaE_St5arrayIPcLm2EEEEviT0_T1_,comdat
	.globl	_ZN2at6native29vectorized_elementwise_kernelILi2EZZZNS0_23bitwise_not_kernel_cudaERNS_18TensorIteratorBaseEENKUlvE_clEvENKUlvE0_clEvEUlaE_St5arrayIPcLm2EEEEviT0_T1_ ; -- Begin function _ZN2at6native29vectorized_elementwise_kernelILi2EZZZNS0_23bitwise_not_kernel_cudaERNS_18TensorIteratorBaseEENKUlvE_clEvENKUlvE0_clEvEUlaE_St5arrayIPcLm2EEEEviT0_T1_
	.p2align	8
	.type	_ZN2at6native29vectorized_elementwise_kernelILi2EZZZNS0_23bitwise_not_kernel_cudaERNS_18TensorIteratorBaseEENKUlvE_clEvENKUlvE0_clEvEUlaE_St5arrayIPcLm2EEEEviT0_T1_,@function
_ZN2at6native29vectorized_elementwise_kernelILi2EZZZNS0_23bitwise_not_kernel_cudaERNS_18TensorIteratorBaseEENKUlvE_clEvENKUlvE0_clEvEUlaE_St5arrayIPcLm2EEEEviT0_T1_: ; @_ZN2at6native29vectorized_elementwise_kernelILi2EZZZNS0_23bitwise_not_kernel_cudaERNS_18TensorIteratorBaseEENKUlvE_clEvENKUlvE0_clEvEUlaE_St5arrayIPcLm2EEEEviT0_T1_
; %bb.0:
	s_clause 0x1
	s_load_b32 s2, s[0:1], 0x0
	s_load_b128 s[4:7], s[0:1], 0x8
	s_lshl_b32 s1, s15, 12
	s_mov_b32 s0, -1
	s_waitcnt lgkmcnt(0)
	s_sub_i32 s2, s2, s1
	s_delay_alu instid0(SALU_CYCLE_1)
	s_cmpk_gt_i32 s2, 0xfff
	s_cbranch_scc0 .LBB19_2
; %bb.1:
	v_lshlrev_b32_e32 v1, 1, v0
	s_ashr_i32 s3, s1, 31
	s_add_u32 s8, s6, s1
	s_addc_u32 s9, s7, s3
	s_mov_b32 s0, 0
	s_clause 0x7
	global_load_u16 v2, v1, s[8:9]
	global_load_u16 v3, v1, s[8:9] offset:512
	global_load_u16 v4, v1, s[8:9] offset:1024
	;; [unrolled: 1-line block ×7, first 2 shown]
	s_add_u32 s8, s4, s1
	s_addc_u32 s9, s5, s3
	s_waitcnt vmcnt(7)
	v_xor_b32_e32 v2, -1, v2
	s_waitcnt vmcnt(6)
	v_xor_b32_e32 v3, -1, v3
	;; [unrolled: 2-line block ×8, first 2 shown]
	s_clause 0x7
	global_store_b16 v1, v2, s[8:9]
	global_store_b16 v1, v3, s[8:9] offset:512
	global_store_b16 v1, v4, s[8:9] offset:1024
	;; [unrolled: 1-line block ×7, first 2 shown]
.LBB19_2:
	s_and_not1_b32 vcc_lo, exec_lo, s0
	s_cbranch_vccnz .LBB19_52
; %bb.3:
	v_cmp_gt_i32_e32 vcc_lo, s2, v0
	v_dual_mov_b32 v4, 0 :: v_dual_mov_b32 v5, 0
	v_or_b32_e32 v1, s1, v0
	v_or_b32_e32 v2, 0x100, v0
	v_mov_b32_e32 v6, v0
	s_and_saveexec_b32 s0, vcc_lo
	s_cbranch_execz .LBB19_5
; %bb.4:
	global_load_u8 v5, v1, s[6:7]
	v_or_b32_e32 v6, 0x100, v0
.LBB19_5:
	s_or_b32 exec_lo, exec_lo, s0
	s_delay_alu instid0(SALU_CYCLE_1) | instskip(NEXT) | instid1(VALU_DEP_1)
	s_mov_b32 s3, exec_lo
	v_cmpx_gt_i32_e64 s2, v6
	s_cbranch_execz .LBB19_7
; %bb.6:
	v_add_nc_u32_e32 v3, s1, v6
	v_add_nc_u32_e32 v6, 0x100, v6
	global_load_u8 v4, v3, s[6:7]
.LBB19_7:
	s_or_b32 exec_lo, exec_lo, s3
	v_dual_mov_b32 v7, 0 :: v_dual_mov_b32 v8, 0
	s_mov_b32 s3, exec_lo
	v_cmpx_gt_i32_e64 s2, v6
	s_cbranch_execz .LBB19_9
; %bb.8:
	v_add_nc_u32_e32 v3, s1, v6
	v_add_nc_u32_e32 v6, 0x100, v6
	global_load_u8 v8, v3, s[6:7]
.LBB19_9:
	s_or_b32 exec_lo, exec_lo, s3
	s_delay_alu instid0(SALU_CYCLE_1)
	s_mov_b32 s3, exec_lo
	v_cmpx_gt_i32_e64 s2, v6
	s_cbranch_execz .LBB19_11
; %bb.10:
	v_add_nc_u32_e32 v3, s1, v6
	v_add_nc_u32_e32 v6, 0x100, v6
	global_load_u8 v7, v3, s[6:7]
.LBB19_11:
	s_or_b32 exec_lo, exec_lo, s3
	v_dual_mov_b32 v10, 0 :: v_dual_mov_b32 v11, 0
	s_mov_b32 s3, exec_lo
	v_cmpx_gt_i32_e64 s2, v6
	s_cbranch_execz .LBB19_13
; %bb.12:
	v_add_nc_u32_e32 v3, s1, v6
	v_add_nc_u32_e32 v6, 0x100, v6
	global_load_u8 v11, v3, s[6:7]
.LBB19_13:
	s_or_b32 exec_lo, exec_lo, s3
	s_delay_alu instid0(SALU_CYCLE_1)
	s_mov_b32 s3, exec_lo
	v_cmpx_gt_i32_e64 s2, v6
	s_cbranch_execz .LBB19_15
; %bb.14:
	v_add_nc_u32_e32 v3, s1, v6
	v_add_nc_u32_e32 v6, 0x100, v6
	global_load_u8 v10, v3, s[6:7]
.LBB19_15:
	s_or_b32 exec_lo, exec_lo, s3
	v_dual_mov_b32 v3, 0 :: v_dual_mov_b32 v12, 0
	s_mov_b32 s3, exec_lo
	v_cmpx_gt_i32_e64 s2, v6
	s_cbranch_execz .LBB19_17
; %bb.16:
	v_add_nc_u32_e32 v9, s1, v6
	v_add_nc_u32_e32 v6, 0x100, v6
	global_load_u8 v12, v9, s[6:7]
.LBB19_17:
	s_or_b32 exec_lo, exec_lo, s3
	s_delay_alu instid0(SALU_CYCLE_1)
	s_mov_b32 s3, exec_lo
	v_cmpx_gt_i32_e64 s2, v6
	s_cbranch_execz .LBB19_19
; %bb.18:
	v_add_nc_u32_e32 v3, s1, v6
	v_add_nc_u32_e32 v6, 0x100, v6
	global_load_u8 v3, v3, s[6:7]
.LBB19_19:
	s_or_b32 exec_lo, exec_lo, s3
	v_dual_mov_b32 v14, 0 :: v_dual_mov_b32 v15, 0
	s_mov_b32 s3, exec_lo
	v_cmpx_gt_i32_e64 s2, v6
	s_cbranch_execz .LBB19_21
; %bb.20:
	v_add_nc_u32_e32 v9, s1, v6
	v_add_nc_u32_e32 v6, 0x100, v6
	global_load_u8 v15, v9, s[6:7]
.LBB19_21:
	s_or_b32 exec_lo, exec_lo, s3
	s_delay_alu instid0(SALU_CYCLE_1)
	s_mov_b32 s3, exec_lo
	v_cmpx_gt_i32_e64 s2, v6
	s_cbranch_execz .LBB19_23
; %bb.22:
	v_add_nc_u32_e32 v9, s1, v6
	v_add_nc_u32_e32 v6, 0x100, v6
	global_load_u8 v14, v9, s[6:7]
.LBB19_23:
	s_or_b32 exec_lo, exec_lo, s3
	v_mov_b32_e32 v9, 0
	v_mov_b32_e32 v13, 0
	s_mov_b32 s3, exec_lo
	v_cmpx_gt_i32_e64 s2, v6
	s_cbranch_execz .LBB19_25
; %bb.24:
	v_add_nc_u32_e32 v13, s1, v6
	v_add_nc_u32_e32 v6, 0x100, v6
	global_load_u8 v13, v13, s[6:7]
.LBB19_25:
	s_or_b32 exec_lo, exec_lo, s3
	s_delay_alu instid0(SALU_CYCLE_1)
	s_mov_b32 s3, exec_lo
	v_cmpx_gt_i32_e64 s2, v6
	s_cbranch_execz .LBB19_27
; %bb.26:
	v_add_nc_u32_e32 v9, s1, v6
	v_add_nc_u32_e32 v6, 0x100, v6
	global_load_u8 v9, v9, s[6:7]
.LBB19_27:
	s_or_b32 exec_lo, exec_lo, s3
	v_mov_b32_e32 v17, 0
	v_mov_b32_e32 v19, 0
	s_mov_b32 s3, exec_lo
	v_cmpx_gt_i32_e64 s2, v6
	s_cbranch_execz .LBB19_29
; %bb.28:
	v_add_nc_u32_e32 v16, s1, v6
	v_add_nc_u32_e32 v6, 0x100, v6
	global_load_u8 v19, v16, s[6:7]
.LBB19_29:
	s_or_b32 exec_lo, exec_lo, s3
	s_delay_alu instid0(SALU_CYCLE_1)
	;; [unrolled: 21-line block ×3, first 2 shown]
	s_mov_b32 s3, exec_lo
	v_cmpx_gt_i32_e64 s2, v6
	s_cbranch_execz .LBB19_35
; %bb.34:
	v_add_nc_u32_e32 v6, s1, v6
	global_load_u8 v16, v6, s[6:7]
.LBB19_35:
	s_or_b32 exec_lo, exec_lo, s3
	s_waitcnt vmcnt(0)
	v_xor_b32_e32 v5, -1, v5
	v_xor_b32_e32 v4, -1, v4
	;; [unrolled: 1-line block ×3, first 2 shown]
	v_or_b32_e32 v20, 0x400, v0
	v_xor_b32_e32 v8, -1, v8
	v_and_b32_e32 v5, 0xff, v5
	v_lshlrev_b16 v4, 8, v4
	v_perm_b32 v11, v11, 0, 0x3020104
	v_cmp_gt_i32_e64 s0, s2, v20
	v_and_b32_e32 v8, 0xff, v8
	v_or_b32_e32 v6, 0x200, v0
	v_or_b32_e32 v4, v5, v4
	v_and_b32_e32 v5, 0xffff, v5
	v_cndmask_b32_e64 v11, 0, v11, s0
	v_cmp_gt_i32_e64 s0, s2, v2
	v_xor_b32_e32 v10, -1, v10
	v_and_b32_e32 v4, 0xffff, v4
	v_lshlrev_b32_e32 v8, 16, v8
	v_and_b32_e32 v20, 0xff, v11
	v_xor_b32_e32 v15, -1, v15
	v_lshlrev_b16 v10, 8, v10
	v_cndmask_b32_e64 v4, v5, v4, s0
	v_cmp_gt_i32_e64 s0, s2, v6
	v_xor_b32_e32 v6, -1, v14
	v_or_b32_e32 v14, 0xc00, v0
	v_or_b32_e32 v10, v20, v10
	;; [unrolled: 1-line block ×4, first 2 shown]
	v_xor_b32_e32 v17, -1, v17
	v_or_b32_e32 v21, 0x600, v0
	v_and_b32_e32 v10, 0xffff, v10
	v_cndmask_b32_e64 v4, v4, v8, s0
	v_xor_b32_e32 v8, -1, v19
	v_cmp_gt_i32_e64 s0, s2, v14
	v_xor_b32_e32 v12, -1, v12
	v_and_or_b32 v10, 0xffff0000, v11, v10
	v_and_b32_e32 v14, 0xff, v15
	v_perm_b32 v8, v8, 0, 0x3020104
	v_lshlrev_b16 v6, 8, v6
	v_xor_b32_e32 v7, -1, v7
	v_lshrrev_b32_e32 v19, 16, v4
	v_xor_b32_e32 v3, -1, v3
	v_cndmask_b32_e64 v8, 0, v8, s0
	v_cmp_gt_i32_e64 s0, s2, v5
	v_or_b32_e32 v6, v14, v6
	v_lshlrev_b16 v7, 8, v7
	v_and_b32_e32 v19, 0xff, v19
	v_lshlrev_b16 v3, 8, v3
	v_cndmask_b32_e64 v5, v11, v10, s0
	v_lshlrev_b16 v10, 8, v17
	v_and_b32_e32 v11, 0xff, v8
	v_cmp_gt_i32_e64 s0, s2, v21
	v_and_b32_e32 v6, 0xffff, v6
	v_perm_b32 v12, v5, v12, 0x7000504
	v_or_b32_e32 v7, v19, v7
	v_or_b32_e32 v10, v11, v10
	v_xor_b32_e32 v11, -1, v13
	v_or_b32_e32 v13, 0x900, v0
	v_cndmask_b32_e64 v5, v5, v12, s0
	v_and_b32_e32 v12, 0xffff, v14
	v_and_b32_e32 v10, 0xffff, v10
	;; [unrolled: 1-line block ×3, first 2 shown]
	v_or_b32_e32 v14, 0xd00, v0
	v_cmp_gt_i32_e64 s0, s2, v13
	v_or_b32_e32 v13, 0xa00, v0
	v_and_or_b32 v10, 0xffff0000, v8, v10
	v_lshlrev_b32_e32 v11, 16, v11
	v_lshlrev_b32_e32 v7, 16, v7
	v_cndmask_b32_e64 v6, v12, v6, s0
	v_cmp_gt_i32_e64 s0, s2, v14
	v_or_b32_e32 v14, 0xe00, v0
	v_lshrrev_b32_e32 v12, 16, v5
	v_xor_b32_e32 v9, -1, v9
	v_or_b32_e32 v11, v6, v11
	v_cndmask_b32_e64 v8, v8, v10, s0
	v_xor_b32_e32 v10, -1, v18
	v_cmp_gt_i32_e64 s0, s2, v13
	v_xor_b32_e32 v13, -1, v16
	v_lshlrev_b16 v9, 8, v9
	v_and_or_b32 v7, 0xffff, v4, v7
	v_perm_b32 v10, v8, v10, 0x7000504
	v_cndmask_b32_e64 v11, v6, v11, s0
	v_cmp_gt_i32_e64 s0, s2, v14
	v_and_b32_e32 v6, 0xff, v12
	s_delay_alu instid0(VALU_DEP_2) | instskip(NEXT) | instid1(VALU_DEP_4)
	v_cndmask_b32_e64 v8, v8, v10, s0
	v_lshrrev_b32_e32 v10, 16, v11
	s_delay_alu instid0(VALU_DEP_3) | instskip(NEXT) | instid1(VALU_DEP_3)
	v_or_b32_e32 v3, v6, v3
	v_lshrrev_b32_e32 v12, 16, v8
	s_delay_alu instid0(VALU_DEP_3) | instskip(NEXT) | instid1(VALU_DEP_3)
	v_and_b32_e32 v6, 0xff, v10
	v_lshlrev_b32_e32 v3, 16, v3
	s_delay_alu instid0(VALU_DEP_3) | instskip(SKIP_4) | instid1(VALU_DEP_4)
	v_and_b32_e32 v10, 0xff, v12
	v_lshlrev_b16 v12, 8, v13
	v_or_b32_e32 v13, 0x300, v0
	v_or_b32_e32 v9, v6, v9
	v_and_or_b32 v3, 0xffff, v5, v3
	v_or_b32_e32 v10, v10, v12
	s_delay_alu instid0(VALU_DEP_4) | instskip(SKIP_1) | instid1(VALU_DEP_2)
	v_cmp_gt_i32_e64 s0, s2, v13
	v_or_b32_e32 v12, 0xf00, v0
	v_cndmask_b32_e64 v6, v4, v7, s0
	v_or_b32_e32 v7, 0x700, v0
	v_lshlrev_b32_e32 v4, 16, v9
	v_lshlrev_b32_e32 v9, 16, v10
	v_or_b32_e32 v10, 0xb00, v0
	s_delay_alu instid0(VALU_DEP_4) | instskip(NEXT) | instid1(VALU_DEP_4)
	v_cmp_gt_i32_e64 s0, s2, v7
	v_and_or_b32 v4, 0xffff, v11, v4
	s_delay_alu instid0(VALU_DEP_4) | instskip(NEXT) | instid1(VALU_DEP_3)
	v_and_or_b32 v9, 0xffff, v8, v9
	v_cndmask_b32_e64 v5, v5, v3, s0
	v_cmp_gt_i32_e64 s0, s2, v10
	s_delay_alu instid0(VALU_DEP_1) | instskip(SKIP_1) | instid1(VALU_DEP_1)
	v_cndmask_b32_e64 v4, v11, v4, s0
	v_cmp_gt_i32_e64 s0, s2, v12
	v_cndmask_b32_e64 v3, v8, v9, s0
	s_and_saveexec_b32 s0, vcc_lo
	s_cbranch_execnz .LBB19_53
; %bb.36:
	s_or_b32 exec_lo, exec_lo, s0
	s_delay_alu instid0(SALU_CYCLE_1)
	s_mov_b32 s0, exec_lo
	v_cmpx_gt_i32_e64 s2, v0
	s_cbranch_execnz .LBB19_54
.LBB19_37:
	s_or_b32 exec_lo, exec_lo, s0
	s_delay_alu instid0(SALU_CYCLE_1)
	s_mov_b32 s0, exec_lo
	v_cmpx_gt_i32_e64 s2, v0
	s_cbranch_execnz .LBB19_55
.LBB19_38:
	s_or_b32 exec_lo, exec_lo, s0
	s_delay_alu instid0(SALU_CYCLE_1)
	s_mov_b32 s0, exec_lo
	v_cmpx_gt_i32_e64 s2, v0
	s_cbranch_execnz .LBB19_56
.LBB19_39:
	s_or_b32 exec_lo, exec_lo, s0
	s_delay_alu instid0(SALU_CYCLE_1)
	s_mov_b32 s0, exec_lo
	v_cmpx_gt_i32_e64 s2, v0
	s_cbranch_execnz .LBB19_57
.LBB19_40:
	s_or_b32 exec_lo, exec_lo, s0
	s_delay_alu instid0(SALU_CYCLE_1)
	s_mov_b32 s0, exec_lo
	v_cmpx_gt_i32_e64 s2, v0
	s_cbranch_execnz .LBB19_58
.LBB19_41:
	s_or_b32 exec_lo, exec_lo, s0
	s_delay_alu instid0(SALU_CYCLE_1)
	s_mov_b32 s0, exec_lo
	v_cmpx_gt_i32_e64 s2, v0
	s_cbranch_execnz .LBB19_59
.LBB19_42:
	s_or_b32 exec_lo, exec_lo, s0
	s_delay_alu instid0(SALU_CYCLE_1)
	s_mov_b32 s0, exec_lo
	v_cmpx_gt_i32_e64 s2, v0
	s_cbranch_execnz .LBB19_60
.LBB19_43:
	s_or_b32 exec_lo, exec_lo, s0
	s_delay_alu instid0(SALU_CYCLE_1)
	s_mov_b32 s0, exec_lo
	v_cmpx_gt_i32_e64 s2, v0
	s_cbranch_execnz .LBB19_61
.LBB19_44:
	s_or_b32 exec_lo, exec_lo, s0
	s_delay_alu instid0(SALU_CYCLE_1)
	s_mov_b32 s0, exec_lo
	v_cmpx_gt_i32_e64 s2, v0
	s_cbranch_execnz .LBB19_62
.LBB19_45:
	s_or_b32 exec_lo, exec_lo, s0
	s_delay_alu instid0(SALU_CYCLE_1)
	s_mov_b32 s0, exec_lo
	v_cmpx_gt_i32_e64 s2, v0
	s_cbranch_execnz .LBB19_63
.LBB19_46:
	s_or_b32 exec_lo, exec_lo, s0
	s_delay_alu instid0(SALU_CYCLE_1)
	s_mov_b32 s0, exec_lo
	v_cmpx_gt_i32_e64 s2, v0
	s_cbranch_execnz .LBB19_64
.LBB19_47:
	s_or_b32 exec_lo, exec_lo, s0
	s_delay_alu instid0(SALU_CYCLE_1)
	s_mov_b32 s0, exec_lo
	v_cmpx_gt_i32_e64 s2, v0
	s_cbranch_execnz .LBB19_65
.LBB19_48:
	s_or_b32 exec_lo, exec_lo, s0
	s_delay_alu instid0(SALU_CYCLE_1)
	s_mov_b32 s0, exec_lo
	v_cmpx_gt_i32_e64 s2, v0
	s_cbranch_execnz .LBB19_66
.LBB19_49:
	s_or_b32 exec_lo, exec_lo, s0
	s_delay_alu instid0(SALU_CYCLE_1)
	s_mov_b32 s0, exec_lo
	v_cmpx_gt_i32_e64 s2, v0
	s_cbranch_execnz .LBB19_67
.LBB19_50:
	s_or_b32 exec_lo, exec_lo, s0
	s_delay_alu instid0(SALU_CYCLE_1)
	s_mov_b32 s0, exec_lo
	v_cmpx_gt_i32_e64 s2, v0
	s_cbranch_execz .LBB19_52
.LBB19_51:
	v_add_nc_u32_e32 v0, s1, v0
	v_lshrrev_b32_e32 v1, 24, v3
	global_store_b8 v0, v1, s[4:5]
.LBB19_52:
	s_nop 0
	s_sendmsg sendmsg(MSG_DEALLOC_VGPRS)
	s_endpgm
.LBB19_53:
	v_mov_b32_e32 v0, v2
	global_store_b8 v1, v6, s[4:5]
	s_or_b32 exec_lo, exec_lo, s0
	s_delay_alu instid0(SALU_CYCLE_1)
	s_mov_b32 s0, exec_lo
	v_cmpx_gt_i32_e64 s2, v0
	s_cbranch_execz .LBB19_37
.LBB19_54:
	v_add_nc_u32_e32 v1, s1, v0
	v_lshrrev_b32_e32 v2, 8, v6
	v_add_nc_u32_e32 v0, 0x100, v0
	global_store_b8 v1, v2, s[4:5]
	s_or_b32 exec_lo, exec_lo, s0
	s_delay_alu instid0(SALU_CYCLE_1)
	s_mov_b32 s0, exec_lo
	v_cmpx_gt_i32_e64 s2, v0
	s_cbranch_execz .LBB19_38
.LBB19_55:
	v_add_nc_u32_e32 v1, s1, v0
	v_add_nc_u32_e32 v0, 0x100, v0
	global_store_d16_hi_b8 v1, v6, s[4:5]
	s_or_b32 exec_lo, exec_lo, s0
	s_delay_alu instid0(SALU_CYCLE_1)
	s_mov_b32 s0, exec_lo
	v_cmpx_gt_i32_e64 s2, v0
	s_cbranch_execz .LBB19_39
.LBB19_56:
	v_add_nc_u32_e32 v1, s1, v0
	v_lshrrev_b32_e32 v2, 24, v6
	v_add_nc_u32_e32 v0, 0x100, v0
	global_store_b8 v1, v2, s[4:5]
	s_or_b32 exec_lo, exec_lo, s0
	s_delay_alu instid0(SALU_CYCLE_1)
	s_mov_b32 s0, exec_lo
	v_cmpx_gt_i32_e64 s2, v0
	s_cbranch_execz .LBB19_40
.LBB19_57:
	v_add_nc_u32_e32 v1, s1, v0
	v_add_nc_u32_e32 v0, 0x100, v0
	global_store_b8 v1, v5, s[4:5]
	s_or_b32 exec_lo, exec_lo, s0
	s_delay_alu instid0(SALU_CYCLE_1)
	s_mov_b32 s0, exec_lo
	v_cmpx_gt_i32_e64 s2, v0
	s_cbranch_execz .LBB19_41
.LBB19_58:
	v_add_nc_u32_e32 v1, s1, v0
	v_lshrrev_b32_e32 v2, 8, v5
	v_add_nc_u32_e32 v0, 0x100, v0
	global_store_b8 v1, v2, s[4:5]
	s_or_b32 exec_lo, exec_lo, s0
	s_delay_alu instid0(SALU_CYCLE_1)
	s_mov_b32 s0, exec_lo
	v_cmpx_gt_i32_e64 s2, v0
	s_cbranch_execz .LBB19_42
.LBB19_59:
	v_add_nc_u32_e32 v1, s1, v0
	v_add_nc_u32_e32 v0, 0x100, v0
	global_store_d16_hi_b8 v1, v5, s[4:5]
	s_or_b32 exec_lo, exec_lo, s0
	s_delay_alu instid0(SALU_CYCLE_1)
	s_mov_b32 s0, exec_lo
	v_cmpx_gt_i32_e64 s2, v0
	s_cbranch_execz .LBB19_43
.LBB19_60:
	v_add_nc_u32_e32 v1, s1, v0
	v_lshrrev_b32_e32 v2, 24, v5
	v_add_nc_u32_e32 v0, 0x100, v0
	global_store_b8 v1, v2, s[4:5]
	s_or_b32 exec_lo, exec_lo, s0
	s_delay_alu instid0(SALU_CYCLE_1)
	s_mov_b32 s0, exec_lo
	v_cmpx_gt_i32_e64 s2, v0
	s_cbranch_execz .LBB19_44
.LBB19_61:
	v_add_nc_u32_e32 v1, s1, v0
	v_add_nc_u32_e32 v0, 0x100, v0
	global_store_b8 v1, v4, s[4:5]
	s_or_b32 exec_lo, exec_lo, s0
	s_delay_alu instid0(SALU_CYCLE_1)
	s_mov_b32 s0, exec_lo
	v_cmpx_gt_i32_e64 s2, v0
	s_cbranch_execz .LBB19_45
.LBB19_62:
	v_add_nc_u32_e32 v1, s1, v0
	v_lshrrev_b32_e32 v2, 8, v4
	v_add_nc_u32_e32 v0, 0x100, v0
	global_store_b8 v1, v2, s[4:5]
	s_or_b32 exec_lo, exec_lo, s0
	s_delay_alu instid0(SALU_CYCLE_1)
	s_mov_b32 s0, exec_lo
	v_cmpx_gt_i32_e64 s2, v0
	s_cbranch_execz .LBB19_46
.LBB19_63:
	v_add_nc_u32_e32 v1, s1, v0
	v_add_nc_u32_e32 v0, 0x100, v0
	global_store_d16_hi_b8 v1, v4, s[4:5]
	s_or_b32 exec_lo, exec_lo, s0
	s_delay_alu instid0(SALU_CYCLE_1)
	s_mov_b32 s0, exec_lo
	v_cmpx_gt_i32_e64 s2, v0
	s_cbranch_execz .LBB19_47
.LBB19_64:
	v_add_nc_u32_e32 v1, s1, v0
	v_lshrrev_b32_e32 v2, 24, v4
	v_add_nc_u32_e32 v0, 0x100, v0
	global_store_b8 v1, v2, s[4:5]
	s_or_b32 exec_lo, exec_lo, s0
	s_delay_alu instid0(SALU_CYCLE_1)
	s_mov_b32 s0, exec_lo
	v_cmpx_gt_i32_e64 s2, v0
	s_cbranch_execz .LBB19_48
.LBB19_65:
	v_add_nc_u32_e32 v1, s1, v0
	v_add_nc_u32_e32 v0, 0x100, v0
	global_store_b8 v1, v3, s[4:5]
	s_or_b32 exec_lo, exec_lo, s0
	s_delay_alu instid0(SALU_CYCLE_1)
	s_mov_b32 s0, exec_lo
	v_cmpx_gt_i32_e64 s2, v0
	s_cbranch_execz .LBB19_49
.LBB19_66:
	v_add_nc_u32_e32 v1, s1, v0
	v_lshrrev_b32_e32 v2, 8, v3
	v_add_nc_u32_e32 v0, 0x100, v0
	global_store_b8 v1, v2, s[4:5]
	s_or_b32 exec_lo, exec_lo, s0
	s_delay_alu instid0(SALU_CYCLE_1)
	s_mov_b32 s0, exec_lo
	v_cmpx_gt_i32_e64 s2, v0
	s_cbranch_execz .LBB19_50
.LBB19_67:
	v_add_nc_u32_e32 v1, s1, v0
	v_add_nc_u32_e32 v0, 0x100, v0
	global_store_d16_hi_b8 v1, v3, s[4:5]
	s_or_b32 exec_lo, exec_lo, s0
	s_delay_alu instid0(SALU_CYCLE_1)
	s_mov_b32 s0, exec_lo
	v_cmpx_gt_i32_e64 s2, v0
	s_cbranch_execnz .LBB19_51
	s_branch .LBB19_52
	.section	.rodata,"a",@progbits
	.p2align	6, 0x0
	.amdhsa_kernel _ZN2at6native29vectorized_elementwise_kernelILi2EZZZNS0_23bitwise_not_kernel_cudaERNS_18TensorIteratorBaseEENKUlvE_clEvENKUlvE0_clEvEUlaE_St5arrayIPcLm2EEEEviT0_T1_
		.amdhsa_group_segment_fixed_size 0
		.amdhsa_private_segment_fixed_size 0
		.amdhsa_kernarg_size 24
		.amdhsa_user_sgpr_count 15
		.amdhsa_user_sgpr_dispatch_ptr 0
		.amdhsa_user_sgpr_queue_ptr 0
		.amdhsa_user_sgpr_kernarg_segment_ptr 1
		.amdhsa_user_sgpr_dispatch_id 0
		.amdhsa_user_sgpr_private_segment_size 0
		.amdhsa_wavefront_size32 1
		.amdhsa_uses_dynamic_stack 0
		.amdhsa_enable_private_segment 0
		.amdhsa_system_sgpr_workgroup_id_x 1
		.amdhsa_system_sgpr_workgroup_id_y 0
		.amdhsa_system_sgpr_workgroup_id_z 0
		.amdhsa_system_sgpr_workgroup_info 0
		.amdhsa_system_vgpr_workitem_id 0
		.amdhsa_next_free_vgpr 22
		.amdhsa_next_free_sgpr 16
		.amdhsa_reserve_vcc 1
		.amdhsa_float_round_mode_32 0
		.amdhsa_float_round_mode_16_64 0
		.amdhsa_float_denorm_mode_32 3
		.amdhsa_float_denorm_mode_16_64 3
		.amdhsa_dx10_clamp 1
		.amdhsa_ieee_mode 1
		.amdhsa_fp16_overflow 0
		.amdhsa_workgroup_processor_mode 1
		.amdhsa_memory_ordered 1
		.amdhsa_forward_progress 0
		.amdhsa_shared_vgpr_count 0
		.amdhsa_exception_fp_ieee_invalid_op 0
		.amdhsa_exception_fp_denorm_src 0
		.amdhsa_exception_fp_ieee_div_zero 0
		.amdhsa_exception_fp_ieee_overflow 0
		.amdhsa_exception_fp_ieee_underflow 0
		.amdhsa_exception_fp_ieee_inexact 0
		.amdhsa_exception_int_div_zero 0
	.end_amdhsa_kernel
	.section	.text._ZN2at6native29vectorized_elementwise_kernelILi2EZZZNS0_23bitwise_not_kernel_cudaERNS_18TensorIteratorBaseEENKUlvE_clEvENKUlvE0_clEvEUlaE_St5arrayIPcLm2EEEEviT0_T1_,"axG",@progbits,_ZN2at6native29vectorized_elementwise_kernelILi2EZZZNS0_23bitwise_not_kernel_cudaERNS_18TensorIteratorBaseEENKUlvE_clEvENKUlvE0_clEvEUlaE_St5arrayIPcLm2EEEEviT0_T1_,comdat
.Lfunc_end19:
	.size	_ZN2at6native29vectorized_elementwise_kernelILi2EZZZNS0_23bitwise_not_kernel_cudaERNS_18TensorIteratorBaseEENKUlvE_clEvENKUlvE0_clEvEUlaE_St5arrayIPcLm2EEEEviT0_T1_, .Lfunc_end19-_ZN2at6native29vectorized_elementwise_kernelILi2EZZZNS0_23bitwise_not_kernel_cudaERNS_18TensorIteratorBaseEENKUlvE_clEvENKUlvE0_clEvEUlaE_St5arrayIPcLm2EEEEviT0_T1_
                                        ; -- End function
	.section	.AMDGPU.csdata,"",@progbits
; Kernel info:
; codeLenInByte = 2920
; NumSgprs: 18
; NumVgprs: 22
; ScratchSize: 0
; MemoryBound: 0
; FloatMode: 240
; IeeeMode: 1
; LDSByteSize: 0 bytes/workgroup (compile time only)
; SGPRBlocks: 2
; VGPRBlocks: 2
; NumSGPRsForWavesPerEU: 18
; NumVGPRsForWavesPerEU: 22
; Occupancy: 16
; WaveLimiterHint : 1
; COMPUTE_PGM_RSRC2:SCRATCH_EN: 0
; COMPUTE_PGM_RSRC2:USER_SGPR: 15
; COMPUTE_PGM_RSRC2:TRAP_HANDLER: 0
; COMPUTE_PGM_RSRC2:TGID_X_EN: 1
; COMPUTE_PGM_RSRC2:TGID_Y_EN: 0
; COMPUTE_PGM_RSRC2:TGID_Z_EN: 0
; COMPUTE_PGM_RSRC2:TIDIG_COMP_CNT: 0
	.section	.text._ZN2at6native27unrolled_elementwise_kernelIZZZNS0_23bitwise_not_kernel_cudaERNS_18TensorIteratorBaseEENKUlvE_clEvENKUlvE0_clEvEUlaE_St5arrayIPcLm2EELi4E23TrivialOffsetCalculatorILi1EjESB_NS0_6memory15LoadWithoutCastENSC_16StoreWithoutCastEEEviT_T0_T2_T3_T4_T5_,"axG",@progbits,_ZN2at6native27unrolled_elementwise_kernelIZZZNS0_23bitwise_not_kernel_cudaERNS_18TensorIteratorBaseEENKUlvE_clEvENKUlvE0_clEvEUlaE_St5arrayIPcLm2EELi4E23TrivialOffsetCalculatorILi1EjESB_NS0_6memory15LoadWithoutCastENSC_16StoreWithoutCastEEEviT_T0_T2_T3_T4_T5_,comdat
	.globl	_ZN2at6native27unrolled_elementwise_kernelIZZZNS0_23bitwise_not_kernel_cudaERNS_18TensorIteratorBaseEENKUlvE_clEvENKUlvE0_clEvEUlaE_St5arrayIPcLm2EELi4E23TrivialOffsetCalculatorILi1EjESB_NS0_6memory15LoadWithoutCastENSC_16StoreWithoutCastEEEviT_T0_T2_T3_T4_T5_ ; -- Begin function _ZN2at6native27unrolled_elementwise_kernelIZZZNS0_23bitwise_not_kernel_cudaERNS_18TensorIteratorBaseEENKUlvE_clEvENKUlvE0_clEvEUlaE_St5arrayIPcLm2EELi4E23TrivialOffsetCalculatorILi1EjESB_NS0_6memory15LoadWithoutCastENSC_16StoreWithoutCastEEEviT_T0_T2_T3_T4_T5_
	.p2align	8
	.type	_ZN2at6native27unrolled_elementwise_kernelIZZZNS0_23bitwise_not_kernel_cudaERNS_18TensorIteratorBaseEENKUlvE_clEvENKUlvE0_clEvEUlaE_St5arrayIPcLm2EELi4E23TrivialOffsetCalculatorILi1EjESB_NS0_6memory15LoadWithoutCastENSC_16StoreWithoutCastEEEviT_T0_T2_T3_T4_T5_,@function
_ZN2at6native27unrolled_elementwise_kernelIZZZNS0_23bitwise_not_kernel_cudaERNS_18TensorIteratorBaseEENKUlvE_clEvENKUlvE0_clEvEUlaE_St5arrayIPcLm2EELi4E23TrivialOffsetCalculatorILi1EjESB_NS0_6memory15LoadWithoutCastENSC_16StoreWithoutCastEEEviT_T0_T2_T3_T4_T5_: ; @_ZN2at6native27unrolled_elementwise_kernelIZZZNS0_23bitwise_not_kernel_cudaERNS_18TensorIteratorBaseEENKUlvE_clEvENKUlvE0_clEvEUlaE_St5arrayIPcLm2EELi4E23TrivialOffsetCalculatorILi1EjESB_NS0_6memory15LoadWithoutCastENSC_16StoreWithoutCastEEEviT_T0_T2_T3_T4_T5_
; %bb.0:
	s_clause 0x1
	s_load_b32 s2, s[0:1], 0x0
	s_load_b128 s[4:7], s[0:1], 0x8
	s_lshl_b32 s1, s15, 10
	v_dual_mov_b32 v3, 0xff :: v_dual_mov_b32 v4, 0xff
	v_or_b32_e32 v1, s1, v0
	v_or_b32_e32 v2, 0x100, v0
	v_mov_b32_e32 v6, v0
	s_waitcnt lgkmcnt(0)
	s_sub_i32 s2, s2, s1
	s_delay_alu instid0(SALU_CYCLE_1)
	v_cmp_gt_i32_e32 vcc_lo, s2, v0
	s_and_saveexec_b32 s0, vcc_lo
	s_cbranch_execz .LBB20_2
; %bb.1:
	global_load_u8 v4, v1, s[6:7]
	v_or_b32_e32 v6, 0x100, v0
	s_waitcnt vmcnt(0)
	v_xor_b32_e32 v4, -1, v4
.LBB20_2:
	s_or_b32 exec_lo, exec_lo, s0
	s_delay_alu instid0(SALU_CYCLE_1)
	s_mov_b32 s3, exec_lo
	v_cmpx_gt_i32_e64 s2, v6
	s_cbranch_execz .LBB20_4
; %bb.3:
	v_add_nc_u32_e32 v3, s1, v6
	v_add_nc_u32_e32 v6, 0x100, v6
	global_load_u8 v3, v3, s[6:7]
	s_waitcnt vmcnt(0)
	v_xor_b32_e32 v3, -1, v3
.LBB20_4:
	s_or_b32 exec_lo, exec_lo, s3
	v_mov_b32_e32 v5, 0xff
	v_mov_b32_e32 v7, 0xff
	s_mov_b32 s3, exec_lo
	v_cmpx_gt_i32_e64 s2, v6
	s_cbranch_execz .LBB20_6
; %bb.5:
	v_add_nc_u32_e32 v7, s1, v6
	v_add_nc_u32_e32 v6, 0x100, v6
	global_load_u8 v7, v7, s[6:7]
	s_waitcnt vmcnt(0)
	v_xor_b32_e32 v7, -1, v7
.LBB20_6:
	s_or_b32 exec_lo, exec_lo, s3
	s_delay_alu instid0(SALU_CYCLE_1)
	s_mov_b32 s3, exec_lo
	v_cmpx_gt_i32_e64 s2, v6
	s_cbranch_execz .LBB20_8
; %bb.7:
	v_add_nc_u32_e32 v5, s1, v6
	global_load_u8 v5, v5, s[6:7]
	s_waitcnt vmcnt(0)
	v_xor_b32_e32 v5, -1, v5
.LBB20_8:
	s_or_b32 exec_lo, exec_lo, s3
	v_and_b32_e32 v4, 0xff, v4
	v_lshlrev_b16 v3, 8, v3
	v_and_b32_e32 v6, 0xff, v7
	v_cmp_gt_i32_e64 s0, s2, v2
	v_lshlrev_b16 v5, 8, v5
	s_delay_alu instid0(VALU_DEP_4) | instskip(SKIP_2) | instid1(VALU_DEP_3)
	v_or_b32_e32 v3, v4, v3
	v_and_b32_e32 v4, 0xffff, v4
	v_lshlrev_b32_e32 v6, 16, v6
	v_and_b32_e32 v3, 0xffff, v3
	s_delay_alu instid0(VALU_DEP_1) | instskip(SKIP_1) | instid1(VALU_DEP_2)
	v_cndmask_b32_e64 v3, v4, v3, s0
	v_or_b32_e32 v4, 0x200, v0
	v_or_b32_e32 v6, v3, v6
	s_delay_alu instid0(VALU_DEP_2) | instskip(NEXT) | instid1(VALU_DEP_1)
	v_cmp_gt_i32_e64 s0, s2, v4
	v_cndmask_b32_e64 v3, v3, v6, s0
	s_delay_alu instid0(VALU_DEP_1) | instskip(NEXT) | instid1(VALU_DEP_1)
	v_lshrrev_b32_e32 v4, 16, v3
	v_and_b32_e32 v4, 0xff, v4
	s_delay_alu instid0(VALU_DEP_1) | instskip(SKIP_1) | instid1(VALU_DEP_2)
	v_or_b32_e32 v4, v4, v5
	v_or_b32_e32 v5, 0x300, v0
	v_lshlrev_b32_e32 v4, 16, v4
	s_delay_alu instid0(VALU_DEP_2) | instskip(NEXT) | instid1(VALU_DEP_2)
	v_cmp_gt_i32_e64 s0, s2, v5
	v_and_or_b32 v4, 0xffff, v3, v4
	s_delay_alu instid0(VALU_DEP_1)
	v_cndmask_b32_e64 v3, v3, v4, s0
	s_and_saveexec_b32 s0, vcc_lo
	s_cbranch_execnz .LBB20_13
; %bb.9:
	s_or_b32 exec_lo, exec_lo, s0
	s_delay_alu instid0(SALU_CYCLE_1)
	s_mov_b32 s0, exec_lo
	v_cmpx_gt_i32_e64 s2, v0
	s_cbranch_execnz .LBB20_14
.LBB20_10:
	s_or_b32 exec_lo, exec_lo, s0
	s_delay_alu instid0(SALU_CYCLE_1)
	s_mov_b32 s0, exec_lo
	v_cmpx_gt_i32_e64 s2, v0
	s_cbranch_execnz .LBB20_15
.LBB20_11:
	s_or_b32 exec_lo, exec_lo, s0
	s_delay_alu instid0(SALU_CYCLE_1)
	s_mov_b32 s0, exec_lo
	v_cmpx_gt_i32_e64 s2, v0
	s_cbranch_execnz .LBB20_16
.LBB20_12:
	s_nop 0
	s_sendmsg sendmsg(MSG_DEALLOC_VGPRS)
	s_endpgm
.LBB20_13:
	v_mov_b32_e32 v0, v2
	global_store_b8 v1, v3, s[4:5]
	s_or_b32 exec_lo, exec_lo, s0
	s_delay_alu instid0(SALU_CYCLE_1)
	s_mov_b32 s0, exec_lo
	v_cmpx_gt_i32_e64 s2, v0
	s_cbranch_execz .LBB20_10
.LBB20_14:
	v_add_nc_u32_e32 v1, 0x100, v0
	v_lshrrev_b32_e32 v2, 8, v3
	v_add_nc_u32_e32 v4, s1, v0
	s_delay_alu instid0(VALU_DEP_3) | instskip(SKIP_2) | instid1(SALU_CYCLE_1)
	v_mov_b32_e32 v0, v1
	global_store_b8 v4, v2, s[4:5]
	s_or_b32 exec_lo, exec_lo, s0
	s_mov_b32 s0, exec_lo
	v_cmpx_gt_i32_e64 s2, v0
	s_cbranch_execz .LBB20_11
.LBB20_15:
	v_add_nc_u32_e32 v1, 0x100, v0
	v_add_nc_u32_e32 v2, s1, v0
	s_delay_alu instid0(VALU_DEP_2) | instskip(SKIP_2) | instid1(SALU_CYCLE_1)
	v_mov_b32_e32 v0, v1
	global_store_d16_hi_b8 v2, v3, s[4:5]
	s_or_b32 exec_lo, exec_lo, s0
	s_mov_b32 s0, exec_lo
	v_cmpx_gt_i32_e64 s2, v0
	s_cbranch_execz .LBB20_12
.LBB20_16:
	v_lshrrev_b32_e32 v1, 24, v3
	v_add_nc_u32_e32 v0, s1, v0
	global_store_b8 v0, v1, s[4:5]
	s_nop 0
	s_sendmsg sendmsg(MSG_DEALLOC_VGPRS)
	s_endpgm
	.section	.rodata,"a",@progbits
	.p2align	6, 0x0
	.amdhsa_kernel _ZN2at6native27unrolled_elementwise_kernelIZZZNS0_23bitwise_not_kernel_cudaERNS_18TensorIteratorBaseEENKUlvE_clEvENKUlvE0_clEvEUlaE_St5arrayIPcLm2EELi4E23TrivialOffsetCalculatorILi1EjESB_NS0_6memory15LoadWithoutCastENSC_16StoreWithoutCastEEEviT_T0_T2_T3_T4_T5_
		.amdhsa_group_segment_fixed_size 0
		.amdhsa_private_segment_fixed_size 0
		.amdhsa_kernarg_size 28
		.amdhsa_user_sgpr_count 15
		.amdhsa_user_sgpr_dispatch_ptr 0
		.amdhsa_user_sgpr_queue_ptr 0
		.amdhsa_user_sgpr_kernarg_segment_ptr 1
		.amdhsa_user_sgpr_dispatch_id 0
		.amdhsa_user_sgpr_private_segment_size 0
		.amdhsa_wavefront_size32 1
		.amdhsa_uses_dynamic_stack 0
		.amdhsa_enable_private_segment 0
		.amdhsa_system_sgpr_workgroup_id_x 1
		.amdhsa_system_sgpr_workgroup_id_y 0
		.amdhsa_system_sgpr_workgroup_id_z 0
		.amdhsa_system_sgpr_workgroup_info 0
		.amdhsa_system_vgpr_workitem_id 0
		.amdhsa_next_free_vgpr 8
		.amdhsa_next_free_sgpr 16
		.amdhsa_reserve_vcc 1
		.amdhsa_float_round_mode_32 0
		.amdhsa_float_round_mode_16_64 0
		.amdhsa_float_denorm_mode_32 3
		.amdhsa_float_denorm_mode_16_64 3
		.amdhsa_dx10_clamp 1
		.amdhsa_ieee_mode 1
		.amdhsa_fp16_overflow 0
		.amdhsa_workgroup_processor_mode 1
		.amdhsa_memory_ordered 1
		.amdhsa_forward_progress 0
		.amdhsa_shared_vgpr_count 0
		.amdhsa_exception_fp_ieee_invalid_op 0
		.amdhsa_exception_fp_denorm_src 0
		.amdhsa_exception_fp_ieee_div_zero 0
		.amdhsa_exception_fp_ieee_overflow 0
		.amdhsa_exception_fp_ieee_underflow 0
		.amdhsa_exception_fp_ieee_inexact 0
		.amdhsa_exception_int_div_zero 0
	.end_amdhsa_kernel
	.section	.text._ZN2at6native27unrolled_elementwise_kernelIZZZNS0_23bitwise_not_kernel_cudaERNS_18TensorIteratorBaseEENKUlvE_clEvENKUlvE0_clEvEUlaE_St5arrayIPcLm2EELi4E23TrivialOffsetCalculatorILi1EjESB_NS0_6memory15LoadWithoutCastENSC_16StoreWithoutCastEEEviT_T0_T2_T3_T4_T5_,"axG",@progbits,_ZN2at6native27unrolled_elementwise_kernelIZZZNS0_23bitwise_not_kernel_cudaERNS_18TensorIteratorBaseEENKUlvE_clEvENKUlvE0_clEvEUlaE_St5arrayIPcLm2EELi4E23TrivialOffsetCalculatorILi1EjESB_NS0_6memory15LoadWithoutCastENSC_16StoreWithoutCastEEEviT_T0_T2_T3_T4_T5_,comdat
.Lfunc_end20:
	.size	_ZN2at6native27unrolled_elementwise_kernelIZZZNS0_23bitwise_not_kernel_cudaERNS_18TensorIteratorBaseEENKUlvE_clEvENKUlvE0_clEvEUlaE_St5arrayIPcLm2EELi4E23TrivialOffsetCalculatorILi1EjESB_NS0_6memory15LoadWithoutCastENSC_16StoreWithoutCastEEEviT_T0_T2_T3_T4_T5_, .Lfunc_end20-_ZN2at6native27unrolled_elementwise_kernelIZZZNS0_23bitwise_not_kernel_cudaERNS_18TensorIteratorBaseEENKUlvE_clEvENKUlvE0_clEvEUlaE_St5arrayIPcLm2EELi4E23TrivialOffsetCalculatorILi1EjESB_NS0_6memory15LoadWithoutCastENSC_16StoreWithoutCastEEEviT_T0_T2_T3_T4_T5_
                                        ; -- End function
	.section	.AMDGPU.csdata,"",@progbits
; Kernel info:
; codeLenInByte = 704
; NumSgprs: 18
; NumVgprs: 8
; ScratchSize: 0
; MemoryBound: 0
; FloatMode: 240
; IeeeMode: 1
; LDSByteSize: 0 bytes/workgroup (compile time only)
; SGPRBlocks: 2
; VGPRBlocks: 0
; NumSGPRsForWavesPerEU: 18
; NumVGPRsForWavesPerEU: 8
; Occupancy: 16
; WaveLimiterHint : 0
; COMPUTE_PGM_RSRC2:SCRATCH_EN: 0
; COMPUTE_PGM_RSRC2:USER_SGPR: 15
; COMPUTE_PGM_RSRC2:TRAP_HANDLER: 0
; COMPUTE_PGM_RSRC2:TGID_X_EN: 1
; COMPUTE_PGM_RSRC2:TGID_Y_EN: 0
; COMPUTE_PGM_RSRC2:TGID_Z_EN: 0
; COMPUTE_PGM_RSRC2:TIDIG_COMP_CNT: 0
	.section	.text._ZN2at6native32elementwise_kernel_manual_unrollILi128ELi8EZNS0_22gpu_kernel_impl_nocastIZZZNS0_23bitwise_not_kernel_cudaERNS_18TensorIteratorBaseEENKUlvE_clEvENKUlvE0_clEvEUlaE_EEvS4_RKT_EUlibE_EEviT1_,"axG",@progbits,_ZN2at6native32elementwise_kernel_manual_unrollILi128ELi8EZNS0_22gpu_kernel_impl_nocastIZZZNS0_23bitwise_not_kernel_cudaERNS_18TensorIteratorBaseEENKUlvE_clEvENKUlvE0_clEvEUlaE_EEvS4_RKT_EUlibE_EEviT1_,comdat
	.globl	_ZN2at6native32elementwise_kernel_manual_unrollILi128ELi8EZNS0_22gpu_kernel_impl_nocastIZZZNS0_23bitwise_not_kernel_cudaERNS_18TensorIteratorBaseEENKUlvE_clEvENKUlvE0_clEvEUlaE_EEvS4_RKT_EUlibE_EEviT1_ ; -- Begin function _ZN2at6native32elementwise_kernel_manual_unrollILi128ELi8EZNS0_22gpu_kernel_impl_nocastIZZZNS0_23bitwise_not_kernel_cudaERNS_18TensorIteratorBaseEENKUlvE_clEvENKUlvE0_clEvEUlaE_EEvS4_RKT_EUlibE_EEviT1_
	.p2align	8
	.type	_ZN2at6native32elementwise_kernel_manual_unrollILi128ELi8EZNS0_22gpu_kernel_impl_nocastIZZZNS0_23bitwise_not_kernel_cudaERNS_18TensorIteratorBaseEENKUlvE_clEvENKUlvE0_clEvEUlaE_EEvS4_RKT_EUlibE_EEviT1_,@function
_ZN2at6native32elementwise_kernel_manual_unrollILi128ELi8EZNS0_22gpu_kernel_impl_nocastIZZZNS0_23bitwise_not_kernel_cudaERNS_18TensorIteratorBaseEENKUlvE_clEvENKUlvE0_clEvEUlaE_EEvS4_RKT_EUlibE_EEviT1_: ; @_ZN2at6native32elementwise_kernel_manual_unrollILi128ELi8EZNS0_22gpu_kernel_impl_nocastIZZZNS0_23bitwise_not_kernel_cudaERNS_18TensorIteratorBaseEENKUlvE_clEvENKUlvE0_clEvEUlaE_EEvS4_RKT_EUlibE_EEviT1_
; %bb.0:
	s_clause 0x1
	s_load_b32 s22, s[0:1], 0x8
	s_load_b32 s27, s[0:1], 0x0
	v_lshl_or_b32 v12, s15, 10, v0
	s_or_b32 s0, s0, 8
	s_mov_b32 s2, exec_lo
	s_delay_alu instid0(VALU_DEP_1) | instskip(SKIP_2) | instid1(SALU_CYCLE_1)
	v_or_b32_e32 v16, 0x380, v12
	s_waitcnt lgkmcnt(0)
	s_add_i32 s23, s22, -1
	s_cmp_gt_u32 s23, 1
	s_cselect_b32 s24, -1, 0
	v_cmpx_le_i32_e64 s27, v16
	s_xor_b32 s25, exec_lo, s2
	s_cbranch_execz .LBB21_7
; %bb.1:
	s_clause 0x3
	s_load_b128 s[12:15], s[0:1], 0x4
	s_load_b64 s[2:3], s[0:1], 0x14
	s_load_b128 s[8:11], s[0:1], 0xc4
	s_load_b128 s[4:7], s[0:1], 0x148
	s_cmp_lg_u32 s22, 0
	s_mov_b32 s30, exec_lo
	s_cselect_b32 s29, -1, 0
	s_add_u32 s16, s0, 0xc4
	s_addc_u32 s17, s1, 0
	s_min_u32 s28, s23, 15
	s_cmp_gt_u32 s22, 1
	s_cselect_b32 s26, -1, 0
	v_cmpx_gt_i32_e64 s27, v12
	s_cbranch_execz .LBB21_14
; %bb.2:
	s_and_not1_b32 vcc_lo, exec_lo, s24
	s_cbranch_vccnz .LBB21_21
; %bb.3:
	v_dual_mov_b32 v0, 0 :: v_dual_mov_b32 v1, 0
	s_and_not1_b32 vcc_lo, exec_lo, s29
	s_mov_b32 s31, 0
	s_cbranch_vccnz .LBB21_125
; %bb.4:
	v_mov_b32_e32 v0, 0
	s_add_i32 s34, s28, 1
	s_cmp_eq_u32 s23, 2
	s_mov_b32 s33, 0
	s_cbranch_scc1 .LBB21_121
; %bb.5:
	v_dual_mov_b32 v1, 0 :: v_dual_mov_b32 v0, 0
	v_mov_b32_e32 v2, v12
	s_and_b32 s33, s34, 28
	s_mov_b32 s35, 0
	s_mov_b64 s[18:19], s[16:17]
	s_mov_b64 s[20:21], s[0:1]
.LBB21_6:                               ; =>This Inner Loop Header: Depth=1
	s_clause 0x1
	s_load_b256 s[36:43], s[20:21], 0x4
	s_load_b128 s[52:55], s[20:21], 0x24
	s_load_b256 s[44:51], s[18:19], 0x0
	s_add_u32 s20, s20, 48
	s_addc_u32 s21, s21, 0
	s_add_i32 s35, s35, 4
	s_add_u32 s18, s18, 32
	s_addc_u32 s19, s19, 0
	s_cmp_lg_u32 s33, s35
	s_waitcnt lgkmcnt(0)
	v_mul_hi_u32 v3, s37, v2
	s_delay_alu instid0(VALU_DEP_1) | instskip(NEXT) | instid1(VALU_DEP_1)
	v_add_nc_u32_e32 v3, v2, v3
	v_lshrrev_b32_e32 v3, s38, v3
	s_delay_alu instid0(VALU_DEP_1) | instskip(SKIP_1) | instid1(VALU_DEP_2)
	v_mul_hi_u32 v4, s40, v3
	v_mul_lo_u32 v6, v3, s36
	v_add_nc_u32_e32 v4, v3, v4
	s_delay_alu instid0(VALU_DEP_2) | instskip(NEXT) | instid1(VALU_DEP_2)
	v_sub_nc_u32_e32 v2, v2, v6
	v_lshrrev_b32_e32 v4, s41, v4
	s_delay_alu instid0(VALU_DEP_2) | instskip(SKIP_1) | instid1(VALU_DEP_3)
	v_mul_lo_u32 v6, v2, s44
	v_mul_lo_u32 v8, v2, s45
	v_mul_hi_u32 v5, s43, v4
	s_delay_alu instid0(VALU_DEP_1) | instskip(NEXT) | instid1(VALU_DEP_1)
	v_add_nc_u32_e32 v5, v4, v5
	v_lshrrev_b32_e32 v5, s52, v5
	s_delay_alu instid0(VALU_DEP_1) | instskip(SKIP_1) | instid1(VALU_DEP_2)
	v_mul_hi_u32 v7, s54, v5
	v_mul_lo_u32 v9, v5, s42
	v_add_nc_u32_e32 v2, v5, v7
	v_mul_lo_u32 v7, v4, s39
	s_delay_alu instid0(VALU_DEP_3) | instskip(NEXT) | instid1(VALU_DEP_3)
	v_sub_nc_u32_e32 v4, v4, v9
	v_lshrrev_b32_e32 v2, s55, v2
	s_delay_alu instid0(VALU_DEP_2) | instskip(SKIP_2) | instid1(VALU_DEP_4)
	v_mul_lo_u32 v9, v4, s48
	v_mul_lo_u32 v4, v4, s49
	v_sub_nc_u32_e32 v3, v3, v7
	v_mul_lo_u32 v10, v2, s53
	s_delay_alu instid0(VALU_DEP_2) | instskip(SKIP_1) | instid1(VALU_DEP_3)
	v_mul_lo_u32 v7, v3, s46
	v_mul_lo_u32 v3, v3, s47
	v_sub_nc_u32_e32 v5, v5, v10
	s_delay_alu instid0(VALU_DEP_3) | instskip(NEXT) | instid1(VALU_DEP_2)
	v_add3_u32 v0, v6, v0, v7
	v_mul_lo_u32 v10, v5, s50
	v_mul_lo_u32 v5, v5, s51
	v_add3_u32 v1, v8, v1, v3
	s_delay_alu instid0(VALU_DEP_3) | instskip(NEXT) | instid1(VALU_DEP_2)
	v_add3_u32 v0, v9, v0, v10
	v_add3_u32 v1, v4, v1, v5
	s_cbranch_scc1 .LBB21_6
	s_branch .LBB21_122
.LBB21_7:
	s_and_not1_saveexec_b32 s2, s25
	s_cbranch_execz .LBB21_206
.LBB21_8:
	v_cndmask_b32_e64 v14, 0, 1, s24
	s_and_not1_b32 vcc_lo, exec_lo, s24
	s_cbranch_vccnz .LBB21_20
; %bb.9:
	v_dual_mov_b32 v0, 0 :: v_dual_mov_b32 v1, 0
	s_cmp_lg_u32 s22, 0
	s_mov_b32 s6, 0
	s_cbranch_scc0 .LBB21_26
; %bb.10:
	s_min_u32 s7, s23, 15
	v_mov_b32_e32 v0, 0
	s_add_i32 s7, s7, 1
	s_cmp_eq_u32 s23, 2
	s_mov_b32 s8, 0
	s_cbranch_scc1 .LBB21_23
; %bb.11:
	v_dual_mov_b32 v1, 0 :: v_dual_mov_b32 v0, 0
	v_mov_b32_e32 v2, v12
	s_add_u32 s2, s0, 0xc4
	s_addc_u32 s3, s1, 0
	s_and_b32 s8, s7, 28
	s_mov_b32 s9, 0
	s_mov_b64 s[4:5], s[0:1]
.LBB21_12:                              ; =>This Inner Loop Header: Depth=1
	s_clause 0x1
	s_load_b256 s[12:19], s[4:5], 0x4
	s_load_b128 s[36:39], s[4:5], 0x24
	s_load_b256 s[24:31], s[2:3], 0x0
	s_add_u32 s4, s4, 48
	s_addc_u32 s5, s5, 0
	s_add_i32 s9, s9, 4
	s_add_u32 s2, s2, 32
	s_addc_u32 s3, s3, 0
	s_cmp_lg_u32 s8, s9
	s_waitcnt lgkmcnt(0)
	v_mul_hi_u32 v3, s13, v2
	s_delay_alu instid0(VALU_DEP_1) | instskip(NEXT) | instid1(VALU_DEP_1)
	v_add_nc_u32_e32 v3, v2, v3
	v_lshrrev_b32_e32 v3, s14, v3
	s_delay_alu instid0(VALU_DEP_1) | instskip(SKIP_1) | instid1(VALU_DEP_2)
	v_mul_hi_u32 v4, s16, v3
	v_mul_lo_u32 v6, v3, s12
	v_add_nc_u32_e32 v4, v3, v4
	s_delay_alu instid0(VALU_DEP_2) | instskip(NEXT) | instid1(VALU_DEP_2)
	v_sub_nc_u32_e32 v2, v2, v6
	v_lshrrev_b32_e32 v4, s17, v4
	s_delay_alu instid0(VALU_DEP_2) | instskip(SKIP_1) | instid1(VALU_DEP_3)
	v_mul_lo_u32 v6, v2, s24
	v_mul_lo_u32 v8, v2, s25
	v_mul_hi_u32 v5, s19, v4
	s_delay_alu instid0(VALU_DEP_1) | instskip(NEXT) | instid1(VALU_DEP_1)
	v_add_nc_u32_e32 v5, v4, v5
	v_lshrrev_b32_e32 v5, s36, v5
	s_delay_alu instid0(VALU_DEP_1) | instskip(SKIP_1) | instid1(VALU_DEP_2)
	v_mul_hi_u32 v7, s38, v5
	v_mul_lo_u32 v9, v5, s18
	v_add_nc_u32_e32 v2, v5, v7
	v_mul_lo_u32 v7, v4, s15
	s_delay_alu instid0(VALU_DEP_3) | instskip(NEXT) | instid1(VALU_DEP_3)
	v_sub_nc_u32_e32 v4, v4, v9
	v_lshrrev_b32_e32 v2, s39, v2
	s_delay_alu instid0(VALU_DEP_2) | instskip(SKIP_2) | instid1(VALU_DEP_4)
	v_mul_lo_u32 v9, v4, s28
	v_mul_lo_u32 v4, v4, s29
	v_sub_nc_u32_e32 v3, v3, v7
	v_mul_lo_u32 v10, v2, s37
	s_delay_alu instid0(VALU_DEP_2) | instskip(SKIP_1) | instid1(VALU_DEP_3)
	v_mul_lo_u32 v7, v3, s26
	v_mul_lo_u32 v3, v3, s27
	v_sub_nc_u32_e32 v5, v5, v10
	s_delay_alu instid0(VALU_DEP_3) | instskip(NEXT) | instid1(VALU_DEP_2)
	v_add3_u32 v0, v6, v0, v7
	v_mul_lo_u32 v10, v5, s30
	v_mul_lo_u32 v5, v5, s31
	v_add3_u32 v1, v8, v1, v3
	s_delay_alu instid0(VALU_DEP_3) | instskip(NEXT) | instid1(VALU_DEP_2)
	v_add3_u32 v0, v9, v0, v10
	v_add3_u32 v1, v4, v1, v5
	s_cbranch_scc1 .LBB21_12
; %bb.13:
	s_and_b32 s7, s7, 3
	s_delay_alu instid0(SALU_CYCLE_1)
	s_cmp_eq_u32 s7, 0
	s_cbranch_scc0 .LBB21_24
	s_branch .LBB21_26
.LBB21_14:
	s_or_b32 exec_lo, exec_lo, s30
	s_delay_alu instid0(SALU_CYCLE_1)
	s_mov_b32 s30, exec_lo
	v_cmpx_gt_i32_e64 s27, v12
	s_cbranch_execz .LBB21_129
.LBB21_15:
	s_and_not1_b32 vcc_lo, exec_lo, s24
	s_cbranch_vccnz .LBB21_22
; %bb.16:
	v_dual_mov_b32 v0, 0 :: v_dual_mov_b32 v1, 0
	s_and_not1_b32 vcc_lo, exec_lo, s29
	s_mov_b32 s31, 0
	s_cbranch_vccnz .LBB21_140
; %bb.17:
	v_mov_b32_e32 v0, 0
	s_add_i32 s34, s28, 1
	s_cmp_eq_u32 s23, 2
	s_mov_b32 s33, 0
	s_cbranch_scc1 .LBB21_136
; %bb.18:
	v_dual_mov_b32 v1, 0 :: v_dual_mov_b32 v0, 0
	v_mov_b32_e32 v2, v12
	s_and_b32 s33, s34, 28
	s_mov_b32 s35, 0
	s_mov_b64 s[18:19], s[16:17]
	s_mov_b64 s[20:21], s[0:1]
.LBB21_19:                              ; =>This Inner Loop Header: Depth=1
	s_clause 0x1
	s_load_b256 s[36:43], s[20:21], 0x4
	s_load_b128 s[52:55], s[20:21], 0x24
	s_load_b256 s[44:51], s[18:19], 0x0
	s_add_u32 s20, s20, 48
	s_addc_u32 s21, s21, 0
	s_add_i32 s35, s35, 4
	s_add_u32 s18, s18, 32
	s_addc_u32 s19, s19, 0
	s_cmp_eq_u32 s33, s35
	s_waitcnt lgkmcnt(0)
	v_mul_hi_u32 v3, s37, v2
	s_delay_alu instid0(VALU_DEP_1) | instskip(NEXT) | instid1(VALU_DEP_1)
	v_add_nc_u32_e32 v3, v2, v3
	v_lshrrev_b32_e32 v3, s38, v3
	s_delay_alu instid0(VALU_DEP_1) | instskip(SKIP_1) | instid1(VALU_DEP_2)
	v_mul_hi_u32 v4, s40, v3
	v_mul_lo_u32 v6, v3, s36
	v_add_nc_u32_e32 v4, v3, v4
	s_delay_alu instid0(VALU_DEP_2) | instskip(NEXT) | instid1(VALU_DEP_2)
	v_sub_nc_u32_e32 v2, v2, v6
	v_lshrrev_b32_e32 v4, s41, v4
	s_delay_alu instid0(VALU_DEP_2) | instskip(SKIP_1) | instid1(VALU_DEP_3)
	v_mul_lo_u32 v6, v2, s44
	v_mul_lo_u32 v8, v2, s45
	v_mul_hi_u32 v5, s43, v4
	s_delay_alu instid0(VALU_DEP_1) | instskip(NEXT) | instid1(VALU_DEP_1)
	v_add_nc_u32_e32 v5, v4, v5
	v_lshrrev_b32_e32 v5, s52, v5
	s_delay_alu instid0(VALU_DEP_1) | instskip(SKIP_1) | instid1(VALU_DEP_2)
	v_mul_hi_u32 v7, s54, v5
	v_mul_lo_u32 v9, v5, s42
	v_add_nc_u32_e32 v2, v5, v7
	v_mul_lo_u32 v7, v4, s39
	s_delay_alu instid0(VALU_DEP_3) | instskip(NEXT) | instid1(VALU_DEP_3)
	v_sub_nc_u32_e32 v4, v4, v9
	v_lshrrev_b32_e32 v2, s55, v2
	s_delay_alu instid0(VALU_DEP_2) | instskip(SKIP_2) | instid1(VALU_DEP_4)
	v_mul_lo_u32 v9, v4, s48
	v_mul_lo_u32 v4, v4, s49
	v_sub_nc_u32_e32 v3, v3, v7
	v_mul_lo_u32 v10, v2, s53
	s_delay_alu instid0(VALU_DEP_2) | instskip(SKIP_1) | instid1(VALU_DEP_3)
	v_mul_lo_u32 v7, v3, s46
	v_mul_lo_u32 v3, v3, s47
	v_sub_nc_u32_e32 v5, v5, v10
	s_delay_alu instid0(VALU_DEP_3) | instskip(NEXT) | instid1(VALU_DEP_2)
	v_add3_u32 v0, v6, v0, v7
	v_mul_lo_u32 v10, v5, s50
	v_mul_lo_u32 v5, v5, s51
	v_add3_u32 v1, v8, v1, v3
	s_delay_alu instid0(VALU_DEP_3) | instskip(NEXT) | instid1(VALU_DEP_2)
	v_add3_u32 v0, v9, v0, v10
	v_add3_u32 v1, v4, v1, v5
	s_cbranch_scc0 .LBB21_19
	s_branch .LBB21_137
.LBB21_20:
	s_mov_b32 s6, -1
                                        ; implicit-def: $vgpr0
                                        ; implicit-def: $vgpr1
	s_branch .LBB21_26
.LBB21_21:
	s_mov_b32 s31, -1
                                        ; implicit-def: $vgpr0
                                        ; implicit-def: $vgpr1
	s_branch .LBB21_125
.LBB21_22:
	s_mov_b32 s31, -1
                                        ; implicit-def: $vgpr0
                                        ; implicit-def: $vgpr1
	s_branch .LBB21_140
.LBB21_23:
	v_dual_mov_b32 v2, v12 :: v_dual_mov_b32 v1, 0
	s_and_b32 s7, s7, 3
	s_delay_alu instid0(SALU_CYCLE_1)
	s_cmp_eq_u32 s7, 0
	s_cbranch_scc1 .LBB21_26
.LBB21_24:
	s_lshl_b32 s2, s8, 3
	s_mul_i32 s4, s8, 12
	s_add_u32 s2, s2, s0
	s_addc_u32 s3, 0, s1
	s_add_u32 s2, s2, 0xc4
	s_addc_u32 s3, s3, 0
	;; [unrolled: 2-line block ×3, first 2 shown]
	.p2align	6
.LBB21_25:                              ; =>This Inner Loop Header: Depth=1
	s_clause 0x1
	s_load_b64 s[8:9], s[4:5], 0x4
	s_load_b32 s12, s[4:5], 0xc
	s_load_b64 s[10:11], s[2:3], 0x0
	s_add_u32 s4, s4, 12
	s_addc_u32 s5, s5, 0
	s_add_u32 s2, s2, 8
	s_addc_u32 s3, s3, 0
	s_add_i32 s7, s7, -1
	s_delay_alu instid0(SALU_CYCLE_1) | instskip(SKIP_2) | instid1(VALU_DEP_1)
	s_cmp_lg_u32 s7, 0
	s_waitcnt lgkmcnt(0)
	v_mul_hi_u32 v3, s9, v2
	v_add_nc_u32_e32 v3, v2, v3
	s_delay_alu instid0(VALU_DEP_1) | instskip(NEXT) | instid1(VALU_DEP_1)
	v_lshrrev_b32_e32 v6, s12, v3
	v_mul_lo_u32 v3, v6, s8
	s_delay_alu instid0(VALU_DEP_1) | instskip(NEXT) | instid1(VALU_DEP_1)
	v_sub_nc_u32_e32 v2, v2, v3
	v_mad_u64_u32 v[3:4], null, v2, s10, v[0:1]
	v_mad_u64_u32 v[4:5], null, v2, s11, v[1:2]
	v_mov_b32_e32 v2, v6
	s_delay_alu instid0(VALU_DEP_2)
	v_dual_mov_b32 v0, v3 :: v_dual_mov_b32 v1, v4
	s_cbranch_scc1 .LBB21_25
.LBB21_26:
	s_and_not1_b32 vcc_lo, exec_lo, s6
	s_cbranch_vccnz .LBB21_29
; %bb.27:
	s_clause 0x1
	s_load_b128 s[4:7], s[0:1], 0x4
	s_load_b64 s[2:3], s[0:1], 0xc4
	s_cmp_lt_u32 s22, 2
	s_waitcnt lgkmcnt(0)
	v_mul_hi_u32 v0, s5, v12
	s_delay_alu instid0(VALU_DEP_1) | instskip(NEXT) | instid1(VALU_DEP_1)
	v_add_nc_u32_e32 v0, v12, v0
	v_lshrrev_b32_e32 v2, s6, v0
	s_delay_alu instid0(VALU_DEP_1) | instskip(NEXT) | instid1(VALU_DEP_1)
	v_mul_lo_u32 v0, v2, s4
	v_sub_nc_u32_e32 v1, v12, v0
	s_delay_alu instid0(VALU_DEP_1)
	v_mul_lo_u32 v0, v1, s2
	v_mul_lo_u32 v1, v1, s3
	s_cbranch_scc1 .LBB21_29
; %bb.28:
	s_clause 0x1
	s_load_b128 s[4:7], s[0:1], 0x10
	s_load_b64 s[2:3], s[0:1], 0xcc
	s_waitcnt lgkmcnt(0)
	v_mul_hi_u32 v3, s5, v2
	s_delay_alu instid0(VALU_DEP_1) | instskip(NEXT) | instid1(VALU_DEP_1)
	v_add_nc_u32_e32 v3, v2, v3
	v_lshrrev_b32_e32 v3, s6, v3
	s_delay_alu instid0(VALU_DEP_1) | instskip(NEXT) | instid1(VALU_DEP_1)
	v_mul_lo_u32 v3, v3, s4
	v_sub_nc_u32_e32 v5, v2, v3
	s_delay_alu instid0(VALU_DEP_1) | instskip(NEXT) | instid1(VALU_DEP_1)
	v_mad_u64_u32 v[2:3], null, v5, s2, v[0:1]
	v_mad_u64_u32 v[3:4], null, v5, s3, v[1:2]
	s_delay_alu instid0(VALU_DEP_1)
	v_dual_mov_b32 v0, v2 :: v_dual_mov_b32 v1, v3
.LBB21_29:
	v_cmp_ne_u32_e32 vcc_lo, 1, v14
	v_add_nc_u32_e32 v4, 0x80, v12
	s_cbranch_vccnz .LBB21_35
; %bb.30:
	v_dual_mov_b32 v2, 0 :: v_dual_mov_b32 v3, 0
	s_cmp_lg_u32 s22, 0
	s_mov_b32 s6, 0
	s_cbranch_scc0 .LBB21_39
; %bb.31:
	s_min_u32 s7, s23, 15
	v_mov_b32_e32 v2, 0
	s_add_i32 s7, s7, 1
	s_cmp_eq_u32 s23, 2
	s_mov_b32 s8, 0
	s_cbranch_scc1 .LBB21_36
; %bb.32:
	v_dual_mov_b32 v3, 0 :: v_dual_mov_b32 v2, 0
	v_mov_b32_e32 v5, v4
	s_add_u32 s2, s0, 0xc4
	s_addc_u32 s3, s1, 0
	s_and_b32 s8, s7, 28
	s_mov_b32 s9, 0
	s_mov_b64 s[4:5], s[0:1]
.LBB21_33:                              ; =>This Inner Loop Header: Depth=1
	s_clause 0x1
	s_load_b256 s[12:19], s[4:5], 0x4
	s_load_b128 s[36:39], s[4:5], 0x24
	s_load_b256 s[24:31], s[2:3], 0x0
	s_add_u32 s4, s4, 48
	s_addc_u32 s5, s5, 0
	s_add_i32 s9, s9, 4
	s_add_u32 s2, s2, 32
	s_addc_u32 s3, s3, 0
	s_cmp_lg_u32 s8, s9
	s_waitcnt lgkmcnt(0)
	v_mul_hi_u32 v6, s13, v5
	s_delay_alu instid0(VALU_DEP_1) | instskip(NEXT) | instid1(VALU_DEP_1)
	v_add_nc_u32_e32 v6, v5, v6
	v_lshrrev_b32_e32 v6, s14, v6
	s_delay_alu instid0(VALU_DEP_1) | instskip(SKIP_1) | instid1(VALU_DEP_2)
	v_mul_hi_u32 v7, s16, v6
	v_mul_lo_u32 v9, v6, s12
	v_add_nc_u32_e32 v7, v6, v7
	s_delay_alu instid0(VALU_DEP_2) | instskip(NEXT) | instid1(VALU_DEP_2)
	v_sub_nc_u32_e32 v5, v5, v9
	v_lshrrev_b32_e32 v7, s17, v7
	s_delay_alu instid0(VALU_DEP_2) | instskip(SKIP_1) | instid1(VALU_DEP_3)
	v_mul_lo_u32 v9, v5, s24
	v_mul_lo_u32 v11, v5, s25
	v_mul_hi_u32 v8, s19, v7
	s_delay_alu instid0(VALU_DEP_1) | instskip(NEXT) | instid1(VALU_DEP_1)
	v_add_nc_u32_e32 v8, v7, v8
	v_lshrrev_b32_e32 v8, s36, v8
	s_delay_alu instid0(VALU_DEP_1) | instskip(SKIP_1) | instid1(VALU_DEP_2)
	v_mul_hi_u32 v10, s38, v8
	v_mul_lo_u32 v13, v8, s18
	v_add_nc_u32_e32 v5, v8, v10
	v_mul_lo_u32 v10, v7, s15
	s_delay_alu instid0(VALU_DEP_3) | instskip(NEXT) | instid1(VALU_DEP_3)
	v_sub_nc_u32_e32 v7, v7, v13
	v_lshrrev_b32_e32 v5, s39, v5
	s_delay_alu instid0(VALU_DEP_2) | instskip(SKIP_2) | instid1(VALU_DEP_4)
	v_mul_lo_u32 v13, v7, s28
	v_mul_lo_u32 v7, v7, s29
	v_sub_nc_u32_e32 v6, v6, v10
	v_mul_lo_u32 v15, v5, s37
	s_delay_alu instid0(VALU_DEP_2) | instskip(SKIP_1) | instid1(VALU_DEP_3)
	v_mul_lo_u32 v10, v6, s26
	v_mul_lo_u32 v6, v6, s27
	v_sub_nc_u32_e32 v8, v8, v15
	s_delay_alu instid0(VALU_DEP_3) | instskip(NEXT) | instid1(VALU_DEP_2)
	v_add3_u32 v2, v9, v2, v10
	v_mul_lo_u32 v15, v8, s30
	v_mul_lo_u32 v8, v8, s31
	v_add3_u32 v3, v11, v3, v6
	s_delay_alu instid0(VALU_DEP_3) | instskip(NEXT) | instid1(VALU_DEP_2)
	v_add3_u32 v2, v13, v2, v15
	v_add3_u32 v3, v7, v3, v8
	s_cbranch_scc1 .LBB21_33
; %bb.34:
	s_and_b32 s7, s7, 3
	s_delay_alu instid0(SALU_CYCLE_1)
	s_cmp_eq_u32 s7, 0
	s_cbranch_scc0 .LBB21_37
	s_branch .LBB21_39
.LBB21_35:
	s_mov_b32 s6, -1
                                        ; implicit-def: $vgpr2
                                        ; implicit-def: $vgpr3
	s_branch .LBB21_39
.LBB21_36:
	v_mov_b32_e32 v5, v4
	v_mov_b32_e32 v3, 0
	s_and_b32 s7, s7, 3
	s_delay_alu instid0(SALU_CYCLE_1)
	s_cmp_eq_u32 s7, 0
	s_cbranch_scc1 .LBB21_39
.LBB21_37:
	s_lshl_b32 s2, s8, 3
	s_mul_i32 s4, s8, 12
	s_add_u32 s2, s2, s0
	s_addc_u32 s3, 0, s1
	s_add_u32 s2, s2, 0xc4
	s_addc_u32 s3, s3, 0
	;; [unrolled: 2-line block ×3, first 2 shown]
	.p2align	6
.LBB21_38:                              ; =>This Inner Loop Header: Depth=1
	s_clause 0x1
	s_load_b64 s[8:9], s[4:5], 0x4
	s_load_b32 s12, s[4:5], 0xc
	s_load_b64 s[10:11], s[2:3], 0x0
	s_add_u32 s4, s4, 12
	s_addc_u32 s5, s5, 0
	s_add_u32 s2, s2, 8
	s_addc_u32 s3, s3, 0
	s_add_i32 s7, s7, -1
	s_delay_alu instid0(SALU_CYCLE_1) | instskip(SKIP_2) | instid1(VALU_DEP_1)
	s_cmp_lg_u32 s7, 0
	s_waitcnt lgkmcnt(0)
	v_mul_hi_u32 v6, s9, v5
	v_add_nc_u32_e32 v6, v5, v6
	s_delay_alu instid0(VALU_DEP_1) | instskip(NEXT) | instid1(VALU_DEP_1)
	v_lshrrev_b32_e32 v9, s12, v6
	v_mul_lo_u32 v6, v9, s8
	s_delay_alu instid0(VALU_DEP_1) | instskip(NEXT) | instid1(VALU_DEP_1)
	v_sub_nc_u32_e32 v5, v5, v6
	v_mad_u64_u32 v[6:7], null, v5, s10, v[2:3]
	v_mad_u64_u32 v[7:8], null, v5, s11, v[3:4]
	s_delay_alu instid0(VALU_DEP_2) | instskip(NEXT) | instid1(VALU_DEP_2)
	v_dual_mov_b32 v5, v9 :: v_dual_mov_b32 v2, v6
	v_mov_b32_e32 v3, v7
	s_cbranch_scc1 .LBB21_38
.LBB21_39:
	s_and_not1_b32 vcc_lo, exec_lo, s6
	s_cbranch_vccnz .LBB21_42
; %bb.40:
	s_clause 0x1
	s_load_b128 s[4:7], s[0:1], 0x4
	s_load_b64 s[2:3], s[0:1], 0xc4
	s_cmp_lt_u32 s22, 2
	s_waitcnt lgkmcnt(0)
	v_mul_hi_u32 v2, s5, v4
	s_delay_alu instid0(VALU_DEP_1) | instskip(NEXT) | instid1(VALU_DEP_1)
	v_add_nc_u32_e32 v2, v4, v2
	v_lshrrev_b32_e32 v5, s6, v2
	s_delay_alu instid0(VALU_DEP_1) | instskip(NEXT) | instid1(VALU_DEP_1)
	v_mul_lo_u32 v2, v5, s4
	v_sub_nc_u32_e32 v3, v4, v2
	s_delay_alu instid0(VALU_DEP_1)
	v_mul_lo_u32 v2, v3, s2
	v_mul_lo_u32 v3, v3, s3
	s_cbranch_scc1 .LBB21_42
; %bb.41:
	s_clause 0x1
	s_load_b128 s[4:7], s[0:1], 0x10
	s_load_b64 s[2:3], s[0:1], 0xcc
	s_waitcnt lgkmcnt(0)
	v_mul_hi_u32 v4, s5, v5
	s_delay_alu instid0(VALU_DEP_1) | instskip(NEXT) | instid1(VALU_DEP_1)
	v_add_nc_u32_e32 v4, v5, v4
	v_lshrrev_b32_e32 v4, s6, v4
	s_delay_alu instid0(VALU_DEP_1) | instskip(NEXT) | instid1(VALU_DEP_1)
	v_mul_lo_u32 v4, v4, s4
	v_sub_nc_u32_e32 v7, v5, v4
	s_delay_alu instid0(VALU_DEP_1) | instskip(NEXT) | instid1(VALU_DEP_1)
	v_mad_u64_u32 v[4:5], null, v7, s2, v[2:3]
	v_mad_u64_u32 v[5:6], null, v7, s3, v[3:4]
	s_delay_alu instid0(VALU_DEP_1)
	v_dual_mov_b32 v2, v4 :: v_dual_mov_b32 v3, v5
.LBB21_42:
	v_cmp_ne_u32_e32 vcc_lo, 1, v14
	v_add_nc_u32_e32 v6, 0x100, v12
	s_cbranch_vccnz .LBB21_48
; %bb.43:
	v_dual_mov_b32 v4, 0 :: v_dual_mov_b32 v5, 0
	s_cmp_lg_u32 s22, 0
	s_mov_b32 s6, 0
	s_cbranch_scc0 .LBB21_52
; %bb.44:
	s_min_u32 s7, s23, 15
	v_mov_b32_e32 v4, 0
	s_add_i32 s7, s7, 1
	s_cmp_eq_u32 s23, 2
	s_mov_b32 s8, 0
	s_cbranch_scc1 .LBB21_49
; %bb.45:
	v_dual_mov_b32 v5, 0 :: v_dual_mov_b32 v4, 0
	v_mov_b32_e32 v7, v6
	s_add_u32 s2, s0, 0xc4
	s_addc_u32 s3, s1, 0
	s_and_b32 s8, s7, 28
	s_mov_b32 s9, 0
	s_mov_b64 s[4:5], s[0:1]
.LBB21_46:                              ; =>This Inner Loop Header: Depth=1
	s_clause 0x1
	s_load_b256 s[12:19], s[4:5], 0x4
	s_load_b128 s[36:39], s[4:5], 0x24
	s_load_b256 s[24:31], s[2:3], 0x0
	s_add_u32 s4, s4, 48
	s_addc_u32 s5, s5, 0
	s_add_i32 s9, s9, 4
	s_add_u32 s2, s2, 32
	s_addc_u32 s3, s3, 0
	s_cmp_lg_u32 s8, s9
	s_waitcnt lgkmcnt(0)
	v_mul_hi_u32 v8, s13, v7
	s_delay_alu instid0(VALU_DEP_1) | instskip(NEXT) | instid1(VALU_DEP_1)
	v_add_nc_u32_e32 v8, v7, v8
	v_lshrrev_b32_e32 v8, s14, v8
	s_delay_alu instid0(VALU_DEP_1) | instskip(SKIP_1) | instid1(VALU_DEP_2)
	v_mul_hi_u32 v9, s16, v8
	v_mul_lo_u32 v11, v8, s12
	v_add_nc_u32_e32 v9, v8, v9
	s_delay_alu instid0(VALU_DEP_2) | instskip(NEXT) | instid1(VALU_DEP_2)
	v_sub_nc_u32_e32 v7, v7, v11
	v_lshrrev_b32_e32 v9, s17, v9
	s_delay_alu instid0(VALU_DEP_2) | instskip(SKIP_1) | instid1(VALU_DEP_3)
	v_mul_lo_u32 v11, v7, s24
	v_mul_lo_u32 v15, v7, s25
	v_mul_hi_u32 v10, s19, v9
	s_delay_alu instid0(VALU_DEP_1) | instskip(NEXT) | instid1(VALU_DEP_1)
	v_add_nc_u32_e32 v10, v9, v10
	v_lshrrev_b32_e32 v10, s36, v10
	s_delay_alu instid0(VALU_DEP_1) | instskip(SKIP_1) | instid1(VALU_DEP_2)
	v_mul_hi_u32 v13, s38, v10
	v_mul_lo_u32 v17, v10, s18
	v_add_nc_u32_e32 v7, v10, v13
	v_mul_lo_u32 v13, v9, s15
	s_delay_alu instid0(VALU_DEP_3) | instskip(NEXT) | instid1(VALU_DEP_3)
	v_sub_nc_u32_e32 v9, v9, v17
	v_lshrrev_b32_e32 v7, s39, v7
	s_delay_alu instid0(VALU_DEP_2) | instskip(SKIP_2) | instid1(VALU_DEP_4)
	v_mul_lo_u32 v17, v9, s28
	v_mul_lo_u32 v9, v9, s29
	v_sub_nc_u32_e32 v8, v8, v13
	v_mul_lo_u32 v18, v7, s37
	s_delay_alu instid0(VALU_DEP_2) | instskip(SKIP_1) | instid1(VALU_DEP_3)
	v_mul_lo_u32 v13, v8, s26
	v_mul_lo_u32 v8, v8, s27
	v_sub_nc_u32_e32 v10, v10, v18
	s_delay_alu instid0(VALU_DEP_3) | instskip(NEXT) | instid1(VALU_DEP_2)
	v_add3_u32 v4, v11, v4, v13
	v_mul_lo_u32 v18, v10, s30
	v_mul_lo_u32 v10, v10, s31
	v_add3_u32 v5, v15, v5, v8
	s_delay_alu instid0(VALU_DEP_3) | instskip(NEXT) | instid1(VALU_DEP_2)
	v_add3_u32 v4, v17, v4, v18
	v_add3_u32 v5, v9, v5, v10
	s_cbranch_scc1 .LBB21_46
; %bb.47:
	s_and_b32 s7, s7, 3
	s_delay_alu instid0(SALU_CYCLE_1)
	s_cmp_eq_u32 s7, 0
	s_cbranch_scc0 .LBB21_50
	s_branch .LBB21_52
.LBB21_48:
	s_mov_b32 s6, -1
                                        ; implicit-def: $vgpr4
                                        ; implicit-def: $vgpr5
	s_branch .LBB21_52
.LBB21_49:
	v_mov_b32_e32 v7, v6
	v_mov_b32_e32 v5, 0
	s_and_b32 s7, s7, 3
	s_delay_alu instid0(SALU_CYCLE_1)
	s_cmp_eq_u32 s7, 0
	s_cbranch_scc1 .LBB21_52
.LBB21_50:
	s_lshl_b32 s2, s8, 3
	s_mul_i32 s4, s8, 12
	s_add_u32 s2, s2, s0
	s_addc_u32 s3, 0, s1
	s_add_u32 s2, s2, 0xc4
	s_addc_u32 s3, s3, 0
	;; [unrolled: 2-line block ×3, first 2 shown]
	.p2align	6
.LBB21_51:                              ; =>This Inner Loop Header: Depth=1
	s_clause 0x1
	s_load_b64 s[8:9], s[4:5], 0x4
	s_load_b32 s12, s[4:5], 0xc
	s_load_b64 s[10:11], s[2:3], 0x0
	s_add_u32 s4, s4, 12
	s_addc_u32 s5, s5, 0
	s_add_u32 s2, s2, 8
	s_addc_u32 s3, s3, 0
	s_add_i32 s7, s7, -1
	s_delay_alu instid0(SALU_CYCLE_1) | instskip(SKIP_2) | instid1(VALU_DEP_1)
	s_cmp_lg_u32 s7, 0
	s_waitcnt lgkmcnt(0)
	v_mul_hi_u32 v8, s9, v7
	v_add_nc_u32_e32 v8, v7, v8
	s_delay_alu instid0(VALU_DEP_1) | instskip(NEXT) | instid1(VALU_DEP_1)
	v_lshrrev_b32_e32 v11, s12, v8
	v_mul_lo_u32 v8, v11, s8
	s_delay_alu instid0(VALU_DEP_1) | instskip(NEXT) | instid1(VALU_DEP_1)
	v_sub_nc_u32_e32 v7, v7, v8
	v_mad_u64_u32 v[8:9], null, v7, s10, v[4:5]
	v_mad_u64_u32 v[9:10], null, v7, s11, v[5:6]
	s_delay_alu instid0(VALU_DEP_2) | instskip(NEXT) | instid1(VALU_DEP_2)
	v_dual_mov_b32 v7, v11 :: v_dual_mov_b32 v4, v8
	v_mov_b32_e32 v5, v9
	s_cbranch_scc1 .LBB21_51
.LBB21_52:
	s_and_not1_b32 vcc_lo, exec_lo, s6
	s_cbranch_vccnz .LBB21_55
; %bb.53:
	s_clause 0x1
	s_load_b128 s[4:7], s[0:1], 0x4
	s_load_b64 s[2:3], s[0:1], 0xc4
	s_cmp_lt_u32 s22, 2
	s_waitcnt lgkmcnt(0)
	v_mul_hi_u32 v4, s5, v6
	s_delay_alu instid0(VALU_DEP_1) | instskip(NEXT) | instid1(VALU_DEP_1)
	v_add_nc_u32_e32 v4, v6, v4
	v_lshrrev_b32_e32 v7, s6, v4
	s_delay_alu instid0(VALU_DEP_1) | instskip(NEXT) | instid1(VALU_DEP_1)
	v_mul_lo_u32 v4, v7, s4
	v_sub_nc_u32_e32 v5, v6, v4
	s_delay_alu instid0(VALU_DEP_1)
	v_mul_lo_u32 v4, v5, s2
	v_mul_lo_u32 v5, v5, s3
	s_cbranch_scc1 .LBB21_55
; %bb.54:
	s_clause 0x1
	s_load_b128 s[4:7], s[0:1], 0x10
	s_load_b64 s[2:3], s[0:1], 0xcc
	s_waitcnt lgkmcnt(0)
	v_mul_hi_u32 v6, s5, v7
	s_delay_alu instid0(VALU_DEP_1) | instskip(NEXT) | instid1(VALU_DEP_1)
	v_add_nc_u32_e32 v6, v7, v6
	v_lshrrev_b32_e32 v6, s6, v6
	s_delay_alu instid0(VALU_DEP_1) | instskip(NEXT) | instid1(VALU_DEP_1)
	v_mul_lo_u32 v6, v6, s4
	v_sub_nc_u32_e32 v9, v7, v6
	s_delay_alu instid0(VALU_DEP_1) | instskip(NEXT) | instid1(VALU_DEP_1)
	v_mad_u64_u32 v[6:7], null, v9, s2, v[4:5]
	v_mad_u64_u32 v[7:8], null, v9, s3, v[5:6]
	s_delay_alu instid0(VALU_DEP_1)
	v_dual_mov_b32 v4, v6 :: v_dual_mov_b32 v5, v7
.LBB21_55:
	v_cmp_ne_u32_e32 vcc_lo, 1, v14
	v_add_nc_u32_e32 v8, 0x180, v12
	s_cbranch_vccnz .LBB21_61
; %bb.56:
	v_dual_mov_b32 v6, 0 :: v_dual_mov_b32 v7, 0
	s_cmp_lg_u32 s22, 0
	s_mov_b32 s6, 0
	s_cbranch_scc0 .LBB21_65
; %bb.57:
	s_min_u32 s7, s23, 15
	v_mov_b32_e32 v6, 0
	s_add_i32 s7, s7, 1
	s_cmp_eq_u32 s23, 2
	s_mov_b32 s8, 0
	s_cbranch_scc1 .LBB21_62
; %bb.58:
	v_dual_mov_b32 v7, 0 :: v_dual_mov_b32 v6, 0
	v_mov_b32_e32 v9, v8
	s_add_u32 s2, s0, 0xc4
	s_addc_u32 s3, s1, 0
	s_and_b32 s8, s7, 28
	s_mov_b32 s9, 0
	s_mov_b64 s[4:5], s[0:1]
.LBB21_59:                              ; =>This Inner Loop Header: Depth=1
	s_clause 0x1
	s_load_b256 s[12:19], s[4:5], 0x4
	s_load_b128 s[36:39], s[4:5], 0x24
	s_load_b256 s[24:31], s[2:3], 0x0
	s_add_u32 s4, s4, 48
	s_addc_u32 s5, s5, 0
	s_add_i32 s9, s9, 4
	s_add_u32 s2, s2, 32
	s_addc_u32 s3, s3, 0
	s_cmp_lg_u32 s8, s9
	s_waitcnt lgkmcnt(0)
	v_mul_hi_u32 v10, s13, v9
	s_delay_alu instid0(VALU_DEP_1) | instskip(NEXT) | instid1(VALU_DEP_1)
	v_add_nc_u32_e32 v10, v9, v10
	v_lshrrev_b32_e32 v10, s14, v10
	s_delay_alu instid0(VALU_DEP_1) | instskip(SKIP_1) | instid1(VALU_DEP_2)
	v_mul_hi_u32 v11, s16, v10
	v_mul_lo_u32 v15, v10, s12
	v_add_nc_u32_e32 v11, v10, v11
	s_delay_alu instid0(VALU_DEP_2) | instskip(NEXT) | instid1(VALU_DEP_2)
	v_sub_nc_u32_e32 v9, v9, v15
	v_lshrrev_b32_e32 v11, s17, v11
	s_delay_alu instid0(VALU_DEP_2) | instskip(SKIP_1) | instid1(VALU_DEP_3)
	v_mul_lo_u32 v15, v9, s24
	v_mul_lo_u32 v18, v9, s25
	v_mul_hi_u32 v13, s19, v11
	s_delay_alu instid0(VALU_DEP_1) | instskip(NEXT) | instid1(VALU_DEP_1)
	v_add_nc_u32_e32 v13, v11, v13
	v_lshrrev_b32_e32 v13, s36, v13
	s_delay_alu instid0(VALU_DEP_1) | instskip(SKIP_1) | instid1(VALU_DEP_2)
	v_mul_hi_u32 v17, s38, v13
	v_mul_lo_u32 v19, v13, s18
	v_add_nc_u32_e32 v9, v13, v17
	v_mul_lo_u32 v17, v11, s15
	s_delay_alu instid0(VALU_DEP_3) | instskip(NEXT) | instid1(VALU_DEP_3)
	v_sub_nc_u32_e32 v11, v11, v19
	v_lshrrev_b32_e32 v9, s39, v9
	s_delay_alu instid0(VALU_DEP_2) | instskip(SKIP_2) | instid1(VALU_DEP_4)
	v_mul_lo_u32 v19, v11, s28
	v_mul_lo_u32 v11, v11, s29
	v_sub_nc_u32_e32 v10, v10, v17
	v_mul_lo_u32 v20, v9, s37
	s_delay_alu instid0(VALU_DEP_2) | instskip(SKIP_1) | instid1(VALU_DEP_3)
	v_mul_lo_u32 v17, v10, s26
	v_mul_lo_u32 v10, v10, s27
	v_sub_nc_u32_e32 v13, v13, v20
	s_delay_alu instid0(VALU_DEP_3) | instskip(NEXT) | instid1(VALU_DEP_2)
	v_add3_u32 v6, v15, v6, v17
	v_mul_lo_u32 v20, v13, s30
	v_mul_lo_u32 v13, v13, s31
	v_add3_u32 v7, v18, v7, v10
	s_delay_alu instid0(VALU_DEP_3) | instskip(NEXT) | instid1(VALU_DEP_2)
	v_add3_u32 v6, v19, v6, v20
	v_add3_u32 v7, v11, v7, v13
	s_cbranch_scc1 .LBB21_59
; %bb.60:
	s_and_b32 s7, s7, 3
	s_delay_alu instid0(SALU_CYCLE_1)
	s_cmp_eq_u32 s7, 0
	s_cbranch_scc0 .LBB21_63
	s_branch .LBB21_65
.LBB21_61:
	s_mov_b32 s6, -1
                                        ; implicit-def: $vgpr6
                                        ; implicit-def: $vgpr7
	s_branch .LBB21_65
.LBB21_62:
	v_mov_b32_e32 v9, v8
	v_mov_b32_e32 v7, 0
	s_and_b32 s7, s7, 3
	s_delay_alu instid0(SALU_CYCLE_1)
	s_cmp_eq_u32 s7, 0
	s_cbranch_scc1 .LBB21_65
.LBB21_63:
	s_lshl_b32 s2, s8, 3
	s_mul_i32 s4, s8, 12
	s_add_u32 s2, s2, s0
	s_addc_u32 s3, 0, s1
	s_add_u32 s2, s2, 0xc4
	s_addc_u32 s3, s3, 0
	s_add_u32 s4, s0, s4
	s_addc_u32 s5, 0, s1
	.p2align	6
.LBB21_64:                              ; =>This Inner Loop Header: Depth=1
	s_clause 0x1
	s_load_b64 s[8:9], s[4:5], 0x4
	s_load_b32 s12, s[4:5], 0xc
	s_load_b64 s[10:11], s[2:3], 0x0
	s_add_u32 s4, s4, 12
	s_addc_u32 s5, s5, 0
	s_add_u32 s2, s2, 8
	s_addc_u32 s3, s3, 0
	s_add_i32 s7, s7, -1
	s_delay_alu instid0(SALU_CYCLE_1) | instskip(SKIP_2) | instid1(VALU_DEP_1)
	s_cmp_lg_u32 s7, 0
	s_waitcnt lgkmcnt(0)
	v_mul_hi_u32 v10, s9, v9
	v_add_nc_u32_e32 v10, v9, v10
	s_delay_alu instid0(VALU_DEP_1) | instskip(NEXT) | instid1(VALU_DEP_1)
	v_lshrrev_b32_e32 v13, s12, v10
	v_mul_lo_u32 v10, v13, s8
	s_delay_alu instid0(VALU_DEP_1) | instskip(NEXT) | instid1(VALU_DEP_1)
	v_sub_nc_u32_e32 v9, v9, v10
	v_mad_u64_u32 v[10:11], null, v9, s10, v[6:7]
	v_mad_u64_u32 v[17:18], null, v9, s11, v[7:8]
	s_delay_alu instid0(VALU_DEP_2) | instskip(NEXT) | instid1(VALU_DEP_2)
	v_dual_mov_b32 v9, v13 :: v_dual_mov_b32 v6, v10
	v_mov_b32_e32 v7, v17
	s_cbranch_scc1 .LBB21_64
.LBB21_65:
	s_and_not1_b32 vcc_lo, exec_lo, s6
	s_cbranch_vccnz .LBB21_68
; %bb.66:
	s_clause 0x1
	s_load_b128 s[4:7], s[0:1], 0x4
	s_load_b64 s[2:3], s[0:1], 0xc4
	s_cmp_lt_u32 s22, 2
	s_waitcnt lgkmcnt(0)
	v_mul_hi_u32 v6, s5, v8
	s_delay_alu instid0(VALU_DEP_1) | instskip(NEXT) | instid1(VALU_DEP_1)
	v_add_nc_u32_e32 v6, v8, v6
	v_lshrrev_b32_e32 v9, s6, v6
	s_delay_alu instid0(VALU_DEP_1) | instskip(NEXT) | instid1(VALU_DEP_1)
	v_mul_lo_u32 v6, v9, s4
	v_sub_nc_u32_e32 v7, v8, v6
	s_delay_alu instid0(VALU_DEP_1)
	v_mul_lo_u32 v6, v7, s2
	v_mul_lo_u32 v7, v7, s3
	s_cbranch_scc1 .LBB21_68
; %bb.67:
	s_clause 0x1
	s_load_b128 s[4:7], s[0:1], 0x10
	s_load_b64 s[2:3], s[0:1], 0xcc
	s_waitcnt lgkmcnt(0)
	v_mul_hi_u32 v8, s5, v9
	s_delay_alu instid0(VALU_DEP_1) | instskip(NEXT) | instid1(VALU_DEP_1)
	v_add_nc_u32_e32 v8, v9, v8
	v_lshrrev_b32_e32 v8, s6, v8
	s_delay_alu instid0(VALU_DEP_1) | instskip(NEXT) | instid1(VALU_DEP_1)
	v_mul_lo_u32 v8, v8, s4
	v_sub_nc_u32_e32 v11, v9, v8
	s_delay_alu instid0(VALU_DEP_1) | instskip(NEXT) | instid1(VALU_DEP_1)
	v_mad_u64_u32 v[8:9], null, v11, s2, v[6:7]
	v_mad_u64_u32 v[9:10], null, v11, s3, v[7:8]
	s_delay_alu instid0(VALU_DEP_1)
	v_dual_mov_b32 v6, v8 :: v_dual_mov_b32 v7, v9
.LBB21_68:
	v_cmp_ne_u32_e32 vcc_lo, 1, v14
	v_add_nc_u32_e32 v10, 0x200, v12
	s_cbranch_vccnz .LBB21_74
; %bb.69:
	v_dual_mov_b32 v8, 0 :: v_dual_mov_b32 v9, 0
	s_cmp_lg_u32 s22, 0
	s_mov_b32 s6, 0
	s_cbranch_scc0 .LBB21_78
; %bb.70:
	s_min_u32 s7, s23, 15
	v_mov_b32_e32 v8, 0
	s_add_i32 s7, s7, 1
	s_cmp_eq_u32 s23, 2
	s_mov_b32 s8, 0
	s_cbranch_scc1 .LBB21_75
; %bb.71:
	v_dual_mov_b32 v9, 0 :: v_dual_mov_b32 v8, 0
	v_mov_b32_e32 v11, v10
	s_add_u32 s2, s0, 0xc4
	s_addc_u32 s3, s1, 0
	s_and_b32 s8, s7, 28
	s_mov_b32 s9, 0
	s_mov_b64 s[4:5], s[0:1]
.LBB21_72:                              ; =>This Inner Loop Header: Depth=1
	s_clause 0x1
	s_load_b256 s[12:19], s[4:5], 0x4
	s_load_b128 s[36:39], s[4:5], 0x24
	s_load_b256 s[24:31], s[2:3], 0x0
	s_add_u32 s4, s4, 48
	s_addc_u32 s5, s5, 0
	s_add_i32 s9, s9, 4
	s_add_u32 s2, s2, 32
	s_addc_u32 s3, s3, 0
	s_cmp_lg_u32 s8, s9
	s_waitcnt lgkmcnt(0)
	v_mul_hi_u32 v13, s13, v11
	s_delay_alu instid0(VALU_DEP_1) | instskip(NEXT) | instid1(VALU_DEP_1)
	v_add_nc_u32_e32 v13, v11, v13
	v_lshrrev_b32_e32 v13, s14, v13
	s_delay_alu instid0(VALU_DEP_1) | instskip(SKIP_1) | instid1(VALU_DEP_2)
	v_mul_hi_u32 v15, s16, v13
	v_mul_lo_u32 v18, v13, s12
	v_add_nc_u32_e32 v15, v13, v15
	s_delay_alu instid0(VALU_DEP_2) | instskip(NEXT) | instid1(VALU_DEP_2)
	v_sub_nc_u32_e32 v11, v11, v18
	v_lshrrev_b32_e32 v15, s17, v15
	s_delay_alu instid0(VALU_DEP_2) | instskip(SKIP_1) | instid1(VALU_DEP_3)
	v_mul_lo_u32 v18, v11, s24
	v_mul_lo_u32 v20, v11, s25
	v_mul_hi_u32 v17, s19, v15
	s_delay_alu instid0(VALU_DEP_1) | instskip(NEXT) | instid1(VALU_DEP_1)
	v_add_nc_u32_e32 v17, v15, v17
	v_lshrrev_b32_e32 v17, s36, v17
	s_delay_alu instid0(VALU_DEP_1) | instskip(SKIP_1) | instid1(VALU_DEP_2)
	v_mul_hi_u32 v19, s38, v17
	v_mul_lo_u32 v21, v17, s18
	v_add_nc_u32_e32 v11, v17, v19
	v_mul_lo_u32 v19, v15, s15
	s_delay_alu instid0(VALU_DEP_3) | instskip(NEXT) | instid1(VALU_DEP_3)
	v_sub_nc_u32_e32 v15, v15, v21
	v_lshrrev_b32_e32 v11, s39, v11
	s_delay_alu instid0(VALU_DEP_2) | instskip(SKIP_2) | instid1(VALU_DEP_4)
	v_mul_lo_u32 v21, v15, s28
	v_mul_lo_u32 v15, v15, s29
	v_sub_nc_u32_e32 v13, v13, v19
	v_mul_lo_u32 v22, v11, s37
	s_delay_alu instid0(VALU_DEP_2) | instskip(SKIP_1) | instid1(VALU_DEP_3)
	v_mul_lo_u32 v19, v13, s26
	v_mul_lo_u32 v13, v13, s27
	v_sub_nc_u32_e32 v17, v17, v22
	s_delay_alu instid0(VALU_DEP_3) | instskip(NEXT) | instid1(VALU_DEP_2)
	v_add3_u32 v8, v18, v8, v19
	v_mul_lo_u32 v22, v17, s30
	v_mul_lo_u32 v17, v17, s31
	v_add3_u32 v9, v20, v9, v13
	s_delay_alu instid0(VALU_DEP_3) | instskip(NEXT) | instid1(VALU_DEP_2)
	v_add3_u32 v8, v21, v8, v22
	v_add3_u32 v9, v15, v9, v17
	s_cbranch_scc1 .LBB21_72
; %bb.73:
	s_and_b32 s7, s7, 3
	s_delay_alu instid0(SALU_CYCLE_1)
	s_cmp_eq_u32 s7, 0
	s_cbranch_scc0 .LBB21_76
	s_branch .LBB21_78
.LBB21_74:
	s_mov_b32 s6, -1
                                        ; implicit-def: $vgpr8
                                        ; implicit-def: $vgpr9
	s_branch .LBB21_78
.LBB21_75:
	v_mov_b32_e32 v11, v10
	v_mov_b32_e32 v9, 0
	s_and_b32 s7, s7, 3
	s_delay_alu instid0(SALU_CYCLE_1)
	s_cmp_eq_u32 s7, 0
	s_cbranch_scc1 .LBB21_78
.LBB21_76:
	s_lshl_b32 s2, s8, 3
	s_mul_i32 s4, s8, 12
	s_add_u32 s2, s2, s0
	s_addc_u32 s3, 0, s1
	s_add_u32 s2, s2, 0xc4
	s_addc_u32 s3, s3, 0
	;; [unrolled: 2-line block ×3, first 2 shown]
	.p2align	6
.LBB21_77:                              ; =>This Inner Loop Header: Depth=1
	s_clause 0x1
	s_load_b64 s[8:9], s[4:5], 0x4
	s_load_b32 s12, s[4:5], 0xc
	s_load_b64 s[10:11], s[2:3], 0x0
	s_add_u32 s4, s4, 12
	s_addc_u32 s5, s5, 0
	s_add_u32 s2, s2, 8
	s_addc_u32 s3, s3, 0
	s_add_i32 s7, s7, -1
	s_delay_alu instid0(SALU_CYCLE_1) | instskip(SKIP_2) | instid1(VALU_DEP_1)
	s_cmp_lg_u32 s7, 0
	s_waitcnt lgkmcnt(0)
	v_mul_hi_u32 v13, s9, v11
	v_add_nc_u32_e32 v13, v11, v13
	s_delay_alu instid0(VALU_DEP_1) | instskip(NEXT) | instid1(VALU_DEP_1)
	v_lshrrev_b32_e32 v13, s12, v13
	v_mul_lo_u32 v15, v13, s8
	s_delay_alu instid0(VALU_DEP_1) | instskip(NEXT) | instid1(VALU_DEP_1)
	v_sub_nc_u32_e32 v11, v11, v15
	v_mad_u64_u32 v[17:18], null, v11, s10, v[8:9]
	v_mad_u64_u32 v[18:19], null, v11, s11, v[9:10]
	v_mov_b32_e32 v11, v13
	s_delay_alu instid0(VALU_DEP_2)
	v_dual_mov_b32 v8, v17 :: v_dual_mov_b32 v9, v18
	s_cbranch_scc1 .LBB21_77
.LBB21_78:
	s_and_not1_b32 vcc_lo, exec_lo, s6
	s_cbranch_vccnz .LBB21_81
; %bb.79:
	s_clause 0x1
	s_load_b128 s[4:7], s[0:1], 0x4
	s_load_b64 s[2:3], s[0:1], 0xc4
	s_cmp_lt_u32 s22, 2
	s_waitcnt lgkmcnt(0)
	v_mul_hi_u32 v8, s5, v10
	s_delay_alu instid0(VALU_DEP_1) | instskip(NEXT) | instid1(VALU_DEP_1)
	v_add_nc_u32_e32 v8, v10, v8
	v_lshrrev_b32_e32 v11, s6, v8
	s_delay_alu instid0(VALU_DEP_1) | instskip(NEXT) | instid1(VALU_DEP_1)
	v_mul_lo_u32 v8, v11, s4
	v_sub_nc_u32_e32 v9, v10, v8
	s_delay_alu instid0(VALU_DEP_1)
	v_mul_lo_u32 v8, v9, s2
	v_mul_lo_u32 v9, v9, s3
	s_cbranch_scc1 .LBB21_81
; %bb.80:
	s_clause 0x1
	s_load_b128 s[4:7], s[0:1], 0x10
	s_load_b64 s[2:3], s[0:1], 0xcc
	s_waitcnt lgkmcnt(0)
	v_mul_hi_u32 v10, s5, v11
	s_delay_alu instid0(VALU_DEP_1) | instskip(NEXT) | instid1(VALU_DEP_1)
	v_add_nc_u32_e32 v10, v11, v10
	v_lshrrev_b32_e32 v10, s6, v10
	s_delay_alu instid0(VALU_DEP_1) | instskip(NEXT) | instid1(VALU_DEP_1)
	v_mul_lo_u32 v10, v10, s4
	v_sub_nc_u32_e32 v13, v11, v10
	s_delay_alu instid0(VALU_DEP_1) | instskip(NEXT) | instid1(VALU_DEP_1)
	v_mad_u64_u32 v[10:11], null, v13, s2, v[8:9]
	v_mad_u64_u32 v[17:18], null, v13, s3, v[9:10]
	s_delay_alu instid0(VALU_DEP_1)
	v_dual_mov_b32 v8, v10 :: v_dual_mov_b32 v9, v17
.LBB21_81:
	v_cmp_ne_u32_e32 vcc_lo, 1, v14
	v_add_nc_u32_e32 v13, 0x280, v12
	s_cbranch_vccnz .LBB21_87
; %bb.82:
	v_dual_mov_b32 v10, 0 :: v_dual_mov_b32 v11, 0
	s_cmp_lg_u32 s22, 0
	s_mov_b32 s6, 0
	s_cbranch_scc0 .LBB21_91
; %bb.83:
	s_min_u32 s7, s23, 15
	v_mov_b32_e32 v10, 0
	s_add_i32 s7, s7, 1
	s_cmp_eq_u32 s23, 2
	s_mov_b32 s8, 0
	s_cbranch_scc1 .LBB21_88
; %bb.84:
	v_dual_mov_b32 v11, 0 :: v_dual_mov_b32 v10, 0
	v_mov_b32_e32 v15, v13
	s_add_u32 s2, s0, 0xc4
	s_addc_u32 s3, s1, 0
	s_and_b32 s8, s7, 28
	s_mov_b32 s9, 0
	s_mov_b64 s[4:5], s[0:1]
.LBB21_85:                              ; =>This Inner Loop Header: Depth=1
	s_clause 0x1
	s_load_b256 s[12:19], s[4:5], 0x4
	s_load_b128 s[36:39], s[4:5], 0x24
	s_load_b256 s[24:31], s[2:3], 0x0
	s_add_u32 s4, s4, 48
	s_addc_u32 s5, s5, 0
	s_add_i32 s9, s9, 4
	s_add_u32 s2, s2, 32
	s_addc_u32 s3, s3, 0
	s_cmp_lg_u32 s8, s9
	s_waitcnt lgkmcnt(0)
	v_mul_hi_u32 v17, s13, v15
	s_delay_alu instid0(VALU_DEP_1) | instskip(NEXT) | instid1(VALU_DEP_1)
	v_add_nc_u32_e32 v17, v15, v17
	v_lshrrev_b32_e32 v17, s14, v17
	s_delay_alu instid0(VALU_DEP_1) | instskip(SKIP_1) | instid1(VALU_DEP_2)
	v_mul_hi_u32 v18, s16, v17
	v_mul_lo_u32 v20, v17, s12
	v_add_nc_u32_e32 v18, v17, v18
	s_delay_alu instid0(VALU_DEP_2) | instskip(NEXT) | instid1(VALU_DEP_2)
	v_sub_nc_u32_e32 v15, v15, v20
	v_lshrrev_b32_e32 v18, s17, v18
	s_delay_alu instid0(VALU_DEP_2) | instskip(SKIP_1) | instid1(VALU_DEP_3)
	v_mul_lo_u32 v20, v15, s24
	v_mul_lo_u32 v22, v15, s25
	v_mul_hi_u32 v19, s19, v18
	s_delay_alu instid0(VALU_DEP_1) | instskip(NEXT) | instid1(VALU_DEP_1)
	v_add_nc_u32_e32 v19, v18, v19
	v_lshrrev_b32_e32 v19, s36, v19
	s_delay_alu instid0(VALU_DEP_1) | instskip(SKIP_1) | instid1(VALU_DEP_2)
	v_mul_hi_u32 v21, s38, v19
	v_mul_lo_u32 v23, v19, s18
	v_add_nc_u32_e32 v15, v19, v21
	v_mul_lo_u32 v21, v18, s15
	s_delay_alu instid0(VALU_DEP_3) | instskip(NEXT) | instid1(VALU_DEP_3)
	v_sub_nc_u32_e32 v18, v18, v23
	v_lshrrev_b32_e32 v15, s39, v15
	s_delay_alu instid0(VALU_DEP_2) | instskip(SKIP_2) | instid1(VALU_DEP_4)
	v_mul_lo_u32 v23, v18, s28
	v_mul_lo_u32 v18, v18, s29
	v_sub_nc_u32_e32 v17, v17, v21
	v_mul_lo_u32 v24, v15, s37
	s_delay_alu instid0(VALU_DEP_2) | instskip(SKIP_1) | instid1(VALU_DEP_3)
	v_mul_lo_u32 v21, v17, s26
	v_mul_lo_u32 v17, v17, s27
	v_sub_nc_u32_e32 v19, v19, v24
	s_delay_alu instid0(VALU_DEP_3) | instskip(NEXT) | instid1(VALU_DEP_2)
	v_add3_u32 v10, v20, v10, v21
	v_mul_lo_u32 v24, v19, s30
	v_mul_lo_u32 v19, v19, s31
	v_add3_u32 v11, v22, v11, v17
	s_delay_alu instid0(VALU_DEP_3) | instskip(NEXT) | instid1(VALU_DEP_2)
	v_add3_u32 v10, v23, v10, v24
	v_add3_u32 v11, v18, v11, v19
	s_cbranch_scc1 .LBB21_85
; %bb.86:
	s_and_b32 s7, s7, 3
	s_delay_alu instid0(SALU_CYCLE_1)
	s_cmp_eq_u32 s7, 0
	s_cbranch_scc0 .LBB21_89
	s_branch .LBB21_91
.LBB21_87:
	s_mov_b32 s6, -1
                                        ; implicit-def: $vgpr10
                                        ; implicit-def: $vgpr11
	s_branch .LBB21_91
.LBB21_88:
	v_mov_b32_e32 v15, v13
	v_mov_b32_e32 v11, 0
	s_and_b32 s7, s7, 3
	s_delay_alu instid0(SALU_CYCLE_1)
	s_cmp_eq_u32 s7, 0
	s_cbranch_scc1 .LBB21_91
.LBB21_89:
	s_lshl_b32 s2, s8, 3
	s_mul_i32 s4, s8, 12
	s_add_u32 s2, s2, s0
	s_addc_u32 s3, 0, s1
	s_add_u32 s2, s2, 0xc4
	s_addc_u32 s3, s3, 0
	;; [unrolled: 2-line block ×3, first 2 shown]
	.p2align	6
.LBB21_90:                              ; =>This Inner Loop Header: Depth=1
	s_clause 0x1
	s_load_b64 s[8:9], s[4:5], 0x4
	s_load_b32 s12, s[4:5], 0xc
	s_load_b64 s[10:11], s[2:3], 0x0
	s_add_u32 s4, s4, 12
	s_addc_u32 s5, s5, 0
	s_add_u32 s2, s2, 8
	s_addc_u32 s3, s3, 0
	s_add_i32 s7, s7, -1
	s_delay_alu instid0(SALU_CYCLE_1) | instskip(SKIP_2) | instid1(VALU_DEP_1)
	s_cmp_lg_u32 s7, 0
	s_waitcnt lgkmcnt(0)
	v_mul_hi_u32 v17, s9, v15
	v_add_nc_u32_e32 v17, v15, v17
	s_delay_alu instid0(VALU_DEP_1) | instskip(NEXT) | instid1(VALU_DEP_1)
	v_lshrrev_b32_e32 v20, s12, v17
	v_mul_lo_u32 v17, v20, s8
	s_delay_alu instid0(VALU_DEP_1) | instskip(NEXT) | instid1(VALU_DEP_1)
	v_sub_nc_u32_e32 v15, v15, v17
	v_mad_u64_u32 v[17:18], null, v15, s10, v[10:11]
	v_mad_u64_u32 v[18:19], null, v15, s11, v[11:12]
	s_delay_alu instid0(VALU_DEP_2) | instskip(NEXT) | instid1(VALU_DEP_2)
	v_dual_mov_b32 v15, v20 :: v_dual_mov_b32 v10, v17
	v_mov_b32_e32 v11, v18
	s_cbranch_scc1 .LBB21_90
.LBB21_91:
	s_and_not1_b32 vcc_lo, exec_lo, s6
	s_cbranch_vccnz .LBB21_94
; %bb.92:
	s_clause 0x1
	s_load_b128 s[4:7], s[0:1], 0x4
	s_load_b64 s[2:3], s[0:1], 0xc4
	s_cmp_lt_u32 s22, 2
	s_waitcnt lgkmcnt(0)
	v_mul_hi_u32 v10, s5, v13
	s_delay_alu instid0(VALU_DEP_1) | instskip(NEXT) | instid1(VALU_DEP_1)
	v_add_nc_u32_e32 v10, v13, v10
	v_lshrrev_b32_e32 v15, s6, v10
	s_delay_alu instid0(VALU_DEP_1) | instskip(NEXT) | instid1(VALU_DEP_1)
	v_mul_lo_u32 v10, v15, s4
	v_sub_nc_u32_e32 v11, v13, v10
	s_delay_alu instid0(VALU_DEP_1)
	v_mul_lo_u32 v10, v11, s2
	v_mul_lo_u32 v11, v11, s3
	s_cbranch_scc1 .LBB21_94
; %bb.93:
	s_clause 0x1
	s_load_b128 s[4:7], s[0:1], 0x10
	s_load_b64 s[2:3], s[0:1], 0xcc
	s_waitcnt lgkmcnt(0)
	v_mul_hi_u32 v13, s5, v15
	s_delay_alu instid0(VALU_DEP_1) | instskip(NEXT) | instid1(VALU_DEP_1)
	v_add_nc_u32_e32 v13, v15, v13
	v_lshrrev_b32_e32 v13, s6, v13
	s_delay_alu instid0(VALU_DEP_1) | instskip(NEXT) | instid1(VALU_DEP_1)
	v_mul_lo_u32 v13, v13, s4
	v_sub_nc_u32_e32 v13, v15, v13
	s_delay_alu instid0(VALU_DEP_1) | instskip(SKIP_1) | instid1(VALU_DEP_1)
	v_mad_u64_u32 v[17:18], null, v13, s2, v[10:11]
	v_mad_u64_u32 v[18:19], null, v13, s3, v[11:12]
	v_dual_mov_b32 v10, v17 :: v_dual_mov_b32 v11, v18
.LBB21_94:
	v_cmp_ne_u32_e32 vcc_lo, 1, v14
	v_add_nc_u32_e32 v15, 0x300, v12
	s_cbranch_vccnz .LBB21_100
; %bb.95:
	v_dual_mov_b32 v12, 0 :: v_dual_mov_b32 v13, 0
	s_cmp_lg_u32 s22, 0
	s_mov_b32 s6, 0
	s_cbranch_scc0 .LBB21_104
; %bb.96:
	s_min_u32 s7, s23, 15
	v_mov_b32_e32 v12, 0
	s_add_i32 s7, s7, 1
	s_cmp_eq_u32 s23, 2
	s_mov_b32 s8, 0
	s_cbranch_scc1 .LBB21_101
; %bb.97:
	v_dual_mov_b32 v13, 0 :: v_dual_mov_b32 v12, 0
	v_mov_b32_e32 v17, v15
	s_add_u32 s2, s0, 0xc4
	s_addc_u32 s3, s1, 0
	s_and_b32 s8, s7, 28
	s_mov_b32 s9, 0
	s_mov_b64 s[4:5], s[0:1]
.LBB21_98:                              ; =>This Inner Loop Header: Depth=1
	s_clause 0x1
	s_load_b256 s[12:19], s[4:5], 0x4
	s_load_b128 s[36:39], s[4:5], 0x24
	s_load_b256 s[24:31], s[2:3], 0x0
	s_add_u32 s4, s4, 48
	s_addc_u32 s5, s5, 0
	s_add_i32 s9, s9, 4
	s_add_u32 s2, s2, 32
	s_addc_u32 s3, s3, 0
	s_cmp_lg_u32 s8, s9
	s_waitcnt lgkmcnt(0)
	v_mul_hi_u32 v18, s13, v17
	s_delay_alu instid0(VALU_DEP_1) | instskip(NEXT) | instid1(VALU_DEP_1)
	v_add_nc_u32_e32 v18, v17, v18
	v_lshrrev_b32_e32 v18, s14, v18
	s_delay_alu instid0(VALU_DEP_1) | instskip(SKIP_1) | instid1(VALU_DEP_2)
	v_mul_hi_u32 v19, s16, v18
	v_mul_lo_u32 v21, v18, s12
	v_add_nc_u32_e32 v19, v18, v19
	s_delay_alu instid0(VALU_DEP_2) | instskip(NEXT) | instid1(VALU_DEP_2)
	v_sub_nc_u32_e32 v17, v17, v21
	v_lshrrev_b32_e32 v19, s17, v19
	s_delay_alu instid0(VALU_DEP_2) | instskip(SKIP_1) | instid1(VALU_DEP_3)
	v_mul_lo_u32 v21, v17, s24
	v_mul_lo_u32 v23, v17, s25
	v_mul_hi_u32 v20, s19, v19
	s_delay_alu instid0(VALU_DEP_1) | instskip(NEXT) | instid1(VALU_DEP_1)
	v_add_nc_u32_e32 v20, v19, v20
	v_lshrrev_b32_e32 v20, s36, v20
	s_delay_alu instid0(VALU_DEP_1) | instskip(SKIP_1) | instid1(VALU_DEP_2)
	v_mul_hi_u32 v22, s38, v20
	v_mul_lo_u32 v24, v20, s18
	v_add_nc_u32_e32 v17, v20, v22
	v_mul_lo_u32 v22, v19, s15
	s_delay_alu instid0(VALU_DEP_3) | instskip(NEXT) | instid1(VALU_DEP_3)
	v_sub_nc_u32_e32 v19, v19, v24
	v_lshrrev_b32_e32 v17, s39, v17
	s_delay_alu instid0(VALU_DEP_2) | instskip(SKIP_2) | instid1(VALU_DEP_4)
	v_mul_lo_u32 v24, v19, s28
	v_mul_lo_u32 v19, v19, s29
	v_sub_nc_u32_e32 v18, v18, v22
	v_mul_lo_u32 v25, v17, s37
	s_delay_alu instid0(VALU_DEP_2) | instskip(SKIP_1) | instid1(VALU_DEP_3)
	v_mul_lo_u32 v22, v18, s26
	v_mul_lo_u32 v18, v18, s27
	v_sub_nc_u32_e32 v20, v20, v25
	s_delay_alu instid0(VALU_DEP_3) | instskip(NEXT) | instid1(VALU_DEP_2)
	v_add3_u32 v12, v21, v12, v22
	v_mul_lo_u32 v25, v20, s30
	v_mul_lo_u32 v20, v20, s31
	v_add3_u32 v13, v23, v13, v18
	s_delay_alu instid0(VALU_DEP_3) | instskip(NEXT) | instid1(VALU_DEP_2)
	v_add3_u32 v12, v24, v12, v25
	v_add3_u32 v13, v19, v13, v20
	s_cbranch_scc1 .LBB21_98
; %bb.99:
	s_and_b32 s7, s7, 3
	s_delay_alu instid0(SALU_CYCLE_1)
	s_cmp_eq_u32 s7, 0
	s_cbranch_scc0 .LBB21_102
	s_branch .LBB21_104
.LBB21_100:
	s_mov_b32 s6, -1
                                        ; implicit-def: $vgpr12
                                        ; implicit-def: $vgpr13
	s_branch .LBB21_104
.LBB21_101:
	v_mov_b32_e32 v17, v15
	v_mov_b32_e32 v13, 0
	s_and_b32 s7, s7, 3
	s_delay_alu instid0(SALU_CYCLE_1)
	s_cmp_eq_u32 s7, 0
	s_cbranch_scc1 .LBB21_104
.LBB21_102:
	s_lshl_b32 s2, s8, 3
	s_mul_i32 s4, s8, 12
	s_add_u32 s2, s2, s0
	s_addc_u32 s3, 0, s1
	s_add_u32 s2, s2, 0xc4
	s_addc_u32 s3, s3, 0
	;; [unrolled: 2-line block ×3, first 2 shown]
	.p2align	6
.LBB21_103:                             ; =>This Inner Loop Header: Depth=1
	s_clause 0x1
	s_load_b64 s[8:9], s[4:5], 0x4
	s_load_b32 s12, s[4:5], 0xc
	s_load_b64 s[10:11], s[2:3], 0x0
	s_add_u32 s4, s4, 12
	s_addc_u32 s5, s5, 0
	s_add_u32 s2, s2, 8
	s_addc_u32 s3, s3, 0
	s_add_i32 s7, s7, -1
	s_delay_alu instid0(SALU_CYCLE_1) | instskip(SKIP_2) | instid1(VALU_DEP_1)
	s_cmp_lg_u32 s7, 0
	s_waitcnt lgkmcnt(0)
	v_mul_hi_u32 v18, s9, v17
	v_add_nc_u32_e32 v18, v17, v18
	s_delay_alu instid0(VALU_DEP_1) | instskip(NEXT) | instid1(VALU_DEP_1)
	v_lshrrev_b32_e32 v21, s12, v18
	v_mul_lo_u32 v18, v21, s8
	s_delay_alu instid0(VALU_DEP_1) | instskip(NEXT) | instid1(VALU_DEP_1)
	v_sub_nc_u32_e32 v17, v17, v18
	v_mad_u64_u32 v[18:19], null, v17, s10, v[12:13]
	v_mad_u64_u32 v[19:20], null, v17, s11, v[13:14]
	s_delay_alu instid0(VALU_DEP_2) | instskip(NEXT) | instid1(VALU_DEP_2)
	v_dual_mov_b32 v17, v21 :: v_dual_mov_b32 v12, v18
	v_mov_b32_e32 v13, v19
	s_cbranch_scc1 .LBB21_103
.LBB21_104:
	s_and_not1_b32 vcc_lo, exec_lo, s6
	s_cbranch_vccnz .LBB21_107
; %bb.105:
	s_clause 0x1
	s_load_b128 s[4:7], s[0:1], 0x4
	s_load_b64 s[2:3], s[0:1], 0xc4
	s_cmp_lt_u32 s22, 2
	s_waitcnt lgkmcnt(0)
	v_mul_hi_u32 v12, s5, v15
	s_delay_alu instid0(VALU_DEP_1) | instskip(NEXT) | instid1(VALU_DEP_1)
	v_add_nc_u32_e32 v12, v15, v12
	v_lshrrev_b32_e32 v17, s6, v12
	s_delay_alu instid0(VALU_DEP_1) | instskip(NEXT) | instid1(VALU_DEP_1)
	v_mul_lo_u32 v12, v17, s4
	v_sub_nc_u32_e32 v13, v15, v12
	s_delay_alu instid0(VALU_DEP_1)
	v_mul_lo_u32 v12, v13, s2
	v_mul_lo_u32 v13, v13, s3
	s_cbranch_scc1 .LBB21_107
; %bb.106:
	s_clause 0x1
	s_load_b128 s[4:7], s[0:1], 0x10
	s_load_b64 s[2:3], s[0:1], 0xcc
	s_waitcnt lgkmcnt(0)
	v_mul_hi_u32 v15, s5, v17
	s_delay_alu instid0(VALU_DEP_1) | instskip(NEXT) | instid1(VALU_DEP_1)
	v_add_nc_u32_e32 v15, v17, v15
	v_lshrrev_b32_e32 v15, s6, v15
	s_delay_alu instid0(VALU_DEP_1) | instskip(NEXT) | instid1(VALU_DEP_1)
	v_mul_lo_u32 v15, v15, s4
	v_sub_nc_u32_e32 v15, v17, v15
	s_delay_alu instid0(VALU_DEP_1) | instskip(SKIP_1) | instid1(VALU_DEP_1)
	v_mad_u64_u32 v[17:18], null, v15, s2, v[12:13]
	v_mad_u64_u32 v[18:19], null, v15, s3, v[13:14]
	v_dual_mov_b32 v12, v17 :: v_dual_mov_b32 v13, v18
.LBB21_107:
	v_cmp_ne_u32_e32 vcc_lo, 1, v14
	s_cbranch_vccnz .LBB21_113
; %bb.108:
	v_dual_mov_b32 v14, 0 :: v_dual_mov_b32 v15, 0
	s_cmp_lg_u32 s22, 0
	s_mov_b32 s6, 0
	s_cbranch_scc0 .LBB21_117
; %bb.109:
	s_min_u32 s7, s23, 15
	v_mov_b32_e32 v14, 0
	s_add_i32 s7, s7, 1
	s_cmp_eq_u32 s23, 2
	s_mov_b32 s8, 0
	s_cbranch_scc1 .LBB21_114
; %bb.110:
	v_dual_mov_b32 v15, 0 :: v_dual_mov_b32 v14, 0
	v_mov_b32_e32 v17, v16
	s_add_u32 s2, s0, 0xc4
	s_addc_u32 s3, s1, 0
	s_and_b32 s8, s7, 28
	s_mov_b32 s9, 0
	s_mov_b64 s[4:5], s[0:1]
.LBB21_111:                             ; =>This Inner Loop Header: Depth=1
	s_clause 0x1
	s_load_b256 s[12:19], s[4:5], 0x4
	s_load_b128 s[36:39], s[4:5], 0x24
	s_load_b256 s[24:31], s[2:3], 0x0
	s_add_u32 s4, s4, 48
	s_addc_u32 s5, s5, 0
	s_add_i32 s9, s9, 4
	s_add_u32 s2, s2, 32
	s_addc_u32 s3, s3, 0
	s_cmp_lg_u32 s8, s9
	s_waitcnt lgkmcnt(0)
	v_mul_hi_u32 v18, s13, v17
	s_delay_alu instid0(VALU_DEP_1) | instskip(NEXT) | instid1(VALU_DEP_1)
	v_add_nc_u32_e32 v18, v17, v18
	v_lshrrev_b32_e32 v18, s14, v18
	s_delay_alu instid0(VALU_DEP_1) | instskip(SKIP_1) | instid1(VALU_DEP_2)
	v_mul_hi_u32 v19, s16, v18
	v_mul_lo_u32 v21, v18, s12
	v_add_nc_u32_e32 v19, v18, v19
	s_delay_alu instid0(VALU_DEP_2) | instskip(NEXT) | instid1(VALU_DEP_2)
	v_sub_nc_u32_e32 v17, v17, v21
	v_lshrrev_b32_e32 v19, s17, v19
	s_delay_alu instid0(VALU_DEP_2) | instskip(SKIP_1) | instid1(VALU_DEP_3)
	v_mul_lo_u32 v21, v17, s24
	v_mul_lo_u32 v23, v17, s25
	v_mul_hi_u32 v20, s19, v19
	s_delay_alu instid0(VALU_DEP_1) | instskip(NEXT) | instid1(VALU_DEP_1)
	v_add_nc_u32_e32 v20, v19, v20
	v_lshrrev_b32_e32 v20, s36, v20
	s_delay_alu instid0(VALU_DEP_1) | instskip(SKIP_1) | instid1(VALU_DEP_2)
	v_mul_hi_u32 v22, s38, v20
	v_mul_lo_u32 v24, v20, s18
	v_add_nc_u32_e32 v17, v20, v22
	v_mul_lo_u32 v22, v19, s15
	s_delay_alu instid0(VALU_DEP_3) | instskip(NEXT) | instid1(VALU_DEP_3)
	v_sub_nc_u32_e32 v19, v19, v24
	v_lshrrev_b32_e32 v17, s39, v17
	s_delay_alu instid0(VALU_DEP_2) | instskip(SKIP_2) | instid1(VALU_DEP_4)
	v_mul_lo_u32 v24, v19, s28
	v_mul_lo_u32 v19, v19, s29
	v_sub_nc_u32_e32 v18, v18, v22
	v_mul_lo_u32 v25, v17, s37
	s_delay_alu instid0(VALU_DEP_2) | instskip(SKIP_1) | instid1(VALU_DEP_3)
	v_mul_lo_u32 v22, v18, s26
	v_mul_lo_u32 v18, v18, s27
	v_sub_nc_u32_e32 v20, v20, v25
	s_delay_alu instid0(VALU_DEP_3) | instskip(NEXT) | instid1(VALU_DEP_2)
	v_add3_u32 v14, v21, v14, v22
	v_mul_lo_u32 v25, v20, s30
	v_mul_lo_u32 v20, v20, s31
	v_add3_u32 v15, v23, v15, v18
	s_delay_alu instid0(VALU_DEP_3) | instskip(NEXT) | instid1(VALU_DEP_2)
	v_add3_u32 v14, v24, v14, v25
	v_add3_u32 v15, v19, v15, v20
	s_cbranch_scc1 .LBB21_111
; %bb.112:
	s_and_b32 s7, s7, 3
	s_delay_alu instid0(SALU_CYCLE_1)
	s_cmp_eq_u32 s7, 0
	s_cbranch_scc0 .LBB21_115
	s_branch .LBB21_117
.LBB21_113:
	s_mov_b32 s6, -1
                                        ; implicit-def: $vgpr14
                                        ; implicit-def: $vgpr15
	s_branch .LBB21_117
.LBB21_114:
	v_mov_b32_e32 v17, v16
	v_mov_b32_e32 v15, 0
	s_and_b32 s7, s7, 3
	s_delay_alu instid0(SALU_CYCLE_1)
	s_cmp_eq_u32 s7, 0
	s_cbranch_scc1 .LBB21_117
.LBB21_115:
	s_lshl_b32 s2, s8, 3
	s_mul_i32 s4, s8, 12
	s_add_u32 s2, s2, s0
	s_addc_u32 s3, 0, s1
	s_add_u32 s2, s2, 0xc4
	s_addc_u32 s3, s3, 0
	;; [unrolled: 2-line block ×3, first 2 shown]
	.p2align	6
.LBB21_116:                             ; =>This Inner Loop Header: Depth=1
	s_clause 0x1
	s_load_b64 s[8:9], s[4:5], 0x4
	s_load_b32 s12, s[4:5], 0xc
	s_load_b64 s[10:11], s[2:3], 0x0
	s_add_u32 s4, s4, 12
	s_addc_u32 s5, s5, 0
	s_add_u32 s2, s2, 8
	s_addc_u32 s3, s3, 0
	s_add_i32 s7, s7, -1
	s_delay_alu instid0(SALU_CYCLE_1) | instskip(SKIP_2) | instid1(VALU_DEP_1)
	s_cmp_lg_u32 s7, 0
	s_waitcnt lgkmcnt(0)
	v_mul_hi_u32 v18, s9, v17
	v_add_nc_u32_e32 v18, v17, v18
	s_delay_alu instid0(VALU_DEP_1) | instskip(NEXT) | instid1(VALU_DEP_1)
	v_lshrrev_b32_e32 v21, s12, v18
	v_mul_lo_u32 v18, v21, s8
	s_delay_alu instid0(VALU_DEP_1) | instskip(NEXT) | instid1(VALU_DEP_1)
	v_sub_nc_u32_e32 v17, v17, v18
	v_mad_u64_u32 v[18:19], null, v17, s10, v[14:15]
	v_mad_u64_u32 v[19:20], null, v17, s11, v[15:16]
	s_delay_alu instid0(VALU_DEP_2) | instskip(NEXT) | instid1(VALU_DEP_2)
	v_dual_mov_b32 v17, v21 :: v_dual_mov_b32 v14, v18
	v_mov_b32_e32 v15, v19
	s_cbranch_scc1 .LBB21_116
.LBB21_117:
	s_and_not1_b32 vcc_lo, exec_lo, s6
	s_cbranch_vccnz .LBB21_120
; %bb.118:
	s_clause 0x1
	s_load_b128 s[4:7], s[0:1], 0x4
	s_load_b64 s[2:3], s[0:1], 0xc4
	s_cmp_lt_u32 s22, 2
	s_waitcnt lgkmcnt(0)
	v_mul_hi_u32 v14, s5, v16
	s_delay_alu instid0(VALU_DEP_1) | instskip(NEXT) | instid1(VALU_DEP_1)
	v_add_nc_u32_e32 v14, v16, v14
	v_lshrrev_b32_e32 v17, s6, v14
	s_delay_alu instid0(VALU_DEP_1) | instskip(NEXT) | instid1(VALU_DEP_1)
	v_mul_lo_u32 v14, v17, s4
	v_sub_nc_u32_e32 v15, v16, v14
	s_delay_alu instid0(VALU_DEP_1)
	v_mul_lo_u32 v14, v15, s2
	v_mul_lo_u32 v15, v15, s3
	s_cbranch_scc1 .LBB21_120
; %bb.119:
	s_clause 0x1
	s_load_b128 s[4:7], s[0:1], 0x10
	s_load_b64 s[2:3], s[0:1], 0xcc
	s_waitcnt lgkmcnt(0)
	v_mul_hi_u32 v16, s5, v17
	s_delay_alu instid0(VALU_DEP_1) | instskip(NEXT) | instid1(VALU_DEP_1)
	v_add_nc_u32_e32 v16, v17, v16
	v_lshrrev_b32_e32 v16, s6, v16
	s_delay_alu instid0(VALU_DEP_1) | instskip(NEXT) | instid1(VALU_DEP_1)
	v_mul_lo_u32 v16, v16, s4
	v_sub_nc_u32_e32 v19, v17, v16
	s_delay_alu instid0(VALU_DEP_1) | instskip(NEXT) | instid1(VALU_DEP_1)
	v_mad_u64_u32 v[16:17], null, v19, s2, v[14:15]
	v_mad_u64_u32 v[17:18], null, v19, s3, v[15:16]
	s_delay_alu instid0(VALU_DEP_1)
	v_dual_mov_b32 v14, v16 :: v_dual_mov_b32 v15, v17
.LBB21_120:
	s_load_b128 s[0:3], s[0:1], 0x148
	s_waitcnt lgkmcnt(0)
	s_clause 0x7
	global_load_u8 v1, v1, s[2:3]
	global_load_u8 v3, v3, s[2:3]
	;; [unrolled: 1-line block ×8, first 2 shown]
	s_waitcnt vmcnt(7)
	v_xor_b32_e32 v1, -1, v1
	s_waitcnt vmcnt(6)
	v_xor_b32_e32 v3, -1, v3
	;; [unrolled: 2-line block ×8, first 2 shown]
	s_clause 0x7
	global_store_b8 v0, v1, s[0:1]
	global_store_b8 v2, v3, s[0:1]
	;; [unrolled: 1-line block ×8, first 2 shown]
	s_nop 0
	s_sendmsg sendmsg(MSG_DEALLOC_VGPRS)
	s_endpgm
.LBB21_121:
	v_dual_mov_b32 v2, v12 :: v_dual_mov_b32 v1, 0
.LBB21_122:
	s_and_b32 s34, s34, 3
	s_delay_alu instid0(SALU_CYCLE_1)
	s_cmp_eq_u32 s34, 0
	s_cbranch_scc1 .LBB21_125
; %bb.123:
	s_lshl_b32 s18, s33, 3
	s_mul_i32 s20, s33, 12
	s_add_u32 s18, s18, s0
	s_addc_u32 s19, s1, 0
	s_add_u32 s18, s18, 0xc4
	s_addc_u32 s19, s19, 0
	;; [unrolled: 2-line block ×3, first 2 shown]
	.p2align	6
.LBB21_124:                             ; =>This Inner Loop Header: Depth=1
	s_clause 0x1
	s_load_b64 s[36:37], s[20:21], 0x4
	s_load_b32 s33, s[20:21], 0xc
	s_load_b64 s[38:39], s[18:19], 0x0
	s_add_u32 s20, s20, 12
	s_addc_u32 s21, s21, 0
	s_add_u32 s18, s18, 8
	s_addc_u32 s19, s19, 0
	s_add_i32 s34, s34, -1
	s_delay_alu instid0(SALU_CYCLE_1) | instskip(SKIP_2) | instid1(VALU_DEP_1)
	s_cmp_lg_u32 s34, 0
	s_waitcnt lgkmcnt(0)
	v_mul_hi_u32 v3, s37, v2
	v_add_nc_u32_e32 v3, v2, v3
	s_delay_alu instid0(VALU_DEP_1) | instskip(NEXT) | instid1(VALU_DEP_1)
	v_lshrrev_b32_e32 v6, s33, v3
	v_mul_lo_u32 v3, v6, s36
	s_delay_alu instid0(VALU_DEP_1) | instskip(NEXT) | instid1(VALU_DEP_1)
	v_sub_nc_u32_e32 v2, v2, v3
	v_mad_u64_u32 v[3:4], null, v2, s38, v[0:1]
	v_mad_u64_u32 v[4:5], null, v2, s39, v[1:2]
	v_mov_b32_e32 v2, v6
	s_delay_alu instid0(VALU_DEP_2)
	v_dual_mov_b32 v0, v3 :: v_dual_mov_b32 v1, v4
	s_cbranch_scc1 .LBB21_124
.LBB21_125:
	s_and_not1_b32 vcc_lo, exec_lo, s31
	s_cbranch_vccnz .LBB21_128
; %bb.126:
	s_waitcnt lgkmcnt(0)
	v_mul_hi_u32 v0, s13, v12
	s_and_not1_b32 vcc_lo, exec_lo, s26
	s_delay_alu instid0(VALU_DEP_1) | instskip(NEXT) | instid1(VALU_DEP_1)
	v_add_nc_u32_e32 v0, v12, v0
	v_lshrrev_b32_e32 v2, s14, v0
	s_delay_alu instid0(VALU_DEP_1) | instskip(NEXT) | instid1(VALU_DEP_1)
	v_mul_lo_u32 v0, v2, s12
	v_sub_nc_u32_e32 v1, v12, v0
	s_delay_alu instid0(VALU_DEP_1)
	v_mul_lo_u32 v0, v1, s8
	v_mul_lo_u32 v1, v1, s9
	s_cbranch_vccnz .LBB21_128
; %bb.127:
	v_mul_hi_u32 v3, s2, v2
	s_delay_alu instid0(VALU_DEP_1) | instskip(NEXT) | instid1(VALU_DEP_1)
	v_add_nc_u32_e32 v3, v2, v3
	v_lshrrev_b32_e32 v3, s3, v3
	s_delay_alu instid0(VALU_DEP_1) | instskip(NEXT) | instid1(VALU_DEP_1)
	v_mul_lo_u32 v3, v3, s15
	v_sub_nc_u32_e32 v5, v2, v3
	s_delay_alu instid0(VALU_DEP_1) | instskip(NEXT) | instid1(VALU_DEP_1)
	v_mad_u64_u32 v[2:3], null, v5, s10, v[0:1]
	v_mad_u64_u32 v[3:4], null, v5, s11, v[1:2]
	s_delay_alu instid0(VALU_DEP_1)
	v_dual_mov_b32 v0, v2 :: v_dual_mov_b32 v1, v3
.LBB21_128:
	s_waitcnt lgkmcnt(0)
	global_load_u8 v1, v1, s[6:7]
	v_add_nc_u32_e32 v12, 0x80, v12
	s_waitcnt vmcnt(0)
	v_xor_b32_e32 v1, -1, v1
	global_store_b8 v0, v1, s[4:5]
	s_or_b32 exec_lo, exec_lo, s30
	s_delay_alu instid0(SALU_CYCLE_1)
	s_mov_b32 s30, exec_lo
	v_cmpx_gt_i32_e64 s27, v12
	s_cbranch_execnz .LBB21_15
.LBB21_129:
	s_or_b32 exec_lo, exec_lo, s30
	s_delay_alu instid0(SALU_CYCLE_1)
	s_mov_b32 s30, exec_lo
	v_cmpx_gt_i32_e64 s27, v12
	s_cbranch_execz .LBB21_144
.LBB21_130:
	s_and_not1_b32 vcc_lo, exec_lo, s24
	s_cbranch_vccnz .LBB21_135
; %bb.131:
	v_dual_mov_b32 v0, 0 :: v_dual_mov_b32 v1, 0
	s_and_not1_b32 vcc_lo, exec_lo, s29
	s_mov_b32 s31, 0
	s_cbranch_vccnz .LBB21_155
; %bb.132:
	v_mov_b32_e32 v0, 0
	s_add_i32 s34, s28, 1
	s_cmp_eq_u32 s23, 2
	s_mov_b32 s33, 0
	s_cbranch_scc1 .LBB21_151
; %bb.133:
	v_dual_mov_b32 v1, 0 :: v_dual_mov_b32 v0, 0
	v_mov_b32_e32 v2, v12
	s_and_b32 s33, s34, 28
	s_mov_b32 s35, 0
	s_mov_b64 s[18:19], s[16:17]
	s_mov_b64 s[20:21], s[0:1]
.LBB21_134:                             ; =>This Inner Loop Header: Depth=1
	s_clause 0x1
	s_load_b256 s[36:43], s[20:21], 0x4
	s_load_b128 s[52:55], s[20:21], 0x24
	s_load_b256 s[44:51], s[18:19], 0x0
	s_add_u32 s20, s20, 48
	s_addc_u32 s21, s21, 0
	s_add_i32 s35, s35, 4
	s_add_u32 s18, s18, 32
	s_addc_u32 s19, s19, 0
	s_cmp_eq_u32 s33, s35
	s_waitcnt lgkmcnt(0)
	v_mul_hi_u32 v3, s37, v2
	s_delay_alu instid0(VALU_DEP_1) | instskip(NEXT) | instid1(VALU_DEP_1)
	v_add_nc_u32_e32 v3, v2, v3
	v_lshrrev_b32_e32 v3, s38, v3
	s_delay_alu instid0(VALU_DEP_1) | instskip(SKIP_1) | instid1(VALU_DEP_2)
	v_mul_hi_u32 v4, s40, v3
	v_mul_lo_u32 v6, v3, s36
	v_add_nc_u32_e32 v4, v3, v4
	s_delay_alu instid0(VALU_DEP_2) | instskip(NEXT) | instid1(VALU_DEP_2)
	v_sub_nc_u32_e32 v2, v2, v6
	v_lshrrev_b32_e32 v4, s41, v4
	s_delay_alu instid0(VALU_DEP_2) | instskip(SKIP_1) | instid1(VALU_DEP_3)
	v_mul_lo_u32 v6, v2, s44
	v_mul_lo_u32 v8, v2, s45
	v_mul_hi_u32 v5, s43, v4
	s_delay_alu instid0(VALU_DEP_1) | instskip(NEXT) | instid1(VALU_DEP_1)
	v_add_nc_u32_e32 v5, v4, v5
	v_lshrrev_b32_e32 v5, s52, v5
	s_delay_alu instid0(VALU_DEP_1) | instskip(SKIP_1) | instid1(VALU_DEP_2)
	v_mul_hi_u32 v7, s54, v5
	v_mul_lo_u32 v9, v5, s42
	v_add_nc_u32_e32 v2, v5, v7
	v_mul_lo_u32 v7, v4, s39
	s_delay_alu instid0(VALU_DEP_3) | instskip(NEXT) | instid1(VALU_DEP_3)
	v_sub_nc_u32_e32 v4, v4, v9
	v_lshrrev_b32_e32 v2, s55, v2
	s_delay_alu instid0(VALU_DEP_2) | instskip(SKIP_2) | instid1(VALU_DEP_4)
	v_mul_lo_u32 v9, v4, s48
	v_mul_lo_u32 v4, v4, s49
	v_sub_nc_u32_e32 v3, v3, v7
	v_mul_lo_u32 v10, v2, s53
	s_delay_alu instid0(VALU_DEP_2) | instskip(SKIP_1) | instid1(VALU_DEP_3)
	v_mul_lo_u32 v7, v3, s46
	v_mul_lo_u32 v3, v3, s47
	v_sub_nc_u32_e32 v5, v5, v10
	s_delay_alu instid0(VALU_DEP_3) | instskip(NEXT) | instid1(VALU_DEP_2)
	v_add3_u32 v0, v6, v0, v7
	v_mul_lo_u32 v10, v5, s50
	v_mul_lo_u32 v5, v5, s51
	v_add3_u32 v1, v8, v1, v3
	s_delay_alu instid0(VALU_DEP_3) | instskip(NEXT) | instid1(VALU_DEP_2)
	v_add3_u32 v0, v9, v0, v10
	v_add3_u32 v1, v4, v1, v5
	s_cbranch_scc0 .LBB21_134
	s_branch .LBB21_152
.LBB21_135:
	s_mov_b32 s31, -1
                                        ; implicit-def: $vgpr0
                                        ; implicit-def: $vgpr1
	s_branch .LBB21_155
.LBB21_136:
	v_dual_mov_b32 v2, v12 :: v_dual_mov_b32 v1, 0
.LBB21_137:
	s_and_b32 s34, s34, 3
	s_delay_alu instid0(SALU_CYCLE_1)
	s_cmp_eq_u32 s34, 0
	s_cbranch_scc1 .LBB21_140
; %bb.138:
	s_lshl_b32 s18, s33, 3
	s_mul_i32 s20, s33, 12
	s_add_u32 s18, s18, s0
	s_addc_u32 s19, s1, 0
	s_add_u32 s18, s18, 0xc4
	s_addc_u32 s19, s19, 0
	;; [unrolled: 2-line block ×3, first 2 shown]
	.p2align	6
.LBB21_139:                             ; =>This Inner Loop Header: Depth=1
	s_clause 0x1
	s_load_b64 s[36:37], s[20:21], 0x4
	s_load_b32 s33, s[20:21], 0xc
	s_load_b64 s[38:39], s[18:19], 0x0
	s_add_u32 s20, s20, 12
	s_addc_u32 s21, s21, 0
	s_add_u32 s18, s18, 8
	s_addc_u32 s19, s19, 0
	s_add_i32 s34, s34, -1
	s_delay_alu instid0(SALU_CYCLE_1) | instskip(SKIP_2) | instid1(VALU_DEP_1)
	s_cmp_lg_u32 s34, 0
	s_waitcnt lgkmcnt(0)
	v_mul_hi_u32 v3, s37, v2
	v_add_nc_u32_e32 v3, v2, v3
	s_delay_alu instid0(VALU_DEP_1) | instskip(NEXT) | instid1(VALU_DEP_1)
	v_lshrrev_b32_e32 v6, s33, v3
	v_mul_lo_u32 v3, v6, s36
	s_delay_alu instid0(VALU_DEP_1) | instskip(NEXT) | instid1(VALU_DEP_1)
	v_sub_nc_u32_e32 v2, v2, v3
	v_mad_u64_u32 v[3:4], null, v2, s38, v[0:1]
	v_mad_u64_u32 v[4:5], null, v2, s39, v[1:2]
	v_mov_b32_e32 v2, v6
	s_delay_alu instid0(VALU_DEP_2)
	v_dual_mov_b32 v0, v3 :: v_dual_mov_b32 v1, v4
	s_cbranch_scc1 .LBB21_139
.LBB21_140:
	s_and_not1_b32 vcc_lo, exec_lo, s31
	s_cbranch_vccnz .LBB21_143
; %bb.141:
	s_waitcnt lgkmcnt(0)
	v_mul_hi_u32 v0, s13, v12
	s_and_not1_b32 vcc_lo, exec_lo, s26
	s_delay_alu instid0(VALU_DEP_1) | instskip(NEXT) | instid1(VALU_DEP_1)
	v_add_nc_u32_e32 v0, v12, v0
	v_lshrrev_b32_e32 v2, s14, v0
	s_delay_alu instid0(VALU_DEP_1) | instskip(NEXT) | instid1(VALU_DEP_1)
	v_mul_lo_u32 v0, v2, s12
	v_sub_nc_u32_e32 v1, v12, v0
	s_delay_alu instid0(VALU_DEP_1)
	v_mul_lo_u32 v0, v1, s8
	v_mul_lo_u32 v1, v1, s9
	s_cbranch_vccnz .LBB21_143
; %bb.142:
	v_mul_hi_u32 v3, s2, v2
	s_delay_alu instid0(VALU_DEP_1) | instskip(NEXT) | instid1(VALU_DEP_1)
	v_add_nc_u32_e32 v3, v2, v3
	v_lshrrev_b32_e32 v3, s3, v3
	s_delay_alu instid0(VALU_DEP_1) | instskip(NEXT) | instid1(VALU_DEP_1)
	v_mul_lo_u32 v3, v3, s15
	v_sub_nc_u32_e32 v5, v2, v3
	s_delay_alu instid0(VALU_DEP_1) | instskip(NEXT) | instid1(VALU_DEP_1)
	v_mad_u64_u32 v[2:3], null, v5, s10, v[0:1]
	v_mad_u64_u32 v[3:4], null, v5, s11, v[1:2]
	s_delay_alu instid0(VALU_DEP_1)
	v_dual_mov_b32 v0, v2 :: v_dual_mov_b32 v1, v3
.LBB21_143:
	s_waitcnt lgkmcnt(0)
	global_load_u8 v1, v1, s[6:7]
	v_add_nc_u32_e32 v12, 0x80, v12
	s_waitcnt vmcnt(0)
	v_xor_b32_e32 v1, -1, v1
	global_store_b8 v0, v1, s[4:5]
	s_or_b32 exec_lo, exec_lo, s30
	s_delay_alu instid0(SALU_CYCLE_1)
	s_mov_b32 s30, exec_lo
	v_cmpx_gt_i32_e64 s27, v12
	s_cbranch_execnz .LBB21_130
.LBB21_144:
	s_or_b32 exec_lo, exec_lo, s30
	s_delay_alu instid0(SALU_CYCLE_1)
	s_mov_b32 s30, exec_lo
	v_cmpx_gt_i32_e64 s27, v12
	s_cbranch_execz .LBB21_159
.LBB21_145:
	s_and_not1_b32 vcc_lo, exec_lo, s24
	s_cbranch_vccnz .LBB21_150
; %bb.146:
	v_dual_mov_b32 v0, 0 :: v_dual_mov_b32 v1, 0
	s_and_not1_b32 vcc_lo, exec_lo, s29
	s_mov_b32 s31, 0
	s_cbranch_vccnz .LBB21_170
; %bb.147:
	v_mov_b32_e32 v0, 0
	s_add_i32 s34, s28, 1
	s_cmp_eq_u32 s23, 2
	s_mov_b32 s33, 0
	s_cbranch_scc1 .LBB21_166
; %bb.148:
	v_dual_mov_b32 v1, 0 :: v_dual_mov_b32 v0, 0
	v_mov_b32_e32 v2, v12
	s_and_b32 s33, s34, 28
	s_mov_b32 s35, 0
	s_mov_b64 s[18:19], s[16:17]
	s_mov_b64 s[20:21], s[0:1]
.LBB21_149:                             ; =>This Inner Loop Header: Depth=1
	s_clause 0x1
	s_load_b256 s[36:43], s[20:21], 0x4
	s_load_b128 s[52:55], s[20:21], 0x24
	s_load_b256 s[44:51], s[18:19], 0x0
	s_add_u32 s20, s20, 48
	s_addc_u32 s21, s21, 0
	s_add_i32 s35, s35, 4
	s_add_u32 s18, s18, 32
	s_addc_u32 s19, s19, 0
	s_cmp_eq_u32 s33, s35
	s_waitcnt lgkmcnt(0)
	v_mul_hi_u32 v3, s37, v2
	s_delay_alu instid0(VALU_DEP_1) | instskip(NEXT) | instid1(VALU_DEP_1)
	v_add_nc_u32_e32 v3, v2, v3
	v_lshrrev_b32_e32 v3, s38, v3
	s_delay_alu instid0(VALU_DEP_1) | instskip(SKIP_1) | instid1(VALU_DEP_2)
	v_mul_hi_u32 v4, s40, v3
	v_mul_lo_u32 v6, v3, s36
	v_add_nc_u32_e32 v4, v3, v4
	s_delay_alu instid0(VALU_DEP_2) | instskip(NEXT) | instid1(VALU_DEP_2)
	v_sub_nc_u32_e32 v2, v2, v6
	v_lshrrev_b32_e32 v4, s41, v4
	s_delay_alu instid0(VALU_DEP_2) | instskip(SKIP_1) | instid1(VALU_DEP_3)
	v_mul_lo_u32 v6, v2, s44
	v_mul_lo_u32 v8, v2, s45
	v_mul_hi_u32 v5, s43, v4
	s_delay_alu instid0(VALU_DEP_1) | instskip(NEXT) | instid1(VALU_DEP_1)
	v_add_nc_u32_e32 v5, v4, v5
	v_lshrrev_b32_e32 v5, s52, v5
	s_delay_alu instid0(VALU_DEP_1) | instskip(SKIP_1) | instid1(VALU_DEP_2)
	v_mul_hi_u32 v7, s54, v5
	v_mul_lo_u32 v9, v5, s42
	v_add_nc_u32_e32 v2, v5, v7
	v_mul_lo_u32 v7, v4, s39
	s_delay_alu instid0(VALU_DEP_3) | instskip(NEXT) | instid1(VALU_DEP_3)
	v_sub_nc_u32_e32 v4, v4, v9
	v_lshrrev_b32_e32 v2, s55, v2
	s_delay_alu instid0(VALU_DEP_2) | instskip(SKIP_2) | instid1(VALU_DEP_4)
	v_mul_lo_u32 v9, v4, s48
	v_mul_lo_u32 v4, v4, s49
	v_sub_nc_u32_e32 v3, v3, v7
	v_mul_lo_u32 v10, v2, s53
	s_delay_alu instid0(VALU_DEP_2) | instskip(SKIP_1) | instid1(VALU_DEP_3)
	v_mul_lo_u32 v7, v3, s46
	v_mul_lo_u32 v3, v3, s47
	v_sub_nc_u32_e32 v5, v5, v10
	s_delay_alu instid0(VALU_DEP_3) | instskip(NEXT) | instid1(VALU_DEP_2)
	v_add3_u32 v0, v6, v0, v7
	v_mul_lo_u32 v10, v5, s50
	v_mul_lo_u32 v5, v5, s51
	v_add3_u32 v1, v8, v1, v3
	s_delay_alu instid0(VALU_DEP_3) | instskip(NEXT) | instid1(VALU_DEP_2)
	v_add3_u32 v0, v9, v0, v10
	v_add3_u32 v1, v4, v1, v5
	s_cbranch_scc0 .LBB21_149
	s_branch .LBB21_167
.LBB21_150:
	s_mov_b32 s31, -1
                                        ; implicit-def: $vgpr0
                                        ; implicit-def: $vgpr1
	s_branch .LBB21_170
.LBB21_151:
	v_dual_mov_b32 v2, v12 :: v_dual_mov_b32 v1, 0
.LBB21_152:
	s_and_b32 s34, s34, 3
	s_delay_alu instid0(SALU_CYCLE_1)
	s_cmp_eq_u32 s34, 0
	s_cbranch_scc1 .LBB21_155
; %bb.153:
	s_lshl_b32 s18, s33, 3
	s_mul_i32 s20, s33, 12
	s_add_u32 s18, s18, s0
	s_addc_u32 s19, s1, 0
	s_add_u32 s18, s18, 0xc4
	s_addc_u32 s19, s19, 0
	;; [unrolled: 2-line block ×3, first 2 shown]
	.p2align	6
.LBB21_154:                             ; =>This Inner Loop Header: Depth=1
	s_clause 0x1
	s_load_b64 s[36:37], s[20:21], 0x4
	s_load_b32 s33, s[20:21], 0xc
	s_load_b64 s[38:39], s[18:19], 0x0
	s_add_u32 s20, s20, 12
	s_addc_u32 s21, s21, 0
	s_add_u32 s18, s18, 8
	s_addc_u32 s19, s19, 0
	s_add_i32 s34, s34, -1
	s_delay_alu instid0(SALU_CYCLE_1) | instskip(SKIP_2) | instid1(VALU_DEP_1)
	s_cmp_lg_u32 s34, 0
	s_waitcnt lgkmcnt(0)
	v_mul_hi_u32 v3, s37, v2
	v_add_nc_u32_e32 v3, v2, v3
	s_delay_alu instid0(VALU_DEP_1) | instskip(NEXT) | instid1(VALU_DEP_1)
	v_lshrrev_b32_e32 v6, s33, v3
	v_mul_lo_u32 v3, v6, s36
	s_delay_alu instid0(VALU_DEP_1) | instskip(NEXT) | instid1(VALU_DEP_1)
	v_sub_nc_u32_e32 v2, v2, v3
	v_mad_u64_u32 v[3:4], null, v2, s38, v[0:1]
	v_mad_u64_u32 v[4:5], null, v2, s39, v[1:2]
	v_mov_b32_e32 v2, v6
	s_delay_alu instid0(VALU_DEP_2)
	v_dual_mov_b32 v0, v3 :: v_dual_mov_b32 v1, v4
	s_cbranch_scc1 .LBB21_154
.LBB21_155:
	s_and_not1_b32 vcc_lo, exec_lo, s31
	s_cbranch_vccnz .LBB21_158
; %bb.156:
	s_waitcnt lgkmcnt(0)
	v_mul_hi_u32 v0, s13, v12
	s_and_not1_b32 vcc_lo, exec_lo, s26
	s_delay_alu instid0(VALU_DEP_1) | instskip(NEXT) | instid1(VALU_DEP_1)
	v_add_nc_u32_e32 v0, v12, v0
	v_lshrrev_b32_e32 v2, s14, v0
	s_delay_alu instid0(VALU_DEP_1) | instskip(NEXT) | instid1(VALU_DEP_1)
	v_mul_lo_u32 v0, v2, s12
	v_sub_nc_u32_e32 v1, v12, v0
	s_delay_alu instid0(VALU_DEP_1)
	v_mul_lo_u32 v0, v1, s8
	v_mul_lo_u32 v1, v1, s9
	s_cbranch_vccnz .LBB21_158
; %bb.157:
	v_mul_hi_u32 v3, s2, v2
	s_delay_alu instid0(VALU_DEP_1) | instskip(NEXT) | instid1(VALU_DEP_1)
	v_add_nc_u32_e32 v3, v2, v3
	v_lshrrev_b32_e32 v3, s3, v3
	s_delay_alu instid0(VALU_DEP_1) | instskip(NEXT) | instid1(VALU_DEP_1)
	v_mul_lo_u32 v3, v3, s15
	v_sub_nc_u32_e32 v5, v2, v3
	s_delay_alu instid0(VALU_DEP_1) | instskip(NEXT) | instid1(VALU_DEP_1)
	v_mad_u64_u32 v[2:3], null, v5, s10, v[0:1]
	v_mad_u64_u32 v[3:4], null, v5, s11, v[1:2]
	s_delay_alu instid0(VALU_DEP_1)
	v_dual_mov_b32 v0, v2 :: v_dual_mov_b32 v1, v3
.LBB21_158:
	s_waitcnt lgkmcnt(0)
	global_load_u8 v1, v1, s[6:7]
	v_add_nc_u32_e32 v12, 0x80, v12
	s_waitcnt vmcnt(0)
	v_xor_b32_e32 v1, -1, v1
	global_store_b8 v0, v1, s[4:5]
	s_or_b32 exec_lo, exec_lo, s30
	s_delay_alu instid0(SALU_CYCLE_1)
	s_mov_b32 s30, exec_lo
	v_cmpx_gt_i32_e64 s27, v12
	s_cbranch_execnz .LBB21_145
.LBB21_159:
	s_or_b32 exec_lo, exec_lo, s30
	s_delay_alu instid0(SALU_CYCLE_1)
	s_mov_b32 s30, exec_lo
	v_cmpx_gt_i32_e64 s27, v12
	s_cbranch_execz .LBB21_174
.LBB21_160:
	s_and_not1_b32 vcc_lo, exec_lo, s24
	s_cbranch_vccnz .LBB21_165
; %bb.161:
	v_dual_mov_b32 v0, 0 :: v_dual_mov_b32 v1, 0
	s_and_not1_b32 vcc_lo, exec_lo, s29
	s_mov_b32 s31, 0
	s_cbranch_vccnz .LBB21_185
; %bb.162:
	v_mov_b32_e32 v0, 0
	s_add_i32 s34, s28, 1
	s_cmp_eq_u32 s23, 2
	s_mov_b32 s33, 0
	s_cbranch_scc1 .LBB21_181
; %bb.163:
	v_dual_mov_b32 v1, 0 :: v_dual_mov_b32 v0, 0
	v_mov_b32_e32 v2, v12
	s_and_b32 s33, s34, 28
	s_mov_b32 s35, 0
	s_mov_b64 s[18:19], s[16:17]
	s_mov_b64 s[20:21], s[0:1]
.LBB21_164:                             ; =>This Inner Loop Header: Depth=1
	s_clause 0x1
	s_load_b256 s[36:43], s[20:21], 0x4
	s_load_b128 s[52:55], s[20:21], 0x24
	s_load_b256 s[44:51], s[18:19], 0x0
	s_add_u32 s20, s20, 48
	s_addc_u32 s21, s21, 0
	s_add_i32 s35, s35, 4
	s_add_u32 s18, s18, 32
	s_addc_u32 s19, s19, 0
	s_cmp_eq_u32 s33, s35
	s_waitcnt lgkmcnt(0)
	v_mul_hi_u32 v3, s37, v2
	s_delay_alu instid0(VALU_DEP_1) | instskip(NEXT) | instid1(VALU_DEP_1)
	v_add_nc_u32_e32 v3, v2, v3
	v_lshrrev_b32_e32 v3, s38, v3
	s_delay_alu instid0(VALU_DEP_1) | instskip(SKIP_1) | instid1(VALU_DEP_2)
	v_mul_hi_u32 v4, s40, v3
	v_mul_lo_u32 v6, v3, s36
	v_add_nc_u32_e32 v4, v3, v4
	s_delay_alu instid0(VALU_DEP_2) | instskip(NEXT) | instid1(VALU_DEP_2)
	v_sub_nc_u32_e32 v2, v2, v6
	v_lshrrev_b32_e32 v4, s41, v4
	s_delay_alu instid0(VALU_DEP_2) | instskip(SKIP_1) | instid1(VALU_DEP_3)
	v_mul_lo_u32 v6, v2, s44
	v_mul_lo_u32 v8, v2, s45
	v_mul_hi_u32 v5, s43, v4
	s_delay_alu instid0(VALU_DEP_1) | instskip(NEXT) | instid1(VALU_DEP_1)
	v_add_nc_u32_e32 v5, v4, v5
	v_lshrrev_b32_e32 v5, s52, v5
	s_delay_alu instid0(VALU_DEP_1) | instskip(SKIP_1) | instid1(VALU_DEP_2)
	v_mul_hi_u32 v7, s54, v5
	v_mul_lo_u32 v9, v5, s42
	v_add_nc_u32_e32 v2, v5, v7
	v_mul_lo_u32 v7, v4, s39
	s_delay_alu instid0(VALU_DEP_3) | instskip(NEXT) | instid1(VALU_DEP_3)
	v_sub_nc_u32_e32 v4, v4, v9
	v_lshrrev_b32_e32 v2, s55, v2
	s_delay_alu instid0(VALU_DEP_2) | instskip(SKIP_2) | instid1(VALU_DEP_4)
	v_mul_lo_u32 v9, v4, s48
	v_mul_lo_u32 v4, v4, s49
	v_sub_nc_u32_e32 v3, v3, v7
	v_mul_lo_u32 v10, v2, s53
	s_delay_alu instid0(VALU_DEP_2) | instskip(SKIP_1) | instid1(VALU_DEP_3)
	v_mul_lo_u32 v7, v3, s46
	v_mul_lo_u32 v3, v3, s47
	v_sub_nc_u32_e32 v5, v5, v10
	s_delay_alu instid0(VALU_DEP_3) | instskip(NEXT) | instid1(VALU_DEP_2)
	v_add3_u32 v0, v6, v0, v7
	v_mul_lo_u32 v10, v5, s50
	v_mul_lo_u32 v5, v5, s51
	v_add3_u32 v1, v8, v1, v3
	s_delay_alu instid0(VALU_DEP_3) | instskip(NEXT) | instid1(VALU_DEP_2)
	v_add3_u32 v0, v9, v0, v10
	v_add3_u32 v1, v4, v1, v5
	s_cbranch_scc0 .LBB21_164
	s_branch .LBB21_182
.LBB21_165:
	s_mov_b32 s31, -1
                                        ; implicit-def: $vgpr0
                                        ; implicit-def: $vgpr1
	s_branch .LBB21_185
.LBB21_166:
	v_dual_mov_b32 v2, v12 :: v_dual_mov_b32 v1, 0
.LBB21_167:
	s_and_b32 s34, s34, 3
	s_delay_alu instid0(SALU_CYCLE_1)
	s_cmp_eq_u32 s34, 0
	s_cbranch_scc1 .LBB21_170
; %bb.168:
	s_lshl_b32 s18, s33, 3
	s_mul_i32 s20, s33, 12
	s_add_u32 s18, s18, s0
	s_addc_u32 s19, s1, 0
	s_add_u32 s18, s18, 0xc4
	s_addc_u32 s19, s19, 0
	;; [unrolled: 2-line block ×3, first 2 shown]
	.p2align	6
.LBB21_169:                             ; =>This Inner Loop Header: Depth=1
	s_clause 0x1
	s_load_b64 s[36:37], s[20:21], 0x4
	s_load_b32 s33, s[20:21], 0xc
	s_load_b64 s[38:39], s[18:19], 0x0
	s_add_u32 s20, s20, 12
	s_addc_u32 s21, s21, 0
	s_add_u32 s18, s18, 8
	s_addc_u32 s19, s19, 0
	s_add_i32 s34, s34, -1
	s_delay_alu instid0(SALU_CYCLE_1) | instskip(SKIP_2) | instid1(VALU_DEP_1)
	s_cmp_lg_u32 s34, 0
	s_waitcnt lgkmcnt(0)
	v_mul_hi_u32 v3, s37, v2
	v_add_nc_u32_e32 v3, v2, v3
	s_delay_alu instid0(VALU_DEP_1) | instskip(NEXT) | instid1(VALU_DEP_1)
	v_lshrrev_b32_e32 v6, s33, v3
	v_mul_lo_u32 v3, v6, s36
	s_delay_alu instid0(VALU_DEP_1) | instskip(NEXT) | instid1(VALU_DEP_1)
	v_sub_nc_u32_e32 v2, v2, v3
	v_mad_u64_u32 v[3:4], null, v2, s38, v[0:1]
	v_mad_u64_u32 v[4:5], null, v2, s39, v[1:2]
	v_mov_b32_e32 v2, v6
	s_delay_alu instid0(VALU_DEP_2)
	v_dual_mov_b32 v0, v3 :: v_dual_mov_b32 v1, v4
	s_cbranch_scc1 .LBB21_169
.LBB21_170:
	s_and_not1_b32 vcc_lo, exec_lo, s31
	s_cbranch_vccnz .LBB21_173
; %bb.171:
	s_waitcnt lgkmcnt(0)
	v_mul_hi_u32 v0, s13, v12
	s_and_not1_b32 vcc_lo, exec_lo, s26
	s_delay_alu instid0(VALU_DEP_1) | instskip(NEXT) | instid1(VALU_DEP_1)
	v_add_nc_u32_e32 v0, v12, v0
	v_lshrrev_b32_e32 v2, s14, v0
	s_delay_alu instid0(VALU_DEP_1) | instskip(NEXT) | instid1(VALU_DEP_1)
	v_mul_lo_u32 v0, v2, s12
	v_sub_nc_u32_e32 v1, v12, v0
	s_delay_alu instid0(VALU_DEP_1)
	v_mul_lo_u32 v0, v1, s8
	v_mul_lo_u32 v1, v1, s9
	s_cbranch_vccnz .LBB21_173
; %bb.172:
	v_mul_hi_u32 v3, s2, v2
	s_delay_alu instid0(VALU_DEP_1) | instskip(NEXT) | instid1(VALU_DEP_1)
	v_add_nc_u32_e32 v3, v2, v3
	v_lshrrev_b32_e32 v3, s3, v3
	s_delay_alu instid0(VALU_DEP_1) | instskip(NEXT) | instid1(VALU_DEP_1)
	v_mul_lo_u32 v3, v3, s15
	v_sub_nc_u32_e32 v5, v2, v3
	s_delay_alu instid0(VALU_DEP_1) | instskip(NEXT) | instid1(VALU_DEP_1)
	v_mad_u64_u32 v[2:3], null, v5, s10, v[0:1]
	v_mad_u64_u32 v[3:4], null, v5, s11, v[1:2]
	s_delay_alu instid0(VALU_DEP_1)
	v_dual_mov_b32 v0, v2 :: v_dual_mov_b32 v1, v3
.LBB21_173:
	s_waitcnt lgkmcnt(0)
	global_load_u8 v1, v1, s[6:7]
	v_add_nc_u32_e32 v12, 0x80, v12
	s_waitcnt vmcnt(0)
	v_xor_b32_e32 v1, -1, v1
	global_store_b8 v0, v1, s[4:5]
	s_or_b32 exec_lo, exec_lo, s30
	s_delay_alu instid0(SALU_CYCLE_1)
	s_mov_b32 s30, exec_lo
	v_cmpx_gt_i32_e64 s27, v12
	s_cbranch_execnz .LBB21_160
.LBB21_174:
	s_or_b32 exec_lo, exec_lo, s30
	s_delay_alu instid0(SALU_CYCLE_1)
	s_mov_b32 s30, exec_lo
	v_cmpx_gt_i32_e64 s27, v12
	s_cbranch_execz .LBB21_189
.LBB21_175:
	s_and_not1_b32 vcc_lo, exec_lo, s24
	s_cbranch_vccnz .LBB21_180
; %bb.176:
	v_dual_mov_b32 v0, 0 :: v_dual_mov_b32 v1, 0
	s_and_not1_b32 vcc_lo, exec_lo, s29
	s_mov_b32 s31, 0
	s_cbranch_vccnz .LBB21_200
; %bb.177:
	v_mov_b32_e32 v0, 0
	s_add_i32 s34, s28, 1
	s_cmp_eq_u32 s23, 2
	s_mov_b32 s33, 0
	s_cbranch_scc1 .LBB21_196
; %bb.178:
	v_dual_mov_b32 v1, 0 :: v_dual_mov_b32 v0, 0
	v_mov_b32_e32 v2, v12
	s_and_b32 s33, s34, 28
	s_mov_b32 s35, 0
	s_mov_b64 s[18:19], s[16:17]
	s_mov_b64 s[20:21], s[0:1]
.LBB21_179:                             ; =>This Inner Loop Header: Depth=1
	s_clause 0x1
	s_load_b256 s[36:43], s[20:21], 0x4
	s_load_b128 s[52:55], s[20:21], 0x24
	s_load_b256 s[44:51], s[18:19], 0x0
	s_add_u32 s20, s20, 48
	s_addc_u32 s21, s21, 0
	s_add_i32 s35, s35, 4
	s_add_u32 s18, s18, 32
	s_addc_u32 s19, s19, 0
	s_cmp_eq_u32 s33, s35
	s_waitcnt lgkmcnt(0)
	v_mul_hi_u32 v3, s37, v2
	s_delay_alu instid0(VALU_DEP_1) | instskip(NEXT) | instid1(VALU_DEP_1)
	v_add_nc_u32_e32 v3, v2, v3
	v_lshrrev_b32_e32 v3, s38, v3
	s_delay_alu instid0(VALU_DEP_1) | instskip(SKIP_1) | instid1(VALU_DEP_2)
	v_mul_hi_u32 v4, s40, v3
	v_mul_lo_u32 v6, v3, s36
	v_add_nc_u32_e32 v4, v3, v4
	s_delay_alu instid0(VALU_DEP_2) | instskip(NEXT) | instid1(VALU_DEP_2)
	v_sub_nc_u32_e32 v2, v2, v6
	v_lshrrev_b32_e32 v4, s41, v4
	s_delay_alu instid0(VALU_DEP_2) | instskip(SKIP_1) | instid1(VALU_DEP_3)
	v_mul_lo_u32 v6, v2, s44
	v_mul_lo_u32 v8, v2, s45
	v_mul_hi_u32 v5, s43, v4
	s_delay_alu instid0(VALU_DEP_1) | instskip(NEXT) | instid1(VALU_DEP_1)
	v_add_nc_u32_e32 v5, v4, v5
	v_lshrrev_b32_e32 v5, s52, v5
	s_delay_alu instid0(VALU_DEP_1) | instskip(SKIP_1) | instid1(VALU_DEP_2)
	v_mul_hi_u32 v7, s54, v5
	v_mul_lo_u32 v9, v5, s42
	v_add_nc_u32_e32 v2, v5, v7
	v_mul_lo_u32 v7, v4, s39
	s_delay_alu instid0(VALU_DEP_3) | instskip(NEXT) | instid1(VALU_DEP_3)
	v_sub_nc_u32_e32 v4, v4, v9
	v_lshrrev_b32_e32 v2, s55, v2
	s_delay_alu instid0(VALU_DEP_2) | instskip(SKIP_2) | instid1(VALU_DEP_4)
	v_mul_lo_u32 v9, v4, s48
	v_mul_lo_u32 v4, v4, s49
	v_sub_nc_u32_e32 v3, v3, v7
	v_mul_lo_u32 v10, v2, s53
	s_delay_alu instid0(VALU_DEP_2) | instskip(SKIP_1) | instid1(VALU_DEP_3)
	v_mul_lo_u32 v7, v3, s46
	v_mul_lo_u32 v3, v3, s47
	v_sub_nc_u32_e32 v5, v5, v10
	s_delay_alu instid0(VALU_DEP_3) | instskip(NEXT) | instid1(VALU_DEP_2)
	v_add3_u32 v0, v6, v0, v7
	v_mul_lo_u32 v10, v5, s50
	v_mul_lo_u32 v5, v5, s51
	v_add3_u32 v1, v8, v1, v3
	s_delay_alu instid0(VALU_DEP_3) | instskip(NEXT) | instid1(VALU_DEP_2)
	v_add3_u32 v0, v9, v0, v10
	v_add3_u32 v1, v4, v1, v5
	s_cbranch_scc0 .LBB21_179
	s_branch .LBB21_197
.LBB21_180:
	s_mov_b32 s31, -1
                                        ; implicit-def: $vgpr0
                                        ; implicit-def: $vgpr1
	s_branch .LBB21_200
.LBB21_181:
	v_dual_mov_b32 v2, v12 :: v_dual_mov_b32 v1, 0
.LBB21_182:
	s_and_b32 s34, s34, 3
	s_delay_alu instid0(SALU_CYCLE_1)
	s_cmp_eq_u32 s34, 0
	s_cbranch_scc1 .LBB21_185
; %bb.183:
	s_lshl_b32 s18, s33, 3
	s_mul_i32 s20, s33, 12
	s_add_u32 s18, s18, s0
	s_addc_u32 s19, s1, 0
	s_add_u32 s18, s18, 0xc4
	s_addc_u32 s19, s19, 0
	;; [unrolled: 2-line block ×3, first 2 shown]
	.p2align	6
.LBB21_184:                             ; =>This Inner Loop Header: Depth=1
	s_clause 0x1
	s_load_b64 s[36:37], s[20:21], 0x4
	s_load_b32 s33, s[20:21], 0xc
	s_load_b64 s[38:39], s[18:19], 0x0
	s_add_u32 s20, s20, 12
	s_addc_u32 s21, s21, 0
	s_add_u32 s18, s18, 8
	s_addc_u32 s19, s19, 0
	s_add_i32 s34, s34, -1
	s_delay_alu instid0(SALU_CYCLE_1) | instskip(SKIP_2) | instid1(VALU_DEP_1)
	s_cmp_lg_u32 s34, 0
	s_waitcnt lgkmcnt(0)
	v_mul_hi_u32 v3, s37, v2
	v_add_nc_u32_e32 v3, v2, v3
	s_delay_alu instid0(VALU_DEP_1) | instskip(NEXT) | instid1(VALU_DEP_1)
	v_lshrrev_b32_e32 v6, s33, v3
	v_mul_lo_u32 v3, v6, s36
	s_delay_alu instid0(VALU_DEP_1) | instskip(NEXT) | instid1(VALU_DEP_1)
	v_sub_nc_u32_e32 v2, v2, v3
	v_mad_u64_u32 v[3:4], null, v2, s38, v[0:1]
	v_mad_u64_u32 v[4:5], null, v2, s39, v[1:2]
	v_mov_b32_e32 v2, v6
	s_delay_alu instid0(VALU_DEP_2)
	v_dual_mov_b32 v0, v3 :: v_dual_mov_b32 v1, v4
	s_cbranch_scc1 .LBB21_184
.LBB21_185:
	s_and_not1_b32 vcc_lo, exec_lo, s31
	s_cbranch_vccnz .LBB21_188
; %bb.186:
	s_waitcnt lgkmcnt(0)
	v_mul_hi_u32 v0, s13, v12
	s_and_not1_b32 vcc_lo, exec_lo, s26
	s_delay_alu instid0(VALU_DEP_1) | instskip(NEXT) | instid1(VALU_DEP_1)
	v_add_nc_u32_e32 v0, v12, v0
	v_lshrrev_b32_e32 v2, s14, v0
	s_delay_alu instid0(VALU_DEP_1) | instskip(NEXT) | instid1(VALU_DEP_1)
	v_mul_lo_u32 v0, v2, s12
	v_sub_nc_u32_e32 v1, v12, v0
	s_delay_alu instid0(VALU_DEP_1)
	v_mul_lo_u32 v0, v1, s8
	v_mul_lo_u32 v1, v1, s9
	s_cbranch_vccnz .LBB21_188
; %bb.187:
	v_mul_hi_u32 v3, s2, v2
	s_delay_alu instid0(VALU_DEP_1) | instskip(NEXT) | instid1(VALU_DEP_1)
	v_add_nc_u32_e32 v3, v2, v3
	v_lshrrev_b32_e32 v3, s3, v3
	s_delay_alu instid0(VALU_DEP_1) | instskip(NEXT) | instid1(VALU_DEP_1)
	v_mul_lo_u32 v3, v3, s15
	v_sub_nc_u32_e32 v5, v2, v3
	s_delay_alu instid0(VALU_DEP_1) | instskip(NEXT) | instid1(VALU_DEP_1)
	v_mad_u64_u32 v[2:3], null, v5, s10, v[0:1]
	v_mad_u64_u32 v[3:4], null, v5, s11, v[1:2]
	s_delay_alu instid0(VALU_DEP_1)
	v_dual_mov_b32 v0, v2 :: v_dual_mov_b32 v1, v3
.LBB21_188:
	s_waitcnt lgkmcnt(0)
	global_load_u8 v1, v1, s[6:7]
	v_add_nc_u32_e32 v12, 0x80, v12
	s_waitcnt vmcnt(0)
	v_xor_b32_e32 v1, -1, v1
	global_store_b8 v0, v1, s[4:5]
	s_or_b32 exec_lo, exec_lo, s30
	s_delay_alu instid0(SALU_CYCLE_1)
	s_mov_b32 s30, exec_lo
	v_cmpx_gt_i32_e64 s27, v12
	s_cbranch_execnz .LBB21_175
.LBB21_189:
	s_or_b32 exec_lo, exec_lo, s30
	s_delay_alu instid0(SALU_CYCLE_1)
	s_mov_b32 s30, exec_lo
	v_cmpx_gt_i32_e64 s27, v12
	s_cbranch_execz .LBB21_204
.LBB21_190:
	s_and_not1_b32 vcc_lo, exec_lo, s24
	s_cbranch_vccnz .LBB21_195
; %bb.191:
	v_dual_mov_b32 v0, 0 :: v_dual_mov_b32 v1, 0
	s_and_not1_b32 vcc_lo, exec_lo, s29
	s_mov_b32 s31, 0
	s_cbranch_vccnz .LBB21_211
; %bb.192:
	v_mov_b32_e32 v0, 0
	s_add_i32 s34, s28, 1
	s_cmp_eq_u32 s23, 2
	s_mov_b32 s33, 0
	s_cbranch_scc1 .LBB21_207
; %bb.193:
	v_dual_mov_b32 v1, 0 :: v_dual_mov_b32 v0, 0
	v_mov_b32_e32 v2, v12
	s_and_b32 s33, s34, 28
	s_mov_b32 s35, 0
	s_mov_b64 s[18:19], s[16:17]
	s_mov_b64 s[20:21], s[0:1]
.LBB21_194:                             ; =>This Inner Loop Header: Depth=1
	s_clause 0x1
	s_load_b256 s[36:43], s[20:21], 0x4
	s_load_b128 s[52:55], s[20:21], 0x24
	s_load_b256 s[44:51], s[18:19], 0x0
	s_add_u32 s20, s20, 48
	s_addc_u32 s21, s21, 0
	s_add_i32 s35, s35, 4
	s_add_u32 s18, s18, 32
	s_addc_u32 s19, s19, 0
	s_cmp_eq_u32 s33, s35
	s_waitcnt lgkmcnt(0)
	v_mul_hi_u32 v3, s37, v2
	s_delay_alu instid0(VALU_DEP_1) | instskip(NEXT) | instid1(VALU_DEP_1)
	v_add_nc_u32_e32 v3, v2, v3
	v_lshrrev_b32_e32 v3, s38, v3
	s_delay_alu instid0(VALU_DEP_1) | instskip(SKIP_1) | instid1(VALU_DEP_2)
	v_mul_hi_u32 v4, s40, v3
	v_mul_lo_u32 v6, v3, s36
	v_add_nc_u32_e32 v4, v3, v4
	s_delay_alu instid0(VALU_DEP_2) | instskip(NEXT) | instid1(VALU_DEP_2)
	v_sub_nc_u32_e32 v2, v2, v6
	v_lshrrev_b32_e32 v4, s41, v4
	s_delay_alu instid0(VALU_DEP_2) | instskip(SKIP_1) | instid1(VALU_DEP_3)
	v_mul_lo_u32 v6, v2, s44
	v_mul_lo_u32 v8, v2, s45
	v_mul_hi_u32 v5, s43, v4
	s_delay_alu instid0(VALU_DEP_1) | instskip(NEXT) | instid1(VALU_DEP_1)
	v_add_nc_u32_e32 v5, v4, v5
	v_lshrrev_b32_e32 v5, s52, v5
	s_delay_alu instid0(VALU_DEP_1) | instskip(SKIP_1) | instid1(VALU_DEP_2)
	v_mul_hi_u32 v7, s54, v5
	v_mul_lo_u32 v9, v5, s42
	v_add_nc_u32_e32 v2, v5, v7
	v_mul_lo_u32 v7, v4, s39
	s_delay_alu instid0(VALU_DEP_3) | instskip(NEXT) | instid1(VALU_DEP_3)
	v_sub_nc_u32_e32 v4, v4, v9
	v_lshrrev_b32_e32 v2, s55, v2
	s_delay_alu instid0(VALU_DEP_2) | instskip(SKIP_2) | instid1(VALU_DEP_4)
	v_mul_lo_u32 v9, v4, s48
	v_mul_lo_u32 v4, v4, s49
	v_sub_nc_u32_e32 v3, v3, v7
	v_mul_lo_u32 v10, v2, s53
	s_delay_alu instid0(VALU_DEP_2) | instskip(SKIP_1) | instid1(VALU_DEP_3)
	v_mul_lo_u32 v7, v3, s46
	v_mul_lo_u32 v3, v3, s47
	v_sub_nc_u32_e32 v5, v5, v10
	s_delay_alu instid0(VALU_DEP_3) | instskip(NEXT) | instid1(VALU_DEP_2)
	v_add3_u32 v0, v6, v0, v7
	v_mul_lo_u32 v10, v5, s50
	v_mul_lo_u32 v5, v5, s51
	v_add3_u32 v1, v8, v1, v3
	s_delay_alu instid0(VALU_DEP_3) | instskip(NEXT) | instid1(VALU_DEP_2)
	v_add3_u32 v0, v9, v0, v10
	v_add3_u32 v1, v4, v1, v5
	s_cbranch_scc0 .LBB21_194
	s_branch .LBB21_208
.LBB21_195:
	s_mov_b32 s31, -1
                                        ; implicit-def: $vgpr0
                                        ; implicit-def: $vgpr1
	s_branch .LBB21_211
.LBB21_196:
	v_dual_mov_b32 v2, v12 :: v_dual_mov_b32 v1, 0
.LBB21_197:
	s_and_b32 s34, s34, 3
	s_delay_alu instid0(SALU_CYCLE_1)
	s_cmp_eq_u32 s34, 0
	s_cbranch_scc1 .LBB21_200
; %bb.198:
	s_lshl_b32 s18, s33, 3
	s_mul_i32 s20, s33, 12
	s_add_u32 s18, s18, s0
	s_addc_u32 s19, s1, 0
	s_add_u32 s18, s18, 0xc4
	s_addc_u32 s19, s19, 0
	;; [unrolled: 2-line block ×3, first 2 shown]
	.p2align	6
.LBB21_199:                             ; =>This Inner Loop Header: Depth=1
	s_clause 0x1
	s_load_b64 s[36:37], s[20:21], 0x4
	s_load_b32 s33, s[20:21], 0xc
	s_load_b64 s[38:39], s[18:19], 0x0
	s_add_u32 s20, s20, 12
	s_addc_u32 s21, s21, 0
	s_add_u32 s18, s18, 8
	s_addc_u32 s19, s19, 0
	s_add_i32 s34, s34, -1
	s_delay_alu instid0(SALU_CYCLE_1) | instskip(SKIP_2) | instid1(VALU_DEP_1)
	s_cmp_lg_u32 s34, 0
	s_waitcnt lgkmcnt(0)
	v_mul_hi_u32 v3, s37, v2
	v_add_nc_u32_e32 v3, v2, v3
	s_delay_alu instid0(VALU_DEP_1) | instskip(NEXT) | instid1(VALU_DEP_1)
	v_lshrrev_b32_e32 v6, s33, v3
	v_mul_lo_u32 v3, v6, s36
	s_delay_alu instid0(VALU_DEP_1) | instskip(NEXT) | instid1(VALU_DEP_1)
	v_sub_nc_u32_e32 v2, v2, v3
	v_mad_u64_u32 v[3:4], null, v2, s38, v[0:1]
	v_mad_u64_u32 v[4:5], null, v2, s39, v[1:2]
	v_mov_b32_e32 v2, v6
	s_delay_alu instid0(VALU_DEP_2)
	v_dual_mov_b32 v0, v3 :: v_dual_mov_b32 v1, v4
	s_cbranch_scc1 .LBB21_199
.LBB21_200:
	s_and_not1_b32 vcc_lo, exec_lo, s31
	s_cbranch_vccnz .LBB21_203
; %bb.201:
	s_waitcnt lgkmcnt(0)
	v_mul_hi_u32 v0, s13, v12
	s_and_not1_b32 vcc_lo, exec_lo, s26
	s_delay_alu instid0(VALU_DEP_1) | instskip(NEXT) | instid1(VALU_DEP_1)
	v_add_nc_u32_e32 v0, v12, v0
	v_lshrrev_b32_e32 v2, s14, v0
	s_delay_alu instid0(VALU_DEP_1) | instskip(NEXT) | instid1(VALU_DEP_1)
	v_mul_lo_u32 v0, v2, s12
	v_sub_nc_u32_e32 v1, v12, v0
	s_delay_alu instid0(VALU_DEP_1)
	v_mul_lo_u32 v0, v1, s8
	v_mul_lo_u32 v1, v1, s9
	s_cbranch_vccnz .LBB21_203
; %bb.202:
	v_mul_hi_u32 v3, s2, v2
	s_delay_alu instid0(VALU_DEP_1) | instskip(NEXT) | instid1(VALU_DEP_1)
	v_add_nc_u32_e32 v3, v2, v3
	v_lshrrev_b32_e32 v3, s3, v3
	s_delay_alu instid0(VALU_DEP_1) | instskip(NEXT) | instid1(VALU_DEP_1)
	v_mul_lo_u32 v3, v3, s15
	v_sub_nc_u32_e32 v5, v2, v3
	s_delay_alu instid0(VALU_DEP_1) | instskip(NEXT) | instid1(VALU_DEP_1)
	v_mad_u64_u32 v[2:3], null, v5, s10, v[0:1]
	v_mad_u64_u32 v[3:4], null, v5, s11, v[1:2]
	s_delay_alu instid0(VALU_DEP_1)
	v_dual_mov_b32 v0, v2 :: v_dual_mov_b32 v1, v3
.LBB21_203:
	s_waitcnt lgkmcnt(0)
	global_load_u8 v1, v1, s[6:7]
	v_add_nc_u32_e32 v12, 0x80, v12
	s_waitcnt vmcnt(0)
	v_xor_b32_e32 v1, -1, v1
	global_store_b8 v0, v1, s[4:5]
	s_or_b32 exec_lo, exec_lo, s30
	s_delay_alu instid0(SALU_CYCLE_1)
	s_mov_b32 s30, exec_lo
	v_cmpx_gt_i32_e64 s27, v12
	s_cbranch_execnz .LBB21_190
.LBB21_204:
	s_or_b32 exec_lo, exec_lo, s30
	s_delay_alu instid0(SALU_CYCLE_1)
	s_mov_b32 s20, exec_lo
	v_cmpx_gt_i32_e64 s27, v12
	s_cbranch_execnz .LBB21_215
.LBB21_205:
	s_or_b32 exec_lo, exec_lo, s20
                                        ; implicit-def: $vgpr16
                                        ; implicit-def: $vgpr12
	s_waitcnt lgkmcnt(0)
	s_and_not1_saveexec_b32 s2, s25
	s_cbranch_execnz .LBB21_8
.LBB21_206:
	s_nop 0
	s_sendmsg sendmsg(MSG_DEALLOC_VGPRS)
	s_endpgm
.LBB21_207:
	v_dual_mov_b32 v2, v12 :: v_dual_mov_b32 v1, 0
.LBB21_208:
	s_and_b32 s34, s34, 3
	s_delay_alu instid0(SALU_CYCLE_1)
	s_cmp_eq_u32 s34, 0
	s_cbranch_scc1 .LBB21_211
; %bb.209:
	s_lshl_b32 s18, s33, 3
	s_mul_i32 s20, s33, 12
	s_add_u32 s18, s18, s0
	s_addc_u32 s19, s1, 0
	s_add_u32 s18, s18, 0xc4
	s_addc_u32 s19, s19, 0
	s_add_u32 s20, s0, s20
	s_addc_u32 s21, s1, 0
	.p2align	6
.LBB21_210:                             ; =>This Inner Loop Header: Depth=1
	s_clause 0x1
	s_load_b64 s[36:37], s[20:21], 0x4
	s_load_b32 s33, s[20:21], 0xc
	s_load_b64 s[38:39], s[18:19], 0x0
	s_add_u32 s20, s20, 12
	s_addc_u32 s21, s21, 0
	s_add_u32 s18, s18, 8
	s_addc_u32 s19, s19, 0
	s_add_i32 s34, s34, -1
	s_delay_alu instid0(SALU_CYCLE_1) | instskip(SKIP_2) | instid1(VALU_DEP_1)
	s_cmp_lg_u32 s34, 0
	s_waitcnt lgkmcnt(0)
	v_mul_hi_u32 v3, s37, v2
	v_add_nc_u32_e32 v3, v2, v3
	s_delay_alu instid0(VALU_DEP_1) | instskip(NEXT) | instid1(VALU_DEP_1)
	v_lshrrev_b32_e32 v6, s33, v3
	v_mul_lo_u32 v3, v6, s36
	s_delay_alu instid0(VALU_DEP_1) | instskip(NEXT) | instid1(VALU_DEP_1)
	v_sub_nc_u32_e32 v2, v2, v3
	v_mad_u64_u32 v[3:4], null, v2, s38, v[0:1]
	v_mad_u64_u32 v[4:5], null, v2, s39, v[1:2]
	v_mov_b32_e32 v2, v6
	s_delay_alu instid0(VALU_DEP_2)
	v_dual_mov_b32 v0, v3 :: v_dual_mov_b32 v1, v4
	s_cbranch_scc1 .LBB21_210
.LBB21_211:
	s_and_not1_b32 vcc_lo, exec_lo, s31
	s_cbranch_vccnz .LBB21_214
; %bb.212:
	s_waitcnt lgkmcnt(0)
	v_mul_hi_u32 v0, s13, v12
	s_and_not1_b32 vcc_lo, exec_lo, s26
	s_delay_alu instid0(VALU_DEP_1) | instskip(NEXT) | instid1(VALU_DEP_1)
	v_add_nc_u32_e32 v0, v12, v0
	v_lshrrev_b32_e32 v2, s14, v0
	s_delay_alu instid0(VALU_DEP_1) | instskip(NEXT) | instid1(VALU_DEP_1)
	v_mul_lo_u32 v0, v2, s12
	v_sub_nc_u32_e32 v1, v12, v0
	s_delay_alu instid0(VALU_DEP_1)
	v_mul_lo_u32 v0, v1, s8
	v_mul_lo_u32 v1, v1, s9
	s_cbranch_vccnz .LBB21_214
; %bb.213:
	v_mul_hi_u32 v3, s2, v2
	s_delay_alu instid0(VALU_DEP_1) | instskip(NEXT) | instid1(VALU_DEP_1)
	v_add_nc_u32_e32 v3, v2, v3
	v_lshrrev_b32_e32 v3, s3, v3
	s_delay_alu instid0(VALU_DEP_1) | instskip(NEXT) | instid1(VALU_DEP_1)
	v_mul_lo_u32 v3, v3, s15
	v_sub_nc_u32_e32 v5, v2, v3
	s_delay_alu instid0(VALU_DEP_1) | instskip(NEXT) | instid1(VALU_DEP_1)
	v_mad_u64_u32 v[2:3], null, v5, s10, v[0:1]
	v_mad_u64_u32 v[3:4], null, v5, s11, v[1:2]
	s_delay_alu instid0(VALU_DEP_1)
	v_dual_mov_b32 v0, v2 :: v_dual_mov_b32 v1, v3
.LBB21_214:
	s_waitcnt lgkmcnt(0)
	global_load_u8 v1, v1, s[6:7]
	v_add_nc_u32_e32 v12, 0x80, v12
	s_waitcnt vmcnt(0)
	v_xor_b32_e32 v1, -1, v1
	global_store_b8 v0, v1, s[4:5]
	s_or_b32 exec_lo, exec_lo, s30
	s_delay_alu instid0(SALU_CYCLE_1)
	s_mov_b32 s20, exec_lo
	v_cmpx_gt_i32_e64 s27, v12
	s_cbranch_execz .LBB21_205
.LBB21_215:
	s_and_not1_b32 vcc_lo, exec_lo, s24
	s_cbranch_vccnz .LBB21_220
; %bb.216:
	v_dual_mov_b32 v0, 0 :: v_dual_mov_b32 v1, 0
	s_and_not1_b32 vcc_lo, exec_lo, s29
	s_mov_b32 s21, 0
	s_cbranch_vccnz .LBB21_225
; %bb.217:
	v_mov_b32_e32 v0, 0
	s_add_i32 s28, s28, 1
	s_cmp_eq_u32 s23, 2
	s_mov_b32 s27, 0
	s_cbranch_scc1 .LBB21_221
; %bb.218:
	v_dual_mov_b32 v1, 0 :: v_dual_mov_b32 v0, 0
	v_mov_b32_e32 v2, v12
	s_and_b32 s27, s28, 28
	s_mov_b32 s29, 0
	s_mov_b64 s[18:19], s[0:1]
.LBB21_219:                             ; =>This Inner Loop Header: Depth=1
	s_clause 0x1
	s_load_b256 s[36:43], s[18:19], 0x4
	s_load_b128 s[52:55], s[18:19], 0x24
	s_load_b256 s[44:51], s[16:17], 0x0
	s_add_u32 s18, s18, 48
	s_addc_u32 s19, s19, 0
	s_add_i32 s29, s29, 4
	s_add_u32 s16, s16, 32
	s_addc_u32 s17, s17, 0
	s_cmp_eq_u32 s27, s29
	s_waitcnt lgkmcnt(0)
	v_mul_hi_u32 v3, s37, v2
	s_delay_alu instid0(VALU_DEP_1) | instskip(NEXT) | instid1(VALU_DEP_1)
	v_add_nc_u32_e32 v3, v2, v3
	v_lshrrev_b32_e32 v3, s38, v3
	s_delay_alu instid0(VALU_DEP_1) | instskip(SKIP_1) | instid1(VALU_DEP_2)
	v_mul_hi_u32 v4, s40, v3
	v_mul_lo_u32 v6, v3, s36
	v_add_nc_u32_e32 v4, v3, v4
	s_delay_alu instid0(VALU_DEP_2) | instskip(NEXT) | instid1(VALU_DEP_2)
	v_sub_nc_u32_e32 v2, v2, v6
	v_lshrrev_b32_e32 v4, s41, v4
	s_delay_alu instid0(VALU_DEP_2) | instskip(SKIP_1) | instid1(VALU_DEP_3)
	v_mul_lo_u32 v6, v2, s44
	v_mul_lo_u32 v8, v2, s45
	v_mul_hi_u32 v5, s43, v4
	s_delay_alu instid0(VALU_DEP_1) | instskip(NEXT) | instid1(VALU_DEP_1)
	v_add_nc_u32_e32 v5, v4, v5
	v_lshrrev_b32_e32 v5, s52, v5
	s_delay_alu instid0(VALU_DEP_1) | instskip(SKIP_1) | instid1(VALU_DEP_2)
	v_mul_hi_u32 v7, s54, v5
	v_mul_lo_u32 v9, v5, s42
	v_add_nc_u32_e32 v2, v5, v7
	v_mul_lo_u32 v7, v4, s39
	s_delay_alu instid0(VALU_DEP_3) | instskip(NEXT) | instid1(VALU_DEP_3)
	v_sub_nc_u32_e32 v4, v4, v9
	v_lshrrev_b32_e32 v2, s55, v2
	s_delay_alu instid0(VALU_DEP_2) | instskip(SKIP_2) | instid1(VALU_DEP_4)
	v_mul_lo_u32 v9, v4, s48
	v_mul_lo_u32 v4, v4, s49
	v_sub_nc_u32_e32 v3, v3, v7
	v_mul_lo_u32 v10, v2, s53
	s_delay_alu instid0(VALU_DEP_2) | instskip(SKIP_1) | instid1(VALU_DEP_3)
	v_mul_lo_u32 v7, v3, s46
	v_mul_lo_u32 v3, v3, s47
	v_sub_nc_u32_e32 v5, v5, v10
	s_delay_alu instid0(VALU_DEP_3) | instskip(NEXT) | instid1(VALU_DEP_2)
	v_add3_u32 v0, v6, v0, v7
	v_mul_lo_u32 v10, v5, s50
	v_mul_lo_u32 v5, v5, s51
	v_add3_u32 v1, v8, v1, v3
	s_delay_alu instid0(VALU_DEP_3) | instskip(NEXT) | instid1(VALU_DEP_2)
	v_add3_u32 v0, v9, v0, v10
	v_add3_u32 v1, v4, v1, v5
	s_cbranch_scc0 .LBB21_219
	s_branch .LBB21_222
.LBB21_220:
	s_mov_b32 s21, -1
                                        ; implicit-def: $vgpr0
                                        ; implicit-def: $vgpr1
	s_branch .LBB21_225
.LBB21_221:
	v_dual_mov_b32 v2, v12 :: v_dual_mov_b32 v1, 0
.LBB21_222:
	s_and_b32 s28, s28, 3
	s_delay_alu instid0(SALU_CYCLE_1)
	s_cmp_eq_u32 s28, 0
	s_cbranch_scc1 .LBB21_225
; %bb.223:
	s_lshl_b32 s16, s27, 3
	s_mul_i32 s18, s27, 12
	s_add_u32 s16, s16, s0
	s_addc_u32 s17, s1, 0
	s_add_u32 s16, s16, 0xc4
	s_addc_u32 s17, s17, 0
	;; [unrolled: 2-line block ×3, first 2 shown]
	.p2align	6
.LBB21_224:                             ; =>This Inner Loop Header: Depth=1
	s_clause 0x1
	s_load_b64 s[30:31], s[18:19], 0x4
	s_load_b32 s27, s[18:19], 0xc
	s_load_b64 s[34:35], s[16:17], 0x0
	s_add_u32 s18, s18, 12
	s_addc_u32 s19, s19, 0
	s_add_u32 s16, s16, 8
	s_addc_u32 s17, s17, 0
	s_add_i32 s28, s28, -1
	s_delay_alu instid0(SALU_CYCLE_1) | instskip(SKIP_2) | instid1(VALU_DEP_1)
	s_cmp_lg_u32 s28, 0
	s_waitcnt lgkmcnt(0)
	v_mul_hi_u32 v3, s31, v2
	v_add_nc_u32_e32 v3, v2, v3
	s_delay_alu instid0(VALU_DEP_1) | instskip(NEXT) | instid1(VALU_DEP_1)
	v_lshrrev_b32_e32 v6, s27, v3
	v_mul_lo_u32 v3, v6, s30
	s_delay_alu instid0(VALU_DEP_1) | instskip(NEXT) | instid1(VALU_DEP_1)
	v_sub_nc_u32_e32 v2, v2, v3
	v_mad_u64_u32 v[3:4], null, v2, s34, v[0:1]
	v_mad_u64_u32 v[4:5], null, v2, s35, v[1:2]
	v_mov_b32_e32 v2, v6
	s_delay_alu instid0(VALU_DEP_2)
	v_dual_mov_b32 v0, v3 :: v_dual_mov_b32 v1, v4
	s_cbranch_scc1 .LBB21_224
.LBB21_225:
	s_and_not1_b32 vcc_lo, exec_lo, s21
	s_cbranch_vccnz .LBB21_228
; %bb.226:
	s_waitcnt lgkmcnt(0)
	v_mul_hi_u32 v0, s13, v12
	s_and_not1_b32 vcc_lo, exec_lo, s26
	s_delay_alu instid0(VALU_DEP_1) | instskip(NEXT) | instid1(VALU_DEP_1)
	v_add_nc_u32_e32 v0, v12, v0
	v_lshrrev_b32_e32 v2, s14, v0
	s_delay_alu instid0(VALU_DEP_1) | instskip(NEXT) | instid1(VALU_DEP_1)
	v_mul_lo_u32 v0, v2, s12
	v_sub_nc_u32_e32 v1, v12, v0
	s_delay_alu instid0(VALU_DEP_1)
	v_mul_lo_u32 v0, v1, s8
	v_mul_lo_u32 v1, v1, s9
	s_cbranch_vccnz .LBB21_228
; %bb.227:
	v_mul_hi_u32 v3, s2, v2
	s_delay_alu instid0(VALU_DEP_1) | instskip(NEXT) | instid1(VALU_DEP_1)
	v_add_nc_u32_e32 v3, v2, v3
	v_lshrrev_b32_e32 v3, s3, v3
	s_delay_alu instid0(VALU_DEP_1) | instskip(NEXT) | instid1(VALU_DEP_1)
	v_mul_lo_u32 v3, v3, s15
	v_sub_nc_u32_e32 v5, v2, v3
	s_delay_alu instid0(VALU_DEP_1) | instskip(NEXT) | instid1(VALU_DEP_1)
	v_mad_u64_u32 v[2:3], null, v5, s10, v[0:1]
	v_mad_u64_u32 v[3:4], null, v5, s11, v[1:2]
	s_delay_alu instid0(VALU_DEP_1)
	v_dual_mov_b32 v0, v2 :: v_dual_mov_b32 v1, v3
.LBB21_228:
	s_waitcnt lgkmcnt(0)
	global_load_u8 v1, v1, s[6:7]
	s_waitcnt vmcnt(0)
	v_xor_b32_e32 v1, -1, v1
	global_store_b8 v0, v1, s[4:5]
	s_or_b32 exec_lo, exec_lo, s20
                                        ; implicit-def: $vgpr16
                                        ; implicit-def: $vgpr12
	s_and_not1_saveexec_b32 s2, s25
	s_cbranch_execz .LBB21_206
	s_branch .LBB21_8
	.section	.rodata,"a",@progbits
	.p2align	6, 0x0
	.amdhsa_kernel _ZN2at6native32elementwise_kernel_manual_unrollILi128ELi8EZNS0_22gpu_kernel_impl_nocastIZZZNS0_23bitwise_not_kernel_cudaERNS_18TensorIteratorBaseEENKUlvE_clEvENKUlvE0_clEvEUlaE_EEvS4_RKT_EUlibE_EEviT1_
		.amdhsa_group_segment_fixed_size 0
		.amdhsa_private_segment_fixed_size 0
		.amdhsa_kernarg_size 360
		.amdhsa_user_sgpr_count 15
		.amdhsa_user_sgpr_dispatch_ptr 0
		.amdhsa_user_sgpr_queue_ptr 0
		.amdhsa_user_sgpr_kernarg_segment_ptr 1
		.amdhsa_user_sgpr_dispatch_id 0
		.amdhsa_user_sgpr_private_segment_size 0
		.amdhsa_wavefront_size32 1
		.amdhsa_uses_dynamic_stack 0
		.amdhsa_enable_private_segment 0
		.amdhsa_system_sgpr_workgroup_id_x 1
		.amdhsa_system_sgpr_workgroup_id_y 0
		.amdhsa_system_sgpr_workgroup_id_z 0
		.amdhsa_system_sgpr_workgroup_info 0
		.amdhsa_system_vgpr_workitem_id 0
		.amdhsa_next_free_vgpr 26
		.amdhsa_next_free_sgpr 56
		.amdhsa_reserve_vcc 1
		.amdhsa_float_round_mode_32 0
		.amdhsa_float_round_mode_16_64 0
		.amdhsa_float_denorm_mode_32 3
		.amdhsa_float_denorm_mode_16_64 3
		.amdhsa_dx10_clamp 1
		.amdhsa_ieee_mode 1
		.amdhsa_fp16_overflow 0
		.amdhsa_workgroup_processor_mode 1
		.amdhsa_memory_ordered 1
		.amdhsa_forward_progress 0
		.amdhsa_shared_vgpr_count 0
		.amdhsa_exception_fp_ieee_invalid_op 0
		.amdhsa_exception_fp_denorm_src 0
		.amdhsa_exception_fp_ieee_div_zero 0
		.amdhsa_exception_fp_ieee_overflow 0
		.amdhsa_exception_fp_ieee_underflow 0
		.amdhsa_exception_fp_ieee_inexact 0
		.amdhsa_exception_int_div_zero 0
	.end_amdhsa_kernel
	.section	.text._ZN2at6native32elementwise_kernel_manual_unrollILi128ELi8EZNS0_22gpu_kernel_impl_nocastIZZZNS0_23bitwise_not_kernel_cudaERNS_18TensorIteratorBaseEENKUlvE_clEvENKUlvE0_clEvEUlaE_EEvS4_RKT_EUlibE_EEviT1_,"axG",@progbits,_ZN2at6native32elementwise_kernel_manual_unrollILi128ELi8EZNS0_22gpu_kernel_impl_nocastIZZZNS0_23bitwise_not_kernel_cudaERNS_18TensorIteratorBaseEENKUlvE_clEvENKUlvE0_clEvEUlaE_EEvS4_RKT_EUlibE_EEviT1_,comdat
.Lfunc_end21:
	.size	_ZN2at6native32elementwise_kernel_manual_unrollILi128ELi8EZNS0_22gpu_kernel_impl_nocastIZZZNS0_23bitwise_not_kernel_cudaERNS_18TensorIteratorBaseEENKUlvE_clEvENKUlvE0_clEvEUlaE_EEvS4_RKT_EUlibE_EEviT1_, .Lfunc_end21-_ZN2at6native32elementwise_kernel_manual_unrollILi128ELi8EZNS0_22gpu_kernel_impl_nocastIZZZNS0_23bitwise_not_kernel_cudaERNS_18TensorIteratorBaseEENKUlvE_clEvENKUlvE0_clEvEUlaE_EEvS4_RKT_EUlibE_EEviT1_
                                        ; -- End function
	.section	.AMDGPU.csdata,"",@progbits
; Kernel info:
; codeLenInByte = 13452
; NumSgprs: 58
; NumVgprs: 26
; ScratchSize: 0
; MemoryBound: 0
; FloatMode: 240
; IeeeMode: 1
; LDSByteSize: 0 bytes/workgroup (compile time only)
; SGPRBlocks: 7
; VGPRBlocks: 3
; NumSGPRsForWavesPerEU: 58
; NumVGPRsForWavesPerEU: 26
; Occupancy: 16
; WaveLimiterHint : 1
; COMPUTE_PGM_RSRC2:SCRATCH_EN: 0
; COMPUTE_PGM_RSRC2:USER_SGPR: 15
; COMPUTE_PGM_RSRC2:TRAP_HANDLER: 0
; COMPUTE_PGM_RSRC2:TGID_X_EN: 1
; COMPUTE_PGM_RSRC2:TGID_Y_EN: 0
; COMPUTE_PGM_RSRC2:TGID_Z_EN: 0
; COMPUTE_PGM_RSRC2:TIDIG_COMP_CNT: 0
	.section	.text._ZN2at6native32elementwise_kernel_manual_unrollILi128ELi4EZNS0_15gpu_kernel_implIZZZNS0_23bitwise_not_kernel_cudaERNS_18TensorIteratorBaseEENKUlvE_clEvENKUlvE0_clEvEUlaE_EEvS4_RKT_EUlibE_EEviT1_,"axG",@progbits,_ZN2at6native32elementwise_kernel_manual_unrollILi128ELi4EZNS0_15gpu_kernel_implIZZZNS0_23bitwise_not_kernel_cudaERNS_18TensorIteratorBaseEENKUlvE_clEvENKUlvE0_clEvEUlaE_EEvS4_RKT_EUlibE_EEviT1_,comdat
	.globl	_ZN2at6native32elementwise_kernel_manual_unrollILi128ELi4EZNS0_15gpu_kernel_implIZZZNS0_23bitwise_not_kernel_cudaERNS_18TensorIteratorBaseEENKUlvE_clEvENKUlvE0_clEvEUlaE_EEvS4_RKT_EUlibE_EEviT1_ ; -- Begin function _ZN2at6native32elementwise_kernel_manual_unrollILi128ELi4EZNS0_15gpu_kernel_implIZZZNS0_23bitwise_not_kernel_cudaERNS_18TensorIteratorBaseEENKUlvE_clEvENKUlvE0_clEvEUlaE_EEvS4_RKT_EUlibE_EEviT1_
	.p2align	8
	.type	_ZN2at6native32elementwise_kernel_manual_unrollILi128ELi4EZNS0_15gpu_kernel_implIZZZNS0_23bitwise_not_kernel_cudaERNS_18TensorIteratorBaseEENKUlvE_clEvENKUlvE0_clEvEUlaE_EEvS4_RKT_EUlibE_EEviT1_,@function
_ZN2at6native32elementwise_kernel_manual_unrollILi128ELi4EZNS0_15gpu_kernel_implIZZZNS0_23bitwise_not_kernel_cudaERNS_18TensorIteratorBaseEENKUlvE_clEvENKUlvE0_clEvEUlaE_EEvS4_RKT_EUlibE_EEviT1_: ; @_ZN2at6native32elementwise_kernel_manual_unrollILi128ELi4EZNS0_15gpu_kernel_implIZZZNS0_23bitwise_not_kernel_cudaERNS_18TensorIteratorBaseEENKUlvE_clEvENKUlvE0_clEvEUlaE_EEvS4_RKT_EUlibE_EEviT1_
; %bb.0:
	v_mov_b32_e32 v1, 0
	s_clause 0x2
	s_load_b32 s10, s[0:1], 0x0
	s_load_b64 s[2:3], s[0:1], 0x18
	s_load_b128 s[4:7], s[0:1], 0x8
	v_lshl_or_b32 v10, s15, 9, v0
	s_mov_b32 s9, 0
	global_load_u16 v9, v1, s[0:1] offset:33
	s_mov_b32 s1, 0
	v_or_b32_e32 v0, 0x180, v10
	s_mov_b32 s0, exec_lo
	s_waitcnt vmcnt(0)
	v_lshrrev_b16 v11, 8, v9
	s_waitcnt lgkmcnt(0)
	v_cmpx_le_i32_e64 s10, v0
	s_xor_b32 s8, exec_lo, s0
	s_cbranch_execz .LBB22_1008
; %bb.1:
	s_mov_b32 s15, -1
	s_mov_b32 s13, 0
	s_mov_b32 s11, 0
	s_mov_b32 s12, exec_lo
	v_cmpx_gt_i32_e64 s10, v10
	s_cbranch_execz .LBB22_246
; %bb.2:
	v_mul_lo_u32 v0, v10, s3
	v_cmp_gt_i16_e32 vcc_lo, 11, v11
	s_delay_alu instid0(VALU_DEP_2) | instskip(SKIP_1) | instid1(VALU_DEP_1)
	v_ashrrev_i32_e32 v1, 31, v0
	v_add_co_u32 v2, s0, s6, v0
	v_add_co_ci_u32_e64 v3, s0, s7, v1, s0
	s_cbranch_vccnz .LBB22_9
; %bb.3:
	v_cmp_lt_i16_e32 vcc_lo, 25, v11
	s_cbranch_vccz .LBB22_128
; %bb.4:
	v_cmp_lt_i16_e32 vcc_lo, 28, v11
	s_cbranch_vccz .LBB22_129
	;; [unrolled: 3-line block ×4, first 2 shown]
; %bb.7:
	v_cmp_eq_u16_e32 vcc_lo, 46, v11
	s_cbranch_vccz .LBB22_132
; %bb.8:
	global_load_b32 v0, v[2:3], off
	s_mov_b32 s0, -1
	s_waitcnt vmcnt(0)
	v_lshlrev_b32_e32 v0, 16, v0
	s_delay_alu instid0(VALU_DEP_1)
	v_cvt_i32_f32_e32 v0, v0
	s_branch .LBB22_134
.LBB22_9:
	s_mov_b32 s0, 0
                                        ; implicit-def: $vgpr0
	s_cbranch_execnz .LBB22_196
.LBB22_10:
	s_and_not1_b32 vcc_lo, exec_lo, s0
	s_cbranch_vccnz .LBB22_243
.LBB22_11:
	s_waitcnt vmcnt(0)
	v_mul_lo_u32 v1, v10, s2
	v_and_b32_e32 v4, 0xff, v9
	s_delay_alu instid0(VALU_DEP_3) | instskip(SKIP_2) | instid1(VALU_DEP_2)
	v_xor_b32_e32 v3, -1, v0
	s_mov_b32 s14, -1
	s_mov_b32 s9, 0
	v_cmp_gt_i16_e32 vcc_lo, 11, v4
	s_delay_alu instid0(VALU_DEP_4) | instskip(SKIP_1) | instid1(VALU_DEP_1)
	v_ashrrev_i32_e32 v2, 31, v1
	v_add_co_u32 v1, s0, s4, v1
	v_add_co_ci_u32_e64 v2, s0, s5, v2, s0
	s_mov_b32 s0, 0
	s_cbranch_vccnz .LBB22_88
; %bb.12:
	v_cmp_lt_i16_e32 vcc_lo, 25, v4
	s_cbranch_vccz .LBB22_45
; %bb.13:
	v_cmp_lt_i16_e32 vcc_lo, 28, v4
	s_cbranch_vccz .LBB22_28
	;; [unrolled: 3-line block ×4, first 2 shown]
; %bb.16:
	v_cmp_eq_u16_e32 vcc_lo, 46, v4
	s_mov_b32 s14, 0
	s_mov_b32 s9, -1
	s_cbranch_vccz .LBB22_18
; %bb.17:
	v_bfe_i32 v5, v3, 0, 8
	s_mov_b32 s0, -1
	s_mov_b32 s9, 0
	s_delay_alu instid0(VALU_DEP_1) | instskip(NEXT) | instid1(VALU_DEP_1)
	v_bfe_i32 v5, v5, 0, 16
	v_cvt_f32_i32_e32 v5, v5
	s_delay_alu instid0(VALU_DEP_1) | instskip(NEXT) | instid1(VALU_DEP_1)
	v_bfe_u32 v6, v5, 16, 1
	v_add3_u32 v5, v5, v6, 0x7fff
	s_delay_alu instid0(VALU_DEP_1)
	v_lshrrev_b32_e32 v5, 16, v5
	global_store_b32 v[1:2], v5, off
.LBB22_18:
	s_and_b32 vcc_lo, exec_lo, s14
	s_cbranch_vccz .LBB22_23
; %bb.19:
	v_cmp_eq_u16_e32 vcc_lo, 44, v4
	s_mov_b32 s9, -1
	s_cbranch_vccz .LBB22_23
; %bb.20:
	v_bfe_i32 v5, v3, 0, 8
	v_mov_b32_e32 v6, 0xff
	s_mov_b32 s9, exec_lo
	s_delay_alu instid0(VALU_DEP_2) | instskip(NEXT) | instid1(VALU_DEP_1)
	v_bfe_i32 v5, v5, 0, 16
	v_cvt_f32_i32_e32 v5, v5
	s_delay_alu instid0(VALU_DEP_1) | instskip(NEXT) | instid1(VALU_DEP_1)
	v_bfe_u32 v7, v5, 23, 8
	v_cmpx_ne_u32_e32 0xff, v7
; %bb.21:
	v_and_b32_e32 v6, 0x400000, v5
	v_and_or_b32 v7, 0x3fffff, v5, v7
	v_lshrrev_b32_e32 v5, 23, v5
	s_delay_alu instid0(VALU_DEP_3) | instskip(NEXT) | instid1(VALU_DEP_3)
	v_cmp_ne_u32_e32 vcc_lo, 0, v6
	v_cmp_ne_u32_e64 s0, 0, v7
	s_delay_alu instid0(VALU_DEP_1) | instskip(NEXT) | instid1(SALU_CYCLE_1)
	s_and_b32 s0, vcc_lo, s0
	v_cndmask_b32_e64 v6, 0, 1, s0
	s_delay_alu instid0(VALU_DEP_1)
	v_add_nc_u32_e32 v6, v5, v6
; %bb.22:
	s_or_b32 exec_lo, exec_lo, s9
	s_mov_b32 s0, -1
	s_mov_b32 s9, 0
	global_store_b8 v[1:2], v6, off
.LBB22_23:
	s_mov_b32 s14, 0
.LBB22_24:
	s_delay_alu instid0(SALU_CYCLE_1)
	s_and_b32 vcc_lo, exec_lo, s14
	s_cbranch_vccz .LBB22_27
; %bb.25:
	v_cmp_eq_u16_e32 vcc_lo, 29, v4
	s_mov_b32 s9, -1
	s_cbranch_vccz .LBB22_27
; %bb.26:
	v_bfe_i32 v5, v3, 0, 8
	s_mov_b32 s0, -1
	s_mov_b32 s9, 0
	s_delay_alu instid0(VALU_DEP_1)
	v_ashrrev_i32_e32 v6, 31, v5
	global_store_b64 v[1:2], v[5:6], off
.LBB22_27:
	s_mov_b32 s14, 0
.LBB22_28:
	s_delay_alu instid0(SALU_CYCLE_1)
	s_and_b32 vcc_lo, exec_lo, s14
	s_cbranch_vccz .LBB22_44
; %bb.29:
	v_cmp_gt_i16_e32 vcc_lo, 27, v4
	s_mov_b32 s0, -1
	s_cbranch_vccnz .LBB22_35
; %bb.30:
	v_cmp_lt_i16_e32 vcc_lo, 27, v4
	s_cbranch_vccz .LBB22_32
; %bb.31:
	v_bfe_i32 v5, v3, 0, 8
	s_mov_b32 s0, 0
	global_store_b32 v[1:2], v5, off
.LBB22_32:
	s_and_not1_b32 vcc_lo, exec_lo, s0
	s_cbranch_vccnz .LBB22_34
; %bb.33:
	v_bfe_i32 v5, v3, 0, 8
	global_store_b16 v[1:2], v5, off
.LBB22_34:
	s_mov_b32 s0, 0
.LBB22_35:
	s_delay_alu instid0(SALU_CYCLE_1)
	s_and_not1_b32 vcc_lo, exec_lo, s0
	s_cbranch_vccnz .LBB22_43
; %bb.36:
	v_bfe_i32 v5, v3, 0, 8
	v_mov_b32_e32 v7, 0x80
	s_mov_b32 s0, exec_lo
	s_delay_alu instid0(VALU_DEP_2) | instskip(NEXT) | instid1(VALU_DEP_1)
	v_bfe_i32 v5, v5, 0, 16
	v_cvt_f32_i32_e32 v5, v5
	s_delay_alu instid0(VALU_DEP_1) | instskip(NEXT) | instid1(VALU_DEP_1)
	v_and_b32_e32 v6, 0x7fffffff, v5
	v_cmpx_gt_u32_e32 0x43800000, v6
	s_cbranch_execz .LBB22_42
; %bb.37:
	v_cmp_lt_u32_e32 vcc_lo, 0x3bffffff, v6
	s_mov_b32 s14, 0
                                        ; implicit-def: $vgpr6
	s_and_saveexec_b32 s15, vcc_lo
	s_delay_alu instid0(SALU_CYCLE_1)
	s_xor_b32 s15, exec_lo, s15
	s_cbranch_execz .LBB22_137
; %bb.38:
	v_bfe_u32 v6, v5, 20, 1
	s_mov_b32 s14, exec_lo
	s_delay_alu instid0(VALU_DEP_1) | instskip(NEXT) | instid1(VALU_DEP_1)
	v_add3_u32 v6, v5, v6, 0x487ffff
	v_lshrrev_b32_e32 v6, 20, v6
	s_or_saveexec_b32 s15, s15
                                        ; implicit-def: $sgpr16
	s_delay_alu instid0(SALU_CYCLE_1)
	s_xor_b32 exec_lo, exec_lo, s15
	s_cbranch_execnz .LBB22_138
.LBB22_39:
	s_or_b32 exec_lo, exec_lo, s15
	v_mov_b32_e32 v7, s16
	s_and_saveexec_b32 s15, s14
.LBB22_40:
	v_lshrrev_b32_e32 v5, 24, v5
	s_delay_alu instid0(VALU_DEP_1)
	v_and_or_b32 v7, 0x80, v5, v6
.LBB22_41:
	s_or_b32 exec_lo, exec_lo, s15
.LBB22_42:
	s_delay_alu instid0(SALU_CYCLE_1)
	s_or_b32 exec_lo, exec_lo, s0
	global_store_b8 v[1:2], v7, off
.LBB22_43:
	s_mov_b32 s0, -1
.LBB22_44:
	s_mov_b32 s14, 0
.LBB22_45:
	s_delay_alu instid0(SALU_CYCLE_1)
	s_and_b32 vcc_lo, exec_lo, s14
	s_cbranch_vccz .LBB22_86
; %bb.46:
	v_cmp_lt_i16_e32 vcc_lo, 22, v4
	s_mov_b32 s14, -1
	s_cbranch_vccz .LBB22_78
; %bb.47:
	v_cmp_gt_i16_e32 vcc_lo, 24, v4
	s_mov_b32 s0, -1
	s_cbranch_vccnz .LBB22_67
; %bb.48:
	v_cmp_lt_i16_e32 vcc_lo, 24, v4
	s_cbranch_vccz .LBB22_56
; %bb.49:
	v_bfe_i32 v5, v3, 0, 8
	v_mov_b32_e32 v7, 0x80
	s_mov_b32 s0, exec_lo
	s_delay_alu instid0(VALU_DEP_2) | instskip(NEXT) | instid1(VALU_DEP_1)
	v_bfe_i32 v5, v5, 0, 16
	v_cvt_f32_i32_e32 v5, v5
	s_delay_alu instid0(VALU_DEP_1) | instskip(NEXT) | instid1(VALU_DEP_1)
	v_and_b32_e32 v6, 0x7fffffff, v5
	v_cmpx_gt_u32_e32 0x47800000, v6
	s_cbranch_execz .LBB22_55
; %bb.50:
	v_cmp_lt_u32_e32 vcc_lo, 0x37ffffff, v6
	s_mov_b32 s14, 0
                                        ; implicit-def: $vgpr6
	s_and_saveexec_b32 s15, vcc_lo
	s_delay_alu instid0(SALU_CYCLE_1)
	s_xor_b32 s15, exec_lo, s15
	s_cbranch_execz .LBB22_311
; %bb.51:
	v_bfe_u32 v6, v5, 21, 1
	s_mov_b32 s14, exec_lo
	s_delay_alu instid0(VALU_DEP_1) | instskip(NEXT) | instid1(VALU_DEP_1)
	v_add3_u32 v6, v5, v6, 0x88fffff
	v_lshrrev_b32_e32 v6, 21, v6
	s_or_saveexec_b32 s15, s15
                                        ; implicit-def: $sgpr16
	s_delay_alu instid0(SALU_CYCLE_1)
	s_xor_b32 exec_lo, exec_lo, s15
	s_cbranch_execnz .LBB22_312
.LBB22_52:
	s_or_b32 exec_lo, exec_lo, s15
	v_mov_b32_e32 v7, s16
	s_and_saveexec_b32 s15, s14
.LBB22_53:
	v_lshrrev_b32_e32 v5, 24, v5
	s_delay_alu instid0(VALU_DEP_1)
	v_and_or_b32 v7, 0x80, v5, v6
.LBB22_54:
	s_or_b32 exec_lo, exec_lo, s15
.LBB22_55:
	s_delay_alu instid0(SALU_CYCLE_1)
	s_or_b32 exec_lo, exec_lo, s0
	s_mov_b32 s0, 0
	global_store_b8 v[1:2], v7, off
.LBB22_56:
	s_and_b32 vcc_lo, exec_lo, s0
	s_cbranch_vccz .LBB22_66
; %bb.57:
	v_bfe_i32 v5, v3, 0, 8
	s_mov_b32 s0, exec_lo
                                        ; implicit-def: $vgpr6
	s_delay_alu instid0(VALU_DEP_1) | instskip(NEXT) | instid1(VALU_DEP_1)
	v_bfe_i32 v5, v5, 0, 16
	v_cvt_f32_i32_e32 v5, v5
	s_delay_alu instid0(VALU_DEP_1) | instskip(NEXT) | instid1(VALU_DEP_1)
	v_and_b32_e32 v7, 0x7fffffff, v5
	v_cmpx_gt_u32_e32 0x43f00000, v7
	s_xor_b32 s0, exec_lo, s0
	s_cbranch_execz .LBB22_63
; %bb.58:
	s_mov_b32 s14, exec_lo
                                        ; implicit-def: $vgpr6
	v_cmpx_lt_u32_e32 0x3c7fffff, v7
	s_xor_b32 s14, exec_lo, s14
; %bb.59:
	v_bfe_u32 v6, v5, 20, 1
	s_delay_alu instid0(VALU_DEP_1) | instskip(NEXT) | instid1(VALU_DEP_1)
	v_add3_u32 v6, v5, v6, 0x407ffff
	v_and_b32_e32 v7, 0xff00000, v6
	v_lshrrev_b32_e32 v6, 20, v6
	s_delay_alu instid0(VALU_DEP_2) | instskip(NEXT) | instid1(VALU_DEP_2)
	v_cmp_ne_u32_e32 vcc_lo, 0x7f00000, v7
	v_cndmask_b32_e32 v6, 0x7e, v6, vcc_lo
; %bb.60:
	s_and_not1_saveexec_b32 s14, s14
; %bb.61:
	v_add_f32_e64 v6, 0x46800000, |v5|
; %bb.62:
	s_or_b32 exec_lo, exec_lo, s14
                                        ; implicit-def: $vgpr7
.LBB22_63:
	s_and_not1_saveexec_b32 s0, s0
; %bb.64:
	v_mov_b32_e32 v6, 0x7f
	v_cmp_lt_u32_e32 vcc_lo, 0x7f800000, v7
	s_delay_alu instid0(VALU_DEP_2)
	v_cndmask_b32_e32 v6, 0x7e, v6, vcc_lo
; %bb.65:
	s_or_b32 exec_lo, exec_lo, s0
	v_lshrrev_b32_e32 v5, 24, v5
	s_delay_alu instid0(VALU_DEP_1)
	v_and_or_b32 v5, 0x80, v5, v6
	global_store_b8 v[1:2], v5, off
.LBB22_66:
	s_mov_b32 s0, 0
.LBB22_67:
	s_delay_alu instid0(SALU_CYCLE_1)
	s_and_not1_b32 vcc_lo, exec_lo, s0
	s_cbranch_vccnz .LBB22_77
; %bb.68:
	v_bfe_i32 v5, v3, 0, 8
	s_mov_b32 s0, exec_lo
                                        ; implicit-def: $vgpr6
	s_delay_alu instid0(VALU_DEP_1) | instskip(NEXT) | instid1(VALU_DEP_1)
	v_bfe_i32 v5, v5, 0, 16
	v_cvt_f32_i32_e32 v5, v5
	s_delay_alu instid0(VALU_DEP_1) | instskip(NEXT) | instid1(VALU_DEP_1)
	v_and_b32_e32 v7, 0x7fffffff, v5
	v_cmpx_gt_u32_e32 0x47800000, v7
	s_xor_b32 s0, exec_lo, s0
	s_cbranch_execz .LBB22_74
; %bb.69:
	s_mov_b32 s14, exec_lo
                                        ; implicit-def: $vgpr6
	v_cmpx_lt_u32_e32 0x387fffff, v7
	s_xor_b32 s14, exec_lo, s14
; %bb.70:
	v_bfe_u32 v6, v5, 21, 1
	s_delay_alu instid0(VALU_DEP_1) | instskip(NEXT) | instid1(VALU_DEP_1)
	v_add3_u32 v6, v5, v6, 0x80fffff
	v_lshrrev_b32_e32 v6, 21, v6
; %bb.71:
	s_and_not1_saveexec_b32 s14, s14
; %bb.72:
	v_add_f32_e64 v6, 0x43000000, |v5|
; %bb.73:
	s_or_b32 exec_lo, exec_lo, s14
                                        ; implicit-def: $vgpr7
.LBB22_74:
	s_and_not1_saveexec_b32 s0, s0
; %bb.75:
	v_mov_b32_e32 v6, 0x7f
	v_cmp_lt_u32_e32 vcc_lo, 0x7f800000, v7
	s_delay_alu instid0(VALU_DEP_2)
	v_cndmask_b32_e32 v6, 0x7c, v6, vcc_lo
; %bb.76:
	s_or_b32 exec_lo, exec_lo, s0
	v_lshrrev_b32_e32 v5, 24, v5
	s_delay_alu instid0(VALU_DEP_1)
	v_and_or_b32 v5, 0x80, v5, v6
	global_store_b8 v[1:2], v5, off
.LBB22_77:
	s_mov_b32 s14, 0
	s_mov_b32 s0, -1
.LBB22_78:
	s_and_not1_b32 vcc_lo, exec_lo, s14
	s_cbranch_vccnz .LBB22_86
; %bb.79:
	v_cmp_lt_i16_e32 vcc_lo, 14, v4
	s_mov_b32 s14, -1
	s_cbranch_vccz .LBB22_83
; %bb.80:
	v_cmp_eq_u16_e32 vcc_lo, 15, v4
	s_mov_b32 s9, -1
	s_cbranch_vccz .LBB22_82
; %bb.81:
	v_bfe_i32 v5, v3, 0, 8
	s_mov_b32 s0, -1
	s_mov_b32 s9, 0
	s_delay_alu instid0(VALU_DEP_1) | instskip(NEXT) | instid1(VALU_DEP_1)
	v_bfe_i32 v5, v5, 0, 16
	v_cvt_f32_i32_e32 v5, v5
	s_delay_alu instid0(VALU_DEP_1) | instskip(NEXT) | instid1(VALU_DEP_1)
	v_bfe_u32 v6, v5, 16, 1
	v_add3_u32 v5, v5, v6, 0x7fff
	global_store_d16_hi_b16 v[1:2], v5, off
.LBB22_82:
	s_mov_b32 s14, 0
.LBB22_83:
	s_delay_alu instid0(SALU_CYCLE_1)
	s_and_b32 vcc_lo, exec_lo, s14
	s_cbranch_vccz .LBB22_86
; %bb.84:
	v_cmp_eq_u16_e32 vcc_lo, 11, v4
	s_mov_b32 s9, -1
	s_cbranch_vccz .LBB22_86
; %bb.85:
	v_and_b32_e32 v0, 0xff, v0
	s_mov_b32 s0, -1
	s_mov_b32 s9, 0
	s_delay_alu instid0(VALU_DEP_1)
	v_cmp_ne_u16_e32 vcc_lo, 0xff, v0
	v_cndmask_b32_e64 v0, 0, 1, vcc_lo
	global_store_b8 v[1:2], v0, off
.LBB22_86:
.LBB22_87:
	s_and_not1_b32 vcc_lo, exec_lo, s0
	s_cbranch_vccnz .LBB22_244
	s_branch .LBB22_127
.LBB22_88:
	s_and_b32 vcc_lo, exec_lo, s14
	s_cbranch_vccz .LBB22_87
; %bb.89:
	v_cmp_gt_i16_e32 vcc_lo, 5, v4
	s_mov_b32 s0, -1
	s_cbranch_vccnz .LBB22_110
; %bb.90:
	v_cmp_gt_i16_e32 vcc_lo, 8, v4
	s_cbranch_vccnz .LBB22_100
; %bb.91:
	v_cmp_gt_i16_e32 vcc_lo, 9, v4
	s_cbranch_vccnz .LBB22_97
; %bb.92:
	v_cmp_lt_i16_e32 vcc_lo, 9, v4
	s_cbranch_vccz .LBB22_94
; %bb.93:
	v_bfe_i32 v0, v3, 0, 8
	v_mov_b32_e32 v7, 0
	s_mov_b32 s0, 0
	s_delay_alu instid0(VALU_DEP_2) | instskip(NEXT) | instid1(VALU_DEP_2)
	v_bfe_i32 v0, v0, 0, 16
	v_mov_b32_e32 v8, v7
	s_delay_alu instid0(VALU_DEP_2)
	v_cvt_f64_i32_e32 v[5:6], v0
	global_store_b128 v[1:2], v[5:8], off
.LBB22_94:
	s_and_not1_b32 vcc_lo, exec_lo, s0
	s_cbranch_vccnz .LBB22_96
; %bb.95:
	v_bfe_i32 v0, v3, 0, 8
	v_mov_b32_e32 v6, 0
	s_delay_alu instid0(VALU_DEP_2) | instskip(NEXT) | instid1(VALU_DEP_1)
	v_bfe_i32 v0, v0, 0, 16
	v_cvt_f32_i32_e32 v5, v0
	global_store_b64 v[1:2], v[5:6], off
.LBB22_96:
	s_mov_b32 s0, 0
.LBB22_97:
	s_delay_alu instid0(SALU_CYCLE_1)
	s_and_not1_b32 vcc_lo, exec_lo, s0
	s_cbranch_vccnz .LBB22_99
; %bb.98:
	v_bfe_i32 v0, v3, 0, 8
	s_delay_alu instid0(VALU_DEP_1) | instskip(NEXT) | instid1(VALU_DEP_1)
	v_cvt_f16_i16_e32 v0, v0
	v_and_b32_e32 v0, 0xffff, v0
	global_store_b32 v[1:2], v0, off
.LBB22_99:
	s_mov_b32 s0, 0
.LBB22_100:
	s_delay_alu instid0(SALU_CYCLE_1)
	s_and_not1_b32 vcc_lo, exec_lo, s0
	s_cbranch_vccnz .LBB22_109
; %bb.101:
	v_cmp_gt_i16_e32 vcc_lo, 6, v4
	s_mov_b32 s0, -1
	s_cbranch_vccnz .LBB22_107
; %bb.102:
	v_cmp_lt_i16_e32 vcc_lo, 6, v4
	s_cbranch_vccz .LBB22_104
; %bb.103:
	v_bfe_i32 v0, v3, 0, 8
	s_mov_b32 s0, 0
	s_delay_alu instid0(VALU_DEP_1) | instskip(NEXT) | instid1(VALU_DEP_1)
	v_bfe_i32 v0, v0, 0, 16
	v_cvt_f64_i32_e32 v[5:6], v0
	global_store_b64 v[1:2], v[5:6], off
.LBB22_104:
	s_and_not1_b32 vcc_lo, exec_lo, s0
	s_cbranch_vccnz .LBB22_106
; %bb.105:
	v_bfe_i32 v0, v3, 0, 8
	s_delay_alu instid0(VALU_DEP_1) | instskip(NEXT) | instid1(VALU_DEP_1)
	v_bfe_i32 v0, v0, 0, 16
	v_cvt_f32_i32_e32 v0, v0
	global_store_b32 v[1:2], v0, off
.LBB22_106:
	s_mov_b32 s0, 0
.LBB22_107:
	s_delay_alu instid0(SALU_CYCLE_1)
	s_and_not1_b32 vcc_lo, exec_lo, s0
	s_cbranch_vccnz .LBB22_109
; %bb.108:
	v_bfe_i32 v0, v3, 0, 8
	s_delay_alu instid0(VALU_DEP_1)
	v_cvt_f16_i16_e32 v0, v0
	global_store_b16 v[1:2], v0, off
.LBB22_109:
	s_mov_b32 s0, 0
.LBB22_110:
	s_delay_alu instid0(SALU_CYCLE_1)
	s_and_not1_b32 vcc_lo, exec_lo, s0
	s_cbranch_vccnz .LBB22_126
; %bb.111:
	v_cmp_gt_i16_e32 vcc_lo, 2, v4
	s_mov_b32 s0, -1
	s_cbranch_vccnz .LBB22_121
; %bb.112:
	v_cmp_gt_i16_e32 vcc_lo, 3, v4
	s_cbranch_vccnz .LBB22_118
; %bb.113:
	v_cmp_lt_i16_e32 vcc_lo, 3, v4
	s_cbranch_vccz .LBB22_115
; %bb.114:
	v_bfe_i32 v5, v3, 0, 8
	s_mov_b32 s0, 0
	s_delay_alu instid0(VALU_DEP_1)
	v_ashrrev_i32_e32 v6, 31, v5
	global_store_b64 v[1:2], v[5:6], off
.LBB22_115:
	s_and_not1_b32 vcc_lo, exec_lo, s0
	s_cbranch_vccnz .LBB22_117
; %bb.116:
	v_bfe_i32 v0, v3, 0, 8
	global_store_b32 v[1:2], v0, off
.LBB22_117:
	s_mov_b32 s0, 0
.LBB22_118:
	s_delay_alu instid0(SALU_CYCLE_1)
	s_and_not1_b32 vcc_lo, exec_lo, s0
	s_cbranch_vccnz .LBB22_120
; %bb.119:
	v_bfe_i32 v0, v3, 0, 8
	global_store_b16 v[1:2], v0, off
.LBB22_120:
	s_mov_b32 s0, 0
.LBB22_121:
	s_delay_alu instid0(SALU_CYCLE_1)
	s_and_not1_b32 vcc_lo, exec_lo, s0
	s_cbranch_vccnz .LBB22_126
; %bb.122:
	v_cmp_lt_i16_e32 vcc_lo, 0, v4
	s_mov_b32 s0, -1
	s_cbranch_vccz .LBB22_124
; %bb.123:
	s_mov_b32 s0, 0
	global_store_b8 v[1:2], v3, off
.LBB22_124:
	s_and_not1_b32 vcc_lo, exec_lo, s0
	s_cbranch_vccnz .LBB22_126
; %bb.125:
	global_store_b8 v[1:2], v3, off
.LBB22_126:
.LBB22_127:
	v_add_nc_u32_e32 v10, 0x80, v10
	s_mov_b32 s0, -1
	s_branch .LBB22_245
.LBB22_128:
	s_mov_b32 s0, 0
                                        ; implicit-def: $vgpr0
	s_cbranch_execnz .LBB22_163
	s_branch .LBB22_195
.LBB22_129:
	s_mov_b32 s9, -1
	s_mov_b32 s0, 0
                                        ; implicit-def: $vgpr0
	s_branch .LBB22_146
.LBB22_130:
	s_mov_b32 s9, -1
	s_mov_b32 s0, 0
                                        ; implicit-def: $vgpr0
	s_branch .LBB22_141
.LBB22_131:
	s_mov_b32 s9, -1
	s_branch .LBB22_133
.LBB22_132:
	s_mov_b32 s11, -1
.LBB22_133:
	s_mov_b32 s0, 0
                                        ; implicit-def: $vgpr0
.LBB22_134:
	s_and_b32 vcc_lo, exec_lo, s9
	s_cbranch_vccz .LBB22_140
; %bb.135:
	v_cmp_eq_u16_e32 vcc_lo, 44, v11
	s_cbranch_vccz .LBB22_139
; %bb.136:
	global_load_u8 v0, v[2:3], off
	s_mov_b32 s11, 0
	s_mov_b32 s0, -1
	s_waitcnt vmcnt(0)
	v_lshlrev_b32_e32 v1, 23, v0
	v_cmp_ne_u32_e32 vcc_lo, 0, v0
	s_delay_alu instid0(VALU_DEP_2) | instskip(NEXT) | instid1(VALU_DEP_1)
	v_cvt_i32_f32_e32 v1, v1
	v_cndmask_b32_e32 v0, 0, v1, vcc_lo
	s_branch .LBB22_140
.LBB22_137:
	s_or_saveexec_b32 s15, s15
                                        ; implicit-def: $sgpr16
	s_delay_alu instid0(SALU_CYCLE_1)
	s_xor_b32 exec_lo, exec_lo, s15
	s_cbranch_execz .LBB22_39
.LBB22_138:
	v_add_f32_e64 v6, 0x46000000, |v5|
	s_and_not1_b32 s14, s14, exec_lo
	s_mov_b32 s16, 0
	s_delay_alu instid0(VALU_DEP_1) | instskip(NEXT) | instid1(VALU_DEP_1)
	v_and_b32_e32 v6, 0xff, v6
	v_cmp_ne_u32_e32 vcc_lo, 0, v6
	s_and_b32 s17, vcc_lo, exec_lo
	s_delay_alu instid0(SALU_CYCLE_1)
	s_or_b32 s14, s14, s17
	s_or_b32 exec_lo, exec_lo, s15
	v_mov_b32_e32 v7, s16
	s_and_saveexec_b32 s15, s14
	s_cbranch_execnz .LBB22_40
	s_branch .LBB22_41
.LBB22_139:
	s_mov_b32 s11, -1
                                        ; implicit-def: $vgpr0
.LBB22_140:
	s_mov_b32 s9, 0
.LBB22_141:
	s_delay_alu instid0(SALU_CYCLE_1)
	s_and_b32 vcc_lo, exec_lo, s9
	s_cbranch_vccz .LBB22_145
; %bb.142:
	v_cmp_eq_u16_e32 vcc_lo, 29, v11
	s_cbranch_vccz .LBB22_144
; %bb.143:
	global_load_b64 v[0:1], v[2:3], off
	s_mov_b32 s0, -1
	s_mov_b32 s11, 0
	s_branch .LBB22_145
.LBB22_144:
	s_mov_b32 s11, -1
                                        ; implicit-def: $vgpr0
.LBB22_145:
	s_mov_b32 s9, 0
.LBB22_146:
	s_delay_alu instid0(SALU_CYCLE_1)
	s_and_b32 vcc_lo, exec_lo, s9
	s_cbranch_vccz .LBB22_162
; %bb.147:
	v_cmp_gt_i16_e32 vcc_lo, 27, v11
	s_cbranch_vccnz .LBB22_150
; %bb.148:
	v_cmp_lt_i16_e32 vcc_lo, 27, v11
	s_cbranch_vccz .LBB22_151
; %bb.149:
	global_load_b32 v0, v[2:3], off
	s_mov_b32 s0, 0
	s_branch .LBB22_152
.LBB22_150:
	s_mov_b32 s0, -1
                                        ; implicit-def: $vgpr0
	s_branch .LBB22_155
.LBB22_151:
	s_mov_b32 s0, -1
                                        ; implicit-def: $vgpr0
.LBB22_152:
	s_delay_alu instid0(SALU_CYCLE_1)
	s_and_not1_b32 vcc_lo, exec_lo, s0
	s_cbranch_vccnz .LBB22_154
; %bb.153:
	global_load_u16 v0, v[2:3], off
.LBB22_154:
	s_mov_b32 s0, 0
.LBB22_155:
	s_delay_alu instid0(SALU_CYCLE_1)
	s_and_not1_b32 vcc_lo, exec_lo, s0
	s_cbranch_vccnz .LBB22_161
; %bb.156:
	global_load_u8 v1, v[2:3], off
	s_mov_b32 s0, 0
	s_mov_b32 s9, exec_lo
                                        ; implicit-def: $sgpr14
	s_waitcnt vmcnt(0)
	v_cmpx_lt_i16_e32 0x7f, v1
	s_xor_b32 s9, exec_lo, s9
	s_cbranch_execz .LBB22_172
; %bb.157:
	v_cmp_ne_u16_e32 vcc_lo, 0x80, v1
	s_mov_b32 s14, 0
	s_and_b32 s0, vcc_lo, exec_lo
	s_or_saveexec_b32 s9, s9
	v_mov_b32_e32 v0, s14
	s_xor_b32 exec_lo, exec_lo, s9
	s_cbranch_execnz .LBB22_173
.LBB22_158:
	s_or_b32 exec_lo, exec_lo, s9
	s_and_saveexec_b32 s9, s0
	s_cbranch_execz .LBB22_160
.LBB22_159:
	v_and_b32_e32 v0, 0xffff, v1
	s_delay_alu instid0(VALU_DEP_1) | instskip(NEXT) | instid1(VALU_DEP_1)
	v_and_b32_e32 v4, 7, v0
	v_clz_i32_u32_e32 v5, v4
	s_delay_alu instid0(VALU_DEP_1) | instskip(NEXT) | instid1(VALU_DEP_1)
	v_min_u32_e32 v5, 32, v5
	v_subrev_nc_u32_e32 v6, 28, v5
	v_sub_nc_u32_e32 v5, 29, v5
	s_delay_alu instid0(VALU_DEP_2) | instskip(SKIP_1) | instid1(VALU_DEP_2)
	v_lshlrev_b32_e32 v6, v6, v0
	v_bfe_u32 v0, v0, 3, 4
	v_and_b32_e32 v6, 7, v6
	s_delay_alu instid0(VALU_DEP_2) | instskip(NEXT) | instid1(VALU_DEP_2)
	v_cmp_eq_u32_e32 vcc_lo, 0, v0
	v_dual_cndmask_b32 v4, v4, v6 :: v_dual_lshlrev_b32 v1, 24, v1
	v_cndmask_b32_e32 v0, v0, v5, vcc_lo
	s_delay_alu instid0(VALU_DEP_2) | instskip(NEXT) | instid1(VALU_DEP_3)
	v_and_b32_e32 v1, 0x80000000, v1
	v_lshlrev_b32_e32 v4, 20, v4
	s_delay_alu instid0(VALU_DEP_3) | instskip(NEXT) | instid1(VALU_DEP_1)
	v_lshl_add_u32 v0, v0, 23, 0x3b800000
	v_or3_b32 v0, v1, v0, v4
	s_delay_alu instid0(VALU_DEP_1)
	v_cvt_i32_f32_e32 v0, v0
.LBB22_160:
	s_or_b32 exec_lo, exec_lo, s9
.LBB22_161:
	s_mov_b32 s0, -1
.LBB22_162:
	s_branch .LBB22_195
.LBB22_163:
	v_cmp_lt_i16_e32 vcc_lo, 22, v11
	s_cbranch_vccz .LBB22_171
; %bb.164:
	v_cmp_gt_i16_e32 vcc_lo, 24, v11
	s_cbranch_vccnz .LBB22_174
; %bb.165:
	v_cmp_lt_i16_e32 vcc_lo, 24, v11
	s_cbranch_vccz .LBB22_175
; %bb.166:
	global_load_u8 v1, v[2:3], off
	s_mov_b32 s0, 0
	s_mov_b32 s9, exec_lo
                                        ; implicit-def: $sgpr14
	s_waitcnt vmcnt(0)
	v_cmpx_lt_i16_e32 0x7f, v1
	s_xor_b32 s9, exec_lo, s9
	s_cbranch_execz .LBB22_187
; %bb.167:
	v_cmp_ne_u16_e32 vcc_lo, 0x80, v1
	s_mov_b32 s14, 0
	s_and_b32 s0, vcc_lo, exec_lo
	s_or_saveexec_b32 s9, s9
	v_mov_b32_e32 v0, s14
	s_xor_b32 exec_lo, exec_lo, s9
	s_cbranch_execnz .LBB22_188
.LBB22_168:
	s_or_b32 exec_lo, exec_lo, s9
	s_and_saveexec_b32 s9, s0
	s_cbranch_execz .LBB22_170
.LBB22_169:
	v_and_b32_e32 v0, 0xffff, v1
	s_delay_alu instid0(VALU_DEP_1) | instskip(NEXT) | instid1(VALU_DEP_1)
	v_and_b32_e32 v4, 3, v0
	v_clz_i32_u32_e32 v5, v4
	s_delay_alu instid0(VALU_DEP_1) | instskip(NEXT) | instid1(VALU_DEP_1)
	v_min_u32_e32 v5, 32, v5
	v_subrev_nc_u32_e32 v6, 29, v5
	v_sub_nc_u32_e32 v5, 30, v5
	s_delay_alu instid0(VALU_DEP_2) | instskip(SKIP_1) | instid1(VALU_DEP_2)
	v_lshlrev_b32_e32 v6, v6, v0
	v_bfe_u32 v0, v0, 2, 5
	v_and_b32_e32 v6, 3, v6
	s_delay_alu instid0(VALU_DEP_2) | instskip(NEXT) | instid1(VALU_DEP_2)
	v_cmp_eq_u32_e32 vcc_lo, 0, v0
	v_dual_cndmask_b32 v4, v4, v6 :: v_dual_lshlrev_b32 v1, 24, v1
	v_cndmask_b32_e32 v0, v0, v5, vcc_lo
	s_delay_alu instid0(VALU_DEP_2) | instskip(NEXT) | instid1(VALU_DEP_3)
	v_and_b32_e32 v1, 0x80000000, v1
	v_lshlrev_b32_e32 v4, 21, v4
	s_delay_alu instid0(VALU_DEP_3) | instskip(NEXT) | instid1(VALU_DEP_1)
	v_lshl_add_u32 v0, v0, 23, 0x37800000
	v_or3_b32 v0, v1, v0, v4
	s_delay_alu instid0(VALU_DEP_1)
	v_cvt_i32_f32_e32 v0, v0
.LBB22_170:
	s_or_b32 exec_lo, exec_lo, s9
	s_mov_b32 s0, 0
	s_branch .LBB22_176
.LBB22_171:
	s_mov_b32 s9, -1
                                        ; implicit-def: $vgpr0
	s_branch .LBB22_182
.LBB22_172:
	s_or_saveexec_b32 s9, s9
	v_mov_b32_e32 v0, s14
	s_xor_b32 exec_lo, exec_lo, s9
	s_cbranch_execz .LBB22_158
.LBB22_173:
	v_cmp_ne_u16_e32 vcc_lo, 0, v1
	v_mov_b32_e32 v0, 0
	s_and_not1_b32 s0, s0, exec_lo
	s_and_b32 s14, vcc_lo, exec_lo
	s_delay_alu instid0(SALU_CYCLE_1)
	s_or_b32 s0, s0, s14
	s_or_b32 exec_lo, exec_lo, s9
	s_and_saveexec_b32 s9, s0
	s_cbranch_execnz .LBB22_159
	s_branch .LBB22_160
.LBB22_174:
	s_mov_b32 s0, -1
                                        ; implicit-def: $vgpr0
	s_branch .LBB22_179
.LBB22_175:
	s_mov_b32 s0, -1
                                        ; implicit-def: $vgpr0
.LBB22_176:
	s_delay_alu instid0(SALU_CYCLE_1)
	s_and_b32 vcc_lo, exec_lo, s0
	s_cbranch_vccz .LBB22_178
; %bb.177:
	global_load_u8 v0, v[2:3], off
	s_waitcnt vmcnt(0)
	v_lshlrev_b32_e32 v0, 24, v0
	s_delay_alu instid0(VALU_DEP_1) | instskip(NEXT) | instid1(VALU_DEP_1)
	v_and_b32_e32 v1, 0x7f000000, v0
	v_clz_i32_u32_e32 v4, v1
	v_cmp_ne_u32_e32 vcc_lo, 0, v1
	v_add_nc_u32_e32 v6, 0x1000000, v1
	s_delay_alu instid0(VALU_DEP_3) | instskip(NEXT) | instid1(VALU_DEP_1)
	v_min_u32_e32 v4, 32, v4
	v_sub_nc_u32_e64 v4, v4, 4 clamp
	s_delay_alu instid0(VALU_DEP_1) | instskip(SKIP_1) | instid1(VALU_DEP_2)
	v_lshlrev_b32_e32 v5, v4, v1
	v_lshlrev_b32_e32 v4, 23, v4
	v_lshrrev_b32_e32 v5, 4, v5
	s_delay_alu instid0(VALU_DEP_1) | instskip(SKIP_1) | instid1(VALU_DEP_2)
	v_sub_nc_u32_e32 v4, v5, v4
	v_ashrrev_i32_e32 v5, 8, v6
	v_add_nc_u32_e32 v4, 0x3c000000, v4
	s_delay_alu instid0(VALU_DEP_1) | instskip(NEXT) | instid1(VALU_DEP_1)
	v_and_or_b32 v4, 0x7f800000, v5, v4
	v_cndmask_b32_e32 v1, 0, v4, vcc_lo
	s_delay_alu instid0(VALU_DEP_1) | instskip(NEXT) | instid1(VALU_DEP_1)
	v_and_or_b32 v0, 0x80000000, v0, v1
	v_cvt_i32_f32_e32 v0, v0
.LBB22_178:
	s_mov_b32 s0, 0
.LBB22_179:
	s_delay_alu instid0(SALU_CYCLE_1)
	s_and_not1_b32 vcc_lo, exec_lo, s0
	s_cbranch_vccnz .LBB22_181
; %bb.180:
	global_load_u8 v0, v[2:3], off
	s_waitcnt vmcnt(0)
	v_lshlrev_b32_e32 v1, 25, v0
	v_lshlrev_b16 v0, 8, v0
	s_delay_alu instid0(VALU_DEP_2) | instskip(NEXT) | instid1(VALU_DEP_2)
	v_lshrrev_b32_e32 v4, 4, v1
	v_and_or_b32 v5, 0x7f00, v0, 0.5
	v_cmp_gt_u32_e32 vcc_lo, 0x8000000, v1
	v_bfe_i32 v0, v0, 0, 16
	s_delay_alu instid0(VALU_DEP_4) | instskip(NEXT) | instid1(VALU_DEP_1)
	v_or_b32_e32 v4, 0x70000000, v4
	v_dual_add_f32 v5, -0.5, v5 :: v_dual_mul_f32 v4, 0x7800000, v4
	s_delay_alu instid0(VALU_DEP_1) | instskip(NEXT) | instid1(VALU_DEP_1)
	v_cndmask_b32_e32 v1, v4, v5, vcc_lo
	v_and_or_b32 v0, 0x80000000, v0, v1
	s_delay_alu instid0(VALU_DEP_1)
	v_cvt_i32_f32_e32 v0, v0
.LBB22_181:
	s_mov_b32 s9, 0
	s_mov_b32 s0, -1
.LBB22_182:
	s_and_not1_b32 vcc_lo, exec_lo, s9
	s_cbranch_vccnz .LBB22_195
; %bb.183:
	v_cmp_lt_i16_e32 vcc_lo, 14, v11
	s_cbranch_vccz .LBB22_186
; %bb.184:
	v_cmp_eq_u16_e32 vcc_lo, 15, v11
	s_cbranch_vccz .LBB22_189
; %bb.185:
	global_load_u16 v0, v[2:3], off
	s_mov_b32 s0, -1
	s_mov_b32 s11, 0
	s_waitcnt vmcnt(0)
	v_lshlrev_b32_e32 v0, 16, v0
	s_delay_alu instid0(VALU_DEP_1)
	v_cvt_i32_f32_e32 v0, v0
	s_branch .LBB22_190
.LBB22_186:
	s_mov_b32 s9, -1
                                        ; implicit-def: $vgpr0
	s_branch .LBB22_191
.LBB22_187:
	s_or_saveexec_b32 s9, s9
	v_mov_b32_e32 v0, s14
	s_xor_b32 exec_lo, exec_lo, s9
	s_cbranch_execz .LBB22_168
.LBB22_188:
	v_cmp_ne_u16_e32 vcc_lo, 0, v1
	v_mov_b32_e32 v0, 0
	s_and_not1_b32 s0, s0, exec_lo
	s_and_b32 s14, vcc_lo, exec_lo
	s_delay_alu instid0(SALU_CYCLE_1)
	s_or_b32 s0, s0, s14
	s_or_b32 exec_lo, exec_lo, s9
	s_and_saveexec_b32 s9, s0
	s_cbranch_execnz .LBB22_169
	s_branch .LBB22_170
.LBB22_189:
	s_mov_b32 s11, -1
                                        ; implicit-def: $vgpr0
.LBB22_190:
	s_mov_b32 s9, 0
.LBB22_191:
	s_delay_alu instid0(SALU_CYCLE_1)
	s_and_b32 vcc_lo, exec_lo, s9
	s_cbranch_vccz .LBB22_195
; %bb.192:
	v_cmp_eq_u16_e32 vcc_lo, 11, v11
	s_cbranch_vccz .LBB22_194
; %bb.193:
	global_load_u8 v0, v[2:3], off
	s_mov_b32 s11, 0
	s_mov_b32 s0, -1
	s_waitcnt vmcnt(0)
	v_cmp_ne_u16_e32 vcc_lo, 0, v0
	v_cndmask_b32_e64 v0, 0, 1, vcc_lo
	s_branch .LBB22_195
.LBB22_194:
	s_mov_b32 s11, -1
                                        ; implicit-def: $vgpr0
.LBB22_195:
	s_branch .LBB22_10
.LBB22_196:
	v_cmp_gt_i16_e32 vcc_lo, 5, v11
	s_cbranch_vccnz .LBB22_201
; %bb.197:
	v_cmp_gt_i16_e32 vcc_lo, 8, v11
	s_cbranch_vccnz .LBB22_202
; %bb.198:
	;; [unrolled: 3-line block ×3, first 2 shown]
	v_cmp_lt_i16_e32 vcc_lo, 9, v11
	s_cbranch_vccz .LBB22_204
; %bb.200:
	global_load_b64 v[0:1], v[2:3], off
	s_mov_b32 s0, 0
	s_waitcnt vmcnt(0)
	v_cvt_i32_f64_e32 v0, v[0:1]
	s_branch .LBB22_205
.LBB22_201:
                                        ; implicit-def: $vgpr0
	s_branch .LBB22_223
.LBB22_202:
	s_mov_b32 s0, -1
                                        ; implicit-def: $vgpr0
	s_branch .LBB22_211
.LBB22_203:
	s_mov_b32 s0, -1
                                        ; implicit-def: $vgpr0
	s_branch .LBB22_208
.LBB22_204:
	s_mov_b32 s0, -1
                                        ; implicit-def: $vgpr0
.LBB22_205:
	s_delay_alu instid0(SALU_CYCLE_1)
	s_and_not1_b32 vcc_lo, exec_lo, s0
	s_cbranch_vccnz .LBB22_207
; %bb.206:
	global_load_b32 v0, v[2:3], off
	s_waitcnt vmcnt(0)
	v_cvt_i32_f32_e32 v0, v0
.LBB22_207:
	s_mov_b32 s0, 0
.LBB22_208:
	s_delay_alu instid0(SALU_CYCLE_1)
	s_and_not1_b32 vcc_lo, exec_lo, s0
	s_cbranch_vccnz .LBB22_210
; %bb.209:
	global_load_b32 v0, v[2:3], off
	s_waitcnt vmcnt(0)
	v_cvt_i16_f16_e32 v0, v0
.LBB22_210:
	s_mov_b32 s0, 0
.LBB22_211:
	s_delay_alu instid0(SALU_CYCLE_1)
	s_and_not1_b32 vcc_lo, exec_lo, s0
	s_cbranch_vccnz .LBB22_222
; %bb.212:
	v_cmp_gt_i16_e32 vcc_lo, 6, v11
	s_cbranch_vccnz .LBB22_215
; %bb.213:
	v_cmp_lt_i16_e32 vcc_lo, 6, v11
	s_cbranch_vccz .LBB22_216
; %bb.214:
	global_load_b64 v[0:1], v[2:3], off
	s_mov_b32 s0, 0
	s_waitcnt vmcnt(0)
	v_cvt_i32_f64_e32 v0, v[0:1]
	s_branch .LBB22_217
.LBB22_215:
	s_mov_b32 s0, -1
                                        ; implicit-def: $vgpr0
	s_branch .LBB22_220
.LBB22_216:
	s_mov_b32 s0, -1
                                        ; implicit-def: $vgpr0
.LBB22_217:
	s_delay_alu instid0(SALU_CYCLE_1)
	s_and_not1_b32 vcc_lo, exec_lo, s0
	s_cbranch_vccnz .LBB22_219
; %bb.218:
	global_load_b32 v0, v[2:3], off
	s_waitcnt vmcnt(0)
	v_cvt_i32_f32_e32 v0, v0
.LBB22_219:
	s_mov_b32 s0, 0
.LBB22_220:
	s_delay_alu instid0(SALU_CYCLE_1)
	s_and_not1_b32 vcc_lo, exec_lo, s0
	s_cbranch_vccnz .LBB22_222
; %bb.221:
	global_load_u16 v0, v[2:3], off
	s_waitcnt vmcnt(0)
	v_cvt_i16_f16_e32 v0, v0
.LBB22_222:
	s_cbranch_execnz .LBB22_242
.LBB22_223:
	v_cmp_gt_i16_e32 vcc_lo, 2, v11
	s_cbranch_vccnz .LBB22_227
; %bb.224:
	v_cmp_gt_i16_e32 vcc_lo, 3, v11
	s_cbranch_vccnz .LBB22_228
; %bb.225:
	v_cmp_lt_i16_e32 vcc_lo, 3, v11
	s_cbranch_vccz .LBB22_229
; %bb.226:
	global_load_b64 v[0:1], v[2:3], off
	s_mov_b32 s0, 0
	s_branch .LBB22_230
.LBB22_227:
	s_mov_b32 s0, -1
                                        ; implicit-def: $vgpr0
	s_branch .LBB22_236
.LBB22_228:
	s_mov_b32 s0, -1
                                        ; implicit-def: $vgpr0
	s_branch .LBB22_233
.LBB22_229:
	s_mov_b32 s0, -1
                                        ; implicit-def: $vgpr0
.LBB22_230:
	s_delay_alu instid0(SALU_CYCLE_1)
	s_and_not1_b32 vcc_lo, exec_lo, s0
	s_cbranch_vccnz .LBB22_232
; %bb.231:
	global_load_b32 v0, v[2:3], off
.LBB22_232:
	s_mov_b32 s0, 0
.LBB22_233:
	s_delay_alu instid0(SALU_CYCLE_1)
	s_and_not1_b32 vcc_lo, exec_lo, s0
	s_cbranch_vccnz .LBB22_235
; %bb.234:
	global_load_u16 v0, v[2:3], off
.LBB22_235:
	s_mov_b32 s0, 0
.LBB22_236:
	s_delay_alu instid0(SALU_CYCLE_1)
	s_and_not1_b32 vcc_lo, exec_lo, s0
	s_cbranch_vccnz .LBB22_242
; %bb.237:
	v_cmp_lt_i16_e32 vcc_lo, 0, v11
	s_mov_b32 s0, 0
	s_cbranch_vccz .LBB22_239
; %bb.238:
	global_load_u8 v0, v[2:3], off
	s_branch .LBB22_240
.LBB22_239:
	s_mov_b32 s0, -1
                                        ; implicit-def: $vgpr0
.LBB22_240:
	s_delay_alu instid0(SALU_CYCLE_1)
	s_and_not1_b32 vcc_lo, exec_lo, s0
	s_cbranch_vccnz .LBB22_242
; %bb.241:
	global_load_u8 v0, v[2:3], off
.LBB22_242:
	s_branch .LBB22_11
.LBB22_243:
	s_mov_b32 s9, 0
.LBB22_244:
	s_mov_b32 s0, 0
                                        ; implicit-def: $vgpr10
.LBB22_245:
	s_and_b32 s9, s9, exec_lo
	s_and_b32 s11, s11, exec_lo
	s_or_not1_b32 s15, s0, exec_lo
.LBB22_246:
	s_or_b32 exec_lo, exec_lo, s12
	s_mov_b32 s14, 0
	s_mov_b32 s0, 0
                                        ; implicit-def: $vgpr2_vgpr3
                                        ; implicit-def: $vgpr0
	s_and_saveexec_b32 s12, s15
	s_cbranch_execz .LBB22_838
; %bb.247:
	s_mov_b32 s17, -1
	s_mov_b32 s13, s11
	s_mov_b32 s14, s9
	s_mov_b32 s15, exec_lo
	v_cmpx_gt_i32_e64 s10, v10
	s_cbranch_execz .LBB22_499
; %bb.248:
	s_waitcnt vmcnt(0)
	v_mul_lo_u32 v0, v10, s3
	v_cmp_gt_i16_e32 vcc_lo, 11, v11
	s_delay_alu instid0(VALU_DEP_2) | instskip(SKIP_1) | instid1(VALU_DEP_1)
	v_ashrrev_i32_e32 v1, 31, v0
	v_add_co_u32 v2, s0, s6, v0
	v_add_co_ci_u32_e64 v3, s0, s7, v1, s0
	s_cbranch_vccnz .LBB22_255
; %bb.249:
	v_cmp_lt_i16_e32 vcc_lo, 25, v11
	s_cbranch_vccz .LBB22_304
; %bb.250:
	v_cmp_lt_i16_e32 vcc_lo, 28, v11
	s_cbranch_vccz .LBB22_305
	;; [unrolled: 3-line block ×4, first 2 shown]
; %bb.253:
	v_cmp_eq_u16_e32 vcc_lo, 46, v11
	s_mov_b32 s14, 0
	s_cbranch_vccz .LBB22_313
; %bb.254:
	global_load_b32 v0, v[2:3], off
	s_mov_b32 s0, -1
	s_mov_b32 s13, 0
	s_waitcnt vmcnt(0)
	v_lshlrev_b32_e32 v0, 16, v0
	s_delay_alu instid0(VALU_DEP_1)
	v_cvt_i32_f32_e32 v0, v0
	s_branch .LBB22_315
.LBB22_255:
	s_mov_b32 s0, 0
	s_mov_b32 s13, s11
                                        ; implicit-def: $vgpr0
	s_cbranch_execnz .LBB22_448
.LBB22_256:
	s_and_not1_b32 vcc_lo, exec_lo, s0
	s_cbranch_vccnz .LBB22_496
.LBB22_257:
	s_waitcnt vmcnt(0)
	v_mul_lo_u32 v1, v10, s2
	v_and_b32_e32 v4, 0xff, v9
	s_delay_alu instid0(VALU_DEP_3) | instskip(SKIP_2) | instid1(VALU_DEP_2)
	v_xor_b32_e32 v3, -1, v0
	s_mov_b32 s16, -1
	s_mov_b32 s14, 0
	v_cmp_gt_i16_e32 vcc_lo, 11, v4
	s_delay_alu instid0(VALU_DEP_4) | instskip(SKIP_1) | instid1(VALU_DEP_1)
	v_ashrrev_i32_e32 v2, 31, v1
	v_add_co_u32 v1, s0, s4, v1
	v_add_co_ci_u32_e64 v2, s0, s5, v2, s0
	s_mov_b32 s0, s9
	s_cbranch_vccnz .LBB22_264
; %bb.258:
	v_cmp_lt_i16_e32 vcc_lo, 25, v4
	s_cbranch_vccz .LBB22_306
; %bb.259:
	v_cmp_lt_i16_e32 vcc_lo, 28, v4
	s_cbranch_vccz .LBB22_308
	;; [unrolled: 3-line block ×4, first 2 shown]
; %bb.262:
	v_cmp_eq_u16_e32 vcc_lo, 46, v4
	s_mov_b32 s16, 0
	s_mov_b32 s0, -1
	s_cbranch_vccz .LBB22_319
; %bb.263:
	v_bfe_i32 v5, v3, 0, 8
	s_mov_b32 s14, -1
	s_mov_b32 s0, 0
	s_delay_alu instid0(VALU_DEP_1) | instskip(NEXT) | instid1(VALU_DEP_1)
	v_bfe_i32 v5, v5, 0, 16
	v_cvt_f32_i32_e32 v5, v5
	s_delay_alu instid0(VALU_DEP_1) | instskip(NEXT) | instid1(VALU_DEP_1)
	v_bfe_u32 v6, v5, 16, 1
	v_add3_u32 v5, v5, v6, 0x7fff
	s_delay_alu instid0(VALU_DEP_1)
	v_lshrrev_b32_e32 v5, 16, v5
	global_store_b32 v[1:2], v5, off
	s_branch .LBB22_319
.LBB22_264:
	s_and_b32 vcc_lo, exec_lo, s16
	s_cbranch_vccz .LBB22_388
; %bb.265:
	v_cmp_gt_i16_e32 vcc_lo, 5, v4
	s_mov_b32 s14, -1
	s_cbranch_vccnz .LBB22_286
; %bb.266:
	v_cmp_gt_i16_e32 vcc_lo, 8, v4
	s_cbranch_vccnz .LBB22_276
; %bb.267:
	v_cmp_gt_i16_e32 vcc_lo, 9, v4
	s_cbranch_vccnz .LBB22_273
; %bb.268:
	v_cmp_lt_i16_e32 vcc_lo, 9, v4
	s_cbranch_vccz .LBB22_270
; %bb.269:
	v_bfe_i32 v0, v3, 0, 8
	v_mov_b32_e32 v7, 0
	s_mov_b32 s14, 0
	s_delay_alu instid0(VALU_DEP_2) | instskip(NEXT) | instid1(VALU_DEP_2)
	v_bfe_i32 v0, v0, 0, 16
	v_mov_b32_e32 v8, v7
	s_delay_alu instid0(VALU_DEP_2)
	v_cvt_f64_i32_e32 v[5:6], v0
	global_store_b128 v[1:2], v[5:8], off
.LBB22_270:
	s_and_not1_b32 vcc_lo, exec_lo, s14
	s_cbranch_vccnz .LBB22_272
; %bb.271:
	v_bfe_i32 v0, v3, 0, 8
	v_mov_b32_e32 v6, 0
	s_delay_alu instid0(VALU_DEP_2) | instskip(NEXT) | instid1(VALU_DEP_1)
	v_bfe_i32 v0, v0, 0, 16
	v_cvt_f32_i32_e32 v5, v0
	global_store_b64 v[1:2], v[5:6], off
.LBB22_272:
	s_mov_b32 s14, 0
.LBB22_273:
	s_delay_alu instid0(SALU_CYCLE_1)
	s_and_not1_b32 vcc_lo, exec_lo, s14
	s_cbranch_vccnz .LBB22_275
; %bb.274:
	v_bfe_i32 v0, v3, 0, 8
	s_delay_alu instid0(VALU_DEP_1) | instskip(NEXT) | instid1(VALU_DEP_1)
	v_cvt_f16_i16_e32 v0, v0
	v_and_b32_e32 v0, 0xffff, v0
	global_store_b32 v[1:2], v0, off
.LBB22_275:
	s_mov_b32 s14, 0
.LBB22_276:
	s_delay_alu instid0(SALU_CYCLE_1)
	s_and_not1_b32 vcc_lo, exec_lo, s14
	s_cbranch_vccnz .LBB22_285
; %bb.277:
	v_cmp_gt_i16_e32 vcc_lo, 6, v4
	s_mov_b32 s14, -1
	s_cbranch_vccnz .LBB22_283
; %bb.278:
	v_cmp_lt_i16_e32 vcc_lo, 6, v4
	s_cbranch_vccz .LBB22_280
; %bb.279:
	v_bfe_i32 v0, v3, 0, 8
	s_mov_b32 s14, 0
	s_delay_alu instid0(VALU_DEP_1) | instskip(NEXT) | instid1(VALU_DEP_1)
	v_bfe_i32 v0, v0, 0, 16
	v_cvt_f64_i32_e32 v[5:6], v0
	global_store_b64 v[1:2], v[5:6], off
.LBB22_280:
	s_and_not1_b32 vcc_lo, exec_lo, s14
	s_cbranch_vccnz .LBB22_282
; %bb.281:
	v_bfe_i32 v0, v3, 0, 8
	s_delay_alu instid0(VALU_DEP_1) | instskip(NEXT) | instid1(VALU_DEP_1)
	v_bfe_i32 v0, v0, 0, 16
	v_cvt_f32_i32_e32 v0, v0
	global_store_b32 v[1:2], v0, off
.LBB22_282:
	s_mov_b32 s14, 0
.LBB22_283:
	s_delay_alu instid0(SALU_CYCLE_1)
	s_and_not1_b32 vcc_lo, exec_lo, s14
	s_cbranch_vccnz .LBB22_285
; %bb.284:
	v_bfe_i32 v0, v3, 0, 8
	s_delay_alu instid0(VALU_DEP_1)
	v_cvt_f16_i16_e32 v0, v0
	global_store_b16 v[1:2], v0, off
.LBB22_285:
	s_mov_b32 s14, 0
.LBB22_286:
	s_delay_alu instid0(SALU_CYCLE_1)
	s_and_not1_b32 vcc_lo, exec_lo, s14
	s_cbranch_vccnz .LBB22_302
; %bb.287:
	v_cmp_gt_i16_e32 vcc_lo, 2, v4
	s_mov_b32 s14, -1
	s_cbranch_vccnz .LBB22_297
; %bb.288:
	v_cmp_gt_i16_e32 vcc_lo, 3, v4
	s_cbranch_vccnz .LBB22_294
; %bb.289:
	v_cmp_lt_i16_e32 vcc_lo, 3, v4
	s_cbranch_vccz .LBB22_291
; %bb.290:
	v_bfe_i32 v5, v3, 0, 8
	s_mov_b32 s14, 0
	s_delay_alu instid0(VALU_DEP_1)
	v_ashrrev_i32_e32 v6, 31, v5
	global_store_b64 v[1:2], v[5:6], off
.LBB22_291:
	s_and_not1_b32 vcc_lo, exec_lo, s14
	s_cbranch_vccnz .LBB22_293
; %bb.292:
	v_bfe_i32 v0, v3, 0, 8
	global_store_b32 v[1:2], v0, off
.LBB22_293:
	s_mov_b32 s14, 0
.LBB22_294:
	s_delay_alu instid0(SALU_CYCLE_1)
	s_and_not1_b32 vcc_lo, exec_lo, s14
	s_cbranch_vccnz .LBB22_296
; %bb.295:
	v_bfe_i32 v0, v3, 0, 8
	global_store_b16 v[1:2], v0, off
.LBB22_296:
	s_mov_b32 s14, 0
.LBB22_297:
	s_delay_alu instid0(SALU_CYCLE_1)
	s_and_not1_b32 vcc_lo, exec_lo, s14
	s_cbranch_vccnz .LBB22_302
; %bb.298:
	v_cmp_lt_i16_e32 vcc_lo, 0, v4
	s_mov_b32 s14, -1
	s_cbranch_vccz .LBB22_300
; %bb.299:
	s_mov_b32 s14, 0
	global_store_b8 v[1:2], v3, off
.LBB22_300:
	s_and_not1_b32 vcc_lo, exec_lo, s14
	s_cbranch_vccnz .LBB22_302
; %bb.301:
	global_store_b8 v[1:2], v3, off
.LBB22_302:
	s_branch .LBB22_389
.LBB22_303:
	s_mov_b32 s16, 0
	s_branch .LBB22_497
.LBB22_304:
	s_mov_b32 s14, -1
	s_mov_b32 s0, 0
	s_mov_b32 s13, s11
                                        ; implicit-def: $vgpr0
	s_branch .LBB22_414
.LBB22_305:
	s_mov_b32 s14, -1
	s_mov_b32 s0, 0
	s_mov_b32 s13, s11
                                        ; implicit-def: $vgpr0
	s_branch .LBB22_397
.LBB22_306:
	s_mov_b32 s0, s9
	s_branch .LBB22_346
.LBB22_307:
	s_mov_b32 s14, -1
	s_mov_b32 s0, 0
	s_mov_b32 s13, s11
                                        ; implicit-def: $vgpr0
	s_branch .LBB22_392
.LBB22_308:
	s_mov_b32 s0, s9
	s_branch .LBB22_329
.LBB22_309:
	s_mov_b32 s14, -1
	s_mov_b32 s0, 0
	s_mov_b32 s13, s11
	s_branch .LBB22_314
.LBB22_310:
	s_mov_b32 s0, s9
	s_branch .LBB22_325
.LBB22_311:
	s_or_saveexec_b32 s15, s15
                                        ; implicit-def: $sgpr16
	s_delay_alu instid0(SALU_CYCLE_1)
	s_xor_b32 exec_lo, exec_lo, s15
	s_cbranch_execz .LBB22_52
.LBB22_312:
	v_add_f32_e64 v6, 0x42800000, |v5|
	s_and_not1_b32 s14, s14, exec_lo
	s_mov_b32 s16, 0
	s_delay_alu instid0(VALU_DEP_1) | instskip(NEXT) | instid1(VALU_DEP_1)
	v_and_b32_e32 v6, 0xff, v6
	v_cmp_ne_u32_e32 vcc_lo, 0, v6
	s_and_b32 s17, vcc_lo, exec_lo
	s_delay_alu instid0(SALU_CYCLE_1)
	s_or_b32 s14, s14, s17
	s_or_b32 exec_lo, exec_lo, s15
	v_mov_b32_e32 v7, s16
	s_and_saveexec_b32 s15, s14
	s_cbranch_execnz .LBB22_53
	s_branch .LBB22_54
.LBB22_313:
	s_mov_b32 s13, -1
	s_mov_b32 s0, 0
.LBB22_314:
                                        ; implicit-def: $vgpr0
.LBB22_315:
	s_and_b32 vcc_lo, exec_lo, s14
	s_cbranch_vccz .LBB22_391
; %bb.316:
	v_cmp_eq_u16_e32 vcc_lo, 44, v11
	s_cbranch_vccz .LBB22_390
; %bb.317:
	global_load_u8 v0, v[2:3], off
	s_mov_b32 s13, 0
	s_mov_b32 s0, -1
	s_waitcnt vmcnt(0)
	v_lshlrev_b32_e32 v1, 23, v0
	v_cmp_ne_u32_e32 vcc_lo, 0, v0
	s_delay_alu instid0(VALU_DEP_2) | instskip(NEXT) | instid1(VALU_DEP_1)
	v_cvt_i32_f32_e32 v1, v1
	v_cndmask_b32_e32 v0, 0, v1, vcc_lo
	s_branch .LBB22_391
.LBB22_318:
	s_mov_b32 s0, s9
.LBB22_319:
	s_and_b32 vcc_lo, exec_lo, s16
	s_cbranch_vccz .LBB22_324
; %bb.320:
	v_cmp_eq_u16_e32 vcc_lo, 44, v4
	s_mov_b32 s0, -1
	s_cbranch_vccz .LBB22_324
; %bb.321:
	v_bfe_i32 v5, v3, 0, 8
	v_mov_b32_e32 v6, 0xff
	s_mov_b32 s14, exec_lo
	s_delay_alu instid0(VALU_DEP_2) | instskip(NEXT) | instid1(VALU_DEP_1)
	v_bfe_i32 v5, v5, 0, 16
	v_cvt_f32_i32_e32 v5, v5
	s_delay_alu instid0(VALU_DEP_1) | instskip(NEXT) | instid1(VALU_DEP_1)
	v_bfe_u32 v7, v5, 23, 8
	v_cmpx_ne_u32_e32 0xff, v7
; %bb.322:
	v_and_b32_e32 v6, 0x400000, v5
	v_and_or_b32 v7, 0x3fffff, v5, v7
	v_lshrrev_b32_e32 v5, 23, v5
	s_delay_alu instid0(VALU_DEP_3) | instskip(NEXT) | instid1(VALU_DEP_3)
	v_cmp_ne_u32_e32 vcc_lo, 0, v6
	v_cmp_ne_u32_e64 s0, 0, v7
	s_delay_alu instid0(VALU_DEP_1) | instskip(NEXT) | instid1(SALU_CYCLE_1)
	s_and_b32 s0, vcc_lo, s0
	v_cndmask_b32_e64 v6, 0, 1, s0
	s_delay_alu instid0(VALU_DEP_1)
	v_add_nc_u32_e32 v6, v5, v6
; %bb.323:
	s_or_b32 exec_lo, exec_lo, s14
	s_mov_b32 s14, -1
	s_mov_b32 s0, 0
	global_store_b8 v[1:2], v6, off
.LBB22_324:
	s_mov_b32 s16, 0
.LBB22_325:
	s_delay_alu instid0(SALU_CYCLE_1)
	s_and_b32 vcc_lo, exec_lo, s16
	s_cbranch_vccz .LBB22_328
; %bb.326:
	v_cmp_eq_u16_e32 vcc_lo, 29, v4
	s_mov_b32 s0, -1
	s_cbranch_vccz .LBB22_328
; %bb.327:
	v_bfe_i32 v5, v3, 0, 8
	s_mov_b32 s14, -1
	s_mov_b32 s0, 0
	s_mov_b32 s16, 0
	s_delay_alu instid0(VALU_DEP_1)
	v_ashrrev_i32_e32 v6, 31, v5
	global_store_b64 v[1:2], v[5:6], off
	s_branch .LBB22_329
.LBB22_328:
	s_mov_b32 s16, 0
.LBB22_329:
	s_delay_alu instid0(SALU_CYCLE_1)
	s_and_b32 vcc_lo, exec_lo, s16
	s_cbranch_vccz .LBB22_345
; %bb.330:
	v_cmp_gt_i16_e32 vcc_lo, 27, v4
	s_mov_b32 s14, -1
	s_cbranch_vccnz .LBB22_336
; %bb.331:
	v_cmp_lt_i16_e32 vcc_lo, 27, v4
	s_cbranch_vccz .LBB22_333
; %bb.332:
	v_bfe_i32 v5, v3, 0, 8
	s_mov_b32 s14, 0
	global_store_b32 v[1:2], v5, off
.LBB22_333:
	s_and_not1_b32 vcc_lo, exec_lo, s14
	s_cbranch_vccnz .LBB22_335
; %bb.334:
	v_bfe_i32 v5, v3, 0, 8
	global_store_b16 v[1:2], v5, off
.LBB22_335:
	s_mov_b32 s14, 0
.LBB22_336:
	s_delay_alu instid0(SALU_CYCLE_1)
	s_and_not1_b32 vcc_lo, exec_lo, s14
	s_cbranch_vccnz .LBB22_344
; %bb.337:
	v_bfe_i32 v5, v3, 0, 8
	v_mov_b32_e32 v7, 0x80
	s_mov_b32 s14, exec_lo
	s_delay_alu instid0(VALU_DEP_2) | instskip(NEXT) | instid1(VALU_DEP_1)
	v_bfe_i32 v5, v5, 0, 16
	v_cvt_f32_i32_e32 v5, v5
	s_delay_alu instid0(VALU_DEP_1) | instskip(NEXT) | instid1(VALU_DEP_1)
	v_and_b32_e32 v6, 0x7fffffff, v5
	v_cmpx_gt_u32_e32 0x43800000, v6
	s_cbranch_execz .LBB22_343
; %bb.338:
	v_cmp_lt_u32_e32 vcc_lo, 0x3bffffff, v6
	s_mov_b32 s16, 0
                                        ; implicit-def: $vgpr6
	s_and_saveexec_b32 s17, vcc_lo
	s_delay_alu instid0(SALU_CYCLE_1)
	s_xor_b32 s17, exec_lo, s17
	s_cbranch_execz .LBB22_512
; %bb.339:
	v_bfe_u32 v6, v5, 20, 1
	s_mov_b32 s16, exec_lo
	s_delay_alu instid0(VALU_DEP_1) | instskip(NEXT) | instid1(VALU_DEP_1)
	v_add3_u32 v6, v5, v6, 0x487ffff
	v_lshrrev_b32_e32 v6, 20, v6
	s_or_saveexec_b32 s17, s17
                                        ; implicit-def: $sgpr18
	s_delay_alu instid0(SALU_CYCLE_1)
	s_xor_b32 exec_lo, exec_lo, s17
	s_cbranch_execnz .LBB22_513
.LBB22_340:
	s_or_b32 exec_lo, exec_lo, s17
	v_mov_b32_e32 v7, s18
	s_and_saveexec_b32 s17, s16
.LBB22_341:
	v_lshrrev_b32_e32 v5, 24, v5
	s_delay_alu instid0(VALU_DEP_1)
	v_and_or_b32 v7, 0x80, v5, v6
.LBB22_342:
	s_or_b32 exec_lo, exec_lo, s17
.LBB22_343:
	s_delay_alu instid0(SALU_CYCLE_1)
	s_or_b32 exec_lo, exec_lo, s14
	global_store_b8 v[1:2], v7, off
.LBB22_344:
	s_mov_b32 s14, -1
.LBB22_345:
	s_mov_b32 s16, 0
.LBB22_346:
	s_delay_alu instid0(SALU_CYCLE_1)
	s_and_b32 vcc_lo, exec_lo, s16
	s_cbranch_vccz .LBB22_387
; %bb.347:
	v_cmp_lt_i16_e32 vcc_lo, 22, v4
	s_mov_b32 s16, -1
	s_cbranch_vccz .LBB22_379
; %bb.348:
	v_cmp_gt_i16_e32 vcc_lo, 24, v4
	s_mov_b32 s14, -1
	s_cbranch_vccnz .LBB22_368
; %bb.349:
	v_cmp_lt_i16_e32 vcc_lo, 24, v4
	s_cbranch_vccz .LBB22_357
; %bb.350:
	v_bfe_i32 v5, v3, 0, 8
	v_mov_b32_e32 v7, 0x80
	s_mov_b32 s14, exec_lo
	s_delay_alu instid0(VALU_DEP_2) | instskip(NEXT) | instid1(VALU_DEP_1)
	v_bfe_i32 v5, v5, 0, 16
	v_cvt_f32_i32_e32 v5, v5
	s_delay_alu instid0(VALU_DEP_1) | instskip(NEXT) | instid1(VALU_DEP_1)
	v_and_b32_e32 v6, 0x7fffffff, v5
	v_cmpx_gt_u32_e32 0x47800000, v6
	s_cbranch_execz .LBB22_356
; %bb.351:
	v_cmp_lt_u32_e32 vcc_lo, 0x37ffffff, v6
	s_mov_b32 s16, 0
                                        ; implicit-def: $vgpr6
	s_and_saveexec_b32 s17, vcc_lo
	s_delay_alu instid0(SALU_CYCLE_1)
	s_xor_b32 s17, exec_lo, s17
	s_cbranch_execz .LBB22_515
; %bb.352:
	v_bfe_u32 v6, v5, 21, 1
	s_mov_b32 s16, exec_lo
	s_delay_alu instid0(VALU_DEP_1) | instskip(NEXT) | instid1(VALU_DEP_1)
	v_add3_u32 v6, v5, v6, 0x88fffff
	v_lshrrev_b32_e32 v6, 21, v6
	s_or_saveexec_b32 s17, s17
                                        ; implicit-def: $sgpr18
	s_delay_alu instid0(SALU_CYCLE_1)
	s_xor_b32 exec_lo, exec_lo, s17
	s_cbranch_execnz .LBB22_516
.LBB22_353:
	s_or_b32 exec_lo, exec_lo, s17
	v_mov_b32_e32 v7, s18
	s_and_saveexec_b32 s17, s16
.LBB22_354:
	v_lshrrev_b32_e32 v5, 24, v5
	s_delay_alu instid0(VALU_DEP_1)
	v_and_or_b32 v7, 0x80, v5, v6
.LBB22_355:
	s_or_b32 exec_lo, exec_lo, s17
.LBB22_356:
	s_delay_alu instid0(SALU_CYCLE_1)
	s_or_b32 exec_lo, exec_lo, s14
	s_mov_b32 s14, 0
	global_store_b8 v[1:2], v7, off
.LBB22_357:
	s_and_b32 vcc_lo, exec_lo, s14
	s_cbranch_vccz .LBB22_367
; %bb.358:
	v_bfe_i32 v5, v3, 0, 8
	s_mov_b32 s14, exec_lo
                                        ; implicit-def: $vgpr6
	s_delay_alu instid0(VALU_DEP_1) | instskip(NEXT) | instid1(VALU_DEP_1)
	v_bfe_i32 v5, v5, 0, 16
	v_cvt_f32_i32_e32 v5, v5
	s_delay_alu instid0(VALU_DEP_1) | instskip(NEXT) | instid1(VALU_DEP_1)
	v_and_b32_e32 v7, 0x7fffffff, v5
	v_cmpx_gt_u32_e32 0x43f00000, v7
	s_xor_b32 s14, exec_lo, s14
	s_cbranch_execz .LBB22_364
; %bb.359:
	s_mov_b32 s16, exec_lo
                                        ; implicit-def: $vgpr6
	v_cmpx_lt_u32_e32 0x3c7fffff, v7
	s_xor_b32 s16, exec_lo, s16
; %bb.360:
	v_bfe_u32 v6, v5, 20, 1
	s_delay_alu instid0(VALU_DEP_1) | instskip(NEXT) | instid1(VALU_DEP_1)
	v_add3_u32 v6, v5, v6, 0x407ffff
	v_and_b32_e32 v7, 0xff00000, v6
	v_lshrrev_b32_e32 v6, 20, v6
	s_delay_alu instid0(VALU_DEP_2) | instskip(NEXT) | instid1(VALU_DEP_2)
	v_cmp_ne_u32_e32 vcc_lo, 0x7f00000, v7
	v_cndmask_b32_e32 v6, 0x7e, v6, vcc_lo
; %bb.361:
	s_and_not1_saveexec_b32 s16, s16
; %bb.362:
	v_add_f32_e64 v6, 0x46800000, |v5|
; %bb.363:
	s_or_b32 exec_lo, exec_lo, s16
                                        ; implicit-def: $vgpr7
.LBB22_364:
	s_and_not1_saveexec_b32 s14, s14
; %bb.365:
	v_mov_b32_e32 v6, 0x7f
	v_cmp_lt_u32_e32 vcc_lo, 0x7f800000, v7
	s_delay_alu instid0(VALU_DEP_2)
	v_cndmask_b32_e32 v6, 0x7e, v6, vcc_lo
; %bb.366:
	s_or_b32 exec_lo, exec_lo, s14
	v_lshrrev_b32_e32 v5, 24, v5
	s_delay_alu instid0(VALU_DEP_1)
	v_and_or_b32 v5, 0x80, v5, v6
	global_store_b8 v[1:2], v5, off
.LBB22_367:
	s_mov_b32 s14, 0
.LBB22_368:
	s_delay_alu instid0(SALU_CYCLE_1)
	s_and_not1_b32 vcc_lo, exec_lo, s14
	s_cbranch_vccnz .LBB22_378
; %bb.369:
	v_bfe_i32 v5, v3, 0, 8
	s_mov_b32 s14, exec_lo
                                        ; implicit-def: $vgpr6
	s_delay_alu instid0(VALU_DEP_1) | instskip(NEXT) | instid1(VALU_DEP_1)
	v_bfe_i32 v5, v5, 0, 16
	v_cvt_f32_i32_e32 v5, v5
	s_delay_alu instid0(VALU_DEP_1) | instskip(NEXT) | instid1(VALU_DEP_1)
	v_and_b32_e32 v7, 0x7fffffff, v5
	v_cmpx_gt_u32_e32 0x47800000, v7
	s_xor_b32 s14, exec_lo, s14
	s_cbranch_execz .LBB22_375
; %bb.370:
	s_mov_b32 s16, exec_lo
                                        ; implicit-def: $vgpr6
	v_cmpx_lt_u32_e32 0x387fffff, v7
	s_xor_b32 s16, exec_lo, s16
; %bb.371:
	v_bfe_u32 v6, v5, 21, 1
	s_delay_alu instid0(VALU_DEP_1) | instskip(NEXT) | instid1(VALU_DEP_1)
	v_add3_u32 v6, v5, v6, 0x80fffff
	v_lshrrev_b32_e32 v6, 21, v6
; %bb.372:
	s_and_not1_saveexec_b32 s16, s16
; %bb.373:
	v_add_f32_e64 v6, 0x43000000, |v5|
; %bb.374:
	s_or_b32 exec_lo, exec_lo, s16
                                        ; implicit-def: $vgpr7
.LBB22_375:
	s_and_not1_saveexec_b32 s14, s14
; %bb.376:
	v_mov_b32_e32 v6, 0x7f
	v_cmp_lt_u32_e32 vcc_lo, 0x7f800000, v7
	s_delay_alu instid0(VALU_DEP_2)
	v_cndmask_b32_e32 v6, 0x7c, v6, vcc_lo
; %bb.377:
	s_or_b32 exec_lo, exec_lo, s14
	v_lshrrev_b32_e32 v5, 24, v5
	s_delay_alu instid0(VALU_DEP_1)
	v_and_or_b32 v5, 0x80, v5, v6
	global_store_b8 v[1:2], v5, off
.LBB22_378:
	s_mov_b32 s16, 0
	s_mov_b32 s14, -1
.LBB22_379:
	s_and_not1_b32 vcc_lo, exec_lo, s16
	s_cbranch_vccnz .LBB22_387
; %bb.380:
	v_cmp_lt_i16_e32 vcc_lo, 14, v4
	s_mov_b32 s16, -1
	s_cbranch_vccz .LBB22_384
; %bb.381:
	v_cmp_eq_u16_e32 vcc_lo, 15, v4
	s_mov_b32 s0, -1
	s_cbranch_vccz .LBB22_383
; %bb.382:
	v_bfe_i32 v5, v3, 0, 8
	s_mov_b32 s14, -1
	s_mov_b32 s0, 0
	s_delay_alu instid0(VALU_DEP_1) | instskip(NEXT) | instid1(VALU_DEP_1)
	v_bfe_i32 v5, v5, 0, 16
	v_cvt_f32_i32_e32 v5, v5
	s_delay_alu instid0(VALU_DEP_1) | instskip(NEXT) | instid1(VALU_DEP_1)
	v_bfe_u32 v6, v5, 16, 1
	v_add3_u32 v5, v5, v6, 0x7fff
	global_store_d16_hi_b16 v[1:2], v5, off
.LBB22_383:
	s_mov_b32 s16, 0
.LBB22_384:
	s_delay_alu instid0(SALU_CYCLE_1)
	s_and_b32 vcc_lo, exec_lo, s16
	s_cbranch_vccz .LBB22_387
; %bb.385:
	v_cmp_eq_u16_e32 vcc_lo, 11, v4
	s_mov_b32 s0, -1
	s_cbranch_vccz .LBB22_387
; %bb.386:
	v_and_b32_e32 v0, 0xff, v0
	s_mov_b32 s14, -1
	s_mov_b32 s0, 0
	s_delay_alu instid0(VALU_DEP_1)
	v_cmp_ne_u16_e32 vcc_lo, 0xff, v0
	v_cndmask_b32_e64 v0, 0, 1, vcc_lo
	global_store_b8 v[1:2], v0, off
.LBB22_387:
.LBB22_388:
	s_and_not1_b32 vcc_lo, exec_lo, s14
	s_cbranch_vccnz .LBB22_303
.LBB22_389:
	v_add_nc_u32_e32 v10, 0x80, v10
	s_mov_b32 s16, -1
	s_branch .LBB22_498
.LBB22_390:
	s_mov_b32 s13, -1
                                        ; implicit-def: $vgpr0
.LBB22_391:
	s_mov_b32 s14, 0
.LBB22_392:
	s_delay_alu instid0(SALU_CYCLE_1)
	s_and_b32 vcc_lo, exec_lo, s14
	s_cbranch_vccz .LBB22_396
; %bb.393:
	v_cmp_eq_u16_e32 vcc_lo, 29, v11
	s_cbranch_vccz .LBB22_395
; %bb.394:
	global_load_b64 v[0:1], v[2:3], off
	s_mov_b32 s0, -1
	s_mov_b32 s13, 0
	s_branch .LBB22_396
.LBB22_395:
	s_mov_b32 s13, -1
                                        ; implicit-def: $vgpr0
.LBB22_396:
	s_mov_b32 s14, 0
.LBB22_397:
	s_delay_alu instid0(SALU_CYCLE_1)
	s_and_b32 vcc_lo, exec_lo, s14
	s_cbranch_vccz .LBB22_413
; %bb.398:
	v_cmp_gt_i16_e32 vcc_lo, 27, v11
	s_cbranch_vccnz .LBB22_401
; %bb.399:
	v_cmp_lt_i16_e32 vcc_lo, 27, v11
	s_cbranch_vccz .LBB22_402
; %bb.400:
	global_load_b32 v0, v[2:3], off
	s_mov_b32 s0, 0
	s_branch .LBB22_403
.LBB22_401:
	s_mov_b32 s0, -1
                                        ; implicit-def: $vgpr0
	s_branch .LBB22_406
.LBB22_402:
	s_mov_b32 s0, -1
                                        ; implicit-def: $vgpr0
.LBB22_403:
	s_delay_alu instid0(SALU_CYCLE_1)
	s_and_not1_b32 vcc_lo, exec_lo, s0
	s_cbranch_vccnz .LBB22_405
; %bb.404:
	global_load_u16 v0, v[2:3], off
.LBB22_405:
	s_mov_b32 s0, 0
.LBB22_406:
	s_delay_alu instid0(SALU_CYCLE_1)
	s_and_not1_b32 vcc_lo, exec_lo, s0
	s_cbranch_vccnz .LBB22_412
; %bb.407:
	global_load_u8 v1, v[2:3], off
	s_mov_b32 s0, 0
	s_mov_b32 s14, exec_lo
                                        ; implicit-def: $sgpr16
	s_waitcnt vmcnt(0)
	v_cmpx_lt_i16_e32 0x7f, v1
	s_xor_b32 s14, exec_lo, s14
	s_cbranch_execz .LBB22_424
; %bb.408:
	v_cmp_ne_u16_e32 vcc_lo, 0x80, v1
	s_mov_b32 s16, 0
	s_and_b32 s0, vcc_lo, exec_lo
	s_or_saveexec_b32 s14, s14
	v_mov_b32_e32 v0, s16
	s_xor_b32 exec_lo, exec_lo, s14
	s_cbranch_execnz .LBB22_425
.LBB22_409:
	s_or_b32 exec_lo, exec_lo, s14
	s_and_saveexec_b32 s14, s0
	s_cbranch_execz .LBB22_411
.LBB22_410:
	v_and_b32_e32 v0, 0xffff, v1
	s_delay_alu instid0(VALU_DEP_1) | instskip(NEXT) | instid1(VALU_DEP_1)
	v_and_b32_e32 v4, 7, v0
	v_clz_i32_u32_e32 v5, v4
	s_delay_alu instid0(VALU_DEP_1) | instskip(NEXT) | instid1(VALU_DEP_1)
	v_min_u32_e32 v5, 32, v5
	v_subrev_nc_u32_e32 v6, 28, v5
	v_sub_nc_u32_e32 v5, 29, v5
	s_delay_alu instid0(VALU_DEP_2) | instskip(SKIP_1) | instid1(VALU_DEP_2)
	v_lshlrev_b32_e32 v6, v6, v0
	v_bfe_u32 v0, v0, 3, 4
	v_and_b32_e32 v6, 7, v6
	s_delay_alu instid0(VALU_DEP_2) | instskip(NEXT) | instid1(VALU_DEP_2)
	v_cmp_eq_u32_e32 vcc_lo, 0, v0
	v_dual_cndmask_b32 v4, v4, v6 :: v_dual_lshlrev_b32 v1, 24, v1
	v_cndmask_b32_e32 v0, v0, v5, vcc_lo
	s_delay_alu instid0(VALU_DEP_2) | instskip(NEXT) | instid1(VALU_DEP_3)
	v_and_b32_e32 v1, 0x80000000, v1
	v_lshlrev_b32_e32 v4, 20, v4
	s_delay_alu instid0(VALU_DEP_3) | instskip(NEXT) | instid1(VALU_DEP_1)
	v_lshl_add_u32 v0, v0, 23, 0x3b800000
	v_or3_b32 v0, v1, v0, v4
	s_delay_alu instid0(VALU_DEP_1)
	v_cvt_i32_f32_e32 v0, v0
.LBB22_411:
	s_or_b32 exec_lo, exec_lo, s14
.LBB22_412:
	s_mov_b32 s0, -1
.LBB22_413:
	s_mov_b32 s14, 0
.LBB22_414:
	s_delay_alu instid0(SALU_CYCLE_1)
	s_and_b32 vcc_lo, exec_lo, s14
	s_cbranch_vccz .LBB22_447
; %bb.415:
	v_cmp_lt_i16_e32 vcc_lo, 22, v11
	s_cbranch_vccz .LBB22_423
; %bb.416:
	v_cmp_gt_i16_e32 vcc_lo, 24, v11
	s_cbranch_vccnz .LBB22_426
; %bb.417:
	v_cmp_lt_i16_e32 vcc_lo, 24, v11
	s_cbranch_vccz .LBB22_427
; %bb.418:
	global_load_u8 v1, v[2:3], off
	s_mov_b32 s0, 0
	s_mov_b32 s14, exec_lo
                                        ; implicit-def: $sgpr16
	s_waitcnt vmcnt(0)
	v_cmpx_lt_i16_e32 0x7f, v1
	s_xor_b32 s14, exec_lo, s14
	s_cbranch_execz .LBB22_439
; %bb.419:
	v_cmp_ne_u16_e32 vcc_lo, 0x80, v1
	s_mov_b32 s16, 0
	s_and_b32 s0, vcc_lo, exec_lo
	s_or_saveexec_b32 s14, s14
	v_mov_b32_e32 v0, s16
	s_xor_b32 exec_lo, exec_lo, s14
	s_cbranch_execnz .LBB22_440
.LBB22_420:
	s_or_b32 exec_lo, exec_lo, s14
	s_and_saveexec_b32 s14, s0
	s_cbranch_execz .LBB22_422
.LBB22_421:
	v_and_b32_e32 v0, 0xffff, v1
	s_delay_alu instid0(VALU_DEP_1) | instskip(NEXT) | instid1(VALU_DEP_1)
	v_and_b32_e32 v4, 3, v0
	v_clz_i32_u32_e32 v5, v4
	s_delay_alu instid0(VALU_DEP_1) | instskip(NEXT) | instid1(VALU_DEP_1)
	v_min_u32_e32 v5, 32, v5
	v_subrev_nc_u32_e32 v6, 29, v5
	v_sub_nc_u32_e32 v5, 30, v5
	s_delay_alu instid0(VALU_DEP_2) | instskip(SKIP_1) | instid1(VALU_DEP_2)
	v_lshlrev_b32_e32 v6, v6, v0
	v_bfe_u32 v0, v0, 2, 5
	v_and_b32_e32 v6, 3, v6
	s_delay_alu instid0(VALU_DEP_2) | instskip(NEXT) | instid1(VALU_DEP_2)
	v_cmp_eq_u32_e32 vcc_lo, 0, v0
	v_dual_cndmask_b32 v4, v4, v6 :: v_dual_lshlrev_b32 v1, 24, v1
	v_cndmask_b32_e32 v0, v0, v5, vcc_lo
	s_delay_alu instid0(VALU_DEP_2) | instskip(NEXT) | instid1(VALU_DEP_3)
	v_and_b32_e32 v1, 0x80000000, v1
	v_lshlrev_b32_e32 v4, 21, v4
	s_delay_alu instid0(VALU_DEP_3) | instskip(NEXT) | instid1(VALU_DEP_1)
	v_lshl_add_u32 v0, v0, 23, 0x37800000
	v_or3_b32 v0, v1, v0, v4
	s_delay_alu instid0(VALU_DEP_1)
	v_cvt_i32_f32_e32 v0, v0
.LBB22_422:
	s_or_b32 exec_lo, exec_lo, s14
	s_mov_b32 s0, 0
	s_branch .LBB22_428
.LBB22_423:
	s_mov_b32 s14, -1
                                        ; implicit-def: $vgpr0
	s_branch .LBB22_434
.LBB22_424:
	s_or_saveexec_b32 s14, s14
	v_mov_b32_e32 v0, s16
	s_xor_b32 exec_lo, exec_lo, s14
	s_cbranch_execz .LBB22_409
.LBB22_425:
	v_cmp_ne_u16_e32 vcc_lo, 0, v1
	v_mov_b32_e32 v0, 0
	s_and_not1_b32 s0, s0, exec_lo
	s_and_b32 s16, vcc_lo, exec_lo
	s_delay_alu instid0(SALU_CYCLE_1)
	s_or_b32 s0, s0, s16
	s_or_b32 exec_lo, exec_lo, s14
	s_and_saveexec_b32 s14, s0
	s_cbranch_execnz .LBB22_410
	s_branch .LBB22_411
.LBB22_426:
	s_mov_b32 s0, -1
                                        ; implicit-def: $vgpr0
	s_branch .LBB22_431
.LBB22_427:
	s_mov_b32 s0, -1
                                        ; implicit-def: $vgpr0
.LBB22_428:
	s_delay_alu instid0(SALU_CYCLE_1)
	s_and_b32 vcc_lo, exec_lo, s0
	s_cbranch_vccz .LBB22_430
; %bb.429:
	global_load_u8 v0, v[2:3], off
	s_waitcnt vmcnt(0)
	v_lshlrev_b32_e32 v0, 24, v0
	s_delay_alu instid0(VALU_DEP_1) | instskip(NEXT) | instid1(VALU_DEP_1)
	v_and_b32_e32 v1, 0x7f000000, v0
	v_clz_i32_u32_e32 v4, v1
	v_cmp_ne_u32_e32 vcc_lo, 0, v1
	v_add_nc_u32_e32 v6, 0x1000000, v1
	s_delay_alu instid0(VALU_DEP_3) | instskip(NEXT) | instid1(VALU_DEP_1)
	v_min_u32_e32 v4, 32, v4
	v_sub_nc_u32_e64 v4, v4, 4 clamp
	s_delay_alu instid0(VALU_DEP_1) | instskip(SKIP_1) | instid1(VALU_DEP_2)
	v_lshlrev_b32_e32 v5, v4, v1
	v_lshlrev_b32_e32 v4, 23, v4
	v_lshrrev_b32_e32 v5, 4, v5
	s_delay_alu instid0(VALU_DEP_1) | instskip(SKIP_1) | instid1(VALU_DEP_2)
	v_sub_nc_u32_e32 v4, v5, v4
	v_ashrrev_i32_e32 v5, 8, v6
	v_add_nc_u32_e32 v4, 0x3c000000, v4
	s_delay_alu instid0(VALU_DEP_1) | instskip(NEXT) | instid1(VALU_DEP_1)
	v_and_or_b32 v4, 0x7f800000, v5, v4
	v_cndmask_b32_e32 v1, 0, v4, vcc_lo
	s_delay_alu instid0(VALU_DEP_1) | instskip(NEXT) | instid1(VALU_DEP_1)
	v_and_or_b32 v0, 0x80000000, v0, v1
	v_cvt_i32_f32_e32 v0, v0
.LBB22_430:
	s_mov_b32 s0, 0
.LBB22_431:
	s_delay_alu instid0(SALU_CYCLE_1)
	s_and_not1_b32 vcc_lo, exec_lo, s0
	s_cbranch_vccnz .LBB22_433
; %bb.432:
	global_load_u8 v0, v[2:3], off
	s_waitcnt vmcnt(0)
	v_lshlrev_b32_e32 v1, 25, v0
	v_lshlrev_b16 v0, 8, v0
	s_delay_alu instid0(VALU_DEP_2) | instskip(NEXT) | instid1(VALU_DEP_2)
	v_lshrrev_b32_e32 v4, 4, v1
	v_and_or_b32 v5, 0x7f00, v0, 0.5
	v_cmp_gt_u32_e32 vcc_lo, 0x8000000, v1
	v_bfe_i32 v0, v0, 0, 16
	s_delay_alu instid0(VALU_DEP_4) | instskip(NEXT) | instid1(VALU_DEP_1)
	v_or_b32_e32 v4, 0x70000000, v4
	v_dual_add_f32 v5, -0.5, v5 :: v_dual_mul_f32 v4, 0x7800000, v4
	s_delay_alu instid0(VALU_DEP_1) | instskip(NEXT) | instid1(VALU_DEP_1)
	v_cndmask_b32_e32 v1, v4, v5, vcc_lo
	v_and_or_b32 v0, 0x80000000, v0, v1
	s_delay_alu instid0(VALU_DEP_1)
	v_cvt_i32_f32_e32 v0, v0
.LBB22_433:
	s_mov_b32 s14, 0
	s_mov_b32 s0, -1
.LBB22_434:
	s_and_not1_b32 vcc_lo, exec_lo, s14
	s_cbranch_vccnz .LBB22_447
; %bb.435:
	v_cmp_lt_i16_e32 vcc_lo, 14, v11
	s_cbranch_vccz .LBB22_438
; %bb.436:
	v_cmp_eq_u16_e32 vcc_lo, 15, v11
	s_cbranch_vccz .LBB22_441
; %bb.437:
	global_load_u16 v0, v[2:3], off
	s_mov_b32 s0, -1
	s_mov_b32 s13, 0
	s_waitcnt vmcnt(0)
	v_lshlrev_b32_e32 v0, 16, v0
	s_delay_alu instid0(VALU_DEP_1)
	v_cvt_i32_f32_e32 v0, v0
	s_branch .LBB22_442
.LBB22_438:
	s_mov_b32 s14, -1
                                        ; implicit-def: $vgpr0
	s_branch .LBB22_443
.LBB22_439:
	s_or_saveexec_b32 s14, s14
	v_mov_b32_e32 v0, s16
	s_xor_b32 exec_lo, exec_lo, s14
	s_cbranch_execz .LBB22_420
.LBB22_440:
	v_cmp_ne_u16_e32 vcc_lo, 0, v1
	v_mov_b32_e32 v0, 0
	s_and_not1_b32 s0, s0, exec_lo
	s_and_b32 s16, vcc_lo, exec_lo
	s_delay_alu instid0(SALU_CYCLE_1)
	s_or_b32 s0, s0, s16
	s_or_b32 exec_lo, exec_lo, s14
	s_and_saveexec_b32 s14, s0
	s_cbranch_execnz .LBB22_421
	s_branch .LBB22_422
.LBB22_441:
	s_mov_b32 s13, -1
                                        ; implicit-def: $vgpr0
.LBB22_442:
	s_mov_b32 s14, 0
.LBB22_443:
	s_delay_alu instid0(SALU_CYCLE_1)
	s_and_b32 vcc_lo, exec_lo, s14
	s_cbranch_vccz .LBB22_447
; %bb.444:
	v_cmp_eq_u16_e32 vcc_lo, 11, v11
	s_cbranch_vccz .LBB22_446
; %bb.445:
	global_load_u8 v0, v[2:3], off
	s_mov_b32 s13, 0
	s_mov_b32 s0, -1
	s_waitcnt vmcnt(0)
	v_cmp_ne_u16_e32 vcc_lo, 0, v0
	v_cndmask_b32_e64 v0, 0, 1, vcc_lo
	s_branch .LBB22_447
.LBB22_446:
	s_mov_b32 s13, -1
                                        ; implicit-def: $vgpr0
.LBB22_447:
	s_branch .LBB22_256
.LBB22_448:
	v_cmp_gt_i16_e32 vcc_lo, 5, v11
	s_cbranch_vccnz .LBB22_453
; %bb.449:
	v_cmp_gt_i16_e32 vcc_lo, 8, v11
	s_cbranch_vccnz .LBB22_454
; %bb.450:
	;; [unrolled: 3-line block ×3, first 2 shown]
	v_cmp_lt_i16_e32 vcc_lo, 9, v11
	s_cbranch_vccz .LBB22_456
; %bb.452:
	global_load_b64 v[0:1], v[2:3], off
	s_mov_b32 s0, 0
	s_waitcnt vmcnt(0)
	v_cvt_i32_f64_e32 v0, v[0:1]
	s_branch .LBB22_457
.LBB22_453:
	s_mov_b32 s0, -1
                                        ; implicit-def: $vgpr0
	s_branch .LBB22_475
.LBB22_454:
	s_mov_b32 s0, -1
                                        ; implicit-def: $vgpr0
	s_branch .LBB22_463
.LBB22_455:
	s_mov_b32 s0, -1
                                        ; implicit-def: $vgpr0
	s_branch .LBB22_460
.LBB22_456:
	s_mov_b32 s0, -1
                                        ; implicit-def: $vgpr0
.LBB22_457:
	s_delay_alu instid0(SALU_CYCLE_1)
	s_and_not1_b32 vcc_lo, exec_lo, s0
	s_cbranch_vccnz .LBB22_459
; %bb.458:
	global_load_b32 v0, v[2:3], off
	s_waitcnt vmcnt(0)
	v_cvt_i32_f32_e32 v0, v0
.LBB22_459:
	s_mov_b32 s0, 0
.LBB22_460:
	s_delay_alu instid0(SALU_CYCLE_1)
	s_and_not1_b32 vcc_lo, exec_lo, s0
	s_cbranch_vccnz .LBB22_462
; %bb.461:
	global_load_b32 v0, v[2:3], off
	s_waitcnt vmcnt(0)
	v_cvt_i16_f16_e32 v0, v0
.LBB22_462:
	s_mov_b32 s0, 0
.LBB22_463:
	s_delay_alu instid0(SALU_CYCLE_1)
	s_and_not1_b32 vcc_lo, exec_lo, s0
	s_cbranch_vccnz .LBB22_474
; %bb.464:
	v_cmp_gt_i16_e32 vcc_lo, 6, v11
	s_cbranch_vccnz .LBB22_467
; %bb.465:
	v_cmp_lt_i16_e32 vcc_lo, 6, v11
	s_cbranch_vccz .LBB22_468
; %bb.466:
	global_load_b64 v[0:1], v[2:3], off
	s_mov_b32 s0, 0
	s_waitcnt vmcnt(0)
	v_cvt_i32_f64_e32 v0, v[0:1]
	s_branch .LBB22_469
.LBB22_467:
	s_mov_b32 s0, -1
                                        ; implicit-def: $vgpr0
	s_branch .LBB22_472
.LBB22_468:
	s_mov_b32 s0, -1
                                        ; implicit-def: $vgpr0
.LBB22_469:
	s_delay_alu instid0(SALU_CYCLE_1)
	s_and_not1_b32 vcc_lo, exec_lo, s0
	s_cbranch_vccnz .LBB22_471
; %bb.470:
	global_load_b32 v0, v[2:3], off
	s_waitcnt vmcnt(0)
	v_cvt_i32_f32_e32 v0, v0
.LBB22_471:
	s_mov_b32 s0, 0
.LBB22_472:
	s_delay_alu instid0(SALU_CYCLE_1)
	s_and_not1_b32 vcc_lo, exec_lo, s0
	s_cbranch_vccnz .LBB22_474
; %bb.473:
	global_load_u16 v0, v[2:3], off
	s_waitcnt vmcnt(0)
	v_cvt_i16_f16_e32 v0, v0
.LBB22_474:
	s_mov_b32 s0, 0
.LBB22_475:
	s_delay_alu instid0(SALU_CYCLE_1)
	s_and_not1_b32 vcc_lo, exec_lo, s0
	s_cbranch_vccnz .LBB22_495
; %bb.476:
	v_cmp_gt_i16_e32 vcc_lo, 2, v11
	s_cbranch_vccnz .LBB22_480
; %bb.477:
	v_cmp_gt_i16_e32 vcc_lo, 3, v11
	s_cbranch_vccnz .LBB22_481
; %bb.478:
	v_cmp_lt_i16_e32 vcc_lo, 3, v11
	s_cbranch_vccz .LBB22_482
; %bb.479:
	global_load_b64 v[0:1], v[2:3], off
	s_mov_b32 s0, 0
	s_branch .LBB22_483
.LBB22_480:
	s_mov_b32 s0, -1
                                        ; implicit-def: $vgpr0
	s_branch .LBB22_489
.LBB22_481:
	s_mov_b32 s0, -1
                                        ; implicit-def: $vgpr0
	s_branch .LBB22_486
.LBB22_482:
	s_mov_b32 s0, -1
                                        ; implicit-def: $vgpr0
.LBB22_483:
	s_delay_alu instid0(SALU_CYCLE_1)
	s_and_not1_b32 vcc_lo, exec_lo, s0
	s_cbranch_vccnz .LBB22_485
; %bb.484:
	global_load_b32 v0, v[2:3], off
.LBB22_485:
	s_mov_b32 s0, 0
.LBB22_486:
	s_delay_alu instid0(SALU_CYCLE_1)
	s_and_not1_b32 vcc_lo, exec_lo, s0
	s_cbranch_vccnz .LBB22_488
; %bb.487:
	global_load_u16 v0, v[2:3], off
.LBB22_488:
	s_mov_b32 s0, 0
.LBB22_489:
	s_delay_alu instid0(SALU_CYCLE_1)
	s_and_not1_b32 vcc_lo, exec_lo, s0
	s_cbranch_vccnz .LBB22_495
; %bb.490:
	v_cmp_lt_i16_e32 vcc_lo, 0, v11
	s_mov_b32 s0, 0
	s_cbranch_vccz .LBB22_492
; %bb.491:
	global_load_u8 v0, v[2:3], off
	s_branch .LBB22_493
.LBB22_492:
	s_mov_b32 s0, -1
                                        ; implicit-def: $vgpr0
.LBB22_493:
	s_delay_alu instid0(SALU_CYCLE_1)
	s_and_not1_b32 vcc_lo, exec_lo, s0
	s_cbranch_vccnz .LBB22_495
; %bb.494:
	global_load_u8 v0, v[2:3], off
.LBB22_495:
	s_branch .LBB22_257
.LBB22_496:
	s_mov_b32 s16, 0
	s_mov_b32 s0, s9
.LBB22_497:
                                        ; implicit-def: $vgpr10
.LBB22_498:
	s_and_not1_b32 s14, s9, exec_lo
	s_and_b32 s0, s0, exec_lo
	s_and_not1_b32 s17, s11, exec_lo
	s_and_b32 s13, s13, exec_lo
	s_or_b32 s14, s14, s0
	s_or_b32 s13, s17, s13
	s_or_not1_b32 s17, s16, exec_lo
.LBB22_499:
	s_or_b32 exec_lo, exec_lo, s15
	s_mov_b32 s16, 0
	s_mov_b32 s18, 0
	;; [unrolled: 1-line block ×3, first 2 shown]
                                        ; implicit-def: $vgpr2_vgpr3
                                        ; implicit-def: $vgpr0
	s_and_saveexec_b32 s15, s17
	s_cbranch_execz .LBB22_837
; %bb.500:
	s_mov_b32 s0, -1
	s_mov_b32 s17, s13
	s_mov_b32 s18, s14
	s_mov_b32 s16, exec_lo
	v_cmpx_gt_i32_e64 s10, v10
	s_cbranch_execz .LBB22_755
; %bb.501:
	s_waitcnt vmcnt(0)
	v_mul_lo_u32 v0, v10, s3
	v_cmp_gt_i16_e32 vcc_lo, 11, v11
	s_delay_alu instid0(VALU_DEP_2) | instskip(SKIP_1) | instid1(VALU_DEP_1)
	v_ashrrev_i32_e32 v1, 31, v0
	v_add_co_u32 v2, s0, s6, v0
	v_add_co_ci_u32_e64 v3, s0, s7, v1, s0
	s_cbranch_vccnz .LBB22_508
; %bb.502:
	v_cmp_lt_i16_e32 vcc_lo, 25, v11
	s_cbranch_vccz .LBB22_509
; %bb.503:
	v_cmp_lt_i16_e32 vcc_lo, 28, v11
	s_cbranch_vccz .LBB22_510
	;; [unrolled: 3-line block ×4, first 2 shown]
; %bb.506:
	v_cmp_eq_u16_e32 vcc_lo, 46, v11
	s_mov_b32 s18, 0
	s_cbranch_vccz .LBB22_517
; %bb.507:
	global_load_b32 v0, v[2:3], off
	s_mov_b32 s0, -1
	s_mov_b32 s17, 0
	s_waitcnt vmcnt(0)
	v_lshlrev_b32_e32 v0, 16, v0
	s_delay_alu instid0(VALU_DEP_1)
	v_cvt_i32_f32_e32 v0, v0
	s_branch .LBB22_519
.LBB22_508:
	s_mov_b32 s18, -1
	s_mov_b32 s0, 0
	s_mov_b32 s17, s13
                                        ; implicit-def: $vgpr0
	s_branch .LBB22_580
.LBB22_509:
	s_mov_b32 s18, -1
	s_mov_b32 s0, 0
	s_mov_b32 s17, s13
                                        ; implicit-def: $vgpr0
	s_branch .LBB22_546
.LBB22_510:
	s_mov_b32 s18, -1
	s_mov_b32 s0, 0
	s_mov_b32 s17, s13
                                        ; implicit-def: $vgpr0
	s_branch .LBB22_529
.LBB22_511:
	s_mov_b32 s18, -1
	s_mov_b32 s0, 0
	s_mov_b32 s17, s13
                                        ; implicit-def: $vgpr0
	s_branch .LBB22_524
.LBB22_512:
	s_or_saveexec_b32 s17, s17
                                        ; implicit-def: $sgpr18
	s_delay_alu instid0(SALU_CYCLE_1)
	s_xor_b32 exec_lo, exec_lo, s17
	s_cbranch_execz .LBB22_340
.LBB22_513:
	v_add_f32_e64 v6, 0x46000000, |v5|
	s_and_not1_b32 s16, s16, exec_lo
	s_mov_b32 s18, 0
	s_delay_alu instid0(VALU_DEP_1) | instskip(NEXT) | instid1(VALU_DEP_1)
	v_and_b32_e32 v6, 0xff, v6
	v_cmp_ne_u32_e32 vcc_lo, 0, v6
	s_and_b32 s19, vcc_lo, exec_lo
	s_delay_alu instid0(SALU_CYCLE_1)
	s_or_b32 s16, s16, s19
	s_or_b32 exec_lo, exec_lo, s17
	v_mov_b32_e32 v7, s18
	s_and_saveexec_b32 s17, s16
	s_cbranch_execnz .LBB22_341
	s_branch .LBB22_342
.LBB22_514:
	s_mov_b32 s18, -1
	s_mov_b32 s0, 0
	s_mov_b32 s17, s13
	s_branch .LBB22_518
.LBB22_515:
	s_or_saveexec_b32 s17, s17
                                        ; implicit-def: $sgpr18
	s_delay_alu instid0(SALU_CYCLE_1)
	s_xor_b32 exec_lo, exec_lo, s17
	s_cbranch_execz .LBB22_353
.LBB22_516:
	v_add_f32_e64 v6, 0x42800000, |v5|
	s_and_not1_b32 s16, s16, exec_lo
	s_mov_b32 s18, 0
	s_delay_alu instid0(VALU_DEP_1) | instskip(NEXT) | instid1(VALU_DEP_1)
	v_and_b32_e32 v6, 0xff, v6
	v_cmp_ne_u32_e32 vcc_lo, 0, v6
	s_and_b32 s19, vcc_lo, exec_lo
	s_delay_alu instid0(SALU_CYCLE_1)
	s_or_b32 s16, s16, s19
	s_or_b32 exec_lo, exec_lo, s17
	v_mov_b32_e32 v7, s18
	s_and_saveexec_b32 s17, s16
	s_cbranch_execnz .LBB22_354
	s_branch .LBB22_355
.LBB22_517:
	s_mov_b32 s17, -1
	s_mov_b32 s0, 0
.LBB22_518:
                                        ; implicit-def: $vgpr0
.LBB22_519:
	s_and_b32 vcc_lo, exec_lo, s18
	s_cbranch_vccz .LBB22_523
; %bb.520:
	v_cmp_eq_u16_e32 vcc_lo, 44, v11
	s_cbranch_vccz .LBB22_522
; %bb.521:
	global_load_u8 v0, v[2:3], off
	s_mov_b32 s17, 0
	s_mov_b32 s0, -1
	s_waitcnt vmcnt(0)
	v_lshlrev_b32_e32 v1, 23, v0
	v_cmp_ne_u32_e32 vcc_lo, 0, v0
	s_delay_alu instid0(VALU_DEP_2) | instskip(NEXT) | instid1(VALU_DEP_1)
	v_cvt_i32_f32_e32 v1, v1
	v_cndmask_b32_e32 v0, 0, v1, vcc_lo
	s_branch .LBB22_523
.LBB22_522:
	s_mov_b32 s17, -1
                                        ; implicit-def: $vgpr0
.LBB22_523:
	s_mov_b32 s18, 0
.LBB22_524:
	s_delay_alu instid0(SALU_CYCLE_1)
	s_and_b32 vcc_lo, exec_lo, s18
	s_cbranch_vccz .LBB22_528
; %bb.525:
	v_cmp_eq_u16_e32 vcc_lo, 29, v11
	s_cbranch_vccz .LBB22_527
; %bb.526:
	global_load_b64 v[0:1], v[2:3], off
	s_mov_b32 s0, -1
	s_mov_b32 s17, 0
	s_branch .LBB22_528
.LBB22_527:
	s_mov_b32 s17, -1
                                        ; implicit-def: $vgpr0
.LBB22_528:
	s_mov_b32 s18, 0
.LBB22_529:
	s_delay_alu instid0(SALU_CYCLE_1)
	s_and_b32 vcc_lo, exec_lo, s18
	s_cbranch_vccz .LBB22_545
; %bb.530:
	v_cmp_gt_i16_e32 vcc_lo, 27, v11
	s_cbranch_vccnz .LBB22_533
; %bb.531:
	v_cmp_lt_i16_e32 vcc_lo, 27, v11
	s_cbranch_vccz .LBB22_534
; %bb.532:
	global_load_b32 v0, v[2:3], off
	s_mov_b32 s0, 0
	s_branch .LBB22_535
.LBB22_533:
	s_mov_b32 s0, -1
                                        ; implicit-def: $vgpr0
	s_branch .LBB22_538
.LBB22_534:
	s_mov_b32 s0, -1
                                        ; implicit-def: $vgpr0
.LBB22_535:
	s_delay_alu instid0(SALU_CYCLE_1)
	s_and_not1_b32 vcc_lo, exec_lo, s0
	s_cbranch_vccnz .LBB22_537
; %bb.536:
	global_load_u16 v0, v[2:3], off
.LBB22_537:
	s_mov_b32 s0, 0
.LBB22_538:
	s_delay_alu instid0(SALU_CYCLE_1)
	s_and_not1_b32 vcc_lo, exec_lo, s0
	s_cbranch_vccnz .LBB22_544
; %bb.539:
	global_load_u8 v1, v[2:3], off
	s_mov_b32 s0, 0
	s_mov_b32 s18, exec_lo
                                        ; implicit-def: $sgpr19
	s_waitcnt vmcnt(0)
	v_cmpx_lt_i16_e32 0x7f, v1
	s_xor_b32 s18, exec_lo, s18
	s_cbranch_execz .LBB22_556
; %bb.540:
	v_cmp_ne_u16_e32 vcc_lo, 0x80, v1
	s_mov_b32 s19, 0
	s_and_b32 s0, vcc_lo, exec_lo
	s_or_saveexec_b32 s18, s18
	v_mov_b32_e32 v0, s19
	s_xor_b32 exec_lo, exec_lo, s18
	s_cbranch_execnz .LBB22_557
.LBB22_541:
	s_or_b32 exec_lo, exec_lo, s18
	s_and_saveexec_b32 s18, s0
	s_cbranch_execz .LBB22_543
.LBB22_542:
	v_and_b32_e32 v0, 0xffff, v1
	s_delay_alu instid0(VALU_DEP_1) | instskip(NEXT) | instid1(VALU_DEP_1)
	v_and_b32_e32 v4, 7, v0
	v_clz_i32_u32_e32 v5, v4
	s_delay_alu instid0(VALU_DEP_1) | instskip(NEXT) | instid1(VALU_DEP_1)
	v_min_u32_e32 v5, 32, v5
	v_subrev_nc_u32_e32 v6, 28, v5
	v_sub_nc_u32_e32 v5, 29, v5
	s_delay_alu instid0(VALU_DEP_2) | instskip(SKIP_1) | instid1(VALU_DEP_2)
	v_lshlrev_b32_e32 v6, v6, v0
	v_bfe_u32 v0, v0, 3, 4
	v_and_b32_e32 v6, 7, v6
	s_delay_alu instid0(VALU_DEP_2) | instskip(NEXT) | instid1(VALU_DEP_2)
	v_cmp_eq_u32_e32 vcc_lo, 0, v0
	v_dual_cndmask_b32 v4, v4, v6 :: v_dual_lshlrev_b32 v1, 24, v1
	v_cndmask_b32_e32 v0, v0, v5, vcc_lo
	s_delay_alu instid0(VALU_DEP_2) | instskip(NEXT) | instid1(VALU_DEP_3)
	v_and_b32_e32 v1, 0x80000000, v1
	v_lshlrev_b32_e32 v4, 20, v4
	s_delay_alu instid0(VALU_DEP_3) | instskip(NEXT) | instid1(VALU_DEP_1)
	v_lshl_add_u32 v0, v0, 23, 0x3b800000
	v_or3_b32 v0, v1, v0, v4
	s_delay_alu instid0(VALU_DEP_1)
	v_cvt_i32_f32_e32 v0, v0
.LBB22_543:
	s_or_b32 exec_lo, exec_lo, s18
.LBB22_544:
	s_mov_b32 s0, -1
.LBB22_545:
	s_mov_b32 s18, 0
.LBB22_546:
	s_delay_alu instid0(SALU_CYCLE_1)
	s_and_b32 vcc_lo, exec_lo, s18
	s_cbranch_vccz .LBB22_579
; %bb.547:
	v_cmp_lt_i16_e32 vcc_lo, 22, v11
	s_cbranch_vccz .LBB22_555
; %bb.548:
	v_cmp_gt_i16_e32 vcc_lo, 24, v11
	s_cbranch_vccnz .LBB22_558
; %bb.549:
	v_cmp_lt_i16_e32 vcc_lo, 24, v11
	s_cbranch_vccz .LBB22_559
; %bb.550:
	global_load_u8 v1, v[2:3], off
	s_mov_b32 s0, 0
	s_mov_b32 s18, exec_lo
                                        ; implicit-def: $sgpr19
	s_waitcnt vmcnt(0)
	v_cmpx_lt_i16_e32 0x7f, v1
	s_xor_b32 s18, exec_lo, s18
	s_cbranch_execz .LBB22_571
; %bb.551:
	v_cmp_ne_u16_e32 vcc_lo, 0x80, v1
	s_mov_b32 s19, 0
	s_and_b32 s0, vcc_lo, exec_lo
	s_or_saveexec_b32 s18, s18
	v_mov_b32_e32 v0, s19
	s_xor_b32 exec_lo, exec_lo, s18
	s_cbranch_execnz .LBB22_572
.LBB22_552:
	s_or_b32 exec_lo, exec_lo, s18
	s_and_saveexec_b32 s18, s0
	s_cbranch_execz .LBB22_554
.LBB22_553:
	v_and_b32_e32 v0, 0xffff, v1
	s_delay_alu instid0(VALU_DEP_1) | instskip(NEXT) | instid1(VALU_DEP_1)
	v_and_b32_e32 v4, 3, v0
	v_clz_i32_u32_e32 v5, v4
	s_delay_alu instid0(VALU_DEP_1) | instskip(NEXT) | instid1(VALU_DEP_1)
	v_min_u32_e32 v5, 32, v5
	v_subrev_nc_u32_e32 v6, 29, v5
	v_sub_nc_u32_e32 v5, 30, v5
	s_delay_alu instid0(VALU_DEP_2) | instskip(SKIP_1) | instid1(VALU_DEP_2)
	v_lshlrev_b32_e32 v6, v6, v0
	v_bfe_u32 v0, v0, 2, 5
	v_and_b32_e32 v6, 3, v6
	s_delay_alu instid0(VALU_DEP_2) | instskip(NEXT) | instid1(VALU_DEP_2)
	v_cmp_eq_u32_e32 vcc_lo, 0, v0
	v_dual_cndmask_b32 v4, v4, v6 :: v_dual_lshlrev_b32 v1, 24, v1
	v_cndmask_b32_e32 v0, v0, v5, vcc_lo
	s_delay_alu instid0(VALU_DEP_2) | instskip(NEXT) | instid1(VALU_DEP_3)
	v_and_b32_e32 v1, 0x80000000, v1
	v_lshlrev_b32_e32 v4, 21, v4
	s_delay_alu instid0(VALU_DEP_3) | instskip(NEXT) | instid1(VALU_DEP_1)
	v_lshl_add_u32 v0, v0, 23, 0x37800000
	v_or3_b32 v0, v1, v0, v4
	s_delay_alu instid0(VALU_DEP_1)
	v_cvt_i32_f32_e32 v0, v0
.LBB22_554:
	s_or_b32 exec_lo, exec_lo, s18
	s_mov_b32 s0, 0
	s_branch .LBB22_560
.LBB22_555:
	s_mov_b32 s18, -1
                                        ; implicit-def: $vgpr0
	s_branch .LBB22_566
.LBB22_556:
	s_or_saveexec_b32 s18, s18
	v_mov_b32_e32 v0, s19
	s_xor_b32 exec_lo, exec_lo, s18
	s_cbranch_execz .LBB22_541
.LBB22_557:
	v_cmp_ne_u16_e32 vcc_lo, 0, v1
	v_mov_b32_e32 v0, 0
	s_and_not1_b32 s0, s0, exec_lo
	s_and_b32 s19, vcc_lo, exec_lo
	s_delay_alu instid0(SALU_CYCLE_1)
	s_or_b32 s0, s0, s19
	s_or_b32 exec_lo, exec_lo, s18
	s_and_saveexec_b32 s18, s0
	s_cbranch_execnz .LBB22_542
	s_branch .LBB22_543
.LBB22_558:
	s_mov_b32 s0, -1
                                        ; implicit-def: $vgpr0
	s_branch .LBB22_563
.LBB22_559:
	s_mov_b32 s0, -1
                                        ; implicit-def: $vgpr0
.LBB22_560:
	s_delay_alu instid0(SALU_CYCLE_1)
	s_and_b32 vcc_lo, exec_lo, s0
	s_cbranch_vccz .LBB22_562
; %bb.561:
	global_load_u8 v0, v[2:3], off
	s_waitcnt vmcnt(0)
	v_lshlrev_b32_e32 v0, 24, v0
	s_delay_alu instid0(VALU_DEP_1) | instskip(NEXT) | instid1(VALU_DEP_1)
	v_and_b32_e32 v1, 0x7f000000, v0
	v_clz_i32_u32_e32 v4, v1
	v_cmp_ne_u32_e32 vcc_lo, 0, v1
	v_add_nc_u32_e32 v6, 0x1000000, v1
	s_delay_alu instid0(VALU_DEP_3) | instskip(NEXT) | instid1(VALU_DEP_1)
	v_min_u32_e32 v4, 32, v4
	v_sub_nc_u32_e64 v4, v4, 4 clamp
	s_delay_alu instid0(VALU_DEP_1) | instskip(SKIP_1) | instid1(VALU_DEP_2)
	v_lshlrev_b32_e32 v5, v4, v1
	v_lshlrev_b32_e32 v4, 23, v4
	v_lshrrev_b32_e32 v5, 4, v5
	s_delay_alu instid0(VALU_DEP_1) | instskip(SKIP_1) | instid1(VALU_DEP_2)
	v_sub_nc_u32_e32 v4, v5, v4
	v_ashrrev_i32_e32 v5, 8, v6
	v_add_nc_u32_e32 v4, 0x3c000000, v4
	s_delay_alu instid0(VALU_DEP_1) | instskip(NEXT) | instid1(VALU_DEP_1)
	v_and_or_b32 v4, 0x7f800000, v5, v4
	v_cndmask_b32_e32 v1, 0, v4, vcc_lo
	s_delay_alu instid0(VALU_DEP_1) | instskip(NEXT) | instid1(VALU_DEP_1)
	v_and_or_b32 v0, 0x80000000, v0, v1
	v_cvt_i32_f32_e32 v0, v0
.LBB22_562:
	s_mov_b32 s0, 0
.LBB22_563:
	s_delay_alu instid0(SALU_CYCLE_1)
	s_and_not1_b32 vcc_lo, exec_lo, s0
	s_cbranch_vccnz .LBB22_565
; %bb.564:
	global_load_u8 v0, v[2:3], off
	s_waitcnt vmcnt(0)
	v_lshlrev_b32_e32 v1, 25, v0
	v_lshlrev_b16 v0, 8, v0
	s_delay_alu instid0(VALU_DEP_2) | instskip(NEXT) | instid1(VALU_DEP_2)
	v_lshrrev_b32_e32 v4, 4, v1
	v_and_or_b32 v5, 0x7f00, v0, 0.5
	v_cmp_gt_u32_e32 vcc_lo, 0x8000000, v1
	v_bfe_i32 v0, v0, 0, 16
	s_delay_alu instid0(VALU_DEP_4) | instskip(NEXT) | instid1(VALU_DEP_1)
	v_or_b32_e32 v4, 0x70000000, v4
	v_dual_add_f32 v5, -0.5, v5 :: v_dual_mul_f32 v4, 0x7800000, v4
	s_delay_alu instid0(VALU_DEP_1) | instskip(NEXT) | instid1(VALU_DEP_1)
	v_cndmask_b32_e32 v1, v4, v5, vcc_lo
	v_and_or_b32 v0, 0x80000000, v0, v1
	s_delay_alu instid0(VALU_DEP_1)
	v_cvt_i32_f32_e32 v0, v0
.LBB22_565:
	s_mov_b32 s18, 0
	s_mov_b32 s0, -1
.LBB22_566:
	s_and_not1_b32 vcc_lo, exec_lo, s18
	s_cbranch_vccnz .LBB22_579
; %bb.567:
	v_cmp_lt_i16_e32 vcc_lo, 14, v11
	s_cbranch_vccz .LBB22_570
; %bb.568:
	v_cmp_eq_u16_e32 vcc_lo, 15, v11
	s_cbranch_vccz .LBB22_573
; %bb.569:
	global_load_u16 v0, v[2:3], off
	s_mov_b32 s0, -1
	s_mov_b32 s17, 0
	s_waitcnt vmcnt(0)
	v_lshlrev_b32_e32 v0, 16, v0
	s_delay_alu instid0(VALU_DEP_1)
	v_cvt_i32_f32_e32 v0, v0
	s_branch .LBB22_574
.LBB22_570:
	s_mov_b32 s18, -1
                                        ; implicit-def: $vgpr0
	s_branch .LBB22_575
.LBB22_571:
	s_or_saveexec_b32 s18, s18
	v_mov_b32_e32 v0, s19
	s_xor_b32 exec_lo, exec_lo, s18
	s_cbranch_execz .LBB22_552
.LBB22_572:
	v_cmp_ne_u16_e32 vcc_lo, 0, v1
	v_mov_b32_e32 v0, 0
	s_and_not1_b32 s0, s0, exec_lo
	s_and_b32 s19, vcc_lo, exec_lo
	s_delay_alu instid0(SALU_CYCLE_1)
	s_or_b32 s0, s0, s19
	s_or_b32 exec_lo, exec_lo, s18
	s_and_saveexec_b32 s18, s0
	s_cbranch_execnz .LBB22_553
	s_branch .LBB22_554
.LBB22_573:
	s_mov_b32 s17, -1
                                        ; implicit-def: $vgpr0
.LBB22_574:
	s_mov_b32 s18, 0
.LBB22_575:
	s_delay_alu instid0(SALU_CYCLE_1)
	s_and_b32 vcc_lo, exec_lo, s18
	s_cbranch_vccz .LBB22_579
; %bb.576:
	v_cmp_eq_u16_e32 vcc_lo, 11, v11
	s_cbranch_vccz .LBB22_578
; %bb.577:
	global_load_u8 v0, v[2:3], off
	s_mov_b32 s17, 0
	s_mov_b32 s0, -1
	s_waitcnt vmcnt(0)
	v_cmp_ne_u16_e32 vcc_lo, 0, v0
	v_cndmask_b32_e64 v0, 0, 1, vcc_lo
	s_branch .LBB22_579
.LBB22_578:
	s_mov_b32 s17, -1
                                        ; implicit-def: $vgpr0
.LBB22_579:
	s_mov_b32 s18, 0
.LBB22_580:
	s_delay_alu instid0(SALU_CYCLE_1)
	s_and_b32 vcc_lo, exec_lo, s18
	s_cbranch_vccz .LBB22_629
; %bb.581:
	v_cmp_gt_i16_e32 vcc_lo, 5, v11
	s_cbranch_vccnz .LBB22_586
; %bb.582:
	v_cmp_gt_i16_e32 vcc_lo, 8, v11
	s_cbranch_vccnz .LBB22_587
	;; [unrolled: 3-line block ×3, first 2 shown]
; %bb.584:
	v_cmp_lt_i16_e32 vcc_lo, 9, v11
	s_cbranch_vccz .LBB22_589
; %bb.585:
	global_load_b64 v[0:1], v[2:3], off
	s_mov_b32 s0, 0
	s_waitcnt vmcnt(0)
	v_cvt_i32_f64_e32 v0, v[0:1]
	s_branch .LBB22_590
.LBB22_586:
	s_mov_b32 s0, -1
                                        ; implicit-def: $vgpr0
	s_branch .LBB22_608
.LBB22_587:
	s_mov_b32 s0, -1
                                        ; implicit-def: $vgpr0
	s_branch .LBB22_596
.LBB22_588:
	s_mov_b32 s0, -1
                                        ; implicit-def: $vgpr0
	s_branch .LBB22_593
.LBB22_589:
	s_mov_b32 s0, -1
                                        ; implicit-def: $vgpr0
.LBB22_590:
	s_delay_alu instid0(SALU_CYCLE_1)
	s_and_not1_b32 vcc_lo, exec_lo, s0
	s_cbranch_vccnz .LBB22_592
; %bb.591:
	global_load_b32 v0, v[2:3], off
	s_waitcnt vmcnt(0)
	v_cvt_i32_f32_e32 v0, v0
.LBB22_592:
	s_mov_b32 s0, 0
.LBB22_593:
	s_delay_alu instid0(SALU_CYCLE_1)
	s_and_not1_b32 vcc_lo, exec_lo, s0
	s_cbranch_vccnz .LBB22_595
; %bb.594:
	global_load_b32 v0, v[2:3], off
	s_waitcnt vmcnt(0)
	v_cvt_i16_f16_e32 v0, v0
.LBB22_595:
	s_mov_b32 s0, 0
.LBB22_596:
	s_delay_alu instid0(SALU_CYCLE_1)
	s_and_not1_b32 vcc_lo, exec_lo, s0
	s_cbranch_vccnz .LBB22_607
; %bb.597:
	v_cmp_gt_i16_e32 vcc_lo, 6, v11
	s_cbranch_vccnz .LBB22_600
; %bb.598:
	v_cmp_lt_i16_e32 vcc_lo, 6, v11
	s_cbranch_vccz .LBB22_601
; %bb.599:
	global_load_b64 v[0:1], v[2:3], off
	s_mov_b32 s0, 0
	s_waitcnt vmcnt(0)
	v_cvt_i32_f64_e32 v0, v[0:1]
	s_branch .LBB22_602
.LBB22_600:
	s_mov_b32 s0, -1
                                        ; implicit-def: $vgpr0
	s_branch .LBB22_605
.LBB22_601:
	s_mov_b32 s0, -1
                                        ; implicit-def: $vgpr0
.LBB22_602:
	s_delay_alu instid0(SALU_CYCLE_1)
	s_and_not1_b32 vcc_lo, exec_lo, s0
	s_cbranch_vccnz .LBB22_604
; %bb.603:
	global_load_b32 v0, v[2:3], off
	s_waitcnt vmcnt(0)
	v_cvt_i32_f32_e32 v0, v0
.LBB22_604:
	s_mov_b32 s0, 0
.LBB22_605:
	s_delay_alu instid0(SALU_CYCLE_1)
	s_and_not1_b32 vcc_lo, exec_lo, s0
	s_cbranch_vccnz .LBB22_607
; %bb.606:
	global_load_u16 v0, v[2:3], off
	s_waitcnt vmcnt(0)
	v_cvt_i16_f16_e32 v0, v0
.LBB22_607:
	s_mov_b32 s0, 0
.LBB22_608:
	s_delay_alu instid0(SALU_CYCLE_1)
	s_and_not1_b32 vcc_lo, exec_lo, s0
	s_cbranch_vccnz .LBB22_628
; %bb.609:
	v_cmp_gt_i16_e32 vcc_lo, 2, v11
	s_cbranch_vccnz .LBB22_613
; %bb.610:
	v_cmp_gt_i16_e32 vcc_lo, 3, v11
	s_cbranch_vccnz .LBB22_614
; %bb.611:
	v_cmp_lt_i16_e32 vcc_lo, 3, v11
	s_cbranch_vccz .LBB22_615
; %bb.612:
	global_load_b64 v[0:1], v[2:3], off
	s_mov_b32 s0, 0
	s_branch .LBB22_616
.LBB22_613:
	s_mov_b32 s0, -1
                                        ; implicit-def: $vgpr0
	s_branch .LBB22_622
.LBB22_614:
	s_mov_b32 s0, -1
                                        ; implicit-def: $vgpr0
	s_branch .LBB22_619
.LBB22_615:
	s_mov_b32 s0, -1
                                        ; implicit-def: $vgpr0
.LBB22_616:
	s_delay_alu instid0(SALU_CYCLE_1)
	s_and_not1_b32 vcc_lo, exec_lo, s0
	s_cbranch_vccnz .LBB22_618
; %bb.617:
	global_load_b32 v0, v[2:3], off
.LBB22_618:
	s_mov_b32 s0, 0
.LBB22_619:
	s_delay_alu instid0(SALU_CYCLE_1)
	s_and_not1_b32 vcc_lo, exec_lo, s0
	s_cbranch_vccnz .LBB22_621
; %bb.620:
	global_load_u16 v0, v[2:3], off
.LBB22_621:
	s_mov_b32 s0, 0
.LBB22_622:
	s_delay_alu instid0(SALU_CYCLE_1)
	s_and_not1_b32 vcc_lo, exec_lo, s0
	s_cbranch_vccnz .LBB22_628
; %bb.623:
	v_cmp_lt_i16_e32 vcc_lo, 0, v11
	s_mov_b32 s0, 0
	s_cbranch_vccz .LBB22_625
; %bb.624:
	global_load_u8 v0, v[2:3], off
	s_branch .LBB22_626
.LBB22_625:
	s_mov_b32 s0, -1
                                        ; implicit-def: $vgpr0
.LBB22_626:
	s_delay_alu instid0(SALU_CYCLE_1)
	s_and_not1_b32 vcc_lo, exec_lo, s0
	s_cbranch_vccnz .LBB22_628
; %bb.627:
	global_load_u8 v0, v[2:3], off
.LBB22_628:
	s_mov_b32 s0, -1
.LBB22_629:
	s_delay_alu instid0(SALU_CYCLE_1)
	s_and_not1_b32 vcc_lo, exec_lo, s0
	s_cbranch_vccnz .LBB22_637
; %bb.630:
	s_waitcnt vmcnt(0)
	v_mul_lo_u32 v1, v10, s2
	v_and_b32_e32 v4, 0xff, v9
	s_delay_alu instid0(VALU_DEP_3) | instskip(SKIP_2) | instid1(VALU_DEP_2)
	v_xor_b32_e32 v3, -1, v0
	s_mov_b32 s19, -1
	s_mov_b32 s18, 0
	v_cmp_gt_i16_e32 vcc_lo, 11, v4
	s_delay_alu instid0(VALU_DEP_4) | instskip(SKIP_1) | instid1(VALU_DEP_1)
	v_ashrrev_i32_e32 v2, 31, v1
	v_add_co_u32 v1, s0, s4, v1
	v_add_co_ci_u32_e64 v2, s0, s5, v2, s0
	s_mov_b32 s0, s14
	s_cbranch_vccnz .LBB22_638
; %bb.631:
	v_cmp_lt_i16_e32 vcc_lo, 25, v4
	s_cbranch_vccz .LBB22_679
; %bb.632:
	v_cmp_lt_i16_e32 vcc_lo, 28, v4
	s_cbranch_vccz .LBB22_680
	;; [unrolled: 3-line block ×4, first 2 shown]
; %bb.635:
	v_cmp_eq_u16_e32 vcc_lo, 46, v4
	s_mov_b32 s19, 0
	s_mov_b32 s0, -1
	s_cbranch_vccz .LBB22_683
; %bb.636:
	v_bfe_i32 v5, v3, 0, 8
	s_mov_b32 s18, -1
	s_mov_b32 s0, 0
	s_delay_alu instid0(VALU_DEP_1) | instskip(NEXT) | instid1(VALU_DEP_1)
	v_bfe_i32 v5, v5, 0, 16
	v_cvt_f32_i32_e32 v5, v5
	s_delay_alu instid0(VALU_DEP_1) | instskip(NEXT) | instid1(VALU_DEP_1)
	v_bfe_u32 v6, v5, 16, 1
	v_add3_u32 v5, v5, v6, 0x7fff
	s_delay_alu instid0(VALU_DEP_1)
	v_lshrrev_b32_e32 v5, 16, v5
	global_store_b32 v[1:2], v5, off
	s_branch .LBB22_683
.LBB22_637:
	s_mov_b32 s19, 0
	s_mov_b32 s0, s14
	s_branch .LBB22_678
.LBB22_638:
	s_and_b32 vcc_lo, exec_lo, s19
	s_cbranch_vccz .LBB22_752
; %bb.639:
	v_cmp_gt_i16_e32 vcc_lo, 5, v4
	s_mov_b32 s18, -1
	s_cbranch_vccnz .LBB22_660
; %bb.640:
	v_cmp_gt_i16_e32 vcc_lo, 8, v4
	s_cbranch_vccnz .LBB22_650
; %bb.641:
	v_cmp_gt_i16_e32 vcc_lo, 9, v4
	s_cbranch_vccnz .LBB22_647
; %bb.642:
	v_cmp_lt_i16_e32 vcc_lo, 9, v4
	s_cbranch_vccz .LBB22_644
; %bb.643:
	v_bfe_i32 v0, v3, 0, 8
	v_mov_b32_e32 v7, 0
	s_mov_b32 s18, 0
	s_delay_alu instid0(VALU_DEP_2) | instskip(NEXT) | instid1(VALU_DEP_2)
	v_bfe_i32 v0, v0, 0, 16
	v_mov_b32_e32 v8, v7
	s_delay_alu instid0(VALU_DEP_2)
	v_cvt_f64_i32_e32 v[5:6], v0
	global_store_b128 v[1:2], v[5:8], off
.LBB22_644:
	s_and_not1_b32 vcc_lo, exec_lo, s18
	s_cbranch_vccnz .LBB22_646
; %bb.645:
	v_bfe_i32 v0, v3, 0, 8
	v_mov_b32_e32 v6, 0
	s_delay_alu instid0(VALU_DEP_2) | instskip(NEXT) | instid1(VALU_DEP_1)
	v_bfe_i32 v0, v0, 0, 16
	v_cvt_f32_i32_e32 v5, v0
	global_store_b64 v[1:2], v[5:6], off
.LBB22_646:
	s_mov_b32 s18, 0
.LBB22_647:
	s_delay_alu instid0(SALU_CYCLE_1)
	s_and_not1_b32 vcc_lo, exec_lo, s18
	s_cbranch_vccnz .LBB22_649
; %bb.648:
	v_bfe_i32 v0, v3, 0, 8
	s_delay_alu instid0(VALU_DEP_1) | instskip(NEXT) | instid1(VALU_DEP_1)
	v_cvt_f16_i16_e32 v0, v0
	v_and_b32_e32 v0, 0xffff, v0
	global_store_b32 v[1:2], v0, off
.LBB22_649:
	s_mov_b32 s18, 0
.LBB22_650:
	s_delay_alu instid0(SALU_CYCLE_1)
	s_and_not1_b32 vcc_lo, exec_lo, s18
	s_cbranch_vccnz .LBB22_659
; %bb.651:
	v_cmp_gt_i16_e32 vcc_lo, 6, v4
	s_mov_b32 s18, -1
	s_cbranch_vccnz .LBB22_657
; %bb.652:
	v_cmp_lt_i16_e32 vcc_lo, 6, v4
	s_cbranch_vccz .LBB22_654
; %bb.653:
	v_bfe_i32 v0, v3, 0, 8
	s_mov_b32 s18, 0
	s_delay_alu instid0(VALU_DEP_1) | instskip(NEXT) | instid1(VALU_DEP_1)
	v_bfe_i32 v0, v0, 0, 16
	v_cvt_f64_i32_e32 v[5:6], v0
	global_store_b64 v[1:2], v[5:6], off
.LBB22_654:
	s_and_not1_b32 vcc_lo, exec_lo, s18
	s_cbranch_vccnz .LBB22_656
; %bb.655:
	v_bfe_i32 v0, v3, 0, 8
	s_delay_alu instid0(VALU_DEP_1) | instskip(NEXT) | instid1(VALU_DEP_1)
	v_bfe_i32 v0, v0, 0, 16
	v_cvt_f32_i32_e32 v0, v0
	global_store_b32 v[1:2], v0, off
.LBB22_656:
	s_mov_b32 s18, 0
.LBB22_657:
	s_delay_alu instid0(SALU_CYCLE_1)
	s_and_not1_b32 vcc_lo, exec_lo, s18
	s_cbranch_vccnz .LBB22_659
; %bb.658:
	v_bfe_i32 v0, v3, 0, 8
	s_delay_alu instid0(VALU_DEP_1)
	v_cvt_f16_i16_e32 v0, v0
	global_store_b16 v[1:2], v0, off
.LBB22_659:
	s_mov_b32 s18, 0
.LBB22_660:
	s_delay_alu instid0(SALU_CYCLE_1)
	s_and_not1_b32 vcc_lo, exec_lo, s18
	s_cbranch_vccnz .LBB22_676
; %bb.661:
	v_cmp_gt_i16_e32 vcc_lo, 2, v4
	s_mov_b32 s18, -1
	s_cbranch_vccnz .LBB22_671
; %bb.662:
	v_cmp_gt_i16_e32 vcc_lo, 3, v4
	s_cbranch_vccnz .LBB22_668
; %bb.663:
	v_cmp_lt_i16_e32 vcc_lo, 3, v4
	s_cbranch_vccz .LBB22_665
; %bb.664:
	v_bfe_i32 v5, v3, 0, 8
	s_mov_b32 s18, 0
	s_delay_alu instid0(VALU_DEP_1)
	v_ashrrev_i32_e32 v6, 31, v5
	global_store_b64 v[1:2], v[5:6], off
.LBB22_665:
	s_and_not1_b32 vcc_lo, exec_lo, s18
	s_cbranch_vccnz .LBB22_667
; %bb.666:
	v_bfe_i32 v0, v3, 0, 8
	global_store_b32 v[1:2], v0, off
.LBB22_667:
	s_mov_b32 s18, 0
.LBB22_668:
	s_delay_alu instid0(SALU_CYCLE_1)
	s_and_not1_b32 vcc_lo, exec_lo, s18
	s_cbranch_vccnz .LBB22_670
; %bb.669:
	v_bfe_i32 v0, v3, 0, 8
	global_store_b16 v[1:2], v0, off
.LBB22_670:
	s_mov_b32 s18, 0
.LBB22_671:
	s_delay_alu instid0(SALU_CYCLE_1)
	s_and_not1_b32 vcc_lo, exec_lo, s18
	s_cbranch_vccnz .LBB22_676
; %bb.672:
	v_cmp_lt_i16_e32 vcc_lo, 0, v4
	s_mov_b32 s18, -1
	s_cbranch_vccz .LBB22_674
; %bb.673:
	s_mov_b32 s18, 0
	global_store_b8 v[1:2], v3, off
.LBB22_674:
	s_and_not1_b32 vcc_lo, exec_lo, s18
	s_cbranch_vccnz .LBB22_676
; %bb.675:
	global_store_b8 v[1:2], v3, off
.LBB22_676:
	s_branch .LBB22_753
.LBB22_677:
	s_mov_b32 s19, 0
.LBB22_678:
                                        ; implicit-def: $vgpr10
	s_branch .LBB22_754
.LBB22_679:
	s_mov_b32 s0, s14
	s_branch .LBB22_710
.LBB22_680:
	s_mov_b32 s0, s14
	s_branch .LBB22_693
.LBB22_681:
	s_mov_b32 s0, s14
	s_branch .LBB22_689
.LBB22_682:
	s_mov_b32 s0, s14
.LBB22_683:
	s_and_b32 vcc_lo, exec_lo, s19
	s_cbranch_vccz .LBB22_688
; %bb.684:
	v_cmp_eq_u16_e32 vcc_lo, 44, v4
	s_mov_b32 s0, -1
	s_cbranch_vccz .LBB22_688
; %bb.685:
	v_bfe_i32 v5, v3, 0, 8
	v_mov_b32_e32 v6, 0xff
	s_mov_b32 s18, exec_lo
	s_delay_alu instid0(VALU_DEP_2) | instskip(NEXT) | instid1(VALU_DEP_1)
	v_bfe_i32 v5, v5, 0, 16
	v_cvt_f32_i32_e32 v5, v5
	s_delay_alu instid0(VALU_DEP_1) | instskip(NEXT) | instid1(VALU_DEP_1)
	v_bfe_u32 v7, v5, 23, 8
	v_cmpx_ne_u32_e32 0xff, v7
; %bb.686:
	v_and_b32_e32 v6, 0x400000, v5
	v_and_or_b32 v7, 0x3fffff, v5, v7
	v_lshrrev_b32_e32 v5, 23, v5
	s_delay_alu instid0(VALU_DEP_3) | instskip(NEXT) | instid1(VALU_DEP_3)
	v_cmp_ne_u32_e32 vcc_lo, 0, v6
	v_cmp_ne_u32_e64 s0, 0, v7
	s_delay_alu instid0(VALU_DEP_1) | instskip(NEXT) | instid1(SALU_CYCLE_1)
	s_and_b32 s0, vcc_lo, s0
	v_cndmask_b32_e64 v6, 0, 1, s0
	s_delay_alu instid0(VALU_DEP_1)
	v_add_nc_u32_e32 v6, v5, v6
; %bb.687:
	s_or_b32 exec_lo, exec_lo, s18
	s_mov_b32 s18, -1
	s_mov_b32 s0, 0
	global_store_b8 v[1:2], v6, off
.LBB22_688:
	s_mov_b32 s19, 0
.LBB22_689:
	s_delay_alu instid0(SALU_CYCLE_1)
	s_and_b32 vcc_lo, exec_lo, s19
	s_cbranch_vccz .LBB22_692
; %bb.690:
	v_cmp_eq_u16_e32 vcc_lo, 29, v4
	s_mov_b32 s0, -1
	s_cbranch_vccz .LBB22_692
; %bb.691:
	v_bfe_i32 v5, v3, 0, 8
	s_mov_b32 s18, -1
	s_mov_b32 s0, 0
	s_mov_b32 s19, 0
	s_delay_alu instid0(VALU_DEP_1)
	v_ashrrev_i32_e32 v6, 31, v5
	global_store_b64 v[1:2], v[5:6], off
	s_branch .LBB22_693
.LBB22_692:
	s_mov_b32 s19, 0
.LBB22_693:
	s_delay_alu instid0(SALU_CYCLE_1)
	s_and_b32 vcc_lo, exec_lo, s19
	s_cbranch_vccz .LBB22_709
; %bb.694:
	v_cmp_gt_i16_e32 vcc_lo, 27, v4
	s_mov_b32 s18, -1
	s_cbranch_vccnz .LBB22_700
; %bb.695:
	v_cmp_lt_i16_e32 vcc_lo, 27, v4
	s_cbranch_vccz .LBB22_697
; %bb.696:
	v_bfe_i32 v5, v3, 0, 8
	s_mov_b32 s18, 0
	global_store_b32 v[1:2], v5, off
.LBB22_697:
	s_and_not1_b32 vcc_lo, exec_lo, s18
	s_cbranch_vccnz .LBB22_699
; %bb.698:
	v_bfe_i32 v5, v3, 0, 8
	global_store_b16 v[1:2], v5, off
.LBB22_699:
	s_mov_b32 s18, 0
.LBB22_700:
	s_delay_alu instid0(SALU_CYCLE_1)
	s_and_not1_b32 vcc_lo, exec_lo, s18
	s_cbranch_vccnz .LBB22_708
; %bb.701:
	v_bfe_i32 v5, v3, 0, 8
	v_mov_b32_e32 v7, 0x80
	s_mov_b32 s18, exec_lo
	s_delay_alu instid0(VALU_DEP_2) | instskip(NEXT) | instid1(VALU_DEP_1)
	v_bfe_i32 v5, v5, 0, 16
	v_cvt_f32_i32_e32 v5, v5
	s_delay_alu instid0(VALU_DEP_1) | instskip(NEXT) | instid1(VALU_DEP_1)
	v_and_b32_e32 v6, 0x7fffffff, v5
	v_cmpx_gt_u32_e32 0x43800000, v6
	s_cbranch_execz .LBB22_707
; %bb.702:
	v_cmp_lt_u32_e32 vcc_lo, 0x3bffffff, v6
	s_mov_b32 s19, 0
                                        ; implicit-def: $vgpr6
	s_and_saveexec_b32 s20, vcc_lo
	s_delay_alu instid0(SALU_CYCLE_1)
	s_xor_b32 s20, exec_lo, s20
	s_cbranch_execz .LBB22_768
; %bb.703:
	v_bfe_u32 v6, v5, 20, 1
	s_mov_b32 s19, exec_lo
	s_delay_alu instid0(VALU_DEP_1) | instskip(NEXT) | instid1(VALU_DEP_1)
	v_add3_u32 v6, v5, v6, 0x487ffff
	v_lshrrev_b32_e32 v6, 20, v6
	s_or_saveexec_b32 s20, s20
                                        ; implicit-def: $sgpr21
	s_delay_alu instid0(SALU_CYCLE_1)
	s_xor_b32 exec_lo, exec_lo, s20
	s_cbranch_execnz .LBB22_769
.LBB22_704:
	s_or_b32 exec_lo, exec_lo, s20
	v_mov_b32_e32 v7, s21
	s_and_saveexec_b32 s20, s19
.LBB22_705:
	v_lshrrev_b32_e32 v5, 24, v5
	s_delay_alu instid0(VALU_DEP_1)
	v_and_or_b32 v7, 0x80, v5, v6
.LBB22_706:
	s_or_b32 exec_lo, exec_lo, s20
.LBB22_707:
	s_delay_alu instid0(SALU_CYCLE_1)
	s_or_b32 exec_lo, exec_lo, s18
	global_store_b8 v[1:2], v7, off
.LBB22_708:
	s_mov_b32 s18, -1
.LBB22_709:
	s_mov_b32 s19, 0
.LBB22_710:
	s_delay_alu instid0(SALU_CYCLE_1)
	s_and_b32 vcc_lo, exec_lo, s19
	s_cbranch_vccz .LBB22_751
; %bb.711:
	v_cmp_lt_i16_e32 vcc_lo, 22, v4
	s_mov_b32 s19, -1
	s_cbranch_vccz .LBB22_743
; %bb.712:
	v_cmp_gt_i16_e32 vcc_lo, 24, v4
	s_mov_b32 s18, -1
	s_cbranch_vccnz .LBB22_732
; %bb.713:
	v_cmp_lt_i16_e32 vcc_lo, 24, v4
	s_cbranch_vccz .LBB22_721
; %bb.714:
	v_bfe_i32 v5, v3, 0, 8
	v_mov_b32_e32 v7, 0x80
	s_mov_b32 s18, exec_lo
	s_delay_alu instid0(VALU_DEP_2) | instskip(NEXT) | instid1(VALU_DEP_1)
	v_bfe_i32 v5, v5, 0, 16
	v_cvt_f32_i32_e32 v5, v5
	s_delay_alu instid0(VALU_DEP_1) | instskip(NEXT) | instid1(VALU_DEP_1)
	v_and_b32_e32 v6, 0x7fffffff, v5
	v_cmpx_gt_u32_e32 0x47800000, v6
	s_cbranch_execz .LBB22_720
; %bb.715:
	v_cmp_lt_u32_e32 vcc_lo, 0x37ffffff, v6
	s_mov_b32 s19, 0
                                        ; implicit-def: $vgpr6
	s_and_saveexec_b32 s20, vcc_lo
	s_delay_alu instid0(SALU_CYCLE_1)
	s_xor_b32 s20, exec_lo, s20
	s_cbranch_execz .LBB22_771
; %bb.716:
	v_bfe_u32 v6, v5, 21, 1
	s_mov_b32 s19, exec_lo
	s_delay_alu instid0(VALU_DEP_1) | instskip(NEXT) | instid1(VALU_DEP_1)
	v_add3_u32 v6, v5, v6, 0x88fffff
	v_lshrrev_b32_e32 v6, 21, v6
	s_or_saveexec_b32 s20, s20
                                        ; implicit-def: $sgpr21
	s_delay_alu instid0(SALU_CYCLE_1)
	s_xor_b32 exec_lo, exec_lo, s20
	s_cbranch_execnz .LBB22_772
.LBB22_717:
	s_or_b32 exec_lo, exec_lo, s20
	v_mov_b32_e32 v7, s21
	s_and_saveexec_b32 s20, s19
.LBB22_718:
	v_lshrrev_b32_e32 v5, 24, v5
	s_delay_alu instid0(VALU_DEP_1)
	v_and_or_b32 v7, 0x80, v5, v6
.LBB22_719:
	s_or_b32 exec_lo, exec_lo, s20
.LBB22_720:
	s_delay_alu instid0(SALU_CYCLE_1)
	s_or_b32 exec_lo, exec_lo, s18
	s_mov_b32 s18, 0
	global_store_b8 v[1:2], v7, off
.LBB22_721:
	s_and_b32 vcc_lo, exec_lo, s18
	s_cbranch_vccz .LBB22_731
; %bb.722:
	v_bfe_i32 v5, v3, 0, 8
	s_mov_b32 s18, exec_lo
                                        ; implicit-def: $vgpr6
	s_delay_alu instid0(VALU_DEP_1) | instskip(NEXT) | instid1(VALU_DEP_1)
	v_bfe_i32 v5, v5, 0, 16
	v_cvt_f32_i32_e32 v5, v5
	s_delay_alu instid0(VALU_DEP_1) | instskip(NEXT) | instid1(VALU_DEP_1)
	v_and_b32_e32 v7, 0x7fffffff, v5
	v_cmpx_gt_u32_e32 0x43f00000, v7
	s_xor_b32 s18, exec_lo, s18
	s_cbranch_execz .LBB22_728
; %bb.723:
	s_mov_b32 s19, exec_lo
                                        ; implicit-def: $vgpr6
	v_cmpx_lt_u32_e32 0x3c7fffff, v7
	s_xor_b32 s19, exec_lo, s19
; %bb.724:
	v_bfe_u32 v6, v5, 20, 1
	s_delay_alu instid0(VALU_DEP_1) | instskip(NEXT) | instid1(VALU_DEP_1)
	v_add3_u32 v6, v5, v6, 0x407ffff
	v_and_b32_e32 v7, 0xff00000, v6
	v_lshrrev_b32_e32 v6, 20, v6
	s_delay_alu instid0(VALU_DEP_2) | instskip(NEXT) | instid1(VALU_DEP_2)
	v_cmp_ne_u32_e32 vcc_lo, 0x7f00000, v7
	v_cndmask_b32_e32 v6, 0x7e, v6, vcc_lo
; %bb.725:
	s_and_not1_saveexec_b32 s19, s19
; %bb.726:
	v_add_f32_e64 v6, 0x46800000, |v5|
; %bb.727:
	s_or_b32 exec_lo, exec_lo, s19
                                        ; implicit-def: $vgpr7
.LBB22_728:
	s_and_not1_saveexec_b32 s18, s18
; %bb.729:
	v_mov_b32_e32 v6, 0x7f
	v_cmp_lt_u32_e32 vcc_lo, 0x7f800000, v7
	s_delay_alu instid0(VALU_DEP_2)
	v_cndmask_b32_e32 v6, 0x7e, v6, vcc_lo
; %bb.730:
	s_or_b32 exec_lo, exec_lo, s18
	v_lshrrev_b32_e32 v5, 24, v5
	s_delay_alu instid0(VALU_DEP_1)
	v_and_or_b32 v5, 0x80, v5, v6
	global_store_b8 v[1:2], v5, off
.LBB22_731:
	s_mov_b32 s18, 0
.LBB22_732:
	s_delay_alu instid0(SALU_CYCLE_1)
	s_and_not1_b32 vcc_lo, exec_lo, s18
	s_cbranch_vccnz .LBB22_742
; %bb.733:
	v_bfe_i32 v5, v3, 0, 8
	s_mov_b32 s18, exec_lo
                                        ; implicit-def: $vgpr6
	s_delay_alu instid0(VALU_DEP_1) | instskip(NEXT) | instid1(VALU_DEP_1)
	v_bfe_i32 v5, v5, 0, 16
	v_cvt_f32_i32_e32 v5, v5
	s_delay_alu instid0(VALU_DEP_1) | instskip(NEXT) | instid1(VALU_DEP_1)
	v_and_b32_e32 v7, 0x7fffffff, v5
	v_cmpx_gt_u32_e32 0x47800000, v7
	s_xor_b32 s18, exec_lo, s18
	s_cbranch_execz .LBB22_739
; %bb.734:
	s_mov_b32 s19, exec_lo
                                        ; implicit-def: $vgpr6
	v_cmpx_lt_u32_e32 0x387fffff, v7
	s_xor_b32 s19, exec_lo, s19
; %bb.735:
	v_bfe_u32 v6, v5, 21, 1
	s_delay_alu instid0(VALU_DEP_1) | instskip(NEXT) | instid1(VALU_DEP_1)
	v_add3_u32 v6, v5, v6, 0x80fffff
	v_lshrrev_b32_e32 v6, 21, v6
; %bb.736:
	s_and_not1_saveexec_b32 s19, s19
; %bb.737:
	v_add_f32_e64 v6, 0x43000000, |v5|
; %bb.738:
	s_or_b32 exec_lo, exec_lo, s19
                                        ; implicit-def: $vgpr7
.LBB22_739:
	s_and_not1_saveexec_b32 s18, s18
; %bb.740:
	v_mov_b32_e32 v6, 0x7f
	v_cmp_lt_u32_e32 vcc_lo, 0x7f800000, v7
	s_delay_alu instid0(VALU_DEP_2)
	v_cndmask_b32_e32 v6, 0x7c, v6, vcc_lo
; %bb.741:
	s_or_b32 exec_lo, exec_lo, s18
	v_lshrrev_b32_e32 v5, 24, v5
	s_delay_alu instid0(VALU_DEP_1)
	v_and_or_b32 v5, 0x80, v5, v6
	global_store_b8 v[1:2], v5, off
.LBB22_742:
	s_mov_b32 s19, 0
	s_mov_b32 s18, -1
.LBB22_743:
	s_and_not1_b32 vcc_lo, exec_lo, s19
	s_cbranch_vccnz .LBB22_751
; %bb.744:
	v_cmp_lt_i16_e32 vcc_lo, 14, v4
	s_mov_b32 s19, -1
	s_cbranch_vccz .LBB22_748
; %bb.745:
	v_cmp_eq_u16_e32 vcc_lo, 15, v4
	s_mov_b32 s0, -1
	s_cbranch_vccz .LBB22_747
; %bb.746:
	v_bfe_i32 v5, v3, 0, 8
	s_mov_b32 s18, -1
	s_mov_b32 s0, 0
	s_delay_alu instid0(VALU_DEP_1) | instskip(NEXT) | instid1(VALU_DEP_1)
	v_bfe_i32 v5, v5, 0, 16
	v_cvt_f32_i32_e32 v5, v5
	s_delay_alu instid0(VALU_DEP_1) | instskip(NEXT) | instid1(VALU_DEP_1)
	v_bfe_u32 v6, v5, 16, 1
	v_add3_u32 v5, v5, v6, 0x7fff
	global_store_d16_hi_b16 v[1:2], v5, off
.LBB22_747:
	s_mov_b32 s19, 0
.LBB22_748:
	s_delay_alu instid0(SALU_CYCLE_1)
	s_and_b32 vcc_lo, exec_lo, s19
	s_cbranch_vccz .LBB22_751
; %bb.749:
	v_cmp_eq_u16_e32 vcc_lo, 11, v4
	s_mov_b32 s0, -1
	s_cbranch_vccz .LBB22_751
; %bb.750:
	v_and_b32_e32 v0, 0xff, v0
	s_mov_b32 s18, -1
	s_mov_b32 s0, 0
	s_delay_alu instid0(VALU_DEP_1)
	v_cmp_ne_u16_e32 vcc_lo, 0xff, v0
	v_cndmask_b32_e64 v0, 0, 1, vcc_lo
	global_store_b8 v[1:2], v0, off
.LBB22_751:
.LBB22_752:
	s_and_not1_b32 vcc_lo, exec_lo, s18
	s_cbranch_vccnz .LBB22_677
.LBB22_753:
	v_add_nc_u32_e32 v10, 0x80, v10
	s_mov_b32 s19, -1
.LBB22_754:
	s_and_not1_b32 s18, s14, exec_lo
	s_and_b32 s0, s0, exec_lo
	s_and_not1_b32 s20, s13, exec_lo
	s_and_b32 s17, s17, exec_lo
	s_or_b32 s18, s18, s0
	s_or_b32 s17, s20, s17
	s_or_not1_b32 s0, s19, exec_lo
.LBB22_755:
	s_or_b32 exec_lo, exec_lo, s16
	s_mov_b32 s19, 0
	s_mov_b32 s20, 0
	;; [unrolled: 1-line block ×3, first 2 shown]
                                        ; implicit-def: $vgpr2_vgpr3
                                        ; implicit-def: $vgpr0
	s_and_saveexec_b32 s16, s0
	s_cbranch_execz .LBB22_836
; %bb.756:
	v_cmp_gt_i32_e32 vcc_lo, s10, v10
	s_mov_b32 s0, 0
	s_mov_b32 s19, s17
                                        ; implicit-def: $vgpr2_vgpr3
                                        ; implicit-def: $vgpr0
	s_and_saveexec_b32 s10, vcc_lo
	s_cbranch_execz .LBB22_835
; %bb.757:
	s_waitcnt vmcnt(0)
	v_mul_lo_u32 v0, v10, s3
	v_cmp_gt_i16_e32 vcc_lo, 11, v11
	s_delay_alu instid0(VALU_DEP_2) | instskip(SKIP_1) | instid1(VALU_DEP_1)
	v_ashrrev_i32_e32 v1, 31, v0
	v_add_co_u32 v2, s0, s6, v0
	v_add_co_ci_u32_e64 v3, s0, s7, v1, s0
	s_cbranch_vccnz .LBB22_764
; %bb.758:
	v_cmp_lt_i16_e32 vcc_lo, 25, v11
	s_mov_b32 s19, 0
	s_cbranch_vccz .LBB22_765
; %bb.759:
	v_cmp_lt_i16_e32 vcc_lo, 28, v11
	s_cbranch_vccz .LBB22_766
; %bb.760:
	v_cmp_lt_i16_e32 vcc_lo, 43, v11
	;; [unrolled: 3-line block ×3, first 2 shown]
	s_cbranch_vccz .LBB22_770
; %bb.762:
	v_cmp_eq_u16_e32 vcc_lo, 46, v11
	s_cbranch_vccz .LBB22_773
; %bb.763:
	global_load_b32 v0, v[2:3], off
	s_mov_b32 s0, 0
	s_mov_b32 s20, -1
	s_waitcnt vmcnt(0)
	v_lshlrev_b32_e32 v0, 16, v0
	s_delay_alu instid0(VALU_DEP_1)
	v_cvt_i32_f32_e32 v0, v0
	s_branch .LBB22_775
.LBB22_764:
	s_mov_b32 s22, -1
	s_mov_b32 s19, 0
	s_mov_b32 s0, s17
                                        ; implicit-def: $vgpr0
	s_branch .LBB22_834
.LBB22_765:
	s_mov_b32 s21, -1
	s_mov_b32 s0, s17
                                        ; implicit-def: $vgpr0
	s_branch .LBB22_802
.LBB22_766:
	s_mov_b32 s21, -1
	s_mov_b32 s0, s17
                                        ; implicit-def: $vgpr0
	s_branch .LBB22_785
.LBB22_767:
	s_mov_b32 s21, -1
	s_mov_b32 s0, s17
                                        ; implicit-def: $vgpr0
	s_branch .LBB22_780
.LBB22_768:
	s_or_saveexec_b32 s20, s20
                                        ; implicit-def: $sgpr21
	s_delay_alu instid0(SALU_CYCLE_1)
	s_xor_b32 exec_lo, exec_lo, s20
	s_cbranch_execz .LBB22_704
.LBB22_769:
	v_add_f32_e64 v6, 0x46000000, |v5|
	s_and_not1_b32 s19, s19, exec_lo
	s_mov_b32 s21, 0
	s_delay_alu instid0(VALU_DEP_1) | instskip(NEXT) | instid1(VALU_DEP_1)
	v_and_b32_e32 v6, 0xff, v6
	v_cmp_ne_u32_e32 vcc_lo, 0, v6
	s_and_b32 s22, vcc_lo, exec_lo
	s_delay_alu instid0(SALU_CYCLE_1)
	s_or_b32 s19, s19, s22
	s_or_b32 exec_lo, exec_lo, s20
	v_mov_b32_e32 v7, s21
	s_and_saveexec_b32 s20, s19
	s_cbranch_execnz .LBB22_705
	s_branch .LBB22_706
.LBB22_770:
	s_mov_b32 s21, -1
	s_mov_b32 s0, s17
	s_branch .LBB22_774
.LBB22_771:
	s_or_saveexec_b32 s20, s20
                                        ; implicit-def: $sgpr21
	s_delay_alu instid0(SALU_CYCLE_1)
	s_xor_b32 exec_lo, exec_lo, s20
	s_cbranch_execz .LBB22_717
.LBB22_772:
	v_add_f32_e64 v6, 0x42800000, |v5|
	s_and_not1_b32 s19, s19, exec_lo
	s_mov_b32 s21, 0
	s_delay_alu instid0(VALU_DEP_1) | instskip(NEXT) | instid1(VALU_DEP_1)
	v_and_b32_e32 v6, 0xff, v6
	v_cmp_ne_u32_e32 vcc_lo, 0, v6
	s_and_b32 s22, vcc_lo, exec_lo
	s_delay_alu instid0(SALU_CYCLE_1)
	s_or_b32 s19, s19, s22
	s_or_b32 exec_lo, exec_lo, s20
	v_mov_b32_e32 v7, s21
	s_and_saveexec_b32 s20, s19
	s_cbranch_execnz .LBB22_718
	s_branch .LBB22_719
.LBB22_773:
	s_mov_b32 s0, -1
.LBB22_774:
                                        ; implicit-def: $vgpr0
.LBB22_775:
	s_and_b32 vcc_lo, exec_lo, s21
	s_cbranch_vccz .LBB22_779
; %bb.776:
	v_cmp_eq_u16_e32 vcc_lo, 44, v11
	s_cbranch_vccz .LBB22_778
; %bb.777:
	global_load_u8 v0, v[2:3], off
	s_mov_b32 s0, 0
	s_mov_b32 s20, -1
	s_waitcnt vmcnt(0)
	v_lshlrev_b32_e32 v1, 23, v0
	v_cmp_ne_u32_e32 vcc_lo, 0, v0
	s_delay_alu instid0(VALU_DEP_2) | instskip(NEXT) | instid1(VALU_DEP_1)
	v_cvt_i32_f32_e32 v1, v1
	v_cndmask_b32_e32 v0, 0, v1, vcc_lo
	s_branch .LBB22_779
.LBB22_778:
	s_mov_b32 s0, -1
                                        ; implicit-def: $vgpr0
.LBB22_779:
	s_mov_b32 s21, 0
.LBB22_780:
	s_delay_alu instid0(SALU_CYCLE_1)
	s_and_b32 vcc_lo, exec_lo, s21
	s_cbranch_vccz .LBB22_784
; %bb.781:
	v_cmp_eq_u16_e32 vcc_lo, 29, v11
	s_cbranch_vccz .LBB22_783
; %bb.782:
	global_load_b64 v[0:1], v[2:3], off
	s_mov_b32 s0, 0
	s_mov_b32 s20, -1
	s_branch .LBB22_784
.LBB22_783:
	s_mov_b32 s0, -1
                                        ; implicit-def: $vgpr0
.LBB22_784:
	s_mov_b32 s21, 0
.LBB22_785:
	s_delay_alu instid0(SALU_CYCLE_1)
	s_and_b32 vcc_lo, exec_lo, s21
	s_cbranch_vccz .LBB22_801
; %bb.786:
	v_cmp_gt_i16_e32 vcc_lo, 27, v11
	s_cbranch_vccnz .LBB22_789
; %bb.787:
	v_cmp_lt_i16_e32 vcc_lo, 27, v11
	s_cbranch_vccz .LBB22_790
; %bb.788:
	global_load_b32 v0, v[2:3], off
	s_mov_b32 s20, 0
	s_branch .LBB22_791
.LBB22_789:
	s_mov_b32 s20, -1
                                        ; implicit-def: $vgpr0
	s_branch .LBB22_794
.LBB22_790:
	s_mov_b32 s20, -1
                                        ; implicit-def: $vgpr0
.LBB22_791:
	s_delay_alu instid0(SALU_CYCLE_1)
	s_and_not1_b32 vcc_lo, exec_lo, s20
	s_cbranch_vccnz .LBB22_793
; %bb.792:
	global_load_u16 v0, v[2:3], off
.LBB22_793:
	s_mov_b32 s20, 0
.LBB22_794:
	s_delay_alu instid0(SALU_CYCLE_1)
	s_and_not1_b32 vcc_lo, exec_lo, s20
	s_cbranch_vccnz .LBB22_800
; %bb.795:
	global_load_u8 v1, v[2:3], off
	s_mov_b32 s20, 0
	s_mov_b32 s21, exec_lo
                                        ; implicit-def: $sgpr22
	s_waitcnt vmcnt(0)
	v_cmpx_lt_i16_e32 0x7f, v1
	s_xor_b32 s21, exec_lo, s21
	s_cbranch_execz .LBB22_812
; %bb.796:
	v_cmp_ne_u16_e32 vcc_lo, 0x80, v1
	s_mov_b32 s22, 0
	s_and_b32 s20, vcc_lo, exec_lo
	s_or_saveexec_b32 s21, s21
	v_mov_b32_e32 v0, s22
	s_xor_b32 exec_lo, exec_lo, s21
	s_cbranch_execnz .LBB22_813
.LBB22_797:
	s_or_b32 exec_lo, exec_lo, s21
	s_and_saveexec_b32 s21, s20
	s_cbranch_execz .LBB22_799
.LBB22_798:
	v_and_b32_e32 v0, 0xffff, v1
	s_delay_alu instid0(VALU_DEP_1) | instskip(NEXT) | instid1(VALU_DEP_1)
	v_and_b32_e32 v4, 7, v0
	v_clz_i32_u32_e32 v5, v4
	s_delay_alu instid0(VALU_DEP_1) | instskip(NEXT) | instid1(VALU_DEP_1)
	v_min_u32_e32 v5, 32, v5
	v_subrev_nc_u32_e32 v6, 28, v5
	v_sub_nc_u32_e32 v5, 29, v5
	s_delay_alu instid0(VALU_DEP_2) | instskip(SKIP_1) | instid1(VALU_DEP_2)
	v_lshlrev_b32_e32 v6, v6, v0
	v_bfe_u32 v0, v0, 3, 4
	v_and_b32_e32 v6, 7, v6
	s_delay_alu instid0(VALU_DEP_2) | instskip(NEXT) | instid1(VALU_DEP_2)
	v_cmp_eq_u32_e32 vcc_lo, 0, v0
	v_dual_cndmask_b32 v4, v4, v6 :: v_dual_lshlrev_b32 v1, 24, v1
	v_cndmask_b32_e32 v0, v0, v5, vcc_lo
	s_delay_alu instid0(VALU_DEP_2) | instskip(NEXT) | instid1(VALU_DEP_3)
	v_and_b32_e32 v1, 0x80000000, v1
	v_lshlrev_b32_e32 v4, 20, v4
	s_delay_alu instid0(VALU_DEP_3) | instskip(NEXT) | instid1(VALU_DEP_1)
	v_lshl_add_u32 v0, v0, 23, 0x3b800000
	v_or3_b32 v0, v1, v0, v4
	s_delay_alu instid0(VALU_DEP_1)
	v_cvt_i32_f32_e32 v0, v0
.LBB22_799:
	s_or_b32 exec_lo, exec_lo, s21
.LBB22_800:
	s_mov_b32 s20, -1
.LBB22_801:
	s_mov_b32 s21, 0
.LBB22_802:
	s_delay_alu instid0(SALU_CYCLE_1)
	s_and_b32 vcc_lo, exec_lo, s21
	s_cbranch_vccz .LBB22_833
; %bb.803:
	v_cmp_lt_i16_e32 vcc_lo, 22, v11
	s_cbranch_vccz .LBB22_811
; %bb.804:
	v_cmp_gt_i16_e32 vcc_lo, 24, v11
	s_cbranch_vccnz .LBB22_814
; %bb.805:
	v_cmp_lt_i16_e32 vcc_lo, 24, v11
	s_cbranch_vccz .LBB22_815
; %bb.806:
	global_load_u8 v1, v[2:3], off
	s_mov_b32 s20, exec_lo
                                        ; implicit-def: $sgpr21
	s_waitcnt vmcnt(0)
	v_cmpx_lt_i16_e32 0x7f, v1
	s_xor_b32 s20, exec_lo, s20
	s_cbranch_execz .LBB22_827
; %bb.807:
	v_cmp_ne_u16_e32 vcc_lo, 0x80, v1
	s_mov_b32 s21, 0
	s_and_b32 s19, vcc_lo, exec_lo
	s_or_saveexec_b32 s20, s20
	v_mov_b32_e32 v0, s21
	s_xor_b32 exec_lo, exec_lo, s20
	s_cbranch_execnz .LBB22_828
.LBB22_808:
	s_or_b32 exec_lo, exec_lo, s20
	s_and_saveexec_b32 s20, s19
	s_cbranch_execz .LBB22_810
.LBB22_809:
	v_and_b32_e32 v0, 0xffff, v1
	s_delay_alu instid0(VALU_DEP_1) | instskip(NEXT) | instid1(VALU_DEP_1)
	v_and_b32_e32 v4, 3, v0
	v_clz_i32_u32_e32 v5, v4
	s_delay_alu instid0(VALU_DEP_1) | instskip(NEXT) | instid1(VALU_DEP_1)
	v_min_u32_e32 v5, 32, v5
	v_subrev_nc_u32_e32 v6, 29, v5
	v_sub_nc_u32_e32 v5, 30, v5
	s_delay_alu instid0(VALU_DEP_2) | instskip(SKIP_1) | instid1(VALU_DEP_2)
	v_lshlrev_b32_e32 v6, v6, v0
	v_bfe_u32 v0, v0, 2, 5
	v_and_b32_e32 v6, 3, v6
	s_delay_alu instid0(VALU_DEP_2) | instskip(NEXT) | instid1(VALU_DEP_2)
	v_cmp_eq_u32_e32 vcc_lo, 0, v0
	v_dual_cndmask_b32 v4, v4, v6 :: v_dual_lshlrev_b32 v1, 24, v1
	v_cndmask_b32_e32 v0, v0, v5, vcc_lo
	s_delay_alu instid0(VALU_DEP_2) | instskip(NEXT) | instid1(VALU_DEP_3)
	v_and_b32_e32 v1, 0x80000000, v1
	v_lshlrev_b32_e32 v4, 21, v4
	s_delay_alu instid0(VALU_DEP_3) | instskip(NEXT) | instid1(VALU_DEP_1)
	v_lshl_add_u32 v0, v0, 23, 0x37800000
	v_or3_b32 v0, v1, v0, v4
	s_delay_alu instid0(VALU_DEP_1)
	v_cvt_i32_f32_e32 v0, v0
.LBB22_810:
	s_or_b32 exec_lo, exec_lo, s20
	s_mov_b32 s19, 0
	s_branch .LBB22_816
.LBB22_811:
	s_mov_b32 s19, -1
                                        ; implicit-def: $vgpr0
	s_branch .LBB22_822
.LBB22_812:
	s_or_saveexec_b32 s21, s21
	v_mov_b32_e32 v0, s22
	s_xor_b32 exec_lo, exec_lo, s21
	s_cbranch_execz .LBB22_797
.LBB22_813:
	v_cmp_ne_u16_e32 vcc_lo, 0, v1
	v_mov_b32_e32 v0, 0
	s_and_not1_b32 s20, s20, exec_lo
	s_and_b32 s22, vcc_lo, exec_lo
	s_delay_alu instid0(SALU_CYCLE_1)
	s_or_b32 s20, s20, s22
	s_or_b32 exec_lo, exec_lo, s21
	s_and_saveexec_b32 s21, s20
	s_cbranch_execnz .LBB22_798
	s_branch .LBB22_799
.LBB22_814:
	s_mov_b32 s19, -1
                                        ; implicit-def: $vgpr0
	s_branch .LBB22_819
.LBB22_815:
	s_mov_b32 s19, -1
                                        ; implicit-def: $vgpr0
.LBB22_816:
	s_delay_alu instid0(SALU_CYCLE_1)
	s_and_b32 vcc_lo, exec_lo, s19
	s_cbranch_vccz .LBB22_818
; %bb.817:
	global_load_u8 v0, v[2:3], off
	s_waitcnt vmcnt(0)
	v_lshlrev_b32_e32 v0, 24, v0
	s_delay_alu instid0(VALU_DEP_1) | instskip(NEXT) | instid1(VALU_DEP_1)
	v_and_b32_e32 v1, 0x7f000000, v0
	v_clz_i32_u32_e32 v4, v1
	v_cmp_ne_u32_e32 vcc_lo, 0, v1
	v_add_nc_u32_e32 v6, 0x1000000, v1
	s_delay_alu instid0(VALU_DEP_3) | instskip(NEXT) | instid1(VALU_DEP_1)
	v_min_u32_e32 v4, 32, v4
	v_sub_nc_u32_e64 v4, v4, 4 clamp
	s_delay_alu instid0(VALU_DEP_1) | instskip(SKIP_1) | instid1(VALU_DEP_2)
	v_lshlrev_b32_e32 v5, v4, v1
	v_lshlrev_b32_e32 v4, 23, v4
	v_lshrrev_b32_e32 v5, 4, v5
	s_delay_alu instid0(VALU_DEP_1) | instskip(SKIP_1) | instid1(VALU_DEP_2)
	v_sub_nc_u32_e32 v4, v5, v4
	v_ashrrev_i32_e32 v5, 8, v6
	v_add_nc_u32_e32 v4, 0x3c000000, v4
	s_delay_alu instid0(VALU_DEP_1) | instskip(NEXT) | instid1(VALU_DEP_1)
	v_and_or_b32 v4, 0x7f800000, v5, v4
	v_cndmask_b32_e32 v1, 0, v4, vcc_lo
	s_delay_alu instid0(VALU_DEP_1) | instskip(NEXT) | instid1(VALU_DEP_1)
	v_and_or_b32 v0, 0x80000000, v0, v1
	v_cvt_i32_f32_e32 v0, v0
.LBB22_818:
	s_mov_b32 s19, 0
.LBB22_819:
	s_delay_alu instid0(SALU_CYCLE_1)
	s_and_not1_b32 vcc_lo, exec_lo, s19
	s_cbranch_vccnz .LBB22_821
; %bb.820:
	global_load_u8 v0, v[2:3], off
	s_waitcnt vmcnt(0)
	v_lshlrev_b32_e32 v1, 25, v0
	v_lshlrev_b16 v0, 8, v0
	s_delay_alu instid0(VALU_DEP_2) | instskip(NEXT) | instid1(VALU_DEP_2)
	v_lshrrev_b32_e32 v4, 4, v1
	v_and_or_b32 v5, 0x7f00, v0, 0.5
	v_cmp_gt_u32_e32 vcc_lo, 0x8000000, v1
	v_bfe_i32 v0, v0, 0, 16
	s_delay_alu instid0(VALU_DEP_4) | instskip(NEXT) | instid1(VALU_DEP_1)
	v_or_b32_e32 v4, 0x70000000, v4
	v_dual_add_f32 v5, -0.5, v5 :: v_dual_mul_f32 v4, 0x7800000, v4
	s_delay_alu instid0(VALU_DEP_1) | instskip(NEXT) | instid1(VALU_DEP_1)
	v_cndmask_b32_e32 v1, v4, v5, vcc_lo
	v_and_or_b32 v0, 0x80000000, v0, v1
	s_delay_alu instid0(VALU_DEP_1)
	v_cvt_i32_f32_e32 v0, v0
.LBB22_821:
	s_mov_b32 s19, 0
	s_mov_b32 s20, -1
.LBB22_822:
	s_and_not1_b32 vcc_lo, exec_lo, s19
	s_mov_b32 s19, 0
	s_cbranch_vccnz .LBB22_833
; %bb.823:
	v_cmp_lt_i16_e32 vcc_lo, 14, v11
	s_cbranch_vccz .LBB22_826
; %bb.824:
	v_cmp_eq_u16_e32 vcc_lo, 15, v11
	s_cbranch_vccz .LBB22_829
; %bb.825:
	global_load_u16 v0, v[2:3], off
	s_mov_b32 s0, 0
	s_mov_b32 s20, -1
	s_waitcnt vmcnt(0)
	v_lshlrev_b32_e32 v0, 16, v0
	s_delay_alu instid0(VALU_DEP_1)
	v_cvt_i32_f32_e32 v0, v0
	s_branch .LBB22_831
.LBB22_826:
	s_mov_b32 s19, -1
	s_branch .LBB22_830
.LBB22_827:
	s_or_saveexec_b32 s20, s20
	v_mov_b32_e32 v0, s21
	s_xor_b32 exec_lo, exec_lo, s20
	s_cbranch_execz .LBB22_808
.LBB22_828:
	v_cmp_ne_u16_e32 vcc_lo, 0, v1
	v_mov_b32_e32 v0, 0
	s_and_not1_b32 s19, s19, exec_lo
	s_and_b32 s21, vcc_lo, exec_lo
	s_delay_alu instid0(SALU_CYCLE_1)
	s_or_b32 s19, s19, s21
	s_or_b32 exec_lo, exec_lo, s20
	s_and_saveexec_b32 s20, s19
	s_cbranch_execnz .LBB22_809
	s_branch .LBB22_810
.LBB22_829:
	s_mov_b32 s0, -1
.LBB22_830:
                                        ; implicit-def: $vgpr0
.LBB22_831:
	s_and_b32 vcc_lo, exec_lo, s19
	s_mov_b32 s19, 0
	s_cbranch_vccz .LBB22_833
; %bb.832:
	v_cmp_ne_u16_e32 vcc_lo, 11, v11
	s_and_not1_b32 s0, s0, exec_lo
	s_mov_b32 s19, -1
                                        ; implicit-def: $vgpr0
	s_and_b32 s21, vcc_lo, exec_lo
	s_delay_alu instid0(SALU_CYCLE_1)
	s_or_b32 s0, s0, s21
.LBB22_833:
	s_mov_b32 s22, 0
.LBB22_834:
	s_and_b32 s21, s20, exec_lo
	s_and_b32 s20, s22, exec_lo
	s_and_not1_b32 s22, s17, exec_lo
	s_and_b32 s23, s0, exec_lo
	s_and_b32 s0, s19, exec_lo
	s_or_b32 s19, s22, s23
.LBB22_835:
	s_or_b32 exec_lo, exec_lo, s10
	s_delay_alu instid0(SALU_CYCLE_1)
	s_and_not1_b32 s10, s17, exec_lo
	s_and_b32 s17, s19, exec_lo
	s_and_b32 s21, s21, exec_lo
	;; [unrolled: 1-line block ×4, first 2 shown]
	s_or_b32 s17, s10, s17
.LBB22_836:
	s_or_b32 exec_lo, exec_lo, s16
	s_delay_alu instid0(SALU_CYCLE_1)
	s_and_not1_b32 s0, s14, exec_lo
	s_and_b32 s10, s18, exec_lo
	s_and_b32 s18, s20, exec_lo
	s_or_b32 s14, s0, s10
	s_and_not1_b32 s10, s13, exec_lo
	s_and_b32 s13, s17, exec_lo
	s_and_b32 s0, s21, exec_lo
	;; [unrolled: 1-line block ×3, first 2 shown]
	s_or_b32 s13, s10, s13
.LBB22_837:
	s_or_b32 exec_lo, exec_lo, s15
	s_delay_alu instid0(SALU_CYCLE_1)
	s_and_not1_b32 s9, s9, exec_lo
	s_and_b32 s10, s14, exec_lo
	s_and_b32 s0, s0, exec_lo
	s_or_b32 s9, s9, s10
	s_and_not1_b32 s10, s11, exec_lo
	s_and_b32 s11, s13, exec_lo
	s_and_b32 s14, s18, exec_lo
	;; [unrolled: 1-line block ×3, first 2 shown]
	s_or_b32 s11, s10, s11
.LBB22_838:
	s_or_b32 exec_lo, exec_lo, s12
	s_mov_b32 s10, 0
	s_and_saveexec_b32 s12, s11
	s_cbranch_execnz .LBB22_850
; %bb.839:
	s_or_b32 exec_lo, exec_lo, s12
	s_and_saveexec_b32 s11, s13
	s_delay_alu instid0(SALU_CYCLE_1)
	s_xor_b32 s11, exec_lo, s11
	s_cbranch_execz .LBB22_841
.LBB22_840:
	global_load_u8 v0, v[2:3], off
	s_or_b32 s0, s0, exec_lo
	s_waitcnt vmcnt(0)
	v_cmp_ne_u16_e32 vcc_lo, 0, v0
	v_cndmask_b32_e64 v0, 0, 1, vcc_lo
.LBB22_841:
	s_or_b32 exec_lo, exec_lo, s11
	s_and_saveexec_b32 s11, s14
	s_cbranch_execz .LBB22_889
; %bb.842:
	v_cmp_gt_i16_e32 vcc_lo, 5, v11
	s_cbranch_vccnz .LBB22_847
; %bb.843:
	v_cmp_gt_i16_e32 vcc_lo, 8, v11
	s_cbranch_vccnz .LBB22_848
	;; [unrolled: 3-line block ×3, first 2 shown]
; %bb.845:
	v_cmp_lt_i16_e32 vcc_lo, 9, v11
	s_cbranch_vccz .LBB22_852
; %bb.846:
	global_load_b64 v[0:1], v[2:3], off
	s_mov_b32 s12, 0
	s_waitcnt vmcnt(0)
	v_cvt_i32_f64_e32 v0, v[0:1]
	s_branch .LBB22_853
.LBB22_847:
                                        ; implicit-def: $vgpr0
	s_branch .LBB22_870
.LBB22_848:
                                        ; implicit-def: $vgpr0
	s_branch .LBB22_859
.LBB22_849:
	s_mov_b32 s12, -1
                                        ; implicit-def: $vgpr0
	s_branch .LBB22_856
.LBB22_850:
	s_cbranch_execnz .LBB22_1068
; %bb.851:
	s_mov_b32 s10, exec_lo
	s_and_not1_b32 s13, s13, exec_lo
                                        ; implicit-def: $vgpr0
	s_or_b32 exec_lo, exec_lo, s12
	s_and_saveexec_b32 s11, s13
	s_delay_alu instid0(SALU_CYCLE_1)
	s_xor_b32 s11, exec_lo, s11
	s_cbranch_execnz .LBB22_840
	s_branch .LBB22_841
.LBB22_852:
	s_mov_b32 s12, -1
                                        ; implicit-def: $vgpr0
.LBB22_853:
	s_delay_alu instid0(SALU_CYCLE_1)
	s_and_not1_b32 vcc_lo, exec_lo, s12
	s_cbranch_vccnz .LBB22_855
; %bb.854:
	global_load_b32 v0, v[2:3], off
	s_waitcnt vmcnt(0)
	v_cvt_i32_f32_e32 v0, v0
.LBB22_855:
	s_mov_b32 s12, 0
.LBB22_856:
	s_delay_alu instid0(SALU_CYCLE_1)
	s_and_not1_b32 vcc_lo, exec_lo, s12
	s_cbranch_vccnz .LBB22_858
; %bb.857:
	global_load_b32 v0, v[2:3], off
	s_waitcnt vmcnt(0)
	v_cvt_i16_f16_e32 v0, v0
.LBB22_858:
	s_cbranch_execnz .LBB22_869
.LBB22_859:
	v_cmp_gt_i16_e32 vcc_lo, 6, v11
	s_cbranch_vccnz .LBB22_862
; %bb.860:
	v_cmp_lt_i16_e32 vcc_lo, 6, v11
	s_cbranch_vccz .LBB22_863
; %bb.861:
	global_load_b64 v[0:1], v[2:3], off
	s_mov_b32 s12, 0
	s_waitcnt vmcnt(0)
	v_cvt_i32_f64_e32 v0, v[0:1]
	s_branch .LBB22_864
.LBB22_862:
	s_mov_b32 s12, -1
                                        ; implicit-def: $vgpr0
	s_branch .LBB22_867
.LBB22_863:
	s_mov_b32 s12, -1
                                        ; implicit-def: $vgpr0
.LBB22_864:
	s_delay_alu instid0(SALU_CYCLE_1)
	s_and_not1_b32 vcc_lo, exec_lo, s12
	s_cbranch_vccnz .LBB22_866
; %bb.865:
	global_load_b32 v0, v[2:3], off
	s_waitcnt vmcnt(0)
	v_cvt_i32_f32_e32 v0, v0
.LBB22_866:
	s_mov_b32 s12, 0
.LBB22_867:
	s_delay_alu instid0(SALU_CYCLE_1)
	s_and_not1_b32 vcc_lo, exec_lo, s12
	s_cbranch_vccnz .LBB22_869
; %bb.868:
	global_load_u16 v0, v[2:3], off
	s_waitcnt vmcnt(0)
	v_cvt_i16_f16_e32 v0, v0
.LBB22_869:
	s_cbranch_execnz .LBB22_888
.LBB22_870:
	v_cmp_gt_i16_e32 vcc_lo, 2, v11
	s_cbranch_vccnz .LBB22_874
; %bb.871:
	v_cmp_gt_i16_e32 vcc_lo, 3, v11
	s_cbranch_vccnz .LBB22_875
; %bb.872:
	v_cmp_lt_i16_e32 vcc_lo, 3, v11
	s_cbranch_vccz .LBB22_876
; %bb.873:
	global_load_b64 v[0:1], v[2:3], off
	s_mov_b32 s12, 0
	s_branch .LBB22_877
.LBB22_874:
                                        ; implicit-def: $vgpr0
	s_branch .LBB22_883
.LBB22_875:
	s_mov_b32 s12, -1
                                        ; implicit-def: $vgpr0
	s_branch .LBB22_880
.LBB22_876:
	s_mov_b32 s12, -1
                                        ; implicit-def: $vgpr0
.LBB22_877:
	s_delay_alu instid0(SALU_CYCLE_1)
	s_and_not1_b32 vcc_lo, exec_lo, s12
	s_cbranch_vccnz .LBB22_879
; %bb.878:
	global_load_b32 v0, v[2:3], off
.LBB22_879:
	s_mov_b32 s12, 0
.LBB22_880:
	s_delay_alu instid0(SALU_CYCLE_1)
	s_and_not1_b32 vcc_lo, exec_lo, s12
	s_cbranch_vccnz .LBB22_882
; %bb.881:
	global_load_u16 v0, v[2:3], off
.LBB22_882:
	s_cbranch_execnz .LBB22_888
.LBB22_883:
	v_cmp_lt_i16_e32 vcc_lo, 0, v11
	s_mov_b32 s12, 0
	s_cbranch_vccz .LBB22_885
; %bb.884:
	global_load_u8 v0, v[2:3], off
	s_branch .LBB22_886
.LBB22_885:
	s_mov_b32 s12, -1
                                        ; implicit-def: $vgpr0
.LBB22_886:
	s_delay_alu instid0(SALU_CYCLE_1)
	s_and_not1_b32 vcc_lo, exec_lo, s12
	s_cbranch_vccnz .LBB22_888
; %bb.887:
	global_load_u8 v0, v[2:3], off
.LBB22_888:
	s_or_b32 s0, s0, exec_lo
.LBB22_889:
	s_or_b32 exec_lo, exec_lo, s11
	s_mov_b32 s13, 0
	s_mov_b32 s12, 0
                                        ; implicit-def: $vgpr4
                                        ; implicit-def: $vgpr1_vgpr2
                                        ; implicit-def: $vgpr3
	s_and_saveexec_b32 s11, s0
	s_cbranch_execz .LBB22_966
; %bb.890:
	s_waitcnt vmcnt(0)
	v_mul_lo_u32 v1, v10, s2
	v_and_b32_e32 v4, 0xff, v9
	s_delay_alu instid0(VALU_DEP_3) | instskip(SKIP_1) | instid1(VALU_DEP_2)
	v_xor_b32_e32 v3, -1, v0
	s_mov_b32 s12, -1
	v_cmp_gt_i16_e32 vcc_lo, 11, v4
	s_delay_alu instid0(VALU_DEP_4) | instskip(SKIP_1) | instid1(VALU_DEP_1)
	v_ashrrev_i32_e32 v2, 31, v1
	v_add_co_u32 v1, s0, s4, v1
	v_add_co_ci_u32_e64 v2, s0, s5, v2, s0
	s_mov_b32 s0, s9
	s_cbranch_vccnz .LBB22_965
; %bb.891:
	v_cmp_lt_i16_e32 vcc_lo, 25, v4
	s_mov_b32 s0, s9
	s_cbranch_vccz .LBB22_924
; %bb.892:
	v_cmp_lt_i16_e32 vcc_lo, 28, v4
	s_mov_b32 s0, s9
	s_cbranch_vccz .LBB22_908
	;; [unrolled: 4-line block ×4, first 2 shown]
; %bb.895:
	v_cmp_eq_u16_e32 vcc_lo, 46, v4
	s_mov_b32 s0, -1
	s_cbranch_vccz .LBB22_897
; %bb.896:
	v_bfe_i32 v5, v3, 0, 8
	s_mov_b32 s0, 0
	s_delay_alu instid0(VALU_DEP_1) | instskip(NEXT) | instid1(VALU_DEP_1)
	v_bfe_i32 v5, v5, 0, 16
	v_cvt_f32_i32_e32 v5, v5
	s_delay_alu instid0(VALU_DEP_1) | instskip(NEXT) | instid1(VALU_DEP_1)
	v_bfe_u32 v6, v5, 16, 1
	v_add3_u32 v5, v5, v6, 0x7fff
	s_delay_alu instid0(VALU_DEP_1)
	v_lshrrev_b32_e32 v5, 16, v5
	global_store_b32 v[1:2], v5, off
.LBB22_897:
	s_mov_b32 s12, 0
.LBB22_898:
	s_delay_alu instid0(SALU_CYCLE_1)
	s_and_b32 vcc_lo, exec_lo, s12
	s_cbranch_vccz .LBB22_903
; %bb.899:
	v_cmp_eq_u16_e32 vcc_lo, 44, v4
	s_mov_b32 s0, -1
	s_cbranch_vccz .LBB22_903
; %bb.900:
	v_bfe_i32 v5, v3, 0, 8
	v_mov_b32_e32 v6, 0xff
	s_mov_b32 s12, exec_lo
	s_delay_alu instid0(VALU_DEP_2) | instskip(NEXT) | instid1(VALU_DEP_1)
	v_bfe_i32 v5, v5, 0, 16
	v_cvt_f32_i32_e32 v5, v5
	s_delay_alu instid0(VALU_DEP_1) | instskip(NEXT) | instid1(VALU_DEP_1)
	v_bfe_u32 v7, v5, 23, 8
	v_cmpx_ne_u32_e32 0xff, v7
; %bb.901:
	v_and_b32_e32 v6, 0x400000, v5
	v_and_or_b32 v7, 0x3fffff, v5, v7
	v_lshrrev_b32_e32 v5, 23, v5
	s_delay_alu instid0(VALU_DEP_3) | instskip(NEXT) | instid1(VALU_DEP_3)
	v_cmp_ne_u32_e32 vcc_lo, 0, v6
	v_cmp_ne_u32_e64 s0, 0, v7
	s_delay_alu instid0(VALU_DEP_1) | instskip(NEXT) | instid1(SALU_CYCLE_1)
	s_and_b32 s0, vcc_lo, s0
	v_cndmask_b32_e64 v6, 0, 1, s0
	s_delay_alu instid0(VALU_DEP_1)
	v_add_nc_u32_e32 v6, v5, v6
; %bb.902:
	s_or_b32 exec_lo, exec_lo, s12
	s_mov_b32 s0, 0
	global_store_b8 v[1:2], v6, off
.LBB22_903:
	s_mov_b32 s12, 0
.LBB22_904:
	s_delay_alu instid0(SALU_CYCLE_1)
	s_and_b32 vcc_lo, exec_lo, s12
	s_cbranch_vccz .LBB22_907
; %bb.905:
	v_cmp_eq_u16_e32 vcc_lo, 29, v4
	s_mov_b32 s0, -1
	s_cbranch_vccz .LBB22_907
; %bb.906:
	v_bfe_i32 v5, v3, 0, 8
	s_mov_b32 s0, 0
	s_delay_alu instid0(VALU_DEP_1)
	v_ashrrev_i32_e32 v6, 31, v5
	global_store_b64 v[1:2], v[5:6], off
.LBB22_907:
	s_mov_b32 s12, 0
.LBB22_908:
	s_delay_alu instid0(SALU_CYCLE_1)
	s_and_b32 vcc_lo, exec_lo, s12
	s_cbranch_vccz .LBB22_923
; %bb.909:
	v_cmp_gt_i16_e32 vcc_lo, 27, v4
	s_mov_b32 s12, -1
	s_cbranch_vccnz .LBB22_915
; %bb.910:
	v_cmp_lt_i16_e32 vcc_lo, 27, v4
	s_cbranch_vccz .LBB22_912
; %bb.911:
	v_bfe_i32 v5, v3, 0, 8
	s_mov_b32 s12, 0
	global_store_b32 v[1:2], v5, off
.LBB22_912:
	s_and_not1_b32 vcc_lo, exec_lo, s12
	s_cbranch_vccnz .LBB22_914
; %bb.913:
	v_bfe_i32 v5, v3, 0, 8
	global_store_b16 v[1:2], v5, off
.LBB22_914:
	s_mov_b32 s12, 0
.LBB22_915:
	s_delay_alu instid0(SALU_CYCLE_1)
	s_and_not1_b32 vcc_lo, exec_lo, s12
	s_cbranch_vccnz .LBB22_923
; %bb.916:
	v_bfe_i32 v5, v3, 0, 8
	v_mov_b32_e32 v7, 0x80
	s_mov_b32 s12, exec_lo
	s_delay_alu instid0(VALU_DEP_2) | instskip(NEXT) | instid1(VALU_DEP_1)
	v_bfe_i32 v5, v5, 0, 16
	v_cvt_f32_i32_e32 v5, v5
	s_delay_alu instid0(VALU_DEP_1) | instskip(NEXT) | instid1(VALU_DEP_1)
	v_and_b32_e32 v6, 0x7fffffff, v5
	v_cmpx_gt_u32_e32 0x43800000, v6
	s_cbranch_execz .LBB22_922
; %bb.917:
	v_cmp_lt_u32_e32 vcc_lo, 0x3bffffff, v6
                                        ; implicit-def: $vgpr6
	s_and_saveexec_b32 s14, vcc_lo
	s_delay_alu instid0(SALU_CYCLE_1)
	s_xor_b32 s14, exec_lo, s14
	s_cbranch_execz .LBB22_1154
; %bb.918:
	v_bfe_u32 v6, v5, 20, 1
	s_mov_b32 s13, exec_lo
	s_delay_alu instid0(VALU_DEP_1) | instskip(NEXT) | instid1(VALU_DEP_1)
	v_add3_u32 v6, v5, v6, 0x487ffff
	v_lshrrev_b32_e32 v6, 20, v6
	s_or_saveexec_b32 s14, s14
                                        ; implicit-def: $sgpr15
	s_delay_alu instid0(SALU_CYCLE_1)
	s_xor_b32 exec_lo, exec_lo, s14
	s_cbranch_execnz .LBB22_1155
.LBB22_919:
	s_or_b32 exec_lo, exec_lo, s14
	v_mov_b32_e32 v7, s15
	s_and_saveexec_b32 s14, s13
.LBB22_920:
	v_lshrrev_b32_e32 v5, 24, v5
	s_delay_alu instid0(VALU_DEP_1)
	v_and_or_b32 v7, 0x80, v5, v6
.LBB22_921:
	s_or_b32 exec_lo, exec_lo, s14
.LBB22_922:
	s_delay_alu instid0(SALU_CYCLE_1)
	s_or_b32 exec_lo, exec_lo, s12
	global_store_b8 v[1:2], v7, off
.LBB22_923:
	s_mov_b32 s12, 0
.LBB22_924:
	s_delay_alu instid0(SALU_CYCLE_1)
	s_and_b32 vcc_lo, exec_lo, s12
	s_mov_b32 s12, 0
	s_cbranch_vccz .LBB22_964
; %bb.925:
	v_cmp_lt_i16_e32 vcc_lo, 22, v4
	s_mov_b32 s13, -1
	s_cbranch_vccz .LBB22_957
; %bb.926:
	v_cmp_gt_i16_e32 vcc_lo, 24, v4
	s_cbranch_vccnz .LBB22_946
; %bb.927:
	v_cmp_lt_i16_e32 vcc_lo, 24, v4
	s_cbranch_vccz .LBB22_935
; %bb.928:
	v_bfe_i32 v5, v3, 0, 8
	v_mov_b32_e32 v7, 0x80
	s_mov_b32 s13, exec_lo
	s_delay_alu instid0(VALU_DEP_2) | instskip(NEXT) | instid1(VALU_DEP_1)
	v_bfe_i32 v5, v5, 0, 16
	v_cvt_f32_i32_e32 v5, v5
	s_delay_alu instid0(VALU_DEP_1) | instskip(NEXT) | instid1(VALU_DEP_1)
	v_and_b32_e32 v6, 0x7fffffff, v5
	v_cmpx_gt_u32_e32 0x47800000, v6
	s_cbranch_execz .LBB22_934
; %bb.929:
	v_cmp_lt_u32_e32 vcc_lo, 0x37ffffff, v6
	s_mov_b32 s14, 0
                                        ; implicit-def: $vgpr6
	s_and_saveexec_b32 s15, vcc_lo
	s_delay_alu instid0(SALU_CYCLE_1)
	s_xor_b32 s15, exec_lo, s15
	s_cbranch_execz .LBB22_1198
; %bb.930:
	v_bfe_u32 v6, v5, 21, 1
	s_mov_b32 s14, exec_lo
	s_delay_alu instid0(VALU_DEP_1) | instskip(NEXT) | instid1(VALU_DEP_1)
	v_add3_u32 v6, v5, v6, 0x88fffff
	v_lshrrev_b32_e32 v6, 21, v6
	s_or_saveexec_b32 s15, s15
                                        ; implicit-def: $sgpr16
	s_delay_alu instid0(SALU_CYCLE_1)
	s_xor_b32 exec_lo, exec_lo, s15
	s_cbranch_execnz .LBB22_1199
.LBB22_931:
	s_or_b32 exec_lo, exec_lo, s15
	v_mov_b32_e32 v7, s16
	s_and_saveexec_b32 s15, s14
.LBB22_932:
	v_lshrrev_b32_e32 v5, 24, v5
	s_delay_alu instid0(VALU_DEP_1)
	v_and_or_b32 v7, 0x80, v5, v6
.LBB22_933:
	s_or_b32 exec_lo, exec_lo, s15
.LBB22_934:
	s_delay_alu instid0(SALU_CYCLE_1)
	s_or_b32 exec_lo, exec_lo, s13
	s_mov_b32 s13, 0
	global_store_b8 v[1:2], v7, off
.LBB22_935:
	s_and_b32 vcc_lo, exec_lo, s13
	s_cbranch_vccz .LBB22_945
; %bb.936:
	v_bfe_i32 v5, v3, 0, 8
	s_mov_b32 s13, exec_lo
                                        ; implicit-def: $vgpr6
	s_delay_alu instid0(VALU_DEP_1) | instskip(NEXT) | instid1(VALU_DEP_1)
	v_bfe_i32 v5, v5, 0, 16
	v_cvt_f32_i32_e32 v5, v5
	s_delay_alu instid0(VALU_DEP_1) | instskip(NEXT) | instid1(VALU_DEP_1)
	v_and_b32_e32 v7, 0x7fffffff, v5
	v_cmpx_gt_u32_e32 0x43f00000, v7
	s_xor_b32 s13, exec_lo, s13
	s_cbranch_execz .LBB22_942
; %bb.937:
	s_mov_b32 s14, exec_lo
                                        ; implicit-def: $vgpr6
	v_cmpx_lt_u32_e32 0x3c7fffff, v7
	s_xor_b32 s14, exec_lo, s14
; %bb.938:
	v_bfe_u32 v6, v5, 20, 1
	s_delay_alu instid0(VALU_DEP_1) | instskip(NEXT) | instid1(VALU_DEP_1)
	v_add3_u32 v6, v5, v6, 0x407ffff
	v_and_b32_e32 v7, 0xff00000, v6
	v_lshrrev_b32_e32 v6, 20, v6
	s_delay_alu instid0(VALU_DEP_2) | instskip(NEXT) | instid1(VALU_DEP_2)
	v_cmp_ne_u32_e32 vcc_lo, 0x7f00000, v7
	v_cndmask_b32_e32 v6, 0x7e, v6, vcc_lo
; %bb.939:
	s_and_not1_saveexec_b32 s14, s14
; %bb.940:
	v_add_f32_e64 v6, 0x46800000, |v5|
; %bb.941:
	s_or_b32 exec_lo, exec_lo, s14
                                        ; implicit-def: $vgpr7
.LBB22_942:
	s_and_not1_saveexec_b32 s13, s13
; %bb.943:
	v_mov_b32_e32 v6, 0x7f
	v_cmp_lt_u32_e32 vcc_lo, 0x7f800000, v7
	s_delay_alu instid0(VALU_DEP_2)
	v_cndmask_b32_e32 v6, 0x7e, v6, vcc_lo
; %bb.944:
	s_or_b32 exec_lo, exec_lo, s13
	v_lshrrev_b32_e32 v5, 24, v5
	s_delay_alu instid0(VALU_DEP_1)
	v_and_or_b32 v5, 0x80, v5, v6
	global_store_b8 v[1:2], v5, off
.LBB22_945:
	s_mov_b32 s13, 0
.LBB22_946:
	s_delay_alu instid0(SALU_CYCLE_1)
	s_and_not1_b32 vcc_lo, exec_lo, s13
	s_cbranch_vccnz .LBB22_956
; %bb.947:
	v_bfe_i32 v5, v3, 0, 8
	s_mov_b32 s13, exec_lo
                                        ; implicit-def: $vgpr6
	s_delay_alu instid0(VALU_DEP_1) | instskip(NEXT) | instid1(VALU_DEP_1)
	v_bfe_i32 v5, v5, 0, 16
	v_cvt_f32_i32_e32 v5, v5
	s_delay_alu instid0(VALU_DEP_1) | instskip(NEXT) | instid1(VALU_DEP_1)
	v_and_b32_e32 v7, 0x7fffffff, v5
	v_cmpx_gt_u32_e32 0x47800000, v7
	s_xor_b32 s13, exec_lo, s13
	s_cbranch_execz .LBB22_953
; %bb.948:
	s_mov_b32 s14, exec_lo
                                        ; implicit-def: $vgpr6
	v_cmpx_lt_u32_e32 0x387fffff, v7
	s_xor_b32 s14, exec_lo, s14
; %bb.949:
	v_bfe_u32 v6, v5, 21, 1
	s_delay_alu instid0(VALU_DEP_1) | instskip(NEXT) | instid1(VALU_DEP_1)
	v_add3_u32 v6, v5, v6, 0x80fffff
	v_lshrrev_b32_e32 v6, 21, v6
; %bb.950:
	s_and_not1_saveexec_b32 s14, s14
; %bb.951:
	v_add_f32_e64 v6, 0x43000000, |v5|
; %bb.952:
	s_or_b32 exec_lo, exec_lo, s14
                                        ; implicit-def: $vgpr7
.LBB22_953:
	s_and_not1_saveexec_b32 s13, s13
; %bb.954:
	v_mov_b32_e32 v6, 0x7f
	v_cmp_lt_u32_e32 vcc_lo, 0x7f800000, v7
	s_delay_alu instid0(VALU_DEP_2)
	v_cndmask_b32_e32 v6, 0x7c, v6, vcc_lo
; %bb.955:
	s_or_b32 exec_lo, exec_lo, s13
	v_lshrrev_b32_e32 v5, 24, v5
	s_delay_alu instid0(VALU_DEP_1)
	v_and_or_b32 v5, 0x80, v5, v6
	global_store_b8 v[1:2], v5, off
.LBB22_956:
	s_mov_b32 s13, 0
.LBB22_957:
	s_delay_alu instid0(SALU_CYCLE_1)
	s_and_not1_b32 vcc_lo, exec_lo, s13
	s_mov_b32 s13, 0
	s_cbranch_vccnz .LBB22_965
; %bb.958:
	v_cmp_lt_i16_e32 vcc_lo, 14, v4
	s_mov_b32 s13, -1
	s_cbranch_vccz .LBB22_962
; %bb.959:
	v_cmp_eq_u16_e32 vcc_lo, 15, v4
	s_mov_b32 s0, -1
	s_cbranch_vccz .LBB22_961
; %bb.960:
	v_bfe_i32 v5, v3, 0, 8
	s_mov_b32 s0, 0
	s_delay_alu instid0(VALU_DEP_1) | instskip(NEXT) | instid1(VALU_DEP_1)
	v_bfe_i32 v5, v5, 0, 16
	v_cvt_f32_i32_e32 v5, v5
	s_delay_alu instid0(VALU_DEP_1) | instskip(NEXT) | instid1(VALU_DEP_1)
	v_bfe_u32 v6, v5, 16, 1
	v_add3_u32 v5, v5, v6, 0x7fff
	global_store_d16_hi_b16 v[1:2], v5, off
.LBB22_961:
	s_mov_b32 s13, 0
.LBB22_962:
	s_delay_alu instid0(SALU_CYCLE_1)
	s_and_b32 vcc_lo, exec_lo, s13
	s_mov_b32 s13, 0
	s_cbranch_vccz .LBB22_965
; %bb.963:
	v_cmp_ne_u16_e32 vcc_lo, 11, v4
	s_and_not1_b32 s0, s0, exec_lo
	s_mov_b32 s13, -1
	s_and_b32 s14, vcc_lo, exec_lo
	s_delay_alu instid0(SALU_CYCLE_1)
	s_or_b32 s0, s0, s14
	s_branch .LBB22_965
.LBB22_964:
	s_mov_b32 s13, 0
.LBB22_965:
	s_and_not1_b32 s9, s9, exec_lo
	s_and_b32 s0, s0, exec_lo
	s_and_b32 s12, s12, exec_lo
	;; [unrolled: 1-line block ×3, first 2 shown]
	s_or_b32 s9, s9, s0
.LBB22_966:
	s_or_b32 exec_lo, exec_lo, s11
	s_and_saveexec_b32 s0, s9
	s_cbranch_execnz .LBB22_1028
; %bb.967:
	s_or_b32 exec_lo, exec_lo, s0
	s_and_saveexec_b32 s0, s13
	s_delay_alu instid0(SALU_CYCLE_1)
	s_xor_b32 s0, exec_lo, s0
	s_cbranch_execz .LBB22_969
.LBB22_968:
	s_waitcnt vmcnt(0)
	s_delay_alu instid0(VALU_DEP_1) | instskip(NEXT) | instid1(VALU_DEP_1)
	v_and_b32_e32 v0, 0xff, v0
	v_cmp_ne_u16_e32 vcc_lo, 0xff, v0
	v_cndmask_b32_e64 v0, 0, 1, vcc_lo
	global_store_b8 v[1:2], v0, off
.LBB22_969:
	s_or_b32 exec_lo, exec_lo, s0
	s_and_saveexec_b32 s0, s12
	s_delay_alu instid0(SALU_CYCLE_1)
	s_xor_b32 s0, exec_lo, s0
	s_cbranch_execz .LBB22_1007
; %bb.970:
	v_cmp_gt_i16_e32 vcc_lo, 5, v4
	s_mov_b32 s9, -1
	s_cbranch_vccnz .LBB22_991
; %bb.971:
	v_cmp_gt_i16_e32 vcc_lo, 8, v4
	s_cbranch_vccnz .LBB22_981
; %bb.972:
	v_cmp_gt_i16_e32 vcc_lo, 9, v4
	s_cbranch_vccnz .LBB22_978
; %bb.973:
	v_cmp_lt_i16_e32 vcc_lo, 9, v4
	s_cbranch_vccz .LBB22_975
; %bb.974:
	s_waitcnt vmcnt(0)
	v_bfe_i32 v0, v3, 0, 8
	v_mov_b32_e32 v7, 0
	s_mov_b32 s9, 0
	s_delay_alu instid0(VALU_DEP_2) | instskip(NEXT) | instid1(VALU_DEP_2)
	v_bfe_i32 v0, v0, 0, 16
	v_mov_b32_e32 v8, v7
	s_delay_alu instid0(VALU_DEP_2)
	v_cvt_f64_i32_e32 v[5:6], v0
	global_store_b128 v[1:2], v[5:8], off
.LBB22_975:
	s_and_not1_b32 vcc_lo, exec_lo, s9
	s_cbranch_vccnz .LBB22_977
; %bb.976:
	s_waitcnt vmcnt(0)
	v_bfe_i32 v0, v3, 0, 8
	v_mov_b32_e32 v6, 0
	s_delay_alu instid0(VALU_DEP_2) | instskip(NEXT) | instid1(VALU_DEP_1)
	v_bfe_i32 v0, v0, 0, 16
	v_cvt_f32_i32_e32 v5, v0
	global_store_b64 v[1:2], v[5:6], off
.LBB22_977:
	s_mov_b32 s9, 0
.LBB22_978:
	s_delay_alu instid0(SALU_CYCLE_1)
	s_and_not1_b32 vcc_lo, exec_lo, s9
	s_cbranch_vccnz .LBB22_980
; %bb.979:
	s_waitcnt vmcnt(0)
	v_bfe_i32 v0, v3, 0, 8
	s_delay_alu instid0(VALU_DEP_1) | instskip(NEXT) | instid1(VALU_DEP_1)
	v_cvt_f16_i16_e32 v0, v0
	v_and_b32_e32 v0, 0xffff, v0
	global_store_b32 v[1:2], v0, off
.LBB22_980:
	s_mov_b32 s9, 0
.LBB22_981:
	s_delay_alu instid0(SALU_CYCLE_1)
	s_and_not1_b32 vcc_lo, exec_lo, s9
	s_cbranch_vccnz .LBB22_990
; %bb.982:
	v_cmp_gt_i16_e32 vcc_lo, 6, v4
	s_mov_b32 s9, -1
	s_cbranch_vccnz .LBB22_988
; %bb.983:
	v_cmp_lt_i16_e32 vcc_lo, 6, v4
	s_cbranch_vccz .LBB22_985
; %bb.984:
	s_waitcnt vmcnt(0)
	v_bfe_i32 v0, v3, 0, 8
	s_mov_b32 s9, 0
	s_delay_alu instid0(VALU_DEP_1) | instskip(NEXT) | instid1(VALU_DEP_1)
	v_bfe_i32 v0, v0, 0, 16
	v_cvt_f64_i32_e32 v[5:6], v0
	global_store_b64 v[1:2], v[5:6], off
.LBB22_985:
	s_and_not1_b32 vcc_lo, exec_lo, s9
	s_cbranch_vccnz .LBB22_987
; %bb.986:
	s_waitcnt vmcnt(0)
	v_bfe_i32 v0, v3, 0, 8
	s_delay_alu instid0(VALU_DEP_1) | instskip(NEXT) | instid1(VALU_DEP_1)
	v_bfe_i32 v0, v0, 0, 16
	v_cvt_f32_i32_e32 v0, v0
	global_store_b32 v[1:2], v0, off
.LBB22_987:
	s_mov_b32 s9, 0
.LBB22_988:
	s_delay_alu instid0(SALU_CYCLE_1)
	s_and_not1_b32 vcc_lo, exec_lo, s9
	s_cbranch_vccnz .LBB22_990
; %bb.989:
	s_waitcnt vmcnt(0)
	v_bfe_i32 v0, v3, 0, 8
	s_delay_alu instid0(VALU_DEP_1)
	v_cvt_f16_i16_e32 v0, v0
	global_store_b16 v[1:2], v0, off
.LBB22_990:
	s_mov_b32 s9, 0
.LBB22_991:
	s_delay_alu instid0(SALU_CYCLE_1)
	s_and_not1_b32 vcc_lo, exec_lo, s9
	s_cbranch_vccnz .LBB22_1007
; %bb.992:
	v_cmp_gt_i16_e32 vcc_lo, 2, v4
	s_mov_b32 s9, -1
	s_cbranch_vccnz .LBB22_1002
; %bb.993:
	v_cmp_gt_i16_e32 vcc_lo, 3, v4
	s_cbranch_vccnz .LBB22_999
; %bb.994:
	v_cmp_lt_i16_e32 vcc_lo, 3, v4
	s_cbranch_vccz .LBB22_996
; %bb.995:
	v_bfe_i32 v5, v3, 0, 8
	s_mov_b32 s9, 0
	s_delay_alu instid0(VALU_DEP_1)
	v_ashrrev_i32_e32 v6, 31, v5
	s_waitcnt vmcnt(0)
	global_store_b64 v[1:2], v[5:6], off
.LBB22_996:
	s_and_not1_b32 vcc_lo, exec_lo, s9
	s_cbranch_vccnz .LBB22_998
; %bb.997:
	s_waitcnt vmcnt(0)
	v_bfe_i32 v0, v3, 0, 8
	global_store_b32 v[1:2], v0, off
.LBB22_998:
	s_mov_b32 s9, 0
.LBB22_999:
	s_delay_alu instid0(SALU_CYCLE_1)
	s_and_not1_b32 vcc_lo, exec_lo, s9
	s_cbranch_vccnz .LBB22_1001
; %bb.1000:
	s_waitcnt vmcnt(0)
	v_bfe_i32 v0, v3, 0, 8
	global_store_b16 v[1:2], v0, off
.LBB22_1001:
	s_mov_b32 s9, 0
.LBB22_1002:
	s_delay_alu instid0(SALU_CYCLE_1)
	s_and_not1_b32 vcc_lo, exec_lo, s9
	s_cbranch_vccnz .LBB22_1007
; %bb.1003:
	v_cmp_lt_i16_e32 vcc_lo, 0, v4
	s_mov_b32 s9, -1
	s_cbranch_vccz .LBB22_1005
; %bb.1004:
	s_mov_b32 s9, 0
	s_waitcnt vmcnt(0)
	global_store_b8 v[1:2], v3, off
.LBB22_1005:
	s_and_not1_b32 vcc_lo, exec_lo, s9
	s_cbranch_vccnz .LBB22_1007
; %bb.1006:
	s_waitcnt vmcnt(0)
	global_store_b8 v[1:2], v3, off
.LBB22_1007:
	s_or_b32 exec_lo, exec_lo, s0
	s_delay_alu instid0(SALU_CYCLE_1)
	s_and_b32 s9, s10, exec_lo
                                        ; implicit-def: $vgpr10
                                        ; implicit-def: $vgpr11
                                        ; implicit-def: $vgpr9
.LBB22_1008:
	s_or_saveexec_b32 s8, s8
	s_mov_b32 s0, 0
                                        ; implicit-def: $vgpr12
                                        ; implicit-def: $vgpr1_vgpr2
                                        ; implicit-def: $vgpr3
                                        ; implicit-def: $vgpr0
	s_xor_b32 exec_lo, exec_lo, s8
	s_cbranch_execz .LBB22_1328
; %bb.1009:
	v_mul_lo_u32 v2, s3, v10
	v_cmp_gt_i16_e32 vcc_lo, 11, v11
	s_and_b32 vcc_lo, exec_lo, vcc_lo
	s_waitcnt vmcnt(0)
	s_delay_alu instid0(VALU_DEP_2) | instskip(SKIP_1) | instid1(VALU_DEP_1)
	v_ashrrev_i32_e32 v1, 31, v2
	v_add_co_u32 v0, s0, s6, v2
	v_add_co_ci_u32_e64 v1, s0, s7, v1, s0
	s_cbranch_vccnz .LBB22_1016
; %bb.1010:
	v_cmp_lt_i16_e32 vcc_lo, 25, v11
	s_mov_b32 s10, 0
	s_cbranch_vccz .LBB22_1022
; %bb.1011:
	v_cmp_lt_i16_e32 vcc_lo, 28, v11
	s_cbranch_vccz .LBB22_1024
; %bb.1012:
	v_cmp_lt_i16_e32 vcc_lo, 43, v11
	;; [unrolled: 3-line block ×3, first 2 shown]
	s_cbranch_vccz .LBB22_1030
; %bb.1014:
	v_cmp_eq_u16_e32 vcc_lo, 46, v11
	s_cbranch_vccz .LBB22_1072
; %bb.1015:
	global_load_b32 v3, v[0:1], off
	s_mov_b32 s0, 0
	s_mov_b32 s11, -1
	s_waitcnt vmcnt(0)
	v_lshlrev_b32_e32 v3, 16, v3
	s_delay_alu instid0(VALU_DEP_1)
	v_cvt_i32_f32_e32 v6, v3
	s_branch .LBB22_1074
.LBB22_1016:
	s_mov_b32 s11, 0
	s_mov_b32 s1, s9
                                        ; implicit-def: $vgpr6
	s_cbranch_execz .LBB22_1132
; %bb.1017:
	v_cmp_gt_i16_e32 vcc_lo, 5, v11
	s_cbranch_vccnz .LBB22_1023
; %bb.1018:
	v_cmp_gt_i16_e32 vcc_lo, 8, v11
	s_cbranch_vccnz .LBB22_1025
	;; [unrolled: 3-line block ×3, first 2 shown]
; %bb.1020:
	v_cmp_lt_i16_e32 vcc_lo, 9, v11
	s_cbranch_vccz .LBB22_1031
; %bb.1021:
	global_load_b64 v[3:4], v[0:1], off
	s_mov_b32 s0, 0
	s_waitcnt vmcnt(0)
	v_cvt_i32_f64_e32 v6, v[3:4]
	s_branch .LBB22_1032
.LBB22_1022:
	s_mov_b32 s11, 0
	s_mov_b32 s0, 0
                                        ; implicit-def: $vgpr6
	s_cbranch_execnz .LBB22_1099
	s_branch .LBB22_1128
.LBB22_1023:
                                        ; implicit-def: $vgpr6
	s_branch .LBB22_1049
.LBB22_1024:
	s_mov_b32 s11, 0
	s_mov_b32 s0, 0
                                        ; implicit-def: $vgpr6
	s_cbranch_execz .LBB22_1098
	s_branch .LBB22_1083
.LBB22_1025:
                                        ; implicit-def: $vgpr6
	s_branch .LBB22_1038
.LBB22_1026:
	s_mov_b32 s11, 0
	s_mov_b32 s0, 0
                                        ; implicit-def: $vgpr6
	s_cbranch_execnz .LBB22_1079
	s_branch .LBB22_1082
.LBB22_1027:
	s_mov_b32 s0, -1
                                        ; implicit-def: $vgpr6
	s_branch .LBB22_1035
.LBB22_1028:
	s_cbranch_execnz .LBB22_1070
; %bb.1029:
	s_or_b32 s10, s10, exec_lo
	s_and_not1_b32 s13, s13, exec_lo
	s_or_b32 exec_lo, exec_lo, s0
	s_and_saveexec_b32 s0, s13
	s_delay_alu instid0(SALU_CYCLE_1)
	s_xor_b32 s0, exec_lo, s0
	s_cbranch_execnz .LBB22_968
	s_branch .LBB22_969
.LBB22_1030:
	s_mov_b32 s1, -1
	s_mov_b32 s11, 0
	s_mov_b32 s0, 0
	s_branch .LBB22_1073
.LBB22_1031:
	s_mov_b32 s0, -1
                                        ; implicit-def: $vgpr6
.LBB22_1032:
	s_delay_alu instid0(SALU_CYCLE_1)
	s_and_not1_b32 vcc_lo, exec_lo, s0
	s_cbranch_vccnz .LBB22_1034
; %bb.1033:
	global_load_b32 v3, v[0:1], off
	s_waitcnt vmcnt(0)
	v_cvt_i32_f32_e32 v6, v3
.LBB22_1034:
	s_mov_b32 s0, 0
.LBB22_1035:
	s_delay_alu instid0(SALU_CYCLE_1)
	s_and_not1_b32 vcc_lo, exec_lo, s0
	s_cbranch_vccnz .LBB22_1037
; %bb.1036:
	global_load_b32 v3, v[0:1], off
	s_waitcnt vmcnt(0)
	v_cvt_i16_f16_e32 v6, v3
.LBB22_1037:
	s_cbranch_execnz .LBB22_1048
.LBB22_1038:
	v_cmp_gt_i16_e32 vcc_lo, 6, v11
	s_cbranch_vccnz .LBB22_1041
; %bb.1039:
	v_cmp_lt_i16_e32 vcc_lo, 6, v11
	s_cbranch_vccz .LBB22_1042
; %bb.1040:
	global_load_b64 v[3:4], v[0:1], off
	s_mov_b32 s0, 0
	s_waitcnt vmcnt(0)
	v_cvt_i32_f64_e32 v6, v[3:4]
	s_branch .LBB22_1043
.LBB22_1041:
	s_mov_b32 s0, -1
                                        ; implicit-def: $vgpr6
	s_branch .LBB22_1046
.LBB22_1042:
	s_mov_b32 s0, -1
                                        ; implicit-def: $vgpr6
.LBB22_1043:
	s_delay_alu instid0(SALU_CYCLE_1)
	s_and_not1_b32 vcc_lo, exec_lo, s0
	s_cbranch_vccnz .LBB22_1045
; %bb.1044:
	global_load_b32 v3, v[0:1], off
	s_waitcnt vmcnt(0)
	v_cvt_i32_f32_e32 v6, v3
.LBB22_1045:
	s_mov_b32 s0, 0
.LBB22_1046:
	s_delay_alu instid0(SALU_CYCLE_1)
	s_and_not1_b32 vcc_lo, exec_lo, s0
	s_cbranch_vccnz .LBB22_1048
; %bb.1047:
	global_load_u16 v3, v[0:1], off
	s_waitcnt vmcnt(0)
	v_cvt_i16_f16_e32 v6, v3
.LBB22_1048:
	s_cbranch_execnz .LBB22_1067
.LBB22_1049:
	v_cmp_gt_i16_e32 vcc_lo, 2, v11
	s_cbranch_vccnz .LBB22_1053
; %bb.1050:
	v_cmp_gt_i16_e32 vcc_lo, 3, v11
	s_cbranch_vccnz .LBB22_1054
; %bb.1051:
	v_cmp_lt_i16_e32 vcc_lo, 3, v11
	s_cbranch_vccz .LBB22_1055
; %bb.1052:
	global_load_b64 v[6:7], v[0:1], off
	s_mov_b32 s0, 0
	s_branch .LBB22_1056
.LBB22_1053:
                                        ; implicit-def: $vgpr6
	s_branch .LBB22_1062
.LBB22_1054:
	s_mov_b32 s0, -1
                                        ; implicit-def: $vgpr6
	s_branch .LBB22_1059
.LBB22_1055:
	s_mov_b32 s0, -1
                                        ; implicit-def: $vgpr6
.LBB22_1056:
	s_delay_alu instid0(SALU_CYCLE_1)
	s_and_not1_b32 vcc_lo, exec_lo, s0
	s_cbranch_vccnz .LBB22_1058
; %bb.1057:
	global_load_b32 v6, v[0:1], off
.LBB22_1058:
	s_mov_b32 s0, 0
.LBB22_1059:
	s_delay_alu instid0(SALU_CYCLE_1)
	s_and_not1_b32 vcc_lo, exec_lo, s0
	s_cbranch_vccnz .LBB22_1061
; %bb.1060:
	global_load_u16 v6, v[0:1], off
.LBB22_1061:
	s_cbranch_execnz .LBB22_1067
.LBB22_1062:
	v_cmp_lt_i16_e32 vcc_lo, 0, v11
	s_mov_b32 s0, 0
	s_cbranch_vccz .LBB22_1064
; %bb.1063:
	global_load_u8 v6, v[0:1], off
	s_branch .LBB22_1065
.LBB22_1064:
	s_mov_b32 s0, -1
                                        ; implicit-def: $vgpr6
.LBB22_1065:
	s_delay_alu instid0(SALU_CYCLE_1)
	s_and_not1_b32 vcc_lo, exec_lo, s0
	s_cbranch_vccnz .LBB22_1067
; %bb.1066:
	global_load_u8 v6, v[0:1], off
.LBB22_1067:
	s_branch .LBB22_1133
.LBB22_1068:
	s_trap 2
	s_sendmsg_rtn_b32 s0, sendmsg(MSG_RTN_GET_DOORBELL)
	s_mov_b32 ttmp2, m0
	s_waitcnt lgkmcnt(0)
	s_and_b32 s0, s0, 0x3ff
	s_delay_alu instid0(SALU_CYCLE_1) | instskip(NEXT) | instid1(SALU_CYCLE_1)
	s_bitset1_b32 s0, 10
	s_mov_b32 m0, s0
	s_sendmsg sendmsg(MSG_INTERRUPT)
	s_mov_b32 m0, ttmp2
.LBB22_1069:                            ; =>This Inner Loop Header: Depth=1
	s_sethalt 5
	s_branch .LBB22_1069
.LBB22_1070:
	s_trap 2
	s_sendmsg_rtn_b32 s0, sendmsg(MSG_RTN_GET_DOORBELL)
	s_mov_b32 ttmp2, m0
	s_waitcnt lgkmcnt(0)
	s_and_b32 s0, s0, 0x3ff
	s_delay_alu instid0(SALU_CYCLE_1) | instskip(NEXT) | instid1(SALU_CYCLE_1)
	s_bitset1_b32 s0, 10
	s_mov_b32 m0, s0
	s_sendmsg sendmsg(MSG_INTERRUPT)
	s_mov_b32 m0, ttmp2
.LBB22_1071:                            ; =>This Inner Loop Header: Depth=1
	s_sethalt 5
	s_branch .LBB22_1071
.LBB22_1072:
	s_mov_b32 s0, -1
	s_mov_b32 s11, 0
.LBB22_1073:
                                        ; implicit-def: $vgpr6
.LBB22_1074:
	s_and_b32 vcc_lo, exec_lo, s1
	s_cbranch_vccz .LBB22_1077
; %bb.1075:
	v_cmp_eq_u16_e32 vcc_lo, 44, v11
	s_cbranch_vccz .LBB22_1078
; %bb.1076:
	global_load_u8 v3, v[0:1], off
	s_mov_b32 s0, 0
	s_mov_b32 s11, -1
	s_waitcnt vmcnt(0)
	v_lshlrev_b32_e32 v4, 23, v3
	v_cmp_ne_u32_e32 vcc_lo, 0, v3
	s_delay_alu instid0(VALU_DEP_2) | instskip(NEXT) | instid1(VALU_DEP_1)
	v_cvt_i32_f32_e32 v4, v4
	v_cndmask_b32_e32 v6, 0, v4, vcc_lo
.LBB22_1077:
	s_branch .LBB22_1082
.LBB22_1078:
	s_mov_b32 s0, -1
                                        ; implicit-def: $vgpr6
	s_branch .LBB22_1082
.LBB22_1079:
	v_cmp_eq_u16_e32 vcc_lo, 29, v11
	s_cbranch_vccz .LBB22_1081
; %bb.1080:
	global_load_b64 v[6:7], v[0:1], off
	s_mov_b32 s0, 0
	s_mov_b32 s11, -1
	s_branch .LBB22_1082
.LBB22_1081:
	s_mov_b32 s0, -1
                                        ; implicit-def: $vgpr6
.LBB22_1082:
	s_branch .LBB22_1098
.LBB22_1083:
	v_cmp_gt_i16_e32 vcc_lo, 27, v11
	s_cbranch_vccnz .LBB22_1086
; %bb.1084:
	v_cmp_lt_i16_e32 vcc_lo, 27, v11
	s_cbranch_vccz .LBB22_1087
; %bb.1085:
	global_load_b32 v6, v[0:1], off
	s_mov_b32 s1, 0
	s_branch .LBB22_1088
.LBB22_1086:
	s_mov_b32 s1, -1
                                        ; implicit-def: $vgpr6
	s_branch .LBB22_1091
.LBB22_1087:
	s_mov_b32 s1, -1
                                        ; implicit-def: $vgpr6
.LBB22_1088:
	s_delay_alu instid0(SALU_CYCLE_1)
	s_and_not1_b32 vcc_lo, exec_lo, s1
	s_cbranch_vccnz .LBB22_1090
; %bb.1089:
	global_load_u16 v6, v[0:1], off
.LBB22_1090:
	s_mov_b32 s1, 0
.LBB22_1091:
	s_delay_alu instid0(SALU_CYCLE_1)
	s_and_not1_b32 vcc_lo, exec_lo, s1
	s_cbranch_vccnz .LBB22_1097
; %bb.1092:
	global_load_u8 v3, v[0:1], off
	s_mov_b32 s1, 0
	s_mov_b32 s11, exec_lo
                                        ; implicit-def: $sgpr12
	s_waitcnt vmcnt(0)
	v_cmpx_lt_i16_e32 0x7f, v3
	s_xor_b32 s11, exec_lo, s11
	s_cbranch_execz .LBB22_1108
; %bb.1093:
	v_cmp_ne_u16_e32 vcc_lo, 0x80, v3
	s_mov_b32 s12, 0
	s_and_b32 s1, vcc_lo, exec_lo
	s_or_saveexec_b32 s11, s11
	v_mov_b32_e32 v6, s12
	s_xor_b32 exec_lo, exec_lo, s11
	s_cbranch_execnz .LBB22_1109
.LBB22_1094:
	s_or_b32 exec_lo, exec_lo, s11
	s_and_saveexec_b32 s11, s1
	s_cbranch_execz .LBB22_1096
.LBB22_1095:
	v_and_b32_e32 v4, 0xffff, v3
	v_lshlrev_b32_e32 v3, 24, v3
	s_delay_alu instid0(VALU_DEP_2) | instskip(NEXT) | instid1(VALU_DEP_2)
	v_and_b32_e32 v5, 7, v4
	v_and_b32_e32 v3, 0x80000000, v3
	s_delay_alu instid0(VALU_DEP_2) | instskip(NEXT) | instid1(VALU_DEP_1)
	v_clz_i32_u32_e32 v6, v5
	v_min_u32_e32 v6, 32, v6
	s_delay_alu instid0(VALU_DEP_1) | instskip(SKIP_1) | instid1(VALU_DEP_2)
	v_subrev_nc_u32_e32 v7, 28, v6
	v_sub_nc_u32_e32 v6, 29, v6
	v_lshlrev_b32_e32 v7, v7, v4
	v_bfe_u32 v4, v4, 3, 4
	s_delay_alu instid0(VALU_DEP_2) | instskip(NEXT) | instid1(VALU_DEP_2)
	v_and_b32_e32 v7, 7, v7
	v_cmp_eq_u32_e32 vcc_lo, 0, v4
	s_delay_alu instid0(VALU_DEP_2) | instskip(NEXT) | instid1(VALU_DEP_1)
	v_dual_cndmask_b32 v4, v4, v6 :: v_dual_cndmask_b32 v5, v5, v7
	v_lshl_add_u32 v4, v4, 23, 0x3b800000
	s_delay_alu instid0(VALU_DEP_2) | instskip(NEXT) | instid1(VALU_DEP_1)
	v_lshlrev_b32_e32 v5, 20, v5
	v_or3_b32 v3, v3, v4, v5
	s_delay_alu instid0(VALU_DEP_1)
	v_cvt_i32_f32_e32 v6, v3
.LBB22_1096:
	s_or_b32 exec_lo, exec_lo, s11
.LBB22_1097:
	s_mov_b32 s11, -1
.LBB22_1098:
	s_branch .LBB22_1128
.LBB22_1099:
	v_cmp_lt_i16_e32 vcc_lo, 22, v11
	s_cbranch_vccz .LBB22_1107
; %bb.1100:
	v_cmp_gt_i16_e32 vcc_lo, 24, v11
	s_cbranch_vccnz .LBB22_1110
; %bb.1101:
	v_cmp_lt_i16_e32 vcc_lo, 24, v11
	s_cbranch_vccz .LBB22_1111
; %bb.1102:
	global_load_u8 v3, v[0:1], off
	s_mov_b32 s1, 0
	s_mov_b32 s10, exec_lo
                                        ; implicit-def: $sgpr11
	s_waitcnt vmcnt(0)
	v_cmpx_lt_i16_e32 0x7f, v3
	s_xor_b32 s10, exec_lo, s10
	s_cbranch_execz .LBB22_1122
; %bb.1103:
	v_cmp_ne_u16_e32 vcc_lo, 0x80, v3
	s_mov_b32 s11, 0
	s_and_b32 s1, vcc_lo, exec_lo
	s_or_saveexec_b32 s10, s10
	v_mov_b32_e32 v6, s11
	s_xor_b32 exec_lo, exec_lo, s10
	s_cbranch_execnz .LBB22_1123
.LBB22_1104:
	s_or_b32 exec_lo, exec_lo, s10
	s_and_saveexec_b32 s10, s1
	s_cbranch_execz .LBB22_1106
.LBB22_1105:
	v_and_b32_e32 v4, 0xffff, v3
	v_lshlrev_b32_e32 v3, 24, v3
	s_delay_alu instid0(VALU_DEP_2) | instskip(NEXT) | instid1(VALU_DEP_2)
	v_and_b32_e32 v5, 3, v4
	v_and_b32_e32 v3, 0x80000000, v3
	s_delay_alu instid0(VALU_DEP_2) | instskip(NEXT) | instid1(VALU_DEP_1)
	v_clz_i32_u32_e32 v6, v5
	v_min_u32_e32 v6, 32, v6
	s_delay_alu instid0(VALU_DEP_1) | instskip(SKIP_1) | instid1(VALU_DEP_2)
	v_subrev_nc_u32_e32 v7, 29, v6
	v_sub_nc_u32_e32 v6, 30, v6
	v_lshlrev_b32_e32 v7, v7, v4
	v_bfe_u32 v4, v4, 2, 5
	s_delay_alu instid0(VALU_DEP_2) | instskip(NEXT) | instid1(VALU_DEP_2)
	v_and_b32_e32 v7, 3, v7
	v_cmp_eq_u32_e32 vcc_lo, 0, v4
	s_delay_alu instid0(VALU_DEP_2) | instskip(NEXT) | instid1(VALU_DEP_1)
	v_dual_cndmask_b32 v4, v4, v6 :: v_dual_cndmask_b32 v5, v5, v7
	v_lshl_add_u32 v4, v4, 23, 0x37800000
	s_delay_alu instid0(VALU_DEP_2) | instskip(NEXT) | instid1(VALU_DEP_1)
	v_lshlrev_b32_e32 v5, 21, v5
	v_or3_b32 v3, v3, v4, v5
	s_delay_alu instid0(VALU_DEP_1)
	v_cvt_i32_f32_e32 v6, v3
.LBB22_1106:
	s_or_b32 exec_lo, exec_lo, s10
	s_mov_b32 s1, 0
	s_branch .LBB22_1112
.LBB22_1107:
                                        ; implicit-def: $vgpr6
	s_mov_b32 s10, 0
	s_branch .LBB22_1118
.LBB22_1108:
	s_or_saveexec_b32 s11, s11
	v_mov_b32_e32 v6, s12
	s_xor_b32 exec_lo, exec_lo, s11
	s_cbranch_execz .LBB22_1094
.LBB22_1109:
	v_cmp_ne_u16_e32 vcc_lo, 0, v3
	v_mov_b32_e32 v6, 0
	s_and_not1_b32 s1, s1, exec_lo
	s_and_b32 s12, vcc_lo, exec_lo
	s_delay_alu instid0(SALU_CYCLE_1)
	s_or_b32 s1, s1, s12
	s_or_b32 exec_lo, exec_lo, s11
	s_and_saveexec_b32 s11, s1
	s_cbranch_execnz .LBB22_1095
	s_branch .LBB22_1096
.LBB22_1110:
	s_mov_b32 s1, -1
                                        ; implicit-def: $vgpr6
	s_branch .LBB22_1115
.LBB22_1111:
	s_mov_b32 s1, -1
                                        ; implicit-def: $vgpr6
.LBB22_1112:
	s_delay_alu instid0(SALU_CYCLE_1)
	s_and_b32 vcc_lo, exec_lo, s1
	s_cbranch_vccz .LBB22_1114
; %bb.1113:
	global_load_u8 v3, v[0:1], off
	s_waitcnt vmcnt(0)
	v_lshlrev_b32_e32 v3, 24, v3
	s_delay_alu instid0(VALU_DEP_1) | instskip(NEXT) | instid1(VALU_DEP_1)
	v_and_b32_e32 v4, 0x7f000000, v3
	v_clz_i32_u32_e32 v5, v4
	v_add_nc_u32_e32 v7, 0x1000000, v4
	v_cmp_ne_u32_e32 vcc_lo, 0, v4
	s_delay_alu instid0(VALU_DEP_3) | instskip(NEXT) | instid1(VALU_DEP_1)
	v_min_u32_e32 v5, 32, v5
	v_sub_nc_u32_e64 v5, v5, 4 clamp
	s_delay_alu instid0(VALU_DEP_1) | instskip(SKIP_1) | instid1(VALU_DEP_2)
	v_lshlrev_b32_e32 v6, v5, v4
	v_lshlrev_b32_e32 v5, 23, v5
	v_lshrrev_b32_e32 v6, 4, v6
	s_delay_alu instid0(VALU_DEP_1) | instskip(SKIP_1) | instid1(VALU_DEP_2)
	v_sub_nc_u32_e32 v5, v6, v5
	v_ashrrev_i32_e32 v6, 8, v7
	v_add_nc_u32_e32 v5, 0x3c000000, v5
	s_delay_alu instid0(VALU_DEP_1) | instskip(NEXT) | instid1(VALU_DEP_1)
	v_and_or_b32 v5, 0x7f800000, v6, v5
	v_cndmask_b32_e32 v4, 0, v5, vcc_lo
	s_delay_alu instid0(VALU_DEP_1) | instskip(NEXT) | instid1(VALU_DEP_1)
	v_and_or_b32 v3, 0x80000000, v3, v4
	v_cvt_i32_f32_e32 v6, v3
.LBB22_1114:
	s_mov_b32 s1, 0
.LBB22_1115:
	s_delay_alu instid0(SALU_CYCLE_1)
	s_and_not1_b32 vcc_lo, exec_lo, s1
	s_cbranch_vccnz .LBB22_1117
; %bb.1116:
	global_load_u8 v3, v[0:1], off
	s_waitcnt vmcnt(0)
	v_lshlrev_b32_e32 v4, 25, v3
	v_lshlrev_b16 v3, 8, v3
	s_delay_alu instid0(VALU_DEP_2) | instskip(NEXT) | instid1(VALU_DEP_2)
	v_lshrrev_b32_e32 v5, 4, v4
	v_and_or_b32 v6, 0x7f00, v3, 0.5
	v_bfe_i32 v3, v3, 0, 16
	s_delay_alu instid0(VALU_DEP_3) | instskip(NEXT) | instid1(VALU_DEP_1)
	v_or_b32_e32 v5, 0x70000000, v5
	v_dual_add_f32 v6, -0.5, v6 :: v_dual_mul_f32 v5, 0x7800000, v5
	v_cmp_gt_u32_e32 vcc_lo, 0x8000000, v4
	s_delay_alu instid0(VALU_DEP_2) | instskip(NEXT) | instid1(VALU_DEP_1)
	v_cndmask_b32_e32 v4, v5, v6, vcc_lo
	v_and_or_b32 v3, 0x80000000, v3, v4
	s_delay_alu instid0(VALU_DEP_1)
	v_cvt_i32_f32_e32 v6, v3
.LBB22_1117:
	s_mov_b32 s11, -1
	s_mov_b32 s10, 0
	s_cbranch_execnz .LBB22_1128
.LBB22_1118:
	v_cmp_lt_i16_e32 vcc_lo, 14, v11
	s_cbranch_vccz .LBB22_1121
; %bb.1119:
	v_cmp_eq_u16_e32 vcc_lo, 15, v11
	s_cbranch_vccz .LBB22_1124
; %bb.1120:
	global_load_u16 v3, v[0:1], off
	s_mov_b32 s0, 0
	s_mov_b32 s11, -1
	s_waitcnt vmcnt(0)
	v_lshlrev_b32_e32 v3, 16, v3
	s_delay_alu instid0(VALU_DEP_1)
	v_cvt_i32_f32_e32 v6, v3
	s_branch .LBB22_1125
.LBB22_1121:
	s_mov_b32 s1, -1
                                        ; implicit-def: $vgpr6
	s_branch .LBB22_1126
.LBB22_1122:
	s_or_saveexec_b32 s10, s10
	v_mov_b32_e32 v6, s11
	s_xor_b32 exec_lo, exec_lo, s10
	s_cbranch_execz .LBB22_1104
.LBB22_1123:
	v_cmp_ne_u16_e32 vcc_lo, 0, v3
	v_mov_b32_e32 v6, 0
	s_and_not1_b32 s1, s1, exec_lo
	s_and_b32 s11, vcc_lo, exec_lo
	s_delay_alu instid0(SALU_CYCLE_1)
	s_or_b32 s1, s1, s11
	s_or_b32 exec_lo, exec_lo, s10
	s_and_saveexec_b32 s10, s1
	s_cbranch_execnz .LBB22_1105
	s_branch .LBB22_1106
.LBB22_1124:
	s_mov_b32 s0, -1
                                        ; implicit-def: $vgpr6
.LBB22_1125:
	s_mov_b32 s1, 0
.LBB22_1126:
	s_delay_alu instid0(SALU_CYCLE_1)
	s_and_b32 vcc_lo, exec_lo, s1
	s_cbranch_vccz .LBB22_1128
; %bb.1127:
	v_cmp_ne_u16_e64 s0, 11, v11
	s_mov_b32 s10, -1
                                        ; implicit-def: $vgpr6
.LBB22_1128:
	s_delay_alu instid0(VALU_DEP_1)
	s_and_b32 vcc_lo, exec_lo, s0
	s_mov_b32 s1, s9
	s_cbranch_vccnz .LBB22_1152
; %bb.1129:
	s_and_not1_b32 vcc_lo, exec_lo, s10
	s_cbranch_vccnz .LBB22_1131
.LBB22_1130:
	global_load_u8 v3, v[0:1], off
	s_mov_b32 s11, -1
	s_waitcnt vmcnt(0)
	v_cmp_ne_u16_e32 vcc_lo, 0, v3
	v_cndmask_b32_e64 v6, 0, 1, vcc_lo
.LBB22_1131:
.LBB22_1132:
	s_and_not1_b32 vcc_lo, exec_lo, s11
	s_cbranch_vccnz .LBB22_1326
.LBB22_1133:
	s_lshl_b32 s3, s3, 7
	v_cmp_gt_i16_e32 vcc_lo, 11, v11
	v_add_nc_u32_e32 v2, s3, v2
	s_delay_alu instid0(VALU_DEP_1) | instskip(SKIP_1) | instid1(VALU_DEP_1)
	v_ashrrev_i32_e32 v1, 31, v2
	v_add_co_u32 v0, s0, s6, v2
	v_add_co_ci_u32_e64 v1, s0, s7, v1, s0
	s_cbranch_vccnz .LBB22_1140
; %bb.1134:
	v_cmp_lt_i16_e32 vcc_lo, 25, v11
	s_mov_b32 s10, 0
	s_cbranch_vccz .LBB22_1146
; %bb.1135:
	v_cmp_lt_i16_e32 vcc_lo, 28, v11
	s_cbranch_vccz .LBB22_1148
; %bb.1136:
	v_cmp_lt_i16_e32 vcc_lo, 43, v11
	;; [unrolled: 3-line block ×3, first 2 shown]
	s_cbranch_vccz .LBB22_1156
; %bb.1138:
	v_cmp_eq_u16_e32 vcc_lo, 46, v11
	s_mov_b32 s12, 0
	s_cbranch_vccz .LBB22_1200
; %bb.1139:
	global_load_b32 v3, v[0:1], off
	s_mov_b32 s0, 0
	s_mov_b32 s11, -1
	s_waitcnt vmcnt(0)
	v_lshlrev_b32_e32 v3, 16, v3
	s_delay_alu instid0(VALU_DEP_1)
	v_cvt_i32_f32_e32 v4, v3
	s_branch .LBB22_1202
.LBB22_1140:
	s_mov_b32 s11, 0
                                        ; implicit-def: $vgpr4
	s_cbranch_execz .LBB22_1263
; %bb.1141:
	v_cmp_gt_i16_e32 vcc_lo, 5, v11
	s_cbranch_vccnz .LBB22_1147
; %bb.1142:
	v_cmp_gt_i16_e32 vcc_lo, 8, v11
	s_cbranch_vccnz .LBB22_1149
	;; [unrolled: 3-line block ×3, first 2 shown]
; %bb.1144:
	v_cmp_lt_i16_e32 vcc_lo, 9, v11
	s_cbranch_vccz .LBB22_1157
; %bb.1145:
	global_load_b64 v[3:4], v[0:1], off
	s_mov_b32 s0, 0
	s_waitcnt vmcnt(0)
	v_cvt_i32_f64_e32 v4, v[3:4]
	s_branch .LBB22_1158
.LBB22_1146:
	s_mov_b32 s11, 0
	s_mov_b32 s0, 0
                                        ; implicit-def: $vgpr4
	s_cbranch_execnz .LBB22_1229
	s_branch .LBB22_1259
.LBB22_1147:
                                        ; implicit-def: $vgpr4
	s_branch .LBB22_1176
.LBB22_1148:
	s_mov_b32 s12, -1
	s_mov_b32 s11, 0
	s_mov_b32 s0, 0
                                        ; implicit-def: $vgpr4
	s_branch .LBB22_1212
.LBB22_1149:
	s_mov_b32 s0, -1
                                        ; implicit-def: $vgpr4
	s_branch .LBB22_1164
.LBB22_1150:
	s_mov_b32 s12, -1
	s_mov_b32 s11, 0
	s_mov_b32 s0, 0
                                        ; implicit-def: $vgpr4
	s_branch .LBB22_1207
.LBB22_1151:
	s_mov_b32 s0, -1
                                        ; implicit-def: $vgpr4
	s_branch .LBB22_1161
.LBB22_1152:
	s_cbranch_execnz .LBB22_1196
; %bb.1153:
	s_or_b32 s1, s9, exec_lo
                                        ; implicit-def: $vgpr6
	s_cbranch_execz .LBB22_1130
	s_branch .LBB22_1131
.LBB22_1154:
	s_or_saveexec_b32 s14, s14
                                        ; implicit-def: $sgpr15
	s_delay_alu instid0(SALU_CYCLE_1)
	s_xor_b32 exec_lo, exec_lo, s14
	s_cbranch_execz .LBB22_919
.LBB22_1155:
	v_add_f32_e64 v6, 0x46000000, |v5|
	s_and_not1_b32 s13, s13, exec_lo
	s_mov_b32 s15, 0
	s_delay_alu instid0(VALU_DEP_1) | instskip(NEXT) | instid1(VALU_DEP_1)
	v_and_b32_e32 v6, 0xff, v6
	v_cmp_ne_u32_e32 vcc_lo, 0, v6
	s_and_b32 s16, vcc_lo, exec_lo
	s_delay_alu instid0(SALU_CYCLE_1)
	s_or_b32 s13, s13, s16
	s_or_b32 exec_lo, exec_lo, s14
	v_mov_b32_e32 v7, s15
	s_and_saveexec_b32 s14, s13
	s_cbranch_execnz .LBB22_920
	s_branch .LBB22_921
.LBB22_1156:
	s_mov_b32 s12, -1
	s_mov_b32 s11, 0
	s_mov_b32 s0, 0
	s_branch .LBB22_1201
.LBB22_1157:
	s_mov_b32 s0, -1
                                        ; implicit-def: $vgpr4
.LBB22_1158:
	s_delay_alu instid0(SALU_CYCLE_1)
	s_and_not1_b32 vcc_lo, exec_lo, s0
	s_cbranch_vccnz .LBB22_1160
; %bb.1159:
	global_load_b32 v3, v[0:1], off
	s_waitcnt vmcnt(0)
	v_cvt_i32_f32_e32 v4, v3
.LBB22_1160:
	s_mov_b32 s0, 0
.LBB22_1161:
	s_delay_alu instid0(SALU_CYCLE_1)
	s_and_not1_b32 vcc_lo, exec_lo, s0
	s_cbranch_vccnz .LBB22_1163
; %bb.1162:
	global_load_b32 v3, v[0:1], off
	s_waitcnt vmcnt(0)
	v_cvt_i16_f16_e32 v4, v3
.LBB22_1163:
	s_mov_b32 s0, 0
.LBB22_1164:
	s_delay_alu instid0(SALU_CYCLE_1)
	s_and_not1_b32 vcc_lo, exec_lo, s0
	s_cbranch_vccnz .LBB22_1175
; %bb.1165:
	v_cmp_gt_i16_e32 vcc_lo, 6, v11
	s_cbranch_vccnz .LBB22_1168
; %bb.1166:
	v_cmp_lt_i16_e32 vcc_lo, 6, v11
	s_cbranch_vccz .LBB22_1169
; %bb.1167:
	global_load_b64 v[3:4], v[0:1], off
	s_mov_b32 s0, 0
	s_waitcnt vmcnt(0)
	v_cvt_i32_f64_e32 v4, v[3:4]
	s_branch .LBB22_1170
.LBB22_1168:
	s_mov_b32 s0, -1
                                        ; implicit-def: $vgpr4
	s_branch .LBB22_1173
.LBB22_1169:
	s_mov_b32 s0, -1
                                        ; implicit-def: $vgpr4
.LBB22_1170:
	s_delay_alu instid0(SALU_CYCLE_1)
	s_and_not1_b32 vcc_lo, exec_lo, s0
	s_cbranch_vccnz .LBB22_1172
; %bb.1171:
	global_load_b32 v3, v[0:1], off
	s_waitcnt vmcnt(0)
	v_cvt_i32_f32_e32 v4, v3
.LBB22_1172:
	s_mov_b32 s0, 0
.LBB22_1173:
	s_delay_alu instid0(SALU_CYCLE_1)
	s_and_not1_b32 vcc_lo, exec_lo, s0
	s_cbranch_vccnz .LBB22_1175
; %bb.1174:
	global_load_u16 v3, v[0:1], off
	s_waitcnt vmcnt(0)
	v_cvt_i16_f16_e32 v4, v3
.LBB22_1175:
	s_cbranch_execnz .LBB22_1195
.LBB22_1176:
	v_cmp_gt_i16_e32 vcc_lo, 2, v11
	s_cbranch_vccnz .LBB22_1180
; %bb.1177:
	v_cmp_gt_i16_e32 vcc_lo, 3, v11
	s_cbranch_vccnz .LBB22_1181
; %bb.1178:
	v_cmp_lt_i16_e32 vcc_lo, 3, v11
	s_cbranch_vccz .LBB22_1182
; %bb.1179:
	global_load_b64 v[4:5], v[0:1], off
	s_mov_b32 s0, 0
	s_branch .LBB22_1183
.LBB22_1180:
	s_mov_b32 s0, -1
                                        ; implicit-def: $vgpr4
	s_branch .LBB22_1189
.LBB22_1181:
	s_mov_b32 s0, -1
                                        ; implicit-def: $vgpr4
	s_branch .LBB22_1186
.LBB22_1182:
	s_mov_b32 s0, -1
                                        ; implicit-def: $vgpr4
.LBB22_1183:
	s_delay_alu instid0(SALU_CYCLE_1)
	s_and_not1_b32 vcc_lo, exec_lo, s0
	s_cbranch_vccnz .LBB22_1185
; %bb.1184:
	global_load_b32 v4, v[0:1], off
.LBB22_1185:
	s_mov_b32 s0, 0
.LBB22_1186:
	s_delay_alu instid0(SALU_CYCLE_1)
	s_and_not1_b32 vcc_lo, exec_lo, s0
	s_cbranch_vccnz .LBB22_1188
; %bb.1187:
	global_load_u16 v4, v[0:1], off
.LBB22_1188:
	s_mov_b32 s0, 0
.LBB22_1189:
	s_delay_alu instid0(SALU_CYCLE_1)
	s_and_not1_b32 vcc_lo, exec_lo, s0
	s_cbranch_vccnz .LBB22_1195
; %bb.1190:
	v_cmp_lt_i16_e32 vcc_lo, 0, v11
	s_mov_b32 s0, 0
	s_cbranch_vccz .LBB22_1192
; %bb.1191:
	global_load_u8 v4, v[0:1], off
	s_branch .LBB22_1193
.LBB22_1192:
	s_mov_b32 s0, -1
                                        ; implicit-def: $vgpr4
.LBB22_1193:
	s_delay_alu instid0(SALU_CYCLE_1)
	s_and_not1_b32 vcc_lo, exec_lo, s0
	s_cbranch_vccnz .LBB22_1195
; %bb.1194:
	global_load_u8 v4, v[0:1], off
.LBB22_1195:
	s_branch .LBB22_1264
.LBB22_1196:
	s_trap 2
	s_sendmsg_rtn_b32 s0, sendmsg(MSG_RTN_GET_DOORBELL)
	s_mov_b32 ttmp2, m0
	s_waitcnt lgkmcnt(0)
	s_and_b32 s0, s0, 0x3ff
	s_delay_alu instid0(SALU_CYCLE_1) | instskip(NEXT) | instid1(SALU_CYCLE_1)
	s_bitset1_b32 s0, 10
	s_mov_b32 m0, s0
	s_sendmsg sendmsg(MSG_INTERRUPT)
	s_mov_b32 m0, ttmp2
.LBB22_1197:                            ; =>This Inner Loop Header: Depth=1
	s_sethalt 5
	s_branch .LBB22_1197
.LBB22_1198:
	s_or_saveexec_b32 s15, s15
                                        ; implicit-def: $sgpr16
	s_delay_alu instid0(SALU_CYCLE_1)
	s_xor_b32 exec_lo, exec_lo, s15
	s_cbranch_execz .LBB22_931
.LBB22_1199:
	v_add_f32_e64 v6, 0x42800000, |v5|
	s_and_not1_b32 s14, s14, exec_lo
	s_mov_b32 s16, 0
	s_delay_alu instid0(VALU_DEP_1) | instskip(NEXT) | instid1(VALU_DEP_1)
	v_and_b32_e32 v6, 0xff, v6
	v_cmp_ne_u32_e32 vcc_lo, 0, v6
	s_and_b32 s17, vcc_lo, exec_lo
	s_delay_alu instid0(SALU_CYCLE_1)
	s_or_b32 s14, s14, s17
	s_or_b32 exec_lo, exec_lo, s15
	v_mov_b32_e32 v7, s16
	s_and_saveexec_b32 s15, s14
	s_cbranch_execnz .LBB22_932
	s_branch .LBB22_933
.LBB22_1200:
	s_mov_b32 s0, -1
	s_mov_b32 s11, 0
.LBB22_1201:
                                        ; implicit-def: $vgpr4
.LBB22_1202:
	s_and_b32 vcc_lo, exec_lo, s12
	s_cbranch_vccz .LBB22_1206
; %bb.1203:
	v_cmp_eq_u16_e32 vcc_lo, 44, v11
	s_cbranch_vccz .LBB22_1205
; %bb.1204:
	global_load_u8 v3, v[0:1], off
	s_mov_b32 s0, 0
	s_mov_b32 s11, -1
	s_waitcnt vmcnt(0)
	v_lshlrev_b32_e32 v4, 23, v3
	v_cmp_ne_u32_e32 vcc_lo, 0, v3
	s_delay_alu instid0(VALU_DEP_2) | instskip(NEXT) | instid1(VALU_DEP_1)
	v_cvt_i32_f32_e32 v4, v4
	v_cndmask_b32_e32 v4, 0, v4, vcc_lo
	s_branch .LBB22_1206
.LBB22_1205:
	s_mov_b32 s0, -1
                                        ; implicit-def: $vgpr4
.LBB22_1206:
	s_mov_b32 s12, 0
.LBB22_1207:
	s_delay_alu instid0(SALU_CYCLE_1)
	s_and_b32 vcc_lo, exec_lo, s12
	s_cbranch_vccz .LBB22_1211
; %bb.1208:
	v_cmp_eq_u16_e32 vcc_lo, 29, v11
	s_cbranch_vccz .LBB22_1210
; %bb.1209:
	global_load_b64 v[4:5], v[0:1], off
	s_mov_b32 s0, 0
	s_mov_b32 s11, -1
	s_branch .LBB22_1211
.LBB22_1210:
	s_mov_b32 s0, -1
                                        ; implicit-def: $vgpr4
.LBB22_1211:
	s_mov_b32 s12, 0
.LBB22_1212:
	s_delay_alu instid0(SALU_CYCLE_1)
	s_and_b32 vcc_lo, exec_lo, s12
	s_cbranch_vccz .LBB22_1228
; %bb.1213:
	v_cmp_gt_i16_e32 vcc_lo, 27, v11
	s_cbranch_vccnz .LBB22_1216
; %bb.1214:
	v_cmp_lt_i16_e32 vcc_lo, 27, v11
	s_cbranch_vccz .LBB22_1217
; %bb.1215:
	global_load_b32 v4, v[0:1], off
	s_mov_b32 s11, 0
	s_branch .LBB22_1218
.LBB22_1216:
	s_mov_b32 s11, -1
                                        ; implicit-def: $vgpr4
	s_branch .LBB22_1221
.LBB22_1217:
	s_mov_b32 s11, -1
                                        ; implicit-def: $vgpr4
.LBB22_1218:
	s_delay_alu instid0(SALU_CYCLE_1)
	s_and_not1_b32 vcc_lo, exec_lo, s11
	s_cbranch_vccnz .LBB22_1220
; %bb.1219:
	global_load_u16 v4, v[0:1], off
.LBB22_1220:
	s_mov_b32 s11, 0
.LBB22_1221:
	s_delay_alu instid0(SALU_CYCLE_1)
	s_and_not1_b32 vcc_lo, exec_lo, s11
	s_cbranch_vccnz .LBB22_1227
; %bb.1222:
	global_load_u8 v3, v[0:1], off
	s_mov_b32 s11, 0
	s_mov_b32 s12, exec_lo
                                        ; implicit-def: $sgpr13
	s_waitcnt vmcnt(0)
	v_cmpx_lt_i16_e32 0x7f, v3
	s_xor_b32 s12, exec_lo, s12
	s_cbranch_execz .LBB22_1238
; %bb.1223:
	v_cmp_ne_u16_e32 vcc_lo, 0x80, v3
	s_mov_b32 s13, 0
	s_and_b32 s11, vcc_lo, exec_lo
	s_or_saveexec_b32 s12, s12
	v_mov_b32_e32 v4, s13
	s_xor_b32 exec_lo, exec_lo, s12
	s_cbranch_execnz .LBB22_1239
.LBB22_1224:
	s_or_b32 exec_lo, exec_lo, s12
	s_and_saveexec_b32 s12, s11
	s_cbranch_execz .LBB22_1226
.LBB22_1225:
	v_and_b32_e32 v4, 0xffff, v3
	v_lshlrev_b32_e32 v3, 24, v3
	s_delay_alu instid0(VALU_DEP_2) | instskip(NEXT) | instid1(VALU_DEP_2)
	v_and_b32_e32 v5, 7, v4
	v_and_b32_e32 v3, 0x80000000, v3
	s_delay_alu instid0(VALU_DEP_2) | instskip(NEXT) | instid1(VALU_DEP_1)
	v_clz_i32_u32_e32 v7, v5
	v_min_u32_e32 v7, 32, v7
	s_delay_alu instid0(VALU_DEP_1) | instskip(SKIP_1) | instid1(VALU_DEP_2)
	v_subrev_nc_u32_e32 v8, 28, v7
	v_sub_nc_u32_e32 v7, 29, v7
	v_lshlrev_b32_e32 v8, v8, v4
	v_bfe_u32 v4, v4, 3, 4
	s_delay_alu instid0(VALU_DEP_2) | instskip(NEXT) | instid1(VALU_DEP_2)
	v_and_b32_e32 v8, 7, v8
	v_cmp_eq_u32_e32 vcc_lo, 0, v4
	s_delay_alu instid0(VALU_DEP_2) | instskip(NEXT) | instid1(VALU_DEP_1)
	v_dual_cndmask_b32 v4, v4, v7 :: v_dual_cndmask_b32 v5, v5, v8
	v_lshl_add_u32 v4, v4, 23, 0x3b800000
	s_delay_alu instid0(VALU_DEP_2) | instskip(NEXT) | instid1(VALU_DEP_1)
	v_lshlrev_b32_e32 v5, 20, v5
	v_or3_b32 v3, v3, v4, v5
	s_delay_alu instid0(VALU_DEP_1)
	v_cvt_i32_f32_e32 v4, v3
.LBB22_1226:
	s_or_b32 exec_lo, exec_lo, s12
.LBB22_1227:
	s_mov_b32 s11, -1
.LBB22_1228:
	s_branch .LBB22_1259
.LBB22_1229:
	v_cmp_lt_i16_e32 vcc_lo, 22, v11
	s_cbranch_vccz .LBB22_1237
; %bb.1230:
	v_cmp_gt_i16_e32 vcc_lo, 24, v11
	s_cbranch_vccnz .LBB22_1240
; %bb.1231:
	v_cmp_lt_i16_e32 vcc_lo, 24, v11
	s_cbranch_vccz .LBB22_1241
; %bb.1232:
	global_load_u8 v3, v[0:1], off
	s_mov_b32 s11, exec_lo
                                        ; implicit-def: $sgpr12
	s_waitcnt vmcnt(0)
	v_cmpx_lt_i16_e32 0x7f, v3
	s_xor_b32 s11, exec_lo, s11
	s_cbranch_execz .LBB22_1253
; %bb.1233:
	v_cmp_ne_u16_e32 vcc_lo, 0x80, v3
	s_mov_b32 s12, 0
	s_and_b32 s10, vcc_lo, exec_lo
	s_or_saveexec_b32 s11, s11
	v_mov_b32_e32 v4, s12
	s_xor_b32 exec_lo, exec_lo, s11
	s_cbranch_execnz .LBB22_1254
.LBB22_1234:
	s_or_b32 exec_lo, exec_lo, s11
	s_and_saveexec_b32 s11, s10
	s_cbranch_execz .LBB22_1236
.LBB22_1235:
	v_and_b32_e32 v4, 0xffff, v3
	v_lshlrev_b32_e32 v3, 24, v3
	s_delay_alu instid0(VALU_DEP_2) | instskip(NEXT) | instid1(VALU_DEP_2)
	v_and_b32_e32 v5, 3, v4
	v_and_b32_e32 v3, 0x80000000, v3
	s_delay_alu instid0(VALU_DEP_2) | instskip(NEXT) | instid1(VALU_DEP_1)
	v_clz_i32_u32_e32 v7, v5
	v_min_u32_e32 v7, 32, v7
	s_delay_alu instid0(VALU_DEP_1) | instskip(SKIP_1) | instid1(VALU_DEP_2)
	v_subrev_nc_u32_e32 v8, 29, v7
	v_sub_nc_u32_e32 v7, 30, v7
	v_lshlrev_b32_e32 v8, v8, v4
	v_bfe_u32 v4, v4, 2, 5
	s_delay_alu instid0(VALU_DEP_2) | instskip(NEXT) | instid1(VALU_DEP_2)
	v_and_b32_e32 v8, 3, v8
	v_cmp_eq_u32_e32 vcc_lo, 0, v4
	s_delay_alu instid0(VALU_DEP_2) | instskip(NEXT) | instid1(VALU_DEP_1)
	v_dual_cndmask_b32 v4, v4, v7 :: v_dual_cndmask_b32 v5, v5, v8
	v_lshl_add_u32 v4, v4, 23, 0x37800000
	s_delay_alu instid0(VALU_DEP_2) | instskip(NEXT) | instid1(VALU_DEP_1)
	v_lshlrev_b32_e32 v5, 21, v5
	v_or3_b32 v3, v3, v4, v5
	s_delay_alu instid0(VALU_DEP_1)
	v_cvt_i32_f32_e32 v4, v3
.LBB22_1236:
	s_or_b32 exec_lo, exec_lo, s11
	s_mov_b32 s10, 0
	s_branch .LBB22_1242
.LBB22_1237:
	s_mov_b32 s10, -1
                                        ; implicit-def: $vgpr4
	s_branch .LBB22_1248
.LBB22_1238:
	s_or_saveexec_b32 s12, s12
	v_mov_b32_e32 v4, s13
	s_xor_b32 exec_lo, exec_lo, s12
	s_cbranch_execz .LBB22_1224
.LBB22_1239:
	v_cmp_ne_u16_e32 vcc_lo, 0, v3
	v_mov_b32_e32 v4, 0
	s_and_not1_b32 s11, s11, exec_lo
	s_and_b32 s13, vcc_lo, exec_lo
	s_delay_alu instid0(SALU_CYCLE_1)
	s_or_b32 s11, s11, s13
	s_or_b32 exec_lo, exec_lo, s12
	s_and_saveexec_b32 s12, s11
	s_cbranch_execnz .LBB22_1225
	s_branch .LBB22_1226
.LBB22_1240:
	s_mov_b32 s10, -1
                                        ; implicit-def: $vgpr4
	s_branch .LBB22_1245
.LBB22_1241:
	s_mov_b32 s10, -1
                                        ; implicit-def: $vgpr4
.LBB22_1242:
	s_delay_alu instid0(SALU_CYCLE_1)
	s_and_b32 vcc_lo, exec_lo, s10
	s_cbranch_vccz .LBB22_1244
; %bb.1243:
	global_load_u8 v3, v[0:1], off
	s_waitcnt vmcnt(0)
	v_lshlrev_b32_e32 v3, 24, v3
	s_delay_alu instid0(VALU_DEP_1) | instskip(NEXT) | instid1(VALU_DEP_1)
	v_and_b32_e32 v4, 0x7f000000, v3
	v_clz_i32_u32_e32 v5, v4
	v_add_nc_u32_e32 v8, 0x1000000, v4
	v_cmp_ne_u32_e32 vcc_lo, 0, v4
	s_delay_alu instid0(VALU_DEP_3) | instskip(NEXT) | instid1(VALU_DEP_1)
	v_min_u32_e32 v5, 32, v5
	v_sub_nc_u32_e64 v5, v5, 4 clamp
	s_delay_alu instid0(VALU_DEP_1) | instskip(SKIP_1) | instid1(VALU_DEP_2)
	v_lshlrev_b32_e32 v7, v5, v4
	v_lshlrev_b32_e32 v5, 23, v5
	v_lshrrev_b32_e32 v7, 4, v7
	s_delay_alu instid0(VALU_DEP_1) | instskip(SKIP_1) | instid1(VALU_DEP_2)
	v_sub_nc_u32_e32 v5, v7, v5
	v_ashrrev_i32_e32 v7, 8, v8
	v_add_nc_u32_e32 v5, 0x3c000000, v5
	s_delay_alu instid0(VALU_DEP_1) | instskip(NEXT) | instid1(VALU_DEP_1)
	v_and_or_b32 v5, 0x7f800000, v7, v5
	v_cndmask_b32_e32 v4, 0, v5, vcc_lo
	s_delay_alu instid0(VALU_DEP_1) | instskip(NEXT) | instid1(VALU_DEP_1)
	v_and_or_b32 v3, 0x80000000, v3, v4
	v_cvt_i32_f32_e32 v4, v3
.LBB22_1244:
	s_mov_b32 s10, 0
.LBB22_1245:
	s_delay_alu instid0(SALU_CYCLE_1)
	s_and_not1_b32 vcc_lo, exec_lo, s10
	s_cbranch_vccnz .LBB22_1247
; %bb.1246:
	global_load_u8 v3, v[0:1], off
	s_waitcnt vmcnt(0)
	v_lshlrev_b32_e32 v4, 25, v3
	v_lshlrev_b16 v3, 8, v3
	s_delay_alu instid0(VALU_DEP_2) | instskip(NEXT) | instid1(VALU_DEP_2)
	v_lshrrev_b32_e32 v5, 4, v4
	v_and_or_b32 v7, 0x7f00, v3, 0.5
	v_bfe_i32 v3, v3, 0, 16
	s_delay_alu instid0(VALU_DEP_3) | instskip(NEXT) | instid1(VALU_DEP_3)
	v_or_b32_e32 v5, 0x70000000, v5
	v_add_f32_e32 v7, -0.5, v7
	s_delay_alu instid0(VALU_DEP_2) | instskip(SKIP_1) | instid1(VALU_DEP_2)
	v_mul_f32_e32 v5, 0x7800000, v5
	v_cmp_gt_u32_e32 vcc_lo, 0x8000000, v4
	v_cndmask_b32_e32 v4, v5, v7, vcc_lo
	s_delay_alu instid0(VALU_DEP_1) | instskip(NEXT) | instid1(VALU_DEP_1)
	v_and_or_b32 v3, 0x80000000, v3, v4
	v_cvt_i32_f32_e32 v4, v3
.LBB22_1247:
	s_mov_b32 s10, 0
	s_mov_b32 s11, -1
.LBB22_1248:
	s_and_not1_b32 vcc_lo, exec_lo, s10
	s_mov_b32 s10, 0
	s_cbranch_vccnz .LBB22_1259
; %bb.1249:
	v_cmp_lt_i16_e32 vcc_lo, 14, v11
	s_cbranch_vccz .LBB22_1252
; %bb.1250:
	v_cmp_eq_u16_e32 vcc_lo, 15, v11
	s_cbranch_vccz .LBB22_1255
; %bb.1251:
	global_load_u16 v3, v[0:1], off
	s_mov_b32 s0, 0
	s_mov_b32 s11, -1
	s_waitcnt vmcnt(0)
	v_lshlrev_b32_e32 v3, 16, v3
	s_delay_alu instid0(VALU_DEP_1)
	v_cvt_i32_f32_e32 v4, v3
	s_branch .LBB22_1257
.LBB22_1252:
	s_mov_b32 s10, -1
	s_branch .LBB22_1256
.LBB22_1253:
	s_or_saveexec_b32 s11, s11
	v_mov_b32_e32 v4, s12
	s_xor_b32 exec_lo, exec_lo, s11
	s_cbranch_execz .LBB22_1234
.LBB22_1254:
	v_cmp_ne_u16_e32 vcc_lo, 0, v3
	v_mov_b32_e32 v4, 0
	s_and_not1_b32 s10, s10, exec_lo
	s_and_b32 s12, vcc_lo, exec_lo
	s_delay_alu instid0(SALU_CYCLE_1)
	s_or_b32 s10, s10, s12
	s_or_b32 exec_lo, exec_lo, s11
	s_and_saveexec_b32 s11, s10
	s_cbranch_execnz .LBB22_1235
	s_branch .LBB22_1236
.LBB22_1255:
	s_mov_b32 s0, -1
.LBB22_1256:
                                        ; implicit-def: $vgpr4
.LBB22_1257:
	s_and_b32 vcc_lo, exec_lo, s10
	s_mov_b32 s10, 0
	s_cbranch_vccz .LBB22_1259
; %bb.1258:
	v_cmp_ne_u16_e64 s0, 11, v11
	s_mov_b32 s10, -1
                                        ; implicit-def: $vgpr4
.LBB22_1259:
	s_delay_alu instid0(VALU_DEP_1)
	s_and_b32 vcc_lo, exec_lo, s0
	s_cbranch_vccnz .LBB22_1283
; %bb.1260:
	s_and_not1_b32 vcc_lo, exec_lo, s10
	s_cbranch_vccnz .LBB22_1262
.LBB22_1261:
	global_load_u8 v3, v[0:1], off
	s_mov_b32 s11, -1
	s_waitcnt vmcnt(0)
	v_cmp_ne_u16_e32 vcc_lo, 0, v3
	v_cndmask_b32_e64 v4, 0, 1, vcc_lo
.LBB22_1262:
.LBB22_1263:
	s_and_not1_b32 vcc_lo, exec_lo, s11
	s_cbranch_vccnz .LBB22_1326
.LBB22_1264:
	s_waitcnt vmcnt(0)
	v_add_nc_u32_e32 v5, s3, v2
	v_cmp_gt_i16_e32 vcc_lo, 11, v11
	s_delay_alu instid0(VALU_DEP_2) | instskip(SKIP_1) | instid1(VALU_DEP_1)
	v_ashrrev_i32_e32 v1, 31, v5
	v_add_co_u32 v0, s0, s6, v5
	v_add_co_ci_u32_e64 v1, s0, s7, v1, s0
	s_cbranch_vccnz .LBB22_1271
; %bb.1265:
	v_cmp_lt_i16_e32 vcc_lo, 25, v11
	s_mov_b32 s10, 0
	s_cbranch_vccz .LBB22_1277
; %bb.1266:
	v_cmp_lt_i16_e32 vcc_lo, 28, v11
	s_cbranch_vccz .LBB22_1279
; %bb.1267:
	v_cmp_lt_i16_e32 vcc_lo, 43, v11
	;; [unrolled: 3-line block ×3, first 2 shown]
	s_cbranch_vccz .LBB22_1285
; %bb.1269:
	v_cmp_eq_u16_e32 vcc_lo, 46, v11
	s_mov_b32 s12, 0
	s_cbranch_vccz .LBB22_1373
; %bb.1270:
	global_load_b32 v2, v[0:1], off
	s_mov_b32 s0, 0
	s_mov_b32 s11, -1
	s_waitcnt vmcnt(0)
	v_lshlrev_b32_e32 v2, 16, v2
	s_delay_alu instid0(VALU_DEP_1)
	v_cvt_i32_f32_e32 v2, v2
	s_branch .LBB22_1375
.LBB22_1271:
	s_mov_b32 s11, 0
                                        ; implicit-def: $vgpr2
	s_cbranch_execz .LBB22_1437
; %bb.1272:
	v_cmp_gt_i16_e32 vcc_lo, 5, v11
	s_cbranch_vccnz .LBB22_1278
; %bb.1273:
	v_cmp_gt_i16_e32 vcc_lo, 8, v11
	s_cbranch_vccnz .LBB22_1280
	;; [unrolled: 3-line block ×3, first 2 shown]
; %bb.1275:
	v_cmp_lt_i16_e32 vcc_lo, 9, v11
	s_cbranch_vccz .LBB22_1286
; %bb.1276:
	global_load_b64 v[2:3], v[0:1], off
	s_mov_b32 s0, 0
	s_waitcnt vmcnt(0)
	v_cvt_i32_f64_e32 v2, v[2:3]
	s_branch .LBB22_1287
.LBB22_1277:
	s_mov_b32 s12, -1
	s_mov_b32 s11, 0
	s_mov_b32 s0, 0
                                        ; implicit-def: $vgpr2
	s_branch .LBB22_1402
.LBB22_1278:
	s_mov_b32 s0, -1
                                        ; implicit-def: $vgpr2
	s_branch .LBB22_1305
.LBB22_1279:
	s_mov_b32 s12, -1
	s_mov_b32 s11, 0
	s_mov_b32 s0, 0
                                        ; implicit-def: $vgpr2
	s_branch .LBB22_1385
.LBB22_1280:
	s_mov_b32 s0, -1
                                        ; implicit-def: $vgpr2
	s_branch .LBB22_1293
.LBB22_1281:
	s_mov_b32 s12, -1
	s_mov_b32 s11, 0
	s_mov_b32 s0, 0
                                        ; implicit-def: $vgpr2
	s_branch .LBB22_1380
.LBB22_1282:
	s_mov_b32 s0, -1
                                        ; implicit-def: $vgpr2
	s_branch .LBB22_1290
.LBB22_1283:
	s_cbranch_execnz .LBB22_1371
; %bb.1284:
	s_or_b32 s1, s1, exec_lo
                                        ; implicit-def: $vgpr4
	s_cbranch_execz .LBB22_1261
	s_branch .LBB22_1262
.LBB22_1285:
	s_mov_b32 s12, -1
	s_mov_b32 s11, 0
	s_mov_b32 s0, 0
	s_branch .LBB22_1374
.LBB22_1286:
	s_mov_b32 s0, -1
                                        ; implicit-def: $vgpr2
.LBB22_1287:
	s_delay_alu instid0(SALU_CYCLE_1)
	s_and_not1_b32 vcc_lo, exec_lo, s0
	s_cbranch_vccnz .LBB22_1289
; %bb.1288:
	global_load_b32 v2, v[0:1], off
	s_waitcnt vmcnt(0)
	v_cvt_i32_f32_e32 v2, v2
.LBB22_1289:
	s_mov_b32 s0, 0
.LBB22_1290:
	s_delay_alu instid0(SALU_CYCLE_1)
	s_and_not1_b32 vcc_lo, exec_lo, s0
	s_cbranch_vccnz .LBB22_1292
; %bb.1291:
	global_load_b32 v2, v[0:1], off
	s_waitcnt vmcnt(0)
	v_cvt_i16_f16_e32 v2, v2
.LBB22_1292:
	s_mov_b32 s0, 0
.LBB22_1293:
	s_delay_alu instid0(SALU_CYCLE_1)
	s_and_not1_b32 vcc_lo, exec_lo, s0
	s_cbranch_vccnz .LBB22_1304
; %bb.1294:
	v_cmp_gt_i16_e32 vcc_lo, 6, v11
	s_cbranch_vccnz .LBB22_1297
; %bb.1295:
	v_cmp_lt_i16_e32 vcc_lo, 6, v11
	s_cbranch_vccz .LBB22_1298
; %bb.1296:
	global_load_b64 v[2:3], v[0:1], off
	s_mov_b32 s0, 0
	s_waitcnt vmcnt(0)
	v_cvt_i32_f64_e32 v2, v[2:3]
	s_branch .LBB22_1299
.LBB22_1297:
	s_mov_b32 s0, -1
                                        ; implicit-def: $vgpr2
	s_branch .LBB22_1302
.LBB22_1298:
	s_mov_b32 s0, -1
                                        ; implicit-def: $vgpr2
.LBB22_1299:
	s_delay_alu instid0(SALU_CYCLE_1)
	s_and_not1_b32 vcc_lo, exec_lo, s0
	s_cbranch_vccnz .LBB22_1301
; %bb.1300:
	global_load_b32 v2, v[0:1], off
	s_waitcnt vmcnt(0)
	v_cvt_i32_f32_e32 v2, v2
.LBB22_1301:
	s_mov_b32 s0, 0
.LBB22_1302:
	s_delay_alu instid0(SALU_CYCLE_1)
	s_and_not1_b32 vcc_lo, exec_lo, s0
	s_cbranch_vccnz .LBB22_1304
; %bb.1303:
	global_load_u16 v2, v[0:1], off
	s_waitcnt vmcnt(0)
	v_cvt_i16_f16_e32 v2, v2
.LBB22_1304:
	s_mov_b32 s0, 0
.LBB22_1305:
	s_delay_alu instid0(SALU_CYCLE_1)
	s_and_not1_b32 vcc_lo, exec_lo, s0
	s_cbranch_vccnz .LBB22_1325
; %bb.1306:
	v_cmp_gt_i16_e32 vcc_lo, 2, v11
	s_cbranch_vccnz .LBB22_1310
; %bb.1307:
	v_cmp_gt_i16_e32 vcc_lo, 3, v11
	s_cbranch_vccnz .LBB22_1311
; %bb.1308:
	v_cmp_lt_i16_e32 vcc_lo, 3, v11
	s_cbranch_vccz .LBB22_1312
; %bb.1309:
	global_load_b64 v[2:3], v[0:1], off
	s_mov_b32 s0, 0
	s_branch .LBB22_1313
.LBB22_1310:
	s_mov_b32 s0, -1
                                        ; implicit-def: $vgpr2
	s_branch .LBB22_1319
.LBB22_1311:
	s_mov_b32 s0, -1
                                        ; implicit-def: $vgpr2
	s_branch .LBB22_1316
.LBB22_1312:
	s_mov_b32 s0, -1
                                        ; implicit-def: $vgpr2
.LBB22_1313:
	s_delay_alu instid0(SALU_CYCLE_1)
	s_and_not1_b32 vcc_lo, exec_lo, s0
	s_cbranch_vccnz .LBB22_1315
; %bb.1314:
	global_load_b32 v2, v[0:1], off
.LBB22_1315:
	s_mov_b32 s0, 0
.LBB22_1316:
	s_delay_alu instid0(SALU_CYCLE_1)
	s_and_not1_b32 vcc_lo, exec_lo, s0
	s_cbranch_vccnz .LBB22_1318
; %bb.1317:
	global_load_u16 v2, v[0:1], off
.LBB22_1318:
	s_mov_b32 s0, 0
.LBB22_1319:
	s_delay_alu instid0(SALU_CYCLE_1)
	s_and_not1_b32 vcc_lo, exec_lo, s0
	s_cbranch_vccnz .LBB22_1325
; %bb.1320:
	v_cmp_lt_i16_e32 vcc_lo, 0, v11
	s_mov_b32 s0, 0
	s_cbranch_vccz .LBB22_1322
; %bb.1321:
	global_load_u8 v2, v[0:1], off
	s_branch .LBB22_1323
.LBB22_1322:
	s_mov_b32 s0, -1
                                        ; implicit-def: $vgpr2
.LBB22_1323:
	s_delay_alu instid0(SALU_CYCLE_1)
	s_and_not1_b32 vcc_lo, exec_lo, s0
	s_cbranch_vccnz .LBB22_1325
; %bb.1324:
	global_load_u8 v2, v[0:1], off
.LBB22_1325:
	s_branch .LBB22_1438
.LBB22_1326:
	s_mov_b32 s3, 0
	s_mov_b32 s2, 0
                                        ; implicit-def: $vgpr12
                                        ; implicit-def: $vgpr1_vgpr2
                                        ; implicit-def: $vgpr3
                                        ; implicit-def: $vgpr0
.LBB22_1327:
	s_and_b32 s0, s3, exec_lo
	s_and_not1_b32 s3, s9, exec_lo
	s_and_b32 s4, s1, exec_lo
	s_and_b32 s1, s2, exec_lo
	s_or_b32 s9, s3, s4
.LBB22_1328:
	s_or_b32 exec_lo, exec_lo, s8
	s_and_saveexec_b32 s2, s9
	s_cbranch_execz .LBB22_1331
; %bb.1329:
	; divergent unreachable
	s_or_b32 exec_lo, exec_lo, s2
	s_and_saveexec_b32 s2, s1
	s_delay_alu instid0(SALU_CYCLE_1)
	s_xor_b32 s1, exec_lo, s2
	s_cbranch_execnz .LBB22_1332
.LBB22_1330:
	s_or_b32 exec_lo, exec_lo, s1
	s_and_saveexec_b32 s1, s0
	s_cbranch_execnz .LBB22_1333
	s_branch .LBB22_1370
.LBB22_1331:
	s_or_b32 exec_lo, exec_lo, s2
	s_and_saveexec_b32 s2, s1
	s_delay_alu instid0(SALU_CYCLE_1)
	s_xor_b32 s1, exec_lo, s2
	s_cbranch_execz .LBB22_1330
.LBB22_1332:
	s_waitcnt vmcnt(0)
	s_delay_alu instid0(VALU_DEP_1) | instskip(NEXT) | instid1(VALU_DEP_1)
	v_and_b32_e32 v0, 0xff, v0
	v_cmp_ne_u16_e32 vcc_lo, 0xff, v0
	v_cndmask_b32_e64 v0, 0, 1, vcc_lo
	global_store_b8 v[1:2], v0, off
	s_or_b32 exec_lo, exec_lo, s1
	s_and_saveexec_b32 s1, s0
	s_cbranch_execz .LBB22_1370
.LBB22_1333:
	v_cmp_gt_i16_e32 vcc_lo, 5, v12
	s_mov_b32 s0, -1
	s_cbranch_vccnz .LBB22_1354
; %bb.1334:
	v_cmp_gt_i16_e32 vcc_lo, 8, v12
	s_cbranch_vccnz .LBB22_1344
; %bb.1335:
	v_cmp_gt_i16_e32 vcc_lo, 9, v12
	s_cbranch_vccnz .LBB22_1341
; %bb.1336:
	v_cmp_lt_i16_e32 vcc_lo, 9, v12
	s_cbranch_vccz .LBB22_1338
; %bb.1337:
	s_waitcnt vmcnt(0)
	v_bfe_i32 v0, v3, 0, 8
	v_mov_b32_e32 v6, 0
	s_mov_b32 s0, 0
	s_delay_alu instid0(VALU_DEP_2) | instskip(NEXT) | instid1(VALU_DEP_2)
	v_bfe_i32 v0, v0, 0, 16
	v_mov_b32_e32 v7, v6
	s_delay_alu instid0(VALU_DEP_2)
	v_cvt_f64_i32_e32 v[4:5], v0
	global_store_b128 v[1:2], v[4:7], off
.LBB22_1338:
	s_and_not1_b32 vcc_lo, exec_lo, s0
	s_cbranch_vccnz .LBB22_1340
; %bb.1339:
	s_waitcnt vmcnt(0)
	v_bfe_i32 v0, v3, 0, 8
	v_mov_b32_e32 v5, 0
	s_delay_alu instid0(VALU_DEP_2) | instskip(NEXT) | instid1(VALU_DEP_1)
	v_bfe_i32 v0, v0, 0, 16
	v_cvt_f32_i32_e32 v4, v0
	global_store_b64 v[1:2], v[4:5], off
.LBB22_1340:
	s_mov_b32 s0, 0
.LBB22_1341:
	s_delay_alu instid0(SALU_CYCLE_1)
	s_and_not1_b32 vcc_lo, exec_lo, s0
	s_cbranch_vccnz .LBB22_1343
; %bb.1342:
	s_waitcnt vmcnt(0)
	v_bfe_i32 v0, v3, 0, 8
	s_delay_alu instid0(VALU_DEP_1) | instskip(NEXT) | instid1(VALU_DEP_1)
	v_cvt_f16_i16_e32 v0, v0
	v_and_b32_e32 v0, 0xffff, v0
	global_store_b32 v[1:2], v0, off
.LBB22_1343:
	s_mov_b32 s0, 0
.LBB22_1344:
	s_delay_alu instid0(SALU_CYCLE_1)
	s_and_not1_b32 vcc_lo, exec_lo, s0
	s_cbranch_vccnz .LBB22_1353
; %bb.1345:
	v_cmp_gt_i16_e32 vcc_lo, 6, v12
	s_mov_b32 s0, -1
	s_cbranch_vccnz .LBB22_1351
; %bb.1346:
	v_cmp_lt_i16_e32 vcc_lo, 6, v12
	s_cbranch_vccz .LBB22_1348
; %bb.1347:
	s_waitcnt vmcnt(0)
	v_bfe_i32 v0, v3, 0, 8
	s_mov_b32 s0, 0
	s_delay_alu instid0(VALU_DEP_1) | instskip(NEXT) | instid1(VALU_DEP_1)
	v_bfe_i32 v0, v0, 0, 16
	v_cvt_f64_i32_e32 v[4:5], v0
	global_store_b64 v[1:2], v[4:5], off
.LBB22_1348:
	s_and_not1_b32 vcc_lo, exec_lo, s0
	s_cbranch_vccnz .LBB22_1350
; %bb.1349:
	s_waitcnt vmcnt(0)
	v_bfe_i32 v0, v3, 0, 8
	s_delay_alu instid0(VALU_DEP_1) | instskip(NEXT) | instid1(VALU_DEP_1)
	v_bfe_i32 v0, v0, 0, 16
	v_cvt_f32_i32_e32 v0, v0
	global_store_b32 v[1:2], v0, off
.LBB22_1350:
	s_mov_b32 s0, 0
.LBB22_1351:
	s_delay_alu instid0(SALU_CYCLE_1)
	s_and_not1_b32 vcc_lo, exec_lo, s0
	s_cbranch_vccnz .LBB22_1353
; %bb.1352:
	s_waitcnt vmcnt(0)
	v_bfe_i32 v0, v3, 0, 8
	s_delay_alu instid0(VALU_DEP_1)
	v_cvt_f16_i16_e32 v0, v0
	global_store_b16 v[1:2], v0, off
.LBB22_1353:
	s_mov_b32 s0, 0
.LBB22_1354:
	s_delay_alu instid0(SALU_CYCLE_1)
	s_and_not1_b32 vcc_lo, exec_lo, s0
	s_cbranch_vccnz .LBB22_1370
; %bb.1355:
	v_cmp_gt_i16_e32 vcc_lo, 2, v12
	s_mov_b32 s0, -1
	s_cbranch_vccnz .LBB22_1365
; %bb.1356:
	v_cmp_gt_i16_e32 vcc_lo, 3, v12
	s_cbranch_vccnz .LBB22_1362
; %bb.1357:
	v_cmp_lt_i16_e32 vcc_lo, 3, v12
	s_cbranch_vccz .LBB22_1359
; %bb.1358:
	s_waitcnt vmcnt(0)
	v_bfe_i32 v4, v3, 0, 8
	s_mov_b32 s0, 0
	s_delay_alu instid0(VALU_DEP_1)
	v_ashrrev_i32_e32 v5, 31, v4
	global_store_b64 v[1:2], v[4:5], off
.LBB22_1359:
	s_and_not1_b32 vcc_lo, exec_lo, s0
	s_cbranch_vccnz .LBB22_1361
; %bb.1360:
	s_waitcnt vmcnt(0)
	v_bfe_i32 v0, v3, 0, 8
	global_store_b32 v[1:2], v0, off
.LBB22_1361:
	s_mov_b32 s0, 0
.LBB22_1362:
	s_delay_alu instid0(SALU_CYCLE_1)
	s_and_not1_b32 vcc_lo, exec_lo, s0
	s_cbranch_vccnz .LBB22_1364
; %bb.1363:
	s_waitcnt vmcnt(0)
	v_bfe_i32 v0, v3, 0, 8
	global_store_b16 v[1:2], v0, off
.LBB22_1364:
	s_mov_b32 s0, 0
.LBB22_1365:
	s_delay_alu instid0(SALU_CYCLE_1)
	s_and_not1_b32 vcc_lo, exec_lo, s0
	s_cbranch_vccnz .LBB22_1370
; %bb.1366:
	v_cmp_lt_i16_e32 vcc_lo, 0, v12
	s_mov_b32 s0, -1
	s_cbranch_vccz .LBB22_1368
; %bb.1367:
	s_mov_b32 s0, 0
	s_waitcnt vmcnt(0)
	global_store_b8 v[1:2], v3, off
.LBB22_1368:
	s_and_not1_b32 vcc_lo, exec_lo, s0
	s_cbranch_vccnz .LBB22_1370
; %bb.1369:
	s_waitcnt vmcnt(0)
	global_store_b8 v[1:2], v3, off
	s_nop 0
	s_sendmsg sendmsg(MSG_DEALLOC_VGPRS)
	s_endpgm
.LBB22_1370:
	s_nop 0
	s_sendmsg sendmsg(MSG_DEALLOC_VGPRS)
	s_endpgm
.LBB22_1371:
	s_trap 2
	s_sendmsg_rtn_b32 s0, sendmsg(MSG_RTN_GET_DOORBELL)
	s_mov_b32 ttmp2, m0
	s_waitcnt lgkmcnt(0)
	s_and_b32 s0, s0, 0x3ff
	s_delay_alu instid0(SALU_CYCLE_1) | instskip(NEXT) | instid1(SALU_CYCLE_1)
	s_bitset1_b32 s0, 10
	s_mov_b32 m0, s0
	s_sendmsg sendmsg(MSG_INTERRUPT)
	s_mov_b32 m0, ttmp2
.LBB22_1372:                            ; =>This Inner Loop Header: Depth=1
	s_sethalt 5
	s_branch .LBB22_1372
.LBB22_1373:
	s_mov_b32 s0, -1
	s_mov_b32 s11, 0
.LBB22_1374:
                                        ; implicit-def: $vgpr2
.LBB22_1375:
	s_and_b32 vcc_lo, exec_lo, s12
	s_cbranch_vccz .LBB22_1379
; %bb.1376:
	v_cmp_eq_u16_e32 vcc_lo, 44, v11
	s_cbranch_vccz .LBB22_1378
; %bb.1377:
	global_load_u8 v2, v[0:1], off
	s_mov_b32 s0, 0
	s_mov_b32 s11, -1
	s_waitcnt vmcnt(0)
	v_lshlrev_b32_e32 v3, 23, v2
	v_cmp_ne_u32_e32 vcc_lo, 0, v2
	s_delay_alu instid0(VALU_DEP_2) | instskip(NEXT) | instid1(VALU_DEP_1)
	v_cvt_i32_f32_e32 v3, v3
	v_cndmask_b32_e32 v2, 0, v3, vcc_lo
	s_branch .LBB22_1379
.LBB22_1378:
	s_mov_b32 s0, -1
                                        ; implicit-def: $vgpr2
.LBB22_1379:
	s_mov_b32 s12, 0
.LBB22_1380:
	s_delay_alu instid0(SALU_CYCLE_1)
	s_and_b32 vcc_lo, exec_lo, s12
	s_cbranch_vccz .LBB22_1384
; %bb.1381:
	v_cmp_eq_u16_e32 vcc_lo, 29, v11
	s_cbranch_vccz .LBB22_1383
; %bb.1382:
	global_load_b64 v[2:3], v[0:1], off
	s_mov_b32 s0, 0
	s_mov_b32 s11, -1
	s_branch .LBB22_1384
.LBB22_1383:
	s_mov_b32 s0, -1
                                        ; implicit-def: $vgpr2
.LBB22_1384:
	s_mov_b32 s12, 0
.LBB22_1385:
	s_delay_alu instid0(SALU_CYCLE_1)
	s_and_b32 vcc_lo, exec_lo, s12
	s_cbranch_vccz .LBB22_1401
; %bb.1386:
	v_cmp_gt_i16_e32 vcc_lo, 27, v11
	s_cbranch_vccnz .LBB22_1389
; %bb.1387:
	v_cmp_lt_i16_e32 vcc_lo, 27, v11
	s_cbranch_vccz .LBB22_1390
; %bb.1388:
	global_load_b32 v2, v[0:1], off
	s_mov_b32 s11, 0
	s_branch .LBB22_1391
.LBB22_1389:
	s_mov_b32 s11, -1
                                        ; implicit-def: $vgpr2
	s_branch .LBB22_1394
.LBB22_1390:
	s_mov_b32 s11, -1
                                        ; implicit-def: $vgpr2
.LBB22_1391:
	s_delay_alu instid0(SALU_CYCLE_1)
	s_and_not1_b32 vcc_lo, exec_lo, s11
	s_cbranch_vccnz .LBB22_1393
; %bb.1392:
	global_load_u16 v2, v[0:1], off
.LBB22_1393:
	s_mov_b32 s11, 0
.LBB22_1394:
	s_delay_alu instid0(SALU_CYCLE_1)
	s_and_not1_b32 vcc_lo, exec_lo, s11
	s_cbranch_vccnz .LBB22_1400
; %bb.1395:
	global_load_u8 v3, v[0:1], off
	s_mov_b32 s11, 0
	s_mov_b32 s12, exec_lo
                                        ; implicit-def: $sgpr13
	s_waitcnt vmcnt(0)
	v_cmpx_lt_i16_e32 0x7f, v3
	s_xor_b32 s12, exec_lo, s12
	s_cbranch_execz .LBB22_1412
; %bb.1396:
	v_cmp_ne_u16_e32 vcc_lo, 0x80, v3
	s_mov_b32 s13, 0
	s_and_b32 s11, vcc_lo, exec_lo
	s_or_saveexec_b32 s12, s12
	v_mov_b32_e32 v2, s13
	s_xor_b32 exec_lo, exec_lo, s12
	s_cbranch_execnz .LBB22_1413
.LBB22_1397:
	s_or_b32 exec_lo, exec_lo, s12
	s_and_saveexec_b32 s12, s11
	s_cbranch_execz .LBB22_1399
.LBB22_1398:
	v_and_b32_e32 v2, 0xffff, v3
	v_lshlrev_b32_e32 v3, 24, v3
	s_delay_alu instid0(VALU_DEP_2) | instskip(NEXT) | instid1(VALU_DEP_2)
	v_and_b32_e32 v7, 7, v2
	v_and_b32_e32 v3, 0x80000000, v3
	s_delay_alu instid0(VALU_DEP_2) | instskip(NEXT) | instid1(VALU_DEP_1)
	v_clz_i32_u32_e32 v8, v7
	v_min_u32_e32 v8, 32, v8
	s_delay_alu instid0(VALU_DEP_1) | instskip(SKIP_1) | instid1(VALU_DEP_2)
	v_subrev_nc_u32_e32 v12, 28, v8
	v_sub_nc_u32_e32 v8, 29, v8
	v_lshlrev_b32_e32 v12, v12, v2
	v_bfe_u32 v2, v2, 3, 4
	s_delay_alu instid0(VALU_DEP_2) | instskip(NEXT) | instid1(VALU_DEP_2)
	v_and_b32_e32 v12, 7, v12
	v_cmp_eq_u32_e32 vcc_lo, 0, v2
	v_cndmask_b32_e32 v2, v2, v8, vcc_lo
	s_delay_alu instid0(VALU_DEP_3) | instskip(NEXT) | instid1(VALU_DEP_2)
	v_cndmask_b32_e32 v7, v7, v12, vcc_lo
	v_lshl_add_u32 v2, v2, 23, 0x3b800000
	s_delay_alu instid0(VALU_DEP_2) | instskip(NEXT) | instid1(VALU_DEP_1)
	v_lshlrev_b32_e32 v7, 20, v7
	v_or3_b32 v2, v3, v2, v7
	s_delay_alu instid0(VALU_DEP_1)
	v_cvt_i32_f32_e32 v2, v2
.LBB22_1399:
	s_or_b32 exec_lo, exec_lo, s12
.LBB22_1400:
	s_mov_b32 s11, -1
.LBB22_1401:
	s_mov_b32 s12, 0
.LBB22_1402:
	s_delay_alu instid0(SALU_CYCLE_1)
	s_and_b32 vcc_lo, exec_lo, s12
	s_cbranch_vccz .LBB22_1433
; %bb.1403:
	v_cmp_lt_i16_e32 vcc_lo, 22, v11
	s_cbranch_vccz .LBB22_1411
; %bb.1404:
	v_cmp_gt_i16_e32 vcc_lo, 24, v11
	s_cbranch_vccnz .LBB22_1414
; %bb.1405:
	v_cmp_lt_i16_e32 vcc_lo, 24, v11
	s_cbranch_vccz .LBB22_1415
; %bb.1406:
	global_load_u8 v3, v[0:1], off
	s_mov_b32 s11, exec_lo
                                        ; implicit-def: $sgpr12
	s_waitcnt vmcnt(0)
	v_cmpx_lt_i16_e32 0x7f, v3
	s_xor_b32 s11, exec_lo, s11
	s_cbranch_execz .LBB22_1427
; %bb.1407:
	v_cmp_ne_u16_e32 vcc_lo, 0x80, v3
	s_mov_b32 s12, 0
	s_and_b32 s10, vcc_lo, exec_lo
	s_or_saveexec_b32 s11, s11
	v_mov_b32_e32 v2, s12
	s_xor_b32 exec_lo, exec_lo, s11
	s_cbranch_execnz .LBB22_1428
.LBB22_1408:
	s_or_b32 exec_lo, exec_lo, s11
	s_and_saveexec_b32 s11, s10
	s_cbranch_execz .LBB22_1410
.LBB22_1409:
	v_and_b32_e32 v2, 0xffff, v3
	v_lshlrev_b32_e32 v3, 24, v3
	s_delay_alu instid0(VALU_DEP_2) | instskip(NEXT) | instid1(VALU_DEP_2)
	v_and_b32_e32 v7, 3, v2
	v_and_b32_e32 v3, 0x80000000, v3
	s_delay_alu instid0(VALU_DEP_2) | instskip(NEXT) | instid1(VALU_DEP_1)
	v_clz_i32_u32_e32 v8, v7
	v_min_u32_e32 v8, 32, v8
	s_delay_alu instid0(VALU_DEP_1) | instskip(SKIP_1) | instid1(VALU_DEP_2)
	v_subrev_nc_u32_e32 v12, 29, v8
	v_sub_nc_u32_e32 v8, 30, v8
	v_lshlrev_b32_e32 v12, v12, v2
	v_bfe_u32 v2, v2, 2, 5
	s_delay_alu instid0(VALU_DEP_2) | instskip(NEXT) | instid1(VALU_DEP_2)
	v_and_b32_e32 v12, 3, v12
	v_cmp_eq_u32_e32 vcc_lo, 0, v2
	v_cndmask_b32_e32 v2, v2, v8, vcc_lo
	s_delay_alu instid0(VALU_DEP_3) | instskip(NEXT) | instid1(VALU_DEP_2)
	v_cndmask_b32_e32 v7, v7, v12, vcc_lo
	v_lshl_add_u32 v2, v2, 23, 0x37800000
	s_delay_alu instid0(VALU_DEP_2) | instskip(NEXT) | instid1(VALU_DEP_1)
	v_lshlrev_b32_e32 v7, 21, v7
	v_or3_b32 v2, v3, v2, v7
	s_delay_alu instid0(VALU_DEP_1)
	v_cvt_i32_f32_e32 v2, v2
.LBB22_1410:
	s_or_b32 exec_lo, exec_lo, s11
	s_mov_b32 s10, 0
	s_branch .LBB22_1416
.LBB22_1411:
	s_mov_b32 s10, -1
                                        ; implicit-def: $vgpr2
	s_branch .LBB22_1422
.LBB22_1412:
	s_or_saveexec_b32 s12, s12
	v_mov_b32_e32 v2, s13
	s_xor_b32 exec_lo, exec_lo, s12
	s_cbranch_execz .LBB22_1397
.LBB22_1413:
	v_cmp_ne_u16_e32 vcc_lo, 0, v3
	v_mov_b32_e32 v2, 0
	s_and_not1_b32 s11, s11, exec_lo
	s_and_b32 s13, vcc_lo, exec_lo
	s_delay_alu instid0(SALU_CYCLE_1)
	s_or_b32 s11, s11, s13
	s_or_b32 exec_lo, exec_lo, s12
	s_and_saveexec_b32 s12, s11
	s_cbranch_execnz .LBB22_1398
	s_branch .LBB22_1399
.LBB22_1414:
	s_mov_b32 s10, -1
                                        ; implicit-def: $vgpr2
	s_branch .LBB22_1419
.LBB22_1415:
	s_mov_b32 s10, -1
                                        ; implicit-def: $vgpr2
.LBB22_1416:
	s_delay_alu instid0(SALU_CYCLE_1)
	s_and_b32 vcc_lo, exec_lo, s10
	s_cbranch_vccz .LBB22_1418
; %bb.1417:
	global_load_u8 v2, v[0:1], off
	s_waitcnt vmcnt(0)
	v_lshlrev_b32_e32 v2, 24, v2
	s_delay_alu instid0(VALU_DEP_1) | instskip(NEXT) | instid1(VALU_DEP_1)
	v_and_b32_e32 v3, 0x7f000000, v2
	v_clz_i32_u32_e32 v7, v3
	v_add_nc_u32_e32 v12, 0x1000000, v3
	v_cmp_ne_u32_e32 vcc_lo, 0, v3
	s_delay_alu instid0(VALU_DEP_3) | instskip(NEXT) | instid1(VALU_DEP_1)
	v_min_u32_e32 v7, 32, v7
	v_sub_nc_u32_e64 v7, v7, 4 clamp
	s_delay_alu instid0(VALU_DEP_1) | instskip(SKIP_1) | instid1(VALU_DEP_2)
	v_lshlrev_b32_e32 v8, v7, v3
	v_lshlrev_b32_e32 v7, 23, v7
	v_lshrrev_b32_e32 v8, 4, v8
	s_delay_alu instid0(VALU_DEP_1) | instskip(SKIP_1) | instid1(VALU_DEP_2)
	v_sub_nc_u32_e32 v7, v8, v7
	v_ashrrev_i32_e32 v8, 8, v12
	v_add_nc_u32_e32 v7, 0x3c000000, v7
	s_delay_alu instid0(VALU_DEP_1) | instskip(NEXT) | instid1(VALU_DEP_1)
	v_and_or_b32 v7, 0x7f800000, v8, v7
	v_cndmask_b32_e32 v3, 0, v7, vcc_lo
	s_delay_alu instid0(VALU_DEP_1) | instskip(NEXT) | instid1(VALU_DEP_1)
	v_and_or_b32 v2, 0x80000000, v2, v3
	v_cvt_i32_f32_e32 v2, v2
.LBB22_1418:
	s_mov_b32 s10, 0
.LBB22_1419:
	s_delay_alu instid0(SALU_CYCLE_1)
	s_and_not1_b32 vcc_lo, exec_lo, s10
	s_cbranch_vccnz .LBB22_1421
; %bb.1420:
	global_load_u8 v2, v[0:1], off
	s_waitcnt vmcnt(0)
	v_lshlrev_b32_e32 v3, 25, v2
	v_lshlrev_b16 v2, 8, v2
	s_delay_alu instid0(VALU_DEP_1) | instskip(SKIP_1) | instid1(VALU_DEP_2)
	v_and_or_b32 v8, 0x7f00, v2, 0.5
	v_bfe_i32 v2, v2, 0, 16
	v_add_f32_e32 v8, -0.5, v8
	v_lshrrev_b32_e32 v7, 4, v3
	v_cmp_gt_u32_e32 vcc_lo, 0x8000000, v3
	s_delay_alu instid0(VALU_DEP_2) | instskip(NEXT) | instid1(VALU_DEP_1)
	v_or_b32_e32 v7, 0x70000000, v7
	v_mul_f32_e32 v7, 0x7800000, v7
	s_delay_alu instid0(VALU_DEP_1) | instskip(NEXT) | instid1(VALU_DEP_1)
	v_cndmask_b32_e32 v3, v7, v8, vcc_lo
	v_and_or_b32 v2, 0x80000000, v2, v3
	s_delay_alu instid0(VALU_DEP_1)
	v_cvt_i32_f32_e32 v2, v2
.LBB22_1421:
	s_mov_b32 s10, 0
	s_mov_b32 s11, -1
.LBB22_1422:
	s_and_not1_b32 vcc_lo, exec_lo, s10
	s_mov_b32 s10, 0
	s_cbranch_vccnz .LBB22_1433
; %bb.1423:
	v_cmp_lt_i16_e32 vcc_lo, 14, v11
	s_cbranch_vccz .LBB22_1426
; %bb.1424:
	v_cmp_eq_u16_e32 vcc_lo, 15, v11
	s_cbranch_vccz .LBB22_1429
; %bb.1425:
	global_load_u16 v2, v[0:1], off
	s_mov_b32 s0, 0
	s_mov_b32 s11, -1
	s_waitcnt vmcnt(0)
	v_lshlrev_b32_e32 v2, 16, v2
	s_delay_alu instid0(VALU_DEP_1)
	v_cvt_i32_f32_e32 v2, v2
	s_branch .LBB22_1431
.LBB22_1426:
	s_mov_b32 s10, -1
	s_branch .LBB22_1430
.LBB22_1427:
	s_or_saveexec_b32 s11, s11
	v_mov_b32_e32 v2, s12
	s_xor_b32 exec_lo, exec_lo, s11
	s_cbranch_execz .LBB22_1408
.LBB22_1428:
	v_cmp_ne_u16_e32 vcc_lo, 0, v3
	v_mov_b32_e32 v2, 0
	s_and_not1_b32 s10, s10, exec_lo
	s_and_b32 s12, vcc_lo, exec_lo
	s_delay_alu instid0(SALU_CYCLE_1)
	s_or_b32 s10, s10, s12
	s_or_b32 exec_lo, exec_lo, s11
	s_and_saveexec_b32 s11, s10
	s_cbranch_execnz .LBB22_1409
	s_branch .LBB22_1410
.LBB22_1429:
	s_mov_b32 s0, -1
.LBB22_1430:
                                        ; implicit-def: $vgpr2
.LBB22_1431:
	s_and_b32 vcc_lo, exec_lo, s10
	s_mov_b32 s10, 0
	s_cbranch_vccz .LBB22_1433
; %bb.1432:
	v_cmp_ne_u16_e64 s0, 11, v11
	s_mov_b32 s10, -1
                                        ; implicit-def: $vgpr2
.LBB22_1433:
	s_delay_alu instid0(VALU_DEP_1)
	s_and_b32 vcc_lo, exec_lo, s0
	s_cbranch_vccnz .LBB22_1449
; %bb.1434:
	s_and_not1_b32 vcc_lo, exec_lo, s10
	s_cbranch_vccnz .LBB22_1436
.LBB22_1435:
	global_load_u8 v2, v[0:1], off
	s_mov_b32 s11, -1
	s_waitcnt vmcnt(0)
	v_cmp_ne_u16_e32 vcc_lo, 0, v2
	v_cndmask_b32_e64 v2, 0, 1, vcc_lo
.LBB22_1436:
.LBB22_1437:
	s_and_not1_b32 vcc_lo, exec_lo, s11
	s_cbranch_vccnz .LBB22_1326
.LBB22_1438:
	v_add_nc_u32_e32 v0, s3, v5
	v_cmp_gt_i16_e32 vcc_lo, 11, v11
	s_delay_alu instid0(VALU_DEP_2) | instskip(SKIP_1) | instid1(VALU_DEP_1)
	v_ashrrev_i32_e32 v1, 31, v0
	v_add_co_u32 v7, s0, s6, v0
	v_add_co_ci_u32_e64 v8, s0, s7, v1, s0
	s_cbranch_vccnz .LBB22_1445
; %bb.1439:
	v_cmp_lt_i16_e32 vcc_lo, 25, v11
	s_mov_b32 s3, 0
	s_cbranch_vccz .LBB22_1446
; %bb.1440:
	v_cmp_lt_i16_e32 vcc_lo, 28, v11
	s_cbranch_vccz .LBB22_1447
; %bb.1441:
	v_cmp_lt_i16_e32 vcc_lo, 43, v11
	;; [unrolled: 3-line block ×3, first 2 shown]
	s_cbranch_vccz .LBB22_1451
; %bb.1443:
	v_cmp_eq_u16_e32 vcc_lo, 46, v11
	s_mov_b32 s7, 0
	s_cbranch_vccz .LBB22_1454
; %bb.1444:
	global_load_b32 v0, v[7:8], off
	s_mov_b32 s0, 0
	s_mov_b32 s6, -1
	s_waitcnt vmcnt(0)
	v_lshlrev_b32_e32 v0, 16, v0
	s_delay_alu instid0(VALU_DEP_1)
	v_cvt_i32_f32_e32 v0, v0
	s_branch .LBB22_1456
.LBB22_1445:
	s_mov_b32 s0, -1
	s_mov_b32 s6, 0
                                        ; implicit-def: $vgpr0
	s_branch .LBB22_1518
.LBB22_1446:
	s_mov_b32 s7, -1
	s_mov_b32 s6, 0
	s_mov_b32 s0, 0
                                        ; implicit-def: $vgpr0
	s_branch .LBB22_1483
.LBB22_1447:
	s_mov_b32 s7, -1
	s_mov_b32 s6, 0
	s_mov_b32 s0, 0
                                        ; implicit-def: $vgpr0
	s_branch .LBB22_1466
.LBB22_1448:
	s_mov_b32 s7, -1
	s_mov_b32 s6, 0
	s_mov_b32 s0, 0
                                        ; implicit-def: $vgpr0
	s_branch .LBB22_1461
.LBB22_1449:
	s_cbranch_execnz .LBB22_1452
; %bb.1450:
	s_or_b32 s1, s1, exec_lo
                                        ; implicit-def: $vgpr2
	s_cbranch_execz .LBB22_1435
	s_branch .LBB22_1436
.LBB22_1451:
	s_mov_b32 s7, -1
	s_mov_b32 s6, 0
	s_mov_b32 s0, 0
	s_branch .LBB22_1455
.LBB22_1452:
	s_trap 2
	s_sendmsg_rtn_b32 s0, sendmsg(MSG_RTN_GET_DOORBELL)
	s_mov_b32 ttmp2, m0
	s_waitcnt lgkmcnt(0)
	s_and_b32 s0, s0, 0x3ff
	s_delay_alu instid0(SALU_CYCLE_1) | instskip(NEXT) | instid1(SALU_CYCLE_1)
	s_bitset1_b32 s0, 10
	s_mov_b32 m0, s0
	s_sendmsg sendmsg(MSG_INTERRUPT)
	s_mov_b32 m0, ttmp2
.LBB22_1453:                            ; =>This Inner Loop Header: Depth=1
	s_sethalt 5
	s_branch .LBB22_1453
.LBB22_1454:
	s_mov_b32 s0, -1
	s_mov_b32 s6, 0
.LBB22_1455:
                                        ; implicit-def: $vgpr0
.LBB22_1456:
	s_and_b32 vcc_lo, exec_lo, s7
	s_cbranch_vccz .LBB22_1460
; %bb.1457:
	v_cmp_eq_u16_e32 vcc_lo, 44, v11
	s_cbranch_vccz .LBB22_1459
; %bb.1458:
	global_load_u8 v0, v[7:8], off
	s_mov_b32 s0, 0
	s_mov_b32 s6, -1
	s_waitcnt vmcnt(0)
	v_lshlrev_b32_e32 v1, 23, v0
	v_cmp_ne_u32_e32 vcc_lo, 0, v0
	s_delay_alu instid0(VALU_DEP_2) | instskip(NEXT) | instid1(VALU_DEP_1)
	v_cvt_i32_f32_e32 v1, v1
	v_cndmask_b32_e32 v0, 0, v1, vcc_lo
	s_branch .LBB22_1460
.LBB22_1459:
	s_mov_b32 s0, -1
                                        ; implicit-def: $vgpr0
.LBB22_1460:
	s_mov_b32 s7, 0
.LBB22_1461:
	s_delay_alu instid0(SALU_CYCLE_1)
	s_and_b32 vcc_lo, exec_lo, s7
	s_cbranch_vccz .LBB22_1465
; %bb.1462:
	v_cmp_eq_u16_e32 vcc_lo, 29, v11
	s_cbranch_vccz .LBB22_1464
; %bb.1463:
	global_load_b64 v[0:1], v[7:8], off
	s_mov_b32 s0, 0
	s_mov_b32 s6, -1
	s_branch .LBB22_1465
.LBB22_1464:
	s_mov_b32 s0, -1
                                        ; implicit-def: $vgpr0
.LBB22_1465:
	s_mov_b32 s7, 0
.LBB22_1466:
	s_delay_alu instid0(SALU_CYCLE_1)
	s_and_b32 vcc_lo, exec_lo, s7
	s_cbranch_vccz .LBB22_1482
; %bb.1467:
	v_cmp_gt_i16_e32 vcc_lo, 27, v11
	s_cbranch_vccnz .LBB22_1470
; %bb.1468:
	v_cmp_lt_i16_e32 vcc_lo, 27, v11
	s_cbranch_vccz .LBB22_1471
; %bb.1469:
	global_load_b32 v0, v[7:8], off
	s_mov_b32 s6, 0
	s_branch .LBB22_1472
.LBB22_1470:
	s_mov_b32 s6, -1
                                        ; implicit-def: $vgpr0
	s_branch .LBB22_1475
.LBB22_1471:
	s_mov_b32 s6, -1
                                        ; implicit-def: $vgpr0
.LBB22_1472:
	s_delay_alu instid0(SALU_CYCLE_1)
	s_and_not1_b32 vcc_lo, exec_lo, s6
	s_cbranch_vccnz .LBB22_1474
; %bb.1473:
	global_load_u16 v0, v[7:8], off
.LBB22_1474:
	s_mov_b32 s6, 0
.LBB22_1475:
	s_delay_alu instid0(SALU_CYCLE_1)
	s_and_not1_b32 vcc_lo, exec_lo, s6
	s_cbranch_vccnz .LBB22_1481
; %bb.1476:
	global_load_u8 v1, v[7:8], off
	s_mov_b32 s6, 0
	s_mov_b32 s7, exec_lo
                                        ; implicit-def: $sgpr10
	s_waitcnt vmcnt(0)
	v_cmpx_lt_i16_e32 0x7f, v1
	s_xor_b32 s7, exec_lo, s7
	s_cbranch_execz .LBB22_1493
; %bb.1477:
	v_cmp_ne_u16_e32 vcc_lo, 0x80, v1
	s_mov_b32 s10, 0
	s_and_b32 s6, vcc_lo, exec_lo
	s_or_saveexec_b32 s7, s7
	v_mov_b32_e32 v0, s10
	s_xor_b32 exec_lo, exec_lo, s7
	s_cbranch_execnz .LBB22_1494
.LBB22_1478:
	s_or_b32 exec_lo, exec_lo, s7
	s_and_saveexec_b32 s7, s6
	s_cbranch_execz .LBB22_1480
.LBB22_1479:
	v_and_b32_e32 v0, 0xffff, v1
	v_lshlrev_b32_e32 v1, 24, v1
	s_delay_alu instid0(VALU_DEP_2) | instskip(NEXT) | instid1(VALU_DEP_2)
	v_and_b32_e32 v3, 7, v0
	v_and_b32_e32 v1, 0x80000000, v1
	s_delay_alu instid0(VALU_DEP_2) | instskip(NEXT) | instid1(VALU_DEP_1)
	v_clz_i32_u32_e32 v5, v3
	v_min_u32_e32 v5, 32, v5
	s_delay_alu instid0(VALU_DEP_1) | instskip(SKIP_1) | instid1(VALU_DEP_2)
	v_subrev_nc_u32_e32 v12, 28, v5
	v_sub_nc_u32_e32 v5, 29, v5
	v_lshlrev_b32_e32 v12, v12, v0
	v_bfe_u32 v0, v0, 3, 4
	s_delay_alu instid0(VALU_DEP_2) | instskip(NEXT) | instid1(VALU_DEP_2)
	v_and_b32_e32 v12, 7, v12
	v_cmp_eq_u32_e32 vcc_lo, 0, v0
	s_delay_alu instid0(VALU_DEP_2) | instskip(NEXT) | instid1(VALU_DEP_1)
	v_dual_cndmask_b32 v0, v0, v5 :: v_dual_cndmask_b32 v3, v3, v12
	v_lshl_add_u32 v0, v0, 23, 0x3b800000
	s_delay_alu instid0(VALU_DEP_2) | instskip(NEXT) | instid1(VALU_DEP_1)
	v_lshlrev_b32_e32 v3, 20, v3
	v_or3_b32 v0, v1, v0, v3
	s_delay_alu instid0(VALU_DEP_1)
	v_cvt_i32_f32_e32 v0, v0
.LBB22_1480:
	s_or_b32 exec_lo, exec_lo, s7
.LBB22_1481:
	s_mov_b32 s6, -1
.LBB22_1482:
	s_mov_b32 s7, 0
.LBB22_1483:
	s_delay_alu instid0(SALU_CYCLE_1)
	s_and_b32 vcc_lo, exec_lo, s7
	s_cbranch_vccz .LBB22_1514
; %bb.1484:
	v_cmp_lt_i16_e32 vcc_lo, 22, v11
	s_cbranch_vccz .LBB22_1492
; %bb.1485:
	v_cmp_gt_i16_e32 vcc_lo, 24, v11
	s_cbranch_vccnz .LBB22_1495
; %bb.1486:
	v_cmp_lt_i16_e32 vcc_lo, 24, v11
	s_cbranch_vccz .LBB22_1496
; %bb.1487:
	global_load_u8 v1, v[7:8], off
	s_mov_b32 s6, exec_lo
                                        ; implicit-def: $sgpr7
	s_waitcnt vmcnt(0)
	v_cmpx_lt_i16_e32 0x7f, v1
	s_xor_b32 s6, exec_lo, s6
	s_cbranch_execz .LBB22_1508
; %bb.1488:
	v_cmp_ne_u16_e32 vcc_lo, 0x80, v1
	s_mov_b32 s7, 0
	s_and_b32 s3, vcc_lo, exec_lo
	s_or_saveexec_b32 s6, s6
	v_mov_b32_e32 v0, s7
	s_xor_b32 exec_lo, exec_lo, s6
	s_cbranch_execnz .LBB22_1509
.LBB22_1489:
	s_or_b32 exec_lo, exec_lo, s6
	s_and_saveexec_b32 s6, s3
	s_cbranch_execz .LBB22_1491
.LBB22_1490:
	v_and_b32_e32 v0, 0xffff, v1
	v_lshlrev_b32_e32 v1, 24, v1
	s_delay_alu instid0(VALU_DEP_2) | instskip(NEXT) | instid1(VALU_DEP_2)
	v_and_b32_e32 v3, 3, v0
	v_and_b32_e32 v1, 0x80000000, v1
	s_delay_alu instid0(VALU_DEP_2) | instskip(NEXT) | instid1(VALU_DEP_1)
	v_clz_i32_u32_e32 v5, v3
	v_min_u32_e32 v5, 32, v5
	s_delay_alu instid0(VALU_DEP_1) | instskip(SKIP_1) | instid1(VALU_DEP_2)
	v_subrev_nc_u32_e32 v12, 29, v5
	v_sub_nc_u32_e32 v5, 30, v5
	v_lshlrev_b32_e32 v12, v12, v0
	v_bfe_u32 v0, v0, 2, 5
	s_delay_alu instid0(VALU_DEP_2) | instskip(NEXT) | instid1(VALU_DEP_2)
	v_and_b32_e32 v12, 3, v12
	v_cmp_eq_u32_e32 vcc_lo, 0, v0
	s_delay_alu instid0(VALU_DEP_2) | instskip(NEXT) | instid1(VALU_DEP_1)
	v_dual_cndmask_b32 v0, v0, v5 :: v_dual_cndmask_b32 v3, v3, v12
	v_lshl_add_u32 v0, v0, 23, 0x37800000
	s_delay_alu instid0(VALU_DEP_2) | instskip(NEXT) | instid1(VALU_DEP_1)
	v_lshlrev_b32_e32 v3, 21, v3
	v_or3_b32 v0, v1, v0, v3
	s_delay_alu instid0(VALU_DEP_1)
	v_cvt_i32_f32_e32 v0, v0
.LBB22_1491:
	s_or_b32 exec_lo, exec_lo, s6
	s_mov_b32 s3, 0
	s_branch .LBB22_1497
.LBB22_1492:
	s_mov_b32 s3, -1
                                        ; implicit-def: $vgpr0
	s_branch .LBB22_1503
.LBB22_1493:
	s_or_saveexec_b32 s7, s7
	v_mov_b32_e32 v0, s10
	s_xor_b32 exec_lo, exec_lo, s7
	s_cbranch_execz .LBB22_1478
.LBB22_1494:
	v_cmp_ne_u16_e32 vcc_lo, 0, v1
	v_mov_b32_e32 v0, 0
	s_and_not1_b32 s6, s6, exec_lo
	s_and_b32 s10, vcc_lo, exec_lo
	s_delay_alu instid0(SALU_CYCLE_1)
	s_or_b32 s6, s6, s10
	s_or_b32 exec_lo, exec_lo, s7
	s_and_saveexec_b32 s7, s6
	s_cbranch_execnz .LBB22_1479
	s_branch .LBB22_1480
.LBB22_1495:
	s_mov_b32 s3, -1
                                        ; implicit-def: $vgpr0
	s_branch .LBB22_1500
.LBB22_1496:
	s_mov_b32 s3, -1
                                        ; implicit-def: $vgpr0
.LBB22_1497:
	s_delay_alu instid0(SALU_CYCLE_1)
	s_and_b32 vcc_lo, exec_lo, s3
	s_cbranch_vccz .LBB22_1499
; %bb.1498:
	global_load_u8 v0, v[7:8], off
	s_waitcnt vmcnt(0)
	v_lshlrev_b32_e32 v0, 24, v0
	s_delay_alu instid0(VALU_DEP_1) | instskip(NEXT) | instid1(VALU_DEP_1)
	v_and_b32_e32 v1, 0x7f000000, v0
	v_clz_i32_u32_e32 v3, v1
	v_add_nc_u32_e32 v12, 0x1000000, v1
	v_cmp_ne_u32_e32 vcc_lo, 0, v1
	s_delay_alu instid0(VALU_DEP_3) | instskip(NEXT) | instid1(VALU_DEP_1)
	v_min_u32_e32 v3, 32, v3
	v_sub_nc_u32_e64 v3, v3, 4 clamp
	s_delay_alu instid0(VALU_DEP_1) | instskip(SKIP_1) | instid1(VALU_DEP_2)
	v_lshlrev_b32_e32 v5, v3, v1
	v_lshlrev_b32_e32 v3, 23, v3
	v_lshrrev_b32_e32 v5, 4, v5
	s_delay_alu instid0(VALU_DEP_1) | instskip(SKIP_1) | instid1(VALU_DEP_2)
	v_sub_nc_u32_e32 v3, v5, v3
	v_ashrrev_i32_e32 v5, 8, v12
	v_add_nc_u32_e32 v3, 0x3c000000, v3
	s_delay_alu instid0(VALU_DEP_1) | instskip(NEXT) | instid1(VALU_DEP_1)
	v_and_or_b32 v3, 0x7f800000, v5, v3
	v_cndmask_b32_e32 v1, 0, v3, vcc_lo
	s_delay_alu instid0(VALU_DEP_1) | instskip(NEXT) | instid1(VALU_DEP_1)
	v_and_or_b32 v0, 0x80000000, v0, v1
	v_cvt_i32_f32_e32 v0, v0
.LBB22_1499:
	s_mov_b32 s3, 0
.LBB22_1500:
	s_delay_alu instid0(SALU_CYCLE_1)
	s_and_not1_b32 vcc_lo, exec_lo, s3
	s_cbranch_vccnz .LBB22_1502
; %bb.1501:
	global_load_u8 v0, v[7:8], off
	s_waitcnt vmcnt(0)
	v_lshlrev_b32_e32 v1, 25, v0
	v_lshlrev_b16 v0, 8, v0
	s_delay_alu instid0(VALU_DEP_2) | instskip(NEXT) | instid1(VALU_DEP_2)
	v_lshrrev_b32_e32 v3, 4, v1
	v_and_or_b32 v5, 0x7f00, v0, 0.5
	v_cmp_gt_u32_e32 vcc_lo, 0x8000000, v1
	v_bfe_i32 v0, v0, 0, 16
	s_delay_alu instid0(VALU_DEP_4) | instskip(NEXT) | instid1(VALU_DEP_4)
	v_or_b32_e32 v3, 0x70000000, v3
	v_add_f32_e32 v5, -0.5, v5
	s_delay_alu instid0(VALU_DEP_2) | instskip(NEXT) | instid1(VALU_DEP_1)
	v_mul_f32_e32 v3, 0x7800000, v3
	v_cndmask_b32_e32 v1, v3, v5, vcc_lo
	s_delay_alu instid0(VALU_DEP_1) | instskip(NEXT) | instid1(VALU_DEP_1)
	v_and_or_b32 v0, 0x80000000, v0, v1
	v_cvt_i32_f32_e32 v0, v0
.LBB22_1502:
	s_mov_b32 s3, 0
	s_mov_b32 s6, -1
.LBB22_1503:
	s_and_not1_b32 vcc_lo, exec_lo, s3
	s_mov_b32 s3, 0
	s_cbranch_vccnz .LBB22_1514
; %bb.1504:
	v_cmp_lt_i16_e32 vcc_lo, 14, v11
	s_cbranch_vccz .LBB22_1507
; %bb.1505:
	v_cmp_eq_u16_e32 vcc_lo, 15, v11
	s_cbranch_vccz .LBB22_1510
; %bb.1506:
	global_load_u16 v0, v[7:8], off
	s_mov_b32 s0, 0
	s_mov_b32 s6, -1
	s_waitcnt vmcnt(0)
	v_lshlrev_b32_e32 v0, 16, v0
	s_delay_alu instid0(VALU_DEP_1)
	v_cvt_i32_f32_e32 v0, v0
	s_branch .LBB22_1512
.LBB22_1507:
	s_mov_b32 s3, -1
	s_branch .LBB22_1511
.LBB22_1508:
	s_or_saveexec_b32 s6, s6
	v_mov_b32_e32 v0, s7
	s_xor_b32 exec_lo, exec_lo, s6
	s_cbranch_execz .LBB22_1489
.LBB22_1509:
	v_cmp_ne_u16_e32 vcc_lo, 0, v1
	v_mov_b32_e32 v0, 0
	s_and_not1_b32 s3, s3, exec_lo
	s_and_b32 s7, vcc_lo, exec_lo
	s_delay_alu instid0(SALU_CYCLE_1)
	s_or_b32 s3, s3, s7
	s_or_b32 exec_lo, exec_lo, s6
	s_and_saveexec_b32 s6, s3
	s_cbranch_execnz .LBB22_1490
	s_branch .LBB22_1491
.LBB22_1510:
	s_mov_b32 s0, -1
.LBB22_1511:
                                        ; implicit-def: $vgpr0
.LBB22_1512:
	s_and_b32 vcc_lo, exec_lo, s3
	s_mov_b32 s3, 0
	s_cbranch_vccz .LBB22_1514
; %bb.1513:
	v_cmp_ne_u16_e64 s0, 11, v11
	s_mov_b32 s3, -1
                                        ; implicit-def: $vgpr0
.LBB22_1514:
	s_delay_alu instid0(VALU_DEP_1)
	s_and_b32 vcc_lo, exec_lo, s0
	s_cbranch_vccnz .LBB22_1999
; %bb.1515:
	s_and_not1_b32 vcc_lo, exec_lo, s3
	s_cbranch_vccnz .LBB22_1517
.LBB22_1516:
	global_load_u8 v0, v[7:8], off
	s_mov_b32 s6, -1
	s_waitcnt vmcnt(0)
	v_cmp_ne_u16_e32 vcc_lo, 0, v0
	v_cndmask_b32_e64 v0, 0, 1, vcc_lo
.LBB22_1517:
	s_mov_b32 s0, 0
.LBB22_1518:
	s_delay_alu instid0(SALU_CYCLE_1)
	s_and_b32 vcc_lo, exec_lo, s0
	s_cbranch_vccz .LBB22_1567
; %bb.1519:
	v_cmp_gt_i16_e32 vcc_lo, 5, v11
	s_cbranch_vccnz .LBB22_1524
; %bb.1520:
	v_cmp_gt_i16_e32 vcc_lo, 8, v11
	s_cbranch_vccnz .LBB22_1525
	;; [unrolled: 3-line block ×3, first 2 shown]
; %bb.1522:
	v_cmp_lt_i16_e32 vcc_lo, 9, v11
	s_cbranch_vccz .LBB22_1527
; %bb.1523:
	global_load_b64 v[0:1], v[7:8], off
	s_mov_b32 s0, 0
	s_waitcnt vmcnt(0)
	v_cvt_i32_f64_e32 v0, v[0:1]
	s_branch .LBB22_1528
.LBB22_1524:
	s_mov_b32 s0, -1
                                        ; implicit-def: $vgpr0
	s_branch .LBB22_1546
.LBB22_1525:
	s_mov_b32 s0, -1
                                        ; implicit-def: $vgpr0
	s_branch .LBB22_1534
.LBB22_1526:
	s_mov_b32 s0, -1
                                        ; implicit-def: $vgpr0
	s_branch .LBB22_1531
.LBB22_1527:
	s_mov_b32 s0, -1
                                        ; implicit-def: $vgpr0
.LBB22_1528:
	s_delay_alu instid0(SALU_CYCLE_1)
	s_and_not1_b32 vcc_lo, exec_lo, s0
	s_cbranch_vccnz .LBB22_1530
; %bb.1529:
	global_load_b32 v0, v[7:8], off
	s_waitcnt vmcnt(0)
	v_cvt_i32_f32_e32 v0, v0
.LBB22_1530:
	s_mov_b32 s0, 0
.LBB22_1531:
	s_delay_alu instid0(SALU_CYCLE_1)
	s_and_not1_b32 vcc_lo, exec_lo, s0
	s_cbranch_vccnz .LBB22_1533
; %bb.1532:
	global_load_b32 v0, v[7:8], off
	s_waitcnt vmcnt(0)
	v_cvt_i16_f16_e32 v0, v0
.LBB22_1533:
	s_mov_b32 s0, 0
.LBB22_1534:
	s_delay_alu instid0(SALU_CYCLE_1)
	s_and_not1_b32 vcc_lo, exec_lo, s0
	s_cbranch_vccnz .LBB22_1545
; %bb.1535:
	v_cmp_gt_i16_e32 vcc_lo, 6, v11
	s_cbranch_vccnz .LBB22_1538
; %bb.1536:
	v_cmp_lt_i16_e32 vcc_lo, 6, v11
	s_cbranch_vccz .LBB22_1539
; %bb.1537:
	global_load_b64 v[0:1], v[7:8], off
	s_mov_b32 s0, 0
	s_waitcnt vmcnt(0)
	v_cvt_i32_f64_e32 v0, v[0:1]
	s_branch .LBB22_1540
.LBB22_1538:
	s_mov_b32 s0, -1
                                        ; implicit-def: $vgpr0
	s_branch .LBB22_1543
.LBB22_1539:
	s_mov_b32 s0, -1
                                        ; implicit-def: $vgpr0
.LBB22_1540:
	s_delay_alu instid0(SALU_CYCLE_1)
	s_and_not1_b32 vcc_lo, exec_lo, s0
	s_cbranch_vccnz .LBB22_1542
; %bb.1541:
	global_load_b32 v0, v[7:8], off
	s_waitcnt vmcnt(0)
	v_cvt_i32_f32_e32 v0, v0
.LBB22_1542:
	s_mov_b32 s0, 0
.LBB22_1543:
	s_delay_alu instid0(SALU_CYCLE_1)
	s_and_not1_b32 vcc_lo, exec_lo, s0
	s_cbranch_vccnz .LBB22_1545
; %bb.1544:
	global_load_u16 v0, v[7:8], off
	s_waitcnt vmcnt(0)
	v_cvt_i16_f16_e32 v0, v0
.LBB22_1545:
	s_mov_b32 s0, 0
.LBB22_1546:
	s_delay_alu instid0(SALU_CYCLE_1)
	s_and_not1_b32 vcc_lo, exec_lo, s0
	s_cbranch_vccnz .LBB22_1566
; %bb.1547:
	v_cmp_gt_i16_e32 vcc_lo, 2, v11
	s_cbranch_vccnz .LBB22_1551
; %bb.1548:
	v_cmp_gt_i16_e32 vcc_lo, 3, v11
	s_cbranch_vccnz .LBB22_1552
; %bb.1549:
	v_cmp_lt_i16_e32 vcc_lo, 3, v11
	s_cbranch_vccz .LBB22_1553
; %bb.1550:
	global_load_b64 v[0:1], v[7:8], off
	s_mov_b32 s0, 0
	s_branch .LBB22_1554
.LBB22_1551:
	s_mov_b32 s0, -1
                                        ; implicit-def: $vgpr0
	s_branch .LBB22_1560
.LBB22_1552:
	s_mov_b32 s0, -1
                                        ; implicit-def: $vgpr0
	s_branch .LBB22_1557
.LBB22_1553:
	s_mov_b32 s0, -1
                                        ; implicit-def: $vgpr0
.LBB22_1554:
	s_delay_alu instid0(SALU_CYCLE_1)
	s_and_not1_b32 vcc_lo, exec_lo, s0
	s_cbranch_vccnz .LBB22_1556
; %bb.1555:
	global_load_b32 v0, v[7:8], off
.LBB22_1556:
	s_mov_b32 s0, 0
.LBB22_1557:
	s_delay_alu instid0(SALU_CYCLE_1)
	s_and_not1_b32 vcc_lo, exec_lo, s0
	s_cbranch_vccnz .LBB22_1559
; %bb.1558:
	global_load_u16 v0, v[7:8], off
.LBB22_1559:
	s_mov_b32 s0, 0
.LBB22_1560:
	s_delay_alu instid0(SALU_CYCLE_1)
	s_and_not1_b32 vcc_lo, exec_lo, s0
	s_cbranch_vccnz .LBB22_1566
; %bb.1561:
	v_cmp_lt_i16_e32 vcc_lo, 0, v11
	s_mov_b32 s0, 0
	s_cbranch_vccz .LBB22_1563
; %bb.1562:
	global_load_u8 v0, v[7:8], off
	s_branch .LBB22_1564
.LBB22_1563:
	s_mov_b32 s0, -1
                                        ; implicit-def: $vgpr0
.LBB22_1564:
	s_delay_alu instid0(SALU_CYCLE_1)
	s_and_not1_b32 vcc_lo, exec_lo, s0
	s_cbranch_vccnz .LBB22_1566
; %bb.1565:
	global_load_u8 v0, v[7:8], off
.LBB22_1566:
	s_mov_b32 s6, -1
.LBB22_1567:
	s_delay_alu instid0(SALU_CYCLE_1)
	s_and_not1_b32 vcc_lo, exec_lo, s6
	s_cbranch_vccnz .LBB22_1998
; %bb.1568:
	s_waitcnt vmcnt(0)
	v_mul_lo_u32 v1, s2, v10
	v_and_b32_e32 v12, 0xff, v9
	v_xor_b32_e32 v3, -1, v6
	s_mov_b32 s3, -1
	s_mov_b32 s6, 0
	s_delay_alu instid0(VALU_DEP_2) | instskip(NEXT) | instid1(VALU_DEP_4)
	v_cmp_gt_i16_e32 vcc_lo, 11, v12
	v_ashrrev_i32_e32 v5, 31, v1
	v_add_co_u32 v7, s0, s4, v1
	s_delay_alu instid0(VALU_DEP_1)
	v_add_co_ci_u32_e64 v8, s0, s5, v5, s0
	s_cbranch_vccnz .LBB22_1646
; %bb.1569:
	v_cmp_lt_i16_e32 vcc_lo, 25, v12
	s_mov_b32 s7, -1
	s_mov_b32 s3, 0
	s_mov_b32 s0, 0
	s_cbranch_vccz .LBB22_1602
; %bb.1570:
	v_cmp_lt_i16_e32 vcc_lo, 28, v12
	s_cbranch_vccz .LBB22_1585
; %bb.1571:
	v_cmp_lt_i16_e32 vcc_lo, 43, v12
	;; [unrolled: 3-line block ×3, first 2 shown]
	s_cbranch_vccz .LBB22_1575
; %bb.1573:
	v_cmp_eq_u16_e32 vcc_lo, 46, v12
	s_mov_b32 s0, -1
	s_mov_b32 s7, 0
	s_cbranch_vccz .LBB22_1575
; %bb.1574:
	v_bfe_i32 v5, v3, 0, 8
	s_mov_b32 s0, 0
	s_mov_b32 s6, -1
	s_delay_alu instid0(VALU_DEP_1) | instskip(NEXT) | instid1(VALU_DEP_1)
	v_bfe_i32 v5, v5, 0, 16
	v_cvt_f32_i32_e32 v5, v5
	s_delay_alu instid0(VALU_DEP_1) | instskip(NEXT) | instid1(VALU_DEP_1)
	v_bfe_u32 v9, v5, 16, 1
	v_add3_u32 v5, v5, v9, 0x7fff
	s_delay_alu instid0(VALU_DEP_1)
	v_lshrrev_b32_e32 v5, 16, v5
	global_store_b32 v[7:8], v5, off
.LBB22_1575:
	s_and_b32 vcc_lo, exec_lo, s7
	s_cbranch_vccz .LBB22_1580
; %bb.1576:
	v_cmp_eq_u16_e32 vcc_lo, 44, v12
	s_mov_b32 s0, -1
	s_cbranch_vccz .LBB22_1580
; %bb.1577:
	v_bfe_i32 v5, v3, 0, 8
	v_mov_b32_e32 v9, 0xff
	s_mov_b32 s6, exec_lo
	s_delay_alu instid0(VALU_DEP_2) | instskip(NEXT) | instid1(VALU_DEP_1)
	v_bfe_i32 v5, v5, 0, 16
	v_cvt_f32_i32_e32 v5, v5
	s_delay_alu instid0(VALU_DEP_1) | instskip(NEXT) | instid1(VALU_DEP_1)
	v_bfe_u32 v10, v5, 23, 8
	v_cmpx_ne_u32_e32 0xff, v10
; %bb.1578:
	v_and_b32_e32 v9, 0x400000, v5
	v_and_or_b32 v10, 0x3fffff, v5, v10
	v_lshrrev_b32_e32 v5, 23, v5
	s_delay_alu instid0(VALU_DEP_3) | instskip(NEXT) | instid1(VALU_DEP_3)
	v_cmp_ne_u32_e32 vcc_lo, 0, v9
	v_cmp_ne_u32_e64 s0, 0, v10
	s_delay_alu instid0(VALU_DEP_1) | instskip(NEXT) | instid1(SALU_CYCLE_1)
	s_and_b32 s0, vcc_lo, s0
	v_cndmask_b32_e64 v9, 0, 1, s0
	s_delay_alu instid0(VALU_DEP_1)
	v_add_nc_u32_e32 v9, v5, v9
; %bb.1579:
	s_or_b32 exec_lo, exec_lo, s6
	s_mov_b32 s0, 0
	s_mov_b32 s6, -1
	global_store_b8 v[7:8], v9, off
.LBB22_1580:
	s_mov_b32 s7, 0
.LBB22_1581:
	s_delay_alu instid0(SALU_CYCLE_1)
	s_and_b32 vcc_lo, exec_lo, s7
	s_cbranch_vccz .LBB22_1584
; %bb.1582:
	v_cmp_eq_u16_e32 vcc_lo, 29, v12
	s_mov_b32 s0, -1
	s_cbranch_vccz .LBB22_1584
; %bb.1583:
	v_bfe_i32 v9, v3, 0, 8
	s_mov_b32 s0, 0
	s_mov_b32 s6, -1
	s_delay_alu instid0(VALU_DEP_1)
	v_ashrrev_i32_e32 v10, 31, v9
	global_store_b64 v[7:8], v[9:10], off
.LBB22_1584:
	s_mov_b32 s7, 0
.LBB22_1585:
	s_delay_alu instid0(SALU_CYCLE_1)
	s_and_b32 vcc_lo, exec_lo, s7
	s_cbranch_vccz .LBB22_1601
; %bb.1586:
	v_cmp_gt_i16_e32 vcc_lo, 27, v12
	s_mov_b32 s6, -1
	s_cbranch_vccnz .LBB22_1592
; %bb.1587:
	v_cmp_lt_i16_e32 vcc_lo, 27, v12
	s_cbranch_vccz .LBB22_1589
; %bb.1588:
	v_bfe_i32 v5, v3, 0, 8
	s_mov_b32 s6, 0
	global_store_b32 v[7:8], v5, off
.LBB22_1589:
	s_and_not1_b32 vcc_lo, exec_lo, s6
	s_cbranch_vccnz .LBB22_1591
; %bb.1590:
	v_bfe_i32 v5, v3, 0, 8
	global_store_b16 v[7:8], v5, off
.LBB22_1591:
	s_mov_b32 s6, 0
.LBB22_1592:
	s_delay_alu instid0(SALU_CYCLE_1)
	s_and_not1_b32 vcc_lo, exec_lo, s6
	s_cbranch_vccnz .LBB22_1600
; %bb.1593:
	v_bfe_i32 v5, v3, 0, 8
	v_mov_b32_e32 v10, 0x80
	s_mov_b32 s6, exec_lo
	s_delay_alu instid0(VALU_DEP_2) | instskip(NEXT) | instid1(VALU_DEP_1)
	v_bfe_i32 v5, v5, 0, 16
	v_cvt_f32_i32_e32 v5, v5
	s_delay_alu instid0(VALU_DEP_1) | instskip(NEXT) | instid1(VALU_DEP_1)
	v_and_b32_e32 v9, 0x7fffffff, v5
	v_cmpx_gt_u32_e32 0x43800000, v9
	s_cbranch_execz .LBB22_1599
; %bb.1594:
	v_cmp_lt_u32_e32 vcc_lo, 0x3bffffff, v9
	s_mov_b32 s7, 0
                                        ; implicit-def: $vgpr9
	s_and_saveexec_b32 s10, vcc_lo
	s_delay_alu instid0(SALU_CYCLE_1)
	s_xor_b32 s10, exec_lo, s10
	s_cbranch_execz .LBB22_2001
; %bb.1595:
	v_bfe_u32 v9, v5, 20, 1
	s_mov_b32 s7, exec_lo
	s_delay_alu instid0(VALU_DEP_1) | instskip(NEXT) | instid1(VALU_DEP_1)
	v_add3_u32 v9, v5, v9, 0x487ffff
	v_lshrrev_b32_e32 v9, 20, v9
	s_or_saveexec_b32 s10, s10
                                        ; implicit-def: $sgpr11
	s_delay_alu instid0(SALU_CYCLE_1)
	s_xor_b32 exec_lo, exec_lo, s10
	s_cbranch_execnz .LBB22_2002
.LBB22_1596:
	s_or_b32 exec_lo, exec_lo, s10
	v_mov_b32_e32 v10, s11
	s_and_saveexec_b32 s10, s7
.LBB22_1597:
	v_lshrrev_b32_e32 v5, 24, v5
	s_delay_alu instid0(VALU_DEP_1)
	v_and_or_b32 v10, 0x80, v5, v9
.LBB22_1598:
	s_or_b32 exec_lo, exec_lo, s10
.LBB22_1599:
	s_delay_alu instid0(SALU_CYCLE_1)
	s_or_b32 exec_lo, exec_lo, s6
	global_store_b8 v[7:8], v10, off
.LBB22_1600:
	s_mov_b32 s6, -1
.LBB22_1601:
	s_mov_b32 s7, 0
.LBB22_1602:
	s_delay_alu instid0(SALU_CYCLE_1)
	s_and_b32 vcc_lo, exec_lo, s7
	s_cbranch_vccz .LBB22_1642
; %bb.1603:
	v_cmp_lt_i16_e32 vcc_lo, 22, v12
	s_mov_b32 s3, -1
	s_cbranch_vccz .LBB22_1635
; %bb.1604:
	v_cmp_gt_i16_e32 vcc_lo, 24, v12
	s_cbranch_vccnz .LBB22_1624
; %bb.1605:
	v_cmp_lt_i16_e32 vcc_lo, 24, v12
	s_cbranch_vccz .LBB22_1613
; %bb.1606:
	v_bfe_i32 v5, v3, 0, 8
	v_mov_b32_e32 v10, 0x80
	s_mov_b32 s3, exec_lo
	s_delay_alu instid0(VALU_DEP_2) | instskip(NEXT) | instid1(VALU_DEP_1)
	v_bfe_i32 v5, v5, 0, 16
	v_cvt_f32_i32_e32 v5, v5
	s_delay_alu instid0(VALU_DEP_1) | instskip(NEXT) | instid1(VALU_DEP_1)
	v_and_b32_e32 v9, 0x7fffffff, v5
	v_cmpx_gt_u32_e32 0x47800000, v9
	s_cbranch_execz .LBB22_1612
; %bb.1607:
	v_cmp_lt_u32_e32 vcc_lo, 0x37ffffff, v9
	s_mov_b32 s6, 0
                                        ; implicit-def: $vgpr9
	s_and_saveexec_b32 s7, vcc_lo
	s_delay_alu instid0(SALU_CYCLE_1)
	s_xor_b32 s7, exec_lo, s7
	s_cbranch_execz .LBB22_2007
; %bb.1608:
	v_bfe_u32 v9, v5, 21, 1
	s_mov_b32 s6, exec_lo
	s_delay_alu instid0(VALU_DEP_1) | instskip(NEXT) | instid1(VALU_DEP_1)
	v_add3_u32 v9, v5, v9, 0x88fffff
	v_lshrrev_b32_e32 v9, 21, v9
	s_or_saveexec_b32 s7, s7
                                        ; implicit-def: $sgpr10
	s_delay_alu instid0(SALU_CYCLE_1)
	s_xor_b32 exec_lo, exec_lo, s7
	s_cbranch_execnz .LBB22_2008
.LBB22_1609:
	s_or_b32 exec_lo, exec_lo, s7
	v_mov_b32_e32 v10, s10
	s_and_saveexec_b32 s7, s6
.LBB22_1610:
	v_lshrrev_b32_e32 v5, 24, v5
	s_delay_alu instid0(VALU_DEP_1)
	v_and_or_b32 v10, 0x80, v5, v9
.LBB22_1611:
	s_or_b32 exec_lo, exec_lo, s7
.LBB22_1612:
	s_delay_alu instid0(SALU_CYCLE_1)
	s_or_b32 exec_lo, exec_lo, s3
	s_mov_b32 s3, 0
	global_store_b8 v[7:8], v10, off
.LBB22_1613:
	s_and_b32 vcc_lo, exec_lo, s3
	s_cbranch_vccz .LBB22_1623
; %bb.1614:
	v_bfe_i32 v5, v3, 0, 8
	s_mov_b32 s3, exec_lo
                                        ; implicit-def: $vgpr9
	s_delay_alu instid0(VALU_DEP_1) | instskip(NEXT) | instid1(VALU_DEP_1)
	v_bfe_i32 v5, v5, 0, 16
	v_cvt_f32_i32_e32 v5, v5
	s_delay_alu instid0(VALU_DEP_1) | instskip(NEXT) | instid1(VALU_DEP_1)
	v_and_b32_e32 v10, 0x7fffffff, v5
	v_cmpx_gt_u32_e32 0x43f00000, v10
	s_xor_b32 s3, exec_lo, s3
	s_cbranch_execz .LBB22_1620
; %bb.1615:
	s_mov_b32 s6, exec_lo
                                        ; implicit-def: $vgpr9
	v_cmpx_lt_u32_e32 0x3c7fffff, v10
	s_xor_b32 s6, exec_lo, s6
; %bb.1616:
	v_bfe_u32 v9, v5, 20, 1
	s_delay_alu instid0(VALU_DEP_1) | instskip(NEXT) | instid1(VALU_DEP_1)
	v_add3_u32 v9, v5, v9, 0x407ffff
	v_and_b32_e32 v10, 0xff00000, v9
	v_lshrrev_b32_e32 v9, 20, v9
	s_delay_alu instid0(VALU_DEP_2) | instskip(NEXT) | instid1(VALU_DEP_2)
	v_cmp_ne_u32_e32 vcc_lo, 0x7f00000, v10
	v_cndmask_b32_e32 v9, 0x7e, v9, vcc_lo
; %bb.1617:
	s_and_not1_saveexec_b32 s6, s6
; %bb.1618:
	v_add_f32_e64 v9, 0x46800000, |v5|
; %bb.1619:
	s_or_b32 exec_lo, exec_lo, s6
                                        ; implicit-def: $vgpr10
.LBB22_1620:
	s_and_not1_saveexec_b32 s3, s3
; %bb.1621:
	v_mov_b32_e32 v9, 0x7f
	v_cmp_lt_u32_e32 vcc_lo, 0x7f800000, v10
	s_delay_alu instid0(VALU_DEP_2)
	v_cndmask_b32_e32 v9, 0x7e, v9, vcc_lo
; %bb.1622:
	s_or_b32 exec_lo, exec_lo, s3
	v_lshrrev_b32_e32 v5, 24, v5
	s_delay_alu instid0(VALU_DEP_1)
	v_and_or_b32 v5, 0x80, v5, v9
	global_store_b8 v[7:8], v5, off
.LBB22_1623:
	s_mov_b32 s3, 0
.LBB22_1624:
	s_delay_alu instid0(SALU_CYCLE_1)
	s_and_not1_b32 vcc_lo, exec_lo, s3
	s_cbranch_vccnz .LBB22_1634
; %bb.1625:
	v_bfe_i32 v5, v3, 0, 8
	s_mov_b32 s3, exec_lo
                                        ; implicit-def: $vgpr9
	s_delay_alu instid0(VALU_DEP_1) | instskip(NEXT) | instid1(VALU_DEP_1)
	v_bfe_i32 v5, v5, 0, 16
	v_cvt_f32_i32_e32 v5, v5
	s_delay_alu instid0(VALU_DEP_1) | instskip(NEXT) | instid1(VALU_DEP_1)
	v_and_b32_e32 v10, 0x7fffffff, v5
	v_cmpx_gt_u32_e32 0x47800000, v10
	s_xor_b32 s3, exec_lo, s3
	s_cbranch_execz .LBB22_1631
; %bb.1626:
	s_mov_b32 s6, exec_lo
                                        ; implicit-def: $vgpr9
	v_cmpx_lt_u32_e32 0x387fffff, v10
	s_xor_b32 s6, exec_lo, s6
; %bb.1627:
	v_bfe_u32 v9, v5, 21, 1
	s_delay_alu instid0(VALU_DEP_1) | instskip(NEXT) | instid1(VALU_DEP_1)
	v_add3_u32 v9, v5, v9, 0x80fffff
	v_lshrrev_b32_e32 v9, 21, v9
; %bb.1628:
	s_and_not1_saveexec_b32 s6, s6
; %bb.1629:
	v_add_f32_e64 v9, 0x43000000, |v5|
; %bb.1630:
	s_or_b32 exec_lo, exec_lo, s6
                                        ; implicit-def: $vgpr10
.LBB22_1631:
	s_and_not1_saveexec_b32 s3, s3
; %bb.1632:
	v_mov_b32_e32 v9, 0x7f
	v_cmp_lt_u32_e32 vcc_lo, 0x7f800000, v10
	s_delay_alu instid0(VALU_DEP_2)
	v_cndmask_b32_e32 v9, 0x7c, v9, vcc_lo
; %bb.1633:
	s_or_b32 exec_lo, exec_lo, s3
	v_lshrrev_b32_e32 v5, 24, v5
	s_delay_alu instid0(VALU_DEP_1)
	v_and_or_b32 v5, 0x80, v5, v9
	global_store_b8 v[7:8], v5, off
.LBB22_1634:
	s_mov_b32 s3, 0
	s_mov_b32 s6, -1
.LBB22_1635:
	s_and_not1_b32 vcc_lo, exec_lo, s3
	s_mov_b32 s3, 0
	s_cbranch_vccnz .LBB22_1642
; %bb.1636:
	v_cmp_lt_i16_e32 vcc_lo, 14, v12
	s_mov_b32 s3, -1
	s_cbranch_vccz .LBB22_1640
; %bb.1637:
	v_cmp_eq_u16_e32 vcc_lo, 15, v12
	s_mov_b32 s0, -1
	s_cbranch_vccz .LBB22_1639
; %bb.1638:
	v_bfe_i32 v5, v3, 0, 8
	s_mov_b32 s0, 0
	s_mov_b32 s6, -1
	s_delay_alu instid0(VALU_DEP_1) | instskip(NEXT) | instid1(VALU_DEP_1)
	v_bfe_i32 v5, v5, 0, 16
	v_cvt_f32_i32_e32 v5, v5
	s_delay_alu instid0(VALU_DEP_1) | instskip(NEXT) | instid1(VALU_DEP_1)
	v_bfe_u32 v9, v5, 16, 1
	v_add3_u32 v5, v5, v9, 0x7fff
	global_store_d16_hi_b16 v[7:8], v5, off
.LBB22_1639:
	s_mov_b32 s3, 0
.LBB22_1640:
	s_delay_alu instid0(SALU_CYCLE_1)
	s_and_b32 vcc_lo, exec_lo, s3
	s_mov_b32 s3, 0
	s_cbranch_vccz .LBB22_1642
; %bb.1641:
	v_cmp_ne_u16_e64 s0, 11, v12
	s_mov_b32 s3, -1
.LBB22_1642:
	s_delay_alu instid0(VALU_DEP_1)
	s_and_b32 vcc_lo, exec_lo, s0
	s_cbranch_vccnz .LBB22_2005
; %bb.1643:
	s_and_not1_b32 vcc_lo, exec_lo, s3
	s_cbranch_vccnz .LBB22_1645
.LBB22_1644:
	v_and_b32_e32 v5, 0xff, v6
	s_mov_b32 s6, -1
	s_delay_alu instid0(VALU_DEP_1)
	v_cmp_ne_u16_e32 vcc_lo, 0xff, v5
	v_cndmask_b32_e64 v5, 0, 1, vcc_lo
	global_store_b8 v[7:8], v5, off
.LBB22_1645:
	s_mov_b32 s3, 0
.LBB22_1646:
	s_delay_alu instid0(SALU_CYCLE_1)
	s_and_b32 vcc_lo, exec_lo, s3
	s_cbranch_vccz .LBB22_1685
; %bb.1647:
	v_cmp_gt_i16_e32 vcc_lo, 5, v12
	s_mov_b32 s0, -1
	s_cbranch_vccnz .LBB22_1668
; %bb.1648:
	v_cmp_gt_i16_e32 vcc_lo, 8, v12
	s_cbranch_vccnz .LBB22_1658
; %bb.1649:
	v_cmp_gt_i16_e32 vcc_lo, 9, v12
	s_cbranch_vccnz .LBB22_1655
; %bb.1650:
	v_cmp_lt_i16_e32 vcc_lo, 9, v12
	s_cbranch_vccz .LBB22_1652
; %bb.1651:
	v_bfe_i32 v5, v3, 0, 8
	v_mov_b32_e32 v15, 0
	s_mov_b32 s0, 0
	s_delay_alu instid0(VALU_DEP_2) | instskip(NEXT) | instid1(VALU_DEP_2)
	v_bfe_i32 v5, v5, 0, 16
	v_mov_b32_e32 v16, v15
	s_delay_alu instid0(VALU_DEP_2)
	v_cvt_f64_i32_e32 v[13:14], v5
	global_store_b128 v[7:8], v[13:16], off
.LBB22_1652:
	s_and_not1_b32 vcc_lo, exec_lo, s0
	s_cbranch_vccnz .LBB22_1654
; %bb.1653:
	v_bfe_i32 v5, v3, 0, 8
	v_mov_b32_e32 v6, 0
	s_delay_alu instid0(VALU_DEP_2) | instskip(NEXT) | instid1(VALU_DEP_1)
	v_bfe_i32 v5, v5, 0, 16
	v_cvt_f32_i32_e32 v5, v5
	global_store_b64 v[7:8], v[5:6], off
.LBB22_1654:
	s_mov_b32 s0, 0
.LBB22_1655:
	s_delay_alu instid0(SALU_CYCLE_1)
	s_and_not1_b32 vcc_lo, exec_lo, s0
	s_cbranch_vccnz .LBB22_1657
; %bb.1656:
	v_bfe_i32 v5, v3, 0, 8
	s_delay_alu instid0(VALU_DEP_1) | instskip(NEXT) | instid1(VALU_DEP_1)
	v_cvt_f16_i16_e32 v5, v5
	v_and_b32_e32 v5, 0xffff, v5
	global_store_b32 v[7:8], v5, off
.LBB22_1657:
	s_mov_b32 s0, 0
.LBB22_1658:
	s_delay_alu instid0(SALU_CYCLE_1)
	s_and_not1_b32 vcc_lo, exec_lo, s0
	s_cbranch_vccnz .LBB22_1667
; %bb.1659:
	v_cmp_gt_i16_e32 vcc_lo, 6, v12
	s_mov_b32 s0, -1
	s_cbranch_vccnz .LBB22_1665
; %bb.1660:
	v_cmp_lt_i16_e32 vcc_lo, 6, v12
	s_cbranch_vccz .LBB22_1662
; %bb.1661:
	v_bfe_i32 v5, v3, 0, 8
	s_mov_b32 s0, 0
	s_delay_alu instid0(VALU_DEP_1) | instskip(NEXT) | instid1(VALU_DEP_1)
	v_bfe_i32 v5, v5, 0, 16
	v_cvt_f64_i32_e32 v[5:6], v5
	global_store_b64 v[7:8], v[5:6], off
.LBB22_1662:
	s_and_not1_b32 vcc_lo, exec_lo, s0
	s_cbranch_vccnz .LBB22_1664
; %bb.1663:
	v_bfe_i32 v5, v3, 0, 8
	s_delay_alu instid0(VALU_DEP_1) | instskip(NEXT) | instid1(VALU_DEP_1)
	v_bfe_i32 v5, v5, 0, 16
	v_cvt_f32_i32_e32 v5, v5
	global_store_b32 v[7:8], v5, off
.LBB22_1664:
	s_mov_b32 s0, 0
.LBB22_1665:
	s_delay_alu instid0(SALU_CYCLE_1)
	s_and_not1_b32 vcc_lo, exec_lo, s0
	s_cbranch_vccnz .LBB22_1667
; %bb.1666:
	v_bfe_i32 v5, v3, 0, 8
	s_delay_alu instid0(VALU_DEP_1)
	v_cvt_f16_i16_e32 v5, v5
	global_store_b16 v[7:8], v5, off
.LBB22_1667:
	s_mov_b32 s0, 0
.LBB22_1668:
	s_delay_alu instid0(SALU_CYCLE_1)
	s_and_not1_b32 vcc_lo, exec_lo, s0
	s_cbranch_vccnz .LBB22_1684
; %bb.1669:
	v_cmp_gt_i16_e32 vcc_lo, 2, v12
	s_mov_b32 s0, -1
	s_cbranch_vccnz .LBB22_1679
; %bb.1670:
	v_cmp_gt_i16_e32 vcc_lo, 3, v12
	s_cbranch_vccnz .LBB22_1676
; %bb.1671:
	v_cmp_lt_i16_e32 vcc_lo, 3, v12
	s_cbranch_vccz .LBB22_1673
; %bb.1672:
	v_bfe_i32 v5, v3, 0, 8
	s_mov_b32 s0, 0
	s_delay_alu instid0(VALU_DEP_1)
	v_ashrrev_i32_e32 v6, 31, v5
	global_store_b64 v[7:8], v[5:6], off
.LBB22_1673:
	s_and_not1_b32 vcc_lo, exec_lo, s0
	s_cbranch_vccnz .LBB22_1675
; %bb.1674:
	v_bfe_i32 v5, v3, 0, 8
	global_store_b32 v[7:8], v5, off
.LBB22_1675:
	s_mov_b32 s0, 0
.LBB22_1676:
	s_delay_alu instid0(SALU_CYCLE_1)
	s_and_not1_b32 vcc_lo, exec_lo, s0
	s_cbranch_vccnz .LBB22_1678
; %bb.1677:
	v_bfe_i32 v5, v3, 0, 8
	global_store_b16 v[7:8], v5, off
.LBB22_1678:
	s_mov_b32 s0, 0
.LBB22_1679:
	s_delay_alu instid0(SALU_CYCLE_1)
	s_and_not1_b32 vcc_lo, exec_lo, s0
	s_cbranch_vccnz .LBB22_1684
; %bb.1680:
	v_cmp_lt_i16_e32 vcc_lo, 0, v12
	s_mov_b32 s0, -1
	s_cbranch_vccz .LBB22_1682
; %bb.1681:
	s_mov_b32 s0, 0
	global_store_b8 v[7:8], v3, off
.LBB22_1682:
	s_and_not1_b32 vcc_lo, exec_lo, s0
	s_cbranch_vccnz .LBB22_1684
; %bb.1683:
	global_store_b8 v[7:8], v3, off
.LBB22_1684:
	s_mov_b32 s6, -1
.LBB22_1685:
	s_delay_alu instid0(SALU_CYCLE_1)
	s_and_not1_b32 vcc_lo, exec_lo, s6
	s_cbranch_vccnz .LBB22_1998
; %bb.1686:
	s_lshl_b32 s2, s2, 7
	v_cmp_gt_i16_e32 vcc_lo, 11, v12
	v_add_nc_u32_e32 v1, s2, v1
	v_xor_b32_e32 v3, -1, v4
	s_mov_b32 s3, -1
	s_mov_b32 s6, 0
	s_delay_alu instid0(VALU_DEP_2) | instskip(SKIP_1) | instid1(VALU_DEP_1)
	v_ashrrev_i32_e32 v6, 31, v1
	v_add_co_u32 v5, s0, s4, v1
	v_add_co_ci_u32_e64 v6, s0, s5, v6, s0
	s_cbranch_vccnz .LBB22_1764
; %bb.1687:
	v_cmp_lt_i16_e32 vcc_lo, 25, v12
	s_mov_b32 s7, -1
	s_mov_b32 s3, 0
	s_mov_b32 s0, 0
	s_cbranch_vccz .LBB22_1720
; %bb.1688:
	v_cmp_lt_i16_e32 vcc_lo, 28, v12
	s_cbranch_vccz .LBB22_1703
; %bb.1689:
	v_cmp_lt_i16_e32 vcc_lo, 43, v12
	;; [unrolled: 3-line block ×3, first 2 shown]
	s_cbranch_vccz .LBB22_1693
; %bb.1691:
	v_cmp_eq_u16_e32 vcc_lo, 46, v12
	s_mov_b32 s0, -1
	s_mov_b32 s7, 0
	s_cbranch_vccz .LBB22_1693
; %bb.1692:
	v_bfe_i32 v7, v3, 0, 8
	s_mov_b32 s0, 0
	s_mov_b32 s6, -1
	s_delay_alu instid0(VALU_DEP_1) | instskip(NEXT) | instid1(VALU_DEP_1)
	v_bfe_i32 v7, v7, 0, 16
	v_cvt_f32_i32_e32 v7, v7
	s_delay_alu instid0(VALU_DEP_1) | instskip(NEXT) | instid1(VALU_DEP_1)
	v_bfe_u32 v8, v7, 16, 1
	v_add3_u32 v7, v7, v8, 0x7fff
	s_delay_alu instid0(VALU_DEP_1)
	v_lshrrev_b32_e32 v7, 16, v7
	global_store_b32 v[5:6], v7, off
.LBB22_1693:
	s_and_b32 vcc_lo, exec_lo, s7
	s_cbranch_vccz .LBB22_1698
; %bb.1694:
	v_cmp_eq_u16_e32 vcc_lo, 44, v12
	s_mov_b32 s0, -1
	s_cbranch_vccz .LBB22_1698
; %bb.1695:
	v_bfe_i32 v7, v3, 0, 8
	v_mov_b32_e32 v8, 0xff
	s_mov_b32 s6, exec_lo
	s_delay_alu instid0(VALU_DEP_2) | instskip(NEXT) | instid1(VALU_DEP_1)
	v_bfe_i32 v7, v7, 0, 16
	v_cvt_f32_i32_e32 v7, v7
	s_delay_alu instid0(VALU_DEP_1) | instskip(NEXT) | instid1(VALU_DEP_1)
	v_bfe_u32 v9, v7, 23, 8
	v_cmpx_ne_u32_e32 0xff, v9
; %bb.1696:
	v_and_b32_e32 v8, 0x400000, v7
	v_and_or_b32 v9, 0x3fffff, v7, v9
	v_lshrrev_b32_e32 v7, 23, v7
	s_delay_alu instid0(VALU_DEP_3) | instskip(NEXT) | instid1(VALU_DEP_3)
	v_cmp_ne_u32_e32 vcc_lo, 0, v8
	v_cmp_ne_u32_e64 s0, 0, v9
	s_delay_alu instid0(VALU_DEP_1) | instskip(NEXT) | instid1(SALU_CYCLE_1)
	s_and_b32 s0, vcc_lo, s0
	v_cndmask_b32_e64 v8, 0, 1, s0
	s_delay_alu instid0(VALU_DEP_1)
	v_add_nc_u32_e32 v8, v7, v8
; %bb.1697:
	s_or_b32 exec_lo, exec_lo, s6
	s_mov_b32 s0, 0
	s_mov_b32 s6, -1
	global_store_b8 v[5:6], v8, off
.LBB22_1698:
	s_mov_b32 s7, 0
.LBB22_1699:
	s_delay_alu instid0(SALU_CYCLE_1)
	s_and_b32 vcc_lo, exec_lo, s7
	s_cbranch_vccz .LBB22_1702
; %bb.1700:
	v_cmp_eq_u16_e32 vcc_lo, 29, v12
	s_mov_b32 s0, -1
	s_cbranch_vccz .LBB22_1702
; %bb.1701:
	v_bfe_i32 v7, v3, 0, 8
	s_mov_b32 s0, 0
	s_mov_b32 s6, -1
	s_delay_alu instid0(VALU_DEP_1)
	v_ashrrev_i32_e32 v8, 31, v7
	global_store_b64 v[5:6], v[7:8], off
.LBB22_1702:
	s_mov_b32 s7, 0
.LBB22_1703:
	s_delay_alu instid0(SALU_CYCLE_1)
	s_and_b32 vcc_lo, exec_lo, s7
	s_cbranch_vccz .LBB22_1719
; %bb.1704:
	v_cmp_gt_i16_e32 vcc_lo, 27, v12
	s_mov_b32 s6, -1
	s_cbranch_vccnz .LBB22_1710
; %bb.1705:
	v_cmp_lt_i16_e32 vcc_lo, 27, v12
	s_cbranch_vccz .LBB22_1707
; %bb.1706:
	v_bfe_i32 v7, v3, 0, 8
	s_mov_b32 s6, 0
	global_store_b32 v[5:6], v7, off
.LBB22_1707:
	s_and_not1_b32 vcc_lo, exec_lo, s6
	s_cbranch_vccnz .LBB22_1709
; %bb.1708:
	v_bfe_i32 v7, v3, 0, 8
	global_store_b16 v[5:6], v7, off
.LBB22_1709:
	s_mov_b32 s6, 0
.LBB22_1710:
	s_delay_alu instid0(SALU_CYCLE_1)
	s_and_not1_b32 vcc_lo, exec_lo, s6
	s_cbranch_vccnz .LBB22_1718
; %bb.1711:
	v_bfe_i32 v7, v3, 0, 8
	v_mov_b32_e32 v9, 0x80
	s_mov_b32 s6, exec_lo
	s_delay_alu instid0(VALU_DEP_2) | instskip(NEXT) | instid1(VALU_DEP_1)
	v_bfe_i32 v7, v7, 0, 16
	v_cvt_f32_i32_e32 v7, v7
	s_delay_alu instid0(VALU_DEP_1) | instskip(NEXT) | instid1(VALU_DEP_1)
	v_and_b32_e32 v8, 0x7fffffff, v7
	v_cmpx_gt_u32_e32 0x43800000, v8
	s_cbranch_execz .LBB22_1717
; %bb.1712:
	v_cmp_lt_u32_e32 vcc_lo, 0x3bffffff, v8
	s_mov_b32 s7, 0
                                        ; implicit-def: $vgpr8
	s_and_saveexec_b32 s10, vcc_lo
	s_delay_alu instid0(SALU_CYCLE_1)
	s_xor_b32 s10, exec_lo, s10
	s_cbranch_execz .LBB22_2009
; %bb.1713:
	v_bfe_u32 v8, v7, 20, 1
	s_mov_b32 s7, exec_lo
	s_delay_alu instid0(VALU_DEP_1) | instskip(NEXT) | instid1(VALU_DEP_1)
	v_add3_u32 v8, v7, v8, 0x487ffff
	v_lshrrev_b32_e32 v8, 20, v8
	s_or_saveexec_b32 s10, s10
                                        ; implicit-def: $sgpr11
	s_delay_alu instid0(SALU_CYCLE_1)
	s_xor_b32 exec_lo, exec_lo, s10
	s_cbranch_execnz .LBB22_2010
.LBB22_1714:
	s_or_b32 exec_lo, exec_lo, s10
	v_mov_b32_e32 v9, s11
	s_and_saveexec_b32 s10, s7
.LBB22_1715:
	v_lshrrev_b32_e32 v7, 24, v7
	s_delay_alu instid0(VALU_DEP_1)
	v_and_or_b32 v9, 0x80, v7, v8
.LBB22_1716:
	s_or_b32 exec_lo, exec_lo, s10
.LBB22_1717:
	s_delay_alu instid0(SALU_CYCLE_1)
	s_or_b32 exec_lo, exec_lo, s6
	global_store_b8 v[5:6], v9, off
.LBB22_1718:
	s_mov_b32 s6, -1
.LBB22_1719:
	s_mov_b32 s7, 0
.LBB22_1720:
	s_delay_alu instid0(SALU_CYCLE_1)
	s_and_b32 vcc_lo, exec_lo, s7
	s_cbranch_vccz .LBB22_1760
; %bb.1721:
	v_cmp_lt_i16_e32 vcc_lo, 22, v12
	s_mov_b32 s3, -1
	s_cbranch_vccz .LBB22_1753
; %bb.1722:
	v_cmp_gt_i16_e32 vcc_lo, 24, v12
	s_cbranch_vccnz .LBB22_1742
; %bb.1723:
	v_cmp_lt_i16_e32 vcc_lo, 24, v12
	s_cbranch_vccz .LBB22_1731
; %bb.1724:
	v_bfe_i32 v7, v3, 0, 8
	v_mov_b32_e32 v9, 0x80
	s_mov_b32 s3, exec_lo
	s_delay_alu instid0(VALU_DEP_2) | instskip(NEXT) | instid1(VALU_DEP_1)
	v_bfe_i32 v7, v7, 0, 16
	v_cvt_f32_i32_e32 v7, v7
	s_delay_alu instid0(VALU_DEP_1) | instskip(NEXT) | instid1(VALU_DEP_1)
	v_and_b32_e32 v8, 0x7fffffff, v7
	v_cmpx_gt_u32_e32 0x47800000, v8
	s_cbranch_execz .LBB22_1730
; %bb.1725:
	v_cmp_lt_u32_e32 vcc_lo, 0x37ffffff, v8
	s_mov_b32 s6, 0
                                        ; implicit-def: $vgpr8
	s_and_saveexec_b32 s7, vcc_lo
	s_delay_alu instid0(SALU_CYCLE_1)
	s_xor_b32 s7, exec_lo, s7
	s_cbranch_execz .LBB22_2015
; %bb.1726:
	v_bfe_u32 v8, v7, 21, 1
	s_mov_b32 s6, exec_lo
	s_delay_alu instid0(VALU_DEP_1) | instskip(NEXT) | instid1(VALU_DEP_1)
	v_add3_u32 v8, v7, v8, 0x88fffff
	v_lshrrev_b32_e32 v8, 21, v8
	s_or_saveexec_b32 s7, s7
                                        ; implicit-def: $sgpr10
	s_delay_alu instid0(SALU_CYCLE_1)
	s_xor_b32 exec_lo, exec_lo, s7
	s_cbranch_execnz .LBB22_2016
.LBB22_1727:
	s_or_b32 exec_lo, exec_lo, s7
	v_mov_b32_e32 v9, s10
	s_and_saveexec_b32 s7, s6
.LBB22_1728:
	v_lshrrev_b32_e32 v7, 24, v7
	s_delay_alu instid0(VALU_DEP_1)
	v_and_or_b32 v9, 0x80, v7, v8
.LBB22_1729:
	s_or_b32 exec_lo, exec_lo, s7
.LBB22_1730:
	s_delay_alu instid0(SALU_CYCLE_1)
	s_or_b32 exec_lo, exec_lo, s3
	s_mov_b32 s3, 0
	global_store_b8 v[5:6], v9, off
.LBB22_1731:
	s_and_b32 vcc_lo, exec_lo, s3
	s_cbranch_vccz .LBB22_1741
; %bb.1732:
	v_bfe_i32 v7, v3, 0, 8
	s_mov_b32 s3, exec_lo
                                        ; implicit-def: $vgpr8
	s_delay_alu instid0(VALU_DEP_1) | instskip(NEXT) | instid1(VALU_DEP_1)
	v_bfe_i32 v7, v7, 0, 16
	v_cvt_f32_i32_e32 v7, v7
	s_delay_alu instid0(VALU_DEP_1) | instskip(NEXT) | instid1(VALU_DEP_1)
	v_and_b32_e32 v9, 0x7fffffff, v7
	v_cmpx_gt_u32_e32 0x43f00000, v9
	s_xor_b32 s3, exec_lo, s3
	s_cbranch_execz .LBB22_1738
; %bb.1733:
	s_mov_b32 s6, exec_lo
                                        ; implicit-def: $vgpr8
	v_cmpx_lt_u32_e32 0x3c7fffff, v9
	s_xor_b32 s6, exec_lo, s6
; %bb.1734:
	v_bfe_u32 v8, v7, 20, 1
	s_delay_alu instid0(VALU_DEP_1) | instskip(NEXT) | instid1(VALU_DEP_1)
	v_add3_u32 v8, v7, v8, 0x407ffff
	v_and_b32_e32 v9, 0xff00000, v8
	v_lshrrev_b32_e32 v8, 20, v8
	s_delay_alu instid0(VALU_DEP_2) | instskip(NEXT) | instid1(VALU_DEP_2)
	v_cmp_ne_u32_e32 vcc_lo, 0x7f00000, v9
	v_cndmask_b32_e32 v8, 0x7e, v8, vcc_lo
; %bb.1735:
	s_and_not1_saveexec_b32 s6, s6
; %bb.1736:
	v_add_f32_e64 v8, 0x46800000, |v7|
; %bb.1737:
	s_or_b32 exec_lo, exec_lo, s6
                                        ; implicit-def: $vgpr9
.LBB22_1738:
	s_and_not1_saveexec_b32 s3, s3
; %bb.1739:
	v_mov_b32_e32 v8, 0x7f
	v_cmp_lt_u32_e32 vcc_lo, 0x7f800000, v9
	s_delay_alu instid0(VALU_DEP_2)
	v_cndmask_b32_e32 v8, 0x7e, v8, vcc_lo
; %bb.1740:
	s_or_b32 exec_lo, exec_lo, s3
	v_lshrrev_b32_e32 v7, 24, v7
	s_delay_alu instid0(VALU_DEP_1)
	v_and_or_b32 v7, 0x80, v7, v8
	global_store_b8 v[5:6], v7, off
.LBB22_1741:
	s_mov_b32 s3, 0
.LBB22_1742:
	s_delay_alu instid0(SALU_CYCLE_1)
	s_and_not1_b32 vcc_lo, exec_lo, s3
	s_cbranch_vccnz .LBB22_1752
; %bb.1743:
	v_bfe_i32 v7, v3, 0, 8
	s_mov_b32 s3, exec_lo
                                        ; implicit-def: $vgpr8
	s_delay_alu instid0(VALU_DEP_1) | instskip(NEXT) | instid1(VALU_DEP_1)
	v_bfe_i32 v7, v7, 0, 16
	v_cvt_f32_i32_e32 v7, v7
	s_delay_alu instid0(VALU_DEP_1) | instskip(NEXT) | instid1(VALU_DEP_1)
	v_and_b32_e32 v9, 0x7fffffff, v7
	v_cmpx_gt_u32_e32 0x47800000, v9
	s_xor_b32 s3, exec_lo, s3
	s_cbranch_execz .LBB22_1749
; %bb.1744:
	s_mov_b32 s6, exec_lo
                                        ; implicit-def: $vgpr8
	v_cmpx_lt_u32_e32 0x387fffff, v9
	s_xor_b32 s6, exec_lo, s6
; %bb.1745:
	v_bfe_u32 v8, v7, 21, 1
	s_delay_alu instid0(VALU_DEP_1) | instskip(NEXT) | instid1(VALU_DEP_1)
	v_add3_u32 v8, v7, v8, 0x80fffff
	v_lshrrev_b32_e32 v8, 21, v8
; %bb.1746:
	s_and_not1_saveexec_b32 s6, s6
; %bb.1747:
	v_add_f32_e64 v8, 0x43000000, |v7|
; %bb.1748:
	s_or_b32 exec_lo, exec_lo, s6
                                        ; implicit-def: $vgpr9
.LBB22_1749:
	s_and_not1_saveexec_b32 s3, s3
; %bb.1750:
	v_mov_b32_e32 v8, 0x7f
	v_cmp_lt_u32_e32 vcc_lo, 0x7f800000, v9
	s_delay_alu instid0(VALU_DEP_2)
	v_cndmask_b32_e32 v8, 0x7c, v8, vcc_lo
; %bb.1751:
	s_or_b32 exec_lo, exec_lo, s3
	v_lshrrev_b32_e32 v7, 24, v7
	s_delay_alu instid0(VALU_DEP_1)
	v_and_or_b32 v7, 0x80, v7, v8
	global_store_b8 v[5:6], v7, off
.LBB22_1752:
	s_mov_b32 s3, 0
	s_mov_b32 s6, -1
.LBB22_1753:
	s_and_not1_b32 vcc_lo, exec_lo, s3
	s_mov_b32 s3, 0
	s_cbranch_vccnz .LBB22_1760
; %bb.1754:
	v_cmp_lt_i16_e32 vcc_lo, 14, v12
	s_mov_b32 s3, -1
	s_cbranch_vccz .LBB22_1758
; %bb.1755:
	v_cmp_eq_u16_e32 vcc_lo, 15, v12
	s_mov_b32 s0, -1
	s_cbranch_vccz .LBB22_1757
; %bb.1756:
	v_bfe_i32 v7, v3, 0, 8
	s_mov_b32 s0, 0
	s_mov_b32 s6, -1
	s_delay_alu instid0(VALU_DEP_1) | instskip(NEXT) | instid1(VALU_DEP_1)
	v_bfe_i32 v7, v7, 0, 16
	v_cvt_f32_i32_e32 v7, v7
	s_delay_alu instid0(VALU_DEP_1) | instskip(NEXT) | instid1(VALU_DEP_1)
	v_bfe_u32 v8, v7, 16, 1
	v_add3_u32 v7, v7, v8, 0x7fff
	global_store_d16_hi_b16 v[5:6], v7, off
.LBB22_1757:
	s_mov_b32 s3, 0
.LBB22_1758:
	s_delay_alu instid0(SALU_CYCLE_1)
	s_and_b32 vcc_lo, exec_lo, s3
	s_mov_b32 s3, 0
	s_cbranch_vccz .LBB22_1760
; %bb.1759:
	v_cmp_ne_u16_e64 s0, 11, v12
	s_mov_b32 s3, -1
.LBB22_1760:
	s_delay_alu instid0(VALU_DEP_1)
	s_and_b32 vcc_lo, exec_lo, s0
	s_cbranch_vccnz .LBB22_2013
; %bb.1761:
	s_and_not1_b32 vcc_lo, exec_lo, s3
	s_cbranch_vccnz .LBB22_1763
.LBB22_1762:
	v_and_b32_e32 v4, 0xff, v4
	s_mov_b32 s6, -1
	s_delay_alu instid0(VALU_DEP_1)
	v_cmp_ne_u16_e32 vcc_lo, 0xff, v4
	v_cndmask_b32_e64 v4, 0, 1, vcc_lo
	global_store_b8 v[5:6], v4, off
.LBB22_1763:
	s_mov_b32 s3, 0
.LBB22_1764:
	s_delay_alu instid0(SALU_CYCLE_1)
	s_and_b32 vcc_lo, exec_lo, s3
	s_cbranch_vccz .LBB22_1803
; %bb.1765:
	v_cmp_gt_i16_e32 vcc_lo, 5, v12
	s_mov_b32 s0, -1
	s_cbranch_vccnz .LBB22_1786
; %bb.1766:
	v_cmp_gt_i16_e32 vcc_lo, 8, v12
	s_cbranch_vccnz .LBB22_1776
; %bb.1767:
	v_cmp_gt_i16_e32 vcc_lo, 9, v12
	s_cbranch_vccnz .LBB22_1773
; %bb.1768:
	v_cmp_lt_i16_e32 vcc_lo, 9, v12
	s_cbranch_vccz .LBB22_1770
; %bb.1769:
	v_bfe_i32 v4, v3, 0, 8
	v_mov_b32_e32 v9, 0
	s_mov_b32 s0, 0
	s_delay_alu instid0(VALU_DEP_2) | instskip(NEXT) | instid1(VALU_DEP_2)
	v_bfe_i32 v4, v4, 0, 16
	v_mov_b32_e32 v10, v9
	s_delay_alu instid0(VALU_DEP_2)
	v_cvt_f64_i32_e32 v[7:8], v4
	global_store_b128 v[5:6], v[7:10], off
.LBB22_1770:
	s_and_not1_b32 vcc_lo, exec_lo, s0
	s_cbranch_vccnz .LBB22_1772
; %bb.1771:
	v_bfe_i32 v4, v3, 0, 8
	v_mov_b32_e32 v8, 0
	s_delay_alu instid0(VALU_DEP_2) | instskip(NEXT) | instid1(VALU_DEP_1)
	v_bfe_i32 v4, v4, 0, 16
	v_cvt_f32_i32_e32 v7, v4
	global_store_b64 v[5:6], v[7:8], off
.LBB22_1772:
	s_mov_b32 s0, 0
.LBB22_1773:
	s_delay_alu instid0(SALU_CYCLE_1)
	s_and_not1_b32 vcc_lo, exec_lo, s0
	s_cbranch_vccnz .LBB22_1775
; %bb.1774:
	v_bfe_i32 v4, v3, 0, 8
	s_delay_alu instid0(VALU_DEP_1) | instskip(NEXT) | instid1(VALU_DEP_1)
	v_cvt_f16_i16_e32 v4, v4
	v_and_b32_e32 v4, 0xffff, v4
	global_store_b32 v[5:6], v4, off
.LBB22_1775:
	s_mov_b32 s0, 0
.LBB22_1776:
	s_delay_alu instid0(SALU_CYCLE_1)
	s_and_not1_b32 vcc_lo, exec_lo, s0
	s_cbranch_vccnz .LBB22_1785
; %bb.1777:
	v_cmp_gt_i16_e32 vcc_lo, 6, v12
	s_mov_b32 s0, -1
	s_cbranch_vccnz .LBB22_1783
; %bb.1778:
	v_cmp_lt_i16_e32 vcc_lo, 6, v12
	s_cbranch_vccz .LBB22_1780
; %bb.1779:
	v_bfe_i32 v4, v3, 0, 8
	s_mov_b32 s0, 0
	s_delay_alu instid0(VALU_DEP_1) | instskip(NEXT) | instid1(VALU_DEP_1)
	v_bfe_i32 v4, v4, 0, 16
	v_cvt_f64_i32_e32 v[7:8], v4
	global_store_b64 v[5:6], v[7:8], off
.LBB22_1780:
	s_and_not1_b32 vcc_lo, exec_lo, s0
	s_cbranch_vccnz .LBB22_1782
; %bb.1781:
	v_bfe_i32 v4, v3, 0, 8
	s_delay_alu instid0(VALU_DEP_1) | instskip(NEXT) | instid1(VALU_DEP_1)
	v_bfe_i32 v4, v4, 0, 16
	v_cvt_f32_i32_e32 v4, v4
	global_store_b32 v[5:6], v4, off
.LBB22_1782:
	s_mov_b32 s0, 0
.LBB22_1783:
	s_delay_alu instid0(SALU_CYCLE_1)
	s_and_not1_b32 vcc_lo, exec_lo, s0
	s_cbranch_vccnz .LBB22_1785
; %bb.1784:
	v_bfe_i32 v4, v3, 0, 8
	s_delay_alu instid0(VALU_DEP_1)
	v_cvt_f16_i16_e32 v4, v4
	global_store_b16 v[5:6], v4, off
.LBB22_1785:
	s_mov_b32 s0, 0
.LBB22_1786:
	s_delay_alu instid0(SALU_CYCLE_1)
	s_and_not1_b32 vcc_lo, exec_lo, s0
	s_cbranch_vccnz .LBB22_1802
; %bb.1787:
	v_cmp_gt_i16_e32 vcc_lo, 2, v12
	s_mov_b32 s0, -1
	s_cbranch_vccnz .LBB22_1797
; %bb.1788:
	v_cmp_gt_i16_e32 vcc_lo, 3, v12
	s_cbranch_vccnz .LBB22_1794
; %bb.1789:
	v_cmp_lt_i16_e32 vcc_lo, 3, v12
	s_cbranch_vccz .LBB22_1791
; %bb.1790:
	v_bfe_i32 v7, v3, 0, 8
	s_mov_b32 s0, 0
	s_delay_alu instid0(VALU_DEP_1)
	v_ashrrev_i32_e32 v8, 31, v7
	global_store_b64 v[5:6], v[7:8], off
.LBB22_1791:
	s_and_not1_b32 vcc_lo, exec_lo, s0
	s_cbranch_vccnz .LBB22_1793
; %bb.1792:
	v_bfe_i32 v4, v3, 0, 8
	global_store_b32 v[5:6], v4, off
.LBB22_1793:
	s_mov_b32 s0, 0
.LBB22_1794:
	s_delay_alu instid0(SALU_CYCLE_1)
	s_and_not1_b32 vcc_lo, exec_lo, s0
	s_cbranch_vccnz .LBB22_1796
; %bb.1795:
	v_bfe_i32 v4, v3, 0, 8
	global_store_b16 v[5:6], v4, off
.LBB22_1796:
	s_mov_b32 s0, 0
.LBB22_1797:
	s_delay_alu instid0(SALU_CYCLE_1)
	s_and_not1_b32 vcc_lo, exec_lo, s0
	s_cbranch_vccnz .LBB22_1802
; %bb.1798:
	v_cmp_lt_i16_e32 vcc_lo, 0, v12
	s_mov_b32 s0, -1
	s_cbranch_vccz .LBB22_1800
; %bb.1799:
	s_mov_b32 s0, 0
	global_store_b8 v[5:6], v3, off
.LBB22_1800:
	s_and_not1_b32 vcc_lo, exec_lo, s0
	s_cbranch_vccnz .LBB22_1802
; %bb.1801:
	global_store_b8 v[5:6], v3, off
.LBB22_1802:
	s_mov_b32 s6, -1
.LBB22_1803:
	s_delay_alu instid0(SALU_CYCLE_1)
	s_and_not1_b32 vcc_lo, exec_lo, s6
	s_cbranch_vccnz .LBB22_1998
; %bb.1804:
	v_add_nc_u32_e32 v1, s2, v1
	v_cmp_gt_i16_e32 vcc_lo, 11, v12
	v_xor_b32_e32 v5, -1, v2
	s_mov_b32 s3, -1
	s_mov_b32 s6, 0
	v_ashrrev_i32_e32 v4, 31, v1
	v_add_co_u32 v3, s0, s4, v1
	s_delay_alu instid0(VALU_DEP_1)
	v_add_co_ci_u32_e64 v4, s0, s5, v4, s0
	s_cbranch_vccnz .LBB22_1882
; %bb.1805:
	v_cmp_lt_i16_e32 vcc_lo, 25, v12
	s_mov_b32 s7, -1
	s_mov_b32 s3, 0
	s_mov_b32 s0, 0
	s_cbranch_vccz .LBB22_1838
; %bb.1806:
	v_cmp_lt_i16_e32 vcc_lo, 28, v12
	s_cbranch_vccz .LBB22_1821
; %bb.1807:
	v_cmp_lt_i16_e32 vcc_lo, 43, v12
	s_cbranch_vccz .LBB22_1817
; %bb.1808:
	v_cmp_lt_i16_e32 vcc_lo, 45, v12
	s_cbranch_vccz .LBB22_1811
; %bb.1809:
	v_cmp_eq_u16_e32 vcc_lo, 46, v12
	s_mov_b32 s0, -1
	s_mov_b32 s7, 0
	s_cbranch_vccz .LBB22_1811
; %bb.1810:
	v_bfe_i32 v6, v5, 0, 8
	s_mov_b32 s0, 0
	s_mov_b32 s6, -1
	s_delay_alu instid0(VALU_DEP_1) | instskip(NEXT) | instid1(VALU_DEP_1)
	v_bfe_i32 v6, v6, 0, 16
	v_cvt_f32_i32_e32 v6, v6
	s_delay_alu instid0(VALU_DEP_1) | instskip(NEXT) | instid1(VALU_DEP_1)
	v_bfe_u32 v7, v6, 16, 1
	v_add3_u32 v6, v6, v7, 0x7fff
	s_delay_alu instid0(VALU_DEP_1)
	v_lshrrev_b32_e32 v6, 16, v6
	global_store_b32 v[3:4], v6, off
.LBB22_1811:
	s_and_b32 vcc_lo, exec_lo, s7
	s_cbranch_vccz .LBB22_1816
; %bb.1812:
	v_cmp_eq_u16_e32 vcc_lo, 44, v12
	s_mov_b32 s0, -1
	s_cbranch_vccz .LBB22_1816
; %bb.1813:
	v_bfe_i32 v6, v5, 0, 8
	v_mov_b32_e32 v7, 0xff
	s_mov_b32 s6, exec_lo
	s_delay_alu instid0(VALU_DEP_2) | instskip(NEXT) | instid1(VALU_DEP_1)
	v_bfe_i32 v6, v6, 0, 16
	v_cvt_f32_i32_e32 v6, v6
	s_delay_alu instid0(VALU_DEP_1) | instskip(NEXT) | instid1(VALU_DEP_1)
	v_bfe_u32 v8, v6, 23, 8
	v_cmpx_ne_u32_e32 0xff, v8
; %bb.1814:
	v_and_b32_e32 v7, 0x400000, v6
	v_and_or_b32 v8, 0x3fffff, v6, v8
	v_lshrrev_b32_e32 v6, 23, v6
	s_delay_alu instid0(VALU_DEP_3) | instskip(NEXT) | instid1(VALU_DEP_3)
	v_cmp_ne_u32_e32 vcc_lo, 0, v7
	v_cmp_ne_u32_e64 s0, 0, v8
	s_delay_alu instid0(VALU_DEP_1) | instskip(NEXT) | instid1(SALU_CYCLE_1)
	s_and_b32 s0, vcc_lo, s0
	v_cndmask_b32_e64 v7, 0, 1, s0
	s_delay_alu instid0(VALU_DEP_1)
	v_add_nc_u32_e32 v7, v6, v7
; %bb.1815:
	s_or_b32 exec_lo, exec_lo, s6
	s_mov_b32 s0, 0
	s_mov_b32 s6, -1
	global_store_b8 v[3:4], v7, off
.LBB22_1816:
	s_mov_b32 s7, 0
.LBB22_1817:
	s_delay_alu instid0(SALU_CYCLE_1)
	s_and_b32 vcc_lo, exec_lo, s7
	s_cbranch_vccz .LBB22_1820
; %bb.1818:
	v_cmp_eq_u16_e32 vcc_lo, 29, v12
	s_mov_b32 s0, -1
	s_cbranch_vccz .LBB22_1820
; %bb.1819:
	v_bfe_i32 v6, v5, 0, 8
	s_mov_b32 s0, 0
	s_mov_b32 s6, -1
	s_delay_alu instid0(VALU_DEP_1)
	v_ashrrev_i32_e32 v7, 31, v6
	global_store_b64 v[3:4], v[6:7], off
.LBB22_1820:
	s_mov_b32 s7, 0
.LBB22_1821:
	s_delay_alu instid0(SALU_CYCLE_1)
	s_and_b32 vcc_lo, exec_lo, s7
	s_cbranch_vccz .LBB22_1837
; %bb.1822:
	v_cmp_gt_i16_e32 vcc_lo, 27, v12
	s_mov_b32 s6, -1
	s_cbranch_vccnz .LBB22_1828
; %bb.1823:
	v_cmp_lt_i16_e32 vcc_lo, 27, v12
	s_cbranch_vccz .LBB22_1825
; %bb.1824:
	v_bfe_i32 v6, v5, 0, 8
	s_mov_b32 s6, 0
	global_store_b32 v[3:4], v6, off
.LBB22_1825:
	s_and_not1_b32 vcc_lo, exec_lo, s6
	s_cbranch_vccnz .LBB22_1827
; %bb.1826:
	v_bfe_i32 v6, v5, 0, 8
	global_store_b16 v[3:4], v6, off
.LBB22_1827:
	s_mov_b32 s6, 0
.LBB22_1828:
	s_delay_alu instid0(SALU_CYCLE_1)
	s_and_not1_b32 vcc_lo, exec_lo, s6
	s_cbranch_vccnz .LBB22_1836
; %bb.1829:
	v_bfe_i32 v6, v5, 0, 8
	v_mov_b32_e32 v8, 0x80
	s_mov_b32 s6, exec_lo
	s_delay_alu instid0(VALU_DEP_2) | instskip(NEXT) | instid1(VALU_DEP_1)
	v_bfe_i32 v6, v6, 0, 16
	v_cvt_f32_i32_e32 v6, v6
	s_delay_alu instid0(VALU_DEP_1) | instskip(NEXT) | instid1(VALU_DEP_1)
	v_and_b32_e32 v7, 0x7fffffff, v6
	v_cmpx_gt_u32_e32 0x43800000, v7
	s_cbranch_execz .LBB22_1835
; %bb.1830:
	v_cmp_lt_u32_e32 vcc_lo, 0x3bffffff, v7
	s_mov_b32 s7, 0
                                        ; implicit-def: $vgpr7
	s_and_saveexec_b32 s10, vcc_lo
	s_delay_alu instid0(SALU_CYCLE_1)
	s_xor_b32 s10, exec_lo, s10
	s_cbranch_execz .LBB22_2017
; %bb.1831:
	v_bfe_u32 v7, v6, 20, 1
	s_mov_b32 s7, exec_lo
	s_delay_alu instid0(VALU_DEP_1) | instskip(NEXT) | instid1(VALU_DEP_1)
	v_add3_u32 v7, v6, v7, 0x487ffff
	v_lshrrev_b32_e32 v7, 20, v7
	s_or_saveexec_b32 s10, s10
                                        ; implicit-def: $sgpr11
	s_delay_alu instid0(SALU_CYCLE_1)
	s_xor_b32 exec_lo, exec_lo, s10
	s_cbranch_execnz .LBB22_2018
.LBB22_1832:
	s_or_b32 exec_lo, exec_lo, s10
	v_mov_b32_e32 v8, s11
	s_and_saveexec_b32 s10, s7
.LBB22_1833:
	v_lshrrev_b32_e32 v6, 24, v6
	s_delay_alu instid0(VALU_DEP_1)
	v_and_or_b32 v8, 0x80, v6, v7
.LBB22_1834:
	s_or_b32 exec_lo, exec_lo, s10
.LBB22_1835:
	s_delay_alu instid0(SALU_CYCLE_1)
	s_or_b32 exec_lo, exec_lo, s6
	global_store_b8 v[3:4], v8, off
.LBB22_1836:
	s_mov_b32 s6, -1
.LBB22_1837:
	s_mov_b32 s7, 0
.LBB22_1838:
	s_delay_alu instid0(SALU_CYCLE_1)
	s_and_b32 vcc_lo, exec_lo, s7
	s_cbranch_vccz .LBB22_1878
; %bb.1839:
	v_cmp_lt_i16_e32 vcc_lo, 22, v12
	s_mov_b32 s3, -1
	s_cbranch_vccz .LBB22_1871
; %bb.1840:
	v_cmp_gt_i16_e32 vcc_lo, 24, v12
	s_cbranch_vccnz .LBB22_1860
; %bb.1841:
	v_cmp_lt_i16_e32 vcc_lo, 24, v12
	s_cbranch_vccz .LBB22_1849
; %bb.1842:
	v_bfe_i32 v6, v5, 0, 8
	v_mov_b32_e32 v8, 0x80
	s_mov_b32 s3, exec_lo
	s_delay_alu instid0(VALU_DEP_2) | instskip(NEXT) | instid1(VALU_DEP_1)
	v_bfe_i32 v6, v6, 0, 16
	v_cvt_f32_i32_e32 v6, v6
	s_delay_alu instid0(VALU_DEP_1) | instskip(NEXT) | instid1(VALU_DEP_1)
	v_and_b32_e32 v7, 0x7fffffff, v6
	v_cmpx_gt_u32_e32 0x47800000, v7
	s_cbranch_execz .LBB22_1848
; %bb.1843:
	v_cmp_lt_u32_e32 vcc_lo, 0x37ffffff, v7
	s_mov_b32 s6, 0
                                        ; implicit-def: $vgpr7
	s_and_saveexec_b32 s7, vcc_lo
	s_delay_alu instid0(SALU_CYCLE_1)
	s_xor_b32 s7, exec_lo, s7
	s_cbranch_execz .LBB22_2023
; %bb.1844:
	v_bfe_u32 v7, v6, 21, 1
	s_mov_b32 s6, exec_lo
	s_delay_alu instid0(VALU_DEP_1) | instskip(NEXT) | instid1(VALU_DEP_1)
	v_add3_u32 v7, v6, v7, 0x88fffff
	v_lshrrev_b32_e32 v7, 21, v7
	s_or_saveexec_b32 s7, s7
                                        ; implicit-def: $sgpr10
	s_delay_alu instid0(SALU_CYCLE_1)
	s_xor_b32 exec_lo, exec_lo, s7
	s_cbranch_execnz .LBB22_2024
.LBB22_1845:
	s_or_b32 exec_lo, exec_lo, s7
	v_mov_b32_e32 v8, s10
	s_and_saveexec_b32 s7, s6
.LBB22_1846:
	v_lshrrev_b32_e32 v6, 24, v6
	s_delay_alu instid0(VALU_DEP_1)
	v_and_or_b32 v8, 0x80, v6, v7
.LBB22_1847:
	s_or_b32 exec_lo, exec_lo, s7
.LBB22_1848:
	s_delay_alu instid0(SALU_CYCLE_1)
	s_or_b32 exec_lo, exec_lo, s3
	s_mov_b32 s3, 0
	global_store_b8 v[3:4], v8, off
.LBB22_1849:
	s_and_b32 vcc_lo, exec_lo, s3
	s_cbranch_vccz .LBB22_1859
; %bb.1850:
	v_bfe_i32 v6, v5, 0, 8
	s_mov_b32 s3, exec_lo
                                        ; implicit-def: $vgpr7
	s_delay_alu instid0(VALU_DEP_1) | instskip(NEXT) | instid1(VALU_DEP_1)
	v_bfe_i32 v6, v6, 0, 16
	v_cvt_f32_i32_e32 v6, v6
	s_delay_alu instid0(VALU_DEP_1) | instskip(NEXT) | instid1(VALU_DEP_1)
	v_and_b32_e32 v8, 0x7fffffff, v6
	v_cmpx_gt_u32_e32 0x43f00000, v8
	s_xor_b32 s3, exec_lo, s3
	s_cbranch_execz .LBB22_1856
; %bb.1851:
	s_mov_b32 s6, exec_lo
                                        ; implicit-def: $vgpr7
	v_cmpx_lt_u32_e32 0x3c7fffff, v8
	s_xor_b32 s6, exec_lo, s6
; %bb.1852:
	v_bfe_u32 v7, v6, 20, 1
	s_delay_alu instid0(VALU_DEP_1) | instskip(NEXT) | instid1(VALU_DEP_1)
	v_add3_u32 v7, v6, v7, 0x407ffff
	v_and_b32_e32 v8, 0xff00000, v7
	v_lshrrev_b32_e32 v7, 20, v7
	s_delay_alu instid0(VALU_DEP_2) | instskip(NEXT) | instid1(VALU_DEP_2)
	v_cmp_ne_u32_e32 vcc_lo, 0x7f00000, v8
	v_cndmask_b32_e32 v7, 0x7e, v7, vcc_lo
; %bb.1853:
	s_and_not1_saveexec_b32 s6, s6
; %bb.1854:
	v_add_f32_e64 v7, 0x46800000, |v6|
; %bb.1855:
	s_or_b32 exec_lo, exec_lo, s6
                                        ; implicit-def: $vgpr8
.LBB22_1856:
	s_and_not1_saveexec_b32 s3, s3
; %bb.1857:
	v_mov_b32_e32 v7, 0x7f
	v_cmp_lt_u32_e32 vcc_lo, 0x7f800000, v8
	s_delay_alu instid0(VALU_DEP_2)
	v_cndmask_b32_e32 v7, 0x7e, v7, vcc_lo
; %bb.1858:
	s_or_b32 exec_lo, exec_lo, s3
	v_lshrrev_b32_e32 v6, 24, v6
	s_delay_alu instid0(VALU_DEP_1)
	v_and_or_b32 v6, 0x80, v6, v7
	global_store_b8 v[3:4], v6, off
.LBB22_1859:
	s_mov_b32 s3, 0
.LBB22_1860:
	s_delay_alu instid0(SALU_CYCLE_1)
	s_and_not1_b32 vcc_lo, exec_lo, s3
	s_cbranch_vccnz .LBB22_1870
; %bb.1861:
	v_bfe_i32 v6, v5, 0, 8
	s_mov_b32 s3, exec_lo
                                        ; implicit-def: $vgpr7
	s_delay_alu instid0(VALU_DEP_1) | instskip(NEXT) | instid1(VALU_DEP_1)
	v_bfe_i32 v6, v6, 0, 16
	v_cvt_f32_i32_e32 v6, v6
	s_delay_alu instid0(VALU_DEP_1) | instskip(NEXT) | instid1(VALU_DEP_1)
	v_and_b32_e32 v8, 0x7fffffff, v6
	v_cmpx_gt_u32_e32 0x47800000, v8
	s_xor_b32 s3, exec_lo, s3
	s_cbranch_execz .LBB22_1867
; %bb.1862:
	s_mov_b32 s6, exec_lo
                                        ; implicit-def: $vgpr7
	v_cmpx_lt_u32_e32 0x387fffff, v8
	s_xor_b32 s6, exec_lo, s6
; %bb.1863:
	v_bfe_u32 v7, v6, 21, 1
	s_delay_alu instid0(VALU_DEP_1) | instskip(NEXT) | instid1(VALU_DEP_1)
	v_add3_u32 v7, v6, v7, 0x80fffff
	v_lshrrev_b32_e32 v7, 21, v7
; %bb.1864:
	s_and_not1_saveexec_b32 s6, s6
; %bb.1865:
	v_add_f32_e64 v7, 0x43000000, |v6|
; %bb.1866:
	s_or_b32 exec_lo, exec_lo, s6
                                        ; implicit-def: $vgpr8
.LBB22_1867:
	s_and_not1_saveexec_b32 s3, s3
; %bb.1868:
	v_mov_b32_e32 v7, 0x7f
	v_cmp_lt_u32_e32 vcc_lo, 0x7f800000, v8
	s_delay_alu instid0(VALU_DEP_2)
	v_cndmask_b32_e32 v7, 0x7c, v7, vcc_lo
; %bb.1869:
	s_or_b32 exec_lo, exec_lo, s3
	v_lshrrev_b32_e32 v6, 24, v6
	s_delay_alu instid0(VALU_DEP_1)
	v_and_or_b32 v6, 0x80, v6, v7
	global_store_b8 v[3:4], v6, off
.LBB22_1870:
	s_mov_b32 s3, 0
	s_mov_b32 s6, -1
.LBB22_1871:
	s_and_not1_b32 vcc_lo, exec_lo, s3
	s_mov_b32 s3, 0
	s_cbranch_vccnz .LBB22_1878
; %bb.1872:
	v_cmp_lt_i16_e32 vcc_lo, 14, v12
	s_mov_b32 s3, -1
	s_cbranch_vccz .LBB22_1876
; %bb.1873:
	v_cmp_eq_u16_e32 vcc_lo, 15, v12
	s_mov_b32 s0, -1
	s_cbranch_vccz .LBB22_1875
; %bb.1874:
	v_bfe_i32 v6, v5, 0, 8
	s_mov_b32 s0, 0
	s_mov_b32 s6, -1
	s_delay_alu instid0(VALU_DEP_1) | instskip(NEXT) | instid1(VALU_DEP_1)
	v_bfe_i32 v6, v6, 0, 16
	v_cvt_f32_i32_e32 v6, v6
	s_delay_alu instid0(VALU_DEP_1) | instskip(NEXT) | instid1(VALU_DEP_1)
	v_bfe_u32 v7, v6, 16, 1
	v_add3_u32 v6, v6, v7, 0x7fff
	global_store_d16_hi_b16 v[3:4], v6, off
.LBB22_1875:
	s_mov_b32 s3, 0
.LBB22_1876:
	s_delay_alu instid0(SALU_CYCLE_1)
	s_and_b32 vcc_lo, exec_lo, s3
	s_mov_b32 s3, 0
	s_cbranch_vccz .LBB22_1878
; %bb.1877:
	v_cmp_ne_u16_e64 s0, 11, v12
	s_mov_b32 s3, -1
.LBB22_1878:
	s_delay_alu instid0(VALU_DEP_1)
	s_and_b32 vcc_lo, exec_lo, s0
	s_cbranch_vccnz .LBB22_2021
; %bb.1879:
	s_and_not1_b32 vcc_lo, exec_lo, s3
	s_cbranch_vccnz .LBB22_1881
.LBB22_1880:
	v_and_b32_e32 v2, 0xff, v2
	s_mov_b32 s6, -1
	s_delay_alu instid0(VALU_DEP_1)
	v_cmp_ne_u16_e32 vcc_lo, 0xff, v2
	v_cndmask_b32_e64 v2, 0, 1, vcc_lo
	global_store_b8 v[3:4], v2, off
.LBB22_1881:
	s_mov_b32 s3, 0
.LBB22_1882:
	s_delay_alu instid0(SALU_CYCLE_1)
	s_and_b32 vcc_lo, exec_lo, s3
	s_cbranch_vccz .LBB22_1921
; %bb.1883:
	v_cmp_gt_i16_e32 vcc_lo, 5, v12
	s_mov_b32 s0, -1
	s_cbranch_vccnz .LBB22_1904
; %bb.1884:
	v_cmp_gt_i16_e32 vcc_lo, 8, v12
	s_cbranch_vccnz .LBB22_1894
; %bb.1885:
	v_cmp_gt_i16_e32 vcc_lo, 9, v12
	s_cbranch_vccnz .LBB22_1891
; %bb.1886:
	v_cmp_lt_i16_e32 vcc_lo, 9, v12
	s_cbranch_vccz .LBB22_1888
; %bb.1887:
	v_bfe_i32 v2, v5, 0, 8
	v_mov_b32_e32 v8, 0
	s_mov_b32 s0, 0
	s_delay_alu instid0(VALU_DEP_2) | instskip(NEXT) | instid1(VALU_DEP_2)
	v_bfe_i32 v2, v2, 0, 16
	v_mov_b32_e32 v9, v8
	s_delay_alu instid0(VALU_DEP_2)
	v_cvt_f64_i32_e32 v[6:7], v2
	global_store_b128 v[3:4], v[6:9], off
.LBB22_1888:
	s_and_not1_b32 vcc_lo, exec_lo, s0
	s_cbranch_vccnz .LBB22_1890
; %bb.1889:
	v_bfe_i32 v2, v5, 0, 8
	v_mov_b32_e32 v7, 0
	s_delay_alu instid0(VALU_DEP_2) | instskip(NEXT) | instid1(VALU_DEP_1)
	v_bfe_i32 v2, v2, 0, 16
	v_cvt_f32_i32_e32 v6, v2
	global_store_b64 v[3:4], v[6:7], off
.LBB22_1890:
	s_mov_b32 s0, 0
.LBB22_1891:
	s_delay_alu instid0(SALU_CYCLE_1)
	s_and_not1_b32 vcc_lo, exec_lo, s0
	s_cbranch_vccnz .LBB22_1893
; %bb.1892:
	v_bfe_i32 v2, v5, 0, 8
	s_delay_alu instid0(VALU_DEP_1) | instskip(NEXT) | instid1(VALU_DEP_1)
	v_cvt_f16_i16_e32 v2, v2
	v_and_b32_e32 v2, 0xffff, v2
	global_store_b32 v[3:4], v2, off
.LBB22_1893:
	s_mov_b32 s0, 0
.LBB22_1894:
	s_delay_alu instid0(SALU_CYCLE_1)
	s_and_not1_b32 vcc_lo, exec_lo, s0
	s_cbranch_vccnz .LBB22_1903
; %bb.1895:
	v_cmp_gt_i16_e32 vcc_lo, 6, v12
	s_mov_b32 s0, -1
	s_cbranch_vccnz .LBB22_1901
; %bb.1896:
	v_cmp_lt_i16_e32 vcc_lo, 6, v12
	s_cbranch_vccz .LBB22_1898
; %bb.1897:
	v_bfe_i32 v2, v5, 0, 8
	s_mov_b32 s0, 0
	s_delay_alu instid0(VALU_DEP_1) | instskip(NEXT) | instid1(VALU_DEP_1)
	v_bfe_i32 v2, v2, 0, 16
	v_cvt_f64_i32_e32 v[6:7], v2
	global_store_b64 v[3:4], v[6:7], off
.LBB22_1898:
	s_and_not1_b32 vcc_lo, exec_lo, s0
	s_cbranch_vccnz .LBB22_1900
; %bb.1899:
	v_bfe_i32 v2, v5, 0, 8
	s_delay_alu instid0(VALU_DEP_1) | instskip(NEXT) | instid1(VALU_DEP_1)
	v_bfe_i32 v2, v2, 0, 16
	v_cvt_f32_i32_e32 v2, v2
	global_store_b32 v[3:4], v2, off
.LBB22_1900:
	s_mov_b32 s0, 0
.LBB22_1901:
	s_delay_alu instid0(SALU_CYCLE_1)
	s_and_not1_b32 vcc_lo, exec_lo, s0
	s_cbranch_vccnz .LBB22_1903
; %bb.1902:
	v_bfe_i32 v2, v5, 0, 8
	s_delay_alu instid0(VALU_DEP_1)
	v_cvt_f16_i16_e32 v2, v2
	global_store_b16 v[3:4], v2, off
.LBB22_1903:
	s_mov_b32 s0, 0
.LBB22_1904:
	s_delay_alu instid0(SALU_CYCLE_1)
	s_and_not1_b32 vcc_lo, exec_lo, s0
	s_cbranch_vccnz .LBB22_1920
; %bb.1905:
	v_cmp_gt_i16_e32 vcc_lo, 2, v12
	s_mov_b32 s0, -1
	s_cbranch_vccnz .LBB22_1915
; %bb.1906:
	v_cmp_gt_i16_e32 vcc_lo, 3, v12
	s_cbranch_vccnz .LBB22_1912
; %bb.1907:
	v_cmp_lt_i16_e32 vcc_lo, 3, v12
	s_cbranch_vccz .LBB22_1909
; %bb.1908:
	v_bfe_i32 v6, v5, 0, 8
	s_mov_b32 s0, 0
	s_delay_alu instid0(VALU_DEP_1)
	v_ashrrev_i32_e32 v7, 31, v6
	global_store_b64 v[3:4], v[6:7], off
.LBB22_1909:
	s_and_not1_b32 vcc_lo, exec_lo, s0
	s_cbranch_vccnz .LBB22_1911
; %bb.1910:
	v_bfe_i32 v2, v5, 0, 8
	global_store_b32 v[3:4], v2, off
.LBB22_1911:
	s_mov_b32 s0, 0
.LBB22_1912:
	s_delay_alu instid0(SALU_CYCLE_1)
	s_and_not1_b32 vcc_lo, exec_lo, s0
	s_cbranch_vccnz .LBB22_1914
; %bb.1913:
	v_bfe_i32 v2, v5, 0, 8
	global_store_b16 v[3:4], v2, off
.LBB22_1914:
	s_mov_b32 s0, 0
.LBB22_1915:
	s_delay_alu instid0(SALU_CYCLE_1)
	s_and_not1_b32 vcc_lo, exec_lo, s0
	s_cbranch_vccnz .LBB22_1920
; %bb.1916:
	v_cmp_lt_i16_e32 vcc_lo, 0, v12
	s_mov_b32 s0, -1
	s_cbranch_vccz .LBB22_1918
; %bb.1917:
	s_mov_b32 s0, 0
	global_store_b8 v[3:4], v5, off
.LBB22_1918:
	s_and_not1_b32 vcc_lo, exec_lo, s0
	s_cbranch_vccnz .LBB22_1920
; %bb.1919:
	global_store_b8 v[3:4], v5, off
.LBB22_1920:
	s_mov_b32 s6, -1
.LBB22_1921:
	s_delay_alu instid0(SALU_CYCLE_1)
	s_and_not1_b32 vcc_lo, exec_lo, s6
	s_cbranch_vccnz .LBB22_1998
; %bb.1922:
	v_add_nc_u32_e32 v1, s2, v1
	v_cmp_gt_i16_e32 vcc_lo, 11, v12
	v_xor_b32_e32 v3, -1, v0
	s_mov_b32 s3, -1
	s_mov_b32 s2, 0
	v_ashrrev_i32_e32 v2, 31, v1
	v_add_co_u32 v1, s0, s4, v1
	s_delay_alu instid0(VALU_DEP_1)
	v_add_co_ci_u32_e64 v2, s0, s5, v2, s0
	s_cbranch_vccnz .LBB22_1327
; %bb.1923:
	v_cmp_lt_i16_e32 vcc_lo, 25, v12
	s_mov_b32 s0, 0
	s_cbranch_vccz .LBB22_1956
; %bb.1924:
	v_cmp_lt_i16_e32 vcc_lo, 28, v12
	s_cbranch_vccz .LBB22_1940
; %bb.1925:
	v_cmp_lt_i16_e32 vcc_lo, 43, v12
	;; [unrolled: 3-line block ×3, first 2 shown]
	s_cbranch_vccz .LBB22_1930
; %bb.1927:
	v_cmp_eq_u16_e32 vcc_lo, 46, v12
	s_mov_b32 s0, -1
	s_cbranch_vccz .LBB22_1929
; %bb.1928:
	v_bfe_i32 v4, v3, 0, 8
	s_mov_b32 s0, 0
	s_delay_alu instid0(VALU_DEP_1) | instskip(NEXT) | instid1(VALU_DEP_1)
	v_bfe_i32 v4, v4, 0, 16
	v_cvt_f32_i32_e32 v4, v4
	s_delay_alu instid0(VALU_DEP_1) | instskip(NEXT) | instid1(VALU_DEP_1)
	v_bfe_u32 v5, v4, 16, 1
	v_add3_u32 v4, v4, v5, 0x7fff
	s_delay_alu instid0(VALU_DEP_1)
	v_lshrrev_b32_e32 v4, 16, v4
	global_store_b32 v[1:2], v4, off
.LBB22_1929:
	s_mov_b32 s3, 0
.LBB22_1930:
	s_delay_alu instid0(SALU_CYCLE_1)
	s_and_b32 vcc_lo, exec_lo, s3
	s_cbranch_vccz .LBB22_1935
; %bb.1931:
	v_cmp_eq_u16_e32 vcc_lo, 44, v12
	s_mov_b32 s0, -1
	s_cbranch_vccz .LBB22_1935
; %bb.1932:
	v_bfe_i32 v4, v3, 0, 8
	v_mov_b32_e32 v5, 0xff
	s_mov_b32 s3, exec_lo
	s_delay_alu instid0(VALU_DEP_2) | instskip(NEXT) | instid1(VALU_DEP_1)
	v_bfe_i32 v4, v4, 0, 16
	v_cvt_f32_i32_e32 v4, v4
	s_delay_alu instid0(VALU_DEP_1) | instskip(NEXT) | instid1(VALU_DEP_1)
	v_bfe_u32 v6, v4, 23, 8
	v_cmpx_ne_u32_e32 0xff, v6
; %bb.1933:
	v_and_b32_e32 v5, 0x400000, v4
	v_and_or_b32 v6, 0x3fffff, v4, v6
	v_lshrrev_b32_e32 v4, 23, v4
	s_delay_alu instid0(VALU_DEP_3) | instskip(NEXT) | instid1(VALU_DEP_3)
	v_cmp_ne_u32_e32 vcc_lo, 0, v5
	v_cmp_ne_u32_e64 s0, 0, v6
	s_delay_alu instid0(VALU_DEP_1) | instskip(NEXT) | instid1(SALU_CYCLE_1)
	s_and_b32 s0, vcc_lo, s0
	v_cndmask_b32_e64 v5, 0, 1, s0
	s_delay_alu instid0(VALU_DEP_1)
	v_add_nc_u32_e32 v5, v4, v5
; %bb.1934:
	s_or_b32 exec_lo, exec_lo, s3
	s_mov_b32 s0, 0
	global_store_b8 v[1:2], v5, off
.LBB22_1935:
	s_mov_b32 s3, 0
.LBB22_1936:
	s_delay_alu instid0(SALU_CYCLE_1)
	s_and_b32 vcc_lo, exec_lo, s3
	s_cbranch_vccz .LBB22_1939
; %bb.1937:
	v_cmp_eq_u16_e32 vcc_lo, 29, v12
	s_mov_b32 s0, -1
	s_cbranch_vccz .LBB22_1939
; %bb.1938:
	v_bfe_i32 v4, v3, 0, 8
	s_mov_b32 s0, 0
	s_delay_alu instid0(VALU_DEP_1)
	v_ashrrev_i32_e32 v5, 31, v4
	global_store_b64 v[1:2], v[4:5], off
.LBB22_1939:
	s_mov_b32 s3, 0
.LBB22_1940:
	s_delay_alu instid0(SALU_CYCLE_1)
	s_and_b32 vcc_lo, exec_lo, s3
	s_cbranch_vccz .LBB22_1955
; %bb.1941:
	v_cmp_gt_i16_e32 vcc_lo, 27, v12
	s_mov_b32 s3, -1
	s_cbranch_vccnz .LBB22_1947
; %bb.1942:
	v_cmp_lt_i16_e32 vcc_lo, 27, v12
	s_cbranch_vccz .LBB22_1944
; %bb.1943:
	v_bfe_i32 v4, v3, 0, 8
	s_mov_b32 s3, 0
	global_store_b32 v[1:2], v4, off
.LBB22_1944:
	s_and_not1_b32 vcc_lo, exec_lo, s3
	s_cbranch_vccnz .LBB22_1946
; %bb.1945:
	v_bfe_i32 v4, v3, 0, 8
	global_store_b16 v[1:2], v4, off
.LBB22_1946:
	s_mov_b32 s3, 0
.LBB22_1947:
	s_delay_alu instid0(SALU_CYCLE_1)
	s_and_not1_b32 vcc_lo, exec_lo, s3
	s_cbranch_vccnz .LBB22_1955
; %bb.1948:
	v_bfe_i32 v4, v3, 0, 8
	v_mov_b32_e32 v6, 0x80
	s_mov_b32 s3, exec_lo
	s_delay_alu instid0(VALU_DEP_2) | instskip(NEXT) | instid1(VALU_DEP_1)
	v_bfe_i32 v4, v4, 0, 16
	v_cvt_f32_i32_e32 v4, v4
	s_delay_alu instid0(VALU_DEP_1) | instskip(NEXT) | instid1(VALU_DEP_1)
	v_and_b32_e32 v5, 0x7fffffff, v4
	v_cmpx_gt_u32_e32 0x43800000, v5
	s_cbranch_execz .LBB22_1954
; %bb.1949:
	v_cmp_lt_u32_e32 vcc_lo, 0x3bffffff, v5
	s_mov_b32 s4, 0
                                        ; implicit-def: $vgpr5
	s_and_saveexec_b32 s5, vcc_lo
	s_delay_alu instid0(SALU_CYCLE_1)
	s_xor_b32 s5, exec_lo, s5
	s_cbranch_execz .LBB22_2025
; %bb.1950:
	v_bfe_u32 v5, v4, 20, 1
	s_mov_b32 s4, exec_lo
	s_delay_alu instid0(VALU_DEP_1) | instskip(NEXT) | instid1(VALU_DEP_1)
	v_add3_u32 v5, v4, v5, 0x487ffff
	v_lshrrev_b32_e32 v5, 20, v5
	s_or_saveexec_b32 s5, s5
                                        ; implicit-def: $sgpr6
	s_delay_alu instid0(SALU_CYCLE_1)
	s_xor_b32 exec_lo, exec_lo, s5
	s_cbranch_execnz .LBB22_2026
.LBB22_1951:
	s_or_b32 exec_lo, exec_lo, s5
	v_mov_b32_e32 v6, s6
	s_and_saveexec_b32 s5, s4
.LBB22_1952:
	v_lshrrev_b32_e32 v4, 24, v4
	s_delay_alu instid0(VALU_DEP_1)
	v_and_or_b32 v6, 0x80, v4, v5
.LBB22_1953:
	s_or_b32 exec_lo, exec_lo, s5
.LBB22_1954:
	s_delay_alu instid0(SALU_CYCLE_1)
	s_or_b32 exec_lo, exec_lo, s3
	global_store_b8 v[1:2], v6, off
.LBB22_1955:
	s_mov_b32 s3, 0
.LBB22_1956:
	s_delay_alu instid0(SALU_CYCLE_1)
	s_and_b32 vcc_lo, exec_lo, s3
	s_cbranch_vccz .LBB22_1996
; %bb.1957:
	v_cmp_lt_i16_e32 vcc_lo, 22, v12
	s_mov_b32 s2, -1
	s_cbranch_vccz .LBB22_1989
; %bb.1958:
	v_cmp_gt_i16_e32 vcc_lo, 24, v12
	s_cbranch_vccnz .LBB22_1978
; %bb.1959:
	v_cmp_lt_i16_e32 vcc_lo, 24, v12
	s_cbranch_vccz .LBB22_1967
; %bb.1960:
	v_bfe_i32 v4, v3, 0, 8
	v_mov_b32_e32 v6, 0x80
	s_mov_b32 s2, exec_lo
	s_delay_alu instid0(VALU_DEP_2) | instskip(NEXT) | instid1(VALU_DEP_1)
	v_bfe_i32 v4, v4, 0, 16
	v_cvt_f32_i32_e32 v4, v4
	s_delay_alu instid0(VALU_DEP_1) | instskip(NEXT) | instid1(VALU_DEP_1)
	v_and_b32_e32 v5, 0x7fffffff, v4
	v_cmpx_gt_u32_e32 0x47800000, v5
	s_cbranch_execz .LBB22_1966
; %bb.1961:
	v_cmp_lt_u32_e32 vcc_lo, 0x37ffffff, v5
	s_mov_b32 s3, 0
                                        ; implicit-def: $vgpr5
	s_and_saveexec_b32 s4, vcc_lo
	s_delay_alu instid0(SALU_CYCLE_1)
	s_xor_b32 s4, exec_lo, s4
	s_cbranch_execz .LBB22_2031
; %bb.1962:
	v_bfe_u32 v5, v4, 21, 1
	s_mov_b32 s3, exec_lo
	s_delay_alu instid0(VALU_DEP_1) | instskip(NEXT) | instid1(VALU_DEP_1)
	v_add3_u32 v5, v4, v5, 0x88fffff
	v_lshrrev_b32_e32 v5, 21, v5
	s_or_saveexec_b32 s4, s4
                                        ; implicit-def: $sgpr5
	s_delay_alu instid0(SALU_CYCLE_1)
	s_xor_b32 exec_lo, exec_lo, s4
	s_cbranch_execnz .LBB22_2032
.LBB22_1963:
	s_or_b32 exec_lo, exec_lo, s4
	v_mov_b32_e32 v6, s5
	s_and_saveexec_b32 s4, s3
.LBB22_1964:
	v_lshrrev_b32_e32 v4, 24, v4
	s_delay_alu instid0(VALU_DEP_1)
	v_and_or_b32 v6, 0x80, v4, v5
.LBB22_1965:
	s_or_b32 exec_lo, exec_lo, s4
.LBB22_1966:
	s_delay_alu instid0(SALU_CYCLE_1)
	s_or_b32 exec_lo, exec_lo, s2
	s_mov_b32 s2, 0
	global_store_b8 v[1:2], v6, off
.LBB22_1967:
	s_and_b32 vcc_lo, exec_lo, s2
	s_cbranch_vccz .LBB22_1977
; %bb.1968:
	v_bfe_i32 v4, v3, 0, 8
	s_mov_b32 s2, exec_lo
                                        ; implicit-def: $vgpr5
	s_delay_alu instid0(VALU_DEP_1) | instskip(NEXT) | instid1(VALU_DEP_1)
	v_bfe_i32 v4, v4, 0, 16
	v_cvt_f32_i32_e32 v4, v4
	s_delay_alu instid0(VALU_DEP_1) | instskip(NEXT) | instid1(VALU_DEP_1)
	v_and_b32_e32 v6, 0x7fffffff, v4
	v_cmpx_gt_u32_e32 0x43f00000, v6
	s_xor_b32 s2, exec_lo, s2
	s_cbranch_execz .LBB22_1974
; %bb.1969:
	s_mov_b32 s3, exec_lo
                                        ; implicit-def: $vgpr5
	v_cmpx_lt_u32_e32 0x3c7fffff, v6
	s_xor_b32 s3, exec_lo, s3
; %bb.1970:
	v_bfe_u32 v5, v4, 20, 1
	s_delay_alu instid0(VALU_DEP_1) | instskip(NEXT) | instid1(VALU_DEP_1)
	v_add3_u32 v5, v4, v5, 0x407ffff
	v_and_b32_e32 v6, 0xff00000, v5
	v_lshrrev_b32_e32 v5, 20, v5
	s_delay_alu instid0(VALU_DEP_2) | instskip(NEXT) | instid1(VALU_DEP_2)
	v_cmp_ne_u32_e32 vcc_lo, 0x7f00000, v6
	v_cndmask_b32_e32 v5, 0x7e, v5, vcc_lo
; %bb.1971:
	s_and_not1_saveexec_b32 s3, s3
; %bb.1972:
	v_add_f32_e64 v5, 0x46800000, |v4|
; %bb.1973:
	s_or_b32 exec_lo, exec_lo, s3
                                        ; implicit-def: $vgpr6
.LBB22_1974:
	s_and_not1_saveexec_b32 s2, s2
; %bb.1975:
	v_mov_b32_e32 v5, 0x7f
	v_cmp_lt_u32_e32 vcc_lo, 0x7f800000, v6
	s_delay_alu instid0(VALU_DEP_2)
	v_cndmask_b32_e32 v5, 0x7e, v5, vcc_lo
; %bb.1976:
	s_or_b32 exec_lo, exec_lo, s2
	v_lshrrev_b32_e32 v4, 24, v4
	s_delay_alu instid0(VALU_DEP_1)
	v_and_or_b32 v4, 0x80, v4, v5
	global_store_b8 v[1:2], v4, off
.LBB22_1977:
	s_mov_b32 s2, 0
.LBB22_1978:
	s_delay_alu instid0(SALU_CYCLE_1)
	s_and_not1_b32 vcc_lo, exec_lo, s2
	s_cbranch_vccnz .LBB22_1988
; %bb.1979:
	v_bfe_i32 v4, v3, 0, 8
	s_mov_b32 s2, exec_lo
                                        ; implicit-def: $vgpr5
	s_delay_alu instid0(VALU_DEP_1) | instskip(NEXT) | instid1(VALU_DEP_1)
	v_bfe_i32 v4, v4, 0, 16
	v_cvt_f32_i32_e32 v4, v4
	s_delay_alu instid0(VALU_DEP_1) | instskip(NEXT) | instid1(VALU_DEP_1)
	v_and_b32_e32 v6, 0x7fffffff, v4
	v_cmpx_gt_u32_e32 0x47800000, v6
	s_xor_b32 s2, exec_lo, s2
	s_cbranch_execz .LBB22_1985
; %bb.1980:
	s_mov_b32 s3, exec_lo
                                        ; implicit-def: $vgpr5
	v_cmpx_lt_u32_e32 0x387fffff, v6
	s_xor_b32 s3, exec_lo, s3
; %bb.1981:
	v_bfe_u32 v5, v4, 21, 1
	s_delay_alu instid0(VALU_DEP_1) | instskip(NEXT) | instid1(VALU_DEP_1)
	v_add3_u32 v5, v4, v5, 0x80fffff
	v_lshrrev_b32_e32 v5, 21, v5
; %bb.1982:
	s_and_not1_saveexec_b32 s3, s3
; %bb.1983:
	v_add_f32_e64 v5, 0x43000000, |v4|
; %bb.1984:
	s_or_b32 exec_lo, exec_lo, s3
                                        ; implicit-def: $vgpr6
.LBB22_1985:
	s_and_not1_saveexec_b32 s2, s2
; %bb.1986:
	v_mov_b32_e32 v5, 0x7f
	v_cmp_lt_u32_e32 vcc_lo, 0x7f800000, v6
	s_delay_alu instid0(VALU_DEP_2)
	v_cndmask_b32_e32 v5, 0x7c, v5, vcc_lo
; %bb.1987:
	s_or_b32 exec_lo, exec_lo, s2
	v_lshrrev_b32_e32 v4, 24, v4
	s_delay_alu instid0(VALU_DEP_1)
	v_and_or_b32 v4, 0x80, v4, v5
	global_store_b8 v[1:2], v4, off
.LBB22_1988:
	s_mov_b32 s2, 0
.LBB22_1989:
	s_delay_alu instid0(SALU_CYCLE_1)
	s_and_not1_b32 vcc_lo, exec_lo, s2
	s_mov_b32 s2, 0
	s_cbranch_vccnz .LBB22_1996
; %bb.1990:
	v_cmp_lt_i16_e32 vcc_lo, 14, v12
	s_mov_b32 s2, -1
	s_cbranch_vccz .LBB22_1994
; %bb.1991:
	v_cmp_eq_u16_e32 vcc_lo, 15, v12
	s_mov_b32 s0, -1
	s_cbranch_vccz .LBB22_1993
; %bb.1992:
	v_bfe_i32 v4, v3, 0, 8
	s_mov_b32 s0, 0
	s_delay_alu instid0(VALU_DEP_1) | instskip(NEXT) | instid1(VALU_DEP_1)
	v_bfe_i32 v4, v4, 0, 16
	v_cvt_f32_i32_e32 v4, v4
	s_delay_alu instid0(VALU_DEP_1) | instskip(NEXT) | instid1(VALU_DEP_1)
	v_bfe_u32 v5, v4, 16, 1
	v_add3_u32 v4, v4, v5, 0x7fff
	global_store_d16_hi_b16 v[1:2], v4, off
.LBB22_1993:
	s_mov_b32 s2, 0
.LBB22_1994:
	s_delay_alu instid0(SALU_CYCLE_1)
	s_and_b32 vcc_lo, exec_lo, s2
	s_mov_b32 s2, 0
	s_cbranch_vccz .LBB22_1996
; %bb.1995:
	v_cmp_ne_u16_e64 s0, 11, v12
	s_mov_b32 s2, -1
.LBB22_1996:
	s_delay_alu instid0(VALU_DEP_1)
	s_and_b32 vcc_lo, exec_lo, s0
	s_cbranch_vccnz .LBB22_2029
.LBB22_1997:
	s_mov_b32 s3, 0
	s_branch .LBB22_1327
.LBB22_1998:
	s_mov_b32 s3, 0
	s_mov_b32 s2, 0
                                        ; implicit-def: $vgpr12
                                        ; implicit-def: $vgpr1_vgpr2
                                        ; implicit-def: $vgpr3
	s_branch .LBB22_1327
.LBB22_1999:
	s_cbranch_execnz .LBB22_2003
; %bb.2000:
	s_or_b32 s1, s1, exec_lo
                                        ; implicit-def: $vgpr0
	s_cbranch_execz .LBB22_1516
	s_branch .LBB22_1517
.LBB22_2001:
	s_or_saveexec_b32 s10, s10
                                        ; implicit-def: $sgpr11
	s_delay_alu instid0(SALU_CYCLE_1)
	s_xor_b32 exec_lo, exec_lo, s10
	s_cbranch_execz .LBB22_1596
.LBB22_2002:
	v_add_f32_e64 v9, 0x46000000, |v5|
	s_and_not1_b32 s7, s7, exec_lo
	s_mov_b32 s11, 0
	s_delay_alu instid0(VALU_DEP_1) | instskip(NEXT) | instid1(VALU_DEP_1)
	v_and_b32_e32 v9, 0xff, v9
	v_cmp_ne_u32_e32 vcc_lo, 0, v9
	s_and_b32 s12, vcc_lo, exec_lo
	s_delay_alu instid0(SALU_CYCLE_1)
	s_or_b32 s7, s7, s12
	s_or_b32 exec_lo, exec_lo, s10
	v_mov_b32_e32 v10, s11
	s_and_saveexec_b32 s10, s7
	s_cbranch_execnz .LBB22_1597
	s_branch .LBB22_1598
.LBB22_2003:
	s_trap 2
	s_sendmsg_rtn_b32 s0, sendmsg(MSG_RTN_GET_DOORBELL)
	s_mov_b32 ttmp2, m0
	s_waitcnt lgkmcnt(0)
	s_and_b32 s0, s0, 0x3ff
	s_delay_alu instid0(SALU_CYCLE_1) | instskip(NEXT) | instid1(SALU_CYCLE_1)
	s_bitset1_b32 s0, 10
	s_mov_b32 m0, s0
	s_sendmsg sendmsg(MSG_INTERRUPT)
	s_mov_b32 m0, ttmp2
.LBB22_2004:                            ; =>This Inner Loop Header: Depth=1
	s_sethalt 5
	s_branch .LBB22_2004
.LBB22_2005:
	s_cbranch_execnz .LBB22_2011
; %bb.2006:
	s_or_b32 s1, s1, exec_lo
	s_cbranch_execz .LBB22_1644
	s_branch .LBB22_1645
.LBB22_2007:
	s_or_saveexec_b32 s7, s7
                                        ; implicit-def: $sgpr10
	s_delay_alu instid0(SALU_CYCLE_1)
	s_xor_b32 exec_lo, exec_lo, s7
	s_cbranch_execz .LBB22_1609
.LBB22_2008:
	v_add_f32_e64 v9, 0x42800000, |v5|
	s_and_not1_b32 s6, s6, exec_lo
	s_mov_b32 s10, 0
	s_delay_alu instid0(VALU_DEP_1) | instskip(NEXT) | instid1(VALU_DEP_1)
	v_and_b32_e32 v9, 0xff, v9
	v_cmp_ne_u32_e32 vcc_lo, 0, v9
	s_and_b32 s11, vcc_lo, exec_lo
	s_delay_alu instid0(SALU_CYCLE_1)
	s_or_b32 s6, s6, s11
	s_or_b32 exec_lo, exec_lo, s7
	v_mov_b32_e32 v10, s10
	s_and_saveexec_b32 s7, s6
	s_cbranch_execnz .LBB22_1610
	s_branch .LBB22_1611
.LBB22_2009:
	s_or_saveexec_b32 s10, s10
                                        ; implicit-def: $sgpr11
	s_delay_alu instid0(SALU_CYCLE_1)
	s_xor_b32 exec_lo, exec_lo, s10
	s_cbranch_execz .LBB22_1714
.LBB22_2010:
	v_add_f32_e64 v8, 0x46000000, |v7|
	s_and_not1_b32 s7, s7, exec_lo
	s_mov_b32 s11, 0
	s_delay_alu instid0(VALU_DEP_1) | instskip(NEXT) | instid1(VALU_DEP_1)
	v_and_b32_e32 v8, 0xff, v8
	v_cmp_ne_u32_e32 vcc_lo, 0, v8
	s_and_b32 s12, vcc_lo, exec_lo
	s_delay_alu instid0(SALU_CYCLE_1)
	s_or_b32 s7, s7, s12
	s_or_b32 exec_lo, exec_lo, s10
	v_mov_b32_e32 v9, s11
	s_and_saveexec_b32 s10, s7
	s_cbranch_execnz .LBB22_1715
	s_branch .LBB22_1716
.LBB22_2011:
	s_trap 2
	s_sendmsg_rtn_b32 s0, sendmsg(MSG_RTN_GET_DOORBELL)
	s_mov_b32 ttmp2, m0
	s_waitcnt lgkmcnt(0)
	s_and_b32 s0, s0, 0x3ff
	s_delay_alu instid0(SALU_CYCLE_1) | instskip(NEXT) | instid1(SALU_CYCLE_1)
	s_bitset1_b32 s0, 10
	s_mov_b32 m0, s0
	s_sendmsg sendmsg(MSG_INTERRUPT)
	s_mov_b32 m0, ttmp2
.LBB22_2012:                            ; =>This Inner Loop Header: Depth=1
	s_sethalt 5
	s_branch .LBB22_2012
.LBB22_2013:
	s_cbranch_execnz .LBB22_2019
; %bb.2014:
	s_or_b32 s1, s1, exec_lo
	s_cbranch_execz .LBB22_1762
	s_branch .LBB22_1763
.LBB22_2015:
	s_or_saveexec_b32 s7, s7
                                        ; implicit-def: $sgpr10
	s_delay_alu instid0(SALU_CYCLE_1)
	s_xor_b32 exec_lo, exec_lo, s7
	s_cbranch_execz .LBB22_1727
.LBB22_2016:
	v_add_f32_e64 v8, 0x42800000, |v7|
	s_and_not1_b32 s6, s6, exec_lo
	s_mov_b32 s10, 0
	s_delay_alu instid0(VALU_DEP_1) | instskip(NEXT) | instid1(VALU_DEP_1)
	v_and_b32_e32 v8, 0xff, v8
	v_cmp_ne_u32_e32 vcc_lo, 0, v8
	s_and_b32 s11, vcc_lo, exec_lo
	s_delay_alu instid0(SALU_CYCLE_1)
	s_or_b32 s6, s6, s11
	s_or_b32 exec_lo, exec_lo, s7
	v_mov_b32_e32 v9, s10
	s_and_saveexec_b32 s7, s6
	s_cbranch_execnz .LBB22_1728
	s_branch .LBB22_1729
.LBB22_2017:
	s_or_saveexec_b32 s10, s10
                                        ; implicit-def: $sgpr11
	s_delay_alu instid0(SALU_CYCLE_1)
	s_xor_b32 exec_lo, exec_lo, s10
	s_cbranch_execz .LBB22_1832
.LBB22_2018:
	v_add_f32_e64 v7, 0x46000000, |v6|
	s_and_not1_b32 s7, s7, exec_lo
	s_mov_b32 s11, 0
	s_delay_alu instid0(VALU_DEP_1) | instskip(NEXT) | instid1(VALU_DEP_1)
	v_and_b32_e32 v7, 0xff, v7
	v_cmp_ne_u32_e32 vcc_lo, 0, v7
	s_and_b32 s12, vcc_lo, exec_lo
	s_delay_alu instid0(SALU_CYCLE_1)
	s_or_b32 s7, s7, s12
	s_or_b32 exec_lo, exec_lo, s10
	v_mov_b32_e32 v8, s11
	s_and_saveexec_b32 s10, s7
	s_cbranch_execnz .LBB22_1833
	s_branch .LBB22_1834
.LBB22_2019:
	s_trap 2
	s_sendmsg_rtn_b32 s0, sendmsg(MSG_RTN_GET_DOORBELL)
	s_mov_b32 ttmp2, m0
	s_waitcnt lgkmcnt(0)
	s_and_b32 s0, s0, 0x3ff
	s_delay_alu instid0(SALU_CYCLE_1) | instskip(NEXT) | instid1(SALU_CYCLE_1)
	s_bitset1_b32 s0, 10
	s_mov_b32 m0, s0
	s_sendmsg sendmsg(MSG_INTERRUPT)
	s_mov_b32 m0, ttmp2
.LBB22_2020:                            ; =>This Inner Loop Header: Depth=1
	s_sethalt 5
	s_branch .LBB22_2020
.LBB22_2021:
	s_cbranch_execnz .LBB22_2027
; %bb.2022:
	s_or_b32 s1, s1, exec_lo
	s_cbranch_execz .LBB22_1880
	s_branch .LBB22_1881
.LBB22_2023:
	s_or_saveexec_b32 s7, s7
                                        ; implicit-def: $sgpr10
	s_delay_alu instid0(SALU_CYCLE_1)
	s_xor_b32 exec_lo, exec_lo, s7
	s_cbranch_execz .LBB22_1845
.LBB22_2024:
	v_add_f32_e64 v7, 0x42800000, |v6|
	s_and_not1_b32 s6, s6, exec_lo
	s_mov_b32 s10, 0
	s_delay_alu instid0(VALU_DEP_1) | instskip(NEXT) | instid1(VALU_DEP_1)
	v_and_b32_e32 v7, 0xff, v7
	v_cmp_ne_u32_e32 vcc_lo, 0, v7
	s_and_b32 s11, vcc_lo, exec_lo
	s_delay_alu instid0(SALU_CYCLE_1)
	s_or_b32 s6, s6, s11
	s_or_b32 exec_lo, exec_lo, s7
	v_mov_b32_e32 v8, s10
	s_and_saveexec_b32 s7, s6
	s_cbranch_execnz .LBB22_1846
	s_branch .LBB22_1847
.LBB22_2025:
	s_or_saveexec_b32 s5, s5
                                        ; implicit-def: $sgpr6
	s_delay_alu instid0(SALU_CYCLE_1)
	s_xor_b32 exec_lo, exec_lo, s5
	s_cbranch_execz .LBB22_1951
.LBB22_2026:
	v_add_f32_e64 v5, 0x46000000, |v4|
	s_and_not1_b32 s4, s4, exec_lo
	s_mov_b32 s6, 0
	s_delay_alu instid0(VALU_DEP_1) | instskip(NEXT) | instid1(VALU_DEP_1)
	v_and_b32_e32 v5, 0xff, v5
	v_cmp_ne_u32_e32 vcc_lo, 0, v5
	s_and_b32 s7, vcc_lo, exec_lo
	s_delay_alu instid0(SALU_CYCLE_1)
	s_or_b32 s4, s4, s7
	s_or_b32 exec_lo, exec_lo, s5
	v_mov_b32_e32 v6, s6
	s_and_saveexec_b32 s5, s4
	s_cbranch_execnz .LBB22_1952
	s_branch .LBB22_1953
.LBB22_2027:
	s_trap 2
	s_sendmsg_rtn_b32 s0, sendmsg(MSG_RTN_GET_DOORBELL)
	s_mov_b32 ttmp2, m0
	s_waitcnt lgkmcnt(0)
	s_and_b32 s0, s0, 0x3ff
	s_delay_alu instid0(SALU_CYCLE_1) | instskip(NEXT) | instid1(SALU_CYCLE_1)
	s_bitset1_b32 s0, 10
	s_mov_b32 m0, s0
	s_sendmsg sendmsg(MSG_INTERRUPT)
	s_mov_b32 m0, ttmp2
.LBB22_2028:                            ; =>This Inner Loop Header: Depth=1
	s_sethalt 5
	s_branch .LBB22_2028
.LBB22_2029:
	s_cbranch_execnz .LBB22_2033
; %bb.2030:
	s_mov_b32 s2, 0
	s_or_b32 s1, s1, exec_lo
	s_branch .LBB22_1997
.LBB22_2031:
	s_or_saveexec_b32 s4, s4
                                        ; implicit-def: $sgpr5
	s_delay_alu instid0(SALU_CYCLE_1)
	s_xor_b32 exec_lo, exec_lo, s4
	s_cbranch_execz .LBB22_1963
.LBB22_2032:
	v_add_f32_e64 v5, 0x42800000, |v4|
	s_and_not1_b32 s3, s3, exec_lo
	s_mov_b32 s5, 0
	s_delay_alu instid0(VALU_DEP_1) | instskip(NEXT) | instid1(VALU_DEP_1)
	v_and_b32_e32 v5, 0xff, v5
	v_cmp_ne_u32_e32 vcc_lo, 0, v5
	s_and_b32 s6, vcc_lo, exec_lo
	s_delay_alu instid0(SALU_CYCLE_1)
	s_or_b32 s3, s3, s6
	s_or_b32 exec_lo, exec_lo, s4
	v_mov_b32_e32 v6, s5
	s_and_saveexec_b32 s4, s3
	s_cbranch_execnz .LBB22_1964
	s_branch .LBB22_1965
.LBB22_2033:
	s_trap 2
	s_sendmsg_rtn_b32 s0, sendmsg(MSG_RTN_GET_DOORBELL)
	s_mov_b32 ttmp2, m0
	s_waitcnt lgkmcnt(0)
	s_and_b32 s0, s0, 0x3ff
	s_delay_alu instid0(SALU_CYCLE_1) | instskip(NEXT) | instid1(SALU_CYCLE_1)
	s_bitset1_b32 s0, 10
	s_mov_b32 m0, s0
	s_sendmsg sendmsg(MSG_INTERRUPT)
	s_mov_b32 m0, ttmp2
.LBB22_2034:                            ; =>This Inner Loop Header: Depth=1
	s_sethalt 5
	s_branch .LBB22_2034
	.section	.rodata,"a",@progbits
	.p2align	6, 0x0
	.amdhsa_kernel _ZN2at6native32elementwise_kernel_manual_unrollILi128ELi4EZNS0_15gpu_kernel_implIZZZNS0_23bitwise_not_kernel_cudaERNS_18TensorIteratorBaseEENKUlvE_clEvENKUlvE0_clEvEUlaE_EEvS4_RKT_EUlibE_EEviT1_
		.amdhsa_group_segment_fixed_size 0
		.amdhsa_private_segment_fixed_size 0
		.amdhsa_kernarg_size 40
		.amdhsa_user_sgpr_count 15
		.amdhsa_user_sgpr_dispatch_ptr 0
		.amdhsa_user_sgpr_queue_ptr 0
		.amdhsa_user_sgpr_kernarg_segment_ptr 1
		.amdhsa_user_sgpr_dispatch_id 0
		.amdhsa_user_sgpr_private_segment_size 0
		.amdhsa_wavefront_size32 1
		.amdhsa_uses_dynamic_stack 0
		.amdhsa_enable_private_segment 0
		.amdhsa_system_sgpr_workgroup_id_x 1
		.amdhsa_system_sgpr_workgroup_id_y 0
		.amdhsa_system_sgpr_workgroup_id_z 0
		.amdhsa_system_sgpr_workgroup_info 0
		.amdhsa_system_vgpr_workitem_id 0
		.amdhsa_next_free_vgpr 17
		.amdhsa_next_free_sgpr 24
		.amdhsa_reserve_vcc 1
		.amdhsa_float_round_mode_32 0
		.amdhsa_float_round_mode_16_64 0
		.amdhsa_float_denorm_mode_32 3
		.amdhsa_float_denorm_mode_16_64 3
		.amdhsa_dx10_clamp 1
		.amdhsa_ieee_mode 1
		.amdhsa_fp16_overflow 0
		.amdhsa_workgroup_processor_mode 1
		.amdhsa_memory_ordered 1
		.amdhsa_forward_progress 0
		.amdhsa_shared_vgpr_count 0
		.amdhsa_exception_fp_ieee_invalid_op 0
		.amdhsa_exception_fp_denorm_src 0
		.amdhsa_exception_fp_ieee_div_zero 0
		.amdhsa_exception_fp_ieee_overflow 0
		.amdhsa_exception_fp_ieee_underflow 0
		.amdhsa_exception_fp_ieee_inexact 0
		.amdhsa_exception_int_div_zero 0
	.end_amdhsa_kernel
	.section	.text._ZN2at6native32elementwise_kernel_manual_unrollILi128ELi4EZNS0_15gpu_kernel_implIZZZNS0_23bitwise_not_kernel_cudaERNS_18TensorIteratorBaseEENKUlvE_clEvENKUlvE0_clEvEUlaE_EEvS4_RKT_EUlibE_EEviT1_,"axG",@progbits,_ZN2at6native32elementwise_kernel_manual_unrollILi128ELi4EZNS0_15gpu_kernel_implIZZZNS0_23bitwise_not_kernel_cudaERNS_18TensorIteratorBaseEENKUlvE_clEvENKUlvE0_clEvEUlaE_EEvS4_RKT_EUlibE_EEviT1_,comdat
.Lfunc_end22:
	.size	_ZN2at6native32elementwise_kernel_manual_unrollILi128ELi4EZNS0_15gpu_kernel_implIZZZNS0_23bitwise_not_kernel_cudaERNS_18TensorIteratorBaseEENKUlvE_clEvENKUlvE0_clEvEUlaE_EEvS4_RKT_EUlibE_EEviT1_, .Lfunc_end22-_ZN2at6native32elementwise_kernel_manual_unrollILi128ELi4EZNS0_15gpu_kernel_implIZZZNS0_23bitwise_not_kernel_cudaERNS_18TensorIteratorBaseEENKUlvE_clEvENKUlvE0_clEvEUlaE_EEvS4_RKT_EUlibE_EEviT1_
                                        ; -- End function
	.section	.AMDGPU.csdata,"",@progbits
; Kernel info:
; codeLenInByte = 34772
; NumSgprs: 26
; NumVgprs: 17
; ScratchSize: 0
; MemoryBound: 1
; FloatMode: 240
; IeeeMode: 1
; LDSByteSize: 0 bytes/workgroup (compile time only)
; SGPRBlocks: 3
; VGPRBlocks: 2
; NumSGPRsForWavesPerEU: 26
; NumVGPRsForWavesPerEU: 17
; Occupancy: 16
; WaveLimiterHint : 0
; COMPUTE_PGM_RSRC2:SCRATCH_EN: 0
; COMPUTE_PGM_RSRC2:USER_SGPR: 15
; COMPUTE_PGM_RSRC2:TRAP_HANDLER: 0
; COMPUTE_PGM_RSRC2:TGID_X_EN: 1
; COMPUTE_PGM_RSRC2:TGID_Y_EN: 0
; COMPUTE_PGM_RSRC2:TGID_Z_EN: 0
; COMPUTE_PGM_RSRC2:TIDIG_COMP_CNT: 0
	.section	.text._ZN2at6native32elementwise_kernel_manual_unrollILi128ELi4EZNS0_15gpu_kernel_implIZZZNS0_23bitwise_not_kernel_cudaERNS_18TensorIteratorBaseEENKUlvE_clEvENKUlvE0_clEvEUlaE_EEvS4_RKT_EUlibE0_EEviT1_,"axG",@progbits,_ZN2at6native32elementwise_kernel_manual_unrollILi128ELi4EZNS0_15gpu_kernel_implIZZZNS0_23bitwise_not_kernel_cudaERNS_18TensorIteratorBaseEENKUlvE_clEvENKUlvE0_clEvEUlaE_EEvS4_RKT_EUlibE0_EEviT1_,comdat
	.globl	_ZN2at6native32elementwise_kernel_manual_unrollILi128ELi4EZNS0_15gpu_kernel_implIZZZNS0_23bitwise_not_kernel_cudaERNS_18TensorIteratorBaseEENKUlvE_clEvENKUlvE0_clEvEUlaE_EEvS4_RKT_EUlibE0_EEviT1_ ; -- Begin function _ZN2at6native32elementwise_kernel_manual_unrollILi128ELi4EZNS0_15gpu_kernel_implIZZZNS0_23bitwise_not_kernel_cudaERNS_18TensorIteratorBaseEENKUlvE_clEvENKUlvE0_clEvEUlaE_EEvS4_RKT_EUlibE0_EEviT1_
	.p2align	8
	.type	_ZN2at6native32elementwise_kernel_manual_unrollILi128ELi4EZNS0_15gpu_kernel_implIZZZNS0_23bitwise_not_kernel_cudaERNS_18TensorIteratorBaseEENKUlvE_clEvENKUlvE0_clEvEUlaE_EEvS4_RKT_EUlibE0_EEviT1_,@function
_ZN2at6native32elementwise_kernel_manual_unrollILi128ELi4EZNS0_15gpu_kernel_implIZZZNS0_23bitwise_not_kernel_cudaERNS_18TensorIteratorBaseEENKUlvE_clEvENKUlvE0_clEvEUlaE_EEvS4_RKT_EUlibE0_EEviT1_: ; @_ZN2at6native32elementwise_kernel_manual_unrollILi128ELi4EZNS0_15gpu_kernel_implIZZZNS0_23bitwise_not_kernel_cudaERNS_18TensorIteratorBaseEENKUlvE_clEvENKUlvE0_clEvEUlaE_EEvS4_RKT_EUlibE0_EEviT1_
; %bb.0:
	s_clause 0x1
	s_load_b32 s24, s[0:1], 0x8
	s_load_b32 s30, s[0:1], 0x0
	v_lshl_or_b32 v8, s15, 9, v0
	s_or_b32 s16, s0, 8
	s_mov_b32 s3, -1
	s_mov_b32 s26, 0
	s_mov_b32 s17, s1
	v_or_b32_e32 v9, 0x180, v8
	s_mov_b32 s8, 0
	s_mov_b32 s2, exec_lo
	s_waitcnt lgkmcnt(0)
	s_add_i32 s25, s24, -1
	s_delay_alu instid0(SALU_CYCLE_1)
	s_cmp_gt_u32 s25, 1
	s_cselect_b32 s27, -1, 0
	v_cmpx_le_i32_e64 s30, v9
	s_xor_b32 s28, exec_lo, s2
	s_cbranch_execz .LBB23_1060
; %bb.1:
	v_mov_b32_e32 v0, 0
	s_clause 0x3
	s_load_b128 s[12:15], s[16:17], 0x4
	s_load_b64 s[18:19], s[16:17], 0x14
	s_load_b128 s[8:11], s[16:17], 0xc4
	s_load_b128 s[4:7], s[16:17], 0x148
	s_cmp_lg_u32 s24, 0
	s_mov_b32 s37, 0
	s_cselect_b32 s33, -1, 0
	global_load_u16 v5, v0, s[16:17] offset:345
	s_add_u32 s20, s16, 0xc4
	s_addc_u32 s21, s17, 0
	s_min_u32 s31, s25, 15
	s_cmp_gt_u32 s24, 1
	s_mov_b32 s35, 0
	s_cselect_b32 s29, -1, 0
	s_mov_b32 s34, 0
	s_mov_b32 s36, exec_lo
	s_waitcnt vmcnt(0)
	v_lshrrev_b16 v6, 8, v5
	v_cmpx_gt_i32_e64 s30, v8
	s_cbranch_execz .LBB23_259
; %bb.2:
	s_and_not1_b32 vcc_lo, exec_lo, s27
	s_cbranch_vccnz .LBB23_7
; %bb.3:
	v_mov_b32_e32 v2, 0
	v_mov_b32_e32 v0, 0
	s_and_not1_b32 vcc_lo, exec_lo, s33
	s_cbranch_vccnz .LBB23_12
; %bb.4:
	v_mov_b32_e32 v2, 0
	s_add_i32 s38, s31, 1
	s_cmp_eq_u32 s25, 2
	s_cbranch_scc1 .LBB23_8
; %bb.5:
	v_dual_mov_b32 v0, 0 :: v_dual_mov_b32 v1, v8
	v_mov_b32_e32 v2, 0
	s_and_b32 s35, s38, 28
	s_mov_b32 s39, 0
	s_mov_b64 s[2:3], s[20:21]
	s_mov_b64 s[22:23], s[16:17]
.LBB23_6:                               ; =>This Inner Loop Header: Depth=1
	s_clause 0x1
	s_load_b256 s[40:47], s[22:23], 0x4
	s_load_b128 s[56:59], s[22:23], 0x24
	s_load_b256 s[48:55], s[2:3], 0x0
	s_add_u32 s22, s22, 48
	s_addc_u32 s23, s23, 0
	s_add_i32 s39, s39, 4
	s_add_u32 s2, s2, 32
	s_addc_u32 s3, s3, 0
	s_cmp_lg_u32 s35, s39
	s_waitcnt lgkmcnt(0)
	v_mul_hi_u32 v3, s41, v1
	s_delay_alu instid0(VALU_DEP_1) | instskip(NEXT) | instid1(VALU_DEP_1)
	v_add_nc_u32_e32 v3, v1, v3
	v_lshrrev_b32_e32 v3, s42, v3
	s_delay_alu instid0(VALU_DEP_1) | instskip(SKIP_1) | instid1(VALU_DEP_2)
	v_mul_hi_u32 v4, s44, v3
	v_mul_lo_u32 v9, v3, s40
	v_add_nc_u32_e32 v4, v3, v4
	s_delay_alu instid0(VALU_DEP_2) | instskip(NEXT) | instid1(VALU_DEP_2)
	v_sub_nc_u32_e32 v1, v1, v9
	v_lshrrev_b32_e32 v4, s45, v4
	s_delay_alu instid0(VALU_DEP_2) | instskip(SKIP_1) | instid1(VALU_DEP_3)
	v_mul_lo_u32 v9, v1, s48
	v_mul_lo_u32 v11, v1, s49
	v_mul_hi_u32 v7, s47, v4
	s_delay_alu instid0(VALU_DEP_1) | instskip(NEXT) | instid1(VALU_DEP_1)
	v_add_nc_u32_e32 v7, v4, v7
	v_lshrrev_b32_e32 v7, s56, v7
	s_delay_alu instid0(VALU_DEP_1) | instskip(SKIP_1) | instid1(VALU_DEP_2)
	v_mul_hi_u32 v10, s58, v7
	v_mul_lo_u32 v12, v7, s46
	v_add_nc_u32_e32 v1, v7, v10
	v_mul_lo_u32 v10, v4, s43
	s_delay_alu instid0(VALU_DEP_3) | instskip(NEXT) | instid1(VALU_DEP_3)
	v_sub_nc_u32_e32 v4, v4, v12
	v_lshrrev_b32_e32 v1, s59, v1
	s_delay_alu instid0(VALU_DEP_2) | instskip(SKIP_2) | instid1(VALU_DEP_4)
	v_mul_lo_u32 v12, v4, s52
	v_mul_lo_u32 v4, v4, s53
	v_sub_nc_u32_e32 v3, v3, v10
	v_mul_lo_u32 v13, v1, s57
	s_delay_alu instid0(VALU_DEP_2) | instskip(SKIP_1) | instid1(VALU_DEP_3)
	v_mul_lo_u32 v10, v3, s50
	v_mul_lo_u32 v3, v3, s51
	v_sub_nc_u32_e32 v7, v7, v13
	s_delay_alu instid0(VALU_DEP_3) | instskip(NEXT) | instid1(VALU_DEP_2)
	v_add3_u32 v2, v9, v2, v10
	v_mul_lo_u32 v13, v7, s54
	v_mul_lo_u32 v7, v7, s55
	v_add3_u32 v0, v11, v0, v3
	s_delay_alu instid0(VALU_DEP_3) | instskip(NEXT) | instid1(VALU_DEP_2)
	v_add3_u32 v2, v12, v2, v13
	v_add3_u32 v0, v4, v0, v7
	s_cbranch_scc1 .LBB23_6
	s_branch .LBB23_9
.LBB23_7:
	s_mov_b32 s34, -1
                                        ; implicit-def: $vgpr2
                                        ; implicit-def: $vgpr0
	s_branch .LBB23_12
.LBB23_8:
	v_dual_mov_b32 v1, v8 :: v_dual_mov_b32 v0, 0
.LBB23_9:
	s_and_b32 s38, s38, 3
	s_delay_alu instid0(SALU_CYCLE_1)
	s_cmp_eq_u32 s38, 0
	s_cbranch_scc1 .LBB23_12
; %bb.10:
	s_lshl_b32 s2, s35, 3
	s_mul_i32 s22, s35, 12
	s_add_u32 s2, s2, s16
	s_addc_u32 s3, s17, 0
	s_add_u32 s2, s2, 0xc4
	s_addc_u32 s3, s3, 0
	;; [unrolled: 2-line block ×3, first 2 shown]
	.p2align	6
.LBB23_11:                              ; =>This Inner Loop Header: Depth=1
	s_clause 0x1
	s_load_b64 s[40:41], s[22:23], 0x4
	s_load_b32 s35, s[22:23], 0xc
	s_load_b64 s[42:43], s[2:3], 0x0
	s_add_u32 s22, s22, 12
	s_addc_u32 s23, s23, 0
	s_add_u32 s2, s2, 8
	s_addc_u32 s3, s3, 0
	s_add_i32 s38, s38, -1
	s_delay_alu instid0(SALU_CYCLE_1) | instskip(SKIP_2) | instid1(VALU_DEP_1)
	s_cmp_lg_u32 s38, 0
	s_waitcnt lgkmcnt(0)
	v_mul_hi_u32 v3, s41, v1
	v_add_nc_u32_e32 v3, v1, v3
	s_delay_alu instid0(VALU_DEP_1) | instskip(NEXT) | instid1(VALU_DEP_1)
	v_lshrrev_b32_e32 v7, s35, v3
	v_mul_lo_u32 v3, v7, s40
	s_delay_alu instid0(VALU_DEP_1) | instskip(NEXT) | instid1(VALU_DEP_1)
	v_sub_nc_u32_e32 v1, v1, v3
	v_mad_u64_u32 v[3:4], null, v1, s42, v[2:3]
	v_mad_u64_u32 v[9:10], null, v1, s43, v[0:1]
	v_mov_b32_e32 v1, v7
	s_delay_alu instid0(VALU_DEP_3) | instskip(NEXT) | instid1(VALU_DEP_3)
	v_mov_b32_e32 v2, v3
	v_mov_b32_e32 v0, v9
	s_cbranch_scc1 .LBB23_11
.LBB23_12:
	s_and_not1_b32 vcc_lo, exec_lo, s34
	s_cbranch_vccnz .LBB23_15
; %bb.13:
	s_waitcnt lgkmcnt(0)
	v_mul_hi_u32 v0, s13, v8
	s_and_not1_b32 vcc_lo, exec_lo, s29
	s_delay_alu instid0(VALU_DEP_1) | instskip(NEXT) | instid1(VALU_DEP_1)
	v_add_nc_u32_e32 v0, v8, v0
	v_lshrrev_b32_e32 v1, s14, v0
	s_delay_alu instid0(VALU_DEP_1) | instskip(NEXT) | instid1(VALU_DEP_1)
	v_mul_lo_u32 v0, v1, s12
	v_sub_nc_u32_e32 v0, v8, v0
	s_delay_alu instid0(VALU_DEP_1)
	v_mul_lo_u32 v2, v0, s8
	v_mul_lo_u32 v0, v0, s9
	s_cbranch_vccnz .LBB23_15
; %bb.14:
	v_mul_hi_u32 v3, s18, v1
	s_delay_alu instid0(VALU_DEP_1) | instskip(NEXT) | instid1(VALU_DEP_1)
	v_add_nc_u32_e32 v3, v1, v3
	v_lshrrev_b32_e32 v3, s19, v3
	s_delay_alu instid0(VALU_DEP_1) | instskip(NEXT) | instid1(VALU_DEP_1)
	v_mul_lo_u32 v3, v3, s15
	v_sub_nc_u32_e32 v7, v1, v3
	s_delay_alu instid0(VALU_DEP_1) | instskip(SKIP_1) | instid1(VALU_DEP_2)
	v_mad_u64_u32 v[3:4], null, v7, s10, v[2:3]
	v_mad_u64_u32 v[1:2], null, v7, s11, v[0:1]
	v_mov_b32_e32 v2, v3
	s_delay_alu instid0(VALU_DEP_2)
	v_mov_b32_e32 v0, v1
.LBB23_15:
	v_cmp_gt_i16_e32 vcc_lo, 11, v6
	s_waitcnt lgkmcnt(0)
	s_delay_alu instid0(VALU_DEP_2) | instskip(NEXT) | instid1(VALU_DEP_1)
	v_add_co_u32 v3, s2, s6, v0
	v_add_co_ci_u32_e64 v4, null, s7, 0, s2
	s_mov_b32 s3, 0
	s_cbranch_vccnz .LBB23_22
; %bb.16:
	v_cmp_lt_i16_e32 vcc_lo, 25, v6
	s_cbranch_vccz .LBB23_141
; %bb.17:
	v_cmp_lt_i16_e32 vcc_lo, 28, v6
	s_cbranch_vccz .LBB23_142
	;; [unrolled: 3-line block ×4, first 2 shown]
; %bb.20:
	v_cmp_eq_u16_e32 vcc_lo, 46, v6
	s_mov_b32 s22, 0
	s_cbranch_vccz .LBB23_145
; %bb.21:
	global_load_b32 v0, v[3:4], off
	s_mov_b32 s2, -1
	s_waitcnt vmcnt(0)
	v_lshlrev_b32_e32 v0, 16, v0
	s_delay_alu instid0(VALU_DEP_1)
	v_cvt_i32_f32_e32 v0, v0
	s_branch .LBB23_147
.LBB23_22:
	s_mov_b32 s2, 0
                                        ; implicit-def: $vgpr0
	s_cbranch_execnz .LBB23_209
.LBB23_23:
	s_and_not1_b32 vcc_lo, exec_lo, s2
	s_cbranch_vccnz .LBB23_256
.LBB23_24:
	v_and_b32_e32 v4, 0xff, v5
	s_waitcnt vmcnt(0)
	v_add_co_u32 v1, s22, s4, v2
	s_delay_alu instid0(VALU_DEP_3)
	v_xor_b32_e32 v3, -1, v0
	v_add_co_ci_u32_e64 v2, null, s5, 0, s22
	v_cmp_gt_i16_e32 vcc_lo, 11, v4
	s_mov_b32 s23, -1
	s_mov_b32 s2, 0
	s_mov_b32 s22, 0
	s_cbranch_vccnz .LBB23_101
; %bb.25:
	v_cmp_lt_i16_e32 vcc_lo, 25, v4
	s_cbranch_vccz .LBB23_58
; %bb.26:
	v_cmp_lt_i16_e32 vcc_lo, 28, v4
	s_cbranch_vccz .LBB23_41
	;; [unrolled: 3-line block ×4, first 2 shown]
; %bb.29:
	v_cmp_eq_u16_e32 vcc_lo, 46, v4
	s_mov_b32 s23, 0
	s_mov_b32 s2, -1
	s_cbranch_vccz .LBB23_31
; %bb.30:
	v_bfe_i32 v7, v3, 0, 8
	s_mov_b32 s22, -1
	s_mov_b32 s2, 0
	s_delay_alu instid0(VALU_DEP_1) | instskip(NEXT) | instid1(VALU_DEP_1)
	v_bfe_i32 v7, v7, 0, 16
	v_cvt_f32_i32_e32 v7, v7
	s_delay_alu instid0(VALU_DEP_1) | instskip(NEXT) | instid1(VALU_DEP_1)
	v_bfe_u32 v9, v7, 16, 1
	v_add3_u32 v7, v7, v9, 0x7fff
	s_delay_alu instid0(VALU_DEP_1)
	v_lshrrev_b32_e32 v7, 16, v7
	global_store_b32 v[1:2], v7, off
.LBB23_31:
	s_and_b32 vcc_lo, exec_lo, s23
	s_cbranch_vccz .LBB23_36
; %bb.32:
	v_cmp_eq_u16_e32 vcc_lo, 44, v4
	s_mov_b32 s2, -1
	s_cbranch_vccz .LBB23_36
; %bb.33:
	v_bfe_i32 v7, v3, 0, 8
	v_mov_b32_e32 v9, 0xff
	s_mov_b32 s22, exec_lo
	s_delay_alu instid0(VALU_DEP_2) | instskip(NEXT) | instid1(VALU_DEP_1)
	v_bfe_i32 v7, v7, 0, 16
	v_cvt_f32_i32_e32 v7, v7
	s_delay_alu instid0(VALU_DEP_1) | instskip(NEXT) | instid1(VALU_DEP_1)
	v_bfe_u32 v10, v7, 23, 8
	v_cmpx_ne_u32_e32 0xff, v10
; %bb.34:
	v_and_b32_e32 v9, 0x400000, v7
	v_and_or_b32 v10, 0x3fffff, v7, v10
	v_lshrrev_b32_e32 v7, 23, v7
	s_delay_alu instid0(VALU_DEP_3) | instskip(NEXT) | instid1(VALU_DEP_3)
	v_cmp_ne_u32_e32 vcc_lo, 0, v9
	v_cmp_ne_u32_e64 s2, 0, v10
	s_delay_alu instid0(VALU_DEP_1) | instskip(NEXT) | instid1(SALU_CYCLE_1)
	s_and_b32 s2, vcc_lo, s2
	v_cndmask_b32_e64 v9, 0, 1, s2
	s_delay_alu instid0(VALU_DEP_1)
	v_add_nc_u32_e32 v9, v7, v9
; %bb.35:
	s_or_b32 exec_lo, exec_lo, s22
	s_mov_b32 s22, -1
	s_mov_b32 s2, 0
	global_store_b8 v[1:2], v9, off
.LBB23_36:
	s_mov_b32 s23, 0
.LBB23_37:
	s_delay_alu instid0(SALU_CYCLE_1)
	s_and_b32 vcc_lo, exec_lo, s23
	s_cbranch_vccz .LBB23_40
; %bb.38:
	v_cmp_eq_u16_e32 vcc_lo, 29, v4
	s_mov_b32 s2, -1
	s_cbranch_vccz .LBB23_40
; %bb.39:
	v_bfe_i32 v9, v3, 0, 8
	s_mov_b32 s22, -1
	s_mov_b32 s2, 0
	s_delay_alu instid0(VALU_DEP_1)
	v_ashrrev_i32_e32 v10, 31, v9
	global_store_b64 v[1:2], v[9:10], off
.LBB23_40:
	s_mov_b32 s23, 0
.LBB23_41:
	s_delay_alu instid0(SALU_CYCLE_1)
	s_and_b32 vcc_lo, exec_lo, s23
	s_cbranch_vccz .LBB23_57
; %bb.42:
	v_cmp_gt_i16_e32 vcc_lo, 27, v4
	s_mov_b32 s22, -1
	s_cbranch_vccnz .LBB23_48
; %bb.43:
	v_cmp_lt_i16_e32 vcc_lo, 27, v4
	s_cbranch_vccz .LBB23_45
; %bb.44:
	v_bfe_i32 v7, v3, 0, 8
	s_mov_b32 s22, 0
	global_store_b32 v[1:2], v7, off
.LBB23_45:
	s_and_not1_b32 vcc_lo, exec_lo, s22
	s_cbranch_vccnz .LBB23_47
; %bb.46:
	v_bfe_i32 v7, v3, 0, 8
	global_store_b16 v[1:2], v7, off
.LBB23_47:
	s_mov_b32 s22, 0
.LBB23_48:
	s_delay_alu instid0(SALU_CYCLE_1)
	s_and_not1_b32 vcc_lo, exec_lo, s22
	s_cbranch_vccnz .LBB23_56
; %bb.49:
	v_bfe_i32 v7, v3, 0, 8
	v_mov_b32_e32 v10, 0x80
	s_mov_b32 s22, exec_lo
	s_delay_alu instid0(VALU_DEP_2) | instskip(NEXT) | instid1(VALU_DEP_1)
	v_bfe_i32 v7, v7, 0, 16
	v_cvt_f32_i32_e32 v7, v7
	s_delay_alu instid0(VALU_DEP_1) | instskip(NEXT) | instid1(VALU_DEP_1)
	v_and_b32_e32 v9, 0x7fffffff, v7
	v_cmpx_gt_u32_e32 0x43800000, v9
	s_cbranch_execz .LBB23_55
; %bb.50:
	v_cmp_lt_u32_e32 vcc_lo, 0x3bffffff, v9
	s_mov_b32 s23, 0
                                        ; implicit-def: $vgpr9
	s_and_saveexec_b32 s34, vcc_lo
	s_delay_alu instid0(SALU_CYCLE_1)
	s_xor_b32 s34, exec_lo, s34
	s_cbranch_execz .LBB23_150
; %bb.51:
	v_bfe_u32 v9, v7, 20, 1
	s_mov_b32 s23, exec_lo
	s_delay_alu instid0(VALU_DEP_1) | instskip(NEXT) | instid1(VALU_DEP_1)
	v_add3_u32 v9, v7, v9, 0x487ffff
	v_lshrrev_b32_e32 v9, 20, v9
	s_or_saveexec_b32 s34, s34
                                        ; implicit-def: $sgpr35
	s_delay_alu instid0(SALU_CYCLE_1)
	s_xor_b32 exec_lo, exec_lo, s34
	s_cbranch_execnz .LBB23_151
.LBB23_52:
	s_or_b32 exec_lo, exec_lo, s34
	v_mov_b32_e32 v10, s35
	s_and_saveexec_b32 s34, s23
.LBB23_53:
	v_lshrrev_b32_e32 v7, 24, v7
	s_delay_alu instid0(VALU_DEP_1)
	v_and_or_b32 v10, 0x80, v7, v9
.LBB23_54:
	s_or_b32 exec_lo, exec_lo, s34
.LBB23_55:
	s_delay_alu instid0(SALU_CYCLE_1)
	s_or_b32 exec_lo, exec_lo, s22
	global_store_b8 v[1:2], v10, off
.LBB23_56:
	s_mov_b32 s22, -1
.LBB23_57:
	s_mov_b32 s23, 0
.LBB23_58:
	s_delay_alu instid0(SALU_CYCLE_1)
	s_and_b32 vcc_lo, exec_lo, s23
	s_cbranch_vccz .LBB23_99
; %bb.59:
	v_cmp_lt_i16_e32 vcc_lo, 22, v4
	s_mov_b32 s23, -1
	s_cbranch_vccz .LBB23_91
; %bb.60:
	v_cmp_gt_i16_e32 vcc_lo, 24, v4
	s_mov_b32 s22, -1
	s_cbranch_vccnz .LBB23_80
; %bb.61:
	v_cmp_lt_i16_e32 vcc_lo, 24, v4
	s_cbranch_vccz .LBB23_69
; %bb.62:
	v_bfe_i32 v7, v3, 0, 8
	v_mov_b32_e32 v10, 0x80
	s_mov_b32 s22, exec_lo
	s_delay_alu instid0(VALU_DEP_2) | instskip(NEXT) | instid1(VALU_DEP_1)
	v_bfe_i32 v7, v7, 0, 16
	v_cvt_f32_i32_e32 v7, v7
	s_delay_alu instid0(VALU_DEP_1) | instskip(NEXT) | instid1(VALU_DEP_1)
	v_and_b32_e32 v9, 0x7fffffff, v7
	v_cmpx_gt_u32_e32 0x47800000, v9
	s_cbranch_execz .LBB23_68
; %bb.63:
	v_cmp_lt_u32_e32 vcc_lo, 0x37ffffff, v9
	s_mov_b32 s23, 0
                                        ; implicit-def: $vgpr9
	s_and_saveexec_b32 s34, vcc_lo
	s_delay_alu instid0(SALU_CYCLE_1)
	s_xor_b32 s34, exec_lo, s34
	s_cbranch_execz .LBB23_337
; %bb.64:
	v_bfe_u32 v9, v7, 21, 1
	s_mov_b32 s23, exec_lo
	s_delay_alu instid0(VALU_DEP_1) | instskip(NEXT) | instid1(VALU_DEP_1)
	v_add3_u32 v9, v7, v9, 0x88fffff
	v_lshrrev_b32_e32 v9, 21, v9
	s_or_saveexec_b32 s34, s34
                                        ; implicit-def: $sgpr35
	s_delay_alu instid0(SALU_CYCLE_1)
	s_xor_b32 exec_lo, exec_lo, s34
	s_cbranch_execnz .LBB23_338
.LBB23_65:
	s_or_b32 exec_lo, exec_lo, s34
	v_mov_b32_e32 v10, s35
	s_and_saveexec_b32 s34, s23
.LBB23_66:
	v_lshrrev_b32_e32 v7, 24, v7
	s_delay_alu instid0(VALU_DEP_1)
	v_and_or_b32 v10, 0x80, v7, v9
.LBB23_67:
	s_or_b32 exec_lo, exec_lo, s34
.LBB23_68:
	s_delay_alu instid0(SALU_CYCLE_1)
	s_or_b32 exec_lo, exec_lo, s22
	s_mov_b32 s22, 0
	global_store_b8 v[1:2], v10, off
.LBB23_69:
	s_and_b32 vcc_lo, exec_lo, s22
	s_cbranch_vccz .LBB23_79
; %bb.70:
	v_bfe_i32 v7, v3, 0, 8
	s_mov_b32 s22, exec_lo
                                        ; implicit-def: $vgpr9
	s_delay_alu instid0(VALU_DEP_1) | instskip(NEXT) | instid1(VALU_DEP_1)
	v_bfe_i32 v7, v7, 0, 16
	v_cvt_f32_i32_e32 v7, v7
	s_delay_alu instid0(VALU_DEP_1) | instskip(NEXT) | instid1(VALU_DEP_1)
	v_and_b32_e32 v10, 0x7fffffff, v7
	v_cmpx_gt_u32_e32 0x43f00000, v10
	s_xor_b32 s22, exec_lo, s22
	s_cbranch_execz .LBB23_76
; %bb.71:
	s_mov_b32 s23, exec_lo
                                        ; implicit-def: $vgpr9
	v_cmpx_lt_u32_e32 0x3c7fffff, v10
	s_xor_b32 s23, exec_lo, s23
; %bb.72:
	v_bfe_u32 v9, v7, 20, 1
	s_delay_alu instid0(VALU_DEP_1) | instskip(NEXT) | instid1(VALU_DEP_1)
	v_add3_u32 v9, v7, v9, 0x407ffff
	v_and_b32_e32 v10, 0xff00000, v9
	v_lshrrev_b32_e32 v9, 20, v9
	s_delay_alu instid0(VALU_DEP_2) | instskip(NEXT) | instid1(VALU_DEP_2)
	v_cmp_ne_u32_e32 vcc_lo, 0x7f00000, v10
	v_cndmask_b32_e32 v9, 0x7e, v9, vcc_lo
; %bb.73:
	s_and_not1_saveexec_b32 s23, s23
; %bb.74:
	v_add_f32_e64 v9, 0x46800000, |v7|
; %bb.75:
	s_or_b32 exec_lo, exec_lo, s23
                                        ; implicit-def: $vgpr10
.LBB23_76:
	s_and_not1_saveexec_b32 s22, s22
; %bb.77:
	v_mov_b32_e32 v9, 0x7f
	v_cmp_lt_u32_e32 vcc_lo, 0x7f800000, v10
	s_delay_alu instid0(VALU_DEP_2)
	v_cndmask_b32_e32 v9, 0x7e, v9, vcc_lo
; %bb.78:
	s_or_b32 exec_lo, exec_lo, s22
	v_lshrrev_b32_e32 v7, 24, v7
	s_delay_alu instid0(VALU_DEP_1)
	v_and_or_b32 v7, 0x80, v7, v9
	global_store_b8 v[1:2], v7, off
.LBB23_79:
	s_mov_b32 s22, 0
.LBB23_80:
	s_delay_alu instid0(SALU_CYCLE_1)
	s_and_not1_b32 vcc_lo, exec_lo, s22
	s_cbranch_vccnz .LBB23_90
; %bb.81:
	v_bfe_i32 v7, v3, 0, 8
	s_mov_b32 s22, exec_lo
                                        ; implicit-def: $vgpr9
	s_delay_alu instid0(VALU_DEP_1) | instskip(NEXT) | instid1(VALU_DEP_1)
	v_bfe_i32 v7, v7, 0, 16
	v_cvt_f32_i32_e32 v7, v7
	s_delay_alu instid0(VALU_DEP_1) | instskip(NEXT) | instid1(VALU_DEP_1)
	v_and_b32_e32 v10, 0x7fffffff, v7
	v_cmpx_gt_u32_e32 0x47800000, v10
	s_xor_b32 s22, exec_lo, s22
	s_cbranch_execz .LBB23_87
; %bb.82:
	s_mov_b32 s23, exec_lo
                                        ; implicit-def: $vgpr9
	v_cmpx_lt_u32_e32 0x387fffff, v10
	s_xor_b32 s23, exec_lo, s23
; %bb.83:
	v_bfe_u32 v9, v7, 21, 1
	s_delay_alu instid0(VALU_DEP_1) | instskip(NEXT) | instid1(VALU_DEP_1)
	v_add3_u32 v9, v7, v9, 0x80fffff
	v_lshrrev_b32_e32 v9, 21, v9
; %bb.84:
	s_and_not1_saveexec_b32 s23, s23
; %bb.85:
	v_add_f32_e64 v9, 0x43000000, |v7|
; %bb.86:
	s_or_b32 exec_lo, exec_lo, s23
                                        ; implicit-def: $vgpr10
.LBB23_87:
	s_and_not1_saveexec_b32 s22, s22
; %bb.88:
	v_mov_b32_e32 v9, 0x7f
	v_cmp_lt_u32_e32 vcc_lo, 0x7f800000, v10
	s_delay_alu instid0(VALU_DEP_2)
	v_cndmask_b32_e32 v9, 0x7c, v9, vcc_lo
; %bb.89:
	s_or_b32 exec_lo, exec_lo, s22
	v_lshrrev_b32_e32 v7, 24, v7
	s_delay_alu instid0(VALU_DEP_1)
	v_and_or_b32 v7, 0x80, v7, v9
	global_store_b8 v[1:2], v7, off
.LBB23_90:
	s_mov_b32 s23, 0
	s_mov_b32 s22, -1
.LBB23_91:
	s_and_not1_b32 vcc_lo, exec_lo, s23
	s_cbranch_vccnz .LBB23_99
; %bb.92:
	v_cmp_lt_i16_e32 vcc_lo, 14, v4
	s_mov_b32 s23, -1
	s_cbranch_vccz .LBB23_96
; %bb.93:
	v_cmp_eq_u16_e32 vcc_lo, 15, v4
	s_mov_b32 s2, -1
	s_cbranch_vccz .LBB23_95
; %bb.94:
	v_bfe_i32 v7, v3, 0, 8
	s_mov_b32 s22, -1
	s_mov_b32 s2, 0
	s_delay_alu instid0(VALU_DEP_1) | instskip(NEXT) | instid1(VALU_DEP_1)
	v_bfe_i32 v7, v7, 0, 16
	v_cvt_f32_i32_e32 v7, v7
	s_delay_alu instid0(VALU_DEP_1) | instskip(NEXT) | instid1(VALU_DEP_1)
	v_bfe_u32 v9, v7, 16, 1
	v_add3_u32 v7, v7, v9, 0x7fff
	global_store_d16_hi_b16 v[1:2], v7, off
.LBB23_95:
	s_mov_b32 s23, 0
.LBB23_96:
	s_delay_alu instid0(SALU_CYCLE_1)
	s_and_b32 vcc_lo, exec_lo, s23
	s_cbranch_vccz .LBB23_99
; %bb.97:
	v_cmp_eq_u16_e32 vcc_lo, 11, v4
	s_mov_b32 s2, -1
	s_cbranch_vccz .LBB23_99
; %bb.98:
	v_and_b32_e32 v0, 0xff, v0
	s_mov_b32 s22, -1
	s_mov_b32 s2, 0
	s_delay_alu instid0(VALU_DEP_1)
	v_cmp_ne_u16_e32 vcc_lo, 0xff, v0
	v_cndmask_b32_e64 v0, 0, 1, vcc_lo
	global_store_b8 v[1:2], v0, off
.LBB23_99:
.LBB23_100:
	s_and_not1_b32 vcc_lo, exec_lo, s22
	s_cbranch_vccz .LBB23_140
	s_branch .LBB23_257
.LBB23_101:
	s_and_b32 vcc_lo, exec_lo, s23
	s_cbranch_vccz .LBB23_100
; %bb.102:
	v_cmp_gt_i16_e32 vcc_lo, 5, v4
	s_mov_b32 s22, -1
	s_cbranch_vccnz .LBB23_123
; %bb.103:
	v_cmp_gt_i16_e32 vcc_lo, 8, v4
	s_cbranch_vccnz .LBB23_113
; %bb.104:
	v_cmp_gt_i16_e32 vcc_lo, 9, v4
	s_cbranch_vccnz .LBB23_110
; %bb.105:
	v_cmp_lt_i16_e32 vcc_lo, 9, v4
	s_cbranch_vccz .LBB23_107
; %bb.106:
	v_bfe_i32 v0, v3, 0, 8
	v_mov_b32_e32 v11, 0
	s_mov_b32 s22, 0
	s_delay_alu instid0(VALU_DEP_2) | instskip(NEXT) | instid1(VALU_DEP_2)
	v_bfe_i32 v0, v0, 0, 16
	v_mov_b32_e32 v12, v11
	s_delay_alu instid0(VALU_DEP_2)
	v_cvt_f64_i32_e32 v[9:10], v0
	global_store_b128 v[1:2], v[9:12], off
.LBB23_107:
	s_and_not1_b32 vcc_lo, exec_lo, s22
	s_cbranch_vccnz .LBB23_109
; %bb.108:
	v_bfe_i32 v0, v3, 0, 8
	v_mov_b32_e32 v10, 0
	s_delay_alu instid0(VALU_DEP_2) | instskip(NEXT) | instid1(VALU_DEP_1)
	v_bfe_i32 v0, v0, 0, 16
	v_cvt_f32_i32_e32 v9, v0
	global_store_b64 v[1:2], v[9:10], off
.LBB23_109:
	s_mov_b32 s22, 0
.LBB23_110:
	s_delay_alu instid0(SALU_CYCLE_1)
	s_and_not1_b32 vcc_lo, exec_lo, s22
	s_cbranch_vccnz .LBB23_112
; %bb.111:
	v_bfe_i32 v0, v3, 0, 8
	s_delay_alu instid0(VALU_DEP_1) | instskip(NEXT) | instid1(VALU_DEP_1)
	v_cvt_f16_i16_e32 v0, v0
	v_and_b32_e32 v0, 0xffff, v0
	global_store_b32 v[1:2], v0, off
.LBB23_112:
	s_mov_b32 s22, 0
.LBB23_113:
	s_delay_alu instid0(SALU_CYCLE_1)
	s_and_not1_b32 vcc_lo, exec_lo, s22
	s_cbranch_vccnz .LBB23_122
; %bb.114:
	v_cmp_gt_i16_e32 vcc_lo, 6, v4
	s_mov_b32 s22, -1
	s_cbranch_vccnz .LBB23_120
; %bb.115:
	v_cmp_lt_i16_e32 vcc_lo, 6, v4
	s_cbranch_vccz .LBB23_117
; %bb.116:
	v_bfe_i32 v0, v3, 0, 8
	s_mov_b32 s22, 0
	s_delay_alu instid0(VALU_DEP_1) | instskip(NEXT) | instid1(VALU_DEP_1)
	v_bfe_i32 v0, v0, 0, 16
	v_cvt_f64_i32_e32 v[9:10], v0
	global_store_b64 v[1:2], v[9:10], off
.LBB23_117:
	s_and_not1_b32 vcc_lo, exec_lo, s22
	s_cbranch_vccnz .LBB23_119
; %bb.118:
	v_bfe_i32 v0, v3, 0, 8
	s_delay_alu instid0(VALU_DEP_1) | instskip(NEXT) | instid1(VALU_DEP_1)
	v_bfe_i32 v0, v0, 0, 16
	v_cvt_f32_i32_e32 v0, v0
	global_store_b32 v[1:2], v0, off
.LBB23_119:
	s_mov_b32 s22, 0
.LBB23_120:
	s_delay_alu instid0(SALU_CYCLE_1)
	s_and_not1_b32 vcc_lo, exec_lo, s22
	s_cbranch_vccnz .LBB23_122
; %bb.121:
	v_bfe_i32 v0, v3, 0, 8
	s_delay_alu instid0(VALU_DEP_1)
	v_cvt_f16_i16_e32 v0, v0
	global_store_b16 v[1:2], v0, off
.LBB23_122:
	s_mov_b32 s22, 0
.LBB23_123:
	s_delay_alu instid0(SALU_CYCLE_1)
	s_and_not1_b32 vcc_lo, exec_lo, s22
	s_cbranch_vccnz .LBB23_139
; %bb.124:
	v_cmp_gt_i16_e32 vcc_lo, 2, v4
	s_mov_b32 s22, -1
	s_cbranch_vccnz .LBB23_134
; %bb.125:
	v_cmp_gt_i16_e32 vcc_lo, 3, v4
	s_cbranch_vccnz .LBB23_131
; %bb.126:
	v_cmp_lt_i16_e32 vcc_lo, 3, v4
	s_cbranch_vccz .LBB23_128
; %bb.127:
	v_bfe_i32 v9, v3, 0, 8
	s_mov_b32 s22, 0
	s_delay_alu instid0(VALU_DEP_1)
	v_ashrrev_i32_e32 v10, 31, v9
	global_store_b64 v[1:2], v[9:10], off
.LBB23_128:
	s_and_not1_b32 vcc_lo, exec_lo, s22
	s_cbranch_vccnz .LBB23_130
; %bb.129:
	v_bfe_i32 v0, v3, 0, 8
	global_store_b32 v[1:2], v0, off
.LBB23_130:
	s_mov_b32 s22, 0
.LBB23_131:
	s_delay_alu instid0(SALU_CYCLE_1)
	s_and_not1_b32 vcc_lo, exec_lo, s22
	s_cbranch_vccnz .LBB23_133
; %bb.132:
	v_bfe_i32 v0, v3, 0, 8
	global_store_b16 v[1:2], v0, off
.LBB23_133:
	s_mov_b32 s22, 0
.LBB23_134:
	s_delay_alu instid0(SALU_CYCLE_1)
	s_and_not1_b32 vcc_lo, exec_lo, s22
	s_cbranch_vccnz .LBB23_139
; %bb.135:
	v_cmp_lt_i16_e32 vcc_lo, 0, v4
	s_mov_b32 s22, -1
	s_cbranch_vccz .LBB23_137
; %bb.136:
	s_mov_b32 s22, 0
	global_store_b8 v[1:2], v3, off
.LBB23_137:
	s_and_not1_b32 vcc_lo, exec_lo, s22
	s_cbranch_vccnz .LBB23_139
; %bb.138:
	global_store_b8 v[1:2], v3, off
.LBB23_139:
.LBB23_140:
	v_add_nc_u32_e32 v8, 0x80, v8
	s_mov_b32 s22, -1
	s_branch .LBB23_258
.LBB23_141:
	s_mov_b32 s2, 0
                                        ; implicit-def: $vgpr0
	s_cbranch_execnz .LBB23_176
	s_branch .LBB23_208
.LBB23_142:
	s_mov_b32 s22, -1
	s_mov_b32 s2, 0
                                        ; implicit-def: $vgpr0
	s_branch .LBB23_159
.LBB23_143:
	s_mov_b32 s22, -1
	s_mov_b32 s2, 0
                                        ; implicit-def: $vgpr0
	s_branch .LBB23_154
.LBB23_144:
	s_mov_b32 s22, -1
	s_branch .LBB23_146
.LBB23_145:
	s_mov_b32 s3, -1
.LBB23_146:
	s_mov_b32 s2, 0
                                        ; implicit-def: $vgpr0
.LBB23_147:
	s_and_b32 vcc_lo, exec_lo, s22
	s_cbranch_vccz .LBB23_153
; %bb.148:
	v_cmp_eq_u16_e32 vcc_lo, 44, v6
	s_cbranch_vccz .LBB23_152
; %bb.149:
	global_load_u8 v0, v[3:4], off
	s_mov_b32 s3, 0
	s_mov_b32 s2, -1
	s_waitcnt vmcnt(0)
	v_lshlrev_b32_e32 v1, 23, v0
	v_cmp_ne_u32_e32 vcc_lo, 0, v0
	s_delay_alu instid0(VALU_DEP_2) | instskip(NEXT) | instid1(VALU_DEP_1)
	v_cvt_i32_f32_e32 v1, v1
	v_cndmask_b32_e32 v0, 0, v1, vcc_lo
	s_branch .LBB23_153
.LBB23_150:
	s_or_saveexec_b32 s34, s34
                                        ; implicit-def: $sgpr35
	s_delay_alu instid0(SALU_CYCLE_1)
	s_xor_b32 exec_lo, exec_lo, s34
	s_cbranch_execz .LBB23_52
.LBB23_151:
	v_add_f32_e64 v9, 0x46000000, |v7|
	s_and_not1_b32 s23, s23, exec_lo
	s_mov_b32 s35, 0
	s_delay_alu instid0(VALU_DEP_1) | instskip(NEXT) | instid1(VALU_DEP_1)
	v_and_b32_e32 v9, 0xff, v9
	v_cmp_ne_u32_e32 vcc_lo, 0, v9
	s_and_b32 s38, vcc_lo, exec_lo
	s_delay_alu instid0(SALU_CYCLE_1)
	s_or_b32 s23, s23, s38
	s_or_b32 exec_lo, exec_lo, s34
	v_mov_b32_e32 v10, s35
	s_and_saveexec_b32 s34, s23
	s_cbranch_execnz .LBB23_53
	s_branch .LBB23_54
.LBB23_152:
	s_mov_b32 s3, -1
                                        ; implicit-def: $vgpr0
.LBB23_153:
	s_mov_b32 s22, 0
.LBB23_154:
	s_delay_alu instid0(SALU_CYCLE_1)
	s_and_b32 vcc_lo, exec_lo, s22
	s_cbranch_vccz .LBB23_158
; %bb.155:
	v_cmp_eq_u16_e32 vcc_lo, 29, v6
	s_cbranch_vccz .LBB23_157
; %bb.156:
	global_load_b64 v[0:1], v[3:4], off
	s_mov_b32 s2, -1
	s_mov_b32 s3, 0
	s_branch .LBB23_158
.LBB23_157:
	s_mov_b32 s3, -1
                                        ; implicit-def: $vgpr0
.LBB23_158:
	s_mov_b32 s22, 0
.LBB23_159:
	s_delay_alu instid0(SALU_CYCLE_1)
	s_and_b32 vcc_lo, exec_lo, s22
	s_cbranch_vccz .LBB23_175
; %bb.160:
	v_cmp_gt_i16_e32 vcc_lo, 27, v6
	s_cbranch_vccnz .LBB23_163
; %bb.161:
	v_cmp_lt_i16_e32 vcc_lo, 27, v6
	s_cbranch_vccz .LBB23_164
; %bb.162:
	global_load_b32 v0, v[3:4], off
	s_mov_b32 s2, 0
	s_branch .LBB23_165
.LBB23_163:
	s_mov_b32 s2, -1
                                        ; implicit-def: $vgpr0
	s_branch .LBB23_168
.LBB23_164:
	s_mov_b32 s2, -1
                                        ; implicit-def: $vgpr0
.LBB23_165:
	s_delay_alu instid0(SALU_CYCLE_1)
	s_and_not1_b32 vcc_lo, exec_lo, s2
	s_cbranch_vccnz .LBB23_167
; %bb.166:
	global_load_u16 v0, v[3:4], off
.LBB23_167:
	s_mov_b32 s2, 0
.LBB23_168:
	s_delay_alu instid0(SALU_CYCLE_1)
	s_and_not1_b32 vcc_lo, exec_lo, s2
	s_cbranch_vccnz .LBB23_174
; %bb.169:
	global_load_u8 v1, v[3:4], off
	s_mov_b32 s2, 0
	s_mov_b32 s22, exec_lo
                                        ; implicit-def: $sgpr23
	s_waitcnt vmcnt(0)
	v_cmpx_lt_i16_e32 0x7f, v1
	s_xor_b32 s22, exec_lo, s22
	s_cbranch_execz .LBB23_185
; %bb.170:
	v_cmp_ne_u16_e32 vcc_lo, 0x80, v1
	s_mov_b32 s23, 0
	s_and_b32 s2, vcc_lo, exec_lo
	s_or_saveexec_b32 s22, s22
	v_mov_b32_e32 v0, s23
	s_xor_b32 exec_lo, exec_lo, s22
	s_cbranch_execnz .LBB23_186
.LBB23_171:
	s_or_b32 exec_lo, exec_lo, s22
	s_and_saveexec_b32 s22, s2
	s_cbranch_execz .LBB23_173
.LBB23_172:
	v_and_b32_e32 v0, 0xffff, v1
	v_lshlrev_b32_e32 v1, 24, v1
	s_delay_alu instid0(VALU_DEP_2) | instskip(NEXT) | instid1(VALU_DEP_2)
	v_and_b32_e32 v7, 7, v0
	v_and_b32_e32 v1, 0x80000000, v1
	s_delay_alu instid0(VALU_DEP_2) | instskip(NEXT) | instid1(VALU_DEP_1)
	v_clz_i32_u32_e32 v9, v7
	v_min_u32_e32 v9, 32, v9
	s_delay_alu instid0(VALU_DEP_1) | instskip(SKIP_1) | instid1(VALU_DEP_2)
	v_subrev_nc_u32_e32 v10, 28, v9
	v_sub_nc_u32_e32 v9, 29, v9
	v_lshlrev_b32_e32 v10, v10, v0
	v_bfe_u32 v0, v0, 3, 4
	s_delay_alu instid0(VALU_DEP_2) | instskip(NEXT) | instid1(VALU_DEP_2)
	v_and_b32_e32 v10, 7, v10
	v_cmp_eq_u32_e32 vcc_lo, 0, v0
	s_delay_alu instid0(VALU_DEP_2) | instskip(NEXT) | instid1(VALU_DEP_1)
	v_dual_cndmask_b32 v0, v0, v9 :: v_dual_cndmask_b32 v7, v7, v10
	v_lshl_add_u32 v0, v0, 23, 0x3b800000
	s_delay_alu instid0(VALU_DEP_2) | instskip(NEXT) | instid1(VALU_DEP_1)
	v_lshlrev_b32_e32 v7, 20, v7
	v_or3_b32 v0, v1, v0, v7
	s_delay_alu instid0(VALU_DEP_1)
	v_cvt_i32_f32_e32 v0, v0
.LBB23_173:
	s_or_b32 exec_lo, exec_lo, s22
.LBB23_174:
	s_mov_b32 s2, -1
.LBB23_175:
	s_branch .LBB23_208
.LBB23_176:
	v_cmp_lt_i16_e32 vcc_lo, 22, v6
	s_cbranch_vccz .LBB23_184
; %bb.177:
	v_cmp_gt_i16_e32 vcc_lo, 24, v6
	s_cbranch_vccnz .LBB23_187
; %bb.178:
	v_cmp_lt_i16_e32 vcc_lo, 24, v6
	s_cbranch_vccz .LBB23_188
; %bb.179:
	global_load_u8 v1, v[3:4], off
	s_mov_b32 s2, 0
	s_mov_b32 s22, exec_lo
                                        ; implicit-def: $sgpr23
	s_waitcnt vmcnt(0)
	v_cmpx_lt_i16_e32 0x7f, v1
	s_xor_b32 s22, exec_lo, s22
	s_cbranch_execz .LBB23_200
; %bb.180:
	v_cmp_ne_u16_e32 vcc_lo, 0x80, v1
	s_mov_b32 s23, 0
	s_and_b32 s2, vcc_lo, exec_lo
	s_or_saveexec_b32 s22, s22
	v_mov_b32_e32 v0, s23
	s_xor_b32 exec_lo, exec_lo, s22
	s_cbranch_execnz .LBB23_201
.LBB23_181:
	s_or_b32 exec_lo, exec_lo, s22
	s_and_saveexec_b32 s22, s2
	s_cbranch_execz .LBB23_183
.LBB23_182:
	v_and_b32_e32 v0, 0xffff, v1
	v_lshlrev_b32_e32 v1, 24, v1
	s_delay_alu instid0(VALU_DEP_2) | instskip(NEXT) | instid1(VALU_DEP_2)
	v_and_b32_e32 v7, 3, v0
	v_and_b32_e32 v1, 0x80000000, v1
	s_delay_alu instid0(VALU_DEP_2) | instskip(NEXT) | instid1(VALU_DEP_1)
	v_clz_i32_u32_e32 v9, v7
	v_min_u32_e32 v9, 32, v9
	s_delay_alu instid0(VALU_DEP_1) | instskip(SKIP_1) | instid1(VALU_DEP_2)
	v_subrev_nc_u32_e32 v10, 29, v9
	v_sub_nc_u32_e32 v9, 30, v9
	v_lshlrev_b32_e32 v10, v10, v0
	v_bfe_u32 v0, v0, 2, 5
	s_delay_alu instid0(VALU_DEP_2) | instskip(NEXT) | instid1(VALU_DEP_2)
	v_and_b32_e32 v10, 3, v10
	v_cmp_eq_u32_e32 vcc_lo, 0, v0
	s_delay_alu instid0(VALU_DEP_2) | instskip(NEXT) | instid1(VALU_DEP_1)
	v_dual_cndmask_b32 v0, v0, v9 :: v_dual_cndmask_b32 v7, v7, v10
	v_lshl_add_u32 v0, v0, 23, 0x37800000
	s_delay_alu instid0(VALU_DEP_2) | instskip(NEXT) | instid1(VALU_DEP_1)
	v_lshlrev_b32_e32 v7, 21, v7
	v_or3_b32 v0, v1, v0, v7
	s_delay_alu instid0(VALU_DEP_1)
	v_cvt_i32_f32_e32 v0, v0
.LBB23_183:
	s_or_b32 exec_lo, exec_lo, s22
	s_mov_b32 s2, 0
	s_branch .LBB23_189
.LBB23_184:
	s_mov_b32 s22, -1
                                        ; implicit-def: $vgpr0
	s_branch .LBB23_195
.LBB23_185:
	s_or_saveexec_b32 s22, s22
	v_mov_b32_e32 v0, s23
	s_xor_b32 exec_lo, exec_lo, s22
	s_cbranch_execz .LBB23_171
.LBB23_186:
	v_cmp_ne_u16_e32 vcc_lo, 0, v1
	v_mov_b32_e32 v0, 0
	s_and_not1_b32 s2, s2, exec_lo
	s_and_b32 s23, vcc_lo, exec_lo
	s_delay_alu instid0(SALU_CYCLE_1)
	s_or_b32 s2, s2, s23
	s_or_b32 exec_lo, exec_lo, s22
	s_and_saveexec_b32 s22, s2
	s_cbranch_execnz .LBB23_172
	s_branch .LBB23_173
.LBB23_187:
	s_mov_b32 s2, -1
                                        ; implicit-def: $vgpr0
	s_branch .LBB23_192
.LBB23_188:
	s_mov_b32 s2, -1
                                        ; implicit-def: $vgpr0
.LBB23_189:
	s_delay_alu instid0(SALU_CYCLE_1)
	s_and_b32 vcc_lo, exec_lo, s2
	s_cbranch_vccz .LBB23_191
; %bb.190:
	global_load_u8 v0, v[3:4], off
	s_waitcnt vmcnt(0)
	v_lshlrev_b32_e32 v0, 24, v0
	s_delay_alu instid0(VALU_DEP_1) | instskip(NEXT) | instid1(VALU_DEP_1)
	v_and_b32_e32 v1, 0x7f000000, v0
	v_clz_i32_u32_e32 v7, v1
	v_add_nc_u32_e32 v10, 0x1000000, v1
	v_cmp_ne_u32_e32 vcc_lo, 0, v1
	s_delay_alu instid0(VALU_DEP_3) | instskip(NEXT) | instid1(VALU_DEP_1)
	v_min_u32_e32 v7, 32, v7
	v_sub_nc_u32_e64 v7, v7, 4 clamp
	s_delay_alu instid0(VALU_DEP_1) | instskip(SKIP_1) | instid1(VALU_DEP_2)
	v_lshlrev_b32_e32 v9, v7, v1
	v_lshlrev_b32_e32 v7, 23, v7
	v_lshrrev_b32_e32 v9, 4, v9
	s_delay_alu instid0(VALU_DEP_1) | instskip(SKIP_1) | instid1(VALU_DEP_2)
	v_sub_nc_u32_e32 v7, v9, v7
	v_ashrrev_i32_e32 v9, 8, v10
	v_add_nc_u32_e32 v7, 0x3c000000, v7
	s_delay_alu instid0(VALU_DEP_1) | instskip(NEXT) | instid1(VALU_DEP_1)
	v_and_or_b32 v7, 0x7f800000, v9, v7
	v_cndmask_b32_e32 v1, 0, v7, vcc_lo
	s_delay_alu instid0(VALU_DEP_1) | instskip(NEXT) | instid1(VALU_DEP_1)
	v_and_or_b32 v0, 0x80000000, v0, v1
	v_cvt_i32_f32_e32 v0, v0
.LBB23_191:
	s_mov_b32 s2, 0
.LBB23_192:
	s_delay_alu instid0(SALU_CYCLE_1)
	s_and_not1_b32 vcc_lo, exec_lo, s2
	s_cbranch_vccnz .LBB23_194
; %bb.193:
	global_load_u8 v0, v[3:4], off
	s_waitcnt vmcnt(0)
	v_lshlrev_b32_e32 v1, 25, v0
	v_lshlrev_b16 v0, 8, v0
	s_delay_alu instid0(VALU_DEP_2) | instskip(NEXT) | instid1(VALU_DEP_2)
	v_lshrrev_b32_e32 v7, 4, v1
	v_and_or_b32 v9, 0x7f00, v0, 0.5
	v_cmp_gt_u32_e32 vcc_lo, 0x8000000, v1
	v_bfe_i32 v0, v0, 0, 16
	s_delay_alu instid0(VALU_DEP_4) | instskip(NEXT) | instid1(VALU_DEP_4)
	v_or_b32_e32 v7, 0x70000000, v7
	v_add_f32_e32 v9, -0.5, v9
	s_delay_alu instid0(VALU_DEP_2) | instskip(NEXT) | instid1(VALU_DEP_1)
	v_mul_f32_e32 v7, 0x7800000, v7
	v_cndmask_b32_e32 v1, v7, v9, vcc_lo
	s_delay_alu instid0(VALU_DEP_1) | instskip(NEXT) | instid1(VALU_DEP_1)
	v_and_or_b32 v0, 0x80000000, v0, v1
	v_cvt_i32_f32_e32 v0, v0
.LBB23_194:
	s_mov_b32 s22, 0
	s_mov_b32 s2, -1
.LBB23_195:
	s_and_not1_b32 vcc_lo, exec_lo, s22
	s_cbranch_vccnz .LBB23_208
; %bb.196:
	v_cmp_lt_i16_e32 vcc_lo, 14, v6
	s_cbranch_vccz .LBB23_199
; %bb.197:
	v_cmp_eq_u16_e32 vcc_lo, 15, v6
	s_cbranch_vccz .LBB23_202
; %bb.198:
	global_load_u16 v0, v[3:4], off
	s_mov_b32 s2, -1
	s_mov_b32 s3, 0
	s_waitcnt vmcnt(0)
	v_lshlrev_b32_e32 v0, 16, v0
	s_delay_alu instid0(VALU_DEP_1)
	v_cvt_i32_f32_e32 v0, v0
	s_branch .LBB23_203
.LBB23_199:
	s_mov_b32 s22, -1
                                        ; implicit-def: $vgpr0
	s_branch .LBB23_204
.LBB23_200:
	s_or_saveexec_b32 s22, s22
	v_mov_b32_e32 v0, s23
	s_xor_b32 exec_lo, exec_lo, s22
	s_cbranch_execz .LBB23_181
.LBB23_201:
	v_cmp_ne_u16_e32 vcc_lo, 0, v1
	v_mov_b32_e32 v0, 0
	s_and_not1_b32 s2, s2, exec_lo
	s_and_b32 s23, vcc_lo, exec_lo
	s_delay_alu instid0(SALU_CYCLE_1)
	s_or_b32 s2, s2, s23
	s_or_b32 exec_lo, exec_lo, s22
	s_and_saveexec_b32 s22, s2
	s_cbranch_execnz .LBB23_182
	s_branch .LBB23_183
.LBB23_202:
	s_mov_b32 s3, -1
                                        ; implicit-def: $vgpr0
.LBB23_203:
	s_mov_b32 s22, 0
.LBB23_204:
	s_delay_alu instid0(SALU_CYCLE_1)
	s_and_b32 vcc_lo, exec_lo, s22
	s_cbranch_vccz .LBB23_208
; %bb.205:
	v_cmp_eq_u16_e32 vcc_lo, 11, v6
	s_cbranch_vccz .LBB23_207
; %bb.206:
	global_load_u8 v0, v[3:4], off
	s_mov_b32 s3, 0
	s_mov_b32 s2, -1
	s_waitcnt vmcnt(0)
	v_cmp_ne_u16_e32 vcc_lo, 0, v0
	v_cndmask_b32_e64 v0, 0, 1, vcc_lo
	s_branch .LBB23_208
.LBB23_207:
	s_mov_b32 s3, -1
                                        ; implicit-def: $vgpr0
.LBB23_208:
	s_branch .LBB23_23
.LBB23_209:
	v_cmp_gt_i16_e32 vcc_lo, 5, v6
	s_cbranch_vccnz .LBB23_214
; %bb.210:
	v_cmp_gt_i16_e32 vcc_lo, 8, v6
	s_cbranch_vccnz .LBB23_215
; %bb.211:
	;; [unrolled: 3-line block ×3, first 2 shown]
	v_cmp_lt_i16_e32 vcc_lo, 9, v6
	s_cbranch_vccz .LBB23_217
; %bb.213:
	global_load_b64 v[0:1], v[3:4], off
	s_mov_b32 s2, 0
	s_waitcnt vmcnt(0)
	v_cvt_i32_f64_e32 v0, v[0:1]
	s_branch .LBB23_218
.LBB23_214:
                                        ; implicit-def: $vgpr0
	s_branch .LBB23_236
.LBB23_215:
	s_mov_b32 s2, -1
                                        ; implicit-def: $vgpr0
	s_branch .LBB23_224
.LBB23_216:
	s_mov_b32 s2, -1
                                        ; implicit-def: $vgpr0
	s_branch .LBB23_221
.LBB23_217:
	s_mov_b32 s2, -1
                                        ; implicit-def: $vgpr0
.LBB23_218:
	s_delay_alu instid0(SALU_CYCLE_1)
	s_and_not1_b32 vcc_lo, exec_lo, s2
	s_cbranch_vccnz .LBB23_220
; %bb.219:
	global_load_b32 v0, v[3:4], off
	s_waitcnt vmcnt(0)
	v_cvt_i32_f32_e32 v0, v0
.LBB23_220:
	s_mov_b32 s2, 0
.LBB23_221:
	s_delay_alu instid0(SALU_CYCLE_1)
	s_and_not1_b32 vcc_lo, exec_lo, s2
	s_cbranch_vccnz .LBB23_223
; %bb.222:
	global_load_b32 v0, v[3:4], off
	s_waitcnt vmcnt(0)
	v_cvt_i16_f16_e32 v0, v0
.LBB23_223:
	s_mov_b32 s2, 0
.LBB23_224:
	s_delay_alu instid0(SALU_CYCLE_1)
	s_and_not1_b32 vcc_lo, exec_lo, s2
	s_cbranch_vccnz .LBB23_235
; %bb.225:
	v_cmp_gt_i16_e32 vcc_lo, 6, v6
	s_cbranch_vccnz .LBB23_228
; %bb.226:
	v_cmp_lt_i16_e32 vcc_lo, 6, v6
	s_cbranch_vccz .LBB23_229
; %bb.227:
	global_load_b64 v[0:1], v[3:4], off
	s_mov_b32 s2, 0
	s_waitcnt vmcnt(0)
	v_cvt_i32_f64_e32 v0, v[0:1]
	s_branch .LBB23_230
.LBB23_228:
	s_mov_b32 s2, -1
                                        ; implicit-def: $vgpr0
	s_branch .LBB23_233
.LBB23_229:
	s_mov_b32 s2, -1
                                        ; implicit-def: $vgpr0
.LBB23_230:
	s_delay_alu instid0(SALU_CYCLE_1)
	s_and_not1_b32 vcc_lo, exec_lo, s2
	s_cbranch_vccnz .LBB23_232
; %bb.231:
	global_load_b32 v0, v[3:4], off
	s_waitcnt vmcnt(0)
	v_cvt_i32_f32_e32 v0, v0
.LBB23_232:
	s_mov_b32 s2, 0
.LBB23_233:
	s_delay_alu instid0(SALU_CYCLE_1)
	s_and_not1_b32 vcc_lo, exec_lo, s2
	s_cbranch_vccnz .LBB23_235
; %bb.234:
	global_load_u16 v0, v[3:4], off
	s_waitcnt vmcnt(0)
	v_cvt_i16_f16_e32 v0, v0
.LBB23_235:
	s_cbranch_execnz .LBB23_255
.LBB23_236:
	v_cmp_gt_i16_e32 vcc_lo, 2, v6
	s_cbranch_vccnz .LBB23_240
; %bb.237:
	v_cmp_gt_i16_e32 vcc_lo, 3, v6
	s_cbranch_vccnz .LBB23_241
; %bb.238:
	v_cmp_lt_i16_e32 vcc_lo, 3, v6
	s_cbranch_vccz .LBB23_242
; %bb.239:
	global_load_b64 v[0:1], v[3:4], off
	s_mov_b32 s2, 0
	s_branch .LBB23_243
.LBB23_240:
	s_mov_b32 s2, -1
                                        ; implicit-def: $vgpr0
	s_branch .LBB23_249
.LBB23_241:
	s_mov_b32 s2, -1
                                        ; implicit-def: $vgpr0
	s_branch .LBB23_246
.LBB23_242:
	s_mov_b32 s2, -1
                                        ; implicit-def: $vgpr0
.LBB23_243:
	s_delay_alu instid0(SALU_CYCLE_1)
	s_and_not1_b32 vcc_lo, exec_lo, s2
	s_cbranch_vccnz .LBB23_245
; %bb.244:
	global_load_b32 v0, v[3:4], off
.LBB23_245:
	s_mov_b32 s2, 0
.LBB23_246:
	s_delay_alu instid0(SALU_CYCLE_1)
	s_and_not1_b32 vcc_lo, exec_lo, s2
	s_cbranch_vccnz .LBB23_248
; %bb.247:
	global_load_u16 v0, v[3:4], off
.LBB23_248:
	s_mov_b32 s2, 0
.LBB23_249:
	s_delay_alu instid0(SALU_CYCLE_1)
	s_and_not1_b32 vcc_lo, exec_lo, s2
	s_cbranch_vccnz .LBB23_255
; %bb.250:
	v_cmp_lt_i16_e32 vcc_lo, 0, v6
	s_mov_b32 s2, 0
	s_cbranch_vccz .LBB23_252
; %bb.251:
	global_load_u8 v0, v[3:4], off
	s_branch .LBB23_253
.LBB23_252:
	s_mov_b32 s2, -1
                                        ; implicit-def: $vgpr0
.LBB23_253:
	s_delay_alu instid0(SALU_CYCLE_1)
	s_and_not1_b32 vcc_lo, exec_lo, s2
	s_cbranch_vccnz .LBB23_255
; %bb.254:
	global_load_u8 v0, v[3:4], off
.LBB23_255:
	s_branch .LBB23_24
.LBB23_256:
	s_mov_b32 s2, 0
.LBB23_257:
	s_mov_b32 s22, 0
                                        ; implicit-def: $vgpr8
.LBB23_258:
	s_and_b32 s34, s2, exec_lo
	s_and_b32 s35, s3, exec_lo
	s_or_not1_b32 s3, s22, exec_lo
.LBB23_259:
	s_or_b32 exec_lo, exec_lo, s36
	s_mov_b32 s22, 0
	s_mov_b32 s2, 0
                                        ; implicit-def: $vgpr3_vgpr4
                                        ; implicit-def: $vgpr2
                                        ; implicit-def: $vgpr0
	s_and_saveexec_b32 s36, s3
	s_cbranch_execz .LBB23_890
; %bb.260:
	s_mov_b32 s2, -1
	s_mov_b32 s37, s35
	s_mov_b32 s38, s34
	s_mov_b32 s39, exec_lo
	v_cmpx_gt_i32_e64 s30, v8
	s_cbranch_execz .LBB23_525
; %bb.261:
	s_and_not1_b32 vcc_lo, exec_lo, s27
	s_cbranch_vccnz .LBB23_266
; %bb.262:
	v_mov_b32_e32 v2, 0
	s_waitcnt vmcnt(0)
	v_mov_b32_e32 v0, 0
	s_and_not1_b32 vcc_lo, exec_lo, s33
	s_mov_b32 s37, 0
	s_cbranch_vccnz .LBB23_271
; %bb.263:
	v_mov_b32_e32 v2, 0
	s_add_i32 s40, s31, 1
	s_cmp_eq_u32 s25, 2
	s_mov_b32 s38, 0
	s_cbranch_scc1 .LBB23_267
; %bb.264:
	v_dual_mov_b32 v0, 0 :: v_dual_mov_b32 v1, v8
	v_mov_b32_e32 v2, 0
	s_and_b32 s38, s40, 28
	s_mov_b32 s41, 0
	s_mov_b64 s[2:3], s[20:21]
	s_mov_b64 s[22:23], s[16:17]
.LBB23_265:                             ; =>This Inner Loop Header: Depth=1
	s_clause 0x1
	s_load_b256 s[44:51], s[22:23], 0x4
	s_load_b128 s[60:63], s[22:23], 0x24
	s_load_b256 s[52:59], s[2:3], 0x0
	s_add_u32 s22, s22, 48
	s_addc_u32 s23, s23, 0
	s_add_i32 s41, s41, 4
	s_add_u32 s2, s2, 32
	s_addc_u32 s3, s3, 0
	s_cmp_eq_u32 s38, s41
	s_waitcnt lgkmcnt(0)
	v_mul_hi_u32 v3, s45, v1
	s_delay_alu instid0(VALU_DEP_1) | instskip(NEXT) | instid1(VALU_DEP_1)
	v_add_nc_u32_e32 v3, v1, v3
	v_lshrrev_b32_e32 v3, s46, v3
	s_delay_alu instid0(VALU_DEP_1) | instskip(SKIP_1) | instid1(VALU_DEP_2)
	v_mul_hi_u32 v4, s48, v3
	v_mul_lo_u32 v9, v3, s44
	v_add_nc_u32_e32 v4, v3, v4
	s_delay_alu instid0(VALU_DEP_2) | instskip(NEXT) | instid1(VALU_DEP_2)
	v_sub_nc_u32_e32 v1, v1, v9
	v_lshrrev_b32_e32 v4, s49, v4
	s_delay_alu instid0(VALU_DEP_2) | instskip(SKIP_1) | instid1(VALU_DEP_3)
	v_mul_lo_u32 v9, v1, s52
	v_mul_lo_u32 v11, v1, s53
	v_mul_hi_u32 v7, s51, v4
	s_delay_alu instid0(VALU_DEP_1) | instskip(NEXT) | instid1(VALU_DEP_1)
	v_add_nc_u32_e32 v7, v4, v7
	v_lshrrev_b32_e32 v7, s60, v7
	s_delay_alu instid0(VALU_DEP_1) | instskip(SKIP_1) | instid1(VALU_DEP_2)
	v_mul_hi_u32 v10, s62, v7
	v_mul_lo_u32 v12, v7, s50
	v_add_nc_u32_e32 v1, v7, v10
	v_mul_lo_u32 v10, v4, s47
	s_delay_alu instid0(VALU_DEP_3) | instskip(NEXT) | instid1(VALU_DEP_3)
	v_sub_nc_u32_e32 v4, v4, v12
	v_lshrrev_b32_e32 v1, s63, v1
	s_delay_alu instid0(VALU_DEP_2) | instskip(SKIP_2) | instid1(VALU_DEP_4)
	v_mul_lo_u32 v12, v4, s56
	v_mul_lo_u32 v4, v4, s57
	v_sub_nc_u32_e32 v3, v3, v10
	v_mul_lo_u32 v13, v1, s61
	s_delay_alu instid0(VALU_DEP_2) | instskip(SKIP_1) | instid1(VALU_DEP_3)
	v_mul_lo_u32 v10, v3, s54
	v_mul_lo_u32 v3, v3, s55
	v_sub_nc_u32_e32 v7, v7, v13
	s_delay_alu instid0(VALU_DEP_3) | instskip(NEXT) | instid1(VALU_DEP_2)
	v_add3_u32 v2, v9, v2, v10
	v_mul_lo_u32 v13, v7, s58
	v_mul_lo_u32 v7, v7, s59
	v_add3_u32 v0, v11, v0, v3
	s_delay_alu instid0(VALU_DEP_3) | instskip(NEXT) | instid1(VALU_DEP_2)
	v_add3_u32 v2, v12, v2, v13
	v_add3_u32 v0, v4, v0, v7
	s_cbranch_scc0 .LBB23_265
	s_branch .LBB23_268
.LBB23_266:
	s_mov_b32 s37, -1
                                        ; implicit-def: $vgpr2
                                        ; implicit-def: $vgpr0
	s_branch .LBB23_271
.LBB23_267:
	v_dual_mov_b32 v1, v8 :: v_dual_mov_b32 v0, 0
.LBB23_268:
	s_and_b32 s40, s40, 3
	s_delay_alu instid0(SALU_CYCLE_1)
	s_cmp_eq_u32 s40, 0
	s_cbranch_scc1 .LBB23_271
; %bb.269:
	s_lshl_b32 s2, s38, 3
	s_mul_i32 s22, s38, 12
	s_add_u32 s2, s2, s16
	s_addc_u32 s3, s17, 0
	s_add_u32 s2, s2, 0xc4
	s_addc_u32 s3, s3, 0
	;; [unrolled: 2-line block ×3, first 2 shown]
	.p2align	6
.LBB23_270:                             ; =>This Inner Loop Header: Depth=1
	s_clause 0x1
	s_load_b64 s[42:43], s[22:23], 0x4
	s_load_b32 s38, s[22:23], 0xc
	s_load_b64 s[44:45], s[2:3], 0x0
	s_add_u32 s22, s22, 12
	s_addc_u32 s23, s23, 0
	s_add_u32 s2, s2, 8
	s_addc_u32 s3, s3, 0
	s_add_i32 s40, s40, -1
	s_delay_alu instid0(SALU_CYCLE_1) | instskip(SKIP_2) | instid1(VALU_DEP_1)
	s_cmp_lg_u32 s40, 0
	s_waitcnt lgkmcnt(0)
	v_mul_hi_u32 v3, s43, v1
	v_add_nc_u32_e32 v3, v1, v3
	s_delay_alu instid0(VALU_DEP_1) | instskip(NEXT) | instid1(VALU_DEP_1)
	v_lshrrev_b32_e32 v7, s38, v3
	v_mul_lo_u32 v3, v7, s42
	s_delay_alu instid0(VALU_DEP_1) | instskip(NEXT) | instid1(VALU_DEP_1)
	v_sub_nc_u32_e32 v1, v1, v3
	v_mad_u64_u32 v[3:4], null, v1, s44, v[2:3]
	v_mad_u64_u32 v[9:10], null, v1, s45, v[0:1]
	v_mov_b32_e32 v1, v7
	s_delay_alu instid0(VALU_DEP_3) | instskip(NEXT) | instid1(VALU_DEP_3)
	v_mov_b32_e32 v2, v3
	v_mov_b32_e32 v0, v9
	s_cbranch_scc1 .LBB23_270
.LBB23_271:
	s_and_not1_b32 vcc_lo, exec_lo, s37
	s_cbranch_vccnz .LBB23_274
; %bb.272:
	s_waitcnt vmcnt(0) lgkmcnt(0)
	v_mul_hi_u32 v0, s13, v8
	s_and_not1_b32 vcc_lo, exec_lo, s29
	s_delay_alu instid0(VALU_DEP_1) | instskip(NEXT) | instid1(VALU_DEP_1)
	v_add_nc_u32_e32 v0, v8, v0
	v_lshrrev_b32_e32 v1, s14, v0
	s_delay_alu instid0(VALU_DEP_1) | instskip(NEXT) | instid1(VALU_DEP_1)
	v_mul_lo_u32 v0, v1, s12
	v_sub_nc_u32_e32 v0, v8, v0
	s_delay_alu instid0(VALU_DEP_1)
	v_mul_lo_u32 v2, v0, s8
	v_mul_lo_u32 v0, v0, s9
	s_cbranch_vccnz .LBB23_274
; %bb.273:
	v_mul_hi_u32 v3, s18, v1
	s_delay_alu instid0(VALU_DEP_1) | instskip(NEXT) | instid1(VALU_DEP_1)
	v_add_nc_u32_e32 v3, v1, v3
	v_lshrrev_b32_e32 v3, s19, v3
	s_delay_alu instid0(VALU_DEP_1) | instskip(NEXT) | instid1(VALU_DEP_1)
	v_mul_lo_u32 v3, v3, s15
	v_sub_nc_u32_e32 v7, v1, v3
	s_delay_alu instid0(VALU_DEP_1) | instskip(SKIP_1) | instid1(VALU_DEP_2)
	v_mad_u64_u32 v[3:4], null, v7, s10, v[2:3]
	v_mad_u64_u32 v[1:2], null, v7, s11, v[0:1]
	v_mov_b32_e32 v2, v3
	s_delay_alu instid0(VALU_DEP_2)
	v_mov_b32_e32 v0, v1
.LBB23_274:
	v_cmp_gt_i16_e32 vcc_lo, 11, v6
	s_waitcnt vmcnt(0) lgkmcnt(0)
	s_delay_alu instid0(VALU_DEP_2) | instskip(NEXT) | instid1(VALU_DEP_1)
	v_add_co_u32 v3, s2, s6, v0
	v_add_co_ci_u32_e64 v4, null, s7, 0, s2
	s_mov_b32 s2, 0
	s_cbranch_vccnz .LBB23_281
; %bb.275:
	v_cmp_lt_i16_e32 vcc_lo, 25, v6
	s_cbranch_vccz .LBB23_330
; %bb.276:
	v_cmp_lt_i16_e32 vcc_lo, 28, v6
	s_cbranch_vccz .LBB23_331
	;; [unrolled: 3-line block ×4, first 2 shown]
; %bb.279:
	v_cmp_eq_u16_e32 vcc_lo, 46, v6
	s_mov_b32 s22, 0
	s_cbranch_vccz .LBB23_339
; %bb.280:
	global_load_b32 v0, v[3:4], off
	s_mov_b32 s2, -1
	s_mov_b32 s3, 0
	s_waitcnt vmcnt(0)
	v_lshlrev_b32_e32 v0, 16, v0
	s_delay_alu instid0(VALU_DEP_1)
	v_cvt_i32_f32_e32 v0, v0
	s_branch .LBB23_341
.LBB23_281:
	s_mov_b32 s3, s35
                                        ; implicit-def: $vgpr0
	s_cbranch_execnz .LBB23_474
.LBB23_282:
	s_and_not1_b32 vcc_lo, exec_lo, s2
	s_cbranch_vccnz .LBB23_522
.LBB23_283:
	v_and_b32_e32 v4, 0xff, v5
	s_waitcnt vmcnt(0)
	v_add_co_u32 v1, s2, s4, v2
	s_delay_alu instid0(VALU_DEP_3)
	v_xor_b32_e32 v3, -1, v0
	v_add_co_ci_u32_e64 v2, null, s5, 0, s2
	v_cmp_gt_i16_e32 vcc_lo, 11, v4
	s_mov_b32 s23, -1
	s_mov_b32 s22, 0
	s_mov_b32 s2, s34
	s_cbranch_vccnz .LBB23_290
; %bb.284:
	v_cmp_lt_i16_e32 vcc_lo, 25, v4
	s_cbranch_vccz .LBB23_332
; %bb.285:
	v_cmp_lt_i16_e32 vcc_lo, 28, v4
	s_cbranch_vccz .LBB23_334
	;; [unrolled: 3-line block ×4, first 2 shown]
; %bb.288:
	v_cmp_eq_u16_e32 vcc_lo, 46, v4
	s_mov_b32 s23, 0
	s_mov_b32 s2, -1
	s_cbranch_vccz .LBB23_345
; %bb.289:
	v_bfe_i32 v7, v3, 0, 8
	s_mov_b32 s22, -1
	s_mov_b32 s2, 0
	s_delay_alu instid0(VALU_DEP_1) | instskip(NEXT) | instid1(VALU_DEP_1)
	v_bfe_i32 v7, v7, 0, 16
	v_cvt_f32_i32_e32 v7, v7
	s_delay_alu instid0(VALU_DEP_1) | instskip(NEXT) | instid1(VALU_DEP_1)
	v_bfe_u32 v9, v7, 16, 1
	v_add3_u32 v7, v7, v9, 0x7fff
	s_delay_alu instid0(VALU_DEP_1)
	v_lshrrev_b32_e32 v7, 16, v7
	global_store_b32 v[1:2], v7, off
	s_branch .LBB23_345
.LBB23_290:
	s_and_b32 vcc_lo, exec_lo, s23
	s_cbranch_vccz .LBB23_414
; %bb.291:
	v_cmp_gt_i16_e32 vcc_lo, 5, v4
	s_mov_b32 s22, -1
	s_cbranch_vccnz .LBB23_312
; %bb.292:
	v_cmp_gt_i16_e32 vcc_lo, 8, v4
	s_cbranch_vccnz .LBB23_302
; %bb.293:
	v_cmp_gt_i16_e32 vcc_lo, 9, v4
	s_cbranch_vccnz .LBB23_299
; %bb.294:
	v_cmp_lt_i16_e32 vcc_lo, 9, v4
	s_cbranch_vccz .LBB23_296
; %bb.295:
	v_bfe_i32 v0, v3, 0, 8
	v_mov_b32_e32 v11, 0
	s_mov_b32 s22, 0
	s_delay_alu instid0(VALU_DEP_2) | instskip(NEXT) | instid1(VALU_DEP_2)
	v_bfe_i32 v0, v0, 0, 16
	v_mov_b32_e32 v12, v11
	s_delay_alu instid0(VALU_DEP_2)
	v_cvt_f64_i32_e32 v[9:10], v0
	global_store_b128 v[1:2], v[9:12], off
.LBB23_296:
	s_and_not1_b32 vcc_lo, exec_lo, s22
	s_cbranch_vccnz .LBB23_298
; %bb.297:
	v_bfe_i32 v0, v3, 0, 8
	v_mov_b32_e32 v10, 0
	s_delay_alu instid0(VALU_DEP_2) | instskip(NEXT) | instid1(VALU_DEP_1)
	v_bfe_i32 v0, v0, 0, 16
	v_cvt_f32_i32_e32 v9, v0
	global_store_b64 v[1:2], v[9:10], off
.LBB23_298:
	s_mov_b32 s22, 0
.LBB23_299:
	s_delay_alu instid0(SALU_CYCLE_1)
	s_and_not1_b32 vcc_lo, exec_lo, s22
	s_cbranch_vccnz .LBB23_301
; %bb.300:
	v_bfe_i32 v0, v3, 0, 8
	s_delay_alu instid0(VALU_DEP_1) | instskip(NEXT) | instid1(VALU_DEP_1)
	v_cvt_f16_i16_e32 v0, v0
	v_and_b32_e32 v0, 0xffff, v0
	global_store_b32 v[1:2], v0, off
.LBB23_301:
	s_mov_b32 s22, 0
.LBB23_302:
	s_delay_alu instid0(SALU_CYCLE_1)
	s_and_not1_b32 vcc_lo, exec_lo, s22
	s_cbranch_vccnz .LBB23_311
; %bb.303:
	v_cmp_gt_i16_e32 vcc_lo, 6, v4
	s_mov_b32 s22, -1
	s_cbranch_vccnz .LBB23_309
; %bb.304:
	v_cmp_lt_i16_e32 vcc_lo, 6, v4
	s_cbranch_vccz .LBB23_306
; %bb.305:
	v_bfe_i32 v0, v3, 0, 8
	s_mov_b32 s22, 0
	s_delay_alu instid0(VALU_DEP_1) | instskip(NEXT) | instid1(VALU_DEP_1)
	v_bfe_i32 v0, v0, 0, 16
	v_cvt_f64_i32_e32 v[9:10], v0
	global_store_b64 v[1:2], v[9:10], off
.LBB23_306:
	s_and_not1_b32 vcc_lo, exec_lo, s22
	s_cbranch_vccnz .LBB23_308
; %bb.307:
	v_bfe_i32 v0, v3, 0, 8
	s_delay_alu instid0(VALU_DEP_1) | instskip(NEXT) | instid1(VALU_DEP_1)
	v_bfe_i32 v0, v0, 0, 16
	v_cvt_f32_i32_e32 v0, v0
	global_store_b32 v[1:2], v0, off
.LBB23_308:
	s_mov_b32 s22, 0
.LBB23_309:
	s_delay_alu instid0(SALU_CYCLE_1)
	s_and_not1_b32 vcc_lo, exec_lo, s22
	s_cbranch_vccnz .LBB23_311
; %bb.310:
	v_bfe_i32 v0, v3, 0, 8
	s_delay_alu instid0(VALU_DEP_1)
	v_cvt_f16_i16_e32 v0, v0
	global_store_b16 v[1:2], v0, off
.LBB23_311:
	s_mov_b32 s22, 0
.LBB23_312:
	s_delay_alu instid0(SALU_CYCLE_1)
	s_and_not1_b32 vcc_lo, exec_lo, s22
	s_cbranch_vccnz .LBB23_328
; %bb.313:
	v_cmp_gt_i16_e32 vcc_lo, 2, v4
	s_mov_b32 s22, -1
	s_cbranch_vccnz .LBB23_323
; %bb.314:
	v_cmp_gt_i16_e32 vcc_lo, 3, v4
	s_cbranch_vccnz .LBB23_320
; %bb.315:
	v_cmp_lt_i16_e32 vcc_lo, 3, v4
	s_cbranch_vccz .LBB23_317
; %bb.316:
	v_bfe_i32 v9, v3, 0, 8
	s_mov_b32 s22, 0
	s_delay_alu instid0(VALU_DEP_1)
	v_ashrrev_i32_e32 v10, 31, v9
	global_store_b64 v[1:2], v[9:10], off
.LBB23_317:
	s_and_not1_b32 vcc_lo, exec_lo, s22
	s_cbranch_vccnz .LBB23_319
; %bb.318:
	v_bfe_i32 v0, v3, 0, 8
	global_store_b32 v[1:2], v0, off
.LBB23_319:
	s_mov_b32 s22, 0
.LBB23_320:
	s_delay_alu instid0(SALU_CYCLE_1)
	s_and_not1_b32 vcc_lo, exec_lo, s22
	s_cbranch_vccnz .LBB23_322
; %bb.321:
	v_bfe_i32 v0, v3, 0, 8
	global_store_b16 v[1:2], v0, off
.LBB23_322:
	s_mov_b32 s22, 0
.LBB23_323:
	s_delay_alu instid0(SALU_CYCLE_1)
	s_and_not1_b32 vcc_lo, exec_lo, s22
	s_cbranch_vccnz .LBB23_328
; %bb.324:
	v_cmp_lt_i16_e32 vcc_lo, 0, v4
	s_mov_b32 s22, -1
	s_cbranch_vccz .LBB23_326
; %bb.325:
	s_mov_b32 s22, 0
	global_store_b8 v[1:2], v3, off
.LBB23_326:
	s_and_not1_b32 vcc_lo, exec_lo, s22
	s_cbranch_vccnz .LBB23_328
; %bb.327:
	global_store_b8 v[1:2], v3, off
.LBB23_328:
	s_branch .LBB23_415
.LBB23_329:
	s_mov_b32 s22, 0
	s_branch .LBB23_523
.LBB23_330:
	s_mov_b32 s22, -1
	s_mov_b32 s3, s35
                                        ; implicit-def: $vgpr0
	s_branch .LBB23_440
.LBB23_331:
	s_mov_b32 s22, -1
	s_mov_b32 s3, s35
                                        ; implicit-def: $vgpr0
	s_branch .LBB23_423
.LBB23_332:
	s_mov_b32 s2, s34
	s_branch .LBB23_372
.LBB23_333:
	s_mov_b32 s22, -1
	s_mov_b32 s3, s35
                                        ; implicit-def: $vgpr0
	s_branch .LBB23_418
.LBB23_334:
	s_mov_b32 s2, s34
	s_branch .LBB23_355
.LBB23_335:
	s_mov_b32 s22, -1
	s_mov_b32 s3, s35
	s_branch .LBB23_340
.LBB23_336:
	s_mov_b32 s2, s34
	s_branch .LBB23_351
.LBB23_337:
	s_or_saveexec_b32 s34, s34
                                        ; implicit-def: $sgpr35
	s_delay_alu instid0(SALU_CYCLE_1)
	s_xor_b32 exec_lo, exec_lo, s34
	s_cbranch_execz .LBB23_65
.LBB23_338:
	v_add_f32_e64 v9, 0x42800000, |v7|
	s_and_not1_b32 s23, s23, exec_lo
	s_mov_b32 s35, 0
	s_delay_alu instid0(VALU_DEP_1) | instskip(NEXT) | instid1(VALU_DEP_1)
	v_and_b32_e32 v9, 0xff, v9
	v_cmp_ne_u32_e32 vcc_lo, 0, v9
	s_and_b32 s38, vcc_lo, exec_lo
	s_delay_alu instid0(SALU_CYCLE_1)
	s_or_b32 s23, s23, s38
	s_or_b32 exec_lo, exec_lo, s34
	v_mov_b32_e32 v10, s35
	s_and_saveexec_b32 s34, s23
	s_cbranch_execnz .LBB23_66
	s_branch .LBB23_67
.LBB23_339:
	s_mov_b32 s3, -1
.LBB23_340:
                                        ; implicit-def: $vgpr0
.LBB23_341:
	s_and_b32 vcc_lo, exec_lo, s22
	s_cbranch_vccz .LBB23_417
; %bb.342:
	v_cmp_eq_u16_e32 vcc_lo, 44, v6
	s_cbranch_vccz .LBB23_416
; %bb.343:
	global_load_u8 v0, v[3:4], off
	s_mov_b32 s3, 0
	s_mov_b32 s2, -1
	s_waitcnt vmcnt(0)
	v_lshlrev_b32_e32 v1, 23, v0
	v_cmp_ne_u32_e32 vcc_lo, 0, v0
	s_delay_alu instid0(VALU_DEP_2) | instskip(NEXT) | instid1(VALU_DEP_1)
	v_cvt_i32_f32_e32 v1, v1
	v_cndmask_b32_e32 v0, 0, v1, vcc_lo
	s_branch .LBB23_417
.LBB23_344:
	s_mov_b32 s2, s34
.LBB23_345:
	s_and_b32 vcc_lo, exec_lo, s23
	s_cbranch_vccz .LBB23_350
; %bb.346:
	v_cmp_eq_u16_e32 vcc_lo, 44, v4
	s_mov_b32 s2, -1
	s_cbranch_vccz .LBB23_350
; %bb.347:
	v_bfe_i32 v7, v3, 0, 8
	v_mov_b32_e32 v9, 0xff
	s_mov_b32 s22, exec_lo
	s_delay_alu instid0(VALU_DEP_2) | instskip(NEXT) | instid1(VALU_DEP_1)
	v_bfe_i32 v7, v7, 0, 16
	v_cvt_f32_i32_e32 v7, v7
	s_delay_alu instid0(VALU_DEP_1) | instskip(NEXT) | instid1(VALU_DEP_1)
	v_bfe_u32 v10, v7, 23, 8
	v_cmpx_ne_u32_e32 0xff, v10
; %bb.348:
	v_and_b32_e32 v9, 0x400000, v7
	v_and_or_b32 v10, 0x3fffff, v7, v10
	v_lshrrev_b32_e32 v7, 23, v7
	s_delay_alu instid0(VALU_DEP_3) | instskip(NEXT) | instid1(VALU_DEP_3)
	v_cmp_ne_u32_e32 vcc_lo, 0, v9
	v_cmp_ne_u32_e64 s2, 0, v10
	s_delay_alu instid0(VALU_DEP_1) | instskip(NEXT) | instid1(SALU_CYCLE_1)
	s_and_b32 s2, vcc_lo, s2
	v_cndmask_b32_e64 v9, 0, 1, s2
	s_delay_alu instid0(VALU_DEP_1)
	v_add_nc_u32_e32 v9, v7, v9
; %bb.349:
	s_or_b32 exec_lo, exec_lo, s22
	s_mov_b32 s22, -1
	s_mov_b32 s2, 0
	global_store_b8 v[1:2], v9, off
.LBB23_350:
	s_mov_b32 s23, 0
.LBB23_351:
	s_delay_alu instid0(SALU_CYCLE_1)
	s_and_b32 vcc_lo, exec_lo, s23
	s_cbranch_vccz .LBB23_354
; %bb.352:
	v_cmp_eq_u16_e32 vcc_lo, 29, v4
	s_mov_b32 s2, -1
	s_cbranch_vccz .LBB23_354
; %bb.353:
	v_bfe_i32 v9, v3, 0, 8
	s_mov_b32 s22, -1
	s_mov_b32 s2, 0
	s_mov_b32 s23, 0
	s_delay_alu instid0(VALU_DEP_1)
	v_ashrrev_i32_e32 v10, 31, v9
	global_store_b64 v[1:2], v[9:10], off
	s_branch .LBB23_355
.LBB23_354:
	s_mov_b32 s23, 0
.LBB23_355:
	s_delay_alu instid0(SALU_CYCLE_1)
	s_and_b32 vcc_lo, exec_lo, s23
	s_cbranch_vccz .LBB23_371
; %bb.356:
	v_cmp_gt_i16_e32 vcc_lo, 27, v4
	s_mov_b32 s22, -1
	s_cbranch_vccnz .LBB23_362
; %bb.357:
	v_cmp_lt_i16_e32 vcc_lo, 27, v4
	s_cbranch_vccz .LBB23_359
; %bb.358:
	v_bfe_i32 v7, v3, 0, 8
	s_mov_b32 s22, 0
	global_store_b32 v[1:2], v7, off
.LBB23_359:
	s_and_not1_b32 vcc_lo, exec_lo, s22
	s_cbranch_vccnz .LBB23_361
; %bb.360:
	v_bfe_i32 v7, v3, 0, 8
	global_store_b16 v[1:2], v7, off
.LBB23_361:
	s_mov_b32 s22, 0
.LBB23_362:
	s_delay_alu instid0(SALU_CYCLE_1)
	s_and_not1_b32 vcc_lo, exec_lo, s22
	s_cbranch_vccnz .LBB23_370
; %bb.363:
	v_bfe_i32 v7, v3, 0, 8
	v_mov_b32_e32 v10, 0x80
	s_mov_b32 s22, exec_lo
	s_delay_alu instid0(VALU_DEP_2) | instskip(NEXT) | instid1(VALU_DEP_1)
	v_bfe_i32 v7, v7, 0, 16
	v_cvt_f32_i32_e32 v7, v7
	s_delay_alu instid0(VALU_DEP_1) | instskip(NEXT) | instid1(VALU_DEP_1)
	v_and_b32_e32 v9, 0x7fffffff, v7
	v_cmpx_gt_u32_e32 0x43800000, v9
	s_cbranch_execz .LBB23_369
; %bb.364:
	v_cmp_lt_u32_e32 vcc_lo, 0x3bffffff, v9
	s_mov_b32 s23, 0
                                        ; implicit-def: $vgpr9
	s_and_saveexec_b32 s37, vcc_lo
	s_delay_alu instid0(SALU_CYCLE_1)
	s_xor_b32 s37, exec_lo, s37
	s_cbranch_execz .LBB23_551
; %bb.365:
	v_bfe_u32 v9, v7, 20, 1
	s_mov_b32 s23, exec_lo
	s_delay_alu instid0(VALU_DEP_1) | instskip(NEXT) | instid1(VALU_DEP_1)
	v_add3_u32 v9, v7, v9, 0x487ffff
	v_lshrrev_b32_e32 v9, 20, v9
	s_or_saveexec_b32 s37, s37
                                        ; implicit-def: $sgpr38
	s_delay_alu instid0(SALU_CYCLE_1)
	s_xor_b32 exec_lo, exec_lo, s37
	s_cbranch_execnz .LBB23_552
.LBB23_366:
	s_or_b32 exec_lo, exec_lo, s37
	v_mov_b32_e32 v10, s38
	s_and_saveexec_b32 s37, s23
.LBB23_367:
	v_lshrrev_b32_e32 v7, 24, v7
	s_delay_alu instid0(VALU_DEP_1)
	v_and_or_b32 v10, 0x80, v7, v9
.LBB23_368:
	s_or_b32 exec_lo, exec_lo, s37
.LBB23_369:
	s_delay_alu instid0(SALU_CYCLE_1)
	s_or_b32 exec_lo, exec_lo, s22
	global_store_b8 v[1:2], v10, off
.LBB23_370:
	s_mov_b32 s22, -1
.LBB23_371:
	s_mov_b32 s23, 0
.LBB23_372:
	s_delay_alu instid0(SALU_CYCLE_1)
	s_and_b32 vcc_lo, exec_lo, s23
	s_cbranch_vccz .LBB23_413
; %bb.373:
	v_cmp_lt_i16_e32 vcc_lo, 22, v4
	s_mov_b32 s23, -1
	s_cbranch_vccz .LBB23_405
; %bb.374:
	v_cmp_gt_i16_e32 vcc_lo, 24, v4
	s_mov_b32 s22, -1
	s_cbranch_vccnz .LBB23_394
; %bb.375:
	v_cmp_lt_i16_e32 vcc_lo, 24, v4
	s_cbranch_vccz .LBB23_383
; %bb.376:
	v_bfe_i32 v7, v3, 0, 8
	v_mov_b32_e32 v10, 0x80
	s_mov_b32 s22, exec_lo
	s_delay_alu instid0(VALU_DEP_2) | instskip(NEXT) | instid1(VALU_DEP_1)
	v_bfe_i32 v7, v7, 0, 16
	v_cvt_f32_i32_e32 v7, v7
	s_delay_alu instid0(VALU_DEP_1) | instskip(NEXT) | instid1(VALU_DEP_1)
	v_and_b32_e32 v9, 0x7fffffff, v7
	v_cmpx_gt_u32_e32 0x47800000, v9
	s_cbranch_execz .LBB23_382
; %bb.377:
	v_cmp_lt_u32_e32 vcc_lo, 0x37ffffff, v9
	s_mov_b32 s23, 0
                                        ; implicit-def: $vgpr9
	s_and_saveexec_b32 s37, vcc_lo
	s_delay_alu instid0(SALU_CYCLE_1)
	s_xor_b32 s37, exec_lo, s37
	s_cbranch_execz .LBB23_554
; %bb.378:
	v_bfe_u32 v9, v7, 21, 1
	s_mov_b32 s23, exec_lo
	s_delay_alu instid0(VALU_DEP_1) | instskip(NEXT) | instid1(VALU_DEP_1)
	v_add3_u32 v9, v7, v9, 0x88fffff
	v_lshrrev_b32_e32 v9, 21, v9
	s_or_saveexec_b32 s37, s37
                                        ; implicit-def: $sgpr38
	s_delay_alu instid0(SALU_CYCLE_1)
	s_xor_b32 exec_lo, exec_lo, s37
	s_cbranch_execnz .LBB23_555
.LBB23_379:
	s_or_b32 exec_lo, exec_lo, s37
	v_mov_b32_e32 v10, s38
	s_and_saveexec_b32 s37, s23
.LBB23_380:
	v_lshrrev_b32_e32 v7, 24, v7
	s_delay_alu instid0(VALU_DEP_1)
	v_and_or_b32 v10, 0x80, v7, v9
.LBB23_381:
	s_or_b32 exec_lo, exec_lo, s37
.LBB23_382:
	s_delay_alu instid0(SALU_CYCLE_1)
	s_or_b32 exec_lo, exec_lo, s22
	s_mov_b32 s22, 0
	global_store_b8 v[1:2], v10, off
.LBB23_383:
	s_and_b32 vcc_lo, exec_lo, s22
	s_cbranch_vccz .LBB23_393
; %bb.384:
	v_bfe_i32 v7, v3, 0, 8
	s_mov_b32 s22, exec_lo
                                        ; implicit-def: $vgpr9
	s_delay_alu instid0(VALU_DEP_1) | instskip(NEXT) | instid1(VALU_DEP_1)
	v_bfe_i32 v7, v7, 0, 16
	v_cvt_f32_i32_e32 v7, v7
	s_delay_alu instid0(VALU_DEP_1) | instskip(NEXT) | instid1(VALU_DEP_1)
	v_and_b32_e32 v10, 0x7fffffff, v7
	v_cmpx_gt_u32_e32 0x43f00000, v10
	s_xor_b32 s22, exec_lo, s22
	s_cbranch_execz .LBB23_390
; %bb.385:
	s_mov_b32 s23, exec_lo
                                        ; implicit-def: $vgpr9
	v_cmpx_lt_u32_e32 0x3c7fffff, v10
	s_xor_b32 s23, exec_lo, s23
; %bb.386:
	v_bfe_u32 v9, v7, 20, 1
	s_delay_alu instid0(VALU_DEP_1) | instskip(NEXT) | instid1(VALU_DEP_1)
	v_add3_u32 v9, v7, v9, 0x407ffff
	v_and_b32_e32 v10, 0xff00000, v9
	v_lshrrev_b32_e32 v9, 20, v9
	s_delay_alu instid0(VALU_DEP_2) | instskip(NEXT) | instid1(VALU_DEP_2)
	v_cmp_ne_u32_e32 vcc_lo, 0x7f00000, v10
	v_cndmask_b32_e32 v9, 0x7e, v9, vcc_lo
; %bb.387:
	s_and_not1_saveexec_b32 s23, s23
; %bb.388:
	v_add_f32_e64 v9, 0x46800000, |v7|
; %bb.389:
	s_or_b32 exec_lo, exec_lo, s23
                                        ; implicit-def: $vgpr10
.LBB23_390:
	s_and_not1_saveexec_b32 s22, s22
; %bb.391:
	v_mov_b32_e32 v9, 0x7f
	v_cmp_lt_u32_e32 vcc_lo, 0x7f800000, v10
	s_delay_alu instid0(VALU_DEP_2)
	v_cndmask_b32_e32 v9, 0x7e, v9, vcc_lo
; %bb.392:
	s_or_b32 exec_lo, exec_lo, s22
	v_lshrrev_b32_e32 v7, 24, v7
	s_delay_alu instid0(VALU_DEP_1)
	v_and_or_b32 v7, 0x80, v7, v9
	global_store_b8 v[1:2], v7, off
.LBB23_393:
	s_mov_b32 s22, 0
.LBB23_394:
	s_delay_alu instid0(SALU_CYCLE_1)
	s_and_not1_b32 vcc_lo, exec_lo, s22
	s_cbranch_vccnz .LBB23_404
; %bb.395:
	v_bfe_i32 v7, v3, 0, 8
	s_mov_b32 s22, exec_lo
                                        ; implicit-def: $vgpr9
	s_delay_alu instid0(VALU_DEP_1) | instskip(NEXT) | instid1(VALU_DEP_1)
	v_bfe_i32 v7, v7, 0, 16
	v_cvt_f32_i32_e32 v7, v7
	s_delay_alu instid0(VALU_DEP_1) | instskip(NEXT) | instid1(VALU_DEP_1)
	v_and_b32_e32 v10, 0x7fffffff, v7
	v_cmpx_gt_u32_e32 0x47800000, v10
	s_xor_b32 s22, exec_lo, s22
	s_cbranch_execz .LBB23_401
; %bb.396:
	s_mov_b32 s23, exec_lo
                                        ; implicit-def: $vgpr9
	v_cmpx_lt_u32_e32 0x387fffff, v10
	s_xor_b32 s23, exec_lo, s23
; %bb.397:
	v_bfe_u32 v9, v7, 21, 1
	s_delay_alu instid0(VALU_DEP_1) | instskip(NEXT) | instid1(VALU_DEP_1)
	v_add3_u32 v9, v7, v9, 0x80fffff
	v_lshrrev_b32_e32 v9, 21, v9
; %bb.398:
	s_and_not1_saveexec_b32 s23, s23
; %bb.399:
	v_add_f32_e64 v9, 0x43000000, |v7|
; %bb.400:
	s_or_b32 exec_lo, exec_lo, s23
                                        ; implicit-def: $vgpr10
.LBB23_401:
	s_and_not1_saveexec_b32 s22, s22
; %bb.402:
	v_mov_b32_e32 v9, 0x7f
	v_cmp_lt_u32_e32 vcc_lo, 0x7f800000, v10
	s_delay_alu instid0(VALU_DEP_2)
	v_cndmask_b32_e32 v9, 0x7c, v9, vcc_lo
; %bb.403:
	s_or_b32 exec_lo, exec_lo, s22
	v_lshrrev_b32_e32 v7, 24, v7
	s_delay_alu instid0(VALU_DEP_1)
	v_and_or_b32 v7, 0x80, v7, v9
	global_store_b8 v[1:2], v7, off
.LBB23_404:
	s_mov_b32 s23, 0
	s_mov_b32 s22, -1
.LBB23_405:
	s_and_not1_b32 vcc_lo, exec_lo, s23
	s_cbranch_vccnz .LBB23_413
; %bb.406:
	v_cmp_lt_i16_e32 vcc_lo, 14, v4
	s_mov_b32 s23, -1
	s_cbranch_vccz .LBB23_410
; %bb.407:
	v_cmp_eq_u16_e32 vcc_lo, 15, v4
	s_mov_b32 s2, -1
	s_cbranch_vccz .LBB23_409
; %bb.408:
	v_bfe_i32 v7, v3, 0, 8
	s_mov_b32 s22, -1
	s_mov_b32 s2, 0
	s_delay_alu instid0(VALU_DEP_1) | instskip(NEXT) | instid1(VALU_DEP_1)
	v_bfe_i32 v7, v7, 0, 16
	v_cvt_f32_i32_e32 v7, v7
	s_delay_alu instid0(VALU_DEP_1) | instskip(NEXT) | instid1(VALU_DEP_1)
	v_bfe_u32 v9, v7, 16, 1
	v_add3_u32 v7, v7, v9, 0x7fff
	global_store_d16_hi_b16 v[1:2], v7, off
.LBB23_409:
	s_mov_b32 s23, 0
.LBB23_410:
	s_delay_alu instid0(SALU_CYCLE_1)
	s_and_b32 vcc_lo, exec_lo, s23
	s_cbranch_vccz .LBB23_413
; %bb.411:
	v_cmp_eq_u16_e32 vcc_lo, 11, v4
	s_mov_b32 s2, -1
	s_cbranch_vccz .LBB23_413
; %bb.412:
	v_and_b32_e32 v0, 0xff, v0
	s_mov_b32 s22, -1
	s_mov_b32 s2, 0
	s_delay_alu instid0(VALU_DEP_1)
	v_cmp_ne_u16_e32 vcc_lo, 0xff, v0
	v_cndmask_b32_e64 v0, 0, 1, vcc_lo
	global_store_b8 v[1:2], v0, off
.LBB23_413:
.LBB23_414:
	s_and_not1_b32 vcc_lo, exec_lo, s22
	s_cbranch_vccnz .LBB23_329
.LBB23_415:
	v_add_nc_u32_e32 v8, 0x80, v8
	s_mov_b32 s22, -1
	s_branch .LBB23_524
.LBB23_416:
	s_mov_b32 s3, -1
                                        ; implicit-def: $vgpr0
.LBB23_417:
	s_mov_b32 s22, 0
.LBB23_418:
	s_delay_alu instid0(SALU_CYCLE_1)
	s_and_b32 vcc_lo, exec_lo, s22
	s_cbranch_vccz .LBB23_422
; %bb.419:
	v_cmp_eq_u16_e32 vcc_lo, 29, v6
	s_cbranch_vccz .LBB23_421
; %bb.420:
	global_load_b64 v[0:1], v[3:4], off
	s_mov_b32 s2, -1
	s_mov_b32 s3, 0
	s_branch .LBB23_422
.LBB23_421:
	s_mov_b32 s3, -1
                                        ; implicit-def: $vgpr0
.LBB23_422:
	s_mov_b32 s22, 0
.LBB23_423:
	s_delay_alu instid0(SALU_CYCLE_1)
	s_and_b32 vcc_lo, exec_lo, s22
	s_cbranch_vccz .LBB23_439
; %bb.424:
	v_cmp_gt_i16_e32 vcc_lo, 27, v6
	s_cbranch_vccnz .LBB23_427
; %bb.425:
	v_cmp_lt_i16_e32 vcc_lo, 27, v6
	s_cbranch_vccz .LBB23_428
; %bb.426:
	global_load_b32 v0, v[3:4], off
	s_mov_b32 s2, 0
	s_branch .LBB23_429
.LBB23_427:
	s_mov_b32 s2, -1
                                        ; implicit-def: $vgpr0
	s_branch .LBB23_432
.LBB23_428:
	s_mov_b32 s2, -1
                                        ; implicit-def: $vgpr0
.LBB23_429:
	s_delay_alu instid0(SALU_CYCLE_1)
	s_and_not1_b32 vcc_lo, exec_lo, s2
	s_cbranch_vccnz .LBB23_431
; %bb.430:
	global_load_u16 v0, v[3:4], off
.LBB23_431:
	s_mov_b32 s2, 0
.LBB23_432:
	s_delay_alu instid0(SALU_CYCLE_1)
	s_and_not1_b32 vcc_lo, exec_lo, s2
	s_cbranch_vccnz .LBB23_438
; %bb.433:
	global_load_u8 v1, v[3:4], off
	s_mov_b32 s2, 0
	s_mov_b32 s22, exec_lo
                                        ; implicit-def: $sgpr23
	s_waitcnt vmcnt(0)
	v_cmpx_lt_i16_e32 0x7f, v1
	s_xor_b32 s22, exec_lo, s22
	s_cbranch_execz .LBB23_450
; %bb.434:
	v_cmp_ne_u16_e32 vcc_lo, 0x80, v1
	s_mov_b32 s23, 0
	s_and_b32 s2, vcc_lo, exec_lo
	s_or_saveexec_b32 s22, s22
	v_mov_b32_e32 v0, s23
	s_xor_b32 exec_lo, exec_lo, s22
	s_cbranch_execnz .LBB23_451
.LBB23_435:
	s_or_b32 exec_lo, exec_lo, s22
	s_and_saveexec_b32 s22, s2
	s_cbranch_execz .LBB23_437
.LBB23_436:
	v_and_b32_e32 v0, 0xffff, v1
	v_lshlrev_b32_e32 v1, 24, v1
	s_delay_alu instid0(VALU_DEP_2) | instskip(NEXT) | instid1(VALU_DEP_2)
	v_and_b32_e32 v7, 7, v0
	v_and_b32_e32 v1, 0x80000000, v1
	s_delay_alu instid0(VALU_DEP_2) | instskip(NEXT) | instid1(VALU_DEP_1)
	v_clz_i32_u32_e32 v9, v7
	v_min_u32_e32 v9, 32, v9
	s_delay_alu instid0(VALU_DEP_1) | instskip(SKIP_1) | instid1(VALU_DEP_2)
	v_subrev_nc_u32_e32 v10, 28, v9
	v_sub_nc_u32_e32 v9, 29, v9
	v_lshlrev_b32_e32 v10, v10, v0
	v_bfe_u32 v0, v0, 3, 4
	s_delay_alu instid0(VALU_DEP_2) | instskip(NEXT) | instid1(VALU_DEP_2)
	v_and_b32_e32 v10, 7, v10
	v_cmp_eq_u32_e32 vcc_lo, 0, v0
	s_delay_alu instid0(VALU_DEP_2) | instskip(NEXT) | instid1(VALU_DEP_1)
	v_dual_cndmask_b32 v0, v0, v9 :: v_dual_cndmask_b32 v7, v7, v10
	v_lshl_add_u32 v0, v0, 23, 0x3b800000
	s_delay_alu instid0(VALU_DEP_2) | instskip(NEXT) | instid1(VALU_DEP_1)
	v_lshlrev_b32_e32 v7, 20, v7
	v_or3_b32 v0, v1, v0, v7
	s_delay_alu instid0(VALU_DEP_1)
	v_cvt_i32_f32_e32 v0, v0
.LBB23_437:
	s_or_b32 exec_lo, exec_lo, s22
.LBB23_438:
	s_mov_b32 s2, -1
.LBB23_439:
	s_mov_b32 s22, 0
.LBB23_440:
	s_delay_alu instid0(SALU_CYCLE_1)
	s_and_b32 vcc_lo, exec_lo, s22
	s_cbranch_vccz .LBB23_473
; %bb.441:
	v_cmp_lt_i16_e32 vcc_lo, 22, v6
	s_cbranch_vccz .LBB23_449
; %bb.442:
	v_cmp_gt_i16_e32 vcc_lo, 24, v6
	s_cbranch_vccnz .LBB23_452
; %bb.443:
	v_cmp_lt_i16_e32 vcc_lo, 24, v6
	s_cbranch_vccz .LBB23_453
; %bb.444:
	global_load_u8 v1, v[3:4], off
	s_mov_b32 s2, 0
	s_mov_b32 s22, exec_lo
                                        ; implicit-def: $sgpr23
	s_waitcnt vmcnt(0)
	v_cmpx_lt_i16_e32 0x7f, v1
	s_xor_b32 s22, exec_lo, s22
	s_cbranch_execz .LBB23_465
; %bb.445:
	v_cmp_ne_u16_e32 vcc_lo, 0x80, v1
	s_mov_b32 s23, 0
	s_and_b32 s2, vcc_lo, exec_lo
	s_or_saveexec_b32 s22, s22
	v_mov_b32_e32 v0, s23
	s_xor_b32 exec_lo, exec_lo, s22
	s_cbranch_execnz .LBB23_466
.LBB23_446:
	s_or_b32 exec_lo, exec_lo, s22
	s_and_saveexec_b32 s22, s2
	s_cbranch_execz .LBB23_448
.LBB23_447:
	v_and_b32_e32 v0, 0xffff, v1
	v_lshlrev_b32_e32 v1, 24, v1
	s_delay_alu instid0(VALU_DEP_2) | instskip(NEXT) | instid1(VALU_DEP_2)
	v_and_b32_e32 v7, 3, v0
	v_and_b32_e32 v1, 0x80000000, v1
	s_delay_alu instid0(VALU_DEP_2) | instskip(NEXT) | instid1(VALU_DEP_1)
	v_clz_i32_u32_e32 v9, v7
	v_min_u32_e32 v9, 32, v9
	s_delay_alu instid0(VALU_DEP_1) | instskip(SKIP_1) | instid1(VALU_DEP_2)
	v_subrev_nc_u32_e32 v10, 29, v9
	v_sub_nc_u32_e32 v9, 30, v9
	v_lshlrev_b32_e32 v10, v10, v0
	v_bfe_u32 v0, v0, 2, 5
	s_delay_alu instid0(VALU_DEP_2) | instskip(NEXT) | instid1(VALU_DEP_2)
	v_and_b32_e32 v10, 3, v10
	v_cmp_eq_u32_e32 vcc_lo, 0, v0
	s_delay_alu instid0(VALU_DEP_2) | instskip(NEXT) | instid1(VALU_DEP_1)
	v_dual_cndmask_b32 v0, v0, v9 :: v_dual_cndmask_b32 v7, v7, v10
	v_lshl_add_u32 v0, v0, 23, 0x37800000
	s_delay_alu instid0(VALU_DEP_2) | instskip(NEXT) | instid1(VALU_DEP_1)
	v_lshlrev_b32_e32 v7, 21, v7
	v_or3_b32 v0, v1, v0, v7
	s_delay_alu instid0(VALU_DEP_1)
	v_cvt_i32_f32_e32 v0, v0
.LBB23_448:
	s_or_b32 exec_lo, exec_lo, s22
	s_mov_b32 s2, 0
	s_branch .LBB23_454
.LBB23_449:
	s_mov_b32 s22, -1
                                        ; implicit-def: $vgpr0
	s_branch .LBB23_460
.LBB23_450:
	s_or_saveexec_b32 s22, s22
	v_mov_b32_e32 v0, s23
	s_xor_b32 exec_lo, exec_lo, s22
	s_cbranch_execz .LBB23_435
.LBB23_451:
	v_cmp_ne_u16_e32 vcc_lo, 0, v1
	v_mov_b32_e32 v0, 0
	s_and_not1_b32 s2, s2, exec_lo
	s_and_b32 s23, vcc_lo, exec_lo
	s_delay_alu instid0(SALU_CYCLE_1)
	s_or_b32 s2, s2, s23
	s_or_b32 exec_lo, exec_lo, s22
	s_and_saveexec_b32 s22, s2
	s_cbranch_execnz .LBB23_436
	s_branch .LBB23_437
.LBB23_452:
	s_mov_b32 s2, -1
                                        ; implicit-def: $vgpr0
	s_branch .LBB23_457
.LBB23_453:
	s_mov_b32 s2, -1
                                        ; implicit-def: $vgpr0
.LBB23_454:
	s_delay_alu instid0(SALU_CYCLE_1)
	s_and_b32 vcc_lo, exec_lo, s2
	s_cbranch_vccz .LBB23_456
; %bb.455:
	global_load_u8 v0, v[3:4], off
	s_waitcnt vmcnt(0)
	v_lshlrev_b32_e32 v0, 24, v0
	s_delay_alu instid0(VALU_DEP_1) | instskip(NEXT) | instid1(VALU_DEP_1)
	v_and_b32_e32 v1, 0x7f000000, v0
	v_clz_i32_u32_e32 v7, v1
	v_add_nc_u32_e32 v10, 0x1000000, v1
	v_cmp_ne_u32_e32 vcc_lo, 0, v1
	s_delay_alu instid0(VALU_DEP_3) | instskip(NEXT) | instid1(VALU_DEP_1)
	v_min_u32_e32 v7, 32, v7
	v_sub_nc_u32_e64 v7, v7, 4 clamp
	s_delay_alu instid0(VALU_DEP_1) | instskip(SKIP_1) | instid1(VALU_DEP_2)
	v_lshlrev_b32_e32 v9, v7, v1
	v_lshlrev_b32_e32 v7, 23, v7
	v_lshrrev_b32_e32 v9, 4, v9
	s_delay_alu instid0(VALU_DEP_1) | instskip(SKIP_1) | instid1(VALU_DEP_2)
	v_sub_nc_u32_e32 v7, v9, v7
	v_ashrrev_i32_e32 v9, 8, v10
	v_add_nc_u32_e32 v7, 0x3c000000, v7
	s_delay_alu instid0(VALU_DEP_1) | instskip(NEXT) | instid1(VALU_DEP_1)
	v_and_or_b32 v7, 0x7f800000, v9, v7
	v_cndmask_b32_e32 v1, 0, v7, vcc_lo
	s_delay_alu instid0(VALU_DEP_1) | instskip(NEXT) | instid1(VALU_DEP_1)
	v_and_or_b32 v0, 0x80000000, v0, v1
	v_cvt_i32_f32_e32 v0, v0
.LBB23_456:
	s_mov_b32 s2, 0
.LBB23_457:
	s_delay_alu instid0(SALU_CYCLE_1)
	s_and_not1_b32 vcc_lo, exec_lo, s2
	s_cbranch_vccnz .LBB23_459
; %bb.458:
	global_load_u8 v0, v[3:4], off
	s_waitcnt vmcnt(0)
	v_lshlrev_b32_e32 v1, 25, v0
	v_lshlrev_b16 v0, 8, v0
	s_delay_alu instid0(VALU_DEP_2) | instskip(NEXT) | instid1(VALU_DEP_2)
	v_lshrrev_b32_e32 v7, 4, v1
	v_and_or_b32 v9, 0x7f00, v0, 0.5
	v_cmp_gt_u32_e32 vcc_lo, 0x8000000, v1
	v_bfe_i32 v0, v0, 0, 16
	s_delay_alu instid0(VALU_DEP_4) | instskip(NEXT) | instid1(VALU_DEP_4)
	v_or_b32_e32 v7, 0x70000000, v7
	v_add_f32_e32 v9, -0.5, v9
	s_delay_alu instid0(VALU_DEP_2) | instskip(NEXT) | instid1(VALU_DEP_1)
	v_mul_f32_e32 v7, 0x7800000, v7
	v_cndmask_b32_e32 v1, v7, v9, vcc_lo
	s_delay_alu instid0(VALU_DEP_1) | instskip(NEXT) | instid1(VALU_DEP_1)
	v_and_or_b32 v0, 0x80000000, v0, v1
	v_cvt_i32_f32_e32 v0, v0
.LBB23_459:
	s_mov_b32 s22, 0
	s_mov_b32 s2, -1
.LBB23_460:
	s_and_not1_b32 vcc_lo, exec_lo, s22
	s_cbranch_vccnz .LBB23_473
; %bb.461:
	v_cmp_lt_i16_e32 vcc_lo, 14, v6
	s_cbranch_vccz .LBB23_464
; %bb.462:
	v_cmp_eq_u16_e32 vcc_lo, 15, v6
	s_cbranch_vccz .LBB23_467
; %bb.463:
	global_load_u16 v0, v[3:4], off
	s_mov_b32 s2, -1
	s_mov_b32 s3, 0
	s_waitcnt vmcnt(0)
	v_lshlrev_b32_e32 v0, 16, v0
	s_delay_alu instid0(VALU_DEP_1)
	v_cvt_i32_f32_e32 v0, v0
	s_branch .LBB23_468
.LBB23_464:
	s_mov_b32 s22, -1
                                        ; implicit-def: $vgpr0
	s_branch .LBB23_469
.LBB23_465:
	s_or_saveexec_b32 s22, s22
	v_mov_b32_e32 v0, s23
	s_xor_b32 exec_lo, exec_lo, s22
	s_cbranch_execz .LBB23_446
.LBB23_466:
	v_cmp_ne_u16_e32 vcc_lo, 0, v1
	v_mov_b32_e32 v0, 0
	s_and_not1_b32 s2, s2, exec_lo
	s_and_b32 s23, vcc_lo, exec_lo
	s_delay_alu instid0(SALU_CYCLE_1)
	s_or_b32 s2, s2, s23
	s_or_b32 exec_lo, exec_lo, s22
	s_and_saveexec_b32 s22, s2
	s_cbranch_execnz .LBB23_447
	s_branch .LBB23_448
.LBB23_467:
	s_mov_b32 s3, -1
                                        ; implicit-def: $vgpr0
.LBB23_468:
	s_mov_b32 s22, 0
.LBB23_469:
	s_delay_alu instid0(SALU_CYCLE_1)
	s_and_b32 vcc_lo, exec_lo, s22
	s_cbranch_vccz .LBB23_473
; %bb.470:
	v_cmp_eq_u16_e32 vcc_lo, 11, v6
	s_cbranch_vccz .LBB23_472
; %bb.471:
	global_load_u8 v0, v[3:4], off
	s_mov_b32 s3, 0
	s_mov_b32 s2, -1
	s_waitcnt vmcnt(0)
	v_cmp_ne_u16_e32 vcc_lo, 0, v0
	v_cndmask_b32_e64 v0, 0, 1, vcc_lo
	s_branch .LBB23_473
.LBB23_472:
	s_mov_b32 s3, -1
                                        ; implicit-def: $vgpr0
.LBB23_473:
	s_branch .LBB23_282
.LBB23_474:
	v_cmp_gt_i16_e32 vcc_lo, 5, v6
	s_cbranch_vccnz .LBB23_479
; %bb.475:
	v_cmp_gt_i16_e32 vcc_lo, 8, v6
	s_cbranch_vccnz .LBB23_480
; %bb.476:
	;; [unrolled: 3-line block ×3, first 2 shown]
	v_cmp_lt_i16_e32 vcc_lo, 9, v6
	s_cbranch_vccz .LBB23_482
; %bb.478:
	global_load_b64 v[0:1], v[3:4], off
	s_mov_b32 s2, 0
	s_waitcnt vmcnt(0)
	v_cvt_i32_f64_e32 v0, v[0:1]
	s_branch .LBB23_483
.LBB23_479:
	s_mov_b32 s2, -1
                                        ; implicit-def: $vgpr0
	s_branch .LBB23_501
.LBB23_480:
	s_mov_b32 s2, -1
                                        ; implicit-def: $vgpr0
	s_branch .LBB23_489
.LBB23_481:
	s_mov_b32 s2, -1
                                        ; implicit-def: $vgpr0
	s_branch .LBB23_486
.LBB23_482:
	s_mov_b32 s2, -1
                                        ; implicit-def: $vgpr0
.LBB23_483:
	s_delay_alu instid0(SALU_CYCLE_1)
	s_and_not1_b32 vcc_lo, exec_lo, s2
	s_cbranch_vccnz .LBB23_485
; %bb.484:
	global_load_b32 v0, v[3:4], off
	s_waitcnt vmcnt(0)
	v_cvt_i32_f32_e32 v0, v0
.LBB23_485:
	s_mov_b32 s2, 0
.LBB23_486:
	s_delay_alu instid0(SALU_CYCLE_1)
	s_and_not1_b32 vcc_lo, exec_lo, s2
	s_cbranch_vccnz .LBB23_488
; %bb.487:
	global_load_b32 v0, v[3:4], off
	s_waitcnt vmcnt(0)
	v_cvt_i16_f16_e32 v0, v0
.LBB23_488:
	s_mov_b32 s2, 0
.LBB23_489:
	s_delay_alu instid0(SALU_CYCLE_1)
	s_and_not1_b32 vcc_lo, exec_lo, s2
	s_cbranch_vccnz .LBB23_500
; %bb.490:
	v_cmp_gt_i16_e32 vcc_lo, 6, v6
	s_cbranch_vccnz .LBB23_493
; %bb.491:
	v_cmp_lt_i16_e32 vcc_lo, 6, v6
	s_cbranch_vccz .LBB23_494
; %bb.492:
	global_load_b64 v[0:1], v[3:4], off
	s_mov_b32 s2, 0
	s_waitcnt vmcnt(0)
	v_cvt_i32_f64_e32 v0, v[0:1]
	s_branch .LBB23_495
.LBB23_493:
	s_mov_b32 s2, -1
                                        ; implicit-def: $vgpr0
	s_branch .LBB23_498
.LBB23_494:
	s_mov_b32 s2, -1
                                        ; implicit-def: $vgpr0
.LBB23_495:
	s_delay_alu instid0(SALU_CYCLE_1)
	s_and_not1_b32 vcc_lo, exec_lo, s2
	s_cbranch_vccnz .LBB23_497
; %bb.496:
	global_load_b32 v0, v[3:4], off
	s_waitcnt vmcnt(0)
	v_cvt_i32_f32_e32 v0, v0
.LBB23_497:
	s_mov_b32 s2, 0
.LBB23_498:
	s_delay_alu instid0(SALU_CYCLE_1)
	s_and_not1_b32 vcc_lo, exec_lo, s2
	s_cbranch_vccnz .LBB23_500
; %bb.499:
	global_load_u16 v0, v[3:4], off
	s_waitcnt vmcnt(0)
	v_cvt_i16_f16_e32 v0, v0
.LBB23_500:
	s_mov_b32 s2, 0
.LBB23_501:
	s_delay_alu instid0(SALU_CYCLE_1)
	s_and_not1_b32 vcc_lo, exec_lo, s2
	s_cbranch_vccnz .LBB23_521
; %bb.502:
	v_cmp_gt_i16_e32 vcc_lo, 2, v6
	s_cbranch_vccnz .LBB23_506
; %bb.503:
	v_cmp_gt_i16_e32 vcc_lo, 3, v6
	s_cbranch_vccnz .LBB23_507
; %bb.504:
	v_cmp_lt_i16_e32 vcc_lo, 3, v6
	s_cbranch_vccz .LBB23_508
; %bb.505:
	global_load_b64 v[0:1], v[3:4], off
	s_mov_b32 s2, 0
	s_branch .LBB23_509
.LBB23_506:
	s_mov_b32 s2, -1
                                        ; implicit-def: $vgpr0
	s_branch .LBB23_515
.LBB23_507:
	s_mov_b32 s2, -1
                                        ; implicit-def: $vgpr0
	s_branch .LBB23_512
.LBB23_508:
	s_mov_b32 s2, -1
                                        ; implicit-def: $vgpr0
.LBB23_509:
	s_delay_alu instid0(SALU_CYCLE_1)
	s_and_not1_b32 vcc_lo, exec_lo, s2
	s_cbranch_vccnz .LBB23_511
; %bb.510:
	global_load_b32 v0, v[3:4], off
.LBB23_511:
	s_mov_b32 s2, 0
.LBB23_512:
	s_delay_alu instid0(SALU_CYCLE_1)
	s_and_not1_b32 vcc_lo, exec_lo, s2
	s_cbranch_vccnz .LBB23_514
; %bb.513:
	global_load_u16 v0, v[3:4], off
.LBB23_514:
	s_mov_b32 s2, 0
.LBB23_515:
	s_delay_alu instid0(SALU_CYCLE_1)
	s_and_not1_b32 vcc_lo, exec_lo, s2
	s_cbranch_vccnz .LBB23_521
; %bb.516:
	v_cmp_lt_i16_e32 vcc_lo, 0, v6
	s_mov_b32 s2, 0
	s_cbranch_vccz .LBB23_518
; %bb.517:
	global_load_u8 v0, v[3:4], off
	s_branch .LBB23_519
.LBB23_518:
	s_mov_b32 s2, -1
                                        ; implicit-def: $vgpr0
.LBB23_519:
	s_delay_alu instid0(SALU_CYCLE_1)
	s_and_not1_b32 vcc_lo, exec_lo, s2
	s_cbranch_vccnz .LBB23_521
; %bb.520:
	global_load_u8 v0, v[3:4], off
.LBB23_521:
	s_branch .LBB23_283
.LBB23_522:
	s_mov_b32 s22, 0
	s_mov_b32 s2, s34
.LBB23_523:
                                        ; implicit-def: $vgpr8
.LBB23_524:
	s_and_not1_b32 s23, s34, exec_lo
	s_and_b32 s2, s2, exec_lo
	s_and_not1_b32 s37, s35, exec_lo
	s_and_b32 s3, s3, exec_lo
	s_or_b32 s38, s23, s2
	s_or_b32 s37, s37, s3
	s_or_not1_b32 s2, s22, exec_lo
.LBB23_525:
	s_or_b32 exec_lo, exec_lo, s39
	s_mov_b32 s3, 0
	s_mov_b32 s23, 0
	s_mov_b32 s40, 0
                                        ; implicit-def: $vgpr3_vgpr4
                                        ; implicit-def: $vgpr2
                                        ; implicit-def: $vgpr0
	s_and_saveexec_b32 s39, s2
	s_cbranch_execz .LBB23_889
; %bb.526:
	s_mov_b32 s42, -1
	s_mov_b32 s22, s37
	s_mov_b32 s23, s38
	s_mov_b32 s40, exec_lo
	v_cmpx_gt_i32_e64 s30, v8
	s_cbranch_execz .LBB23_794
; %bb.527:
	s_and_not1_b32 vcc_lo, exec_lo, s27
	s_cbranch_vccnz .LBB23_532
; %bb.528:
	v_mov_b32_e32 v2, 0
	s_waitcnt vmcnt(0)
	v_mov_b32_e32 v0, 0
	s_and_not1_b32 vcc_lo, exec_lo, s33
	s_mov_b32 s41, 0
	s_cbranch_vccnz .LBB23_537
; %bb.529:
	v_mov_b32_e32 v2, 0
	s_add_i32 s43, s31, 1
	s_cmp_eq_u32 s25, 2
	s_mov_b32 s42, 0
	s_cbranch_scc1 .LBB23_533
; %bb.530:
	v_dual_mov_b32 v0, 0 :: v_dual_mov_b32 v1, v8
	v_mov_b32_e32 v2, 0
	s_and_b32 s42, s43, 28
	s_mov_b32 s44, 0
	s_mov_b64 s[2:3], s[20:21]
	s_mov_b64 s[22:23], s[16:17]
.LBB23_531:                             ; =>This Inner Loop Header: Depth=1
	s_clause 0x1
	s_load_b256 s[48:55], s[22:23], 0x4
	s_load_b128 s[64:67], s[22:23], 0x24
	s_load_b256 s[56:63], s[2:3], 0x0
	s_add_u32 s22, s22, 48
	s_addc_u32 s23, s23, 0
	s_add_i32 s44, s44, 4
	s_add_u32 s2, s2, 32
	s_addc_u32 s3, s3, 0
	s_cmp_eq_u32 s42, s44
	s_waitcnt lgkmcnt(0)
	v_mul_hi_u32 v3, s49, v1
	s_delay_alu instid0(VALU_DEP_1) | instskip(NEXT) | instid1(VALU_DEP_1)
	v_add_nc_u32_e32 v3, v1, v3
	v_lshrrev_b32_e32 v3, s50, v3
	s_delay_alu instid0(VALU_DEP_1) | instskip(SKIP_1) | instid1(VALU_DEP_2)
	v_mul_hi_u32 v4, s52, v3
	v_mul_lo_u32 v9, v3, s48
	v_add_nc_u32_e32 v4, v3, v4
	s_delay_alu instid0(VALU_DEP_2) | instskip(NEXT) | instid1(VALU_DEP_2)
	v_sub_nc_u32_e32 v1, v1, v9
	v_lshrrev_b32_e32 v4, s53, v4
	s_delay_alu instid0(VALU_DEP_2) | instskip(SKIP_1) | instid1(VALU_DEP_3)
	v_mul_lo_u32 v9, v1, s56
	v_mul_lo_u32 v11, v1, s57
	v_mul_hi_u32 v7, s55, v4
	s_delay_alu instid0(VALU_DEP_1) | instskip(NEXT) | instid1(VALU_DEP_1)
	v_add_nc_u32_e32 v7, v4, v7
	v_lshrrev_b32_e32 v7, s64, v7
	s_delay_alu instid0(VALU_DEP_1) | instskip(SKIP_1) | instid1(VALU_DEP_2)
	v_mul_hi_u32 v10, s66, v7
	v_mul_lo_u32 v12, v7, s54
	v_add_nc_u32_e32 v1, v7, v10
	v_mul_lo_u32 v10, v4, s51
	s_delay_alu instid0(VALU_DEP_3) | instskip(NEXT) | instid1(VALU_DEP_3)
	v_sub_nc_u32_e32 v4, v4, v12
	v_lshrrev_b32_e32 v1, s67, v1
	s_delay_alu instid0(VALU_DEP_2) | instskip(SKIP_2) | instid1(VALU_DEP_4)
	v_mul_lo_u32 v12, v4, s60
	v_mul_lo_u32 v4, v4, s61
	v_sub_nc_u32_e32 v3, v3, v10
	v_mul_lo_u32 v13, v1, s65
	s_delay_alu instid0(VALU_DEP_2) | instskip(SKIP_1) | instid1(VALU_DEP_3)
	v_mul_lo_u32 v10, v3, s58
	v_mul_lo_u32 v3, v3, s59
	v_sub_nc_u32_e32 v7, v7, v13
	s_delay_alu instid0(VALU_DEP_3) | instskip(NEXT) | instid1(VALU_DEP_2)
	v_add3_u32 v2, v9, v2, v10
	v_mul_lo_u32 v13, v7, s62
	v_mul_lo_u32 v7, v7, s63
	v_add3_u32 v0, v11, v0, v3
	s_delay_alu instid0(VALU_DEP_3) | instskip(NEXT) | instid1(VALU_DEP_2)
	v_add3_u32 v2, v12, v2, v13
	v_add3_u32 v0, v4, v0, v7
	s_cbranch_scc0 .LBB23_531
	s_branch .LBB23_534
.LBB23_532:
	s_mov_b32 s41, -1
                                        ; implicit-def: $vgpr2
                                        ; implicit-def: $vgpr0
	s_branch .LBB23_537
.LBB23_533:
	v_dual_mov_b32 v1, v8 :: v_dual_mov_b32 v0, 0
.LBB23_534:
	s_and_b32 s43, s43, 3
	s_delay_alu instid0(SALU_CYCLE_1)
	s_cmp_eq_u32 s43, 0
	s_cbranch_scc1 .LBB23_537
; %bb.535:
	s_lshl_b32 s2, s42, 3
	s_mul_i32 s22, s42, 12
	s_add_u32 s2, s2, s16
	s_addc_u32 s3, s17, 0
	s_add_u32 s2, s2, 0xc4
	s_addc_u32 s3, s3, 0
	;; [unrolled: 2-line block ×3, first 2 shown]
	.p2align	6
.LBB23_536:                             ; =>This Inner Loop Header: Depth=1
	s_clause 0x1
	s_load_b64 s[44:45], s[22:23], 0x4
	s_load_b32 s42, s[22:23], 0xc
	s_load_b64 s[46:47], s[2:3], 0x0
	s_add_u32 s22, s22, 12
	s_addc_u32 s23, s23, 0
	s_add_u32 s2, s2, 8
	s_addc_u32 s3, s3, 0
	s_add_i32 s43, s43, -1
	s_delay_alu instid0(SALU_CYCLE_1) | instskip(SKIP_2) | instid1(VALU_DEP_1)
	s_cmp_lg_u32 s43, 0
	s_waitcnt lgkmcnt(0)
	v_mul_hi_u32 v3, s45, v1
	v_add_nc_u32_e32 v3, v1, v3
	s_delay_alu instid0(VALU_DEP_1) | instskip(NEXT) | instid1(VALU_DEP_1)
	v_lshrrev_b32_e32 v7, s42, v3
	v_mul_lo_u32 v3, v7, s44
	s_delay_alu instid0(VALU_DEP_1) | instskip(NEXT) | instid1(VALU_DEP_1)
	v_sub_nc_u32_e32 v1, v1, v3
	v_mad_u64_u32 v[3:4], null, v1, s46, v[2:3]
	v_mad_u64_u32 v[9:10], null, v1, s47, v[0:1]
	v_mov_b32_e32 v1, v7
	s_delay_alu instid0(VALU_DEP_3) | instskip(NEXT) | instid1(VALU_DEP_3)
	v_mov_b32_e32 v2, v3
	v_mov_b32_e32 v0, v9
	s_cbranch_scc1 .LBB23_536
.LBB23_537:
	s_and_not1_b32 vcc_lo, exec_lo, s41
	s_cbranch_vccnz .LBB23_540
; %bb.538:
	s_waitcnt vmcnt(0) lgkmcnt(0)
	v_mul_hi_u32 v0, s13, v8
	s_and_not1_b32 vcc_lo, exec_lo, s29
	s_delay_alu instid0(VALU_DEP_1) | instskip(NEXT) | instid1(VALU_DEP_1)
	v_add_nc_u32_e32 v0, v8, v0
	v_lshrrev_b32_e32 v1, s14, v0
	s_delay_alu instid0(VALU_DEP_1) | instskip(NEXT) | instid1(VALU_DEP_1)
	v_mul_lo_u32 v0, v1, s12
	v_sub_nc_u32_e32 v0, v8, v0
	s_delay_alu instid0(VALU_DEP_1)
	v_mul_lo_u32 v2, v0, s8
	v_mul_lo_u32 v0, v0, s9
	s_cbranch_vccnz .LBB23_540
; %bb.539:
	v_mul_hi_u32 v3, s18, v1
	s_delay_alu instid0(VALU_DEP_1) | instskip(NEXT) | instid1(VALU_DEP_1)
	v_add_nc_u32_e32 v3, v1, v3
	v_lshrrev_b32_e32 v3, s19, v3
	s_delay_alu instid0(VALU_DEP_1) | instskip(NEXT) | instid1(VALU_DEP_1)
	v_mul_lo_u32 v3, v3, s15
	v_sub_nc_u32_e32 v7, v1, v3
	s_delay_alu instid0(VALU_DEP_1) | instskip(SKIP_1) | instid1(VALU_DEP_2)
	v_mad_u64_u32 v[3:4], null, v7, s10, v[2:3]
	v_mad_u64_u32 v[1:2], null, v7, s11, v[0:1]
	v_mov_b32_e32 v2, v3
	s_delay_alu instid0(VALU_DEP_2)
	v_mov_b32_e32 v0, v1
.LBB23_540:
	v_cmp_gt_i16_e32 vcc_lo, 11, v6
	s_waitcnt vmcnt(0) lgkmcnt(0)
	s_delay_alu instid0(VALU_DEP_2) | instskip(NEXT) | instid1(VALU_DEP_1)
	v_add_co_u32 v3, s2, s6, v0
	v_add_co_ci_u32_e64 v4, null, s7, 0, s2
	s_mov_b32 s2, 0
	s_cbranch_vccnz .LBB23_547
; %bb.541:
	v_cmp_lt_i16_e32 vcc_lo, 25, v6
	s_cbranch_vccz .LBB23_548
; %bb.542:
	v_cmp_lt_i16_e32 vcc_lo, 28, v6
	s_cbranch_vccz .LBB23_549
	;; [unrolled: 3-line block ×4, first 2 shown]
; %bb.545:
	v_cmp_eq_u16_e32 vcc_lo, 46, v6
	s_mov_b32 s22, 0
	s_cbranch_vccz .LBB23_556
; %bb.546:
	global_load_b32 v0, v[3:4], off
	s_mov_b32 s2, -1
	s_mov_b32 s3, 0
	s_waitcnt vmcnt(0)
	v_lshlrev_b32_e32 v0, 16, v0
	s_delay_alu instid0(VALU_DEP_1)
	v_cvt_i32_f32_e32 v0, v0
	s_branch .LBB23_558
.LBB23_547:
	s_mov_b32 s22, -1
	s_mov_b32 s3, s37
                                        ; implicit-def: $vgpr0
	s_branch .LBB23_619
.LBB23_548:
	s_mov_b32 s22, -1
	s_mov_b32 s3, s37
                                        ; implicit-def: $vgpr0
	s_branch .LBB23_585
.LBB23_549:
	s_mov_b32 s22, -1
	s_mov_b32 s3, s37
                                        ; implicit-def: $vgpr0
	s_branch .LBB23_568
.LBB23_550:
	s_mov_b32 s22, -1
	s_mov_b32 s3, s37
                                        ; implicit-def: $vgpr0
	s_branch .LBB23_563
.LBB23_551:
	s_or_saveexec_b32 s37, s37
                                        ; implicit-def: $sgpr38
	s_delay_alu instid0(SALU_CYCLE_1)
	s_xor_b32 exec_lo, exec_lo, s37
	s_cbranch_execz .LBB23_366
.LBB23_552:
	v_add_f32_e64 v9, 0x46000000, |v7|
	s_and_not1_b32 s23, s23, exec_lo
	s_mov_b32 s38, 0
	s_delay_alu instid0(VALU_DEP_1) | instskip(NEXT) | instid1(VALU_DEP_1)
	v_and_b32_e32 v9, 0xff, v9
	v_cmp_ne_u32_e32 vcc_lo, 0, v9
	s_and_b32 s40, vcc_lo, exec_lo
	s_delay_alu instid0(SALU_CYCLE_1)
	s_or_b32 s23, s23, s40
	s_or_b32 exec_lo, exec_lo, s37
	v_mov_b32_e32 v10, s38
	s_and_saveexec_b32 s37, s23
	s_cbranch_execnz .LBB23_367
	s_branch .LBB23_368
.LBB23_553:
	s_mov_b32 s22, -1
	s_mov_b32 s3, s37
	s_branch .LBB23_557
.LBB23_554:
	s_or_saveexec_b32 s37, s37
                                        ; implicit-def: $sgpr38
	s_delay_alu instid0(SALU_CYCLE_1)
	s_xor_b32 exec_lo, exec_lo, s37
	s_cbranch_execz .LBB23_379
.LBB23_555:
	v_add_f32_e64 v9, 0x42800000, |v7|
	s_and_not1_b32 s23, s23, exec_lo
	s_mov_b32 s38, 0
	s_delay_alu instid0(VALU_DEP_1) | instskip(NEXT) | instid1(VALU_DEP_1)
	v_and_b32_e32 v9, 0xff, v9
	v_cmp_ne_u32_e32 vcc_lo, 0, v9
	s_and_b32 s40, vcc_lo, exec_lo
	s_delay_alu instid0(SALU_CYCLE_1)
	s_or_b32 s23, s23, s40
	s_or_b32 exec_lo, exec_lo, s37
	v_mov_b32_e32 v10, s38
	s_and_saveexec_b32 s37, s23
	s_cbranch_execnz .LBB23_380
	s_branch .LBB23_381
.LBB23_556:
	s_mov_b32 s3, -1
.LBB23_557:
                                        ; implicit-def: $vgpr0
.LBB23_558:
	s_and_b32 vcc_lo, exec_lo, s22
	s_cbranch_vccz .LBB23_562
; %bb.559:
	v_cmp_eq_u16_e32 vcc_lo, 44, v6
	s_cbranch_vccz .LBB23_561
; %bb.560:
	global_load_u8 v0, v[3:4], off
	s_mov_b32 s3, 0
	s_mov_b32 s2, -1
	s_waitcnt vmcnt(0)
	v_lshlrev_b32_e32 v1, 23, v0
	v_cmp_ne_u32_e32 vcc_lo, 0, v0
	s_delay_alu instid0(VALU_DEP_2) | instskip(NEXT) | instid1(VALU_DEP_1)
	v_cvt_i32_f32_e32 v1, v1
	v_cndmask_b32_e32 v0, 0, v1, vcc_lo
	s_branch .LBB23_562
.LBB23_561:
	s_mov_b32 s3, -1
                                        ; implicit-def: $vgpr0
.LBB23_562:
	s_mov_b32 s22, 0
.LBB23_563:
	s_delay_alu instid0(SALU_CYCLE_1)
	s_and_b32 vcc_lo, exec_lo, s22
	s_cbranch_vccz .LBB23_567
; %bb.564:
	v_cmp_eq_u16_e32 vcc_lo, 29, v6
	s_cbranch_vccz .LBB23_566
; %bb.565:
	global_load_b64 v[0:1], v[3:4], off
	s_mov_b32 s2, -1
	s_mov_b32 s3, 0
	s_branch .LBB23_567
.LBB23_566:
	s_mov_b32 s3, -1
                                        ; implicit-def: $vgpr0
.LBB23_567:
	s_mov_b32 s22, 0
.LBB23_568:
	s_delay_alu instid0(SALU_CYCLE_1)
	s_and_b32 vcc_lo, exec_lo, s22
	s_cbranch_vccz .LBB23_584
; %bb.569:
	v_cmp_gt_i16_e32 vcc_lo, 27, v6
	s_cbranch_vccnz .LBB23_572
; %bb.570:
	v_cmp_lt_i16_e32 vcc_lo, 27, v6
	s_cbranch_vccz .LBB23_573
; %bb.571:
	global_load_b32 v0, v[3:4], off
	s_mov_b32 s2, 0
	s_branch .LBB23_574
.LBB23_572:
	s_mov_b32 s2, -1
                                        ; implicit-def: $vgpr0
	s_branch .LBB23_577
.LBB23_573:
	s_mov_b32 s2, -1
                                        ; implicit-def: $vgpr0
.LBB23_574:
	s_delay_alu instid0(SALU_CYCLE_1)
	s_and_not1_b32 vcc_lo, exec_lo, s2
	s_cbranch_vccnz .LBB23_576
; %bb.575:
	global_load_u16 v0, v[3:4], off
.LBB23_576:
	s_mov_b32 s2, 0
.LBB23_577:
	s_delay_alu instid0(SALU_CYCLE_1)
	s_and_not1_b32 vcc_lo, exec_lo, s2
	s_cbranch_vccnz .LBB23_583
; %bb.578:
	global_load_u8 v1, v[3:4], off
	s_mov_b32 s2, 0
	s_mov_b32 s22, exec_lo
                                        ; implicit-def: $sgpr23
	s_waitcnt vmcnt(0)
	v_cmpx_lt_i16_e32 0x7f, v1
	s_xor_b32 s22, exec_lo, s22
	s_cbranch_execz .LBB23_595
; %bb.579:
	v_cmp_ne_u16_e32 vcc_lo, 0x80, v1
	s_mov_b32 s23, 0
	s_and_b32 s2, vcc_lo, exec_lo
	s_or_saveexec_b32 s22, s22
	v_mov_b32_e32 v0, s23
	s_xor_b32 exec_lo, exec_lo, s22
	s_cbranch_execnz .LBB23_596
.LBB23_580:
	s_or_b32 exec_lo, exec_lo, s22
	s_and_saveexec_b32 s22, s2
	s_cbranch_execz .LBB23_582
.LBB23_581:
	v_and_b32_e32 v0, 0xffff, v1
	v_lshlrev_b32_e32 v1, 24, v1
	s_delay_alu instid0(VALU_DEP_2) | instskip(NEXT) | instid1(VALU_DEP_2)
	v_and_b32_e32 v7, 7, v0
	v_and_b32_e32 v1, 0x80000000, v1
	s_delay_alu instid0(VALU_DEP_2) | instskip(NEXT) | instid1(VALU_DEP_1)
	v_clz_i32_u32_e32 v9, v7
	v_min_u32_e32 v9, 32, v9
	s_delay_alu instid0(VALU_DEP_1) | instskip(SKIP_1) | instid1(VALU_DEP_2)
	v_subrev_nc_u32_e32 v10, 28, v9
	v_sub_nc_u32_e32 v9, 29, v9
	v_lshlrev_b32_e32 v10, v10, v0
	v_bfe_u32 v0, v0, 3, 4
	s_delay_alu instid0(VALU_DEP_2) | instskip(NEXT) | instid1(VALU_DEP_2)
	v_and_b32_e32 v10, 7, v10
	v_cmp_eq_u32_e32 vcc_lo, 0, v0
	s_delay_alu instid0(VALU_DEP_2) | instskip(NEXT) | instid1(VALU_DEP_1)
	v_dual_cndmask_b32 v0, v0, v9 :: v_dual_cndmask_b32 v7, v7, v10
	v_lshl_add_u32 v0, v0, 23, 0x3b800000
	s_delay_alu instid0(VALU_DEP_2) | instskip(NEXT) | instid1(VALU_DEP_1)
	v_lshlrev_b32_e32 v7, 20, v7
	v_or3_b32 v0, v1, v0, v7
	s_delay_alu instid0(VALU_DEP_1)
	v_cvt_i32_f32_e32 v0, v0
.LBB23_582:
	s_or_b32 exec_lo, exec_lo, s22
.LBB23_583:
	s_mov_b32 s2, -1
.LBB23_584:
	s_mov_b32 s22, 0
.LBB23_585:
	s_delay_alu instid0(SALU_CYCLE_1)
	s_and_b32 vcc_lo, exec_lo, s22
	s_cbranch_vccz .LBB23_618
; %bb.586:
	v_cmp_lt_i16_e32 vcc_lo, 22, v6
	s_cbranch_vccz .LBB23_594
; %bb.587:
	v_cmp_gt_i16_e32 vcc_lo, 24, v6
	s_cbranch_vccnz .LBB23_597
; %bb.588:
	v_cmp_lt_i16_e32 vcc_lo, 24, v6
	s_cbranch_vccz .LBB23_598
; %bb.589:
	global_load_u8 v1, v[3:4], off
	s_mov_b32 s2, 0
	s_mov_b32 s22, exec_lo
                                        ; implicit-def: $sgpr23
	s_waitcnt vmcnt(0)
	v_cmpx_lt_i16_e32 0x7f, v1
	s_xor_b32 s22, exec_lo, s22
	s_cbranch_execz .LBB23_610
; %bb.590:
	v_cmp_ne_u16_e32 vcc_lo, 0x80, v1
	s_mov_b32 s23, 0
	s_and_b32 s2, vcc_lo, exec_lo
	s_or_saveexec_b32 s22, s22
	v_mov_b32_e32 v0, s23
	s_xor_b32 exec_lo, exec_lo, s22
	s_cbranch_execnz .LBB23_611
.LBB23_591:
	s_or_b32 exec_lo, exec_lo, s22
	s_and_saveexec_b32 s22, s2
	s_cbranch_execz .LBB23_593
.LBB23_592:
	v_and_b32_e32 v0, 0xffff, v1
	v_lshlrev_b32_e32 v1, 24, v1
	s_delay_alu instid0(VALU_DEP_2) | instskip(NEXT) | instid1(VALU_DEP_2)
	v_and_b32_e32 v7, 3, v0
	v_and_b32_e32 v1, 0x80000000, v1
	s_delay_alu instid0(VALU_DEP_2) | instskip(NEXT) | instid1(VALU_DEP_1)
	v_clz_i32_u32_e32 v9, v7
	v_min_u32_e32 v9, 32, v9
	s_delay_alu instid0(VALU_DEP_1) | instskip(SKIP_1) | instid1(VALU_DEP_2)
	v_subrev_nc_u32_e32 v10, 29, v9
	v_sub_nc_u32_e32 v9, 30, v9
	v_lshlrev_b32_e32 v10, v10, v0
	v_bfe_u32 v0, v0, 2, 5
	s_delay_alu instid0(VALU_DEP_2) | instskip(NEXT) | instid1(VALU_DEP_2)
	v_and_b32_e32 v10, 3, v10
	v_cmp_eq_u32_e32 vcc_lo, 0, v0
	s_delay_alu instid0(VALU_DEP_2) | instskip(NEXT) | instid1(VALU_DEP_1)
	v_dual_cndmask_b32 v0, v0, v9 :: v_dual_cndmask_b32 v7, v7, v10
	v_lshl_add_u32 v0, v0, 23, 0x37800000
	s_delay_alu instid0(VALU_DEP_2) | instskip(NEXT) | instid1(VALU_DEP_1)
	v_lshlrev_b32_e32 v7, 21, v7
	v_or3_b32 v0, v1, v0, v7
	s_delay_alu instid0(VALU_DEP_1)
	v_cvt_i32_f32_e32 v0, v0
.LBB23_593:
	s_or_b32 exec_lo, exec_lo, s22
	s_mov_b32 s2, 0
	s_branch .LBB23_599
.LBB23_594:
	s_mov_b32 s22, -1
                                        ; implicit-def: $vgpr0
	s_branch .LBB23_605
.LBB23_595:
	s_or_saveexec_b32 s22, s22
	v_mov_b32_e32 v0, s23
	s_xor_b32 exec_lo, exec_lo, s22
	s_cbranch_execz .LBB23_580
.LBB23_596:
	v_cmp_ne_u16_e32 vcc_lo, 0, v1
	v_mov_b32_e32 v0, 0
	s_and_not1_b32 s2, s2, exec_lo
	s_and_b32 s23, vcc_lo, exec_lo
	s_delay_alu instid0(SALU_CYCLE_1)
	s_or_b32 s2, s2, s23
	s_or_b32 exec_lo, exec_lo, s22
	s_and_saveexec_b32 s22, s2
	s_cbranch_execnz .LBB23_581
	s_branch .LBB23_582
.LBB23_597:
	s_mov_b32 s2, -1
                                        ; implicit-def: $vgpr0
	s_branch .LBB23_602
.LBB23_598:
	s_mov_b32 s2, -1
                                        ; implicit-def: $vgpr0
.LBB23_599:
	s_delay_alu instid0(SALU_CYCLE_1)
	s_and_b32 vcc_lo, exec_lo, s2
	s_cbranch_vccz .LBB23_601
; %bb.600:
	global_load_u8 v0, v[3:4], off
	s_waitcnt vmcnt(0)
	v_lshlrev_b32_e32 v0, 24, v0
	s_delay_alu instid0(VALU_DEP_1) | instskip(NEXT) | instid1(VALU_DEP_1)
	v_and_b32_e32 v1, 0x7f000000, v0
	v_clz_i32_u32_e32 v7, v1
	v_add_nc_u32_e32 v10, 0x1000000, v1
	v_cmp_ne_u32_e32 vcc_lo, 0, v1
	s_delay_alu instid0(VALU_DEP_3) | instskip(NEXT) | instid1(VALU_DEP_1)
	v_min_u32_e32 v7, 32, v7
	v_sub_nc_u32_e64 v7, v7, 4 clamp
	s_delay_alu instid0(VALU_DEP_1) | instskip(SKIP_1) | instid1(VALU_DEP_2)
	v_lshlrev_b32_e32 v9, v7, v1
	v_lshlrev_b32_e32 v7, 23, v7
	v_lshrrev_b32_e32 v9, 4, v9
	s_delay_alu instid0(VALU_DEP_1) | instskip(SKIP_1) | instid1(VALU_DEP_2)
	v_sub_nc_u32_e32 v7, v9, v7
	v_ashrrev_i32_e32 v9, 8, v10
	v_add_nc_u32_e32 v7, 0x3c000000, v7
	s_delay_alu instid0(VALU_DEP_1) | instskip(NEXT) | instid1(VALU_DEP_1)
	v_and_or_b32 v7, 0x7f800000, v9, v7
	v_cndmask_b32_e32 v1, 0, v7, vcc_lo
	s_delay_alu instid0(VALU_DEP_1) | instskip(NEXT) | instid1(VALU_DEP_1)
	v_and_or_b32 v0, 0x80000000, v0, v1
	v_cvt_i32_f32_e32 v0, v0
.LBB23_601:
	s_mov_b32 s2, 0
.LBB23_602:
	s_delay_alu instid0(SALU_CYCLE_1)
	s_and_not1_b32 vcc_lo, exec_lo, s2
	s_cbranch_vccnz .LBB23_604
; %bb.603:
	global_load_u8 v0, v[3:4], off
	s_waitcnt vmcnt(0)
	v_lshlrev_b32_e32 v1, 25, v0
	v_lshlrev_b16 v0, 8, v0
	s_delay_alu instid0(VALU_DEP_2) | instskip(NEXT) | instid1(VALU_DEP_2)
	v_lshrrev_b32_e32 v7, 4, v1
	v_and_or_b32 v9, 0x7f00, v0, 0.5
	v_cmp_gt_u32_e32 vcc_lo, 0x8000000, v1
	v_bfe_i32 v0, v0, 0, 16
	s_delay_alu instid0(VALU_DEP_4) | instskip(NEXT) | instid1(VALU_DEP_4)
	v_or_b32_e32 v7, 0x70000000, v7
	v_add_f32_e32 v9, -0.5, v9
	s_delay_alu instid0(VALU_DEP_2) | instskip(NEXT) | instid1(VALU_DEP_1)
	v_mul_f32_e32 v7, 0x7800000, v7
	v_cndmask_b32_e32 v1, v7, v9, vcc_lo
	s_delay_alu instid0(VALU_DEP_1) | instskip(NEXT) | instid1(VALU_DEP_1)
	v_and_or_b32 v0, 0x80000000, v0, v1
	v_cvt_i32_f32_e32 v0, v0
.LBB23_604:
	s_mov_b32 s22, 0
	s_mov_b32 s2, -1
.LBB23_605:
	s_and_not1_b32 vcc_lo, exec_lo, s22
	s_cbranch_vccnz .LBB23_618
; %bb.606:
	v_cmp_lt_i16_e32 vcc_lo, 14, v6
	s_cbranch_vccz .LBB23_609
; %bb.607:
	v_cmp_eq_u16_e32 vcc_lo, 15, v6
	s_cbranch_vccz .LBB23_612
; %bb.608:
	global_load_u16 v0, v[3:4], off
	s_mov_b32 s2, -1
	s_mov_b32 s3, 0
	s_waitcnt vmcnt(0)
	v_lshlrev_b32_e32 v0, 16, v0
	s_delay_alu instid0(VALU_DEP_1)
	v_cvt_i32_f32_e32 v0, v0
	s_branch .LBB23_613
.LBB23_609:
	s_mov_b32 s22, -1
                                        ; implicit-def: $vgpr0
	s_branch .LBB23_614
.LBB23_610:
	s_or_saveexec_b32 s22, s22
	v_mov_b32_e32 v0, s23
	s_xor_b32 exec_lo, exec_lo, s22
	s_cbranch_execz .LBB23_591
.LBB23_611:
	v_cmp_ne_u16_e32 vcc_lo, 0, v1
	v_mov_b32_e32 v0, 0
	s_and_not1_b32 s2, s2, exec_lo
	s_and_b32 s23, vcc_lo, exec_lo
	s_delay_alu instid0(SALU_CYCLE_1)
	s_or_b32 s2, s2, s23
	s_or_b32 exec_lo, exec_lo, s22
	s_and_saveexec_b32 s22, s2
	s_cbranch_execnz .LBB23_592
	s_branch .LBB23_593
.LBB23_612:
	s_mov_b32 s3, -1
                                        ; implicit-def: $vgpr0
.LBB23_613:
	s_mov_b32 s22, 0
.LBB23_614:
	s_delay_alu instid0(SALU_CYCLE_1)
	s_and_b32 vcc_lo, exec_lo, s22
	s_cbranch_vccz .LBB23_618
; %bb.615:
	v_cmp_eq_u16_e32 vcc_lo, 11, v6
	s_cbranch_vccz .LBB23_617
; %bb.616:
	global_load_u8 v0, v[3:4], off
	s_mov_b32 s3, 0
	s_mov_b32 s2, -1
	s_waitcnt vmcnt(0)
	v_cmp_ne_u16_e32 vcc_lo, 0, v0
	v_cndmask_b32_e64 v0, 0, 1, vcc_lo
	s_branch .LBB23_618
.LBB23_617:
	s_mov_b32 s3, -1
                                        ; implicit-def: $vgpr0
.LBB23_618:
	s_mov_b32 s22, 0
.LBB23_619:
	s_delay_alu instid0(SALU_CYCLE_1)
	s_and_b32 vcc_lo, exec_lo, s22
	s_cbranch_vccz .LBB23_668
; %bb.620:
	v_cmp_gt_i16_e32 vcc_lo, 5, v6
	s_cbranch_vccnz .LBB23_625
; %bb.621:
	v_cmp_gt_i16_e32 vcc_lo, 8, v6
	s_cbranch_vccnz .LBB23_626
	;; [unrolled: 3-line block ×3, first 2 shown]
; %bb.623:
	v_cmp_lt_i16_e32 vcc_lo, 9, v6
	s_cbranch_vccz .LBB23_628
; %bb.624:
	global_load_b64 v[0:1], v[3:4], off
	s_mov_b32 s2, 0
	s_waitcnt vmcnt(0)
	v_cvt_i32_f64_e32 v0, v[0:1]
	s_branch .LBB23_629
.LBB23_625:
	s_mov_b32 s2, -1
                                        ; implicit-def: $vgpr0
	s_branch .LBB23_647
.LBB23_626:
	s_mov_b32 s2, -1
                                        ; implicit-def: $vgpr0
	s_branch .LBB23_635
.LBB23_627:
	s_mov_b32 s2, -1
                                        ; implicit-def: $vgpr0
	s_branch .LBB23_632
.LBB23_628:
	s_mov_b32 s2, -1
                                        ; implicit-def: $vgpr0
.LBB23_629:
	s_delay_alu instid0(SALU_CYCLE_1)
	s_and_not1_b32 vcc_lo, exec_lo, s2
	s_cbranch_vccnz .LBB23_631
; %bb.630:
	global_load_b32 v0, v[3:4], off
	s_waitcnt vmcnt(0)
	v_cvt_i32_f32_e32 v0, v0
.LBB23_631:
	s_mov_b32 s2, 0
.LBB23_632:
	s_delay_alu instid0(SALU_CYCLE_1)
	s_and_not1_b32 vcc_lo, exec_lo, s2
	s_cbranch_vccnz .LBB23_634
; %bb.633:
	global_load_b32 v0, v[3:4], off
	s_waitcnt vmcnt(0)
	v_cvt_i16_f16_e32 v0, v0
.LBB23_634:
	s_mov_b32 s2, 0
.LBB23_635:
	s_delay_alu instid0(SALU_CYCLE_1)
	s_and_not1_b32 vcc_lo, exec_lo, s2
	s_cbranch_vccnz .LBB23_646
; %bb.636:
	v_cmp_gt_i16_e32 vcc_lo, 6, v6
	s_cbranch_vccnz .LBB23_639
; %bb.637:
	v_cmp_lt_i16_e32 vcc_lo, 6, v6
	s_cbranch_vccz .LBB23_640
; %bb.638:
	global_load_b64 v[0:1], v[3:4], off
	s_mov_b32 s2, 0
	s_waitcnt vmcnt(0)
	v_cvt_i32_f64_e32 v0, v[0:1]
	s_branch .LBB23_641
.LBB23_639:
	s_mov_b32 s2, -1
                                        ; implicit-def: $vgpr0
	s_branch .LBB23_644
.LBB23_640:
	s_mov_b32 s2, -1
                                        ; implicit-def: $vgpr0
.LBB23_641:
	s_delay_alu instid0(SALU_CYCLE_1)
	s_and_not1_b32 vcc_lo, exec_lo, s2
	s_cbranch_vccnz .LBB23_643
; %bb.642:
	global_load_b32 v0, v[3:4], off
	s_waitcnt vmcnt(0)
	v_cvt_i32_f32_e32 v0, v0
.LBB23_643:
	s_mov_b32 s2, 0
.LBB23_644:
	s_delay_alu instid0(SALU_CYCLE_1)
	s_and_not1_b32 vcc_lo, exec_lo, s2
	s_cbranch_vccnz .LBB23_646
; %bb.645:
	global_load_u16 v0, v[3:4], off
	s_waitcnt vmcnt(0)
	v_cvt_i16_f16_e32 v0, v0
.LBB23_646:
	s_mov_b32 s2, 0
.LBB23_647:
	s_delay_alu instid0(SALU_CYCLE_1)
	s_and_not1_b32 vcc_lo, exec_lo, s2
	s_cbranch_vccnz .LBB23_667
; %bb.648:
	v_cmp_gt_i16_e32 vcc_lo, 2, v6
	s_cbranch_vccnz .LBB23_652
; %bb.649:
	v_cmp_gt_i16_e32 vcc_lo, 3, v6
	s_cbranch_vccnz .LBB23_653
; %bb.650:
	v_cmp_lt_i16_e32 vcc_lo, 3, v6
	s_cbranch_vccz .LBB23_654
; %bb.651:
	global_load_b64 v[0:1], v[3:4], off
	s_mov_b32 s2, 0
	s_branch .LBB23_655
.LBB23_652:
	s_mov_b32 s2, -1
                                        ; implicit-def: $vgpr0
	s_branch .LBB23_661
.LBB23_653:
	s_mov_b32 s2, -1
                                        ; implicit-def: $vgpr0
	s_branch .LBB23_658
.LBB23_654:
	s_mov_b32 s2, -1
                                        ; implicit-def: $vgpr0
.LBB23_655:
	s_delay_alu instid0(SALU_CYCLE_1)
	s_and_not1_b32 vcc_lo, exec_lo, s2
	s_cbranch_vccnz .LBB23_657
; %bb.656:
	global_load_b32 v0, v[3:4], off
.LBB23_657:
	s_mov_b32 s2, 0
.LBB23_658:
	s_delay_alu instid0(SALU_CYCLE_1)
	s_and_not1_b32 vcc_lo, exec_lo, s2
	s_cbranch_vccnz .LBB23_660
; %bb.659:
	global_load_u16 v0, v[3:4], off
.LBB23_660:
	s_mov_b32 s2, 0
.LBB23_661:
	s_delay_alu instid0(SALU_CYCLE_1)
	s_and_not1_b32 vcc_lo, exec_lo, s2
	s_cbranch_vccnz .LBB23_667
; %bb.662:
	v_cmp_lt_i16_e32 vcc_lo, 0, v6
	s_mov_b32 s2, 0
	s_cbranch_vccz .LBB23_664
; %bb.663:
	global_load_u8 v0, v[3:4], off
	s_branch .LBB23_665
.LBB23_664:
	s_mov_b32 s2, -1
                                        ; implicit-def: $vgpr0
.LBB23_665:
	s_delay_alu instid0(SALU_CYCLE_1)
	s_and_not1_b32 vcc_lo, exec_lo, s2
	s_cbranch_vccnz .LBB23_667
; %bb.666:
	global_load_u8 v0, v[3:4], off
.LBB23_667:
	s_mov_b32 s2, -1
.LBB23_668:
	s_delay_alu instid0(SALU_CYCLE_1)
	s_and_not1_b32 vcc_lo, exec_lo, s2
	s_cbranch_vccnz .LBB23_676
; %bb.669:
	v_and_b32_e32 v4, 0xff, v5
	s_waitcnt vmcnt(0)
	v_add_co_u32 v1, s2, s4, v2
	s_delay_alu instid0(VALU_DEP_3)
	v_xor_b32_e32 v3, -1, v0
	v_add_co_ci_u32_e64 v2, null, s5, 0, s2
	v_cmp_gt_i16_e32 vcc_lo, 11, v4
	s_mov_b32 s23, -1
	s_mov_b32 s22, 0
	s_mov_b32 s2, s38
	s_cbranch_vccnz .LBB23_677
; %bb.670:
	v_cmp_lt_i16_e32 vcc_lo, 25, v4
	s_cbranch_vccz .LBB23_718
; %bb.671:
	v_cmp_lt_i16_e32 vcc_lo, 28, v4
	s_cbranch_vccz .LBB23_719
	;; [unrolled: 3-line block ×4, first 2 shown]
; %bb.674:
	v_cmp_eq_u16_e32 vcc_lo, 46, v4
	s_mov_b32 s23, 0
	s_mov_b32 s2, -1
	s_cbranch_vccz .LBB23_722
; %bb.675:
	v_bfe_i32 v7, v3, 0, 8
	s_mov_b32 s22, -1
	s_mov_b32 s2, 0
	s_delay_alu instid0(VALU_DEP_1) | instskip(NEXT) | instid1(VALU_DEP_1)
	v_bfe_i32 v7, v7, 0, 16
	v_cvt_f32_i32_e32 v7, v7
	s_delay_alu instid0(VALU_DEP_1) | instskip(NEXT) | instid1(VALU_DEP_1)
	v_bfe_u32 v9, v7, 16, 1
	v_add3_u32 v7, v7, v9, 0x7fff
	s_delay_alu instid0(VALU_DEP_1)
	v_lshrrev_b32_e32 v7, 16, v7
	global_store_b32 v[1:2], v7, off
	s_branch .LBB23_722
.LBB23_676:
	s_mov_b32 s41, 0
	s_mov_b32 s2, s38
	s_branch .LBB23_717
.LBB23_677:
	s_and_b32 vcc_lo, exec_lo, s23
	s_cbranch_vccz .LBB23_791
; %bb.678:
	v_cmp_gt_i16_e32 vcc_lo, 5, v4
	s_mov_b32 s22, -1
	s_cbranch_vccnz .LBB23_699
; %bb.679:
	v_cmp_gt_i16_e32 vcc_lo, 8, v4
	s_cbranch_vccnz .LBB23_689
; %bb.680:
	v_cmp_gt_i16_e32 vcc_lo, 9, v4
	s_cbranch_vccnz .LBB23_686
; %bb.681:
	v_cmp_lt_i16_e32 vcc_lo, 9, v4
	s_cbranch_vccz .LBB23_683
; %bb.682:
	v_bfe_i32 v0, v3, 0, 8
	v_mov_b32_e32 v11, 0
	s_mov_b32 s22, 0
	s_delay_alu instid0(VALU_DEP_2) | instskip(NEXT) | instid1(VALU_DEP_2)
	v_bfe_i32 v0, v0, 0, 16
	v_mov_b32_e32 v12, v11
	s_delay_alu instid0(VALU_DEP_2)
	v_cvt_f64_i32_e32 v[9:10], v0
	global_store_b128 v[1:2], v[9:12], off
.LBB23_683:
	s_and_not1_b32 vcc_lo, exec_lo, s22
	s_cbranch_vccnz .LBB23_685
; %bb.684:
	v_bfe_i32 v0, v3, 0, 8
	v_mov_b32_e32 v10, 0
	s_delay_alu instid0(VALU_DEP_2) | instskip(NEXT) | instid1(VALU_DEP_1)
	v_bfe_i32 v0, v0, 0, 16
	v_cvt_f32_i32_e32 v9, v0
	global_store_b64 v[1:2], v[9:10], off
.LBB23_685:
	s_mov_b32 s22, 0
.LBB23_686:
	s_delay_alu instid0(SALU_CYCLE_1)
	s_and_not1_b32 vcc_lo, exec_lo, s22
	s_cbranch_vccnz .LBB23_688
; %bb.687:
	v_bfe_i32 v0, v3, 0, 8
	s_delay_alu instid0(VALU_DEP_1) | instskip(NEXT) | instid1(VALU_DEP_1)
	v_cvt_f16_i16_e32 v0, v0
	v_and_b32_e32 v0, 0xffff, v0
	global_store_b32 v[1:2], v0, off
.LBB23_688:
	s_mov_b32 s22, 0
.LBB23_689:
	s_delay_alu instid0(SALU_CYCLE_1)
	s_and_not1_b32 vcc_lo, exec_lo, s22
	s_cbranch_vccnz .LBB23_698
; %bb.690:
	v_cmp_gt_i16_e32 vcc_lo, 6, v4
	s_mov_b32 s22, -1
	s_cbranch_vccnz .LBB23_696
; %bb.691:
	v_cmp_lt_i16_e32 vcc_lo, 6, v4
	s_cbranch_vccz .LBB23_693
; %bb.692:
	v_bfe_i32 v0, v3, 0, 8
	s_mov_b32 s22, 0
	s_delay_alu instid0(VALU_DEP_1) | instskip(NEXT) | instid1(VALU_DEP_1)
	v_bfe_i32 v0, v0, 0, 16
	v_cvt_f64_i32_e32 v[9:10], v0
	global_store_b64 v[1:2], v[9:10], off
.LBB23_693:
	s_and_not1_b32 vcc_lo, exec_lo, s22
	s_cbranch_vccnz .LBB23_695
; %bb.694:
	v_bfe_i32 v0, v3, 0, 8
	s_delay_alu instid0(VALU_DEP_1) | instskip(NEXT) | instid1(VALU_DEP_1)
	v_bfe_i32 v0, v0, 0, 16
	v_cvt_f32_i32_e32 v0, v0
	global_store_b32 v[1:2], v0, off
.LBB23_695:
	s_mov_b32 s22, 0
.LBB23_696:
	s_delay_alu instid0(SALU_CYCLE_1)
	s_and_not1_b32 vcc_lo, exec_lo, s22
	s_cbranch_vccnz .LBB23_698
; %bb.697:
	v_bfe_i32 v0, v3, 0, 8
	s_delay_alu instid0(VALU_DEP_1)
	v_cvt_f16_i16_e32 v0, v0
	global_store_b16 v[1:2], v0, off
.LBB23_698:
	s_mov_b32 s22, 0
.LBB23_699:
	s_delay_alu instid0(SALU_CYCLE_1)
	s_and_not1_b32 vcc_lo, exec_lo, s22
	s_cbranch_vccnz .LBB23_715
; %bb.700:
	v_cmp_gt_i16_e32 vcc_lo, 2, v4
	s_mov_b32 s22, -1
	s_cbranch_vccnz .LBB23_710
; %bb.701:
	v_cmp_gt_i16_e32 vcc_lo, 3, v4
	s_cbranch_vccnz .LBB23_707
; %bb.702:
	v_cmp_lt_i16_e32 vcc_lo, 3, v4
	s_cbranch_vccz .LBB23_704
; %bb.703:
	v_bfe_i32 v9, v3, 0, 8
	s_mov_b32 s22, 0
	s_delay_alu instid0(VALU_DEP_1)
	v_ashrrev_i32_e32 v10, 31, v9
	global_store_b64 v[1:2], v[9:10], off
.LBB23_704:
	s_and_not1_b32 vcc_lo, exec_lo, s22
	s_cbranch_vccnz .LBB23_706
; %bb.705:
	v_bfe_i32 v0, v3, 0, 8
	global_store_b32 v[1:2], v0, off
.LBB23_706:
	s_mov_b32 s22, 0
.LBB23_707:
	s_delay_alu instid0(SALU_CYCLE_1)
	s_and_not1_b32 vcc_lo, exec_lo, s22
	s_cbranch_vccnz .LBB23_709
; %bb.708:
	v_bfe_i32 v0, v3, 0, 8
	global_store_b16 v[1:2], v0, off
.LBB23_709:
	s_mov_b32 s22, 0
.LBB23_710:
	s_delay_alu instid0(SALU_CYCLE_1)
	s_and_not1_b32 vcc_lo, exec_lo, s22
	s_cbranch_vccnz .LBB23_715
; %bb.711:
	v_cmp_lt_i16_e32 vcc_lo, 0, v4
	s_mov_b32 s22, -1
	s_cbranch_vccz .LBB23_713
; %bb.712:
	s_mov_b32 s22, 0
	global_store_b8 v[1:2], v3, off
.LBB23_713:
	s_and_not1_b32 vcc_lo, exec_lo, s22
	s_cbranch_vccnz .LBB23_715
; %bb.714:
	global_store_b8 v[1:2], v3, off
.LBB23_715:
	s_branch .LBB23_792
.LBB23_716:
	s_mov_b32 s41, 0
.LBB23_717:
                                        ; implicit-def: $vgpr8
	s_branch .LBB23_793
.LBB23_718:
	s_mov_b32 s2, s38
	s_branch .LBB23_749
.LBB23_719:
	s_mov_b32 s2, s38
	s_branch .LBB23_732
.LBB23_720:
	s_mov_b32 s2, s38
	s_branch .LBB23_728
.LBB23_721:
	s_mov_b32 s2, s38
.LBB23_722:
	s_and_b32 vcc_lo, exec_lo, s23
	s_cbranch_vccz .LBB23_727
; %bb.723:
	v_cmp_eq_u16_e32 vcc_lo, 44, v4
	s_mov_b32 s2, -1
	s_cbranch_vccz .LBB23_727
; %bb.724:
	v_bfe_i32 v7, v3, 0, 8
	v_mov_b32_e32 v9, 0xff
	s_mov_b32 s22, exec_lo
	s_delay_alu instid0(VALU_DEP_2) | instskip(NEXT) | instid1(VALU_DEP_1)
	v_bfe_i32 v7, v7, 0, 16
	v_cvt_f32_i32_e32 v7, v7
	s_delay_alu instid0(VALU_DEP_1) | instskip(NEXT) | instid1(VALU_DEP_1)
	v_bfe_u32 v10, v7, 23, 8
	v_cmpx_ne_u32_e32 0xff, v10
; %bb.725:
	v_and_b32_e32 v9, 0x400000, v7
	v_and_or_b32 v10, 0x3fffff, v7, v10
	v_lshrrev_b32_e32 v7, 23, v7
	s_delay_alu instid0(VALU_DEP_3) | instskip(NEXT) | instid1(VALU_DEP_3)
	v_cmp_ne_u32_e32 vcc_lo, 0, v9
	v_cmp_ne_u32_e64 s2, 0, v10
	s_delay_alu instid0(VALU_DEP_1) | instskip(NEXT) | instid1(SALU_CYCLE_1)
	s_and_b32 s2, vcc_lo, s2
	v_cndmask_b32_e64 v9, 0, 1, s2
	s_delay_alu instid0(VALU_DEP_1)
	v_add_nc_u32_e32 v9, v7, v9
; %bb.726:
	s_or_b32 exec_lo, exec_lo, s22
	s_mov_b32 s22, -1
	s_mov_b32 s2, 0
	global_store_b8 v[1:2], v9, off
.LBB23_727:
	s_mov_b32 s23, 0
.LBB23_728:
	s_delay_alu instid0(SALU_CYCLE_1)
	s_and_b32 vcc_lo, exec_lo, s23
	s_cbranch_vccz .LBB23_731
; %bb.729:
	v_cmp_eq_u16_e32 vcc_lo, 29, v4
	s_mov_b32 s2, -1
	s_cbranch_vccz .LBB23_731
; %bb.730:
	v_bfe_i32 v9, v3, 0, 8
	s_mov_b32 s22, -1
	s_mov_b32 s2, 0
	s_mov_b32 s23, 0
	s_delay_alu instid0(VALU_DEP_1)
	v_ashrrev_i32_e32 v10, 31, v9
	global_store_b64 v[1:2], v[9:10], off
	s_branch .LBB23_732
.LBB23_731:
	s_mov_b32 s23, 0
.LBB23_732:
	s_delay_alu instid0(SALU_CYCLE_1)
	s_and_b32 vcc_lo, exec_lo, s23
	s_cbranch_vccz .LBB23_748
; %bb.733:
	v_cmp_gt_i16_e32 vcc_lo, 27, v4
	s_mov_b32 s22, -1
	s_cbranch_vccnz .LBB23_739
; %bb.734:
	v_cmp_lt_i16_e32 vcc_lo, 27, v4
	s_cbranch_vccz .LBB23_736
; %bb.735:
	v_bfe_i32 v7, v3, 0, 8
	s_mov_b32 s22, 0
	global_store_b32 v[1:2], v7, off
.LBB23_736:
	s_and_not1_b32 vcc_lo, exec_lo, s22
	s_cbranch_vccnz .LBB23_738
; %bb.737:
	v_bfe_i32 v7, v3, 0, 8
	global_store_b16 v[1:2], v7, off
.LBB23_738:
	s_mov_b32 s22, 0
.LBB23_739:
	s_delay_alu instid0(SALU_CYCLE_1)
	s_and_not1_b32 vcc_lo, exec_lo, s22
	s_cbranch_vccnz .LBB23_747
; %bb.740:
	v_bfe_i32 v7, v3, 0, 8
	v_mov_b32_e32 v10, 0x80
	s_mov_b32 s22, exec_lo
	s_delay_alu instid0(VALU_DEP_2) | instskip(NEXT) | instid1(VALU_DEP_1)
	v_bfe_i32 v7, v7, 0, 16
	v_cvt_f32_i32_e32 v7, v7
	s_delay_alu instid0(VALU_DEP_1) | instskip(NEXT) | instid1(VALU_DEP_1)
	v_and_b32_e32 v9, 0x7fffffff, v7
	v_cmpx_gt_u32_e32 0x43800000, v9
	s_cbranch_execz .LBB23_746
; %bb.741:
	v_cmp_lt_u32_e32 vcc_lo, 0x3bffffff, v9
	s_mov_b32 s23, 0
                                        ; implicit-def: $vgpr9
	s_and_saveexec_b32 s41, vcc_lo
	s_delay_alu instid0(SALU_CYCLE_1)
	s_xor_b32 s41, exec_lo, s41
	s_cbranch_execz .LBB23_820
; %bb.742:
	v_bfe_u32 v9, v7, 20, 1
	s_mov_b32 s23, exec_lo
	s_delay_alu instid0(VALU_DEP_1) | instskip(NEXT) | instid1(VALU_DEP_1)
	v_add3_u32 v9, v7, v9, 0x487ffff
	v_lshrrev_b32_e32 v9, 20, v9
	s_or_saveexec_b32 s41, s41
                                        ; implicit-def: $sgpr42
	s_delay_alu instid0(SALU_CYCLE_1)
	s_xor_b32 exec_lo, exec_lo, s41
	s_cbranch_execnz .LBB23_821
.LBB23_743:
	s_or_b32 exec_lo, exec_lo, s41
	v_mov_b32_e32 v10, s42
	s_and_saveexec_b32 s41, s23
.LBB23_744:
	v_lshrrev_b32_e32 v7, 24, v7
	s_delay_alu instid0(VALU_DEP_1)
	v_and_or_b32 v10, 0x80, v7, v9
.LBB23_745:
	s_or_b32 exec_lo, exec_lo, s41
.LBB23_746:
	s_delay_alu instid0(SALU_CYCLE_1)
	s_or_b32 exec_lo, exec_lo, s22
	global_store_b8 v[1:2], v10, off
.LBB23_747:
	s_mov_b32 s22, -1
.LBB23_748:
	s_mov_b32 s23, 0
.LBB23_749:
	s_delay_alu instid0(SALU_CYCLE_1)
	s_and_b32 vcc_lo, exec_lo, s23
	s_cbranch_vccz .LBB23_790
; %bb.750:
	v_cmp_lt_i16_e32 vcc_lo, 22, v4
	s_mov_b32 s23, -1
	s_cbranch_vccz .LBB23_782
; %bb.751:
	v_cmp_gt_i16_e32 vcc_lo, 24, v4
	s_mov_b32 s22, -1
	s_cbranch_vccnz .LBB23_771
; %bb.752:
	v_cmp_lt_i16_e32 vcc_lo, 24, v4
	s_cbranch_vccz .LBB23_760
; %bb.753:
	v_bfe_i32 v7, v3, 0, 8
	v_mov_b32_e32 v10, 0x80
	s_mov_b32 s22, exec_lo
	s_delay_alu instid0(VALU_DEP_2) | instskip(NEXT) | instid1(VALU_DEP_1)
	v_bfe_i32 v7, v7, 0, 16
	v_cvt_f32_i32_e32 v7, v7
	s_delay_alu instid0(VALU_DEP_1) | instskip(NEXT) | instid1(VALU_DEP_1)
	v_and_b32_e32 v9, 0x7fffffff, v7
	v_cmpx_gt_u32_e32 0x47800000, v9
	s_cbranch_execz .LBB23_759
; %bb.754:
	v_cmp_lt_u32_e32 vcc_lo, 0x37ffffff, v9
	s_mov_b32 s23, 0
                                        ; implicit-def: $vgpr9
	s_and_saveexec_b32 s41, vcc_lo
	s_delay_alu instid0(SALU_CYCLE_1)
	s_xor_b32 s41, exec_lo, s41
	s_cbranch_execz .LBB23_823
; %bb.755:
	v_bfe_u32 v9, v7, 21, 1
	s_mov_b32 s23, exec_lo
	s_delay_alu instid0(VALU_DEP_1) | instskip(NEXT) | instid1(VALU_DEP_1)
	v_add3_u32 v9, v7, v9, 0x88fffff
	v_lshrrev_b32_e32 v9, 21, v9
	s_or_saveexec_b32 s41, s41
                                        ; implicit-def: $sgpr42
	s_delay_alu instid0(SALU_CYCLE_1)
	s_xor_b32 exec_lo, exec_lo, s41
	s_cbranch_execnz .LBB23_824
.LBB23_756:
	s_or_b32 exec_lo, exec_lo, s41
	v_mov_b32_e32 v10, s42
	s_and_saveexec_b32 s41, s23
.LBB23_757:
	v_lshrrev_b32_e32 v7, 24, v7
	s_delay_alu instid0(VALU_DEP_1)
	v_and_or_b32 v10, 0x80, v7, v9
.LBB23_758:
	s_or_b32 exec_lo, exec_lo, s41
.LBB23_759:
	s_delay_alu instid0(SALU_CYCLE_1)
	s_or_b32 exec_lo, exec_lo, s22
	s_mov_b32 s22, 0
	global_store_b8 v[1:2], v10, off
.LBB23_760:
	s_and_b32 vcc_lo, exec_lo, s22
	s_cbranch_vccz .LBB23_770
; %bb.761:
	v_bfe_i32 v7, v3, 0, 8
	s_mov_b32 s22, exec_lo
                                        ; implicit-def: $vgpr9
	s_delay_alu instid0(VALU_DEP_1) | instskip(NEXT) | instid1(VALU_DEP_1)
	v_bfe_i32 v7, v7, 0, 16
	v_cvt_f32_i32_e32 v7, v7
	s_delay_alu instid0(VALU_DEP_1) | instskip(NEXT) | instid1(VALU_DEP_1)
	v_and_b32_e32 v10, 0x7fffffff, v7
	v_cmpx_gt_u32_e32 0x43f00000, v10
	s_xor_b32 s22, exec_lo, s22
	s_cbranch_execz .LBB23_767
; %bb.762:
	s_mov_b32 s23, exec_lo
                                        ; implicit-def: $vgpr9
	v_cmpx_lt_u32_e32 0x3c7fffff, v10
	s_xor_b32 s23, exec_lo, s23
; %bb.763:
	v_bfe_u32 v9, v7, 20, 1
	s_delay_alu instid0(VALU_DEP_1) | instskip(NEXT) | instid1(VALU_DEP_1)
	v_add3_u32 v9, v7, v9, 0x407ffff
	v_and_b32_e32 v10, 0xff00000, v9
	v_lshrrev_b32_e32 v9, 20, v9
	s_delay_alu instid0(VALU_DEP_2) | instskip(NEXT) | instid1(VALU_DEP_2)
	v_cmp_ne_u32_e32 vcc_lo, 0x7f00000, v10
	v_cndmask_b32_e32 v9, 0x7e, v9, vcc_lo
; %bb.764:
	s_and_not1_saveexec_b32 s23, s23
; %bb.765:
	v_add_f32_e64 v9, 0x46800000, |v7|
; %bb.766:
	s_or_b32 exec_lo, exec_lo, s23
                                        ; implicit-def: $vgpr10
.LBB23_767:
	s_and_not1_saveexec_b32 s22, s22
; %bb.768:
	v_mov_b32_e32 v9, 0x7f
	v_cmp_lt_u32_e32 vcc_lo, 0x7f800000, v10
	s_delay_alu instid0(VALU_DEP_2)
	v_cndmask_b32_e32 v9, 0x7e, v9, vcc_lo
; %bb.769:
	s_or_b32 exec_lo, exec_lo, s22
	v_lshrrev_b32_e32 v7, 24, v7
	s_delay_alu instid0(VALU_DEP_1)
	v_and_or_b32 v7, 0x80, v7, v9
	global_store_b8 v[1:2], v7, off
.LBB23_770:
	s_mov_b32 s22, 0
.LBB23_771:
	s_delay_alu instid0(SALU_CYCLE_1)
	s_and_not1_b32 vcc_lo, exec_lo, s22
	s_cbranch_vccnz .LBB23_781
; %bb.772:
	v_bfe_i32 v7, v3, 0, 8
	s_mov_b32 s22, exec_lo
                                        ; implicit-def: $vgpr9
	s_delay_alu instid0(VALU_DEP_1) | instskip(NEXT) | instid1(VALU_DEP_1)
	v_bfe_i32 v7, v7, 0, 16
	v_cvt_f32_i32_e32 v7, v7
	s_delay_alu instid0(VALU_DEP_1) | instskip(NEXT) | instid1(VALU_DEP_1)
	v_and_b32_e32 v10, 0x7fffffff, v7
	v_cmpx_gt_u32_e32 0x47800000, v10
	s_xor_b32 s22, exec_lo, s22
	s_cbranch_execz .LBB23_778
; %bb.773:
	s_mov_b32 s23, exec_lo
                                        ; implicit-def: $vgpr9
	v_cmpx_lt_u32_e32 0x387fffff, v10
	s_xor_b32 s23, exec_lo, s23
; %bb.774:
	v_bfe_u32 v9, v7, 21, 1
	s_delay_alu instid0(VALU_DEP_1) | instskip(NEXT) | instid1(VALU_DEP_1)
	v_add3_u32 v9, v7, v9, 0x80fffff
	v_lshrrev_b32_e32 v9, 21, v9
; %bb.775:
	s_and_not1_saveexec_b32 s23, s23
; %bb.776:
	v_add_f32_e64 v9, 0x43000000, |v7|
; %bb.777:
	s_or_b32 exec_lo, exec_lo, s23
                                        ; implicit-def: $vgpr10
.LBB23_778:
	s_and_not1_saveexec_b32 s22, s22
; %bb.779:
	v_mov_b32_e32 v9, 0x7f
	v_cmp_lt_u32_e32 vcc_lo, 0x7f800000, v10
	s_delay_alu instid0(VALU_DEP_2)
	v_cndmask_b32_e32 v9, 0x7c, v9, vcc_lo
; %bb.780:
	s_or_b32 exec_lo, exec_lo, s22
	v_lshrrev_b32_e32 v7, 24, v7
	s_delay_alu instid0(VALU_DEP_1)
	v_and_or_b32 v7, 0x80, v7, v9
	global_store_b8 v[1:2], v7, off
.LBB23_781:
	s_mov_b32 s23, 0
	s_mov_b32 s22, -1
.LBB23_782:
	s_and_not1_b32 vcc_lo, exec_lo, s23
	s_cbranch_vccnz .LBB23_790
; %bb.783:
	v_cmp_lt_i16_e32 vcc_lo, 14, v4
	s_mov_b32 s23, -1
	s_cbranch_vccz .LBB23_787
; %bb.784:
	v_cmp_eq_u16_e32 vcc_lo, 15, v4
	s_mov_b32 s2, -1
	s_cbranch_vccz .LBB23_786
; %bb.785:
	v_bfe_i32 v7, v3, 0, 8
	s_mov_b32 s22, -1
	s_mov_b32 s2, 0
	s_delay_alu instid0(VALU_DEP_1) | instskip(NEXT) | instid1(VALU_DEP_1)
	v_bfe_i32 v7, v7, 0, 16
	v_cvt_f32_i32_e32 v7, v7
	s_delay_alu instid0(VALU_DEP_1) | instskip(NEXT) | instid1(VALU_DEP_1)
	v_bfe_u32 v9, v7, 16, 1
	v_add3_u32 v7, v7, v9, 0x7fff
	global_store_d16_hi_b16 v[1:2], v7, off
.LBB23_786:
	s_mov_b32 s23, 0
.LBB23_787:
	s_delay_alu instid0(SALU_CYCLE_1)
	s_and_b32 vcc_lo, exec_lo, s23
	s_cbranch_vccz .LBB23_790
; %bb.788:
	v_cmp_eq_u16_e32 vcc_lo, 11, v4
	s_mov_b32 s2, -1
	s_cbranch_vccz .LBB23_790
; %bb.789:
	v_and_b32_e32 v0, 0xff, v0
	s_mov_b32 s22, -1
	s_mov_b32 s2, 0
	s_delay_alu instid0(VALU_DEP_1)
	v_cmp_ne_u16_e32 vcc_lo, 0xff, v0
	v_cndmask_b32_e64 v0, 0, 1, vcc_lo
	global_store_b8 v[1:2], v0, off
.LBB23_790:
.LBB23_791:
	s_and_not1_b32 vcc_lo, exec_lo, s22
	s_cbranch_vccnz .LBB23_716
.LBB23_792:
	v_add_nc_u32_e32 v8, 0x80, v8
	s_mov_b32 s41, -1
.LBB23_793:
	s_and_not1_b32 s22, s38, exec_lo
	s_and_b32 s2, s2, exec_lo
	s_and_not1_b32 s42, s37, exec_lo
	s_and_b32 s3, s3, exec_lo
	s_or_b32 s23, s22, s2
	s_or_b32 s22, s42, s3
	s_or_not1_b32 s42, s41, exec_lo
.LBB23_794:
	s_or_b32 exec_lo, exec_lo, s40
	s_mov_b32 s2, 0
	s_mov_b32 s3, 0
	s_mov_b32 s41, 0
                                        ; implicit-def: $vgpr3_vgpr4
                                        ; implicit-def: $vgpr2
                                        ; implicit-def: $vgpr0
	s_and_saveexec_b32 s40, s42
	s_cbranch_execz .LBB23_888
; %bb.795:
	v_cmp_gt_i32_e32 vcc_lo, s30, v8
	s_mov_b32 s43, s22
	s_mov_b32 s42, 0
                                        ; implicit-def: $vgpr3_vgpr4
                                        ; implicit-def: $vgpr2
                                        ; implicit-def: $vgpr0
	s_and_saveexec_b32 s30, vcc_lo
	s_cbranch_execz .LBB23_887
; %bb.796:
	s_and_not1_b32 vcc_lo, exec_lo, s27
	s_cbranch_vccnz .LBB23_801
; %bb.797:
	v_mov_b32_e32 v2, 0
	s_waitcnt vmcnt(0)
	v_mov_b32_e32 v0, 0
	s_and_not1_b32 vcc_lo, exec_lo, s33
	s_mov_b32 s33, 0
	s_cbranch_vccnz .LBB23_806
; %bb.798:
	v_mov_b32_e32 v2, 0
	s_add_i32 s41, s31, 1
	s_cmp_eq_u32 s25, 2
	s_mov_b32 s31, 0
	s_cbranch_scc1 .LBB23_802
; %bb.799:
	v_dual_mov_b32 v0, 0 :: v_dual_mov_b32 v1, v8
	v_mov_b32_e32 v2, 0
	s_and_b32 s31, s41, 28
	s_mov_b64 s[2:3], s[16:17]
.LBB23_800:                             ; =>This Inner Loop Header: Depth=1
	s_clause 0x1
	s_load_b256 s[44:51], s[2:3], 0x4
	s_load_b128 s[60:63], s[2:3], 0x24
	s_load_b256 s[52:59], s[20:21], 0x0
	s_add_u32 s2, s2, 48
	s_addc_u32 s3, s3, 0
	s_add_i32 s42, s42, 4
	s_add_u32 s20, s20, 32
	s_addc_u32 s21, s21, 0
	s_cmp_eq_u32 s31, s42
	s_waitcnt lgkmcnt(0)
	v_mul_hi_u32 v3, s45, v1
	s_delay_alu instid0(VALU_DEP_1) | instskip(NEXT) | instid1(VALU_DEP_1)
	v_add_nc_u32_e32 v3, v1, v3
	v_lshrrev_b32_e32 v3, s46, v3
	s_delay_alu instid0(VALU_DEP_1) | instskip(SKIP_1) | instid1(VALU_DEP_2)
	v_mul_hi_u32 v4, s48, v3
	v_mul_lo_u32 v9, v3, s44
	v_add_nc_u32_e32 v4, v3, v4
	s_delay_alu instid0(VALU_DEP_2) | instskip(NEXT) | instid1(VALU_DEP_2)
	v_sub_nc_u32_e32 v1, v1, v9
	v_lshrrev_b32_e32 v4, s49, v4
	s_delay_alu instid0(VALU_DEP_2) | instskip(SKIP_1) | instid1(VALU_DEP_3)
	v_mul_lo_u32 v9, v1, s52
	v_mul_lo_u32 v11, v1, s53
	v_mul_hi_u32 v7, s51, v4
	s_delay_alu instid0(VALU_DEP_1) | instskip(NEXT) | instid1(VALU_DEP_1)
	v_add_nc_u32_e32 v7, v4, v7
	v_lshrrev_b32_e32 v7, s60, v7
	s_delay_alu instid0(VALU_DEP_1) | instskip(SKIP_1) | instid1(VALU_DEP_2)
	v_mul_hi_u32 v10, s62, v7
	v_mul_lo_u32 v12, v7, s50
	v_add_nc_u32_e32 v1, v7, v10
	v_mul_lo_u32 v10, v4, s47
	s_delay_alu instid0(VALU_DEP_3) | instskip(NEXT) | instid1(VALU_DEP_3)
	v_sub_nc_u32_e32 v4, v4, v12
	v_lshrrev_b32_e32 v1, s63, v1
	s_delay_alu instid0(VALU_DEP_2) | instskip(SKIP_2) | instid1(VALU_DEP_4)
	v_mul_lo_u32 v12, v4, s56
	v_mul_lo_u32 v4, v4, s57
	v_sub_nc_u32_e32 v3, v3, v10
	v_mul_lo_u32 v13, v1, s61
	s_delay_alu instid0(VALU_DEP_2) | instskip(SKIP_1) | instid1(VALU_DEP_3)
	v_mul_lo_u32 v10, v3, s54
	v_mul_lo_u32 v3, v3, s55
	v_sub_nc_u32_e32 v7, v7, v13
	s_delay_alu instid0(VALU_DEP_3) | instskip(NEXT) | instid1(VALU_DEP_2)
	v_add3_u32 v2, v9, v2, v10
	v_mul_lo_u32 v13, v7, s58
	v_mul_lo_u32 v7, v7, s59
	v_add3_u32 v0, v11, v0, v3
	s_delay_alu instid0(VALU_DEP_3) | instskip(NEXT) | instid1(VALU_DEP_2)
	v_add3_u32 v2, v12, v2, v13
	v_add3_u32 v0, v4, v0, v7
	s_cbranch_scc0 .LBB23_800
	s_branch .LBB23_803
.LBB23_801:
	s_mov_b32 s33, -1
                                        ; implicit-def: $vgpr2
                                        ; implicit-def: $vgpr0
	s_branch .LBB23_806
.LBB23_802:
	v_dual_mov_b32 v1, v8 :: v_dual_mov_b32 v0, 0
.LBB23_803:
	s_and_b32 s41, s41, 3
	s_delay_alu instid0(SALU_CYCLE_1)
	s_cmp_eq_u32 s41, 0
	s_cbranch_scc1 .LBB23_806
; %bb.804:
	s_lshl_b32 s2, s31, 3
	s_mul_i32 s20, s31, 12
	s_add_u32 s2, s2, s16
	s_addc_u32 s3, s17, 0
	s_add_u32 s2, s2, 0xc4
	s_addc_u32 s3, s3, 0
	;; [unrolled: 2-line block ×3, first 2 shown]
.LBB23_805:                             ; =>This Inner Loop Header: Depth=1
	s_clause 0x1
	s_load_b64 s[42:43], s[20:21], 0x4
	s_load_b32 s31, s[20:21], 0xc
	s_load_b64 s[44:45], s[2:3], 0x0
	s_add_u32 s20, s20, 12
	s_addc_u32 s21, s21, 0
	s_add_u32 s2, s2, 8
	s_addc_u32 s3, s3, 0
	s_add_i32 s41, s41, -1
	s_delay_alu instid0(SALU_CYCLE_1) | instskip(SKIP_2) | instid1(VALU_DEP_1)
	s_cmp_lg_u32 s41, 0
	s_waitcnt lgkmcnt(0)
	v_mul_hi_u32 v3, s43, v1
	v_add_nc_u32_e32 v3, v1, v3
	s_delay_alu instid0(VALU_DEP_1) | instskip(NEXT) | instid1(VALU_DEP_1)
	v_lshrrev_b32_e32 v7, s31, v3
	v_mul_lo_u32 v3, v7, s42
	s_delay_alu instid0(VALU_DEP_1) | instskip(NEXT) | instid1(VALU_DEP_1)
	v_sub_nc_u32_e32 v1, v1, v3
	v_mad_u64_u32 v[3:4], null, v1, s44, v[2:3]
	v_mad_u64_u32 v[9:10], null, v1, s45, v[0:1]
	v_mov_b32_e32 v1, v7
	s_delay_alu instid0(VALU_DEP_3) | instskip(NEXT) | instid1(VALU_DEP_3)
	v_mov_b32_e32 v2, v3
	v_mov_b32_e32 v0, v9
	s_cbranch_scc1 .LBB23_805
.LBB23_806:
	s_and_not1_b32 vcc_lo, exec_lo, s33
	s_cbranch_vccnz .LBB23_809
; %bb.807:
	s_waitcnt vmcnt(0) lgkmcnt(0)
	v_mul_hi_u32 v0, s13, v8
	s_and_not1_b32 vcc_lo, exec_lo, s29
	s_delay_alu instid0(VALU_DEP_1) | instskip(NEXT) | instid1(VALU_DEP_1)
	v_add_nc_u32_e32 v0, v8, v0
	v_lshrrev_b32_e32 v1, s14, v0
	s_delay_alu instid0(VALU_DEP_1) | instskip(NEXT) | instid1(VALU_DEP_1)
	v_mul_lo_u32 v0, v1, s12
	v_sub_nc_u32_e32 v0, v8, v0
	s_delay_alu instid0(VALU_DEP_1)
	v_mul_lo_u32 v2, v0, s8
	v_mul_lo_u32 v0, v0, s9
	s_cbranch_vccnz .LBB23_809
; %bb.808:
	v_mul_hi_u32 v3, s18, v1
	s_delay_alu instid0(VALU_DEP_1) | instskip(NEXT) | instid1(VALU_DEP_1)
	v_add_nc_u32_e32 v3, v1, v3
	v_lshrrev_b32_e32 v3, s19, v3
	s_delay_alu instid0(VALU_DEP_1) | instskip(NEXT) | instid1(VALU_DEP_1)
	v_mul_lo_u32 v3, v3, s15
	v_sub_nc_u32_e32 v7, v1, v3
	s_delay_alu instid0(VALU_DEP_1) | instskip(SKIP_1) | instid1(VALU_DEP_2)
	v_mad_u64_u32 v[3:4], null, v7, s10, v[2:3]
	v_mad_u64_u32 v[1:2], null, v7, s11, v[0:1]
	v_mov_b32_e32 v2, v3
	s_delay_alu instid0(VALU_DEP_2)
	v_mov_b32_e32 v0, v1
.LBB23_809:
	v_cmp_gt_i16_e32 vcc_lo, 11, v6
	s_waitcnt vmcnt(0) lgkmcnt(0)
	s_delay_alu instid0(VALU_DEP_2) | instskip(NEXT) | instid1(VALU_DEP_1)
	v_add_co_u32 v3, s2, s6, v0
	v_add_co_ci_u32_e64 v4, null, s7, 0, s2
	s_mov_b32 s6, 0
	s_cbranch_vccnz .LBB23_816
; %bb.810:
	v_cmp_lt_i16_e32 vcc_lo, 25, v6
	s_mov_b32 s3, 0
	s_cbranch_vccz .LBB23_817
; %bb.811:
	v_cmp_lt_i16_e32 vcc_lo, 28, v6
	s_cbranch_vccz .LBB23_818
; %bb.812:
	v_cmp_lt_i16_e32 vcc_lo, 43, v6
	;; [unrolled: 3-line block ×3, first 2 shown]
	s_cbranch_vccz .LBB23_822
; %bb.814:
	v_cmp_eq_u16_e32 vcc_lo, 46, v6
	s_mov_b32 s7, 0
	s_cbranch_vccz .LBB23_825
; %bb.815:
	global_load_b32 v0, v[3:4], off
	s_mov_b32 s2, 0
	s_mov_b32 s6, -1
	s_waitcnt vmcnt(0)
	v_lshlrev_b32_e32 v0, 16, v0
	s_delay_alu instid0(VALU_DEP_1)
	v_cvt_i32_f32_e32 v0, v0
	s_branch .LBB23_827
.LBB23_816:
	s_mov_b32 s7, -1
	s_mov_b32 s3, 0
	s_mov_b32 s2, s22
                                        ; implicit-def: $vgpr0
	s_branch .LBB23_886
.LBB23_817:
	s_mov_b32 s7, -1
	s_mov_b32 s2, s22
                                        ; implicit-def: $vgpr0
	s_branch .LBB23_854
.LBB23_818:
	s_mov_b32 s7, -1
	s_mov_b32 s2, s22
                                        ; implicit-def: $vgpr0
	s_branch .LBB23_837
.LBB23_819:
	s_mov_b32 s7, -1
	s_mov_b32 s2, s22
                                        ; implicit-def: $vgpr0
	s_branch .LBB23_832
.LBB23_820:
	s_or_saveexec_b32 s41, s41
                                        ; implicit-def: $sgpr42
	s_delay_alu instid0(SALU_CYCLE_1)
	s_xor_b32 exec_lo, exec_lo, s41
	s_cbranch_execz .LBB23_743
.LBB23_821:
	v_add_f32_e64 v9, 0x46000000, |v7|
	s_and_not1_b32 s23, s23, exec_lo
	s_mov_b32 s42, 0
	s_delay_alu instid0(VALU_DEP_1) | instskip(NEXT) | instid1(VALU_DEP_1)
	v_and_b32_e32 v9, 0xff, v9
	v_cmp_ne_u32_e32 vcc_lo, 0, v9
	s_and_b32 s43, vcc_lo, exec_lo
	s_delay_alu instid0(SALU_CYCLE_1)
	s_or_b32 s23, s23, s43
	s_or_b32 exec_lo, exec_lo, s41
	v_mov_b32_e32 v10, s42
	s_and_saveexec_b32 s41, s23
	s_cbranch_execnz .LBB23_744
	s_branch .LBB23_745
.LBB23_822:
	s_mov_b32 s7, -1
	s_mov_b32 s2, s22
	s_branch .LBB23_826
.LBB23_823:
	s_or_saveexec_b32 s41, s41
                                        ; implicit-def: $sgpr42
	s_delay_alu instid0(SALU_CYCLE_1)
	s_xor_b32 exec_lo, exec_lo, s41
	s_cbranch_execz .LBB23_756
.LBB23_824:
	v_add_f32_e64 v9, 0x42800000, |v7|
	s_and_not1_b32 s23, s23, exec_lo
	s_mov_b32 s42, 0
	s_delay_alu instid0(VALU_DEP_1) | instskip(NEXT) | instid1(VALU_DEP_1)
	v_and_b32_e32 v9, 0xff, v9
	v_cmp_ne_u32_e32 vcc_lo, 0, v9
	s_and_b32 s43, vcc_lo, exec_lo
	s_delay_alu instid0(SALU_CYCLE_1)
	s_or_b32 s23, s23, s43
	s_or_b32 exec_lo, exec_lo, s41
	v_mov_b32_e32 v10, s42
	s_and_saveexec_b32 s41, s23
	s_cbranch_execnz .LBB23_757
	s_branch .LBB23_758
.LBB23_825:
	s_mov_b32 s2, -1
.LBB23_826:
                                        ; implicit-def: $vgpr0
.LBB23_827:
	s_and_b32 vcc_lo, exec_lo, s7
	s_cbranch_vccz .LBB23_831
; %bb.828:
	v_cmp_eq_u16_e32 vcc_lo, 44, v6
	s_cbranch_vccz .LBB23_830
; %bb.829:
	global_load_u8 v0, v[3:4], off
	s_mov_b32 s2, 0
	s_mov_b32 s6, -1
	s_waitcnt vmcnt(0)
	v_lshlrev_b32_e32 v1, 23, v0
	v_cmp_ne_u32_e32 vcc_lo, 0, v0
	s_delay_alu instid0(VALU_DEP_2) | instskip(NEXT) | instid1(VALU_DEP_1)
	v_cvt_i32_f32_e32 v1, v1
	v_cndmask_b32_e32 v0, 0, v1, vcc_lo
	s_branch .LBB23_831
.LBB23_830:
	s_mov_b32 s2, -1
                                        ; implicit-def: $vgpr0
.LBB23_831:
	s_mov_b32 s7, 0
.LBB23_832:
	s_delay_alu instid0(SALU_CYCLE_1)
	s_and_b32 vcc_lo, exec_lo, s7
	s_cbranch_vccz .LBB23_836
; %bb.833:
	v_cmp_eq_u16_e32 vcc_lo, 29, v6
	s_cbranch_vccz .LBB23_835
; %bb.834:
	global_load_b64 v[0:1], v[3:4], off
	s_mov_b32 s2, 0
	s_mov_b32 s6, -1
	s_branch .LBB23_836
.LBB23_835:
	s_mov_b32 s2, -1
                                        ; implicit-def: $vgpr0
.LBB23_836:
	s_mov_b32 s7, 0
.LBB23_837:
	s_delay_alu instid0(SALU_CYCLE_1)
	s_and_b32 vcc_lo, exec_lo, s7
	s_cbranch_vccz .LBB23_853
; %bb.838:
	v_cmp_gt_i16_e32 vcc_lo, 27, v6
	s_cbranch_vccnz .LBB23_841
; %bb.839:
	v_cmp_lt_i16_e32 vcc_lo, 27, v6
	s_cbranch_vccz .LBB23_842
; %bb.840:
	global_load_b32 v0, v[3:4], off
	s_mov_b32 s6, 0
	s_branch .LBB23_843
.LBB23_841:
	s_mov_b32 s6, -1
                                        ; implicit-def: $vgpr0
	s_branch .LBB23_846
.LBB23_842:
	s_mov_b32 s6, -1
                                        ; implicit-def: $vgpr0
.LBB23_843:
	s_delay_alu instid0(SALU_CYCLE_1)
	s_and_not1_b32 vcc_lo, exec_lo, s6
	s_cbranch_vccnz .LBB23_845
; %bb.844:
	global_load_u16 v0, v[3:4], off
.LBB23_845:
	s_mov_b32 s6, 0
.LBB23_846:
	s_delay_alu instid0(SALU_CYCLE_1)
	s_and_not1_b32 vcc_lo, exec_lo, s6
	s_cbranch_vccnz .LBB23_852
; %bb.847:
	global_load_u8 v1, v[3:4], off
	s_mov_b32 s6, 0
	s_mov_b32 s7, exec_lo
                                        ; implicit-def: $sgpr8
	s_waitcnt vmcnt(0)
	v_cmpx_lt_i16_e32 0x7f, v1
	s_xor_b32 s7, exec_lo, s7
	s_cbranch_execz .LBB23_864
; %bb.848:
	v_cmp_ne_u16_e32 vcc_lo, 0x80, v1
	s_mov_b32 s8, 0
	s_and_b32 s6, vcc_lo, exec_lo
	s_or_saveexec_b32 s7, s7
	v_mov_b32_e32 v0, s8
	s_xor_b32 exec_lo, exec_lo, s7
	s_cbranch_execnz .LBB23_865
.LBB23_849:
	s_or_b32 exec_lo, exec_lo, s7
	s_and_saveexec_b32 s7, s6
	s_cbranch_execz .LBB23_851
.LBB23_850:
	v_and_b32_e32 v0, 0xffff, v1
	v_lshlrev_b32_e32 v1, 24, v1
	s_delay_alu instid0(VALU_DEP_2) | instskip(NEXT) | instid1(VALU_DEP_2)
	v_and_b32_e32 v7, 7, v0
	v_and_b32_e32 v1, 0x80000000, v1
	s_delay_alu instid0(VALU_DEP_2) | instskip(NEXT) | instid1(VALU_DEP_1)
	v_clz_i32_u32_e32 v8, v7
	v_min_u32_e32 v8, 32, v8
	s_delay_alu instid0(VALU_DEP_1) | instskip(SKIP_1) | instid1(VALU_DEP_2)
	v_subrev_nc_u32_e32 v9, 28, v8
	v_sub_nc_u32_e32 v8, 29, v8
	v_lshlrev_b32_e32 v9, v9, v0
	v_bfe_u32 v0, v0, 3, 4
	s_delay_alu instid0(VALU_DEP_1) | instskip(NEXT) | instid1(VALU_DEP_3)
	v_cmp_eq_u32_e32 vcc_lo, 0, v0
	v_dual_cndmask_b32 v0, v0, v8 :: v_dual_and_b32 v9, 7, v9
	s_delay_alu instid0(VALU_DEP_1) | instskip(NEXT) | instid1(VALU_DEP_2)
	v_cndmask_b32_e32 v7, v7, v9, vcc_lo
	v_lshl_add_u32 v0, v0, 23, 0x3b800000
	s_delay_alu instid0(VALU_DEP_2) | instskip(NEXT) | instid1(VALU_DEP_1)
	v_lshlrev_b32_e32 v7, 20, v7
	v_or3_b32 v0, v1, v0, v7
	s_delay_alu instid0(VALU_DEP_1)
	v_cvt_i32_f32_e32 v0, v0
.LBB23_851:
	s_or_b32 exec_lo, exec_lo, s7
.LBB23_852:
	s_mov_b32 s6, -1
.LBB23_853:
	s_mov_b32 s7, 0
.LBB23_854:
	s_delay_alu instid0(SALU_CYCLE_1)
	s_and_b32 vcc_lo, exec_lo, s7
	s_cbranch_vccz .LBB23_885
; %bb.855:
	v_cmp_lt_i16_e32 vcc_lo, 22, v6
	s_cbranch_vccz .LBB23_863
; %bb.856:
	v_cmp_gt_i16_e32 vcc_lo, 24, v6
	s_cbranch_vccnz .LBB23_866
; %bb.857:
	v_cmp_lt_i16_e32 vcc_lo, 24, v6
	s_cbranch_vccz .LBB23_867
; %bb.858:
	global_load_u8 v1, v[3:4], off
	s_mov_b32 s6, exec_lo
                                        ; implicit-def: $sgpr7
	s_waitcnt vmcnt(0)
	v_cmpx_lt_i16_e32 0x7f, v1
	s_xor_b32 s6, exec_lo, s6
	s_cbranch_execz .LBB23_879
; %bb.859:
	v_cmp_ne_u16_e32 vcc_lo, 0x80, v1
	s_mov_b32 s7, 0
	s_and_b32 s3, vcc_lo, exec_lo
	s_or_saveexec_b32 s6, s6
	v_mov_b32_e32 v0, s7
	s_xor_b32 exec_lo, exec_lo, s6
	s_cbranch_execnz .LBB23_880
.LBB23_860:
	s_or_b32 exec_lo, exec_lo, s6
	s_and_saveexec_b32 s6, s3
	s_cbranch_execz .LBB23_862
.LBB23_861:
	v_and_b32_e32 v0, 0xffff, v1
	v_lshlrev_b32_e32 v1, 24, v1
	s_delay_alu instid0(VALU_DEP_2) | instskip(NEXT) | instid1(VALU_DEP_2)
	v_and_b32_e32 v7, 3, v0
	v_and_b32_e32 v1, 0x80000000, v1
	s_delay_alu instid0(VALU_DEP_2) | instskip(NEXT) | instid1(VALU_DEP_1)
	v_clz_i32_u32_e32 v8, v7
	v_min_u32_e32 v8, 32, v8
	s_delay_alu instid0(VALU_DEP_1) | instskip(SKIP_1) | instid1(VALU_DEP_2)
	v_subrev_nc_u32_e32 v9, 29, v8
	v_sub_nc_u32_e32 v8, 30, v8
	v_lshlrev_b32_e32 v9, v9, v0
	v_bfe_u32 v0, v0, 2, 5
	s_delay_alu instid0(VALU_DEP_1) | instskip(NEXT) | instid1(VALU_DEP_3)
	v_cmp_eq_u32_e32 vcc_lo, 0, v0
	v_dual_cndmask_b32 v0, v0, v8 :: v_dual_and_b32 v9, 3, v9
	s_delay_alu instid0(VALU_DEP_1) | instskip(NEXT) | instid1(VALU_DEP_2)
	v_cndmask_b32_e32 v7, v7, v9, vcc_lo
	v_lshl_add_u32 v0, v0, 23, 0x37800000
	s_delay_alu instid0(VALU_DEP_2) | instskip(NEXT) | instid1(VALU_DEP_1)
	v_lshlrev_b32_e32 v7, 21, v7
	v_or3_b32 v0, v1, v0, v7
	s_delay_alu instid0(VALU_DEP_1)
	v_cvt_i32_f32_e32 v0, v0
.LBB23_862:
	s_or_b32 exec_lo, exec_lo, s6
	s_mov_b32 s3, 0
	s_branch .LBB23_868
.LBB23_863:
	s_mov_b32 s3, -1
                                        ; implicit-def: $vgpr0
	s_branch .LBB23_874
.LBB23_864:
	s_or_saveexec_b32 s7, s7
	v_mov_b32_e32 v0, s8
	s_xor_b32 exec_lo, exec_lo, s7
	s_cbranch_execz .LBB23_849
.LBB23_865:
	v_cmp_ne_u16_e32 vcc_lo, 0, v1
	v_mov_b32_e32 v0, 0
	s_and_not1_b32 s6, s6, exec_lo
	s_and_b32 s8, vcc_lo, exec_lo
	s_delay_alu instid0(SALU_CYCLE_1)
	s_or_b32 s6, s6, s8
	s_or_b32 exec_lo, exec_lo, s7
	s_and_saveexec_b32 s7, s6
	s_cbranch_execnz .LBB23_850
	s_branch .LBB23_851
.LBB23_866:
	s_mov_b32 s3, -1
                                        ; implicit-def: $vgpr0
	s_branch .LBB23_871
.LBB23_867:
	s_mov_b32 s3, -1
                                        ; implicit-def: $vgpr0
.LBB23_868:
	s_delay_alu instid0(SALU_CYCLE_1)
	s_and_b32 vcc_lo, exec_lo, s3
	s_cbranch_vccz .LBB23_870
; %bb.869:
	global_load_u8 v0, v[3:4], off
	s_waitcnt vmcnt(0)
	v_lshlrev_b32_e32 v0, 24, v0
	s_delay_alu instid0(VALU_DEP_1) | instskip(NEXT) | instid1(VALU_DEP_1)
	v_and_b32_e32 v1, 0x7f000000, v0
	v_clz_i32_u32_e32 v7, v1
	v_add_nc_u32_e32 v9, 0x1000000, v1
	v_cmp_ne_u32_e32 vcc_lo, 0, v1
	s_delay_alu instid0(VALU_DEP_3) | instskip(NEXT) | instid1(VALU_DEP_1)
	v_min_u32_e32 v7, 32, v7
	v_sub_nc_u32_e64 v7, v7, 4 clamp
	s_delay_alu instid0(VALU_DEP_1) | instskip(SKIP_1) | instid1(VALU_DEP_2)
	v_lshlrev_b32_e32 v8, v7, v1
	v_lshlrev_b32_e32 v7, 23, v7
	v_lshrrev_b32_e32 v8, 4, v8
	s_delay_alu instid0(VALU_DEP_1) | instskip(SKIP_1) | instid1(VALU_DEP_2)
	v_sub_nc_u32_e32 v7, v8, v7
	v_ashrrev_i32_e32 v8, 8, v9
	v_add_nc_u32_e32 v7, 0x3c000000, v7
	s_delay_alu instid0(VALU_DEP_1) | instskip(NEXT) | instid1(VALU_DEP_1)
	v_and_or_b32 v7, 0x7f800000, v8, v7
	v_cndmask_b32_e32 v1, 0, v7, vcc_lo
	s_delay_alu instid0(VALU_DEP_1) | instskip(NEXT) | instid1(VALU_DEP_1)
	v_and_or_b32 v0, 0x80000000, v0, v1
	v_cvt_i32_f32_e32 v0, v0
.LBB23_870:
	s_mov_b32 s3, 0
.LBB23_871:
	s_delay_alu instid0(SALU_CYCLE_1)
	s_and_not1_b32 vcc_lo, exec_lo, s3
	s_cbranch_vccnz .LBB23_873
; %bb.872:
	global_load_u8 v0, v[3:4], off
	s_waitcnt vmcnt(0)
	v_lshlrev_b32_e32 v1, 25, v0
	v_lshlrev_b16 v0, 8, v0
	s_delay_alu instid0(VALU_DEP_2) | instskip(NEXT) | instid1(VALU_DEP_2)
	v_lshrrev_b32_e32 v7, 4, v1
	v_and_or_b32 v8, 0x7f00, v0, 0.5
	v_cmp_gt_u32_e32 vcc_lo, 0x8000000, v1
	v_bfe_i32 v0, v0, 0, 16
	s_delay_alu instid0(VALU_DEP_4) | instskip(NEXT) | instid1(VALU_DEP_1)
	v_or_b32_e32 v7, 0x70000000, v7
	v_dual_add_f32 v8, -0.5, v8 :: v_dual_mul_f32 v7, 0x7800000, v7
	s_delay_alu instid0(VALU_DEP_1) | instskip(NEXT) | instid1(VALU_DEP_1)
	v_cndmask_b32_e32 v1, v7, v8, vcc_lo
	v_and_or_b32 v0, 0x80000000, v0, v1
	s_delay_alu instid0(VALU_DEP_1)
	v_cvt_i32_f32_e32 v0, v0
.LBB23_873:
	s_mov_b32 s3, 0
	s_mov_b32 s6, -1
.LBB23_874:
	s_and_not1_b32 vcc_lo, exec_lo, s3
	s_mov_b32 s3, 0
	s_cbranch_vccnz .LBB23_885
; %bb.875:
	v_cmp_lt_i16_e32 vcc_lo, 14, v6
	s_cbranch_vccz .LBB23_878
; %bb.876:
	v_cmp_eq_u16_e32 vcc_lo, 15, v6
	s_cbranch_vccz .LBB23_881
; %bb.877:
	global_load_u16 v0, v[3:4], off
	s_mov_b32 s2, 0
	s_mov_b32 s6, -1
	s_waitcnt vmcnt(0)
	v_lshlrev_b32_e32 v0, 16, v0
	s_delay_alu instid0(VALU_DEP_1)
	v_cvt_i32_f32_e32 v0, v0
	s_branch .LBB23_883
.LBB23_878:
	s_mov_b32 s3, -1
	s_branch .LBB23_882
.LBB23_879:
	s_or_saveexec_b32 s6, s6
	v_mov_b32_e32 v0, s7
	s_xor_b32 exec_lo, exec_lo, s6
	s_cbranch_execz .LBB23_860
.LBB23_880:
	v_cmp_ne_u16_e32 vcc_lo, 0, v1
	v_mov_b32_e32 v0, 0
	s_and_not1_b32 s3, s3, exec_lo
	s_and_b32 s7, vcc_lo, exec_lo
	s_delay_alu instid0(SALU_CYCLE_1)
	s_or_b32 s3, s3, s7
	s_or_b32 exec_lo, exec_lo, s6
	s_and_saveexec_b32 s6, s3
	s_cbranch_execnz .LBB23_861
	s_branch .LBB23_862
.LBB23_881:
	s_mov_b32 s2, -1
.LBB23_882:
                                        ; implicit-def: $vgpr0
.LBB23_883:
	s_and_b32 vcc_lo, exec_lo, s3
	s_mov_b32 s3, 0
	s_cbranch_vccz .LBB23_885
; %bb.884:
	v_cmp_ne_u16_e32 vcc_lo, 11, v6
	s_and_not1_b32 s2, s2, exec_lo
	s_mov_b32 s3, -1
                                        ; implicit-def: $vgpr0
	s_and_b32 s7, vcc_lo, exec_lo
	s_delay_alu instid0(SALU_CYCLE_1)
	s_or_b32 s2, s2, s7
.LBB23_885:
	s_mov_b32 s7, 0
.LBB23_886:
	s_and_b32 s41, s6, exec_lo
	s_and_b32 s42, s7, exec_lo
	s_and_not1_b32 s6, s22, exec_lo
	s_and_b32 s7, s2, exec_lo
	s_and_b32 s2, s3, exec_lo
	s_or_b32 s43, s6, s7
.LBB23_887:
	s_or_b32 exec_lo, exec_lo, s30
	s_waitcnt lgkmcnt(0)
	s_and_not1_b32 s6, s22, exec_lo
	s_and_b32 s7, s43, exec_lo
	s_and_b32 s41, s41, exec_lo
	s_and_b32 s3, s42, exec_lo
	s_and_b32 s2, s2, exec_lo
	s_or_b32 s22, s6, s7
.LBB23_888:
	s_or_b32 exec_lo, exec_lo, s40
	s_waitcnt lgkmcnt(0)
	s_and_not1_b32 s6, s38, exec_lo
	s_and_b32 s7, s23, exec_lo
	s_and_b32 s40, s41, exec_lo
	s_or_b32 s38, s6, s7
	s_and_not1_b32 s6, s37, exec_lo
	s_and_b32 s7, s22, exec_lo
	s_and_b32 s23, s3, exec_lo
	;; [unrolled: 1-line block ×3, first 2 shown]
	s_or_b32 s37, s6, s7
.LBB23_889:
	s_or_b32 exec_lo, exec_lo, s39
	s_delay_alu instid0(SALU_CYCLE_1)
	s_and_not1_b32 s2, s34, exec_lo
	s_waitcnt lgkmcnt(0)
	s_and_b32 s6, s38, exec_lo
	s_and_b32 s7, s37, exec_lo
	s_or_b32 s34, s2, s6
	s_and_not1_b32 s6, s35, exec_lo
	s_and_b32 s2, s40, exec_lo
	s_and_b32 s22, s23, exec_lo
	;; [unrolled: 1-line block ×3, first 2 shown]
	s_or_b32 s35, s6, s7
.LBB23_890:
	s_or_b32 exec_lo, exec_lo, s36
	s_mov_b32 s3, 0
	s_waitcnt lgkmcnt(0)
	s_and_saveexec_b32 s6, s35
	s_cbranch_execnz .LBB23_902
; %bb.891:
	s_or_b32 exec_lo, exec_lo, s6
	s_and_saveexec_b32 s6, s37
	s_delay_alu instid0(SALU_CYCLE_1)
	s_xor_b32 s6, exec_lo, s6
	s_cbranch_execz .LBB23_893
.LBB23_892:
	global_load_u8 v0, v[3:4], off
	s_or_b32 s2, s2, exec_lo
	s_waitcnt vmcnt(0)
	v_cmp_ne_u16_e32 vcc_lo, 0, v0
	v_cndmask_b32_e64 v0, 0, 1, vcc_lo
.LBB23_893:
	s_or_b32 exec_lo, exec_lo, s6
	s_and_saveexec_b32 s6, s22
	s_cbranch_execz .LBB23_941
; %bb.894:
	v_cmp_gt_i16_e32 vcc_lo, 5, v6
	s_cbranch_vccnz .LBB23_899
; %bb.895:
	v_cmp_gt_i16_e32 vcc_lo, 8, v6
	s_cbranch_vccnz .LBB23_900
	;; [unrolled: 3-line block ×3, first 2 shown]
; %bb.897:
	v_cmp_lt_i16_e32 vcc_lo, 9, v6
	s_cbranch_vccz .LBB23_904
; %bb.898:
	global_load_b64 v[0:1], v[3:4], off
	s_mov_b32 s7, 0
	s_waitcnt vmcnt(0)
	v_cvt_i32_f64_e32 v0, v[0:1]
	s_branch .LBB23_905
.LBB23_899:
                                        ; implicit-def: $vgpr0
	s_branch .LBB23_922
.LBB23_900:
                                        ; implicit-def: $vgpr0
	s_branch .LBB23_911
.LBB23_901:
	s_mov_b32 s7, -1
                                        ; implicit-def: $vgpr0
	s_branch .LBB23_908
.LBB23_902:
	s_cbranch_execnz .LBB23_1172
; %bb.903:
	s_mov_b32 s3, exec_lo
	s_and_not1_b32 s37, s37, exec_lo
                                        ; implicit-def: $vgpr0
	s_or_b32 exec_lo, exec_lo, s6
	s_and_saveexec_b32 s6, s37
	s_delay_alu instid0(SALU_CYCLE_1)
	s_xor_b32 s6, exec_lo, s6
	s_cbranch_execnz .LBB23_892
	s_branch .LBB23_893
.LBB23_904:
	s_mov_b32 s7, -1
                                        ; implicit-def: $vgpr0
.LBB23_905:
	s_delay_alu instid0(SALU_CYCLE_1)
	s_and_not1_b32 vcc_lo, exec_lo, s7
	s_cbranch_vccnz .LBB23_907
; %bb.906:
	global_load_b32 v0, v[3:4], off
	s_waitcnt vmcnt(0)
	v_cvt_i32_f32_e32 v0, v0
.LBB23_907:
	s_mov_b32 s7, 0
.LBB23_908:
	s_delay_alu instid0(SALU_CYCLE_1)
	s_and_not1_b32 vcc_lo, exec_lo, s7
	s_cbranch_vccnz .LBB23_910
; %bb.909:
	global_load_b32 v0, v[3:4], off
	s_waitcnt vmcnt(0)
	v_cvt_i16_f16_e32 v0, v0
.LBB23_910:
	s_cbranch_execnz .LBB23_921
.LBB23_911:
	v_cmp_gt_i16_e32 vcc_lo, 6, v6
	s_cbranch_vccnz .LBB23_914
; %bb.912:
	v_cmp_lt_i16_e32 vcc_lo, 6, v6
	s_cbranch_vccz .LBB23_915
; %bb.913:
	global_load_b64 v[0:1], v[3:4], off
	s_mov_b32 s7, 0
	s_waitcnt vmcnt(0)
	v_cvt_i32_f64_e32 v0, v[0:1]
	s_branch .LBB23_916
.LBB23_914:
	s_mov_b32 s7, -1
                                        ; implicit-def: $vgpr0
	s_branch .LBB23_919
.LBB23_915:
	s_mov_b32 s7, -1
                                        ; implicit-def: $vgpr0
.LBB23_916:
	s_delay_alu instid0(SALU_CYCLE_1)
	s_and_not1_b32 vcc_lo, exec_lo, s7
	s_cbranch_vccnz .LBB23_918
; %bb.917:
	global_load_b32 v0, v[3:4], off
	s_waitcnt vmcnt(0)
	v_cvt_i32_f32_e32 v0, v0
.LBB23_918:
	s_mov_b32 s7, 0
.LBB23_919:
	s_delay_alu instid0(SALU_CYCLE_1)
	s_and_not1_b32 vcc_lo, exec_lo, s7
	s_cbranch_vccnz .LBB23_921
; %bb.920:
	global_load_u16 v0, v[3:4], off
	s_waitcnt vmcnt(0)
	v_cvt_i16_f16_e32 v0, v0
.LBB23_921:
	s_cbranch_execnz .LBB23_940
.LBB23_922:
	v_cmp_gt_i16_e32 vcc_lo, 2, v6
	s_cbranch_vccnz .LBB23_926
; %bb.923:
	v_cmp_gt_i16_e32 vcc_lo, 3, v6
	s_cbranch_vccnz .LBB23_927
; %bb.924:
	v_cmp_lt_i16_e32 vcc_lo, 3, v6
	s_cbranch_vccz .LBB23_928
; %bb.925:
	global_load_b64 v[0:1], v[3:4], off
	s_mov_b32 s7, 0
	s_branch .LBB23_929
.LBB23_926:
                                        ; implicit-def: $vgpr0
	s_branch .LBB23_935
.LBB23_927:
	s_mov_b32 s7, -1
                                        ; implicit-def: $vgpr0
	s_branch .LBB23_932
.LBB23_928:
	s_mov_b32 s7, -1
                                        ; implicit-def: $vgpr0
.LBB23_929:
	s_delay_alu instid0(SALU_CYCLE_1)
	s_and_not1_b32 vcc_lo, exec_lo, s7
	s_cbranch_vccnz .LBB23_931
; %bb.930:
	global_load_b32 v0, v[3:4], off
.LBB23_931:
	s_mov_b32 s7, 0
.LBB23_932:
	s_delay_alu instid0(SALU_CYCLE_1)
	s_and_not1_b32 vcc_lo, exec_lo, s7
	s_cbranch_vccnz .LBB23_934
; %bb.933:
	global_load_u16 v0, v[3:4], off
.LBB23_934:
	s_cbranch_execnz .LBB23_940
.LBB23_935:
	v_cmp_lt_i16_e32 vcc_lo, 0, v6
	s_mov_b32 s7, 0
	s_cbranch_vccz .LBB23_937
; %bb.936:
	global_load_u8 v0, v[3:4], off
	s_branch .LBB23_938
.LBB23_937:
	s_mov_b32 s7, -1
                                        ; implicit-def: $vgpr0
.LBB23_938:
	s_delay_alu instid0(SALU_CYCLE_1)
	s_and_not1_b32 vcc_lo, exec_lo, s7
	s_cbranch_vccnz .LBB23_940
; %bb.939:
	global_load_u8 v0, v[3:4], off
.LBB23_940:
	s_or_b32 s2, s2, exec_lo
.LBB23_941:
	s_or_b32 exec_lo, exec_lo, s6
	s_mov_b32 s8, 0
	s_mov_b32 s7, 0
                                        ; implicit-def: $vgpr6
                                        ; implicit-def: $vgpr3_vgpr4
                                        ; implicit-def: $vgpr1
	s_and_saveexec_b32 s6, s2
	s_cbranch_execz .LBB23_1018
; %bb.942:
	v_and_b32_e32 v6, 0xff, v5
	v_add_co_u32 v3, s2, s4, v2
	s_waitcnt vmcnt(0)
	s_delay_alu instid0(VALU_DEP_3)
	v_xor_b32_e32 v1, -1, v0
	v_add_co_ci_u32_e64 v4, null, s5, 0, s2
	v_cmp_gt_i16_e32 vcc_lo, 11, v6
	s_mov_b32 s7, -1
	s_mov_b32 s2, s34
	s_cbranch_vccnz .LBB23_1017
; %bb.943:
	v_cmp_lt_i16_e32 vcc_lo, 25, v6
	s_mov_b32 s4, -1
	s_mov_b32 s2, s34
	s_cbranch_vccz .LBB23_976
; %bb.944:
	v_cmp_lt_i16_e32 vcc_lo, 28, v6
	s_mov_b32 s2, s34
	s_cbranch_vccz .LBB23_960
; %bb.945:
	v_cmp_lt_i16_e32 vcc_lo, 43, v6
	;; [unrolled: 4-line block ×3, first 2 shown]
	s_mov_b32 s2, s34
	s_cbranch_vccz .LBB23_950
; %bb.947:
	v_cmp_eq_u16_e32 vcc_lo, 46, v6
	s_mov_b32 s2, -1
	s_cbranch_vccz .LBB23_949
; %bb.948:
	v_bfe_i32 v2, v1, 0, 8
	s_mov_b32 s2, 0
	s_delay_alu instid0(VALU_DEP_1) | instskip(NEXT) | instid1(VALU_DEP_1)
	v_bfe_i32 v2, v2, 0, 16
	v_cvt_f32_i32_e32 v2, v2
	s_delay_alu instid0(VALU_DEP_1) | instskip(NEXT) | instid1(VALU_DEP_1)
	v_bfe_u32 v5, v2, 16, 1
	v_add3_u32 v2, v2, v5, 0x7fff
	s_delay_alu instid0(VALU_DEP_1)
	v_lshrrev_b32_e32 v2, 16, v2
	global_store_b32 v[3:4], v2, off
.LBB23_949:
	s_mov_b32 s4, 0
.LBB23_950:
	s_delay_alu instid0(SALU_CYCLE_1)
	s_and_b32 vcc_lo, exec_lo, s4
	s_cbranch_vccz .LBB23_955
; %bb.951:
	v_cmp_eq_u16_e32 vcc_lo, 44, v6
	s_mov_b32 s2, -1
	s_cbranch_vccz .LBB23_955
; %bb.952:
	v_bfe_i32 v2, v1, 0, 8
	v_mov_b32_e32 v5, 0xff
	s_mov_b32 s4, exec_lo
	s_delay_alu instid0(VALU_DEP_2) | instskip(NEXT) | instid1(VALU_DEP_1)
	v_bfe_i32 v2, v2, 0, 16
	v_cvt_f32_i32_e32 v2, v2
	s_delay_alu instid0(VALU_DEP_1) | instskip(NEXT) | instid1(VALU_DEP_1)
	v_bfe_u32 v7, v2, 23, 8
	v_cmpx_ne_u32_e32 0xff, v7
; %bb.953:
	v_and_b32_e32 v5, 0x400000, v2
	v_and_or_b32 v7, 0x3fffff, v2, v7
	v_lshrrev_b32_e32 v2, 23, v2
	s_delay_alu instid0(VALU_DEP_3) | instskip(NEXT) | instid1(VALU_DEP_3)
	v_cmp_ne_u32_e32 vcc_lo, 0, v5
	v_cmp_ne_u32_e64 s2, 0, v7
	s_delay_alu instid0(VALU_DEP_1) | instskip(NEXT) | instid1(SALU_CYCLE_1)
	s_and_b32 s2, vcc_lo, s2
	v_cndmask_b32_e64 v5, 0, 1, s2
	s_delay_alu instid0(VALU_DEP_1)
	v_add_nc_u32_e32 v5, v2, v5
; %bb.954:
	s_or_b32 exec_lo, exec_lo, s4
	s_mov_b32 s2, 0
	global_store_b8 v[3:4], v5, off
.LBB23_955:
	s_mov_b32 s4, 0
.LBB23_956:
	s_delay_alu instid0(SALU_CYCLE_1)
	s_and_b32 vcc_lo, exec_lo, s4
	s_cbranch_vccz .LBB23_959
; %bb.957:
	v_cmp_eq_u16_e32 vcc_lo, 29, v6
	s_mov_b32 s2, -1
	s_cbranch_vccz .LBB23_959
; %bb.958:
	v_bfe_i32 v7, v1, 0, 8
	s_mov_b32 s2, 0
	s_delay_alu instid0(VALU_DEP_1)
	v_ashrrev_i32_e32 v8, 31, v7
	global_store_b64 v[3:4], v[7:8], off
.LBB23_959:
	s_mov_b32 s4, 0
.LBB23_960:
	s_delay_alu instid0(SALU_CYCLE_1)
	s_and_b32 vcc_lo, exec_lo, s4
	s_cbranch_vccz .LBB23_975
; %bb.961:
	v_cmp_gt_i16_e32 vcc_lo, 27, v6
	s_mov_b32 s4, -1
	s_cbranch_vccnz .LBB23_967
; %bb.962:
	v_cmp_lt_i16_e32 vcc_lo, 27, v6
	s_cbranch_vccz .LBB23_964
; %bb.963:
	v_bfe_i32 v2, v1, 0, 8
	s_mov_b32 s4, 0
	global_store_b32 v[3:4], v2, off
.LBB23_964:
	s_and_not1_b32 vcc_lo, exec_lo, s4
	s_cbranch_vccnz .LBB23_966
; %bb.965:
	v_bfe_i32 v2, v1, 0, 8
	global_store_b16 v[3:4], v2, off
.LBB23_966:
	s_mov_b32 s4, 0
.LBB23_967:
	s_delay_alu instid0(SALU_CYCLE_1)
	s_and_not1_b32 vcc_lo, exec_lo, s4
	s_cbranch_vccnz .LBB23_975
; %bb.968:
	v_bfe_i32 v2, v1, 0, 8
	v_mov_b32_e32 v7, 0x80
	s_mov_b32 s4, exec_lo
	s_delay_alu instid0(VALU_DEP_2) | instskip(NEXT) | instid1(VALU_DEP_1)
	v_bfe_i32 v2, v2, 0, 16
	v_cvt_f32_i32_e32 v2, v2
	s_delay_alu instid0(VALU_DEP_1) | instskip(NEXT) | instid1(VALU_DEP_1)
	v_and_b32_e32 v5, 0x7fffffff, v2
	v_cmpx_gt_u32_e32 0x43800000, v5
	s_cbranch_execz .LBB23_974
; %bb.969:
	v_cmp_lt_u32_e32 vcc_lo, 0x3bffffff, v5
	s_mov_b32 s5, 0
                                        ; implicit-def: $vgpr5
	s_and_saveexec_b32 s7, vcc_lo
	s_delay_alu instid0(SALU_CYCLE_1)
	s_xor_b32 s7, exec_lo, s7
	s_cbranch_execz .LBB23_1258
; %bb.970:
	v_bfe_u32 v5, v2, 20, 1
	s_mov_b32 s5, exec_lo
	s_delay_alu instid0(VALU_DEP_1) | instskip(NEXT) | instid1(VALU_DEP_1)
	v_add3_u32 v5, v2, v5, 0x487ffff
	v_lshrrev_b32_e32 v5, 20, v5
	s_or_saveexec_b32 s7, s7
                                        ; implicit-def: $sgpr8
	s_delay_alu instid0(SALU_CYCLE_1)
	s_xor_b32 exec_lo, exec_lo, s7
	s_cbranch_execnz .LBB23_1259
.LBB23_971:
	s_or_b32 exec_lo, exec_lo, s7
	v_mov_b32_e32 v7, s8
	s_and_saveexec_b32 s7, s5
.LBB23_972:
	v_lshrrev_b32_e32 v2, 24, v2
	s_delay_alu instid0(VALU_DEP_1)
	v_and_or_b32 v7, 0x80, v2, v5
.LBB23_973:
	s_or_b32 exec_lo, exec_lo, s7
.LBB23_974:
	s_delay_alu instid0(SALU_CYCLE_1)
	s_or_b32 exec_lo, exec_lo, s4
	global_store_b8 v[3:4], v7, off
.LBB23_975:
	s_mov_b32 s4, 0
.LBB23_976:
	s_delay_alu instid0(SALU_CYCLE_1)
	s_and_b32 vcc_lo, exec_lo, s4
	s_mov_b32 s7, 0
	s_cbranch_vccz .LBB23_1016
; %bb.977:
	v_cmp_lt_i16_e32 vcc_lo, 22, v6
	s_mov_b32 s4, -1
	s_cbranch_vccz .LBB23_1009
; %bb.978:
	v_cmp_gt_i16_e32 vcc_lo, 24, v6
	s_cbranch_vccnz .LBB23_998
; %bb.979:
	v_cmp_lt_i16_e32 vcc_lo, 24, v6
	s_cbranch_vccz .LBB23_987
; %bb.980:
	v_bfe_i32 v2, v1, 0, 8
	v_mov_b32_e32 v7, 0x80
	s_mov_b32 s4, exec_lo
	s_delay_alu instid0(VALU_DEP_2) | instskip(NEXT) | instid1(VALU_DEP_1)
	v_bfe_i32 v2, v2, 0, 16
	v_cvt_f32_i32_e32 v2, v2
	s_delay_alu instid0(VALU_DEP_1) | instskip(NEXT) | instid1(VALU_DEP_1)
	v_and_b32_e32 v5, 0x7fffffff, v2
	v_cmpx_gt_u32_e32 0x47800000, v5
	s_cbranch_execz .LBB23_986
; %bb.981:
	v_cmp_lt_u32_e32 vcc_lo, 0x37ffffff, v5
	s_mov_b32 s5, 0
                                        ; implicit-def: $vgpr5
	s_and_saveexec_b32 s8, vcc_lo
	s_delay_alu instid0(SALU_CYCLE_1)
	s_xor_b32 s8, exec_lo, s8
	s_cbranch_execz .LBB23_1302
; %bb.982:
	v_bfe_u32 v5, v2, 21, 1
	s_mov_b32 s5, exec_lo
	s_delay_alu instid0(VALU_DEP_1) | instskip(NEXT) | instid1(VALU_DEP_1)
	v_add3_u32 v5, v2, v5, 0x88fffff
	v_lshrrev_b32_e32 v5, 21, v5
	s_or_saveexec_b32 s8, s8
                                        ; implicit-def: $sgpr9
	s_delay_alu instid0(SALU_CYCLE_1)
	s_xor_b32 exec_lo, exec_lo, s8
	s_cbranch_execnz .LBB23_1303
.LBB23_983:
	s_or_b32 exec_lo, exec_lo, s8
	v_mov_b32_e32 v7, s9
	s_and_saveexec_b32 s8, s5
.LBB23_984:
	v_lshrrev_b32_e32 v2, 24, v2
	s_delay_alu instid0(VALU_DEP_1)
	v_and_or_b32 v7, 0x80, v2, v5
.LBB23_985:
	s_or_b32 exec_lo, exec_lo, s8
.LBB23_986:
	s_delay_alu instid0(SALU_CYCLE_1)
	s_or_b32 exec_lo, exec_lo, s4
	s_mov_b32 s4, 0
	global_store_b8 v[3:4], v7, off
.LBB23_987:
	s_and_b32 vcc_lo, exec_lo, s4
	s_cbranch_vccz .LBB23_997
; %bb.988:
	v_bfe_i32 v2, v1, 0, 8
	s_mov_b32 s4, exec_lo
                                        ; implicit-def: $vgpr5
	s_delay_alu instid0(VALU_DEP_1) | instskip(NEXT) | instid1(VALU_DEP_1)
	v_bfe_i32 v2, v2, 0, 16
	v_cvt_f32_i32_e32 v2, v2
	s_delay_alu instid0(VALU_DEP_1) | instskip(NEXT) | instid1(VALU_DEP_1)
	v_and_b32_e32 v7, 0x7fffffff, v2
	v_cmpx_gt_u32_e32 0x43f00000, v7
	s_xor_b32 s4, exec_lo, s4
	s_cbranch_execz .LBB23_994
; %bb.989:
	s_mov_b32 s5, exec_lo
                                        ; implicit-def: $vgpr5
	v_cmpx_lt_u32_e32 0x3c7fffff, v7
	s_xor_b32 s5, exec_lo, s5
; %bb.990:
	v_bfe_u32 v5, v2, 20, 1
	s_delay_alu instid0(VALU_DEP_1) | instskip(NEXT) | instid1(VALU_DEP_1)
	v_add3_u32 v5, v2, v5, 0x407ffff
	v_and_b32_e32 v7, 0xff00000, v5
	v_lshrrev_b32_e32 v5, 20, v5
	s_delay_alu instid0(VALU_DEP_2) | instskip(NEXT) | instid1(VALU_DEP_2)
	v_cmp_ne_u32_e32 vcc_lo, 0x7f00000, v7
	v_cndmask_b32_e32 v5, 0x7e, v5, vcc_lo
; %bb.991:
	s_and_not1_saveexec_b32 s5, s5
; %bb.992:
	v_add_f32_e64 v5, 0x46800000, |v2|
; %bb.993:
	s_or_b32 exec_lo, exec_lo, s5
                                        ; implicit-def: $vgpr7
.LBB23_994:
	s_and_not1_saveexec_b32 s4, s4
; %bb.995:
	v_mov_b32_e32 v5, 0x7f
	v_cmp_lt_u32_e32 vcc_lo, 0x7f800000, v7
	s_delay_alu instid0(VALU_DEP_2)
	v_cndmask_b32_e32 v5, 0x7e, v5, vcc_lo
; %bb.996:
	s_or_b32 exec_lo, exec_lo, s4
	v_lshrrev_b32_e32 v2, 24, v2
	s_delay_alu instid0(VALU_DEP_1)
	v_and_or_b32 v2, 0x80, v2, v5
	global_store_b8 v[3:4], v2, off
.LBB23_997:
	s_mov_b32 s4, 0
.LBB23_998:
	s_delay_alu instid0(SALU_CYCLE_1)
	s_and_not1_b32 vcc_lo, exec_lo, s4
	s_cbranch_vccnz .LBB23_1008
; %bb.999:
	v_bfe_i32 v2, v1, 0, 8
	s_mov_b32 s4, exec_lo
                                        ; implicit-def: $vgpr5
	s_delay_alu instid0(VALU_DEP_1) | instskip(NEXT) | instid1(VALU_DEP_1)
	v_bfe_i32 v2, v2, 0, 16
	v_cvt_f32_i32_e32 v2, v2
	s_delay_alu instid0(VALU_DEP_1) | instskip(NEXT) | instid1(VALU_DEP_1)
	v_and_b32_e32 v7, 0x7fffffff, v2
	v_cmpx_gt_u32_e32 0x47800000, v7
	s_xor_b32 s4, exec_lo, s4
	s_cbranch_execz .LBB23_1005
; %bb.1000:
	s_mov_b32 s5, exec_lo
                                        ; implicit-def: $vgpr5
	v_cmpx_lt_u32_e32 0x387fffff, v7
	s_xor_b32 s5, exec_lo, s5
; %bb.1001:
	v_bfe_u32 v5, v2, 21, 1
	s_delay_alu instid0(VALU_DEP_1) | instskip(NEXT) | instid1(VALU_DEP_1)
	v_add3_u32 v5, v2, v5, 0x80fffff
	v_lshrrev_b32_e32 v5, 21, v5
; %bb.1002:
	s_and_not1_saveexec_b32 s5, s5
; %bb.1003:
	v_add_f32_e64 v5, 0x43000000, |v2|
; %bb.1004:
	s_or_b32 exec_lo, exec_lo, s5
                                        ; implicit-def: $vgpr7
.LBB23_1005:
	s_and_not1_saveexec_b32 s4, s4
; %bb.1006:
	v_mov_b32_e32 v5, 0x7f
	v_cmp_lt_u32_e32 vcc_lo, 0x7f800000, v7
	s_delay_alu instid0(VALU_DEP_2)
	v_cndmask_b32_e32 v5, 0x7c, v5, vcc_lo
; %bb.1007:
	s_or_b32 exec_lo, exec_lo, s4
	v_lshrrev_b32_e32 v2, 24, v2
	s_delay_alu instid0(VALU_DEP_1)
	v_and_or_b32 v2, 0x80, v2, v5
	global_store_b8 v[3:4], v2, off
.LBB23_1008:
	s_mov_b32 s4, 0
.LBB23_1009:
	s_delay_alu instid0(SALU_CYCLE_1)
	s_and_not1_b32 vcc_lo, exec_lo, s4
	s_mov_b32 s8, 0
	s_cbranch_vccnz .LBB23_1017
; %bb.1010:
	v_cmp_lt_i16_e32 vcc_lo, 14, v6
	s_mov_b32 s4, -1
	s_cbranch_vccz .LBB23_1014
; %bb.1011:
	v_cmp_eq_u16_e32 vcc_lo, 15, v6
	s_mov_b32 s2, -1
	s_cbranch_vccz .LBB23_1013
; %bb.1012:
	v_bfe_i32 v2, v1, 0, 8
	s_mov_b32 s2, 0
	s_delay_alu instid0(VALU_DEP_1) | instskip(NEXT) | instid1(VALU_DEP_1)
	v_bfe_i32 v2, v2, 0, 16
	v_cvt_f32_i32_e32 v2, v2
	s_delay_alu instid0(VALU_DEP_1) | instskip(NEXT) | instid1(VALU_DEP_1)
	v_bfe_u32 v5, v2, 16, 1
	v_add3_u32 v2, v2, v5, 0x7fff
	global_store_d16_hi_b16 v[3:4], v2, off
.LBB23_1013:
	s_mov_b32 s4, 0
.LBB23_1014:
	s_delay_alu instid0(SALU_CYCLE_1)
	s_and_b32 vcc_lo, exec_lo, s4
	s_cbranch_vccz .LBB23_1017
; %bb.1015:
	v_cmp_ne_u16_e32 vcc_lo, 11, v6
	s_and_not1_b32 s2, s2, exec_lo
	s_mov_b32 s8, -1
	s_and_b32 s4, vcc_lo, exec_lo
	s_delay_alu instid0(SALU_CYCLE_1)
	s_or_b32 s2, s2, s4
	s_branch .LBB23_1017
.LBB23_1016:
	s_mov_b32 s8, 0
.LBB23_1017:
	s_and_not1_b32 s4, s34, exec_lo
	s_and_b32 s2, s2, exec_lo
	s_and_b32 s7, s7, exec_lo
	;; [unrolled: 1-line block ×3, first 2 shown]
	s_or_b32 s34, s4, s2
.LBB23_1018:
	s_or_b32 exec_lo, exec_lo, s6
	s_and_saveexec_b32 s2, s34
	s_cbranch_execnz .LBB23_1132
; %bb.1019:
	s_or_b32 exec_lo, exec_lo, s2
	s_and_saveexec_b32 s2, s8
	s_delay_alu instid0(SALU_CYCLE_1)
	s_xor_b32 s2, exec_lo, s2
	s_cbranch_execz .LBB23_1021
.LBB23_1020:
	s_waitcnt vmcnt(0)
	s_delay_alu instid0(VALU_DEP_1) | instskip(NEXT) | instid1(VALU_DEP_1)
	v_and_b32_e32 v0, 0xff, v0
	v_cmp_ne_u16_e32 vcc_lo, 0xff, v0
	v_cndmask_b32_e64 v0, 0, 1, vcc_lo
	global_store_b8 v[3:4], v0, off
.LBB23_1021:
	s_or_b32 exec_lo, exec_lo, s2
	s_and_saveexec_b32 s2, s7
	s_delay_alu instid0(SALU_CYCLE_1)
	s_xor_b32 s2, exec_lo, s2
	s_cbranch_execz .LBB23_1059
; %bb.1022:
	v_cmp_gt_i16_e32 vcc_lo, 5, v6
	s_mov_b32 s4, -1
	s_cbranch_vccnz .LBB23_1043
; %bb.1023:
	v_cmp_gt_i16_e32 vcc_lo, 8, v6
	s_cbranch_vccnz .LBB23_1033
; %bb.1024:
	v_cmp_gt_i16_e32 vcc_lo, 9, v6
	s_cbranch_vccnz .LBB23_1030
; %bb.1025:
	v_cmp_lt_i16_e32 vcc_lo, 9, v6
	s_cbranch_vccz .LBB23_1027
; %bb.1026:
	s_waitcnt vmcnt(0)
	v_bfe_i32 v0, v1, 0, 8
	v_mov_b32_e32 v9, 0
	s_mov_b32 s4, 0
	s_delay_alu instid0(VALU_DEP_2) | instskip(NEXT) | instid1(VALU_DEP_2)
	v_bfe_i32 v0, v0, 0, 16
	v_mov_b32_e32 v10, v9
	s_delay_alu instid0(VALU_DEP_2)
	v_cvt_f64_i32_e32 v[7:8], v0
	global_store_b128 v[3:4], v[7:10], off
.LBB23_1027:
	s_and_not1_b32 vcc_lo, exec_lo, s4
	s_cbranch_vccnz .LBB23_1029
; %bb.1028:
	s_waitcnt vmcnt(0)
	v_bfe_i32 v0, v1, 0, 8
	v_mov_b32_e32 v8, 0
	s_delay_alu instid0(VALU_DEP_2) | instskip(NEXT) | instid1(VALU_DEP_1)
	v_bfe_i32 v0, v0, 0, 16
	v_cvt_f32_i32_e32 v7, v0
	global_store_b64 v[3:4], v[7:8], off
.LBB23_1029:
	s_mov_b32 s4, 0
.LBB23_1030:
	s_delay_alu instid0(SALU_CYCLE_1)
	s_and_not1_b32 vcc_lo, exec_lo, s4
	s_cbranch_vccnz .LBB23_1032
; %bb.1031:
	s_waitcnt vmcnt(0)
	v_bfe_i32 v0, v1, 0, 8
	s_delay_alu instid0(VALU_DEP_1) | instskip(NEXT) | instid1(VALU_DEP_1)
	v_cvt_f16_i16_e32 v0, v0
	v_and_b32_e32 v0, 0xffff, v0
	global_store_b32 v[3:4], v0, off
.LBB23_1032:
	s_mov_b32 s4, 0
.LBB23_1033:
	s_delay_alu instid0(SALU_CYCLE_1)
	s_and_not1_b32 vcc_lo, exec_lo, s4
	s_cbranch_vccnz .LBB23_1042
; %bb.1034:
	v_cmp_gt_i16_e32 vcc_lo, 6, v6
	s_mov_b32 s4, -1
	s_cbranch_vccnz .LBB23_1040
; %bb.1035:
	v_cmp_lt_i16_e32 vcc_lo, 6, v6
	s_cbranch_vccz .LBB23_1037
; %bb.1036:
	s_waitcnt vmcnt(0)
	v_bfe_i32 v0, v1, 0, 8
	s_mov_b32 s4, 0
	s_delay_alu instid0(VALU_DEP_1) | instskip(NEXT) | instid1(VALU_DEP_1)
	v_bfe_i32 v0, v0, 0, 16
	v_cvt_f64_i32_e32 v[7:8], v0
	global_store_b64 v[3:4], v[7:8], off
.LBB23_1037:
	s_and_not1_b32 vcc_lo, exec_lo, s4
	s_cbranch_vccnz .LBB23_1039
; %bb.1038:
	s_waitcnt vmcnt(0)
	v_bfe_i32 v0, v1, 0, 8
	s_delay_alu instid0(VALU_DEP_1) | instskip(NEXT) | instid1(VALU_DEP_1)
	v_bfe_i32 v0, v0, 0, 16
	v_cvt_f32_i32_e32 v0, v0
	global_store_b32 v[3:4], v0, off
.LBB23_1039:
	s_mov_b32 s4, 0
.LBB23_1040:
	s_delay_alu instid0(SALU_CYCLE_1)
	s_and_not1_b32 vcc_lo, exec_lo, s4
	s_cbranch_vccnz .LBB23_1042
; %bb.1041:
	s_waitcnt vmcnt(0)
	v_bfe_i32 v0, v1, 0, 8
	s_delay_alu instid0(VALU_DEP_1)
	v_cvt_f16_i16_e32 v0, v0
	global_store_b16 v[3:4], v0, off
.LBB23_1042:
	s_mov_b32 s4, 0
.LBB23_1043:
	s_delay_alu instid0(SALU_CYCLE_1)
	s_and_not1_b32 vcc_lo, exec_lo, s4
	s_cbranch_vccnz .LBB23_1059
; %bb.1044:
	v_cmp_gt_i16_e32 vcc_lo, 2, v6
	s_mov_b32 s4, -1
	s_cbranch_vccnz .LBB23_1054
; %bb.1045:
	v_cmp_gt_i16_e32 vcc_lo, 3, v6
	s_cbranch_vccnz .LBB23_1051
; %bb.1046:
	v_cmp_lt_i16_e32 vcc_lo, 3, v6
	s_cbranch_vccz .LBB23_1048
; %bb.1047:
	s_waitcnt vmcnt(0)
	v_bfe_i32 v7, v1, 0, 8
	s_mov_b32 s4, 0
	s_delay_alu instid0(VALU_DEP_1)
	v_ashrrev_i32_e32 v8, 31, v7
	global_store_b64 v[3:4], v[7:8], off
.LBB23_1048:
	s_and_not1_b32 vcc_lo, exec_lo, s4
	s_cbranch_vccnz .LBB23_1050
; %bb.1049:
	s_waitcnt vmcnt(0)
	v_bfe_i32 v0, v1, 0, 8
	global_store_b32 v[3:4], v0, off
.LBB23_1050:
	s_mov_b32 s4, 0
.LBB23_1051:
	s_delay_alu instid0(SALU_CYCLE_1)
	s_and_not1_b32 vcc_lo, exec_lo, s4
	s_cbranch_vccnz .LBB23_1053
; %bb.1052:
	s_waitcnt vmcnt(0)
	v_bfe_i32 v0, v1, 0, 8
	global_store_b16 v[3:4], v0, off
.LBB23_1053:
	s_mov_b32 s4, 0
.LBB23_1054:
	s_delay_alu instid0(SALU_CYCLE_1)
	s_and_not1_b32 vcc_lo, exec_lo, s4
	s_cbranch_vccnz .LBB23_1059
; %bb.1055:
	v_cmp_lt_i16_e32 vcc_lo, 0, v6
	s_mov_b32 s4, -1
	s_cbranch_vccz .LBB23_1057
; %bb.1056:
	s_mov_b32 s4, 0
	s_waitcnt vmcnt(0)
	global_store_b8 v[3:4], v1, off
.LBB23_1057:
	s_and_not1_b32 vcc_lo, exec_lo, s4
	s_cbranch_vccnz .LBB23_1059
; %bb.1058:
	s_waitcnt vmcnt(0)
	global_store_b8 v[3:4], v1, off
.LBB23_1059:
	s_or_b32 exec_lo, exec_lo, s2
	s_delay_alu instid0(SALU_CYCLE_1)
	s_and_b32 s8, s3, exec_lo
                                        ; implicit-def: $vgpr9
                                        ; implicit-def: $vgpr8
.LBB23_1060:
	s_or_saveexec_b32 s9, s28
	s_mov_b32 s3, 0
                                        ; implicit-def: $vgpr0_vgpr1
                                        ; implicit-def: $vgpr5
                                        ; implicit-def: $vgpr2
                                        ; implicit-def: $vgpr4
	s_xor_b32 exec_lo, exec_lo, s9
	s_cbranch_execz .LBB23_1432
; %bb.1061:
	s_waitcnt vmcnt(0)
	v_cndmask_b32_e64 v0, 0, 1, s27
	s_and_not1_b32 vcc_lo, exec_lo, s27
	s_cbranch_vccnz .LBB23_1067
; %bb.1062:
	v_mov_b32_e32 v3, 0
	v_mov_b32_e32 v7, 0
	s_cmp_lg_u32 s24, 0
	s_mov_b32 s6, 0
	s_cbranch_scc0 .LBB23_1071
; %bb.1063:
	s_min_u32 s7, s25, 15
	v_mov_b32_e32 v3, 0
	s_add_i32 s7, s7, 1
	s_cmp_eq_u32 s25, 2
	s_mov_b32 s10, 0
	s_cbranch_scc1 .LBB23_1068
; %bb.1064:
	v_mov_b32_e32 v7, 0
	v_mov_b32_e32 v3, 0
	;; [unrolled: 1-line block ×3, first 2 shown]
	s_add_u32 s2, s16, 0xc4
	s_addc_u32 s3, s17, 0
	s_and_b32 s10, s7, 28
	s_mov_b32 s11, 0
	s_mov_b64 s[4:5], s[16:17]
.LBB23_1065:                            ; =>This Inner Loop Header: Depth=1
	s_clause 0x1
	s_load_b256 s[36:43], s[4:5], 0x4
	s_load_b128 s[12:15], s[4:5], 0x24
	s_load_b256 s[44:51], s[2:3], 0x0
	s_add_u32 s4, s4, 48
	s_addc_u32 s5, s5, 0
	s_add_i32 s11, s11, 4
	s_add_u32 s2, s2, 32
	s_addc_u32 s3, s3, 0
	s_cmp_lg_u32 s10, s11
	s_waitcnt lgkmcnt(0)
	v_mul_hi_u32 v2, s37, v1
	s_delay_alu instid0(VALU_DEP_1) | instskip(NEXT) | instid1(VALU_DEP_1)
	v_add_nc_u32_e32 v2, v1, v2
	v_lshrrev_b32_e32 v2, s38, v2
	s_delay_alu instid0(VALU_DEP_1) | instskip(SKIP_1) | instid1(VALU_DEP_2)
	v_mul_hi_u32 v4, s40, v2
	v_mul_lo_u32 v6, v2, s36
	v_add_nc_u32_e32 v4, v2, v4
	s_delay_alu instid0(VALU_DEP_2) | instskip(NEXT) | instid1(VALU_DEP_2)
	v_sub_nc_u32_e32 v1, v1, v6
	v_lshrrev_b32_e32 v4, s41, v4
	s_delay_alu instid0(VALU_DEP_2) | instskip(SKIP_1) | instid1(VALU_DEP_3)
	v_mul_lo_u32 v6, v1, s44
	v_mul_lo_u32 v11, v1, s45
	v_mul_hi_u32 v5, s43, v4
	s_delay_alu instid0(VALU_DEP_1) | instskip(NEXT) | instid1(VALU_DEP_1)
	v_add_nc_u32_e32 v5, v4, v5
	v_lshrrev_b32_e32 v5, s12, v5
	s_delay_alu instid0(VALU_DEP_1) | instskip(SKIP_1) | instid1(VALU_DEP_2)
	v_mul_hi_u32 v10, s14, v5
	v_mul_lo_u32 v12, v5, s42
	v_add_nc_u32_e32 v1, v5, v10
	v_mul_lo_u32 v10, v4, s39
	s_delay_alu instid0(VALU_DEP_3) | instskip(NEXT) | instid1(VALU_DEP_3)
	v_sub_nc_u32_e32 v4, v4, v12
	v_lshrrev_b32_e32 v1, s15, v1
	s_delay_alu instid0(VALU_DEP_2) | instskip(SKIP_2) | instid1(VALU_DEP_4)
	v_mul_lo_u32 v12, v4, s48
	v_mul_lo_u32 v4, v4, s49
	v_sub_nc_u32_e32 v2, v2, v10
	v_mul_lo_u32 v13, v1, s13
	s_delay_alu instid0(VALU_DEP_2) | instskip(SKIP_1) | instid1(VALU_DEP_3)
	v_mul_lo_u32 v10, v2, s46
	v_mul_lo_u32 v2, v2, s47
	v_sub_nc_u32_e32 v5, v5, v13
	s_delay_alu instid0(VALU_DEP_3) | instskip(NEXT) | instid1(VALU_DEP_2)
	v_add3_u32 v3, v6, v3, v10
	v_mul_lo_u32 v13, v5, s50
	v_mul_lo_u32 v5, v5, s51
	v_add3_u32 v2, v11, v7, v2
	s_delay_alu instid0(VALU_DEP_3) | instskip(NEXT) | instid1(VALU_DEP_2)
	v_add3_u32 v3, v12, v3, v13
	v_add3_u32 v7, v4, v2, v5
	s_cbranch_scc1 .LBB23_1065
; %bb.1066:
	s_and_b32 s7, s7, 3
	s_delay_alu instid0(SALU_CYCLE_1)
	s_cmp_eq_u32 s7, 0
	s_cbranch_scc0 .LBB23_1069
	s_branch .LBB23_1071
.LBB23_1067:
	s_mov_b32 s6, -1
                                        ; implicit-def: $vgpr3
                                        ; implicit-def: $vgpr7
	s_branch .LBB23_1071
.LBB23_1068:
	v_mov_b32_e32 v1, v8
	v_mov_b32_e32 v7, 0
	s_and_b32 s7, s7, 3
	s_delay_alu instid0(SALU_CYCLE_1)
	s_cmp_eq_u32 s7, 0
	s_cbranch_scc1 .LBB23_1071
.LBB23_1069:
	s_lshl_b32 s2, s10, 3
	s_mul_i32 s4, s10, 12
	s_add_u32 s2, s2, s16
	s_addc_u32 s3, 0, s17
	s_add_u32 s2, s2, 0xc4
	s_addc_u32 s3, s3, 0
	;; [unrolled: 2-line block ×3, first 2 shown]
	.p2align	6
.LBB23_1070:                            ; =>This Inner Loop Header: Depth=1
	s_clause 0x1
	s_load_b64 s[10:11], s[4:5], 0x4
	s_load_b32 s14, s[4:5], 0xc
	s_load_b64 s[12:13], s[2:3], 0x0
	s_add_u32 s4, s4, 12
	s_addc_u32 s5, s5, 0
	s_add_u32 s2, s2, 8
	s_addc_u32 s3, s3, 0
	s_add_i32 s7, s7, -1
	s_delay_alu instid0(SALU_CYCLE_1) | instskip(SKIP_2) | instid1(VALU_DEP_1)
	s_cmp_lg_u32 s7, 0
	s_waitcnt lgkmcnt(0)
	v_mul_hi_u32 v2, s11, v1
	v_add_nc_u32_e32 v2, v1, v2
	s_delay_alu instid0(VALU_DEP_1) | instskip(NEXT) | instid1(VALU_DEP_1)
	v_lshrrev_b32_e32 v6, s14, v2
	v_mul_lo_u32 v2, v6, s10
	s_delay_alu instid0(VALU_DEP_1) | instskip(NEXT) | instid1(VALU_DEP_1)
	v_sub_nc_u32_e32 v1, v1, v2
	v_mad_u64_u32 v[4:5], null, v1, s12, v[3:4]
	v_mad_u64_u32 v[2:3], null, v1, s13, v[7:8]
	v_mov_b32_e32 v1, v6
	s_delay_alu instid0(VALU_DEP_3) | instskip(NEXT) | instid1(VALU_DEP_3)
	v_mov_b32_e32 v3, v4
	v_mov_b32_e32 v7, v2
	s_cbranch_scc1 .LBB23_1070
.LBB23_1071:
	s_and_not1_b32 vcc_lo, exec_lo, s6
	s_cbranch_vccnz .LBB23_1074
; %bb.1072:
	s_clause 0x1
	s_load_b128 s[4:7], s[16:17], 0x4
	s_load_b64 s[2:3], s[16:17], 0xc4
	s_cmp_lt_u32 s24, 2
	s_waitcnt lgkmcnt(0)
	v_mul_hi_u32 v1, s5, v8
	s_delay_alu instid0(VALU_DEP_1) | instskip(NEXT) | instid1(VALU_DEP_1)
	v_add_nc_u32_e32 v1, v8, v1
	v_lshrrev_b32_e32 v1, s6, v1
	s_delay_alu instid0(VALU_DEP_1) | instskip(NEXT) | instid1(VALU_DEP_1)
	v_mul_lo_u32 v2, v1, s4
	v_sub_nc_u32_e32 v2, v8, v2
	s_delay_alu instid0(VALU_DEP_1)
	v_mul_lo_u32 v3, v2, s2
	v_mul_lo_u32 v7, v2, s3
	s_cbranch_scc1 .LBB23_1074
; %bb.1073:
	s_clause 0x1
	s_load_b128 s[4:7], s[16:17], 0x10
	s_load_b64 s[2:3], s[16:17], 0xcc
	s_waitcnt lgkmcnt(0)
	v_mul_hi_u32 v2, s5, v1
	s_delay_alu instid0(VALU_DEP_1) | instskip(NEXT) | instid1(VALU_DEP_1)
	v_add_nc_u32_e32 v2, v1, v2
	v_lshrrev_b32_e32 v2, s6, v2
	s_delay_alu instid0(VALU_DEP_1) | instskip(NEXT) | instid1(VALU_DEP_1)
	v_mul_lo_u32 v2, v2, s4
	v_sub_nc_u32_e32 v4, v1, v2
	s_delay_alu instid0(VALU_DEP_1) | instskip(SKIP_1) | instid1(VALU_DEP_2)
	v_mad_u64_u32 v[1:2], null, v4, s2, v[3:4]
	v_mad_u64_u32 v[2:3], null, v4, s3, v[7:8]
	v_mov_b32_e32 v3, v1
	s_delay_alu instid0(VALU_DEP_2)
	v_mov_b32_e32 v7, v2
.LBB23_1074:
	v_cmp_ne_u32_e32 vcc_lo, 1, v0
	v_add_nc_u32_e32 v1, 0x80, v8
	s_cbranch_vccnz .LBB23_1080
; %bb.1075:
	v_mov_b32_e32 v2, 0
	v_mov_b32_e32 v6, 0
	s_cmp_lg_u32 s24, 0
	s_mov_b32 s6, 0
	s_cbranch_scc0 .LBB23_1084
; %bb.1076:
	s_min_u32 s7, s25, 15
	v_mov_b32_e32 v2, 0
	s_add_i32 s7, s7, 1
	s_cmp_eq_u32 s25, 2
	s_mov_b32 s10, 0
	s_cbranch_scc1 .LBB23_1081
; %bb.1077:
	v_mov_b32_e32 v6, 0
	v_mov_b32_e32 v2, 0
	;; [unrolled: 1-line block ×3, first 2 shown]
	s_add_u32 s2, s16, 0xc4
	s_addc_u32 s3, s17, 0
	s_and_b32 s10, s7, 28
	s_mov_b32 s11, 0
	s_mov_b64 s[4:5], s[16:17]
.LBB23_1078:                            ; =>This Inner Loop Header: Depth=1
	s_clause 0x1
	s_load_b256 s[36:43], s[4:5], 0x4
	s_load_b128 s[12:15], s[4:5], 0x24
	s_load_b256 s[44:51], s[2:3], 0x0
	s_add_u32 s4, s4, 48
	s_addc_u32 s5, s5, 0
	s_add_i32 s11, s11, 4
	s_add_u32 s2, s2, 32
	s_addc_u32 s3, s3, 0
	s_cmp_lg_u32 s10, s11
	s_waitcnt lgkmcnt(0)
	v_mul_hi_u32 v5, s37, v4
	s_delay_alu instid0(VALU_DEP_1) | instskip(NEXT) | instid1(VALU_DEP_1)
	v_add_nc_u32_e32 v5, v4, v5
	v_lshrrev_b32_e32 v5, s38, v5
	s_delay_alu instid0(VALU_DEP_1) | instskip(SKIP_1) | instid1(VALU_DEP_2)
	v_mul_hi_u32 v10, s40, v5
	v_mul_lo_u32 v12, v5, s36
	v_add_nc_u32_e32 v10, v5, v10
	s_delay_alu instid0(VALU_DEP_2) | instskip(NEXT) | instid1(VALU_DEP_2)
	v_sub_nc_u32_e32 v4, v4, v12
	v_lshrrev_b32_e32 v10, s41, v10
	s_delay_alu instid0(VALU_DEP_2) | instskip(SKIP_1) | instid1(VALU_DEP_3)
	v_mul_lo_u32 v12, v4, s44
	v_mul_lo_u32 v14, v4, s45
	v_mul_hi_u32 v11, s43, v10
	s_delay_alu instid0(VALU_DEP_1) | instskip(NEXT) | instid1(VALU_DEP_1)
	v_add_nc_u32_e32 v11, v10, v11
	v_lshrrev_b32_e32 v11, s12, v11
	s_delay_alu instid0(VALU_DEP_1) | instskip(SKIP_1) | instid1(VALU_DEP_2)
	v_mul_hi_u32 v13, s14, v11
	v_mul_lo_u32 v15, v11, s42
	v_add_nc_u32_e32 v4, v11, v13
	v_mul_lo_u32 v13, v10, s39
	s_delay_alu instid0(VALU_DEP_3) | instskip(NEXT) | instid1(VALU_DEP_3)
	v_sub_nc_u32_e32 v10, v10, v15
	v_lshrrev_b32_e32 v4, s15, v4
	s_delay_alu instid0(VALU_DEP_2) | instskip(SKIP_2) | instid1(VALU_DEP_4)
	v_mul_lo_u32 v15, v10, s48
	v_mul_lo_u32 v10, v10, s49
	v_sub_nc_u32_e32 v5, v5, v13
	v_mul_lo_u32 v16, v4, s13
	s_delay_alu instid0(VALU_DEP_2) | instskip(SKIP_1) | instid1(VALU_DEP_3)
	v_mul_lo_u32 v13, v5, s46
	v_mul_lo_u32 v5, v5, s47
	v_sub_nc_u32_e32 v11, v11, v16
	s_delay_alu instid0(VALU_DEP_3) | instskip(NEXT) | instid1(VALU_DEP_2)
	v_add3_u32 v2, v12, v2, v13
	v_mul_lo_u32 v16, v11, s50
	v_mul_lo_u32 v11, v11, s51
	v_add3_u32 v5, v14, v6, v5
	s_delay_alu instid0(VALU_DEP_3) | instskip(NEXT) | instid1(VALU_DEP_2)
	v_add3_u32 v2, v15, v2, v16
	v_add3_u32 v6, v10, v5, v11
	s_cbranch_scc1 .LBB23_1078
; %bb.1079:
	s_and_b32 s7, s7, 3
	s_delay_alu instid0(SALU_CYCLE_1)
	s_cmp_eq_u32 s7, 0
	s_cbranch_scc0 .LBB23_1082
	s_branch .LBB23_1084
.LBB23_1080:
	s_mov_b32 s6, -1
                                        ; implicit-def: $vgpr2
                                        ; implicit-def: $vgpr6
	s_branch .LBB23_1084
.LBB23_1081:
	v_mov_b32_e32 v4, v1
	v_mov_b32_e32 v6, 0
	s_and_b32 s7, s7, 3
	s_delay_alu instid0(SALU_CYCLE_1)
	s_cmp_eq_u32 s7, 0
	s_cbranch_scc1 .LBB23_1084
.LBB23_1082:
	s_lshl_b32 s2, s10, 3
	s_mul_i32 s4, s10, 12
	s_add_u32 s2, s2, s16
	s_addc_u32 s3, 0, s17
	s_add_u32 s2, s2, 0xc4
	s_addc_u32 s3, s3, 0
	s_add_u32 s4, s16, s4
	s_addc_u32 s5, 0, s17
	.p2align	6
.LBB23_1083:                            ; =>This Inner Loop Header: Depth=1
	s_clause 0x1
	s_load_b64 s[10:11], s[4:5], 0x4
	s_load_b32 s14, s[4:5], 0xc
	s_load_b64 s[12:13], s[2:3], 0x0
	s_add_u32 s4, s4, 12
	s_addc_u32 s5, s5, 0
	s_add_u32 s2, s2, 8
	s_addc_u32 s3, s3, 0
	s_add_i32 s7, s7, -1
	s_delay_alu instid0(SALU_CYCLE_1) | instskip(SKIP_2) | instid1(VALU_DEP_1)
	s_cmp_lg_u32 s7, 0
	s_waitcnt lgkmcnt(0)
	v_mul_hi_u32 v5, s11, v4
	v_add_nc_u32_e32 v5, v4, v5
	s_delay_alu instid0(VALU_DEP_1) | instskip(NEXT) | instid1(VALU_DEP_1)
	v_lshrrev_b32_e32 v5, s14, v5
	v_mul_lo_u32 v10, v5, s10
	s_delay_alu instid0(VALU_DEP_1) | instskip(NEXT) | instid1(VALU_DEP_1)
	v_sub_nc_u32_e32 v4, v4, v10
	v_mad_u64_u32 v[10:11], null, v4, s12, v[2:3]
	v_mad_u64_u32 v[11:12], null, v4, s13, v[6:7]
	v_mov_b32_e32 v4, v5
	s_delay_alu instid0(VALU_DEP_3) | instskip(NEXT) | instid1(VALU_DEP_3)
	v_mov_b32_e32 v2, v10
	v_mov_b32_e32 v6, v11
	s_cbranch_scc1 .LBB23_1083
.LBB23_1084:
	s_and_not1_b32 vcc_lo, exec_lo, s6
	s_cbranch_vccnz .LBB23_1087
; %bb.1085:
	s_clause 0x1
	s_load_b128 s[4:7], s[16:17], 0x4
	s_load_b64 s[2:3], s[16:17], 0xc4
	s_cmp_lt_u32 s24, 2
	s_waitcnt lgkmcnt(0)
	v_mul_hi_u32 v2, s5, v1
	s_delay_alu instid0(VALU_DEP_1) | instskip(NEXT) | instid1(VALU_DEP_1)
	v_add_nc_u32_e32 v2, v1, v2
	v_lshrrev_b32_e32 v4, s6, v2
	s_delay_alu instid0(VALU_DEP_1) | instskip(NEXT) | instid1(VALU_DEP_1)
	v_mul_lo_u32 v2, v4, s4
	v_sub_nc_u32_e32 v1, v1, v2
	s_delay_alu instid0(VALU_DEP_1)
	v_mul_lo_u32 v2, v1, s2
	v_mul_lo_u32 v6, v1, s3
	s_cbranch_scc1 .LBB23_1087
; %bb.1086:
	s_clause 0x1
	s_load_b128 s[4:7], s[16:17], 0x10
	s_load_b64 s[2:3], s[16:17], 0xcc
	s_waitcnt lgkmcnt(0)
	v_mul_hi_u32 v1, s5, v4
	s_delay_alu instid0(VALU_DEP_1) | instskip(NEXT) | instid1(VALU_DEP_1)
	v_add_nc_u32_e32 v1, v4, v1
	v_lshrrev_b32_e32 v1, s6, v1
	s_delay_alu instid0(VALU_DEP_1) | instskip(NEXT) | instid1(VALU_DEP_1)
	v_mul_lo_u32 v1, v1, s4
	v_sub_nc_u32_e32 v10, v4, v1
	s_delay_alu instid0(VALU_DEP_1) | instskip(SKIP_1) | instid1(VALU_DEP_2)
	v_mad_u64_u32 v[4:5], null, v10, s2, v[2:3]
	v_mad_u64_u32 v[1:2], null, v10, s3, v[6:7]
	v_mov_b32_e32 v2, v4
	s_delay_alu instid0(VALU_DEP_2)
	v_mov_b32_e32 v6, v1
.LBB23_1087:
	v_cmp_ne_u32_e32 vcc_lo, 1, v0
	v_add_nc_u32_e32 v4, 0x100, v8
	s_cbranch_vccnz .LBB23_1093
; %bb.1088:
	v_mov_b32_e32 v1, 0
	v_mov_b32_e32 v5, 0
	s_cmp_lg_u32 s24, 0
	s_mov_b32 s6, 0
	s_cbranch_scc0 .LBB23_1097
; %bb.1089:
	s_min_u32 s7, s25, 15
	v_mov_b32_e32 v1, 0
	s_add_i32 s7, s7, 1
	s_cmp_eq_u32 s25, 2
	s_mov_b32 s10, 0
	s_cbranch_scc1 .LBB23_1094
; %bb.1090:
	v_dual_mov_b32 v5, 0 :: v_dual_mov_b32 v8, v4
	v_mov_b32_e32 v1, 0
	s_add_u32 s2, s16, 0xc4
	s_addc_u32 s3, s17, 0
	s_and_b32 s10, s7, 28
	s_mov_b32 s11, 0
	s_mov_b64 s[4:5], s[16:17]
.LBB23_1091:                            ; =>This Inner Loop Header: Depth=1
	s_clause 0x1
	s_load_b256 s[36:43], s[4:5], 0x4
	s_load_b128 s[12:15], s[4:5], 0x24
	s_load_b256 s[44:51], s[2:3], 0x0
	s_add_u32 s4, s4, 48
	s_addc_u32 s5, s5, 0
	s_add_i32 s11, s11, 4
	s_add_u32 s2, s2, 32
	s_addc_u32 s3, s3, 0
	s_cmp_lg_u32 s10, s11
	s_waitcnt lgkmcnt(0)
	v_mul_hi_u32 v10, s37, v8
	s_delay_alu instid0(VALU_DEP_1) | instskip(NEXT) | instid1(VALU_DEP_1)
	v_add_nc_u32_e32 v10, v8, v10
	v_lshrrev_b32_e32 v10, s38, v10
	s_delay_alu instid0(VALU_DEP_1) | instskip(SKIP_1) | instid1(VALU_DEP_2)
	v_mul_hi_u32 v11, s40, v10
	v_mul_lo_u32 v13, v10, s36
	v_add_nc_u32_e32 v11, v10, v11
	s_delay_alu instid0(VALU_DEP_2) | instskip(NEXT) | instid1(VALU_DEP_2)
	v_sub_nc_u32_e32 v8, v8, v13
	v_lshrrev_b32_e32 v11, s41, v11
	s_delay_alu instid0(VALU_DEP_2) | instskip(SKIP_1) | instid1(VALU_DEP_3)
	v_mul_lo_u32 v13, v8, s44
	v_mul_lo_u32 v15, v8, s45
	v_mul_hi_u32 v12, s43, v11
	s_delay_alu instid0(VALU_DEP_1) | instskip(NEXT) | instid1(VALU_DEP_1)
	v_add_nc_u32_e32 v12, v11, v12
	v_lshrrev_b32_e32 v12, s12, v12
	s_delay_alu instid0(VALU_DEP_1) | instskip(SKIP_1) | instid1(VALU_DEP_2)
	v_mul_hi_u32 v14, s14, v12
	v_mul_lo_u32 v16, v12, s42
	v_add_nc_u32_e32 v8, v12, v14
	v_mul_lo_u32 v14, v11, s39
	s_delay_alu instid0(VALU_DEP_3) | instskip(NEXT) | instid1(VALU_DEP_3)
	v_sub_nc_u32_e32 v11, v11, v16
	v_lshrrev_b32_e32 v8, s15, v8
	s_delay_alu instid0(VALU_DEP_2) | instskip(SKIP_2) | instid1(VALU_DEP_4)
	v_mul_lo_u32 v16, v11, s48
	v_mul_lo_u32 v11, v11, s49
	v_sub_nc_u32_e32 v10, v10, v14
	v_mul_lo_u32 v17, v8, s13
	s_delay_alu instid0(VALU_DEP_2) | instskip(SKIP_1) | instid1(VALU_DEP_3)
	v_mul_lo_u32 v14, v10, s46
	v_mul_lo_u32 v10, v10, s47
	v_sub_nc_u32_e32 v12, v12, v17
	s_delay_alu instid0(VALU_DEP_3) | instskip(NEXT) | instid1(VALU_DEP_2)
	v_add3_u32 v1, v13, v1, v14
	v_mul_lo_u32 v17, v12, s50
	v_mul_lo_u32 v12, v12, s51
	v_add3_u32 v5, v15, v5, v10
	s_delay_alu instid0(VALU_DEP_3) | instskip(NEXT) | instid1(VALU_DEP_2)
	v_add3_u32 v1, v16, v1, v17
	v_add3_u32 v5, v11, v5, v12
	s_cbranch_scc1 .LBB23_1091
; %bb.1092:
	s_and_b32 s7, s7, 3
	s_delay_alu instid0(SALU_CYCLE_1)
	s_cmp_eq_u32 s7, 0
	s_cbranch_scc0 .LBB23_1095
	s_branch .LBB23_1097
.LBB23_1093:
	s_mov_b32 s6, -1
                                        ; implicit-def: $vgpr1
                                        ; implicit-def: $vgpr5
	s_branch .LBB23_1097
.LBB23_1094:
	v_dual_mov_b32 v8, v4 :: v_dual_mov_b32 v5, 0
	s_and_b32 s7, s7, 3
	s_delay_alu instid0(SALU_CYCLE_1)
	s_cmp_eq_u32 s7, 0
	s_cbranch_scc1 .LBB23_1097
.LBB23_1095:
	s_lshl_b32 s2, s10, 3
	s_mul_i32 s4, s10, 12
	s_add_u32 s2, s2, s16
	s_addc_u32 s3, 0, s17
	s_add_u32 s2, s2, 0xc4
	s_addc_u32 s3, s3, 0
	;; [unrolled: 2-line block ×3, first 2 shown]
	.p2align	6
.LBB23_1096:                            ; =>This Inner Loop Header: Depth=1
	s_clause 0x1
	s_load_b64 s[10:11], s[4:5], 0x4
	s_load_b32 s14, s[4:5], 0xc
	s_load_b64 s[12:13], s[2:3], 0x0
	s_add_u32 s4, s4, 12
	s_addc_u32 s5, s5, 0
	s_add_u32 s2, s2, 8
	s_addc_u32 s3, s3, 0
	s_add_i32 s7, s7, -1
	s_delay_alu instid0(SALU_CYCLE_1) | instskip(SKIP_2) | instid1(VALU_DEP_1)
	s_cmp_lg_u32 s7, 0
	s_waitcnt lgkmcnt(0)
	v_mul_hi_u32 v10, s11, v8
	v_add_nc_u32_e32 v10, v8, v10
	s_delay_alu instid0(VALU_DEP_1) | instskip(NEXT) | instid1(VALU_DEP_1)
	v_lshrrev_b32_e32 v13, s14, v10
	v_mul_lo_u32 v10, v13, s10
	s_delay_alu instid0(VALU_DEP_1) | instskip(NEXT) | instid1(VALU_DEP_1)
	v_sub_nc_u32_e32 v8, v8, v10
	v_mad_u64_u32 v[10:11], null, v8, s12, v[1:2]
	v_mad_u64_u32 v[11:12], null, v8, s13, v[5:6]
	s_delay_alu instid0(VALU_DEP_2) | instskip(NEXT) | instid1(VALU_DEP_2)
	v_dual_mov_b32 v8, v13 :: v_dual_mov_b32 v1, v10
	v_mov_b32_e32 v5, v11
	s_cbranch_scc1 .LBB23_1096
.LBB23_1097:
	s_and_not1_b32 vcc_lo, exec_lo, s6
	s_cbranch_vccnz .LBB23_1100
; %bb.1098:
	s_clause 0x1
	s_load_b128 s[4:7], s[16:17], 0x4
	s_load_b64 s[2:3], s[16:17], 0xc4
	s_cmp_lt_u32 s24, 2
	s_waitcnt lgkmcnt(0)
	v_mul_hi_u32 v1, s5, v4
	s_delay_alu instid0(VALU_DEP_1) | instskip(NEXT) | instid1(VALU_DEP_1)
	v_add_nc_u32_e32 v1, v4, v1
	v_lshrrev_b32_e32 v8, s6, v1
	s_delay_alu instid0(VALU_DEP_1) | instskip(NEXT) | instid1(VALU_DEP_1)
	v_mul_lo_u32 v1, v8, s4
	v_sub_nc_u32_e32 v4, v4, v1
	s_delay_alu instid0(VALU_DEP_1)
	v_mul_lo_u32 v1, v4, s2
	v_mul_lo_u32 v5, v4, s3
	s_cbranch_scc1 .LBB23_1100
; %bb.1099:
	s_clause 0x1
	s_load_b128 s[4:7], s[16:17], 0x10
	s_load_b64 s[2:3], s[16:17], 0xcc
	s_waitcnt lgkmcnt(0)
	v_mul_hi_u32 v4, s5, v8
	s_delay_alu instid0(VALU_DEP_1) | instskip(NEXT) | instid1(VALU_DEP_1)
	v_add_nc_u32_e32 v4, v8, v4
	v_lshrrev_b32_e32 v4, s6, v4
	s_delay_alu instid0(VALU_DEP_1) | instskip(NEXT) | instid1(VALU_DEP_1)
	v_mul_lo_u32 v4, v4, s4
	v_sub_nc_u32_e32 v4, v8, v4
	s_delay_alu instid0(VALU_DEP_1) | instskip(SKIP_1) | instid1(VALU_DEP_2)
	v_mad_u64_u32 v[10:11], null, v4, s2, v[1:2]
	v_mad_u64_u32 v[11:12], null, v4, s3, v[5:6]
	v_mov_b32_e32 v1, v10
	s_delay_alu instid0(VALU_DEP_2)
	v_mov_b32_e32 v5, v11
.LBB23_1100:
	v_cmp_ne_u32_e32 vcc_lo, 1, v0
	s_cbranch_vccnz .LBB23_1106
; %bb.1101:
	v_mov_b32_e32 v0, 0
	v_mov_b32_e32 v4, 0
	s_cmp_lg_u32 s24, 0
	s_mov_b32 s6, 0
	s_cbranch_scc0 .LBB23_1110
; %bb.1102:
	s_min_u32 s7, s25, 15
	v_mov_b32_e32 v0, 0
	s_add_i32 s7, s7, 1
	s_cmp_eq_u32 s25, 2
	s_mov_b32 s10, 0
	s_cbranch_scc1 .LBB23_1107
; %bb.1103:
	v_mov_b32_e32 v4, 0
	v_mov_b32_e32 v0, 0
	;; [unrolled: 1-line block ×3, first 2 shown]
	s_add_u32 s2, s16, 0xc4
	s_addc_u32 s3, s17, 0
	s_and_b32 s10, s7, 28
	s_mov_b32 s11, 0
	s_mov_b64 s[4:5], s[16:17]
.LBB23_1104:                            ; =>This Inner Loop Header: Depth=1
	s_clause 0x1
	s_load_b256 s[36:43], s[4:5], 0x4
	s_load_b128 s[12:15], s[4:5], 0x24
	s_load_b256 s[44:51], s[2:3], 0x0
	s_add_u32 s4, s4, 48
	s_addc_u32 s5, s5, 0
	s_add_i32 s11, s11, 4
	s_add_u32 s2, s2, 32
	s_addc_u32 s3, s3, 0
	s_cmp_lg_u32 s10, s11
	s_waitcnt lgkmcnt(0)
	v_mul_hi_u32 v10, s37, v8
	s_delay_alu instid0(VALU_DEP_1) | instskip(NEXT) | instid1(VALU_DEP_1)
	v_add_nc_u32_e32 v10, v8, v10
	v_lshrrev_b32_e32 v10, s38, v10
	s_delay_alu instid0(VALU_DEP_1) | instskip(SKIP_1) | instid1(VALU_DEP_2)
	v_mul_hi_u32 v11, s40, v10
	v_mul_lo_u32 v13, v10, s36
	v_add_nc_u32_e32 v11, v10, v11
	s_delay_alu instid0(VALU_DEP_2) | instskip(NEXT) | instid1(VALU_DEP_2)
	v_sub_nc_u32_e32 v8, v8, v13
	v_lshrrev_b32_e32 v11, s41, v11
	s_delay_alu instid0(VALU_DEP_2) | instskip(SKIP_1) | instid1(VALU_DEP_3)
	v_mul_lo_u32 v13, v8, s44
	v_mul_lo_u32 v15, v8, s45
	v_mul_hi_u32 v12, s43, v11
	s_delay_alu instid0(VALU_DEP_1) | instskip(NEXT) | instid1(VALU_DEP_1)
	v_add_nc_u32_e32 v12, v11, v12
	v_lshrrev_b32_e32 v12, s12, v12
	s_delay_alu instid0(VALU_DEP_1) | instskip(SKIP_1) | instid1(VALU_DEP_2)
	v_mul_hi_u32 v14, s14, v12
	v_mul_lo_u32 v16, v12, s42
	v_add_nc_u32_e32 v8, v12, v14
	v_mul_lo_u32 v14, v11, s39
	s_delay_alu instid0(VALU_DEP_3) | instskip(NEXT) | instid1(VALU_DEP_3)
	v_sub_nc_u32_e32 v11, v11, v16
	v_lshrrev_b32_e32 v8, s15, v8
	s_delay_alu instid0(VALU_DEP_2) | instskip(SKIP_2) | instid1(VALU_DEP_4)
	v_mul_lo_u32 v16, v11, s48
	v_mul_lo_u32 v11, v11, s49
	v_sub_nc_u32_e32 v10, v10, v14
	v_mul_lo_u32 v17, v8, s13
	s_delay_alu instid0(VALU_DEP_2) | instskip(SKIP_1) | instid1(VALU_DEP_3)
	v_mul_lo_u32 v14, v10, s46
	v_mul_lo_u32 v10, v10, s47
	v_sub_nc_u32_e32 v12, v12, v17
	s_delay_alu instid0(VALU_DEP_3) | instskip(NEXT) | instid1(VALU_DEP_2)
	v_add3_u32 v0, v13, v0, v14
	v_mul_lo_u32 v17, v12, s50
	v_mul_lo_u32 v12, v12, s51
	v_add3_u32 v4, v15, v4, v10
	s_delay_alu instid0(VALU_DEP_3) | instskip(NEXT) | instid1(VALU_DEP_2)
	v_add3_u32 v0, v16, v0, v17
	v_add3_u32 v4, v11, v4, v12
	s_cbranch_scc1 .LBB23_1104
; %bb.1105:
	s_and_b32 s7, s7, 3
	s_delay_alu instid0(SALU_CYCLE_1)
	s_cmp_eq_u32 s7, 0
	s_cbranch_scc0 .LBB23_1108
	s_branch .LBB23_1110
.LBB23_1106:
	s_mov_b32 s6, -1
                                        ; implicit-def: $vgpr0
                                        ; implicit-def: $vgpr4
	s_branch .LBB23_1110
.LBB23_1107:
	v_mov_b32_e32 v8, v9
	v_mov_b32_e32 v4, 0
	s_and_b32 s7, s7, 3
	s_delay_alu instid0(SALU_CYCLE_1)
	s_cmp_eq_u32 s7, 0
	s_cbranch_scc1 .LBB23_1110
.LBB23_1108:
	s_lshl_b32 s2, s10, 3
	s_mul_i32 s4, s10, 12
	s_add_u32 s2, s2, s16
	s_addc_u32 s3, 0, s17
	s_add_u32 s2, s2, 0xc4
	s_addc_u32 s3, s3, 0
	;; [unrolled: 2-line block ×3, first 2 shown]
	.p2align	6
.LBB23_1109:                            ; =>This Inner Loop Header: Depth=1
	s_clause 0x1
	s_load_b64 s[10:11], s[4:5], 0x4
	s_load_b32 s14, s[4:5], 0xc
	s_load_b64 s[12:13], s[2:3], 0x0
	s_add_u32 s4, s4, 12
	s_addc_u32 s5, s5, 0
	s_add_u32 s2, s2, 8
	s_addc_u32 s3, s3, 0
	s_add_i32 s7, s7, -1
	s_delay_alu instid0(SALU_CYCLE_1) | instskip(SKIP_2) | instid1(VALU_DEP_1)
	s_cmp_lg_u32 s7, 0
	s_waitcnt lgkmcnt(0)
	v_mul_hi_u32 v10, s11, v8
	v_add_nc_u32_e32 v10, v8, v10
	s_delay_alu instid0(VALU_DEP_1) | instskip(NEXT) | instid1(VALU_DEP_1)
	v_lshrrev_b32_e32 v13, s14, v10
	v_mul_lo_u32 v10, v13, s10
	s_delay_alu instid0(VALU_DEP_1) | instskip(NEXT) | instid1(VALU_DEP_1)
	v_sub_nc_u32_e32 v8, v8, v10
	v_mad_u64_u32 v[10:11], null, v8, s12, v[0:1]
	v_mad_u64_u32 v[11:12], null, v8, s13, v[4:5]
	v_mov_b32_e32 v8, v13
	s_delay_alu instid0(VALU_DEP_3) | instskip(NEXT) | instid1(VALU_DEP_3)
	v_mov_b32_e32 v0, v10
	v_mov_b32_e32 v4, v11
	s_cbranch_scc1 .LBB23_1109
.LBB23_1110:
	s_and_not1_b32 vcc_lo, exec_lo, s6
	s_cbranch_vccnz .LBB23_1113
; %bb.1111:
	s_clause 0x1
	s_load_b128 s[4:7], s[16:17], 0x4
	s_load_b64 s[2:3], s[16:17], 0xc4
	s_cmp_lt_u32 s24, 2
	s_waitcnt lgkmcnt(0)
	v_mul_hi_u32 v0, s5, v9
	s_delay_alu instid0(VALU_DEP_1) | instskip(NEXT) | instid1(VALU_DEP_1)
	v_add_nc_u32_e32 v0, v9, v0
	v_lshrrev_b32_e32 v8, s6, v0
	s_delay_alu instid0(VALU_DEP_1) | instskip(NEXT) | instid1(VALU_DEP_1)
	v_mul_lo_u32 v0, v8, s4
	v_sub_nc_u32_e32 v4, v9, v0
	s_delay_alu instid0(VALU_DEP_1)
	v_mul_lo_u32 v0, v4, s2
	v_mul_lo_u32 v4, v4, s3
	s_cbranch_scc1 .LBB23_1113
; %bb.1112:
	s_clause 0x1
	s_load_b128 s[4:7], s[16:17], 0x10
	s_load_b64 s[2:3], s[16:17], 0xcc
	s_waitcnt lgkmcnt(0)
	v_mul_hi_u32 v9, s5, v8
	s_delay_alu instid0(VALU_DEP_1) | instskip(NEXT) | instid1(VALU_DEP_1)
	v_add_nc_u32_e32 v9, v8, v9
	v_lshrrev_b32_e32 v9, s6, v9
	s_delay_alu instid0(VALU_DEP_1) | instskip(NEXT) | instid1(VALU_DEP_1)
	v_mul_lo_u32 v9, v9, s4
	v_sub_nc_u32_e32 v11, v8, v9
	s_delay_alu instid0(VALU_DEP_1) | instskip(SKIP_1) | instid1(VALU_DEP_2)
	v_mad_u64_u32 v[8:9], null, v11, s2, v[0:1]
	v_mad_u64_u32 v[9:10], null, v11, s3, v[4:5]
	v_mov_b32_e32 v0, v8
	s_delay_alu instid0(VALU_DEP_2)
	v_mov_b32_e32 v4, v9
.LBB23_1113:
	s_clause 0x1
	s_load_b32 s0, s[0:1], 0x160
	s_load_b128 s[4:7], s[16:17], 0x148
	s_mov_b32 s3, 0
	s_waitcnt lgkmcnt(0)
	s_lshr_b32 s1, s0, 16
	s_delay_alu instid0(SALU_CYCLE_1) | instskip(SKIP_1) | instid1(VALU_DEP_1)
	v_and_b32_e64 v13, 0xff, s1
	v_add_co_u32 v7, s1, s6, v7
	v_add_co_ci_u32_e64 v8, null, s7, 0, s1
	s_delay_alu instid0(VALU_DEP_3)
	v_cmp_gt_i16_e32 vcc_lo, 11, v13
	s_cbranch_vccnz .LBB23_1120
; %bb.1114:
	v_cmp_lt_i16_e32 vcc_lo, 25, v13
	s_mov_b32 s2, 0
	s_cbranch_vccz .LBB23_1126
; %bb.1115:
	v_cmp_lt_i16_e32 vcc_lo, 28, v13
	s_cbranch_vccz .LBB23_1128
; %bb.1116:
	v_cmp_lt_i16_e32 vcc_lo, 43, v13
	;; [unrolled: 3-line block ×3, first 2 shown]
	s_cbranch_vccz .LBB23_1134
; %bb.1118:
	v_cmp_eq_u16_e32 vcc_lo, 46, v13
	s_mov_b32 s10, 0
	s_cbranch_vccz .LBB23_1176
; %bb.1119:
	global_load_b32 v9, v[7:8], off
	s_mov_b32 s1, 0
	s_mov_b32 s3, -1
	s_waitcnt vmcnt(0)
	v_lshlrev_b32_e32 v9, 16, v9
	s_delay_alu instid0(VALU_DEP_1)
	v_cvt_i32_f32_e32 v10, v9
	s_branch .LBB23_1178
.LBB23_1120:
	s_mov_b32 s1, s8
                                        ; implicit-def: $vgpr10
	s_cbranch_execz .LBB23_1236
; %bb.1121:
	v_cmp_gt_i16_e32 vcc_lo, 5, v13
	s_cbranch_vccnz .LBB23_1127
; %bb.1122:
	v_cmp_gt_i16_e32 vcc_lo, 8, v13
	s_cbranch_vccnz .LBB23_1129
; %bb.1123:
	v_cmp_gt_i16_e32 vcc_lo, 9, v13
	s_cbranch_vccnz .LBB23_1131
; %bb.1124:
	v_cmp_lt_i16_e32 vcc_lo, 9, v13
	s_cbranch_vccz .LBB23_1135
; %bb.1125:
	global_load_b64 v[9:10], v[7:8], off
	s_mov_b32 s2, 0
	s_waitcnt vmcnt(0)
	v_cvt_i32_f64_e32 v10, v[9:10]
	s_branch .LBB23_1136
.LBB23_1126:
	s_mov_b32 s1, 0
                                        ; implicit-def: $vgpr10
	s_cbranch_execnz .LBB23_1203
	s_branch .LBB23_1232
.LBB23_1127:
                                        ; implicit-def: $vgpr10
	s_branch .LBB23_1153
.LBB23_1128:
	s_mov_b32 s1, 0
                                        ; implicit-def: $vgpr10
	s_cbranch_execz .LBB23_1202
	s_branch .LBB23_1187
.LBB23_1129:
                                        ; implicit-def: $vgpr10
	s_branch .LBB23_1142
.LBB23_1130:
	s_mov_b32 s1, 0
                                        ; implicit-def: $vgpr10
	s_cbranch_execnz .LBB23_1183
	s_branch .LBB23_1186
.LBB23_1131:
	s_mov_b32 s2, -1
                                        ; implicit-def: $vgpr10
	s_branch .LBB23_1139
.LBB23_1132:
	s_cbranch_execnz .LBB23_1174
; %bb.1133:
	s_or_b32 s3, s3, exec_lo
	s_and_not1_b32 s8, s8, exec_lo
	s_or_b32 exec_lo, exec_lo, s2
	s_and_saveexec_b32 s2, s8
	s_delay_alu instid0(SALU_CYCLE_1)
	s_xor_b32 s2, exec_lo, s2
	s_cbranch_execnz .LBB23_1020
	s_branch .LBB23_1021
.LBB23_1134:
	s_mov_b32 s10, -1
	s_mov_b32 s1, 0
	s_branch .LBB23_1177
.LBB23_1135:
	s_mov_b32 s2, -1
                                        ; implicit-def: $vgpr10
.LBB23_1136:
	s_delay_alu instid0(SALU_CYCLE_1)
	s_and_not1_b32 vcc_lo, exec_lo, s2
	s_cbranch_vccnz .LBB23_1138
; %bb.1137:
	global_load_b32 v9, v[7:8], off
	s_waitcnt vmcnt(0)
	v_cvt_i32_f32_e32 v10, v9
.LBB23_1138:
	s_mov_b32 s2, 0
.LBB23_1139:
	s_delay_alu instid0(SALU_CYCLE_1)
	s_and_not1_b32 vcc_lo, exec_lo, s2
	s_cbranch_vccnz .LBB23_1141
; %bb.1140:
	global_load_b32 v9, v[7:8], off
	s_waitcnt vmcnt(0)
	v_cvt_i16_f16_e32 v10, v9
.LBB23_1141:
	s_cbranch_execnz .LBB23_1152
.LBB23_1142:
	v_cmp_gt_i16_e32 vcc_lo, 6, v13
	s_cbranch_vccnz .LBB23_1145
; %bb.1143:
	v_cmp_lt_i16_e32 vcc_lo, 6, v13
	s_cbranch_vccz .LBB23_1146
; %bb.1144:
	global_load_b64 v[9:10], v[7:8], off
	s_mov_b32 s2, 0
	s_waitcnt vmcnt(0)
	v_cvt_i32_f64_e32 v10, v[9:10]
	s_branch .LBB23_1147
.LBB23_1145:
	s_mov_b32 s2, -1
                                        ; implicit-def: $vgpr10
	s_branch .LBB23_1150
.LBB23_1146:
	s_mov_b32 s2, -1
                                        ; implicit-def: $vgpr10
.LBB23_1147:
	s_delay_alu instid0(SALU_CYCLE_1)
	s_and_not1_b32 vcc_lo, exec_lo, s2
	s_cbranch_vccnz .LBB23_1149
; %bb.1148:
	global_load_b32 v9, v[7:8], off
	s_waitcnt vmcnt(0)
	v_cvt_i32_f32_e32 v10, v9
.LBB23_1149:
	s_mov_b32 s2, 0
.LBB23_1150:
	s_delay_alu instid0(SALU_CYCLE_1)
	s_and_not1_b32 vcc_lo, exec_lo, s2
	s_cbranch_vccnz .LBB23_1152
; %bb.1151:
	global_load_u16 v9, v[7:8], off
	s_waitcnt vmcnt(0)
	v_cvt_i16_f16_e32 v10, v9
.LBB23_1152:
	s_cbranch_execnz .LBB23_1171
.LBB23_1153:
	v_cmp_gt_i16_e32 vcc_lo, 2, v13
	s_cbranch_vccnz .LBB23_1157
; %bb.1154:
	v_cmp_gt_i16_e32 vcc_lo, 3, v13
	s_cbranch_vccnz .LBB23_1158
; %bb.1155:
	v_cmp_lt_i16_e32 vcc_lo, 3, v13
	s_cbranch_vccz .LBB23_1159
; %bb.1156:
	global_load_b64 v[10:11], v[7:8], off
	s_mov_b32 s2, 0
	s_branch .LBB23_1160
.LBB23_1157:
                                        ; implicit-def: $vgpr10
	s_branch .LBB23_1166
.LBB23_1158:
	s_mov_b32 s2, -1
                                        ; implicit-def: $vgpr10
	s_branch .LBB23_1163
.LBB23_1159:
	s_mov_b32 s2, -1
                                        ; implicit-def: $vgpr10
.LBB23_1160:
	s_delay_alu instid0(SALU_CYCLE_1)
	s_and_not1_b32 vcc_lo, exec_lo, s2
	s_cbranch_vccnz .LBB23_1162
; %bb.1161:
	global_load_b32 v10, v[7:8], off
.LBB23_1162:
	s_mov_b32 s2, 0
.LBB23_1163:
	s_delay_alu instid0(SALU_CYCLE_1)
	s_and_not1_b32 vcc_lo, exec_lo, s2
	s_cbranch_vccnz .LBB23_1165
; %bb.1164:
	global_load_u16 v10, v[7:8], off
.LBB23_1165:
	s_cbranch_execnz .LBB23_1171
.LBB23_1166:
	v_cmp_lt_i16_e32 vcc_lo, 0, v13
	s_mov_b32 s2, 0
	s_cbranch_vccz .LBB23_1168
; %bb.1167:
	global_load_u8 v10, v[7:8], off
	s_branch .LBB23_1169
.LBB23_1168:
	s_mov_b32 s2, -1
                                        ; implicit-def: $vgpr10
.LBB23_1169:
	s_delay_alu instid0(SALU_CYCLE_1)
	s_and_not1_b32 vcc_lo, exec_lo, s2
	s_cbranch_vccnz .LBB23_1171
; %bb.1170:
	global_load_u8 v10, v[7:8], off
.LBB23_1171:
	s_branch .LBB23_1237
.LBB23_1172:
	s_trap 2
	s_sendmsg_rtn_b32 s0, sendmsg(MSG_RTN_GET_DOORBELL)
	s_mov_b32 ttmp2, m0
	s_waitcnt lgkmcnt(0)
	s_and_b32 s0, s0, 0x3ff
	s_delay_alu instid0(SALU_CYCLE_1) | instskip(NEXT) | instid1(SALU_CYCLE_1)
	s_bitset1_b32 s0, 10
	s_mov_b32 m0, s0
	s_sendmsg sendmsg(MSG_INTERRUPT)
	s_mov_b32 m0, ttmp2
.LBB23_1173:                            ; =>This Inner Loop Header: Depth=1
	s_sethalt 5
	s_branch .LBB23_1173
.LBB23_1174:
	s_trap 2
	s_sendmsg_rtn_b32 s0, sendmsg(MSG_RTN_GET_DOORBELL)
	s_mov_b32 ttmp2, m0
	s_waitcnt lgkmcnt(0)
	s_and_b32 s0, s0, 0x3ff
	s_delay_alu instid0(SALU_CYCLE_1) | instskip(NEXT) | instid1(SALU_CYCLE_1)
	s_bitset1_b32 s0, 10
	s_mov_b32 m0, s0
	s_sendmsg sendmsg(MSG_INTERRUPT)
	s_mov_b32 m0, ttmp2
.LBB23_1175:                            ; =>This Inner Loop Header: Depth=1
	s_sethalt 5
	s_branch .LBB23_1175
.LBB23_1176:
	s_mov_b32 s1, -1
.LBB23_1177:
                                        ; implicit-def: $vgpr10
.LBB23_1178:
	s_and_b32 vcc_lo, exec_lo, s10
	s_cbranch_vccz .LBB23_1181
; %bb.1179:
	v_cmp_eq_u16_e32 vcc_lo, 44, v13
	s_cbranch_vccz .LBB23_1182
; %bb.1180:
	global_load_u8 v9, v[7:8], off
	s_mov_b32 s1, 0
	s_mov_b32 s3, -1
	s_waitcnt vmcnt(0)
	v_lshlrev_b32_e32 v10, 23, v9
	v_cmp_ne_u32_e32 vcc_lo, 0, v9
	s_delay_alu instid0(VALU_DEP_2) | instskip(NEXT) | instid1(VALU_DEP_1)
	v_cvt_i32_f32_e32 v10, v10
	v_cndmask_b32_e32 v10, 0, v10, vcc_lo
.LBB23_1181:
	s_branch .LBB23_1186
.LBB23_1182:
	s_mov_b32 s1, -1
                                        ; implicit-def: $vgpr10
	s_branch .LBB23_1186
.LBB23_1183:
	v_cmp_eq_u16_e32 vcc_lo, 29, v13
	s_cbranch_vccz .LBB23_1185
; %bb.1184:
	global_load_b64 v[10:11], v[7:8], off
	s_mov_b32 s1, 0
	s_mov_b32 s3, -1
	s_branch .LBB23_1186
.LBB23_1185:
	s_mov_b32 s1, -1
                                        ; implicit-def: $vgpr10
.LBB23_1186:
	s_branch .LBB23_1202
.LBB23_1187:
	v_cmp_gt_i16_e32 vcc_lo, 27, v13
	s_cbranch_vccnz .LBB23_1190
; %bb.1188:
	v_cmp_lt_i16_e32 vcc_lo, 27, v13
	s_cbranch_vccz .LBB23_1191
; %bb.1189:
	global_load_b32 v10, v[7:8], off
	s_mov_b32 s3, 0
	s_branch .LBB23_1192
.LBB23_1190:
	s_mov_b32 s3, -1
                                        ; implicit-def: $vgpr10
	s_branch .LBB23_1195
.LBB23_1191:
	s_mov_b32 s3, -1
                                        ; implicit-def: $vgpr10
.LBB23_1192:
	s_delay_alu instid0(SALU_CYCLE_1)
	s_and_not1_b32 vcc_lo, exec_lo, s3
	s_cbranch_vccnz .LBB23_1194
; %bb.1193:
	global_load_u16 v10, v[7:8], off
.LBB23_1194:
	s_mov_b32 s3, 0
.LBB23_1195:
	s_delay_alu instid0(SALU_CYCLE_1)
	s_and_not1_b32 vcc_lo, exec_lo, s3
	s_cbranch_vccnz .LBB23_1201
; %bb.1196:
	global_load_u8 v9, v[7:8], off
	s_mov_b32 s3, 0
	s_mov_b32 s10, exec_lo
                                        ; implicit-def: $sgpr11
	s_waitcnt vmcnt(0)
	v_cmpx_lt_i16_e32 0x7f, v9
	s_xor_b32 s10, exec_lo, s10
	s_cbranch_execz .LBB23_1212
; %bb.1197:
	v_cmp_ne_u16_e32 vcc_lo, 0x80, v9
	s_mov_b32 s11, 0
	s_and_b32 s3, vcc_lo, exec_lo
	s_or_saveexec_b32 s10, s10
	v_mov_b32_e32 v10, s11
	s_xor_b32 exec_lo, exec_lo, s10
	s_cbranch_execnz .LBB23_1213
.LBB23_1198:
	s_or_b32 exec_lo, exec_lo, s10
	s_and_saveexec_b32 s10, s3
	s_cbranch_execz .LBB23_1200
.LBB23_1199:
	v_and_b32_e32 v10, 0xffff, v9
	v_lshlrev_b32_e32 v9, 24, v9
	s_delay_alu instid0(VALU_DEP_2) | instskip(NEXT) | instid1(VALU_DEP_2)
	v_and_b32_e32 v11, 7, v10
	v_and_b32_e32 v9, 0x80000000, v9
	s_delay_alu instid0(VALU_DEP_2) | instskip(NEXT) | instid1(VALU_DEP_1)
	v_clz_i32_u32_e32 v12, v11
	v_min_u32_e32 v12, 32, v12
	s_delay_alu instid0(VALU_DEP_1) | instskip(SKIP_1) | instid1(VALU_DEP_2)
	v_subrev_nc_u32_e32 v14, 28, v12
	v_sub_nc_u32_e32 v12, 29, v12
	v_lshlrev_b32_e32 v14, v14, v10
	v_bfe_u32 v10, v10, 3, 4
	s_delay_alu instid0(VALU_DEP_2) | instskip(NEXT) | instid1(VALU_DEP_2)
	v_and_b32_e32 v14, 7, v14
	v_cmp_eq_u32_e32 vcc_lo, 0, v10
	s_delay_alu instid0(VALU_DEP_2) | instskip(NEXT) | instid1(VALU_DEP_1)
	v_dual_cndmask_b32 v10, v10, v12 :: v_dual_cndmask_b32 v11, v11, v14
	v_lshl_add_u32 v10, v10, 23, 0x3b800000
	s_delay_alu instid0(VALU_DEP_2) | instskip(NEXT) | instid1(VALU_DEP_1)
	v_lshlrev_b32_e32 v11, 20, v11
	v_or3_b32 v9, v9, v10, v11
	s_delay_alu instid0(VALU_DEP_1)
	v_cvt_i32_f32_e32 v10, v9
.LBB23_1200:
	s_or_b32 exec_lo, exec_lo, s10
.LBB23_1201:
	s_mov_b32 s3, -1
.LBB23_1202:
	s_branch .LBB23_1232
.LBB23_1203:
	v_cmp_lt_i16_e32 vcc_lo, 22, v13
	s_cbranch_vccz .LBB23_1211
; %bb.1204:
	v_cmp_gt_i16_e32 vcc_lo, 24, v13
	s_cbranch_vccnz .LBB23_1214
; %bb.1205:
	v_cmp_lt_i16_e32 vcc_lo, 24, v13
	s_cbranch_vccz .LBB23_1215
; %bb.1206:
	global_load_u8 v9, v[7:8], off
	s_mov_b32 s3, exec_lo
                                        ; implicit-def: $sgpr10
	s_waitcnt vmcnt(0)
	v_cmpx_lt_i16_e32 0x7f, v9
	s_xor_b32 s3, exec_lo, s3
	s_cbranch_execz .LBB23_1226
; %bb.1207:
	v_cmp_ne_u16_e32 vcc_lo, 0x80, v9
	s_mov_b32 s10, 0
	s_and_b32 s2, vcc_lo, exec_lo
	s_or_saveexec_b32 s3, s3
	v_mov_b32_e32 v10, s10
	s_xor_b32 exec_lo, exec_lo, s3
	s_cbranch_execnz .LBB23_1227
.LBB23_1208:
	s_or_b32 exec_lo, exec_lo, s3
	s_and_saveexec_b32 s3, s2
	s_cbranch_execz .LBB23_1210
.LBB23_1209:
	v_and_b32_e32 v10, 0xffff, v9
	v_lshlrev_b32_e32 v9, 24, v9
	s_delay_alu instid0(VALU_DEP_2) | instskip(NEXT) | instid1(VALU_DEP_2)
	v_and_b32_e32 v11, 3, v10
	v_and_b32_e32 v9, 0x80000000, v9
	s_delay_alu instid0(VALU_DEP_2) | instskip(NEXT) | instid1(VALU_DEP_1)
	v_clz_i32_u32_e32 v12, v11
	v_min_u32_e32 v12, 32, v12
	s_delay_alu instid0(VALU_DEP_1) | instskip(SKIP_1) | instid1(VALU_DEP_2)
	v_subrev_nc_u32_e32 v14, 29, v12
	v_sub_nc_u32_e32 v12, 30, v12
	v_lshlrev_b32_e32 v14, v14, v10
	v_bfe_u32 v10, v10, 2, 5
	s_delay_alu instid0(VALU_DEP_2) | instskip(NEXT) | instid1(VALU_DEP_2)
	v_and_b32_e32 v14, 3, v14
	v_cmp_eq_u32_e32 vcc_lo, 0, v10
	s_delay_alu instid0(VALU_DEP_2) | instskip(NEXT) | instid1(VALU_DEP_1)
	v_dual_cndmask_b32 v10, v10, v12 :: v_dual_cndmask_b32 v11, v11, v14
	v_lshl_add_u32 v10, v10, 23, 0x37800000
	s_delay_alu instid0(VALU_DEP_2) | instskip(NEXT) | instid1(VALU_DEP_1)
	v_lshlrev_b32_e32 v11, 21, v11
	v_or3_b32 v9, v9, v10, v11
	s_delay_alu instid0(VALU_DEP_1)
	v_cvt_i32_f32_e32 v10, v9
.LBB23_1210:
	s_or_b32 exec_lo, exec_lo, s3
	s_mov_b32 s2, 0
	s_branch .LBB23_1216
.LBB23_1211:
                                        ; implicit-def: $vgpr10
	s_mov_b32 s2, 0
	s_branch .LBB23_1222
.LBB23_1212:
	s_or_saveexec_b32 s10, s10
	v_mov_b32_e32 v10, s11
	s_xor_b32 exec_lo, exec_lo, s10
	s_cbranch_execz .LBB23_1198
.LBB23_1213:
	v_cmp_ne_u16_e32 vcc_lo, 0, v9
	v_mov_b32_e32 v10, 0
	s_and_not1_b32 s3, s3, exec_lo
	s_and_b32 s11, vcc_lo, exec_lo
	s_delay_alu instid0(SALU_CYCLE_1)
	s_or_b32 s3, s3, s11
	s_or_b32 exec_lo, exec_lo, s10
	s_and_saveexec_b32 s10, s3
	s_cbranch_execnz .LBB23_1199
	s_branch .LBB23_1200
.LBB23_1214:
	s_mov_b32 s2, -1
                                        ; implicit-def: $vgpr10
	s_branch .LBB23_1219
.LBB23_1215:
	s_mov_b32 s2, -1
                                        ; implicit-def: $vgpr10
.LBB23_1216:
	s_delay_alu instid0(SALU_CYCLE_1)
	s_and_b32 vcc_lo, exec_lo, s2
	s_cbranch_vccz .LBB23_1218
; %bb.1217:
	global_load_u8 v9, v[7:8], off
	s_waitcnt vmcnt(0)
	v_lshlrev_b32_e32 v9, 24, v9
	s_delay_alu instid0(VALU_DEP_1) | instskip(NEXT) | instid1(VALU_DEP_1)
	v_and_b32_e32 v10, 0x7f000000, v9
	v_clz_i32_u32_e32 v11, v10
	v_add_nc_u32_e32 v14, 0x1000000, v10
	v_cmp_ne_u32_e32 vcc_lo, 0, v10
	s_delay_alu instid0(VALU_DEP_3) | instskip(NEXT) | instid1(VALU_DEP_1)
	v_min_u32_e32 v11, 32, v11
	v_sub_nc_u32_e64 v11, v11, 4 clamp
	s_delay_alu instid0(VALU_DEP_1) | instskip(SKIP_1) | instid1(VALU_DEP_2)
	v_lshlrev_b32_e32 v12, v11, v10
	v_lshlrev_b32_e32 v11, 23, v11
	v_lshrrev_b32_e32 v12, 4, v12
	s_delay_alu instid0(VALU_DEP_1) | instskip(SKIP_1) | instid1(VALU_DEP_2)
	v_sub_nc_u32_e32 v11, v12, v11
	v_ashrrev_i32_e32 v12, 8, v14
	v_add_nc_u32_e32 v11, 0x3c000000, v11
	s_delay_alu instid0(VALU_DEP_1) | instskip(NEXT) | instid1(VALU_DEP_1)
	v_and_or_b32 v11, 0x7f800000, v12, v11
	v_cndmask_b32_e32 v10, 0, v11, vcc_lo
	s_delay_alu instid0(VALU_DEP_1) | instskip(NEXT) | instid1(VALU_DEP_1)
	v_and_or_b32 v9, 0x80000000, v9, v10
	v_cvt_i32_f32_e32 v10, v9
.LBB23_1218:
	s_mov_b32 s2, 0
.LBB23_1219:
	s_delay_alu instid0(SALU_CYCLE_1)
	s_and_not1_b32 vcc_lo, exec_lo, s2
	s_cbranch_vccnz .LBB23_1221
; %bb.1220:
	global_load_u8 v9, v[7:8], off
	s_waitcnt vmcnt(0)
	v_lshlrev_b32_e32 v10, 25, v9
	v_lshlrev_b16 v9, 8, v9
	s_delay_alu instid0(VALU_DEP_2) | instskip(NEXT) | instid1(VALU_DEP_2)
	v_lshrrev_b32_e32 v11, 4, v10
	v_and_or_b32 v12, 0x7f00, v9, 0.5
	v_bfe_i32 v9, v9, 0, 16
	s_delay_alu instid0(VALU_DEP_3) | instskip(NEXT) | instid1(VALU_DEP_1)
	v_or_b32_e32 v11, 0x70000000, v11
	v_dual_add_f32 v12, -0.5, v12 :: v_dual_mul_f32 v11, 0x7800000, v11
	v_cmp_gt_u32_e32 vcc_lo, 0x8000000, v10
	s_delay_alu instid0(VALU_DEP_2) | instskip(NEXT) | instid1(VALU_DEP_1)
	v_cndmask_b32_e32 v10, v11, v12, vcc_lo
	v_and_or_b32 v9, 0x80000000, v9, v10
	s_delay_alu instid0(VALU_DEP_1)
	v_cvt_i32_f32_e32 v10, v9
.LBB23_1221:
	s_mov_b32 s3, -1
	s_mov_b32 s2, 0
	s_cbranch_execnz .LBB23_1232
.LBB23_1222:
	v_cmp_lt_i16_e32 vcc_lo, 14, v13
	s_cbranch_vccz .LBB23_1225
; %bb.1223:
	v_cmp_eq_u16_e32 vcc_lo, 15, v13
	s_cbranch_vccz .LBB23_1228
; %bb.1224:
	global_load_u16 v9, v[7:8], off
	s_mov_b32 s1, 0
	s_mov_b32 s3, -1
	s_waitcnt vmcnt(0)
	v_lshlrev_b32_e32 v9, 16, v9
	s_delay_alu instid0(VALU_DEP_1)
	v_cvt_i32_f32_e32 v10, v9
	s_branch .LBB23_1230
.LBB23_1225:
	s_mov_b32 s2, -1
	s_branch .LBB23_1229
.LBB23_1226:
	s_or_saveexec_b32 s3, s3
	v_mov_b32_e32 v10, s10
	s_xor_b32 exec_lo, exec_lo, s3
	s_cbranch_execz .LBB23_1208
.LBB23_1227:
	v_cmp_ne_u16_e32 vcc_lo, 0, v9
	v_mov_b32_e32 v10, 0
	s_and_not1_b32 s2, s2, exec_lo
	s_and_b32 s10, vcc_lo, exec_lo
	s_delay_alu instid0(SALU_CYCLE_1)
	s_or_b32 s2, s2, s10
	s_or_b32 exec_lo, exec_lo, s3
	s_and_saveexec_b32 s3, s2
	s_cbranch_execnz .LBB23_1209
	s_branch .LBB23_1210
.LBB23_1228:
	s_mov_b32 s1, -1
.LBB23_1229:
                                        ; implicit-def: $vgpr10
.LBB23_1230:
	s_and_b32 vcc_lo, exec_lo, s2
	s_mov_b32 s2, 0
	s_cbranch_vccz .LBB23_1232
; %bb.1231:
	v_cmp_ne_u16_e64 s1, 11, v13
	s_mov_b32 s2, -1
                                        ; implicit-def: $vgpr10
.LBB23_1232:
	s_delay_alu instid0(VALU_DEP_1)
	s_and_b32 vcc_lo, exec_lo, s1
	s_mov_b32 s1, s8
	s_cbranch_vccnz .LBB23_1256
; %bb.1233:
	s_and_not1_b32 vcc_lo, exec_lo, s2
	s_cbranch_vccnz .LBB23_1235
.LBB23_1234:
	global_load_u8 v9, v[7:8], off
	s_mov_b32 s3, -1
	s_waitcnt vmcnt(0)
	v_cmp_ne_u16_e32 vcc_lo, 0, v9
	v_cndmask_b32_e64 v10, 0, 1, vcc_lo
.LBB23_1235:
.LBB23_1236:
	s_and_not1_b32 vcc_lo, exec_lo, s3
	s_cbranch_vccnz .LBB23_1430
.LBB23_1237:
	v_cmp_gt_i16_e32 vcc_lo, 11, v13
	v_add_co_u32 v6, s2, s6, v6
	s_delay_alu instid0(VALU_DEP_1)
	v_add_co_ci_u32_e64 v7, null, s7, 0, s2
	s_mov_b32 s10, 0
	s_cbranch_vccnz .LBB23_1244
; %bb.1238:
	v_cmp_lt_i16_e32 vcc_lo, 25, v13
	s_mov_b32 s3, 0
	s_cbranch_vccz .LBB23_1250
; %bb.1239:
	v_cmp_lt_i16_e32 vcc_lo, 28, v13
	s_cbranch_vccz .LBB23_1252
; %bb.1240:
	v_cmp_lt_i16_e32 vcc_lo, 43, v13
	;; [unrolled: 3-line block ×3, first 2 shown]
	s_cbranch_vccz .LBB23_1260
; %bb.1242:
	v_cmp_eq_u16_e32 vcc_lo, 46, v13
	s_mov_b32 s11, 0
	s_cbranch_vccz .LBB23_1304
; %bb.1243:
	global_load_b32 v8, v[6:7], off
	s_mov_b32 s2, 0
	s_mov_b32 s10, -1
	s_waitcnt vmcnt(0)
	v_lshlrev_b32_e32 v8, 16, v8
	s_delay_alu instid0(VALU_DEP_1)
	v_cvt_i32_f32_e32 v8, v8
	s_branch .LBB23_1306
.LBB23_1244:
                                        ; implicit-def: $vgpr8
	s_cbranch_execz .LBB23_1367
; %bb.1245:
	v_cmp_gt_i16_e32 vcc_lo, 5, v13
	s_cbranch_vccnz .LBB23_1251
; %bb.1246:
	v_cmp_gt_i16_e32 vcc_lo, 8, v13
	s_cbranch_vccnz .LBB23_1253
	;; [unrolled: 3-line block ×3, first 2 shown]
; %bb.1248:
	v_cmp_lt_i16_e32 vcc_lo, 9, v13
	s_cbranch_vccz .LBB23_1261
; %bb.1249:
	global_load_b64 v[8:9], v[6:7], off
	s_mov_b32 s2, 0
	s_waitcnt vmcnt(0)
	v_cvt_i32_f64_e32 v8, v[8:9]
	s_branch .LBB23_1262
.LBB23_1250:
	s_mov_b32 s2, 0
                                        ; implicit-def: $vgpr8
	s_cbranch_execnz .LBB23_1333
	s_branch .LBB23_1363
.LBB23_1251:
                                        ; implicit-def: $vgpr8
	s_branch .LBB23_1280
.LBB23_1252:
	s_mov_b32 s11, -1
	s_mov_b32 s2, 0
                                        ; implicit-def: $vgpr8
	s_branch .LBB23_1316
.LBB23_1253:
	s_mov_b32 s2, -1
                                        ; implicit-def: $vgpr8
	s_branch .LBB23_1268
.LBB23_1254:
	s_mov_b32 s11, -1
	s_mov_b32 s2, 0
                                        ; implicit-def: $vgpr8
	s_branch .LBB23_1311
.LBB23_1255:
	s_mov_b32 s2, -1
                                        ; implicit-def: $vgpr8
	s_branch .LBB23_1265
.LBB23_1256:
	s_cbranch_execnz .LBB23_1300
; %bb.1257:
	s_or_b32 s1, s8, exec_lo
                                        ; implicit-def: $vgpr10
	s_cbranch_execz .LBB23_1234
	s_branch .LBB23_1235
.LBB23_1258:
	s_or_saveexec_b32 s7, s7
                                        ; implicit-def: $sgpr8
	s_delay_alu instid0(SALU_CYCLE_1)
	s_xor_b32 exec_lo, exec_lo, s7
	s_cbranch_execz .LBB23_971
.LBB23_1259:
	v_add_f32_e64 v5, 0x46000000, |v2|
	s_and_not1_b32 s5, s5, exec_lo
	s_mov_b32 s8, 0
	s_delay_alu instid0(VALU_DEP_1) | instskip(NEXT) | instid1(VALU_DEP_1)
	v_and_b32_e32 v5, 0xff, v5
	v_cmp_ne_u32_e32 vcc_lo, 0, v5
	s_and_b32 s9, vcc_lo, exec_lo
	s_delay_alu instid0(SALU_CYCLE_1)
	s_or_b32 s5, s5, s9
	s_or_b32 exec_lo, exec_lo, s7
	v_mov_b32_e32 v7, s8
	s_and_saveexec_b32 s7, s5
	s_cbranch_execnz .LBB23_972
	s_branch .LBB23_973
.LBB23_1260:
	s_mov_b32 s11, -1
	s_mov_b32 s2, 0
	s_branch .LBB23_1305
.LBB23_1261:
	s_mov_b32 s2, -1
                                        ; implicit-def: $vgpr8
.LBB23_1262:
	s_delay_alu instid0(SALU_CYCLE_1)
	s_and_not1_b32 vcc_lo, exec_lo, s2
	s_cbranch_vccnz .LBB23_1264
; %bb.1263:
	global_load_b32 v8, v[6:7], off
	s_waitcnt vmcnt(0)
	v_cvt_i32_f32_e32 v8, v8
.LBB23_1264:
	s_mov_b32 s2, 0
.LBB23_1265:
	s_delay_alu instid0(SALU_CYCLE_1)
	s_and_not1_b32 vcc_lo, exec_lo, s2
	s_cbranch_vccnz .LBB23_1267
; %bb.1266:
	global_load_b32 v8, v[6:7], off
	s_waitcnt vmcnt(0)
	v_cvt_i16_f16_e32 v8, v8
.LBB23_1267:
	s_mov_b32 s2, 0
.LBB23_1268:
	s_delay_alu instid0(SALU_CYCLE_1)
	s_and_not1_b32 vcc_lo, exec_lo, s2
	s_cbranch_vccnz .LBB23_1279
; %bb.1269:
	v_cmp_gt_i16_e32 vcc_lo, 6, v13
	s_cbranch_vccnz .LBB23_1272
; %bb.1270:
	v_cmp_lt_i16_e32 vcc_lo, 6, v13
	s_cbranch_vccz .LBB23_1273
; %bb.1271:
	global_load_b64 v[8:9], v[6:7], off
	s_mov_b32 s2, 0
	s_waitcnt vmcnt(0)
	v_cvt_i32_f64_e32 v8, v[8:9]
	s_branch .LBB23_1274
.LBB23_1272:
	s_mov_b32 s2, -1
                                        ; implicit-def: $vgpr8
	s_branch .LBB23_1277
.LBB23_1273:
	s_mov_b32 s2, -1
                                        ; implicit-def: $vgpr8
.LBB23_1274:
	s_delay_alu instid0(SALU_CYCLE_1)
	s_and_not1_b32 vcc_lo, exec_lo, s2
	s_cbranch_vccnz .LBB23_1276
; %bb.1275:
	global_load_b32 v8, v[6:7], off
	s_waitcnt vmcnt(0)
	v_cvt_i32_f32_e32 v8, v8
.LBB23_1276:
	s_mov_b32 s2, 0
.LBB23_1277:
	s_delay_alu instid0(SALU_CYCLE_1)
	s_and_not1_b32 vcc_lo, exec_lo, s2
	s_cbranch_vccnz .LBB23_1279
; %bb.1278:
	global_load_u16 v8, v[6:7], off
	s_waitcnt vmcnt(0)
	v_cvt_i16_f16_e32 v8, v8
.LBB23_1279:
	s_cbranch_execnz .LBB23_1299
.LBB23_1280:
	v_cmp_gt_i16_e32 vcc_lo, 2, v13
	s_cbranch_vccnz .LBB23_1284
; %bb.1281:
	v_cmp_gt_i16_e32 vcc_lo, 3, v13
	s_cbranch_vccnz .LBB23_1285
; %bb.1282:
	v_cmp_lt_i16_e32 vcc_lo, 3, v13
	s_cbranch_vccz .LBB23_1286
; %bb.1283:
	global_load_b64 v[8:9], v[6:7], off
	s_mov_b32 s2, 0
	s_branch .LBB23_1287
.LBB23_1284:
	s_mov_b32 s2, -1
                                        ; implicit-def: $vgpr8
	s_branch .LBB23_1293
.LBB23_1285:
	s_mov_b32 s2, -1
                                        ; implicit-def: $vgpr8
	s_branch .LBB23_1290
.LBB23_1286:
	s_mov_b32 s2, -1
                                        ; implicit-def: $vgpr8
.LBB23_1287:
	s_delay_alu instid0(SALU_CYCLE_1)
	s_and_not1_b32 vcc_lo, exec_lo, s2
	s_cbranch_vccnz .LBB23_1289
; %bb.1288:
	global_load_b32 v8, v[6:7], off
.LBB23_1289:
	s_mov_b32 s2, 0
.LBB23_1290:
	s_delay_alu instid0(SALU_CYCLE_1)
	s_and_not1_b32 vcc_lo, exec_lo, s2
	s_cbranch_vccnz .LBB23_1292
; %bb.1291:
	global_load_u16 v8, v[6:7], off
.LBB23_1292:
	s_mov_b32 s2, 0
.LBB23_1293:
	s_delay_alu instid0(SALU_CYCLE_1)
	s_and_not1_b32 vcc_lo, exec_lo, s2
	s_cbranch_vccnz .LBB23_1299
; %bb.1294:
	v_cmp_lt_i16_e32 vcc_lo, 0, v13
	s_mov_b32 s2, 0
	s_cbranch_vccz .LBB23_1296
; %bb.1295:
	global_load_u8 v8, v[6:7], off
	s_branch .LBB23_1297
.LBB23_1296:
	s_mov_b32 s2, -1
                                        ; implicit-def: $vgpr8
.LBB23_1297:
	s_delay_alu instid0(SALU_CYCLE_1)
	s_and_not1_b32 vcc_lo, exec_lo, s2
	s_cbranch_vccnz .LBB23_1299
; %bb.1298:
	global_load_u8 v8, v[6:7], off
.LBB23_1299:
	s_branch .LBB23_1368
.LBB23_1300:
	s_trap 2
	s_sendmsg_rtn_b32 s0, sendmsg(MSG_RTN_GET_DOORBELL)
	s_mov_b32 ttmp2, m0
	s_waitcnt lgkmcnt(0)
	s_and_b32 s0, s0, 0x3ff
	s_delay_alu instid0(SALU_CYCLE_1) | instskip(NEXT) | instid1(SALU_CYCLE_1)
	s_bitset1_b32 s0, 10
	s_mov_b32 m0, s0
	s_sendmsg sendmsg(MSG_INTERRUPT)
	s_mov_b32 m0, ttmp2
.LBB23_1301:                            ; =>This Inner Loop Header: Depth=1
	s_sethalt 5
	s_branch .LBB23_1301
.LBB23_1302:
	s_or_saveexec_b32 s8, s8
                                        ; implicit-def: $sgpr9
	s_delay_alu instid0(SALU_CYCLE_1)
	s_xor_b32 exec_lo, exec_lo, s8
	s_cbranch_execz .LBB23_983
.LBB23_1303:
	v_add_f32_e64 v5, 0x42800000, |v2|
	s_and_not1_b32 s5, s5, exec_lo
	s_mov_b32 s9, 0
	s_delay_alu instid0(VALU_DEP_1) | instskip(NEXT) | instid1(VALU_DEP_1)
	v_and_b32_e32 v5, 0xff, v5
	v_cmp_ne_u32_e32 vcc_lo, 0, v5
	s_and_b32 s10, vcc_lo, exec_lo
	s_delay_alu instid0(SALU_CYCLE_1)
	s_or_b32 s5, s5, s10
	s_or_b32 exec_lo, exec_lo, s8
	v_mov_b32_e32 v7, s9
	s_and_saveexec_b32 s8, s5
	s_cbranch_execnz .LBB23_984
	s_branch .LBB23_985
.LBB23_1304:
	s_mov_b32 s2, -1
.LBB23_1305:
                                        ; implicit-def: $vgpr8
.LBB23_1306:
	s_and_b32 vcc_lo, exec_lo, s11
	s_cbranch_vccz .LBB23_1310
; %bb.1307:
	v_cmp_eq_u16_e32 vcc_lo, 44, v13
	s_cbranch_vccz .LBB23_1309
; %bb.1308:
	global_load_u8 v8, v[6:7], off
	s_mov_b32 s2, 0
	s_mov_b32 s10, -1
	s_waitcnt vmcnt(0)
	v_lshlrev_b32_e32 v9, 23, v8
	v_cmp_ne_u32_e32 vcc_lo, 0, v8
	s_delay_alu instid0(VALU_DEP_2) | instskip(NEXT) | instid1(VALU_DEP_1)
	v_cvt_i32_f32_e32 v9, v9
	v_cndmask_b32_e32 v8, 0, v9, vcc_lo
	s_branch .LBB23_1310
.LBB23_1309:
	s_mov_b32 s2, -1
                                        ; implicit-def: $vgpr8
.LBB23_1310:
	s_mov_b32 s11, 0
.LBB23_1311:
	s_delay_alu instid0(SALU_CYCLE_1)
	s_and_b32 vcc_lo, exec_lo, s11
	s_cbranch_vccz .LBB23_1315
; %bb.1312:
	v_cmp_eq_u16_e32 vcc_lo, 29, v13
	s_cbranch_vccz .LBB23_1314
; %bb.1313:
	global_load_b64 v[8:9], v[6:7], off
	s_mov_b32 s2, 0
	s_mov_b32 s10, -1
	s_branch .LBB23_1315
.LBB23_1314:
	s_mov_b32 s2, -1
                                        ; implicit-def: $vgpr8
.LBB23_1315:
	s_mov_b32 s11, 0
.LBB23_1316:
	s_delay_alu instid0(SALU_CYCLE_1)
	s_and_b32 vcc_lo, exec_lo, s11
	s_cbranch_vccz .LBB23_1332
; %bb.1317:
	v_cmp_gt_i16_e32 vcc_lo, 27, v13
	s_cbranch_vccnz .LBB23_1320
; %bb.1318:
	v_cmp_lt_i16_e32 vcc_lo, 27, v13
	s_cbranch_vccz .LBB23_1321
; %bb.1319:
	global_load_b32 v8, v[6:7], off
	s_mov_b32 s10, 0
	s_branch .LBB23_1322
.LBB23_1320:
	s_mov_b32 s10, -1
                                        ; implicit-def: $vgpr8
	s_branch .LBB23_1325
.LBB23_1321:
	s_mov_b32 s10, -1
                                        ; implicit-def: $vgpr8
.LBB23_1322:
	s_delay_alu instid0(SALU_CYCLE_1)
	s_and_not1_b32 vcc_lo, exec_lo, s10
	s_cbranch_vccnz .LBB23_1324
; %bb.1323:
	global_load_u16 v8, v[6:7], off
.LBB23_1324:
	s_mov_b32 s10, 0
.LBB23_1325:
	s_delay_alu instid0(SALU_CYCLE_1)
	s_and_not1_b32 vcc_lo, exec_lo, s10
	s_cbranch_vccnz .LBB23_1331
; %bb.1326:
	global_load_u8 v9, v[6:7], off
	s_mov_b32 s10, 0
	s_mov_b32 s11, exec_lo
                                        ; implicit-def: $sgpr12
	s_waitcnt vmcnt(0)
	v_cmpx_lt_i16_e32 0x7f, v9
	s_xor_b32 s11, exec_lo, s11
	s_cbranch_execz .LBB23_1342
; %bb.1327:
	v_cmp_ne_u16_e32 vcc_lo, 0x80, v9
	s_mov_b32 s12, 0
	s_and_b32 s10, vcc_lo, exec_lo
	s_or_saveexec_b32 s11, s11
	v_mov_b32_e32 v8, s12
	s_xor_b32 exec_lo, exec_lo, s11
	s_cbranch_execnz .LBB23_1343
.LBB23_1328:
	s_or_b32 exec_lo, exec_lo, s11
	s_and_saveexec_b32 s11, s10
	s_cbranch_execz .LBB23_1330
.LBB23_1329:
	v_and_b32_e32 v8, 0xffff, v9
	s_delay_alu instid0(VALU_DEP_1) | instskip(NEXT) | instid1(VALU_DEP_1)
	v_and_b32_e32 v11, 7, v8
	v_clz_i32_u32_e32 v12, v11
	s_delay_alu instid0(VALU_DEP_1) | instskip(NEXT) | instid1(VALU_DEP_1)
	v_min_u32_e32 v12, 32, v12
	v_subrev_nc_u32_e32 v14, 28, v12
	v_sub_nc_u32_e32 v12, 29, v12
	s_delay_alu instid0(VALU_DEP_2) | instskip(SKIP_1) | instid1(VALU_DEP_2)
	v_lshlrev_b32_e32 v14, v14, v8
	v_bfe_u32 v8, v8, 3, 4
	v_and_b32_e32 v14, 7, v14
	s_delay_alu instid0(VALU_DEP_2) | instskip(SKIP_1) | instid1(VALU_DEP_3)
	v_cmp_eq_u32_e32 vcc_lo, 0, v8
	v_dual_cndmask_b32 v8, v8, v12 :: v_dual_lshlrev_b32 v9, 24, v9
	v_cndmask_b32_e32 v11, v11, v14, vcc_lo
	s_delay_alu instid0(VALU_DEP_2) | instskip(NEXT) | instid1(VALU_DEP_3)
	v_and_b32_e32 v9, 0x80000000, v9
	v_lshl_add_u32 v8, v8, 23, 0x3b800000
	s_delay_alu instid0(VALU_DEP_3) | instskip(NEXT) | instid1(VALU_DEP_1)
	v_lshlrev_b32_e32 v11, 20, v11
	v_or3_b32 v8, v9, v8, v11
	s_delay_alu instid0(VALU_DEP_1)
	v_cvt_i32_f32_e32 v8, v8
.LBB23_1330:
	s_or_b32 exec_lo, exec_lo, s11
.LBB23_1331:
	s_mov_b32 s10, -1
.LBB23_1332:
	s_branch .LBB23_1363
.LBB23_1333:
	v_cmp_lt_i16_e32 vcc_lo, 22, v13
	s_cbranch_vccz .LBB23_1341
; %bb.1334:
	v_cmp_gt_i16_e32 vcc_lo, 24, v13
	s_cbranch_vccnz .LBB23_1344
; %bb.1335:
	v_cmp_lt_i16_e32 vcc_lo, 24, v13
	s_cbranch_vccz .LBB23_1345
; %bb.1336:
	global_load_u8 v9, v[6:7], off
	s_mov_b32 s10, exec_lo
                                        ; implicit-def: $sgpr11
	s_waitcnt vmcnt(0)
	v_cmpx_lt_i16_e32 0x7f, v9
	s_xor_b32 s10, exec_lo, s10
	s_cbranch_execz .LBB23_1357
; %bb.1337:
	v_cmp_ne_u16_e32 vcc_lo, 0x80, v9
	s_mov_b32 s11, 0
	s_and_b32 s3, vcc_lo, exec_lo
	s_or_saveexec_b32 s10, s10
	v_mov_b32_e32 v8, s11
	s_xor_b32 exec_lo, exec_lo, s10
	s_cbranch_execnz .LBB23_1358
.LBB23_1338:
	s_or_b32 exec_lo, exec_lo, s10
	s_and_saveexec_b32 s10, s3
	s_cbranch_execz .LBB23_1340
.LBB23_1339:
	v_and_b32_e32 v8, 0xffff, v9
	s_delay_alu instid0(VALU_DEP_1) | instskip(NEXT) | instid1(VALU_DEP_1)
	v_and_b32_e32 v11, 3, v8
	v_clz_i32_u32_e32 v12, v11
	s_delay_alu instid0(VALU_DEP_1) | instskip(NEXT) | instid1(VALU_DEP_1)
	v_min_u32_e32 v12, 32, v12
	v_subrev_nc_u32_e32 v14, 29, v12
	v_sub_nc_u32_e32 v12, 30, v12
	s_delay_alu instid0(VALU_DEP_2) | instskip(SKIP_1) | instid1(VALU_DEP_2)
	v_lshlrev_b32_e32 v14, v14, v8
	v_bfe_u32 v8, v8, 2, 5
	v_and_b32_e32 v14, 3, v14
	s_delay_alu instid0(VALU_DEP_2) | instskip(SKIP_1) | instid1(VALU_DEP_3)
	v_cmp_eq_u32_e32 vcc_lo, 0, v8
	v_dual_cndmask_b32 v8, v8, v12 :: v_dual_lshlrev_b32 v9, 24, v9
	v_cndmask_b32_e32 v11, v11, v14, vcc_lo
	s_delay_alu instid0(VALU_DEP_2) | instskip(NEXT) | instid1(VALU_DEP_3)
	v_and_b32_e32 v9, 0x80000000, v9
	v_lshl_add_u32 v8, v8, 23, 0x37800000
	s_delay_alu instid0(VALU_DEP_3) | instskip(NEXT) | instid1(VALU_DEP_1)
	v_lshlrev_b32_e32 v11, 21, v11
	v_or3_b32 v8, v9, v8, v11
	s_delay_alu instid0(VALU_DEP_1)
	v_cvt_i32_f32_e32 v8, v8
.LBB23_1340:
	s_or_b32 exec_lo, exec_lo, s10
	s_mov_b32 s3, 0
	s_branch .LBB23_1346
.LBB23_1341:
	s_mov_b32 s3, -1
                                        ; implicit-def: $vgpr8
	s_branch .LBB23_1352
.LBB23_1342:
	s_or_saveexec_b32 s11, s11
	v_mov_b32_e32 v8, s12
	s_xor_b32 exec_lo, exec_lo, s11
	s_cbranch_execz .LBB23_1328
.LBB23_1343:
	v_cmp_ne_u16_e32 vcc_lo, 0, v9
	v_mov_b32_e32 v8, 0
	s_and_not1_b32 s10, s10, exec_lo
	s_and_b32 s12, vcc_lo, exec_lo
	s_delay_alu instid0(SALU_CYCLE_1)
	s_or_b32 s10, s10, s12
	s_or_b32 exec_lo, exec_lo, s11
	s_and_saveexec_b32 s11, s10
	s_cbranch_execnz .LBB23_1329
	s_branch .LBB23_1330
.LBB23_1344:
	s_mov_b32 s3, -1
                                        ; implicit-def: $vgpr8
	s_branch .LBB23_1349
.LBB23_1345:
	s_mov_b32 s3, -1
                                        ; implicit-def: $vgpr8
.LBB23_1346:
	s_delay_alu instid0(SALU_CYCLE_1)
	s_and_b32 vcc_lo, exec_lo, s3
	s_cbranch_vccz .LBB23_1348
; %bb.1347:
	global_load_u8 v8, v[6:7], off
	s_waitcnt vmcnt(0)
	v_lshlrev_b32_e32 v8, 24, v8
	s_delay_alu instid0(VALU_DEP_1) | instskip(NEXT) | instid1(VALU_DEP_1)
	v_and_b32_e32 v9, 0x7f000000, v8
	v_clz_i32_u32_e32 v11, v9
	v_add_nc_u32_e32 v14, 0x1000000, v9
	v_cmp_ne_u32_e32 vcc_lo, 0, v9
	s_delay_alu instid0(VALU_DEP_3) | instskip(NEXT) | instid1(VALU_DEP_1)
	v_min_u32_e32 v11, 32, v11
	v_sub_nc_u32_e64 v11, v11, 4 clamp
	s_delay_alu instid0(VALU_DEP_1) | instskip(SKIP_1) | instid1(VALU_DEP_2)
	v_lshlrev_b32_e32 v12, v11, v9
	v_lshlrev_b32_e32 v11, 23, v11
	v_lshrrev_b32_e32 v12, 4, v12
	s_delay_alu instid0(VALU_DEP_1) | instskip(SKIP_1) | instid1(VALU_DEP_2)
	v_sub_nc_u32_e32 v11, v12, v11
	v_ashrrev_i32_e32 v12, 8, v14
	v_add_nc_u32_e32 v11, 0x3c000000, v11
	s_delay_alu instid0(VALU_DEP_1) | instskip(NEXT) | instid1(VALU_DEP_1)
	v_and_or_b32 v11, 0x7f800000, v12, v11
	v_cndmask_b32_e32 v9, 0, v11, vcc_lo
	s_delay_alu instid0(VALU_DEP_1) | instskip(NEXT) | instid1(VALU_DEP_1)
	v_and_or_b32 v8, 0x80000000, v8, v9
	v_cvt_i32_f32_e32 v8, v8
.LBB23_1348:
	s_mov_b32 s3, 0
.LBB23_1349:
	s_delay_alu instid0(SALU_CYCLE_1)
	s_and_not1_b32 vcc_lo, exec_lo, s3
	s_cbranch_vccnz .LBB23_1351
; %bb.1350:
	global_load_u8 v8, v[6:7], off
	s_waitcnt vmcnt(0)
	v_lshlrev_b32_e32 v9, 25, v8
	v_lshlrev_b16 v8, 8, v8
	s_delay_alu instid0(VALU_DEP_2) | instskip(NEXT) | instid1(VALU_DEP_2)
	v_lshrrev_b32_e32 v11, 4, v9
	v_and_or_b32 v12, 0x7f00, v8, 0.5
	v_cmp_gt_u32_e32 vcc_lo, 0x8000000, v9
	v_bfe_i32 v8, v8, 0, 16
	s_delay_alu instid0(VALU_DEP_4) | instskip(NEXT) | instid1(VALU_DEP_1)
	v_or_b32_e32 v11, 0x70000000, v11
	v_dual_add_f32 v12, -0.5, v12 :: v_dual_mul_f32 v11, 0x7800000, v11
	s_delay_alu instid0(VALU_DEP_1) | instskip(NEXT) | instid1(VALU_DEP_1)
	v_cndmask_b32_e32 v9, v11, v12, vcc_lo
	v_and_or_b32 v8, 0x80000000, v8, v9
	s_delay_alu instid0(VALU_DEP_1)
	v_cvt_i32_f32_e32 v8, v8
.LBB23_1351:
	s_mov_b32 s3, 0
	s_mov_b32 s10, -1
.LBB23_1352:
	s_and_not1_b32 vcc_lo, exec_lo, s3
	s_mov_b32 s3, 0
	s_cbranch_vccnz .LBB23_1363
; %bb.1353:
	v_cmp_lt_i16_e32 vcc_lo, 14, v13
	s_cbranch_vccz .LBB23_1356
; %bb.1354:
	v_cmp_eq_u16_e32 vcc_lo, 15, v13
	s_cbranch_vccz .LBB23_1359
; %bb.1355:
	global_load_u16 v8, v[6:7], off
	s_mov_b32 s2, 0
	s_mov_b32 s10, -1
	s_waitcnt vmcnt(0)
	v_lshlrev_b32_e32 v8, 16, v8
	s_delay_alu instid0(VALU_DEP_1)
	v_cvt_i32_f32_e32 v8, v8
	s_branch .LBB23_1361
.LBB23_1356:
	s_mov_b32 s3, -1
	s_branch .LBB23_1360
.LBB23_1357:
	s_or_saveexec_b32 s10, s10
	v_mov_b32_e32 v8, s11
	s_xor_b32 exec_lo, exec_lo, s10
	s_cbranch_execz .LBB23_1338
.LBB23_1358:
	v_cmp_ne_u16_e32 vcc_lo, 0, v9
	v_mov_b32_e32 v8, 0
	s_and_not1_b32 s3, s3, exec_lo
	s_and_b32 s11, vcc_lo, exec_lo
	s_delay_alu instid0(SALU_CYCLE_1)
	s_or_b32 s3, s3, s11
	s_or_b32 exec_lo, exec_lo, s10
	s_and_saveexec_b32 s10, s3
	s_cbranch_execnz .LBB23_1339
	s_branch .LBB23_1340
.LBB23_1359:
	s_mov_b32 s2, -1
.LBB23_1360:
                                        ; implicit-def: $vgpr8
.LBB23_1361:
	s_and_b32 vcc_lo, exec_lo, s3
	s_mov_b32 s3, 0
	s_cbranch_vccz .LBB23_1363
; %bb.1362:
	v_cmp_ne_u16_e64 s2, 11, v13
	s_mov_b32 s3, -1
                                        ; implicit-def: $vgpr8
.LBB23_1363:
	s_delay_alu instid0(VALU_DEP_1)
	s_and_b32 vcc_lo, exec_lo, s2
	s_cbranch_vccnz .LBB23_1387
; %bb.1364:
	s_and_not1_b32 vcc_lo, exec_lo, s3
	s_cbranch_vccnz .LBB23_1366
.LBB23_1365:
	global_load_u8 v8, v[6:7], off
	s_mov_b32 s10, -1
	s_waitcnt vmcnt(0)
	v_cmp_ne_u16_e32 vcc_lo, 0, v8
	v_cndmask_b32_e64 v8, 0, 1, vcc_lo
.LBB23_1366:
.LBB23_1367:
	s_and_not1_b32 vcc_lo, exec_lo, s10
	s_cbranch_vccnz .LBB23_1430
.LBB23_1368:
	v_cmp_gt_i16_e32 vcc_lo, 11, v13
	s_waitcnt vmcnt(0)
	v_add_co_u32 v11, s2, s6, v5
	s_delay_alu instid0(VALU_DEP_1)
	v_add_co_ci_u32_e64 v12, null, s7, 0, s2
	s_mov_b32 s10, 0
	s_cbranch_vccnz .LBB23_1375
; %bb.1369:
	v_cmp_lt_i16_e32 vcc_lo, 25, v13
	s_mov_b32 s3, 0
	s_cbranch_vccz .LBB23_1381
; %bb.1370:
	v_cmp_lt_i16_e32 vcc_lo, 28, v13
	s_cbranch_vccz .LBB23_1383
; %bb.1371:
	v_cmp_lt_i16_e32 vcc_lo, 43, v13
	;; [unrolled: 3-line block ×3, first 2 shown]
	s_cbranch_vccz .LBB23_1389
; %bb.1373:
	v_cmp_eq_u16_e32 vcc_lo, 46, v13
	s_mov_b32 s11, 0
	s_cbranch_vccz .LBB23_1477
; %bb.1374:
	global_load_b32 v5, v[11:12], off
	s_mov_b32 s2, 0
	s_mov_b32 s10, -1
	s_waitcnt vmcnt(0)
	v_lshlrev_b32_e32 v5, 16, v5
	s_delay_alu instid0(VALU_DEP_1)
	v_cvt_i32_f32_e32 v6, v5
	s_branch .LBB23_1479
.LBB23_1375:
                                        ; implicit-def: $vgpr6
	s_cbranch_execz .LBB23_1541
; %bb.1376:
	v_cmp_gt_i16_e32 vcc_lo, 5, v13
	s_cbranch_vccnz .LBB23_1382
; %bb.1377:
	v_cmp_gt_i16_e32 vcc_lo, 8, v13
	s_cbranch_vccnz .LBB23_1384
	;; [unrolled: 3-line block ×3, first 2 shown]
; %bb.1379:
	v_cmp_lt_i16_e32 vcc_lo, 9, v13
	s_cbranch_vccz .LBB23_1390
; %bb.1380:
	global_load_b64 v[5:6], v[11:12], off
	s_mov_b32 s2, 0
	s_waitcnt vmcnt(0)
	v_cvt_i32_f64_e32 v6, v[5:6]
	s_branch .LBB23_1391
.LBB23_1381:
	s_mov_b32 s11, -1
	s_mov_b32 s2, 0
                                        ; implicit-def: $vgpr6
	s_branch .LBB23_1506
.LBB23_1382:
	s_mov_b32 s2, -1
                                        ; implicit-def: $vgpr6
	s_branch .LBB23_1409
.LBB23_1383:
	s_mov_b32 s11, -1
	s_mov_b32 s2, 0
                                        ; implicit-def: $vgpr6
	s_branch .LBB23_1489
.LBB23_1384:
	s_mov_b32 s2, -1
                                        ; implicit-def: $vgpr6
	s_branch .LBB23_1397
.LBB23_1385:
	s_mov_b32 s11, -1
	s_mov_b32 s2, 0
                                        ; implicit-def: $vgpr6
	s_branch .LBB23_1484
.LBB23_1386:
	s_mov_b32 s2, -1
                                        ; implicit-def: $vgpr6
	s_branch .LBB23_1394
.LBB23_1387:
	s_cbranch_execnz .LBB23_1475
; %bb.1388:
	s_or_b32 s1, s1, exec_lo
                                        ; implicit-def: $vgpr8
	s_cbranch_execz .LBB23_1365
	s_branch .LBB23_1366
.LBB23_1389:
	s_mov_b32 s11, -1
	s_mov_b32 s2, 0
	s_branch .LBB23_1478
.LBB23_1390:
	s_mov_b32 s2, -1
                                        ; implicit-def: $vgpr6
.LBB23_1391:
	s_delay_alu instid0(SALU_CYCLE_1)
	s_and_not1_b32 vcc_lo, exec_lo, s2
	s_cbranch_vccnz .LBB23_1393
; %bb.1392:
	global_load_b32 v5, v[11:12], off
	s_waitcnt vmcnt(0)
	v_cvt_i32_f32_e32 v6, v5
.LBB23_1393:
	s_mov_b32 s2, 0
.LBB23_1394:
	s_delay_alu instid0(SALU_CYCLE_1)
	s_and_not1_b32 vcc_lo, exec_lo, s2
	s_cbranch_vccnz .LBB23_1396
; %bb.1395:
	global_load_b32 v5, v[11:12], off
	s_waitcnt vmcnt(0)
	v_cvt_i16_f16_e32 v6, v5
.LBB23_1396:
	s_mov_b32 s2, 0
.LBB23_1397:
	s_delay_alu instid0(SALU_CYCLE_1)
	s_and_not1_b32 vcc_lo, exec_lo, s2
	s_cbranch_vccnz .LBB23_1408
; %bb.1398:
	v_cmp_gt_i16_e32 vcc_lo, 6, v13
	s_cbranch_vccnz .LBB23_1401
; %bb.1399:
	v_cmp_lt_i16_e32 vcc_lo, 6, v13
	s_cbranch_vccz .LBB23_1402
; %bb.1400:
	global_load_b64 v[5:6], v[11:12], off
	s_mov_b32 s2, 0
	s_waitcnt vmcnt(0)
	v_cvt_i32_f64_e32 v6, v[5:6]
	s_branch .LBB23_1403
.LBB23_1401:
	s_mov_b32 s2, -1
                                        ; implicit-def: $vgpr6
	s_branch .LBB23_1406
.LBB23_1402:
	s_mov_b32 s2, -1
                                        ; implicit-def: $vgpr6
.LBB23_1403:
	s_delay_alu instid0(SALU_CYCLE_1)
	s_and_not1_b32 vcc_lo, exec_lo, s2
	s_cbranch_vccnz .LBB23_1405
; %bb.1404:
	global_load_b32 v5, v[11:12], off
	s_waitcnt vmcnt(0)
	v_cvt_i32_f32_e32 v6, v5
.LBB23_1405:
	s_mov_b32 s2, 0
.LBB23_1406:
	s_delay_alu instid0(SALU_CYCLE_1)
	s_and_not1_b32 vcc_lo, exec_lo, s2
	s_cbranch_vccnz .LBB23_1408
; %bb.1407:
	global_load_u16 v5, v[11:12], off
	s_waitcnt vmcnt(0)
	v_cvt_i16_f16_e32 v6, v5
.LBB23_1408:
	s_mov_b32 s2, 0
.LBB23_1409:
	s_delay_alu instid0(SALU_CYCLE_1)
	s_and_not1_b32 vcc_lo, exec_lo, s2
	s_cbranch_vccnz .LBB23_1429
; %bb.1410:
	v_cmp_gt_i16_e32 vcc_lo, 2, v13
	s_cbranch_vccnz .LBB23_1414
; %bb.1411:
	v_cmp_gt_i16_e32 vcc_lo, 3, v13
	s_cbranch_vccnz .LBB23_1415
; %bb.1412:
	v_cmp_lt_i16_e32 vcc_lo, 3, v13
	s_cbranch_vccz .LBB23_1416
; %bb.1413:
	global_load_b64 v[6:7], v[11:12], off
	s_mov_b32 s2, 0
	s_branch .LBB23_1417
.LBB23_1414:
	s_mov_b32 s2, -1
                                        ; implicit-def: $vgpr6
	s_branch .LBB23_1423
.LBB23_1415:
	s_mov_b32 s2, -1
                                        ; implicit-def: $vgpr6
	s_branch .LBB23_1420
.LBB23_1416:
	s_mov_b32 s2, -1
                                        ; implicit-def: $vgpr6
.LBB23_1417:
	s_delay_alu instid0(SALU_CYCLE_1)
	s_and_not1_b32 vcc_lo, exec_lo, s2
	s_cbranch_vccnz .LBB23_1419
; %bb.1418:
	global_load_b32 v6, v[11:12], off
.LBB23_1419:
	s_mov_b32 s2, 0
.LBB23_1420:
	s_delay_alu instid0(SALU_CYCLE_1)
	s_and_not1_b32 vcc_lo, exec_lo, s2
	s_cbranch_vccnz .LBB23_1422
; %bb.1421:
	global_load_u16 v6, v[11:12], off
.LBB23_1422:
	s_mov_b32 s2, 0
.LBB23_1423:
	s_delay_alu instid0(SALU_CYCLE_1)
	s_and_not1_b32 vcc_lo, exec_lo, s2
	s_cbranch_vccnz .LBB23_1429
; %bb.1424:
	v_cmp_lt_i16_e32 vcc_lo, 0, v13
	s_mov_b32 s2, 0
	s_cbranch_vccz .LBB23_1426
; %bb.1425:
	global_load_u8 v6, v[11:12], off
	s_branch .LBB23_1427
.LBB23_1426:
	s_mov_b32 s2, -1
                                        ; implicit-def: $vgpr6
.LBB23_1427:
	s_delay_alu instid0(SALU_CYCLE_1)
	s_and_not1_b32 vcc_lo, exec_lo, s2
	s_cbranch_vccnz .LBB23_1429
; %bb.1428:
	global_load_u8 v6, v[11:12], off
.LBB23_1429:
	s_branch .LBB23_1542
.LBB23_1430:
	s_mov_b32 s0, 0
	s_mov_b32 s2, 0
                                        ; implicit-def: $vgpr0_vgpr1
                                        ; implicit-def: $vgpr5
                                        ; implicit-def: $vgpr2
                                        ; implicit-def: $vgpr4
.LBB23_1431:
	s_and_b32 s3, s0, exec_lo
	s_and_not1_b32 s0, s8, exec_lo
	s_and_b32 s1, s1, exec_lo
	s_and_b32 s26, s2, exec_lo
	s_or_b32 s8, s0, s1
.LBB23_1432:
	s_or_b32 exec_lo, exec_lo, s9
	s_and_saveexec_b32 s0, s8
	s_cbranch_execz .LBB23_1435
; %bb.1433:
	; divergent unreachable
	s_or_b32 exec_lo, exec_lo, s0
	s_and_saveexec_b32 s0, s26
	s_delay_alu instid0(SALU_CYCLE_1)
	s_xor_b32 s0, exec_lo, s0
	s_cbranch_execnz .LBB23_1436
.LBB23_1434:
	s_or_b32 exec_lo, exec_lo, s0
	s_and_saveexec_b32 s0, s3
	s_cbranch_execnz .LBB23_1437
	s_branch .LBB23_1474
.LBB23_1435:
	s_or_b32 exec_lo, exec_lo, s0
	s_and_saveexec_b32 s0, s26
	s_delay_alu instid0(SALU_CYCLE_1)
	s_xor_b32 s0, exec_lo, s0
	s_cbranch_execz .LBB23_1434
.LBB23_1436:
	s_waitcnt vmcnt(0)
	s_delay_alu instid0(VALU_DEP_1) | instskip(NEXT) | instid1(VALU_DEP_1)
	v_and_b32_e32 v3, 0xff, v4
	v_cmp_ne_u16_e32 vcc_lo, 0xff, v3
	v_cndmask_b32_e64 v3, 0, 1, vcc_lo
	global_store_b8 v[0:1], v3, off
	s_or_b32 exec_lo, exec_lo, s0
	s_and_saveexec_b32 s0, s3
	s_cbranch_execz .LBB23_1474
.LBB23_1437:
	s_waitcnt vmcnt(0)
	v_cmp_gt_i16_e32 vcc_lo, 5, v5
	s_mov_b32 s0, -1
	s_cbranch_vccnz .LBB23_1458
; %bb.1438:
	v_cmp_gt_i16_e32 vcc_lo, 8, v5
	s_cbranch_vccnz .LBB23_1448
; %bb.1439:
	v_cmp_gt_i16_e32 vcc_lo, 9, v5
	s_cbranch_vccnz .LBB23_1445
; %bb.1440:
	v_cmp_lt_i16_e32 vcc_lo, 9, v5
	s_cbranch_vccz .LBB23_1442
; %bb.1441:
	v_bfe_i32 v3, v2, 0, 8
	v_mov_b32_e32 v8, 0
	s_mov_b32 s0, 0
	s_delay_alu instid0(VALU_DEP_2) | instskip(NEXT) | instid1(VALU_DEP_2)
	v_bfe_i32 v3, v3, 0, 16
	v_mov_b32_e32 v9, v8
	s_delay_alu instid0(VALU_DEP_2)
	v_cvt_f64_i32_e32 v[6:7], v3
	global_store_b128 v[0:1], v[6:9], off
.LBB23_1442:
	s_and_not1_b32 vcc_lo, exec_lo, s0
	s_cbranch_vccnz .LBB23_1444
; %bb.1443:
	v_bfe_i32 v3, v2, 0, 8
	v_mov_b32_e32 v4, 0
	s_delay_alu instid0(VALU_DEP_2) | instskip(NEXT) | instid1(VALU_DEP_1)
	v_bfe_i32 v3, v3, 0, 16
	v_cvt_f32_i32_e32 v3, v3
	global_store_b64 v[0:1], v[3:4], off
.LBB23_1444:
	s_mov_b32 s0, 0
.LBB23_1445:
	s_delay_alu instid0(SALU_CYCLE_1)
	s_and_not1_b32 vcc_lo, exec_lo, s0
	s_cbranch_vccnz .LBB23_1447
; %bb.1446:
	v_bfe_i32 v3, v2, 0, 8
	s_delay_alu instid0(VALU_DEP_1) | instskip(NEXT) | instid1(VALU_DEP_1)
	v_cvt_f16_i16_e32 v3, v3
	v_and_b32_e32 v3, 0xffff, v3
	global_store_b32 v[0:1], v3, off
.LBB23_1447:
	s_mov_b32 s0, 0
.LBB23_1448:
	s_delay_alu instid0(SALU_CYCLE_1)
	s_and_not1_b32 vcc_lo, exec_lo, s0
	s_cbranch_vccnz .LBB23_1457
; %bb.1449:
	v_cmp_gt_i16_e32 vcc_lo, 6, v5
	s_mov_b32 s0, -1
	s_cbranch_vccnz .LBB23_1455
; %bb.1450:
	v_cmp_lt_i16_e32 vcc_lo, 6, v5
	s_cbranch_vccz .LBB23_1452
; %bb.1451:
	v_bfe_i32 v3, v2, 0, 8
	s_mov_b32 s0, 0
	s_delay_alu instid0(VALU_DEP_1) | instskip(NEXT) | instid1(VALU_DEP_1)
	v_bfe_i32 v3, v3, 0, 16
	v_cvt_f64_i32_e32 v[3:4], v3
	global_store_b64 v[0:1], v[3:4], off
.LBB23_1452:
	s_and_not1_b32 vcc_lo, exec_lo, s0
	s_cbranch_vccnz .LBB23_1454
; %bb.1453:
	v_bfe_i32 v3, v2, 0, 8
	s_delay_alu instid0(VALU_DEP_1) | instskip(NEXT) | instid1(VALU_DEP_1)
	v_bfe_i32 v3, v3, 0, 16
	v_cvt_f32_i32_e32 v3, v3
	global_store_b32 v[0:1], v3, off
.LBB23_1454:
	s_mov_b32 s0, 0
.LBB23_1455:
	s_delay_alu instid0(SALU_CYCLE_1)
	s_and_not1_b32 vcc_lo, exec_lo, s0
	s_cbranch_vccnz .LBB23_1457
; %bb.1456:
	v_bfe_i32 v3, v2, 0, 8
	s_delay_alu instid0(VALU_DEP_1)
	v_cvt_f16_i16_e32 v3, v3
	global_store_b16 v[0:1], v3, off
.LBB23_1457:
	s_mov_b32 s0, 0
.LBB23_1458:
	s_delay_alu instid0(SALU_CYCLE_1)
	s_and_not1_b32 vcc_lo, exec_lo, s0
	s_cbranch_vccnz .LBB23_1474
; %bb.1459:
	v_cmp_gt_i16_e32 vcc_lo, 2, v5
	s_mov_b32 s0, -1
	s_cbranch_vccnz .LBB23_1469
; %bb.1460:
	v_cmp_gt_i16_e32 vcc_lo, 3, v5
	s_cbranch_vccnz .LBB23_1466
; %bb.1461:
	v_cmp_lt_i16_e32 vcc_lo, 3, v5
	s_cbranch_vccz .LBB23_1463
; %bb.1462:
	v_bfe_i32 v3, v2, 0, 8
	s_mov_b32 s0, 0
	s_delay_alu instid0(VALU_DEP_1)
	v_ashrrev_i32_e32 v4, 31, v3
	global_store_b64 v[0:1], v[3:4], off
.LBB23_1463:
	s_and_not1_b32 vcc_lo, exec_lo, s0
	s_cbranch_vccnz .LBB23_1465
; %bb.1464:
	v_bfe_i32 v3, v2, 0, 8
	global_store_b32 v[0:1], v3, off
.LBB23_1465:
	s_mov_b32 s0, 0
.LBB23_1466:
	s_delay_alu instid0(SALU_CYCLE_1)
	s_and_not1_b32 vcc_lo, exec_lo, s0
	s_cbranch_vccnz .LBB23_1468
; %bb.1467:
	v_bfe_i32 v3, v2, 0, 8
	global_store_b16 v[0:1], v3, off
.LBB23_1468:
	s_mov_b32 s0, 0
.LBB23_1469:
	s_delay_alu instid0(SALU_CYCLE_1)
	s_and_not1_b32 vcc_lo, exec_lo, s0
	s_cbranch_vccnz .LBB23_1474
; %bb.1470:
	v_cmp_lt_i16_e32 vcc_lo, 0, v5
	s_mov_b32 s0, -1
	s_cbranch_vccz .LBB23_1472
; %bb.1471:
	s_mov_b32 s0, 0
	global_store_b8 v[0:1], v2, off
.LBB23_1472:
	s_and_not1_b32 vcc_lo, exec_lo, s0
	s_cbranch_vccnz .LBB23_1474
; %bb.1473:
	global_store_b8 v[0:1], v2, off
	s_nop 0
	s_sendmsg sendmsg(MSG_DEALLOC_VGPRS)
	s_endpgm
.LBB23_1474:
	s_nop 0
	s_sendmsg sendmsg(MSG_DEALLOC_VGPRS)
	s_endpgm
.LBB23_1475:
	s_trap 2
	s_sendmsg_rtn_b32 s0, sendmsg(MSG_RTN_GET_DOORBELL)
	s_mov_b32 ttmp2, m0
	s_waitcnt lgkmcnt(0)
	s_and_b32 s0, s0, 0x3ff
	s_delay_alu instid0(SALU_CYCLE_1) | instskip(NEXT) | instid1(SALU_CYCLE_1)
	s_bitset1_b32 s0, 10
	s_mov_b32 m0, s0
	s_sendmsg sendmsg(MSG_INTERRUPT)
	s_mov_b32 m0, ttmp2
.LBB23_1476:                            ; =>This Inner Loop Header: Depth=1
	s_sethalt 5
	s_branch .LBB23_1476
.LBB23_1477:
	s_mov_b32 s2, -1
.LBB23_1478:
                                        ; implicit-def: $vgpr6
.LBB23_1479:
	s_and_b32 vcc_lo, exec_lo, s11
	s_cbranch_vccz .LBB23_1483
; %bb.1480:
	v_cmp_eq_u16_e32 vcc_lo, 44, v13
	s_cbranch_vccz .LBB23_1482
; %bb.1481:
	global_load_u8 v5, v[11:12], off
	s_mov_b32 s2, 0
	s_mov_b32 s10, -1
	s_waitcnt vmcnt(0)
	v_lshlrev_b32_e32 v6, 23, v5
	v_cmp_ne_u32_e32 vcc_lo, 0, v5
	s_delay_alu instid0(VALU_DEP_2) | instskip(NEXT) | instid1(VALU_DEP_1)
	v_cvt_i32_f32_e32 v6, v6
	v_cndmask_b32_e32 v6, 0, v6, vcc_lo
	s_branch .LBB23_1483
.LBB23_1482:
	s_mov_b32 s2, -1
                                        ; implicit-def: $vgpr6
.LBB23_1483:
	s_mov_b32 s11, 0
.LBB23_1484:
	s_delay_alu instid0(SALU_CYCLE_1)
	s_and_b32 vcc_lo, exec_lo, s11
	s_cbranch_vccz .LBB23_1488
; %bb.1485:
	v_cmp_eq_u16_e32 vcc_lo, 29, v13
	s_cbranch_vccz .LBB23_1487
; %bb.1486:
	global_load_b64 v[6:7], v[11:12], off
	s_mov_b32 s2, 0
	s_mov_b32 s10, -1
	s_branch .LBB23_1488
.LBB23_1487:
	s_mov_b32 s2, -1
                                        ; implicit-def: $vgpr6
.LBB23_1488:
	s_mov_b32 s11, 0
.LBB23_1489:
	s_delay_alu instid0(SALU_CYCLE_1)
	s_and_b32 vcc_lo, exec_lo, s11
	s_cbranch_vccz .LBB23_1505
; %bb.1490:
	v_cmp_gt_i16_e32 vcc_lo, 27, v13
	s_cbranch_vccnz .LBB23_1493
; %bb.1491:
	v_cmp_lt_i16_e32 vcc_lo, 27, v13
	s_cbranch_vccz .LBB23_1494
; %bb.1492:
	global_load_b32 v6, v[11:12], off
	s_mov_b32 s10, 0
	s_branch .LBB23_1495
.LBB23_1493:
	s_mov_b32 s10, -1
                                        ; implicit-def: $vgpr6
	s_branch .LBB23_1498
.LBB23_1494:
	s_mov_b32 s10, -1
                                        ; implicit-def: $vgpr6
.LBB23_1495:
	s_delay_alu instid0(SALU_CYCLE_1)
	s_and_not1_b32 vcc_lo, exec_lo, s10
	s_cbranch_vccnz .LBB23_1497
; %bb.1496:
	global_load_u16 v6, v[11:12], off
.LBB23_1497:
	s_mov_b32 s10, 0
.LBB23_1498:
	s_delay_alu instid0(SALU_CYCLE_1)
	s_and_not1_b32 vcc_lo, exec_lo, s10
	s_cbranch_vccnz .LBB23_1504
; %bb.1499:
	global_load_u8 v5, v[11:12], off
	s_mov_b32 s10, 0
	s_mov_b32 s11, exec_lo
                                        ; implicit-def: $sgpr12
	s_waitcnt vmcnt(0)
	v_cmpx_lt_i16_e32 0x7f, v5
	s_xor_b32 s11, exec_lo, s11
	s_cbranch_execz .LBB23_1516
; %bb.1500:
	v_cmp_ne_u16_e32 vcc_lo, 0x80, v5
	s_mov_b32 s12, 0
	s_and_b32 s10, vcc_lo, exec_lo
	s_or_saveexec_b32 s11, s11
	v_mov_b32_e32 v6, s12
	s_xor_b32 exec_lo, exec_lo, s11
	s_cbranch_execnz .LBB23_1517
.LBB23_1501:
	s_or_b32 exec_lo, exec_lo, s11
	s_and_saveexec_b32 s11, s10
	s_cbranch_execz .LBB23_1503
.LBB23_1502:
	v_and_b32_e32 v6, 0xffff, v5
	v_lshlrev_b32_e32 v5, 24, v5
	s_delay_alu instid0(VALU_DEP_2) | instskip(NEXT) | instid1(VALU_DEP_2)
	v_and_b32_e32 v7, 7, v6
	v_and_b32_e32 v5, 0x80000000, v5
	s_delay_alu instid0(VALU_DEP_2) | instskip(NEXT) | instid1(VALU_DEP_1)
	v_clz_i32_u32_e32 v9, v7
	v_min_u32_e32 v9, 32, v9
	s_delay_alu instid0(VALU_DEP_1) | instskip(SKIP_1) | instid1(VALU_DEP_2)
	v_subrev_nc_u32_e32 v14, 28, v9
	v_sub_nc_u32_e32 v9, 29, v9
	v_lshlrev_b32_e32 v14, v14, v6
	v_bfe_u32 v6, v6, 3, 4
	s_delay_alu instid0(VALU_DEP_2) | instskip(NEXT) | instid1(VALU_DEP_2)
	v_and_b32_e32 v14, 7, v14
	v_cmp_eq_u32_e32 vcc_lo, 0, v6
	s_delay_alu instid0(VALU_DEP_2) | instskip(NEXT) | instid1(VALU_DEP_1)
	v_dual_cndmask_b32 v6, v6, v9 :: v_dual_cndmask_b32 v7, v7, v14
	v_lshl_add_u32 v6, v6, 23, 0x3b800000
	s_delay_alu instid0(VALU_DEP_2) | instskip(NEXT) | instid1(VALU_DEP_1)
	v_lshlrev_b32_e32 v7, 20, v7
	v_or3_b32 v5, v5, v6, v7
	s_delay_alu instid0(VALU_DEP_1)
	v_cvt_i32_f32_e32 v6, v5
.LBB23_1503:
	s_or_b32 exec_lo, exec_lo, s11
.LBB23_1504:
	s_mov_b32 s10, -1
.LBB23_1505:
	s_mov_b32 s11, 0
.LBB23_1506:
	s_delay_alu instid0(SALU_CYCLE_1)
	s_and_b32 vcc_lo, exec_lo, s11
	s_cbranch_vccz .LBB23_1537
; %bb.1507:
	v_cmp_lt_i16_e32 vcc_lo, 22, v13
	s_cbranch_vccz .LBB23_1515
; %bb.1508:
	v_cmp_gt_i16_e32 vcc_lo, 24, v13
	s_cbranch_vccnz .LBB23_1518
; %bb.1509:
	v_cmp_lt_i16_e32 vcc_lo, 24, v13
	s_cbranch_vccz .LBB23_1519
; %bb.1510:
	global_load_u8 v5, v[11:12], off
	s_mov_b32 s10, exec_lo
                                        ; implicit-def: $sgpr11
	s_waitcnt vmcnt(0)
	v_cmpx_lt_i16_e32 0x7f, v5
	s_xor_b32 s10, exec_lo, s10
	s_cbranch_execz .LBB23_1531
; %bb.1511:
	v_cmp_ne_u16_e32 vcc_lo, 0x80, v5
	s_mov_b32 s11, 0
	s_and_b32 s3, vcc_lo, exec_lo
	s_or_saveexec_b32 s10, s10
	v_mov_b32_e32 v6, s11
	s_xor_b32 exec_lo, exec_lo, s10
	s_cbranch_execnz .LBB23_1532
.LBB23_1512:
	s_or_b32 exec_lo, exec_lo, s10
	s_and_saveexec_b32 s10, s3
	s_cbranch_execz .LBB23_1514
.LBB23_1513:
	v_and_b32_e32 v6, 0xffff, v5
	v_lshlrev_b32_e32 v5, 24, v5
	s_delay_alu instid0(VALU_DEP_2) | instskip(NEXT) | instid1(VALU_DEP_2)
	v_and_b32_e32 v7, 3, v6
	v_and_b32_e32 v5, 0x80000000, v5
	s_delay_alu instid0(VALU_DEP_2) | instskip(NEXT) | instid1(VALU_DEP_1)
	v_clz_i32_u32_e32 v9, v7
	v_min_u32_e32 v9, 32, v9
	s_delay_alu instid0(VALU_DEP_1) | instskip(SKIP_1) | instid1(VALU_DEP_2)
	v_subrev_nc_u32_e32 v14, 29, v9
	v_sub_nc_u32_e32 v9, 30, v9
	v_lshlrev_b32_e32 v14, v14, v6
	v_bfe_u32 v6, v6, 2, 5
	s_delay_alu instid0(VALU_DEP_2) | instskip(NEXT) | instid1(VALU_DEP_2)
	v_and_b32_e32 v14, 3, v14
	v_cmp_eq_u32_e32 vcc_lo, 0, v6
	s_delay_alu instid0(VALU_DEP_2) | instskip(NEXT) | instid1(VALU_DEP_1)
	v_dual_cndmask_b32 v6, v6, v9 :: v_dual_cndmask_b32 v7, v7, v14
	v_lshl_add_u32 v6, v6, 23, 0x37800000
	s_delay_alu instid0(VALU_DEP_2) | instskip(NEXT) | instid1(VALU_DEP_1)
	v_lshlrev_b32_e32 v7, 21, v7
	v_or3_b32 v5, v5, v6, v7
	s_delay_alu instid0(VALU_DEP_1)
	v_cvt_i32_f32_e32 v6, v5
.LBB23_1514:
	s_or_b32 exec_lo, exec_lo, s10
	s_mov_b32 s3, 0
	s_branch .LBB23_1520
.LBB23_1515:
	s_mov_b32 s3, -1
                                        ; implicit-def: $vgpr6
	s_branch .LBB23_1526
.LBB23_1516:
	s_or_saveexec_b32 s11, s11
	v_mov_b32_e32 v6, s12
	s_xor_b32 exec_lo, exec_lo, s11
	s_cbranch_execz .LBB23_1501
.LBB23_1517:
	v_cmp_ne_u16_e32 vcc_lo, 0, v5
	v_mov_b32_e32 v6, 0
	s_and_not1_b32 s10, s10, exec_lo
	s_and_b32 s12, vcc_lo, exec_lo
	s_delay_alu instid0(SALU_CYCLE_1)
	s_or_b32 s10, s10, s12
	s_or_b32 exec_lo, exec_lo, s11
	s_and_saveexec_b32 s11, s10
	s_cbranch_execnz .LBB23_1502
	s_branch .LBB23_1503
.LBB23_1518:
	s_mov_b32 s3, -1
                                        ; implicit-def: $vgpr6
	s_branch .LBB23_1523
.LBB23_1519:
	s_mov_b32 s3, -1
                                        ; implicit-def: $vgpr6
.LBB23_1520:
	s_delay_alu instid0(SALU_CYCLE_1)
	s_and_b32 vcc_lo, exec_lo, s3
	s_cbranch_vccz .LBB23_1522
; %bb.1521:
	global_load_u8 v5, v[11:12], off
	s_waitcnt vmcnt(0)
	v_lshlrev_b32_e32 v5, 24, v5
	s_delay_alu instid0(VALU_DEP_1) | instskip(NEXT) | instid1(VALU_DEP_1)
	v_and_b32_e32 v6, 0x7f000000, v5
	v_clz_i32_u32_e32 v7, v6
	v_add_nc_u32_e32 v14, 0x1000000, v6
	v_cmp_ne_u32_e32 vcc_lo, 0, v6
	s_delay_alu instid0(VALU_DEP_3) | instskip(NEXT) | instid1(VALU_DEP_1)
	v_min_u32_e32 v7, 32, v7
	v_sub_nc_u32_e64 v7, v7, 4 clamp
	s_delay_alu instid0(VALU_DEP_1) | instskip(SKIP_1) | instid1(VALU_DEP_2)
	v_lshlrev_b32_e32 v9, v7, v6
	v_lshlrev_b32_e32 v7, 23, v7
	v_lshrrev_b32_e32 v9, 4, v9
	s_delay_alu instid0(VALU_DEP_1) | instskip(SKIP_1) | instid1(VALU_DEP_2)
	v_sub_nc_u32_e32 v7, v9, v7
	v_ashrrev_i32_e32 v9, 8, v14
	v_add_nc_u32_e32 v7, 0x3c000000, v7
	s_delay_alu instid0(VALU_DEP_1) | instskip(NEXT) | instid1(VALU_DEP_1)
	v_and_or_b32 v7, 0x7f800000, v9, v7
	v_cndmask_b32_e32 v6, 0, v7, vcc_lo
	s_delay_alu instid0(VALU_DEP_1) | instskip(NEXT) | instid1(VALU_DEP_1)
	v_and_or_b32 v5, 0x80000000, v5, v6
	v_cvt_i32_f32_e32 v6, v5
.LBB23_1522:
	s_mov_b32 s3, 0
.LBB23_1523:
	s_delay_alu instid0(SALU_CYCLE_1)
	s_and_not1_b32 vcc_lo, exec_lo, s3
	s_cbranch_vccnz .LBB23_1525
; %bb.1524:
	global_load_u8 v5, v[11:12], off
	s_waitcnt vmcnt(0)
	v_lshlrev_b32_e32 v6, 25, v5
	v_lshlrev_b16 v5, 8, v5
	s_delay_alu instid0(VALU_DEP_2) | instskip(NEXT) | instid1(VALU_DEP_2)
	v_lshrrev_b32_e32 v7, 4, v6
	v_and_or_b32 v9, 0x7f00, v5, 0.5
	v_bfe_i32 v5, v5, 0, 16
	s_delay_alu instid0(VALU_DEP_3) | instskip(NEXT) | instid1(VALU_DEP_3)
	v_or_b32_e32 v7, 0x70000000, v7
	v_add_f32_e32 v9, -0.5, v9
	s_delay_alu instid0(VALU_DEP_2) | instskip(SKIP_1) | instid1(VALU_DEP_2)
	v_mul_f32_e32 v7, 0x7800000, v7
	v_cmp_gt_u32_e32 vcc_lo, 0x8000000, v6
	v_cndmask_b32_e32 v6, v7, v9, vcc_lo
	s_delay_alu instid0(VALU_DEP_1) | instskip(NEXT) | instid1(VALU_DEP_1)
	v_and_or_b32 v5, 0x80000000, v5, v6
	v_cvt_i32_f32_e32 v6, v5
.LBB23_1525:
	s_mov_b32 s3, 0
	s_mov_b32 s10, -1
.LBB23_1526:
	s_and_not1_b32 vcc_lo, exec_lo, s3
	s_mov_b32 s3, 0
	s_cbranch_vccnz .LBB23_1537
; %bb.1527:
	v_cmp_lt_i16_e32 vcc_lo, 14, v13
	s_cbranch_vccz .LBB23_1530
; %bb.1528:
	v_cmp_eq_u16_e32 vcc_lo, 15, v13
	s_cbranch_vccz .LBB23_1533
; %bb.1529:
	global_load_u16 v5, v[11:12], off
	s_mov_b32 s2, 0
	s_mov_b32 s10, -1
	s_waitcnt vmcnt(0)
	v_lshlrev_b32_e32 v5, 16, v5
	s_delay_alu instid0(VALU_DEP_1)
	v_cvt_i32_f32_e32 v6, v5
	s_branch .LBB23_1535
.LBB23_1530:
	s_mov_b32 s3, -1
	s_branch .LBB23_1534
.LBB23_1531:
	s_or_saveexec_b32 s10, s10
	v_mov_b32_e32 v6, s11
	s_xor_b32 exec_lo, exec_lo, s10
	s_cbranch_execz .LBB23_1512
.LBB23_1532:
	v_cmp_ne_u16_e32 vcc_lo, 0, v5
	v_mov_b32_e32 v6, 0
	s_and_not1_b32 s3, s3, exec_lo
	s_and_b32 s11, vcc_lo, exec_lo
	s_delay_alu instid0(SALU_CYCLE_1)
	s_or_b32 s3, s3, s11
	s_or_b32 exec_lo, exec_lo, s10
	s_and_saveexec_b32 s10, s3
	s_cbranch_execnz .LBB23_1513
	s_branch .LBB23_1514
.LBB23_1533:
	s_mov_b32 s2, -1
.LBB23_1534:
                                        ; implicit-def: $vgpr6
.LBB23_1535:
	s_and_b32 vcc_lo, exec_lo, s3
	s_mov_b32 s3, 0
	s_cbranch_vccz .LBB23_1537
; %bb.1536:
	v_cmp_ne_u16_e64 s2, 11, v13
	s_mov_b32 s3, -1
                                        ; implicit-def: $vgpr6
.LBB23_1537:
	s_delay_alu instid0(VALU_DEP_1)
	s_and_b32 vcc_lo, exec_lo, s2
	s_cbranch_vccnz .LBB23_1553
; %bb.1538:
	s_and_not1_b32 vcc_lo, exec_lo, s3
	s_cbranch_vccnz .LBB23_1540
.LBB23_1539:
	global_load_u8 v5, v[11:12], off
	s_mov_b32 s10, -1
	s_waitcnt vmcnt(0)
	v_cmp_ne_u16_e32 vcc_lo, 0, v5
	v_cndmask_b32_e64 v6, 0, 1, vcc_lo
.LBB23_1540:
.LBB23_1541:
	s_and_not1_b32 vcc_lo, exec_lo, s10
	s_cbranch_vccnz .LBB23_1430
.LBB23_1542:
	v_cmp_gt_i16_e32 vcc_lo, 11, v13
	v_add_co_u32 v11, s2, s6, v4
	s_delay_alu instid0(VALU_DEP_1)
	v_add_co_ci_u32_e64 v12, null, s7, 0, s2
	s_mov_b32 s6, 0
	s_cbranch_vccnz .LBB23_1549
; %bb.1543:
	v_cmp_lt_i16_e32 vcc_lo, 25, v13
	s_mov_b32 s3, 0
	s_cbranch_vccz .LBB23_1550
; %bb.1544:
	v_cmp_lt_i16_e32 vcc_lo, 28, v13
	s_cbranch_vccz .LBB23_1551
; %bb.1545:
	v_cmp_lt_i16_e32 vcc_lo, 43, v13
	;; [unrolled: 3-line block ×3, first 2 shown]
	s_cbranch_vccz .LBB23_1555
; %bb.1547:
	v_cmp_eq_u16_e32 vcc_lo, 46, v13
	s_mov_b32 s7, 0
	s_cbranch_vccz .LBB23_1558
; %bb.1548:
	global_load_b32 v4, v[11:12], off
	s_mov_b32 s2, 0
	s_mov_b32 s6, -1
	s_waitcnt vmcnt(0)
	v_lshlrev_b32_e32 v4, 16, v4
	s_delay_alu instid0(VALU_DEP_1)
	v_cvt_i32_f32_e32 v4, v4
	s_branch .LBB23_1560
.LBB23_1549:
	s_mov_b32 s2, -1
                                        ; implicit-def: $vgpr4
	s_branch .LBB23_1622
.LBB23_1550:
	s_mov_b32 s7, -1
	s_mov_b32 s2, 0
                                        ; implicit-def: $vgpr4
	s_branch .LBB23_1587
.LBB23_1551:
	s_mov_b32 s7, -1
	s_mov_b32 s2, 0
                                        ; implicit-def: $vgpr4
	s_branch .LBB23_1570
.LBB23_1552:
	s_mov_b32 s7, -1
	s_mov_b32 s2, 0
                                        ; implicit-def: $vgpr4
	s_branch .LBB23_1565
.LBB23_1553:
	s_cbranch_execnz .LBB23_1556
; %bb.1554:
	s_or_b32 s1, s1, exec_lo
                                        ; implicit-def: $vgpr6
	s_cbranch_execz .LBB23_1539
	s_branch .LBB23_1540
.LBB23_1555:
	s_mov_b32 s7, -1
	s_mov_b32 s2, 0
	s_branch .LBB23_1559
.LBB23_1556:
	s_trap 2
	s_sendmsg_rtn_b32 s0, sendmsg(MSG_RTN_GET_DOORBELL)
	s_mov_b32 ttmp2, m0
	s_waitcnt lgkmcnt(0)
	s_and_b32 s0, s0, 0x3ff
	s_delay_alu instid0(SALU_CYCLE_1) | instskip(NEXT) | instid1(SALU_CYCLE_1)
	s_bitset1_b32 s0, 10
	s_mov_b32 m0, s0
	s_sendmsg sendmsg(MSG_INTERRUPT)
	s_mov_b32 m0, ttmp2
.LBB23_1557:                            ; =>This Inner Loop Header: Depth=1
	s_sethalt 5
	s_branch .LBB23_1557
.LBB23_1558:
	s_mov_b32 s2, -1
.LBB23_1559:
                                        ; implicit-def: $vgpr4
.LBB23_1560:
	s_and_b32 vcc_lo, exec_lo, s7
	s_cbranch_vccz .LBB23_1564
; %bb.1561:
	v_cmp_eq_u16_e32 vcc_lo, 44, v13
	s_cbranch_vccz .LBB23_1563
; %bb.1562:
	global_load_u8 v4, v[11:12], off
	s_mov_b32 s2, 0
	s_mov_b32 s6, -1
	s_waitcnt vmcnt(0)
	v_lshlrev_b32_e32 v5, 23, v4
	v_cmp_ne_u32_e32 vcc_lo, 0, v4
	s_delay_alu instid0(VALU_DEP_2) | instskip(NEXT) | instid1(VALU_DEP_1)
	v_cvt_i32_f32_e32 v5, v5
	v_cndmask_b32_e32 v4, 0, v5, vcc_lo
	s_branch .LBB23_1564
.LBB23_1563:
	s_mov_b32 s2, -1
                                        ; implicit-def: $vgpr4
.LBB23_1564:
	s_mov_b32 s7, 0
.LBB23_1565:
	s_delay_alu instid0(SALU_CYCLE_1)
	s_and_b32 vcc_lo, exec_lo, s7
	s_cbranch_vccz .LBB23_1569
; %bb.1566:
	v_cmp_eq_u16_e32 vcc_lo, 29, v13
	s_cbranch_vccz .LBB23_1568
; %bb.1567:
	global_load_b64 v[4:5], v[11:12], off
	s_mov_b32 s2, 0
	s_mov_b32 s6, -1
	s_branch .LBB23_1569
.LBB23_1568:
	s_mov_b32 s2, -1
                                        ; implicit-def: $vgpr4
.LBB23_1569:
	s_mov_b32 s7, 0
.LBB23_1570:
	s_delay_alu instid0(SALU_CYCLE_1)
	s_and_b32 vcc_lo, exec_lo, s7
	s_cbranch_vccz .LBB23_1586
; %bb.1571:
	v_cmp_gt_i16_e32 vcc_lo, 27, v13
	s_cbranch_vccnz .LBB23_1574
; %bb.1572:
	v_cmp_lt_i16_e32 vcc_lo, 27, v13
	s_cbranch_vccz .LBB23_1575
; %bb.1573:
	global_load_b32 v4, v[11:12], off
	s_mov_b32 s6, 0
	s_branch .LBB23_1576
.LBB23_1574:
	s_mov_b32 s6, -1
                                        ; implicit-def: $vgpr4
	s_branch .LBB23_1579
.LBB23_1575:
	s_mov_b32 s6, -1
                                        ; implicit-def: $vgpr4
.LBB23_1576:
	s_delay_alu instid0(SALU_CYCLE_1)
	s_and_not1_b32 vcc_lo, exec_lo, s6
	s_cbranch_vccnz .LBB23_1578
; %bb.1577:
	global_load_u16 v4, v[11:12], off
.LBB23_1578:
	s_mov_b32 s6, 0
.LBB23_1579:
	s_delay_alu instid0(SALU_CYCLE_1)
	s_and_not1_b32 vcc_lo, exec_lo, s6
	s_cbranch_vccnz .LBB23_1585
; %bb.1580:
	global_load_u8 v5, v[11:12], off
	s_mov_b32 s6, 0
	s_mov_b32 s7, exec_lo
                                        ; implicit-def: $sgpr10
	s_waitcnt vmcnt(0)
	v_cmpx_lt_i16_e32 0x7f, v5
	s_xor_b32 s7, exec_lo, s7
	s_cbranch_execz .LBB23_1597
; %bb.1581:
	v_cmp_ne_u16_e32 vcc_lo, 0x80, v5
	s_mov_b32 s10, 0
	s_and_b32 s6, vcc_lo, exec_lo
	s_or_saveexec_b32 s7, s7
	v_mov_b32_e32 v4, s10
	s_xor_b32 exec_lo, exec_lo, s7
	s_cbranch_execnz .LBB23_1598
.LBB23_1582:
	s_or_b32 exec_lo, exec_lo, s7
	s_and_saveexec_b32 s7, s6
	s_cbranch_execz .LBB23_1584
.LBB23_1583:
	v_and_b32_e32 v4, 0xffff, v5
	v_lshlrev_b32_e32 v5, 24, v5
	s_delay_alu instid0(VALU_DEP_2) | instskip(NEXT) | instid1(VALU_DEP_2)
	v_and_b32_e32 v7, 7, v4
	v_and_b32_e32 v5, 0x80000000, v5
	s_delay_alu instid0(VALU_DEP_2) | instskip(NEXT) | instid1(VALU_DEP_1)
	v_clz_i32_u32_e32 v9, v7
	v_min_u32_e32 v9, 32, v9
	s_delay_alu instid0(VALU_DEP_1) | instskip(SKIP_1) | instid1(VALU_DEP_2)
	v_subrev_nc_u32_e32 v14, 28, v9
	v_sub_nc_u32_e32 v9, 29, v9
	v_lshlrev_b32_e32 v14, v14, v4
	v_bfe_u32 v4, v4, 3, 4
	s_delay_alu instid0(VALU_DEP_2) | instskip(NEXT) | instid1(VALU_DEP_2)
	v_and_b32_e32 v14, 7, v14
	v_cmp_eq_u32_e32 vcc_lo, 0, v4
	s_delay_alu instid0(VALU_DEP_2) | instskip(NEXT) | instid1(VALU_DEP_1)
	v_dual_cndmask_b32 v4, v4, v9 :: v_dual_cndmask_b32 v7, v7, v14
	v_lshl_add_u32 v4, v4, 23, 0x3b800000
	s_delay_alu instid0(VALU_DEP_2) | instskip(NEXT) | instid1(VALU_DEP_1)
	v_lshlrev_b32_e32 v7, 20, v7
	v_or3_b32 v4, v5, v4, v7
	s_delay_alu instid0(VALU_DEP_1)
	v_cvt_i32_f32_e32 v4, v4
.LBB23_1584:
	s_or_b32 exec_lo, exec_lo, s7
.LBB23_1585:
	s_mov_b32 s6, -1
.LBB23_1586:
	s_mov_b32 s7, 0
.LBB23_1587:
	s_delay_alu instid0(SALU_CYCLE_1)
	s_and_b32 vcc_lo, exec_lo, s7
	s_cbranch_vccz .LBB23_1618
; %bb.1588:
	v_cmp_lt_i16_e32 vcc_lo, 22, v13
	s_cbranch_vccz .LBB23_1596
; %bb.1589:
	v_cmp_gt_i16_e32 vcc_lo, 24, v13
	s_cbranch_vccnz .LBB23_1599
; %bb.1590:
	v_cmp_lt_i16_e32 vcc_lo, 24, v13
	s_cbranch_vccz .LBB23_1600
; %bb.1591:
	global_load_u8 v5, v[11:12], off
	s_mov_b32 s6, exec_lo
                                        ; implicit-def: $sgpr7
	s_waitcnt vmcnt(0)
	v_cmpx_lt_i16_e32 0x7f, v5
	s_xor_b32 s6, exec_lo, s6
	s_cbranch_execz .LBB23_1612
; %bb.1592:
	v_cmp_ne_u16_e32 vcc_lo, 0x80, v5
	s_mov_b32 s7, 0
	s_and_b32 s3, vcc_lo, exec_lo
	s_or_saveexec_b32 s6, s6
	v_mov_b32_e32 v4, s7
	s_xor_b32 exec_lo, exec_lo, s6
	s_cbranch_execnz .LBB23_1613
.LBB23_1593:
	s_or_b32 exec_lo, exec_lo, s6
	s_and_saveexec_b32 s6, s3
	s_cbranch_execz .LBB23_1595
.LBB23_1594:
	v_and_b32_e32 v4, 0xffff, v5
	v_lshlrev_b32_e32 v5, 24, v5
	s_delay_alu instid0(VALU_DEP_2) | instskip(NEXT) | instid1(VALU_DEP_2)
	v_and_b32_e32 v7, 3, v4
	v_and_b32_e32 v5, 0x80000000, v5
	s_delay_alu instid0(VALU_DEP_2) | instskip(NEXT) | instid1(VALU_DEP_1)
	v_clz_i32_u32_e32 v9, v7
	v_min_u32_e32 v9, 32, v9
	s_delay_alu instid0(VALU_DEP_1) | instskip(SKIP_1) | instid1(VALU_DEP_2)
	v_subrev_nc_u32_e32 v14, 29, v9
	v_sub_nc_u32_e32 v9, 30, v9
	v_lshlrev_b32_e32 v14, v14, v4
	v_bfe_u32 v4, v4, 2, 5
	s_delay_alu instid0(VALU_DEP_2) | instskip(NEXT) | instid1(VALU_DEP_2)
	v_and_b32_e32 v14, 3, v14
	v_cmp_eq_u32_e32 vcc_lo, 0, v4
	s_delay_alu instid0(VALU_DEP_2) | instskip(NEXT) | instid1(VALU_DEP_1)
	v_dual_cndmask_b32 v4, v4, v9 :: v_dual_cndmask_b32 v7, v7, v14
	v_lshl_add_u32 v4, v4, 23, 0x37800000
	s_delay_alu instid0(VALU_DEP_2) | instskip(NEXT) | instid1(VALU_DEP_1)
	v_lshlrev_b32_e32 v7, 21, v7
	v_or3_b32 v4, v5, v4, v7
	s_delay_alu instid0(VALU_DEP_1)
	v_cvt_i32_f32_e32 v4, v4
.LBB23_1595:
	s_or_b32 exec_lo, exec_lo, s6
	s_mov_b32 s3, 0
	s_branch .LBB23_1601
.LBB23_1596:
	s_mov_b32 s3, -1
                                        ; implicit-def: $vgpr4
	s_branch .LBB23_1607
.LBB23_1597:
	s_or_saveexec_b32 s7, s7
	v_mov_b32_e32 v4, s10
	s_xor_b32 exec_lo, exec_lo, s7
	s_cbranch_execz .LBB23_1582
.LBB23_1598:
	v_cmp_ne_u16_e32 vcc_lo, 0, v5
	v_mov_b32_e32 v4, 0
	s_and_not1_b32 s6, s6, exec_lo
	s_and_b32 s10, vcc_lo, exec_lo
	s_delay_alu instid0(SALU_CYCLE_1)
	s_or_b32 s6, s6, s10
	s_or_b32 exec_lo, exec_lo, s7
	s_and_saveexec_b32 s7, s6
	s_cbranch_execnz .LBB23_1583
	s_branch .LBB23_1584
.LBB23_1599:
	s_mov_b32 s3, -1
                                        ; implicit-def: $vgpr4
	s_branch .LBB23_1604
.LBB23_1600:
	s_mov_b32 s3, -1
                                        ; implicit-def: $vgpr4
.LBB23_1601:
	s_delay_alu instid0(SALU_CYCLE_1)
	s_and_b32 vcc_lo, exec_lo, s3
	s_cbranch_vccz .LBB23_1603
; %bb.1602:
	global_load_u8 v4, v[11:12], off
	s_waitcnt vmcnt(0)
	v_lshlrev_b32_e32 v4, 24, v4
	s_delay_alu instid0(VALU_DEP_1) | instskip(NEXT) | instid1(VALU_DEP_1)
	v_and_b32_e32 v5, 0x7f000000, v4
	v_clz_i32_u32_e32 v7, v5
	v_add_nc_u32_e32 v14, 0x1000000, v5
	v_cmp_ne_u32_e32 vcc_lo, 0, v5
	s_delay_alu instid0(VALU_DEP_3) | instskip(NEXT) | instid1(VALU_DEP_1)
	v_min_u32_e32 v7, 32, v7
	v_sub_nc_u32_e64 v7, v7, 4 clamp
	s_delay_alu instid0(VALU_DEP_1) | instskip(SKIP_1) | instid1(VALU_DEP_2)
	v_lshlrev_b32_e32 v9, v7, v5
	v_lshlrev_b32_e32 v7, 23, v7
	v_lshrrev_b32_e32 v9, 4, v9
	s_delay_alu instid0(VALU_DEP_1) | instskip(SKIP_1) | instid1(VALU_DEP_2)
	v_sub_nc_u32_e32 v7, v9, v7
	v_ashrrev_i32_e32 v9, 8, v14
	v_add_nc_u32_e32 v7, 0x3c000000, v7
	s_delay_alu instid0(VALU_DEP_1) | instskip(NEXT) | instid1(VALU_DEP_1)
	v_and_or_b32 v7, 0x7f800000, v9, v7
	v_cndmask_b32_e32 v5, 0, v7, vcc_lo
	s_delay_alu instid0(VALU_DEP_1) | instskip(NEXT) | instid1(VALU_DEP_1)
	v_and_or_b32 v4, 0x80000000, v4, v5
	v_cvt_i32_f32_e32 v4, v4
.LBB23_1603:
	s_mov_b32 s3, 0
.LBB23_1604:
	s_delay_alu instid0(SALU_CYCLE_1)
	s_and_not1_b32 vcc_lo, exec_lo, s3
	s_cbranch_vccnz .LBB23_1606
; %bb.1605:
	global_load_u8 v4, v[11:12], off
	s_waitcnt vmcnt(0)
	v_lshlrev_b32_e32 v5, 25, v4
	v_lshlrev_b16 v4, 8, v4
	s_delay_alu instid0(VALU_DEP_2) | instskip(NEXT) | instid1(VALU_DEP_2)
	v_lshrrev_b32_e32 v7, 4, v5
	v_and_or_b32 v9, 0x7f00, v4, 0.5
	v_cmp_gt_u32_e32 vcc_lo, 0x8000000, v5
	v_bfe_i32 v4, v4, 0, 16
	s_delay_alu instid0(VALU_DEP_4) | instskip(NEXT) | instid1(VALU_DEP_4)
	v_or_b32_e32 v7, 0x70000000, v7
	v_add_f32_e32 v9, -0.5, v9
	s_delay_alu instid0(VALU_DEP_2) | instskip(NEXT) | instid1(VALU_DEP_1)
	v_mul_f32_e32 v7, 0x7800000, v7
	v_cndmask_b32_e32 v5, v7, v9, vcc_lo
	s_delay_alu instid0(VALU_DEP_1) | instskip(NEXT) | instid1(VALU_DEP_1)
	v_and_or_b32 v4, 0x80000000, v4, v5
	v_cvt_i32_f32_e32 v4, v4
.LBB23_1606:
	s_mov_b32 s3, 0
	s_mov_b32 s6, -1
.LBB23_1607:
	s_and_not1_b32 vcc_lo, exec_lo, s3
	s_mov_b32 s3, 0
	s_cbranch_vccnz .LBB23_1618
; %bb.1608:
	v_cmp_lt_i16_e32 vcc_lo, 14, v13
	s_cbranch_vccz .LBB23_1611
; %bb.1609:
	v_cmp_eq_u16_e32 vcc_lo, 15, v13
	s_cbranch_vccz .LBB23_1614
; %bb.1610:
	global_load_u16 v4, v[11:12], off
	s_mov_b32 s2, 0
	s_mov_b32 s6, -1
	s_waitcnt vmcnt(0)
	v_lshlrev_b32_e32 v4, 16, v4
	s_delay_alu instid0(VALU_DEP_1)
	v_cvt_i32_f32_e32 v4, v4
	s_branch .LBB23_1616
.LBB23_1611:
	s_mov_b32 s3, -1
	s_branch .LBB23_1615
.LBB23_1612:
	s_or_saveexec_b32 s6, s6
	v_mov_b32_e32 v4, s7
	s_xor_b32 exec_lo, exec_lo, s6
	s_cbranch_execz .LBB23_1593
.LBB23_1613:
	v_cmp_ne_u16_e32 vcc_lo, 0, v5
	v_mov_b32_e32 v4, 0
	s_and_not1_b32 s3, s3, exec_lo
	s_and_b32 s7, vcc_lo, exec_lo
	s_delay_alu instid0(SALU_CYCLE_1)
	s_or_b32 s3, s3, s7
	s_or_b32 exec_lo, exec_lo, s6
	s_and_saveexec_b32 s6, s3
	s_cbranch_execnz .LBB23_1594
	s_branch .LBB23_1595
.LBB23_1614:
	s_mov_b32 s2, -1
.LBB23_1615:
                                        ; implicit-def: $vgpr4
.LBB23_1616:
	s_and_b32 vcc_lo, exec_lo, s3
	s_mov_b32 s3, 0
	s_cbranch_vccz .LBB23_1618
; %bb.1617:
	v_cmp_ne_u16_e64 s2, 11, v13
	s_mov_b32 s3, -1
                                        ; implicit-def: $vgpr4
.LBB23_1618:
	s_delay_alu instid0(VALU_DEP_1)
	s_and_b32 vcc_lo, exec_lo, s2
	s_cbranch_vccnz .LBB23_2103
; %bb.1619:
	s_and_not1_b32 vcc_lo, exec_lo, s3
	s_cbranch_vccnz .LBB23_1621
.LBB23_1620:
	global_load_u8 v4, v[11:12], off
	s_mov_b32 s6, -1
	s_waitcnt vmcnt(0)
	v_cmp_ne_u16_e32 vcc_lo, 0, v4
	v_cndmask_b32_e64 v4, 0, 1, vcc_lo
.LBB23_1621:
	s_mov_b32 s2, 0
.LBB23_1622:
	s_delay_alu instid0(SALU_CYCLE_1)
	s_and_b32 vcc_lo, exec_lo, s2
	s_cbranch_vccz .LBB23_1671
; %bb.1623:
	v_cmp_gt_i16_e32 vcc_lo, 5, v13
	s_cbranch_vccnz .LBB23_1628
; %bb.1624:
	v_cmp_gt_i16_e32 vcc_lo, 8, v13
	s_cbranch_vccnz .LBB23_1629
	;; [unrolled: 3-line block ×3, first 2 shown]
; %bb.1626:
	v_cmp_lt_i16_e32 vcc_lo, 9, v13
	s_cbranch_vccz .LBB23_1631
; %bb.1627:
	global_load_b64 v[4:5], v[11:12], off
	s_mov_b32 s2, 0
	s_waitcnt vmcnt(0)
	v_cvt_i32_f64_e32 v4, v[4:5]
	s_branch .LBB23_1632
.LBB23_1628:
	s_mov_b32 s2, -1
                                        ; implicit-def: $vgpr4
	s_branch .LBB23_1650
.LBB23_1629:
	s_mov_b32 s2, -1
                                        ; implicit-def: $vgpr4
	s_branch .LBB23_1638
.LBB23_1630:
	s_mov_b32 s2, -1
                                        ; implicit-def: $vgpr4
	s_branch .LBB23_1635
.LBB23_1631:
	s_mov_b32 s2, -1
                                        ; implicit-def: $vgpr4
.LBB23_1632:
	s_delay_alu instid0(SALU_CYCLE_1)
	s_and_not1_b32 vcc_lo, exec_lo, s2
	s_cbranch_vccnz .LBB23_1634
; %bb.1633:
	global_load_b32 v4, v[11:12], off
	s_waitcnt vmcnt(0)
	v_cvt_i32_f32_e32 v4, v4
.LBB23_1634:
	s_mov_b32 s2, 0
.LBB23_1635:
	s_delay_alu instid0(SALU_CYCLE_1)
	s_and_not1_b32 vcc_lo, exec_lo, s2
	s_cbranch_vccnz .LBB23_1637
; %bb.1636:
	global_load_b32 v4, v[11:12], off
	s_waitcnt vmcnt(0)
	v_cvt_i16_f16_e32 v4, v4
.LBB23_1637:
	s_mov_b32 s2, 0
.LBB23_1638:
	s_delay_alu instid0(SALU_CYCLE_1)
	s_and_not1_b32 vcc_lo, exec_lo, s2
	s_cbranch_vccnz .LBB23_1649
; %bb.1639:
	v_cmp_gt_i16_e32 vcc_lo, 6, v13
	s_cbranch_vccnz .LBB23_1642
; %bb.1640:
	v_cmp_lt_i16_e32 vcc_lo, 6, v13
	s_cbranch_vccz .LBB23_1643
; %bb.1641:
	global_load_b64 v[4:5], v[11:12], off
	s_mov_b32 s2, 0
	s_waitcnt vmcnt(0)
	v_cvt_i32_f64_e32 v4, v[4:5]
	s_branch .LBB23_1644
.LBB23_1642:
	s_mov_b32 s2, -1
                                        ; implicit-def: $vgpr4
	s_branch .LBB23_1647
.LBB23_1643:
	s_mov_b32 s2, -1
                                        ; implicit-def: $vgpr4
.LBB23_1644:
	s_delay_alu instid0(SALU_CYCLE_1)
	s_and_not1_b32 vcc_lo, exec_lo, s2
	s_cbranch_vccnz .LBB23_1646
; %bb.1645:
	global_load_b32 v4, v[11:12], off
	s_waitcnt vmcnt(0)
	v_cvt_i32_f32_e32 v4, v4
.LBB23_1646:
	s_mov_b32 s2, 0
.LBB23_1647:
	s_delay_alu instid0(SALU_CYCLE_1)
	s_and_not1_b32 vcc_lo, exec_lo, s2
	s_cbranch_vccnz .LBB23_1649
; %bb.1648:
	global_load_u16 v4, v[11:12], off
	s_waitcnt vmcnt(0)
	v_cvt_i16_f16_e32 v4, v4
.LBB23_1649:
	s_mov_b32 s2, 0
.LBB23_1650:
	s_delay_alu instid0(SALU_CYCLE_1)
	s_and_not1_b32 vcc_lo, exec_lo, s2
	s_cbranch_vccnz .LBB23_1670
; %bb.1651:
	v_cmp_gt_i16_e32 vcc_lo, 2, v13
	s_cbranch_vccnz .LBB23_1655
; %bb.1652:
	v_cmp_gt_i16_e32 vcc_lo, 3, v13
	s_cbranch_vccnz .LBB23_1656
; %bb.1653:
	v_cmp_lt_i16_e32 vcc_lo, 3, v13
	s_cbranch_vccz .LBB23_1657
; %bb.1654:
	global_load_b64 v[4:5], v[11:12], off
	s_mov_b32 s2, 0
	s_branch .LBB23_1658
.LBB23_1655:
	s_mov_b32 s2, -1
                                        ; implicit-def: $vgpr4
	s_branch .LBB23_1664
.LBB23_1656:
	s_mov_b32 s2, -1
                                        ; implicit-def: $vgpr4
	s_branch .LBB23_1661
.LBB23_1657:
	s_mov_b32 s2, -1
                                        ; implicit-def: $vgpr4
.LBB23_1658:
	s_delay_alu instid0(SALU_CYCLE_1)
	s_and_not1_b32 vcc_lo, exec_lo, s2
	s_cbranch_vccnz .LBB23_1660
; %bb.1659:
	global_load_b32 v4, v[11:12], off
.LBB23_1660:
	s_mov_b32 s2, 0
.LBB23_1661:
	s_delay_alu instid0(SALU_CYCLE_1)
	s_and_not1_b32 vcc_lo, exec_lo, s2
	s_cbranch_vccnz .LBB23_1663
; %bb.1662:
	global_load_u16 v4, v[11:12], off
.LBB23_1663:
	s_mov_b32 s2, 0
.LBB23_1664:
	s_delay_alu instid0(SALU_CYCLE_1)
	s_and_not1_b32 vcc_lo, exec_lo, s2
	s_cbranch_vccnz .LBB23_1670
; %bb.1665:
	v_cmp_lt_i16_e32 vcc_lo, 0, v13
	s_mov_b32 s2, 0
	s_cbranch_vccz .LBB23_1667
; %bb.1666:
	global_load_u8 v4, v[11:12], off
	s_branch .LBB23_1668
.LBB23_1667:
	s_mov_b32 s2, -1
                                        ; implicit-def: $vgpr4
.LBB23_1668:
	s_delay_alu instid0(SALU_CYCLE_1)
	s_and_not1_b32 vcc_lo, exec_lo, s2
	s_cbranch_vccnz .LBB23_1670
; %bb.1669:
	global_load_u8 v4, v[11:12], off
.LBB23_1670:
	s_mov_b32 s6, -1
.LBB23_1671:
	s_delay_alu instid0(SALU_CYCLE_1)
	s_and_not1_b32 vcc_lo, exec_lo, s6
	s_cbranch_vccnz .LBB23_2102
; %bb.1672:
	s_lshr_b32 s0, s0, 8
	v_add_co_u32 v11, s2, s4, v3
	s_waitcnt vmcnt(0)
	v_and_b32_e64 v5, 0xff, s0
	v_xor_b32_e32 v7, -1, v10
	v_add_co_ci_u32_e64 v12, null, s5, 0, s2
	s_mov_b32 s0, -1
	s_delay_alu instid0(VALU_DEP_3)
	v_cmp_gt_i16_e32 vcc_lo, 11, v5
	s_mov_b32 s3, 0
	s_cbranch_vccnz .LBB23_1750
; %bb.1673:
	v_cmp_lt_i16_e32 vcc_lo, 25, v5
	s_mov_b32 s6, -1
	s_mov_b32 s2, 0
	s_mov_b32 s0, 0
	s_cbranch_vccz .LBB23_1706
; %bb.1674:
	v_cmp_lt_i16_e32 vcc_lo, 28, v5
	s_cbranch_vccz .LBB23_1689
; %bb.1675:
	v_cmp_lt_i16_e32 vcc_lo, 43, v5
	;; [unrolled: 3-line block ×3, first 2 shown]
	s_cbranch_vccz .LBB23_1679
; %bb.1677:
	v_cmp_eq_u16_e32 vcc_lo, 46, v5
	s_mov_b32 s0, -1
	s_mov_b32 s6, 0
	s_cbranch_vccz .LBB23_1679
; %bb.1678:
	v_bfe_i32 v3, v7, 0, 8
	s_mov_b32 s0, 0
	s_mov_b32 s3, -1
	s_delay_alu instid0(VALU_DEP_1) | instskip(NEXT) | instid1(VALU_DEP_1)
	v_bfe_i32 v3, v3, 0, 16
	v_cvt_f32_i32_e32 v3, v3
	s_delay_alu instid0(VALU_DEP_1) | instskip(NEXT) | instid1(VALU_DEP_1)
	v_bfe_u32 v9, v3, 16, 1
	v_add3_u32 v3, v3, v9, 0x7fff
	s_delay_alu instid0(VALU_DEP_1)
	v_lshrrev_b32_e32 v3, 16, v3
	global_store_b32 v[11:12], v3, off
.LBB23_1679:
	s_and_b32 vcc_lo, exec_lo, s6
	s_cbranch_vccz .LBB23_1684
; %bb.1680:
	v_cmp_eq_u16_e32 vcc_lo, 44, v5
	s_mov_b32 s0, -1
	s_cbranch_vccz .LBB23_1684
; %bb.1681:
	v_bfe_i32 v3, v7, 0, 8
	v_mov_b32_e32 v9, 0xff
	s_mov_b32 s3, exec_lo
	s_delay_alu instid0(VALU_DEP_2) | instskip(NEXT) | instid1(VALU_DEP_1)
	v_bfe_i32 v3, v3, 0, 16
	v_cvt_f32_i32_e32 v3, v3
	s_delay_alu instid0(VALU_DEP_1) | instskip(NEXT) | instid1(VALU_DEP_1)
	v_bfe_u32 v13, v3, 23, 8
	v_cmpx_ne_u32_e32 0xff, v13
; %bb.1682:
	v_and_b32_e32 v9, 0x400000, v3
	v_and_or_b32 v13, 0x3fffff, v3, v13
	v_lshrrev_b32_e32 v3, 23, v3
	s_delay_alu instid0(VALU_DEP_3) | instskip(NEXT) | instid1(VALU_DEP_3)
	v_cmp_ne_u32_e32 vcc_lo, 0, v9
	v_cmp_ne_u32_e64 s0, 0, v13
	s_delay_alu instid0(VALU_DEP_1) | instskip(NEXT) | instid1(SALU_CYCLE_1)
	s_and_b32 s0, vcc_lo, s0
	v_cndmask_b32_e64 v9, 0, 1, s0
	s_delay_alu instid0(VALU_DEP_1)
	v_add_nc_u32_e32 v9, v3, v9
; %bb.1683:
	s_or_b32 exec_lo, exec_lo, s3
	s_mov_b32 s0, 0
	s_mov_b32 s3, -1
	global_store_b8 v[11:12], v9, off
.LBB23_1684:
	s_mov_b32 s6, 0
.LBB23_1685:
	s_delay_alu instid0(SALU_CYCLE_1)
	s_and_b32 vcc_lo, exec_lo, s6
	s_cbranch_vccz .LBB23_1688
; %bb.1686:
	v_cmp_eq_u16_e32 vcc_lo, 29, v5
	s_mov_b32 s0, -1
	s_cbranch_vccz .LBB23_1688
; %bb.1687:
	v_bfe_i32 v13, v7, 0, 8
	s_mov_b32 s0, 0
	s_mov_b32 s3, -1
	s_delay_alu instid0(VALU_DEP_1)
	v_ashrrev_i32_e32 v14, 31, v13
	global_store_b64 v[11:12], v[13:14], off
.LBB23_1688:
	s_mov_b32 s6, 0
.LBB23_1689:
	s_delay_alu instid0(SALU_CYCLE_1)
	s_and_b32 vcc_lo, exec_lo, s6
	s_cbranch_vccz .LBB23_1705
; %bb.1690:
	v_cmp_gt_i16_e32 vcc_lo, 27, v5
	s_mov_b32 s3, -1
	s_cbranch_vccnz .LBB23_1696
; %bb.1691:
	v_cmp_lt_i16_e32 vcc_lo, 27, v5
	s_cbranch_vccz .LBB23_1693
; %bb.1692:
	v_bfe_i32 v3, v7, 0, 8
	s_mov_b32 s3, 0
	global_store_b32 v[11:12], v3, off
.LBB23_1693:
	s_and_not1_b32 vcc_lo, exec_lo, s3
	s_cbranch_vccnz .LBB23_1695
; %bb.1694:
	v_bfe_i32 v3, v7, 0, 8
	global_store_b16 v[11:12], v3, off
.LBB23_1695:
	s_mov_b32 s3, 0
.LBB23_1696:
	s_delay_alu instid0(SALU_CYCLE_1)
	s_and_not1_b32 vcc_lo, exec_lo, s3
	s_cbranch_vccnz .LBB23_1704
; %bb.1697:
	v_bfe_i32 v3, v7, 0, 8
	v_mov_b32_e32 v13, 0x80
	s_mov_b32 s3, exec_lo
	s_delay_alu instid0(VALU_DEP_2) | instskip(NEXT) | instid1(VALU_DEP_1)
	v_bfe_i32 v3, v3, 0, 16
	v_cvt_f32_i32_e32 v3, v3
	s_delay_alu instid0(VALU_DEP_1) | instskip(NEXT) | instid1(VALU_DEP_1)
	v_and_b32_e32 v9, 0x7fffffff, v3
	v_cmpx_gt_u32_e32 0x43800000, v9
	s_cbranch_execz .LBB23_1703
; %bb.1698:
	v_cmp_lt_u32_e32 vcc_lo, 0x3bffffff, v9
	s_mov_b32 s6, 0
                                        ; implicit-def: $vgpr9
	s_and_saveexec_b32 s7, vcc_lo
	s_delay_alu instid0(SALU_CYCLE_1)
	s_xor_b32 s7, exec_lo, s7
	s_cbranch_execz .LBB23_2105
; %bb.1699:
	v_bfe_u32 v9, v3, 20, 1
	s_mov_b32 s6, exec_lo
	s_delay_alu instid0(VALU_DEP_1) | instskip(NEXT) | instid1(VALU_DEP_1)
	v_add3_u32 v9, v3, v9, 0x487ffff
	v_lshrrev_b32_e32 v9, 20, v9
	s_or_saveexec_b32 s7, s7
                                        ; implicit-def: $sgpr10
	s_delay_alu instid0(SALU_CYCLE_1)
	s_xor_b32 exec_lo, exec_lo, s7
	s_cbranch_execnz .LBB23_2106
.LBB23_1700:
	s_or_b32 exec_lo, exec_lo, s7
	v_mov_b32_e32 v13, s10
	s_and_saveexec_b32 s7, s6
.LBB23_1701:
	v_lshrrev_b32_e32 v3, 24, v3
	s_delay_alu instid0(VALU_DEP_1)
	v_and_or_b32 v13, 0x80, v3, v9
.LBB23_1702:
	s_or_b32 exec_lo, exec_lo, s7
.LBB23_1703:
	s_delay_alu instid0(SALU_CYCLE_1)
	s_or_b32 exec_lo, exec_lo, s3
	global_store_b8 v[11:12], v13, off
.LBB23_1704:
	s_mov_b32 s3, -1
.LBB23_1705:
	s_mov_b32 s6, 0
.LBB23_1706:
	s_delay_alu instid0(SALU_CYCLE_1)
	s_and_b32 vcc_lo, exec_lo, s6
	s_cbranch_vccz .LBB23_1746
; %bb.1707:
	v_cmp_lt_i16_e32 vcc_lo, 22, v5
	s_mov_b32 s2, -1
	s_cbranch_vccz .LBB23_1739
; %bb.1708:
	v_cmp_gt_i16_e32 vcc_lo, 24, v5
	s_cbranch_vccnz .LBB23_1728
; %bb.1709:
	v_cmp_lt_i16_e32 vcc_lo, 24, v5
	s_cbranch_vccz .LBB23_1717
; %bb.1710:
	v_bfe_i32 v3, v7, 0, 8
	v_mov_b32_e32 v13, 0x80
	s_mov_b32 s2, exec_lo
	s_delay_alu instid0(VALU_DEP_2) | instskip(NEXT) | instid1(VALU_DEP_1)
	v_bfe_i32 v3, v3, 0, 16
	v_cvt_f32_i32_e32 v3, v3
	s_delay_alu instid0(VALU_DEP_1) | instskip(NEXT) | instid1(VALU_DEP_1)
	v_and_b32_e32 v9, 0x7fffffff, v3
	v_cmpx_gt_u32_e32 0x47800000, v9
	s_cbranch_execz .LBB23_1716
; %bb.1711:
	v_cmp_lt_u32_e32 vcc_lo, 0x37ffffff, v9
	s_mov_b32 s3, 0
                                        ; implicit-def: $vgpr9
	s_and_saveexec_b32 s6, vcc_lo
	s_delay_alu instid0(SALU_CYCLE_1)
	s_xor_b32 s6, exec_lo, s6
	s_cbranch_execz .LBB23_2111
; %bb.1712:
	v_bfe_u32 v9, v3, 21, 1
	s_mov_b32 s3, exec_lo
	s_delay_alu instid0(VALU_DEP_1) | instskip(NEXT) | instid1(VALU_DEP_1)
	v_add3_u32 v9, v3, v9, 0x88fffff
	v_lshrrev_b32_e32 v9, 21, v9
	s_or_saveexec_b32 s6, s6
                                        ; implicit-def: $sgpr7
	s_delay_alu instid0(SALU_CYCLE_1)
	s_xor_b32 exec_lo, exec_lo, s6
	s_cbranch_execnz .LBB23_2112
.LBB23_1713:
	s_or_b32 exec_lo, exec_lo, s6
	v_mov_b32_e32 v13, s7
	s_and_saveexec_b32 s6, s3
.LBB23_1714:
	v_lshrrev_b32_e32 v3, 24, v3
	s_delay_alu instid0(VALU_DEP_1)
	v_and_or_b32 v13, 0x80, v3, v9
.LBB23_1715:
	s_or_b32 exec_lo, exec_lo, s6
.LBB23_1716:
	s_delay_alu instid0(SALU_CYCLE_1)
	s_or_b32 exec_lo, exec_lo, s2
	s_mov_b32 s2, 0
	global_store_b8 v[11:12], v13, off
.LBB23_1717:
	s_and_b32 vcc_lo, exec_lo, s2
	s_cbranch_vccz .LBB23_1727
; %bb.1718:
	v_bfe_i32 v3, v7, 0, 8
	s_mov_b32 s2, exec_lo
                                        ; implicit-def: $vgpr9
	s_delay_alu instid0(VALU_DEP_1) | instskip(NEXT) | instid1(VALU_DEP_1)
	v_bfe_i32 v3, v3, 0, 16
	v_cvt_f32_i32_e32 v3, v3
	s_delay_alu instid0(VALU_DEP_1) | instskip(NEXT) | instid1(VALU_DEP_1)
	v_and_b32_e32 v13, 0x7fffffff, v3
	v_cmpx_gt_u32_e32 0x43f00000, v13
	s_xor_b32 s2, exec_lo, s2
	s_cbranch_execz .LBB23_1724
; %bb.1719:
	s_mov_b32 s3, exec_lo
                                        ; implicit-def: $vgpr9
	v_cmpx_lt_u32_e32 0x3c7fffff, v13
	s_xor_b32 s3, exec_lo, s3
; %bb.1720:
	v_bfe_u32 v9, v3, 20, 1
	s_delay_alu instid0(VALU_DEP_1) | instskip(NEXT) | instid1(VALU_DEP_1)
	v_add3_u32 v9, v3, v9, 0x407ffff
	v_and_b32_e32 v13, 0xff00000, v9
	v_lshrrev_b32_e32 v9, 20, v9
	s_delay_alu instid0(VALU_DEP_2) | instskip(NEXT) | instid1(VALU_DEP_2)
	v_cmp_ne_u32_e32 vcc_lo, 0x7f00000, v13
	v_cndmask_b32_e32 v9, 0x7e, v9, vcc_lo
; %bb.1721:
	s_and_not1_saveexec_b32 s3, s3
; %bb.1722:
	v_add_f32_e64 v9, 0x46800000, |v3|
; %bb.1723:
	s_or_b32 exec_lo, exec_lo, s3
                                        ; implicit-def: $vgpr13
.LBB23_1724:
	s_and_not1_saveexec_b32 s2, s2
; %bb.1725:
	v_mov_b32_e32 v9, 0x7f
	v_cmp_lt_u32_e32 vcc_lo, 0x7f800000, v13
	s_delay_alu instid0(VALU_DEP_2)
	v_cndmask_b32_e32 v9, 0x7e, v9, vcc_lo
; %bb.1726:
	s_or_b32 exec_lo, exec_lo, s2
	v_lshrrev_b32_e32 v3, 24, v3
	s_delay_alu instid0(VALU_DEP_1)
	v_and_or_b32 v3, 0x80, v3, v9
	global_store_b8 v[11:12], v3, off
.LBB23_1727:
	s_mov_b32 s2, 0
.LBB23_1728:
	s_delay_alu instid0(SALU_CYCLE_1)
	s_and_not1_b32 vcc_lo, exec_lo, s2
	s_cbranch_vccnz .LBB23_1738
; %bb.1729:
	v_bfe_i32 v3, v7, 0, 8
	s_mov_b32 s2, exec_lo
                                        ; implicit-def: $vgpr9
	s_delay_alu instid0(VALU_DEP_1) | instskip(NEXT) | instid1(VALU_DEP_1)
	v_bfe_i32 v3, v3, 0, 16
	v_cvt_f32_i32_e32 v3, v3
	s_delay_alu instid0(VALU_DEP_1) | instskip(NEXT) | instid1(VALU_DEP_1)
	v_and_b32_e32 v13, 0x7fffffff, v3
	v_cmpx_gt_u32_e32 0x47800000, v13
	s_xor_b32 s2, exec_lo, s2
	s_cbranch_execz .LBB23_1735
; %bb.1730:
	s_mov_b32 s3, exec_lo
                                        ; implicit-def: $vgpr9
	v_cmpx_lt_u32_e32 0x387fffff, v13
	s_xor_b32 s3, exec_lo, s3
; %bb.1731:
	v_bfe_u32 v9, v3, 21, 1
	s_delay_alu instid0(VALU_DEP_1) | instskip(NEXT) | instid1(VALU_DEP_1)
	v_add3_u32 v9, v3, v9, 0x80fffff
	v_lshrrev_b32_e32 v9, 21, v9
; %bb.1732:
	s_and_not1_saveexec_b32 s3, s3
; %bb.1733:
	v_add_f32_e64 v9, 0x43000000, |v3|
; %bb.1734:
	s_or_b32 exec_lo, exec_lo, s3
                                        ; implicit-def: $vgpr13
.LBB23_1735:
	s_and_not1_saveexec_b32 s2, s2
; %bb.1736:
	v_mov_b32_e32 v9, 0x7f
	v_cmp_lt_u32_e32 vcc_lo, 0x7f800000, v13
	s_delay_alu instid0(VALU_DEP_2)
	v_cndmask_b32_e32 v9, 0x7c, v9, vcc_lo
; %bb.1737:
	s_or_b32 exec_lo, exec_lo, s2
	v_lshrrev_b32_e32 v3, 24, v3
	s_delay_alu instid0(VALU_DEP_1)
	v_and_or_b32 v3, 0x80, v3, v9
	global_store_b8 v[11:12], v3, off
.LBB23_1738:
	s_mov_b32 s2, 0
	s_mov_b32 s3, -1
.LBB23_1739:
	s_and_not1_b32 vcc_lo, exec_lo, s2
	s_mov_b32 s2, 0
	s_cbranch_vccnz .LBB23_1746
; %bb.1740:
	v_cmp_lt_i16_e32 vcc_lo, 14, v5
	s_mov_b32 s2, -1
	s_cbranch_vccz .LBB23_1744
; %bb.1741:
	v_cmp_eq_u16_e32 vcc_lo, 15, v5
	s_mov_b32 s0, -1
	s_cbranch_vccz .LBB23_1743
; %bb.1742:
	v_bfe_i32 v3, v7, 0, 8
	s_mov_b32 s0, 0
	s_mov_b32 s3, -1
	s_delay_alu instid0(VALU_DEP_1) | instskip(NEXT) | instid1(VALU_DEP_1)
	v_bfe_i32 v3, v3, 0, 16
	v_cvt_f32_i32_e32 v3, v3
	s_delay_alu instid0(VALU_DEP_1) | instskip(NEXT) | instid1(VALU_DEP_1)
	v_bfe_u32 v9, v3, 16, 1
	v_add3_u32 v3, v3, v9, 0x7fff
	global_store_d16_hi_b16 v[11:12], v3, off
.LBB23_1743:
	s_mov_b32 s2, 0
.LBB23_1744:
	s_delay_alu instid0(SALU_CYCLE_1)
	s_and_b32 vcc_lo, exec_lo, s2
	s_mov_b32 s2, 0
	s_cbranch_vccz .LBB23_1746
; %bb.1745:
	v_cmp_ne_u16_e64 s0, 11, v5
	s_mov_b32 s2, -1
.LBB23_1746:
	s_delay_alu instid0(VALU_DEP_1)
	s_and_b32 vcc_lo, exec_lo, s0
	s_cbranch_vccnz .LBB23_2109
; %bb.1747:
	s_and_not1_b32 vcc_lo, exec_lo, s2
	s_cbranch_vccnz .LBB23_1749
.LBB23_1748:
	v_and_b32_e32 v3, 0xff, v10
	s_mov_b32 s3, -1
	s_delay_alu instid0(VALU_DEP_1)
	v_cmp_ne_u16_e32 vcc_lo, 0xff, v3
	v_cndmask_b32_e64 v3, 0, 1, vcc_lo
	global_store_b8 v[11:12], v3, off
.LBB23_1749:
	s_mov_b32 s0, 0
.LBB23_1750:
	s_delay_alu instid0(SALU_CYCLE_1)
	s_and_b32 vcc_lo, exec_lo, s0
	s_cbranch_vccz .LBB23_1789
; %bb.1751:
	v_cmp_gt_i16_e32 vcc_lo, 5, v5
	s_mov_b32 s0, -1
	s_cbranch_vccnz .LBB23_1772
; %bb.1752:
	v_cmp_gt_i16_e32 vcc_lo, 8, v5
	s_cbranch_vccnz .LBB23_1762
; %bb.1753:
	v_cmp_gt_i16_e32 vcc_lo, 9, v5
	s_cbranch_vccnz .LBB23_1759
; %bb.1754:
	v_cmp_lt_i16_e32 vcc_lo, 9, v5
	s_cbranch_vccz .LBB23_1756
; %bb.1755:
	v_bfe_i32 v3, v7, 0, 8
	v_mov_b32_e32 v15, 0
	s_mov_b32 s0, 0
	s_delay_alu instid0(VALU_DEP_2) | instskip(NEXT) | instid1(VALU_DEP_2)
	v_bfe_i32 v3, v3, 0, 16
	v_mov_b32_e32 v16, v15
	s_delay_alu instid0(VALU_DEP_2)
	v_cvt_f64_i32_e32 v[13:14], v3
	global_store_b128 v[11:12], v[13:16], off
.LBB23_1756:
	s_and_not1_b32 vcc_lo, exec_lo, s0
	s_cbranch_vccnz .LBB23_1758
; %bb.1757:
	v_bfe_i32 v3, v7, 0, 8
	v_mov_b32_e32 v10, 0
	s_delay_alu instid0(VALU_DEP_2) | instskip(NEXT) | instid1(VALU_DEP_1)
	v_bfe_i32 v3, v3, 0, 16
	v_cvt_f32_i32_e32 v9, v3
	global_store_b64 v[11:12], v[9:10], off
.LBB23_1758:
	s_mov_b32 s0, 0
.LBB23_1759:
	s_delay_alu instid0(SALU_CYCLE_1)
	s_and_not1_b32 vcc_lo, exec_lo, s0
	s_cbranch_vccnz .LBB23_1761
; %bb.1760:
	v_bfe_i32 v3, v7, 0, 8
	s_delay_alu instid0(VALU_DEP_1) | instskip(NEXT) | instid1(VALU_DEP_1)
	v_cvt_f16_i16_e32 v3, v3
	v_and_b32_e32 v3, 0xffff, v3
	global_store_b32 v[11:12], v3, off
.LBB23_1761:
	s_mov_b32 s0, 0
.LBB23_1762:
	s_delay_alu instid0(SALU_CYCLE_1)
	s_and_not1_b32 vcc_lo, exec_lo, s0
	s_cbranch_vccnz .LBB23_1771
; %bb.1763:
	v_cmp_gt_i16_e32 vcc_lo, 6, v5
	s_mov_b32 s0, -1
	s_cbranch_vccnz .LBB23_1769
; %bb.1764:
	v_cmp_lt_i16_e32 vcc_lo, 6, v5
	s_cbranch_vccz .LBB23_1766
; %bb.1765:
	v_bfe_i32 v3, v7, 0, 8
	s_mov_b32 s0, 0
	s_delay_alu instid0(VALU_DEP_1) | instskip(NEXT) | instid1(VALU_DEP_1)
	v_bfe_i32 v3, v3, 0, 16
	v_cvt_f64_i32_e32 v[9:10], v3
	global_store_b64 v[11:12], v[9:10], off
.LBB23_1766:
	s_and_not1_b32 vcc_lo, exec_lo, s0
	s_cbranch_vccnz .LBB23_1768
; %bb.1767:
	v_bfe_i32 v3, v7, 0, 8
	s_delay_alu instid0(VALU_DEP_1) | instskip(NEXT) | instid1(VALU_DEP_1)
	v_bfe_i32 v3, v3, 0, 16
	v_cvt_f32_i32_e32 v3, v3
	global_store_b32 v[11:12], v3, off
.LBB23_1768:
	s_mov_b32 s0, 0
.LBB23_1769:
	s_delay_alu instid0(SALU_CYCLE_1)
	s_and_not1_b32 vcc_lo, exec_lo, s0
	s_cbranch_vccnz .LBB23_1771
; %bb.1770:
	v_bfe_i32 v3, v7, 0, 8
	s_delay_alu instid0(VALU_DEP_1)
	v_cvt_f16_i16_e32 v3, v3
	global_store_b16 v[11:12], v3, off
.LBB23_1771:
	s_mov_b32 s0, 0
.LBB23_1772:
	s_delay_alu instid0(SALU_CYCLE_1)
	s_and_not1_b32 vcc_lo, exec_lo, s0
	s_cbranch_vccnz .LBB23_1788
; %bb.1773:
	v_cmp_gt_i16_e32 vcc_lo, 2, v5
	s_mov_b32 s0, -1
	s_cbranch_vccnz .LBB23_1783
; %bb.1774:
	v_cmp_gt_i16_e32 vcc_lo, 3, v5
	s_cbranch_vccnz .LBB23_1780
; %bb.1775:
	v_cmp_lt_i16_e32 vcc_lo, 3, v5
	s_cbranch_vccz .LBB23_1777
; %bb.1776:
	v_bfe_i32 v9, v7, 0, 8
	s_mov_b32 s0, 0
	s_delay_alu instid0(VALU_DEP_1)
	v_ashrrev_i32_e32 v10, 31, v9
	global_store_b64 v[11:12], v[9:10], off
.LBB23_1777:
	s_and_not1_b32 vcc_lo, exec_lo, s0
	s_cbranch_vccnz .LBB23_1779
; %bb.1778:
	v_bfe_i32 v3, v7, 0, 8
	global_store_b32 v[11:12], v3, off
.LBB23_1779:
	s_mov_b32 s0, 0
.LBB23_1780:
	s_delay_alu instid0(SALU_CYCLE_1)
	s_and_not1_b32 vcc_lo, exec_lo, s0
	s_cbranch_vccnz .LBB23_1782
; %bb.1781:
	v_bfe_i32 v3, v7, 0, 8
	global_store_b16 v[11:12], v3, off
.LBB23_1782:
	s_mov_b32 s0, 0
.LBB23_1783:
	s_delay_alu instid0(SALU_CYCLE_1)
	s_and_not1_b32 vcc_lo, exec_lo, s0
	s_cbranch_vccnz .LBB23_1788
; %bb.1784:
	v_cmp_lt_i16_e32 vcc_lo, 0, v5
	s_mov_b32 s0, -1
	s_cbranch_vccz .LBB23_1786
; %bb.1785:
	s_mov_b32 s0, 0
	global_store_b8 v[11:12], v7, off
.LBB23_1786:
	s_and_not1_b32 vcc_lo, exec_lo, s0
	s_cbranch_vccnz .LBB23_1788
; %bb.1787:
	global_store_b8 v[11:12], v7, off
.LBB23_1788:
	s_mov_b32 s3, -1
.LBB23_1789:
	s_delay_alu instid0(SALU_CYCLE_1)
	s_and_not1_b32 vcc_lo, exec_lo, s3
	s_cbranch_vccnz .LBB23_2102
; %bb.1790:
	v_cmp_gt_i16_e32 vcc_lo, 11, v5
	v_add_co_u32 v2, s2, s4, v2
	v_xor_b32_e32 v7, -1, v8
	v_add_co_ci_u32_e64 v3, null, s5, 0, s2
	s_mov_b32 s0, -1
	s_mov_b32 s3, 0
	s_cbranch_vccnz .LBB23_1868
; %bb.1791:
	v_cmp_lt_i16_e32 vcc_lo, 25, v5
	s_mov_b32 s6, -1
	s_mov_b32 s2, 0
	s_mov_b32 s0, 0
	s_cbranch_vccz .LBB23_1824
; %bb.1792:
	v_cmp_lt_i16_e32 vcc_lo, 28, v5
	s_cbranch_vccz .LBB23_1807
; %bb.1793:
	v_cmp_lt_i16_e32 vcc_lo, 43, v5
	;; [unrolled: 3-line block ×3, first 2 shown]
	s_cbranch_vccz .LBB23_1797
; %bb.1795:
	v_cmp_eq_u16_e32 vcc_lo, 46, v5
	s_mov_b32 s0, -1
	s_mov_b32 s6, 0
	s_cbranch_vccz .LBB23_1797
; %bb.1796:
	v_bfe_i32 v9, v7, 0, 8
	s_mov_b32 s0, 0
	s_mov_b32 s3, -1
	s_delay_alu instid0(VALU_DEP_1) | instskip(NEXT) | instid1(VALU_DEP_1)
	v_bfe_i32 v9, v9, 0, 16
	v_cvt_f32_i32_e32 v9, v9
	s_delay_alu instid0(VALU_DEP_1) | instskip(NEXT) | instid1(VALU_DEP_1)
	v_bfe_u32 v10, v9, 16, 1
	v_add3_u32 v9, v9, v10, 0x7fff
	s_delay_alu instid0(VALU_DEP_1)
	v_lshrrev_b32_e32 v9, 16, v9
	global_store_b32 v[2:3], v9, off
.LBB23_1797:
	s_and_b32 vcc_lo, exec_lo, s6
	s_cbranch_vccz .LBB23_1802
; %bb.1798:
	v_cmp_eq_u16_e32 vcc_lo, 44, v5
	s_mov_b32 s0, -1
	s_cbranch_vccz .LBB23_1802
; %bb.1799:
	v_bfe_i32 v9, v7, 0, 8
	v_mov_b32_e32 v10, 0xff
	s_mov_b32 s3, exec_lo
	s_delay_alu instid0(VALU_DEP_2) | instskip(NEXT) | instid1(VALU_DEP_1)
	v_bfe_i32 v9, v9, 0, 16
	v_cvt_f32_i32_e32 v9, v9
	s_delay_alu instid0(VALU_DEP_1) | instskip(NEXT) | instid1(VALU_DEP_1)
	v_bfe_u32 v11, v9, 23, 8
	v_cmpx_ne_u32_e32 0xff, v11
; %bb.1800:
	v_and_b32_e32 v10, 0x400000, v9
	v_and_or_b32 v11, 0x3fffff, v9, v11
	v_lshrrev_b32_e32 v9, 23, v9
	s_delay_alu instid0(VALU_DEP_3) | instskip(NEXT) | instid1(VALU_DEP_3)
	v_cmp_ne_u32_e32 vcc_lo, 0, v10
	v_cmp_ne_u32_e64 s0, 0, v11
	s_delay_alu instid0(VALU_DEP_1) | instskip(NEXT) | instid1(SALU_CYCLE_1)
	s_and_b32 s0, vcc_lo, s0
	v_cndmask_b32_e64 v10, 0, 1, s0
	s_delay_alu instid0(VALU_DEP_1)
	v_add_nc_u32_e32 v10, v9, v10
; %bb.1801:
	s_or_b32 exec_lo, exec_lo, s3
	s_mov_b32 s0, 0
	s_mov_b32 s3, -1
	global_store_b8 v[2:3], v10, off
.LBB23_1802:
	s_mov_b32 s6, 0
.LBB23_1803:
	s_delay_alu instid0(SALU_CYCLE_1)
	s_and_b32 vcc_lo, exec_lo, s6
	s_cbranch_vccz .LBB23_1806
; %bb.1804:
	v_cmp_eq_u16_e32 vcc_lo, 29, v5
	s_mov_b32 s0, -1
	s_cbranch_vccz .LBB23_1806
; %bb.1805:
	v_bfe_i32 v9, v7, 0, 8
	s_mov_b32 s0, 0
	s_mov_b32 s3, -1
	s_delay_alu instid0(VALU_DEP_1)
	v_ashrrev_i32_e32 v10, 31, v9
	global_store_b64 v[2:3], v[9:10], off
.LBB23_1806:
	s_mov_b32 s6, 0
.LBB23_1807:
	s_delay_alu instid0(SALU_CYCLE_1)
	s_and_b32 vcc_lo, exec_lo, s6
	s_cbranch_vccz .LBB23_1823
; %bb.1808:
	v_cmp_gt_i16_e32 vcc_lo, 27, v5
	s_mov_b32 s3, -1
	s_cbranch_vccnz .LBB23_1814
; %bb.1809:
	v_cmp_lt_i16_e32 vcc_lo, 27, v5
	s_cbranch_vccz .LBB23_1811
; %bb.1810:
	v_bfe_i32 v9, v7, 0, 8
	s_mov_b32 s3, 0
	global_store_b32 v[2:3], v9, off
.LBB23_1811:
	s_and_not1_b32 vcc_lo, exec_lo, s3
	s_cbranch_vccnz .LBB23_1813
; %bb.1812:
	v_bfe_i32 v9, v7, 0, 8
	global_store_b16 v[2:3], v9, off
.LBB23_1813:
	s_mov_b32 s3, 0
.LBB23_1814:
	s_delay_alu instid0(SALU_CYCLE_1)
	s_and_not1_b32 vcc_lo, exec_lo, s3
	s_cbranch_vccnz .LBB23_1822
; %bb.1815:
	v_bfe_i32 v9, v7, 0, 8
	v_mov_b32_e32 v11, 0x80
	s_mov_b32 s3, exec_lo
	s_delay_alu instid0(VALU_DEP_2) | instskip(NEXT) | instid1(VALU_DEP_1)
	v_bfe_i32 v9, v9, 0, 16
	v_cvt_f32_i32_e32 v9, v9
	s_delay_alu instid0(VALU_DEP_1) | instskip(NEXT) | instid1(VALU_DEP_1)
	v_and_b32_e32 v10, 0x7fffffff, v9
	v_cmpx_gt_u32_e32 0x43800000, v10
	s_cbranch_execz .LBB23_1821
; %bb.1816:
	v_cmp_lt_u32_e32 vcc_lo, 0x3bffffff, v10
	s_mov_b32 s6, 0
                                        ; implicit-def: $vgpr10
	s_and_saveexec_b32 s7, vcc_lo
	s_delay_alu instid0(SALU_CYCLE_1)
	s_xor_b32 s7, exec_lo, s7
	s_cbranch_execz .LBB23_2113
; %bb.1817:
	v_bfe_u32 v10, v9, 20, 1
	s_mov_b32 s6, exec_lo
	s_delay_alu instid0(VALU_DEP_1) | instskip(NEXT) | instid1(VALU_DEP_1)
	v_add3_u32 v10, v9, v10, 0x487ffff
	v_lshrrev_b32_e32 v10, 20, v10
	s_or_saveexec_b32 s7, s7
                                        ; implicit-def: $sgpr10
	s_delay_alu instid0(SALU_CYCLE_1)
	s_xor_b32 exec_lo, exec_lo, s7
	s_cbranch_execnz .LBB23_2114
.LBB23_1818:
	s_or_b32 exec_lo, exec_lo, s7
	v_mov_b32_e32 v11, s10
	s_and_saveexec_b32 s7, s6
.LBB23_1819:
	v_lshrrev_b32_e32 v9, 24, v9
	s_delay_alu instid0(VALU_DEP_1)
	v_and_or_b32 v11, 0x80, v9, v10
.LBB23_1820:
	s_or_b32 exec_lo, exec_lo, s7
.LBB23_1821:
	s_delay_alu instid0(SALU_CYCLE_1)
	s_or_b32 exec_lo, exec_lo, s3
	global_store_b8 v[2:3], v11, off
.LBB23_1822:
	s_mov_b32 s3, -1
.LBB23_1823:
	s_mov_b32 s6, 0
.LBB23_1824:
	s_delay_alu instid0(SALU_CYCLE_1)
	s_and_b32 vcc_lo, exec_lo, s6
	s_cbranch_vccz .LBB23_1864
; %bb.1825:
	v_cmp_lt_i16_e32 vcc_lo, 22, v5
	s_mov_b32 s2, -1
	s_cbranch_vccz .LBB23_1857
; %bb.1826:
	v_cmp_gt_i16_e32 vcc_lo, 24, v5
	s_cbranch_vccnz .LBB23_1846
; %bb.1827:
	v_cmp_lt_i16_e32 vcc_lo, 24, v5
	s_cbranch_vccz .LBB23_1835
; %bb.1828:
	v_bfe_i32 v9, v7, 0, 8
	v_mov_b32_e32 v11, 0x80
	s_mov_b32 s2, exec_lo
	s_delay_alu instid0(VALU_DEP_2) | instskip(NEXT) | instid1(VALU_DEP_1)
	v_bfe_i32 v9, v9, 0, 16
	v_cvt_f32_i32_e32 v9, v9
	s_delay_alu instid0(VALU_DEP_1) | instskip(NEXT) | instid1(VALU_DEP_1)
	v_and_b32_e32 v10, 0x7fffffff, v9
	v_cmpx_gt_u32_e32 0x47800000, v10
	s_cbranch_execz .LBB23_1834
; %bb.1829:
	v_cmp_lt_u32_e32 vcc_lo, 0x37ffffff, v10
	s_mov_b32 s3, 0
                                        ; implicit-def: $vgpr10
	s_and_saveexec_b32 s6, vcc_lo
	s_delay_alu instid0(SALU_CYCLE_1)
	s_xor_b32 s6, exec_lo, s6
	s_cbranch_execz .LBB23_2119
; %bb.1830:
	v_bfe_u32 v10, v9, 21, 1
	s_mov_b32 s3, exec_lo
	s_delay_alu instid0(VALU_DEP_1) | instskip(NEXT) | instid1(VALU_DEP_1)
	v_add3_u32 v10, v9, v10, 0x88fffff
	v_lshrrev_b32_e32 v10, 21, v10
	s_or_saveexec_b32 s6, s6
                                        ; implicit-def: $sgpr7
	s_delay_alu instid0(SALU_CYCLE_1)
	s_xor_b32 exec_lo, exec_lo, s6
	s_cbranch_execnz .LBB23_2120
.LBB23_1831:
	s_or_b32 exec_lo, exec_lo, s6
	v_mov_b32_e32 v11, s7
	s_and_saveexec_b32 s6, s3
.LBB23_1832:
	v_lshrrev_b32_e32 v9, 24, v9
	s_delay_alu instid0(VALU_DEP_1)
	v_and_or_b32 v11, 0x80, v9, v10
.LBB23_1833:
	s_or_b32 exec_lo, exec_lo, s6
.LBB23_1834:
	s_delay_alu instid0(SALU_CYCLE_1)
	s_or_b32 exec_lo, exec_lo, s2
	s_mov_b32 s2, 0
	global_store_b8 v[2:3], v11, off
.LBB23_1835:
	s_and_b32 vcc_lo, exec_lo, s2
	s_cbranch_vccz .LBB23_1845
; %bb.1836:
	v_bfe_i32 v9, v7, 0, 8
	s_mov_b32 s2, exec_lo
                                        ; implicit-def: $vgpr10
	s_delay_alu instid0(VALU_DEP_1) | instskip(NEXT) | instid1(VALU_DEP_1)
	v_bfe_i32 v9, v9, 0, 16
	v_cvt_f32_i32_e32 v9, v9
	s_delay_alu instid0(VALU_DEP_1) | instskip(NEXT) | instid1(VALU_DEP_1)
	v_and_b32_e32 v11, 0x7fffffff, v9
	v_cmpx_gt_u32_e32 0x43f00000, v11
	s_xor_b32 s2, exec_lo, s2
	s_cbranch_execz .LBB23_1842
; %bb.1837:
	s_mov_b32 s3, exec_lo
                                        ; implicit-def: $vgpr10
	v_cmpx_lt_u32_e32 0x3c7fffff, v11
	s_xor_b32 s3, exec_lo, s3
; %bb.1838:
	v_bfe_u32 v10, v9, 20, 1
	s_delay_alu instid0(VALU_DEP_1) | instskip(NEXT) | instid1(VALU_DEP_1)
	v_add3_u32 v10, v9, v10, 0x407ffff
	v_and_b32_e32 v11, 0xff00000, v10
	v_lshrrev_b32_e32 v10, 20, v10
	s_delay_alu instid0(VALU_DEP_2) | instskip(NEXT) | instid1(VALU_DEP_2)
	v_cmp_ne_u32_e32 vcc_lo, 0x7f00000, v11
	v_cndmask_b32_e32 v10, 0x7e, v10, vcc_lo
; %bb.1839:
	s_and_not1_saveexec_b32 s3, s3
; %bb.1840:
	v_add_f32_e64 v10, 0x46800000, |v9|
; %bb.1841:
	s_or_b32 exec_lo, exec_lo, s3
                                        ; implicit-def: $vgpr11
.LBB23_1842:
	s_and_not1_saveexec_b32 s2, s2
; %bb.1843:
	v_mov_b32_e32 v10, 0x7f
	v_cmp_lt_u32_e32 vcc_lo, 0x7f800000, v11
	s_delay_alu instid0(VALU_DEP_2)
	v_cndmask_b32_e32 v10, 0x7e, v10, vcc_lo
; %bb.1844:
	s_or_b32 exec_lo, exec_lo, s2
	v_lshrrev_b32_e32 v9, 24, v9
	s_delay_alu instid0(VALU_DEP_1)
	v_and_or_b32 v9, 0x80, v9, v10
	global_store_b8 v[2:3], v9, off
.LBB23_1845:
	s_mov_b32 s2, 0
.LBB23_1846:
	s_delay_alu instid0(SALU_CYCLE_1)
	s_and_not1_b32 vcc_lo, exec_lo, s2
	s_cbranch_vccnz .LBB23_1856
; %bb.1847:
	v_bfe_i32 v9, v7, 0, 8
	s_mov_b32 s2, exec_lo
                                        ; implicit-def: $vgpr10
	s_delay_alu instid0(VALU_DEP_1) | instskip(NEXT) | instid1(VALU_DEP_1)
	v_bfe_i32 v9, v9, 0, 16
	v_cvt_f32_i32_e32 v9, v9
	s_delay_alu instid0(VALU_DEP_1) | instskip(NEXT) | instid1(VALU_DEP_1)
	v_and_b32_e32 v11, 0x7fffffff, v9
	v_cmpx_gt_u32_e32 0x47800000, v11
	s_xor_b32 s2, exec_lo, s2
	s_cbranch_execz .LBB23_1853
; %bb.1848:
	s_mov_b32 s3, exec_lo
                                        ; implicit-def: $vgpr10
	v_cmpx_lt_u32_e32 0x387fffff, v11
	s_xor_b32 s3, exec_lo, s3
; %bb.1849:
	v_bfe_u32 v10, v9, 21, 1
	s_delay_alu instid0(VALU_DEP_1) | instskip(NEXT) | instid1(VALU_DEP_1)
	v_add3_u32 v10, v9, v10, 0x80fffff
	v_lshrrev_b32_e32 v10, 21, v10
; %bb.1850:
	s_and_not1_saveexec_b32 s3, s3
; %bb.1851:
	v_add_f32_e64 v10, 0x43000000, |v9|
; %bb.1852:
	s_or_b32 exec_lo, exec_lo, s3
                                        ; implicit-def: $vgpr11
.LBB23_1853:
	s_and_not1_saveexec_b32 s2, s2
; %bb.1854:
	v_mov_b32_e32 v10, 0x7f
	v_cmp_lt_u32_e32 vcc_lo, 0x7f800000, v11
	s_delay_alu instid0(VALU_DEP_2)
	v_cndmask_b32_e32 v10, 0x7c, v10, vcc_lo
; %bb.1855:
	s_or_b32 exec_lo, exec_lo, s2
	v_lshrrev_b32_e32 v9, 24, v9
	s_delay_alu instid0(VALU_DEP_1)
	v_and_or_b32 v9, 0x80, v9, v10
	global_store_b8 v[2:3], v9, off
.LBB23_1856:
	s_mov_b32 s2, 0
	s_mov_b32 s3, -1
.LBB23_1857:
	s_and_not1_b32 vcc_lo, exec_lo, s2
	s_mov_b32 s2, 0
	s_cbranch_vccnz .LBB23_1864
; %bb.1858:
	v_cmp_lt_i16_e32 vcc_lo, 14, v5
	s_mov_b32 s2, -1
	s_cbranch_vccz .LBB23_1862
; %bb.1859:
	v_cmp_eq_u16_e32 vcc_lo, 15, v5
	s_mov_b32 s0, -1
	s_cbranch_vccz .LBB23_1861
; %bb.1860:
	v_bfe_i32 v9, v7, 0, 8
	s_mov_b32 s0, 0
	s_mov_b32 s3, -1
	s_delay_alu instid0(VALU_DEP_1) | instskip(NEXT) | instid1(VALU_DEP_1)
	v_bfe_i32 v9, v9, 0, 16
	v_cvt_f32_i32_e32 v9, v9
	s_delay_alu instid0(VALU_DEP_1) | instskip(NEXT) | instid1(VALU_DEP_1)
	v_bfe_u32 v10, v9, 16, 1
	v_add3_u32 v9, v9, v10, 0x7fff
	global_store_d16_hi_b16 v[2:3], v9, off
.LBB23_1861:
	s_mov_b32 s2, 0
.LBB23_1862:
	s_delay_alu instid0(SALU_CYCLE_1)
	s_and_b32 vcc_lo, exec_lo, s2
	s_mov_b32 s2, 0
	s_cbranch_vccz .LBB23_1864
; %bb.1863:
	v_cmp_ne_u16_e64 s0, 11, v5
	s_mov_b32 s2, -1
.LBB23_1864:
	s_delay_alu instid0(VALU_DEP_1)
	s_and_b32 vcc_lo, exec_lo, s0
	s_cbranch_vccnz .LBB23_2117
; %bb.1865:
	s_and_not1_b32 vcc_lo, exec_lo, s2
	s_cbranch_vccnz .LBB23_1867
.LBB23_1866:
	v_and_b32_e32 v8, 0xff, v8
	s_mov_b32 s3, -1
	s_delay_alu instid0(VALU_DEP_1)
	v_cmp_ne_u16_e32 vcc_lo, 0xff, v8
	v_cndmask_b32_e64 v8, 0, 1, vcc_lo
	global_store_b8 v[2:3], v8, off
.LBB23_1867:
	s_mov_b32 s0, 0
.LBB23_1868:
	s_delay_alu instid0(SALU_CYCLE_1)
	s_and_b32 vcc_lo, exec_lo, s0
	s_cbranch_vccz .LBB23_1907
; %bb.1869:
	v_cmp_gt_i16_e32 vcc_lo, 5, v5
	s_mov_b32 s0, -1
	s_cbranch_vccnz .LBB23_1890
; %bb.1870:
	v_cmp_gt_i16_e32 vcc_lo, 8, v5
	s_cbranch_vccnz .LBB23_1880
; %bb.1871:
	v_cmp_gt_i16_e32 vcc_lo, 9, v5
	s_cbranch_vccnz .LBB23_1877
; %bb.1872:
	v_cmp_lt_i16_e32 vcc_lo, 9, v5
	s_cbranch_vccz .LBB23_1874
; %bb.1873:
	v_bfe_i32 v8, v7, 0, 8
	v_mov_b32_e32 v10, 0
	s_mov_b32 s0, 0
	s_delay_alu instid0(VALU_DEP_2) | instskip(NEXT) | instid1(VALU_DEP_2)
	v_bfe_i32 v8, v8, 0, 16
	v_mov_b32_e32 v11, v10
	s_delay_alu instid0(VALU_DEP_2)
	v_cvt_f64_i32_e32 v[8:9], v8
	global_store_b128 v[2:3], v[8:11], off
.LBB23_1874:
	s_and_not1_b32 vcc_lo, exec_lo, s0
	s_cbranch_vccnz .LBB23_1876
; %bb.1875:
	v_bfe_i32 v8, v7, 0, 8
	v_mov_b32_e32 v9, 0
	s_delay_alu instid0(VALU_DEP_2) | instskip(NEXT) | instid1(VALU_DEP_1)
	v_bfe_i32 v8, v8, 0, 16
	v_cvt_f32_i32_e32 v8, v8
	global_store_b64 v[2:3], v[8:9], off
.LBB23_1876:
	s_mov_b32 s0, 0
.LBB23_1877:
	s_delay_alu instid0(SALU_CYCLE_1)
	s_and_not1_b32 vcc_lo, exec_lo, s0
	s_cbranch_vccnz .LBB23_1879
; %bb.1878:
	v_bfe_i32 v8, v7, 0, 8
	s_delay_alu instid0(VALU_DEP_1) | instskip(NEXT) | instid1(VALU_DEP_1)
	v_cvt_f16_i16_e32 v8, v8
	v_and_b32_e32 v8, 0xffff, v8
	global_store_b32 v[2:3], v8, off
.LBB23_1879:
	s_mov_b32 s0, 0
.LBB23_1880:
	s_delay_alu instid0(SALU_CYCLE_1)
	s_and_not1_b32 vcc_lo, exec_lo, s0
	s_cbranch_vccnz .LBB23_1889
; %bb.1881:
	v_cmp_gt_i16_e32 vcc_lo, 6, v5
	s_mov_b32 s0, -1
	s_cbranch_vccnz .LBB23_1887
; %bb.1882:
	v_cmp_lt_i16_e32 vcc_lo, 6, v5
	s_cbranch_vccz .LBB23_1884
; %bb.1883:
	v_bfe_i32 v8, v7, 0, 8
	s_mov_b32 s0, 0
	s_delay_alu instid0(VALU_DEP_1) | instskip(NEXT) | instid1(VALU_DEP_1)
	v_bfe_i32 v8, v8, 0, 16
	v_cvt_f64_i32_e32 v[8:9], v8
	global_store_b64 v[2:3], v[8:9], off
.LBB23_1884:
	s_and_not1_b32 vcc_lo, exec_lo, s0
	s_cbranch_vccnz .LBB23_1886
; %bb.1885:
	v_bfe_i32 v8, v7, 0, 8
	s_delay_alu instid0(VALU_DEP_1) | instskip(NEXT) | instid1(VALU_DEP_1)
	v_bfe_i32 v8, v8, 0, 16
	v_cvt_f32_i32_e32 v8, v8
	global_store_b32 v[2:3], v8, off
.LBB23_1886:
	s_mov_b32 s0, 0
.LBB23_1887:
	s_delay_alu instid0(SALU_CYCLE_1)
	s_and_not1_b32 vcc_lo, exec_lo, s0
	s_cbranch_vccnz .LBB23_1889
; %bb.1888:
	v_bfe_i32 v8, v7, 0, 8
	s_delay_alu instid0(VALU_DEP_1)
	v_cvt_f16_i16_e32 v8, v8
	global_store_b16 v[2:3], v8, off
.LBB23_1889:
	s_mov_b32 s0, 0
.LBB23_1890:
	s_delay_alu instid0(SALU_CYCLE_1)
	s_and_not1_b32 vcc_lo, exec_lo, s0
	s_cbranch_vccnz .LBB23_1906
; %bb.1891:
	v_cmp_gt_i16_e32 vcc_lo, 2, v5
	s_mov_b32 s0, -1
	s_cbranch_vccnz .LBB23_1901
; %bb.1892:
	v_cmp_gt_i16_e32 vcc_lo, 3, v5
	s_cbranch_vccnz .LBB23_1898
; %bb.1893:
	v_cmp_lt_i16_e32 vcc_lo, 3, v5
	s_cbranch_vccz .LBB23_1895
; %bb.1894:
	v_bfe_i32 v8, v7, 0, 8
	s_mov_b32 s0, 0
	s_delay_alu instid0(VALU_DEP_1)
	v_ashrrev_i32_e32 v9, 31, v8
	global_store_b64 v[2:3], v[8:9], off
.LBB23_1895:
	s_and_not1_b32 vcc_lo, exec_lo, s0
	s_cbranch_vccnz .LBB23_1897
; %bb.1896:
	v_bfe_i32 v8, v7, 0, 8
	global_store_b32 v[2:3], v8, off
.LBB23_1897:
	s_mov_b32 s0, 0
.LBB23_1898:
	s_delay_alu instid0(SALU_CYCLE_1)
	s_and_not1_b32 vcc_lo, exec_lo, s0
	s_cbranch_vccnz .LBB23_1900
; %bb.1899:
	v_bfe_i32 v8, v7, 0, 8
	global_store_b16 v[2:3], v8, off
.LBB23_1900:
	s_mov_b32 s0, 0
.LBB23_1901:
	s_delay_alu instid0(SALU_CYCLE_1)
	s_and_not1_b32 vcc_lo, exec_lo, s0
	s_cbranch_vccnz .LBB23_1906
; %bb.1902:
	v_cmp_lt_i16_e32 vcc_lo, 0, v5
	s_mov_b32 s0, -1
	s_cbranch_vccz .LBB23_1904
; %bb.1903:
	s_mov_b32 s0, 0
	global_store_b8 v[2:3], v7, off
.LBB23_1904:
	s_and_not1_b32 vcc_lo, exec_lo, s0
	s_cbranch_vccnz .LBB23_1906
; %bb.1905:
	global_store_b8 v[2:3], v7, off
.LBB23_1906:
	s_mov_b32 s3, -1
.LBB23_1907:
	s_delay_alu instid0(SALU_CYCLE_1)
	s_and_not1_b32 vcc_lo, exec_lo, s3
	s_cbranch_vccnz .LBB23_2102
; %bb.1908:
	v_cmp_gt_i16_e32 vcc_lo, 11, v5
	v_add_co_u32 v1, s2, s4, v1
	v_xor_b32_e32 v3, -1, v6
	v_add_co_ci_u32_e64 v2, null, s5, 0, s2
	s_mov_b32 s0, -1
	s_mov_b32 s3, 0
	s_cbranch_vccnz .LBB23_1986
; %bb.1909:
	v_cmp_lt_i16_e32 vcc_lo, 25, v5
	s_mov_b32 s6, -1
	s_mov_b32 s2, 0
	s_mov_b32 s0, 0
	s_cbranch_vccz .LBB23_1942
; %bb.1910:
	v_cmp_lt_i16_e32 vcc_lo, 28, v5
	s_cbranch_vccz .LBB23_1925
; %bb.1911:
	v_cmp_lt_i16_e32 vcc_lo, 43, v5
	s_cbranch_vccz .LBB23_1921
; %bb.1912:
	v_cmp_lt_i16_e32 vcc_lo, 45, v5
	s_cbranch_vccz .LBB23_1915
; %bb.1913:
	v_cmp_eq_u16_e32 vcc_lo, 46, v5
	s_mov_b32 s0, -1
	s_mov_b32 s6, 0
	s_cbranch_vccz .LBB23_1915
; %bb.1914:
	v_bfe_i32 v7, v3, 0, 8
	s_mov_b32 s0, 0
	s_mov_b32 s3, -1
	s_delay_alu instid0(VALU_DEP_1) | instskip(NEXT) | instid1(VALU_DEP_1)
	v_bfe_i32 v7, v7, 0, 16
	v_cvt_f32_i32_e32 v7, v7
	s_delay_alu instid0(VALU_DEP_1) | instskip(NEXT) | instid1(VALU_DEP_1)
	v_bfe_u32 v8, v7, 16, 1
	v_add3_u32 v7, v7, v8, 0x7fff
	s_delay_alu instid0(VALU_DEP_1)
	v_lshrrev_b32_e32 v7, 16, v7
	global_store_b32 v[1:2], v7, off
.LBB23_1915:
	s_and_b32 vcc_lo, exec_lo, s6
	s_cbranch_vccz .LBB23_1920
; %bb.1916:
	v_cmp_eq_u16_e32 vcc_lo, 44, v5
	s_mov_b32 s0, -1
	s_cbranch_vccz .LBB23_1920
; %bb.1917:
	v_bfe_i32 v7, v3, 0, 8
	v_mov_b32_e32 v8, 0xff
	s_mov_b32 s3, exec_lo
	s_delay_alu instid0(VALU_DEP_2) | instskip(NEXT) | instid1(VALU_DEP_1)
	v_bfe_i32 v7, v7, 0, 16
	v_cvt_f32_i32_e32 v7, v7
	s_delay_alu instid0(VALU_DEP_1) | instskip(NEXT) | instid1(VALU_DEP_1)
	v_bfe_u32 v9, v7, 23, 8
	v_cmpx_ne_u32_e32 0xff, v9
; %bb.1918:
	v_and_b32_e32 v8, 0x400000, v7
	v_and_or_b32 v9, 0x3fffff, v7, v9
	v_lshrrev_b32_e32 v7, 23, v7
	s_delay_alu instid0(VALU_DEP_3) | instskip(NEXT) | instid1(VALU_DEP_3)
	v_cmp_ne_u32_e32 vcc_lo, 0, v8
	v_cmp_ne_u32_e64 s0, 0, v9
	s_delay_alu instid0(VALU_DEP_1) | instskip(NEXT) | instid1(SALU_CYCLE_1)
	s_and_b32 s0, vcc_lo, s0
	v_cndmask_b32_e64 v8, 0, 1, s0
	s_delay_alu instid0(VALU_DEP_1)
	v_add_nc_u32_e32 v8, v7, v8
; %bb.1919:
	s_or_b32 exec_lo, exec_lo, s3
	s_mov_b32 s0, 0
	s_mov_b32 s3, -1
	global_store_b8 v[1:2], v8, off
.LBB23_1920:
	s_mov_b32 s6, 0
.LBB23_1921:
	s_delay_alu instid0(SALU_CYCLE_1)
	s_and_b32 vcc_lo, exec_lo, s6
	s_cbranch_vccz .LBB23_1924
; %bb.1922:
	v_cmp_eq_u16_e32 vcc_lo, 29, v5
	s_mov_b32 s0, -1
	s_cbranch_vccz .LBB23_1924
; %bb.1923:
	v_bfe_i32 v7, v3, 0, 8
	s_mov_b32 s0, 0
	s_mov_b32 s3, -1
	s_delay_alu instid0(VALU_DEP_1)
	v_ashrrev_i32_e32 v8, 31, v7
	global_store_b64 v[1:2], v[7:8], off
.LBB23_1924:
	s_mov_b32 s6, 0
.LBB23_1925:
	s_delay_alu instid0(SALU_CYCLE_1)
	s_and_b32 vcc_lo, exec_lo, s6
	s_cbranch_vccz .LBB23_1941
; %bb.1926:
	v_cmp_gt_i16_e32 vcc_lo, 27, v5
	s_mov_b32 s3, -1
	s_cbranch_vccnz .LBB23_1932
; %bb.1927:
	v_cmp_lt_i16_e32 vcc_lo, 27, v5
	s_cbranch_vccz .LBB23_1929
; %bb.1928:
	v_bfe_i32 v7, v3, 0, 8
	s_mov_b32 s3, 0
	global_store_b32 v[1:2], v7, off
.LBB23_1929:
	s_and_not1_b32 vcc_lo, exec_lo, s3
	s_cbranch_vccnz .LBB23_1931
; %bb.1930:
	v_bfe_i32 v7, v3, 0, 8
	global_store_b16 v[1:2], v7, off
.LBB23_1931:
	s_mov_b32 s3, 0
.LBB23_1932:
	s_delay_alu instid0(SALU_CYCLE_1)
	s_and_not1_b32 vcc_lo, exec_lo, s3
	s_cbranch_vccnz .LBB23_1940
; %bb.1933:
	v_bfe_i32 v7, v3, 0, 8
	v_mov_b32_e32 v9, 0x80
	s_mov_b32 s3, exec_lo
	s_delay_alu instid0(VALU_DEP_2) | instskip(NEXT) | instid1(VALU_DEP_1)
	v_bfe_i32 v7, v7, 0, 16
	v_cvt_f32_i32_e32 v7, v7
	s_delay_alu instid0(VALU_DEP_1) | instskip(NEXT) | instid1(VALU_DEP_1)
	v_and_b32_e32 v8, 0x7fffffff, v7
	v_cmpx_gt_u32_e32 0x43800000, v8
	s_cbranch_execz .LBB23_1939
; %bb.1934:
	v_cmp_lt_u32_e32 vcc_lo, 0x3bffffff, v8
	s_mov_b32 s6, 0
                                        ; implicit-def: $vgpr8
	s_and_saveexec_b32 s7, vcc_lo
	s_delay_alu instid0(SALU_CYCLE_1)
	s_xor_b32 s7, exec_lo, s7
	s_cbranch_execz .LBB23_2121
; %bb.1935:
	v_bfe_u32 v8, v7, 20, 1
	s_mov_b32 s6, exec_lo
	s_delay_alu instid0(VALU_DEP_1) | instskip(NEXT) | instid1(VALU_DEP_1)
	v_add3_u32 v8, v7, v8, 0x487ffff
	v_lshrrev_b32_e32 v8, 20, v8
	s_or_saveexec_b32 s7, s7
                                        ; implicit-def: $sgpr10
	s_delay_alu instid0(SALU_CYCLE_1)
	s_xor_b32 exec_lo, exec_lo, s7
	s_cbranch_execnz .LBB23_2122
.LBB23_1936:
	s_or_b32 exec_lo, exec_lo, s7
	v_mov_b32_e32 v9, s10
	s_and_saveexec_b32 s7, s6
.LBB23_1937:
	v_lshrrev_b32_e32 v7, 24, v7
	s_delay_alu instid0(VALU_DEP_1)
	v_and_or_b32 v9, 0x80, v7, v8
.LBB23_1938:
	s_or_b32 exec_lo, exec_lo, s7
.LBB23_1939:
	s_delay_alu instid0(SALU_CYCLE_1)
	s_or_b32 exec_lo, exec_lo, s3
	global_store_b8 v[1:2], v9, off
.LBB23_1940:
	s_mov_b32 s3, -1
.LBB23_1941:
	s_mov_b32 s6, 0
.LBB23_1942:
	s_delay_alu instid0(SALU_CYCLE_1)
	s_and_b32 vcc_lo, exec_lo, s6
	s_cbranch_vccz .LBB23_1982
; %bb.1943:
	v_cmp_lt_i16_e32 vcc_lo, 22, v5
	s_mov_b32 s2, -1
	s_cbranch_vccz .LBB23_1975
; %bb.1944:
	v_cmp_gt_i16_e32 vcc_lo, 24, v5
	s_cbranch_vccnz .LBB23_1964
; %bb.1945:
	v_cmp_lt_i16_e32 vcc_lo, 24, v5
	s_cbranch_vccz .LBB23_1953
; %bb.1946:
	v_bfe_i32 v7, v3, 0, 8
	v_mov_b32_e32 v9, 0x80
	s_mov_b32 s2, exec_lo
	s_delay_alu instid0(VALU_DEP_2) | instskip(NEXT) | instid1(VALU_DEP_1)
	v_bfe_i32 v7, v7, 0, 16
	v_cvt_f32_i32_e32 v7, v7
	s_delay_alu instid0(VALU_DEP_1) | instskip(NEXT) | instid1(VALU_DEP_1)
	v_and_b32_e32 v8, 0x7fffffff, v7
	v_cmpx_gt_u32_e32 0x47800000, v8
	s_cbranch_execz .LBB23_1952
; %bb.1947:
	v_cmp_lt_u32_e32 vcc_lo, 0x37ffffff, v8
	s_mov_b32 s3, 0
                                        ; implicit-def: $vgpr8
	s_and_saveexec_b32 s6, vcc_lo
	s_delay_alu instid0(SALU_CYCLE_1)
	s_xor_b32 s6, exec_lo, s6
	s_cbranch_execz .LBB23_2127
; %bb.1948:
	v_bfe_u32 v8, v7, 21, 1
	s_mov_b32 s3, exec_lo
	s_delay_alu instid0(VALU_DEP_1) | instskip(NEXT) | instid1(VALU_DEP_1)
	v_add3_u32 v8, v7, v8, 0x88fffff
	v_lshrrev_b32_e32 v8, 21, v8
	s_or_saveexec_b32 s6, s6
                                        ; implicit-def: $sgpr7
	s_delay_alu instid0(SALU_CYCLE_1)
	s_xor_b32 exec_lo, exec_lo, s6
	s_cbranch_execnz .LBB23_2128
.LBB23_1949:
	s_or_b32 exec_lo, exec_lo, s6
	v_mov_b32_e32 v9, s7
	s_and_saveexec_b32 s6, s3
.LBB23_1950:
	v_lshrrev_b32_e32 v7, 24, v7
	s_delay_alu instid0(VALU_DEP_1)
	v_and_or_b32 v9, 0x80, v7, v8
.LBB23_1951:
	s_or_b32 exec_lo, exec_lo, s6
.LBB23_1952:
	s_delay_alu instid0(SALU_CYCLE_1)
	s_or_b32 exec_lo, exec_lo, s2
	s_mov_b32 s2, 0
	global_store_b8 v[1:2], v9, off
.LBB23_1953:
	s_and_b32 vcc_lo, exec_lo, s2
	s_cbranch_vccz .LBB23_1963
; %bb.1954:
	v_bfe_i32 v7, v3, 0, 8
	s_mov_b32 s2, exec_lo
                                        ; implicit-def: $vgpr8
	s_delay_alu instid0(VALU_DEP_1) | instskip(NEXT) | instid1(VALU_DEP_1)
	v_bfe_i32 v7, v7, 0, 16
	v_cvt_f32_i32_e32 v7, v7
	s_delay_alu instid0(VALU_DEP_1) | instskip(NEXT) | instid1(VALU_DEP_1)
	v_and_b32_e32 v9, 0x7fffffff, v7
	v_cmpx_gt_u32_e32 0x43f00000, v9
	s_xor_b32 s2, exec_lo, s2
	s_cbranch_execz .LBB23_1960
; %bb.1955:
	s_mov_b32 s3, exec_lo
                                        ; implicit-def: $vgpr8
	v_cmpx_lt_u32_e32 0x3c7fffff, v9
	s_xor_b32 s3, exec_lo, s3
; %bb.1956:
	v_bfe_u32 v8, v7, 20, 1
	s_delay_alu instid0(VALU_DEP_1) | instskip(NEXT) | instid1(VALU_DEP_1)
	v_add3_u32 v8, v7, v8, 0x407ffff
	v_and_b32_e32 v9, 0xff00000, v8
	v_lshrrev_b32_e32 v8, 20, v8
	s_delay_alu instid0(VALU_DEP_2) | instskip(NEXT) | instid1(VALU_DEP_2)
	v_cmp_ne_u32_e32 vcc_lo, 0x7f00000, v9
	v_cndmask_b32_e32 v8, 0x7e, v8, vcc_lo
; %bb.1957:
	s_and_not1_saveexec_b32 s3, s3
; %bb.1958:
	v_add_f32_e64 v8, 0x46800000, |v7|
; %bb.1959:
	s_or_b32 exec_lo, exec_lo, s3
                                        ; implicit-def: $vgpr9
.LBB23_1960:
	s_and_not1_saveexec_b32 s2, s2
; %bb.1961:
	v_mov_b32_e32 v8, 0x7f
	v_cmp_lt_u32_e32 vcc_lo, 0x7f800000, v9
	s_delay_alu instid0(VALU_DEP_2)
	v_cndmask_b32_e32 v8, 0x7e, v8, vcc_lo
; %bb.1962:
	s_or_b32 exec_lo, exec_lo, s2
	v_lshrrev_b32_e32 v7, 24, v7
	s_delay_alu instid0(VALU_DEP_1)
	v_and_or_b32 v7, 0x80, v7, v8
	global_store_b8 v[1:2], v7, off
.LBB23_1963:
	s_mov_b32 s2, 0
.LBB23_1964:
	s_delay_alu instid0(SALU_CYCLE_1)
	s_and_not1_b32 vcc_lo, exec_lo, s2
	s_cbranch_vccnz .LBB23_1974
; %bb.1965:
	v_bfe_i32 v7, v3, 0, 8
	s_mov_b32 s2, exec_lo
                                        ; implicit-def: $vgpr8
	s_delay_alu instid0(VALU_DEP_1) | instskip(NEXT) | instid1(VALU_DEP_1)
	v_bfe_i32 v7, v7, 0, 16
	v_cvt_f32_i32_e32 v7, v7
	s_delay_alu instid0(VALU_DEP_1) | instskip(NEXT) | instid1(VALU_DEP_1)
	v_and_b32_e32 v9, 0x7fffffff, v7
	v_cmpx_gt_u32_e32 0x47800000, v9
	s_xor_b32 s2, exec_lo, s2
	s_cbranch_execz .LBB23_1971
; %bb.1966:
	s_mov_b32 s3, exec_lo
                                        ; implicit-def: $vgpr8
	v_cmpx_lt_u32_e32 0x387fffff, v9
	s_xor_b32 s3, exec_lo, s3
; %bb.1967:
	v_bfe_u32 v8, v7, 21, 1
	s_delay_alu instid0(VALU_DEP_1) | instskip(NEXT) | instid1(VALU_DEP_1)
	v_add3_u32 v8, v7, v8, 0x80fffff
	v_lshrrev_b32_e32 v8, 21, v8
; %bb.1968:
	s_and_not1_saveexec_b32 s3, s3
; %bb.1969:
	v_add_f32_e64 v8, 0x43000000, |v7|
; %bb.1970:
	s_or_b32 exec_lo, exec_lo, s3
                                        ; implicit-def: $vgpr9
.LBB23_1971:
	s_and_not1_saveexec_b32 s2, s2
; %bb.1972:
	v_mov_b32_e32 v8, 0x7f
	v_cmp_lt_u32_e32 vcc_lo, 0x7f800000, v9
	s_delay_alu instid0(VALU_DEP_2)
	v_cndmask_b32_e32 v8, 0x7c, v8, vcc_lo
; %bb.1973:
	s_or_b32 exec_lo, exec_lo, s2
	v_lshrrev_b32_e32 v7, 24, v7
	s_delay_alu instid0(VALU_DEP_1)
	v_and_or_b32 v7, 0x80, v7, v8
	global_store_b8 v[1:2], v7, off
.LBB23_1974:
	s_mov_b32 s2, 0
	s_mov_b32 s3, -1
.LBB23_1975:
	s_and_not1_b32 vcc_lo, exec_lo, s2
	s_mov_b32 s2, 0
	s_cbranch_vccnz .LBB23_1982
; %bb.1976:
	v_cmp_lt_i16_e32 vcc_lo, 14, v5
	s_mov_b32 s2, -1
	s_cbranch_vccz .LBB23_1980
; %bb.1977:
	v_cmp_eq_u16_e32 vcc_lo, 15, v5
	s_mov_b32 s0, -1
	s_cbranch_vccz .LBB23_1979
; %bb.1978:
	v_bfe_i32 v7, v3, 0, 8
	s_mov_b32 s0, 0
	s_mov_b32 s3, -1
	s_delay_alu instid0(VALU_DEP_1) | instskip(NEXT) | instid1(VALU_DEP_1)
	v_bfe_i32 v7, v7, 0, 16
	v_cvt_f32_i32_e32 v7, v7
	s_delay_alu instid0(VALU_DEP_1) | instskip(NEXT) | instid1(VALU_DEP_1)
	v_bfe_u32 v8, v7, 16, 1
	v_add3_u32 v7, v7, v8, 0x7fff
	global_store_d16_hi_b16 v[1:2], v7, off
.LBB23_1979:
	s_mov_b32 s2, 0
.LBB23_1980:
	s_delay_alu instid0(SALU_CYCLE_1)
	s_and_b32 vcc_lo, exec_lo, s2
	s_mov_b32 s2, 0
	s_cbranch_vccz .LBB23_1982
; %bb.1981:
	v_cmp_ne_u16_e64 s0, 11, v5
	s_mov_b32 s2, -1
.LBB23_1982:
	s_delay_alu instid0(VALU_DEP_1)
	s_and_b32 vcc_lo, exec_lo, s0
	s_cbranch_vccnz .LBB23_2125
; %bb.1983:
	s_and_not1_b32 vcc_lo, exec_lo, s2
	s_cbranch_vccnz .LBB23_1985
.LBB23_1984:
	v_and_b32_e32 v6, 0xff, v6
	s_mov_b32 s3, -1
	s_delay_alu instid0(VALU_DEP_1)
	v_cmp_ne_u16_e32 vcc_lo, 0xff, v6
	v_cndmask_b32_e64 v6, 0, 1, vcc_lo
	global_store_b8 v[1:2], v6, off
.LBB23_1985:
	s_mov_b32 s0, 0
.LBB23_1986:
	s_delay_alu instid0(SALU_CYCLE_1)
	s_and_b32 vcc_lo, exec_lo, s0
	s_cbranch_vccz .LBB23_2025
; %bb.1987:
	v_cmp_gt_i16_e32 vcc_lo, 5, v5
	s_mov_b32 s0, -1
	s_cbranch_vccnz .LBB23_2008
; %bb.1988:
	v_cmp_gt_i16_e32 vcc_lo, 8, v5
	s_cbranch_vccnz .LBB23_1998
; %bb.1989:
	v_cmp_gt_i16_e32 vcc_lo, 9, v5
	s_cbranch_vccnz .LBB23_1995
; %bb.1990:
	v_cmp_lt_i16_e32 vcc_lo, 9, v5
	s_cbranch_vccz .LBB23_1992
; %bb.1991:
	v_bfe_i32 v6, v3, 0, 8
	v_mov_b32_e32 v8, 0
	s_mov_b32 s0, 0
	s_delay_alu instid0(VALU_DEP_2) | instskip(NEXT) | instid1(VALU_DEP_2)
	v_bfe_i32 v6, v6, 0, 16
	v_mov_b32_e32 v9, v8
	s_delay_alu instid0(VALU_DEP_2)
	v_cvt_f64_i32_e32 v[6:7], v6
	global_store_b128 v[1:2], v[6:9], off
.LBB23_1992:
	s_and_not1_b32 vcc_lo, exec_lo, s0
	s_cbranch_vccnz .LBB23_1994
; %bb.1993:
	v_bfe_i32 v6, v3, 0, 8
	v_mov_b32_e32 v7, 0
	s_delay_alu instid0(VALU_DEP_2) | instskip(NEXT) | instid1(VALU_DEP_1)
	v_bfe_i32 v6, v6, 0, 16
	v_cvt_f32_i32_e32 v6, v6
	global_store_b64 v[1:2], v[6:7], off
.LBB23_1994:
	s_mov_b32 s0, 0
.LBB23_1995:
	s_delay_alu instid0(SALU_CYCLE_1)
	s_and_not1_b32 vcc_lo, exec_lo, s0
	s_cbranch_vccnz .LBB23_1997
; %bb.1996:
	v_bfe_i32 v6, v3, 0, 8
	s_delay_alu instid0(VALU_DEP_1) | instskip(NEXT) | instid1(VALU_DEP_1)
	v_cvt_f16_i16_e32 v6, v6
	v_and_b32_e32 v6, 0xffff, v6
	global_store_b32 v[1:2], v6, off
.LBB23_1997:
	s_mov_b32 s0, 0
.LBB23_1998:
	s_delay_alu instid0(SALU_CYCLE_1)
	s_and_not1_b32 vcc_lo, exec_lo, s0
	s_cbranch_vccnz .LBB23_2007
; %bb.1999:
	v_cmp_gt_i16_e32 vcc_lo, 6, v5
	s_mov_b32 s0, -1
	s_cbranch_vccnz .LBB23_2005
; %bb.2000:
	v_cmp_lt_i16_e32 vcc_lo, 6, v5
	s_cbranch_vccz .LBB23_2002
; %bb.2001:
	v_bfe_i32 v6, v3, 0, 8
	s_mov_b32 s0, 0
	s_delay_alu instid0(VALU_DEP_1) | instskip(NEXT) | instid1(VALU_DEP_1)
	v_bfe_i32 v6, v6, 0, 16
	v_cvt_f64_i32_e32 v[6:7], v6
	global_store_b64 v[1:2], v[6:7], off
.LBB23_2002:
	s_and_not1_b32 vcc_lo, exec_lo, s0
	s_cbranch_vccnz .LBB23_2004
; %bb.2003:
	v_bfe_i32 v6, v3, 0, 8
	s_delay_alu instid0(VALU_DEP_1) | instskip(NEXT) | instid1(VALU_DEP_1)
	v_bfe_i32 v6, v6, 0, 16
	v_cvt_f32_i32_e32 v6, v6
	global_store_b32 v[1:2], v6, off
.LBB23_2004:
	s_mov_b32 s0, 0
.LBB23_2005:
	s_delay_alu instid0(SALU_CYCLE_1)
	s_and_not1_b32 vcc_lo, exec_lo, s0
	s_cbranch_vccnz .LBB23_2007
; %bb.2006:
	v_bfe_i32 v6, v3, 0, 8
	s_delay_alu instid0(VALU_DEP_1)
	v_cvt_f16_i16_e32 v6, v6
	global_store_b16 v[1:2], v6, off
.LBB23_2007:
	s_mov_b32 s0, 0
.LBB23_2008:
	s_delay_alu instid0(SALU_CYCLE_1)
	s_and_not1_b32 vcc_lo, exec_lo, s0
	s_cbranch_vccnz .LBB23_2024
; %bb.2009:
	v_cmp_gt_i16_e32 vcc_lo, 2, v5
	s_mov_b32 s0, -1
	s_cbranch_vccnz .LBB23_2019
; %bb.2010:
	v_cmp_gt_i16_e32 vcc_lo, 3, v5
	s_cbranch_vccnz .LBB23_2016
; %bb.2011:
	v_cmp_lt_i16_e32 vcc_lo, 3, v5
	s_cbranch_vccz .LBB23_2013
; %bb.2012:
	v_bfe_i32 v6, v3, 0, 8
	s_mov_b32 s0, 0
	s_delay_alu instid0(VALU_DEP_1)
	v_ashrrev_i32_e32 v7, 31, v6
	global_store_b64 v[1:2], v[6:7], off
.LBB23_2013:
	s_and_not1_b32 vcc_lo, exec_lo, s0
	s_cbranch_vccnz .LBB23_2015
; %bb.2014:
	v_bfe_i32 v6, v3, 0, 8
	global_store_b32 v[1:2], v6, off
.LBB23_2015:
	s_mov_b32 s0, 0
.LBB23_2016:
	s_delay_alu instid0(SALU_CYCLE_1)
	s_and_not1_b32 vcc_lo, exec_lo, s0
	s_cbranch_vccnz .LBB23_2018
; %bb.2017:
	v_bfe_i32 v6, v3, 0, 8
	global_store_b16 v[1:2], v6, off
.LBB23_2018:
	s_mov_b32 s0, 0
.LBB23_2019:
	s_delay_alu instid0(SALU_CYCLE_1)
	s_and_not1_b32 vcc_lo, exec_lo, s0
	s_cbranch_vccnz .LBB23_2024
; %bb.2020:
	v_cmp_lt_i16_e32 vcc_lo, 0, v5
	s_mov_b32 s0, -1
	s_cbranch_vccz .LBB23_2022
; %bb.2021:
	s_mov_b32 s0, 0
	global_store_b8 v[1:2], v3, off
.LBB23_2022:
	s_and_not1_b32 vcc_lo, exec_lo, s0
	s_cbranch_vccnz .LBB23_2024
; %bb.2023:
	global_store_b8 v[1:2], v3, off
.LBB23_2024:
	s_mov_b32 s3, -1
.LBB23_2025:
	s_delay_alu instid0(SALU_CYCLE_1)
	s_and_not1_b32 vcc_lo, exec_lo, s3
	s_cbranch_vccnz .LBB23_2102
; %bb.2026:
	v_cmp_gt_i16_e32 vcc_lo, 11, v5
	v_add_co_u32 v0, s2, s4, v0
	v_xor_b32_e32 v2, -1, v4
	v_add_co_ci_u32_e64 v1, null, s5, 0, s2
	s_mov_b32 s0, -1
	s_mov_b32 s2, 0
	s_cbranch_vccnz .LBB23_1431
; %bb.2027:
	v_cmp_lt_i16_e32 vcc_lo, 25, v5
	s_mov_b32 s3, -1
	s_mov_b32 s0, 0
	s_cbranch_vccz .LBB23_2060
; %bb.2028:
	v_cmp_lt_i16_e32 vcc_lo, 28, v5
	s_cbranch_vccz .LBB23_2044
; %bb.2029:
	v_cmp_lt_i16_e32 vcc_lo, 43, v5
	;; [unrolled: 3-line block ×3, first 2 shown]
	s_cbranch_vccz .LBB23_2034
; %bb.2031:
	v_cmp_eq_u16_e32 vcc_lo, 46, v5
	s_mov_b32 s0, -1
	s_cbranch_vccz .LBB23_2033
; %bb.2032:
	v_bfe_i32 v3, v2, 0, 8
	s_mov_b32 s0, 0
	s_delay_alu instid0(VALU_DEP_1) | instskip(NEXT) | instid1(VALU_DEP_1)
	v_bfe_i32 v3, v3, 0, 16
	v_cvt_f32_i32_e32 v3, v3
	s_delay_alu instid0(VALU_DEP_1) | instskip(NEXT) | instid1(VALU_DEP_1)
	v_bfe_u32 v6, v3, 16, 1
	v_add3_u32 v3, v3, v6, 0x7fff
	s_delay_alu instid0(VALU_DEP_1)
	v_lshrrev_b32_e32 v3, 16, v3
	global_store_b32 v[0:1], v3, off
.LBB23_2033:
	s_mov_b32 s3, 0
.LBB23_2034:
	s_delay_alu instid0(SALU_CYCLE_1)
	s_and_b32 vcc_lo, exec_lo, s3
	s_cbranch_vccz .LBB23_2039
; %bb.2035:
	v_cmp_eq_u16_e32 vcc_lo, 44, v5
	s_mov_b32 s0, -1
	s_cbranch_vccz .LBB23_2039
; %bb.2036:
	v_bfe_i32 v3, v2, 0, 8
	v_mov_b32_e32 v6, 0xff
	s_mov_b32 s3, exec_lo
	s_delay_alu instid0(VALU_DEP_2) | instskip(NEXT) | instid1(VALU_DEP_1)
	v_bfe_i32 v3, v3, 0, 16
	v_cvt_f32_i32_e32 v3, v3
	s_delay_alu instid0(VALU_DEP_1) | instskip(NEXT) | instid1(VALU_DEP_1)
	v_bfe_u32 v7, v3, 23, 8
	v_cmpx_ne_u32_e32 0xff, v7
; %bb.2037:
	v_and_b32_e32 v6, 0x400000, v3
	v_and_or_b32 v7, 0x3fffff, v3, v7
	v_lshrrev_b32_e32 v3, 23, v3
	s_delay_alu instid0(VALU_DEP_3) | instskip(NEXT) | instid1(VALU_DEP_3)
	v_cmp_ne_u32_e32 vcc_lo, 0, v6
	v_cmp_ne_u32_e64 s0, 0, v7
	s_delay_alu instid0(VALU_DEP_1) | instskip(NEXT) | instid1(SALU_CYCLE_1)
	s_and_b32 s0, vcc_lo, s0
	v_cndmask_b32_e64 v6, 0, 1, s0
	s_delay_alu instid0(VALU_DEP_1)
	v_add_nc_u32_e32 v6, v3, v6
; %bb.2038:
	s_or_b32 exec_lo, exec_lo, s3
	s_mov_b32 s0, 0
	global_store_b8 v[0:1], v6, off
.LBB23_2039:
	s_mov_b32 s3, 0
.LBB23_2040:
	s_delay_alu instid0(SALU_CYCLE_1)
	s_and_b32 vcc_lo, exec_lo, s3
	s_cbranch_vccz .LBB23_2043
; %bb.2041:
	v_cmp_eq_u16_e32 vcc_lo, 29, v5
	s_mov_b32 s0, -1
	s_cbranch_vccz .LBB23_2043
; %bb.2042:
	v_bfe_i32 v6, v2, 0, 8
	s_mov_b32 s0, 0
	s_delay_alu instid0(VALU_DEP_1)
	v_ashrrev_i32_e32 v7, 31, v6
	global_store_b64 v[0:1], v[6:7], off
.LBB23_2043:
	s_mov_b32 s3, 0
.LBB23_2044:
	s_delay_alu instid0(SALU_CYCLE_1)
	s_and_b32 vcc_lo, exec_lo, s3
	s_cbranch_vccz .LBB23_2059
; %bb.2045:
	v_cmp_gt_i16_e32 vcc_lo, 27, v5
	s_mov_b32 s3, -1
	s_cbranch_vccnz .LBB23_2051
; %bb.2046:
	v_cmp_lt_i16_e32 vcc_lo, 27, v5
	s_cbranch_vccz .LBB23_2048
; %bb.2047:
	v_bfe_i32 v3, v2, 0, 8
	s_mov_b32 s3, 0
	global_store_b32 v[0:1], v3, off
.LBB23_2048:
	s_and_not1_b32 vcc_lo, exec_lo, s3
	s_cbranch_vccnz .LBB23_2050
; %bb.2049:
	v_bfe_i32 v3, v2, 0, 8
	global_store_b16 v[0:1], v3, off
.LBB23_2050:
	s_mov_b32 s3, 0
.LBB23_2051:
	s_delay_alu instid0(SALU_CYCLE_1)
	s_and_not1_b32 vcc_lo, exec_lo, s3
	s_cbranch_vccnz .LBB23_2059
; %bb.2052:
	v_bfe_i32 v3, v2, 0, 8
	v_mov_b32_e32 v7, 0x80
	s_mov_b32 s3, exec_lo
	s_delay_alu instid0(VALU_DEP_2) | instskip(NEXT) | instid1(VALU_DEP_1)
	v_bfe_i32 v3, v3, 0, 16
	v_cvt_f32_i32_e32 v3, v3
	s_delay_alu instid0(VALU_DEP_1) | instskip(NEXT) | instid1(VALU_DEP_1)
	v_and_b32_e32 v6, 0x7fffffff, v3
	v_cmpx_gt_u32_e32 0x43800000, v6
	s_cbranch_execz .LBB23_2058
; %bb.2053:
	v_cmp_lt_u32_e32 vcc_lo, 0x3bffffff, v6
	s_mov_b32 s4, 0
                                        ; implicit-def: $vgpr6
	s_and_saveexec_b32 s5, vcc_lo
	s_delay_alu instid0(SALU_CYCLE_1)
	s_xor_b32 s5, exec_lo, s5
	s_cbranch_execz .LBB23_2129
; %bb.2054:
	v_bfe_u32 v6, v3, 20, 1
	s_mov_b32 s4, exec_lo
	s_delay_alu instid0(VALU_DEP_1) | instskip(NEXT) | instid1(VALU_DEP_1)
	v_add3_u32 v6, v3, v6, 0x487ffff
	v_lshrrev_b32_e32 v6, 20, v6
	s_or_saveexec_b32 s5, s5
                                        ; implicit-def: $sgpr6
	s_delay_alu instid0(SALU_CYCLE_1)
	s_xor_b32 exec_lo, exec_lo, s5
	s_cbranch_execnz .LBB23_2130
.LBB23_2055:
	s_or_b32 exec_lo, exec_lo, s5
	v_mov_b32_e32 v7, s6
	s_and_saveexec_b32 s5, s4
.LBB23_2056:
	v_lshrrev_b32_e32 v3, 24, v3
	s_delay_alu instid0(VALU_DEP_1)
	v_and_or_b32 v7, 0x80, v3, v6
.LBB23_2057:
	s_or_b32 exec_lo, exec_lo, s5
.LBB23_2058:
	s_delay_alu instid0(SALU_CYCLE_1)
	s_or_b32 exec_lo, exec_lo, s3
	global_store_b8 v[0:1], v7, off
.LBB23_2059:
	s_mov_b32 s3, 0
.LBB23_2060:
	s_delay_alu instid0(SALU_CYCLE_1)
	s_and_b32 vcc_lo, exec_lo, s3
	s_cbranch_vccz .LBB23_2100
; %bb.2061:
	v_cmp_lt_i16_e32 vcc_lo, 22, v5
	s_mov_b32 s2, -1
	s_cbranch_vccz .LBB23_2093
; %bb.2062:
	v_cmp_gt_i16_e32 vcc_lo, 24, v5
	s_cbranch_vccnz .LBB23_2082
; %bb.2063:
	v_cmp_lt_i16_e32 vcc_lo, 24, v5
	s_cbranch_vccz .LBB23_2071
; %bb.2064:
	v_bfe_i32 v3, v2, 0, 8
	v_mov_b32_e32 v7, 0x80
	s_mov_b32 s2, exec_lo
	s_delay_alu instid0(VALU_DEP_2) | instskip(NEXT) | instid1(VALU_DEP_1)
	v_bfe_i32 v3, v3, 0, 16
	v_cvt_f32_i32_e32 v3, v3
	s_delay_alu instid0(VALU_DEP_1) | instskip(NEXT) | instid1(VALU_DEP_1)
	v_and_b32_e32 v6, 0x7fffffff, v3
	v_cmpx_gt_u32_e32 0x47800000, v6
	s_cbranch_execz .LBB23_2070
; %bb.2065:
	v_cmp_lt_u32_e32 vcc_lo, 0x37ffffff, v6
	s_mov_b32 s3, 0
                                        ; implicit-def: $vgpr6
	s_and_saveexec_b32 s4, vcc_lo
	s_delay_alu instid0(SALU_CYCLE_1)
	s_xor_b32 s4, exec_lo, s4
	s_cbranch_execz .LBB23_2135
; %bb.2066:
	v_bfe_u32 v6, v3, 21, 1
	s_mov_b32 s3, exec_lo
	s_delay_alu instid0(VALU_DEP_1) | instskip(NEXT) | instid1(VALU_DEP_1)
	v_add3_u32 v6, v3, v6, 0x88fffff
	v_lshrrev_b32_e32 v6, 21, v6
	s_or_saveexec_b32 s4, s4
                                        ; implicit-def: $sgpr5
	s_delay_alu instid0(SALU_CYCLE_1)
	s_xor_b32 exec_lo, exec_lo, s4
	s_cbranch_execnz .LBB23_2136
.LBB23_2067:
	s_or_b32 exec_lo, exec_lo, s4
	v_mov_b32_e32 v7, s5
	s_and_saveexec_b32 s4, s3
.LBB23_2068:
	v_lshrrev_b32_e32 v3, 24, v3
	s_delay_alu instid0(VALU_DEP_1)
	v_and_or_b32 v7, 0x80, v3, v6
.LBB23_2069:
	s_or_b32 exec_lo, exec_lo, s4
.LBB23_2070:
	s_delay_alu instid0(SALU_CYCLE_1)
	s_or_b32 exec_lo, exec_lo, s2
	s_mov_b32 s2, 0
	global_store_b8 v[0:1], v7, off
.LBB23_2071:
	s_and_b32 vcc_lo, exec_lo, s2
	s_cbranch_vccz .LBB23_2081
; %bb.2072:
	v_bfe_i32 v3, v2, 0, 8
	s_mov_b32 s2, exec_lo
                                        ; implicit-def: $vgpr6
	s_delay_alu instid0(VALU_DEP_1) | instskip(NEXT) | instid1(VALU_DEP_1)
	v_bfe_i32 v3, v3, 0, 16
	v_cvt_f32_i32_e32 v3, v3
	s_delay_alu instid0(VALU_DEP_1) | instskip(NEXT) | instid1(VALU_DEP_1)
	v_and_b32_e32 v7, 0x7fffffff, v3
	v_cmpx_gt_u32_e32 0x43f00000, v7
	s_xor_b32 s2, exec_lo, s2
	s_cbranch_execz .LBB23_2078
; %bb.2073:
	s_mov_b32 s3, exec_lo
                                        ; implicit-def: $vgpr6
	v_cmpx_lt_u32_e32 0x3c7fffff, v7
	s_xor_b32 s3, exec_lo, s3
; %bb.2074:
	v_bfe_u32 v6, v3, 20, 1
	s_delay_alu instid0(VALU_DEP_1) | instskip(NEXT) | instid1(VALU_DEP_1)
	v_add3_u32 v6, v3, v6, 0x407ffff
	v_and_b32_e32 v7, 0xff00000, v6
	v_lshrrev_b32_e32 v6, 20, v6
	s_delay_alu instid0(VALU_DEP_2) | instskip(NEXT) | instid1(VALU_DEP_2)
	v_cmp_ne_u32_e32 vcc_lo, 0x7f00000, v7
	v_cndmask_b32_e32 v6, 0x7e, v6, vcc_lo
; %bb.2075:
	s_and_not1_saveexec_b32 s3, s3
; %bb.2076:
	v_add_f32_e64 v6, 0x46800000, |v3|
; %bb.2077:
	s_or_b32 exec_lo, exec_lo, s3
                                        ; implicit-def: $vgpr7
.LBB23_2078:
	s_and_not1_saveexec_b32 s2, s2
; %bb.2079:
	v_mov_b32_e32 v6, 0x7f
	v_cmp_lt_u32_e32 vcc_lo, 0x7f800000, v7
	s_delay_alu instid0(VALU_DEP_2)
	v_cndmask_b32_e32 v6, 0x7e, v6, vcc_lo
; %bb.2080:
	s_or_b32 exec_lo, exec_lo, s2
	v_lshrrev_b32_e32 v3, 24, v3
	s_delay_alu instid0(VALU_DEP_1)
	v_and_or_b32 v3, 0x80, v3, v6
	global_store_b8 v[0:1], v3, off
.LBB23_2081:
	s_mov_b32 s2, 0
.LBB23_2082:
	s_delay_alu instid0(SALU_CYCLE_1)
	s_and_not1_b32 vcc_lo, exec_lo, s2
	s_cbranch_vccnz .LBB23_2092
; %bb.2083:
	v_bfe_i32 v3, v2, 0, 8
	s_mov_b32 s2, exec_lo
                                        ; implicit-def: $vgpr6
	s_delay_alu instid0(VALU_DEP_1) | instskip(NEXT) | instid1(VALU_DEP_1)
	v_bfe_i32 v3, v3, 0, 16
	v_cvt_f32_i32_e32 v3, v3
	s_delay_alu instid0(VALU_DEP_1) | instskip(NEXT) | instid1(VALU_DEP_1)
	v_and_b32_e32 v7, 0x7fffffff, v3
	v_cmpx_gt_u32_e32 0x47800000, v7
	s_xor_b32 s2, exec_lo, s2
	s_cbranch_execz .LBB23_2089
; %bb.2084:
	s_mov_b32 s3, exec_lo
                                        ; implicit-def: $vgpr6
	v_cmpx_lt_u32_e32 0x387fffff, v7
	s_xor_b32 s3, exec_lo, s3
; %bb.2085:
	v_bfe_u32 v6, v3, 21, 1
	s_delay_alu instid0(VALU_DEP_1) | instskip(NEXT) | instid1(VALU_DEP_1)
	v_add3_u32 v6, v3, v6, 0x80fffff
	v_lshrrev_b32_e32 v6, 21, v6
; %bb.2086:
	s_and_not1_saveexec_b32 s3, s3
; %bb.2087:
	v_add_f32_e64 v6, 0x43000000, |v3|
; %bb.2088:
	s_or_b32 exec_lo, exec_lo, s3
                                        ; implicit-def: $vgpr7
.LBB23_2089:
	s_and_not1_saveexec_b32 s2, s2
; %bb.2090:
	v_mov_b32_e32 v6, 0x7f
	v_cmp_lt_u32_e32 vcc_lo, 0x7f800000, v7
	s_delay_alu instid0(VALU_DEP_2)
	v_cndmask_b32_e32 v6, 0x7c, v6, vcc_lo
; %bb.2091:
	s_or_b32 exec_lo, exec_lo, s2
	v_lshrrev_b32_e32 v3, 24, v3
	s_delay_alu instid0(VALU_DEP_1)
	v_and_or_b32 v3, 0x80, v3, v6
	global_store_b8 v[0:1], v3, off
.LBB23_2092:
	s_mov_b32 s2, 0
.LBB23_2093:
	s_delay_alu instid0(SALU_CYCLE_1)
	s_and_not1_b32 vcc_lo, exec_lo, s2
	s_mov_b32 s2, 0
	s_cbranch_vccnz .LBB23_2100
; %bb.2094:
	v_cmp_lt_i16_e32 vcc_lo, 14, v5
	s_mov_b32 s2, -1
	s_cbranch_vccz .LBB23_2098
; %bb.2095:
	v_cmp_eq_u16_e32 vcc_lo, 15, v5
	s_mov_b32 s0, -1
	s_cbranch_vccz .LBB23_2097
; %bb.2096:
	v_bfe_i32 v3, v2, 0, 8
	s_mov_b32 s0, 0
	s_delay_alu instid0(VALU_DEP_1) | instskip(NEXT) | instid1(VALU_DEP_1)
	v_bfe_i32 v3, v3, 0, 16
	v_cvt_f32_i32_e32 v3, v3
	s_delay_alu instid0(VALU_DEP_1) | instskip(NEXT) | instid1(VALU_DEP_1)
	v_bfe_u32 v6, v3, 16, 1
	v_add3_u32 v3, v3, v6, 0x7fff
	global_store_d16_hi_b16 v[0:1], v3, off
.LBB23_2097:
	s_mov_b32 s2, 0
.LBB23_2098:
	s_delay_alu instid0(SALU_CYCLE_1)
	s_and_b32 vcc_lo, exec_lo, s2
	s_mov_b32 s2, 0
	s_cbranch_vccz .LBB23_2100
; %bb.2099:
	v_cmp_ne_u16_e64 s0, 11, v5
	s_mov_b32 s2, -1
.LBB23_2100:
	s_delay_alu instid0(VALU_DEP_1)
	s_and_b32 vcc_lo, exec_lo, s0
	s_cbranch_vccnz .LBB23_2133
.LBB23_2101:
	s_mov_b32 s0, 0
	s_branch .LBB23_1431
.LBB23_2102:
	s_mov_b32 s0, 0
	s_mov_b32 s2, 0
                                        ; implicit-def: $vgpr0_vgpr1
                                        ; implicit-def: $vgpr5
                                        ; implicit-def: $vgpr2
	s_branch .LBB23_1431
.LBB23_2103:
	s_cbranch_execnz .LBB23_2107
; %bb.2104:
	s_or_b32 s1, s1, exec_lo
                                        ; implicit-def: $vgpr4
	s_cbranch_execz .LBB23_1620
	s_branch .LBB23_1621
.LBB23_2105:
	s_or_saveexec_b32 s7, s7
                                        ; implicit-def: $sgpr10
	s_delay_alu instid0(SALU_CYCLE_1)
	s_xor_b32 exec_lo, exec_lo, s7
	s_cbranch_execz .LBB23_1700
.LBB23_2106:
	v_add_f32_e64 v9, 0x46000000, |v3|
	s_and_not1_b32 s6, s6, exec_lo
	s_mov_b32 s10, 0
	s_delay_alu instid0(VALU_DEP_1) | instskip(NEXT) | instid1(VALU_DEP_1)
	v_and_b32_e32 v9, 0xff, v9
	v_cmp_ne_u32_e32 vcc_lo, 0, v9
	s_and_b32 s11, vcc_lo, exec_lo
	s_delay_alu instid0(SALU_CYCLE_1)
	s_or_b32 s6, s6, s11
	s_or_b32 exec_lo, exec_lo, s7
	v_mov_b32_e32 v13, s10
	s_and_saveexec_b32 s7, s6
	s_cbranch_execnz .LBB23_1701
	s_branch .LBB23_1702
.LBB23_2107:
	s_trap 2
	s_sendmsg_rtn_b32 s0, sendmsg(MSG_RTN_GET_DOORBELL)
	s_mov_b32 ttmp2, m0
	s_waitcnt lgkmcnt(0)
	s_and_b32 s0, s0, 0x3ff
	s_delay_alu instid0(SALU_CYCLE_1) | instskip(NEXT) | instid1(SALU_CYCLE_1)
	s_bitset1_b32 s0, 10
	s_mov_b32 m0, s0
	s_sendmsg sendmsg(MSG_INTERRUPT)
	s_mov_b32 m0, ttmp2
.LBB23_2108:                            ; =>This Inner Loop Header: Depth=1
	s_sethalt 5
	s_branch .LBB23_2108
.LBB23_2109:
	s_cbranch_execnz .LBB23_2115
; %bb.2110:
	s_or_b32 s1, s1, exec_lo
	s_cbranch_execz .LBB23_1748
	s_branch .LBB23_1749
.LBB23_2111:
	s_or_saveexec_b32 s6, s6
                                        ; implicit-def: $sgpr7
	s_delay_alu instid0(SALU_CYCLE_1)
	s_xor_b32 exec_lo, exec_lo, s6
	s_cbranch_execz .LBB23_1713
.LBB23_2112:
	v_add_f32_e64 v9, 0x42800000, |v3|
	s_and_not1_b32 s3, s3, exec_lo
	s_mov_b32 s7, 0
	s_delay_alu instid0(VALU_DEP_1) | instskip(NEXT) | instid1(VALU_DEP_1)
	v_and_b32_e32 v9, 0xff, v9
	v_cmp_ne_u32_e32 vcc_lo, 0, v9
	s_and_b32 s10, vcc_lo, exec_lo
	s_delay_alu instid0(SALU_CYCLE_1)
	s_or_b32 s3, s3, s10
	s_or_b32 exec_lo, exec_lo, s6
	v_mov_b32_e32 v13, s7
	s_and_saveexec_b32 s6, s3
	s_cbranch_execnz .LBB23_1714
	s_branch .LBB23_1715
.LBB23_2113:
	s_or_saveexec_b32 s7, s7
                                        ; implicit-def: $sgpr10
	s_delay_alu instid0(SALU_CYCLE_1)
	s_xor_b32 exec_lo, exec_lo, s7
	s_cbranch_execz .LBB23_1818
.LBB23_2114:
	v_add_f32_e64 v10, 0x46000000, |v9|
	s_and_not1_b32 s6, s6, exec_lo
	s_mov_b32 s10, 0
	s_delay_alu instid0(VALU_DEP_1) | instskip(NEXT) | instid1(VALU_DEP_1)
	v_and_b32_e32 v10, 0xff, v10
	v_cmp_ne_u32_e32 vcc_lo, 0, v10
	s_and_b32 s11, vcc_lo, exec_lo
	s_delay_alu instid0(SALU_CYCLE_1)
	s_or_b32 s6, s6, s11
	s_or_b32 exec_lo, exec_lo, s7
	v_mov_b32_e32 v11, s10
	s_and_saveexec_b32 s7, s6
	s_cbranch_execnz .LBB23_1819
	s_branch .LBB23_1820
.LBB23_2115:
	s_trap 2
	s_sendmsg_rtn_b32 s0, sendmsg(MSG_RTN_GET_DOORBELL)
	s_mov_b32 ttmp2, m0
	s_waitcnt lgkmcnt(0)
	s_and_b32 s0, s0, 0x3ff
	s_delay_alu instid0(SALU_CYCLE_1) | instskip(NEXT) | instid1(SALU_CYCLE_1)
	s_bitset1_b32 s0, 10
	s_mov_b32 m0, s0
	s_sendmsg sendmsg(MSG_INTERRUPT)
	s_mov_b32 m0, ttmp2
.LBB23_2116:                            ; =>This Inner Loop Header: Depth=1
	s_sethalt 5
	s_branch .LBB23_2116
.LBB23_2117:
	s_cbranch_execnz .LBB23_2123
; %bb.2118:
	s_or_b32 s1, s1, exec_lo
	s_cbranch_execz .LBB23_1866
	s_branch .LBB23_1867
.LBB23_2119:
	s_or_saveexec_b32 s6, s6
                                        ; implicit-def: $sgpr7
	s_delay_alu instid0(SALU_CYCLE_1)
	s_xor_b32 exec_lo, exec_lo, s6
	s_cbranch_execz .LBB23_1831
.LBB23_2120:
	v_add_f32_e64 v10, 0x42800000, |v9|
	s_and_not1_b32 s3, s3, exec_lo
	s_mov_b32 s7, 0
	s_delay_alu instid0(VALU_DEP_1) | instskip(NEXT) | instid1(VALU_DEP_1)
	v_and_b32_e32 v10, 0xff, v10
	v_cmp_ne_u32_e32 vcc_lo, 0, v10
	s_and_b32 s10, vcc_lo, exec_lo
	s_delay_alu instid0(SALU_CYCLE_1)
	s_or_b32 s3, s3, s10
	s_or_b32 exec_lo, exec_lo, s6
	v_mov_b32_e32 v11, s7
	s_and_saveexec_b32 s6, s3
	s_cbranch_execnz .LBB23_1832
	s_branch .LBB23_1833
.LBB23_2121:
	s_or_saveexec_b32 s7, s7
                                        ; implicit-def: $sgpr10
	s_delay_alu instid0(SALU_CYCLE_1)
	s_xor_b32 exec_lo, exec_lo, s7
	s_cbranch_execz .LBB23_1936
.LBB23_2122:
	v_add_f32_e64 v8, 0x46000000, |v7|
	s_and_not1_b32 s6, s6, exec_lo
	s_mov_b32 s10, 0
	s_delay_alu instid0(VALU_DEP_1) | instskip(NEXT) | instid1(VALU_DEP_1)
	v_and_b32_e32 v8, 0xff, v8
	v_cmp_ne_u32_e32 vcc_lo, 0, v8
	s_and_b32 s11, vcc_lo, exec_lo
	s_delay_alu instid0(SALU_CYCLE_1)
	s_or_b32 s6, s6, s11
	s_or_b32 exec_lo, exec_lo, s7
	v_mov_b32_e32 v9, s10
	s_and_saveexec_b32 s7, s6
	s_cbranch_execnz .LBB23_1937
	s_branch .LBB23_1938
.LBB23_2123:
	s_trap 2
	s_sendmsg_rtn_b32 s0, sendmsg(MSG_RTN_GET_DOORBELL)
	s_mov_b32 ttmp2, m0
	s_waitcnt lgkmcnt(0)
	s_and_b32 s0, s0, 0x3ff
	s_delay_alu instid0(SALU_CYCLE_1) | instskip(NEXT) | instid1(SALU_CYCLE_1)
	s_bitset1_b32 s0, 10
	s_mov_b32 m0, s0
	s_sendmsg sendmsg(MSG_INTERRUPT)
	s_mov_b32 m0, ttmp2
.LBB23_2124:                            ; =>This Inner Loop Header: Depth=1
	s_sethalt 5
	s_branch .LBB23_2124
.LBB23_2125:
	s_cbranch_execnz .LBB23_2131
; %bb.2126:
	s_or_b32 s1, s1, exec_lo
	s_cbranch_execz .LBB23_1984
	s_branch .LBB23_1985
.LBB23_2127:
	s_or_saveexec_b32 s6, s6
                                        ; implicit-def: $sgpr7
	s_delay_alu instid0(SALU_CYCLE_1)
	s_xor_b32 exec_lo, exec_lo, s6
	s_cbranch_execz .LBB23_1949
.LBB23_2128:
	v_add_f32_e64 v8, 0x42800000, |v7|
	s_and_not1_b32 s3, s3, exec_lo
	s_mov_b32 s7, 0
	s_delay_alu instid0(VALU_DEP_1) | instskip(NEXT) | instid1(VALU_DEP_1)
	v_and_b32_e32 v8, 0xff, v8
	v_cmp_ne_u32_e32 vcc_lo, 0, v8
	s_and_b32 s10, vcc_lo, exec_lo
	s_delay_alu instid0(SALU_CYCLE_1)
	s_or_b32 s3, s3, s10
	s_or_b32 exec_lo, exec_lo, s6
	v_mov_b32_e32 v9, s7
	s_and_saveexec_b32 s6, s3
	s_cbranch_execnz .LBB23_1950
	s_branch .LBB23_1951
.LBB23_2129:
	s_or_saveexec_b32 s5, s5
                                        ; implicit-def: $sgpr6
	s_delay_alu instid0(SALU_CYCLE_1)
	s_xor_b32 exec_lo, exec_lo, s5
	s_cbranch_execz .LBB23_2055
.LBB23_2130:
	v_add_f32_e64 v6, 0x46000000, |v3|
	s_and_not1_b32 s4, s4, exec_lo
	s_mov_b32 s6, 0
	s_delay_alu instid0(VALU_DEP_1) | instskip(NEXT) | instid1(VALU_DEP_1)
	v_and_b32_e32 v6, 0xff, v6
	v_cmp_ne_u32_e32 vcc_lo, 0, v6
	s_and_b32 s7, vcc_lo, exec_lo
	s_delay_alu instid0(SALU_CYCLE_1)
	s_or_b32 s4, s4, s7
	s_or_b32 exec_lo, exec_lo, s5
	v_mov_b32_e32 v7, s6
	s_and_saveexec_b32 s5, s4
	s_cbranch_execnz .LBB23_2056
	s_branch .LBB23_2057
.LBB23_2131:
	s_trap 2
	s_sendmsg_rtn_b32 s0, sendmsg(MSG_RTN_GET_DOORBELL)
	s_mov_b32 ttmp2, m0
	s_waitcnt lgkmcnt(0)
	s_and_b32 s0, s0, 0x3ff
	s_delay_alu instid0(SALU_CYCLE_1) | instskip(NEXT) | instid1(SALU_CYCLE_1)
	s_bitset1_b32 s0, 10
	s_mov_b32 m0, s0
	s_sendmsg sendmsg(MSG_INTERRUPT)
	s_mov_b32 m0, ttmp2
.LBB23_2132:                            ; =>This Inner Loop Header: Depth=1
	s_sethalt 5
	s_branch .LBB23_2132
.LBB23_2133:
	s_cbranch_execnz .LBB23_2137
; %bb.2134:
	s_mov_b32 s2, 0
	s_or_b32 s1, s1, exec_lo
	s_branch .LBB23_2101
.LBB23_2135:
	s_or_saveexec_b32 s4, s4
                                        ; implicit-def: $sgpr5
	s_delay_alu instid0(SALU_CYCLE_1)
	s_xor_b32 exec_lo, exec_lo, s4
	s_cbranch_execz .LBB23_2067
.LBB23_2136:
	v_add_f32_e64 v6, 0x42800000, |v3|
	s_and_not1_b32 s3, s3, exec_lo
	s_mov_b32 s5, 0
	s_delay_alu instid0(VALU_DEP_1) | instskip(NEXT) | instid1(VALU_DEP_1)
	v_and_b32_e32 v6, 0xff, v6
	v_cmp_ne_u32_e32 vcc_lo, 0, v6
	s_and_b32 s6, vcc_lo, exec_lo
	s_delay_alu instid0(SALU_CYCLE_1)
	s_or_b32 s3, s3, s6
	s_or_b32 exec_lo, exec_lo, s4
	v_mov_b32_e32 v7, s5
	s_and_saveexec_b32 s4, s3
	s_cbranch_execnz .LBB23_2068
	s_branch .LBB23_2069
.LBB23_2137:
	s_trap 2
	s_sendmsg_rtn_b32 s0, sendmsg(MSG_RTN_GET_DOORBELL)
	s_mov_b32 ttmp2, m0
	s_waitcnt lgkmcnt(0)
	s_and_b32 s0, s0, 0x3ff
	s_delay_alu instid0(SALU_CYCLE_1) | instskip(NEXT) | instid1(SALU_CYCLE_1)
	s_bitset1_b32 s0, 10
	s_mov_b32 m0, s0
	s_sendmsg sendmsg(MSG_INTERRUPT)
	s_mov_b32 m0, ttmp2
.LBB23_2138:                            ; =>This Inner Loop Header: Depth=1
	s_sethalt 5
	s_branch .LBB23_2138
	.section	.rodata,"a",@progbits
	.p2align	6, 0x0
	.amdhsa_kernel _ZN2at6native32elementwise_kernel_manual_unrollILi128ELi4EZNS0_15gpu_kernel_implIZZZNS0_23bitwise_not_kernel_cudaERNS_18TensorIteratorBaseEENKUlvE_clEvENKUlvE0_clEvEUlaE_EEvS4_RKT_EUlibE0_EEviT1_
		.amdhsa_group_segment_fixed_size 0
		.amdhsa_private_segment_fixed_size 0
		.amdhsa_kernarg_size 360
		.amdhsa_user_sgpr_count 15
		.amdhsa_user_sgpr_dispatch_ptr 0
		.amdhsa_user_sgpr_queue_ptr 0
		.amdhsa_user_sgpr_kernarg_segment_ptr 1
		.amdhsa_user_sgpr_dispatch_id 0
		.amdhsa_user_sgpr_private_segment_size 0
		.amdhsa_wavefront_size32 1
		.amdhsa_uses_dynamic_stack 0
		.amdhsa_enable_private_segment 0
		.amdhsa_system_sgpr_workgroup_id_x 1
		.amdhsa_system_sgpr_workgroup_id_y 0
		.amdhsa_system_sgpr_workgroup_id_z 0
		.amdhsa_system_sgpr_workgroup_info 0
		.amdhsa_system_vgpr_workitem_id 0
		.amdhsa_next_free_vgpr 18
		.amdhsa_next_free_sgpr 68
		.amdhsa_reserve_vcc 1
		.amdhsa_float_round_mode_32 0
		.amdhsa_float_round_mode_16_64 0
		.amdhsa_float_denorm_mode_32 3
		.amdhsa_float_denorm_mode_16_64 3
		.amdhsa_dx10_clamp 1
		.amdhsa_ieee_mode 1
		.amdhsa_fp16_overflow 0
		.amdhsa_workgroup_processor_mode 1
		.amdhsa_memory_ordered 1
		.amdhsa_forward_progress 0
		.amdhsa_shared_vgpr_count 0
		.amdhsa_exception_fp_ieee_invalid_op 0
		.amdhsa_exception_fp_denorm_src 0
		.amdhsa_exception_fp_ieee_div_zero 0
		.amdhsa_exception_fp_ieee_overflow 0
		.amdhsa_exception_fp_ieee_underflow 0
		.amdhsa_exception_fp_ieee_inexact 0
		.amdhsa_exception_int_div_zero 0
	.end_amdhsa_kernel
	.section	.text._ZN2at6native32elementwise_kernel_manual_unrollILi128ELi4EZNS0_15gpu_kernel_implIZZZNS0_23bitwise_not_kernel_cudaERNS_18TensorIteratorBaseEENKUlvE_clEvENKUlvE0_clEvEUlaE_EEvS4_RKT_EUlibE0_EEviT1_,"axG",@progbits,_ZN2at6native32elementwise_kernel_manual_unrollILi128ELi4EZNS0_15gpu_kernel_implIZZZNS0_23bitwise_not_kernel_cudaERNS_18TensorIteratorBaseEENKUlvE_clEvENKUlvE0_clEvEUlaE_EEvS4_RKT_EUlibE0_EEviT1_,comdat
.Lfunc_end23:
	.size	_ZN2at6native32elementwise_kernel_manual_unrollILi128ELi4EZNS0_15gpu_kernel_implIZZZNS0_23bitwise_not_kernel_cudaERNS_18TensorIteratorBaseEENKUlvE_clEvENKUlvE0_clEvEUlaE_EEvS4_RKT_EUlibE0_EEviT1_, .Lfunc_end23-_ZN2at6native32elementwise_kernel_manual_unrollILi128ELi4EZNS0_15gpu_kernel_implIZZZNS0_23bitwise_not_kernel_cudaERNS_18TensorIteratorBaseEENKUlvE_clEvENKUlvE0_clEvEUlaE_EEvS4_RKT_EUlibE0_EEviT1_
                                        ; -- End function
	.section	.AMDGPU.csdata,"",@progbits
; Kernel info:
; codeLenInByte = 40768
; NumSgprs: 70
; NumVgprs: 18
; ScratchSize: 0
; MemoryBound: 1
; FloatMode: 240
; IeeeMode: 1
; LDSByteSize: 0 bytes/workgroup (compile time only)
; SGPRBlocks: 8
; VGPRBlocks: 2
; NumSGPRsForWavesPerEU: 70
; NumVGPRsForWavesPerEU: 18
; Occupancy: 16
; WaveLimiterHint : 1
; COMPUTE_PGM_RSRC2:SCRATCH_EN: 0
; COMPUTE_PGM_RSRC2:USER_SGPR: 15
; COMPUTE_PGM_RSRC2:TRAP_HANDLER: 0
; COMPUTE_PGM_RSRC2:TGID_X_EN: 1
; COMPUTE_PGM_RSRC2:TGID_Y_EN: 0
; COMPUTE_PGM_RSRC2:TGID_Z_EN: 0
; COMPUTE_PGM_RSRC2:TIDIG_COMP_CNT: 0
	.section	.text._ZN2at6native29vectorized_elementwise_kernelILi16EZZZNS0_23bitwise_not_kernel_cudaERNS_18TensorIteratorBaseEENKUlvE_clEvENKUlvE1_clEvEUliE_St5arrayIPcLm2EEEEviT0_T1_,"axG",@progbits,_ZN2at6native29vectorized_elementwise_kernelILi16EZZZNS0_23bitwise_not_kernel_cudaERNS_18TensorIteratorBaseEENKUlvE_clEvENKUlvE1_clEvEUliE_St5arrayIPcLm2EEEEviT0_T1_,comdat
	.globl	_ZN2at6native29vectorized_elementwise_kernelILi16EZZZNS0_23bitwise_not_kernel_cudaERNS_18TensorIteratorBaseEENKUlvE_clEvENKUlvE1_clEvEUliE_St5arrayIPcLm2EEEEviT0_T1_ ; -- Begin function _ZN2at6native29vectorized_elementwise_kernelILi16EZZZNS0_23bitwise_not_kernel_cudaERNS_18TensorIteratorBaseEENKUlvE_clEvENKUlvE1_clEvEUliE_St5arrayIPcLm2EEEEviT0_T1_
	.p2align	8
	.type	_ZN2at6native29vectorized_elementwise_kernelILi16EZZZNS0_23bitwise_not_kernel_cudaERNS_18TensorIteratorBaseEENKUlvE_clEvENKUlvE1_clEvEUliE_St5arrayIPcLm2EEEEviT0_T1_,@function
_ZN2at6native29vectorized_elementwise_kernelILi16EZZZNS0_23bitwise_not_kernel_cudaERNS_18TensorIteratorBaseEENKUlvE_clEvENKUlvE1_clEvEUliE_St5arrayIPcLm2EEEEviT0_T1_: ; @_ZN2at6native29vectorized_elementwise_kernelILi16EZZZNS0_23bitwise_not_kernel_cudaERNS_18TensorIteratorBaseEENKUlvE_clEvENKUlvE1_clEvEUliE_St5arrayIPcLm2EEEEviT0_T1_
; %bb.0:
	s_clause 0x1
	s_load_b32 s3, s[0:1], 0x0
	s_load_b128 s[4:7], s[0:1], 0x8
	s_lshl_b32 s2, s15, 10
	s_mov_b32 s0, -1
	s_waitcnt lgkmcnt(0)
	s_sub_i32 s1, s3, s2
	s_delay_alu instid0(SALU_CYCLE_1)
	s_cmpk_gt_i32 s1, 0x3ff
	s_cbranch_scc0 .LBB24_2
; %bb.1:
	s_ashr_i32 s3, s2, 31
	v_lshlrev_b32_e32 v5, 4, v0
	s_lshl_b64 s[8:9], s[2:3], 2
	s_mov_b32 s0, 0
	s_add_u32 s10, s6, s8
	s_addc_u32 s11, s7, s9
	s_add_u32 s8, s4, s8
	global_load_b128 v[1:4], v5, s[10:11]
	s_addc_u32 s9, s5, s9
	s_waitcnt vmcnt(0)
	v_not_b32_e32 v1, v1
	v_not_b32_e32 v2, v2
	v_not_b32_e32 v3, v3
	v_not_b32_e32 v4, v4
	global_store_b128 v5, v[1:4], s[8:9]
.LBB24_2:
	s_and_not1_b32 vcc_lo, exec_lo, s0
	s_cbranch_vccnz .LBB24_14
; %bb.3:
	v_cmp_gt_i32_e32 vcc_lo, s1, v0
	v_dual_mov_b32 v3, -1 :: v_dual_mov_b32 v6, -1
	v_or_b32_e32 v1, s2, v0
	v_or_b32_e32 v4, 0x100, v0
	v_mov_b32_e32 v2, v0
	s_and_saveexec_b32 s3, vcc_lo
	s_cbranch_execz .LBB24_5
; %bb.4:
	v_mov_b32_e32 v2, 0
	s_delay_alu instid0(VALU_DEP_1) | instskip(SKIP_1) | instid1(VALU_DEP_2)
	v_lshlrev_b64 v[5:6], 2, v[1:2]
	v_or_b32_e32 v2, 0x100, v0
	v_add_co_u32 v5, s0, s6, v5
	s_delay_alu instid0(VALU_DEP_1)
	v_add_co_ci_u32_e64 v6, s0, s7, v6, s0
	global_load_b32 v5, v[5:6], off
	s_waitcnt vmcnt(0)
	v_not_b32_e32 v6, v5
.LBB24_5:
	s_or_b32 exec_lo, exec_lo, s3
	s_delay_alu instid0(SALU_CYCLE_1)
	s_mov_b32 s3, exec_lo
	v_cmpx_gt_i32_e64 s1, v2
	s_cbranch_execz .LBB24_7
; %bb.6:
	v_dual_mov_b32 v8, 0 :: v_dual_add_nc_u32 v7, s2, v2
	v_add_nc_u32_e32 v2, 0x100, v2
	s_delay_alu instid0(VALU_DEP_2) | instskip(NEXT) | instid1(VALU_DEP_1)
	v_lshlrev_b64 v[7:8], 2, v[7:8]
	v_add_co_u32 v7, s0, s6, v7
	s_delay_alu instid0(VALU_DEP_1)
	v_add_co_ci_u32_e64 v8, s0, s7, v8, s0
	global_load_b32 v3, v[7:8], off
	s_waitcnt vmcnt(0)
	v_not_b32_e32 v3, v3
.LBB24_7:
	s_or_b32 exec_lo, exec_lo, s3
	v_mov_b32_e32 v5, -1
	v_mov_b32_e32 v7, -1
	s_mov_b32 s3, exec_lo
	v_cmpx_gt_i32_e64 s1, v2
	s_cbranch_execnz .LBB24_15
; %bb.8:
	s_or_b32 exec_lo, exec_lo, s3
	s_delay_alu instid0(SALU_CYCLE_1)
	s_mov_b32 s3, exec_lo
	v_cmpx_gt_i32_e64 s1, v2
	s_cbranch_execnz .LBB24_16
.LBB24_9:
	s_or_b32 exec_lo, exec_lo, s3
	s_and_saveexec_b32 s0, vcc_lo
	s_cbranch_execnz .LBB24_17
.LBB24_10:
	s_or_b32 exec_lo, exec_lo, s0
	s_delay_alu instid0(SALU_CYCLE_1)
	s_mov_b32 s0, exec_lo
	v_cmpx_gt_i32_e64 s1, v0
	s_cbranch_execnz .LBB24_18
.LBB24_11:
	s_or_b32 exec_lo, exec_lo, s0
	s_delay_alu instid0(SALU_CYCLE_1)
	s_mov_b32 s0, exec_lo
	v_cmpx_gt_i32_e64 s1, v0
	s_cbranch_execnz .LBB24_19
.LBB24_12:
	s_or_b32 exec_lo, exec_lo, s0
	s_delay_alu instid0(SALU_CYCLE_1)
	s_mov_b32 s0, exec_lo
	v_cmpx_gt_i32_e64 s1, v0
	s_cbranch_execz .LBB24_14
.LBB24_13:
	v_dual_mov_b32 v1, 0 :: v_dual_add_nc_u32 v0, s2, v0
	s_delay_alu instid0(VALU_DEP_1) | instskip(NEXT) | instid1(VALU_DEP_1)
	v_lshlrev_b64 v[0:1], 2, v[0:1]
	v_add_co_u32 v0, vcc_lo, s4, v0
	s_delay_alu instid0(VALU_DEP_2)
	v_add_co_ci_u32_e32 v1, vcc_lo, s5, v1, vcc_lo
	global_store_b32 v[0:1], v5, off
.LBB24_14:
	s_nop 0
	s_sendmsg sendmsg(MSG_DEALLOC_VGPRS)
	s_endpgm
.LBB24_15:
	v_dual_mov_b32 v8, 0 :: v_dual_add_nc_u32 v7, s2, v2
	v_add_nc_u32_e32 v2, 0x100, v2
	s_delay_alu instid0(VALU_DEP_2) | instskip(NEXT) | instid1(VALU_DEP_1)
	v_lshlrev_b64 v[7:8], 2, v[7:8]
	v_add_co_u32 v7, s0, s6, v7
	s_delay_alu instid0(VALU_DEP_1) | instskip(SKIP_4) | instid1(SALU_CYCLE_1)
	v_add_co_ci_u32_e64 v8, s0, s7, v8, s0
	global_load_b32 v7, v[7:8], off
	s_waitcnt vmcnt(0)
	v_not_b32_e32 v7, v7
	s_or_b32 exec_lo, exec_lo, s3
	s_mov_b32 s3, exec_lo
	v_cmpx_gt_i32_e64 s1, v2
	s_cbranch_execz .LBB24_9
.LBB24_16:
	v_dual_mov_b32 v9, 0 :: v_dual_add_nc_u32 v8, s2, v2
	s_delay_alu instid0(VALU_DEP_1) | instskip(NEXT) | instid1(VALU_DEP_1)
	v_lshlrev_b64 v[8:9], 2, v[8:9]
	v_add_co_u32 v8, s0, s6, v8
	s_delay_alu instid0(VALU_DEP_1)
	v_add_co_ci_u32_e64 v9, s0, s7, v9, s0
	global_load_b32 v2, v[8:9], off
	s_waitcnt vmcnt(0)
	v_not_b32_e32 v5, v2
	s_or_b32 exec_lo, exec_lo, s3
	s_and_saveexec_b32 s0, vcc_lo
	s_cbranch_execz .LBB24_10
.LBB24_17:
	v_mov_b32_e32 v2, 0
	s_delay_alu instid0(VALU_DEP_1) | instskip(NEXT) | instid1(VALU_DEP_1)
	v_lshlrev_b64 v[0:1], 2, v[1:2]
	v_add_co_u32 v8, vcc_lo, s4, v0
	s_delay_alu instid0(VALU_DEP_2) | instskip(SKIP_3) | instid1(SALU_CYCLE_1)
	v_add_co_ci_u32_e32 v9, vcc_lo, s5, v1, vcc_lo
	v_mov_b32_e32 v0, v4
	global_store_b32 v[8:9], v6, off
	s_or_b32 exec_lo, exec_lo, s0
	s_mov_b32 s0, exec_lo
	v_cmpx_gt_i32_e64 s1, v0
	s_cbranch_execz .LBB24_11
.LBB24_18:
	v_dual_mov_b32 v2, 0 :: v_dual_add_nc_u32 v1, s2, v0
	v_add_nc_u32_e32 v0, 0x100, v0
	s_delay_alu instid0(VALU_DEP_2) | instskip(NEXT) | instid1(VALU_DEP_1)
	v_lshlrev_b64 v[1:2], 2, v[1:2]
	v_add_co_u32 v1, vcc_lo, s4, v1
	s_delay_alu instid0(VALU_DEP_2) | instskip(SKIP_2) | instid1(SALU_CYCLE_1)
	v_add_co_ci_u32_e32 v2, vcc_lo, s5, v2, vcc_lo
	global_store_b32 v[1:2], v3, off
	s_or_b32 exec_lo, exec_lo, s0
	s_mov_b32 s0, exec_lo
	v_cmpx_gt_i32_e64 s1, v0
	s_cbranch_execz .LBB24_12
.LBB24_19:
	v_dual_mov_b32 v2, 0 :: v_dual_add_nc_u32 v1, s2, v0
	v_add_nc_u32_e32 v0, 0x100, v0
	s_delay_alu instid0(VALU_DEP_2) | instskip(NEXT) | instid1(VALU_DEP_1)
	v_lshlrev_b64 v[1:2], 2, v[1:2]
	v_add_co_u32 v1, vcc_lo, s4, v1
	s_delay_alu instid0(VALU_DEP_2) | instskip(SKIP_2) | instid1(SALU_CYCLE_1)
	v_add_co_ci_u32_e32 v2, vcc_lo, s5, v2, vcc_lo
	global_store_b32 v[1:2], v7, off
	s_or_b32 exec_lo, exec_lo, s0
	s_mov_b32 s0, exec_lo
	v_cmpx_gt_i32_e64 s1, v0
	s_cbranch_execnz .LBB24_13
	s_branch .LBB24_14
	.section	.rodata,"a",@progbits
	.p2align	6, 0x0
	.amdhsa_kernel _ZN2at6native29vectorized_elementwise_kernelILi16EZZZNS0_23bitwise_not_kernel_cudaERNS_18TensorIteratorBaseEENKUlvE_clEvENKUlvE1_clEvEUliE_St5arrayIPcLm2EEEEviT0_T1_
		.amdhsa_group_segment_fixed_size 0
		.amdhsa_private_segment_fixed_size 0
		.amdhsa_kernarg_size 24
		.amdhsa_user_sgpr_count 15
		.amdhsa_user_sgpr_dispatch_ptr 0
		.amdhsa_user_sgpr_queue_ptr 0
		.amdhsa_user_sgpr_kernarg_segment_ptr 1
		.amdhsa_user_sgpr_dispatch_id 0
		.amdhsa_user_sgpr_private_segment_size 0
		.amdhsa_wavefront_size32 1
		.amdhsa_uses_dynamic_stack 0
		.amdhsa_enable_private_segment 0
		.amdhsa_system_sgpr_workgroup_id_x 1
		.amdhsa_system_sgpr_workgroup_id_y 0
		.amdhsa_system_sgpr_workgroup_id_z 0
		.amdhsa_system_sgpr_workgroup_info 0
		.amdhsa_system_vgpr_workitem_id 0
		.amdhsa_next_free_vgpr 10
		.amdhsa_next_free_sgpr 16
		.amdhsa_reserve_vcc 1
		.amdhsa_float_round_mode_32 0
		.amdhsa_float_round_mode_16_64 0
		.amdhsa_float_denorm_mode_32 3
		.amdhsa_float_denorm_mode_16_64 3
		.amdhsa_dx10_clamp 1
		.amdhsa_ieee_mode 1
		.amdhsa_fp16_overflow 0
		.amdhsa_workgroup_processor_mode 1
		.amdhsa_memory_ordered 1
		.amdhsa_forward_progress 0
		.amdhsa_shared_vgpr_count 0
		.amdhsa_exception_fp_ieee_invalid_op 0
		.amdhsa_exception_fp_denorm_src 0
		.amdhsa_exception_fp_ieee_div_zero 0
		.amdhsa_exception_fp_ieee_overflow 0
		.amdhsa_exception_fp_ieee_underflow 0
		.amdhsa_exception_fp_ieee_inexact 0
		.amdhsa_exception_int_div_zero 0
	.end_amdhsa_kernel
	.section	.text._ZN2at6native29vectorized_elementwise_kernelILi16EZZZNS0_23bitwise_not_kernel_cudaERNS_18TensorIteratorBaseEENKUlvE_clEvENKUlvE1_clEvEUliE_St5arrayIPcLm2EEEEviT0_T1_,"axG",@progbits,_ZN2at6native29vectorized_elementwise_kernelILi16EZZZNS0_23bitwise_not_kernel_cudaERNS_18TensorIteratorBaseEENKUlvE_clEvENKUlvE1_clEvEUliE_St5arrayIPcLm2EEEEviT0_T1_,comdat
.Lfunc_end24:
	.size	_ZN2at6native29vectorized_elementwise_kernelILi16EZZZNS0_23bitwise_not_kernel_cudaERNS_18TensorIteratorBaseEENKUlvE_clEvENKUlvE1_clEvEUliE_St5arrayIPcLm2EEEEviT0_T1_, .Lfunc_end24-_ZN2at6native29vectorized_elementwise_kernelILi16EZZZNS0_23bitwise_not_kernel_cudaERNS_18TensorIteratorBaseEENKUlvE_clEvENKUlvE1_clEvEUliE_St5arrayIPcLm2EEEEviT0_T1_
                                        ; -- End function
	.section	.AMDGPU.csdata,"",@progbits
; Kernel info:
; codeLenInByte = 864
; NumSgprs: 18
; NumVgprs: 10
; ScratchSize: 0
; MemoryBound: 0
; FloatMode: 240
; IeeeMode: 1
; LDSByteSize: 0 bytes/workgroup (compile time only)
; SGPRBlocks: 2
; VGPRBlocks: 1
; NumSGPRsForWavesPerEU: 18
; NumVGPRsForWavesPerEU: 10
; Occupancy: 16
; WaveLimiterHint : 0
; COMPUTE_PGM_RSRC2:SCRATCH_EN: 0
; COMPUTE_PGM_RSRC2:USER_SGPR: 15
; COMPUTE_PGM_RSRC2:TRAP_HANDLER: 0
; COMPUTE_PGM_RSRC2:TGID_X_EN: 1
; COMPUTE_PGM_RSRC2:TGID_Y_EN: 0
; COMPUTE_PGM_RSRC2:TGID_Z_EN: 0
; COMPUTE_PGM_RSRC2:TIDIG_COMP_CNT: 0
	.section	.text._ZN2at6native29vectorized_elementwise_kernelILi8EZZZNS0_23bitwise_not_kernel_cudaERNS_18TensorIteratorBaseEENKUlvE_clEvENKUlvE1_clEvEUliE_St5arrayIPcLm2EEEEviT0_T1_,"axG",@progbits,_ZN2at6native29vectorized_elementwise_kernelILi8EZZZNS0_23bitwise_not_kernel_cudaERNS_18TensorIteratorBaseEENKUlvE_clEvENKUlvE1_clEvEUliE_St5arrayIPcLm2EEEEviT0_T1_,comdat
	.globl	_ZN2at6native29vectorized_elementwise_kernelILi8EZZZNS0_23bitwise_not_kernel_cudaERNS_18TensorIteratorBaseEENKUlvE_clEvENKUlvE1_clEvEUliE_St5arrayIPcLm2EEEEviT0_T1_ ; -- Begin function _ZN2at6native29vectorized_elementwise_kernelILi8EZZZNS0_23bitwise_not_kernel_cudaERNS_18TensorIteratorBaseEENKUlvE_clEvENKUlvE1_clEvEUliE_St5arrayIPcLm2EEEEviT0_T1_
	.p2align	8
	.type	_ZN2at6native29vectorized_elementwise_kernelILi8EZZZNS0_23bitwise_not_kernel_cudaERNS_18TensorIteratorBaseEENKUlvE_clEvENKUlvE1_clEvEUliE_St5arrayIPcLm2EEEEviT0_T1_,@function
_ZN2at6native29vectorized_elementwise_kernelILi8EZZZNS0_23bitwise_not_kernel_cudaERNS_18TensorIteratorBaseEENKUlvE_clEvENKUlvE1_clEvEUliE_St5arrayIPcLm2EEEEviT0_T1_: ; @_ZN2at6native29vectorized_elementwise_kernelILi8EZZZNS0_23bitwise_not_kernel_cudaERNS_18TensorIteratorBaseEENKUlvE_clEvENKUlvE1_clEvEUliE_St5arrayIPcLm2EEEEviT0_T1_
; %bb.0:
	s_clause 0x1
	s_load_b32 s3, s[0:1], 0x0
	s_load_b128 s[4:7], s[0:1], 0x8
	s_lshl_b32 s2, s15, 10
	s_mov_b32 s0, -1
	s_waitcnt lgkmcnt(0)
	s_sub_i32 s1, s3, s2
	s_delay_alu instid0(SALU_CYCLE_1)
	s_cmpk_gt_i32 s1, 0x3ff
	s_cbranch_scc0 .LBB25_2
; %bb.1:
	s_ashr_i32 s3, s2, 31
	v_lshlrev_b32_e32 v5, 4, v0
	s_lshl_b64 s[8:9], s[2:3], 2
	s_mov_b32 s0, 0
	s_add_u32 s10, s6, s8
	s_addc_u32 s11, s7, s9
	s_add_u32 s8, s4, s8
	global_load_b128 v[1:4], v5, s[10:11]
	s_addc_u32 s9, s5, s9
	s_waitcnt vmcnt(0)
	v_not_b32_e32 v1, v1
	v_not_b32_e32 v2, v2
	;; [unrolled: 1-line block ×4, first 2 shown]
	global_store_b128 v5, v[1:4], s[8:9]
.LBB25_2:
	s_and_not1_b32 vcc_lo, exec_lo, s0
	s_cbranch_vccnz .LBB25_14
; %bb.3:
	v_cmp_gt_i32_e32 vcc_lo, s1, v0
	v_dual_mov_b32 v3, -1 :: v_dual_mov_b32 v6, -1
	v_or_b32_e32 v1, s2, v0
	v_or_b32_e32 v4, 0x100, v0
	v_mov_b32_e32 v2, v0
	s_and_saveexec_b32 s3, vcc_lo
	s_cbranch_execz .LBB25_5
; %bb.4:
	v_mov_b32_e32 v2, 0
	s_delay_alu instid0(VALU_DEP_1) | instskip(SKIP_1) | instid1(VALU_DEP_2)
	v_lshlrev_b64 v[5:6], 2, v[1:2]
	v_or_b32_e32 v2, 0x100, v0
	v_add_co_u32 v5, s0, s6, v5
	s_delay_alu instid0(VALU_DEP_1)
	v_add_co_ci_u32_e64 v6, s0, s7, v6, s0
	global_load_b32 v5, v[5:6], off
	s_waitcnt vmcnt(0)
	v_not_b32_e32 v6, v5
.LBB25_5:
	s_or_b32 exec_lo, exec_lo, s3
	s_delay_alu instid0(SALU_CYCLE_1)
	s_mov_b32 s3, exec_lo
	v_cmpx_gt_i32_e64 s1, v2
	s_cbranch_execz .LBB25_7
; %bb.6:
	v_dual_mov_b32 v8, 0 :: v_dual_add_nc_u32 v7, s2, v2
	v_add_nc_u32_e32 v2, 0x100, v2
	s_delay_alu instid0(VALU_DEP_2) | instskip(NEXT) | instid1(VALU_DEP_1)
	v_lshlrev_b64 v[7:8], 2, v[7:8]
	v_add_co_u32 v7, s0, s6, v7
	s_delay_alu instid0(VALU_DEP_1)
	v_add_co_ci_u32_e64 v8, s0, s7, v8, s0
	global_load_b32 v3, v[7:8], off
	s_waitcnt vmcnt(0)
	v_not_b32_e32 v3, v3
.LBB25_7:
	s_or_b32 exec_lo, exec_lo, s3
	v_mov_b32_e32 v5, -1
	v_mov_b32_e32 v7, -1
	s_mov_b32 s3, exec_lo
	v_cmpx_gt_i32_e64 s1, v2
	s_cbranch_execnz .LBB25_15
; %bb.8:
	s_or_b32 exec_lo, exec_lo, s3
	s_delay_alu instid0(SALU_CYCLE_1)
	s_mov_b32 s3, exec_lo
	v_cmpx_gt_i32_e64 s1, v2
	s_cbranch_execnz .LBB25_16
.LBB25_9:
	s_or_b32 exec_lo, exec_lo, s3
	s_and_saveexec_b32 s0, vcc_lo
	s_cbranch_execnz .LBB25_17
.LBB25_10:
	s_or_b32 exec_lo, exec_lo, s0
	s_delay_alu instid0(SALU_CYCLE_1)
	s_mov_b32 s0, exec_lo
	v_cmpx_gt_i32_e64 s1, v0
	s_cbranch_execnz .LBB25_18
.LBB25_11:
	s_or_b32 exec_lo, exec_lo, s0
	s_delay_alu instid0(SALU_CYCLE_1)
	s_mov_b32 s0, exec_lo
	v_cmpx_gt_i32_e64 s1, v0
	s_cbranch_execnz .LBB25_19
.LBB25_12:
	s_or_b32 exec_lo, exec_lo, s0
	s_delay_alu instid0(SALU_CYCLE_1)
	s_mov_b32 s0, exec_lo
	v_cmpx_gt_i32_e64 s1, v0
	s_cbranch_execz .LBB25_14
.LBB25_13:
	v_dual_mov_b32 v1, 0 :: v_dual_add_nc_u32 v0, s2, v0
	s_delay_alu instid0(VALU_DEP_1) | instskip(NEXT) | instid1(VALU_DEP_1)
	v_lshlrev_b64 v[0:1], 2, v[0:1]
	v_add_co_u32 v0, vcc_lo, s4, v0
	s_delay_alu instid0(VALU_DEP_2)
	v_add_co_ci_u32_e32 v1, vcc_lo, s5, v1, vcc_lo
	global_store_b32 v[0:1], v5, off
.LBB25_14:
	s_nop 0
	s_sendmsg sendmsg(MSG_DEALLOC_VGPRS)
	s_endpgm
.LBB25_15:
	v_dual_mov_b32 v8, 0 :: v_dual_add_nc_u32 v7, s2, v2
	v_add_nc_u32_e32 v2, 0x100, v2
	s_delay_alu instid0(VALU_DEP_2) | instskip(NEXT) | instid1(VALU_DEP_1)
	v_lshlrev_b64 v[7:8], 2, v[7:8]
	v_add_co_u32 v7, s0, s6, v7
	s_delay_alu instid0(VALU_DEP_1) | instskip(SKIP_4) | instid1(SALU_CYCLE_1)
	v_add_co_ci_u32_e64 v8, s0, s7, v8, s0
	global_load_b32 v7, v[7:8], off
	s_waitcnt vmcnt(0)
	v_not_b32_e32 v7, v7
	s_or_b32 exec_lo, exec_lo, s3
	s_mov_b32 s3, exec_lo
	v_cmpx_gt_i32_e64 s1, v2
	s_cbranch_execz .LBB25_9
.LBB25_16:
	v_dual_mov_b32 v9, 0 :: v_dual_add_nc_u32 v8, s2, v2
	s_delay_alu instid0(VALU_DEP_1) | instskip(NEXT) | instid1(VALU_DEP_1)
	v_lshlrev_b64 v[8:9], 2, v[8:9]
	v_add_co_u32 v8, s0, s6, v8
	s_delay_alu instid0(VALU_DEP_1)
	v_add_co_ci_u32_e64 v9, s0, s7, v9, s0
	global_load_b32 v2, v[8:9], off
	s_waitcnt vmcnt(0)
	v_not_b32_e32 v5, v2
	s_or_b32 exec_lo, exec_lo, s3
	s_and_saveexec_b32 s0, vcc_lo
	s_cbranch_execz .LBB25_10
.LBB25_17:
	v_mov_b32_e32 v2, 0
	s_delay_alu instid0(VALU_DEP_1) | instskip(NEXT) | instid1(VALU_DEP_1)
	v_lshlrev_b64 v[0:1], 2, v[1:2]
	v_add_co_u32 v8, vcc_lo, s4, v0
	s_delay_alu instid0(VALU_DEP_2) | instskip(SKIP_3) | instid1(SALU_CYCLE_1)
	v_add_co_ci_u32_e32 v9, vcc_lo, s5, v1, vcc_lo
	v_mov_b32_e32 v0, v4
	global_store_b32 v[8:9], v6, off
	s_or_b32 exec_lo, exec_lo, s0
	s_mov_b32 s0, exec_lo
	v_cmpx_gt_i32_e64 s1, v0
	s_cbranch_execz .LBB25_11
.LBB25_18:
	v_dual_mov_b32 v2, 0 :: v_dual_add_nc_u32 v1, s2, v0
	v_add_nc_u32_e32 v0, 0x100, v0
	s_delay_alu instid0(VALU_DEP_2) | instskip(NEXT) | instid1(VALU_DEP_1)
	v_lshlrev_b64 v[1:2], 2, v[1:2]
	v_add_co_u32 v1, vcc_lo, s4, v1
	s_delay_alu instid0(VALU_DEP_2) | instskip(SKIP_2) | instid1(SALU_CYCLE_1)
	v_add_co_ci_u32_e32 v2, vcc_lo, s5, v2, vcc_lo
	global_store_b32 v[1:2], v3, off
	s_or_b32 exec_lo, exec_lo, s0
	s_mov_b32 s0, exec_lo
	v_cmpx_gt_i32_e64 s1, v0
	s_cbranch_execz .LBB25_12
.LBB25_19:
	v_dual_mov_b32 v2, 0 :: v_dual_add_nc_u32 v1, s2, v0
	v_add_nc_u32_e32 v0, 0x100, v0
	s_delay_alu instid0(VALU_DEP_2) | instskip(NEXT) | instid1(VALU_DEP_1)
	v_lshlrev_b64 v[1:2], 2, v[1:2]
	v_add_co_u32 v1, vcc_lo, s4, v1
	s_delay_alu instid0(VALU_DEP_2) | instskip(SKIP_2) | instid1(SALU_CYCLE_1)
	v_add_co_ci_u32_e32 v2, vcc_lo, s5, v2, vcc_lo
	global_store_b32 v[1:2], v7, off
	s_or_b32 exec_lo, exec_lo, s0
	s_mov_b32 s0, exec_lo
	v_cmpx_gt_i32_e64 s1, v0
	s_cbranch_execnz .LBB25_13
	s_branch .LBB25_14
	.section	.rodata,"a",@progbits
	.p2align	6, 0x0
	.amdhsa_kernel _ZN2at6native29vectorized_elementwise_kernelILi8EZZZNS0_23bitwise_not_kernel_cudaERNS_18TensorIteratorBaseEENKUlvE_clEvENKUlvE1_clEvEUliE_St5arrayIPcLm2EEEEviT0_T1_
		.amdhsa_group_segment_fixed_size 0
		.amdhsa_private_segment_fixed_size 0
		.amdhsa_kernarg_size 24
		.amdhsa_user_sgpr_count 15
		.amdhsa_user_sgpr_dispatch_ptr 0
		.amdhsa_user_sgpr_queue_ptr 0
		.amdhsa_user_sgpr_kernarg_segment_ptr 1
		.amdhsa_user_sgpr_dispatch_id 0
		.amdhsa_user_sgpr_private_segment_size 0
		.amdhsa_wavefront_size32 1
		.amdhsa_uses_dynamic_stack 0
		.amdhsa_enable_private_segment 0
		.amdhsa_system_sgpr_workgroup_id_x 1
		.amdhsa_system_sgpr_workgroup_id_y 0
		.amdhsa_system_sgpr_workgroup_id_z 0
		.amdhsa_system_sgpr_workgroup_info 0
		.amdhsa_system_vgpr_workitem_id 0
		.amdhsa_next_free_vgpr 10
		.amdhsa_next_free_sgpr 16
		.amdhsa_reserve_vcc 1
		.amdhsa_float_round_mode_32 0
		.amdhsa_float_round_mode_16_64 0
		.amdhsa_float_denorm_mode_32 3
		.amdhsa_float_denorm_mode_16_64 3
		.amdhsa_dx10_clamp 1
		.amdhsa_ieee_mode 1
		.amdhsa_fp16_overflow 0
		.amdhsa_workgroup_processor_mode 1
		.amdhsa_memory_ordered 1
		.amdhsa_forward_progress 0
		.amdhsa_shared_vgpr_count 0
		.amdhsa_exception_fp_ieee_invalid_op 0
		.amdhsa_exception_fp_denorm_src 0
		.amdhsa_exception_fp_ieee_div_zero 0
		.amdhsa_exception_fp_ieee_overflow 0
		.amdhsa_exception_fp_ieee_underflow 0
		.amdhsa_exception_fp_ieee_inexact 0
		.amdhsa_exception_int_div_zero 0
	.end_amdhsa_kernel
	.section	.text._ZN2at6native29vectorized_elementwise_kernelILi8EZZZNS0_23bitwise_not_kernel_cudaERNS_18TensorIteratorBaseEENKUlvE_clEvENKUlvE1_clEvEUliE_St5arrayIPcLm2EEEEviT0_T1_,"axG",@progbits,_ZN2at6native29vectorized_elementwise_kernelILi8EZZZNS0_23bitwise_not_kernel_cudaERNS_18TensorIteratorBaseEENKUlvE_clEvENKUlvE1_clEvEUliE_St5arrayIPcLm2EEEEviT0_T1_,comdat
.Lfunc_end25:
	.size	_ZN2at6native29vectorized_elementwise_kernelILi8EZZZNS0_23bitwise_not_kernel_cudaERNS_18TensorIteratorBaseEENKUlvE_clEvENKUlvE1_clEvEUliE_St5arrayIPcLm2EEEEviT0_T1_, .Lfunc_end25-_ZN2at6native29vectorized_elementwise_kernelILi8EZZZNS0_23bitwise_not_kernel_cudaERNS_18TensorIteratorBaseEENKUlvE_clEvENKUlvE1_clEvEUliE_St5arrayIPcLm2EEEEviT0_T1_
                                        ; -- End function
	.section	.AMDGPU.csdata,"",@progbits
; Kernel info:
; codeLenInByte = 864
; NumSgprs: 18
; NumVgprs: 10
; ScratchSize: 0
; MemoryBound: 0
; FloatMode: 240
; IeeeMode: 1
; LDSByteSize: 0 bytes/workgroup (compile time only)
; SGPRBlocks: 2
; VGPRBlocks: 1
; NumSGPRsForWavesPerEU: 18
; NumVGPRsForWavesPerEU: 10
; Occupancy: 16
; WaveLimiterHint : 0
; COMPUTE_PGM_RSRC2:SCRATCH_EN: 0
; COMPUTE_PGM_RSRC2:USER_SGPR: 15
; COMPUTE_PGM_RSRC2:TRAP_HANDLER: 0
; COMPUTE_PGM_RSRC2:TGID_X_EN: 1
; COMPUTE_PGM_RSRC2:TGID_Y_EN: 0
; COMPUTE_PGM_RSRC2:TGID_Z_EN: 0
; COMPUTE_PGM_RSRC2:TIDIG_COMP_CNT: 0
	.section	.text._ZN2at6native29vectorized_elementwise_kernelILi4EZZZNS0_23bitwise_not_kernel_cudaERNS_18TensorIteratorBaseEENKUlvE_clEvENKUlvE1_clEvEUliE_St5arrayIPcLm2EEEEviT0_T1_,"axG",@progbits,_ZN2at6native29vectorized_elementwise_kernelILi4EZZZNS0_23bitwise_not_kernel_cudaERNS_18TensorIteratorBaseEENKUlvE_clEvENKUlvE1_clEvEUliE_St5arrayIPcLm2EEEEviT0_T1_,comdat
	.globl	_ZN2at6native29vectorized_elementwise_kernelILi4EZZZNS0_23bitwise_not_kernel_cudaERNS_18TensorIteratorBaseEENKUlvE_clEvENKUlvE1_clEvEUliE_St5arrayIPcLm2EEEEviT0_T1_ ; -- Begin function _ZN2at6native29vectorized_elementwise_kernelILi4EZZZNS0_23bitwise_not_kernel_cudaERNS_18TensorIteratorBaseEENKUlvE_clEvENKUlvE1_clEvEUliE_St5arrayIPcLm2EEEEviT0_T1_
	.p2align	8
	.type	_ZN2at6native29vectorized_elementwise_kernelILi4EZZZNS0_23bitwise_not_kernel_cudaERNS_18TensorIteratorBaseEENKUlvE_clEvENKUlvE1_clEvEUliE_St5arrayIPcLm2EEEEviT0_T1_,@function
_ZN2at6native29vectorized_elementwise_kernelILi4EZZZNS0_23bitwise_not_kernel_cudaERNS_18TensorIteratorBaseEENKUlvE_clEvENKUlvE1_clEvEUliE_St5arrayIPcLm2EEEEviT0_T1_: ; @_ZN2at6native29vectorized_elementwise_kernelILi4EZZZNS0_23bitwise_not_kernel_cudaERNS_18TensorIteratorBaseEENKUlvE_clEvENKUlvE1_clEvEUliE_St5arrayIPcLm2EEEEviT0_T1_
; %bb.0:
	s_clause 0x1
	s_load_b32 s3, s[0:1], 0x0
	s_load_b128 s[4:7], s[0:1], 0x8
	s_lshl_b32 s2, s15, 10
	s_mov_b32 s0, -1
	s_waitcnt lgkmcnt(0)
	s_sub_i32 s1, s3, s2
	s_delay_alu instid0(SALU_CYCLE_1)
	s_cmpk_gt_i32 s1, 0x3ff
	s_cbranch_scc0 .LBB26_2
; %bb.1:
	s_ashr_i32 s3, s2, 31
	v_lshlrev_b32_e32 v5, 4, v0
	s_lshl_b64 s[8:9], s[2:3], 2
	s_mov_b32 s0, 0
	s_add_u32 s10, s6, s8
	s_addc_u32 s11, s7, s9
	s_add_u32 s8, s4, s8
	global_load_b128 v[1:4], v5, s[10:11]
	s_addc_u32 s9, s5, s9
	s_waitcnt vmcnt(0)
	v_not_b32_e32 v1, v1
	v_not_b32_e32 v2, v2
	;; [unrolled: 1-line block ×4, first 2 shown]
	global_store_b128 v5, v[1:4], s[8:9]
.LBB26_2:
	s_and_not1_b32 vcc_lo, exec_lo, s0
	s_cbranch_vccnz .LBB26_14
; %bb.3:
	v_cmp_gt_i32_e32 vcc_lo, s1, v0
	v_dual_mov_b32 v3, -1 :: v_dual_mov_b32 v6, -1
	v_or_b32_e32 v1, s2, v0
	v_or_b32_e32 v4, 0x100, v0
	v_mov_b32_e32 v2, v0
	s_and_saveexec_b32 s3, vcc_lo
	s_cbranch_execz .LBB26_5
; %bb.4:
	v_mov_b32_e32 v2, 0
	s_delay_alu instid0(VALU_DEP_1) | instskip(SKIP_1) | instid1(VALU_DEP_2)
	v_lshlrev_b64 v[5:6], 2, v[1:2]
	v_or_b32_e32 v2, 0x100, v0
	v_add_co_u32 v5, s0, s6, v5
	s_delay_alu instid0(VALU_DEP_1)
	v_add_co_ci_u32_e64 v6, s0, s7, v6, s0
	global_load_b32 v5, v[5:6], off
	s_waitcnt vmcnt(0)
	v_not_b32_e32 v6, v5
.LBB26_5:
	s_or_b32 exec_lo, exec_lo, s3
	s_delay_alu instid0(SALU_CYCLE_1)
	s_mov_b32 s3, exec_lo
	v_cmpx_gt_i32_e64 s1, v2
	s_cbranch_execz .LBB26_7
; %bb.6:
	v_dual_mov_b32 v8, 0 :: v_dual_add_nc_u32 v7, s2, v2
	v_add_nc_u32_e32 v2, 0x100, v2
	s_delay_alu instid0(VALU_DEP_2) | instskip(NEXT) | instid1(VALU_DEP_1)
	v_lshlrev_b64 v[7:8], 2, v[7:8]
	v_add_co_u32 v7, s0, s6, v7
	s_delay_alu instid0(VALU_DEP_1)
	v_add_co_ci_u32_e64 v8, s0, s7, v8, s0
	global_load_b32 v3, v[7:8], off
	s_waitcnt vmcnt(0)
	v_not_b32_e32 v3, v3
.LBB26_7:
	s_or_b32 exec_lo, exec_lo, s3
	v_mov_b32_e32 v5, -1
	v_mov_b32_e32 v7, -1
	s_mov_b32 s3, exec_lo
	v_cmpx_gt_i32_e64 s1, v2
	s_cbranch_execnz .LBB26_15
; %bb.8:
	s_or_b32 exec_lo, exec_lo, s3
	s_delay_alu instid0(SALU_CYCLE_1)
	s_mov_b32 s3, exec_lo
	v_cmpx_gt_i32_e64 s1, v2
	s_cbranch_execnz .LBB26_16
.LBB26_9:
	s_or_b32 exec_lo, exec_lo, s3
	s_and_saveexec_b32 s0, vcc_lo
	s_cbranch_execnz .LBB26_17
.LBB26_10:
	s_or_b32 exec_lo, exec_lo, s0
	s_delay_alu instid0(SALU_CYCLE_1)
	s_mov_b32 s0, exec_lo
	v_cmpx_gt_i32_e64 s1, v0
	s_cbranch_execnz .LBB26_18
.LBB26_11:
	s_or_b32 exec_lo, exec_lo, s0
	s_delay_alu instid0(SALU_CYCLE_1)
	s_mov_b32 s0, exec_lo
	v_cmpx_gt_i32_e64 s1, v0
	s_cbranch_execnz .LBB26_19
.LBB26_12:
	s_or_b32 exec_lo, exec_lo, s0
	s_delay_alu instid0(SALU_CYCLE_1)
	s_mov_b32 s0, exec_lo
	v_cmpx_gt_i32_e64 s1, v0
	s_cbranch_execz .LBB26_14
.LBB26_13:
	v_dual_mov_b32 v1, 0 :: v_dual_add_nc_u32 v0, s2, v0
	s_delay_alu instid0(VALU_DEP_1) | instskip(NEXT) | instid1(VALU_DEP_1)
	v_lshlrev_b64 v[0:1], 2, v[0:1]
	v_add_co_u32 v0, vcc_lo, s4, v0
	s_delay_alu instid0(VALU_DEP_2)
	v_add_co_ci_u32_e32 v1, vcc_lo, s5, v1, vcc_lo
	global_store_b32 v[0:1], v5, off
.LBB26_14:
	s_nop 0
	s_sendmsg sendmsg(MSG_DEALLOC_VGPRS)
	s_endpgm
.LBB26_15:
	v_dual_mov_b32 v8, 0 :: v_dual_add_nc_u32 v7, s2, v2
	v_add_nc_u32_e32 v2, 0x100, v2
	s_delay_alu instid0(VALU_DEP_2) | instskip(NEXT) | instid1(VALU_DEP_1)
	v_lshlrev_b64 v[7:8], 2, v[7:8]
	v_add_co_u32 v7, s0, s6, v7
	s_delay_alu instid0(VALU_DEP_1) | instskip(SKIP_4) | instid1(SALU_CYCLE_1)
	v_add_co_ci_u32_e64 v8, s0, s7, v8, s0
	global_load_b32 v7, v[7:8], off
	s_waitcnt vmcnt(0)
	v_not_b32_e32 v7, v7
	s_or_b32 exec_lo, exec_lo, s3
	s_mov_b32 s3, exec_lo
	v_cmpx_gt_i32_e64 s1, v2
	s_cbranch_execz .LBB26_9
.LBB26_16:
	v_dual_mov_b32 v9, 0 :: v_dual_add_nc_u32 v8, s2, v2
	s_delay_alu instid0(VALU_DEP_1) | instskip(NEXT) | instid1(VALU_DEP_1)
	v_lshlrev_b64 v[8:9], 2, v[8:9]
	v_add_co_u32 v8, s0, s6, v8
	s_delay_alu instid0(VALU_DEP_1)
	v_add_co_ci_u32_e64 v9, s0, s7, v9, s0
	global_load_b32 v2, v[8:9], off
	s_waitcnt vmcnt(0)
	v_not_b32_e32 v5, v2
	s_or_b32 exec_lo, exec_lo, s3
	s_and_saveexec_b32 s0, vcc_lo
	s_cbranch_execz .LBB26_10
.LBB26_17:
	v_mov_b32_e32 v2, 0
	s_delay_alu instid0(VALU_DEP_1) | instskip(NEXT) | instid1(VALU_DEP_1)
	v_lshlrev_b64 v[0:1], 2, v[1:2]
	v_add_co_u32 v8, vcc_lo, s4, v0
	s_delay_alu instid0(VALU_DEP_2) | instskip(SKIP_3) | instid1(SALU_CYCLE_1)
	v_add_co_ci_u32_e32 v9, vcc_lo, s5, v1, vcc_lo
	v_mov_b32_e32 v0, v4
	global_store_b32 v[8:9], v6, off
	s_or_b32 exec_lo, exec_lo, s0
	s_mov_b32 s0, exec_lo
	v_cmpx_gt_i32_e64 s1, v0
	s_cbranch_execz .LBB26_11
.LBB26_18:
	v_dual_mov_b32 v2, 0 :: v_dual_add_nc_u32 v1, s2, v0
	v_add_nc_u32_e32 v0, 0x100, v0
	s_delay_alu instid0(VALU_DEP_2) | instskip(NEXT) | instid1(VALU_DEP_1)
	v_lshlrev_b64 v[1:2], 2, v[1:2]
	v_add_co_u32 v1, vcc_lo, s4, v1
	s_delay_alu instid0(VALU_DEP_2) | instskip(SKIP_2) | instid1(SALU_CYCLE_1)
	v_add_co_ci_u32_e32 v2, vcc_lo, s5, v2, vcc_lo
	global_store_b32 v[1:2], v3, off
	s_or_b32 exec_lo, exec_lo, s0
	s_mov_b32 s0, exec_lo
	v_cmpx_gt_i32_e64 s1, v0
	s_cbranch_execz .LBB26_12
.LBB26_19:
	v_dual_mov_b32 v2, 0 :: v_dual_add_nc_u32 v1, s2, v0
	v_add_nc_u32_e32 v0, 0x100, v0
	s_delay_alu instid0(VALU_DEP_2) | instskip(NEXT) | instid1(VALU_DEP_1)
	v_lshlrev_b64 v[1:2], 2, v[1:2]
	v_add_co_u32 v1, vcc_lo, s4, v1
	s_delay_alu instid0(VALU_DEP_2) | instskip(SKIP_2) | instid1(SALU_CYCLE_1)
	v_add_co_ci_u32_e32 v2, vcc_lo, s5, v2, vcc_lo
	global_store_b32 v[1:2], v7, off
	s_or_b32 exec_lo, exec_lo, s0
	s_mov_b32 s0, exec_lo
	v_cmpx_gt_i32_e64 s1, v0
	s_cbranch_execnz .LBB26_13
	s_branch .LBB26_14
	.section	.rodata,"a",@progbits
	.p2align	6, 0x0
	.amdhsa_kernel _ZN2at6native29vectorized_elementwise_kernelILi4EZZZNS0_23bitwise_not_kernel_cudaERNS_18TensorIteratorBaseEENKUlvE_clEvENKUlvE1_clEvEUliE_St5arrayIPcLm2EEEEviT0_T1_
		.amdhsa_group_segment_fixed_size 0
		.amdhsa_private_segment_fixed_size 0
		.amdhsa_kernarg_size 24
		.amdhsa_user_sgpr_count 15
		.amdhsa_user_sgpr_dispatch_ptr 0
		.amdhsa_user_sgpr_queue_ptr 0
		.amdhsa_user_sgpr_kernarg_segment_ptr 1
		.amdhsa_user_sgpr_dispatch_id 0
		.amdhsa_user_sgpr_private_segment_size 0
		.amdhsa_wavefront_size32 1
		.amdhsa_uses_dynamic_stack 0
		.amdhsa_enable_private_segment 0
		.amdhsa_system_sgpr_workgroup_id_x 1
		.amdhsa_system_sgpr_workgroup_id_y 0
		.amdhsa_system_sgpr_workgroup_id_z 0
		.amdhsa_system_sgpr_workgroup_info 0
		.amdhsa_system_vgpr_workitem_id 0
		.amdhsa_next_free_vgpr 10
		.amdhsa_next_free_sgpr 16
		.amdhsa_reserve_vcc 1
		.amdhsa_float_round_mode_32 0
		.amdhsa_float_round_mode_16_64 0
		.amdhsa_float_denorm_mode_32 3
		.amdhsa_float_denorm_mode_16_64 3
		.amdhsa_dx10_clamp 1
		.amdhsa_ieee_mode 1
		.amdhsa_fp16_overflow 0
		.amdhsa_workgroup_processor_mode 1
		.amdhsa_memory_ordered 1
		.amdhsa_forward_progress 0
		.amdhsa_shared_vgpr_count 0
		.amdhsa_exception_fp_ieee_invalid_op 0
		.amdhsa_exception_fp_denorm_src 0
		.amdhsa_exception_fp_ieee_div_zero 0
		.amdhsa_exception_fp_ieee_overflow 0
		.amdhsa_exception_fp_ieee_underflow 0
		.amdhsa_exception_fp_ieee_inexact 0
		.amdhsa_exception_int_div_zero 0
	.end_amdhsa_kernel
	.section	.text._ZN2at6native29vectorized_elementwise_kernelILi4EZZZNS0_23bitwise_not_kernel_cudaERNS_18TensorIteratorBaseEENKUlvE_clEvENKUlvE1_clEvEUliE_St5arrayIPcLm2EEEEviT0_T1_,"axG",@progbits,_ZN2at6native29vectorized_elementwise_kernelILi4EZZZNS0_23bitwise_not_kernel_cudaERNS_18TensorIteratorBaseEENKUlvE_clEvENKUlvE1_clEvEUliE_St5arrayIPcLm2EEEEviT0_T1_,comdat
.Lfunc_end26:
	.size	_ZN2at6native29vectorized_elementwise_kernelILi4EZZZNS0_23bitwise_not_kernel_cudaERNS_18TensorIteratorBaseEENKUlvE_clEvENKUlvE1_clEvEUliE_St5arrayIPcLm2EEEEviT0_T1_, .Lfunc_end26-_ZN2at6native29vectorized_elementwise_kernelILi4EZZZNS0_23bitwise_not_kernel_cudaERNS_18TensorIteratorBaseEENKUlvE_clEvENKUlvE1_clEvEUliE_St5arrayIPcLm2EEEEviT0_T1_
                                        ; -- End function
	.section	.AMDGPU.csdata,"",@progbits
; Kernel info:
; codeLenInByte = 864
; NumSgprs: 18
; NumVgprs: 10
; ScratchSize: 0
; MemoryBound: 0
; FloatMode: 240
; IeeeMode: 1
; LDSByteSize: 0 bytes/workgroup (compile time only)
; SGPRBlocks: 2
; VGPRBlocks: 1
; NumSGPRsForWavesPerEU: 18
; NumVGPRsForWavesPerEU: 10
; Occupancy: 16
; WaveLimiterHint : 0
; COMPUTE_PGM_RSRC2:SCRATCH_EN: 0
; COMPUTE_PGM_RSRC2:USER_SGPR: 15
; COMPUTE_PGM_RSRC2:TRAP_HANDLER: 0
; COMPUTE_PGM_RSRC2:TGID_X_EN: 1
; COMPUTE_PGM_RSRC2:TGID_Y_EN: 0
; COMPUTE_PGM_RSRC2:TGID_Z_EN: 0
; COMPUTE_PGM_RSRC2:TIDIG_COMP_CNT: 0
	.section	.text._ZN2at6native29vectorized_elementwise_kernelILi2EZZZNS0_23bitwise_not_kernel_cudaERNS_18TensorIteratorBaseEENKUlvE_clEvENKUlvE1_clEvEUliE_St5arrayIPcLm2EEEEviT0_T1_,"axG",@progbits,_ZN2at6native29vectorized_elementwise_kernelILi2EZZZNS0_23bitwise_not_kernel_cudaERNS_18TensorIteratorBaseEENKUlvE_clEvENKUlvE1_clEvEUliE_St5arrayIPcLm2EEEEviT0_T1_,comdat
	.globl	_ZN2at6native29vectorized_elementwise_kernelILi2EZZZNS0_23bitwise_not_kernel_cudaERNS_18TensorIteratorBaseEENKUlvE_clEvENKUlvE1_clEvEUliE_St5arrayIPcLm2EEEEviT0_T1_ ; -- Begin function _ZN2at6native29vectorized_elementwise_kernelILi2EZZZNS0_23bitwise_not_kernel_cudaERNS_18TensorIteratorBaseEENKUlvE_clEvENKUlvE1_clEvEUliE_St5arrayIPcLm2EEEEviT0_T1_
	.p2align	8
	.type	_ZN2at6native29vectorized_elementwise_kernelILi2EZZZNS0_23bitwise_not_kernel_cudaERNS_18TensorIteratorBaseEENKUlvE_clEvENKUlvE1_clEvEUliE_St5arrayIPcLm2EEEEviT0_T1_,@function
_ZN2at6native29vectorized_elementwise_kernelILi2EZZZNS0_23bitwise_not_kernel_cudaERNS_18TensorIteratorBaseEENKUlvE_clEvENKUlvE1_clEvEUliE_St5arrayIPcLm2EEEEviT0_T1_: ; @_ZN2at6native29vectorized_elementwise_kernelILi2EZZZNS0_23bitwise_not_kernel_cudaERNS_18TensorIteratorBaseEENKUlvE_clEvENKUlvE1_clEvEUliE_St5arrayIPcLm2EEEEviT0_T1_
; %bb.0:
	s_clause 0x1
	s_load_b32 s3, s[0:1], 0x0
	s_load_b128 s[4:7], s[0:1], 0x8
	s_lshl_b32 s2, s15, 10
	s_mov_b32 s0, -1
	s_waitcnt lgkmcnt(0)
	s_sub_i32 s1, s3, s2
	s_delay_alu instid0(SALU_CYCLE_1)
	s_cmpk_gt_i32 s1, 0x3ff
	s_cbranch_scc0 .LBB27_2
; %bb.1:
	s_ashr_i32 s3, s2, 31
	v_lshlrev_b32_e32 v5, 3, v0
	s_lshl_b64 s[8:9], s[2:3], 2
	s_mov_b32 s0, 0
	s_add_u32 s10, s6, s8
	s_addc_u32 s11, s7, s9
	s_add_u32 s8, s4, s8
	s_clause 0x1
	global_load_b64 v[1:2], v5, s[10:11]
	global_load_b64 v[3:4], v5, s[10:11] offset:2048
	s_addc_u32 s9, s5, s9
	s_waitcnt vmcnt(1)
	v_not_b32_e32 v2, v2
	v_not_b32_e32 v1, v1
	s_waitcnt vmcnt(0)
	v_not_b32_e32 v4, v4
	v_not_b32_e32 v3, v3
	s_clause 0x1
	global_store_b64 v5, v[1:2], s[8:9]
	global_store_b64 v5, v[3:4], s[8:9] offset:2048
.LBB27_2:
	s_and_not1_b32 vcc_lo, exec_lo, s0
	s_cbranch_vccnz .LBB27_14
; %bb.3:
	v_cmp_gt_i32_e32 vcc_lo, s1, v0
	v_dual_mov_b32 v3, -1 :: v_dual_mov_b32 v6, -1
	v_or_b32_e32 v1, s2, v0
	v_or_b32_e32 v4, 0x100, v0
	v_mov_b32_e32 v2, v0
	s_and_saveexec_b32 s3, vcc_lo
	s_cbranch_execz .LBB27_5
; %bb.4:
	v_mov_b32_e32 v2, 0
	s_delay_alu instid0(VALU_DEP_1) | instskip(SKIP_1) | instid1(VALU_DEP_2)
	v_lshlrev_b64 v[5:6], 2, v[1:2]
	v_or_b32_e32 v2, 0x100, v0
	v_add_co_u32 v5, s0, s6, v5
	s_delay_alu instid0(VALU_DEP_1)
	v_add_co_ci_u32_e64 v6, s0, s7, v6, s0
	global_load_b32 v5, v[5:6], off
	s_waitcnt vmcnt(0)
	v_not_b32_e32 v6, v5
.LBB27_5:
	s_or_b32 exec_lo, exec_lo, s3
	s_delay_alu instid0(SALU_CYCLE_1)
	s_mov_b32 s3, exec_lo
	v_cmpx_gt_i32_e64 s1, v2
	s_cbranch_execz .LBB27_7
; %bb.6:
	v_dual_mov_b32 v8, 0 :: v_dual_add_nc_u32 v7, s2, v2
	v_add_nc_u32_e32 v2, 0x100, v2
	s_delay_alu instid0(VALU_DEP_2) | instskip(NEXT) | instid1(VALU_DEP_1)
	v_lshlrev_b64 v[7:8], 2, v[7:8]
	v_add_co_u32 v7, s0, s6, v7
	s_delay_alu instid0(VALU_DEP_1)
	v_add_co_ci_u32_e64 v8, s0, s7, v8, s0
	global_load_b32 v3, v[7:8], off
	s_waitcnt vmcnt(0)
	v_not_b32_e32 v3, v3
.LBB27_7:
	s_or_b32 exec_lo, exec_lo, s3
	v_mov_b32_e32 v5, -1
	v_mov_b32_e32 v7, -1
	s_mov_b32 s3, exec_lo
	v_cmpx_gt_i32_e64 s1, v2
	s_cbranch_execnz .LBB27_15
; %bb.8:
	s_or_b32 exec_lo, exec_lo, s3
	s_delay_alu instid0(SALU_CYCLE_1)
	s_mov_b32 s3, exec_lo
	v_cmpx_gt_i32_e64 s1, v2
	s_cbranch_execnz .LBB27_16
.LBB27_9:
	s_or_b32 exec_lo, exec_lo, s3
	s_and_saveexec_b32 s0, vcc_lo
	s_cbranch_execnz .LBB27_17
.LBB27_10:
	s_or_b32 exec_lo, exec_lo, s0
	s_delay_alu instid0(SALU_CYCLE_1)
	s_mov_b32 s0, exec_lo
	v_cmpx_gt_i32_e64 s1, v0
	s_cbranch_execnz .LBB27_18
.LBB27_11:
	s_or_b32 exec_lo, exec_lo, s0
	s_delay_alu instid0(SALU_CYCLE_1)
	s_mov_b32 s0, exec_lo
	v_cmpx_gt_i32_e64 s1, v0
	s_cbranch_execnz .LBB27_19
.LBB27_12:
	s_or_b32 exec_lo, exec_lo, s0
	s_delay_alu instid0(SALU_CYCLE_1)
	s_mov_b32 s0, exec_lo
	v_cmpx_gt_i32_e64 s1, v0
	s_cbranch_execz .LBB27_14
.LBB27_13:
	v_dual_mov_b32 v1, 0 :: v_dual_add_nc_u32 v0, s2, v0
	s_delay_alu instid0(VALU_DEP_1) | instskip(NEXT) | instid1(VALU_DEP_1)
	v_lshlrev_b64 v[0:1], 2, v[0:1]
	v_add_co_u32 v0, vcc_lo, s4, v0
	s_delay_alu instid0(VALU_DEP_2)
	v_add_co_ci_u32_e32 v1, vcc_lo, s5, v1, vcc_lo
	global_store_b32 v[0:1], v5, off
.LBB27_14:
	s_nop 0
	s_sendmsg sendmsg(MSG_DEALLOC_VGPRS)
	s_endpgm
.LBB27_15:
	v_dual_mov_b32 v8, 0 :: v_dual_add_nc_u32 v7, s2, v2
	v_add_nc_u32_e32 v2, 0x100, v2
	s_delay_alu instid0(VALU_DEP_2) | instskip(NEXT) | instid1(VALU_DEP_1)
	v_lshlrev_b64 v[7:8], 2, v[7:8]
	v_add_co_u32 v7, s0, s6, v7
	s_delay_alu instid0(VALU_DEP_1) | instskip(SKIP_4) | instid1(SALU_CYCLE_1)
	v_add_co_ci_u32_e64 v8, s0, s7, v8, s0
	global_load_b32 v7, v[7:8], off
	s_waitcnt vmcnt(0)
	v_not_b32_e32 v7, v7
	s_or_b32 exec_lo, exec_lo, s3
	s_mov_b32 s3, exec_lo
	v_cmpx_gt_i32_e64 s1, v2
	s_cbranch_execz .LBB27_9
.LBB27_16:
	v_dual_mov_b32 v9, 0 :: v_dual_add_nc_u32 v8, s2, v2
	s_delay_alu instid0(VALU_DEP_1) | instskip(NEXT) | instid1(VALU_DEP_1)
	v_lshlrev_b64 v[8:9], 2, v[8:9]
	v_add_co_u32 v8, s0, s6, v8
	s_delay_alu instid0(VALU_DEP_1)
	v_add_co_ci_u32_e64 v9, s0, s7, v9, s0
	global_load_b32 v2, v[8:9], off
	s_waitcnt vmcnt(0)
	v_not_b32_e32 v5, v2
	s_or_b32 exec_lo, exec_lo, s3
	s_and_saveexec_b32 s0, vcc_lo
	s_cbranch_execz .LBB27_10
.LBB27_17:
	v_mov_b32_e32 v2, 0
	s_delay_alu instid0(VALU_DEP_1) | instskip(NEXT) | instid1(VALU_DEP_1)
	v_lshlrev_b64 v[0:1], 2, v[1:2]
	v_add_co_u32 v8, vcc_lo, s4, v0
	s_delay_alu instid0(VALU_DEP_2) | instskip(SKIP_3) | instid1(SALU_CYCLE_1)
	v_add_co_ci_u32_e32 v9, vcc_lo, s5, v1, vcc_lo
	v_mov_b32_e32 v0, v4
	global_store_b32 v[8:9], v6, off
	s_or_b32 exec_lo, exec_lo, s0
	s_mov_b32 s0, exec_lo
	v_cmpx_gt_i32_e64 s1, v0
	s_cbranch_execz .LBB27_11
.LBB27_18:
	v_dual_mov_b32 v2, 0 :: v_dual_add_nc_u32 v1, s2, v0
	v_add_nc_u32_e32 v0, 0x100, v0
	s_delay_alu instid0(VALU_DEP_2) | instskip(NEXT) | instid1(VALU_DEP_1)
	v_lshlrev_b64 v[1:2], 2, v[1:2]
	v_add_co_u32 v1, vcc_lo, s4, v1
	s_delay_alu instid0(VALU_DEP_2) | instskip(SKIP_2) | instid1(SALU_CYCLE_1)
	v_add_co_ci_u32_e32 v2, vcc_lo, s5, v2, vcc_lo
	global_store_b32 v[1:2], v3, off
	s_or_b32 exec_lo, exec_lo, s0
	s_mov_b32 s0, exec_lo
	v_cmpx_gt_i32_e64 s1, v0
	s_cbranch_execz .LBB27_12
.LBB27_19:
	v_dual_mov_b32 v2, 0 :: v_dual_add_nc_u32 v1, s2, v0
	v_add_nc_u32_e32 v0, 0x100, v0
	s_delay_alu instid0(VALU_DEP_2) | instskip(NEXT) | instid1(VALU_DEP_1)
	v_lshlrev_b64 v[1:2], 2, v[1:2]
	v_add_co_u32 v1, vcc_lo, s4, v1
	s_delay_alu instid0(VALU_DEP_2) | instskip(SKIP_2) | instid1(SALU_CYCLE_1)
	v_add_co_ci_u32_e32 v2, vcc_lo, s5, v2, vcc_lo
	global_store_b32 v[1:2], v7, off
	s_or_b32 exec_lo, exec_lo, s0
	s_mov_b32 s0, exec_lo
	v_cmpx_gt_i32_e64 s1, v0
	s_cbranch_execnz .LBB27_13
	s_branch .LBB27_14
	.section	.rodata,"a",@progbits
	.p2align	6, 0x0
	.amdhsa_kernel _ZN2at6native29vectorized_elementwise_kernelILi2EZZZNS0_23bitwise_not_kernel_cudaERNS_18TensorIteratorBaseEENKUlvE_clEvENKUlvE1_clEvEUliE_St5arrayIPcLm2EEEEviT0_T1_
		.amdhsa_group_segment_fixed_size 0
		.amdhsa_private_segment_fixed_size 0
		.amdhsa_kernarg_size 24
		.amdhsa_user_sgpr_count 15
		.amdhsa_user_sgpr_dispatch_ptr 0
		.amdhsa_user_sgpr_queue_ptr 0
		.amdhsa_user_sgpr_kernarg_segment_ptr 1
		.amdhsa_user_sgpr_dispatch_id 0
		.amdhsa_user_sgpr_private_segment_size 0
		.amdhsa_wavefront_size32 1
		.amdhsa_uses_dynamic_stack 0
		.amdhsa_enable_private_segment 0
		.amdhsa_system_sgpr_workgroup_id_x 1
		.amdhsa_system_sgpr_workgroup_id_y 0
		.amdhsa_system_sgpr_workgroup_id_z 0
		.amdhsa_system_sgpr_workgroup_info 0
		.amdhsa_system_vgpr_workitem_id 0
		.amdhsa_next_free_vgpr 10
		.amdhsa_next_free_sgpr 16
		.amdhsa_reserve_vcc 1
		.amdhsa_float_round_mode_32 0
		.amdhsa_float_round_mode_16_64 0
		.amdhsa_float_denorm_mode_32 3
		.amdhsa_float_denorm_mode_16_64 3
		.amdhsa_dx10_clamp 1
		.amdhsa_ieee_mode 1
		.amdhsa_fp16_overflow 0
		.amdhsa_workgroup_processor_mode 1
		.amdhsa_memory_ordered 1
		.amdhsa_forward_progress 0
		.amdhsa_shared_vgpr_count 0
		.amdhsa_exception_fp_ieee_invalid_op 0
		.amdhsa_exception_fp_denorm_src 0
		.amdhsa_exception_fp_ieee_div_zero 0
		.amdhsa_exception_fp_ieee_overflow 0
		.amdhsa_exception_fp_ieee_underflow 0
		.amdhsa_exception_fp_ieee_inexact 0
		.amdhsa_exception_int_div_zero 0
	.end_amdhsa_kernel
	.section	.text._ZN2at6native29vectorized_elementwise_kernelILi2EZZZNS0_23bitwise_not_kernel_cudaERNS_18TensorIteratorBaseEENKUlvE_clEvENKUlvE1_clEvEUliE_St5arrayIPcLm2EEEEviT0_T1_,"axG",@progbits,_ZN2at6native29vectorized_elementwise_kernelILi2EZZZNS0_23bitwise_not_kernel_cudaERNS_18TensorIteratorBaseEENKUlvE_clEvENKUlvE1_clEvEUliE_St5arrayIPcLm2EEEEviT0_T1_,comdat
.Lfunc_end27:
	.size	_ZN2at6native29vectorized_elementwise_kernelILi2EZZZNS0_23bitwise_not_kernel_cudaERNS_18TensorIteratorBaseEENKUlvE_clEvENKUlvE1_clEvEUliE_St5arrayIPcLm2EEEEviT0_T1_, .Lfunc_end27-_ZN2at6native29vectorized_elementwise_kernelILi2EZZZNS0_23bitwise_not_kernel_cudaERNS_18TensorIteratorBaseEENKUlvE_clEvENKUlvE1_clEvEUliE_St5arrayIPcLm2EEEEviT0_T1_
                                        ; -- End function
	.section	.AMDGPU.csdata,"",@progbits
; Kernel info:
; codeLenInByte = 892
; NumSgprs: 18
; NumVgprs: 10
; ScratchSize: 0
; MemoryBound: 0
; FloatMode: 240
; IeeeMode: 1
; LDSByteSize: 0 bytes/workgroup (compile time only)
; SGPRBlocks: 2
; VGPRBlocks: 1
; NumSGPRsForWavesPerEU: 18
; NumVGPRsForWavesPerEU: 10
; Occupancy: 16
; WaveLimiterHint : 1
; COMPUTE_PGM_RSRC2:SCRATCH_EN: 0
; COMPUTE_PGM_RSRC2:USER_SGPR: 15
; COMPUTE_PGM_RSRC2:TRAP_HANDLER: 0
; COMPUTE_PGM_RSRC2:TGID_X_EN: 1
; COMPUTE_PGM_RSRC2:TGID_Y_EN: 0
; COMPUTE_PGM_RSRC2:TGID_Z_EN: 0
; COMPUTE_PGM_RSRC2:TIDIG_COMP_CNT: 0
	.section	.text._ZN2at6native27unrolled_elementwise_kernelIZZZNS0_23bitwise_not_kernel_cudaERNS_18TensorIteratorBaseEENKUlvE_clEvENKUlvE1_clEvEUliE_St5arrayIPcLm2EELi4E23TrivialOffsetCalculatorILi1EjESB_NS0_6memory15LoadWithoutCastENSC_16StoreWithoutCastEEEviT_T0_T2_T3_T4_T5_,"axG",@progbits,_ZN2at6native27unrolled_elementwise_kernelIZZZNS0_23bitwise_not_kernel_cudaERNS_18TensorIteratorBaseEENKUlvE_clEvENKUlvE1_clEvEUliE_St5arrayIPcLm2EELi4E23TrivialOffsetCalculatorILi1EjESB_NS0_6memory15LoadWithoutCastENSC_16StoreWithoutCastEEEviT_T0_T2_T3_T4_T5_,comdat
	.globl	_ZN2at6native27unrolled_elementwise_kernelIZZZNS0_23bitwise_not_kernel_cudaERNS_18TensorIteratorBaseEENKUlvE_clEvENKUlvE1_clEvEUliE_St5arrayIPcLm2EELi4E23TrivialOffsetCalculatorILi1EjESB_NS0_6memory15LoadWithoutCastENSC_16StoreWithoutCastEEEviT_T0_T2_T3_T4_T5_ ; -- Begin function _ZN2at6native27unrolled_elementwise_kernelIZZZNS0_23bitwise_not_kernel_cudaERNS_18TensorIteratorBaseEENKUlvE_clEvENKUlvE1_clEvEUliE_St5arrayIPcLm2EELi4E23TrivialOffsetCalculatorILi1EjESB_NS0_6memory15LoadWithoutCastENSC_16StoreWithoutCastEEEviT_T0_T2_T3_T4_T5_
	.p2align	8
	.type	_ZN2at6native27unrolled_elementwise_kernelIZZZNS0_23bitwise_not_kernel_cudaERNS_18TensorIteratorBaseEENKUlvE_clEvENKUlvE1_clEvEUliE_St5arrayIPcLm2EELi4E23TrivialOffsetCalculatorILi1EjESB_NS0_6memory15LoadWithoutCastENSC_16StoreWithoutCastEEEviT_T0_T2_T3_T4_T5_,@function
_ZN2at6native27unrolled_elementwise_kernelIZZZNS0_23bitwise_not_kernel_cudaERNS_18TensorIteratorBaseEENKUlvE_clEvENKUlvE1_clEvEUliE_St5arrayIPcLm2EELi4E23TrivialOffsetCalculatorILi1EjESB_NS0_6memory15LoadWithoutCastENSC_16StoreWithoutCastEEEviT_T0_T2_T3_T4_T5_: ; @_ZN2at6native27unrolled_elementwise_kernelIZZZNS0_23bitwise_not_kernel_cudaERNS_18TensorIteratorBaseEENKUlvE_clEvENKUlvE1_clEvEUliE_St5arrayIPcLm2EELi4E23TrivialOffsetCalculatorILi1EjESB_NS0_6memory15LoadWithoutCastENSC_16StoreWithoutCastEEEviT_T0_T2_T3_T4_T5_
; %bb.0:
	s_clause 0x1
	s_load_b32 s2, s[0:1], 0x0
	s_load_b128 s[4:7], s[0:1], 0x8
	s_lshl_b32 s1, s15, 10
	v_dual_mov_b32 v3, -1 :: v_dual_mov_b32 v6, -1
	v_or_b32_e32 v1, s1, v0
	v_or_b32_e32 v5, 0x100, v0
	v_mov_b32_e32 v2, v0
	s_waitcnt lgkmcnt(0)
	s_sub_i32 s2, s2, s1
	s_delay_alu instid0(SALU_CYCLE_1)
	v_cmp_gt_i32_e32 vcc_lo, s2, v0
	s_and_saveexec_b32 s3, vcc_lo
	s_cbranch_execz .LBB28_2
; %bb.1:
	v_mov_b32_e32 v2, 0
	s_delay_alu instid0(VALU_DEP_1) | instskip(SKIP_1) | instid1(VALU_DEP_2)
	v_lshlrev_b64 v[6:7], 2, v[1:2]
	v_or_b32_e32 v2, 0x100, v0
	v_add_co_u32 v6, s0, s6, v6
	s_delay_alu instid0(VALU_DEP_1)
	v_add_co_ci_u32_e64 v7, s0, s7, v7, s0
	global_load_b32 v4, v[6:7], off
	s_waitcnt vmcnt(0)
	v_not_b32_e32 v6, v4
.LBB28_2:
	s_or_b32 exec_lo, exec_lo, s3
	s_delay_alu instid0(SALU_CYCLE_1)
	s_mov_b32 s3, exec_lo
	v_cmpx_gt_i32_e64 s2, v2
	s_cbranch_execz .LBB28_4
; %bb.3:
	v_dual_mov_b32 v4, 0 :: v_dual_add_nc_u32 v3, s1, v2
	v_add_nc_u32_e32 v2, 0x100, v2
	s_delay_alu instid0(VALU_DEP_2) | instskip(NEXT) | instid1(VALU_DEP_1)
	v_lshlrev_b64 v[3:4], 2, v[3:4]
	v_add_co_u32 v3, s0, s6, v3
	s_delay_alu instid0(VALU_DEP_1)
	v_add_co_ci_u32_e64 v4, s0, s7, v4, s0
	global_load_b32 v3, v[3:4], off
	s_waitcnt vmcnt(0)
	v_not_b32_e32 v3, v3
.LBB28_4:
	s_or_b32 exec_lo, exec_lo, s3
	v_dual_mov_b32 v4, -1 :: v_dual_mov_b32 v7, -1
	s_mov_b32 s3, exec_lo
	v_cmpx_gt_i32_e64 s2, v2
	s_cbranch_execnz .LBB28_11
; %bb.5:
	s_or_b32 exec_lo, exec_lo, s3
	s_delay_alu instid0(SALU_CYCLE_1)
	s_mov_b32 s3, exec_lo
	v_cmpx_gt_i32_e64 s2, v2
	s_cbranch_execnz .LBB28_12
.LBB28_6:
	s_or_b32 exec_lo, exec_lo, s3
	s_and_saveexec_b32 s0, vcc_lo
	s_cbranch_execnz .LBB28_13
.LBB28_7:
	s_or_b32 exec_lo, exec_lo, s0
	s_delay_alu instid0(SALU_CYCLE_1)
	s_mov_b32 s0, exec_lo
	v_cmpx_gt_i32_e64 s2, v0
	s_cbranch_execnz .LBB28_14
.LBB28_8:
	s_or_b32 exec_lo, exec_lo, s0
	s_delay_alu instid0(SALU_CYCLE_1)
	s_mov_b32 s0, exec_lo
	v_cmpx_gt_i32_e64 s2, v0
	s_cbranch_execnz .LBB28_15
.LBB28_9:
	s_or_b32 exec_lo, exec_lo, s0
	s_delay_alu instid0(SALU_CYCLE_1)
	s_mov_b32 s0, exec_lo
	v_cmpx_gt_i32_e64 s2, v0
	s_cbranch_execnz .LBB28_16
.LBB28_10:
	s_nop 0
	s_sendmsg sendmsg(MSG_DEALLOC_VGPRS)
	s_endpgm
.LBB28_11:
	v_dual_mov_b32 v8, 0 :: v_dual_add_nc_u32 v7, s1, v2
	v_add_nc_u32_e32 v2, 0x100, v2
	s_delay_alu instid0(VALU_DEP_2) | instskip(NEXT) | instid1(VALU_DEP_1)
	v_lshlrev_b64 v[7:8], 2, v[7:8]
	v_add_co_u32 v7, s0, s6, v7
	s_delay_alu instid0(VALU_DEP_1) | instskip(SKIP_4) | instid1(SALU_CYCLE_1)
	v_add_co_ci_u32_e64 v8, s0, s7, v8, s0
	global_load_b32 v7, v[7:8], off
	s_waitcnt vmcnt(0)
	v_not_b32_e32 v7, v7
	s_or_b32 exec_lo, exec_lo, s3
	s_mov_b32 s3, exec_lo
	v_cmpx_gt_i32_e64 s2, v2
	s_cbranch_execz .LBB28_6
.LBB28_12:
	v_dual_mov_b32 v9, 0 :: v_dual_add_nc_u32 v8, s1, v2
	s_delay_alu instid0(VALU_DEP_1) | instskip(NEXT) | instid1(VALU_DEP_1)
	v_lshlrev_b64 v[8:9], 2, v[8:9]
	v_add_co_u32 v8, s0, s6, v8
	s_delay_alu instid0(VALU_DEP_1)
	v_add_co_ci_u32_e64 v9, s0, s7, v9, s0
	global_load_b32 v2, v[8:9], off
	s_waitcnt vmcnt(0)
	v_not_b32_e32 v4, v2
	s_or_b32 exec_lo, exec_lo, s3
	s_and_saveexec_b32 s0, vcc_lo
	s_cbranch_execz .LBB28_7
.LBB28_13:
	v_mov_b32_e32 v2, 0
	s_delay_alu instid0(VALU_DEP_1) | instskip(NEXT) | instid1(VALU_DEP_1)
	v_lshlrev_b64 v[0:1], 2, v[1:2]
	v_add_co_u32 v8, vcc_lo, s4, v0
	s_delay_alu instid0(VALU_DEP_2) | instskip(SKIP_3) | instid1(SALU_CYCLE_1)
	v_add_co_ci_u32_e32 v9, vcc_lo, s5, v1, vcc_lo
	v_mov_b32_e32 v0, v5
	global_store_b32 v[8:9], v6, off
	s_or_b32 exec_lo, exec_lo, s0
	s_mov_b32 s0, exec_lo
	v_cmpx_gt_i32_e64 s2, v0
	s_cbranch_execz .LBB28_8
.LBB28_14:
	v_dual_mov_b32 v2, 0 :: v_dual_add_nc_u32 v1, s1, v0
	v_add_nc_u32_e32 v0, 0x100, v0
	s_delay_alu instid0(VALU_DEP_2) | instskip(NEXT) | instid1(VALU_DEP_1)
	v_lshlrev_b64 v[1:2], 2, v[1:2]
	v_add_co_u32 v1, vcc_lo, s4, v1
	s_delay_alu instid0(VALU_DEP_2) | instskip(SKIP_2) | instid1(SALU_CYCLE_1)
	v_add_co_ci_u32_e32 v2, vcc_lo, s5, v2, vcc_lo
	global_store_b32 v[1:2], v3, off
	s_or_b32 exec_lo, exec_lo, s0
	s_mov_b32 s0, exec_lo
	v_cmpx_gt_i32_e64 s2, v0
	s_cbranch_execz .LBB28_9
.LBB28_15:
	v_dual_mov_b32 v2, 0 :: v_dual_add_nc_u32 v1, s1, v0
	v_add_nc_u32_e32 v0, 0x100, v0
	s_delay_alu instid0(VALU_DEP_2) | instskip(NEXT) | instid1(VALU_DEP_1)
	v_lshlrev_b64 v[1:2], 2, v[1:2]
	v_add_co_u32 v1, vcc_lo, s4, v1
	s_delay_alu instid0(VALU_DEP_2) | instskip(SKIP_2) | instid1(SALU_CYCLE_1)
	v_add_co_ci_u32_e32 v2, vcc_lo, s5, v2, vcc_lo
	global_store_b32 v[1:2], v7, off
	s_or_b32 exec_lo, exec_lo, s0
	s_mov_b32 s0, exec_lo
	v_cmpx_gt_i32_e64 s2, v0
	s_cbranch_execz .LBB28_10
.LBB28_16:
	v_dual_mov_b32 v1, 0 :: v_dual_add_nc_u32 v0, s1, v0
	s_delay_alu instid0(VALU_DEP_1) | instskip(NEXT) | instid1(VALU_DEP_1)
	v_lshlrev_b64 v[0:1], 2, v[0:1]
	v_add_co_u32 v0, vcc_lo, s4, v0
	s_delay_alu instid0(VALU_DEP_2)
	v_add_co_ci_u32_e32 v1, vcc_lo, s5, v1, vcc_lo
	global_store_b32 v[0:1], v4, off
	s_nop 0
	s_sendmsg sendmsg(MSG_DEALLOC_VGPRS)
	s_endpgm
	.section	.rodata,"a",@progbits
	.p2align	6, 0x0
	.amdhsa_kernel _ZN2at6native27unrolled_elementwise_kernelIZZZNS0_23bitwise_not_kernel_cudaERNS_18TensorIteratorBaseEENKUlvE_clEvENKUlvE1_clEvEUliE_St5arrayIPcLm2EELi4E23TrivialOffsetCalculatorILi1EjESB_NS0_6memory15LoadWithoutCastENSC_16StoreWithoutCastEEEviT_T0_T2_T3_T4_T5_
		.amdhsa_group_segment_fixed_size 0
		.amdhsa_private_segment_fixed_size 0
		.amdhsa_kernarg_size 28
		.amdhsa_user_sgpr_count 15
		.amdhsa_user_sgpr_dispatch_ptr 0
		.amdhsa_user_sgpr_queue_ptr 0
		.amdhsa_user_sgpr_kernarg_segment_ptr 1
		.amdhsa_user_sgpr_dispatch_id 0
		.amdhsa_user_sgpr_private_segment_size 0
		.amdhsa_wavefront_size32 1
		.amdhsa_uses_dynamic_stack 0
		.amdhsa_enable_private_segment 0
		.amdhsa_system_sgpr_workgroup_id_x 1
		.amdhsa_system_sgpr_workgroup_id_y 0
		.amdhsa_system_sgpr_workgroup_id_z 0
		.amdhsa_system_sgpr_workgroup_info 0
		.amdhsa_system_vgpr_workitem_id 0
		.amdhsa_next_free_vgpr 10
		.amdhsa_next_free_sgpr 16
		.amdhsa_reserve_vcc 1
		.amdhsa_float_round_mode_32 0
		.amdhsa_float_round_mode_16_64 0
		.amdhsa_float_denorm_mode_32 3
		.amdhsa_float_denorm_mode_16_64 3
		.amdhsa_dx10_clamp 1
		.amdhsa_ieee_mode 1
		.amdhsa_fp16_overflow 0
		.amdhsa_workgroup_processor_mode 1
		.amdhsa_memory_ordered 1
		.amdhsa_forward_progress 0
		.amdhsa_shared_vgpr_count 0
		.amdhsa_exception_fp_ieee_invalid_op 0
		.amdhsa_exception_fp_denorm_src 0
		.amdhsa_exception_fp_ieee_div_zero 0
		.amdhsa_exception_fp_ieee_overflow 0
		.amdhsa_exception_fp_ieee_underflow 0
		.amdhsa_exception_fp_ieee_inexact 0
		.amdhsa_exception_int_div_zero 0
	.end_amdhsa_kernel
	.section	.text._ZN2at6native27unrolled_elementwise_kernelIZZZNS0_23bitwise_not_kernel_cudaERNS_18TensorIteratorBaseEENKUlvE_clEvENKUlvE1_clEvEUliE_St5arrayIPcLm2EELi4E23TrivialOffsetCalculatorILi1EjESB_NS0_6memory15LoadWithoutCastENSC_16StoreWithoutCastEEEviT_T0_T2_T3_T4_T5_,"axG",@progbits,_ZN2at6native27unrolled_elementwise_kernelIZZZNS0_23bitwise_not_kernel_cudaERNS_18TensorIteratorBaseEENKUlvE_clEvENKUlvE1_clEvEUliE_St5arrayIPcLm2EELi4E23TrivialOffsetCalculatorILi1EjESB_NS0_6memory15LoadWithoutCastENSC_16StoreWithoutCastEEEviT_T0_T2_T3_T4_T5_,comdat
.Lfunc_end28:
	.size	_ZN2at6native27unrolled_elementwise_kernelIZZZNS0_23bitwise_not_kernel_cudaERNS_18TensorIteratorBaseEENKUlvE_clEvENKUlvE1_clEvEUliE_St5arrayIPcLm2EELi4E23TrivialOffsetCalculatorILi1EjESB_NS0_6memory15LoadWithoutCastENSC_16StoreWithoutCastEEEviT_T0_T2_T3_T4_T5_, .Lfunc_end28-_ZN2at6native27unrolled_elementwise_kernelIZZZNS0_23bitwise_not_kernel_cudaERNS_18TensorIteratorBaseEENKUlvE_clEvENKUlvE1_clEvEUliE_St5arrayIPcLm2EELi4E23TrivialOffsetCalculatorILi1EjESB_NS0_6memory15LoadWithoutCastENSC_16StoreWithoutCastEEEviT_T0_T2_T3_T4_T5_
                                        ; -- End function
	.section	.AMDGPU.csdata,"",@progbits
; Kernel info:
; codeLenInByte = 784
; NumSgprs: 18
; NumVgprs: 10
; ScratchSize: 0
; MemoryBound: 0
; FloatMode: 240
; IeeeMode: 1
; LDSByteSize: 0 bytes/workgroup (compile time only)
; SGPRBlocks: 2
; VGPRBlocks: 1
; NumSGPRsForWavesPerEU: 18
; NumVGPRsForWavesPerEU: 10
; Occupancy: 16
; WaveLimiterHint : 0
; COMPUTE_PGM_RSRC2:SCRATCH_EN: 0
; COMPUTE_PGM_RSRC2:USER_SGPR: 15
; COMPUTE_PGM_RSRC2:TRAP_HANDLER: 0
; COMPUTE_PGM_RSRC2:TGID_X_EN: 1
; COMPUTE_PGM_RSRC2:TGID_Y_EN: 0
; COMPUTE_PGM_RSRC2:TGID_Z_EN: 0
; COMPUTE_PGM_RSRC2:TIDIG_COMP_CNT: 0
	.section	.text._ZN2at6native32elementwise_kernel_manual_unrollILi128ELi4EZNS0_22gpu_kernel_impl_nocastIZZZNS0_23bitwise_not_kernel_cudaERNS_18TensorIteratorBaseEENKUlvE_clEvENKUlvE1_clEvEUliE_EEvS4_RKT_EUlibE_EEviT1_,"axG",@progbits,_ZN2at6native32elementwise_kernel_manual_unrollILi128ELi4EZNS0_22gpu_kernel_impl_nocastIZZZNS0_23bitwise_not_kernel_cudaERNS_18TensorIteratorBaseEENKUlvE_clEvENKUlvE1_clEvEUliE_EEvS4_RKT_EUlibE_EEviT1_,comdat
	.globl	_ZN2at6native32elementwise_kernel_manual_unrollILi128ELi4EZNS0_22gpu_kernel_impl_nocastIZZZNS0_23bitwise_not_kernel_cudaERNS_18TensorIteratorBaseEENKUlvE_clEvENKUlvE1_clEvEUliE_EEvS4_RKT_EUlibE_EEviT1_ ; -- Begin function _ZN2at6native32elementwise_kernel_manual_unrollILi128ELi4EZNS0_22gpu_kernel_impl_nocastIZZZNS0_23bitwise_not_kernel_cudaERNS_18TensorIteratorBaseEENKUlvE_clEvENKUlvE1_clEvEUliE_EEvS4_RKT_EUlibE_EEviT1_
	.p2align	8
	.type	_ZN2at6native32elementwise_kernel_manual_unrollILi128ELi4EZNS0_22gpu_kernel_impl_nocastIZZZNS0_23bitwise_not_kernel_cudaERNS_18TensorIteratorBaseEENKUlvE_clEvENKUlvE1_clEvEUliE_EEvS4_RKT_EUlibE_EEviT1_,@function
_ZN2at6native32elementwise_kernel_manual_unrollILi128ELi4EZNS0_22gpu_kernel_impl_nocastIZZZNS0_23bitwise_not_kernel_cudaERNS_18TensorIteratorBaseEENKUlvE_clEvENKUlvE1_clEvEUliE_EEvS4_RKT_EUlibE_EEviT1_: ; @_ZN2at6native32elementwise_kernel_manual_unrollILi128ELi4EZNS0_22gpu_kernel_impl_nocastIZZZNS0_23bitwise_not_kernel_cudaERNS_18TensorIteratorBaseEENKUlvE_clEvENKUlvE1_clEvEUliE_EEvS4_RKT_EUlibE_EEviT1_
; %bb.0:
	s_clause 0x1
	s_load_b32 s22, s[0:1], 0x8
	s_load_b32 s27, s[0:1], 0x0
	v_lshl_or_b32 v4, s15, 9, v0
	s_or_b32 s0, s0, 8
	s_mov_b32 s2, exec_lo
	s_delay_alu instid0(VALU_DEP_1) | instskip(SKIP_2) | instid1(SALU_CYCLE_1)
	v_or_b32_e32 v8, 0x180, v4
	s_waitcnt lgkmcnt(0)
	s_add_i32 s23, s22, -1
	s_cmp_gt_u32 s23, 1
	s_cselect_b32 s24, -1, 0
	v_cmpx_le_i32_e64 s27, v8
	s_xor_b32 s25, exec_lo, s2
	s_cbranch_execz .LBB29_7
; %bb.1:
	s_clause 0x3
	s_load_b128 s[12:15], s[0:1], 0x4
	s_load_b64 s[2:3], s[0:1], 0x14
	s_load_b128 s[8:11], s[0:1], 0xc4
	s_load_b128 s[4:7], s[0:1], 0x148
	s_cmp_lg_u32 s22, 0
	s_mov_b32 s30, exec_lo
	s_cselect_b32 s29, -1, 0
	s_add_u32 s16, s0, 0xc4
	s_addc_u32 s17, s1, 0
	s_min_u32 s28, s23, 15
	s_cmp_gt_u32 s22, 1
	s_cselect_b32 s26, -1, 0
	v_cmpx_gt_i32_e64 s27, v4
	s_cbranch_execz .LBB29_14
; %bb.2:
	s_and_not1_b32 vcc_lo, exec_lo, s24
	s_cbranch_vccnz .LBB29_21
; %bb.3:
	v_dual_mov_b32 v0, 0 :: v_dual_mov_b32 v1, 0
	s_and_not1_b32 vcc_lo, exec_lo, s29
	s_mov_b32 s31, 0
	s_cbranch_vccnz .LBB29_73
; %bb.4:
	v_mov_b32_e32 v0, 0
	s_add_i32 s34, s28, 1
	s_cmp_eq_u32 s23, 2
	s_mov_b32 s33, 0
	s_cbranch_scc1 .LBB29_69
; %bb.5:
	v_dual_mov_b32 v1, 0 :: v_dual_mov_b32 v0, 0
	v_mov_b32_e32 v2, v4
	s_and_b32 s33, s34, 28
	s_mov_b32 s35, 0
	s_mov_b64 s[18:19], s[16:17]
	s_mov_b64 s[20:21], s[0:1]
.LBB29_6:                               ; =>This Inner Loop Header: Depth=1
	s_clause 0x1
	s_load_b256 s[36:43], s[20:21], 0x4
	s_load_b128 s[52:55], s[20:21], 0x24
	s_load_b256 s[44:51], s[18:19], 0x0
	s_add_u32 s20, s20, 48
	s_addc_u32 s21, s21, 0
	s_add_i32 s35, s35, 4
	s_add_u32 s18, s18, 32
	s_addc_u32 s19, s19, 0
	s_cmp_lg_u32 s33, s35
	s_waitcnt lgkmcnt(0)
	v_mul_hi_u32 v3, s37, v2
	s_delay_alu instid0(VALU_DEP_1) | instskip(NEXT) | instid1(VALU_DEP_1)
	v_add_nc_u32_e32 v3, v2, v3
	v_lshrrev_b32_e32 v3, s38, v3
	s_delay_alu instid0(VALU_DEP_1) | instskip(SKIP_1) | instid1(VALU_DEP_2)
	v_mul_hi_u32 v5, s40, v3
	v_mul_lo_u32 v7, v3, s36
	v_add_nc_u32_e32 v5, v3, v5
	s_delay_alu instid0(VALU_DEP_2) | instskip(NEXT) | instid1(VALU_DEP_2)
	v_sub_nc_u32_e32 v2, v2, v7
	v_lshrrev_b32_e32 v5, s41, v5
	s_delay_alu instid0(VALU_DEP_2) | instskip(SKIP_1) | instid1(VALU_DEP_3)
	v_mul_lo_u32 v7, v2, s44
	v_mul_lo_u32 v9, v2, s45
	v_mul_hi_u32 v6, s43, v5
	s_delay_alu instid0(VALU_DEP_1) | instskip(NEXT) | instid1(VALU_DEP_1)
	v_add_nc_u32_e32 v6, v5, v6
	v_lshrrev_b32_e32 v6, s52, v6
	s_delay_alu instid0(VALU_DEP_1) | instskip(SKIP_1) | instid1(VALU_DEP_2)
	v_mul_hi_u32 v8, s54, v6
	v_mul_lo_u32 v10, v6, s42
	v_add_nc_u32_e32 v2, v6, v8
	v_mul_lo_u32 v8, v5, s39
	s_delay_alu instid0(VALU_DEP_3) | instskip(NEXT) | instid1(VALU_DEP_3)
	v_sub_nc_u32_e32 v5, v5, v10
	v_lshrrev_b32_e32 v2, s55, v2
	s_delay_alu instid0(VALU_DEP_2) | instskip(SKIP_2) | instid1(VALU_DEP_4)
	v_mul_lo_u32 v10, v5, s48
	v_mul_lo_u32 v5, v5, s49
	v_sub_nc_u32_e32 v3, v3, v8
	v_mul_lo_u32 v11, v2, s53
	s_delay_alu instid0(VALU_DEP_2) | instskip(SKIP_1) | instid1(VALU_DEP_3)
	v_mul_lo_u32 v8, v3, s46
	v_mul_lo_u32 v3, v3, s47
	v_sub_nc_u32_e32 v6, v6, v11
	s_delay_alu instid0(VALU_DEP_3) | instskip(NEXT) | instid1(VALU_DEP_2)
	v_add3_u32 v0, v7, v0, v8
	v_mul_lo_u32 v11, v6, s50
	v_mul_lo_u32 v6, v6, s51
	v_add3_u32 v1, v9, v1, v3
	s_delay_alu instid0(VALU_DEP_3) | instskip(NEXT) | instid1(VALU_DEP_2)
	v_add3_u32 v0, v10, v0, v11
	v_add3_u32 v1, v5, v1, v6
	s_cbranch_scc1 .LBB29_6
	s_branch .LBB29_70
.LBB29_7:
	s_and_not1_saveexec_b32 s2, s25
	s_cbranch_execz .LBB29_94
.LBB29_8:
	v_cndmask_b32_e64 v6, 0, 1, s24
	s_and_not1_b32 vcc_lo, exec_lo, s24
	s_cbranch_vccnz .LBB29_20
; %bb.9:
	v_dual_mov_b32 v0, 0 :: v_dual_mov_b32 v1, 0
	s_cmp_lg_u32 s22, 0
	s_mov_b32 s6, 0
	s_cbranch_scc0 .LBB29_26
; %bb.10:
	s_min_u32 s7, s23, 15
	v_mov_b32_e32 v0, 0
	s_add_i32 s7, s7, 1
	s_cmp_eq_u32 s23, 2
	s_mov_b32 s8, 0
	s_cbranch_scc1 .LBB29_23
; %bb.11:
	v_dual_mov_b32 v1, 0 :: v_dual_mov_b32 v0, 0
	v_mov_b32_e32 v2, v4
	s_add_u32 s2, s0, 0xc4
	s_addc_u32 s3, s1, 0
	s_and_b32 s8, s7, 28
	s_mov_b32 s9, 0
	s_mov_b64 s[4:5], s[0:1]
.LBB29_12:                              ; =>This Inner Loop Header: Depth=1
	s_clause 0x1
	s_load_b256 s[12:19], s[4:5], 0x4
	s_load_b128 s[36:39], s[4:5], 0x24
	s_load_b256 s[24:31], s[2:3], 0x0
	s_add_u32 s4, s4, 48
	s_addc_u32 s5, s5, 0
	s_add_i32 s9, s9, 4
	s_add_u32 s2, s2, 32
	s_addc_u32 s3, s3, 0
	s_cmp_lg_u32 s8, s9
	s_waitcnt lgkmcnt(0)
	v_mul_hi_u32 v3, s13, v2
	s_delay_alu instid0(VALU_DEP_1) | instskip(NEXT) | instid1(VALU_DEP_1)
	v_add_nc_u32_e32 v3, v2, v3
	v_lshrrev_b32_e32 v3, s14, v3
	s_delay_alu instid0(VALU_DEP_1) | instskip(SKIP_1) | instid1(VALU_DEP_2)
	v_mul_hi_u32 v5, s16, v3
	v_mul_lo_u32 v9, v3, s12
	v_add_nc_u32_e32 v5, v3, v5
	s_delay_alu instid0(VALU_DEP_2) | instskip(NEXT) | instid1(VALU_DEP_2)
	v_sub_nc_u32_e32 v2, v2, v9
	v_lshrrev_b32_e32 v5, s17, v5
	s_delay_alu instid0(VALU_DEP_2) | instskip(SKIP_1) | instid1(VALU_DEP_3)
	v_mul_lo_u32 v9, v2, s24
	v_mul_lo_u32 v11, v2, s25
	v_mul_hi_u32 v7, s19, v5
	s_delay_alu instid0(VALU_DEP_1) | instskip(NEXT) | instid1(VALU_DEP_1)
	v_add_nc_u32_e32 v7, v5, v7
	v_lshrrev_b32_e32 v7, s36, v7
	s_delay_alu instid0(VALU_DEP_1) | instskip(SKIP_1) | instid1(VALU_DEP_2)
	v_mul_hi_u32 v10, s38, v7
	v_mul_lo_u32 v12, v7, s18
	v_add_nc_u32_e32 v2, v7, v10
	v_mul_lo_u32 v10, v5, s15
	s_delay_alu instid0(VALU_DEP_3) | instskip(NEXT) | instid1(VALU_DEP_3)
	v_sub_nc_u32_e32 v5, v5, v12
	v_lshrrev_b32_e32 v2, s39, v2
	s_delay_alu instid0(VALU_DEP_2) | instskip(SKIP_2) | instid1(VALU_DEP_4)
	v_mul_lo_u32 v12, v5, s28
	v_mul_lo_u32 v5, v5, s29
	v_sub_nc_u32_e32 v3, v3, v10
	v_mul_lo_u32 v13, v2, s37
	s_delay_alu instid0(VALU_DEP_2) | instskip(SKIP_1) | instid1(VALU_DEP_3)
	v_mul_lo_u32 v10, v3, s26
	v_mul_lo_u32 v3, v3, s27
	v_sub_nc_u32_e32 v7, v7, v13
	s_delay_alu instid0(VALU_DEP_3) | instskip(NEXT) | instid1(VALU_DEP_2)
	v_add3_u32 v0, v9, v0, v10
	v_mul_lo_u32 v13, v7, s30
	v_mul_lo_u32 v7, v7, s31
	v_add3_u32 v1, v11, v1, v3
	s_delay_alu instid0(VALU_DEP_3) | instskip(NEXT) | instid1(VALU_DEP_2)
	v_add3_u32 v0, v12, v0, v13
	v_add3_u32 v1, v5, v1, v7
	s_cbranch_scc1 .LBB29_12
; %bb.13:
	s_and_b32 s7, s7, 3
	s_delay_alu instid0(SALU_CYCLE_1)
	s_cmp_eq_u32 s7, 0
	s_cbranch_scc0 .LBB29_24
	s_branch .LBB29_26
.LBB29_14:
	s_or_b32 exec_lo, exec_lo, s30
	s_delay_alu instid0(SALU_CYCLE_1)
	s_mov_b32 s30, exec_lo
	v_cmpx_gt_i32_e64 s27, v4
	s_cbranch_execz .LBB29_77
.LBB29_15:
	s_and_not1_b32 vcc_lo, exec_lo, s24
	s_cbranch_vccnz .LBB29_22
; %bb.16:
	v_dual_mov_b32 v0, 0 :: v_dual_mov_b32 v1, 0
	s_and_not1_b32 vcc_lo, exec_lo, s29
	s_mov_b32 s31, 0
	s_cbranch_vccnz .LBB29_88
; %bb.17:
	v_mov_b32_e32 v0, 0
	s_add_i32 s34, s28, 1
	s_cmp_eq_u32 s23, 2
	s_mov_b32 s33, 0
	s_cbranch_scc1 .LBB29_84
; %bb.18:
	v_dual_mov_b32 v1, 0 :: v_dual_mov_b32 v0, 0
	v_mov_b32_e32 v2, v4
	s_and_b32 s33, s34, 28
	s_mov_b32 s35, 0
	s_mov_b64 s[18:19], s[16:17]
	s_mov_b64 s[20:21], s[0:1]
.LBB29_19:                              ; =>This Inner Loop Header: Depth=1
	s_clause 0x1
	s_load_b256 s[36:43], s[20:21], 0x4
	s_load_b128 s[52:55], s[20:21], 0x24
	s_load_b256 s[44:51], s[18:19], 0x0
	s_add_u32 s20, s20, 48
	s_addc_u32 s21, s21, 0
	s_add_i32 s35, s35, 4
	s_add_u32 s18, s18, 32
	s_addc_u32 s19, s19, 0
	s_cmp_eq_u32 s33, s35
	s_waitcnt lgkmcnt(0)
	v_mul_hi_u32 v3, s37, v2
	s_delay_alu instid0(VALU_DEP_1) | instskip(NEXT) | instid1(VALU_DEP_1)
	v_add_nc_u32_e32 v3, v2, v3
	v_lshrrev_b32_e32 v3, s38, v3
	s_delay_alu instid0(VALU_DEP_1) | instskip(SKIP_1) | instid1(VALU_DEP_2)
	v_mul_hi_u32 v5, s40, v3
	v_mul_lo_u32 v7, v3, s36
	v_add_nc_u32_e32 v5, v3, v5
	s_delay_alu instid0(VALU_DEP_2) | instskip(NEXT) | instid1(VALU_DEP_2)
	v_sub_nc_u32_e32 v2, v2, v7
	v_lshrrev_b32_e32 v5, s41, v5
	s_delay_alu instid0(VALU_DEP_2) | instskip(SKIP_1) | instid1(VALU_DEP_3)
	v_mul_lo_u32 v7, v2, s44
	v_mul_lo_u32 v9, v2, s45
	v_mul_hi_u32 v6, s43, v5
	s_delay_alu instid0(VALU_DEP_1) | instskip(NEXT) | instid1(VALU_DEP_1)
	v_add_nc_u32_e32 v6, v5, v6
	v_lshrrev_b32_e32 v6, s52, v6
	s_delay_alu instid0(VALU_DEP_1) | instskip(SKIP_1) | instid1(VALU_DEP_2)
	v_mul_hi_u32 v8, s54, v6
	v_mul_lo_u32 v10, v6, s42
	v_add_nc_u32_e32 v2, v6, v8
	v_mul_lo_u32 v8, v5, s39
	s_delay_alu instid0(VALU_DEP_3) | instskip(NEXT) | instid1(VALU_DEP_3)
	v_sub_nc_u32_e32 v5, v5, v10
	v_lshrrev_b32_e32 v2, s55, v2
	s_delay_alu instid0(VALU_DEP_2) | instskip(SKIP_2) | instid1(VALU_DEP_4)
	v_mul_lo_u32 v10, v5, s48
	v_mul_lo_u32 v5, v5, s49
	v_sub_nc_u32_e32 v3, v3, v8
	v_mul_lo_u32 v11, v2, s53
	s_delay_alu instid0(VALU_DEP_2) | instskip(SKIP_1) | instid1(VALU_DEP_3)
	v_mul_lo_u32 v8, v3, s46
	v_mul_lo_u32 v3, v3, s47
	v_sub_nc_u32_e32 v6, v6, v11
	s_delay_alu instid0(VALU_DEP_3) | instskip(NEXT) | instid1(VALU_DEP_2)
	v_add3_u32 v0, v7, v0, v8
	v_mul_lo_u32 v11, v6, s50
	v_mul_lo_u32 v6, v6, s51
	v_add3_u32 v1, v9, v1, v3
	s_delay_alu instid0(VALU_DEP_3) | instskip(NEXT) | instid1(VALU_DEP_2)
	v_add3_u32 v0, v10, v0, v11
	v_add3_u32 v1, v5, v1, v6
	s_cbranch_scc0 .LBB29_19
	s_branch .LBB29_85
.LBB29_20:
	s_mov_b32 s6, -1
                                        ; implicit-def: $vgpr0
                                        ; implicit-def: $vgpr1
	s_branch .LBB29_26
.LBB29_21:
	s_mov_b32 s31, -1
                                        ; implicit-def: $vgpr0
                                        ; implicit-def: $vgpr1
	s_branch .LBB29_73
.LBB29_22:
	s_mov_b32 s31, -1
                                        ; implicit-def: $vgpr0
                                        ; implicit-def: $vgpr1
	s_branch .LBB29_88
.LBB29_23:
	v_dual_mov_b32 v2, v4 :: v_dual_mov_b32 v1, 0
	s_and_b32 s7, s7, 3
	s_delay_alu instid0(SALU_CYCLE_1)
	s_cmp_eq_u32 s7, 0
	s_cbranch_scc1 .LBB29_26
.LBB29_24:
	s_lshl_b32 s2, s8, 3
	s_mul_i32 s4, s8, 12
	s_add_u32 s2, s2, s0
	s_addc_u32 s3, 0, s1
	s_add_u32 s2, s2, 0xc4
	s_addc_u32 s3, s3, 0
	;; [unrolled: 2-line block ×3, first 2 shown]
	.p2align	6
.LBB29_25:                              ; =>This Inner Loop Header: Depth=1
	s_clause 0x1
	s_load_b64 s[8:9], s[4:5], 0x4
	s_load_b32 s12, s[4:5], 0xc
	s_load_b64 s[10:11], s[2:3], 0x0
	s_add_u32 s4, s4, 12
	s_addc_u32 s5, s5, 0
	s_add_u32 s2, s2, 8
	s_addc_u32 s3, s3, 0
	s_add_i32 s7, s7, -1
	s_delay_alu instid0(SALU_CYCLE_1) | instskip(SKIP_2) | instid1(VALU_DEP_1)
	s_cmp_lg_u32 s7, 0
	s_waitcnt lgkmcnt(0)
	v_mul_hi_u32 v3, s9, v2
	v_add_nc_u32_e32 v3, v2, v3
	s_delay_alu instid0(VALU_DEP_1) | instskip(NEXT) | instid1(VALU_DEP_1)
	v_lshrrev_b32_e32 v3, s12, v3
	v_mul_lo_u32 v5, v3, s8
	s_delay_alu instid0(VALU_DEP_1) | instskip(NEXT) | instid1(VALU_DEP_1)
	v_sub_nc_u32_e32 v2, v2, v5
	v_mad_u64_u32 v[9:10], null, v2, s10, v[0:1]
	v_mad_u64_u32 v[10:11], null, v2, s11, v[1:2]
	v_mov_b32_e32 v2, v3
	s_delay_alu instid0(VALU_DEP_2)
	v_dual_mov_b32 v0, v9 :: v_dual_mov_b32 v1, v10
	s_cbranch_scc1 .LBB29_25
.LBB29_26:
	s_and_not1_b32 vcc_lo, exec_lo, s6
	s_cbranch_vccnz .LBB29_29
; %bb.27:
	s_clause 0x1
	s_load_b128 s[4:7], s[0:1], 0x4
	s_load_b64 s[2:3], s[0:1], 0xc4
	s_cmp_lt_u32 s22, 2
	s_waitcnt lgkmcnt(0)
	v_mul_hi_u32 v0, s5, v4
	s_delay_alu instid0(VALU_DEP_1) | instskip(NEXT) | instid1(VALU_DEP_1)
	v_add_nc_u32_e32 v0, v4, v0
	v_lshrrev_b32_e32 v2, s6, v0
	s_delay_alu instid0(VALU_DEP_1) | instskip(NEXT) | instid1(VALU_DEP_1)
	v_mul_lo_u32 v0, v2, s4
	v_sub_nc_u32_e32 v1, v4, v0
	s_delay_alu instid0(VALU_DEP_1)
	v_mul_lo_u32 v0, v1, s2
	v_mul_lo_u32 v1, v1, s3
	s_cbranch_scc1 .LBB29_29
; %bb.28:
	s_clause 0x1
	s_load_b128 s[4:7], s[0:1], 0x10
	s_load_b64 s[2:3], s[0:1], 0xcc
	s_waitcnt lgkmcnt(0)
	v_mul_hi_u32 v3, s5, v2
	s_delay_alu instid0(VALU_DEP_1) | instskip(NEXT) | instid1(VALU_DEP_1)
	v_add_nc_u32_e32 v3, v2, v3
	v_lshrrev_b32_e32 v3, s6, v3
	s_delay_alu instid0(VALU_DEP_1) | instskip(NEXT) | instid1(VALU_DEP_1)
	v_mul_lo_u32 v3, v3, s4
	v_sub_nc_u32_e32 v5, v2, v3
	s_delay_alu instid0(VALU_DEP_1) | instskip(NEXT) | instid1(VALU_DEP_1)
	v_mad_u64_u32 v[2:3], null, v5, s2, v[0:1]
	v_mad_u64_u32 v[9:10], null, v5, s3, v[1:2]
	s_delay_alu instid0(VALU_DEP_1)
	v_dual_mov_b32 v0, v2 :: v_dual_mov_b32 v1, v9
.LBB29_29:
	v_cmp_ne_u32_e32 vcc_lo, 1, v6
	v_add_nc_u32_e32 v5, 0x80, v4
	s_cbranch_vccnz .LBB29_35
; %bb.30:
	v_dual_mov_b32 v2, 0 :: v_dual_mov_b32 v3, 0
	s_cmp_lg_u32 s22, 0
	s_mov_b32 s6, 0
	s_cbranch_scc0 .LBB29_39
; %bb.31:
	s_min_u32 s7, s23, 15
	v_mov_b32_e32 v2, 0
	s_add_i32 s7, s7, 1
	s_cmp_eq_u32 s23, 2
	s_mov_b32 s8, 0
	s_cbranch_scc1 .LBB29_36
; %bb.32:
	v_dual_mov_b32 v3, 0 :: v_dual_mov_b32 v2, 0
	v_mov_b32_e32 v7, v5
	s_add_u32 s2, s0, 0xc4
	s_addc_u32 s3, s1, 0
	s_and_b32 s8, s7, 28
	s_mov_b32 s9, 0
	s_mov_b64 s[4:5], s[0:1]
.LBB29_33:                              ; =>This Inner Loop Header: Depth=1
	s_clause 0x1
	s_load_b256 s[12:19], s[4:5], 0x4
	s_load_b128 s[36:39], s[4:5], 0x24
	s_load_b256 s[24:31], s[2:3], 0x0
	s_add_u32 s4, s4, 48
	s_addc_u32 s5, s5, 0
	s_add_i32 s9, s9, 4
	s_add_u32 s2, s2, 32
	s_addc_u32 s3, s3, 0
	s_cmp_lg_u32 s8, s9
	s_waitcnt lgkmcnt(0)
	v_mul_hi_u32 v9, s13, v7
	s_delay_alu instid0(VALU_DEP_1) | instskip(NEXT) | instid1(VALU_DEP_1)
	v_add_nc_u32_e32 v9, v7, v9
	v_lshrrev_b32_e32 v9, s14, v9
	s_delay_alu instid0(VALU_DEP_1) | instskip(SKIP_1) | instid1(VALU_DEP_2)
	v_mul_hi_u32 v10, s16, v9
	v_mul_lo_u32 v12, v9, s12
	v_add_nc_u32_e32 v10, v9, v10
	s_delay_alu instid0(VALU_DEP_2) | instskip(NEXT) | instid1(VALU_DEP_2)
	v_sub_nc_u32_e32 v7, v7, v12
	v_lshrrev_b32_e32 v10, s17, v10
	s_delay_alu instid0(VALU_DEP_2) | instskip(SKIP_1) | instid1(VALU_DEP_3)
	v_mul_lo_u32 v12, v7, s24
	v_mul_lo_u32 v14, v7, s25
	v_mul_hi_u32 v11, s19, v10
	s_delay_alu instid0(VALU_DEP_1) | instskip(NEXT) | instid1(VALU_DEP_1)
	v_add_nc_u32_e32 v11, v10, v11
	v_lshrrev_b32_e32 v11, s36, v11
	s_delay_alu instid0(VALU_DEP_1) | instskip(SKIP_1) | instid1(VALU_DEP_2)
	v_mul_hi_u32 v13, s38, v11
	v_mul_lo_u32 v15, v11, s18
	v_add_nc_u32_e32 v7, v11, v13
	v_mul_lo_u32 v13, v10, s15
	s_delay_alu instid0(VALU_DEP_3) | instskip(NEXT) | instid1(VALU_DEP_3)
	v_sub_nc_u32_e32 v10, v10, v15
	v_lshrrev_b32_e32 v7, s39, v7
	s_delay_alu instid0(VALU_DEP_2) | instskip(SKIP_2) | instid1(VALU_DEP_4)
	v_mul_lo_u32 v15, v10, s28
	v_mul_lo_u32 v10, v10, s29
	v_sub_nc_u32_e32 v9, v9, v13
	v_mul_lo_u32 v16, v7, s37
	s_delay_alu instid0(VALU_DEP_2) | instskip(SKIP_1) | instid1(VALU_DEP_3)
	v_mul_lo_u32 v13, v9, s26
	v_mul_lo_u32 v9, v9, s27
	v_sub_nc_u32_e32 v11, v11, v16
	s_delay_alu instid0(VALU_DEP_3) | instskip(NEXT) | instid1(VALU_DEP_2)
	v_add3_u32 v2, v12, v2, v13
	v_mul_lo_u32 v16, v11, s30
	v_mul_lo_u32 v11, v11, s31
	v_add3_u32 v3, v14, v3, v9
	s_delay_alu instid0(VALU_DEP_3) | instskip(NEXT) | instid1(VALU_DEP_2)
	v_add3_u32 v2, v15, v2, v16
	v_add3_u32 v3, v10, v3, v11
	s_cbranch_scc1 .LBB29_33
; %bb.34:
	s_and_b32 s7, s7, 3
	s_delay_alu instid0(SALU_CYCLE_1)
	s_cmp_eq_u32 s7, 0
	s_cbranch_scc0 .LBB29_37
	s_branch .LBB29_39
.LBB29_35:
	s_mov_b32 s6, -1
                                        ; implicit-def: $vgpr2
                                        ; implicit-def: $vgpr3
	s_branch .LBB29_39
.LBB29_36:
	v_mov_b32_e32 v7, v5
	v_mov_b32_e32 v3, 0
	s_and_b32 s7, s7, 3
	s_delay_alu instid0(SALU_CYCLE_1)
	s_cmp_eq_u32 s7, 0
	s_cbranch_scc1 .LBB29_39
.LBB29_37:
	s_lshl_b32 s2, s8, 3
	s_mul_i32 s4, s8, 12
	s_add_u32 s2, s2, s0
	s_addc_u32 s3, 0, s1
	s_add_u32 s2, s2, 0xc4
	s_addc_u32 s3, s3, 0
	;; [unrolled: 2-line block ×3, first 2 shown]
	.p2align	6
.LBB29_38:                              ; =>This Inner Loop Header: Depth=1
	s_clause 0x1
	s_load_b64 s[8:9], s[4:5], 0x4
	s_load_b32 s12, s[4:5], 0xc
	s_load_b64 s[10:11], s[2:3], 0x0
	s_add_u32 s4, s4, 12
	s_addc_u32 s5, s5, 0
	s_add_u32 s2, s2, 8
	s_addc_u32 s3, s3, 0
	s_add_i32 s7, s7, -1
	s_delay_alu instid0(SALU_CYCLE_1) | instskip(SKIP_2) | instid1(VALU_DEP_1)
	s_cmp_lg_u32 s7, 0
	s_waitcnt lgkmcnt(0)
	v_mul_hi_u32 v9, s9, v7
	v_add_nc_u32_e32 v9, v7, v9
	s_delay_alu instid0(VALU_DEP_1) | instskip(NEXT) | instid1(VALU_DEP_1)
	v_lshrrev_b32_e32 v12, s12, v9
	v_mul_lo_u32 v9, v12, s8
	s_delay_alu instid0(VALU_DEP_1) | instskip(NEXT) | instid1(VALU_DEP_1)
	v_sub_nc_u32_e32 v7, v7, v9
	v_mad_u64_u32 v[9:10], null, v7, s10, v[2:3]
	v_mad_u64_u32 v[10:11], null, v7, s11, v[3:4]
	s_delay_alu instid0(VALU_DEP_2) | instskip(NEXT) | instid1(VALU_DEP_2)
	v_dual_mov_b32 v7, v12 :: v_dual_mov_b32 v2, v9
	v_mov_b32_e32 v3, v10
	s_cbranch_scc1 .LBB29_38
.LBB29_39:
	s_and_not1_b32 vcc_lo, exec_lo, s6
	s_cbranch_vccnz .LBB29_42
; %bb.40:
	s_clause 0x1
	s_load_b128 s[4:7], s[0:1], 0x4
	s_load_b64 s[2:3], s[0:1], 0xc4
	s_cmp_lt_u32 s22, 2
	s_waitcnt lgkmcnt(0)
	v_mul_hi_u32 v2, s5, v5
	s_delay_alu instid0(VALU_DEP_1) | instskip(NEXT) | instid1(VALU_DEP_1)
	v_add_nc_u32_e32 v2, v5, v2
	v_lshrrev_b32_e32 v7, s6, v2
	s_delay_alu instid0(VALU_DEP_1) | instskip(NEXT) | instid1(VALU_DEP_1)
	v_mul_lo_u32 v2, v7, s4
	v_sub_nc_u32_e32 v3, v5, v2
	s_delay_alu instid0(VALU_DEP_1)
	v_mul_lo_u32 v2, v3, s2
	v_mul_lo_u32 v3, v3, s3
	s_cbranch_scc1 .LBB29_42
; %bb.41:
	s_clause 0x1
	s_load_b128 s[4:7], s[0:1], 0x10
	s_load_b64 s[2:3], s[0:1], 0xcc
	s_waitcnt lgkmcnt(0)
	v_mul_hi_u32 v5, s5, v7
	s_delay_alu instid0(VALU_DEP_1) | instskip(NEXT) | instid1(VALU_DEP_1)
	v_add_nc_u32_e32 v5, v7, v5
	v_lshrrev_b32_e32 v5, s6, v5
	s_delay_alu instid0(VALU_DEP_1) | instskip(NEXT) | instid1(VALU_DEP_1)
	v_mul_lo_u32 v5, v5, s4
	v_sub_nc_u32_e32 v5, v7, v5
	s_delay_alu instid0(VALU_DEP_1) | instskip(SKIP_1) | instid1(VALU_DEP_1)
	v_mad_u64_u32 v[9:10], null, v5, s2, v[2:3]
	v_mad_u64_u32 v[10:11], null, v5, s3, v[3:4]
	v_dual_mov_b32 v2, v9 :: v_dual_mov_b32 v3, v10
.LBB29_42:
	v_cmp_ne_u32_e32 vcc_lo, 1, v6
	v_add_nc_u32_e32 v7, 0x100, v4
	s_cbranch_vccnz .LBB29_48
; %bb.43:
	v_dual_mov_b32 v4, 0 :: v_dual_mov_b32 v5, 0
	s_cmp_lg_u32 s22, 0
	s_mov_b32 s6, 0
	s_cbranch_scc0 .LBB29_52
; %bb.44:
	s_min_u32 s7, s23, 15
	v_mov_b32_e32 v4, 0
	s_add_i32 s7, s7, 1
	s_cmp_eq_u32 s23, 2
	s_mov_b32 s8, 0
	s_cbranch_scc1 .LBB29_49
; %bb.45:
	v_dual_mov_b32 v5, 0 :: v_dual_mov_b32 v4, 0
	v_mov_b32_e32 v9, v7
	s_add_u32 s2, s0, 0xc4
	s_addc_u32 s3, s1, 0
	s_and_b32 s8, s7, 28
	s_mov_b32 s9, 0
	s_mov_b64 s[4:5], s[0:1]
.LBB29_46:                              ; =>This Inner Loop Header: Depth=1
	s_clause 0x1
	s_load_b256 s[12:19], s[4:5], 0x4
	s_load_b128 s[36:39], s[4:5], 0x24
	s_load_b256 s[24:31], s[2:3], 0x0
	s_add_u32 s4, s4, 48
	s_addc_u32 s5, s5, 0
	s_add_i32 s9, s9, 4
	s_add_u32 s2, s2, 32
	s_addc_u32 s3, s3, 0
	s_cmp_lg_u32 s8, s9
	s_waitcnt lgkmcnt(0)
	v_mul_hi_u32 v10, s13, v9
	s_delay_alu instid0(VALU_DEP_1) | instskip(NEXT) | instid1(VALU_DEP_1)
	v_add_nc_u32_e32 v10, v9, v10
	v_lshrrev_b32_e32 v10, s14, v10
	s_delay_alu instid0(VALU_DEP_1) | instskip(SKIP_1) | instid1(VALU_DEP_2)
	v_mul_hi_u32 v11, s16, v10
	v_mul_lo_u32 v13, v10, s12
	v_add_nc_u32_e32 v11, v10, v11
	s_delay_alu instid0(VALU_DEP_2) | instskip(NEXT) | instid1(VALU_DEP_2)
	v_sub_nc_u32_e32 v9, v9, v13
	v_lshrrev_b32_e32 v11, s17, v11
	s_delay_alu instid0(VALU_DEP_2) | instskip(SKIP_1) | instid1(VALU_DEP_3)
	v_mul_lo_u32 v13, v9, s24
	v_mul_lo_u32 v15, v9, s25
	v_mul_hi_u32 v12, s19, v11
	s_delay_alu instid0(VALU_DEP_1) | instskip(NEXT) | instid1(VALU_DEP_1)
	v_add_nc_u32_e32 v12, v11, v12
	v_lshrrev_b32_e32 v12, s36, v12
	s_delay_alu instid0(VALU_DEP_1) | instskip(SKIP_1) | instid1(VALU_DEP_2)
	v_mul_hi_u32 v14, s38, v12
	v_mul_lo_u32 v16, v12, s18
	v_add_nc_u32_e32 v9, v12, v14
	v_mul_lo_u32 v14, v11, s15
	s_delay_alu instid0(VALU_DEP_3) | instskip(NEXT) | instid1(VALU_DEP_3)
	v_sub_nc_u32_e32 v11, v11, v16
	v_lshrrev_b32_e32 v9, s39, v9
	s_delay_alu instid0(VALU_DEP_2) | instskip(SKIP_2) | instid1(VALU_DEP_4)
	v_mul_lo_u32 v16, v11, s28
	v_mul_lo_u32 v11, v11, s29
	v_sub_nc_u32_e32 v10, v10, v14
	v_mul_lo_u32 v17, v9, s37
	s_delay_alu instid0(VALU_DEP_2) | instskip(SKIP_1) | instid1(VALU_DEP_3)
	v_mul_lo_u32 v14, v10, s26
	v_mul_lo_u32 v10, v10, s27
	v_sub_nc_u32_e32 v12, v12, v17
	s_delay_alu instid0(VALU_DEP_3) | instskip(NEXT) | instid1(VALU_DEP_2)
	v_add3_u32 v4, v13, v4, v14
	v_mul_lo_u32 v17, v12, s30
	v_mul_lo_u32 v12, v12, s31
	v_add3_u32 v5, v15, v5, v10
	s_delay_alu instid0(VALU_DEP_3) | instskip(NEXT) | instid1(VALU_DEP_2)
	v_add3_u32 v4, v16, v4, v17
	v_add3_u32 v5, v11, v5, v12
	s_cbranch_scc1 .LBB29_46
; %bb.47:
	s_and_b32 s7, s7, 3
	s_delay_alu instid0(SALU_CYCLE_1)
	s_cmp_eq_u32 s7, 0
	s_cbranch_scc0 .LBB29_50
	s_branch .LBB29_52
.LBB29_48:
	s_mov_b32 s6, -1
                                        ; implicit-def: $vgpr4
                                        ; implicit-def: $vgpr5
	s_branch .LBB29_52
.LBB29_49:
	v_mov_b32_e32 v9, v7
	v_mov_b32_e32 v5, 0
	s_and_b32 s7, s7, 3
	s_delay_alu instid0(SALU_CYCLE_1)
	s_cmp_eq_u32 s7, 0
	s_cbranch_scc1 .LBB29_52
.LBB29_50:
	s_lshl_b32 s2, s8, 3
	s_mul_i32 s4, s8, 12
	s_add_u32 s2, s2, s0
	s_addc_u32 s3, 0, s1
	s_add_u32 s2, s2, 0xc4
	s_addc_u32 s3, s3, 0
	;; [unrolled: 2-line block ×3, first 2 shown]
	.p2align	6
.LBB29_51:                              ; =>This Inner Loop Header: Depth=1
	s_clause 0x1
	s_load_b64 s[8:9], s[4:5], 0x4
	s_load_b32 s12, s[4:5], 0xc
	s_load_b64 s[10:11], s[2:3], 0x0
	s_add_u32 s4, s4, 12
	s_addc_u32 s5, s5, 0
	s_add_u32 s2, s2, 8
	s_addc_u32 s3, s3, 0
	s_add_i32 s7, s7, -1
	s_delay_alu instid0(SALU_CYCLE_1) | instskip(SKIP_2) | instid1(VALU_DEP_1)
	s_cmp_lg_u32 s7, 0
	s_waitcnt lgkmcnt(0)
	v_mul_hi_u32 v10, s9, v9
	v_add_nc_u32_e32 v10, v9, v10
	s_delay_alu instid0(VALU_DEP_1) | instskip(NEXT) | instid1(VALU_DEP_1)
	v_lshrrev_b32_e32 v13, s12, v10
	v_mul_lo_u32 v10, v13, s8
	s_delay_alu instid0(VALU_DEP_1) | instskip(NEXT) | instid1(VALU_DEP_1)
	v_sub_nc_u32_e32 v9, v9, v10
	v_mad_u64_u32 v[10:11], null, v9, s10, v[4:5]
	v_mad_u64_u32 v[11:12], null, v9, s11, v[5:6]
	s_delay_alu instid0(VALU_DEP_2) | instskip(NEXT) | instid1(VALU_DEP_2)
	v_dual_mov_b32 v9, v13 :: v_dual_mov_b32 v4, v10
	v_mov_b32_e32 v5, v11
	s_cbranch_scc1 .LBB29_51
.LBB29_52:
	s_and_not1_b32 vcc_lo, exec_lo, s6
	s_cbranch_vccnz .LBB29_55
; %bb.53:
	s_clause 0x1
	s_load_b128 s[4:7], s[0:1], 0x4
	s_load_b64 s[2:3], s[0:1], 0xc4
	s_cmp_lt_u32 s22, 2
	s_waitcnt lgkmcnt(0)
	v_mul_hi_u32 v4, s5, v7
	s_delay_alu instid0(VALU_DEP_1) | instskip(NEXT) | instid1(VALU_DEP_1)
	v_add_nc_u32_e32 v4, v7, v4
	v_lshrrev_b32_e32 v9, s6, v4
	s_delay_alu instid0(VALU_DEP_1) | instskip(NEXT) | instid1(VALU_DEP_1)
	v_mul_lo_u32 v4, v9, s4
	v_sub_nc_u32_e32 v5, v7, v4
	s_delay_alu instid0(VALU_DEP_1)
	v_mul_lo_u32 v4, v5, s2
	v_mul_lo_u32 v5, v5, s3
	s_cbranch_scc1 .LBB29_55
; %bb.54:
	s_clause 0x1
	s_load_b128 s[4:7], s[0:1], 0x10
	s_load_b64 s[2:3], s[0:1], 0xcc
	s_waitcnt lgkmcnt(0)
	v_mul_hi_u32 v7, s5, v9
	s_delay_alu instid0(VALU_DEP_1) | instskip(NEXT) | instid1(VALU_DEP_1)
	v_add_nc_u32_e32 v7, v9, v7
	v_lshrrev_b32_e32 v7, s6, v7
	s_delay_alu instid0(VALU_DEP_1) | instskip(NEXT) | instid1(VALU_DEP_1)
	v_mul_lo_u32 v7, v7, s4
	v_sub_nc_u32_e32 v7, v9, v7
	s_delay_alu instid0(VALU_DEP_1) | instskip(SKIP_1) | instid1(VALU_DEP_1)
	v_mad_u64_u32 v[9:10], null, v7, s2, v[4:5]
	v_mad_u64_u32 v[10:11], null, v7, s3, v[5:6]
	v_dual_mov_b32 v4, v9 :: v_dual_mov_b32 v5, v10
.LBB29_55:
	v_cmp_ne_u32_e32 vcc_lo, 1, v6
	s_cbranch_vccnz .LBB29_61
; %bb.56:
	v_dual_mov_b32 v6, 0 :: v_dual_mov_b32 v7, 0
	s_cmp_lg_u32 s22, 0
	s_mov_b32 s6, 0
	s_cbranch_scc0 .LBB29_65
; %bb.57:
	s_min_u32 s7, s23, 15
	v_mov_b32_e32 v6, 0
	s_add_i32 s7, s7, 1
	s_cmp_eq_u32 s23, 2
	s_mov_b32 s8, 0
	s_cbranch_scc1 .LBB29_62
; %bb.58:
	v_dual_mov_b32 v7, 0 :: v_dual_mov_b32 v6, 0
	v_mov_b32_e32 v9, v8
	s_add_u32 s2, s0, 0xc4
	s_addc_u32 s3, s1, 0
	s_and_b32 s8, s7, 28
	s_mov_b32 s9, 0
	s_mov_b64 s[4:5], s[0:1]
.LBB29_59:                              ; =>This Inner Loop Header: Depth=1
	s_clause 0x1
	s_load_b256 s[12:19], s[4:5], 0x4
	s_load_b128 s[36:39], s[4:5], 0x24
	s_load_b256 s[24:31], s[2:3], 0x0
	s_add_u32 s4, s4, 48
	s_addc_u32 s5, s5, 0
	s_add_i32 s9, s9, 4
	s_add_u32 s2, s2, 32
	s_addc_u32 s3, s3, 0
	s_cmp_lg_u32 s8, s9
	s_waitcnt lgkmcnt(0)
	v_mul_hi_u32 v10, s13, v9
	s_delay_alu instid0(VALU_DEP_1) | instskip(NEXT) | instid1(VALU_DEP_1)
	v_add_nc_u32_e32 v10, v9, v10
	v_lshrrev_b32_e32 v10, s14, v10
	s_delay_alu instid0(VALU_DEP_1) | instskip(SKIP_1) | instid1(VALU_DEP_2)
	v_mul_hi_u32 v11, s16, v10
	v_mul_lo_u32 v13, v10, s12
	v_add_nc_u32_e32 v11, v10, v11
	s_delay_alu instid0(VALU_DEP_2) | instskip(NEXT) | instid1(VALU_DEP_2)
	v_sub_nc_u32_e32 v9, v9, v13
	v_lshrrev_b32_e32 v11, s17, v11
	s_delay_alu instid0(VALU_DEP_2) | instskip(SKIP_1) | instid1(VALU_DEP_3)
	v_mul_lo_u32 v13, v9, s24
	v_mul_lo_u32 v15, v9, s25
	v_mul_hi_u32 v12, s19, v11
	s_delay_alu instid0(VALU_DEP_1) | instskip(NEXT) | instid1(VALU_DEP_1)
	v_add_nc_u32_e32 v12, v11, v12
	v_lshrrev_b32_e32 v12, s36, v12
	s_delay_alu instid0(VALU_DEP_1) | instskip(SKIP_1) | instid1(VALU_DEP_2)
	v_mul_hi_u32 v14, s38, v12
	v_mul_lo_u32 v16, v12, s18
	v_add_nc_u32_e32 v9, v12, v14
	v_mul_lo_u32 v14, v11, s15
	s_delay_alu instid0(VALU_DEP_3) | instskip(NEXT) | instid1(VALU_DEP_3)
	v_sub_nc_u32_e32 v11, v11, v16
	v_lshrrev_b32_e32 v9, s39, v9
	s_delay_alu instid0(VALU_DEP_2) | instskip(SKIP_2) | instid1(VALU_DEP_4)
	v_mul_lo_u32 v16, v11, s28
	v_mul_lo_u32 v11, v11, s29
	v_sub_nc_u32_e32 v10, v10, v14
	v_mul_lo_u32 v17, v9, s37
	s_delay_alu instid0(VALU_DEP_2) | instskip(SKIP_1) | instid1(VALU_DEP_3)
	v_mul_lo_u32 v14, v10, s26
	v_mul_lo_u32 v10, v10, s27
	v_sub_nc_u32_e32 v12, v12, v17
	s_delay_alu instid0(VALU_DEP_3) | instskip(NEXT) | instid1(VALU_DEP_2)
	v_add3_u32 v6, v13, v6, v14
	v_mul_lo_u32 v17, v12, s30
	v_mul_lo_u32 v12, v12, s31
	v_add3_u32 v7, v15, v7, v10
	s_delay_alu instid0(VALU_DEP_3) | instskip(NEXT) | instid1(VALU_DEP_2)
	v_add3_u32 v6, v16, v6, v17
	v_add3_u32 v7, v11, v7, v12
	s_cbranch_scc1 .LBB29_59
; %bb.60:
	s_and_b32 s7, s7, 3
	s_delay_alu instid0(SALU_CYCLE_1)
	s_cmp_eq_u32 s7, 0
	s_cbranch_scc0 .LBB29_63
	s_branch .LBB29_65
.LBB29_61:
	s_mov_b32 s6, -1
                                        ; implicit-def: $vgpr6
                                        ; implicit-def: $vgpr7
	s_branch .LBB29_65
.LBB29_62:
	v_mov_b32_e32 v9, v8
	v_mov_b32_e32 v7, 0
	s_and_b32 s7, s7, 3
	s_delay_alu instid0(SALU_CYCLE_1)
	s_cmp_eq_u32 s7, 0
	s_cbranch_scc1 .LBB29_65
.LBB29_63:
	s_lshl_b32 s2, s8, 3
	s_mul_i32 s4, s8, 12
	s_add_u32 s2, s2, s0
	s_addc_u32 s3, 0, s1
	s_add_u32 s2, s2, 0xc4
	s_addc_u32 s3, s3, 0
	;; [unrolled: 2-line block ×3, first 2 shown]
	.p2align	6
.LBB29_64:                              ; =>This Inner Loop Header: Depth=1
	s_clause 0x1
	s_load_b64 s[8:9], s[4:5], 0x4
	s_load_b32 s12, s[4:5], 0xc
	s_load_b64 s[10:11], s[2:3], 0x0
	s_add_u32 s4, s4, 12
	s_addc_u32 s5, s5, 0
	s_add_u32 s2, s2, 8
	s_addc_u32 s3, s3, 0
	s_add_i32 s7, s7, -1
	s_delay_alu instid0(SALU_CYCLE_1) | instskip(SKIP_2) | instid1(VALU_DEP_1)
	s_cmp_lg_u32 s7, 0
	s_waitcnt lgkmcnt(0)
	v_mul_hi_u32 v10, s9, v9
	v_add_nc_u32_e32 v10, v9, v10
	s_delay_alu instid0(VALU_DEP_1) | instskip(NEXT) | instid1(VALU_DEP_1)
	v_lshrrev_b32_e32 v13, s12, v10
	v_mul_lo_u32 v10, v13, s8
	s_delay_alu instid0(VALU_DEP_1) | instskip(NEXT) | instid1(VALU_DEP_1)
	v_sub_nc_u32_e32 v9, v9, v10
	v_mad_u64_u32 v[10:11], null, v9, s10, v[6:7]
	v_mad_u64_u32 v[11:12], null, v9, s11, v[7:8]
	s_delay_alu instid0(VALU_DEP_2) | instskip(NEXT) | instid1(VALU_DEP_2)
	v_dual_mov_b32 v9, v13 :: v_dual_mov_b32 v6, v10
	v_mov_b32_e32 v7, v11
	s_cbranch_scc1 .LBB29_64
.LBB29_65:
	s_and_not1_b32 vcc_lo, exec_lo, s6
	s_cbranch_vccnz .LBB29_68
; %bb.66:
	s_clause 0x1
	s_load_b128 s[4:7], s[0:1], 0x4
	s_load_b64 s[2:3], s[0:1], 0xc4
	s_cmp_lt_u32 s22, 2
	s_waitcnt lgkmcnt(0)
	v_mul_hi_u32 v6, s5, v8
	s_delay_alu instid0(VALU_DEP_1) | instskip(NEXT) | instid1(VALU_DEP_1)
	v_add_nc_u32_e32 v6, v8, v6
	v_lshrrev_b32_e32 v9, s6, v6
	s_delay_alu instid0(VALU_DEP_1) | instskip(NEXT) | instid1(VALU_DEP_1)
	v_mul_lo_u32 v6, v9, s4
	v_sub_nc_u32_e32 v7, v8, v6
	s_delay_alu instid0(VALU_DEP_1)
	v_mul_lo_u32 v6, v7, s2
	v_mul_lo_u32 v7, v7, s3
	s_cbranch_scc1 .LBB29_68
; %bb.67:
	s_clause 0x1
	s_load_b128 s[4:7], s[0:1], 0x10
	s_load_b64 s[2:3], s[0:1], 0xcc
	s_waitcnt lgkmcnt(0)
	v_mul_hi_u32 v8, s5, v9
	s_delay_alu instid0(VALU_DEP_1) | instskip(NEXT) | instid1(VALU_DEP_1)
	v_add_nc_u32_e32 v8, v9, v8
	v_lshrrev_b32_e32 v8, s6, v8
	s_delay_alu instid0(VALU_DEP_1) | instskip(NEXT) | instid1(VALU_DEP_1)
	v_mul_lo_u32 v8, v8, s4
	v_sub_nc_u32_e32 v11, v9, v8
	s_delay_alu instid0(VALU_DEP_1) | instskip(NEXT) | instid1(VALU_DEP_1)
	v_mad_u64_u32 v[8:9], null, v11, s2, v[6:7]
	v_mad_u64_u32 v[9:10], null, v11, s3, v[7:8]
	s_delay_alu instid0(VALU_DEP_1)
	v_dual_mov_b32 v6, v8 :: v_dual_mov_b32 v7, v9
.LBB29_68:
	s_load_b128 s[0:3], s[0:1], 0x148
	s_waitcnt lgkmcnt(0)
	s_clause 0x3
	global_load_b32 v1, v1, s[2:3]
	global_load_b32 v3, v3, s[2:3]
	;; [unrolled: 1-line block ×4, first 2 shown]
	s_waitcnt vmcnt(3)
	v_not_b32_e32 v1, v1
	s_waitcnt vmcnt(2)
	v_not_b32_e32 v3, v3
	;; [unrolled: 2-line block ×4, first 2 shown]
	s_clause 0x3
	global_store_b32 v0, v1, s[0:1]
	global_store_b32 v2, v3, s[0:1]
	;; [unrolled: 1-line block ×4, first 2 shown]
	s_nop 0
	s_sendmsg sendmsg(MSG_DEALLOC_VGPRS)
	s_endpgm
.LBB29_69:
	v_dual_mov_b32 v2, v4 :: v_dual_mov_b32 v1, 0
.LBB29_70:
	s_and_b32 s34, s34, 3
	s_delay_alu instid0(SALU_CYCLE_1)
	s_cmp_eq_u32 s34, 0
	s_cbranch_scc1 .LBB29_73
; %bb.71:
	s_lshl_b32 s18, s33, 3
	s_mul_i32 s20, s33, 12
	s_add_u32 s18, s18, s0
	s_addc_u32 s19, s1, 0
	s_add_u32 s18, s18, 0xc4
	s_addc_u32 s19, s19, 0
	s_add_u32 s20, s0, s20
	s_addc_u32 s21, s1, 0
	.p2align	6
.LBB29_72:                              ; =>This Inner Loop Header: Depth=1
	s_clause 0x1
	s_load_b64 s[36:37], s[20:21], 0x4
	s_load_b32 s33, s[20:21], 0xc
	s_load_b64 s[38:39], s[18:19], 0x0
	s_add_u32 s20, s20, 12
	s_addc_u32 s21, s21, 0
	s_add_u32 s18, s18, 8
	s_addc_u32 s19, s19, 0
	s_add_i32 s34, s34, -1
	s_delay_alu instid0(SALU_CYCLE_1) | instskip(SKIP_2) | instid1(VALU_DEP_1)
	s_cmp_lg_u32 s34, 0
	s_waitcnt lgkmcnt(0)
	v_mul_hi_u32 v3, s37, v2
	v_add_nc_u32_e32 v3, v2, v3
	s_delay_alu instid0(VALU_DEP_1) | instskip(NEXT) | instid1(VALU_DEP_1)
	v_lshrrev_b32_e32 v3, s33, v3
	v_mul_lo_u32 v5, v3, s36
	s_delay_alu instid0(VALU_DEP_1) | instskip(NEXT) | instid1(VALU_DEP_1)
	v_sub_nc_u32_e32 v2, v2, v5
	v_mad_u64_u32 v[5:6], null, v2, s38, v[0:1]
	v_mad_u64_u32 v[6:7], null, v2, s39, v[1:2]
	v_mov_b32_e32 v2, v3
	s_delay_alu instid0(VALU_DEP_2)
	v_dual_mov_b32 v0, v5 :: v_dual_mov_b32 v1, v6
	s_cbranch_scc1 .LBB29_72
.LBB29_73:
	s_and_not1_b32 vcc_lo, exec_lo, s31
	s_cbranch_vccnz .LBB29_76
; %bb.74:
	s_waitcnt lgkmcnt(0)
	v_mul_hi_u32 v0, s13, v4
	s_and_not1_b32 vcc_lo, exec_lo, s26
	s_delay_alu instid0(VALU_DEP_1) | instskip(NEXT) | instid1(VALU_DEP_1)
	v_add_nc_u32_e32 v0, v4, v0
	v_lshrrev_b32_e32 v2, s14, v0
	s_delay_alu instid0(VALU_DEP_1) | instskip(NEXT) | instid1(VALU_DEP_1)
	v_mul_lo_u32 v0, v2, s12
	v_sub_nc_u32_e32 v1, v4, v0
	s_delay_alu instid0(VALU_DEP_1)
	v_mul_lo_u32 v0, v1, s8
	v_mul_lo_u32 v1, v1, s9
	s_cbranch_vccnz .LBB29_76
; %bb.75:
	v_mul_hi_u32 v3, s2, v2
	s_delay_alu instid0(VALU_DEP_1) | instskip(NEXT) | instid1(VALU_DEP_1)
	v_add_nc_u32_e32 v3, v2, v3
	v_lshrrev_b32_e32 v3, s3, v3
	s_delay_alu instid0(VALU_DEP_1) | instskip(NEXT) | instid1(VALU_DEP_1)
	v_mul_lo_u32 v3, v3, s15
	v_sub_nc_u32_e32 v7, v2, v3
	s_delay_alu instid0(VALU_DEP_1) | instskip(NEXT) | instid1(VALU_DEP_1)
	v_mad_u64_u32 v[2:3], null, v7, s10, v[0:1]
	v_mad_u64_u32 v[5:6], null, v7, s11, v[1:2]
	s_delay_alu instid0(VALU_DEP_1)
	v_dual_mov_b32 v0, v2 :: v_dual_mov_b32 v1, v5
.LBB29_76:
	s_waitcnt lgkmcnt(0)
	global_load_b32 v1, v1, s[6:7]
	v_add_nc_u32_e32 v4, 0x80, v4
	s_waitcnt vmcnt(0)
	v_not_b32_e32 v1, v1
	global_store_b32 v0, v1, s[4:5]
	s_or_b32 exec_lo, exec_lo, s30
	s_delay_alu instid0(SALU_CYCLE_1)
	s_mov_b32 s30, exec_lo
	v_cmpx_gt_i32_e64 s27, v4
	s_cbranch_execnz .LBB29_15
.LBB29_77:
	s_or_b32 exec_lo, exec_lo, s30
	s_delay_alu instid0(SALU_CYCLE_1)
	s_mov_b32 s30, exec_lo
	v_cmpx_gt_i32_e64 s27, v4
	s_cbranch_execz .LBB29_92
.LBB29_78:
	s_and_not1_b32 vcc_lo, exec_lo, s24
	s_cbranch_vccnz .LBB29_83
; %bb.79:
	v_dual_mov_b32 v0, 0 :: v_dual_mov_b32 v1, 0
	s_and_not1_b32 vcc_lo, exec_lo, s29
	s_mov_b32 s31, 0
	s_cbranch_vccnz .LBB29_99
; %bb.80:
	v_mov_b32_e32 v0, 0
	s_add_i32 s34, s28, 1
	s_cmp_eq_u32 s23, 2
	s_mov_b32 s33, 0
	s_cbranch_scc1 .LBB29_95
; %bb.81:
	v_dual_mov_b32 v1, 0 :: v_dual_mov_b32 v0, 0
	v_mov_b32_e32 v2, v4
	s_and_b32 s33, s34, 28
	s_mov_b32 s35, 0
	s_mov_b64 s[18:19], s[16:17]
	s_mov_b64 s[20:21], s[0:1]
.LBB29_82:                              ; =>This Inner Loop Header: Depth=1
	s_clause 0x1
	s_load_b256 s[36:43], s[20:21], 0x4
	s_load_b128 s[52:55], s[20:21], 0x24
	s_load_b256 s[44:51], s[18:19], 0x0
	s_add_u32 s20, s20, 48
	s_addc_u32 s21, s21, 0
	s_add_i32 s35, s35, 4
	s_add_u32 s18, s18, 32
	s_addc_u32 s19, s19, 0
	s_cmp_eq_u32 s33, s35
	s_waitcnt lgkmcnt(0)
	v_mul_hi_u32 v3, s37, v2
	s_delay_alu instid0(VALU_DEP_1) | instskip(NEXT) | instid1(VALU_DEP_1)
	v_add_nc_u32_e32 v3, v2, v3
	v_lshrrev_b32_e32 v3, s38, v3
	s_delay_alu instid0(VALU_DEP_1) | instskip(SKIP_1) | instid1(VALU_DEP_2)
	v_mul_hi_u32 v5, s40, v3
	v_mul_lo_u32 v7, v3, s36
	v_add_nc_u32_e32 v5, v3, v5
	s_delay_alu instid0(VALU_DEP_2) | instskip(NEXT) | instid1(VALU_DEP_2)
	v_sub_nc_u32_e32 v2, v2, v7
	v_lshrrev_b32_e32 v5, s41, v5
	s_delay_alu instid0(VALU_DEP_2) | instskip(SKIP_1) | instid1(VALU_DEP_3)
	v_mul_lo_u32 v7, v2, s44
	v_mul_lo_u32 v9, v2, s45
	v_mul_hi_u32 v6, s43, v5
	s_delay_alu instid0(VALU_DEP_1) | instskip(NEXT) | instid1(VALU_DEP_1)
	v_add_nc_u32_e32 v6, v5, v6
	v_lshrrev_b32_e32 v6, s52, v6
	s_delay_alu instid0(VALU_DEP_1) | instskip(SKIP_1) | instid1(VALU_DEP_2)
	v_mul_hi_u32 v8, s54, v6
	v_mul_lo_u32 v10, v6, s42
	v_add_nc_u32_e32 v2, v6, v8
	v_mul_lo_u32 v8, v5, s39
	s_delay_alu instid0(VALU_DEP_3) | instskip(NEXT) | instid1(VALU_DEP_3)
	v_sub_nc_u32_e32 v5, v5, v10
	v_lshrrev_b32_e32 v2, s55, v2
	s_delay_alu instid0(VALU_DEP_2) | instskip(SKIP_2) | instid1(VALU_DEP_4)
	v_mul_lo_u32 v10, v5, s48
	v_mul_lo_u32 v5, v5, s49
	v_sub_nc_u32_e32 v3, v3, v8
	v_mul_lo_u32 v11, v2, s53
	s_delay_alu instid0(VALU_DEP_2) | instskip(SKIP_1) | instid1(VALU_DEP_3)
	v_mul_lo_u32 v8, v3, s46
	v_mul_lo_u32 v3, v3, s47
	v_sub_nc_u32_e32 v6, v6, v11
	s_delay_alu instid0(VALU_DEP_3) | instskip(NEXT) | instid1(VALU_DEP_2)
	v_add3_u32 v0, v7, v0, v8
	v_mul_lo_u32 v11, v6, s50
	v_mul_lo_u32 v6, v6, s51
	v_add3_u32 v1, v9, v1, v3
	s_delay_alu instid0(VALU_DEP_3) | instskip(NEXT) | instid1(VALU_DEP_2)
	v_add3_u32 v0, v10, v0, v11
	v_add3_u32 v1, v5, v1, v6
	s_cbranch_scc0 .LBB29_82
	s_branch .LBB29_96
.LBB29_83:
	s_mov_b32 s31, -1
                                        ; implicit-def: $vgpr0
                                        ; implicit-def: $vgpr1
	s_branch .LBB29_99
.LBB29_84:
	v_dual_mov_b32 v2, v4 :: v_dual_mov_b32 v1, 0
.LBB29_85:
	s_and_b32 s34, s34, 3
	s_delay_alu instid0(SALU_CYCLE_1)
	s_cmp_eq_u32 s34, 0
	s_cbranch_scc1 .LBB29_88
; %bb.86:
	s_lshl_b32 s18, s33, 3
	s_mul_i32 s20, s33, 12
	s_add_u32 s18, s18, s0
	s_addc_u32 s19, s1, 0
	s_add_u32 s18, s18, 0xc4
	s_addc_u32 s19, s19, 0
	;; [unrolled: 2-line block ×3, first 2 shown]
	.p2align	6
.LBB29_87:                              ; =>This Inner Loop Header: Depth=1
	s_clause 0x1
	s_load_b64 s[36:37], s[20:21], 0x4
	s_load_b32 s33, s[20:21], 0xc
	s_load_b64 s[38:39], s[18:19], 0x0
	s_add_u32 s20, s20, 12
	s_addc_u32 s21, s21, 0
	s_add_u32 s18, s18, 8
	s_addc_u32 s19, s19, 0
	s_add_i32 s34, s34, -1
	s_delay_alu instid0(SALU_CYCLE_1) | instskip(SKIP_2) | instid1(VALU_DEP_1)
	s_cmp_lg_u32 s34, 0
	s_waitcnt lgkmcnt(0)
	v_mul_hi_u32 v3, s37, v2
	v_add_nc_u32_e32 v3, v2, v3
	s_delay_alu instid0(VALU_DEP_1) | instskip(NEXT) | instid1(VALU_DEP_1)
	v_lshrrev_b32_e32 v3, s33, v3
	v_mul_lo_u32 v5, v3, s36
	s_delay_alu instid0(VALU_DEP_1) | instskip(NEXT) | instid1(VALU_DEP_1)
	v_sub_nc_u32_e32 v2, v2, v5
	v_mad_u64_u32 v[5:6], null, v2, s38, v[0:1]
	v_mad_u64_u32 v[6:7], null, v2, s39, v[1:2]
	v_mov_b32_e32 v2, v3
	s_delay_alu instid0(VALU_DEP_2)
	v_dual_mov_b32 v0, v5 :: v_dual_mov_b32 v1, v6
	s_cbranch_scc1 .LBB29_87
.LBB29_88:
	s_and_not1_b32 vcc_lo, exec_lo, s31
	s_cbranch_vccnz .LBB29_91
; %bb.89:
	s_waitcnt lgkmcnt(0)
	v_mul_hi_u32 v0, s13, v4
	s_and_not1_b32 vcc_lo, exec_lo, s26
	s_delay_alu instid0(VALU_DEP_1) | instskip(NEXT) | instid1(VALU_DEP_1)
	v_add_nc_u32_e32 v0, v4, v0
	v_lshrrev_b32_e32 v2, s14, v0
	s_delay_alu instid0(VALU_DEP_1) | instskip(NEXT) | instid1(VALU_DEP_1)
	v_mul_lo_u32 v0, v2, s12
	v_sub_nc_u32_e32 v1, v4, v0
	s_delay_alu instid0(VALU_DEP_1)
	v_mul_lo_u32 v0, v1, s8
	v_mul_lo_u32 v1, v1, s9
	s_cbranch_vccnz .LBB29_91
; %bb.90:
	v_mul_hi_u32 v3, s2, v2
	s_delay_alu instid0(VALU_DEP_1) | instskip(NEXT) | instid1(VALU_DEP_1)
	v_add_nc_u32_e32 v3, v2, v3
	v_lshrrev_b32_e32 v3, s3, v3
	s_delay_alu instid0(VALU_DEP_1) | instskip(NEXT) | instid1(VALU_DEP_1)
	v_mul_lo_u32 v3, v3, s15
	v_sub_nc_u32_e32 v7, v2, v3
	s_delay_alu instid0(VALU_DEP_1) | instskip(NEXT) | instid1(VALU_DEP_1)
	v_mad_u64_u32 v[2:3], null, v7, s10, v[0:1]
	v_mad_u64_u32 v[5:6], null, v7, s11, v[1:2]
	s_delay_alu instid0(VALU_DEP_1)
	v_dual_mov_b32 v0, v2 :: v_dual_mov_b32 v1, v5
.LBB29_91:
	s_waitcnt lgkmcnt(0)
	global_load_b32 v1, v1, s[6:7]
	v_add_nc_u32_e32 v4, 0x80, v4
	s_waitcnt vmcnt(0)
	v_not_b32_e32 v1, v1
	global_store_b32 v0, v1, s[4:5]
	s_or_b32 exec_lo, exec_lo, s30
	s_delay_alu instid0(SALU_CYCLE_1)
	s_mov_b32 s30, exec_lo
	v_cmpx_gt_i32_e64 s27, v4
	s_cbranch_execnz .LBB29_78
.LBB29_92:
	s_or_b32 exec_lo, exec_lo, s30
	s_delay_alu instid0(SALU_CYCLE_1)
	s_mov_b32 s20, exec_lo
	v_cmpx_gt_i32_e64 s27, v4
	s_cbranch_execnz .LBB29_103
.LBB29_93:
	s_or_b32 exec_lo, exec_lo, s20
                                        ; implicit-def: $vgpr8
                                        ; implicit-def: $vgpr4
	s_waitcnt lgkmcnt(0)
	s_and_not1_saveexec_b32 s2, s25
	s_cbranch_execnz .LBB29_8
.LBB29_94:
	s_nop 0
	s_sendmsg sendmsg(MSG_DEALLOC_VGPRS)
	s_endpgm
.LBB29_95:
	v_dual_mov_b32 v2, v4 :: v_dual_mov_b32 v1, 0
.LBB29_96:
	s_and_b32 s34, s34, 3
	s_delay_alu instid0(SALU_CYCLE_1)
	s_cmp_eq_u32 s34, 0
	s_cbranch_scc1 .LBB29_99
; %bb.97:
	s_lshl_b32 s18, s33, 3
	s_mul_i32 s20, s33, 12
	s_add_u32 s18, s18, s0
	s_addc_u32 s19, s1, 0
	s_add_u32 s18, s18, 0xc4
	s_addc_u32 s19, s19, 0
	;; [unrolled: 2-line block ×3, first 2 shown]
	.p2align	6
.LBB29_98:                              ; =>This Inner Loop Header: Depth=1
	s_clause 0x1
	s_load_b64 s[36:37], s[20:21], 0x4
	s_load_b32 s33, s[20:21], 0xc
	s_load_b64 s[38:39], s[18:19], 0x0
	s_add_u32 s20, s20, 12
	s_addc_u32 s21, s21, 0
	s_add_u32 s18, s18, 8
	s_addc_u32 s19, s19, 0
	s_add_i32 s34, s34, -1
	s_delay_alu instid0(SALU_CYCLE_1) | instskip(SKIP_2) | instid1(VALU_DEP_1)
	s_cmp_lg_u32 s34, 0
	s_waitcnt lgkmcnt(0)
	v_mul_hi_u32 v3, s37, v2
	v_add_nc_u32_e32 v3, v2, v3
	s_delay_alu instid0(VALU_DEP_1) | instskip(NEXT) | instid1(VALU_DEP_1)
	v_lshrrev_b32_e32 v3, s33, v3
	v_mul_lo_u32 v5, v3, s36
	s_delay_alu instid0(VALU_DEP_1) | instskip(NEXT) | instid1(VALU_DEP_1)
	v_sub_nc_u32_e32 v2, v2, v5
	v_mad_u64_u32 v[5:6], null, v2, s38, v[0:1]
	v_mad_u64_u32 v[6:7], null, v2, s39, v[1:2]
	v_mov_b32_e32 v2, v3
	s_delay_alu instid0(VALU_DEP_2)
	v_dual_mov_b32 v0, v5 :: v_dual_mov_b32 v1, v6
	s_cbranch_scc1 .LBB29_98
.LBB29_99:
	s_and_not1_b32 vcc_lo, exec_lo, s31
	s_cbranch_vccnz .LBB29_102
; %bb.100:
	s_waitcnt lgkmcnt(0)
	v_mul_hi_u32 v0, s13, v4
	s_and_not1_b32 vcc_lo, exec_lo, s26
	s_delay_alu instid0(VALU_DEP_1) | instskip(NEXT) | instid1(VALU_DEP_1)
	v_add_nc_u32_e32 v0, v4, v0
	v_lshrrev_b32_e32 v2, s14, v0
	s_delay_alu instid0(VALU_DEP_1) | instskip(NEXT) | instid1(VALU_DEP_1)
	v_mul_lo_u32 v0, v2, s12
	v_sub_nc_u32_e32 v1, v4, v0
	s_delay_alu instid0(VALU_DEP_1)
	v_mul_lo_u32 v0, v1, s8
	v_mul_lo_u32 v1, v1, s9
	s_cbranch_vccnz .LBB29_102
; %bb.101:
	v_mul_hi_u32 v3, s2, v2
	s_delay_alu instid0(VALU_DEP_1) | instskip(NEXT) | instid1(VALU_DEP_1)
	v_add_nc_u32_e32 v3, v2, v3
	v_lshrrev_b32_e32 v3, s3, v3
	s_delay_alu instid0(VALU_DEP_1) | instskip(NEXT) | instid1(VALU_DEP_1)
	v_mul_lo_u32 v3, v3, s15
	v_sub_nc_u32_e32 v7, v2, v3
	s_delay_alu instid0(VALU_DEP_1) | instskip(NEXT) | instid1(VALU_DEP_1)
	v_mad_u64_u32 v[2:3], null, v7, s10, v[0:1]
	v_mad_u64_u32 v[5:6], null, v7, s11, v[1:2]
	s_delay_alu instid0(VALU_DEP_1)
	v_dual_mov_b32 v0, v2 :: v_dual_mov_b32 v1, v5
.LBB29_102:
	s_waitcnt lgkmcnt(0)
	global_load_b32 v1, v1, s[6:7]
	v_add_nc_u32_e32 v4, 0x80, v4
	s_waitcnt vmcnt(0)
	v_not_b32_e32 v1, v1
	global_store_b32 v0, v1, s[4:5]
	s_or_b32 exec_lo, exec_lo, s30
	s_delay_alu instid0(SALU_CYCLE_1)
	s_mov_b32 s20, exec_lo
	v_cmpx_gt_i32_e64 s27, v4
	s_cbranch_execz .LBB29_93
.LBB29_103:
	s_and_not1_b32 vcc_lo, exec_lo, s24
	s_cbranch_vccnz .LBB29_108
; %bb.104:
	v_dual_mov_b32 v0, 0 :: v_dual_mov_b32 v1, 0
	s_and_not1_b32 vcc_lo, exec_lo, s29
	s_mov_b32 s21, 0
	s_cbranch_vccnz .LBB29_113
; %bb.105:
	v_mov_b32_e32 v0, 0
	s_add_i32 s28, s28, 1
	s_cmp_eq_u32 s23, 2
	s_mov_b32 s27, 0
	s_cbranch_scc1 .LBB29_109
; %bb.106:
	v_dual_mov_b32 v1, 0 :: v_dual_mov_b32 v0, 0
	v_mov_b32_e32 v2, v4
	s_and_b32 s27, s28, 28
	s_mov_b32 s29, 0
	s_mov_b64 s[18:19], s[0:1]
.LBB29_107:                             ; =>This Inner Loop Header: Depth=1
	s_clause 0x1
	s_load_b256 s[36:43], s[18:19], 0x4
	s_load_b128 s[52:55], s[18:19], 0x24
	s_load_b256 s[44:51], s[16:17], 0x0
	s_add_u32 s18, s18, 48
	s_addc_u32 s19, s19, 0
	s_add_i32 s29, s29, 4
	s_add_u32 s16, s16, 32
	s_addc_u32 s17, s17, 0
	s_cmp_eq_u32 s27, s29
	s_waitcnt lgkmcnt(0)
	v_mul_hi_u32 v3, s37, v2
	s_delay_alu instid0(VALU_DEP_1) | instskip(NEXT) | instid1(VALU_DEP_1)
	v_add_nc_u32_e32 v3, v2, v3
	v_lshrrev_b32_e32 v3, s38, v3
	s_delay_alu instid0(VALU_DEP_1) | instskip(SKIP_1) | instid1(VALU_DEP_2)
	v_mul_hi_u32 v5, s40, v3
	v_mul_lo_u32 v7, v3, s36
	v_add_nc_u32_e32 v5, v3, v5
	s_delay_alu instid0(VALU_DEP_2) | instskip(NEXT) | instid1(VALU_DEP_2)
	v_sub_nc_u32_e32 v2, v2, v7
	v_lshrrev_b32_e32 v5, s41, v5
	s_delay_alu instid0(VALU_DEP_2) | instskip(SKIP_1) | instid1(VALU_DEP_3)
	v_mul_lo_u32 v7, v2, s44
	v_mul_lo_u32 v9, v2, s45
	v_mul_hi_u32 v6, s43, v5
	s_delay_alu instid0(VALU_DEP_1) | instskip(NEXT) | instid1(VALU_DEP_1)
	v_add_nc_u32_e32 v6, v5, v6
	v_lshrrev_b32_e32 v6, s52, v6
	s_delay_alu instid0(VALU_DEP_1) | instskip(SKIP_1) | instid1(VALU_DEP_2)
	v_mul_hi_u32 v8, s54, v6
	v_mul_lo_u32 v10, v6, s42
	v_add_nc_u32_e32 v2, v6, v8
	v_mul_lo_u32 v8, v5, s39
	s_delay_alu instid0(VALU_DEP_3) | instskip(NEXT) | instid1(VALU_DEP_3)
	v_sub_nc_u32_e32 v5, v5, v10
	v_lshrrev_b32_e32 v2, s55, v2
	s_delay_alu instid0(VALU_DEP_2) | instskip(SKIP_2) | instid1(VALU_DEP_4)
	v_mul_lo_u32 v10, v5, s48
	v_mul_lo_u32 v5, v5, s49
	v_sub_nc_u32_e32 v3, v3, v8
	v_mul_lo_u32 v11, v2, s53
	s_delay_alu instid0(VALU_DEP_2) | instskip(SKIP_1) | instid1(VALU_DEP_3)
	v_mul_lo_u32 v8, v3, s46
	v_mul_lo_u32 v3, v3, s47
	v_sub_nc_u32_e32 v6, v6, v11
	s_delay_alu instid0(VALU_DEP_3) | instskip(NEXT) | instid1(VALU_DEP_2)
	v_add3_u32 v0, v7, v0, v8
	v_mul_lo_u32 v11, v6, s50
	v_mul_lo_u32 v6, v6, s51
	v_add3_u32 v1, v9, v1, v3
	s_delay_alu instid0(VALU_DEP_3) | instskip(NEXT) | instid1(VALU_DEP_2)
	v_add3_u32 v0, v10, v0, v11
	v_add3_u32 v1, v5, v1, v6
	s_cbranch_scc0 .LBB29_107
	s_branch .LBB29_110
.LBB29_108:
	s_mov_b32 s21, -1
                                        ; implicit-def: $vgpr0
                                        ; implicit-def: $vgpr1
	s_branch .LBB29_113
.LBB29_109:
	v_dual_mov_b32 v2, v4 :: v_dual_mov_b32 v1, 0
.LBB29_110:
	s_and_b32 s28, s28, 3
	s_delay_alu instid0(SALU_CYCLE_1)
	s_cmp_eq_u32 s28, 0
	s_cbranch_scc1 .LBB29_113
; %bb.111:
	s_lshl_b32 s16, s27, 3
	s_mul_i32 s18, s27, 12
	s_add_u32 s16, s16, s0
	s_addc_u32 s17, s1, 0
	s_add_u32 s16, s16, 0xc4
	s_addc_u32 s17, s17, 0
	s_add_u32 s18, s0, s18
	s_addc_u32 s19, s1, 0
	.p2align	6
.LBB29_112:                             ; =>This Inner Loop Header: Depth=1
	s_clause 0x1
	s_load_b64 s[30:31], s[18:19], 0x4
	s_load_b32 s27, s[18:19], 0xc
	s_load_b64 s[34:35], s[16:17], 0x0
	s_add_u32 s18, s18, 12
	s_addc_u32 s19, s19, 0
	s_add_u32 s16, s16, 8
	s_addc_u32 s17, s17, 0
	s_add_i32 s28, s28, -1
	s_delay_alu instid0(SALU_CYCLE_1) | instskip(SKIP_2) | instid1(VALU_DEP_1)
	s_cmp_lg_u32 s28, 0
	s_waitcnt lgkmcnt(0)
	v_mul_hi_u32 v3, s31, v2
	v_add_nc_u32_e32 v3, v2, v3
	s_delay_alu instid0(VALU_DEP_1) | instskip(NEXT) | instid1(VALU_DEP_1)
	v_lshrrev_b32_e32 v3, s27, v3
	v_mul_lo_u32 v5, v3, s30
	s_delay_alu instid0(VALU_DEP_1) | instskip(NEXT) | instid1(VALU_DEP_1)
	v_sub_nc_u32_e32 v2, v2, v5
	v_mad_u64_u32 v[5:6], null, v2, s34, v[0:1]
	v_mad_u64_u32 v[6:7], null, v2, s35, v[1:2]
	v_mov_b32_e32 v2, v3
	s_delay_alu instid0(VALU_DEP_2)
	v_dual_mov_b32 v0, v5 :: v_dual_mov_b32 v1, v6
	s_cbranch_scc1 .LBB29_112
.LBB29_113:
	s_and_not1_b32 vcc_lo, exec_lo, s21
	s_cbranch_vccnz .LBB29_116
; %bb.114:
	s_waitcnt lgkmcnt(0)
	v_mul_hi_u32 v0, s13, v4
	s_and_not1_b32 vcc_lo, exec_lo, s26
	s_delay_alu instid0(VALU_DEP_1) | instskip(NEXT) | instid1(VALU_DEP_1)
	v_add_nc_u32_e32 v0, v4, v0
	v_lshrrev_b32_e32 v2, s14, v0
	s_delay_alu instid0(VALU_DEP_1) | instskip(NEXT) | instid1(VALU_DEP_1)
	v_mul_lo_u32 v0, v2, s12
	v_sub_nc_u32_e32 v1, v4, v0
	s_delay_alu instid0(VALU_DEP_1)
	v_mul_lo_u32 v0, v1, s8
	v_mul_lo_u32 v1, v1, s9
	s_cbranch_vccnz .LBB29_116
; %bb.115:
	v_mul_hi_u32 v3, s2, v2
	s_delay_alu instid0(VALU_DEP_1) | instskip(NEXT) | instid1(VALU_DEP_1)
	v_add_nc_u32_e32 v3, v2, v3
	v_lshrrev_b32_e32 v3, s3, v3
	s_delay_alu instid0(VALU_DEP_1) | instskip(NEXT) | instid1(VALU_DEP_1)
	v_mul_lo_u32 v3, v3, s15
	v_sub_nc_u32_e32 v5, v2, v3
	s_delay_alu instid0(VALU_DEP_1) | instskip(NEXT) | instid1(VALU_DEP_1)
	v_mad_u64_u32 v[2:3], null, v5, s10, v[0:1]
	v_mad_u64_u32 v[3:4], null, v5, s11, v[1:2]
	s_delay_alu instid0(VALU_DEP_1)
	v_dual_mov_b32 v0, v2 :: v_dual_mov_b32 v1, v3
.LBB29_116:
	s_waitcnt lgkmcnt(0)
	global_load_b32 v1, v1, s[6:7]
	s_waitcnt vmcnt(0)
	v_not_b32_e32 v1, v1
	global_store_b32 v0, v1, s[4:5]
	s_or_b32 exec_lo, exec_lo, s20
                                        ; implicit-def: $vgpr8
                                        ; implicit-def: $vgpr4
	s_and_not1_saveexec_b32 s2, s25
	s_cbranch_execz .LBB29_94
	s_branch .LBB29_8
	.section	.rodata,"a",@progbits
	.p2align	6, 0x0
	.amdhsa_kernel _ZN2at6native32elementwise_kernel_manual_unrollILi128ELi4EZNS0_22gpu_kernel_impl_nocastIZZZNS0_23bitwise_not_kernel_cudaERNS_18TensorIteratorBaseEENKUlvE_clEvENKUlvE1_clEvEUliE_EEvS4_RKT_EUlibE_EEviT1_
		.amdhsa_group_segment_fixed_size 0
		.amdhsa_private_segment_fixed_size 0
		.amdhsa_kernarg_size 360
		.amdhsa_user_sgpr_count 15
		.amdhsa_user_sgpr_dispatch_ptr 0
		.amdhsa_user_sgpr_queue_ptr 0
		.amdhsa_user_sgpr_kernarg_segment_ptr 1
		.amdhsa_user_sgpr_dispatch_id 0
		.amdhsa_user_sgpr_private_segment_size 0
		.amdhsa_wavefront_size32 1
		.amdhsa_uses_dynamic_stack 0
		.amdhsa_enable_private_segment 0
		.amdhsa_system_sgpr_workgroup_id_x 1
		.amdhsa_system_sgpr_workgroup_id_y 0
		.amdhsa_system_sgpr_workgroup_id_z 0
		.amdhsa_system_sgpr_workgroup_info 0
		.amdhsa_system_vgpr_workitem_id 0
		.amdhsa_next_free_vgpr 18
		.amdhsa_next_free_sgpr 56
		.amdhsa_reserve_vcc 1
		.amdhsa_float_round_mode_32 0
		.amdhsa_float_round_mode_16_64 0
		.amdhsa_float_denorm_mode_32 3
		.amdhsa_float_denorm_mode_16_64 3
		.amdhsa_dx10_clamp 1
		.amdhsa_ieee_mode 1
		.amdhsa_fp16_overflow 0
		.amdhsa_workgroup_processor_mode 1
		.amdhsa_memory_ordered 1
		.amdhsa_forward_progress 0
		.amdhsa_shared_vgpr_count 0
		.amdhsa_exception_fp_ieee_invalid_op 0
		.amdhsa_exception_fp_denorm_src 0
		.amdhsa_exception_fp_ieee_div_zero 0
		.amdhsa_exception_fp_ieee_overflow 0
		.amdhsa_exception_fp_ieee_underflow 0
		.amdhsa_exception_fp_ieee_inexact 0
		.amdhsa_exception_int_div_zero 0
	.end_amdhsa_kernel
	.section	.text._ZN2at6native32elementwise_kernel_manual_unrollILi128ELi4EZNS0_22gpu_kernel_impl_nocastIZZZNS0_23bitwise_not_kernel_cudaERNS_18TensorIteratorBaseEENKUlvE_clEvENKUlvE1_clEvEUliE_EEvS4_RKT_EUlibE_EEviT1_,"axG",@progbits,_ZN2at6native32elementwise_kernel_manual_unrollILi128ELi4EZNS0_22gpu_kernel_impl_nocastIZZZNS0_23bitwise_not_kernel_cudaERNS_18TensorIteratorBaseEENKUlvE_clEvENKUlvE1_clEvEUliE_EEvS4_RKT_EUlibE_EEviT1_,comdat
.Lfunc_end29:
	.size	_ZN2at6native32elementwise_kernel_manual_unrollILi128ELi4EZNS0_22gpu_kernel_impl_nocastIZZZNS0_23bitwise_not_kernel_cudaERNS_18TensorIteratorBaseEENKUlvE_clEvENKUlvE1_clEvEUliE_EEvS4_RKT_EUlibE_EEviT1_, .Lfunc_end29-_ZN2at6native32elementwise_kernel_manual_unrollILi128ELi4EZNS0_22gpu_kernel_impl_nocastIZZZNS0_23bitwise_not_kernel_cudaERNS_18TensorIteratorBaseEENKUlvE_clEvENKUlvE1_clEvEUliE_EEvS4_RKT_EUlibE_EEviT1_
                                        ; -- End function
	.section	.AMDGPU.csdata,"",@progbits
; Kernel info:
; codeLenInByte = 6812
; NumSgprs: 58
; NumVgprs: 18
; ScratchSize: 0
; MemoryBound: 0
; FloatMode: 240
; IeeeMode: 1
; LDSByteSize: 0 bytes/workgroup (compile time only)
; SGPRBlocks: 7
; VGPRBlocks: 2
; NumSGPRsForWavesPerEU: 58
; NumVGPRsForWavesPerEU: 18
; Occupancy: 16
; WaveLimiterHint : 1
; COMPUTE_PGM_RSRC2:SCRATCH_EN: 0
; COMPUTE_PGM_RSRC2:USER_SGPR: 15
; COMPUTE_PGM_RSRC2:TRAP_HANDLER: 0
; COMPUTE_PGM_RSRC2:TGID_X_EN: 1
; COMPUTE_PGM_RSRC2:TGID_Y_EN: 0
; COMPUTE_PGM_RSRC2:TGID_Z_EN: 0
; COMPUTE_PGM_RSRC2:TIDIG_COMP_CNT: 0
	.section	.text._ZN2at6native32elementwise_kernel_manual_unrollILi128ELi4EZNS0_15gpu_kernel_implIZZZNS0_23bitwise_not_kernel_cudaERNS_18TensorIteratorBaseEENKUlvE_clEvENKUlvE1_clEvEUliE_EEvS4_RKT_EUlibE_EEviT1_,"axG",@progbits,_ZN2at6native32elementwise_kernel_manual_unrollILi128ELi4EZNS0_15gpu_kernel_implIZZZNS0_23bitwise_not_kernel_cudaERNS_18TensorIteratorBaseEENKUlvE_clEvENKUlvE1_clEvEUliE_EEvS4_RKT_EUlibE_EEviT1_,comdat
	.globl	_ZN2at6native32elementwise_kernel_manual_unrollILi128ELi4EZNS0_15gpu_kernel_implIZZZNS0_23bitwise_not_kernel_cudaERNS_18TensorIteratorBaseEENKUlvE_clEvENKUlvE1_clEvEUliE_EEvS4_RKT_EUlibE_EEviT1_ ; -- Begin function _ZN2at6native32elementwise_kernel_manual_unrollILi128ELi4EZNS0_15gpu_kernel_implIZZZNS0_23bitwise_not_kernel_cudaERNS_18TensorIteratorBaseEENKUlvE_clEvENKUlvE1_clEvEUliE_EEvS4_RKT_EUlibE_EEviT1_
	.p2align	8
	.type	_ZN2at6native32elementwise_kernel_manual_unrollILi128ELi4EZNS0_15gpu_kernel_implIZZZNS0_23bitwise_not_kernel_cudaERNS_18TensorIteratorBaseEENKUlvE_clEvENKUlvE1_clEvEUliE_EEvS4_RKT_EUlibE_EEviT1_,@function
_ZN2at6native32elementwise_kernel_manual_unrollILi128ELi4EZNS0_15gpu_kernel_implIZZZNS0_23bitwise_not_kernel_cudaERNS_18TensorIteratorBaseEENKUlvE_clEvENKUlvE1_clEvEUliE_EEvS4_RKT_EUlibE_EEviT1_: ; @_ZN2at6native32elementwise_kernel_manual_unrollILi128ELi4EZNS0_15gpu_kernel_implIZZZNS0_23bitwise_not_kernel_cudaERNS_18TensorIteratorBaseEENKUlvE_clEvENKUlvE1_clEvEUliE_EEvS4_RKT_EUlibE_EEviT1_
; %bb.0:
	v_mov_b32_e32 v1, 0
	s_clause 0x2
	s_load_b32 s10, s[0:1], 0x0
	s_load_b64 s[2:3], s[0:1], 0x18
	s_load_b128 s[4:7], s[0:1], 0x8
	v_lshl_or_b32 v5, s15, 9, v0
	s_mov_b32 s9, 0
	global_load_u16 v4, v1, s[0:1] offset:33
	s_mov_b32 s1, 0
	v_or_b32_e32 v0, 0x180, v5
	s_mov_b32 s0, exec_lo
	s_waitcnt vmcnt(0)
	v_lshrrev_b16 v6, 8, v4
	s_waitcnt lgkmcnt(0)
	v_cmpx_le_i32_e64 s10, v0
	s_xor_b32 s8, exec_lo, s0
	s_cbranch_execz .LBB30_1017
; %bb.1:
	s_mov_b32 s15, -1
	s_mov_b32 s13, 0
	s_mov_b32 s11, 0
	s_mov_b32 s12, exec_lo
	v_cmpx_gt_i32_e64 s10, v5
	s_cbranch_execz .LBB30_248
; %bb.2:
	v_mul_lo_u32 v0, v5, s3
	v_cmp_gt_i16_e32 vcc_lo, 11, v6
	s_delay_alu instid0(VALU_DEP_2) | instskip(SKIP_1) | instid1(VALU_DEP_1)
	v_ashrrev_i32_e32 v1, 31, v0
	v_add_co_u32 v0, s0, s6, v0
	v_add_co_ci_u32_e64 v1, s0, s7, v1, s0
	s_cbranch_vccnz .LBB30_9
; %bb.3:
	v_cmp_lt_i16_e32 vcc_lo, 25, v6
	s_cbranch_vccz .LBB30_18
; %bb.4:
	v_cmp_lt_i16_e32 vcc_lo, 28, v6
	s_cbranch_vccz .LBB30_21
	;; [unrolled: 3-line block ×4, first 2 shown]
; %bb.7:
	v_cmp_eq_u16_e32 vcc_lo, 46, v6
	s_cbranch_vccz .LBB30_27
; %bb.8:
	global_load_b32 v2, v[0:1], off
	s_mov_b32 s0, -1
	s_waitcnt vmcnt(0)
	v_lshlrev_b32_e32 v2, 16, v2
	s_delay_alu instid0(VALU_DEP_1)
	v_cvt_i32_f32_e32 v7, v2
	s_branch .LBB30_29
.LBB30_9:
	s_mov_b32 s0, 0
                                        ; implicit-def: $vgpr7
	s_cbranch_execnz .LBB30_198
.LBB30_10:
	s_and_not1_b32 vcc_lo, exec_lo, s0
	s_cbranch_vccnz .LBB30_245
.LBB30_11:
	v_mul_lo_u32 v1, v5, s2
	v_and_b32_e32 v8, 0xff, v4
	s_waitcnt vmcnt(0)
	s_delay_alu instid0(VALU_DEP_3) | instskip(NEXT) | instid1(VALU_DEP_2)
	v_not_b32_e32 v0, v7
	v_cmp_gt_i16_e32 vcc_lo, 11, v8
	s_delay_alu instid0(VALU_DEP_4) | instskip(SKIP_1) | instid1(VALU_DEP_1)
	v_ashrrev_i32_e32 v3, 31, v1
	v_add_co_u32 v2, s0, s4, v1
	v_add_co_ci_u32_e64 v3, s0, s5, v3, s0
	s_cbranch_vccnz .LBB30_19
; %bb.12:
	v_cmp_lt_i16_e32 vcc_lo, 25, v8
	s_cbranch_vccz .LBB30_22
; %bb.13:
	v_cmp_lt_i16_e32 vcc_lo, 28, v8
	s_cbranch_vccz .LBB30_24
	;; [unrolled: 3-line block ×4, first 2 shown]
; %bb.16:
	v_cmp_eq_u16_e32 vcc_lo, 46, v8
	s_mov_b32 s14, 0
	s_mov_b32 s0, -1
	s_mov_b32 s9, 0
	s_cbranch_vccz .LBB30_33
; %bb.17:
	v_cvt_f32_i32_e32 v1, v0
	s_mov_b32 s9, -1
	s_mov_b32 s0, 0
	s_delay_alu instid0(VALU_DEP_1) | instskip(NEXT) | instid1(VALU_DEP_1)
	v_bfe_u32 v9, v1, 16, 1
	v_add3_u32 v1, v1, v9, 0x7fff
	s_delay_alu instid0(VALU_DEP_1)
	v_lshrrev_b32_e32 v1, 16, v1
	global_store_b32 v[2:3], v1, off
	s_branch .LBB30_33
.LBB30_18:
	s_mov_b32 s0, 0
                                        ; implicit-def: $vgpr7
	s_cbranch_execnz .LBB30_165
	s_branch .LBB30_197
.LBB30_19:
	s_mov_b32 s0, 0
	s_mov_b32 s9, 0
	s_cbranch_execnz .LBB30_102
.LBB30_20:
	s_and_not1_b32 vcc_lo, exec_lo, s9
	s_cbranch_vccnz .LBB30_246
	s_branch .LBB30_140
.LBB30_21:
	s_mov_b32 s9, -1
	s_mov_b32 s0, 0
                                        ; implicit-def: $vgpr7
	s_branch .LBB30_148
.LBB30_22:
	s_mov_b32 s14, -1
	s_mov_b32 s0, 0
	s_mov_b32 s9, 0
	s_branch .LBB30_60
.LBB30_23:
	s_mov_b32 s9, -1
	s_mov_b32 s0, 0
                                        ; implicit-def: $vgpr7
	s_branch .LBB30_143
.LBB30_24:
	s_mov_b32 s14, -1
	s_mov_b32 s0, 0
	s_mov_b32 s9, 0
	s_branch .LBB30_43
.LBB30_25:
	s_mov_b32 s9, -1
	s_branch .LBB30_28
.LBB30_26:
	s_mov_b32 s14, -1
	s_mov_b32 s0, 0
	s_mov_b32 s9, 0
	s_branch .LBB30_39
.LBB30_27:
	s_mov_b32 s11, -1
.LBB30_28:
	s_mov_b32 s0, 0
                                        ; implicit-def: $vgpr7
.LBB30_29:
	s_and_b32 vcc_lo, exec_lo, s9
	s_cbranch_vccz .LBB30_142
; %bb.30:
	v_cmp_eq_u16_e32 vcc_lo, 44, v6
	s_cbranch_vccz .LBB30_141
; %bb.31:
	global_load_u8 v2, v[0:1], off
	s_mov_b32 s11, 0
	s_mov_b32 s0, -1
	s_waitcnt vmcnt(0)
	v_lshlrev_b32_e32 v3, 23, v2
	v_cmp_ne_u32_e32 vcc_lo, 0, v2
	s_delay_alu instid0(VALU_DEP_2) | instskip(NEXT) | instid1(VALU_DEP_1)
	v_cvt_i32_f32_e32 v3, v3
	v_cndmask_b32_e32 v7, 0, v3, vcc_lo
	s_branch .LBB30_142
.LBB30_32:
	s_mov_b32 s14, -1
	s_mov_b32 s0, 0
	s_mov_b32 s9, 0
.LBB30_33:
	s_and_b32 vcc_lo, exec_lo, s14
	s_cbranch_vccz .LBB30_38
; %bb.34:
	v_cmp_eq_u16_e32 vcc_lo, 44, v8
	s_mov_b32 s0, -1
	s_cbranch_vccz .LBB30_38
; %bb.35:
	v_cvt_f32_i32_e32 v1, v0
	v_mov_b32_e32 v9, 0xff
	s_mov_b32 s9, exec_lo
	s_delay_alu instid0(VALU_DEP_2) | instskip(NEXT) | instid1(VALU_DEP_1)
	v_bfe_u32 v10, v1, 23, 8
	v_cmpx_ne_u32_e32 0xff, v10
; %bb.36:
	v_and_b32_e32 v9, 0x400000, v1
	v_and_or_b32 v10, 0x3fffff, v1, v10
	v_lshrrev_b32_e32 v1, 23, v1
	s_delay_alu instid0(VALU_DEP_3) | instskip(NEXT) | instid1(VALU_DEP_3)
	v_cmp_ne_u32_e32 vcc_lo, 0, v9
	v_cmp_ne_u32_e64 s0, 0, v10
	s_delay_alu instid0(VALU_DEP_1) | instskip(NEXT) | instid1(SALU_CYCLE_1)
	s_and_b32 s0, vcc_lo, s0
	v_cndmask_b32_e64 v9, 0, 1, s0
	s_delay_alu instid0(VALU_DEP_1)
	v_add_nc_u32_e32 v9, v1, v9
; %bb.37:
	s_or_b32 exec_lo, exec_lo, s9
	s_mov_b32 s9, -1
	s_mov_b32 s0, 0
	global_store_b8 v[2:3], v9, off
.LBB30_38:
	s_mov_b32 s14, 0
.LBB30_39:
	s_delay_alu instid0(SALU_CYCLE_1)
	s_and_b32 vcc_lo, exec_lo, s14
	s_cbranch_vccz .LBB30_42
; %bb.40:
	v_cmp_eq_u16_e32 vcc_lo, 29, v8
	s_mov_b32 s0, -1
	s_cbranch_vccz .LBB30_42
; %bb.41:
	v_ashrrev_i32_e32 v1, 31, v0
	s_mov_b32 s9, -1
	s_mov_b32 s0, 0
	s_mov_b32 s14, 0
	global_store_b64 v[2:3], v[0:1], off
	s_branch .LBB30_43
.LBB30_42:
	s_mov_b32 s14, 0
.LBB30_43:
	s_delay_alu instid0(SALU_CYCLE_1)
	s_and_b32 vcc_lo, exec_lo, s14
	s_cbranch_vccz .LBB30_59
; %bb.44:
	v_cmp_gt_i16_e32 vcc_lo, 27, v8
	s_mov_b32 s9, -1
	s_cbranch_vccnz .LBB30_50
; %bb.45:
	v_cmp_lt_i16_e32 vcc_lo, 27, v8
	s_cbranch_vccz .LBB30_47
; %bb.46:
	s_mov_b32 s9, 0
	global_store_b32 v[2:3], v0, off
.LBB30_47:
	s_and_not1_b32 vcc_lo, exec_lo, s9
	s_cbranch_vccnz .LBB30_49
; %bb.48:
	global_store_b16 v[2:3], v0, off
.LBB30_49:
	s_mov_b32 s9, 0
.LBB30_50:
	s_delay_alu instid0(SALU_CYCLE_1)
	s_and_not1_b32 vcc_lo, exec_lo, s9
	s_cbranch_vccnz .LBB30_58
; %bb.51:
	v_cvt_f32_i32_e32 v1, v0
	v_mov_b32_e32 v10, 0x80
	s_mov_b32 s9, exec_lo
	s_delay_alu instid0(VALU_DEP_2) | instskip(NEXT) | instid1(VALU_DEP_1)
	v_and_b32_e32 v9, 0x7fffffff, v1
	v_cmpx_gt_u32_e32 0x43800000, v9
	s_cbranch_execz .LBB30_57
; %bb.52:
	v_cmp_lt_u32_e32 vcc_lo, 0x3bffffff, v9
	s_mov_b32 s14, 0
                                        ; implicit-def: $vgpr9
	s_and_saveexec_b32 s15, vcc_lo
	s_delay_alu instid0(SALU_CYCLE_1)
	s_xor_b32 s15, exec_lo, s15
	s_cbranch_execz .LBB30_272
; %bb.53:
	v_bfe_u32 v9, v1, 20, 1
	s_mov_b32 s14, exec_lo
	s_delay_alu instid0(VALU_DEP_1) | instskip(NEXT) | instid1(VALU_DEP_1)
	v_add3_u32 v9, v1, v9, 0x487ffff
	v_lshrrev_b32_e32 v9, 20, v9
	s_or_saveexec_b32 s15, s15
                                        ; implicit-def: $sgpr16
	s_delay_alu instid0(SALU_CYCLE_1)
	s_xor_b32 exec_lo, exec_lo, s15
	s_cbranch_execnz .LBB30_273
.LBB30_54:
	s_or_b32 exec_lo, exec_lo, s15
	v_mov_b32_e32 v10, s16
	s_and_saveexec_b32 s15, s14
.LBB30_55:
	v_lshrrev_b32_e32 v1, 24, v1
	s_delay_alu instid0(VALU_DEP_1)
	v_and_or_b32 v10, 0x80, v1, v9
.LBB30_56:
	s_or_b32 exec_lo, exec_lo, s15
.LBB30_57:
	s_delay_alu instid0(SALU_CYCLE_1)
	s_or_b32 exec_lo, exec_lo, s9
	global_store_b8 v[2:3], v10, off
.LBB30_58:
	s_mov_b32 s9, -1
.LBB30_59:
	s_mov_b32 s14, 0
.LBB30_60:
	s_delay_alu instid0(SALU_CYCLE_1)
	s_and_b32 vcc_lo, exec_lo, s14
	s_cbranch_vccz .LBB30_101
; %bb.61:
	v_cmp_lt_i16_e32 vcc_lo, 22, v8
	s_mov_b32 s14, -1
	s_cbranch_vccz .LBB30_93
; %bb.62:
	v_cmp_gt_i16_e32 vcc_lo, 24, v8
	s_mov_b32 s9, -1
	s_cbranch_vccnz .LBB30_82
; %bb.63:
	v_cmp_lt_i16_e32 vcc_lo, 24, v8
	s_cbranch_vccz .LBB30_71
; %bb.64:
	v_cvt_f32_i32_e32 v1, v0
	v_mov_b32_e32 v10, 0x80
	s_mov_b32 s9, exec_lo
	s_delay_alu instid0(VALU_DEP_2) | instskip(NEXT) | instid1(VALU_DEP_1)
	v_and_b32_e32 v9, 0x7fffffff, v1
	v_cmpx_gt_u32_e32 0x47800000, v9
	s_cbranch_execz .LBB30_70
; %bb.65:
	v_cmp_lt_u32_e32 vcc_lo, 0x37ffffff, v9
	s_mov_b32 s14, 0
                                        ; implicit-def: $vgpr9
	s_and_saveexec_b32 s15, vcc_lo
	s_delay_alu instid0(SALU_CYCLE_1)
	s_xor_b32 s15, exec_lo, s15
	s_cbranch_execz .LBB30_276
; %bb.66:
	v_bfe_u32 v9, v1, 21, 1
	s_mov_b32 s14, exec_lo
	s_delay_alu instid0(VALU_DEP_1) | instskip(NEXT) | instid1(VALU_DEP_1)
	v_add3_u32 v9, v1, v9, 0x88fffff
	v_lshrrev_b32_e32 v9, 21, v9
	s_or_saveexec_b32 s15, s15
                                        ; implicit-def: $sgpr16
	s_delay_alu instid0(SALU_CYCLE_1)
	s_xor_b32 exec_lo, exec_lo, s15
	s_cbranch_execnz .LBB30_277
.LBB30_67:
	s_or_b32 exec_lo, exec_lo, s15
	v_mov_b32_e32 v10, s16
	s_and_saveexec_b32 s15, s14
.LBB30_68:
	v_lshrrev_b32_e32 v1, 24, v1
	s_delay_alu instid0(VALU_DEP_1)
	v_and_or_b32 v10, 0x80, v1, v9
.LBB30_69:
	s_or_b32 exec_lo, exec_lo, s15
.LBB30_70:
	s_delay_alu instid0(SALU_CYCLE_1)
	s_or_b32 exec_lo, exec_lo, s9
	s_mov_b32 s9, 0
	global_store_b8 v[2:3], v10, off
.LBB30_71:
	s_and_b32 vcc_lo, exec_lo, s9
	s_cbranch_vccz .LBB30_81
; %bb.72:
	v_cvt_f32_i32_e32 v1, v0
	s_mov_b32 s9, exec_lo
                                        ; implicit-def: $vgpr9
	s_delay_alu instid0(VALU_DEP_1) | instskip(NEXT) | instid1(VALU_DEP_1)
	v_and_b32_e32 v10, 0x7fffffff, v1
	v_cmpx_gt_u32_e32 0x43f00000, v10
	s_xor_b32 s9, exec_lo, s9
	s_cbranch_execz .LBB30_78
; %bb.73:
	s_mov_b32 s14, exec_lo
                                        ; implicit-def: $vgpr9
	v_cmpx_lt_u32_e32 0x3c7fffff, v10
	s_xor_b32 s14, exec_lo, s14
; %bb.74:
	v_bfe_u32 v9, v1, 20, 1
	s_delay_alu instid0(VALU_DEP_1) | instskip(NEXT) | instid1(VALU_DEP_1)
	v_add3_u32 v9, v1, v9, 0x407ffff
	v_and_b32_e32 v10, 0xff00000, v9
	v_lshrrev_b32_e32 v9, 20, v9
	s_delay_alu instid0(VALU_DEP_2) | instskip(NEXT) | instid1(VALU_DEP_2)
	v_cmp_ne_u32_e32 vcc_lo, 0x7f00000, v10
	v_cndmask_b32_e32 v9, 0x7e, v9, vcc_lo
; %bb.75:
	s_and_not1_saveexec_b32 s14, s14
; %bb.76:
	v_add_f32_e64 v9, 0x46800000, |v1|
; %bb.77:
	s_or_b32 exec_lo, exec_lo, s14
                                        ; implicit-def: $vgpr10
.LBB30_78:
	s_and_not1_saveexec_b32 s9, s9
; %bb.79:
	v_mov_b32_e32 v9, 0x7f
	v_cmp_lt_u32_e32 vcc_lo, 0x7f800000, v10
	s_delay_alu instid0(VALU_DEP_2)
	v_cndmask_b32_e32 v9, 0x7e, v9, vcc_lo
; %bb.80:
	s_or_b32 exec_lo, exec_lo, s9
	v_lshrrev_b32_e32 v1, 24, v1
	s_delay_alu instid0(VALU_DEP_1)
	v_and_or_b32 v1, 0x80, v1, v9
	global_store_b8 v[2:3], v1, off
.LBB30_81:
	s_mov_b32 s9, 0
.LBB30_82:
	s_delay_alu instid0(SALU_CYCLE_1)
	s_and_not1_b32 vcc_lo, exec_lo, s9
	s_cbranch_vccnz .LBB30_92
; %bb.83:
	v_cvt_f32_i32_e32 v1, v0
	s_mov_b32 s9, exec_lo
                                        ; implicit-def: $vgpr9
	s_delay_alu instid0(VALU_DEP_1) | instskip(NEXT) | instid1(VALU_DEP_1)
	v_and_b32_e32 v10, 0x7fffffff, v1
	v_cmpx_gt_u32_e32 0x47800000, v10
	s_xor_b32 s9, exec_lo, s9
	s_cbranch_execz .LBB30_89
; %bb.84:
	s_mov_b32 s14, exec_lo
                                        ; implicit-def: $vgpr9
	v_cmpx_lt_u32_e32 0x387fffff, v10
	s_xor_b32 s14, exec_lo, s14
; %bb.85:
	v_bfe_u32 v9, v1, 21, 1
	s_delay_alu instid0(VALU_DEP_1) | instskip(NEXT) | instid1(VALU_DEP_1)
	v_add3_u32 v9, v1, v9, 0x80fffff
	v_lshrrev_b32_e32 v9, 21, v9
; %bb.86:
	s_and_not1_saveexec_b32 s14, s14
; %bb.87:
	v_add_f32_e64 v9, 0x43000000, |v1|
; %bb.88:
	s_or_b32 exec_lo, exec_lo, s14
                                        ; implicit-def: $vgpr10
.LBB30_89:
	s_and_not1_saveexec_b32 s9, s9
; %bb.90:
	v_mov_b32_e32 v9, 0x7f
	v_cmp_lt_u32_e32 vcc_lo, 0x7f800000, v10
	s_delay_alu instid0(VALU_DEP_2)
	v_cndmask_b32_e32 v9, 0x7c, v9, vcc_lo
; %bb.91:
	s_or_b32 exec_lo, exec_lo, s9
	v_lshrrev_b32_e32 v1, 24, v1
	s_delay_alu instid0(VALU_DEP_1)
	v_and_or_b32 v1, 0x80, v1, v9
	global_store_b8 v[2:3], v1, off
.LBB30_92:
	s_mov_b32 s14, 0
	s_mov_b32 s9, -1
.LBB30_93:
	s_and_not1_b32 vcc_lo, exec_lo, s14
	s_cbranch_vccnz .LBB30_101
; %bb.94:
	v_cmp_lt_i16_e32 vcc_lo, 14, v8
	s_mov_b32 s14, -1
	s_cbranch_vccz .LBB30_98
; %bb.95:
	v_cmp_eq_u16_e32 vcc_lo, 15, v8
	s_mov_b32 s0, -1
	s_cbranch_vccz .LBB30_97
; %bb.96:
	v_cvt_f32_i32_e32 v1, v0
	s_mov_b32 s9, -1
	s_mov_b32 s0, 0
	s_delay_alu instid0(VALU_DEP_1) | instskip(NEXT) | instid1(VALU_DEP_1)
	v_bfe_u32 v9, v1, 16, 1
	v_add3_u32 v1, v1, v9, 0x7fff
	global_store_d16_hi_b16 v[2:3], v1, off
.LBB30_97:
	s_mov_b32 s14, 0
.LBB30_98:
	s_delay_alu instid0(SALU_CYCLE_1)
	s_and_b32 vcc_lo, exec_lo, s14
	s_cbranch_vccz .LBB30_101
; %bb.99:
	v_cmp_eq_u16_e32 vcc_lo, 11, v8
	s_mov_b32 s0, -1
	s_cbranch_vccz .LBB30_101
; %bb.100:
	v_cmp_ne_u32_e32 vcc_lo, -1, v7
	s_mov_b32 s9, -1
	s_mov_b32 s0, 0
	v_cndmask_b32_e64 v1, 0, 1, vcc_lo
	global_store_b8 v[2:3], v1, off
.LBB30_101:
	s_branch .LBB30_20
.LBB30_102:
	v_cmp_gt_i16_e32 vcc_lo, 5, v8
	s_mov_b32 s9, -1
	s_cbranch_vccnz .LBB30_123
; %bb.103:
	v_cmp_gt_i16_e32 vcc_lo, 8, v8
	s_cbranch_vccnz .LBB30_113
; %bb.104:
	v_cmp_gt_i16_e32 vcc_lo, 9, v8
	s_cbranch_vccnz .LBB30_110
; %bb.105:
	v_cmp_lt_i16_e32 vcc_lo, 9, v8
	s_cbranch_vccz .LBB30_107
; %bb.106:
	v_cvt_f64_i32_e32 v[9:10], v0
	v_mov_b32_e32 v11, 0
	s_mov_b32 s9, 0
	s_delay_alu instid0(VALU_DEP_1)
	v_mov_b32_e32 v12, v11
	global_store_b128 v[2:3], v[9:12], off
.LBB30_107:
	s_and_not1_b32 vcc_lo, exec_lo, s9
	s_cbranch_vccnz .LBB30_109
; %bb.108:
	v_cvt_f32_i32_e32 v9, v0
	v_mov_b32_e32 v10, 0
	global_store_b64 v[2:3], v[9:10], off
.LBB30_109:
	s_mov_b32 s9, 0
.LBB30_110:
	s_delay_alu instid0(SALU_CYCLE_1)
	s_and_not1_b32 vcc_lo, exec_lo, s9
	s_cbranch_vccnz .LBB30_112
; %bb.111:
	v_cvt_f32_i32_e32 v1, v0
	s_delay_alu instid0(VALU_DEP_1) | instskip(NEXT) | instid1(VALU_DEP_1)
	v_cvt_f16_f32_e32 v1, v1
	v_and_b32_e32 v1, 0xffff, v1
	global_store_b32 v[2:3], v1, off
.LBB30_112:
	s_mov_b32 s9, 0
.LBB30_113:
	s_delay_alu instid0(SALU_CYCLE_1)
	s_and_not1_b32 vcc_lo, exec_lo, s9
	s_cbranch_vccnz .LBB30_122
; %bb.114:
	v_cmp_gt_i16_e32 vcc_lo, 6, v8
	s_mov_b32 s9, -1
	s_cbranch_vccnz .LBB30_120
; %bb.115:
	v_cmp_lt_i16_e32 vcc_lo, 6, v8
	s_cbranch_vccz .LBB30_117
; %bb.116:
	v_cvt_f64_i32_e32 v[9:10], v0
	s_mov_b32 s9, 0
	global_store_b64 v[2:3], v[9:10], off
.LBB30_117:
	s_and_not1_b32 vcc_lo, exec_lo, s9
	s_cbranch_vccnz .LBB30_119
; %bb.118:
	v_cvt_f32_i32_e32 v1, v0
	global_store_b32 v[2:3], v1, off
.LBB30_119:
	s_mov_b32 s9, 0
.LBB30_120:
	s_delay_alu instid0(SALU_CYCLE_1)
	s_and_not1_b32 vcc_lo, exec_lo, s9
	s_cbranch_vccnz .LBB30_122
; %bb.121:
	v_cvt_f32_i32_e32 v1, v0
	s_delay_alu instid0(VALU_DEP_1)
	v_cvt_f16_f32_e32 v1, v1
	global_store_b16 v[2:3], v1, off
.LBB30_122:
	s_mov_b32 s9, 0
.LBB30_123:
	s_delay_alu instid0(SALU_CYCLE_1)
	s_and_not1_b32 vcc_lo, exec_lo, s9
	s_cbranch_vccnz .LBB30_139
; %bb.124:
	v_cmp_gt_i16_e32 vcc_lo, 2, v8
	s_mov_b32 s9, -1
	s_cbranch_vccnz .LBB30_134
; %bb.125:
	v_cmp_gt_i16_e32 vcc_lo, 3, v8
	s_cbranch_vccnz .LBB30_131
; %bb.126:
	v_cmp_lt_i16_e32 vcc_lo, 3, v8
	s_cbranch_vccz .LBB30_128
; %bb.127:
	v_ashrrev_i32_e32 v1, 31, v0
	s_mov_b32 s9, 0
	global_store_b64 v[2:3], v[0:1], off
.LBB30_128:
	s_and_not1_b32 vcc_lo, exec_lo, s9
	s_cbranch_vccnz .LBB30_130
; %bb.129:
	global_store_b32 v[2:3], v0, off
.LBB30_130:
	s_mov_b32 s9, 0
.LBB30_131:
	s_delay_alu instid0(SALU_CYCLE_1)
	s_and_not1_b32 vcc_lo, exec_lo, s9
	s_cbranch_vccnz .LBB30_133
; %bb.132:
	global_store_b16 v[2:3], v0, off
.LBB30_133:
	s_mov_b32 s9, 0
.LBB30_134:
	s_delay_alu instid0(SALU_CYCLE_1)
	s_and_not1_b32 vcc_lo, exec_lo, s9
	s_cbranch_vccnz .LBB30_139
; %bb.135:
	v_cmp_lt_i16_e32 vcc_lo, 0, v8
	s_mov_b32 s9, -1
	s_cbranch_vccz .LBB30_137
; %bb.136:
	s_mov_b32 s9, 0
	global_store_b8 v[2:3], v0, off
.LBB30_137:
	s_and_not1_b32 vcc_lo, exec_lo, s9
	s_cbranch_vccnz .LBB30_139
; %bb.138:
	global_store_b8 v[2:3], v0, off
.LBB30_139:
.LBB30_140:
	v_add_nc_u32_e32 v5, 0x80, v5
	s_mov_b32 s14, -1
	s_branch .LBB30_247
.LBB30_141:
	s_mov_b32 s11, -1
                                        ; implicit-def: $vgpr7
.LBB30_142:
	s_mov_b32 s9, 0
.LBB30_143:
	s_delay_alu instid0(SALU_CYCLE_1)
	s_and_b32 vcc_lo, exec_lo, s9
	s_cbranch_vccz .LBB30_147
; %bb.144:
	v_cmp_eq_u16_e32 vcc_lo, 29, v6
	s_cbranch_vccz .LBB30_146
; %bb.145:
	global_load_b32 v7, v[0:1], off
	s_mov_b32 s0, -1
	s_mov_b32 s11, 0
	s_branch .LBB30_147
.LBB30_146:
	s_mov_b32 s11, -1
                                        ; implicit-def: $vgpr7
.LBB30_147:
	s_mov_b32 s9, 0
.LBB30_148:
	s_delay_alu instid0(SALU_CYCLE_1)
	s_and_b32 vcc_lo, exec_lo, s9
	s_cbranch_vccz .LBB30_164
; %bb.149:
	v_cmp_gt_i16_e32 vcc_lo, 27, v6
	s_cbranch_vccnz .LBB30_152
; %bb.150:
	v_cmp_lt_i16_e32 vcc_lo, 27, v6
	s_cbranch_vccz .LBB30_153
; %bb.151:
	global_load_b32 v7, v[0:1], off
	s_mov_b32 s0, 0
	s_branch .LBB30_154
.LBB30_152:
	s_mov_b32 s0, -1
                                        ; implicit-def: $vgpr7
	s_branch .LBB30_157
.LBB30_153:
	s_mov_b32 s0, -1
                                        ; implicit-def: $vgpr7
.LBB30_154:
	s_delay_alu instid0(SALU_CYCLE_1)
	s_and_not1_b32 vcc_lo, exec_lo, s0
	s_cbranch_vccnz .LBB30_156
; %bb.155:
	global_load_u16 v7, v[0:1], off
.LBB30_156:
	s_mov_b32 s0, 0
.LBB30_157:
	s_delay_alu instid0(SALU_CYCLE_1)
	s_and_not1_b32 vcc_lo, exec_lo, s0
	s_cbranch_vccnz .LBB30_163
; %bb.158:
	global_load_u8 v2, v[0:1], off
	s_mov_b32 s0, 0
	s_mov_b32 s9, exec_lo
                                        ; implicit-def: $sgpr14
	s_waitcnt vmcnt(0)
	v_cmpx_lt_i16_e32 0x7f, v2
	s_xor_b32 s9, exec_lo, s9
	s_cbranch_execz .LBB30_174
; %bb.159:
	v_cmp_ne_u16_e32 vcc_lo, 0x80, v2
	s_mov_b32 s14, 0
	s_and_b32 s0, vcc_lo, exec_lo
	s_or_saveexec_b32 s9, s9
	v_mov_b32_e32 v7, s14
	s_xor_b32 exec_lo, exec_lo, s9
	s_cbranch_execnz .LBB30_175
.LBB30_160:
	s_or_b32 exec_lo, exec_lo, s9
	s_and_saveexec_b32 s9, s0
	s_cbranch_execz .LBB30_162
.LBB30_161:
	v_and_b32_e32 v3, 0xffff, v2
	s_delay_alu instid0(VALU_DEP_1) | instskip(NEXT) | instid1(VALU_DEP_1)
	v_and_b32_e32 v7, 7, v3
	v_clz_i32_u32_e32 v8, v7
	s_delay_alu instid0(VALU_DEP_1) | instskip(NEXT) | instid1(VALU_DEP_1)
	v_min_u32_e32 v8, 32, v8
	v_subrev_nc_u32_e32 v9, 28, v8
	v_sub_nc_u32_e32 v8, 29, v8
	s_delay_alu instid0(VALU_DEP_2) | instskip(SKIP_1) | instid1(VALU_DEP_2)
	v_lshlrev_b32_e32 v9, v9, v3
	v_bfe_u32 v3, v3, 3, 4
	v_and_b32_e32 v9, 7, v9
	s_delay_alu instid0(VALU_DEP_2) | instskip(SKIP_1) | instid1(VALU_DEP_1)
	v_cmp_eq_u32_e32 vcc_lo, 0, v3
	v_dual_cndmask_b32 v3, v3, v8 :: v_dual_lshlrev_b32 v2, 24, v2
	v_dual_cndmask_b32 v7, v7, v9 :: v_dual_and_b32 v2, 0x80000000, v2
	s_delay_alu instid0(VALU_DEP_2) | instskip(NEXT) | instid1(VALU_DEP_2)
	v_lshl_add_u32 v3, v3, 23, 0x3b800000
	v_lshlrev_b32_e32 v7, 20, v7
	s_delay_alu instid0(VALU_DEP_1) | instskip(NEXT) | instid1(VALU_DEP_1)
	v_or3_b32 v2, v2, v3, v7
	v_cvt_i32_f32_e32 v7, v2
.LBB30_162:
	s_or_b32 exec_lo, exec_lo, s9
.LBB30_163:
	s_mov_b32 s0, -1
.LBB30_164:
	s_branch .LBB30_197
.LBB30_165:
	v_cmp_lt_i16_e32 vcc_lo, 22, v6
	s_cbranch_vccz .LBB30_173
; %bb.166:
	v_cmp_gt_i16_e32 vcc_lo, 24, v6
	s_cbranch_vccnz .LBB30_176
; %bb.167:
	v_cmp_lt_i16_e32 vcc_lo, 24, v6
	s_cbranch_vccz .LBB30_177
; %bb.168:
	global_load_u8 v2, v[0:1], off
	s_mov_b32 s0, 0
	s_mov_b32 s9, exec_lo
                                        ; implicit-def: $sgpr14
	s_waitcnt vmcnt(0)
	v_cmpx_lt_i16_e32 0x7f, v2
	s_xor_b32 s9, exec_lo, s9
	s_cbranch_execz .LBB30_189
; %bb.169:
	v_cmp_ne_u16_e32 vcc_lo, 0x80, v2
	s_mov_b32 s14, 0
	s_and_b32 s0, vcc_lo, exec_lo
	s_or_saveexec_b32 s9, s9
	v_mov_b32_e32 v7, s14
	s_xor_b32 exec_lo, exec_lo, s9
	s_cbranch_execnz .LBB30_190
.LBB30_170:
	s_or_b32 exec_lo, exec_lo, s9
	s_and_saveexec_b32 s9, s0
	s_cbranch_execz .LBB30_172
.LBB30_171:
	v_and_b32_e32 v3, 0xffff, v2
	s_delay_alu instid0(VALU_DEP_1) | instskip(NEXT) | instid1(VALU_DEP_1)
	v_and_b32_e32 v7, 3, v3
	v_clz_i32_u32_e32 v8, v7
	s_delay_alu instid0(VALU_DEP_1) | instskip(NEXT) | instid1(VALU_DEP_1)
	v_min_u32_e32 v8, 32, v8
	v_subrev_nc_u32_e32 v9, 29, v8
	v_sub_nc_u32_e32 v8, 30, v8
	s_delay_alu instid0(VALU_DEP_2) | instskip(SKIP_1) | instid1(VALU_DEP_2)
	v_lshlrev_b32_e32 v9, v9, v3
	v_bfe_u32 v3, v3, 2, 5
	v_and_b32_e32 v9, 3, v9
	s_delay_alu instid0(VALU_DEP_2) | instskip(SKIP_1) | instid1(VALU_DEP_1)
	v_cmp_eq_u32_e32 vcc_lo, 0, v3
	v_dual_cndmask_b32 v3, v3, v8 :: v_dual_lshlrev_b32 v2, 24, v2
	v_dual_cndmask_b32 v7, v7, v9 :: v_dual_and_b32 v2, 0x80000000, v2
	s_delay_alu instid0(VALU_DEP_2) | instskip(NEXT) | instid1(VALU_DEP_2)
	v_lshl_add_u32 v3, v3, 23, 0x37800000
	v_lshlrev_b32_e32 v7, 21, v7
	s_delay_alu instid0(VALU_DEP_1) | instskip(NEXT) | instid1(VALU_DEP_1)
	v_or3_b32 v2, v2, v3, v7
	v_cvt_i32_f32_e32 v7, v2
.LBB30_172:
	s_or_b32 exec_lo, exec_lo, s9
	s_mov_b32 s0, 0
	s_branch .LBB30_178
.LBB30_173:
	s_mov_b32 s9, -1
                                        ; implicit-def: $vgpr7
	s_branch .LBB30_184
.LBB30_174:
	s_or_saveexec_b32 s9, s9
	v_mov_b32_e32 v7, s14
	s_xor_b32 exec_lo, exec_lo, s9
	s_cbranch_execz .LBB30_160
.LBB30_175:
	v_cmp_ne_u16_e32 vcc_lo, 0, v2
	v_mov_b32_e32 v7, 0
	s_and_not1_b32 s0, s0, exec_lo
	s_and_b32 s14, vcc_lo, exec_lo
	s_delay_alu instid0(SALU_CYCLE_1)
	s_or_b32 s0, s0, s14
	s_or_b32 exec_lo, exec_lo, s9
	s_and_saveexec_b32 s9, s0
	s_cbranch_execnz .LBB30_161
	s_branch .LBB30_162
.LBB30_176:
	s_mov_b32 s0, -1
                                        ; implicit-def: $vgpr7
	s_branch .LBB30_181
.LBB30_177:
	s_mov_b32 s0, -1
                                        ; implicit-def: $vgpr7
.LBB30_178:
	s_delay_alu instid0(SALU_CYCLE_1)
	s_and_b32 vcc_lo, exec_lo, s0
	s_cbranch_vccz .LBB30_180
; %bb.179:
	global_load_u8 v2, v[0:1], off
	s_waitcnt vmcnt(0)
	v_lshlrev_b32_e32 v2, 24, v2
	s_delay_alu instid0(VALU_DEP_1) | instskip(NEXT) | instid1(VALU_DEP_1)
	v_and_b32_e32 v3, 0x7f000000, v2
	v_clz_i32_u32_e32 v7, v3
	v_add_nc_u32_e32 v9, 0x1000000, v3
	v_cmp_ne_u32_e32 vcc_lo, 0, v3
	s_delay_alu instid0(VALU_DEP_3) | instskip(NEXT) | instid1(VALU_DEP_1)
	v_min_u32_e32 v7, 32, v7
	v_sub_nc_u32_e64 v7, v7, 4 clamp
	s_delay_alu instid0(VALU_DEP_1) | instskip(SKIP_1) | instid1(VALU_DEP_2)
	v_lshlrev_b32_e32 v8, v7, v3
	v_lshlrev_b32_e32 v7, 23, v7
	v_lshrrev_b32_e32 v8, 4, v8
	s_delay_alu instid0(VALU_DEP_1) | instskip(SKIP_1) | instid1(VALU_DEP_2)
	v_sub_nc_u32_e32 v7, v8, v7
	v_ashrrev_i32_e32 v8, 8, v9
	v_add_nc_u32_e32 v7, 0x3c000000, v7
	s_delay_alu instid0(VALU_DEP_1) | instskip(NEXT) | instid1(VALU_DEP_1)
	v_and_or_b32 v7, 0x7f800000, v8, v7
	v_cndmask_b32_e32 v3, 0, v7, vcc_lo
	s_delay_alu instid0(VALU_DEP_1) | instskip(NEXT) | instid1(VALU_DEP_1)
	v_and_or_b32 v2, 0x80000000, v2, v3
	v_cvt_i32_f32_e32 v7, v2
.LBB30_180:
	s_mov_b32 s0, 0
.LBB30_181:
	s_delay_alu instid0(SALU_CYCLE_1)
	s_and_not1_b32 vcc_lo, exec_lo, s0
	s_cbranch_vccnz .LBB30_183
; %bb.182:
	global_load_u8 v2, v[0:1], off
	s_waitcnt vmcnt(0)
	v_lshlrev_b32_e32 v3, 25, v2
	v_lshlrev_b16 v2, 8, v2
	s_delay_alu instid0(VALU_DEP_1) | instskip(SKIP_1) | instid1(VALU_DEP_2)
	v_and_or_b32 v8, 0x7f00, v2, 0.5
	v_bfe_i32 v2, v2, 0, 16
	v_add_f32_e32 v8, -0.5, v8
	v_lshrrev_b32_e32 v7, 4, v3
	v_cmp_gt_u32_e32 vcc_lo, 0x8000000, v3
	s_delay_alu instid0(VALU_DEP_2) | instskip(NEXT) | instid1(VALU_DEP_1)
	v_or_b32_e32 v7, 0x70000000, v7
	v_mul_f32_e32 v7, 0x7800000, v7
	s_delay_alu instid0(VALU_DEP_1) | instskip(NEXT) | instid1(VALU_DEP_1)
	v_cndmask_b32_e32 v3, v7, v8, vcc_lo
	v_and_or_b32 v2, 0x80000000, v2, v3
	s_delay_alu instid0(VALU_DEP_1)
	v_cvt_i32_f32_e32 v7, v2
.LBB30_183:
	s_mov_b32 s9, 0
	s_mov_b32 s0, -1
.LBB30_184:
	s_and_not1_b32 vcc_lo, exec_lo, s9
	s_cbranch_vccnz .LBB30_197
; %bb.185:
	v_cmp_lt_i16_e32 vcc_lo, 14, v6
	s_cbranch_vccz .LBB30_188
; %bb.186:
	v_cmp_eq_u16_e32 vcc_lo, 15, v6
	s_cbranch_vccz .LBB30_191
; %bb.187:
	global_load_u16 v2, v[0:1], off
	s_mov_b32 s0, -1
	s_mov_b32 s11, 0
	s_waitcnt vmcnt(0)
	v_lshlrev_b32_e32 v2, 16, v2
	s_delay_alu instid0(VALU_DEP_1)
	v_cvt_i32_f32_e32 v7, v2
	s_branch .LBB30_192
.LBB30_188:
	s_mov_b32 s9, -1
                                        ; implicit-def: $vgpr7
	s_branch .LBB30_193
.LBB30_189:
	s_or_saveexec_b32 s9, s9
	v_mov_b32_e32 v7, s14
	s_xor_b32 exec_lo, exec_lo, s9
	s_cbranch_execz .LBB30_170
.LBB30_190:
	v_cmp_ne_u16_e32 vcc_lo, 0, v2
	v_mov_b32_e32 v7, 0
	s_and_not1_b32 s0, s0, exec_lo
	s_and_b32 s14, vcc_lo, exec_lo
	s_delay_alu instid0(SALU_CYCLE_1)
	s_or_b32 s0, s0, s14
	s_or_b32 exec_lo, exec_lo, s9
	s_and_saveexec_b32 s9, s0
	s_cbranch_execnz .LBB30_171
	s_branch .LBB30_172
.LBB30_191:
	s_mov_b32 s11, -1
                                        ; implicit-def: $vgpr7
.LBB30_192:
	s_mov_b32 s9, 0
.LBB30_193:
	s_delay_alu instid0(SALU_CYCLE_1)
	s_and_b32 vcc_lo, exec_lo, s9
	s_cbranch_vccz .LBB30_197
; %bb.194:
	v_cmp_eq_u16_e32 vcc_lo, 11, v6
	s_cbranch_vccz .LBB30_196
; %bb.195:
	global_load_u8 v2, v[0:1], off
	s_mov_b32 s11, 0
	s_mov_b32 s0, -1
	s_waitcnt vmcnt(0)
	v_cmp_ne_u16_e32 vcc_lo, 0, v2
	v_cndmask_b32_e64 v7, 0, 1, vcc_lo
	s_branch .LBB30_197
.LBB30_196:
	s_mov_b32 s11, -1
                                        ; implicit-def: $vgpr7
.LBB30_197:
	s_branch .LBB30_10
.LBB30_198:
	v_cmp_gt_i16_e32 vcc_lo, 5, v6
	s_cbranch_vccnz .LBB30_203
; %bb.199:
	v_cmp_gt_i16_e32 vcc_lo, 8, v6
	s_cbranch_vccnz .LBB30_204
; %bb.200:
	;; [unrolled: 3-line block ×3, first 2 shown]
	v_cmp_lt_i16_e32 vcc_lo, 9, v6
	s_cbranch_vccz .LBB30_206
; %bb.202:
	global_load_b64 v[2:3], v[0:1], off
	s_mov_b32 s0, 0
	s_waitcnt vmcnt(0)
	v_cvt_i32_f64_e32 v7, v[2:3]
	s_branch .LBB30_207
.LBB30_203:
                                        ; implicit-def: $vgpr7
	s_branch .LBB30_225
.LBB30_204:
	s_mov_b32 s0, -1
                                        ; implicit-def: $vgpr7
	s_branch .LBB30_213
.LBB30_205:
	s_mov_b32 s0, -1
                                        ; implicit-def: $vgpr7
	s_branch .LBB30_210
.LBB30_206:
	s_mov_b32 s0, -1
                                        ; implicit-def: $vgpr7
.LBB30_207:
	s_delay_alu instid0(SALU_CYCLE_1)
	s_and_not1_b32 vcc_lo, exec_lo, s0
	s_cbranch_vccnz .LBB30_209
; %bb.208:
	global_load_b32 v2, v[0:1], off
	s_waitcnt vmcnt(0)
	v_cvt_i32_f32_e32 v7, v2
.LBB30_209:
	s_mov_b32 s0, 0
.LBB30_210:
	s_delay_alu instid0(SALU_CYCLE_1)
	s_and_not1_b32 vcc_lo, exec_lo, s0
	s_cbranch_vccnz .LBB30_212
; %bb.211:
	global_load_b32 v2, v[0:1], off
	s_waitcnt vmcnt(0)
	v_cvt_f32_f16_e32 v2, v2
	s_delay_alu instid0(VALU_DEP_1)
	v_cvt_i32_f32_e32 v7, v2
.LBB30_212:
	s_mov_b32 s0, 0
.LBB30_213:
	s_delay_alu instid0(SALU_CYCLE_1)
	s_and_not1_b32 vcc_lo, exec_lo, s0
	s_cbranch_vccnz .LBB30_224
; %bb.214:
	v_cmp_gt_i16_e32 vcc_lo, 6, v6
	s_cbranch_vccnz .LBB30_217
; %bb.215:
	v_cmp_lt_i16_e32 vcc_lo, 6, v6
	s_cbranch_vccz .LBB30_218
; %bb.216:
	global_load_b64 v[2:3], v[0:1], off
	s_mov_b32 s0, 0
	s_waitcnt vmcnt(0)
	v_cvt_i32_f64_e32 v7, v[2:3]
	s_branch .LBB30_219
.LBB30_217:
	s_mov_b32 s0, -1
                                        ; implicit-def: $vgpr7
	s_branch .LBB30_222
.LBB30_218:
	s_mov_b32 s0, -1
                                        ; implicit-def: $vgpr7
.LBB30_219:
	s_delay_alu instid0(SALU_CYCLE_1)
	s_and_not1_b32 vcc_lo, exec_lo, s0
	s_cbranch_vccnz .LBB30_221
; %bb.220:
	global_load_b32 v2, v[0:1], off
	s_waitcnt vmcnt(0)
	v_cvt_i32_f32_e32 v7, v2
.LBB30_221:
	s_mov_b32 s0, 0
.LBB30_222:
	s_delay_alu instid0(SALU_CYCLE_1)
	s_and_not1_b32 vcc_lo, exec_lo, s0
	s_cbranch_vccnz .LBB30_224
; %bb.223:
	global_load_u16 v2, v[0:1], off
	s_waitcnt vmcnt(0)
	v_cvt_f32_f16_e32 v2, v2
	s_delay_alu instid0(VALU_DEP_1)
	v_cvt_i32_f32_e32 v7, v2
.LBB30_224:
	s_cbranch_execnz .LBB30_244
.LBB30_225:
	v_cmp_gt_i16_e32 vcc_lo, 2, v6
	s_cbranch_vccnz .LBB30_229
; %bb.226:
	v_cmp_gt_i16_e32 vcc_lo, 3, v6
	s_cbranch_vccnz .LBB30_230
; %bb.227:
	v_cmp_lt_i16_e32 vcc_lo, 3, v6
	s_cbranch_vccz .LBB30_231
; %bb.228:
	global_load_b32 v7, v[0:1], off
	s_mov_b32 s0, 0
	s_branch .LBB30_232
.LBB30_229:
	s_mov_b32 s0, -1
                                        ; implicit-def: $vgpr7
	s_branch .LBB30_238
.LBB30_230:
	s_mov_b32 s0, -1
                                        ; implicit-def: $vgpr7
	s_branch .LBB30_235
.LBB30_231:
	s_mov_b32 s0, -1
                                        ; implicit-def: $vgpr7
.LBB30_232:
	s_delay_alu instid0(SALU_CYCLE_1)
	s_and_not1_b32 vcc_lo, exec_lo, s0
	s_cbranch_vccnz .LBB30_234
; %bb.233:
	global_load_b32 v7, v[0:1], off
.LBB30_234:
	s_mov_b32 s0, 0
.LBB30_235:
	s_delay_alu instid0(SALU_CYCLE_1)
	s_and_not1_b32 vcc_lo, exec_lo, s0
	s_cbranch_vccnz .LBB30_237
; %bb.236:
	global_load_i16 v7, v[0:1], off
.LBB30_237:
	s_mov_b32 s0, 0
.LBB30_238:
	s_delay_alu instid0(SALU_CYCLE_1)
	s_and_not1_b32 vcc_lo, exec_lo, s0
	s_cbranch_vccnz .LBB30_244
; %bb.239:
	v_cmp_lt_i16_e32 vcc_lo, 0, v6
	s_mov_b32 s0, 0
	s_cbranch_vccz .LBB30_241
; %bb.240:
	global_load_i8 v7, v[0:1], off
	s_branch .LBB30_242
.LBB30_241:
	s_mov_b32 s0, -1
                                        ; implicit-def: $vgpr7
.LBB30_242:
	s_delay_alu instid0(SALU_CYCLE_1)
	s_and_not1_b32 vcc_lo, exec_lo, s0
	s_cbranch_vccnz .LBB30_244
; %bb.243:
	global_load_u8 v7, v[0:1], off
.LBB30_244:
	s_branch .LBB30_11
.LBB30_245:
	s_mov_b32 s0, 0
.LBB30_246:
	s_mov_b32 s14, 0
                                        ; implicit-def: $vgpr5
.LBB30_247:
	s_and_b32 s9, s0, exec_lo
	s_and_b32 s11, s11, exec_lo
	s_or_not1_b32 s15, s14, exec_lo
.LBB30_248:
	s_or_b32 exec_lo, exec_lo, s12
	s_mov_b32 s14, 0
	s_mov_b32 s0, 0
                                        ; implicit-def: $vgpr0_vgpr1
                                        ; implicit-def: $vgpr7
	s_and_saveexec_b32 s12, s15
	s_cbranch_execz .LBB30_844
; %bb.249:
	s_mov_b32 s17, -1
	s_mov_b32 s13, s11
	s_mov_b32 s14, s9
	s_mov_b32 s15, exec_lo
	v_cmpx_gt_i32_e64 s10, v5
	s_cbranch_execz .LBB30_504
; %bb.250:
	v_mul_lo_u32 v0, v5, s3
	v_cmp_gt_i16_e32 vcc_lo, 11, v6
	s_delay_alu instid0(VALU_DEP_2) | instskip(SKIP_1) | instid1(VALU_DEP_1)
	v_ashrrev_i32_e32 v1, 31, v0
	v_add_co_u32 v0, s0, s6, v0
	v_add_co_ci_u32_e64 v1, s0, s7, v1, s0
	s_cbranch_vccnz .LBB30_257
; %bb.251:
	v_cmp_lt_i16_e32 vcc_lo, 25, v6
	s_cbranch_vccz .LBB30_266
; %bb.252:
	v_cmp_lt_i16_e32 vcc_lo, 28, v6
	s_cbranch_vccz .LBB30_268
	;; [unrolled: 3-line block ×4, first 2 shown]
; %bb.255:
	v_cmp_eq_u16_e32 vcc_lo, 46, v6
	s_mov_b32 s14, 0
	s_cbranch_vccz .LBB30_278
; %bb.256:
	global_load_b32 v2, v[0:1], off
	s_mov_b32 s0, -1
	s_mov_b32 s13, 0
	s_waitcnt vmcnt(0)
	v_lshlrev_b32_e32 v2, 16, v2
	s_delay_alu instid0(VALU_DEP_1)
	v_cvt_i32_f32_e32 v7, v2
	s_branch .LBB30_280
.LBB30_257:
	s_mov_b32 s0, 0
	s_mov_b32 s13, s11
                                        ; implicit-def: $vgpr7
	s_cbranch_execnz .LBB30_453
.LBB30_258:
	s_and_not1_b32 vcc_lo, exec_lo, s0
	s_cbranch_vccnz .LBB30_501
.LBB30_259:
	v_mul_lo_u32 v1, v5, s2
	v_and_b32_e32 v8, 0xff, v4
	s_waitcnt vmcnt(0)
	s_delay_alu instid0(VALU_DEP_3) | instskip(NEXT) | instid1(VALU_DEP_2)
	v_not_b32_e32 v0, v7
	v_cmp_gt_i16_e32 vcc_lo, 11, v8
	s_delay_alu instid0(VALU_DEP_4) | instskip(SKIP_1) | instid1(VALU_DEP_1)
	v_ashrrev_i32_e32 v3, 31, v1
	v_add_co_u32 v2, s0, s4, v1
	v_add_co_ci_u32_e64 v3, s0, s5, v3, s0
	s_cbranch_vccnz .LBB30_267
; %bb.260:
	v_cmp_lt_i16_e32 vcc_lo, 25, v8
	s_cbranch_vccz .LBB30_269
; %bb.261:
	v_cmp_lt_i16_e32 vcc_lo, 28, v8
	s_cbranch_vccz .LBB30_271
	;; [unrolled: 3-line block ×4, first 2 shown]
; %bb.264:
	v_cmp_eq_u16_e32 vcc_lo, 46, v8
	s_mov_b32 s16, 0
	s_mov_b32 s0, -1
	s_mov_b32 s14, 0
	s_cbranch_vccz .LBB30_284
; %bb.265:
	v_cvt_f32_i32_e32 v1, v0
	s_mov_b32 s14, -1
	s_mov_b32 s0, 0
	s_delay_alu instid0(VALU_DEP_1) | instskip(NEXT) | instid1(VALU_DEP_1)
	v_bfe_u32 v9, v1, 16, 1
	v_add3_u32 v1, v1, v9, 0x7fff
	s_delay_alu instid0(VALU_DEP_1)
	v_lshrrev_b32_e32 v1, 16, v1
	global_store_b32 v[2:3], v1, off
	s_branch .LBB30_284
.LBB30_266:
	s_mov_b32 s14, -1
	s_mov_b32 s0, 0
	s_mov_b32 s13, s11
                                        ; implicit-def: $vgpr7
	s_branch .LBB30_419
.LBB30_267:
	s_mov_b32 s16, -1
	s_mov_b32 s14, 0
	s_mov_b32 s0, s9
	s_branch .LBB30_353
.LBB30_268:
	s_mov_b32 s14, -1
	s_mov_b32 s0, 0
	s_mov_b32 s13, s11
                                        ; implicit-def: $vgpr7
	s_branch .LBB30_402
.LBB30_269:
	s_mov_b32 s16, -1
	s_mov_b32 s14, 0
	s_mov_b32 s0, s9
	s_branch .LBB30_311
.LBB30_270:
	s_mov_b32 s14, -1
	s_mov_b32 s0, 0
	s_mov_b32 s13, s11
                                        ; implicit-def: $vgpr7
	s_branch .LBB30_397
.LBB30_271:
	s_mov_b32 s16, -1
	s_mov_b32 s14, 0
	s_mov_b32 s0, s9
	s_branch .LBB30_294
.LBB30_272:
	s_or_saveexec_b32 s15, s15
                                        ; implicit-def: $sgpr16
	s_delay_alu instid0(SALU_CYCLE_1)
	s_xor_b32 exec_lo, exec_lo, s15
	s_cbranch_execz .LBB30_54
.LBB30_273:
	v_add_f32_e64 v9, 0x46000000, |v1|
	s_and_not1_b32 s14, s14, exec_lo
	s_mov_b32 s16, 0
	s_delay_alu instid0(VALU_DEP_1) | instskip(NEXT) | instid1(VALU_DEP_1)
	v_and_b32_e32 v9, 0xff, v9
	v_cmp_ne_u32_e32 vcc_lo, 0, v9
	s_and_b32 s17, vcc_lo, exec_lo
	s_delay_alu instid0(SALU_CYCLE_1)
	s_or_b32 s14, s14, s17
	s_or_b32 exec_lo, exec_lo, s15
	v_mov_b32_e32 v10, s16
	s_and_saveexec_b32 s15, s14
	s_cbranch_execnz .LBB30_55
	s_branch .LBB30_56
.LBB30_274:
	s_mov_b32 s14, -1
	s_mov_b32 s0, 0
	s_mov_b32 s13, s11
	s_branch .LBB30_279
.LBB30_275:
	s_mov_b32 s16, -1
	s_mov_b32 s14, 0
	s_mov_b32 s0, s9
	s_branch .LBB30_290
.LBB30_276:
	s_or_saveexec_b32 s15, s15
                                        ; implicit-def: $sgpr16
	s_delay_alu instid0(SALU_CYCLE_1)
	s_xor_b32 exec_lo, exec_lo, s15
	s_cbranch_execz .LBB30_67
.LBB30_277:
	v_add_f32_e64 v9, 0x42800000, |v1|
	s_and_not1_b32 s14, s14, exec_lo
	s_mov_b32 s16, 0
	s_delay_alu instid0(VALU_DEP_1) | instskip(NEXT) | instid1(VALU_DEP_1)
	v_and_b32_e32 v9, 0xff, v9
	v_cmp_ne_u32_e32 vcc_lo, 0, v9
	s_and_b32 s17, vcc_lo, exec_lo
	s_delay_alu instid0(SALU_CYCLE_1)
	s_or_b32 s14, s14, s17
	s_or_b32 exec_lo, exec_lo, s15
	v_mov_b32_e32 v10, s16
	s_and_saveexec_b32 s15, s14
	s_cbranch_execnz .LBB30_68
	s_branch .LBB30_69
.LBB30_278:
	s_mov_b32 s13, -1
	s_mov_b32 s0, 0
.LBB30_279:
                                        ; implicit-def: $vgpr7
.LBB30_280:
	s_and_b32 vcc_lo, exec_lo, s14
	s_cbranch_vccz .LBB30_396
; %bb.281:
	v_cmp_eq_u16_e32 vcc_lo, 44, v6
	s_cbranch_vccz .LBB30_395
; %bb.282:
	global_load_u8 v2, v[0:1], off
	s_mov_b32 s13, 0
	s_mov_b32 s0, -1
	s_waitcnt vmcnt(0)
	v_lshlrev_b32_e32 v3, 23, v2
	v_cmp_ne_u32_e32 vcc_lo, 0, v2
	s_delay_alu instid0(VALU_DEP_2) | instskip(NEXT) | instid1(VALU_DEP_1)
	v_cvt_i32_f32_e32 v3, v3
	v_cndmask_b32_e32 v7, 0, v3, vcc_lo
	s_branch .LBB30_396
.LBB30_283:
	s_mov_b32 s16, -1
	s_mov_b32 s14, 0
	s_mov_b32 s0, s9
.LBB30_284:
	s_and_b32 vcc_lo, exec_lo, s16
	s_cbranch_vccz .LBB30_289
; %bb.285:
	v_cmp_eq_u16_e32 vcc_lo, 44, v8
	s_mov_b32 s0, -1
	s_cbranch_vccz .LBB30_289
; %bb.286:
	v_cvt_f32_i32_e32 v1, v0
	v_mov_b32_e32 v9, 0xff
	s_mov_b32 s14, exec_lo
	s_delay_alu instid0(VALU_DEP_2) | instskip(NEXT) | instid1(VALU_DEP_1)
	v_bfe_u32 v10, v1, 23, 8
	v_cmpx_ne_u32_e32 0xff, v10
; %bb.287:
	v_and_b32_e32 v9, 0x400000, v1
	v_and_or_b32 v10, 0x3fffff, v1, v10
	v_lshrrev_b32_e32 v1, 23, v1
	s_delay_alu instid0(VALU_DEP_3) | instskip(NEXT) | instid1(VALU_DEP_3)
	v_cmp_ne_u32_e32 vcc_lo, 0, v9
	v_cmp_ne_u32_e64 s0, 0, v10
	s_delay_alu instid0(VALU_DEP_1) | instskip(NEXT) | instid1(SALU_CYCLE_1)
	s_and_b32 s0, vcc_lo, s0
	v_cndmask_b32_e64 v9, 0, 1, s0
	s_delay_alu instid0(VALU_DEP_1)
	v_add_nc_u32_e32 v9, v1, v9
; %bb.288:
	s_or_b32 exec_lo, exec_lo, s14
	s_mov_b32 s14, -1
	s_mov_b32 s0, 0
	global_store_b8 v[2:3], v9, off
.LBB30_289:
	s_mov_b32 s16, 0
.LBB30_290:
	s_delay_alu instid0(SALU_CYCLE_1)
	s_and_b32 vcc_lo, exec_lo, s16
	s_cbranch_vccz .LBB30_293
; %bb.291:
	v_cmp_eq_u16_e32 vcc_lo, 29, v8
	s_mov_b32 s0, -1
	s_cbranch_vccz .LBB30_293
; %bb.292:
	v_ashrrev_i32_e32 v1, 31, v0
	s_mov_b32 s14, -1
	s_mov_b32 s0, 0
	s_mov_b32 s16, 0
	global_store_b64 v[2:3], v[0:1], off
	s_branch .LBB30_294
.LBB30_293:
	s_mov_b32 s16, 0
.LBB30_294:
	s_delay_alu instid0(SALU_CYCLE_1)
	s_and_b32 vcc_lo, exec_lo, s16
	s_cbranch_vccz .LBB30_310
; %bb.295:
	v_cmp_gt_i16_e32 vcc_lo, 27, v8
	s_mov_b32 s14, -1
	s_cbranch_vccnz .LBB30_301
; %bb.296:
	v_cmp_lt_i16_e32 vcc_lo, 27, v8
	s_cbranch_vccz .LBB30_298
; %bb.297:
	s_mov_b32 s14, 0
	global_store_b32 v[2:3], v0, off
.LBB30_298:
	s_and_not1_b32 vcc_lo, exec_lo, s14
	s_cbranch_vccnz .LBB30_300
; %bb.299:
	global_store_b16 v[2:3], v0, off
.LBB30_300:
	s_mov_b32 s14, 0
.LBB30_301:
	s_delay_alu instid0(SALU_CYCLE_1)
	s_and_not1_b32 vcc_lo, exec_lo, s14
	s_cbranch_vccnz .LBB30_309
; %bb.302:
	v_cvt_f32_i32_e32 v1, v0
	v_mov_b32_e32 v10, 0x80
	s_mov_b32 s14, exec_lo
	s_delay_alu instid0(VALU_DEP_2) | instskip(NEXT) | instid1(VALU_DEP_1)
	v_and_b32_e32 v9, 0x7fffffff, v1
	v_cmpx_gt_u32_e32 0x43800000, v9
	s_cbranch_execz .LBB30_308
; %bb.303:
	v_cmp_lt_u32_e32 vcc_lo, 0x3bffffff, v9
	s_mov_b32 s16, 0
                                        ; implicit-def: $vgpr9
	s_and_saveexec_b32 s17, vcc_lo
	s_delay_alu instid0(SALU_CYCLE_1)
	s_xor_b32 s17, exec_lo, s17
	s_cbranch_execz .LBB30_517
; %bb.304:
	v_bfe_u32 v9, v1, 20, 1
	s_mov_b32 s16, exec_lo
	s_delay_alu instid0(VALU_DEP_1) | instskip(NEXT) | instid1(VALU_DEP_1)
	v_add3_u32 v9, v1, v9, 0x487ffff
	v_lshrrev_b32_e32 v9, 20, v9
	s_or_saveexec_b32 s17, s17
                                        ; implicit-def: $sgpr18
	s_delay_alu instid0(SALU_CYCLE_1)
	s_xor_b32 exec_lo, exec_lo, s17
	s_cbranch_execnz .LBB30_518
.LBB30_305:
	s_or_b32 exec_lo, exec_lo, s17
	v_mov_b32_e32 v10, s18
	s_and_saveexec_b32 s17, s16
.LBB30_306:
	v_lshrrev_b32_e32 v1, 24, v1
	s_delay_alu instid0(VALU_DEP_1)
	v_and_or_b32 v10, 0x80, v1, v9
.LBB30_307:
	s_or_b32 exec_lo, exec_lo, s17
.LBB30_308:
	s_delay_alu instid0(SALU_CYCLE_1)
	s_or_b32 exec_lo, exec_lo, s14
	global_store_b8 v[2:3], v10, off
.LBB30_309:
	s_mov_b32 s14, -1
.LBB30_310:
	s_mov_b32 s16, 0
.LBB30_311:
	s_delay_alu instid0(SALU_CYCLE_1)
	s_and_b32 vcc_lo, exec_lo, s16
	s_cbranch_vccz .LBB30_352
; %bb.312:
	v_cmp_lt_i16_e32 vcc_lo, 22, v8
	s_mov_b32 s16, -1
	s_cbranch_vccz .LBB30_344
; %bb.313:
	v_cmp_gt_i16_e32 vcc_lo, 24, v8
	s_mov_b32 s14, -1
	s_cbranch_vccnz .LBB30_333
; %bb.314:
	v_cmp_lt_i16_e32 vcc_lo, 24, v8
	s_cbranch_vccz .LBB30_322
; %bb.315:
	v_cvt_f32_i32_e32 v1, v0
	v_mov_b32_e32 v10, 0x80
	s_mov_b32 s14, exec_lo
	s_delay_alu instid0(VALU_DEP_2) | instskip(NEXT) | instid1(VALU_DEP_1)
	v_and_b32_e32 v9, 0x7fffffff, v1
	v_cmpx_gt_u32_e32 0x47800000, v9
	s_cbranch_execz .LBB30_321
; %bb.316:
	v_cmp_lt_u32_e32 vcc_lo, 0x37ffffff, v9
	s_mov_b32 s16, 0
                                        ; implicit-def: $vgpr9
	s_and_saveexec_b32 s17, vcc_lo
	s_delay_alu instid0(SALU_CYCLE_1)
	s_xor_b32 s17, exec_lo, s17
	s_cbranch_execz .LBB30_520
; %bb.317:
	v_bfe_u32 v9, v1, 21, 1
	s_mov_b32 s16, exec_lo
	s_delay_alu instid0(VALU_DEP_1) | instskip(NEXT) | instid1(VALU_DEP_1)
	v_add3_u32 v9, v1, v9, 0x88fffff
	v_lshrrev_b32_e32 v9, 21, v9
	s_or_saveexec_b32 s17, s17
                                        ; implicit-def: $sgpr18
	s_delay_alu instid0(SALU_CYCLE_1)
	s_xor_b32 exec_lo, exec_lo, s17
	s_cbranch_execnz .LBB30_521
.LBB30_318:
	s_or_b32 exec_lo, exec_lo, s17
	v_mov_b32_e32 v10, s18
	s_and_saveexec_b32 s17, s16
.LBB30_319:
	v_lshrrev_b32_e32 v1, 24, v1
	s_delay_alu instid0(VALU_DEP_1)
	v_and_or_b32 v10, 0x80, v1, v9
.LBB30_320:
	s_or_b32 exec_lo, exec_lo, s17
.LBB30_321:
	s_delay_alu instid0(SALU_CYCLE_1)
	s_or_b32 exec_lo, exec_lo, s14
	s_mov_b32 s14, 0
	global_store_b8 v[2:3], v10, off
.LBB30_322:
	s_and_b32 vcc_lo, exec_lo, s14
	s_cbranch_vccz .LBB30_332
; %bb.323:
	v_cvt_f32_i32_e32 v1, v0
	s_mov_b32 s14, exec_lo
                                        ; implicit-def: $vgpr9
	s_delay_alu instid0(VALU_DEP_1) | instskip(NEXT) | instid1(VALU_DEP_1)
	v_and_b32_e32 v10, 0x7fffffff, v1
	v_cmpx_gt_u32_e32 0x43f00000, v10
	s_xor_b32 s14, exec_lo, s14
	s_cbranch_execz .LBB30_329
; %bb.324:
	s_mov_b32 s16, exec_lo
                                        ; implicit-def: $vgpr9
	v_cmpx_lt_u32_e32 0x3c7fffff, v10
	s_xor_b32 s16, exec_lo, s16
; %bb.325:
	v_bfe_u32 v9, v1, 20, 1
	s_delay_alu instid0(VALU_DEP_1) | instskip(NEXT) | instid1(VALU_DEP_1)
	v_add3_u32 v9, v1, v9, 0x407ffff
	v_and_b32_e32 v10, 0xff00000, v9
	v_lshrrev_b32_e32 v9, 20, v9
	s_delay_alu instid0(VALU_DEP_2) | instskip(NEXT) | instid1(VALU_DEP_2)
	v_cmp_ne_u32_e32 vcc_lo, 0x7f00000, v10
	v_cndmask_b32_e32 v9, 0x7e, v9, vcc_lo
; %bb.326:
	s_and_not1_saveexec_b32 s16, s16
; %bb.327:
	v_add_f32_e64 v9, 0x46800000, |v1|
; %bb.328:
	s_or_b32 exec_lo, exec_lo, s16
                                        ; implicit-def: $vgpr10
.LBB30_329:
	s_and_not1_saveexec_b32 s14, s14
; %bb.330:
	v_mov_b32_e32 v9, 0x7f
	v_cmp_lt_u32_e32 vcc_lo, 0x7f800000, v10
	s_delay_alu instid0(VALU_DEP_2)
	v_cndmask_b32_e32 v9, 0x7e, v9, vcc_lo
; %bb.331:
	s_or_b32 exec_lo, exec_lo, s14
	v_lshrrev_b32_e32 v1, 24, v1
	s_delay_alu instid0(VALU_DEP_1)
	v_and_or_b32 v1, 0x80, v1, v9
	global_store_b8 v[2:3], v1, off
.LBB30_332:
	s_mov_b32 s14, 0
.LBB30_333:
	s_delay_alu instid0(SALU_CYCLE_1)
	s_and_not1_b32 vcc_lo, exec_lo, s14
	s_cbranch_vccnz .LBB30_343
; %bb.334:
	v_cvt_f32_i32_e32 v1, v0
	s_mov_b32 s14, exec_lo
                                        ; implicit-def: $vgpr9
	s_delay_alu instid0(VALU_DEP_1) | instskip(NEXT) | instid1(VALU_DEP_1)
	v_and_b32_e32 v10, 0x7fffffff, v1
	v_cmpx_gt_u32_e32 0x47800000, v10
	s_xor_b32 s14, exec_lo, s14
	s_cbranch_execz .LBB30_340
; %bb.335:
	s_mov_b32 s16, exec_lo
                                        ; implicit-def: $vgpr9
	v_cmpx_lt_u32_e32 0x387fffff, v10
	s_xor_b32 s16, exec_lo, s16
; %bb.336:
	v_bfe_u32 v9, v1, 21, 1
	s_delay_alu instid0(VALU_DEP_1) | instskip(NEXT) | instid1(VALU_DEP_1)
	v_add3_u32 v9, v1, v9, 0x80fffff
	v_lshrrev_b32_e32 v9, 21, v9
; %bb.337:
	s_and_not1_saveexec_b32 s16, s16
; %bb.338:
	v_add_f32_e64 v9, 0x43000000, |v1|
; %bb.339:
	s_or_b32 exec_lo, exec_lo, s16
                                        ; implicit-def: $vgpr10
.LBB30_340:
	s_and_not1_saveexec_b32 s14, s14
; %bb.341:
	v_mov_b32_e32 v9, 0x7f
	v_cmp_lt_u32_e32 vcc_lo, 0x7f800000, v10
	s_delay_alu instid0(VALU_DEP_2)
	v_cndmask_b32_e32 v9, 0x7c, v9, vcc_lo
; %bb.342:
	s_or_b32 exec_lo, exec_lo, s14
	v_lshrrev_b32_e32 v1, 24, v1
	s_delay_alu instid0(VALU_DEP_1)
	v_and_or_b32 v1, 0x80, v1, v9
	global_store_b8 v[2:3], v1, off
.LBB30_343:
	s_mov_b32 s16, 0
	s_mov_b32 s14, -1
.LBB30_344:
	s_and_not1_b32 vcc_lo, exec_lo, s16
	s_cbranch_vccnz .LBB30_352
; %bb.345:
	v_cmp_lt_i16_e32 vcc_lo, 14, v8
	s_mov_b32 s16, -1
	s_cbranch_vccz .LBB30_349
; %bb.346:
	v_cmp_eq_u16_e32 vcc_lo, 15, v8
	s_mov_b32 s0, -1
	s_cbranch_vccz .LBB30_348
; %bb.347:
	v_cvt_f32_i32_e32 v1, v0
	s_mov_b32 s14, -1
	s_mov_b32 s0, 0
	s_delay_alu instid0(VALU_DEP_1) | instskip(NEXT) | instid1(VALU_DEP_1)
	v_bfe_u32 v9, v1, 16, 1
	v_add3_u32 v1, v1, v9, 0x7fff
	global_store_d16_hi_b16 v[2:3], v1, off
.LBB30_348:
	s_mov_b32 s16, 0
.LBB30_349:
	s_delay_alu instid0(SALU_CYCLE_1)
	s_and_b32 vcc_lo, exec_lo, s16
	s_cbranch_vccz .LBB30_352
; %bb.350:
	v_cmp_eq_u16_e32 vcc_lo, 11, v8
	s_mov_b32 s0, -1
	s_cbranch_vccz .LBB30_352
; %bb.351:
	v_cmp_ne_u32_e32 vcc_lo, -1, v7
	s_mov_b32 s14, -1
	s_mov_b32 s0, 0
	v_cndmask_b32_e64 v1, 0, 1, vcc_lo
	global_store_b8 v[2:3], v1, off
.LBB30_352:
	s_mov_b32 s16, 0
.LBB30_353:
	s_delay_alu instid0(SALU_CYCLE_1)
	s_and_b32 vcc_lo, exec_lo, s16
	s_cbranch_vccz .LBB30_392
; %bb.354:
	v_cmp_gt_i16_e32 vcc_lo, 5, v8
	s_mov_b32 s14, -1
	s_cbranch_vccnz .LBB30_375
; %bb.355:
	v_cmp_gt_i16_e32 vcc_lo, 8, v8
	s_cbranch_vccnz .LBB30_365
; %bb.356:
	v_cmp_gt_i16_e32 vcc_lo, 9, v8
	s_cbranch_vccnz .LBB30_362
; %bb.357:
	v_cmp_lt_i16_e32 vcc_lo, 9, v8
	s_cbranch_vccz .LBB30_359
; %bb.358:
	v_cvt_f64_i32_e32 v[9:10], v0
	v_mov_b32_e32 v11, 0
	s_mov_b32 s14, 0
	s_delay_alu instid0(VALU_DEP_1)
	v_mov_b32_e32 v12, v11
	global_store_b128 v[2:3], v[9:12], off
.LBB30_359:
	s_and_not1_b32 vcc_lo, exec_lo, s14
	s_cbranch_vccnz .LBB30_361
; %bb.360:
	v_cvt_f32_i32_e32 v9, v0
	v_mov_b32_e32 v10, 0
	global_store_b64 v[2:3], v[9:10], off
.LBB30_361:
	s_mov_b32 s14, 0
.LBB30_362:
	s_delay_alu instid0(SALU_CYCLE_1)
	s_and_not1_b32 vcc_lo, exec_lo, s14
	s_cbranch_vccnz .LBB30_364
; %bb.363:
	v_cvt_f32_i32_e32 v1, v0
	s_delay_alu instid0(VALU_DEP_1) | instskip(NEXT) | instid1(VALU_DEP_1)
	v_cvt_f16_f32_e32 v1, v1
	v_and_b32_e32 v1, 0xffff, v1
	global_store_b32 v[2:3], v1, off
.LBB30_364:
	s_mov_b32 s14, 0
.LBB30_365:
	s_delay_alu instid0(SALU_CYCLE_1)
	s_and_not1_b32 vcc_lo, exec_lo, s14
	s_cbranch_vccnz .LBB30_374
; %bb.366:
	v_cmp_gt_i16_e32 vcc_lo, 6, v8
	s_mov_b32 s14, -1
	s_cbranch_vccnz .LBB30_372
; %bb.367:
	v_cmp_lt_i16_e32 vcc_lo, 6, v8
	s_cbranch_vccz .LBB30_369
; %bb.368:
	v_cvt_f64_i32_e32 v[9:10], v0
	s_mov_b32 s14, 0
	global_store_b64 v[2:3], v[9:10], off
.LBB30_369:
	s_and_not1_b32 vcc_lo, exec_lo, s14
	s_cbranch_vccnz .LBB30_371
; %bb.370:
	v_cvt_f32_i32_e32 v1, v0
	global_store_b32 v[2:3], v1, off
.LBB30_371:
	s_mov_b32 s14, 0
.LBB30_372:
	s_delay_alu instid0(SALU_CYCLE_1)
	s_and_not1_b32 vcc_lo, exec_lo, s14
	s_cbranch_vccnz .LBB30_374
; %bb.373:
	v_cvt_f32_i32_e32 v1, v0
	s_delay_alu instid0(VALU_DEP_1)
	v_cvt_f16_f32_e32 v1, v1
	global_store_b16 v[2:3], v1, off
.LBB30_374:
	s_mov_b32 s14, 0
.LBB30_375:
	s_delay_alu instid0(SALU_CYCLE_1)
	s_and_not1_b32 vcc_lo, exec_lo, s14
	s_cbranch_vccnz .LBB30_391
; %bb.376:
	v_cmp_gt_i16_e32 vcc_lo, 2, v8
	s_mov_b32 s14, -1
	s_cbranch_vccnz .LBB30_386
; %bb.377:
	v_cmp_gt_i16_e32 vcc_lo, 3, v8
	s_cbranch_vccnz .LBB30_383
; %bb.378:
	v_cmp_lt_i16_e32 vcc_lo, 3, v8
	s_cbranch_vccz .LBB30_380
; %bb.379:
	v_ashrrev_i32_e32 v1, 31, v0
	s_mov_b32 s14, 0
	global_store_b64 v[2:3], v[0:1], off
.LBB30_380:
	s_and_not1_b32 vcc_lo, exec_lo, s14
	s_cbranch_vccnz .LBB30_382
; %bb.381:
	global_store_b32 v[2:3], v0, off
.LBB30_382:
	s_mov_b32 s14, 0
.LBB30_383:
	s_delay_alu instid0(SALU_CYCLE_1)
	s_and_not1_b32 vcc_lo, exec_lo, s14
	s_cbranch_vccnz .LBB30_385
; %bb.384:
	global_store_b16 v[2:3], v0, off
.LBB30_385:
	s_mov_b32 s14, 0
.LBB30_386:
	s_delay_alu instid0(SALU_CYCLE_1)
	s_and_not1_b32 vcc_lo, exec_lo, s14
	s_cbranch_vccnz .LBB30_391
; %bb.387:
	v_cmp_lt_i16_e32 vcc_lo, 0, v8
	s_mov_b32 s14, -1
	s_cbranch_vccz .LBB30_389
; %bb.388:
	s_mov_b32 s14, 0
	global_store_b8 v[2:3], v0, off
.LBB30_389:
	s_and_not1_b32 vcc_lo, exec_lo, s14
	s_cbranch_vccnz .LBB30_391
; %bb.390:
	global_store_b8 v[2:3], v0, off
.LBB30_391:
	s_mov_b32 s14, -1
.LBB30_392:
	s_delay_alu instid0(SALU_CYCLE_1)
	s_and_not1_b32 vcc_lo, exec_lo, s14
	s_cbranch_vccnz .LBB30_394
; %bb.393:
	v_add_nc_u32_e32 v5, 0x80, v5
	s_mov_b32 s16, -1
	s_branch .LBB30_503
.LBB30_394:
	s_mov_b32 s16, 0
	s_branch .LBB30_502
.LBB30_395:
	s_mov_b32 s13, -1
                                        ; implicit-def: $vgpr7
.LBB30_396:
	s_mov_b32 s14, 0
.LBB30_397:
	s_delay_alu instid0(SALU_CYCLE_1)
	s_and_b32 vcc_lo, exec_lo, s14
	s_cbranch_vccz .LBB30_401
; %bb.398:
	v_cmp_eq_u16_e32 vcc_lo, 29, v6
	s_cbranch_vccz .LBB30_400
; %bb.399:
	global_load_b32 v7, v[0:1], off
	s_mov_b32 s0, -1
	s_mov_b32 s13, 0
	s_branch .LBB30_401
.LBB30_400:
	s_mov_b32 s13, -1
                                        ; implicit-def: $vgpr7
.LBB30_401:
	s_mov_b32 s14, 0
.LBB30_402:
	s_delay_alu instid0(SALU_CYCLE_1)
	s_and_b32 vcc_lo, exec_lo, s14
	s_cbranch_vccz .LBB30_418
; %bb.403:
	v_cmp_gt_i16_e32 vcc_lo, 27, v6
	s_cbranch_vccnz .LBB30_406
; %bb.404:
	v_cmp_lt_i16_e32 vcc_lo, 27, v6
	s_cbranch_vccz .LBB30_407
; %bb.405:
	global_load_b32 v7, v[0:1], off
	s_mov_b32 s0, 0
	s_branch .LBB30_408
.LBB30_406:
	s_mov_b32 s0, -1
                                        ; implicit-def: $vgpr7
	s_branch .LBB30_411
.LBB30_407:
	s_mov_b32 s0, -1
                                        ; implicit-def: $vgpr7
.LBB30_408:
	s_delay_alu instid0(SALU_CYCLE_1)
	s_and_not1_b32 vcc_lo, exec_lo, s0
	s_cbranch_vccnz .LBB30_410
; %bb.409:
	global_load_u16 v7, v[0:1], off
.LBB30_410:
	s_mov_b32 s0, 0
.LBB30_411:
	s_delay_alu instid0(SALU_CYCLE_1)
	s_and_not1_b32 vcc_lo, exec_lo, s0
	s_cbranch_vccnz .LBB30_417
; %bb.412:
	global_load_u8 v2, v[0:1], off
	s_mov_b32 s0, 0
	s_mov_b32 s14, exec_lo
                                        ; implicit-def: $sgpr16
	s_waitcnt vmcnt(0)
	v_cmpx_lt_i16_e32 0x7f, v2
	s_xor_b32 s14, exec_lo, s14
	s_cbranch_execz .LBB30_429
; %bb.413:
	v_cmp_ne_u16_e32 vcc_lo, 0x80, v2
	s_mov_b32 s16, 0
	s_and_b32 s0, vcc_lo, exec_lo
	s_or_saveexec_b32 s14, s14
	v_mov_b32_e32 v7, s16
	s_xor_b32 exec_lo, exec_lo, s14
	s_cbranch_execnz .LBB30_430
.LBB30_414:
	s_or_b32 exec_lo, exec_lo, s14
	s_and_saveexec_b32 s14, s0
	s_cbranch_execz .LBB30_416
.LBB30_415:
	v_and_b32_e32 v3, 0xffff, v2
	s_delay_alu instid0(VALU_DEP_1) | instskip(NEXT) | instid1(VALU_DEP_1)
	v_and_b32_e32 v7, 7, v3
	v_clz_i32_u32_e32 v8, v7
	s_delay_alu instid0(VALU_DEP_1) | instskip(NEXT) | instid1(VALU_DEP_1)
	v_min_u32_e32 v8, 32, v8
	v_subrev_nc_u32_e32 v9, 28, v8
	v_sub_nc_u32_e32 v8, 29, v8
	s_delay_alu instid0(VALU_DEP_2) | instskip(SKIP_1) | instid1(VALU_DEP_2)
	v_lshlrev_b32_e32 v9, v9, v3
	v_bfe_u32 v3, v3, 3, 4
	v_and_b32_e32 v9, 7, v9
	s_delay_alu instid0(VALU_DEP_2) | instskip(SKIP_1) | instid1(VALU_DEP_1)
	v_cmp_eq_u32_e32 vcc_lo, 0, v3
	v_dual_cndmask_b32 v3, v3, v8 :: v_dual_lshlrev_b32 v2, 24, v2
	v_dual_cndmask_b32 v7, v7, v9 :: v_dual_and_b32 v2, 0x80000000, v2
	s_delay_alu instid0(VALU_DEP_2) | instskip(NEXT) | instid1(VALU_DEP_2)
	v_lshl_add_u32 v3, v3, 23, 0x3b800000
	v_lshlrev_b32_e32 v7, 20, v7
	s_delay_alu instid0(VALU_DEP_1) | instskip(NEXT) | instid1(VALU_DEP_1)
	v_or3_b32 v2, v2, v3, v7
	v_cvt_i32_f32_e32 v7, v2
.LBB30_416:
	s_or_b32 exec_lo, exec_lo, s14
.LBB30_417:
	s_mov_b32 s0, -1
.LBB30_418:
	s_mov_b32 s14, 0
.LBB30_419:
	s_delay_alu instid0(SALU_CYCLE_1)
	s_and_b32 vcc_lo, exec_lo, s14
	s_cbranch_vccz .LBB30_452
; %bb.420:
	v_cmp_lt_i16_e32 vcc_lo, 22, v6
	s_cbranch_vccz .LBB30_428
; %bb.421:
	v_cmp_gt_i16_e32 vcc_lo, 24, v6
	s_cbranch_vccnz .LBB30_431
; %bb.422:
	v_cmp_lt_i16_e32 vcc_lo, 24, v6
	s_cbranch_vccz .LBB30_432
; %bb.423:
	global_load_u8 v2, v[0:1], off
	s_mov_b32 s0, 0
	s_mov_b32 s14, exec_lo
                                        ; implicit-def: $sgpr16
	s_waitcnt vmcnt(0)
	v_cmpx_lt_i16_e32 0x7f, v2
	s_xor_b32 s14, exec_lo, s14
	s_cbranch_execz .LBB30_444
; %bb.424:
	v_cmp_ne_u16_e32 vcc_lo, 0x80, v2
	s_mov_b32 s16, 0
	s_and_b32 s0, vcc_lo, exec_lo
	s_or_saveexec_b32 s14, s14
	v_mov_b32_e32 v7, s16
	s_xor_b32 exec_lo, exec_lo, s14
	s_cbranch_execnz .LBB30_445
.LBB30_425:
	s_or_b32 exec_lo, exec_lo, s14
	s_and_saveexec_b32 s14, s0
	s_cbranch_execz .LBB30_427
.LBB30_426:
	v_and_b32_e32 v3, 0xffff, v2
	s_delay_alu instid0(VALU_DEP_1) | instskip(NEXT) | instid1(VALU_DEP_1)
	v_and_b32_e32 v7, 3, v3
	v_clz_i32_u32_e32 v8, v7
	s_delay_alu instid0(VALU_DEP_1) | instskip(NEXT) | instid1(VALU_DEP_1)
	v_min_u32_e32 v8, 32, v8
	v_subrev_nc_u32_e32 v9, 29, v8
	v_sub_nc_u32_e32 v8, 30, v8
	s_delay_alu instid0(VALU_DEP_2) | instskip(SKIP_1) | instid1(VALU_DEP_2)
	v_lshlrev_b32_e32 v9, v9, v3
	v_bfe_u32 v3, v3, 2, 5
	v_and_b32_e32 v9, 3, v9
	s_delay_alu instid0(VALU_DEP_2) | instskip(SKIP_1) | instid1(VALU_DEP_1)
	v_cmp_eq_u32_e32 vcc_lo, 0, v3
	v_dual_cndmask_b32 v3, v3, v8 :: v_dual_lshlrev_b32 v2, 24, v2
	v_dual_cndmask_b32 v7, v7, v9 :: v_dual_and_b32 v2, 0x80000000, v2
	s_delay_alu instid0(VALU_DEP_2) | instskip(NEXT) | instid1(VALU_DEP_2)
	v_lshl_add_u32 v3, v3, 23, 0x37800000
	v_lshlrev_b32_e32 v7, 21, v7
	s_delay_alu instid0(VALU_DEP_1) | instskip(NEXT) | instid1(VALU_DEP_1)
	v_or3_b32 v2, v2, v3, v7
	v_cvt_i32_f32_e32 v7, v2
.LBB30_427:
	s_or_b32 exec_lo, exec_lo, s14
	s_mov_b32 s0, 0
	s_branch .LBB30_433
.LBB30_428:
	s_mov_b32 s14, -1
                                        ; implicit-def: $vgpr7
	s_branch .LBB30_439
.LBB30_429:
	s_or_saveexec_b32 s14, s14
	v_mov_b32_e32 v7, s16
	s_xor_b32 exec_lo, exec_lo, s14
	s_cbranch_execz .LBB30_414
.LBB30_430:
	v_cmp_ne_u16_e32 vcc_lo, 0, v2
	v_mov_b32_e32 v7, 0
	s_and_not1_b32 s0, s0, exec_lo
	s_and_b32 s16, vcc_lo, exec_lo
	s_delay_alu instid0(SALU_CYCLE_1)
	s_or_b32 s0, s0, s16
	s_or_b32 exec_lo, exec_lo, s14
	s_and_saveexec_b32 s14, s0
	s_cbranch_execnz .LBB30_415
	s_branch .LBB30_416
.LBB30_431:
	s_mov_b32 s0, -1
                                        ; implicit-def: $vgpr7
	s_branch .LBB30_436
.LBB30_432:
	s_mov_b32 s0, -1
                                        ; implicit-def: $vgpr7
.LBB30_433:
	s_delay_alu instid0(SALU_CYCLE_1)
	s_and_b32 vcc_lo, exec_lo, s0
	s_cbranch_vccz .LBB30_435
; %bb.434:
	global_load_u8 v2, v[0:1], off
	s_waitcnt vmcnt(0)
	v_lshlrev_b32_e32 v2, 24, v2
	s_delay_alu instid0(VALU_DEP_1) | instskip(NEXT) | instid1(VALU_DEP_1)
	v_and_b32_e32 v3, 0x7f000000, v2
	v_clz_i32_u32_e32 v7, v3
	v_add_nc_u32_e32 v9, 0x1000000, v3
	v_cmp_ne_u32_e32 vcc_lo, 0, v3
	s_delay_alu instid0(VALU_DEP_3) | instskip(NEXT) | instid1(VALU_DEP_1)
	v_min_u32_e32 v7, 32, v7
	v_sub_nc_u32_e64 v7, v7, 4 clamp
	s_delay_alu instid0(VALU_DEP_1) | instskip(SKIP_1) | instid1(VALU_DEP_2)
	v_lshlrev_b32_e32 v8, v7, v3
	v_lshlrev_b32_e32 v7, 23, v7
	v_lshrrev_b32_e32 v8, 4, v8
	s_delay_alu instid0(VALU_DEP_1) | instskip(SKIP_1) | instid1(VALU_DEP_2)
	v_sub_nc_u32_e32 v7, v8, v7
	v_ashrrev_i32_e32 v8, 8, v9
	v_add_nc_u32_e32 v7, 0x3c000000, v7
	s_delay_alu instid0(VALU_DEP_1) | instskip(NEXT) | instid1(VALU_DEP_1)
	v_and_or_b32 v7, 0x7f800000, v8, v7
	v_cndmask_b32_e32 v3, 0, v7, vcc_lo
	s_delay_alu instid0(VALU_DEP_1) | instskip(NEXT) | instid1(VALU_DEP_1)
	v_and_or_b32 v2, 0x80000000, v2, v3
	v_cvt_i32_f32_e32 v7, v2
.LBB30_435:
	s_mov_b32 s0, 0
.LBB30_436:
	s_delay_alu instid0(SALU_CYCLE_1)
	s_and_not1_b32 vcc_lo, exec_lo, s0
	s_cbranch_vccnz .LBB30_438
; %bb.437:
	global_load_u8 v2, v[0:1], off
	s_waitcnt vmcnt(0)
	v_lshlrev_b32_e32 v3, 25, v2
	v_lshlrev_b16 v2, 8, v2
	s_delay_alu instid0(VALU_DEP_1) | instskip(SKIP_1) | instid1(VALU_DEP_2)
	v_and_or_b32 v8, 0x7f00, v2, 0.5
	v_bfe_i32 v2, v2, 0, 16
	v_add_f32_e32 v8, -0.5, v8
	v_lshrrev_b32_e32 v7, 4, v3
	v_cmp_gt_u32_e32 vcc_lo, 0x8000000, v3
	s_delay_alu instid0(VALU_DEP_2) | instskip(NEXT) | instid1(VALU_DEP_1)
	v_or_b32_e32 v7, 0x70000000, v7
	v_mul_f32_e32 v7, 0x7800000, v7
	s_delay_alu instid0(VALU_DEP_1) | instskip(NEXT) | instid1(VALU_DEP_1)
	v_cndmask_b32_e32 v3, v7, v8, vcc_lo
	v_and_or_b32 v2, 0x80000000, v2, v3
	s_delay_alu instid0(VALU_DEP_1)
	v_cvt_i32_f32_e32 v7, v2
.LBB30_438:
	s_mov_b32 s14, 0
	s_mov_b32 s0, -1
.LBB30_439:
	s_and_not1_b32 vcc_lo, exec_lo, s14
	s_cbranch_vccnz .LBB30_452
; %bb.440:
	v_cmp_lt_i16_e32 vcc_lo, 14, v6
	s_cbranch_vccz .LBB30_443
; %bb.441:
	v_cmp_eq_u16_e32 vcc_lo, 15, v6
	s_cbranch_vccz .LBB30_446
; %bb.442:
	global_load_u16 v2, v[0:1], off
	s_mov_b32 s0, -1
	s_mov_b32 s13, 0
	s_waitcnt vmcnt(0)
	v_lshlrev_b32_e32 v2, 16, v2
	s_delay_alu instid0(VALU_DEP_1)
	v_cvt_i32_f32_e32 v7, v2
	s_branch .LBB30_447
.LBB30_443:
	s_mov_b32 s14, -1
                                        ; implicit-def: $vgpr7
	s_branch .LBB30_448
.LBB30_444:
	s_or_saveexec_b32 s14, s14
	v_mov_b32_e32 v7, s16
	s_xor_b32 exec_lo, exec_lo, s14
	s_cbranch_execz .LBB30_425
.LBB30_445:
	v_cmp_ne_u16_e32 vcc_lo, 0, v2
	v_mov_b32_e32 v7, 0
	s_and_not1_b32 s0, s0, exec_lo
	s_and_b32 s16, vcc_lo, exec_lo
	s_delay_alu instid0(SALU_CYCLE_1)
	s_or_b32 s0, s0, s16
	s_or_b32 exec_lo, exec_lo, s14
	s_and_saveexec_b32 s14, s0
	s_cbranch_execnz .LBB30_426
	s_branch .LBB30_427
.LBB30_446:
	s_mov_b32 s13, -1
                                        ; implicit-def: $vgpr7
.LBB30_447:
	s_mov_b32 s14, 0
.LBB30_448:
	s_delay_alu instid0(SALU_CYCLE_1)
	s_and_b32 vcc_lo, exec_lo, s14
	s_cbranch_vccz .LBB30_452
; %bb.449:
	v_cmp_eq_u16_e32 vcc_lo, 11, v6
	s_cbranch_vccz .LBB30_451
; %bb.450:
	global_load_u8 v2, v[0:1], off
	s_mov_b32 s13, 0
	s_mov_b32 s0, -1
	s_waitcnt vmcnt(0)
	v_cmp_ne_u16_e32 vcc_lo, 0, v2
	v_cndmask_b32_e64 v7, 0, 1, vcc_lo
	s_branch .LBB30_452
.LBB30_451:
	s_mov_b32 s13, -1
                                        ; implicit-def: $vgpr7
.LBB30_452:
	s_branch .LBB30_258
.LBB30_453:
	v_cmp_gt_i16_e32 vcc_lo, 5, v6
	s_cbranch_vccnz .LBB30_458
; %bb.454:
	v_cmp_gt_i16_e32 vcc_lo, 8, v6
	s_cbranch_vccnz .LBB30_459
; %bb.455:
	;; [unrolled: 3-line block ×3, first 2 shown]
	v_cmp_lt_i16_e32 vcc_lo, 9, v6
	s_cbranch_vccz .LBB30_461
; %bb.457:
	global_load_b64 v[2:3], v[0:1], off
	s_mov_b32 s0, 0
	s_waitcnt vmcnt(0)
	v_cvt_i32_f64_e32 v7, v[2:3]
	s_branch .LBB30_462
.LBB30_458:
	s_mov_b32 s0, -1
                                        ; implicit-def: $vgpr7
	s_branch .LBB30_480
.LBB30_459:
	s_mov_b32 s0, -1
                                        ; implicit-def: $vgpr7
	s_branch .LBB30_468
.LBB30_460:
	s_mov_b32 s0, -1
                                        ; implicit-def: $vgpr7
	s_branch .LBB30_465
.LBB30_461:
	s_mov_b32 s0, -1
                                        ; implicit-def: $vgpr7
.LBB30_462:
	s_delay_alu instid0(SALU_CYCLE_1)
	s_and_not1_b32 vcc_lo, exec_lo, s0
	s_cbranch_vccnz .LBB30_464
; %bb.463:
	global_load_b32 v2, v[0:1], off
	s_waitcnt vmcnt(0)
	v_cvt_i32_f32_e32 v7, v2
.LBB30_464:
	s_mov_b32 s0, 0
.LBB30_465:
	s_delay_alu instid0(SALU_CYCLE_1)
	s_and_not1_b32 vcc_lo, exec_lo, s0
	s_cbranch_vccnz .LBB30_467
; %bb.466:
	global_load_b32 v2, v[0:1], off
	s_waitcnt vmcnt(0)
	v_cvt_f32_f16_e32 v2, v2
	s_delay_alu instid0(VALU_DEP_1)
	v_cvt_i32_f32_e32 v7, v2
.LBB30_467:
	s_mov_b32 s0, 0
.LBB30_468:
	s_delay_alu instid0(SALU_CYCLE_1)
	s_and_not1_b32 vcc_lo, exec_lo, s0
	s_cbranch_vccnz .LBB30_479
; %bb.469:
	v_cmp_gt_i16_e32 vcc_lo, 6, v6
	s_cbranch_vccnz .LBB30_472
; %bb.470:
	v_cmp_lt_i16_e32 vcc_lo, 6, v6
	s_cbranch_vccz .LBB30_473
; %bb.471:
	global_load_b64 v[2:3], v[0:1], off
	s_mov_b32 s0, 0
	s_waitcnt vmcnt(0)
	v_cvt_i32_f64_e32 v7, v[2:3]
	s_branch .LBB30_474
.LBB30_472:
	s_mov_b32 s0, -1
                                        ; implicit-def: $vgpr7
	s_branch .LBB30_477
.LBB30_473:
	s_mov_b32 s0, -1
                                        ; implicit-def: $vgpr7
.LBB30_474:
	s_delay_alu instid0(SALU_CYCLE_1)
	s_and_not1_b32 vcc_lo, exec_lo, s0
	s_cbranch_vccnz .LBB30_476
; %bb.475:
	global_load_b32 v2, v[0:1], off
	s_waitcnt vmcnt(0)
	v_cvt_i32_f32_e32 v7, v2
.LBB30_476:
	s_mov_b32 s0, 0
.LBB30_477:
	s_delay_alu instid0(SALU_CYCLE_1)
	s_and_not1_b32 vcc_lo, exec_lo, s0
	s_cbranch_vccnz .LBB30_479
; %bb.478:
	global_load_u16 v2, v[0:1], off
	s_waitcnt vmcnt(0)
	v_cvt_f32_f16_e32 v2, v2
	s_delay_alu instid0(VALU_DEP_1)
	v_cvt_i32_f32_e32 v7, v2
.LBB30_479:
	s_mov_b32 s0, 0
.LBB30_480:
	s_delay_alu instid0(SALU_CYCLE_1)
	s_and_not1_b32 vcc_lo, exec_lo, s0
	s_cbranch_vccnz .LBB30_500
; %bb.481:
	v_cmp_gt_i16_e32 vcc_lo, 2, v6
	s_cbranch_vccnz .LBB30_485
; %bb.482:
	v_cmp_gt_i16_e32 vcc_lo, 3, v6
	s_cbranch_vccnz .LBB30_486
; %bb.483:
	v_cmp_lt_i16_e32 vcc_lo, 3, v6
	s_cbranch_vccz .LBB30_487
; %bb.484:
	global_load_b32 v7, v[0:1], off
	s_mov_b32 s0, 0
	s_branch .LBB30_488
.LBB30_485:
	s_mov_b32 s0, -1
                                        ; implicit-def: $vgpr7
	s_branch .LBB30_494
.LBB30_486:
	s_mov_b32 s0, -1
                                        ; implicit-def: $vgpr7
	s_branch .LBB30_491
.LBB30_487:
	s_mov_b32 s0, -1
                                        ; implicit-def: $vgpr7
.LBB30_488:
	s_delay_alu instid0(SALU_CYCLE_1)
	s_and_not1_b32 vcc_lo, exec_lo, s0
	s_cbranch_vccnz .LBB30_490
; %bb.489:
	global_load_b32 v7, v[0:1], off
.LBB30_490:
	s_mov_b32 s0, 0
.LBB30_491:
	s_delay_alu instid0(SALU_CYCLE_1)
	s_and_not1_b32 vcc_lo, exec_lo, s0
	s_cbranch_vccnz .LBB30_493
; %bb.492:
	global_load_i16 v7, v[0:1], off
.LBB30_493:
	s_mov_b32 s0, 0
.LBB30_494:
	s_delay_alu instid0(SALU_CYCLE_1)
	s_and_not1_b32 vcc_lo, exec_lo, s0
	s_cbranch_vccnz .LBB30_500
; %bb.495:
	v_cmp_lt_i16_e32 vcc_lo, 0, v6
	s_mov_b32 s0, 0
	s_cbranch_vccz .LBB30_497
; %bb.496:
	global_load_i8 v7, v[0:1], off
	s_branch .LBB30_498
.LBB30_497:
	s_mov_b32 s0, -1
                                        ; implicit-def: $vgpr7
.LBB30_498:
	s_delay_alu instid0(SALU_CYCLE_1)
	s_and_not1_b32 vcc_lo, exec_lo, s0
	s_cbranch_vccnz .LBB30_500
; %bb.499:
	global_load_u8 v7, v[0:1], off
.LBB30_500:
	s_branch .LBB30_259
.LBB30_501:
	s_mov_b32 s16, 0
	s_mov_b32 s0, s9
.LBB30_502:
                                        ; implicit-def: $vgpr5
.LBB30_503:
	s_and_not1_b32 s14, s9, exec_lo
	s_and_b32 s0, s0, exec_lo
	s_and_not1_b32 s17, s11, exec_lo
	s_and_b32 s13, s13, exec_lo
	s_or_b32 s14, s14, s0
	s_or_b32 s13, s17, s13
	s_or_not1_b32 s17, s16, exec_lo
.LBB30_504:
	s_or_b32 exec_lo, exec_lo, s15
	s_mov_b32 s16, 0
	s_mov_b32 s18, 0
	;; [unrolled: 1-line block ×3, first 2 shown]
                                        ; implicit-def: $vgpr0_vgpr1
                                        ; implicit-def: $vgpr7
	s_and_saveexec_b32 s15, s17
	s_cbranch_execz .LBB30_843
; %bb.505:
	s_mov_b32 s0, -1
	s_mov_b32 s17, s13
	s_mov_b32 s18, s14
	s_mov_b32 s16, exec_lo
	v_cmpx_gt_i32_e64 s10, v5
	s_cbranch_execz .LBB30_761
; %bb.506:
	v_mul_lo_u32 v0, v5, s3
	v_cmp_gt_i16_e32 vcc_lo, 11, v6
	s_delay_alu instid0(VALU_DEP_2) | instskip(SKIP_1) | instid1(VALU_DEP_1)
	v_ashrrev_i32_e32 v1, 31, v0
	v_add_co_u32 v0, s0, s6, v0
	v_add_co_ci_u32_e64 v1, s0, s7, v1, s0
	s_cbranch_vccnz .LBB30_513
; %bb.507:
	v_cmp_lt_i16_e32 vcc_lo, 25, v6
	s_cbranch_vccz .LBB30_514
; %bb.508:
	v_cmp_lt_i16_e32 vcc_lo, 28, v6
	s_cbranch_vccz .LBB30_515
	;; [unrolled: 3-line block ×4, first 2 shown]
; %bb.511:
	v_cmp_eq_u16_e32 vcc_lo, 46, v6
	s_mov_b32 s18, 0
	s_cbranch_vccz .LBB30_522
; %bb.512:
	global_load_b32 v2, v[0:1], off
	s_mov_b32 s0, -1
	s_mov_b32 s17, 0
	s_waitcnt vmcnt(0)
	v_lshlrev_b32_e32 v2, 16, v2
	s_delay_alu instid0(VALU_DEP_1)
	v_cvt_i32_f32_e32 v7, v2
	s_branch .LBB30_524
.LBB30_513:
	s_mov_b32 s18, -1
	s_mov_b32 s0, 0
	s_mov_b32 s17, s13
                                        ; implicit-def: $vgpr7
	s_branch .LBB30_585
.LBB30_514:
	s_mov_b32 s18, -1
	s_mov_b32 s0, 0
	s_mov_b32 s17, s13
                                        ; implicit-def: $vgpr7
	s_branch .LBB30_551
.LBB30_515:
	s_mov_b32 s18, -1
	s_mov_b32 s0, 0
	s_mov_b32 s17, s13
                                        ; implicit-def: $vgpr7
	s_branch .LBB30_534
.LBB30_516:
	s_mov_b32 s18, -1
	s_mov_b32 s0, 0
	s_mov_b32 s17, s13
                                        ; implicit-def: $vgpr7
	s_branch .LBB30_529
.LBB30_517:
	s_or_saveexec_b32 s17, s17
                                        ; implicit-def: $sgpr18
	s_delay_alu instid0(SALU_CYCLE_1)
	s_xor_b32 exec_lo, exec_lo, s17
	s_cbranch_execz .LBB30_305
.LBB30_518:
	v_add_f32_e64 v9, 0x46000000, |v1|
	s_and_not1_b32 s16, s16, exec_lo
	s_mov_b32 s18, 0
	s_delay_alu instid0(VALU_DEP_1) | instskip(NEXT) | instid1(VALU_DEP_1)
	v_and_b32_e32 v9, 0xff, v9
	v_cmp_ne_u32_e32 vcc_lo, 0, v9
	s_and_b32 s19, vcc_lo, exec_lo
	s_delay_alu instid0(SALU_CYCLE_1)
	s_or_b32 s16, s16, s19
	s_or_b32 exec_lo, exec_lo, s17
	v_mov_b32_e32 v10, s18
	s_and_saveexec_b32 s17, s16
	s_cbranch_execnz .LBB30_306
	s_branch .LBB30_307
.LBB30_519:
	s_mov_b32 s18, -1
	s_mov_b32 s0, 0
	s_mov_b32 s17, s13
	s_branch .LBB30_523
.LBB30_520:
	s_or_saveexec_b32 s17, s17
                                        ; implicit-def: $sgpr18
	s_delay_alu instid0(SALU_CYCLE_1)
	s_xor_b32 exec_lo, exec_lo, s17
	s_cbranch_execz .LBB30_318
.LBB30_521:
	v_add_f32_e64 v9, 0x42800000, |v1|
	s_and_not1_b32 s16, s16, exec_lo
	s_mov_b32 s18, 0
	s_delay_alu instid0(VALU_DEP_1) | instskip(NEXT) | instid1(VALU_DEP_1)
	v_and_b32_e32 v9, 0xff, v9
	v_cmp_ne_u32_e32 vcc_lo, 0, v9
	s_and_b32 s19, vcc_lo, exec_lo
	s_delay_alu instid0(SALU_CYCLE_1)
	s_or_b32 s16, s16, s19
	s_or_b32 exec_lo, exec_lo, s17
	v_mov_b32_e32 v10, s18
	s_and_saveexec_b32 s17, s16
	s_cbranch_execnz .LBB30_319
	s_branch .LBB30_320
.LBB30_522:
	s_mov_b32 s17, -1
	s_mov_b32 s0, 0
.LBB30_523:
                                        ; implicit-def: $vgpr7
.LBB30_524:
	s_and_b32 vcc_lo, exec_lo, s18
	s_cbranch_vccz .LBB30_528
; %bb.525:
	v_cmp_eq_u16_e32 vcc_lo, 44, v6
	s_cbranch_vccz .LBB30_527
; %bb.526:
	global_load_u8 v2, v[0:1], off
	s_mov_b32 s17, 0
	s_mov_b32 s0, -1
	s_waitcnt vmcnt(0)
	v_lshlrev_b32_e32 v3, 23, v2
	v_cmp_ne_u32_e32 vcc_lo, 0, v2
	s_delay_alu instid0(VALU_DEP_2) | instskip(NEXT) | instid1(VALU_DEP_1)
	v_cvt_i32_f32_e32 v3, v3
	v_cndmask_b32_e32 v7, 0, v3, vcc_lo
	s_branch .LBB30_528
.LBB30_527:
	s_mov_b32 s17, -1
                                        ; implicit-def: $vgpr7
.LBB30_528:
	s_mov_b32 s18, 0
.LBB30_529:
	s_delay_alu instid0(SALU_CYCLE_1)
	s_and_b32 vcc_lo, exec_lo, s18
	s_cbranch_vccz .LBB30_533
; %bb.530:
	v_cmp_eq_u16_e32 vcc_lo, 29, v6
	s_cbranch_vccz .LBB30_532
; %bb.531:
	global_load_b32 v7, v[0:1], off
	s_mov_b32 s0, -1
	s_mov_b32 s17, 0
	s_branch .LBB30_533
.LBB30_532:
	s_mov_b32 s17, -1
                                        ; implicit-def: $vgpr7
.LBB30_533:
	s_mov_b32 s18, 0
.LBB30_534:
	s_delay_alu instid0(SALU_CYCLE_1)
	s_and_b32 vcc_lo, exec_lo, s18
	s_cbranch_vccz .LBB30_550
; %bb.535:
	v_cmp_gt_i16_e32 vcc_lo, 27, v6
	s_cbranch_vccnz .LBB30_538
; %bb.536:
	v_cmp_lt_i16_e32 vcc_lo, 27, v6
	s_cbranch_vccz .LBB30_539
; %bb.537:
	global_load_b32 v7, v[0:1], off
	s_mov_b32 s0, 0
	s_branch .LBB30_540
.LBB30_538:
	s_mov_b32 s0, -1
                                        ; implicit-def: $vgpr7
	s_branch .LBB30_543
.LBB30_539:
	s_mov_b32 s0, -1
                                        ; implicit-def: $vgpr7
.LBB30_540:
	s_delay_alu instid0(SALU_CYCLE_1)
	s_and_not1_b32 vcc_lo, exec_lo, s0
	s_cbranch_vccnz .LBB30_542
; %bb.541:
	global_load_u16 v7, v[0:1], off
.LBB30_542:
	s_mov_b32 s0, 0
.LBB30_543:
	s_delay_alu instid0(SALU_CYCLE_1)
	s_and_not1_b32 vcc_lo, exec_lo, s0
	s_cbranch_vccnz .LBB30_549
; %bb.544:
	global_load_u8 v2, v[0:1], off
	s_mov_b32 s0, 0
	s_mov_b32 s18, exec_lo
                                        ; implicit-def: $sgpr19
	s_waitcnt vmcnt(0)
	v_cmpx_lt_i16_e32 0x7f, v2
	s_xor_b32 s18, exec_lo, s18
	s_cbranch_execz .LBB30_561
; %bb.545:
	v_cmp_ne_u16_e32 vcc_lo, 0x80, v2
	s_mov_b32 s19, 0
	s_and_b32 s0, vcc_lo, exec_lo
	s_or_saveexec_b32 s18, s18
	v_mov_b32_e32 v7, s19
	s_xor_b32 exec_lo, exec_lo, s18
	s_cbranch_execnz .LBB30_562
.LBB30_546:
	s_or_b32 exec_lo, exec_lo, s18
	s_and_saveexec_b32 s18, s0
	s_cbranch_execz .LBB30_548
.LBB30_547:
	v_and_b32_e32 v3, 0xffff, v2
	s_delay_alu instid0(VALU_DEP_1) | instskip(NEXT) | instid1(VALU_DEP_1)
	v_and_b32_e32 v7, 7, v3
	v_clz_i32_u32_e32 v8, v7
	s_delay_alu instid0(VALU_DEP_1) | instskip(NEXT) | instid1(VALU_DEP_1)
	v_min_u32_e32 v8, 32, v8
	v_subrev_nc_u32_e32 v9, 28, v8
	v_sub_nc_u32_e32 v8, 29, v8
	s_delay_alu instid0(VALU_DEP_2) | instskip(SKIP_1) | instid1(VALU_DEP_2)
	v_lshlrev_b32_e32 v9, v9, v3
	v_bfe_u32 v3, v3, 3, 4
	v_and_b32_e32 v9, 7, v9
	s_delay_alu instid0(VALU_DEP_2) | instskip(SKIP_1) | instid1(VALU_DEP_1)
	v_cmp_eq_u32_e32 vcc_lo, 0, v3
	v_dual_cndmask_b32 v3, v3, v8 :: v_dual_lshlrev_b32 v2, 24, v2
	v_dual_cndmask_b32 v7, v7, v9 :: v_dual_and_b32 v2, 0x80000000, v2
	s_delay_alu instid0(VALU_DEP_2) | instskip(NEXT) | instid1(VALU_DEP_2)
	v_lshl_add_u32 v3, v3, 23, 0x3b800000
	v_lshlrev_b32_e32 v7, 20, v7
	s_delay_alu instid0(VALU_DEP_1) | instskip(NEXT) | instid1(VALU_DEP_1)
	v_or3_b32 v2, v2, v3, v7
	v_cvt_i32_f32_e32 v7, v2
.LBB30_548:
	s_or_b32 exec_lo, exec_lo, s18
.LBB30_549:
	s_mov_b32 s0, -1
.LBB30_550:
	s_mov_b32 s18, 0
.LBB30_551:
	s_delay_alu instid0(SALU_CYCLE_1)
	s_and_b32 vcc_lo, exec_lo, s18
	s_cbranch_vccz .LBB30_584
; %bb.552:
	v_cmp_lt_i16_e32 vcc_lo, 22, v6
	s_cbranch_vccz .LBB30_560
; %bb.553:
	v_cmp_gt_i16_e32 vcc_lo, 24, v6
	s_cbranch_vccnz .LBB30_563
; %bb.554:
	v_cmp_lt_i16_e32 vcc_lo, 24, v6
	s_cbranch_vccz .LBB30_564
; %bb.555:
	global_load_u8 v2, v[0:1], off
	s_mov_b32 s0, 0
	s_mov_b32 s18, exec_lo
                                        ; implicit-def: $sgpr19
	s_waitcnt vmcnt(0)
	v_cmpx_lt_i16_e32 0x7f, v2
	s_xor_b32 s18, exec_lo, s18
	s_cbranch_execz .LBB30_576
; %bb.556:
	v_cmp_ne_u16_e32 vcc_lo, 0x80, v2
	s_mov_b32 s19, 0
	s_and_b32 s0, vcc_lo, exec_lo
	s_or_saveexec_b32 s18, s18
	v_mov_b32_e32 v7, s19
	s_xor_b32 exec_lo, exec_lo, s18
	s_cbranch_execnz .LBB30_577
.LBB30_557:
	s_or_b32 exec_lo, exec_lo, s18
	s_and_saveexec_b32 s18, s0
	s_cbranch_execz .LBB30_559
.LBB30_558:
	v_and_b32_e32 v3, 0xffff, v2
	s_delay_alu instid0(VALU_DEP_1) | instskip(NEXT) | instid1(VALU_DEP_1)
	v_and_b32_e32 v7, 3, v3
	v_clz_i32_u32_e32 v8, v7
	s_delay_alu instid0(VALU_DEP_1) | instskip(NEXT) | instid1(VALU_DEP_1)
	v_min_u32_e32 v8, 32, v8
	v_subrev_nc_u32_e32 v9, 29, v8
	v_sub_nc_u32_e32 v8, 30, v8
	s_delay_alu instid0(VALU_DEP_2) | instskip(SKIP_1) | instid1(VALU_DEP_2)
	v_lshlrev_b32_e32 v9, v9, v3
	v_bfe_u32 v3, v3, 2, 5
	v_and_b32_e32 v9, 3, v9
	s_delay_alu instid0(VALU_DEP_2) | instskip(SKIP_1) | instid1(VALU_DEP_1)
	v_cmp_eq_u32_e32 vcc_lo, 0, v3
	v_dual_cndmask_b32 v3, v3, v8 :: v_dual_lshlrev_b32 v2, 24, v2
	v_dual_cndmask_b32 v7, v7, v9 :: v_dual_and_b32 v2, 0x80000000, v2
	s_delay_alu instid0(VALU_DEP_2) | instskip(NEXT) | instid1(VALU_DEP_2)
	v_lshl_add_u32 v3, v3, 23, 0x37800000
	v_lshlrev_b32_e32 v7, 21, v7
	s_delay_alu instid0(VALU_DEP_1) | instskip(NEXT) | instid1(VALU_DEP_1)
	v_or3_b32 v2, v2, v3, v7
	v_cvt_i32_f32_e32 v7, v2
.LBB30_559:
	s_or_b32 exec_lo, exec_lo, s18
	s_mov_b32 s0, 0
	s_branch .LBB30_565
.LBB30_560:
	s_mov_b32 s18, -1
                                        ; implicit-def: $vgpr7
	s_branch .LBB30_571
.LBB30_561:
	s_or_saveexec_b32 s18, s18
	v_mov_b32_e32 v7, s19
	s_xor_b32 exec_lo, exec_lo, s18
	s_cbranch_execz .LBB30_546
.LBB30_562:
	v_cmp_ne_u16_e32 vcc_lo, 0, v2
	v_mov_b32_e32 v7, 0
	s_and_not1_b32 s0, s0, exec_lo
	s_and_b32 s19, vcc_lo, exec_lo
	s_delay_alu instid0(SALU_CYCLE_1)
	s_or_b32 s0, s0, s19
	s_or_b32 exec_lo, exec_lo, s18
	s_and_saveexec_b32 s18, s0
	s_cbranch_execnz .LBB30_547
	s_branch .LBB30_548
.LBB30_563:
	s_mov_b32 s0, -1
                                        ; implicit-def: $vgpr7
	s_branch .LBB30_568
.LBB30_564:
	s_mov_b32 s0, -1
                                        ; implicit-def: $vgpr7
.LBB30_565:
	s_delay_alu instid0(SALU_CYCLE_1)
	s_and_b32 vcc_lo, exec_lo, s0
	s_cbranch_vccz .LBB30_567
; %bb.566:
	global_load_u8 v2, v[0:1], off
	s_waitcnt vmcnt(0)
	v_lshlrev_b32_e32 v2, 24, v2
	s_delay_alu instid0(VALU_DEP_1) | instskip(NEXT) | instid1(VALU_DEP_1)
	v_and_b32_e32 v3, 0x7f000000, v2
	v_clz_i32_u32_e32 v7, v3
	v_add_nc_u32_e32 v9, 0x1000000, v3
	v_cmp_ne_u32_e32 vcc_lo, 0, v3
	s_delay_alu instid0(VALU_DEP_3) | instskip(NEXT) | instid1(VALU_DEP_1)
	v_min_u32_e32 v7, 32, v7
	v_sub_nc_u32_e64 v7, v7, 4 clamp
	s_delay_alu instid0(VALU_DEP_1) | instskip(SKIP_1) | instid1(VALU_DEP_2)
	v_lshlrev_b32_e32 v8, v7, v3
	v_lshlrev_b32_e32 v7, 23, v7
	v_lshrrev_b32_e32 v8, 4, v8
	s_delay_alu instid0(VALU_DEP_1) | instskip(SKIP_1) | instid1(VALU_DEP_2)
	v_sub_nc_u32_e32 v7, v8, v7
	v_ashrrev_i32_e32 v8, 8, v9
	v_add_nc_u32_e32 v7, 0x3c000000, v7
	s_delay_alu instid0(VALU_DEP_1) | instskip(NEXT) | instid1(VALU_DEP_1)
	v_and_or_b32 v7, 0x7f800000, v8, v7
	v_cndmask_b32_e32 v3, 0, v7, vcc_lo
	s_delay_alu instid0(VALU_DEP_1) | instskip(NEXT) | instid1(VALU_DEP_1)
	v_and_or_b32 v2, 0x80000000, v2, v3
	v_cvt_i32_f32_e32 v7, v2
.LBB30_567:
	s_mov_b32 s0, 0
.LBB30_568:
	s_delay_alu instid0(SALU_CYCLE_1)
	s_and_not1_b32 vcc_lo, exec_lo, s0
	s_cbranch_vccnz .LBB30_570
; %bb.569:
	global_load_u8 v2, v[0:1], off
	s_waitcnt vmcnt(0)
	v_lshlrev_b32_e32 v3, 25, v2
	v_lshlrev_b16 v2, 8, v2
	s_delay_alu instid0(VALU_DEP_1) | instskip(SKIP_1) | instid1(VALU_DEP_2)
	v_and_or_b32 v8, 0x7f00, v2, 0.5
	v_bfe_i32 v2, v2, 0, 16
	v_add_f32_e32 v8, -0.5, v8
	v_lshrrev_b32_e32 v7, 4, v3
	v_cmp_gt_u32_e32 vcc_lo, 0x8000000, v3
	s_delay_alu instid0(VALU_DEP_2) | instskip(NEXT) | instid1(VALU_DEP_1)
	v_or_b32_e32 v7, 0x70000000, v7
	v_mul_f32_e32 v7, 0x7800000, v7
	s_delay_alu instid0(VALU_DEP_1) | instskip(NEXT) | instid1(VALU_DEP_1)
	v_cndmask_b32_e32 v3, v7, v8, vcc_lo
	v_and_or_b32 v2, 0x80000000, v2, v3
	s_delay_alu instid0(VALU_DEP_1)
	v_cvt_i32_f32_e32 v7, v2
.LBB30_570:
	s_mov_b32 s18, 0
	s_mov_b32 s0, -1
.LBB30_571:
	s_and_not1_b32 vcc_lo, exec_lo, s18
	s_cbranch_vccnz .LBB30_584
; %bb.572:
	v_cmp_lt_i16_e32 vcc_lo, 14, v6
	s_cbranch_vccz .LBB30_575
; %bb.573:
	v_cmp_eq_u16_e32 vcc_lo, 15, v6
	s_cbranch_vccz .LBB30_578
; %bb.574:
	global_load_u16 v2, v[0:1], off
	s_mov_b32 s0, -1
	s_mov_b32 s17, 0
	s_waitcnt vmcnt(0)
	v_lshlrev_b32_e32 v2, 16, v2
	s_delay_alu instid0(VALU_DEP_1)
	v_cvt_i32_f32_e32 v7, v2
	s_branch .LBB30_579
.LBB30_575:
	s_mov_b32 s18, -1
                                        ; implicit-def: $vgpr7
	s_branch .LBB30_580
.LBB30_576:
	s_or_saveexec_b32 s18, s18
	v_mov_b32_e32 v7, s19
	s_xor_b32 exec_lo, exec_lo, s18
	s_cbranch_execz .LBB30_557
.LBB30_577:
	v_cmp_ne_u16_e32 vcc_lo, 0, v2
	v_mov_b32_e32 v7, 0
	s_and_not1_b32 s0, s0, exec_lo
	s_and_b32 s19, vcc_lo, exec_lo
	s_delay_alu instid0(SALU_CYCLE_1)
	s_or_b32 s0, s0, s19
	s_or_b32 exec_lo, exec_lo, s18
	s_and_saveexec_b32 s18, s0
	s_cbranch_execnz .LBB30_558
	s_branch .LBB30_559
.LBB30_578:
	s_mov_b32 s17, -1
                                        ; implicit-def: $vgpr7
.LBB30_579:
	s_mov_b32 s18, 0
.LBB30_580:
	s_delay_alu instid0(SALU_CYCLE_1)
	s_and_b32 vcc_lo, exec_lo, s18
	s_cbranch_vccz .LBB30_584
; %bb.581:
	v_cmp_eq_u16_e32 vcc_lo, 11, v6
	s_cbranch_vccz .LBB30_583
; %bb.582:
	global_load_u8 v2, v[0:1], off
	s_mov_b32 s17, 0
	s_mov_b32 s0, -1
	s_waitcnt vmcnt(0)
	v_cmp_ne_u16_e32 vcc_lo, 0, v2
	v_cndmask_b32_e64 v7, 0, 1, vcc_lo
	s_branch .LBB30_584
.LBB30_583:
	s_mov_b32 s17, -1
                                        ; implicit-def: $vgpr7
.LBB30_584:
	s_mov_b32 s18, 0
.LBB30_585:
	s_delay_alu instid0(SALU_CYCLE_1)
	s_and_b32 vcc_lo, exec_lo, s18
	s_cbranch_vccz .LBB30_634
; %bb.586:
	v_cmp_gt_i16_e32 vcc_lo, 5, v6
	s_cbranch_vccnz .LBB30_591
; %bb.587:
	v_cmp_gt_i16_e32 vcc_lo, 8, v6
	s_cbranch_vccnz .LBB30_592
	;; [unrolled: 3-line block ×3, first 2 shown]
; %bb.589:
	v_cmp_lt_i16_e32 vcc_lo, 9, v6
	s_cbranch_vccz .LBB30_594
; %bb.590:
	global_load_b64 v[2:3], v[0:1], off
	s_mov_b32 s0, 0
	s_waitcnt vmcnt(0)
	v_cvt_i32_f64_e32 v7, v[2:3]
	s_branch .LBB30_595
.LBB30_591:
	s_mov_b32 s0, -1
                                        ; implicit-def: $vgpr7
	s_branch .LBB30_613
.LBB30_592:
	s_mov_b32 s0, -1
                                        ; implicit-def: $vgpr7
	s_branch .LBB30_601
.LBB30_593:
	s_mov_b32 s0, -1
                                        ; implicit-def: $vgpr7
	s_branch .LBB30_598
.LBB30_594:
	s_mov_b32 s0, -1
                                        ; implicit-def: $vgpr7
.LBB30_595:
	s_delay_alu instid0(SALU_CYCLE_1)
	s_and_not1_b32 vcc_lo, exec_lo, s0
	s_cbranch_vccnz .LBB30_597
; %bb.596:
	global_load_b32 v2, v[0:1], off
	s_waitcnt vmcnt(0)
	v_cvt_i32_f32_e32 v7, v2
.LBB30_597:
	s_mov_b32 s0, 0
.LBB30_598:
	s_delay_alu instid0(SALU_CYCLE_1)
	s_and_not1_b32 vcc_lo, exec_lo, s0
	s_cbranch_vccnz .LBB30_600
; %bb.599:
	global_load_b32 v2, v[0:1], off
	s_waitcnt vmcnt(0)
	v_cvt_f32_f16_e32 v2, v2
	s_delay_alu instid0(VALU_DEP_1)
	v_cvt_i32_f32_e32 v7, v2
.LBB30_600:
	s_mov_b32 s0, 0
.LBB30_601:
	s_delay_alu instid0(SALU_CYCLE_1)
	s_and_not1_b32 vcc_lo, exec_lo, s0
	s_cbranch_vccnz .LBB30_612
; %bb.602:
	v_cmp_gt_i16_e32 vcc_lo, 6, v6
	s_cbranch_vccnz .LBB30_605
; %bb.603:
	v_cmp_lt_i16_e32 vcc_lo, 6, v6
	s_cbranch_vccz .LBB30_606
; %bb.604:
	global_load_b64 v[2:3], v[0:1], off
	s_mov_b32 s0, 0
	s_waitcnt vmcnt(0)
	v_cvt_i32_f64_e32 v7, v[2:3]
	s_branch .LBB30_607
.LBB30_605:
	s_mov_b32 s0, -1
                                        ; implicit-def: $vgpr7
	s_branch .LBB30_610
.LBB30_606:
	s_mov_b32 s0, -1
                                        ; implicit-def: $vgpr7
.LBB30_607:
	s_delay_alu instid0(SALU_CYCLE_1)
	s_and_not1_b32 vcc_lo, exec_lo, s0
	s_cbranch_vccnz .LBB30_609
; %bb.608:
	global_load_b32 v2, v[0:1], off
	s_waitcnt vmcnt(0)
	v_cvt_i32_f32_e32 v7, v2
.LBB30_609:
	s_mov_b32 s0, 0
.LBB30_610:
	s_delay_alu instid0(SALU_CYCLE_1)
	s_and_not1_b32 vcc_lo, exec_lo, s0
	s_cbranch_vccnz .LBB30_612
; %bb.611:
	global_load_u16 v2, v[0:1], off
	s_waitcnt vmcnt(0)
	v_cvt_f32_f16_e32 v2, v2
	s_delay_alu instid0(VALU_DEP_1)
	v_cvt_i32_f32_e32 v7, v2
.LBB30_612:
	s_mov_b32 s0, 0
.LBB30_613:
	s_delay_alu instid0(SALU_CYCLE_1)
	s_and_not1_b32 vcc_lo, exec_lo, s0
	s_cbranch_vccnz .LBB30_633
; %bb.614:
	v_cmp_gt_i16_e32 vcc_lo, 2, v6
	s_cbranch_vccnz .LBB30_618
; %bb.615:
	v_cmp_gt_i16_e32 vcc_lo, 3, v6
	s_cbranch_vccnz .LBB30_619
; %bb.616:
	v_cmp_lt_i16_e32 vcc_lo, 3, v6
	s_cbranch_vccz .LBB30_620
; %bb.617:
	global_load_b32 v7, v[0:1], off
	s_mov_b32 s0, 0
	s_branch .LBB30_621
.LBB30_618:
	s_mov_b32 s0, -1
                                        ; implicit-def: $vgpr7
	s_branch .LBB30_627
.LBB30_619:
	s_mov_b32 s0, -1
                                        ; implicit-def: $vgpr7
	s_branch .LBB30_624
.LBB30_620:
	s_mov_b32 s0, -1
                                        ; implicit-def: $vgpr7
.LBB30_621:
	s_delay_alu instid0(SALU_CYCLE_1)
	s_and_not1_b32 vcc_lo, exec_lo, s0
	s_cbranch_vccnz .LBB30_623
; %bb.622:
	global_load_b32 v7, v[0:1], off
.LBB30_623:
	s_mov_b32 s0, 0
.LBB30_624:
	s_delay_alu instid0(SALU_CYCLE_1)
	s_and_not1_b32 vcc_lo, exec_lo, s0
	s_cbranch_vccnz .LBB30_626
; %bb.625:
	global_load_i16 v7, v[0:1], off
.LBB30_626:
	s_mov_b32 s0, 0
.LBB30_627:
	s_delay_alu instid0(SALU_CYCLE_1)
	s_and_not1_b32 vcc_lo, exec_lo, s0
	s_cbranch_vccnz .LBB30_633
; %bb.628:
	v_cmp_lt_i16_e32 vcc_lo, 0, v6
	s_mov_b32 s0, 0
	s_cbranch_vccz .LBB30_630
; %bb.629:
	global_load_i8 v7, v[0:1], off
	s_branch .LBB30_631
.LBB30_630:
	s_mov_b32 s0, -1
                                        ; implicit-def: $vgpr7
.LBB30_631:
	s_delay_alu instid0(SALU_CYCLE_1)
	s_and_not1_b32 vcc_lo, exec_lo, s0
	s_cbranch_vccnz .LBB30_633
; %bb.632:
	global_load_u8 v7, v[0:1], off
.LBB30_633:
	s_mov_b32 s0, -1
.LBB30_634:
	s_delay_alu instid0(SALU_CYCLE_1)
	s_and_not1_b32 vcc_lo, exec_lo, s0
	s_cbranch_vccnz .LBB30_642
; %bb.635:
	v_mul_lo_u32 v1, v5, s2
	v_and_b32_e32 v8, 0xff, v4
	s_waitcnt vmcnt(0)
	s_delay_alu instid0(VALU_DEP_3) | instskip(NEXT) | instid1(VALU_DEP_2)
	v_not_b32_e32 v0, v7
	v_cmp_gt_i16_e32 vcc_lo, 11, v8
	s_delay_alu instid0(VALU_DEP_4) | instskip(SKIP_1) | instid1(VALU_DEP_1)
	v_ashrrev_i32_e32 v3, 31, v1
	v_add_co_u32 v2, s0, s4, v1
	v_add_co_ci_u32_e64 v3, s0, s5, v3, s0
	s_cbranch_vccnz .LBB30_643
; %bb.636:
	v_cmp_lt_i16_e32 vcc_lo, 25, v8
	s_cbranch_vccz .LBB30_644
; %bb.637:
	v_cmp_lt_i16_e32 vcc_lo, 28, v8
	s_cbranch_vccz .LBB30_645
	;; [unrolled: 3-line block ×4, first 2 shown]
; %bb.640:
	v_cmp_eq_u16_e32 vcc_lo, 46, v8
	s_mov_b32 s19, 0
	s_mov_b32 s0, -1
	s_mov_b32 s18, 0
	s_cbranch_vccz .LBB30_648
; %bb.641:
	v_cvt_f32_i32_e32 v1, v0
	s_mov_b32 s18, -1
	s_mov_b32 s0, 0
	s_delay_alu instid0(VALU_DEP_1) | instskip(NEXT) | instid1(VALU_DEP_1)
	v_bfe_u32 v9, v1, 16, 1
	v_add3_u32 v1, v1, v9, 0x7fff
	s_delay_alu instid0(VALU_DEP_1)
	v_lshrrev_b32_e32 v1, 16, v1
	global_store_b32 v[2:3], v1, off
	s_branch .LBB30_648
.LBB30_642:
	s_mov_b32 s19, 0
	s_mov_b32 s0, s14
	s_branch .LBB30_759
.LBB30_643:
	s_mov_b32 s19, -1
	s_mov_b32 s18, 0
	s_mov_b32 s0, s14
	s_branch .LBB30_717
.LBB30_644:
	s_mov_b32 s19, -1
	s_mov_b32 s18, 0
	s_mov_b32 s0, s14
	s_branch .LBB30_675
.LBB30_645:
	s_mov_b32 s19, -1
	s_mov_b32 s18, 0
	s_mov_b32 s0, s14
	s_branch .LBB30_658
.LBB30_646:
	s_mov_b32 s19, -1
	s_mov_b32 s18, 0
	s_mov_b32 s0, s14
	s_branch .LBB30_654
.LBB30_647:
	s_mov_b32 s19, -1
	s_mov_b32 s18, 0
	s_mov_b32 s0, s14
.LBB30_648:
	s_and_b32 vcc_lo, exec_lo, s19
	s_cbranch_vccz .LBB30_653
; %bb.649:
	v_cmp_eq_u16_e32 vcc_lo, 44, v8
	s_mov_b32 s0, -1
	s_cbranch_vccz .LBB30_653
; %bb.650:
	v_cvt_f32_i32_e32 v1, v0
	v_mov_b32_e32 v9, 0xff
	s_mov_b32 s18, exec_lo
	s_delay_alu instid0(VALU_DEP_2) | instskip(NEXT) | instid1(VALU_DEP_1)
	v_bfe_u32 v10, v1, 23, 8
	v_cmpx_ne_u32_e32 0xff, v10
; %bb.651:
	v_and_b32_e32 v9, 0x400000, v1
	v_and_or_b32 v10, 0x3fffff, v1, v10
	v_lshrrev_b32_e32 v1, 23, v1
	s_delay_alu instid0(VALU_DEP_3) | instskip(NEXT) | instid1(VALU_DEP_3)
	v_cmp_ne_u32_e32 vcc_lo, 0, v9
	v_cmp_ne_u32_e64 s0, 0, v10
	s_delay_alu instid0(VALU_DEP_1) | instskip(NEXT) | instid1(SALU_CYCLE_1)
	s_and_b32 s0, vcc_lo, s0
	v_cndmask_b32_e64 v9, 0, 1, s0
	s_delay_alu instid0(VALU_DEP_1)
	v_add_nc_u32_e32 v9, v1, v9
; %bb.652:
	s_or_b32 exec_lo, exec_lo, s18
	s_mov_b32 s18, -1
	s_mov_b32 s0, 0
	global_store_b8 v[2:3], v9, off
.LBB30_653:
	s_mov_b32 s19, 0
.LBB30_654:
	s_delay_alu instid0(SALU_CYCLE_1)
	s_and_b32 vcc_lo, exec_lo, s19
	s_cbranch_vccz .LBB30_657
; %bb.655:
	v_cmp_eq_u16_e32 vcc_lo, 29, v8
	s_mov_b32 s0, -1
	s_cbranch_vccz .LBB30_657
; %bb.656:
	v_ashrrev_i32_e32 v1, 31, v0
	s_mov_b32 s18, -1
	s_mov_b32 s0, 0
	s_mov_b32 s19, 0
	global_store_b64 v[2:3], v[0:1], off
	s_branch .LBB30_658
.LBB30_657:
	s_mov_b32 s19, 0
.LBB30_658:
	s_delay_alu instid0(SALU_CYCLE_1)
	s_and_b32 vcc_lo, exec_lo, s19
	s_cbranch_vccz .LBB30_674
; %bb.659:
	v_cmp_gt_i16_e32 vcc_lo, 27, v8
	s_mov_b32 s18, -1
	s_cbranch_vccnz .LBB30_665
; %bb.660:
	v_cmp_lt_i16_e32 vcc_lo, 27, v8
	s_cbranch_vccz .LBB30_662
; %bb.661:
	s_mov_b32 s18, 0
	global_store_b32 v[2:3], v0, off
.LBB30_662:
	s_and_not1_b32 vcc_lo, exec_lo, s18
	s_cbranch_vccnz .LBB30_664
; %bb.663:
	global_store_b16 v[2:3], v0, off
.LBB30_664:
	s_mov_b32 s18, 0
.LBB30_665:
	s_delay_alu instid0(SALU_CYCLE_1)
	s_and_not1_b32 vcc_lo, exec_lo, s18
	s_cbranch_vccnz .LBB30_673
; %bb.666:
	v_cvt_f32_i32_e32 v1, v0
	v_mov_b32_e32 v10, 0x80
	s_mov_b32 s18, exec_lo
	s_delay_alu instid0(VALU_DEP_2) | instskip(NEXT) | instid1(VALU_DEP_1)
	v_and_b32_e32 v9, 0x7fffffff, v1
	v_cmpx_gt_u32_e32 0x43800000, v9
	s_cbranch_execz .LBB30_672
; %bb.667:
	v_cmp_lt_u32_e32 vcc_lo, 0x3bffffff, v9
	s_mov_b32 s19, 0
                                        ; implicit-def: $vgpr9
	s_and_saveexec_b32 s20, vcc_lo
	s_delay_alu instid0(SALU_CYCLE_1)
	s_xor_b32 s20, exec_lo, s20
	s_cbranch_execz .LBB30_774
; %bb.668:
	v_bfe_u32 v9, v1, 20, 1
	s_mov_b32 s19, exec_lo
	s_delay_alu instid0(VALU_DEP_1) | instskip(NEXT) | instid1(VALU_DEP_1)
	v_add3_u32 v9, v1, v9, 0x487ffff
	v_lshrrev_b32_e32 v9, 20, v9
	s_or_saveexec_b32 s20, s20
                                        ; implicit-def: $sgpr21
	s_delay_alu instid0(SALU_CYCLE_1)
	s_xor_b32 exec_lo, exec_lo, s20
	s_cbranch_execnz .LBB30_775
.LBB30_669:
	s_or_b32 exec_lo, exec_lo, s20
	v_mov_b32_e32 v10, s21
	s_and_saveexec_b32 s20, s19
.LBB30_670:
	v_lshrrev_b32_e32 v1, 24, v1
	s_delay_alu instid0(VALU_DEP_1)
	v_and_or_b32 v10, 0x80, v1, v9
.LBB30_671:
	s_or_b32 exec_lo, exec_lo, s20
.LBB30_672:
	s_delay_alu instid0(SALU_CYCLE_1)
	s_or_b32 exec_lo, exec_lo, s18
	global_store_b8 v[2:3], v10, off
.LBB30_673:
	s_mov_b32 s18, -1
.LBB30_674:
	s_mov_b32 s19, 0
.LBB30_675:
	s_delay_alu instid0(SALU_CYCLE_1)
	s_and_b32 vcc_lo, exec_lo, s19
	s_cbranch_vccz .LBB30_716
; %bb.676:
	v_cmp_lt_i16_e32 vcc_lo, 22, v8
	s_mov_b32 s19, -1
	s_cbranch_vccz .LBB30_708
; %bb.677:
	v_cmp_gt_i16_e32 vcc_lo, 24, v8
	s_mov_b32 s18, -1
	s_cbranch_vccnz .LBB30_697
; %bb.678:
	v_cmp_lt_i16_e32 vcc_lo, 24, v8
	s_cbranch_vccz .LBB30_686
; %bb.679:
	v_cvt_f32_i32_e32 v1, v0
	v_mov_b32_e32 v10, 0x80
	s_mov_b32 s18, exec_lo
	s_delay_alu instid0(VALU_DEP_2) | instskip(NEXT) | instid1(VALU_DEP_1)
	v_and_b32_e32 v9, 0x7fffffff, v1
	v_cmpx_gt_u32_e32 0x47800000, v9
	s_cbranch_execz .LBB30_685
; %bb.680:
	v_cmp_lt_u32_e32 vcc_lo, 0x37ffffff, v9
	s_mov_b32 s19, 0
                                        ; implicit-def: $vgpr9
	s_and_saveexec_b32 s20, vcc_lo
	s_delay_alu instid0(SALU_CYCLE_1)
	s_xor_b32 s20, exec_lo, s20
	s_cbranch_execz .LBB30_777
; %bb.681:
	v_bfe_u32 v9, v1, 21, 1
	s_mov_b32 s19, exec_lo
	s_delay_alu instid0(VALU_DEP_1) | instskip(NEXT) | instid1(VALU_DEP_1)
	v_add3_u32 v9, v1, v9, 0x88fffff
	v_lshrrev_b32_e32 v9, 21, v9
	s_or_saveexec_b32 s20, s20
                                        ; implicit-def: $sgpr21
	s_delay_alu instid0(SALU_CYCLE_1)
	s_xor_b32 exec_lo, exec_lo, s20
	s_cbranch_execnz .LBB30_778
.LBB30_682:
	s_or_b32 exec_lo, exec_lo, s20
	v_mov_b32_e32 v10, s21
	s_and_saveexec_b32 s20, s19
.LBB30_683:
	v_lshrrev_b32_e32 v1, 24, v1
	s_delay_alu instid0(VALU_DEP_1)
	v_and_or_b32 v10, 0x80, v1, v9
.LBB30_684:
	s_or_b32 exec_lo, exec_lo, s20
.LBB30_685:
	s_delay_alu instid0(SALU_CYCLE_1)
	s_or_b32 exec_lo, exec_lo, s18
	s_mov_b32 s18, 0
	global_store_b8 v[2:3], v10, off
.LBB30_686:
	s_and_b32 vcc_lo, exec_lo, s18
	s_cbranch_vccz .LBB30_696
; %bb.687:
	v_cvt_f32_i32_e32 v1, v0
	s_mov_b32 s18, exec_lo
                                        ; implicit-def: $vgpr9
	s_delay_alu instid0(VALU_DEP_1) | instskip(NEXT) | instid1(VALU_DEP_1)
	v_and_b32_e32 v10, 0x7fffffff, v1
	v_cmpx_gt_u32_e32 0x43f00000, v10
	s_xor_b32 s18, exec_lo, s18
	s_cbranch_execz .LBB30_693
; %bb.688:
	s_mov_b32 s19, exec_lo
                                        ; implicit-def: $vgpr9
	v_cmpx_lt_u32_e32 0x3c7fffff, v10
	s_xor_b32 s19, exec_lo, s19
; %bb.689:
	v_bfe_u32 v9, v1, 20, 1
	s_delay_alu instid0(VALU_DEP_1) | instskip(NEXT) | instid1(VALU_DEP_1)
	v_add3_u32 v9, v1, v9, 0x407ffff
	v_and_b32_e32 v10, 0xff00000, v9
	v_lshrrev_b32_e32 v9, 20, v9
	s_delay_alu instid0(VALU_DEP_2) | instskip(NEXT) | instid1(VALU_DEP_2)
	v_cmp_ne_u32_e32 vcc_lo, 0x7f00000, v10
	v_cndmask_b32_e32 v9, 0x7e, v9, vcc_lo
; %bb.690:
	s_and_not1_saveexec_b32 s19, s19
; %bb.691:
	v_add_f32_e64 v9, 0x46800000, |v1|
; %bb.692:
	s_or_b32 exec_lo, exec_lo, s19
                                        ; implicit-def: $vgpr10
.LBB30_693:
	s_and_not1_saveexec_b32 s18, s18
; %bb.694:
	v_mov_b32_e32 v9, 0x7f
	v_cmp_lt_u32_e32 vcc_lo, 0x7f800000, v10
	s_delay_alu instid0(VALU_DEP_2)
	v_cndmask_b32_e32 v9, 0x7e, v9, vcc_lo
; %bb.695:
	s_or_b32 exec_lo, exec_lo, s18
	v_lshrrev_b32_e32 v1, 24, v1
	s_delay_alu instid0(VALU_DEP_1)
	v_and_or_b32 v1, 0x80, v1, v9
	global_store_b8 v[2:3], v1, off
.LBB30_696:
	s_mov_b32 s18, 0
.LBB30_697:
	s_delay_alu instid0(SALU_CYCLE_1)
	s_and_not1_b32 vcc_lo, exec_lo, s18
	s_cbranch_vccnz .LBB30_707
; %bb.698:
	v_cvt_f32_i32_e32 v1, v0
	s_mov_b32 s18, exec_lo
                                        ; implicit-def: $vgpr9
	s_delay_alu instid0(VALU_DEP_1) | instskip(NEXT) | instid1(VALU_DEP_1)
	v_and_b32_e32 v10, 0x7fffffff, v1
	v_cmpx_gt_u32_e32 0x47800000, v10
	s_xor_b32 s18, exec_lo, s18
	s_cbranch_execz .LBB30_704
; %bb.699:
	s_mov_b32 s19, exec_lo
                                        ; implicit-def: $vgpr9
	v_cmpx_lt_u32_e32 0x387fffff, v10
	s_xor_b32 s19, exec_lo, s19
; %bb.700:
	v_bfe_u32 v9, v1, 21, 1
	s_delay_alu instid0(VALU_DEP_1) | instskip(NEXT) | instid1(VALU_DEP_1)
	v_add3_u32 v9, v1, v9, 0x80fffff
	v_lshrrev_b32_e32 v9, 21, v9
; %bb.701:
	s_and_not1_saveexec_b32 s19, s19
; %bb.702:
	v_add_f32_e64 v9, 0x43000000, |v1|
; %bb.703:
	s_or_b32 exec_lo, exec_lo, s19
                                        ; implicit-def: $vgpr10
.LBB30_704:
	s_and_not1_saveexec_b32 s18, s18
; %bb.705:
	v_mov_b32_e32 v9, 0x7f
	v_cmp_lt_u32_e32 vcc_lo, 0x7f800000, v10
	s_delay_alu instid0(VALU_DEP_2)
	v_cndmask_b32_e32 v9, 0x7c, v9, vcc_lo
; %bb.706:
	s_or_b32 exec_lo, exec_lo, s18
	v_lshrrev_b32_e32 v1, 24, v1
	s_delay_alu instid0(VALU_DEP_1)
	v_and_or_b32 v1, 0x80, v1, v9
	global_store_b8 v[2:3], v1, off
.LBB30_707:
	s_mov_b32 s19, 0
	s_mov_b32 s18, -1
.LBB30_708:
	s_and_not1_b32 vcc_lo, exec_lo, s19
	s_cbranch_vccnz .LBB30_716
; %bb.709:
	v_cmp_lt_i16_e32 vcc_lo, 14, v8
	s_mov_b32 s19, -1
	s_cbranch_vccz .LBB30_713
; %bb.710:
	v_cmp_eq_u16_e32 vcc_lo, 15, v8
	s_mov_b32 s0, -1
	s_cbranch_vccz .LBB30_712
; %bb.711:
	v_cvt_f32_i32_e32 v1, v0
	s_mov_b32 s18, -1
	s_mov_b32 s0, 0
	s_delay_alu instid0(VALU_DEP_1) | instskip(NEXT) | instid1(VALU_DEP_1)
	v_bfe_u32 v9, v1, 16, 1
	v_add3_u32 v1, v1, v9, 0x7fff
	global_store_d16_hi_b16 v[2:3], v1, off
.LBB30_712:
	s_mov_b32 s19, 0
.LBB30_713:
	s_delay_alu instid0(SALU_CYCLE_1)
	s_and_b32 vcc_lo, exec_lo, s19
	s_cbranch_vccz .LBB30_716
; %bb.714:
	v_cmp_eq_u16_e32 vcc_lo, 11, v8
	s_mov_b32 s0, -1
	s_cbranch_vccz .LBB30_716
; %bb.715:
	v_cmp_ne_u32_e32 vcc_lo, -1, v7
	s_mov_b32 s18, -1
	s_mov_b32 s0, 0
	v_cndmask_b32_e64 v1, 0, 1, vcc_lo
	global_store_b8 v[2:3], v1, off
.LBB30_716:
	s_mov_b32 s19, 0
.LBB30_717:
	s_delay_alu instid0(SALU_CYCLE_1)
	s_and_b32 vcc_lo, exec_lo, s19
	s_cbranch_vccz .LBB30_756
; %bb.718:
	v_cmp_gt_i16_e32 vcc_lo, 5, v8
	s_mov_b32 s18, -1
	s_cbranch_vccnz .LBB30_739
; %bb.719:
	v_cmp_gt_i16_e32 vcc_lo, 8, v8
	s_cbranch_vccnz .LBB30_729
; %bb.720:
	v_cmp_gt_i16_e32 vcc_lo, 9, v8
	s_cbranch_vccnz .LBB30_726
; %bb.721:
	v_cmp_lt_i16_e32 vcc_lo, 9, v8
	s_cbranch_vccz .LBB30_723
; %bb.722:
	v_cvt_f64_i32_e32 v[9:10], v0
	v_mov_b32_e32 v11, 0
	s_mov_b32 s18, 0
	s_delay_alu instid0(VALU_DEP_1)
	v_mov_b32_e32 v12, v11
	global_store_b128 v[2:3], v[9:12], off
.LBB30_723:
	s_and_not1_b32 vcc_lo, exec_lo, s18
	s_cbranch_vccnz .LBB30_725
; %bb.724:
	v_cvt_f32_i32_e32 v9, v0
	v_mov_b32_e32 v10, 0
	global_store_b64 v[2:3], v[9:10], off
.LBB30_725:
	s_mov_b32 s18, 0
.LBB30_726:
	s_delay_alu instid0(SALU_CYCLE_1)
	s_and_not1_b32 vcc_lo, exec_lo, s18
	s_cbranch_vccnz .LBB30_728
; %bb.727:
	v_cvt_f32_i32_e32 v1, v0
	s_delay_alu instid0(VALU_DEP_1) | instskip(NEXT) | instid1(VALU_DEP_1)
	v_cvt_f16_f32_e32 v1, v1
	v_and_b32_e32 v1, 0xffff, v1
	global_store_b32 v[2:3], v1, off
.LBB30_728:
	s_mov_b32 s18, 0
.LBB30_729:
	s_delay_alu instid0(SALU_CYCLE_1)
	s_and_not1_b32 vcc_lo, exec_lo, s18
	s_cbranch_vccnz .LBB30_738
; %bb.730:
	v_cmp_gt_i16_e32 vcc_lo, 6, v8
	s_mov_b32 s18, -1
	s_cbranch_vccnz .LBB30_736
; %bb.731:
	v_cmp_lt_i16_e32 vcc_lo, 6, v8
	s_cbranch_vccz .LBB30_733
; %bb.732:
	v_cvt_f64_i32_e32 v[9:10], v0
	s_mov_b32 s18, 0
	global_store_b64 v[2:3], v[9:10], off
.LBB30_733:
	s_and_not1_b32 vcc_lo, exec_lo, s18
	s_cbranch_vccnz .LBB30_735
; %bb.734:
	v_cvt_f32_i32_e32 v1, v0
	global_store_b32 v[2:3], v1, off
.LBB30_735:
	s_mov_b32 s18, 0
.LBB30_736:
	s_delay_alu instid0(SALU_CYCLE_1)
	s_and_not1_b32 vcc_lo, exec_lo, s18
	s_cbranch_vccnz .LBB30_738
; %bb.737:
	v_cvt_f32_i32_e32 v1, v0
	s_delay_alu instid0(VALU_DEP_1)
	v_cvt_f16_f32_e32 v1, v1
	global_store_b16 v[2:3], v1, off
.LBB30_738:
	s_mov_b32 s18, 0
.LBB30_739:
	s_delay_alu instid0(SALU_CYCLE_1)
	s_and_not1_b32 vcc_lo, exec_lo, s18
	s_cbranch_vccnz .LBB30_755
; %bb.740:
	v_cmp_gt_i16_e32 vcc_lo, 2, v8
	s_mov_b32 s18, -1
	s_cbranch_vccnz .LBB30_750
; %bb.741:
	v_cmp_gt_i16_e32 vcc_lo, 3, v8
	s_cbranch_vccnz .LBB30_747
; %bb.742:
	v_cmp_lt_i16_e32 vcc_lo, 3, v8
	s_cbranch_vccz .LBB30_744
; %bb.743:
	v_ashrrev_i32_e32 v1, 31, v0
	s_mov_b32 s18, 0
	global_store_b64 v[2:3], v[0:1], off
.LBB30_744:
	s_and_not1_b32 vcc_lo, exec_lo, s18
	s_cbranch_vccnz .LBB30_746
; %bb.745:
	global_store_b32 v[2:3], v0, off
.LBB30_746:
	s_mov_b32 s18, 0
.LBB30_747:
	s_delay_alu instid0(SALU_CYCLE_1)
	s_and_not1_b32 vcc_lo, exec_lo, s18
	s_cbranch_vccnz .LBB30_749
; %bb.748:
	global_store_b16 v[2:3], v0, off
.LBB30_749:
	s_mov_b32 s18, 0
.LBB30_750:
	s_delay_alu instid0(SALU_CYCLE_1)
	s_and_not1_b32 vcc_lo, exec_lo, s18
	s_cbranch_vccnz .LBB30_755
; %bb.751:
	v_cmp_lt_i16_e32 vcc_lo, 0, v8
	s_mov_b32 s18, -1
	s_cbranch_vccz .LBB30_753
; %bb.752:
	s_mov_b32 s18, 0
	global_store_b8 v[2:3], v0, off
.LBB30_753:
	s_and_not1_b32 vcc_lo, exec_lo, s18
	s_cbranch_vccnz .LBB30_755
; %bb.754:
	global_store_b8 v[2:3], v0, off
.LBB30_755:
	s_mov_b32 s18, -1
.LBB30_756:
	s_delay_alu instid0(SALU_CYCLE_1)
	s_and_not1_b32 vcc_lo, exec_lo, s18
	s_cbranch_vccnz .LBB30_758
; %bb.757:
	v_add_nc_u32_e32 v5, 0x80, v5
	s_mov_b32 s19, -1
	s_branch .LBB30_760
.LBB30_758:
	s_mov_b32 s19, 0
.LBB30_759:
                                        ; implicit-def: $vgpr5
.LBB30_760:
	s_and_not1_b32 s18, s14, exec_lo
	s_and_b32 s0, s0, exec_lo
	s_and_not1_b32 s20, s13, exec_lo
	s_and_b32 s17, s17, exec_lo
	s_or_b32 s18, s18, s0
	s_or_b32 s17, s20, s17
	s_or_not1_b32 s0, s19, exec_lo
.LBB30_761:
	s_or_b32 exec_lo, exec_lo, s16
	s_mov_b32 s19, 0
	s_mov_b32 s20, 0
	;; [unrolled: 1-line block ×3, first 2 shown]
                                        ; implicit-def: $vgpr0_vgpr1
                                        ; implicit-def: $vgpr7
	s_and_saveexec_b32 s16, s0
	s_cbranch_execz .LBB30_842
; %bb.762:
	v_cmp_gt_i32_e32 vcc_lo, s10, v5
	s_mov_b32 s0, 0
	s_mov_b32 s19, s17
                                        ; implicit-def: $vgpr0_vgpr1
                                        ; implicit-def: $vgpr7
	s_and_saveexec_b32 s10, vcc_lo
	s_cbranch_execz .LBB30_841
; %bb.763:
	v_mul_lo_u32 v0, v5, s3
	v_cmp_gt_i16_e32 vcc_lo, 11, v6
	s_delay_alu instid0(VALU_DEP_2) | instskip(SKIP_1) | instid1(VALU_DEP_1)
	v_ashrrev_i32_e32 v1, 31, v0
	v_add_co_u32 v0, s0, s6, v0
	v_add_co_ci_u32_e64 v1, s0, s7, v1, s0
	s_cbranch_vccnz .LBB30_770
; %bb.764:
	v_cmp_lt_i16_e32 vcc_lo, 25, v6
	s_mov_b32 s19, 0
	s_cbranch_vccz .LBB30_771
; %bb.765:
	v_cmp_lt_i16_e32 vcc_lo, 28, v6
	s_cbranch_vccz .LBB30_772
; %bb.766:
	v_cmp_lt_i16_e32 vcc_lo, 43, v6
	;; [unrolled: 3-line block ×3, first 2 shown]
	s_cbranch_vccz .LBB30_776
; %bb.768:
	v_cmp_eq_u16_e32 vcc_lo, 46, v6
	s_cbranch_vccz .LBB30_779
; %bb.769:
	global_load_b32 v2, v[0:1], off
	s_mov_b32 s0, 0
	s_mov_b32 s20, -1
	s_waitcnt vmcnt(0)
	v_lshlrev_b32_e32 v2, 16, v2
	s_delay_alu instid0(VALU_DEP_1)
	v_cvt_i32_f32_e32 v7, v2
	s_branch .LBB30_781
.LBB30_770:
	s_mov_b32 s22, -1
	s_mov_b32 s19, 0
	s_mov_b32 s0, s17
                                        ; implicit-def: $vgpr7
	s_branch .LBB30_840
.LBB30_771:
	s_mov_b32 s21, -1
	s_mov_b32 s0, s17
                                        ; implicit-def: $vgpr7
	s_branch .LBB30_808
.LBB30_772:
	s_mov_b32 s21, -1
	s_mov_b32 s0, s17
                                        ; implicit-def: $vgpr7
	s_branch .LBB30_791
.LBB30_773:
	s_mov_b32 s21, -1
	s_mov_b32 s0, s17
                                        ; implicit-def: $vgpr7
	s_branch .LBB30_786
.LBB30_774:
	s_or_saveexec_b32 s20, s20
                                        ; implicit-def: $sgpr21
	s_delay_alu instid0(SALU_CYCLE_1)
	s_xor_b32 exec_lo, exec_lo, s20
	s_cbranch_execz .LBB30_669
.LBB30_775:
	v_add_f32_e64 v9, 0x46000000, |v1|
	s_and_not1_b32 s19, s19, exec_lo
	s_mov_b32 s21, 0
	s_delay_alu instid0(VALU_DEP_1) | instskip(NEXT) | instid1(VALU_DEP_1)
	v_and_b32_e32 v9, 0xff, v9
	v_cmp_ne_u32_e32 vcc_lo, 0, v9
	s_and_b32 s22, vcc_lo, exec_lo
	s_delay_alu instid0(SALU_CYCLE_1)
	s_or_b32 s19, s19, s22
	s_or_b32 exec_lo, exec_lo, s20
	v_mov_b32_e32 v10, s21
	s_and_saveexec_b32 s20, s19
	s_cbranch_execnz .LBB30_670
	s_branch .LBB30_671
.LBB30_776:
	s_mov_b32 s21, -1
	s_mov_b32 s0, s17
	s_branch .LBB30_780
.LBB30_777:
	s_or_saveexec_b32 s20, s20
                                        ; implicit-def: $sgpr21
	s_delay_alu instid0(SALU_CYCLE_1)
	s_xor_b32 exec_lo, exec_lo, s20
	s_cbranch_execz .LBB30_682
.LBB30_778:
	v_add_f32_e64 v9, 0x42800000, |v1|
	s_and_not1_b32 s19, s19, exec_lo
	s_mov_b32 s21, 0
	s_delay_alu instid0(VALU_DEP_1) | instskip(NEXT) | instid1(VALU_DEP_1)
	v_and_b32_e32 v9, 0xff, v9
	v_cmp_ne_u32_e32 vcc_lo, 0, v9
	s_and_b32 s22, vcc_lo, exec_lo
	s_delay_alu instid0(SALU_CYCLE_1)
	s_or_b32 s19, s19, s22
	s_or_b32 exec_lo, exec_lo, s20
	v_mov_b32_e32 v10, s21
	s_and_saveexec_b32 s20, s19
	s_cbranch_execnz .LBB30_683
	s_branch .LBB30_684
.LBB30_779:
	s_mov_b32 s0, -1
.LBB30_780:
                                        ; implicit-def: $vgpr7
.LBB30_781:
	s_and_b32 vcc_lo, exec_lo, s21
	s_cbranch_vccz .LBB30_785
; %bb.782:
	v_cmp_eq_u16_e32 vcc_lo, 44, v6
	s_cbranch_vccz .LBB30_784
; %bb.783:
	global_load_u8 v2, v[0:1], off
	s_mov_b32 s0, 0
	s_mov_b32 s20, -1
	s_waitcnt vmcnt(0)
	v_lshlrev_b32_e32 v3, 23, v2
	v_cmp_ne_u32_e32 vcc_lo, 0, v2
	s_delay_alu instid0(VALU_DEP_2) | instskip(NEXT) | instid1(VALU_DEP_1)
	v_cvt_i32_f32_e32 v3, v3
	v_cndmask_b32_e32 v7, 0, v3, vcc_lo
	s_branch .LBB30_785
.LBB30_784:
	s_mov_b32 s0, -1
                                        ; implicit-def: $vgpr7
.LBB30_785:
	s_mov_b32 s21, 0
.LBB30_786:
	s_delay_alu instid0(SALU_CYCLE_1)
	s_and_b32 vcc_lo, exec_lo, s21
	s_cbranch_vccz .LBB30_790
; %bb.787:
	v_cmp_eq_u16_e32 vcc_lo, 29, v6
	s_cbranch_vccz .LBB30_789
; %bb.788:
	global_load_b32 v7, v[0:1], off
	s_mov_b32 s0, 0
	s_mov_b32 s20, -1
	s_branch .LBB30_790
.LBB30_789:
	s_mov_b32 s0, -1
                                        ; implicit-def: $vgpr7
.LBB30_790:
	s_mov_b32 s21, 0
.LBB30_791:
	s_delay_alu instid0(SALU_CYCLE_1)
	s_and_b32 vcc_lo, exec_lo, s21
	s_cbranch_vccz .LBB30_807
; %bb.792:
	v_cmp_gt_i16_e32 vcc_lo, 27, v6
	s_cbranch_vccnz .LBB30_795
; %bb.793:
	v_cmp_lt_i16_e32 vcc_lo, 27, v6
	s_cbranch_vccz .LBB30_796
; %bb.794:
	global_load_b32 v7, v[0:1], off
	s_mov_b32 s20, 0
	s_branch .LBB30_797
.LBB30_795:
	s_mov_b32 s20, -1
                                        ; implicit-def: $vgpr7
	s_branch .LBB30_800
.LBB30_796:
	s_mov_b32 s20, -1
                                        ; implicit-def: $vgpr7
.LBB30_797:
	s_delay_alu instid0(SALU_CYCLE_1)
	s_and_not1_b32 vcc_lo, exec_lo, s20
	s_cbranch_vccnz .LBB30_799
; %bb.798:
	global_load_u16 v7, v[0:1], off
.LBB30_799:
	s_mov_b32 s20, 0
.LBB30_800:
	s_delay_alu instid0(SALU_CYCLE_1)
	s_and_not1_b32 vcc_lo, exec_lo, s20
	s_cbranch_vccnz .LBB30_806
; %bb.801:
	global_load_u8 v2, v[0:1], off
	s_mov_b32 s20, 0
	s_mov_b32 s21, exec_lo
                                        ; implicit-def: $sgpr22
	s_waitcnt vmcnt(0)
	v_cmpx_lt_i16_e32 0x7f, v2
	s_xor_b32 s21, exec_lo, s21
	s_cbranch_execz .LBB30_818
; %bb.802:
	v_cmp_ne_u16_e32 vcc_lo, 0x80, v2
	s_mov_b32 s22, 0
	s_and_b32 s20, vcc_lo, exec_lo
	s_or_saveexec_b32 s21, s21
	v_mov_b32_e32 v7, s22
	s_xor_b32 exec_lo, exec_lo, s21
	s_cbranch_execnz .LBB30_819
.LBB30_803:
	s_or_b32 exec_lo, exec_lo, s21
	s_and_saveexec_b32 s21, s20
	s_cbranch_execz .LBB30_805
.LBB30_804:
	v_and_b32_e32 v3, 0xffff, v2
	s_delay_alu instid0(VALU_DEP_1) | instskip(NEXT) | instid1(VALU_DEP_1)
	v_and_b32_e32 v7, 7, v3
	v_clz_i32_u32_e32 v8, v7
	s_delay_alu instid0(VALU_DEP_1) | instskip(NEXT) | instid1(VALU_DEP_1)
	v_min_u32_e32 v8, 32, v8
	v_subrev_nc_u32_e32 v9, 28, v8
	v_sub_nc_u32_e32 v8, 29, v8
	s_delay_alu instid0(VALU_DEP_2) | instskip(SKIP_1) | instid1(VALU_DEP_2)
	v_lshlrev_b32_e32 v9, v9, v3
	v_bfe_u32 v3, v3, 3, 4
	v_and_b32_e32 v9, 7, v9
	s_delay_alu instid0(VALU_DEP_2) | instskip(SKIP_1) | instid1(VALU_DEP_1)
	v_cmp_eq_u32_e32 vcc_lo, 0, v3
	v_dual_cndmask_b32 v3, v3, v8 :: v_dual_lshlrev_b32 v2, 24, v2
	v_dual_cndmask_b32 v7, v7, v9 :: v_dual_and_b32 v2, 0x80000000, v2
	s_delay_alu instid0(VALU_DEP_2) | instskip(NEXT) | instid1(VALU_DEP_2)
	v_lshl_add_u32 v3, v3, 23, 0x3b800000
	v_lshlrev_b32_e32 v7, 20, v7
	s_delay_alu instid0(VALU_DEP_1) | instskip(NEXT) | instid1(VALU_DEP_1)
	v_or3_b32 v2, v2, v3, v7
	v_cvt_i32_f32_e32 v7, v2
.LBB30_805:
	s_or_b32 exec_lo, exec_lo, s21
.LBB30_806:
	s_mov_b32 s20, -1
.LBB30_807:
	s_mov_b32 s21, 0
.LBB30_808:
	s_delay_alu instid0(SALU_CYCLE_1)
	s_and_b32 vcc_lo, exec_lo, s21
	s_cbranch_vccz .LBB30_839
; %bb.809:
	v_cmp_lt_i16_e32 vcc_lo, 22, v6
	s_cbranch_vccz .LBB30_817
; %bb.810:
	v_cmp_gt_i16_e32 vcc_lo, 24, v6
	s_cbranch_vccnz .LBB30_820
; %bb.811:
	v_cmp_lt_i16_e32 vcc_lo, 24, v6
	s_cbranch_vccz .LBB30_821
; %bb.812:
	global_load_u8 v2, v[0:1], off
	s_mov_b32 s20, exec_lo
                                        ; implicit-def: $sgpr21
	s_waitcnt vmcnt(0)
	v_cmpx_lt_i16_e32 0x7f, v2
	s_xor_b32 s20, exec_lo, s20
	s_cbranch_execz .LBB30_833
; %bb.813:
	v_cmp_ne_u16_e32 vcc_lo, 0x80, v2
	s_mov_b32 s21, 0
	s_and_b32 s19, vcc_lo, exec_lo
	s_or_saveexec_b32 s20, s20
	v_mov_b32_e32 v7, s21
	s_xor_b32 exec_lo, exec_lo, s20
	s_cbranch_execnz .LBB30_834
.LBB30_814:
	s_or_b32 exec_lo, exec_lo, s20
	s_and_saveexec_b32 s20, s19
	s_cbranch_execz .LBB30_816
.LBB30_815:
	v_and_b32_e32 v3, 0xffff, v2
	s_delay_alu instid0(VALU_DEP_1) | instskip(NEXT) | instid1(VALU_DEP_1)
	v_and_b32_e32 v7, 3, v3
	v_clz_i32_u32_e32 v8, v7
	s_delay_alu instid0(VALU_DEP_1) | instskip(NEXT) | instid1(VALU_DEP_1)
	v_min_u32_e32 v8, 32, v8
	v_subrev_nc_u32_e32 v9, 29, v8
	v_sub_nc_u32_e32 v8, 30, v8
	s_delay_alu instid0(VALU_DEP_2) | instskip(SKIP_1) | instid1(VALU_DEP_2)
	v_lshlrev_b32_e32 v9, v9, v3
	v_bfe_u32 v3, v3, 2, 5
	v_and_b32_e32 v9, 3, v9
	s_delay_alu instid0(VALU_DEP_2) | instskip(SKIP_1) | instid1(VALU_DEP_1)
	v_cmp_eq_u32_e32 vcc_lo, 0, v3
	v_dual_cndmask_b32 v3, v3, v8 :: v_dual_lshlrev_b32 v2, 24, v2
	v_dual_cndmask_b32 v7, v7, v9 :: v_dual_and_b32 v2, 0x80000000, v2
	s_delay_alu instid0(VALU_DEP_2) | instskip(NEXT) | instid1(VALU_DEP_2)
	v_lshl_add_u32 v3, v3, 23, 0x37800000
	v_lshlrev_b32_e32 v7, 21, v7
	s_delay_alu instid0(VALU_DEP_1) | instskip(NEXT) | instid1(VALU_DEP_1)
	v_or3_b32 v2, v2, v3, v7
	v_cvt_i32_f32_e32 v7, v2
.LBB30_816:
	s_or_b32 exec_lo, exec_lo, s20
	s_mov_b32 s19, 0
	s_branch .LBB30_822
.LBB30_817:
	s_mov_b32 s19, -1
                                        ; implicit-def: $vgpr7
	s_branch .LBB30_828
.LBB30_818:
	s_or_saveexec_b32 s21, s21
	v_mov_b32_e32 v7, s22
	s_xor_b32 exec_lo, exec_lo, s21
	s_cbranch_execz .LBB30_803
.LBB30_819:
	v_cmp_ne_u16_e32 vcc_lo, 0, v2
	v_mov_b32_e32 v7, 0
	s_and_not1_b32 s20, s20, exec_lo
	s_and_b32 s22, vcc_lo, exec_lo
	s_delay_alu instid0(SALU_CYCLE_1)
	s_or_b32 s20, s20, s22
	s_or_b32 exec_lo, exec_lo, s21
	s_and_saveexec_b32 s21, s20
	s_cbranch_execnz .LBB30_804
	s_branch .LBB30_805
.LBB30_820:
	s_mov_b32 s19, -1
                                        ; implicit-def: $vgpr7
	s_branch .LBB30_825
.LBB30_821:
	s_mov_b32 s19, -1
                                        ; implicit-def: $vgpr7
.LBB30_822:
	s_delay_alu instid0(SALU_CYCLE_1)
	s_and_b32 vcc_lo, exec_lo, s19
	s_cbranch_vccz .LBB30_824
; %bb.823:
	global_load_u8 v2, v[0:1], off
	s_waitcnt vmcnt(0)
	v_lshlrev_b32_e32 v2, 24, v2
	s_delay_alu instid0(VALU_DEP_1) | instskip(NEXT) | instid1(VALU_DEP_1)
	v_and_b32_e32 v3, 0x7f000000, v2
	v_clz_i32_u32_e32 v7, v3
	v_add_nc_u32_e32 v9, 0x1000000, v3
	v_cmp_ne_u32_e32 vcc_lo, 0, v3
	s_delay_alu instid0(VALU_DEP_3) | instskip(NEXT) | instid1(VALU_DEP_1)
	v_min_u32_e32 v7, 32, v7
	v_sub_nc_u32_e64 v7, v7, 4 clamp
	s_delay_alu instid0(VALU_DEP_1) | instskip(SKIP_1) | instid1(VALU_DEP_2)
	v_lshlrev_b32_e32 v8, v7, v3
	v_lshlrev_b32_e32 v7, 23, v7
	v_lshrrev_b32_e32 v8, 4, v8
	s_delay_alu instid0(VALU_DEP_1) | instskip(SKIP_1) | instid1(VALU_DEP_2)
	v_sub_nc_u32_e32 v7, v8, v7
	v_ashrrev_i32_e32 v8, 8, v9
	v_add_nc_u32_e32 v7, 0x3c000000, v7
	s_delay_alu instid0(VALU_DEP_1) | instskip(NEXT) | instid1(VALU_DEP_1)
	v_and_or_b32 v7, 0x7f800000, v8, v7
	v_cndmask_b32_e32 v3, 0, v7, vcc_lo
	s_delay_alu instid0(VALU_DEP_1) | instskip(NEXT) | instid1(VALU_DEP_1)
	v_and_or_b32 v2, 0x80000000, v2, v3
	v_cvt_i32_f32_e32 v7, v2
.LBB30_824:
	s_mov_b32 s19, 0
.LBB30_825:
	s_delay_alu instid0(SALU_CYCLE_1)
	s_and_not1_b32 vcc_lo, exec_lo, s19
	s_cbranch_vccnz .LBB30_827
; %bb.826:
	global_load_u8 v2, v[0:1], off
	s_waitcnt vmcnt(0)
	v_lshlrev_b32_e32 v3, 25, v2
	v_lshlrev_b16 v2, 8, v2
	s_delay_alu instid0(VALU_DEP_1) | instskip(SKIP_1) | instid1(VALU_DEP_2)
	v_and_or_b32 v8, 0x7f00, v2, 0.5
	v_bfe_i32 v2, v2, 0, 16
	v_add_f32_e32 v8, -0.5, v8
	v_lshrrev_b32_e32 v7, 4, v3
	v_cmp_gt_u32_e32 vcc_lo, 0x8000000, v3
	s_delay_alu instid0(VALU_DEP_2) | instskip(NEXT) | instid1(VALU_DEP_1)
	v_or_b32_e32 v7, 0x70000000, v7
	v_mul_f32_e32 v7, 0x7800000, v7
	s_delay_alu instid0(VALU_DEP_1) | instskip(NEXT) | instid1(VALU_DEP_1)
	v_cndmask_b32_e32 v3, v7, v8, vcc_lo
	v_and_or_b32 v2, 0x80000000, v2, v3
	s_delay_alu instid0(VALU_DEP_1)
	v_cvt_i32_f32_e32 v7, v2
.LBB30_827:
	s_mov_b32 s19, 0
	s_mov_b32 s20, -1
.LBB30_828:
	s_and_not1_b32 vcc_lo, exec_lo, s19
	s_mov_b32 s19, 0
	s_cbranch_vccnz .LBB30_839
; %bb.829:
	v_cmp_lt_i16_e32 vcc_lo, 14, v6
	s_cbranch_vccz .LBB30_832
; %bb.830:
	v_cmp_eq_u16_e32 vcc_lo, 15, v6
	s_cbranch_vccz .LBB30_835
; %bb.831:
	global_load_u16 v2, v[0:1], off
	s_mov_b32 s0, 0
	s_mov_b32 s20, -1
	s_waitcnt vmcnt(0)
	v_lshlrev_b32_e32 v2, 16, v2
	s_delay_alu instid0(VALU_DEP_1)
	v_cvt_i32_f32_e32 v7, v2
	s_branch .LBB30_837
.LBB30_832:
	s_mov_b32 s19, -1
	s_branch .LBB30_836
.LBB30_833:
	s_or_saveexec_b32 s20, s20
	v_mov_b32_e32 v7, s21
	s_xor_b32 exec_lo, exec_lo, s20
	s_cbranch_execz .LBB30_814
.LBB30_834:
	v_cmp_ne_u16_e32 vcc_lo, 0, v2
	v_mov_b32_e32 v7, 0
	s_and_not1_b32 s19, s19, exec_lo
	s_and_b32 s21, vcc_lo, exec_lo
	s_delay_alu instid0(SALU_CYCLE_1)
	s_or_b32 s19, s19, s21
	s_or_b32 exec_lo, exec_lo, s20
	s_and_saveexec_b32 s20, s19
	s_cbranch_execnz .LBB30_815
	s_branch .LBB30_816
.LBB30_835:
	s_mov_b32 s0, -1
.LBB30_836:
                                        ; implicit-def: $vgpr7
.LBB30_837:
	s_and_b32 vcc_lo, exec_lo, s19
	s_mov_b32 s19, 0
	s_cbranch_vccz .LBB30_839
; %bb.838:
	v_cmp_ne_u16_e32 vcc_lo, 11, v6
	s_and_not1_b32 s0, s0, exec_lo
	s_mov_b32 s19, -1
                                        ; implicit-def: $vgpr7
	s_and_b32 s21, vcc_lo, exec_lo
	s_delay_alu instid0(SALU_CYCLE_1)
	s_or_b32 s0, s0, s21
.LBB30_839:
	s_mov_b32 s22, 0
.LBB30_840:
	s_and_b32 s21, s20, exec_lo
	s_and_b32 s20, s22, exec_lo
	s_and_not1_b32 s22, s17, exec_lo
	s_and_b32 s23, s0, exec_lo
	s_and_b32 s0, s19, exec_lo
	s_or_b32 s19, s22, s23
.LBB30_841:
	s_or_b32 exec_lo, exec_lo, s10
	s_delay_alu instid0(SALU_CYCLE_1)
	s_and_not1_b32 s10, s17, exec_lo
	s_and_b32 s17, s19, exec_lo
	s_and_b32 s21, s21, exec_lo
	;; [unrolled: 1-line block ×4, first 2 shown]
	s_or_b32 s17, s10, s17
.LBB30_842:
	s_or_b32 exec_lo, exec_lo, s16
	s_delay_alu instid0(SALU_CYCLE_1)
	s_and_not1_b32 s0, s14, exec_lo
	s_and_b32 s10, s18, exec_lo
	s_and_b32 s18, s20, exec_lo
	s_or_b32 s14, s0, s10
	s_and_not1_b32 s10, s13, exec_lo
	s_and_b32 s13, s17, exec_lo
	s_and_b32 s0, s21, exec_lo
	;; [unrolled: 1-line block ×3, first 2 shown]
	s_or_b32 s13, s10, s13
.LBB30_843:
	s_or_b32 exec_lo, exec_lo, s15
	s_delay_alu instid0(SALU_CYCLE_1)
	s_and_not1_b32 s9, s9, exec_lo
	s_and_b32 s10, s14, exec_lo
	s_and_b32 s0, s0, exec_lo
	s_or_b32 s9, s9, s10
	s_and_not1_b32 s10, s11, exec_lo
	s_and_b32 s11, s13, exec_lo
	s_and_b32 s14, s18, exec_lo
	;; [unrolled: 1-line block ×3, first 2 shown]
	s_or_b32 s11, s10, s11
.LBB30_844:
	s_or_b32 exec_lo, exec_lo, s12
	s_mov_b32 s10, 0
	s_and_saveexec_b32 s12, s11
	s_cbranch_execnz .LBB30_856
; %bb.845:
	s_or_b32 exec_lo, exec_lo, s12
	s_and_saveexec_b32 s11, s13
	s_delay_alu instid0(SALU_CYCLE_1)
	s_xor_b32 s11, exec_lo, s11
	s_cbranch_execz .LBB30_847
.LBB30_846:
	global_load_u8 v2, v[0:1], off
	s_or_b32 s0, s0, exec_lo
	s_waitcnt vmcnt(0)
	v_cmp_ne_u16_e32 vcc_lo, 0, v2
	v_cndmask_b32_e64 v7, 0, 1, vcc_lo
.LBB30_847:
	s_or_b32 exec_lo, exec_lo, s11
	s_and_saveexec_b32 s11, s14
	s_cbranch_execz .LBB30_895
; %bb.848:
	v_cmp_gt_i16_e32 vcc_lo, 5, v6
	s_cbranch_vccnz .LBB30_853
; %bb.849:
	v_cmp_gt_i16_e32 vcc_lo, 8, v6
	s_cbranch_vccnz .LBB30_854
	;; [unrolled: 3-line block ×3, first 2 shown]
; %bb.851:
	v_cmp_lt_i16_e32 vcc_lo, 9, v6
	s_cbranch_vccz .LBB30_858
; %bb.852:
	global_load_b64 v[2:3], v[0:1], off
	s_mov_b32 s12, 0
	s_waitcnt vmcnt(0)
	v_cvt_i32_f64_e32 v7, v[2:3]
	s_branch .LBB30_859
.LBB30_853:
                                        ; implicit-def: $vgpr7
	s_branch .LBB30_876
.LBB30_854:
                                        ; implicit-def: $vgpr7
	s_branch .LBB30_865
.LBB30_855:
	s_mov_b32 s12, -1
                                        ; implicit-def: $vgpr7
	s_branch .LBB30_862
.LBB30_856:
	s_cbranch_execnz .LBB30_904
; %bb.857:
	s_mov_b32 s10, exec_lo
	s_and_not1_b32 s13, s13, exec_lo
                                        ; implicit-def: $vgpr7
	s_or_b32 exec_lo, exec_lo, s12
	s_and_saveexec_b32 s11, s13
	s_delay_alu instid0(SALU_CYCLE_1)
	s_xor_b32 s11, exec_lo, s11
	s_cbranch_execnz .LBB30_846
	s_branch .LBB30_847
.LBB30_858:
	s_mov_b32 s12, -1
                                        ; implicit-def: $vgpr7
.LBB30_859:
	s_delay_alu instid0(SALU_CYCLE_1)
	s_and_not1_b32 vcc_lo, exec_lo, s12
	s_cbranch_vccnz .LBB30_861
; %bb.860:
	global_load_b32 v2, v[0:1], off
	s_waitcnt vmcnt(0)
	v_cvt_i32_f32_e32 v7, v2
.LBB30_861:
	s_mov_b32 s12, 0
.LBB30_862:
	s_delay_alu instid0(SALU_CYCLE_1)
	s_and_not1_b32 vcc_lo, exec_lo, s12
	s_cbranch_vccnz .LBB30_864
; %bb.863:
	global_load_b32 v2, v[0:1], off
	s_waitcnt vmcnt(0)
	v_cvt_f32_f16_e32 v2, v2
	s_delay_alu instid0(VALU_DEP_1)
	v_cvt_i32_f32_e32 v7, v2
.LBB30_864:
	s_cbranch_execnz .LBB30_875
.LBB30_865:
	v_cmp_gt_i16_e32 vcc_lo, 6, v6
	s_cbranch_vccnz .LBB30_868
; %bb.866:
	v_cmp_lt_i16_e32 vcc_lo, 6, v6
	s_cbranch_vccz .LBB30_869
; %bb.867:
	global_load_b64 v[2:3], v[0:1], off
	s_mov_b32 s12, 0
	s_waitcnt vmcnt(0)
	v_cvt_i32_f64_e32 v7, v[2:3]
	s_branch .LBB30_870
.LBB30_868:
	s_mov_b32 s12, -1
                                        ; implicit-def: $vgpr7
	s_branch .LBB30_873
.LBB30_869:
	s_mov_b32 s12, -1
                                        ; implicit-def: $vgpr7
.LBB30_870:
	s_delay_alu instid0(SALU_CYCLE_1)
	s_and_not1_b32 vcc_lo, exec_lo, s12
	s_cbranch_vccnz .LBB30_872
; %bb.871:
	global_load_b32 v2, v[0:1], off
	s_waitcnt vmcnt(0)
	v_cvt_i32_f32_e32 v7, v2
.LBB30_872:
	s_mov_b32 s12, 0
.LBB30_873:
	s_delay_alu instid0(SALU_CYCLE_1)
	s_and_not1_b32 vcc_lo, exec_lo, s12
	s_cbranch_vccnz .LBB30_875
; %bb.874:
	global_load_u16 v2, v[0:1], off
	s_waitcnt vmcnt(0)
	v_cvt_f32_f16_e32 v2, v2
	s_delay_alu instid0(VALU_DEP_1)
	v_cvt_i32_f32_e32 v7, v2
.LBB30_875:
	s_cbranch_execnz .LBB30_894
.LBB30_876:
	v_cmp_gt_i16_e32 vcc_lo, 2, v6
	s_cbranch_vccnz .LBB30_880
; %bb.877:
	v_cmp_gt_i16_e32 vcc_lo, 3, v6
	s_cbranch_vccnz .LBB30_881
; %bb.878:
	v_cmp_lt_i16_e32 vcc_lo, 3, v6
	s_cbranch_vccz .LBB30_882
; %bb.879:
	global_load_b32 v7, v[0:1], off
	s_mov_b32 s12, 0
	s_branch .LBB30_883
.LBB30_880:
                                        ; implicit-def: $vgpr7
	s_branch .LBB30_889
.LBB30_881:
	s_mov_b32 s12, -1
                                        ; implicit-def: $vgpr7
	s_branch .LBB30_886
.LBB30_882:
	s_mov_b32 s12, -1
                                        ; implicit-def: $vgpr7
.LBB30_883:
	s_delay_alu instid0(SALU_CYCLE_1)
	s_and_not1_b32 vcc_lo, exec_lo, s12
	s_cbranch_vccnz .LBB30_885
; %bb.884:
	global_load_b32 v7, v[0:1], off
.LBB30_885:
	s_mov_b32 s12, 0
.LBB30_886:
	s_delay_alu instid0(SALU_CYCLE_1)
	s_and_not1_b32 vcc_lo, exec_lo, s12
	s_cbranch_vccnz .LBB30_888
; %bb.887:
	global_load_i16 v7, v[0:1], off
.LBB30_888:
	s_cbranch_execnz .LBB30_894
.LBB30_889:
	v_cmp_lt_i16_e32 vcc_lo, 0, v6
	s_mov_b32 s12, 0
	s_cbranch_vccz .LBB30_891
; %bb.890:
	global_load_i8 v7, v[0:1], off
	s_branch .LBB30_892
.LBB30_891:
	s_mov_b32 s12, -1
                                        ; implicit-def: $vgpr7
.LBB30_892:
	s_delay_alu instid0(SALU_CYCLE_1)
	s_and_not1_b32 vcc_lo, exec_lo, s12
	s_cbranch_vccnz .LBB30_894
; %bb.893:
	global_load_u8 v7, v[0:1], off
.LBB30_894:
	s_or_b32 s0, s0, exec_lo
.LBB30_895:
	s_or_b32 exec_lo, exec_lo, s11
	s_mov_b32 s13, 0
	s_mov_b32 s12, 0
                                        ; implicit-def: $vgpr6
                                        ; implicit-def: $vgpr2_vgpr3
                                        ; implicit-def: $vgpr0
	s_and_saveexec_b32 s11, s0
	s_cbranch_execz .LBB30_975
; %bb.896:
	v_mul_lo_u32 v1, v5, s2
	v_and_b32_e32 v6, 0xff, v4
	s_waitcnt vmcnt(0)
	s_delay_alu instid0(VALU_DEP_3) | instskip(NEXT) | instid1(VALU_DEP_2)
	v_not_b32_e32 v0, v7
	v_cmp_gt_i16_e32 vcc_lo, 11, v6
	s_delay_alu instid0(VALU_DEP_4) | instskip(SKIP_1) | instid1(VALU_DEP_1)
	v_ashrrev_i32_e32 v3, 31, v1
	v_add_co_u32 v2, s0, s4, v1
	v_add_co_ci_u32_e64 v3, s0, s5, v3, s0
	s_cbranch_vccnz .LBB30_903
; %bb.897:
	v_cmp_lt_i16_e32 vcc_lo, 25, v6
	s_mov_b32 s12, -1
	s_mov_b32 s0, s9
	s_cbranch_vccz .LBB30_933
; %bb.898:
	v_cmp_lt_i16_e32 vcc_lo, 28, v6
	s_mov_b32 s0, s9
	s_cbranch_vccz .LBB30_917
; %bb.899:
	v_cmp_lt_i16_e32 vcc_lo, 43, v6
	;; [unrolled: 4-line block ×3, first 2 shown]
	s_mov_b32 s0, s9
	s_cbranch_vccz .LBB30_907
; %bb.901:
	v_cmp_eq_u16_e32 vcc_lo, 46, v6
	s_mov_b32 s0, -1
	s_cbranch_vccz .LBB30_906
; %bb.902:
	v_cvt_f32_i32_e32 v1, v0
	s_mov_b32 s0, 0
	s_mov_b32 s12, 0
	s_delay_alu instid0(VALU_DEP_1) | instskip(NEXT) | instid1(VALU_DEP_1)
	v_bfe_u32 v4, v1, 16, 1
	v_add3_u32 v1, v1, v4, 0x7fff
	s_delay_alu instid0(VALU_DEP_1)
	v_lshrrev_b32_e32 v1, 16, v1
	global_store_b32 v[2:3], v1, off
	s_branch .LBB30_907
.LBB30_903:
	s_mov_b32 s12, -1
	s_mov_b32 s0, s9
	s_branch .LBB30_974
.LBB30_904:
	s_trap 2
	s_sendmsg_rtn_b32 s0, sendmsg(MSG_RTN_GET_DOORBELL)
	s_mov_b32 ttmp2, m0
	s_waitcnt lgkmcnt(0)
	s_and_b32 s0, s0, 0x3ff
	s_delay_alu instid0(SALU_CYCLE_1) | instskip(NEXT) | instid1(SALU_CYCLE_1)
	s_bitset1_b32 s0, 10
	s_mov_b32 m0, s0
	s_sendmsg sendmsg(MSG_INTERRUPT)
	s_mov_b32 m0, ttmp2
.LBB30_905:                             ; =>This Inner Loop Header: Depth=1
	s_sethalt 5
	s_branch .LBB30_905
.LBB30_906:
	s_mov_b32 s12, 0
.LBB30_907:
	s_delay_alu instid0(SALU_CYCLE_1)
	s_and_b32 vcc_lo, exec_lo, s12
	s_cbranch_vccz .LBB30_912
; %bb.908:
	v_cmp_eq_u16_e32 vcc_lo, 44, v6
	s_mov_b32 s0, -1
	s_cbranch_vccz .LBB30_912
; %bb.909:
	v_cvt_f32_i32_e32 v1, v0
	v_mov_b32_e32 v4, 0xff
	s_mov_b32 s12, exec_lo
	s_delay_alu instid0(VALU_DEP_2) | instskip(NEXT) | instid1(VALU_DEP_1)
	v_bfe_u32 v5, v1, 23, 8
	v_cmpx_ne_u32_e32 0xff, v5
; %bb.910:
	v_and_b32_e32 v4, 0x400000, v1
	v_and_or_b32 v5, 0x3fffff, v1, v5
	v_lshrrev_b32_e32 v1, 23, v1
	s_delay_alu instid0(VALU_DEP_3) | instskip(NEXT) | instid1(VALU_DEP_3)
	v_cmp_ne_u32_e32 vcc_lo, 0, v4
	v_cmp_ne_u32_e64 s0, 0, v5
	s_delay_alu instid0(VALU_DEP_1) | instskip(NEXT) | instid1(SALU_CYCLE_1)
	s_and_b32 s0, vcc_lo, s0
	v_cndmask_b32_e64 v4, 0, 1, s0
	s_delay_alu instid0(VALU_DEP_1)
	v_add_nc_u32_e32 v4, v1, v4
; %bb.911:
	s_or_b32 exec_lo, exec_lo, s12
	s_mov_b32 s0, 0
	global_store_b8 v[2:3], v4, off
.LBB30_912:
	s_mov_b32 s12, 0
.LBB30_913:
	s_delay_alu instid0(SALU_CYCLE_1)
	s_and_b32 vcc_lo, exec_lo, s12
	s_cbranch_vccz .LBB30_916
; %bb.914:
	v_cmp_eq_u16_e32 vcc_lo, 29, v6
	s_mov_b32 s0, -1
	s_cbranch_vccz .LBB30_916
; %bb.915:
	v_ashrrev_i32_e32 v1, 31, v0
	s_mov_b32 s0, 0
	s_mov_b32 s12, 0
	global_store_b64 v[2:3], v[0:1], off
	s_branch .LBB30_917
.LBB30_916:
	s_mov_b32 s12, 0
.LBB30_917:
	s_delay_alu instid0(SALU_CYCLE_1)
	s_and_b32 vcc_lo, exec_lo, s12
	s_cbranch_vccz .LBB30_932
; %bb.918:
	v_cmp_gt_i16_e32 vcc_lo, 27, v6
	s_mov_b32 s12, -1
	s_cbranch_vccnz .LBB30_924
; %bb.919:
	v_cmp_lt_i16_e32 vcc_lo, 27, v6
	s_cbranch_vccz .LBB30_921
; %bb.920:
	s_mov_b32 s12, 0
	global_store_b32 v[2:3], v0, off
.LBB30_921:
	s_and_not1_b32 vcc_lo, exec_lo, s12
	s_cbranch_vccnz .LBB30_923
; %bb.922:
	global_store_b16 v[2:3], v0, off
.LBB30_923:
	s_mov_b32 s12, 0
.LBB30_924:
	s_delay_alu instid0(SALU_CYCLE_1)
	s_and_not1_b32 vcc_lo, exec_lo, s12
	s_cbranch_vccnz .LBB30_932
; %bb.925:
	v_cvt_f32_i32_e32 v1, v0
	v_mov_b32_e32 v5, 0x80
	s_mov_b32 s12, exec_lo
	s_delay_alu instid0(VALU_DEP_2) | instskip(NEXT) | instid1(VALU_DEP_1)
	v_and_b32_e32 v4, 0x7fffffff, v1
	v_cmpx_gt_u32_e32 0x43800000, v4
	s_cbranch_execz .LBB30_931
; %bb.926:
	v_cmp_lt_u32_e32 vcc_lo, 0x3bffffff, v4
                                        ; implicit-def: $vgpr4
	s_and_saveexec_b32 s14, vcc_lo
	s_delay_alu instid0(SALU_CYCLE_1)
	s_xor_b32 s14, exec_lo, s14
	s_cbranch_execz .LBB30_1161
; %bb.927:
	v_bfe_u32 v4, v1, 20, 1
	s_mov_b32 s13, exec_lo
	s_delay_alu instid0(VALU_DEP_1) | instskip(NEXT) | instid1(VALU_DEP_1)
	v_add3_u32 v4, v1, v4, 0x487ffff
	v_lshrrev_b32_e32 v4, 20, v4
	s_or_saveexec_b32 s14, s14
                                        ; implicit-def: $sgpr15
	s_delay_alu instid0(SALU_CYCLE_1)
	s_xor_b32 exec_lo, exec_lo, s14
	s_cbranch_execnz .LBB30_1162
.LBB30_928:
	s_or_b32 exec_lo, exec_lo, s14
	v_mov_b32_e32 v5, s15
	s_and_saveexec_b32 s14, s13
.LBB30_929:
	v_lshrrev_b32_e32 v1, 24, v1
	s_delay_alu instid0(VALU_DEP_1)
	v_and_or_b32 v5, 0x80, v1, v4
.LBB30_930:
	s_or_b32 exec_lo, exec_lo, s14
.LBB30_931:
	s_delay_alu instid0(SALU_CYCLE_1)
	s_or_b32 exec_lo, exec_lo, s12
	global_store_b8 v[2:3], v5, off
.LBB30_932:
	s_mov_b32 s12, 0
.LBB30_933:
	s_delay_alu instid0(SALU_CYCLE_1)
	s_and_b32 vcc_lo, exec_lo, s12
	s_mov_b32 s12, 0
	s_cbranch_vccz .LBB30_973
; %bb.934:
	v_cmp_lt_i16_e32 vcc_lo, 22, v6
	s_mov_b32 s13, -1
	s_cbranch_vccz .LBB30_966
; %bb.935:
	v_cmp_gt_i16_e32 vcc_lo, 24, v6
	s_cbranch_vccnz .LBB30_955
; %bb.936:
	v_cmp_lt_i16_e32 vcc_lo, 24, v6
	s_cbranch_vccz .LBB30_944
; %bb.937:
	v_cvt_f32_i32_e32 v1, v0
	v_mov_b32_e32 v5, 0x80
	s_mov_b32 s13, exec_lo
	s_delay_alu instid0(VALU_DEP_2) | instskip(NEXT) | instid1(VALU_DEP_1)
	v_and_b32_e32 v4, 0x7fffffff, v1
	v_cmpx_gt_u32_e32 0x47800000, v4
	s_cbranch_execz .LBB30_943
; %bb.938:
	v_cmp_lt_u32_e32 vcc_lo, 0x37ffffff, v4
	s_mov_b32 s14, 0
                                        ; implicit-def: $vgpr4
	s_and_saveexec_b32 s15, vcc_lo
	s_delay_alu instid0(SALU_CYCLE_1)
	s_xor_b32 s15, exec_lo, s15
	s_cbranch_execz .LBB30_1205
; %bb.939:
	v_bfe_u32 v4, v1, 21, 1
	s_mov_b32 s14, exec_lo
	s_delay_alu instid0(VALU_DEP_1) | instskip(NEXT) | instid1(VALU_DEP_1)
	v_add3_u32 v4, v1, v4, 0x88fffff
	v_lshrrev_b32_e32 v4, 21, v4
	s_or_saveexec_b32 s15, s15
                                        ; implicit-def: $sgpr16
	s_delay_alu instid0(SALU_CYCLE_1)
	s_xor_b32 exec_lo, exec_lo, s15
	s_cbranch_execnz .LBB30_1206
.LBB30_940:
	s_or_b32 exec_lo, exec_lo, s15
	v_mov_b32_e32 v5, s16
	s_and_saveexec_b32 s15, s14
.LBB30_941:
	v_lshrrev_b32_e32 v1, 24, v1
	s_delay_alu instid0(VALU_DEP_1)
	v_and_or_b32 v5, 0x80, v1, v4
.LBB30_942:
	s_or_b32 exec_lo, exec_lo, s15
.LBB30_943:
	s_delay_alu instid0(SALU_CYCLE_1)
	s_or_b32 exec_lo, exec_lo, s13
	s_mov_b32 s13, 0
	global_store_b8 v[2:3], v5, off
.LBB30_944:
	s_and_b32 vcc_lo, exec_lo, s13
	s_cbranch_vccz .LBB30_954
; %bb.945:
	v_cvt_f32_i32_e32 v1, v0
	s_mov_b32 s13, exec_lo
                                        ; implicit-def: $vgpr4
	s_delay_alu instid0(VALU_DEP_1) | instskip(NEXT) | instid1(VALU_DEP_1)
	v_and_b32_e32 v5, 0x7fffffff, v1
	v_cmpx_gt_u32_e32 0x43f00000, v5
	s_xor_b32 s13, exec_lo, s13
	s_cbranch_execz .LBB30_951
; %bb.946:
	s_mov_b32 s14, exec_lo
                                        ; implicit-def: $vgpr4
	v_cmpx_lt_u32_e32 0x3c7fffff, v5
	s_xor_b32 s14, exec_lo, s14
; %bb.947:
	v_bfe_u32 v4, v1, 20, 1
	s_delay_alu instid0(VALU_DEP_1) | instskip(NEXT) | instid1(VALU_DEP_1)
	v_add3_u32 v4, v1, v4, 0x407ffff
	v_and_b32_e32 v5, 0xff00000, v4
	v_lshrrev_b32_e32 v4, 20, v4
	s_delay_alu instid0(VALU_DEP_2) | instskip(NEXT) | instid1(VALU_DEP_2)
	v_cmp_ne_u32_e32 vcc_lo, 0x7f00000, v5
	v_cndmask_b32_e32 v4, 0x7e, v4, vcc_lo
; %bb.948:
	s_and_not1_saveexec_b32 s14, s14
; %bb.949:
	v_add_f32_e64 v4, 0x46800000, |v1|
; %bb.950:
	s_or_b32 exec_lo, exec_lo, s14
                                        ; implicit-def: $vgpr5
.LBB30_951:
	s_and_not1_saveexec_b32 s13, s13
; %bb.952:
	v_mov_b32_e32 v4, 0x7f
	v_cmp_lt_u32_e32 vcc_lo, 0x7f800000, v5
	s_delay_alu instid0(VALU_DEP_2)
	v_cndmask_b32_e32 v4, 0x7e, v4, vcc_lo
; %bb.953:
	s_or_b32 exec_lo, exec_lo, s13
	v_lshrrev_b32_e32 v1, 24, v1
	s_delay_alu instid0(VALU_DEP_1)
	v_and_or_b32 v1, 0x80, v1, v4
	global_store_b8 v[2:3], v1, off
.LBB30_954:
	s_mov_b32 s13, 0
.LBB30_955:
	s_delay_alu instid0(SALU_CYCLE_1)
	s_and_not1_b32 vcc_lo, exec_lo, s13
	s_cbranch_vccnz .LBB30_965
; %bb.956:
	v_cvt_f32_i32_e32 v1, v0
	s_mov_b32 s13, exec_lo
                                        ; implicit-def: $vgpr4
	s_delay_alu instid0(VALU_DEP_1) | instskip(NEXT) | instid1(VALU_DEP_1)
	v_and_b32_e32 v5, 0x7fffffff, v1
	v_cmpx_gt_u32_e32 0x47800000, v5
	s_xor_b32 s13, exec_lo, s13
	s_cbranch_execz .LBB30_962
; %bb.957:
	s_mov_b32 s14, exec_lo
                                        ; implicit-def: $vgpr4
	v_cmpx_lt_u32_e32 0x387fffff, v5
	s_xor_b32 s14, exec_lo, s14
; %bb.958:
	v_bfe_u32 v4, v1, 21, 1
	s_delay_alu instid0(VALU_DEP_1) | instskip(NEXT) | instid1(VALU_DEP_1)
	v_add3_u32 v4, v1, v4, 0x80fffff
	v_lshrrev_b32_e32 v4, 21, v4
; %bb.959:
	s_and_not1_saveexec_b32 s14, s14
; %bb.960:
	v_add_f32_e64 v4, 0x43000000, |v1|
; %bb.961:
	s_or_b32 exec_lo, exec_lo, s14
                                        ; implicit-def: $vgpr5
.LBB30_962:
	s_and_not1_saveexec_b32 s13, s13
; %bb.963:
	v_mov_b32_e32 v4, 0x7f
	v_cmp_lt_u32_e32 vcc_lo, 0x7f800000, v5
	s_delay_alu instid0(VALU_DEP_2)
	v_cndmask_b32_e32 v4, 0x7c, v4, vcc_lo
; %bb.964:
	s_or_b32 exec_lo, exec_lo, s13
	v_lshrrev_b32_e32 v1, 24, v1
	s_delay_alu instid0(VALU_DEP_1)
	v_and_or_b32 v1, 0x80, v1, v4
	global_store_b8 v[2:3], v1, off
.LBB30_965:
	s_mov_b32 s13, 0
.LBB30_966:
	s_delay_alu instid0(SALU_CYCLE_1)
	s_and_not1_b32 vcc_lo, exec_lo, s13
	s_mov_b32 s13, 0
	s_cbranch_vccnz .LBB30_974
; %bb.967:
	v_cmp_lt_i16_e32 vcc_lo, 14, v6
	s_mov_b32 s13, -1
	s_cbranch_vccz .LBB30_971
; %bb.968:
	v_cmp_eq_u16_e32 vcc_lo, 15, v6
	s_mov_b32 s0, -1
	s_cbranch_vccz .LBB30_970
; %bb.969:
	v_cvt_f32_i32_e32 v1, v0
	s_mov_b32 s0, 0
	s_delay_alu instid0(VALU_DEP_1) | instskip(NEXT) | instid1(VALU_DEP_1)
	v_bfe_u32 v4, v1, 16, 1
	v_add3_u32 v1, v1, v4, 0x7fff
	global_store_d16_hi_b16 v[2:3], v1, off
.LBB30_970:
	s_mov_b32 s13, 0
.LBB30_971:
	s_delay_alu instid0(SALU_CYCLE_1)
	s_and_b32 vcc_lo, exec_lo, s13
	s_mov_b32 s13, 0
	s_cbranch_vccz .LBB30_974
; %bb.972:
	v_cmp_ne_u16_e32 vcc_lo, 11, v6
	s_and_not1_b32 s0, s0, exec_lo
	s_mov_b32 s13, -1
	s_and_b32 s14, vcc_lo, exec_lo
	s_delay_alu instid0(SALU_CYCLE_1)
	s_or_b32 s0, s0, s14
	s_branch .LBB30_974
.LBB30_973:
	s_mov_b32 s13, 0
.LBB30_974:
	s_and_not1_b32 s9, s9, exec_lo
	s_and_b32 s0, s0, exec_lo
	s_and_b32 s12, s12, exec_lo
	;; [unrolled: 1-line block ×3, first 2 shown]
	s_or_b32 s9, s9, s0
.LBB30_975:
	s_or_b32 exec_lo, exec_lo, s11
	s_and_saveexec_b32 s0, s9
	s_cbranch_execnz .LBB30_1037
; %bb.976:
	s_or_b32 exec_lo, exec_lo, s0
	s_and_saveexec_b32 s0, s13
	s_delay_alu instid0(SALU_CYCLE_1)
	s_xor_b32 s0, exec_lo, s0
	s_cbranch_execz .LBB30_978
.LBB30_977:
	s_waitcnt vmcnt(0)
	s_delay_alu instid0(VALU_DEP_1)
	v_cmp_ne_u32_e32 vcc_lo, -1, v7
	v_cndmask_b32_e64 v1, 0, 1, vcc_lo
	global_store_b8 v[2:3], v1, off
.LBB30_978:
	s_or_b32 exec_lo, exec_lo, s0
	s_and_saveexec_b32 s0, s12
	s_delay_alu instid0(SALU_CYCLE_1)
	s_xor_b32 s0, exec_lo, s0
	s_cbranch_execz .LBB30_1016
; %bb.979:
	v_cmp_gt_i16_e32 vcc_lo, 5, v6
	s_mov_b32 s9, -1
	s_cbranch_vccnz .LBB30_1000
; %bb.980:
	v_cmp_gt_i16_e32 vcc_lo, 8, v6
	s_cbranch_vccnz .LBB30_990
; %bb.981:
	v_cmp_gt_i16_e32 vcc_lo, 9, v6
	s_cbranch_vccnz .LBB30_987
; %bb.982:
	v_cmp_lt_i16_e32 vcc_lo, 9, v6
	s_cbranch_vccz .LBB30_984
; %bb.983:
	s_waitcnt vmcnt(0)
	v_cvt_f64_i32_e32 v[7:8], v0
	v_mov_b32_e32 v9, 0
	s_mov_b32 s9, 0
	s_delay_alu instid0(VALU_DEP_1)
	v_mov_b32_e32 v10, v9
	global_store_b128 v[2:3], v[7:10], off
.LBB30_984:
	s_and_not1_b32 vcc_lo, exec_lo, s9
	s_cbranch_vccnz .LBB30_986
; %bb.985:
	v_cvt_f32_i32_e32 v4, v0
	v_mov_b32_e32 v5, 0
	global_store_b64 v[2:3], v[4:5], off
.LBB30_986:
	s_mov_b32 s9, 0
.LBB30_987:
	s_delay_alu instid0(SALU_CYCLE_1)
	s_and_not1_b32 vcc_lo, exec_lo, s9
	s_cbranch_vccnz .LBB30_989
; %bb.988:
	v_cvt_f32_i32_e32 v1, v0
	s_delay_alu instid0(VALU_DEP_1) | instskip(NEXT) | instid1(VALU_DEP_1)
	v_cvt_f16_f32_e32 v1, v1
	v_and_b32_e32 v1, 0xffff, v1
	global_store_b32 v[2:3], v1, off
.LBB30_989:
	s_mov_b32 s9, 0
.LBB30_990:
	s_delay_alu instid0(SALU_CYCLE_1)
	s_and_not1_b32 vcc_lo, exec_lo, s9
	s_cbranch_vccnz .LBB30_999
; %bb.991:
	v_cmp_gt_i16_e32 vcc_lo, 6, v6
	s_mov_b32 s9, -1
	s_cbranch_vccnz .LBB30_997
; %bb.992:
	v_cmp_lt_i16_e32 vcc_lo, 6, v6
	s_cbranch_vccz .LBB30_994
; %bb.993:
	v_cvt_f64_i32_e32 v[4:5], v0
	s_mov_b32 s9, 0
	global_store_b64 v[2:3], v[4:5], off
.LBB30_994:
	s_and_not1_b32 vcc_lo, exec_lo, s9
	s_cbranch_vccnz .LBB30_996
; %bb.995:
	v_cvt_f32_i32_e32 v1, v0
	global_store_b32 v[2:3], v1, off
.LBB30_996:
	s_mov_b32 s9, 0
.LBB30_997:
	s_delay_alu instid0(SALU_CYCLE_1)
	s_and_not1_b32 vcc_lo, exec_lo, s9
	s_cbranch_vccnz .LBB30_999
; %bb.998:
	v_cvt_f32_i32_e32 v1, v0
	s_delay_alu instid0(VALU_DEP_1)
	v_cvt_f16_f32_e32 v1, v1
	global_store_b16 v[2:3], v1, off
.LBB30_999:
	s_mov_b32 s9, 0
.LBB30_1000:
	s_delay_alu instid0(SALU_CYCLE_1)
	s_and_not1_b32 vcc_lo, exec_lo, s9
	s_cbranch_vccnz .LBB30_1016
; %bb.1001:
	v_cmp_gt_i16_e32 vcc_lo, 2, v6
	s_mov_b32 s9, -1
	s_cbranch_vccnz .LBB30_1011
; %bb.1002:
	v_cmp_gt_i16_e32 vcc_lo, 3, v6
	s_cbranch_vccnz .LBB30_1008
; %bb.1003:
	v_cmp_lt_i16_e32 vcc_lo, 3, v6
	s_cbranch_vccz .LBB30_1005
; %bb.1004:
	v_ashrrev_i32_e32 v1, 31, v0
	s_mov_b32 s9, 0
	global_store_b64 v[2:3], v[0:1], off
.LBB30_1005:
	s_and_not1_b32 vcc_lo, exec_lo, s9
	s_cbranch_vccnz .LBB30_1007
; %bb.1006:
	global_store_b32 v[2:3], v0, off
.LBB30_1007:
	s_mov_b32 s9, 0
.LBB30_1008:
	s_delay_alu instid0(SALU_CYCLE_1)
	s_and_not1_b32 vcc_lo, exec_lo, s9
	s_cbranch_vccnz .LBB30_1010
; %bb.1009:
	global_store_b16 v[2:3], v0, off
.LBB30_1010:
	s_mov_b32 s9, 0
.LBB30_1011:
	s_delay_alu instid0(SALU_CYCLE_1)
	s_and_not1_b32 vcc_lo, exec_lo, s9
	s_cbranch_vccnz .LBB30_1016
; %bb.1012:
	v_cmp_lt_i16_e32 vcc_lo, 0, v6
	s_mov_b32 s9, -1
	s_cbranch_vccz .LBB30_1014
; %bb.1013:
	s_mov_b32 s9, 0
	global_store_b8 v[2:3], v0, off
.LBB30_1014:
	s_and_not1_b32 vcc_lo, exec_lo, s9
	s_cbranch_vccnz .LBB30_1016
; %bb.1015:
	global_store_b8 v[2:3], v0, off
.LBB30_1016:
	s_or_b32 exec_lo, exec_lo, s0
	s_delay_alu instid0(SALU_CYCLE_1)
	s_and_b32 s9, s10, exec_lo
                                        ; implicit-def: $vgpr5
                                        ; implicit-def: $vgpr6
                                        ; implicit-def: $vgpr4
.LBB30_1017:
	s_or_saveexec_b32 s8, s8
	s_mov_b32 s0, 0
                                        ; implicit-def: $vgpr11
                                        ; implicit-def: $vgpr0_vgpr1
                                        ; implicit-def: $vgpr2
                                        ; implicit-def: $vgpr7
	s_xor_b32 exec_lo, exec_lo, s8
	s_cbranch_execz .LBB30_1335
; %bb.1018:
	v_mul_lo_u32 v2, s3, v5
	v_cmp_gt_i16_e32 vcc_lo, 11, v6
	s_delay_alu instid0(VALU_DEP_2) | instskip(SKIP_1) | instid1(VALU_DEP_1)
	v_ashrrev_i32_e32 v1, 31, v2
	v_add_co_u32 v0, s0, s6, v2
	v_add_co_ci_u32_e64 v1, s0, s7, v1, s0
	s_cbranch_vccnz .LBB30_1025
; %bb.1019:
	v_cmp_lt_i16_e32 vcc_lo, 25, v6
	s_mov_b32 s10, 0
	s_cbranch_vccz .LBB30_1031
; %bb.1020:
	v_cmp_lt_i16_e32 vcc_lo, 28, v6
	s_cbranch_vccz .LBB30_1033
; %bb.1021:
	v_cmp_lt_i16_e32 vcc_lo, 43, v6
	;; [unrolled: 3-line block ×3, first 2 shown]
	s_cbranch_vccz .LBB30_1039
; %bb.1023:
	v_cmp_eq_u16_e32 vcc_lo, 46, v6
	s_cbranch_vccz .LBB30_1079
; %bb.1024:
	global_load_b32 v3, v[0:1], off
	s_mov_b32 s0, 0
	s_mov_b32 s11, -1
	s_waitcnt vmcnt(0)
	v_lshlrev_b32_e32 v3, 16, v3
	s_delay_alu instid0(VALU_DEP_1)
	v_cvt_i32_f32_e32 v10, v3
	s_branch .LBB30_1081
.LBB30_1025:
	s_mov_b32 s11, 0
	s_mov_b32 s1, s9
                                        ; implicit-def: $vgpr10
	s_cbranch_execz .LBB30_1139
; %bb.1026:
	v_cmp_gt_i16_e32 vcc_lo, 5, v6
	s_cbranch_vccnz .LBB30_1032
; %bb.1027:
	v_cmp_gt_i16_e32 vcc_lo, 8, v6
	s_cbranch_vccnz .LBB30_1034
	;; [unrolled: 3-line block ×3, first 2 shown]
; %bb.1029:
	v_cmp_lt_i16_e32 vcc_lo, 9, v6
	s_cbranch_vccz .LBB30_1040
; %bb.1030:
	global_load_b64 v[7:8], v[0:1], off
	s_mov_b32 s0, 0
	s_waitcnt vmcnt(0)
	v_cvt_i32_f64_e32 v10, v[7:8]
	s_branch .LBB30_1041
.LBB30_1031:
	s_mov_b32 s11, 0
	s_mov_b32 s0, 0
                                        ; implicit-def: $vgpr10
	s_cbranch_execnz .LBB30_1106
	s_branch .LBB30_1135
.LBB30_1032:
                                        ; implicit-def: $vgpr10
	s_branch .LBB30_1058
.LBB30_1033:
	s_mov_b32 s11, 0
	s_mov_b32 s0, 0
                                        ; implicit-def: $vgpr10
	s_cbranch_execz .LBB30_1105
	s_branch .LBB30_1090
.LBB30_1034:
                                        ; implicit-def: $vgpr10
	s_branch .LBB30_1047
.LBB30_1035:
	s_mov_b32 s11, 0
	s_mov_b32 s0, 0
                                        ; implicit-def: $vgpr10
	s_cbranch_execnz .LBB30_1086
	s_branch .LBB30_1089
.LBB30_1036:
	s_mov_b32 s0, -1
                                        ; implicit-def: $vgpr10
	s_branch .LBB30_1044
.LBB30_1037:
	s_cbranch_execnz .LBB30_1077
; %bb.1038:
	s_or_b32 s10, s10, exec_lo
	s_and_not1_b32 s13, s13, exec_lo
	s_or_b32 exec_lo, exec_lo, s0
	s_and_saveexec_b32 s0, s13
	s_delay_alu instid0(SALU_CYCLE_1)
	s_xor_b32 s0, exec_lo, s0
	s_cbranch_execnz .LBB30_977
	s_branch .LBB30_978
.LBB30_1039:
	s_mov_b32 s1, -1
	s_mov_b32 s11, 0
	s_mov_b32 s0, 0
	s_branch .LBB30_1080
.LBB30_1040:
	s_mov_b32 s0, -1
                                        ; implicit-def: $vgpr10
.LBB30_1041:
	s_delay_alu instid0(SALU_CYCLE_1)
	s_and_not1_b32 vcc_lo, exec_lo, s0
	s_cbranch_vccnz .LBB30_1043
; %bb.1042:
	global_load_b32 v3, v[0:1], off
	s_waitcnt vmcnt(0)
	v_cvt_i32_f32_e32 v10, v3
.LBB30_1043:
	s_mov_b32 s0, 0
.LBB30_1044:
	s_delay_alu instid0(SALU_CYCLE_1)
	s_and_not1_b32 vcc_lo, exec_lo, s0
	s_cbranch_vccnz .LBB30_1046
; %bb.1045:
	global_load_b32 v3, v[0:1], off
	s_waitcnt vmcnt(0)
	v_cvt_f32_f16_e32 v3, v3
	s_delay_alu instid0(VALU_DEP_1)
	v_cvt_i32_f32_e32 v10, v3
.LBB30_1046:
	s_cbranch_execnz .LBB30_1057
.LBB30_1047:
	v_cmp_gt_i16_e32 vcc_lo, 6, v6
	s_cbranch_vccnz .LBB30_1050
; %bb.1048:
	v_cmp_lt_i16_e32 vcc_lo, 6, v6
	s_cbranch_vccz .LBB30_1051
; %bb.1049:
	global_load_b64 v[7:8], v[0:1], off
	s_mov_b32 s0, 0
	s_waitcnt vmcnt(0)
	v_cvt_i32_f64_e32 v10, v[7:8]
	s_branch .LBB30_1052
.LBB30_1050:
	s_mov_b32 s0, -1
                                        ; implicit-def: $vgpr10
	s_branch .LBB30_1055
.LBB30_1051:
	s_mov_b32 s0, -1
                                        ; implicit-def: $vgpr10
.LBB30_1052:
	s_delay_alu instid0(SALU_CYCLE_1)
	s_and_not1_b32 vcc_lo, exec_lo, s0
	s_cbranch_vccnz .LBB30_1054
; %bb.1053:
	global_load_b32 v3, v[0:1], off
	s_waitcnt vmcnt(0)
	v_cvt_i32_f32_e32 v10, v3
.LBB30_1054:
	s_mov_b32 s0, 0
.LBB30_1055:
	s_delay_alu instid0(SALU_CYCLE_1)
	s_and_not1_b32 vcc_lo, exec_lo, s0
	s_cbranch_vccnz .LBB30_1057
; %bb.1056:
	global_load_u16 v3, v[0:1], off
	s_waitcnt vmcnt(0)
	v_cvt_f32_f16_e32 v3, v3
	s_delay_alu instid0(VALU_DEP_1)
	v_cvt_i32_f32_e32 v10, v3
.LBB30_1057:
	s_cbranch_execnz .LBB30_1076
.LBB30_1058:
	v_cmp_gt_i16_e32 vcc_lo, 2, v6
	s_cbranch_vccnz .LBB30_1062
; %bb.1059:
	v_cmp_gt_i16_e32 vcc_lo, 3, v6
	s_cbranch_vccnz .LBB30_1063
; %bb.1060:
	v_cmp_lt_i16_e32 vcc_lo, 3, v6
	s_cbranch_vccz .LBB30_1064
; %bb.1061:
	global_load_b32 v10, v[0:1], off
	s_mov_b32 s0, 0
	s_branch .LBB30_1065
.LBB30_1062:
                                        ; implicit-def: $vgpr10
	s_branch .LBB30_1071
.LBB30_1063:
	s_mov_b32 s0, -1
                                        ; implicit-def: $vgpr10
	s_branch .LBB30_1068
.LBB30_1064:
	s_mov_b32 s0, -1
                                        ; implicit-def: $vgpr10
.LBB30_1065:
	s_delay_alu instid0(SALU_CYCLE_1)
	s_and_not1_b32 vcc_lo, exec_lo, s0
	s_cbranch_vccnz .LBB30_1067
; %bb.1066:
	global_load_b32 v10, v[0:1], off
.LBB30_1067:
	s_mov_b32 s0, 0
.LBB30_1068:
	s_delay_alu instid0(SALU_CYCLE_1)
	s_and_not1_b32 vcc_lo, exec_lo, s0
	s_cbranch_vccnz .LBB30_1070
; %bb.1069:
	global_load_i16 v10, v[0:1], off
.LBB30_1070:
	s_cbranch_execnz .LBB30_1076
.LBB30_1071:
	v_cmp_lt_i16_e32 vcc_lo, 0, v6
	s_mov_b32 s0, 0
	s_cbranch_vccz .LBB30_1073
; %bb.1072:
	global_load_i8 v10, v[0:1], off
	s_branch .LBB30_1074
.LBB30_1073:
	s_mov_b32 s0, -1
                                        ; implicit-def: $vgpr10
.LBB30_1074:
	s_delay_alu instid0(SALU_CYCLE_1)
	s_and_not1_b32 vcc_lo, exec_lo, s0
	s_cbranch_vccnz .LBB30_1076
; %bb.1075:
	global_load_u8 v10, v[0:1], off
.LBB30_1076:
	s_branch .LBB30_1140
.LBB30_1077:
	s_trap 2
	s_sendmsg_rtn_b32 s0, sendmsg(MSG_RTN_GET_DOORBELL)
	s_mov_b32 ttmp2, m0
	s_waitcnt lgkmcnt(0)
	s_and_b32 s0, s0, 0x3ff
	s_delay_alu instid0(SALU_CYCLE_1) | instskip(NEXT) | instid1(SALU_CYCLE_1)
	s_bitset1_b32 s0, 10
	s_mov_b32 m0, s0
	s_sendmsg sendmsg(MSG_INTERRUPT)
	s_mov_b32 m0, ttmp2
.LBB30_1078:                            ; =>This Inner Loop Header: Depth=1
	s_sethalt 5
	s_branch .LBB30_1078
.LBB30_1079:
	s_mov_b32 s0, -1
	s_mov_b32 s11, 0
.LBB30_1080:
                                        ; implicit-def: $vgpr10
.LBB30_1081:
	s_and_b32 vcc_lo, exec_lo, s1
	s_cbranch_vccz .LBB30_1084
; %bb.1082:
	v_cmp_eq_u16_e32 vcc_lo, 44, v6
	s_cbranch_vccz .LBB30_1085
; %bb.1083:
	global_load_u8 v3, v[0:1], off
	s_mov_b32 s0, 0
	s_mov_b32 s11, -1
	s_waitcnt vmcnt(0)
	v_lshlrev_b32_e32 v7, 23, v3
	v_cmp_ne_u32_e32 vcc_lo, 0, v3
	s_delay_alu instid0(VALU_DEP_2) | instskip(NEXT) | instid1(VALU_DEP_1)
	v_cvt_i32_f32_e32 v7, v7
	v_cndmask_b32_e32 v10, 0, v7, vcc_lo
.LBB30_1084:
	s_branch .LBB30_1089
.LBB30_1085:
	s_mov_b32 s0, -1
                                        ; implicit-def: $vgpr10
	s_branch .LBB30_1089
.LBB30_1086:
	v_cmp_eq_u16_e32 vcc_lo, 29, v6
	s_cbranch_vccz .LBB30_1088
; %bb.1087:
	global_load_b32 v10, v[0:1], off
	s_mov_b32 s0, 0
	s_mov_b32 s11, -1
	s_branch .LBB30_1089
.LBB30_1088:
	s_mov_b32 s0, -1
                                        ; implicit-def: $vgpr10
.LBB30_1089:
	s_branch .LBB30_1105
.LBB30_1090:
	v_cmp_gt_i16_e32 vcc_lo, 27, v6
	s_cbranch_vccnz .LBB30_1093
; %bb.1091:
	v_cmp_lt_i16_e32 vcc_lo, 27, v6
	s_cbranch_vccz .LBB30_1094
; %bb.1092:
	global_load_b32 v10, v[0:1], off
	s_mov_b32 s1, 0
	s_branch .LBB30_1095
.LBB30_1093:
	s_mov_b32 s1, -1
                                        ; implicit-def: $vgpr10
	s_branch .LBB30_1098
.LBB30_1094:
	s_mov_b32 s1, -1
                                        ; implicit-def: $vgpr10
.LBB30_1095:
	s_delay_alu instid0(SALU_CYCLE_1)
	s_and_not1_b32 vcc_lo, exec_lo, s1
	s_cbranch_vccnz .LBB30_1097
; %bb.1096:
	global_load_u16 v10, v[0:1], off
.LBB30_1097:
	s_mov_b32 s1, 0
.LBB30_1098:
	s_delay_alu instid0(SALU_CYCLE_1)
	s_and_not1_b32 vcc_lo, exec_lo, s1
	s_cbranch_vccnz .LBB30_1104
; %bb.1099:
	global_load_u8 v3, v[0:1], off
	s_mov_b32 s1, 0
	s_mov_b32 s11, exec_lo
                                        ; implicit-def: $sgpr12
	s_waitcnt vmcnt(0)
	v_cmpx_lt_i16_e32 0x7f, v3
	s_xor_b32 s11, exec_lo, s11
	s_cbranch_execz .LBB30_1115
; %bb.1100:
	v_cmp_ne_u16_e32 vcc_lo, 0x80, v3
	s_mov_b32 s12, 0
	s_and_b32 s1, vcc_lo, exec_lo
	s_or_saveexec_b32 s11, s11
	v_mov_b32_e32 v10, s12
	s_xor_b32 exec_lo, exec_lo, s11
	s_cbranch_execnz .LBB30_1116
.LBB30_1101:
	s_or_b32 exec_lo, exec_lo, s11
	s_and_saveexec_b32 s11, s1
	s_cbranch_execz .LBB30_1103
.LBB30_1102:
	v_and_b32_e32 v7, 0xffff, v3
	v_lshlrev_b32_e32 v3, 24, v3
	s_delay_alu instid0(VALU_DEP_2) | instskip(NEXT) | instid1(VALU_DEP_2)
	v_and_b32_e32 v8, 7, v7
	v_and_b32_e32 v3, 0x80000000, v3
	s_delay_alu instid0(VALU_DEP_2) | instskip(NEXT) | instid1(VALU_DEP_1)
	v_clz_i32_u32_e32 v9, v8
	v_min_u32_e32 v9, 32, v9
	s_delay_alu instid0(VALU_DEP_1) | instskip(SKIP_1) | instid1(VALU_DEP_2)
	v_subrev_nc_u32_e32 v10, 28, v9
	v_sub_nc_u32_e32 v9, 29, v9
	v_lshlrev_b32_e32 v10, v10, v7
	v_bfe_u32 v7, v7, 3, 4
	s_delay_alu instid0(VALU_DEP_2) | instskip(NEXT) | instid1(VALU_DEP_2)
	v_and_b32_e32 v10, 7, v10
	v_cmp_eq_u32_e32 vcc_lo, 0, v7
	s_delay_alu instid0(VALU_DEP_2) | instskip(NEXT) | instid1(VALU_DEP_1)
	v_dual_cndmask_b32 v7, v7, v9 :: v_dual_cndmask_b32 v8, v8, v10
	v_lshl_add_u32 v7, v7, 23, 0x3b800000
	s_delay_alu instid0(VALU_DEP_2) | instskip(NEXT) | instid1(VALU_DEP_1)
	v_lshlrev_b32_e32 v8, 20, v8
	v_or3_b32 v3, v3, v7, v8
	s_delay_alu instid0(VALU_DEP_1)
	v_cvt_i32_f32_e32 v10, v3
.LBB30_1103:
	s_or_b32 exec_lo, exec_lo, s11
.LBB30_1104:
	s_mov_b32 s11, -1
.LBB30_1105:
	s_branch .LBB30_1135
.LBB30_1106:
	v_cmp_lt_i16_e32 vcc_lo, 22, v6
	s_cbranch_vccz .LBB30_1114
; %bb.1107:
	v_cmp_gt_i16_e32 vcc_lo, 24, v6
	s_cbranch_vccnz .LBB30_1117
; %bb.1108:
	v_cmp_lt_i16_e32 vcc_lo, 24, v6
	s_cbranch_vccz .LBB30_1118
; %bb.1109:
	global_load_u8 v3, v[0:1], off
	s_mov_b32 s1, 0
	s_mov_b32 s10, exec_lo
                                        ; implicit-def: $sgpr11
	s_waitcnt vmcnt(0)
	v_cmpx_lt_i16_e32 0x7f, v3
	s_xor_b32 s10, exec_lo, s10
	s_cbranch_execz .LBB30_1129
; %bb.1110:
	v_cmp_ne_u16_e32 vcc_lo, 0x80, v3
	s_mov_b32 s11, 0
	s_and_b32 s1, vcc_lo, exec_lo
	s_or_saveexec_b32 s10, s10
	v_mov_b32_e32 v10, s11
	s_xor_b32 exec_lo, exec_lo, s10
	s_cbranch_execnz .LBB30_1130
.LBB30_1111:
	s_or_b32 exec_lo, exec_lo, s10
	s_and_saveexec_b32 s10, s1
	s_cbranch_execz .LBB30_1113
.LBB30_1112:
	v_and_b32_e32 v7, 0xffff, v3
	v_lshlrev_b32_e32 v3, 24, v3
	s_delay_alu instid0(VALU_DEP_2) | instskip(NEXT) | instid1(VALU_DEP_2)
	v_and_b32_e32 v8, 3, v7
	v_and_b32_e32 v3, 0x80000000, v3
	s_delay_alu instid0(VALU_DEP_2) | instskip(NEXT) | instid1(VALU_DEP_1)
	v_clz_i32_u32_e32 v9, v8
	v_min_u32_e32 v9, 32, v9
	s_delay_alu instid0(VALU_DEP_1) | instskip(SKIP_1) | instid1(VALU_DEP_2)
	v_subrev_nc_u32_e32 v10, 29, v9
	v_sub_nc_u32_e32 v9, 30, v9
	v_lshlrev_b32_e32 v10, v10, v7
	v_bfe_u32 v7, v7, 2, 5
	s_delay_alu instid0(VALU_DEP_2) | instskip(NEXT) | instid1(VALU_DEP_2)
	v_and_b32_e32 v10, 3, v10
	v_cmp_eq_u32_e32 vcc_lo, 0, v7
	s_delay_alu instid0(VALU_DEP_2) | instskip(NEXT) | instid1(VALU_DEP_1)
	v_dual_cndmask_b32 v7, v7, v9 :: v_dual_cndmask_b32 v8, v8, v10
	v_lshl_add_u32 v7, v7, 23, 0x37800000
	s_delay_alu instid0(VALU_DEP_2) | instskip(NEXT) | instid1(VALU_DEP_1)
	v_lshlrev_b32_e32 v8, 21, v8
	v_or3_b32 v3, v3, v7, v8
	s_delay_alu instid0(VALU_DEP_1)
	v_cvt_i32_f32_e32 v10, v3
.LBB30_1113:
	s_or_b32 exec_lo, exec_lo, s10
	s_mov_b32 s1, 0
	s_branch .LBB30_1119
.LBB30_1114:
                                        ; implicit-def: $vgpr10
	s_mov_b32 s10, 0
	s_branch .LBB30_1125
.LBB30_1115:
	s_or_saveexec_b32 s11, s11
	v_mov_b32_e32 v10, s12
	s_xor_b32 exec_lo, exec_lo, s11
	s_cbranch_execz .LBB30_1101
.LBB30_1116:
	v_cmp_ne_u16_e32 vcc_lo, 0, v3
	v_mov_b32_e32 v10, 0
	s_and_not1_b32 s1, s1, exec_lo
	s_and_b32 s12, vcc_lo, exec_lo
	s_delay_alu instid0(SALU_CYCLE_1)
	s_or_b32 s1, s1, s12
	s_or_b32 exec_lo, exec_lo, s11
	s_and_saveexec_b32 s11, s1
	s_cbranch_execnz .LBB30_1102
	s_branch .LBB30_1103
.LBB30_1117:
	s_mov_b32 s1, -1
                                        ; implicit-def: $vgpr10
	s_branch .LBB30_1122
.LBB30_1118:
	s_mov_b32 s1, -1
                                        ; implicit-def: $vgpr10
.LBB30_1119:
	s_delay_alu instid0(SALU_CYCLE_1)
	s_and_b32 vcc_lo, exec_lo, s1
	s_cbranch_vccz .LBB30_1121
; %bb.1120:
	global_load_u8 v3, v[0:1], off
	s_waitcnt vmcnt(0)
	v_lshlrev_b32_e32 v3, 24, v3
	s_delay_alu instid0(VALU_DEP_1) | instskip(NEXT) | instid1(VALU_DEP_1)
	v_and_b32_e32 v7, 0x7f000000, v3
	v_clz_i32_u32_e32 v8, v7
	v_cmp_ne_u32_e32 vcc_lo, 0, v7
	v_add_nc_u32_e32 v10, 0x1000000, v7
	s_delay_alu instid0(VALU_DEP_3) | instskip(NEXT) | instid1(VALU_DEP_1)
	v_min_u32_e32 v8, 32, v8
	v_sub_nc_u32_e64 v8, v8, 4 clamp
	s_delay_alu instid0(VALU_DEP_1) | instskip(SKIP_1) | instid1(VALU_DEP_2)
	v_lshlrev_b32_e32 v9, v8, v7
	v_lshlrev_b32_e32 v8, 23, v8
	v_lshrrev_b32_e32 v9, 4, v9
	s_delay_alu instid0(VALU_DEP_1) | instskip(SKIP_1) | instid1(VALU_DEP_2)
	v_sub_nc_u32_e32 v8, v9, v8
	v_ashrrev_i32_e32 v9, 8, v10
	v_add_nc_u32_e32 v8, 0x3c000000, v8
	s_delay_alu instid0(VALU_DEP_1) | instskip(NEXT) | instid1(VALU_DEP_1)
	v_and_or_b32 v8, 0x7f800000, v9, v8
	v_cndmask_b32_e32 v7, 0, v8, vcc_lo
	s_delay_alu instid0(VALU_DEP_1) | instskip(NEXT) | instid1(VALU_DEP_1)
	v_and_or_b32 v3, 0x80000000, v3, v7
	v_cvt_i32_f32_e32 v10, v3
.LBB30_1121:
	s_mov_b32 s1, 0
.LBB30_1122:
	s_delay_alu instid0(SALU_CYCLE_1)
	s_and_not1_b32 vcc_lo, exec_lo, s1
	s_cbranch_vccnz .LBB30_1124
; %bb.1123:
	global_load_u8 v3, v[0:1], off
	s_waitcnt vmcnt(0)
	v_lshlrev_b32_e32 v7, 25, v3
	v_lshlrev_b16 v3, 8, v3
	s_delay_alu instid0(VALU_DEP_2) | instskip(NEXT) | instid1(VALU_DEP_2)
	v_lshrrev_b32_e32 v8, 4, v7
	v_and_or_b32 v9, 0x7f00, v3, 0.5
	v_bfe_i32 v3, v3, 0, 16
	s_delay_alu instid0(VALU_DEP_3) | instskip(NEXT) | instid1(VALU_DEP_1)
	v_or_b32_e32 v8, 0x70000000, v8
	v_dual_add_f32 v9, -0.5, v9 :: v_dual_mul_f32 v8, 0x7800000, v8
	v_cmp_gt_u32_e32 vcc_lo, 0x8000000, v7
	s_delay_alu instid0(VALU_DEP_2) | instskip(NEXT) | instid1(VALU_DEP_1)
	v_cndmask_b32_e32 v7, v8, v9, vcc_lo
	v_and_or_b32 v3, 0x80000000, v3, v7
	s_delay_alu instid0(VALU_DEP_1)
	v_cvt_i32_f32_e32 v10, v3
.LBB30_1124:
	s_mov_b32 s11, -1
	s_mov_b32 s10, 0
	s_cbranch_execnz .LBB30_1135
.LBB30_1125:
	v_cmp_lt_i16_e32 vcc_lo, 14, v6
	s_cbranch_vccz .LBB30_1128
; %bb.1126:
	v_cmp_eq_u16_e32 vcc_lo, 15, v6
	s_cbranch_vccz .LBB30_1131
; %bb.1127:
	global_load_u16 v3, v[0:1], off
	s_mov_b32 s0, 0
	s_mov_b32 s11, -1
	s_waitcnt vmcnt(0)
	v_lshlrev_b32_e32 v3, 16, v3
	s_delay_alu instid0(VALU_DEP_1)
	v_cvt_i32_f32_e32 v10, v3
	s_branch .LBB30_1132
.LBB30_1128:
	s_mov_b32 s1, -1
                                        ; implicit-def: $vgpr10
	s_branch .LBB30_1133
.LBB30_1129:
	s_or_saveexec_b32 s10, s10
	v_mov_b32_e32 v10, s11
	s_xor_b32 exec_lo, exec_lo, s10
	s_cbranch_execz .LBB30_1111
.LBB30_1130:
	v_cmp_ne_u16_e32 vcc_lo, 0, v3
	v_mov_b32_e32 v10, 0
	s_and_not1_b32 s1, s1, exec_lo
	s_and_b32 s11, vcc_lo, exec_lo
	s_delay_alu instid0(SALU_CYCLE_1)
	s_or_b32 s1, s1, s11
	s_or_b32 exec_lo, exec_lo, s10
	s_and_saveexec_b32 s10, s1
	s_cbranch_execnz .LBB30_1112
	s_branch .LBB30_1113
.LBB30_1131:
	s_mov_b32 s0, -1
                                        ; implicit-def: $vgpr10
.LBB30_1132:
	s_mov_b32 s1, 0
.LBB30_1133:
	s_delay_alu instid0(SALU_CYCLE_1)
	s_and_b32 vcc_lo, exec_lo, s1
	s_cbranch_vccz .LBB30_1135
; %bb.1134:
	v_cmp_ne_u16_e64 s0, 11, v6
	s_mov_b32 s10, -1
                                        ; implicit-def: $vgpr10
.LBB30_1135:
	s_delay_alu instid0(VALU_DEP_1)
	s_and_b32 vcc_lo, exec_lo, s0
	s_mov_b32 s1, s9
	s_cbranch_vccnz .LBB30_1159
; %bb.1136:
	s_and_not1_b32 vcc_lo, exec_lo, s10
	s_cbranch_vccnz .LBB30_1138
.LBB30_1137:
	global_load_u8 v3, v[0:1], off
	s_mov_b32 s11, -1
	s_waitcnt vmcnt(0)
	v_cmp_ne_u16_e32 vcc_lo, 0, v3
	v_cndmask_b32_e64 v10, 0, 1, vcc_lo
.LBB30_1138:
.LBB30_1139:
	s_and_not1_b32 vcc_lo, exec_lo, s11
	s_cbranch_vccnz .LBB30_1333
.LBB30_1140:
	s_lshl_b32 s3, s3, 7
	v_cmp_gt_i16_e32 vcc_lo, 11, v6
	v_add_nc_u32_e32 v2, s3, v2
	s_delay_alu instid0(VALU_DEP_1) | instskip(SKIP_1) | instid1(VALU_DEP_1)
	v_ashrrev_i32_e32 v1, 31, v2
	v_add_co_u32 v0, s0, s6, v2
	v_add_co_ci_u32_e64 v1, s0, s7, v1, s0
	s_cbranch_vccnz .LBB30_1147
; %bb.1141:
	v_cmp_lt_i16_e32 vcc_lo, 25, v6
	s_mov_b32 s10, 0
	s_cbranch_vccz .LBB30_1153
; %bb.1142:
	v_cmp_lt_i16_e32 vcc_lo, 28, v6
	s_cbranch_vccz .LBB30_1155
; %bb.1143:
	v_cmp_lt_i16_e32 vcc_lo, 43, v6
	;; [unrolled: 3-line block ×3, first 2 shown]
	s_cbranch_vccz .LBB30_1163
; %bb.1145:
	v_cmp_eq_u16_e32 vcc_lo, 46, v6
	s_mov_b32 s12, 0
	s_cbranch_vccz .LBB30_1207
; %bb.1146:
	global_load_b32 v3, v[0:1], off
	s_mov_b32 s0, 0
	s_mov_b32 s11, -1
	s_waitcnt vmcnt(0)
	v_lshlrev_b32_e32 v3, 16, v3
	s_delay_alu instid0(VALU_DEP_1)
	v_cvt_i32_f32_e32 v9, v3
	s_branch .LBB30_1209
.LBB30_1147:
	s_mov_b32 s11, 0
                                        ; implicit-def: $vgpr9
	s_cbranch_execz .LBB30_1270
; %bb.1148:
	v_cmp_gt_i16_e32 vcc_lo, 5, v6
	s_cbranch_vccnz .LBB30_1154
; %bb.1149:
	v_cmp_gt_i16_e32 vcc_lo, 8, v6
	s_cbranch_vccnz .LBB30_1156
	;; [unrolled: 3-line block ×3, first 2 shown]
; %bb.1151:
	v_cmp_lt_i16_e32 vcc_lo, 9, v6
	s_cbranch_vccz .LBB30_1164
; %bb.1152:
	global_load_b64 v[7:8], v[0:1], off
	s_mov_b32 s0, 0
	s_waitcnt vmcnt(0)
	v_cvt_i32_f64_e32 v9, v[7:8]
	s_branch .LBB30_1165
.LBB30_1153:
	s_mov_b32 s11, 0
	s_mov_b32 s0, 0
                                        ; implicit-def: $vgpr9
	s_cbranch_execnz .LBB30_1236
	s_branch .LBB30_1266
.LBB30_1154:
                                        ; implicit-def: $vgpr9
	s_branch .LBB30_1183
.LBB30_1155:
	s_mov_b32 s12, -1
	s_mov_b32 s11, 0
	s_mov_b32 s0, 0
                                        ; implicit-def: $vgpr9
	s_branch .LBB30_1219
.LBB30_1156:
	s_mov_b32 s0, -1
                                        ; implicit-def: $vgpr9
	s_branch .LBB30_1171
.LBB30_1157:
	s_mov_b32 s12, -1
	s_mov_b32 s11, 0
	s_mov_b32 s0, 0
                                        ; implicit-def: $vgpr9
	s_branch .LBB30_1214
.LBB30_1158:
	s_mov_b32 s0, -1
                                        ; implicit-def: $vgpr9
	s_branch .LBB30_1168
.LBB30_1159:
	s_cbranch_execnz .LBB30_1203
; %bb.1160:
	s_or_b32 s1, s9, exec_lo
                                        ; implicit-def: $vgpr10
	s_cbranch_execz .LBB30_1137
	s_branch .LBB30_1138
.LBB30_1161:
	s_or_saveexec_b32 s14, s14
                                        ; implicit-def: $sgpr15
	s_delay_alu instid0(SALU_CYCLE_1)
	s_xor_b32 exec_lo, exec_lo, s14
	s_cbranch_execz .LBB30_928
.LBB30_1162:
	v_add_f32_e64 v4, 0x46000000, |v1|
	s_and_not1_b32 s13, s13, exec_lo
	s_mov_b32 s15, 0
	s_delay_alu instid0(VALU_DEP_1) | instskip(NEXT) | instid1(VALU_DEP_1)
	v_and_b32_e32 v4, 0xff, v4
	v_cmp_ne_u32_e32 vcc_lo, 0, v4
	s_and_b32 s16, vcc_lo, exec_lo
	s_delay_alu instid0(SALU_CYCLE_1)
	s_or_b32 s13, s13, s16
	s_or_b32 exec_lo, exec_lo, s14
	v_mov_b32_e32 v5, s15
	s_and_saveexec_b32 s14, s13
	s_cbranch_execnz .LBB30_929
	s_branch .LBB30_930
.LBB30_1163:
	s_mov_b32 s12, -1
	s_mov_b32 s11, 0
	s_mov_b32 s0, 0
	s_branch .LBB30_1208
.LBB30_1164:
	s_mov_b32 s0, -1
                                        ; implicit-def: $vgpr9
.LBB30_1165:
	s_delay_alu instid0(SALU_CYCLE_1)
	s_and_not1_b32 vcc_lo, exec_lo, s0
	s_cbranch_vccnz .LBB30_1167
; %bb.1166:
	global_load_b32 v3, v[0:1], off
	s_waitcnt vmcnt(0)
	v_cvt_i32_f32_e32 v9, v3
.LBB30_1167:
	s_mov_b32 s0, 0
.LBB30_1168:
	s_delay_alu instid0(SALU_CYCLE_1)
	s_and_not1_b32 vcc_lo, exec_lo, s0
	s_cbranch_vccnz .LBB30_1170
; %bb.1169:
	global_load_b32 v3, v[0:1], off
	s_waitcnt vmcnt(0)
	v_cvt_f32_f16_e32 v3, v3
	s_delay_alu instid0(VALU_DEP_1)
	v_cvt_i32_f32_e32 v9, v3
.LBB30_1170:
	s_mov_b32 s0, 0
.LBB30_1171:
	s_delay_alu instid0(SALU_CYCLE_1)
	s_and_not1_b32 vcc_lo, exec_lo, s0
	s_cbranch_vccnz .LBB30_1182
; %bb.1172:
	v_cmp_gt_i16_e32 vcc_lo, 6, v6
	s_cbranch_vccnz .LBB30_1175
; %bb.1173:
	v_cmp_lt_i16_e32 vcc_lo, 6, v6
	s_cbranch_vccz .LBB30_1176
; %bb.1174:
	global_load_b64 v[7:8], v[0:1], off
	s_mov_b32 s0, 0
	s_waitcnt vmcnt(0)
	v_cvt_i32_f64_e32 v9, v[7:8]
	s_branch .LBB30_1177
.LBB30_1175:
	s_mov_b32 s0, -1
                                        ; implicit-def: $vgpr9
	s_branch .LBB30_1180
.LBB30_1176:
	s_mov_b32 s0, -1
                                        ; implicit-def: $vgpr9
.LBB30_1177:
	s_delay_alu instid0(SALU_CYCLE_1)
	s_and_not1_b32 vcc_lo, exec_lo, s0
	s_cbranch_vccnz .LBB30_1179
; %bb.1178:
	global_load_b32 v3, v[0:1], off
	s_waitcnt vmcnt(0)
	v_cvt_i32_f32_e32 v9, v3
.LBB30_1179:
	s_mov_b32 s0, 0
.LBB30_1180:
	s_delay_alu instid0(SALU_CYCLE_1)
	s_and_not1_b32 vcc_lo, exec_lo, s0
	s_cbranch_vccnz .LBB30_1182
; %bb.1181:
	global_load_u16 v3, v[0:1], off
	s_waitcnt vmcnt(0)
	v_cvt_f32_f16_e32 v3, v3
	s_delay_alu instid0(VALU_DEP_1)
	v_cvt_i32_f32_e32 v9, v3
.LBB30_1182:
	s_cbranch_execnz .LBB30_1202
.LBB30_1183:
	v_cmp_gt_i16_e32 vcc_lo, 2, v6
	s_cbranch_vccnz .LBB30_1187
; %bb.1184:
	v_cmp_gt_i16_e32 vcc_lo, 3, v6
	s_cbranch_vccnz .LBB30_1188
; %bb.1185:
	v_cmp_lt_i16_e32 vcc_lo, 3, v6
	s_cbranch_vccz .LBB30_1189
; %bb.1186:
	global_load_b32 v9, v[0:1], off
	s_mov_b32 s0, 0
	s_branch .LBB30_1190
.LBB30_1187:
	s_mov_b32 s0, -1
                                        ; implicit-def: $vgpr9
	s_branch .LBB30_1196
.LBB30_1188:
	s_mov_b32 s0, -1
                                        ; implicit-def: $vgpr9
	s_branch .LBB30_1193
.LBB30_1189:
	s_mov_b32 s0, -1
                                        ; implicit-def: $vgpr9
.LBB30_1190:
	s_delay_alu instid0(SALU_CYCLE_1)
	s_and_not1_b32 vcc_lo, exec_lo, s0
	s_cbranch_vccnz .LBB30_1192
; %bb.1191:
	global_load_b32 v9, v[0:1], off
.LBB30_1192:
	s_mov_b32 s0, 0
.LBB30_1193:
	s_delay_alu instid0(SALU_CYCLE_1)
	s_and_not1_b32 vcc_lo, exec_lo, s0
	s_cbranch_vccnz .LBB30_1195
; %bb.1194:
	global_load_i16 v9, v[0:1], off
.LBB30_1195:
	s_mov_b32 s0, 0
.LBB30_1196:
	s_delay_alu instid0(SALU_CYCLE_1)
	s_and_not1_b32 vcc_lo, exec_lo, s0
	s_cbranch_vccnz .LBB30_1202
; %bb.1197:
	v_cmp_lt_i16_e32 vcc_lo, 0, v6
	s_mov_b32 s0, 0
	s_cbranch_vccz .LBB30_1199
; %bb.1198:
	global_load_i8 v9, v[0:1], off
	s_branch .LBB30_1200
.LBB30_1199:
	s_mov_b32 s0, -1
                                        ; implicit-def: $vgpr9
.LBB30_1200:
	s_delay_alu instid0(SALU_CYCLE_1)
	s_and_not1_b32 vcc_lo, exec_lo, s0
	s_cbranch_vccnz .LBB30_1202
; %bb.1201:
	global_load_u8 v9, v[0:1], off
.LBB30_1202:
	s_branch .LBB30_1271
.LBB30_1203:
	s_trap 2
	s_sendmsg_rtn_b32 s0, sendmsg(MSG_RTN_GET_DOORBELL)
	s_mov_b32 ttmp2, m0
	s_waitcnt lgkmcnt(0)
	s_and_b32 s0, s0, 0x3ff
	s_delay_alu instid0(SALU_CYCLE_1) | instskip(NEXT) | instid1(SALU_CYCLE_1)
	s_bitset1_b32 s0, 10
	s_mov_b32 m0, s0
	s_sendmsg sendmsg(MSG_INTERRUPT)
	s_mov_b32 m0, ttmp2
.LBB30_1204:                            ; =>This Inner Loop Header: Depth=1
	s_sethalt 5
	s_branch .LBB30_1204
.LBB30_1205:
	s_or_saveexec_b32 s15, s15
                                        ; implicit-def: $sgpr16
	s_delay_alu instid0(SALU_CYCLE_1)
	s_xor_b32 exec_lo, exec_lo, s15
	s_cbranch_execz .LBB30_940
.LBB30_1206:
	v_add_f32_e64 v4, 0x42800000, |v1|
	s_and_not1_b32 s14, s14, exec_lo
	s_mov_b32 s16, 0
	s_delay_alu instid0(VALU_DEP_1) | instskip(NEXT) | instid1(VALU_DEP_1)
	v_and_b32_e32 v4, 0xff, v4
	v_cmp_ne_u32_e32 vcc_lo, 0, v4
	s_and_b32 s17, vcc_lo, exec_lo
	s_delay_alu instid0(SALU_CYCLE_1)
	s_or_b32 s14, s14, s17
	s_or_b32 exec_lo, exec_lo, s15
	v_mov_b32_e32 v5, s16
	s_and_saveexec_b32 s15, s14
	s_cbranch_execnz .LBB30_941
	s_branch .LBB30_942
.LBB30_1207:
	s_mov_b32 s0, -1
	s_mov_b32 s11, 0
.LBB30_1208:
                                        ; implicit-def: $vgpr9
.LBB30_1209:
	s_and_b32 vcc_lo, exec_lo, s12
	s_cbranch_vccz .LBB30_1213
; %bb.1210:
	v_cmp_eq_u16_e32 vcc_lo, 44, v6
	s_cbranch_vccz .LBB30_1212
; %bb.1211:
	global_load_u8 v3, v[0:1], off
	s_mov_b32 s0, 0
	s_mov_b32 s11, -1
	s_waitcnt vmcnt(0)
	v_lshlrev_b32_e32 v7, 23, v3
	v_cmp_ne_u32_e32 vcc_lo, 0, v3
	s_delay_alu instid0(VALU_DEP_2) | instskip(NEXT) | instid1(VALU_DEP_1)
	v_cvt_i32_f32_e32 v7, v7
	v_cndmask_b32_e32 v9, 0, v7, vcc_lo
	s_branch .LBB30_1213
.LBB30_1212:
	s_mov_b32 s0, -1
                                        ; implicit-def: $vgpr9
.LBB30_1213:
	s_mov_b32 s12, 0
.LBB30_1214:
	s_delay_alu instid0(SALU_CYCLE_1)
	s_and_b32 vcc_lo, exec_lo, s12
	s_cbranch_vccz .LBB30_1218
; %bb.1215:
	v_cmp_eq_u16_e32 vcc_lo, 29, v6
	s_cbranch_vccz .LBB30_1217
; %bb.1216:
	global_load_b32 v9, v[0:1], off
	s_mov_b32 s0, 0
	s_mov_b32 s11, -1
	s_branch .LBB30_1218
.LBB30_1217:
	s_mov_b32 s0, -1
                                        ; implicit-def: $vgpr9
.LBB30_1218:
	s_mov_b32 s12, 0
.LBB30_1219:
	s_delay_alu instid0(SALU_CYCLE_1)
	s_and_b32 vcc_lo, exec_lo, s12
	s_cbranch_vccz .LBB30_1235
; %bb.1220:
	v_cmp_gt_i16_e32 vcc_lo, 27, v6
	s_cbranch_vccnz .LBB30_1223
; %bb.1221:
	v_cmp_lt_i16_e32 vcc_lo, 27, v6
	s_cbranch_vccz .LBB30_1224
; %bb.1222:
	global_load_b32 v9, v[0:1], off
	s_mov_b32 s11, 0
	s_branch .LBB30_1225
.LBB30_1223:
	s_mov_b32 s11, -1
                                        ; implicit-def: $vgpr9
	s_branch .LBB30_1228
.LBB30_1224:
	s_mov_b32 s11, -1
                                        ; implicit-def: $vgpr9
.LBB30_1225:
	s_delay_alu instid0(SALU_CYCLE_1)
	s_and_not1_b32 vcc_lo, exec_lo, s11
	s_cbranch_vccnz .LBB30_1227
; %bb.1226:
	global_load_u16 v9, v[0:1], off
.LBB30_1227:
	s_mov_b32 s11, 0
.LBB30_1228:
	s_delay_alu instid0(SALU_CYCLE_1)
	s_and_not1_b32 vcc_lo, exec_lo, s11
	s_cbranch_vccnz .LBB30_1234
; %bb.1229:
	global_load_u8 v3, v[0:1], off
	s_mov_b32 s11, 0
	s_mov_b32 s12, exec_lo
                                        ; implicit-def: $sgpr13
	s_waitcnt vmcnt(0)
	v_cmpx_lt_i16_e32 0x7f, v3
	s_xor_b32 s12, exec_lo, s12
	s_cbranch_execz .LBB30_1245
; %bb.1230:
	v_cmp_ne_u16_e32 vcc_lo, 0x80, v3
	s_mov_b32 s13, 0
	s_and_b32 s11, vcc_lo, exec_lo
	s_or_saveexec_b32 s12, s12
	v_mov_b32_e32 v9, s13
	s_xor_b32 exec_lo, exec_lo, s12
	s_cbranch_execnz .LBB30_1246
.LBB30_1231:
	s_or_b32 exec_lo, exec_lo, s12
	s_and_saveexec_b32 s12, s11
	s_cbranch_execz .LBB30_1233
.LBB30_1232:
	v_and_b32_e32 v7, 0xffff, v3
	v_lshlrev_b32_e32 v3, 24, v3
	s_delay_alu instid0(VALU_DEP_2) | instskip(NEXT) | instid1(VALU_DEP_2)
	v_and_b32_e32 v8, 7, v7
	v_and_b32_e32 v3, 0x80000000, v3
	s_delay_alu instid0(VALU_DEP_2) | instskip(NEXT) | instid1(VALU_DEP_1)
	v_clz_i32_u32_e32 v9, v8
	v_min_u32_e32 v9, 32, v9
	s_delay_alu instid0(VALU_DEP_1) | instskip(SKIP_1) | instid1(VALU_DEP_2)
	v_subrev_nc_u32_e32 v11, 28, v9
	v_sub_nc_u32_e32 v9, 29, v9
	v_lshlrev_b32_e32 v11, v11, v7
	v_bfe_u32 v7, v7, 3, 4
	s_delay_alu instid0(VALU_DEP_2) | instskip(NEXT) | instid1(VALU_DEP_2)
	v_and_b32_e32 v11, 7, v11
	v_cmp_eq_u32_e32 vcc_lo, 0, v7
	s_delay_alu instid0(VALU_DEP_2) | instskip(NEXT) | instid1(VALU_DEP_1)
	v_dual_cndmask_b32 v7, v7, v9 :: v_dual_cndmask_b32 v8, v8, v11
	v_lshl_add_u32 v7, v7, 23, 0x3b800000
	s_delay_alu instid0(VALU_DEP_2) | instskip(NEXT) | instid1(VALU_DEP_1)
	v_lshlrev_b32_e32 v8, 20, v8
	v_or3_b32 v3, v3, v7, v8
	s_delay_alu instid0(VALU_DEP_1)
	v_cvt_i32_f32_e32 v9, v3
.LBB30_1233:
	s_or_b32 exec_lo, exec_lo, s12
.LBB30_1234:
	s_mov_b32 s11, -1
.LBB30_1235:
	s_branch .LBB30_1266
.LBB30_1236:
	v_cmp_lt_i16_e32 vcc_lo, 22, v6
	s_cbranch_vccz .LBB30_1244
; %bb.1237:
	v_cmp_gt_i16_e32 vcc_lo, 24, v6
	s_cbranch_vccnz .LBB30_1247
; %bb.1238:
	v_cmp_lt_i16_e32 vcc_lo, 24, v6
	s_cbranch_vccz .LBB30_1248
; %bb.1239:
	global_load_u8 v3, v[0:1], off
	s_mov_b32 s11, exec_lo
                                        ; implicit-def: $sgpr12
	s_waitcnt vmcnt(0)
	v_cmpx_lt_i16_e32 0x7f, v3
	s_xor_b32 s11, exec_lo, s11
	s_cbranch_execz .LBB30_1260
; %bb.1240:
	v_cmp_ne_u16_e32 vcc_lo, 0x80, v3
	s_mov_b32 s12, 0
	s_and_b32 s10, vcc_lo, exec_lo
	s_or_saveexec_b32 s11, s11
	v_mov_b32_e32 v9, s12
	s_xor_b32 exec_lo, exec_lo, s11
	s_cbranch_execnz .LBB30_1261
.LBB30_1241:
	s_or_b32 exec_lo, exec_lo, s11
	s_and_saveexec_b32 s11, s10
	s_cbranch_execz .LBB30_1243
.LBB30_1242:
	v_and_b32_e32 v7, 0xffff, v3
	v_lshlrev_b32_e32 v3, 24, v3
	s_delay_alu instid0(VALU_DEP_2) | instskip(NEXT) | instid1(VALU_DEP_2)
	v_and_b32_e32 v8, 3, v7
	v_and_b32_e32 v3, 0x80000000, v3
	s_delay_alu instid0(VALU_DEP_2) | instskip(NEXT) | instid1(VALU_DEP_1)
	v_clz_i32_u32_e32 v9, v8
	v_min_u32_e32 v9, 32, v9
	s_delay_alu instid0(VALU_DEP_1) | instskip(SKIP_1) | instid1(VALU_DEP_2)
	v_subrev_nc_u32_e32 v11, 29, v9
	v_sub_nc_u32_e32 v9, 30, v9
	v_lshlrev_b32_e32 v11, v11, v7
	v_bfe_u32 v7, v7, 2, 5
	s_delay_alu instid0(VALU_DEP_2) | instskip(NEXT) | instid1(VALU_DEP_2)
	v_and_b32_e32 v11, 3, v11
	v_cmp_eq_u32_e32 vcc_lo, 0, v7
	s_delay_alu instid0(VALU_DEP_2) | instskip(NEXT) | instid1(VALU_DEP_1)
	v_dual_cndmask_b32 v7, v7, v9 :: v_dual_cndmask_b32 v8, v8, v11
	v_lshl_add_u32 v7, v7, 23, 0x37800000
	s_delay_alu instid0(VALU_DEP_2) | instskip(NEXT) | instid1(VALU_DEP_1)
	v_lshlrev_b32_e32 v8, 21, v8
	v_or3_b32 v3, v3, v7, v8
	s_delay_alu instid0(VALU_DEP_1)
	v_cvt_i32_f32_e32 v9, v3
.LBB30_1243:
	s_or_b32 exec_lo, exec_lo, s11
	s_mov_b32 s10, 0
	s_branch .LBB30_1249
.LBB30_1244:
	s_mov_b32 s10, -1
                                        ; implicit-def: $vgpr9
	s_branch .LBB30_1255
.LBB30_1245:
	s_or_saveexec_b32 s12, s12
	v_mov_b32_e32 v9, s13
	s_xor_b32 exec_lo, exec_lo, s12
	s_cbranch_execz .LBB30_1231
.LBB30_1246:
	v_cmp_ne_u16_e32 vcc_lo, 0, v3
	v_mov_b32_e32 v9, 0
	s_and_not1_b32 s11, s11, exec_lo
	s_and_b32 s13, vcc_lo, exec_lo
	s_delay_alu instid0(SALU_CYCLE_1)
	s_or_b32 s11, s11, s13
	s_or_b32 exec_lo, exec_lo, s12
	s_and_saveexec_b32 s12, s11
	s_cbranch_execnz .LBB30_1232
	s_branch .LBB30_1233
.LBB30_1247:
	s_mov_b32 s10, -1
                                        ; implicit-def: $vgpr9
	s_branch .LBB30_1252
.LBB30_1248:
	s_mov_b32 s10, -1
                                        ; implicit-def: $vgpr9
.LBB30_1249:
	s_delay_alu instid0(SALU_CYCLE_1)
	s_and_b32 vcc_lo, exec_lo, s10
	s_cbranch_vccz .LBB30_1251
; %bb.1250:
	global_load_u8 v3, v[0:1], off
	s_waitcnt vmcnt(0)
	v_lshlrev_b32_e32 v3, 24, v3
	s_delay_alu instid0(VALU_DEP_1) | instskip(NEXT) | instid1(VALU_DEP_1)
	v_and_b32_e32 v7, 0x7f000000, v3
	v_clz_i32_u32_e32 v8, v7
	v_add_nc_u32_e32 v11, 0x1000000, v7
	v_cmp_ne_u32_e32 vcc_lo, 0, v7
	s_delay_alu instid0(VALU_DEP_3) | instskip(NEXT) | instid1(VALU_DEP_1)
	v_min_u32_e32 v8, 32, v8
	v_sub_nc_u32_e64 v8, v8, 4 clamp
	s_delay_alu instid0(VALU_DEP_1) | instskip(SKIP_1) | instid1(VALU_DEP_2)
	v_lshlrev_b32_e32 v9, v8, v7
	v_lshlrev_b32_e32 v8, 23, v8
	v_lshrrev_b32_e32 v9, 4, v9
	s_delay_alu instid0(VALU_DEP_1) | instskip(SKIP_1) | instid1(VALU_DEP_2)
	v_sub_nc_u32_e32 v8, v9, v8
	v_ashrrev_i32_e32 v9, 8, v11
	v_add_nc_u32_e32 v8, 0x3c000000, v8
	s_delay_alu instid0(VALU_DEP_1) | instskip(NEXT) | instid1(VALU_DEP_1)
	v_and_or_b32 v8, 0x7f800000, v9, v8
	v_cndmask_b32_e32 v7, 0, v8, vcc_lo
	s_delay_alu instid0(VALU_DEP_1) | instskip(NEXT) | instid1(VALU_DEP_1)
	v_and_or_b32 v3, 0x80000000, v3, v7
	v_cvt_i32_f32_e32 v9, v3
.LBB30_1251:
	s_mov_b32 s10, 0
.LBB30_1252:
	s_delay_alu instid0(SALU_CYCLE_1)
	s_and_not1_b32 vcc_lo, exec_lo, s10
	s_cbranch_vccnz .LBB30_1254
; %bb.1253:
	global_load_u8 v3, v[0:1], off
	s_waitcnt vmcnt(0)
	v_lshlrev_b32_e32 v7, 25, v3
	v_lshlrev_b16 v3, 8, v3
	s_delay_alu instid0(VALU_DEP_2) | instskip(NEXT) | instid1(VALU_DEP_2)
	v_lshrrev_b32_e32 v8, 4, v7
	v_and_or_b32 v9, 0x7f00, v3, 0.5
	v_bfe_i32 v3, v3, 0, 16
	s_delay_alu instid0(VALU_DEP_3) | instskip(NEXT) | instid1(VALU_DEP_1)
	v_or_b32_e32 v8, 0x70000000, v8
	v_dual_add_f32 v9, -0.5, v9 :: v_dual_mul_f32 v8, 0x7800000, v8
	v_cmp_gt_u32_e32 vcc_lo, 0x8000000, v7
	s_delay_alu instid0(VALU_DEP_2) | instskip(NEXT) | instid1(VALU_DEP_1)
	v_cndmask_b32_e32 v7, v8, v9, vcc_lo
	v_and_or_b32 v3, 0x80000000, v3, v7
	s_delay_alu instid0(VALU_DEP_1)
	v_cvt_i32_f32_e32 v9, v3
.LBB30_1254:
	s_mov_b32 s10, 0
	s_mov_b32 s11, -1
.LBB30_1255:
	s_and_not1_b32 vcc_lo, exec_lo, s10
	s_mov_b32 s10, 0
	s_cbranch_vccnz .LBB30_1266
; %bb.1256:
	v_cmp_lt_i16_e32 vcc_lo, 14, v6
	s_cbranch_vccz .LBB30_1259
; %bb.1257:
	v_cmp_eq_u16_e32 vcc_lo, 15, v6
	s_cbranch_vccz .LBB30_1262
; %bb.1258:
	global_load_u16 v3, v[0:1], off
	s_mov_b32 s0, 0
	s_mov_b32 s11, -1
	s_waitcnt vmcnt(0)
	v_lshlrev_b32_e32 v3, 16, v3
	s_delay_alu instid0(VALU_DEP_1)
	v_cvt_i32_f32_e32 v9, v3
	s_branch .LBB30_1264
.LBB30_1259:
	s_mov_b32 s10, -1
	s_branch .LBB30_1263
.LBB30_1260:
	s_or_saveexec_b32 s11, s11
	v_mov_b32_e32 v9, s12
	s_xor_b32 exec_lo, exec_lo, s11
	s_cbranch_execz .LBB30_1241
.LBB30_1261:
	v_cmp_ne_u16_e32 vcc_lo, 0, v3
	v_mov_b32_e32 v9, 0
	s_and_not1_b32 s10, s10, exec_lo
	s_and_b32 s12, vcc_lo, exec_lo
	s_delay_alu instid0(SALU_CYCLE_1)
	s_or_b32 s10, s10, s12
	s_or_b32 exec_lo, exec_lo, s11
	s_and_saveexec_b32 s11, s10
	s_cbranch_execnz .LBB30_1242
	s_branch .LBB30_1243
.LBB30_1262:
	s_mov_b32 s0, -1
.LBB30_1263:
                                        ; implicit-def: $vgpr9
.LBB30_1264:
	s_and_b32 vcc_lo, exec_lo, s10
	s_mov_b32 s10, 0
	s_cbranch_vccz .LBB30_1266
; %bb.1265:
	v_cmp_ne_u16_e64 s0, 11, v6
	s_mov_b32 s10, -1
                                        ; implicit-def: $vgpr9
.LBB30_1266:
	s_delay_alu instid0(VALU_DEP_1)
	s_and_b32 vcc_lo, exec_lo, s0
	s_cbranch_vccnz .LBB30_1290
; %bb.1267:
	s_and_not1_b32 vcc_lo, exec_lo, s10
	s_cbranch_vccnz .LBB30_1269
.LBB30_1268:
	global_load_u8 v3, v[0:1], off
	s_mov_b32 s11, -1
	s_waitcnt vmcnt(0)
	v_cmp_ne_u16_e32 vcc_lo, 0, v3
	v_cndmask_b32_e64 v9, 0, 1, vcc_lo
.LBB30_1269:
.LBB30_1270:
	s_and_not1_b32 vcc_lo, exec_lo, s11
	s_cbranch_vccnz .LBB30_1333
.LBB30_1271:
	v_add_nc_u32_e32 v2, s3, v2
	v_cmp_gt_i16_e32 vcc_lo, 11, v6
	s_delay_alu instid0(VALU_DEP_2) | instskip(SKIP_1) | instid1(VALU_DEP_1)
	v_ashrrev_i32_e32 v1, 31, v2
	v_add_co_u32 v0, s0, s6, v2
	v_add_co_ci_u32_e64 v1, s0, s7, v1, s0
	s_cbranch_vccnz .LBB30_1278
; %bb.1272:
	v_cmp_lt_i16_e32 vcc_lo, 25, v6
	s_mov_b32 s10, 0
	s_cbranch_vccz .LBB30_1284
; %bb.1273:
	v_cmp_lt_i16_e32 vcc_lo, 28, v6
	s_cbranch_vccz .LBB30_1286
; %bb.1274:
	v_cmp_lt_i16_e32 vcc_lo, 43, v6
	;; [unrolled: 3-line block ×3, first 2 shown]
	s_cbranch_vccz .LBB30_1292
; %bb.1276:
	v_cmp_eq_u16_e32 vcc_lo, 46, v6
	s_mov_b32 s12, 0
	s_cbranch_vccz .LBB30_1380
; %bb.1277:
	global_load_b32 v3, v[0:1], off
	s_mov_b32 s0, 0
	s_mov_b32 s11, -1
	s_waitcnt vmcnt(0)
	v_lshlrev_b32_e32 v3, 16, v3
	s_delay_alu instid0(VALU_DEP_1)
	v_cvt_i32_f32_e32 v8, v3
	s_branch .LBB30_1382
.LBB30_1278:
	s_mov_b32 s11, 0
                                        ; implicit-def: $vgpr8
	s_cbranch_execz .LBB30_1444
; %bb.1279:
	v_cmp_gt_i16_e32 vcc_lo, 5, v6
	s_cbranch_vccnz .LBB30_1285
; %bb.1280:
	v_cmp_gt_i16_e32 vcc_lo, 8, v6
	s_cbranch_vccnz .LBB30_1287
	;; [unrolled: 3-line block ×3, first 2 shown]
; %bb.1282:
	v_cmp_lt_i16_e32 vcc_lo, 9, v6
	s_cbranch_vccz .LBB30_1293
; %bb.1283:
	global_load_b64 v[7:8], v[0:1], off
	s_mov_b32 s0, 0
	s_waitcnt vmcnt(0)
	v_cvt_i32_f64_e32 v8, v[7:8]
	s_branch .LBB30_1294
.LBB30_1284:
	s_mov_b32 s12, -1
	s_mov_b32 s11, 0
	s_mov_b32 s0, 0
                                        ; implicit-def: $vgpr8
	s_branch .LBB30_1409
.LBB30_1285:
	s_mov_b32 s0, -1
                                        ; implicit-def: $vgpr8
	s_branch .LBB30_1312
.LBB30_1286:
	s_mov_b32 s12, -1
	s_mov_b32 s11, 0
	s_mov_b32 s0, 0
                                        ; implicit-def: $vgpr8
	s_branch .LBB30_1392
.LBB30_1287:
	s_mov_b32 s0, -1
                                        ; implicit-def: $vgpr8
	s_branch .LBB30_1300
.LBB30_1288:
	s_mov_b32 s12, -1
	s_mov_b32 s11, 0
	s_mov_b32 s0, 0
                                        ; implicit-def: $vgpr8
	s_branch .LBB30_1387
.LBB30_1289:
	s_mov_b32 s0, -1
                                        ; implicit-def: $vgpr8
	s_branch .LBB30_1297
.LBB30_1290:
	s_cbranch_execnz .LBB30_1378
; %bb.1291:
	s_or_b32 s1, s1, exec_lo
                                        ; implicit-def: $vgpr9
	s_cbranch_execz .LBB30_1268
	s_branch .LBB30_1269
.LBB30_1292:
	s_mov_b32 s12, -1
	s_mov_b32 s11, 0
	s_mov_b32 s0, 0
	s_branch .LBB30_1381
.LBB30_1293:
	s_mov_b32 s0, -1
                                        ; implicit-def: $vgpr8
.LBB30_1294:
	s_delay_alu instid0(SALU_CYCLE_1)
	s_and_not1_b32 vcc_lo, exec_lo, s0
	s_cbranch_vccnz .LBB30_1296
; %bb.1295:
	global_load_b32 v3, v[0:1], off
	s_waitcnt vmcnt(0)
	v_cvt_i32_f32_e32 v8, v3
.LBB30_1296:
	s_mov_b32 s0, 0
.LBB30_1297:
	s_delay_alu instid0(SALU_CYCLE_1)
	s_and_not1_b32 vcc_lo, exec_lo, s0
	s_cbranch_vccnz .LBB30_1299
; %bb.1298:
	global_load_b32 v3, v[0:1], off
	s_waitcnt vmcnt(0)
	v_cvt_f32_f16_e32 v3, v3
	s_delay_alu instid0(VALU_DEP_1)
	v_cvt_i32_f32_e32 v8, v3
.LBB30_1299:
	s_mov_b32 s0, 0
.LBB30_1300:
	s_delay_alu instid0(SALU_CYCLE_1)
	s_and_not1_b32 vcc_lo, exec_lo, s0
	s_cbranch_vccnz .LBB30_1311
; %bb.1301:
	v_cmp_gt_i16_e32 vcc_lo, 6, v6
	s_cbranch_vccnz .LBB30_1304
; %bb.1302:
	v_cmp_lt_i16_e32 vcc_lo, 6, v6
	s_cbranch_vccz .LBB30_1305
; %bb.1303:
	global_load_b64 v[7:8], v[0:1], off
	s_mov_b32 s0, 0
	s_waitcnt vmcnt(0)
	v_cvt_i32_f64_e32 v8, v[7:8]
	s_branch .LBB30_1306
.LBB30_1304:
	s_mov_b32 s0, -1
                                        ; implicit-def: $vgpr8
	s_branch .LBB30_1309
.LBB30_1305:
	s_mov_b32 s0, -1
                                        ; implicit-def: $vgpr8
.LBB30_1306:
	s_delay_alu instid0(SALU_CYCLE_1)
	s_and_not1_b32 vcc_lo, exec_lo, s0
	s_cbranch_vccnz .LBB30_1308
; %bb.1307:
	global_load_b32 v3, v[0:1], off
	s_waitcnt vmcnt(0)
	v_cvt_i32_f32_e32 v8, v3
.LBB30_1308:
	s_mov_b32 s0, 0
.LBB30_1309:
	s_delay_alu instid0(SALU_CYCLE_1)
	s_and_not1_b32 vcc_lo, exec_lo, s0
	s_cbranch_vccnz .LBB30_1311
; %bb.1310:
	global_load_u16 v3, v[0:1], off
	s_waitcnt vmcnt(0)
	v_cvt_f32_f16_e32 v3, v3
	s_delay_alu instid0(VALU_DEP_1)
	v_cvt_i32_f32_e32 v8, v3
.LBB30_1311:
	s_mov_b32 s0, 0
.LBB30_1312:
	s_delay_alu instid0(SALU_CYCLE_1)
	s_and_not1_b32 vcc_lo, exec_lo, s0
	s_cbranch_vccnz .LBB30_1332
; %bb.1313:
	v_cmp_gt_i16_e32 vcc_lo, 2, v6
	s_cbranch_vccnz .LBB30_1317
; %bb.1314:
	v_cmp_gt_i16_e32 vcc_lo, 3, v6
	s_cbranch_vccnz .LBB30_1318
; %bb.1315:
	v_cmp_lt_i16_e32 vcc_lo, 3, v6
	s_cbranch_vccz .LBB30_1319
; %bb.1316:
	global_load_b32 v8, v[0:1], off
	s_mov_b32 s0, 0
	s_branch .LBB30_1320
.LBB30_1317:
	s_mov_b32 s0, -1
                                        ; implicit-def: $vgpr8
	s_branch .LBB30_1326
.LBB30_1318:
	s_mov_b32 s0, -1
                                        ; implicit-def: $vgpr8
	s_branch .LBB30_1323
.LBB30_1319:
	s_mov_b32 s0, -1
                                        ; implicit-def: $vgpr8
.LBB30_1320:
	s_delay_alu instid0(SALU_CYCLE_1)
	s_and_not1_b32 vcc_lo, exec_lo, s0
	s_cbranch_vccnz .LBB30_1322
; %bb.1321:
	global_load_b32 v8, v[0:1], off
.LBB30_1322:
	s_mov_b32 s0, 0
.LBB30_1323:
	s_delay_alu instid0(SALU_CYCLE_1)
	s_and_not1_b32 vcc_lo, exec_lo, s0
	s_cbranch_vccnz .LBB30_1325
; %bb.1324:
	global_load_i16 v8, v[0:1], off
.LBB30_1325:
	s_mov_b32 s0, 0
.LBB30_1326:
	s_delay_alu instid0(SALU_CYCLE_1)
	s_and_not1_b32 vcc_lo, exec_lo, s0
	s_cbranch_vccnz .LBB30_1332
; %bb.1327:
	v_cmp_lt_i16_e32 vcc_lo, 0, v6
	s_mov_b32 s0, 0
	s_cbranch_vccz .LBB30_1329
; %bb.1328:
	global_load_i8 v8, v[0:1], off
	s_branch .LBB30_1330
.LBB30_1329:
	s_mov_b32 s0, -1
                                        ; implicit-def: $vgpr8
.LBB30_1330:
	s_delay_alu instid0(SALU_CYCLE_1)
	s_and_not1_b32 vcc_lo, exec_lo, s0
	s_cbranch_vccnz .LBB30_1332
; %bb.1331:
	global_load_u8 v8, v[0:1], off
.LBB30_1332:
	s_branch .LBB30_1445
.LBB30_1333:
	s_mov_b32 s0, 0
	s_mov_b32 s2, 0
                                        ; implicit-def: $vgpr11
                                        ; implicit-def: $vgpr0_vgpr1
                                        ; implicit-def: $vgpr2
                                        ; implicit-def: $vgpr7
.LBB30_1334:
	s_and_not1_b32 s3, s9, exec_lo
	s_and_b32 s4, s1, exec_lo
	s_and_b32 s0, s0, exec_lo
	;; [unrolled: 1-line block ×3, first 2 shown]
	s_or_b32 s9, s3, s4
.LBB30_1335:
	s_or_b32 exec_lo, exec_lo, s8
	s_and_saveexec_b32 s2, s9
	s_cbranch_execz .LBB30_1338
; %bb.1336:
	; divergent unreachable
	s_or_b32 exec_lo, exec_lo, s2
	s_and_saveexec_b32 s2, s1
	s_delay_alu instid0(SALU_CYCLE_1)
	s_xor_b32 s1, exec_lo, s2
	s_cbranch_execnz .LBB30_1339
.LBB30_1337:
	s_or_b32 exec_lo, exec_lo, s1
	s_and_saveexec_b32 s1, s0
	s_cbranch_execnz .LBB30_1340
	s_branch .LBB30_1377
.LBB30_1338:
	s_or_b32 exec_lo, exec_lo, s2
	s_and_saveexec_b32 s2, s1
	s_delay_alu instid0(SALU_CYCLE_1)
	s_xor_b32 s1, exec_lo, s2
	s_cbranch_execz .LBB30_1337
.LBB30_1339:
	s_waitcnt vmcnt(0)
	s_delay_alu instid0(VALU_DEP_1)
	v_cmp_ne_u32_e32 vcc_lo, -1, v7
	v_cndmask_b32_e64 v3, 0, 1, vcc_lo
	global_store_b8 v[0:1], v3, off
	s_or_b32 exec_lo, exec_lo, s1
	s_and_saveexec_b32 s1, s0
	s_cbranch_execz .LBB30_1377
.LBB30_1340:
	v_cmp_gt_i16_e32 vcc_lo, 5, v11
	s_mov_b32 s0, -1
	s_cbranch_vccnz .LBB30_1361
; %bb.1341:
	v_cmp_gt_i16_e32 vcc_lo, 8, v11
	s_cbranch_vccnz .LBB30_1351
; %bb.1342:
	v_cmp_gt_i16_e32 vcc_lo, 9, v11
	s_cbranch_vccnz .LBB30_1348
; %bb.1343:
	v_cmp_lt_i16_e32 vcc_lo, 9, v11
	s_cbranch_vccz .LBB30_1345
; %bb.1344:
	v_cvt_f64_i32_e32 v[3:4], v2
	v_mov_b32_e32 v5, 0
	s_mov_b32 s0, 0
	s_delay_alu instid0(VALU_DEP_1)
	v_mov_b32_e32 v6, v5
	global_store_b128 v[0:1], v[3:6], off
.LBB30_1345:
	s_and_not1_b32 vcc_lo, exec_lo, s0
	s_cbranch_vccnz .LBB30_1347
; %bb.1346:
	v_cvt_f32_i32_e32 v3, v2
	v_mov_b32_e32 v4, 0
	global_store_b64 v[0:1], v[3:4], off
.LBB30_1347:
	s_mov_b32 s0, 0
.LBB30_1348:
	s_delay_alu instid0(SALU_CYCLE_1)
	s_and_not1_b32 vcc_lo, exec_lo, s0
	s_cbranch_vccnz .LBB30_1350
; %bb.1349:
	v_cvt_f32_i32_e32 v3, v2
	s_delay_alu instid0(VALU_DEP_1) | instskip(NEXT) | instid1(VALU_DEP_1)
	v_cvt_f16_f32_e32 v3, v3
	v_and_b32_e32 v3, 0xffff, v3
	global_store_b32 v[0:1], v3, off
.LBB30_1350:
	s_mov_b32 s0, 0
.LBB30_1351:
	s_delay_alu instid0(SALU_CYCLE_1)
	s_and_not1_b32 vcc_lo, exec_lo, s0
	s_cbranch_vccnz .LBB30_1360
; %bb.1352:
	v_cmp_gt_i16_e32 vcc_lo, 6, v11
	s_mov_b32 s0, -1
	s_cbranch_vccnz .LBB30_1358
; %bb.1353:
	v_cmp_lt_i16_e32 vcc_lo, 6, v11
	s_cbranch_vccz .LBB30_1355
; %bb.1354:
	v_cvt_f64_i32_e32 v[3:4], v2
	s_mov_b32 s0, 0
	global_store_b64 v[0:1], v[3:4], off
.LBB30_1355:
	s_and_not1_b32 vcc_lo, exec_lo, s0
	s_cbranch_vccnz .LBB30_1357
; %bb.1356:
	v_cvt_f32_i32_e32 v3, v2
	global_store_b32 v[0:1], v3, off
.LBB30_1357:
	s_mov_b32 s0, 0
.LBB30_1358:
	s_delay_alu instid0(SALU_CYCLE_1)
	s_and_not1_b32 vcc_lo, exec_lo, s0
	s_cbranch_vccnz .LBB30_1360
; %bb.1359:
	v_cvt_f32_i32_e32 v3, v2
	s_delay_alu instid0(VALU_DEP_1)
	v_cvt_f16_f32_e32 v3, v3
	global_store_b16 v[0:1], v3, off
.LBB30_1360:
	s_mov_b32 s0, 0
.LBB30_1361:
	s_delay_alu instid0(SALU_CYCLE_1)
	s_and_not1_b32 vcc_lo, exec_lo, s0
	s_cbranch_vccnz .LBB30_1377
; %bb.1362:
	v_cmp_gt_i16_e32 vcc_lo, 2, v11
	s_mov_b32 s0, -1
	s_cbranch_vccnz .LBB30_1372
; %bb.1363:
	v_cmp_gt_i16_e32 vcc_lo, 3, v11
	s_cbranch_vccnz .LBB30_1369
; %bb.1364:
	v_cmp_lt_i16_e32 vcc_lo, 3, v11
	s_cbranch_vccz .LBB30_1366
; %bb.1365:
	v_ashrrev_i32_e32 v3, 31, v2
	s_mov_b32 s0, 0
	global_store_b64 v[0:1], v[2:3], off
.LBB30_1366:
	s_and_not1_b32 vcc_lo, exec_lo, s0
	s_cbranch_vccnz .LBB30_1368
; %bb.1367:
	global_store_b32 v[0:1], v2, off
.LBB30_1368:
	s_mov_b32 s0, 0
.LBB30_1369:
	s_delay_alu instid0(SALU_CYCLE_1)
	s_and_not1_b32 vcc_lo, exec_lo, s0
	s_cbranch_vccnz .LBB30_1371
; %bb.1370:
	global_store_b16 v[0:1], v2, off
.LBB30_1371:
	s_mov_b32 s0, 0
.LBB30_1372:
	s_delay_alu instid0(SALU_CYCLE_1)
	s_and_not1_b32 vcc_lo, exec_lo, s0
	s_cbranch_vccnz .LBB30_1377
; %bb.1373:
	v_cmp_lt_i16_e32 vcc_lo, 0, v11
	s_mov_b32 s0, -1
	s_cbranch_vccz .LBB30_1375
; %bb.1374:
	s_mov_b32 s0, 0
	global_store_b8 v[0:1], v2, off
.LBB30_1375:
	s_and_not1_b32 vcc_lo, exec_lo, s0
	s_cbranch_vccnz .LBB30_1377
; %bb.1376:
	global_store_b8 v[0:1], v2, off
	s_nop 0
	s_sendmsg sendmsg(MSG_DEALLOC_VGPRS)
	s_endpgm
.LBB30_1377:
	s_nop 0
	s_sendmsg sendmsg(MSG_DEALLOC_VGPRS)
	s_endpgm
.LBB30_1378:
	s_trap 2
	s_sendmsg_rtn_b32 s0, sendmsg(MSG_RTN_GET_DOORBELL)
	s_mov_b32 ttmp2, m0
	s_waitcnt lgkmcnt(0)
	s_and_b32 s0, s0, 0x3ff
	s_delay_alu instid0(SALU_CYCLE_1) | instskip(NEXT) | instid1(SALU_CYCLE_1)
	s_bitset1_b32 s0, 10
	s_mov_b32 m0, s0
	s_sendmsg sendmsg(MSG_INTERRUPT)
	s_mov_b32 m0, ttmp2
.LBB30_1379:                            ; =>This Inner Loop Header: Depth=1
	s_sethalt 5
	s_branch .LBB30_1379
.LBB30_1380:
	s_mov_b32 s0, -1
	s_mov_b32 s11, 0
.LBB30_1381:
                                        ; implicit-def: $vgpr8
.LBB30_1382:
	s_and_b32 vcc_lo, exec_lo, s12
	s_cbranch_vccz .LBB30_1386
; %bb.1383:
	v_cmp_eq_u16_e32 vcc_lo, 44, v6
	s_cbranch_vccz .LBB30_1385
; %bb.1384:
	global_load_u8 v3, v[0:1], off
	s_mov_b32 s0, 0
	s_mov_b32 s11, -1
	s_waitcnt vmcnt(0)
	v_lshlrev_b32_e32 v7, 23, v3
	v_cmp_ne_u32_e32 vcc_lo, 0, v3
	s_delay_alu instid0(VALU_DEP_2) | instskip(NEXT) | instid1(VALU_DEP_1)
	v_cvt_i32_f32_e32 v7, v7
	v_cndmask_b32_e32 v8, 0, v7, vcc_lo
	s_branch .LBB30_1386
.LBB30_1385:
	s_mov_b32 s0, -1
                                        ; implicit-def: $vgpr8
.LBB30_1386:
	s_mov_b32 s12, 0
.LBB30_1387:
	s_delay_alu instid0(SALU_CYCLE_1)
	s_and_b32 vcc_lo, exec_lo, s12
	s_cbranch_vccz .LBB30_1391
; %bb.1388:
	v_cmp_eq_u16_e32 vcc_lo, 29, v6
	s_cbranch_vccz .LBB30_1390
; %bb.1389:
	global_load_b32 v8, v[0:1], off
	s_mov_b32 s0, 0
	s_mov_b32 s11, -1
	s_branch .LBB30_1391
.LBB30_1390:
	s_mov_b32 s0, -1
                                        ; implicit-def: $vgpr8
.LBB30_1391:
	s_mov_b32 s12, 0
.LBB30_1392:
	s_delay_alu instid0(SALU_CYCLE_1)
	s_and_b32 vcc_lo, exec_lo, s12
	s_cbranch_vccz .LBB30_1408
; %bb.1393:
	v_cmp_gt_i16_e32 vcc_lo, 27, v6
	s_cbranch_vccnz .LBB30_1396
; %bb.1394:
	v_cmp_lt_i16_e32 vcc_lo, 27, v6
	s_cbranch_vccz .LBB30_1397
; %bb.1395:
	global_load_b32 v8, v[0:1], off
	s_mov_b32 s11, 0
	s_branch .LBB30_1398
.LBB30_1396:
	s_mov_b32 s11, -1
                                        ; implicit-def: $vgpr8
	s_branch .LBB30_1401
.LBB30_1397:
	s_mov_b32 s11, -1
                                        ; implicit-def: $vgpr8
.LBB30_1398:
	s_delay_alu instid0(SALU_CYCLE_1)
	s_and_not1_b32 vcc_lo, exec_lo, s11
	s_cbranch_vccnz .LBB30_1400
; %bb.1399:
	global_load_u16 v8, v[0:1], off
.LBB30_1400:
	s_mov_b32 s11, 0
.LBB30_1401:
	s_delay_alu instid0(SALU_CYCLE_1)
	s_and_not1_b32 vcc_lo, exec_lo, s11
	s_cbranch_vccnz .LBB30_1407
; %bb.1402:
	global_load_u8 v3, v[0:1], off
	s_mov_b32 s11, 0
	s_mov_b32 s12, exec_lo
                                        ; implicit-def: $sgpr13
	s_waitcnt vmcnt(0)
	v_cmpx_lt_i16_e32 0x7f, v3
	s_xor_b32 s12, exec_lo, s12
	s_cbranch_execz .LBB30_1419
; %bb.1403:
	v_cmp_ne_u16_e32 vcc_lo, 0x80, v3
	s_mov_b32 s13, 0
	s_and_b32 s11, vcc_lo, exec_lo
	s_or_saveexec_b32 s12, s12
	v_mov_b32_e32 v8, s13
	s_xor_b32 exec_lo, exec_lo, s12
	s_cbranch_execnz .LBB30_1420
.LBB30_1404:
	s_or_b32 exec_lo, exec_lo, s12
	s_and_saveexec_b32 s12, s11
	s_cbranch_execz .LBB30_1406
.LBB30_1405:
	v_and_b32_e32 v7, 0xffff, v3
	v_lshlrev_b32_e32 v3, 24, v3
	s_delay_alu instid0(VALU_DEP_2) | instskip(NEXT) | instid1(VALU_DEP_2)
	v_and_b32_e32 v8, 7, v7
	v_and_b32_e32 v3, 0x80000000, v3
	s_delay_alu instid0(VALU_DEP_2) | instskip(NEXT) | instid1(VALU_DEP_1)
	v_clz_i32_u32_e32 v11, v8
	v_min_u32_e32 v11, 32, v11
	s_delay_alu instid0(VALU_DEP_1) | instskip(SKIP_1) | instid1(VALU_DEP_2)
	v_subrev_nc_u32_e32 v12, 28, v11
	v_sub_nc_u32_e32 v11, 29, v11
	v_lshlrev_b32_e32 v12, v12, v7
	v_bfe_u32 v7, v7, 3, 4
	s_delay_alu instid0(VALU_DEP_1) | instskip(NEXT) | instid1(VALU_DEP_3)
	v_cmp_eq_u32_e32 vcc_lo, 0, v7
	v_dual_cndmask_b32 v7, v7, v11 :: v_dual_and_b32 v12, 7, v12
	s_delay_alu instid0(VALU_DEP_1) | instskip(NEXT) | instid1(VALU_DEP_2)
	v_cndmask_b32_e32 v8, v8, v12, vcc_lo
	v_lshl_add_u32 v7, v7, 23, 0x3b800000
	s_delay_alu instid0(VALU_DEP_2) | instskip(NEXT) | instid1(VALU_DEP_1)
	v_lshlrev_b32_e32 v8, 20, v8
	v_or3_b32 v3, v3, v7, v8
	s_delay_alu instid0(VALU_DEP_1)
	v_cvt_i32_f32_e32 v8, v3
.LBB30_1406:
	s_or_b32 exec_lo, exec_lo, s12
.LBB30_1407:
	s_mov_b32 s11, -1
.LBB30_1408:
	s_mov_b32 s12, 0
.LBB30_1409:
	s_delay_alu instid0(SALU_CYCLE_1)
	s_and_b32 vcc_lo, exec_lo, s12
	s_cbranch_vccz .LBB30_1440
; %bb.1410:
	v_cmp_lt_i16_e32 vcc_lo, 22, v6
	s_cbranch_vccz .LBB30_1418
; %bb.1411:
	v_cmp_gt_i16_e32 vcc_lo, 24, v6
	s_cbranch_vccnz .LBB30_1421
; %bb.1412:
	v_cmp_lt_i16_e32 vcc_lo, 24, v6
	s_cbranch_vccz .LBB30_1422
; %bb.1413:
	global_load_u8 v3, v[0:1], off
	s_mov_b32 s11, exec_lo
                                        ; implicit-def: $sgpr12
	s_waitcnt vmcnt(0)
	v_cmpx_lt_i16_e32 0x7f, v3
	s_xor_b32 s11, exec_lo, s11
	s_cbranch_execz .LBB30_1434
; %bb.1414:
	v_cmp_ne_u16_e32 vcc_lo, 0x80, v3
	s_mov_b32 s12, 0
	s_and_b32 s10, vcc_lo, exec_lo
	s_or_saveexec_b32 s11, s11
	v_mov_b32_e32 v8, s12
	s_xor_b32 exec_lo, exec_lo, s11
	s_cbranch_execnz .LBB30_1435
.LBB30_1415:
	s_or_b32 exec_lo, exec_lo, s11
	s_and_saveexec_b32 s11, s10
	s_cbranch_execz .LBB30_1417
.LBB30_1416:
	v_and_b32_e32 v7, 0xffff, v3
	v_lshlrev_b32_e32 v3, 24, v3
	s_delay_alu instid0(VALU_DEP_2) | instskip(NEXT) | instid1(VALU_DEP_2)
	v_and_b32_e32 v8, 3, v7
	v_and_b32_e32 v3, 0x80000000, v3
	s_delay_alu instid0(VALU_DEP_2) | instskip(NEXT) | instid1(VALU_DEP_1)
	v_clz_i32_u32_e32 v11, v8
	v_min_u32_e32 v11, 32, v11
	s_delay_alu instid0(VALU_DEP_1) | instskip(SKIP_1) | instid1(VALU_DEP_2)
	v_subrev_nc_u32_e32 v12, 29, v11
	v_sub_nc_u32_e32 v11, 30, v11
	v_lshlrev_b32_e32 v12, v12, v7
	v_bfe_u32 v7, v7, 2, 5
	s_delay_alu instid0(VALU_DEP_1) | instskip(NEXT) | instid1(VALU_DEP_3)
	v_cmp_eq_u32_e32 vcc_lo, 0, v7
	v_dual_cndmask_b32 v7, v7, v11 :: v_dual_and_b32 v12, 3, v12
	s_delay_alu instid0(VALU_DEP_1) | instskip(NEXT) | instid1(VALU_DEP_2)
	v_cndmask_b32_e32 v8, v8, v12, vcc_lo
	v_lshl_add_u32 v7, v7, 23, 0x37800000
	s_delay_alu instid0(VALU_DEP_2) | instskip(NEXT) | instid1(VALU_DEP_1)
	v_lshlrev_b32_e32 v8, 21, v8
	v_or3_b32 v3, v3, v7, v8
	s_delay_alu instid0(VALU_DEP_1)
	v_cvt_i32_f32_e32 v8, v3
.LBB30_1417:
	s_or_b32 exec_lo, exec_lo, s11
	s_mov_b32 s10, 0
	s_branch .LBB30_1423
.LBB30_1418:
	s_mov_b32 s10, -1
                                        ; implicit-def: $vgpr8
	s_branch .LBB30_1429
.LBB30_1419:
	s_or_saveexec_b32 s12, s12
	v_mov_b32_e32 v8, s13
	s_xor_b32 exec_lo, exec_lo, s12
	s_cbranch_execz .LBB30_1404
.LBB30_1420:
	v_cmp_ne_u16_e32 vcc_lo, 0, v3
	v_mov_b32_e32 v8, 0
	s_and_not1_b32 s11, s11, exec_lo
	s_and_b32 s13, vcc_lo, exec_lo
	s_delay_alu instid0(SALU_CYCLE_1)
	s_or_b32 s11, s11, s13
	s_or_b32 exec_lo, exec_lo, s12
	s_and_saveexec_b32 s12, s11
	s_cbranch_execnz .LBB30_1405
	s_branch .LBB30_1406
.LBB30_1421:
	s_mov_b32 s10, -1
                                        ; implicit-def: $vgpr8
	s_branch .LBB30_1426
.LBB30_1422:
	s_mov_b32 s10, -1
                                        ; implicit-def: $vgpr8
.LBB30_1423:
	s_delay_alu instid0(SALU_CYCLE_1)
	s_and_b32 vcc_lo, exec_lo, s10
	s_cbranch_vccz .LBB30_1425
; %bb.1424:
	global_load_u8 v3, v[0:1], off
	s_waitcnt vmcnt(0)
	v_lshlrev_b32_e32 v3, 24, v3
	s_delay_alu instid0(VALU_DEP_1) | instskip(NEXT) | instid1(VALU_DEP_1)
	v_and_b32_e32 v7, 0x7f000000, v3
	v_clz_i32_u32_e32 v8, v7
	v_cmp_ne_u32_e32 vcc_lo, 0, v7
	v_add_nc_u32_e32 v12, 0x1000000, v7
	s_delay_alu instid0(VALU_DEP_3) | instskip(NEXT) | instid1(VALU_DEP_1)
	v_min_u32_e32 v8, 32, v8
	v_sub_nc_u32_e64 v8, v8, 4 clamp
	s_delay_alu instid0(VALU_DEP_1) | instskip(SKIP_1) | instid1(VALU_DEP_2)
	v_lshlrev_b32_e32 v11, v8, v7
	v_lshlrev_b32_e32 v8, 23, v8
	v_lshrrev_b32_e32 v11, 4, v11
	s_delay_alu instid0(VALU_DEP_1) | instskip(SKIP_1) | instid1(VALU_DEP_2)
	v_sub_nc_u32_e32 v8, v11, v8
	v_ashrrev_i32_e32 v11, 8, v12
	v_add_nc_u32_e32 v8, 0x3c000000, v8
	s_delay_alu instid0(VALU_DEP_1) | instskip(NEXT) | instid1(VALU_DEP_1)
	v_and_or_b32 v8, 0x7f800000, v11, v8
	v_cndmask_b32_e32 v7, 0, v8, vcc_lo
	s_delay_alu instid0(VALU_DEP_1) | instskip(NEXT) | instid1(VALU_DEP_1)
	v_and_or_b32 v3, 0x80000000, v3, v7
	v_cvt_i32_f32_e32 v8, v3
.LBB30_1425:
	s_mov_b32 s10, 0
.LBB30_1426:
	s_delay_alu instid0(SALU_CYCLE_1)
	s_and_not1_b32 vcc_lo, exec_lo, s10
	s_cbranch_vccnz .LBB30_1428
; %bb.1427:
	global_load_u8 v3, v[0:1], off
	s_waitcnt vmcnt(0)
	v_lshlrev_b32_e32 v7, 25, v3
	v_lshlrev_b16 v3, 8, v3
	s_delay_alu instid0(VALU_DEP_2) | instskip(NEXT) | instid1(VALU_DEP_2)
	v_lshrrev_b32_e32 v8, 4, v7
	v_and_or_b32 v11, 0x7f00, v3, 0.5
	v_bfe_i32 v3, v3, 0, 16
	s_delay_alu instid0(VALU_DEP_3) | instskip(NEXT) | instid1(VALU_DEP_1)
	v_or_b32_e32 v8, 0x70000000, v8
	v_dual_add_f32 v11, -0.5, v11 :: v_dual_mul_f32 v8, 0x7800000, v8
	v_cmp_gt_u32_e32 vcc_lo, 0x8000000, v7
	s_delay_alu instid0(VALU_DEP_2) | instskip(NEXT) | instid1(VALU_DEP_1)
	v_cndmask_b32_e32 v7, v8, v11, vcc_lo
	v_and_or_b32 v3, 0x80000000, v3, v7
	s_delay_alu instid0(VALU_DEP_1)
	v_cvt_i32_f32_e32 v8, v3
.LBB30_1428:
	s_mov_b32 s10, 0
	s_mov_b32 s11, -1
.LBB30_1429:
	s_and_not1_b32 vcc_lo, exec_lo, s10
	s_mov_b32 s10, 0
	s_cbranch_vccnz .LBB30_1440
; %bb.1430:
	v_cmp_lt_i16_e32 vcc_lo, 14, v6
	s_cbranch_vccz .LBB30_1433
; %bb.1431:
	v_cmp_eq_u16_e32 vcc_lo, 15, v6
	s_cbranch_vccz .LBB30_1436
; %bb.1432:
	global_load_u16 v3, v[0:1], off
	s_mov_b32 s0, 0
	s_mov_b32 s11, -1
	s_waitcnt vmcnt(0)
	v_lshlrev_b32_e32 v3, 16, v3
	s_delay_alu instid0(VALU_DEP_1)
	v_cvt_i32_f32_e32 v8, v3
	s_branch .LBB30_1438
.LBB30_1433:
	s_mov_b32 s10, -1
	s_branch .LBB30_1437
.LBB30_1434:
	s_or_saveexec_b32 s11, s11
	v_mov_b32_e32 v8, s12
	s_xor_b32 exec_lo, exec_lo, s11
	s_cbranch_execz .LBB30_1415
.LBB30_1435:
	v_cmp_ne_u16_e32 vcc_lo, 0, v3
	v_mov_b32_e32 v8, 0
	s_and_not1_b32 s10, s10, exec_lo
	s_and_b32 s12, vcc_lo, exec_lo
	s_delay_alu instid0(SALU_CYCLE_1)
	s_or_b32 s10, s10, s12
	s_or_b32 exec_lo, exec_lo, s11
	s_and_saveexec_b32 s11, s10
	s_cbranch_execnz .LBB30_1416
	s_branch .LBB30_1417
.LBB30_1436:
	s_mov_b32 s0, -1
.LBB30_1437:
                                        ; implicit-def: $vgpr8
.LBB30_1438:
	s_and_b32 vcc_lo, exec_lo, s10
	s_mov_b32 s10, 0
	s_cbranch_vccz .LBB30_1440
; %bb.1439:
	v_cmp_ne_u16_e64 s0, 11, v6
	s_mov_b32 s10, -1
                                        ; implicit-def: $vgpr8
.LBB30_1440:
	s_delay_alu instid0(VALU_DEP_1)
	s_and_b32 vcc_lo, exec_lo, s0
	s_cbranch_vccnz .LBB30_1456
; %bb.1441:
	s_and_not1_b32 vcc_lo, exec_lo, s10
	s_cbranch_vccnz .LBB30_1443
.LBB30_1442:
	global_load_u8 v3, v[0:1], off
	s_mov_b32 s11, -1
	s_waitcnt vmcnt(0)
	v_cmp_ne_u16_e32 vcc_lo, 0, v3
	v_cndmask_b32_e64 v8, 0, 1, vcc_lo
.LBB30_1443:
.LBB30_1444:
	s_and_not1_b32 vcc_lo, exec_lo, s11
	s_cbranch_vccnz .LBB30_1333
.LBB30_1445:
	v_add_nc_u32_e32 v0, s3, v2
	v_cmp_gt_i16_e32 vcc_lo, 11, v6
	s_delay_alu instid0(VALU_DEP_2) | instskip(SKIP_1) | instid1(VALU_DEP_1)
	v_ashrrev_i32_e32 v1, 31, v0
	v_add_co_u32 v0, s0, s6, v0
	v_add_co_ci_u32_e64 v1, s0, s7, v1, s0
	s_cbranch_vccnz .LBB30_1452
; %bb.1446:
	v_cmp_lt_i16_e32 vcc_lo, 25, v6
	s_mov_b32 s3, 0
	s_cbranch_vccz .LBB30_1453
; %bb.1447:
	v_cmp_lt_i16_e32 vcc_lo, 28, v6
	s_cbranch_vccz .LBB30_1454
; %bb.1448:
	v_cmp_lt_i16_e32 vcc_lo, 43, v6
	;; [unrolled: 3-line block ×3, first 2 shown]
	s_cbranch_vccz .LBB30_1458
; %bb.1450:
	v_cmp_eq_u16_e32 vcc_lo, 46, v6
	s_mov_b32 s7, 0
	s_cbranch_vccz .LBB30_1461
; %bb.1451:
	global_load_b32 v2, v[0:1], off
	s_mov_b32 s0, 0
	s_mov_b32 s6, -1
	s_waitcnt vmcnt(0)
	v_lshlrev_b32_e32 v2, 16, v2
	s_delay_alu instid0(VALU_DEP_1)
	v_cvt_i32_f32_e32 v7, v2
	s_branch .LBB30_1463
.LBB30_1452:
	s_mov_b32 s0, -1
	s_mov_b32 s6, 0
                                        ; implicit-def: $vgpr7
	s_branch .LBB30_1525
.LBB30_1453:
	s_mov_b32 s7, -1
	s_mov_b32 s6, 0
	s_mov_b32 s0, 0
                                        ; implicit-def: $vgpr7
	s_branch .LBB30_1490
.LBB30_1454:
	s_mov_b32 s7, -1
	s_mov_b32 s6, 0
	s_mov_b32 s0, 0
                                        ; implicit-def: $vgpr7
	s_branch .LBB30_1473
.LBB30_1455:
	s_mov_b32 s7, -1
	s_mov_b32 s6, 0
	s_mov_b32 s0, 0
                                        ; implicit-def: $vgpr7
	s_branch .LBB30_1468
.LBB30_1456:
	s_cbranch_execnz .LBB30_1459
; %bb.1457:
	s_or_b32 s1, s1, exec_lo
                                        ; implicit-def: $vgpr8
	s_cbranch_execz .LBB30_1442
	s_branch .LBB30_1443
.LBB30_1458:
	s_mov_b32 s7, -1
	s_mov_b32 s6, 0
	s_mov_b32 s0, 0
	s_branch .LBB30_1462
.LBB30_1459:
	s_trap 2
	s_sendmsg_rtn_b32 s0, sendmsg(MSG_RTN_GET_DOORBELL)
	s_mov_b32 ttmp2, m0
	s_waitcnt lgkmcnt(0)
	s_and_b32 s0, s0, 0x3ff
	s_delay_alu instid0(SALU_CYCLE_1) | instskip(NEXT) | instid1(SALU_CYCLE_1)
	s_bitset1_b32 s0, 10
	s_mov_b32 m0, s0
	s_sendmsg sendmsg(MSG_INTERRUPT)
	s_mov_b32 m0, ttmp2
.LBB30_1460:                            ; =>This Inner Loop Header: Depth=1
	s_sethalt 5
	s_branch .LBB30_1460
.LBB30_1461:
	s_mov_b32 s0, -1
	s_mov_b32 s6, 0
.LBB30_1462:
                                        ; implicit-def: $vgpr7
.LBB30_1463:
	s_and_b32 vcc_lo, exec_lo, s7
	s_cbranch_vccz .LBB30_1467
; %bb.1464:
	v_cmp_eq_u16_e32 vcc_lo, 44, v6
	s_cbranch_vccz .LBB30_1466
; %bb.1465:
	global_load_u8 v2, v[0:1], off
	s_mov_b32 s0, 0
	s_mov_b32 s6, -1
	s_waitcnt vmcnt(0)
	v_lshlrev_b32_e32 v3, 23, v2
	v_cmp_ne_u32_e32 vcc_lo, 0, v2
	s_delay_alu instid0(VALU_DEP_2) | instskip(NEXT) | instid1(VALU_DEP_1)
	v_cvt_i32_f32_e32 v3, v3
	v_cndmask_b32_e32 v7, 0, v3, vcc_lo
	s_branch .LBB30_1467
.LBB30_1466:
	s_mov_b32 s0, -1
                                        ; implicit-def: $vgpr7
.LBB30_1467:
	s_mov_b32 s7, 0
.LBB30_1468:
	s_delay_alu instid0(SALU_CYCLE_1)
	s_and_b32 vcc_lo, exec_lo, s7
	s_cbranch_vccz .LBB30_1472
; %bb.1469:
	v_cmp_eq_u16_e32 vcc_lo, 29, v6
	s_cbranch_vccz .LBB30_1471
; %bb.1470:
	global_load_b32 v7, v[0:1], off
	s_mov_b32 s0, 0
	s_mov_b32 s6, -1
	s_branch .LBB30_1472
.LBB30_1471:
	s_mov_b32 s0, -1
                                        ; implicit-def: $vgpr7
.LBB30_1472:
	s_mov_b32 s7, 0
.LBB30_1473:
	s_delay_alu instid0(SALU_CYCLE_1)
	s_and_b32 vcc_lo, exec_lo, s7
	s_cbranch_vccz .LBB30_1489
; %bb.1474:
	v_cmp_gt_i16_e32 vcc_lo, 27, v6
	s_cbranch_vccnz .LBB30_1477
; %bb.1475:
	v_cmp_lt_i16_e32 vcc_lo, 27, v6
	s_cbranch_vccz .LBB30_1478
; %bb.1476:
	global_load_b32 v7, v[0:1], off
	s_mov_b32 s6, 0
	s_branch .LBB30_1479
.LBB30_1477:
	s_mov_b32 s6, -1
                                        ; implicit-def: $vgpr7
	s_branch .LBB30_1482
.LBB30_1478:
	s_mov_b32 s6, -1
                                        ; implicit-def: $vgpr7
.LBB30_1479:
	s_delay_alu instid0(SALU_CYCLE_1)
	s_and_not1_b32 vcc_lo, exec_lo, s6
	s_cbranch_vccnz .LBB30_1481
; %bb.1480:
	global_load_u16 v7, v[0:1], off
.LBB30_1481:
	s_mov_b32 s6, 0
.LBB30_1482:
	s_delay_alu instid0(SALU_CYCLE_1)
	s_and_not1_b32 vcc_lo, exec_lo, s6
	s_cbranch_vccnz .LBB30_1488
; %bb.1483:
	global_load_u8 v2, v[0:1], off
	s_mov_b32 s6, 0
	s_mov_b32 s7, exec_lo
                                        ; implicit-def: $sgpr10
	s_waitcnt vmcnt(0)
	v_cmpx_lt_i16_e32 0x7f, v2
	s_xor_b32 s7, exec_lo, s7
	s_cbranch_execz .LBB30_1500
; %bb.1484:
	v_cmp_ne_u16_e32 vcc_lo, 0x80, v2
	s_mov_b32 s10, 0
	s_and_b32 s6, vcc_lo, exec_lo
	s_or_saveexec_b32 s7, s7
	v_mov_b32_e32 v7, s10
	s_xor_b32 exec_lo, exec_lo, s7
	s_cbranch_execnz .LBB30_1501
.LBB30_1485:
	s_or_b32 exec_lo, exec_lo, s7
	s_and_saveexec_b32 s7, s6
	s_cbranch_execz .LBB30_1487
.LBB30_1486:
	v_and_b32_e32 v3, 0xffff, v2
	s_delay_alu instid0(VALU_DEP_1) | instskip(NEXT) | instid1(VALU_DEP_1)
	v_and_b32_e32 v7, 7, v3
	v_clz_i32_u32_e32 v11, v7
	s_delay_alu instid0(VALU_DEP_1) | instskip(NEXT) | instid1(VALU_DEP_1)
	v_min_u32_e32 v11, 32, v11
	v_subrev_nc_u32_e32 v12, 28, v11
	v_sub_nc_u32_e32 v11, 29, v11
	s_delay_alu instid0(VALU_DEP_2) | instskip(SKIP_1) | instid1(VALU_DEP_1)
	v_lshlrev_b32_e32 v12, v12, v3
	v_bfe_u32 v3, v3, 3, 4
	v_cmp_eq_u32_e32 vcc_lo, 0, v3
	s_delay_alu instid0(VALU_DEP_3) | instskip(NEXT) | instid1(VALU_DEP_1)
	v_dual_cndmask_b32 v3, v3, v11 :: v_dual_and_b32 v12, 7, v12
	v_dual_cndmask_b32 v7, v7, v12 :: v_dual_lshlrev_b32 v2, 24, v2
	s_delay_alu instid0(VALU_DEP_2) | instskip(NEXT) | instid1(VALU_DEP_2)
	v_lshl_add_u32 v3, v3, 23, 0x3b800000
	v_and_b32_e32 v2, 0x80000000, v2
	s_delay_alu instid0(VALU_DEP_3) | instskip(NEXT) | instid1(VALU_DEP_1)
	v_lshlrev_b32_e32 v7, 20, v7
	v_or3_b32 v2, v2, v3, v7
	s_delay_alu instid0(VALU_DEP_1)
	v_cvt_i32_f32_e32 v7, v2
.LBB30_1487:
	s_or_b32 exec_lo, exec_lo, s7
.LBB30_1488:
	s_mov_b32 s6, -1
.LBB30_1489:
	s_mov_b32 s7, 0
.LBB30_1490:
	s_delay_alu instid0(SALU_CYCLE_1)
	s_and_b32 vcc_lo, exec_lo, s7
	s_cbranch_vccz .LBB30_1521
; %bb.1491:
	v_cmp_lt_i16_e32 vcc_lo, 22, v6
	s_cbranch_vccz .LBB30_1499
; %bb.1492:
	v_cmp_gt_i16_e32 vcc_lo, 24, v6
	s_cbranch_vccnz .LBB30_1502
; %bb.1493:
	v_cmp_lt_i16_e32 vcc_lo, 24, v6
	s_cbranch_vccz .LBB30_1503
; %bb.1494:
	global_load_u8 v2, v[0:1], off
	s_mov_b32 s6, exec_lo
                                        ; implicit-def: $sgpr7
	s_waitcnt vmcnt(0)
	v_cmpx_lt_i16_e32 0x7f, v2
	s_xor_b32 s6, exec_lo, s6
	s_cbranch_execz .LBB30_1515
; %bb.1495:
	v_cmp_ne_u16_e32 vcc_lo, 0x80, v2
	s_mov_b32 s7, 0
	s_and_b32 s3, vcc_lo, exec_lo
	s_or_saveexec_b32 s6, s6
	v_mov_b32_e32 v7, s7
	s_xor_b32 exec_lo, exec_lo, s6
	s_cbranch_execnz .LBB30_1516
.LBB30_1496:
	s_or_b32 exec_lo, exec_lo, s6
	s_and_saveexec_b32 s6, s3
	s_cbranch_execz .LBB30_1498
.LBB30_1497:
	v_and_b32_e32 v3, 0xffff, v2
	s_delay_alu instid0(VALU_DEP_1) | instskip(NEXT) | instid1(VALU_DEP_1)
	v_and_b32_e32 v7, 3, v3
	v_clz_i32_u32_e32 v11, v7
	s_delay_alu instid0(VALU_DEP_1) | instskip(NEXT) | instid1(VALU_DEP_1)
	v_min_u32_e32 v11, 32, v11
	v_subrev_nc_u32_e32 v12, 29, v11
	v_sub_nc_u32_e32 v11, 30, v11
	s_delay_alu instid0(VALU_DEP_2) | instskip(SKIP_1) | instid1(VALU_DEP_1)
	v_lshlrev_b32_e32 v12, v12, v3
	v_bfe_u32 v3, v3, 2, 5
	v_cmp_eq_u32_e32 vcc_lo, 0, v3
	s_delay_alu instid0(VALU_DEP_3) | instskip(NEXT) | instid1(VALU_DEP_1)
	v_dual_cndmask_b32 v3, v3, v11 :: v_dual_and_b32 v12, 3, v12
	v_dual_cndmask_b32 v7, v7, v12 :: v_dual_lshlrev_b32 v2, 24, v2
	s_delay_alu instid0(VALU_DEP_2) | instskip(NEXT) | instid1(VALU_DEP_2)
	v_lshl_add_u32 v3, v3, 23, 0x37800000
	v_and_b32_e32 v2, 0x80000000, v2
	s_delay_alu instid0(VALU_DEP_3) | instskip(NEXT) | instid1(VALU_DEP_1)
	v_lshlrev_b32_e32 v7, 21, v7
	v_or3_b32 v2, v2, v3, v7
	s_delay_alu instid0(VALU_DEP_1)
	v_cvt_i32_f32_e32 v7, v2
.LBB30_1498:
	s_or_b32 exec_lo, exec_lo, s6
	s_mov_b32 s3, 0
	s_branch .LBB30_1504
.LBB30_1499:
	s_mov_b32 s3, -1
                                        ; implicit-def: $vgpr7
	s_branch .LBB30_1510
.LBB30_1500:
	s_or_saveexec_b32 s7, s7
	v_mov_b32_e32 v7, s10
	s_xor_b32 exec_lo, exec_lo, s7
	s_cbranch_execz .LBB30_1485
.LBB30_1501:
	v_cmp_ne_u16_e32 vcc_lo, 0, v2
	v_mov_b32_e32 v7, 0
	s_and_not1_b32 s6, s6, exec_lo
	s_and_b32 s10, vcc_lo, exec_lo
	s_delay_alu instid0(SALU_CYCLE_1)
	s_or_b32 s6, s6, s10
	s_or_b32 exec_lo, exec_lo, s7
	s_and_saveexec_b32 s7, s6
	s_cbranch_execnz .LBB30_1486
	s_branch .LBB30_1487
.LBB30_1502:
	s_mov_b32 s3, -1
                                        ; implicit-def: $vgpr7
	s_branch .LBB30_1507
.LBB30_1503:
	s_mov_b32 s3, -1
                                        ; implicit-def: $vgpr7
.LBB30_1504:
	s_delay_alu instid0(SALU_CYCLE_1)
	s_and_b32 vcc_lo, exec_lo, s3
	s_cbranch_vccz .LBB30_1506
; %bb.1505:
	global_load_u8 v2, v[0:1], off
	s_waitcnt vmcnt(0)
	v_lshlrev_b32_e32 v2, 24, v2
	s_delay_alu instid0(VALU_DEP_1) | instskip(NEXT) | instid1(VALU_DEP_1)
	v_and_b32_e32 v3, 0x7f000000, v2
	v_clz_i32_u32_e32 v7, v3
	v_add_nc_u32_e32 v12, 0x1000000, v3
	v_cmp_ne_u32_e32 vcc_lo, 0, v3
	s_delay_alu instid0(VALU_DEP_3) | instskip(NEXT) | instid1(VALU_DEP_1)
	v_min_u32_e32 v7, 32, v7
	v_sub_nc_u32_e64 v7, v7, 4 clamp
	s_delay_alu instid0(VALU_DEP_1) | instskip(SKIP_1) | instid1(VALU_DEP_2)
	v_lshlrev_b32_e32 v11, v7, v3
	v_lshlrev_b32_e32 v7, 23, v7
	v_lshrrev_b32_e32 v11, 4, v11
	s_delay_alu instid0(VALU_DEP_1) | instskip(SKIP_1) | instid1(VALU_DEP_2)
	v_sub_nc_u32_e32 v7, v11, v7
	v_ashrrev_i32_e32 v11, 8, v12
	v_add_nc_u32_e32 v7, 0x3c000000, v7
	s_delay_alu instid0(VALU_DEP_1) | instskip(NEXT) | instid1(VALU_DEP_1)
	v_and_or_b32 v7, 0x7f800000, v11, v7
	v_cndmask_b32_e32 v3, 0, v7, vcc_lo
	s_delay_alu instid0(VALU_DEP_1) | instskip(NEXT) | instid1(VALU_DEP_1)
	v_and_or_b32 v2, 0x80000000, v2, v3
	v_cvt_i32_f32_e32 v7, v2
.LBB30_1506:
	s_mov_b32 s3, 0
.LBB30_1507:
	s_delay_alu instid0(SALU_CYCLE_1)
	s_and_not1_b32 vcc_lo, exec_lo, s3
	s_cbranch_vccnz .LBB30_1509
; %bb.1508:
	global_load_u8 v2, v[0:1], off
	s_waitcnt vmcnt(0)
	v_lshlrev_b32_e32 v3, 25, v2
	v_lshlrev_b16 v2, 8, v2
	s_delay_alu instid0(VALU_DEP_2) | instskip(NEXT) | instid1(VALU_DEP_2)
	v_lshrrev_b32_e32 v7, 4, v3
	v_and_or_b32 v11, 0x7f00, v2, 0.5
	v_cmp_gt_u32_e32 vcc_lo, 0x8000000, v3
	v_bfe_i32 v2, v2, 0, 16
	s_delay_alu instid0(VALU_DEP_4) | instskip(NEXT) | instid1(VALU_DEP_4)
	v_or_b32_e32 v7, 0x70000000, v7
	v_add_f32_e32 v11, -0.5, v11
	s_delay_alu instid0(VALU_DEP_2) | instskip(NEXT) | instid1(VALU_DEP_1)
	v_mul_f32_e32 v7, 0x7800000, v7
	v_cndmask_b32_e32 v3, v7, v11, vcc_lo
	s_delay_alu instid0(VALU_DEP_1) | instskip(NEXT) | instid1(VALU_DEP_1)
	v_and_or_b32 v2, 0x80000000, v2, v3
	v_cvt_i32_f32_e32 v7, v2
.LBB30_1509:
	s_mov_b32 s3, 0
	s_mov_b32 s6, -1
.LBB30_1510:
	s_and_not1_b32 vcc_lo, exec_lo, s3
	s_mov_b32 s3, 0
	s_cbranch_vccnz .LBB30_1521
; %bb.1511:
	v_cmp_lt_i16_e32 vcc_lo, 14, v6
	s_cbranch_vccz .LBB30_1514
; %bb.1512:
	v_cmp_eq_u16_e32 vcc_lo, 15, v6
	s_cbranch_vccz .LBB30_1517
; %bb.1513:
	global_load_u16 v2, v[0:1], off
	s_mov_b32 s0, 0
	s_mov_b32 s6, -1
	s_waitcnt vmcnt(0)
	v_lshlrev_b32_e32 v2, 16, v2
	s_delay_alu instid0(VALU_DEP_1)
	v_cvt_i32_f32_e32 v7, v2
	s_branch .LBB30_1519
.LBB30_1514:
	s_mov_b32 s3, -1
	s_branch .LBB30_1518
.LBB30_1515:
	s_or_saveexec_b32 s6, s6
	v_mov_b32_e32 v7, s7
	s_xor_b32 exec_lo, exec_lo, s6
	s_cbranch_execz .LBB30_1496
.LBB30_1516:
	v_cmp_ne_u16_e32 vcc_lo, 0, v2
	v_mov_b32_e32 v7, 0
	s_and_not1_b32 s3, s3, exec_lo
	s_and_b32 s7, vcc_lo, exec_lo
	s_delay_alu instid0(SALU_CYCLE_1)
	s_or_b32 s3, s3, s7
	s_or_b32 exec_lo, exec_lo, s6
	s_and_saveexec_b32 s6, s3
	s_cbranch_execnz .LBB30_1497
	s_branch .LBB30_1498
.LBB30_1517:
	s_mov_b32 s0, -1
.LBB30_1518:
                                        ; implicit-def: $vgpr7
.LBB30_1519:
	s_and_b32 vcc_lo, exec_lo, s3
	s_mov_b32 s3, 0
	s_cbranch_vccz .LBB30_1521
; %bb.1520:
	v_cmp_ne_u16_e64 s0, 11, v6
	s_mov_b32 s3, -1
                                        ; implicit-def: $vgpr7
.LBB30_1521:
	s_delay_alu instid0(VALU_DEP_1)
	s_and_b32 vcc_lo, exec_lo, s0
	s_cbranch_vccnz .LBB30_2010
; %bb.1522:
	s_and_not1_b32 vcc_lo, exec_lo, s3
	s_cbranch_vccnz .LBB30_1524
.LBB30_1523:
	global_load_u8 v2, v[0:1], off
	s_mov_b32 s6, -1
	s_waitcnt vmcnt(0)
	v_cmp_ne_u16_e32 vcc_lo, 0, v2
	v_cndmask_b32_e64 v7, 0, 1, vcc_lo
.LBB30_1524:
	s_mov_b32 s0, 0
.LBB30_1525:
	s_delay_alu instid0(SALU_CYCLE_1)
	s_and_b32 vcc_lo, exec_lo, s0
	s_cbranch_vccz .LBB30_1574
; %bb.1526:
	v_cmp_gt_i16_e32 vcc_lo, 5, v6
	s_cbranch_vccnz .LBB30_1531
; %bb.1527:
	v_cmp_gt_i16_e32 vcc_lo, 8, v6
	s_cbranch_vccnz .LBB30_1532
	;; [unrolled: 3-line block ×3, first 2 shown]
; %bb.1529:
	v_cmp_lt_i16_e32 vcc_lo, 9, v6
	s_cbranch_vccz .LBB30_1534
; %bb.1530:
	global_load_b64 v[2:3], v[0:1], off
	s_mov_b32 s0, 0
	s_waitcnt vmcnt(0)
	v_cvt_i32_f64_e32 v7, v[2:3]
	s_branch .LBB30_1535
.LBB30_1531:
	s_mov_b32 s0, -1
                                        ; implicit-def: $vgpr7
	s_branch .LBB30_1553
.LBB30_1532:
	s_mov_b32 s0, -1
                                        ; implicit-def: $vgpr7
	s_branch .LBB30_1541
.LBB30_1533:
	s_mov_b32 s0, -1
                                        ; implicit-def: $vgpr7
	s_branch .LBB30_1538
.LBB30_1534:
	s_mov_b32 s0, -1
                                        ; implicit-def: $vgpr7
.LBB30_1535:
	s_delay_alu instid0(SALU_CYCLE_1)
	s_and_not1_b32 vcc_lo, exec_lo, s0
	s_cbranch_vccnz .LBB30_1537
; %bb.1536:
	global_load_b32 v2, v[0:1], off
	s_waitcnt vmcnt(0)
	v_cvt_i32_f32_e32 v7, v2
.LBB30_1537:
	s_mov_b32 s0, 0
.LBB30_1538:
	s_delay_alu instid0(SALU_CYCLE_1)
	s_and_not1_b32 vcc_lo, exec_lo, s0
	s_cbranch_vccnz .LBB30_1540
; %bb.1539:
	global_load_b32 v2, v[0:1], off
	s_waitcnt vmcnt(0)
	v_cvt_f32_f16_e32 v2, v2
	s_delay_alu instid0(VALU_DEP_1)
	v_cvt_i32_f32_e32 v7, v2
.LBB30_1540:
	s_mov_b32 s0, 0
.LBB30_1541:
	s_delay_alu instid0(SALU_CYCLE_1)
	s_and_not1_b32 vcc_lo, exec_lo, s0
	s_cbranch_vccnz .LBB30_1552
; %bb.1542:
	v_cmp_gt_i16_e32 vcc_lo, 6, v6
	s_cbranch_vccnz .LBB30_1545
; %bb.1543:
	v_cmp_lt_i16_e32 vcc_lo, 6, v6
	s_cbranch_vccz .LBB30_1546
; %bb.1544:
	global_load_b64 v[2:3], v[0:1], off
	s_mov_b32 s0, 0
	s_waitcnt vmcnt(0)
	v_cvt_i32_f64_e32 v7, v[2:3]
	s_branch .LBB30_1547
.LBB30_1545:
	s_mov_b32 s0, -1
                                        ; implicit-def: $vgpr7
	s_branch .LBB30_1550
.LBB30_1546:
	s_mov_b32 s0, -1
                                        ; implicit-def: $vgpr7
.LBB30_1547:
	s_delay_alu instid0(SALU_CYCLE_1)
	s_and_not1_b32 vcc_lo, exec_lo, s0
	s_cbranch_vccnz .LBB30_1549
; %bb.1548:
	global_load_b32 v2, v[0:1], off
	s_waitcnt vmcnt(0)
	v_cvt_i32_f32_e32 v7, v2
.LBB30_1549:
	s_mov_b32 s0, 0
.LBB30_1550:
	s_delay_alu instid0(SALU_CYCLE_1)
	s_and_not1_b32 vcc_lo, exec_lo, s0
	s_cbranch_vccnz .LBB30_1552
; %bb.1551:
	global_load_u16 v2, v[0:1], off
	s_waitcnt vmcnt(0)
	v_cvt_f32_f16_e32 v2, v2
	s_delay_alu instid0(VALU_DEP_1)
	v_cvt_i32_f32_e32 v7, v2
.LBB30_1552:
	s_mov_b32 s0, 0
.LBB30_1553:
	s_delay_alu instid0(SALU_CYCLE_1)
	s_and_not1_b32 vcc_lo, exec_lo, s0
	s_cbranch_vccnz .LBB30_1573
; %bb.1554:
	v_cmp_gt_i16_e32 vcc_lo, 2, v6
	s_cbranch_vccnz .LBB30_1558
; %bb.1555:
	v_cmp_gt_i16_e32 vcc_lo, 3, v6
	s_cbranch_vccnz .LBB30_1559
; %bb.1556:
	v_cmp_lt_i16_e32 vcc_lo, 3, v6
	s_cbranch_vccz .LBB30_1560
; %bb.1557:
	global_load_b32 v7, v[0:1], off
	s_mov_b32 s0, 0
	s_branch .LBB30_1561
.LBB30_1558:
	s_mov_b32 s0, -1
                                        ; implicit-def: $vgpr7
	s_branch .LBB30_1567
.LBB30_1559:
	s_mov_b32 s0, -1
                                        ; implicit-def: $vgpr7
	s_branch .LBB30_1564
.LBB30_1560:
	s_mov_b32 s0, -1
                                        ; implicit-def: $vgpr7
.LBB30_1561:
	s_delay_alu instid0(SALU_CYCLE_1)
	s_and_not1_b32 vcc_lo, exec_lo, s0
	s_cbranch_vccnz .LBB30_1563
; %bb.1562:
	global_load_b32 v7, v[0:1], off
.LBB30_1563:
	s_mov_b32 s0, 0
.LBB30_1564:
	s_delay_alu instid0(SALU_CYCLE_1)
	s_and_not1_b32 vcc_lo, exec_lo, s0
	s_cbranch_vccnz .LBB30_1566
; %bb.1565:
	global_load_i16 v7, v[0:1], off
.LBB30_1566:
	s_mov_b32 s0, 0
.LBB30_1567:
	s_delay_alu instid0(SALU_CYCLE_1)
	s_and_not1_b32 vcc_lo, exec_lo, s0
	s_cbranch_vccnz .LBB30_1573
; %bb.1568:
	v_cmp_lt_i16_e32 vcc_lo, 0, v6
	s_mov_b32 s0, 0
	s_cbranch_vccz .LBB30_1570
; %bb.1569:
	global_load_i8 v7, v[0:1], off
	s_branch .LBB30_1571
.LBB30_1570:
	s_mov_b32 s0, -1
                                        ; implicit-def: $vgpr7
.LBB30_1571:
	s_delay_alu instid0(SALU_CYCLE_1)
	s_and_not1_b32 vcc_lo, exec_lo, s0
	s_cbranch_vccnz .LBB30_1573
; %bb.1572:
	global_load_u8 v7, v[0:1], off
.LBB30_1573:
	s_mov_b32 s6, -1
.LBB30_1574:
	s_delay_alu instid0(SALU_CYCLE_1)
	s_and_not1_b32 vcc_lo, exec_lo, s6
	s_cbranch_vccnz .LBB30_2008
; %bb.1575:
	v_mul_lo_u32 v5, s2, v5
	v_and_b32_e32 v11, 0xff, v4
	s_waitcnt vmcnt(0)
	v_not_b32_e32 v0, v10
	s_delay_alu instid0(VALU_DEP_2) | instskip(NEXT) | instid1(VALU_DEP_4)
	v_cmp_gt_i16_e32 vcc_lo, 11, v11
	v_ashrrev_i32_e32 v1, 31, v5
	v_add_co_u32 v2, s0, s4, v5
	s_delay_alu instid0(VALU_DEP_1)
	v_add_co_ci_u32_e64 v3, s0, s5, v1, s0
	s_cbranch_vccnz .LBB30_1653
; %bb.1576:
	v_cmp_lt_i16_e32 vcc_lo, 25, v11
	s_mov_b32 s7, -1
	s_mov_b32 s3, 0
	s_mov_b32 s6, 0
	;; [unrolled: 1-line block ×3, first 2 shown]
	s_cbranch_vccz .LBB30_1609
; %bb.1577:
	v_cmp_lt_i16_e32 vcc_lo, 28, v11
	s_cbranch_vccz .LBB30_1592
; %bb.1578:
	v_cmp_lt_i16_e32 vcc_lo, 43, v11
	;; [unrolled: 3-line block ×3, first 2 shown]
	s_cbranch_vccz .LBB30_1582
; %bb.1580:
	v_cmp_eq_u16_e32 vcc_lo, 46, v11
	s_mov_b32 s0, -1
	s_mov_b32 s7, 0
	s_cbranch_vccz .LBB30_1582
; %bb.1581:
	v_cvt_f32_i32_e32 v1, v0
	s_mov_b32 s0, 0
	s_mov_b32 s6, -1
	s_delay_alu instid0(VALU_DEP_1) | instskip(NEXT) | instid1(VALU_DEP_1)
	v_bfe_u32 v4, v1, 16, 1
	v_add3_u32 v1, v1, v4, 0x7fff
	s_delay_alu instid0(VALU_DEP_1)
	v_lshrrev_b32_e32 v1, 16, v1
	global_store_b32 v[2:3], v1, off
.LBB30_1582:
	s_and_b32 vcc_lo, exec_lo, s7
	s_cbranch_vccz .LBB30_1587
; %bb.1583:
	v_cmp_eq_u16_e32 vcc_lo, 44, v11
	s_mov_b32 s0, -1
	s_cbranch_vccz .LBB30_1587
; %bb.1584:
	v_cvt_f32_i32_e32 v1, v0
	v_mov_b32_e32 v4, 0xff
	s_mov_b32 s6, exec_lo
	s_delay_alu instid0(VALU_DEP_2) | instskip(NEXT) | instid1(VALU_DEP_1)
	v_bfe_u32 v6, v1, 23, 8
	v_cmpx_ne_u32_e32 0xff, v6
; %bb.1585:
	v_and_b32_e32 v4, 0x400000, v1
	v_and_or_b32 v6, 0x3fffff, v1, v6
	v_lshrrev_b32_e32 v1, 23, v1
	s_delay_alu instid0(VALU_DEP_3) | instskip(NEXT) | instid1(VALU_DEP_3)
	v_cmp_ne_u32_e32 vcc_lo, 0, v4
	v_cmp_ne_u32_e64 s0, 0, v6
	s_delay_alu instid0(VALU_DEP_1) | instskip(NEXT) | instid1(SALU_CYCLE_1)
	s_and_b32 s0, vcc_lo, s0
	v_cndmask_b32_e64 v4, 0, 1, s0
	s_delay_alu instid0(VALU_DEP_1)
	v_add_nc_u32_e32 v4, v1, v4
; %bb.1586:
	s_or_b32 exec_lo, exec_lo, s6
	s_mov_b32 s0, 0
	s_mov_b32 s6, -1
	global_store_b8 v[2:3], v4, off
.LBB30_1587:
	s_mov_b32 s7, 0
.LBB30_1588:
	s_delay_alu instid0(SALU_CYCLE_1)
	s_and_b32 vcc_lo, exec_lo, s7
	s_cbranch_vccz .LBB30_1591
; %bb.1589:
	v_cmp_eq_u16_e32 vcc_lo, 29, v11
	s_mov_b32 s0, -1
	s_cbranch_vccz .LBB30_1591
; %bb.1590:
	v_ashrrev_i32_e32 v1, 31, v0
	s_mov_b32 s0, 0
	s_mov_b32 s6, -1
	global_store_b64 v[2:3], v[0:1], off
.LBB30_1591:
	s_mov_b32 s7, 0
.LBB30_1592:
	s_delay_alu instid0(SALU_CYCLE_1)
	s_and_b32 vcc_lo, exec_lo, s7
	s_cbranch_vccz .LBB30_1608
; %bb.1593:
	v_cmp_gt_i16_e32 vcc_lo, 27, v11
	s_mov_b32 s6, -1
	s_cbranch_vccnz .LBB30_1599
; %bb.1594:
	v_cmp_lt_i16_e32 vcc_lo, 27, v11
	s_cbranch_vccz .LBB30_1596
; %bb.1595:
	s_mov_b32 s6, 0
	global_store_b32 v[2:3], v0, off
.LBB30_1596:
	s_and_not1_b32 vcc_lo, exec_lo, s6
	s_cbranch_vccnz .LBB30_1598
; %bb.1597:
	global_store_b16 v[2:3], v0, off
.LBB30_1598:
	s_mov_b32 s6, 0
.LBB30_1599:
	s_delay_alu instid0(SALU_CYCLE_1)
	s_and_not1_b32 vcc_lo, exec_lo, s6
	s_cbranch_vccnz .LBB30_1607
; %bb.1600:
	v_cvt_f32_i32_e32 v1, v0
	v_mov_b32_e32 v6, 0x80
	s_mov_b32 s6, exec_lo
	s_delay_alu instid0(VALU_DEP_2) | instskip(NEXT) | instid1(VALU_DEP_1)
	v_and_b32_e32 v4, 0x7fffffff, v1
	v_cmpx_gt_u32_e32 0x43800000, v4
	s_cbranch_execz .LBB30_1606
; %bb.1601:
	v_cmp_lt_u32_e32 vcc_lo, 0x3bffffff, v4
	s_mov_b32 s7, 0
                                        ; implicit-def: $vgpr4
	s_and_saveexec_b32 s10, vcc_lo
	s_delay_alu instid0(SALU_CYCLE_1)
	s_xor_b32 s10, exec_lo, s10
	s_cbranch_execz .LBB30_2012
; %bb.1602:
	v_bfe_u32 v4, v1, 20, 1
	s_mov_b32 s7, exec_lo
	s_delay_alu instid0(VALU_DEP_1) | instskip(NEXT) | instid1(VALU_DEP_1)
	v_add3_u32 v4, v1, v4, 0x487ffff
	v_lshrrev_b32_e32 v4, 20, v4
	s_or_saveexec_b32 s10, s10
                                        ; implicit-def: $sgpr11
	s_delay_alu instid0(SALU_CYCLE_1)
	s_xor_b32 exec_lo, exec_lo, s10
	s_cbranch_execnz .LBB30_2013
.LBB30_1603:
	s_or_b32 exec_lo, exec_lo, s10
	v_mov_b32_e32 v6, s11
	s_and_saveexec_b32 s10, s7
.LBB30_1604:
	v_lshrrev_b32_e32 v1, 24, v1
	s_delay_alu instid0(VALU_DEP_1)
	v_and_or_b32 v6, 0x80, v1, v4
.LBB30_1605:
	s_or_b32 exec_lo, exec_lo, s10
.LBB30_1606:
	s_delay_alu instid0(SALU_CYCLE_1)
	s_or_b32 exec_lo, exec_lo, s6
	global_store_b8 v[2:3], v6, off
.LBB30_1607:
	s_mov_b32 s6, -1
.LBB30_1608:
	s_mov_b32 s7, 0
.LBB30_1609:
	s_delay_alu instid0(SALU_CYCLE_1)
	s_and_b32 vcc_lo, exec_lo, s7
	s_cbranch_vccz .LBB30_1649
; %bb.1610:
	v_cmp_lt_i16_e32 vcc_lo, 22, v11
	s_mov_b32 s3, -1
	s_cbranch_vccz .LBB30_1642
; %bb.1611:
	v_cmp_gt_i16_e32 vcc_lo, 24, v11
	s_cbranch_vccnz .LBB30_1631
; %bb.1612:
	v_cmp_lt_i16_e32 vcc_lo, 24, v11
	s_cbranch_vccz .LBB30_1620
; %bb.1613:
	v_cvt_f32_i32_e32 v1, v0
	v_mov_b32_e32 v6, 0x80
	s_mov_b32 s3, exec_lo
	s_delay_alu instid0(VALU_DEP_2) | instskip(NEXT) | instid1(VALU_DEP_1)
	v_and_b32_e32 v4, 0x7fffffff, v1
	v_cmpx_gt_u32_e32 0x47800000, v4
	s_cbranch_execz .LBB30_1619
; %bb.1614:
	v_cmp_lt_u32_e32 vcc_lo, 0x37ffffff, v4
	s_mov_b32 s6, 0
                                        ; implicit-def: $vgpr4
	s_and_saveexec_b32 s7, vcc_lo
	s_delay_alu instid0(SALU_CYCLE_1)
	s_xor_b32 s7, exec_lo, s7
	s_cbranch_execz .LBB30_2018
; %bb.1615:
	v_bfe_u32 v4, v1, 21, 1
	s_mov_b32 s6, exec_lo
	s_delay_alu instid0(VALU_DEP_1) | instskip(NEXT) | instid1(VALU_DEP_1)
	v_add3_u32 v4, v1, v4, 0x88fffff
	v_lshrrev_b32_e32 v4, 21, v4
	s_or_saveexec_b32 s7, s7
                                        ; implicit-def: $sgpr10
	s_delay_alu instid0(SALU_CYCLE_1)
	s_xor_b32 exec_lo, exec_lo, s7
	s_cbranch_execnz .LBB30_2019
.LBB30_1616:
	s_or_b32 exec_lo, exec_lo, s7
	v_mov_b32_e32 v6, s10
	s_and_saveexec_b32 s7, s6
.LBB30_1617:
	v_lshrrev_b32_e32 v1, 24, v1
	s_delay_alu instid0(VALU_DEP_1)
	v_and_or_b32 v6, 0x80, v1, v4
.LBB30_1618:
	s_or_b32 exec_lo, exec_lo, s7
.LBB30_1619:
	s_delay_alu instid0(SALU_CYCLE_1)
	s_or_b32 exec_lo, exec_lo, s3
	s_mov_b32 s3, 0
	global_store_b8 v[2:3], v6, off
.LBB30_1620:
	s_and_b32 vcc_lo, exec_lo, s3
	s_cbranch_vccz .LBB30_1630
; %bb.1621:
	v_cvt_f32_i32_e32 v1, v0
	s_mov_b32 s3, exec_lo
                                        ; implicit-def: $vgpr4
	s_delay_alu instid0(VALU_DEP_1) | instskip(NEXT) | instid1(VALU_DEP_1)
	v_and_b32_e32 v6, 0x7fffffff, v1
	v_cmpx_gt_u32_e32 0x43f00000, v6
	s_xor_b32 s3, exec_lo, s3
	s_cbranch_execz .LBB30_1627
; %bb.1622:
	s_mov_b32 s6, exec_lo
                                        ; implicit-def: $vgpr4
	v_cmpx_lt_u32_e32 0x3c7fffff, v6
	s_xor_b32 s6, exec_lo, s6
; %bb.1623:
	v_bfe_u32 v4, v1, 20, 1
	s_delay_alu instid0(VALU_DEP_1) | instskip(NEXT) | instid1(VALU_DEP_1)
	v_add3_u32 v4, v1, v4, 0x407ffff
	v_and_b32_e32 v6, 0xff00000, v4
	v_lshrrev_b32_e32 v4, 20, v4
	s_delay_alu instid0(VALU_DEP_2) | instskip(NEXT) | instid1(VALU_DEP_2)
	v_cmp_ne_u32_e32 vcc_lo, 0x7f00000, v6
	v_cndmask_b32_e32 v4, 0x7e, v4, vcc_lo
; %bb.1624:
	s_and_not1_saveexec_b32 s6, s6
; %bb.1625:
	v_add_f32_e64 v4, 0x46800000, |v1|
; %bb.1626:
	s_or_b32 exec_lo, exec_lo, s6
                                        ; implicit-def: $vgpr6
.LBB30_1627:
	s_and_not1_saveexec_b32 s3, s3
; %bb.1628:
	v_mov_b32_e32 v4, 0x7f
	v_cmp_lt_u32_e32 vcc_lo, 0x7f800000, v6
	s_delay_alu instid0(VALU_DEP_2)
	v_cndmask_b32_e32 v4, 0x7e, v4, vcc_lo
; %bb.1629:
	s_or_b32 exec_lo, exec_lo, s3
	v_lshrrev_b32_e32 v1, 24, v1
	s_delay_alu instid0(VALU_DEP_1)
	v_and_or_b32 v1, 0x80, v1, v4
	global_store_b8 v[2:3], v1, off
.LBB30_1630:
	s_mov_b32 s3, 0
.LBB30_1631:
	s_delay_alu instid0(SALU_CYCLE_1)
	s_and_not1_b32 vcc_lo, exec_lo, s3
	s_cbranch_vccnz .LBB30_1641
; %bb.1632:
	v_cvt_f32_i32_e32 v1, v0
	s_mov_b32 s3, exec_lo
                                        ; implicit-def: $vgpr4
	s_delay_alu instid0(VALU_DEP_1) | instskip(NEXT) | instid1(VALU_DEP_1)
	v_and_b32_e32 v6, 0x7fffffff, v1
	v_cmpx_gt_u32_e32 0x47800000, v6
	s_xor_b32 s3, exec_lo, s3
	s_cbranch_execz .LBB30_1638
; %bb.1633:
	s_mov_b32 s6, exec_lo
                                        ; implicit-def: $vgpr4
	v_cmpx_lt_u32_e32 0x387fffff, v6
	s_xor_b32 s6, exec_lo, s6
; %bb.1634:
	v_bfe_u32 v4, v1, 21, 1
	s_delay_alu instid0(VALU_DEP_1) | instskip(NEXT) | instid1(VALU_DEP_1)
	v_add3_u32 v4, v1, v4, 0x80fffff
	v_lshrrev_b32_e32 v4, 21, v4
; %bb.1635:
	s_and_not1_saveexec_b32 s6, s6
; %bb.1636:
	v_add_f32_e64 v4, 0x43000000, |v1|
; %bb.1637:
	s_or_b32 exec_lo, exec_lo, s6
                                        ; implicit-def: $vgpr6
.LBB30_1638:
	s_and_not1_saveexec_b32 s3, s3
; %bb.1639:
	v_mov_b32_e32 v4, 0x7f
	v_cmp_lt_u32_e32 vcc_lo, 0x7f800000, v6
	s_delay_alu instid0(VALU_DEP_2)
	v_cndmask_b32_e32 v4, 0x7c, v4, vcc_lo
; %bb.1640:
	s_or_b32 exec_lo, exec_lo, s3
	v_lshrrev_b32_e32 v1, 24, v1
	s_delay_alu instid0(VALU_DEP_1)
	v_and_or_b32 v1, 0x80, v1, v4
	global_store_b8 v[2:3], v1, off
.LBB30_1641:
	s_mov_b32 s3, 0
	s_mov_b32 s6, -1
.LBB30_1642:
	s_and_not1_b32 vcc_lo, exec_lo, s3
	s_mov_b32 s3, 0
	s_cbranch_vccnz .LBB30_1649
; %bb.1643:
	v_cmp_lt_i16_e32 vcc_lo, 14, v11
	s_mov_b32 s3, -1
	s_cbranch_vccz .LBB30_1647
; %bb.1644:
	v_cmp_eq_u16_e32 vcc_lo, 15, v11
	s_mov_b32 s0, -1
	s_cbranch_vccz .LBB30_1646
; %bb.1645:
	v_cvt_f32_i32_e32 v1, v0
	s_mov_b32 s0, 0
	s_mov_b32 s6, -1
	s_delay_alu instid0(VALU_DEP_1) | instskip(NEXT) | instid1(VALU_DEP_1)
	v_bfe_u32 v4, v1, 16, 1
	v_add3_u32 v1, v1, v4, 0x7fff
	global_store_d16_hi_b16 v[2:3], v1, off
.LBB30_1646:
	s_mov_b32 s3, 0
.LBB30_1647:
	s_delay_alu instid0(SALU_CYCLE_1)
	s_and_b32 vcc_lo, exec_lo, s3
	s_mov_b32 s3, 0
	s_cbranch_vccz .LBB30_1649
; %bb.1648:
	v_cmp_ne_u16_e64 s0, 11, v11
	s_mov_b32 s3, -1
.LBB30_1649:
	s_delay_alu instid0(VALU_DEP_1)
	s_and_b32 vcc_lo, exec_lo, s0
	s_cbranch_vccnz .LBB30_2016
; %bb.1650:
	s_and_not1_b32 vcc_lo, exec_lo, s3
	s_cbranch_vccnz .LBB30_1652
.LBB30_1651:
	v_cmp_ne_u32_e32 vcc_lo, -1, v10
	s_mov_b32 s6, -1
	v_cndmask_b32_e64 v1, 0, 1, vcc_lo
	global_store_b8 v[2:3], v1, off
.LBB30_1652:
	s_mov_b32 s0, 0
	s_branch .LBB30_1654
.LBB30_1653:
	s_mov_b32 s0, -1
	s_mov_b32 s6, 0
.LBB30_1654:
	s_and_b32 vcc_lo, exec_lo, s0
	s_cbranch_vccz .LBB30_1693
; %bb.1655:
	v_cmp_gt_i16_e32 vcc_lo, 5, v11
	s_mov_b32 s0, -1
	s_cbranch_vccnz .LBB30_1676
; %bb.1656:
	v_cmp_gt_i16_e32 vcc_lo, 8, v11
	s_cbranch_vccnz .LBB30_1666
; %bb.1657:
	v_cmp_gt_i16_e32 vcc_lo, 9, v11
	s_cbranch_vccnz .LBB30_1663
; %bb.1658:
	v_cmp_lt_i16_e32 vcc_lo, 9, v11
	s_cbranch_vccz .LBB30_1660
; %bb.1659:
	v_cvt_f64_i32_e32 v[12:13], v0
	v_mov_b32_e32 v14, 0
	s_mov_b32 s0, 0
	s_delay_alu instid0(VALU_DEP_1)
	v_mov_b32_e32 v15, v14
	global_store_b128 v[2:3], v[12:15], off
.LBB30_1660:
	s_and_not1_b32 vcc_lo, exec_lo, s0
	s_cbranch_vccnz .LBB30_1662
; %bb.1661:
	v_cvt_f32_i32_e32 v12, v0
	v_mov_b32_e32 v13, 0
	global_store_b64 v[2:3], v[12:13], off
.LBB30_1662:
	s_mov_b32 s0, 0
.LBB30_1663:
	s_delay_alu instid0(SALU_CYCLE_1)
	s_and_not1_b32 vcc_lo, exec_lo, s0
	s_cbranch_vccnz .LBB30_1665
; %bb.1664:
	v_cvt_f32_i32_e32 v1, v0
	s_delay_alu instid0(VALU_DEP_1) | instskip(NEXT) | instid1(VALU_DEP_1)
	v_cvt_f16_f32_e32 v1, v1
	v_and_b32_e32 v1, 0xffff, v1
	global_store_b32 v[2:3], v1, off
.LBB30_1665:
	s_mov_b32 s0, 0
.LBB30_1666:
	s_delay_alu instid0(SALU_CYCLE_1)
	s_and_not1_b32 vcc_lo, exec_lo, s0
	s_cbranch_vccnz .LBB30_1675
; %bb.1667:
	v_cmp_gt_i16_e32 vcc_lo, 6, v11
	s_mov_b32 s0, -1
	s_cbranch_vccnz .LBB30_1673
; %bb.1668:
	v_cmp_lt_i16_e32 vcc_lo, 6, v11
	s_cbranch_vccz .LBB30_1670
; %bb.1669:
	v_cvt_f64_i32_e32 v[12:13], v0
	s_mov_b32 s0, 0
	global_store_b64 v[2:3], v[12:13], off
.LBB30_1670:
	s_and_not1_b32 vcc_lo, exec_lo, s0
	s_cbranch_vccnz .LBB30_1672
; %bb.1671:
	v_cvt_f32_i32_e32 v1, v0
	global_store_b32 v[2:3], v1, off
.LBB30_1672:
	s_mov_b32 s0, 0
.LBB30_1673:
	s_delay_alu instid0(SALU_CYCLE_1)
	s_and_not1_b32 vcc_lo, exec_lo, s0
	s_cbranch_vccnz .LBB30_1675
; %bb.1674:
	v_cvt_f32_i32_e32 v1, v0
	s_delay_alu instid0(VALU_DEP_1)
	v_cvt_f16_f32_e32 v1, v1
	global_store_b16 v[2:3], v1, off
.LBB30_1675:
	s_mov_b32 s0, 0
.LBB30_1676:
	s_delay_alu instid0(SALU_CYCLE_1)
	s_and_not1_b32 vcc_lo, exec_lo, s0
	s_cbranch_vccnz .LBB30_1692
; %bb.1677:
	v_cmp_gt_i16_e32 vcc_lo, 2, v11
	s_mov_b32 s0, -1
	s_cbranch_vccnz .LBB30_1687
; %bb.1678:
	v_cmp_gt_i16_e32 vcc_lo, 3, v11
	s_cbranch_vccnz .LBB30_1684
; %bb.1679:
	v_cmp_lt_i16_e32 vcc_lo, 3, v11
	s_cbranch_vccz .LBB30_1681
; %bb.1680:
	v_ashrrev_i32_e32 v1, 31, v0
	s_mov_b32 s0, 0
	global_store_b64 v[2:3], v[0:1], off
.LBB30_1681:
	s_and_not1_b32 vcc_lo, exec_lo, s0
	s_cbranch_vccnz .LBB30_1683
; %bb.1682:
	global_store_b32 v[2:3], v0, off
.LBB30_1683:
	s_mov_b32 s0, 0
.LBB30_1684:
	s_delay_alu instid0(SALU_CYCLE_1)
	s_and_not1_b32 vcc_lo, exec_lo, s0
	s_cbranch_vccnz .LBB30_1686
; %bb.1685:
	global_store_b16 v[2:3], v0, off
.LBB30_1686:
	s_mov_b32 s0, 0
.LBB30_1687:
	s_delay_alu instid0(SALU_CYCLE_1)
	s_and_not1_b32 vcc_lo, exec_lo, s0
	s_cbranch_vccnz .LBB30_1692
; %bb.1688:
	v_cmp_lt_i16_e32 vcc_lo, 0, v11
	s_mov_b32 s0, -1
	s_cbranch_vccz .LBB30_1690
; %bb.1689:
	s_mov_b32 s0, 0
	global_store_b8 v[2:3], v0, off
.LBB30_1690:
	s_and_not1_b32 vcc_lo, exec_lo, s0
	s_cbranch_vccnz .LBB30_1692
; %bb.1691:
	global_store_b8 v[2:3], v0, off
.LBB30_1692:
	s_mov_b32 s6, -1
.LBB30_1693:
	s_delay_alu instid0(SALU_CYCLE_1)
	s_and_not1_b32 vcc_lo, exec_lo, s6
	s_cbranch_vccnz .LBB30_2008
; %bb.1694:
	s_lshl_b32 s2, s2, 7
	v_cmp_gt_i16_e32 vcc_lo, 11, v11
	v_add_nc_u32_e32 v4, s2, v5
	v_not_b32_e32 v0, v9
	s_delay_alu instid0(VALU_DEP_2) | instskip(SKIP_1) | instid1(VALU_DEP_1)
	v_ashrrev_i32_e32 v1, 31, v4
	v_add_co_u32 v2, s0, s4, v4
	v_add_co_ci_u32_e64 v3, s0, s5, v1, s0
	s_cbranch_vccnz .LBB30_1772
; %bb.1695:
	v_cmp_lt_i16_e32 vcc_lo, 25, v11
	s_mov_b32 s7, -1
	s_mov_b32 s3, 0
	s_mov_b32 s6, 0
	;; [unrolled: 1-line block ×3, first 2 shown]
	s_cbranch_vccz .LBB30_1728
; %bb.1696:
	v_cmp_lt_i16_e32 vcc_lo, 28, v11
	s_cbranch_vccz .LBB30_1711
; %bb.1697:
	v_cmp_lt_i16_e32 vcc_lo, 43, v11
	;; [unrolled: 3-line block ×3, first 2 shown]
	s_cbranch_vccz .LBB30_1701
; %bb.1699:
	v_cmp_eq_u16_e32 vcc_lo, 46, v11
	s_mov_b32 s0, -1
	s_mov_b32 s7, 0
	s_cbranch_vccz .LBB30_1701
; %bb.1700:
	v_cvt_f32_i32_e32 v1, v0
	s_mov_b32 s0, 0
	s_mov_b32 s6, -1
	s_delay_alu instid0(VALU_DEP_1) | instskip(NEXT) | instid1(VALU_DEP_1)
	v_bfe_u32 v5, v1, 16, 1
	v_add3_u32 v1, v1, v5, 0x7fff
	s_delay_alu instid0(VALU_DEP_1)
	v_lshrrev_b32_e32 v1, 16, v1
	global_store_b32 v[2:3], v1, off
.LBB30_1701:
	s_and_b32 vcc_lo, exec_lo, s7
	s_cbranch_vccz .LBB30_1706
; %bb.1702:
	v_cmp_eq_u16_e32 vcc_lo, 44, v11
	s_mov_b32 s0, -1
	s_cbranch_vccz .LBB30_1706
; %bb.1703:
	v_cvt_f32_i32_e32 v1, v0
	v_mov_b32_e32 v5, 0xff
	s_mov_b32 s6, exec_lo
	s_delay_alu instid0(VALU_DEP_2) | instskip(NEXT) | instid1(VALU_DEP_1)
	v_bfe_u32 v6, v1, 23, 8
	v_cmpx_ne_u32_e32 0xff, v6
; %bb.1704:
	v_and_b32_e32 v5, 0x400000, v1
	v_and_or_b32 v6, 0x3fffff, v1, v6
	v_lshrrev_b32_e32 v1, 23, v1
	s_delay_alu instid0(VALU_DEP_3) | instskip(NEXT) | instid1(VALU_DEP_3)
	v_cmp_ne_u32_e32 vcc_lo, 0, v5
	v_cmp_ne_u32_e64 s0, 0, v6
	s_delay_alu instid0(VALU_DEP_1) | instskip(NEXT) | instid1(SALU_CYCLE_1)
	s_and_b32 s0, vcc_lo, s0
	v_cndmask_b32_e64 v5, 0, 1, s0
	s_delay_alu instid0(VALU_DEP_1)
	v_add_nc_u32_e32 v5, v1, v5
; %bb.1705:
	s_or_b32 exec_lo, exec_lo, s6
	s_mov_b32 s0, 0
	s_mov_b32 s6, -1
	global_store_b8 v[2:3], v5, off
.LBB30_1706:
	s_mov_b32 s7, 0
.LBB30_1707:
	s_delay_alu instid0(SALU_CYCLE_1)
	s_and_b32 vcc_lo, exec_lo, s7
	s_cbranch_vccz .LBB30_1710
; %bb.1708:
	v_cmp_eq_u16_e32 vcc_lo, 29, v11
	s_mov_b32 s0, -1
	s_cbranch_vccz .LBB30_1710
; %bb.1709:
	v_ashrrev_i32_e32 v1, 31, v0
	s_mov_b32 s0, 0
	s_mov_b32 s6, -1
	global_store_b64 v[2:3], v[0:1], off
.LBB30_1710:
	s_mov_b32 s7, 0
.LBB30_1711:
	s_delay_alu instid0(SALU_CYCLE_1)
	s_and_b32 vcc_lo, exec_lo, s7
	s_cbranch_vccz .LBB30_1727
; %bb.1712:
	v_cmp_gt_i16_e32 vcc_lo, 27, v11
	s_mov_b32 s6, -1
	s_cbranch_vccnz .LBB30_1718
; %bb.1713:
	v_cmp_lt_i16_e32 vcc_lo, 27, v11
	s_cbranch_vccz .LBB30_1715
; %bb.1714:
	s_mov_b32 s6, 0
	global_store_b32 v[2:3], v0, off
.LBB30_1715:
	s_and_not1_b32 vcc_lo, exec_lo, s6
	s_cbranch_vccnz .LBB30_1717
; %bb.1716:
	global_store_b16 v[2:3], v0, off
.LBB30_1717:
	s_mov_b32 s6, 0
.LBB30_1718:
	s_delay_alu instid0(SALU_CYCLE_1)
	s_and_not1_b32 vcc_lo, exec_lo, s6
	s_cbranch_vccnz .LBB30_1726
; %bb.1719:
	v_cvt_f32_i32_e32 v1, v0
	v_mov_b32_e32 v6, 0x80
	s_mov_b32 s6, exec_lo
	s_delay_alu instid0(VALU_DEP_2) | instskip(NEXT) | instid1(VALU_DEP_1)
	v_and_b32_e32 v5, 0x7fffffff, v1
	v_cmpx_gt_u32_e32 0x43800000, v5
	s_cbranch_execz .LBB30_1725
; %bb.1720:
	v_cmp_lt_u32_e32 vcc_lo, 0x3bffffff, v5
	s_mov_b32 s7, 0
                                        ; implicit-def: $vgpr5
	s_and_saveexec_b32 s10, vcc_lo
	s_delay_alu instid0(SALU_CYCLE_1)
	s_xor_b32 s10, exec_lo, s10
	s_cbranch_execz .LBB30_2020
; %bb.1721:
	v_bfe_u32 v5, v1, 20, 1
	s_mov_b32 s7, exec_lo
	s_delay_alu instid0(VALU_DEP_1) | instskip(NEXT) | instid1(VALU_DEP_1)
	v_add3_u32 v5, v1, v5, 0x487ffff
	v_lshrrev_b32_e32 v5, 20, v5
	s_or_saveexec_b32 s10, s10
                                        ; implicit-def: $sgpr11
	s_delay_alu instid0(SALU_CYCLE_1)
	s_xor_b32 exec_lo, exec_lo, s10
	s_cbranch_execnz .LBB30_2021
.LBB30_1722:
	s_or_b32 exec_lo, exec_lo, s10
	v_mov_b32_e32 v6, s11
	s_and_saveexec_b32 s10, s7
.LBB30_1723:
	v_lshrrev_b32_e32 v1, 24, v1
	s_delay_alu instid0(VALU_DEP_1)
	v_and_or_b32 v6, 0x80, v1, v5
.LBB30_1724:
	s_or_b32 exec_lo, exec_lo, s10
.LBB30_1725:
	s_delay_alu instid0(SALU_CYCLE_1)
	s_or_b32 exec_lo, exec_lo, s6
	global_store_b8 v[2:3], v6, off
.LBB30_1726:
	s_mov_b32 s6, -1
.LBB30_1727:
	s_mov_b32 s7, 0
.LBB30_1728:
	s_delay_alu instid0(SALU_CYCLE_1)
	s_and_b32 vcc_lo, exec_lo, s7
	s_cbranch_vccz .LBB30_1768
; %bb.1729:
	v_cmp_lt_i16_e32 vcc_lo, 22, v11
	s_mov_b32 s3, -1
	s_cbranch_vccz .LBB30_1761
; %bb.1730:
	v_cmp_gt_i16_e32 vcc_lo, 24, v11
	s_cbranch_vccnz .LBB30_1750
; %bb.1731:
	v_cmp_lt_i16_e32 vcc_lo, 24, v11
	s_cbranch_vccz .LBB30_1739
; %bb.1732:
	v_cvt_f32_i32_e32 v1, v0
	v_mov_b32_e32 v6, 0x80
	s_mov_b32 s3, exec_lo
	s_delay_alu instid0(VALU_DEP_2) | instskip(NEXT) | instid1(VALU_DEP_1)
	v_and_b32_e32 v5, 0x7fffffff, v1
	v_cmpx_gt_u32_e32 0x47800000, v5
	s_cbranch_execz .LBB30_1738
; %bb.1733:
	v_cmp_lt_u32_e32 vcc_lo, 0x37ffffff, v5
	s_mov_b32 s6, 0
                                        ; implicit-def: $vgpr5
	s_and_saveexec_b32 s7, vcc_lo
	s_delay_alu instid0(SALU_CYCLE_1)
	s_xor_b32 s7, exec_lo, s7
	s_cbranch_execz .LBB30_2026
; %bb.1734:
	v_bfe_u32 v5, v1, 21, 1
	s_mov_b32 s6, exec_lo
	s_delay_alu instid0(VALU_DEP_1) | instskip(NEXT) | instid1(VALU_DEP_1)
	v_add3_u32 v5, v1, v5, 0x88fffff
	v_lshrrev_b32_e32 v5, 21, v5
	s_or_saveexec_b32 s7, s7
                                        ; implicit-def: $sgpr10
	s_delay_alu instid0(SALU_CYCLE_1)
	s_xor_b32 exec_lo, exec_lo, s7
	s_cbranch_execnz .LBB30_2027
.LBB30_1735:
	s_or_b32 exec_lo, exec_lo, s7
	v_mov_b32_e32 v6, s10
	s_and_saveexec_b32 s7, s6
.LBB30_1736:
	v_lshrrev_b32_e32 v1, 24, v1
	s_delay_alu instid0(VALU_DEP_1)
	v_and_or_b32 v6, 0x80, v1, v5
.LBB30_1737:
	s_or_b32 exec_lo, exec_lo, s7
.LBB30_1738:
	s_delay_alu instid0(SALU_CYCLE_1)
	s_or_b32 exec_lo, exec_lo, s3
	s_mov_b32 s3, 0
	global_store_b8 v[2:3], v6, off
.LBB30_1739:
	s_and_b32 vcc_lo, exec_lo, s3
	s_cbranch_vccz .LBB30_1749
; %bb.1740:
	v_cvt_f32_i32_e32 v1, v0
	s_mov_b32 s3, exec_lo
                                        ; implicit-def: $vgpr5
	s_delay_alu instid0(VALU_DEP_1) | instskip(NEXT) | instid1(VALU_DEP_1)
	v_and_b32_e32 v6, 0x7fffffff, v1
	v_cmpx_gt_u32_e32 0x43f00000, v6
	s_xor_b32 s3, exec_lo, s3
	s_cbranch_execz .LBB30_1746
; %bb.1741:
	s_mov_b32 s6, exec_lo
                                        ; implicit-def: $vgpr5
	v_cmpx_lt_u32_e32 0x3c7fffff, v6
	s_xor_b32 s6, exec_lo, s6
; %bb.1742:
	v_bfe_u32 v5, v1, 20, 1
	s_delay_alu instid0(VALU_DEP_1) | instskip(NEXT) | instid1(VALU_DEP_1)
	v_add3_u32 v5, v1, v5, 0x407ffff
	v_and_b32_e32 v6, 0xff00000, v5
	v_lshrrev_b32_e32 v5, 20, v5
	s_delay_alu instid0(VALU_DEP_2) | instskip(NEXT) | instid1(VALU_DEP_2)
	v_cmp_ne_u32_e32 vcc_lo, 0x7f00000, v6
	v_cndmask_b32_e32 v5, 0x7e, v5, vcc_lo
; %bb.1743:
	s_and_not1_saveexec_b32 s6, s6
; %bb.1744:
	v_add_f32_e64 v5, 0x46800000, |v1|
; %bb.1745:
	s_or_b32 exec_lo, exec_lo, s6
                                        ; implicit-def: $vgpr6
.LBB30_1746:
	s_and_not1_saveexec_b32 s3, s3
; %bb.1747:
	v_mov_b32_e32 v5, 0x7f
	v_cmp_lt_u32_e32 vcc_lo, 0x7f800000, v6
	s_delay_alu instid0(VALU_DEP_2)
	v_cndmask_b32_e32 v5, 0x7e, v5, vcc_lo
; %bb.1748:
	s_or_b32 exec_lo, exec_lo, s3
	v_lshrrev_b32_e32 v1, 24, v1
	s_delay_alu instid0(VALU_DEP_1)
	v_and_or_b32 v1, 0x80, v1, v5
	global_store_b8 v[2:3], v1, off
.LBB30_1749:
	s_mov_b32 s3, 0
.LBB30_1750:
	s_delay_alu instid0(SALU_CYCLE_1)
	s_and_not1_b32 vcc_lo, exec_lo, s3
	s_cbranch_vccnz .LBB30_1760
; %bb.1751:
	v_cvt_f32_i32_e32 v1, v0
	s_mov_b32 s3, exec_lo
                                        ; implicit-def: $vgpr5
	s_delay_alu instid0(VALU_DEP_1) | instskip(NEXT) | instid1(VALU_DEP_1)
	v_and_b32_e32 v6, 0x7fffffff, v1
	v_cmpx_gt_u32_e32 0x47800000, v6
	s_xor_b32 s3, exec_lo, s3
	s_cbranch_execz .LBB30_1757
; %bb.1752:
	s_mov_b32 s6, exec_lo
                                        ; implicit-def: $vgpr5
	v_cmpx_lt_u32_e32 0x387fffff, v6
	s_xor_b32 s6, exec_lo, s6
; %bb.1753:
	v_bfe_u32 v5, v1, 21, 1
	s_delay_alu instid0(VALU_DEP_1) | instskip(NEXT) | instid1(VALU_DEP_1)
	v_add3_u32 v5, v1, v5, 0x80fffff
	v_lshrrev_b32_e32 v5, 21, v5
; %bb.1754:
	s_and_not1_saveexec_b32 s6, s6
; %bb.1755:
	v_add_f32_e64 v5, 0x43000000, |v1|
; %bb.1756:
	s_or_b32 exec_lo, exec_lo, s6
                                        ; implicit-def: $vgpr6
.LBB30_1757:
	s_and_not1_saveexec_b32 s3, s3
; %bb.1758:
	v_mov_b32_e32 v5, 0x7f
	v_cmp_lt_u32_e32 vcc_lo, 0x7f800000, v6
	s_delay_alu instid0(VALU_DEP_2)
	v_cndmask_b32_e32 v5, 0x7c, v5, vcc_lo
; %bb.1759:
	s_or_b32 exec_lo, exec_lo, s3
	v_lshrrev_b32_e32 v1, 24, v1
	s_delay_alu instid0(VALU_DEP_1)
	v_and_or_b32 v1, 0x80, v1, v5
	global_store_b8 v[2:3], v1, off
.LBB30_1760:
	s_mov_b32 s3, 0
	s_mov_b32 s6, -1
.LBB30_1761:
	s_and_not1_b32 vcc_lo, exec_lo, s3
	s_mov_b32 s3, 0
	s_cbranch_vccnz .LBB30_1768
; %bb.1762:
	v_cmp_lt_i16_e32 vcc_lo, 14, v11
	s_mov_b32 s3, -1
	s_cbranch_vccz .LBB30_1766
; %bb.1763:
	v_cmp_eq_u16_e32 vcc_lo, 15, v11
	s_mov_b32 s0, -1
	s_cbranch_vccz .LBB30_1765
; %bb.1764:
	v_cvt_f32_i32_e32 v1, v0
	s_mov_b32 s0, 0
	s_mov_b32 s6, -1
	s_delay_alu instid0(VALU_DEP_1) | instskip(NEXT) | instid1(VALU_DEP_1)
	v_bfe_u32 v5, v1, 16, 1
	v_add3_u32 v1, v1, v5, 0x7fff
	global_store_d16_hi_b16 v[2:3], v1, off
.LBB30_1765:
	s_mov_b32 s3, 0
.LBB30_1766:
	s_delay_alu instid0(SALU_CYCLE_1)
	s_and_b32 vcc_lo, exec_lo, s3
	s_mov_b32 s3, 0
	s_cbranch_vccz .LBB30_1768
; %bb.1767:
	v_cmp_ne_u16_e64 s0, 11, v11
	s_mov_b32 s3, -1
.LBB30_1768:
	s_delay_alu instid0(VALU_DEP_1)
	s_and_b32 vcc_lo, exec_lo, s0
	s_cbranch_vccnz .LBB30_2024
; %bb.1769:
	s_and_not1_b32 vcc_lo, exec_lo, s3
	s_cbranch_vccnz .LBB30_1771
.LBB30_1770:
	v_cmp_ne_u32_e32 vcc_lo, -1, v9
	s_mov_b32 s6, -1
	v_cndmask_b32_e64 v1, 0, 1, vcc_lo
	global_store_b8 v[2:3], v1, off
.LBB30_1771:
	s_mov_b32 s0, 0
	s_branch .LBB30_1773
.LBB30_1772:
	s_mov_b32 s0, -1
	s_mov_b32 s6, 0
.LBB30_1773:
	s_and_b32 vcc_lo, exec_lo, s0
	s_cbranch_vccz .LBB30_1812
; %bb.1774:
	v_cmp_gt_i16_e32 vcc_lo, 5, v11
	s_mov_b32 s0, -1
	s_cbranch_vccnz .LBB30_1795
; %bb.1775:
	v_cmp_gt_i16_e32 vcc_lo, 8, v11
	s_cbranch_vccnz .LBB30_1785
; %bb.1776:
	v_cmp_gt_i16_e32 vcc_lo, 9, v11
	s_cbranch_vccnz .LBB30_1782
; %bb.1777:
	v_cmp_lt_i16_e32 vcc_lo, 9, v11
	s_cbranch_vccz .LBB30_1779
; %bb.1778:
	v_cvt_f64_i32_e32 v[12:13], v0
	v_mov_b32_e32 v14, 0
	s_mov_b32 s0, 0
	s_delay_alu instid0(VALU_DEP_1)
	v_mov_b32_e32 v15, v14
	global_store_b128 v[2:3], v[12:15], off
.LBB30_1779:
	s_and_not1_b32 vcc_lo, exec_lo, s0
	s_cbranch_vccnz .LBB30_1781
; %bb.1780:
	v_cvt_f32_i32_e32 v5, v0
	v_mov_b32_e32 v6, 0
	global_store_b64 v[2:3], v[5:6], off
.LBB30_1781:
	s_mov_b32 s0, 0
.LBB30_1782:
	s_delay_alu instid0(SALU_CYCLE_1)
	s_and_not1_b32 vcc_lo, exec_lo, s0
	s_cbranch_vccnz .LBB30_1784
; %bb.1783:
	v_cvt_f32_i32_e32 v1, v0
	s_delay_alu instid0(VALU_DEP_1) | instskip(NEXT) | instid1(VALU_DEP_1)
	v_cvt_f16_f32_e32 v1, v1
	v_and_b32_e32 v1, 0xffff, v1
	global_store_b32 v[2:3], v1, off
.LBB30_1784:
	s_mov_b32 s0, 0
.LBB30_1785:
	s_delay_alu instid0(SALU_CYCLE_1)
	s_and_not1_b32 vcc_lo, exec_lo, s0
	s_cbranch_vccnz .LBB30_1794
; %bb.1786:
	v_cmp_gt_i16_e32 vcc_lo, 6, v11
	s_mov_b32 s0, -1
	s_cbranch_vccnz .LBB30_1792
; %bb.1787:
	v_cmp_lt_i16_e32 vcc_lo, 6, v11
	s_cbranch_vccz .LBB30_1789
; %bb.1788:
	v_cvt_f64_i32_e32 v[5:6], v0
	s_mov_b32 s0, 0
	global_store_b64 v[2:3], v[5:6], off
.LBB30_1789:
	s_and_not1_b32 vcc_lo, exec_lo, s0
	s_cbranch_vccnz .LBB30_1791
; %bb.1790:
	v_cvt_f32_i32_e32 v1, v0
	global_store_b32 v[2:3], v1, off
.LBB30_1791:
	s_mov_b32 s0, 0
.LBB30_1792:
	s_delay_alu instid0(SALU_CYCLE_1)
	s_and_not1_b32 vcc_lo, exec_lo, s0
	s_cbranch_vccnz .LBB30_1794
; %bb.1793:
	v_cvt_f32_i32_e32 v1, v0
	s_delay_alu instid0(VALU_DEP_1)
	v_cvt_f16_f32_e32 v1, v1
	global_store_b16 v[2:3], v1, off
.LBB30_1794:
	s_mov_b32 s0, 0
.LBB30_1795:
	s_delay_alu instid0(SALU_CYCLE_1)
	s_and_not1_b32 vcc_lo, exec_lo, s0
	s_cbranch_vccnz .LBB30_1811
; %bb.1796:
	v_cmp_gt_i16_e32 vcc_lo, 2, v11
	s_mov_b32 s0, -1
	s_cbranch_vccnz .LBB30_1806
; %bb.1797:
	v_cmp_gt_i16_e32 vcc_lo, 3, v11
	s_cbranch_vccnz .LBB30_1803
; %bb.1798:
	v_cmp_lt_i16_e32 vcc_lo, 3, v11
	s_cbranch_vccz .LBB30_1800
; %bb.1799:
	v_ashrrev_i32_e32 v1, 31, v0
	s_mov_b32 s0, 0
	global_store_b64 v[2:3], v[0:1], off
.LBB30_1800:
	s_and_not1_b32 vcc_lo, exec_lo, s0
	s_cbranch_vccnz .LBB30_1802
; %bb.1801:
	global_store_b32 v[2:3], v0, off
.LBB30_1802:
	s_mov_b32 s0, 0
.LBB30_1803:
	s_delay_alu instid0(SALU_CYCLE_1)
	s_and_not1_b32 vcc_lo, exec_lo, s0
	s_cbranch_vccnz .LBB30_1805
; %bb.1804:
	global_store_b16 v[2:3], v0, off
.LBB30_1805:
	s_mov_b32 s0, 0
.LBB30_1806:
	s_delay_alu instid0(SALU_CYCLE_1)
	s_and_not1_b32 vcc_lo, exec_lo, s0
	s_cbranch_vccnz .LBB30_1811
; %bb.1807:
	v_cmp_lt_i16_e32 vcc_lo, 0, v11
	s_mov_b32 s0, -1
	s_cbranch_vccz .LBB30_1809
; %bb.1808:
	s_mov_b32 s0, 0
	global_store_b8 v[2:3], v0, off
.LBB30_1809:
	s_and_not1_b32 vcc_lo, exec_lo, s0
	s_cbranch_vccnz .LBB30_1811
; %bb.1810:
	global_store_b8 v[2:3], v0, off
.LBB30_1811:
	s_mov_b32 s6, -1
.LBB30_1812:
	s_delay_alu instid0(SALU_CYCLE_1)
	s_and_not1_b32 vcc_lo, exec_lo, s6
	s_cbranch_vccnz .LBB30_2008
; %bb.1813:
	v_add_nc_u32_e32 v4, s2, v4
	v_cmp_gt_i16_e32 vcc_lo, 11, v11
	v_not_b32_e32 v0, v8
	s_delay_alu instid0(VALU_DEP_3) | instskip(SKIP_1) | instid1(VALU_DEP_1)
	v_ashrrev_i32_e32 v1, 31, v4
	v_add_co_u32 v2, s0, s4, v4
	v_add_co_ci_u32_e64 v3, s0, s5, v1, s0
	s_cbranch_vccnz .LBB30_1891
; %bb.1814:
	v_cmp_lt_i16_e32 vcc_lo, 25, v11
	s_mov_b32 s7, -1
	s_mov_b32 s3, 0
	s_mov_b32 s6, 0
	s_mov_b32 s0, 0
	s_cbranch_vccz .LBB30_1847
; %bb.1815:
	v_cmp_lt_i16_e32 vcc_lo, 28, v11
	s_cbranch_vccz .LBB30_1830
; %bb.1816:
	v_cmp_lt_i16_e32 vcc_lo, 43, v11
	;; [unrolled: 3-line block ×3, first 2 shown]
	s_cbranch_vccz .LBB30_1820
; %bb.1818:
	v_cmp_eq_u16_e32 vcc_lo, 46, v11
	s_mov_b32 s0, -1
	s_mov_b32 s7, 0
	s_cbranch_vccz .LBB30_1820
; %bb.1819:
	v_cvt_f32_i32_e32 v1, v0
	s_mov_b32 s0, 0
	s_mov_b32 s6, -1
	s_delay_alu instid0(VALU_DEP_1) | instskip(NEXT) | instid1(VALU_DEP_1)
	v_bfe_u32 v5, v1, 16, 1
	v_add3_u32 v1, v1, v5, 0x7fff
	s_delay_alu instid0(VALU_DEP_1)
	v_lshrrev_b32_e32 v1, 16, v1
	global_store_b32 v[2:3], v1, off
.LBB30_1820:
	s_and_b32 vcc_lo, exec_lo, s7
	s_cbranch_vccz .LBB30_1825
; %bb.1821:
	v_cmp_eq_u16_e32 vcc_lo, 44, v11
	s_mov_b32 s0, -1
	s_cbranch_vccz .LBB30_1825
; %bb.1822:
	v_cvt_f32_i32_e32 v1, v0
	v_mov_b32_e32 v5, 0xff
	s_mov_b32 s6, exec_lo
	s_delay_alu instid0(VALU_DEP_2) | instskip(NEXT) | instid1(VALU_DEP_1)
	v_bfe_u32 v6, v1, 23, 8
	v_cmpx_ne_u32_e32 0xff, v6
; %bb.1823:
	v_and_b32_e32 v5, 0x400000, v1
	v_and_or_b32 v6, 0x3fffff, v1, v6
	v_lshrrev_b32_e32 v1, 23, v1
	s_delay_alu instid0(VALU_DEP_3) | instskip(NEXT) | instid1(VALU_DEP_3)
	v_cmp_ne_u32_e32 vcc_lo, 0, v5
	v_cmp_ne_u32_e64 s0, 0, v6
	s_delay_alu instid0(VALU_DEP_1) | instskip(NEXT) | instid1(SALU_CYCLE_1)
	s_and_b32 s0, vcc_lo, s0
	v_cndmask_b32_e64 v5, 0, 1, s0
	s_delay_alu instid0(VALU_DEP_1)
	v_add_nc_u32_e32 v5, v1, v5
; %bb.1824:
	s_or_b32 exec_lo, exec_lo, s6
	s_mov_b32 s0, 0
	s_mov_b32 s6, -1
	global_store_b8 v[2:3], v5, off
.LBB30_1825:
	s_mov_b32 s7, 0
.LBB30_1826:
	s_delay_alu instid0(SALU_CYCLE_1)
	s_and_b32 vcc_lo, exec_lo, s7
	s_cbranch_vccz .LBB30_1829
; %bb.1827:
	v_cmp_eq_u16_e32 vcc_lo, 29, v11
	s_mov_b32 s0, -1
	s_cbranch_vccz .LBB30_1829
; %bb.1828:
	v_ashrrev_i32_e32 v1, 31, v0
	s_mov_b32 s0, 0
	s_mov_b32 s6, -1
	global_store_b64 v[2:3], v[0:1], off
.LBB30_1829:
	s_mov_b32 s7, 0
.LBB30_1830:
	s_delay_alu instid0(SALU_CYCLE_1)
	s_and_b32 vcc_lo, exec_lo, s7
	s_cbranch_vccz .LBB30_1846
; %bb.1831:
	v_cmp_gt_i16_e32 vcc_lo, 27, v11
	s_mov_b32 s6, -1
	s_cbranch_vccnz .LBB30_1837
; %bb.1832:
	v_cmp_lt_i16_e32 vcc_lo, 27, v11
	s_cbranch_vccz .LBB30_1834
; %bb.1833:
	s_mov_b32 s6, 0
	global_store_b32 v[2:3], v0, off
.LBB30_1834:
	s_and_not1_b32 vcc_lo, exec_lo, s6
	s_cbranch_vccnz .LBB30_1836
; %bb.1835:
	global_store_b16 v[2:3], v0, off
.LBB30_1836:
	s_mov_b32 s6, 0
.LBB30_1837:
	s_delay_alu instid0(SALU_CYCLE_1)
	s_and_not1_b32 vcc_lo, exec_lo, s6
	s_cbranch_vccnz .LBB30_1845
; %bb.1838:
	v_cvt_f32_i32_e32 v1, v0
	v_mov_b32_e32 v6, 0x80
	s_mov_b32 s6, exec_lo
	s_delay_alu instid0(VALU_DEP_2) | instskip(NEXT) | instid1(VALU_DEP_1)
	v_and_b32_e32 v5, 0x7fffffff, v1
	v_cmpx_gt_u32_e32 0x43800000, v5
	s_cbranch_execz .LBB30_1844
; %bb.1839:
	v_cmp_lt_u32_e32 vcc_lo, 0x3bffffff, v5
	s_mov_b32 s7, 0
                                        ; implicit-def: $vgpr5
	s_and_saveexec_b32 s10, vcc_lo
	s_delay_alu instid0(SALU_CYCLE_1)
	s_xor_b32 s10, exec_lo, s10
	s_cbranch_execz .LBB30_2028
; %bb.1840:
	v_bfe_u32 v5, v1, 20, 1
	s_mov_b32 s7, exec_lo
	s_delay_alu instid0(VALU_DEP_1) | instskip(NEXT) | instid1(VALU_DEP_1)
	v_add3_u32 v5, v1, v5, 0x487ffff
	v_lshrrev_b32_e32 v5, 20, v5
	s_or_saveexec_b32 s10, s10
                                        ; implicit-def: $sgpr11
	s_delay_alu instid0(SALU_CYCLE_1)
	s_xor_b32 exec_lo, exec_lo, s10
	s_cbranch_execnz .LBB30_2029
.LBB30_1841:
	s_or_b32 exec_lo, exec_lo, s10
	v_mov_b32_e32 v6, s11
	s_and_saveexec_b32 s10, s7
.LBB30_1842:
	v_lshrrev_b32_e32 v1, 24, v1
	s_delay_alu instid0(VALU_DEP_1)
	v_and_or_b32 v6, 0x80, v1, v5
.LBB30_1843:
	s_or_b32 exec_lo, exec_lo, s10
.LBB30_1844:
	s_delay_alu instid0(SALU_CYCLE_1)
	s_or_b32 exec_lo, exec_lo, s6
	global_store_b8 v[2:3], v6, off
.LBB30_1845:
	s_mov_b32 s6, -1
.LBB30_1846:
	s_mov_b32 s7, 0
.LBB30_1847:
	s_delay_alu instid0(SALU_CYCLE_1)
	s_and_b32 vcc_lo, exec_lo, s7
	s_cbranch_vccz .LBB30_1887
; %bb.1848:
	v_cmp_lt_i16_e32 vcc_lo, 22, v11
	s_mov_b32 s3, -1
	s_cbranch_vccz .LBB30_1880
; %bb.1849:
	v_cmp_gt_i16_e32 vcc_lo, 24, v11
	s_cbranch_vccnz .LBB30_1869
; %bb.1850:
	v_cmp_lt_i16_e32 vcc_lo, 24, v11
	s_cbranch_vccz .LBB30_1858
; %bb.1851:
	v_cvt_f32_i32_e32 v1, v0
	v_mov_b32_e32 v6, 0x80
	s_mov_b32 s3, exec_lo
	s_delay_alu instid0(VALU_DEP_2) | instskip(NEXT) | instid1(VALU_DEP_1)
	v_and_b32_e32 v5, 0x7fffffff, v1
	v_cmpx_gt_u32_e32 0x47800000, v5
	s_cbranch_execz .LBB30_1857
; %bb.1852:
	v_cmp_lt_u32_e32 vcc_lo, 0x37ffffff, v5
	s_mov_b32 s6, 0
                                        ; implicit-def: $vgpr5
	s_and_saveexec_b32 s7, vcc_lo
	s_delay_alu instid0(SALU_CYCLE_1)
	s_xor_b32 s7, exec_lo, s7
	s_cbranch_execz .LBB30_2034
; %bb.1853:
	v_bfe_u32 v5, v1, 21, 1
	s_mov_b32 s6, exec_lo
	s_delay_alu instid0(VALU_DEP_1) | instskip(NEXT) | instid1(VALU_DEP_1)
	v_add3_u32 v5, v1, v5, 0x88fffff
	v_lshrrev_b32_e32 v5, 21, v5
	s_or_saveexec_b32 s7, s7
                                        ; implicit-def: $sgpr10
	s_delay_alu instid0(SALU_CYCLE_1)
	s_xor_b32 exec_lo, exec_lo, s7
	s_cbranch_execnz .LBB30_2035
.LBB30_1854:
	s_or_b32 exec_lo, exec_lo, s7
	v_mov_b32_e32 v6, s10
	s_and_saveexec_b32 s7, s6
.LBB30_1855:
	v_lshrrev_b32_e32 v1, 24, v1
	s_delay_alu instid0(VALU_DEP_1)
	v_and_or_b32 v6, 0x80, v1, v5
.LBB30_1856:
	s_or_b32 exec_lo, exec_lo, s7
.LBB30_1857:
	s_delay_alu instid0(SALU_CYCLE_1)
	s_or_b32 exec_lo, exec_lo, s3
	s_mov_b32 s3, 0
	global_store_b8 v[2:3], v6, off
.LBB30_1858:
	s_and_b32 vcc_lo, exec_lo, s3
	s_cbranch_vccz .LBB30_1868
; %bb.1859:
	v_cvt_f32_i32_e32 v1, v0
	s_mov_b32 s3, exec_lo
                                        ; implicit-def: $vgpr5
	s_delay_alu instid0(VALU_DEP_1) | instskip(NEXT) | instid1(VALU_DEP_1)
	v_and_b32_e32 v6, 0x7fffffff, v1
	v_cmpx_gt_u32_e32 0x43f00000, v6
	s_xor_b32 s3, exec_lo, s3
	s_cbranch_execz .LBB30_1865
; %bb.1860:
	s_mov_b32 s6, exec_lo
                                        ; implicit-def: $vgpr5
	v_cmpx_lt_u32_e32 0x3c7fffff, v6
	s_xor_b32 s6, exec_lo, s6
; %bb.1861:
	v_bfe_u32 v5, v1, 20, 1
	s_delay_alu instid0(VALU_DEP_1) | instskip(NEXT) | instid1(VALU_DEP_1)
	v_add3_u32 v5, v1, v5, 0x407ffff
	v_and_b32_e32 v6, 0xff00000, v5
	v_lshrrev_b32_e32 v5, 20, v5
	s_delay_alu instid0(VALU_DEP_2) | instskip(NEXT) | instid1(VALU_DEP_2)
	v_cmp_ne_u32_e32 vcc_lo, 0x7f00000, v6
	v_cndmask_b32_e32 v5, 0x7e, v5, vcc_lo
; %bb.1862:
	s_and_not1_saveexec_b32 s6, s6
; %bb.1863:
	v_add_f32_e64 v5, 0x46800000, |v1|
; %bb.1864:
	s_or_b32 exec_lo, exec_lo, s6
                                        ; implicit-def: $vgpr6
.LBB30_1865:
	s_and_not1_saveexec_b32 s3, s3
; %bb.1866:
	v_mov_b32_e32 v5, 0x7f
	v_cmp_lt_u32_e32 vcc_lo, 0x7f800000, v6
	s_delay_alu instid0(VALU_DEP_2)
	v_cndmask_b32_e32 v5, 0x7e, v5, vcc_lo
; %bb.1867:
	s_or_b32 exec_lo, exec_lo, s3
	v_lshrrev_b32_e32 v1, 24, v1
	s_delay_alu instid0(VALU_DEP_1)
	v_and_or_b32 v1, 0x80, v1, v5
	global_store_b8 v[2:3], v1, off
.LBB30_1868:
	s_mov_b32 s3, 0
.LBB30_1869:
	s_delay_alu instid0(SALU_CYCLE_1)
	s_and_not1_b32 vcc_lo, exec_lo, s3
	s_cbranch_vccnz .LBB30_1879
; %bb.1870:
	v_cvt_f32_i32_e32 v1, v0
	s_mov_b32 s3, exec_lo
                                        ; implicit-def: $vgpr5
	s_delay_alu instid0(VALU_DEP_1) | instskip(NEXT) | instid1(VALU_DEP_1)
	v_and_b32_e32 v6, 0x7fffffff, v1
	v_cmpx_gt_u32_e32 0x47800000, v6
	s_xor_b32 s3, exec_lo, s3
	s_cbranch_execz .LBB30_1876
; %bb.1871:
	s_mov_b32 s6, exec_lo
                                        ; implicit-def: $vgpr5
	v_cmpx_lt_u32_e32 0x387fffff, v6
	s_xor_b32 s6, exec_lo, s6
; %bb.1872:
	v_bfe_u32 v5, v1, 21, 1
	s_delay_alu instid0(VALU_DEP_1) | instskip(NEXT) | instid1(VALU_DEP_1)
	v_add3_u32 v5, v1, v5, 0x80fffff
	v_lshrrev_b32_e32 v5, 21, v5
; %bb.1873:
	s_and_not1_saveexec_b32 s6, s6
; %bb.1874:
	v_add_f32_e64 v5, 0x43000000, |v1|
; %bb.1875:
	s_or_b32 exec_lo, exec_lo, s6
                                        ; implicit-def: $vgpr6
.LBB30_1876:
	s_and_not1_saveexec_b32 s3, s3
; %bb.1877:
	v_mov_b32_e32 v5, 0x7f
	v_cmp_lt_u32_e32 vcc_lo, 0x7f800000, v6
	s_delay_alu instid0(VALU_DEP_2)
	v_cndmask_b32_e32 v5, 0x7c, v5, vcc_lo
; %bb.1878:
	s_or_b32 exec_lo, exec_lo, s3
	v_lshrrev_b32_e32 v1, 24, v1
	s_delay_alu instid0(VALU_DEP_1)
	v_and_or_b32 v1, 0x80, v1, v5
	global_store_b8 v[2:3], v1, off
.LBB30_1879:
	s_mov_b32 s3, 0
	s_mov_b32 s6, -1
.LBB30_1880:
	s_and_not1_b32 vcc_lo, exec_lo, s3
	s_mov_b32 s3, 0
	s_cbranch_vccnz .LBB30_1887
; %bb.1881:
	v_cmp_lt_i16_e32 vcc_lo, 14, v11
	s_mov_b32 s3, -1
	s_cbranch_vccz .LBB30_1885
; %bb.1882:
	v_cmp_eq_u16_e32 vcc_lo, 15, v11
	s_mov_b32 s0, -1
	s_cbranch_vccz .LBB30_1884
; %bb.1883:
	v_cvt_f32_i32_e32 v1, v0
	s_mov_b32 s0, 0
	s_mov_b32 s6, -1
	s_delay_alu instid0(VALU_DEP_1) | instskip(NEXT) | instid1(VALU_DEP_1)
	v_bfe_u32 v5, v1, 16, 1
	v_add3_u32 v1, v1, v5, 0x7fff
	global_store_d16_hi_b16 v[2:3], v1, off
.LBB30_1884:
	s_mov_b32 s3, 0
.LBB30_1885:
	s_delay_alu instid0(SALU_CYCLE_1)
	s_and_b32 vcc_lo, exec_lo, s3
	s_mov_b32 s3, 0
	s_cbranch_vccz .LBB30_1887
; %bb.1886:
	v_cmp_ne_u16_e64 s0, 11, v11
	s_mov_b32 s3, -1
.LBB30_1887:
	s_delay_alu instid0(VALU_DEP_1)
	s_and_b32 vcc_lo, exec_lo, s0
	s_cbranch_vccnz .LBB30_2032
; %bb.1888:
	s_and_not1_b32 vcc_lo, exec_lo, s3
	s_cbranch_vccnz .LBB30_1890
.LBB30_1889:
	v_cmp_ne_u32_e32 vcc_lo, -1, v8
	s_mov_b32 s6, -1
	v_cndmask_b32_e64 v1, 0, 1, vcc_lo
	global_store_b8 v[2:3], v1, off
.LBB30_1890:
	s_mov_b32 s0, 0
	s_branch .LBB30_1892
.LBB30_1891:
	s_mov_b32 s0, -1
	s_mov_b32 s6, 0
.LBB30_1892:
	s_and_b32 vcc_lo, exec_lo, s0
	s_cbranch_vccz .LBB30_1931
; %bb.1893:
	v_cmp_gt_i16_e32 vcc_lo, 5, v11
	s_mov_b32 s0, -1
	s_cbranch_vccnz .LBB30_1914
; %bb.1894:
	v_cmp_gt_i16_e32 vcc_lo, 8, v11
	s_cbranch_vccnz .LBB30_1904
; %bb.1895:
	v_cmp_gt_i16_e32 vcc_lo, 9, v11
	s_cbranch_vccnz .LBB30_1901
; %bb.1896:
	v_cmp_lt_i16_e32 vcc_lo, 9, v11
	s_cbranch_vccz .LBB30_1898
; %bb.1897:
	v_cvt_f64_i32_e32 v[12:13], v0
	v_mov_b32_e32 v14, 0
	s_mov_b32 s0, 0
	s_delay_alu instid0(VALU_DEP_1)
	v_mov_b32_e32 v15, v14
	global_store_b128 v[2:3], v[12:15], off
.LBB30_1898:
	s_and_not1_b32 vcc_lo, exec_lo, s0
	s_cbranch_vccnz .LBB30_1900
; %bb.1899:
	v_cvt_f32_i32_e32 v5, v0
	v_mov_b32_e32 v6, 0
	global_store_b64 v[2:3], v[5:6], off
.LBB30_1900:
	s_mov_b32 s0, 0
.LBB30_1901:
	s_delay_alu instid0(SALU_CYCLE_1)
	s_and_not1_b32 vcc_lo, exec_lo, s0
	s_cbranch_vccnz .LBB30_1903
; %bb.1902:
	v_cvt_f32_i32_e32 v1, v0
	s_delay_alu instid0(VALU_DEP_1) | instskip(NEXT) | instid1(VALU_DEP_1)
	v_cvt_f16_f32_e32 v1, v1
	v_and_b32_e32 v1, 0xffff, v1
	global_store_b32 v[2:3], v1, off
.LBB30_1903:
	s_mov_b32 s0, 0
.LBB30_1904:
	s_delay_alu instid0(SALU_CYCLE_1)
	s_and_not1_b32 vcc_lo, exec_lo, s0
	s_cbranch_vccnz .LBB30_1913
; %bb.1905:
	v_cmp_gt_i16_e32 vcc_lo, 6, v11
	s_mov_b32 s0, -1
	s_cbranch_vccnz .LBB30_1911
; %bb.1906:
	v_cmp_lt_i16_e32 vcc_lo, 6, v11
	s_cbranch_vccz .LBB30_1908
; %bb.1907:
	v_cvt_f64_i32_e32 v[5:6], v0
	s_mov_b32 s0, 0
	global_store_b64 v[2:3], v[5:6], off
.LBB30_1908:
	s_and_not1_b32 vcc_lo, exec_lo, s0
	s_cbranch_vccnz .LBB30_1910
; %bb.1909:
	v_cvt_f32_i32_e32 v1, v0
	global_store_b32 v[2:3], v1, off
.LBB30_1910:
	s_mov_b32 s0, 0
.LBB30_1911:
	s_delay_alu instid0(SALU_CYCLE_1)
	s_and_not1_b32 vcc_lo, exec_lo, s0
	s_cbranch_vccnz .LBB30_1913
; %bb.1912:
	v_cvt_f32_i32_e32 v1, v0
	s_delay_alu instid0(VALU_DEP_1)
	v_cvt_f16_f32_e32 v1, v1
	global_store_b16 v[2:3], v1, off
.LBB30_1913:
	s_mov_b32 s0, 0
.LBB30_1914:
	s_delay_alu instid0(SALU_CYCLE_1)
	s_and_not1_b32 vcc_lo, exec_lo, s0
	s_cbranch_vccnz .LBB30_1930
; %bb.1915:
	v_cmp_gt_i16_e32 vcc_lo, 2, v11
	s_mov_b32 s0, -1
	s_cbranch_vccnz .LBB30_1925
; %bb.1916:
	v_cmp_gt_i16_e32 vcc_lo, 3, v11
	s_cbranch_vccnz .LBB30_1922
; %bb.1917:
	v_cmp_lt_i16_e32 vcc_lo, 3, v11
	s_cbranch_vccz .LBB30_1919
; %bb.1918:
	v_ashrrev_i32_e32 v1, 31, v0
	s_mov_b32 s0, 0
	global_store_b64 v[2:3], v[0:1], off
.LBB30_1919:
	s_and_not1_b32 vcc_lo, exec_lo, s0
	s_cbranch_vccnz .LBB30_1921
; %bb.1920:
	global_store_b32 v[2:3], v0, off
.LBB30_1921:
	s_mov_b32 s0, 0
.LBB30_1922:
	s_delay_alu instid0(SALU_CYCLE_1)
	s_and_not1_b32 vcc_lo, exec_lo, s0
	s_cbranch_vccnz .LBB30_1924
; %bb.1923:
	global_store_b16 v[2:3], v0, off
.LBB30_1924:
	s_mov_b32 s0, 0
.LBB30_1925:
	s_delay_alu instid0(SALU_CYCLE_1)
	s_and_not1_b32 vcc_lo, exec_lo, s0
	s_cbranch_vccnz .LBB30_1930
; %bb.1926:
	v_cmp_lt_i16_e32 vcc_lo, 0, v11
	s_mov_b32 s0, -1
	s_cbranch_vccz .LBB30_1928
; %bb.1927:
	s_mov_b32 s0, 0
	global_store_b8 v[2:3], v0, off
.LBB30_1928:
	s_and_not1_b32 vcc_lo, exec_lo, s0
	s_cbranch_vccnz .LBB30_1930
; %bb.1929:
	global_store_b8 v[2:3], v0, off
.LBB30_1930:
	s_mov_b32 s6, -1
.LBB30_1931:
	s_delay_alu instid0(SALU_CYCLE_1)
	s_and_not1_b32 vcc_lo, exec_lo, s6
	s_cbranch_vccnz .LBB30_2008
; %bb.1932:
	v_add_nc_u32_e32 v0, s2, v4
	v_cmp_gt_i16_e32 vcc_lo, 11, v11
	v_not_b32_e32 v2, v7
	s_delay_alu instid0(VALU_DEP_3) | instskip(SKIP_1) | instid1(VALU_DEP_1)
	v_ashrrev_i32_e32 v1, 31, v0
	v_add_co_u32 v0, s0, s4, v0
	v_add_co_ci_u32_e64 v1, s0, s5, v1, s0
	s_cbranch_vccnz .LBB30_2009
; %bb.1933:
	v_cmp_lt_i16_e32 vcc_lo, 25, v11
	s_mov_b32 s3, -1
	s_mov_b32 s2, 0
	s_mov_b32 s0, 0
	s_cbranch_vccz .LBB30_1966
; %bb.1934:
	v_cmp_lt_i16_e32 vcc_lo, 28, v11
	s_cbranch_vccz .LBB30_1950
; %bb.1935:
	v_cmp_lt_i16_e32 vcc_lo, 43, v11
	;; [unrolled: 3-line block ×3, first 2 shown]
	s_cbranch_vccz .LBB30_1940
; %bb.1937:
	v_cmp_eq_u16_e32 vcc_lo, 46, v11
	s_mov_b32 s0, -1
	s_cbranch_vccz .LBB30_1939
; %bb.1938:
	v_cvt_f32_i32_e32 v3, v2
	s_mov_b32 s0, 0
	s_delay_alu instid0(VALU_DEP_1) | instskip(NEXT) | instid1(VALU_DEP_1)
	v_bfe_u32 v4, v3, 16, 1
	v_add3_u32 v3, v3, v4, 0x7fff
	s_delay_alu instid0(VALU_DEP_1)
	v_lshrrev_b32_e32 v3, 16, v3
	global_store_b32 v[0:1], v3, off
.LBB30_1939:
	s_mov_b32 s3, 0
.LBB30_1940:
	s_delay_alu instid0(SALU_CYCLE_1)
	s_and_b32 vcc_lo, exec_lo, s3
	s_cbranch_vccz .LBB30_1945
; %bb.1941:
	v_cmp_eq_u16_e32 vcc_lo, 44, v11
	s_mov_b32 s0, -1
	s_cbranch_vccz .LBB30_1945
; %bb.1942:
	v_cvt_f32_i32_e32 v3, v2
	v_mov_b32_e32 v4, 0xff
	s_mov_b32 s3, exec_lo
	s_delay_alu instid0(VALU_DEP_2) | instskip(NEXT) | instid1(VALU_DEP_1)
	v_bfe_u32 v5, v3, 23, 8
	v_cmpx_ne_u32_e32 0xff, v5
; %bb.1943:
	v_and_b32_e32 v4, 0x400000, v3
	v_and_or_b32 v5, 0x3fffff, v3, v5
	v_lshrrev_b32_e32 v3, 23, v3
	s_delay_alu instid0(VALU_DEP_3) | instskip(NEXT) | instid1(VALU_DEP_3)
	v_cmp_ne_u32_e32 vcc_lo, 0, v4
	v_cmp_ne_u32_e64 s0, 0, v5
	s_delay_alu instid0(VALU_DEP_1) | instskip(NEXT) | instid1(SALU_CYCLE_1)
	s_and_b32 s0, vcc_lo, s0
	v_cndmask_b32_e64 v4, 0, 1, s0
	s_delay_alu instid0(VALU_DEP_1)
	v_add_nc_u32_e32 v4, v3, v4
; %bb.1944:
	s_or_b32 exec_lo, exec_lo, s3
	s_mov_b32 s0, 0
	global_store_b8 v[0:1], v4, off
.LBB30_1945:
	s_mov_b32 s3, 0
.LBB30_1946:
	s_delay_alu instid0(SALU_CYCLE_1)
	s_and_b32 vcc_lo, exec_lo, s3
	s_cbranch_vccz .LBB30_1949
; %bb.1947:
	v_cmp_eq_u16_e32 vcc_lo, 29, v11
	s_mov_b32 s0, -1
	s_cbranch_vccz .LBB30_1949
; %bb.1948:
	v_ashrrev_i32_e32 v3, 31, v2
	s_mov_b32 s0, 0
	global_store_b64 v[0:1], v[2:3], off
.LBB30_1949:
	s_mov_b32 s3, 0
.LBB30_1950:
	s_delay_alu instid0(SALU_CYCLE_1)
	s_and_b32 vcc_lo, exec_lo, s3
	s_cbranch_vccz .LBB30_1965
; %bb.1951:
	v_cmp_gt_i16_e32 vcc_lo, 27, v11
	s_mov_b32 s3, -1
	s_cbranch_vccnz .LBB30_1957
; %bb.1952:
	v_cmp_lt_i16_e32 vcc_lo, 27, v11
	s_cbranch_vccz .LBB30_1954
; %bb.1953:
	s_mov_b32 s3, 0
	global_store_b32 v[0:1], v2, off
.LBB30_1954:
	s_and_not1_b32 vcc_lo, exec_lo, s3
	s_cbranch_vccnz .LBB30_1956
; %bb.1955:
	global_store_b16 v[0:1], v2, off
.LBB30_1956:
	s_mov_b32 s3, 0
.LBB30_1957:
	s_delay_alu instid0(SALU_CYCLE_1)
	s_and_not1_b32 vcc_lo, exec_lo, s3
	s_cbranch_vccnz .LBB30_1965
; %bb.1958:
	v_cvt_f32_i32_e32 v3, v2
	v_mov_b32_e32 v5, 0x80
	s_mov_b32 s3, exec_lo
	s_delay_alu instid0(VALU_DEP_2) | instskip(NEXT) | instid1(VALU_DEP_1)
	v_and_b32_e32 v4, 0x7fffffff, v3
	v_cmpx_gt_u32_e32 0x43800000, v4
	s_cbranch_execz .LBB30_1964
; %bb.1959:
	v_cmp_lt_u32_e32 vcc_lo, 0x3bffffff, v4
	s_mov_b32 s4, 0
                                        ; implicit-def: $vgpr4
	s_and_saveexec_b32 s5, vcc_lo
	s_delay_alu instid0(SALU_CYCLE_1)
	s_xor_b32 s5, exec_lo, s5
	s_cbranch_execz .LBB30_2036
; %bb.1960:
	v_bfe_u32 v4, v3, 20, 1
	s_mov_b32 s4, exec_lo
	s_delay_alu instid0(VALU_DEP_1) | instskip(NEXT) | instid1(VALU_DEP_1)
	v_add3_u32 v4, v3, v4, 0x487ffff
	v_lshrrev_b32_e32 v4, 20, v4
	s_or_saveexec_b32 s5, s5
                                        ; implicit-def: $sgpr6
	s_delay_alu instid0(SALU_CYCLE_1)
	s_xor_b32 exec_lo, exec_lo, s5
	s_cbranch_execnz .LBB30_2037
.LBB30_1961:
	s_or_b32 exec_lo, exec_lo, s5
	v_mov_b32_e32 v5, s6
	s_and_saveexec_b32 s5, s4
.LBB30_1962:
	v_lshrrev_b32_e32 v3, 24, v3
	s_delay_alu instid0(VALU_DEP_1)
	v_and_or_b32 v5, 0x80, v3, v4
.LBB30_1963:
	s_or_b32 exec_lo, exec_lo, s5
.LBB30_1964:
	s_delay_alu instid0(SALU_CYCLE_1)
	s_or_b32 exec_lo, exec_lo, s3
	global_store_b8 v[0:1], v5, off
.LBB30_1965:
	s_mov_b32 s3, 0
.LBB30_1966:
	s_delay_alu instid0(SALU_CYCLE_1)
	s_and_b32 vcc_lo, exec_lo, s3
	s_cbranch_vccz .LBB30_2006
; %bb.1967:
	v_cmp_lt_i16_e32 vcc_lo, 22, v11
	s_mov_b32 s2, -1
	s_cbranch_vccz .LBB30_1999
; %bb.1968:
	v_cmp_gt_i16_e32 vcc_lo, 24, v11
	s_cbranch_vccnz .LBB30_1988
; %bb.1969:
	v_cmp_lt_i16_e32 vcc_lo, 24, v11
	s_cbranch_vccz .LBB30_1977
; %bb.1970:
	v_cvt_f32_i32_e32 v3, v2
	v_mov_b32_e32 v5, 0x80
	s_mov_b32 s2, exec_lo
	s_delay_alu instid0(VALU_DEP_2) | instskip(NEXT) | instid1(VALU_DEP_1)
	v_and_b32_e32 v4, 0x7fffffff, v3
	v_cmpx_gt_u32_e32 0x47800000, v4
	s_cbranch_execz .LBB30_1976
; %bb.1971:
	v_cmp_lt_u32_e32 vcc_lo, 0x37ffffff, v4
	s_mov_b32 s3, 0
                                        ; implicit-def: $vgpr4
	s_and_saveexec_b32 s4, vcc_lo
	s_delay_alu instid0(SALU_CYCLE_1)
	s_xor_b32 s4, exec_lo, s4
	s_cbranch_execz .LBB30_2042
; %bb.1972:
	v_bfe_u32 v4, v3, 21, 1
	s_mov_b32 s3, exec_lo
	s_delay_alu instid0(VALU_DEP_1) | instskip(NEXT) | instid1(VALU_DEP_1)
	v_add3_u32 v4, v3, v4, 0x88fffff
	v_lshrrev_b32_e32 v4, 21, v4
	s_or_saveexec_b32 s4, s4
                                        ; implicit-def: $sgpr5
	s_delay_alu instid0(SALU_CYCLE_1)
	s_xor_b32 exec_lo, exec_lo, s4
	s_cbranch_execnz .LBB30_2043
.LBB30_1973:
	s_or_b32 exec_lo, exec_lo, s4
	v_mov_b32_e32 v5, s5
	s_and_saveexec_b32 s4, s3
.LBB30_1974:
	v_lshrrev_b32_e32 v3, 24, v3
	s_delay_alu instid0(VALU_DEP_1)
	v_and_or_b32 v5, 0x80, v3, v4
.LBB30_1975:
	s_or_b32 exec_lo, exec_lo, s4
.LBB30_1976:
	s_delay_alu instid0(SALU_CYCLE_1)
	s_or_b32 exec_lo, exec_lo, s2
	s_mov_b32 s2, 0
	global_store_b8 v[0:1], v5, off
.LBB30_1977:
	s_and_b32 vcc_lo, exec_lo, s2
	s_cbranch_vccz .LBB30_1987
; %bb.1978:
	v_cvt_f32_i32_e32 v3, v2
	s_mov_b32 s2, exec_lo
                                        ; implicit-def: $vgpr4
	s_delay_alu instid0(VALU_DEP_1) | instskip(NEXT) | instid1(VALU_DEP_1)
	v_and_b32_e32 v5, 0x7fffffff, v3
	v_cmpx_gt_u32_e32 0x43f00000, v5
	s_xor_b32 s2, exec_lo, s2
	s_cbranch_execz .LBB30_1984
; %bb.1979:
	s_mov_b32 s3, exec_lo
                                        ; implicit-def: $vgpr4
	v_cmpx_lt_u32_e32 0x3c7fffff, v5
	s_xor_b32 s3, exec_lo, s3
; %bb.1980:
	v_bfe_u32 v4, v3, 20, 1
	s_delay_alu instid0(VALU_DEP_1) | instskip(NEXT) | instid1(VALU_DEP_1)
	v_add3_u32 v4, v3, v4, 0x407ffff
	v_and_b32_e32 v5, 0xff00000, v4
	v_lshrrev_b32_e32 v4, 20, v4
	s_delay_alu instid0(VALU_DEP_2) | instskip(NEXT) | instid1(VALU_DEP_2)
	v_cmp_ne_u32_e32 vcc_lo, 0x7f00000, v5
	v_cndmask_b32_e32 v4, 0x7e, v4, vcc_lo
; %bb.1981:
	s_and_not1_saveexec_b32 s3, s3
; %bb.1982:
	v_add_f32_e64 v4, 0x46800000, |v3|
; %bb.1983:
	s_or_b32 exec_lo, exec_lo, s3
                                        ; implicit-def: $vgpr5
.LBB30_1984:
	s_and_not1_saveexec_b32 s2, s2
; %bb.1985:
	v_mov_b32_e32 v4, 0x7f
	v_cmp_lt_u32_e32 vcc_lo, 0x7f800000, v5
	s_delay_alu instid0(VALU_DEP_2)
	v_cndmask_b32_e32 v4, 0x7e, v4, vcc_lo
; %bb.1986:
	s_or_b32 exec_lo, exec_lo, s2
	v_lshrrev_b32_e32 v3, 24, v3
	s_delay_alu instid0(VALU_DEP_1)
	v_and_or_b32 v3, 0x80, v3, v4
	global_store_b8 v[0:1], v3, off
.LBB30_1987:
	s_mov_b32 s2, 0
.LBB30_1988:
	s_delay_alu instid0(SALU_CYCLE_1)
	s_and_not1_b32 vcc_lo, exec_lo, s2
	s_cbranch_vccnz .LBB30_1998
; %bb.1989:
	v_cvt_f32_i32_e32 v3, v2
	s_mov_b32 s2, exec_lo
                                        ; implicit-def: $vgpr4
	s_delay_alu instid0(VALU_DEP_1) | instskip(NEXT) | instid1(VALU_DEP_1)
	v_and_b32_e32 v5, 0x7fffffff, v3
	v_cmpx_gt_u32_e32 0x47800000, v5
	s_xor_b32 s2, exec_lo, s2
	s_cbranch_execz .LBB30_1995
; %bb.1990:
	s_mov_b32 s3, exec_lo
                                        ; implicit-def: $vgpr4
	v_cmpx_lt_u32_e32 0x387fffff, v5
	s_xor_b32 s3, exec_lo, s3
; %bb.1991:
	v_bfe_u32 v4, v3, 21, 1
	s_delay_alu instid0(VALU_DEP_1) | instskip(NEXT) | instid1(VALU_DEP_1)
	v_add3_u32 v4, v3, v4, 0x80fffff
	v_lshrrev_b32_e32 v4, 21, v4
; %bb.1992:
	s_and_not1_saveexec_b32 s3, s3
; %bb.1993:
	v_add_f32_e64 v4, 0x43000000, |v3|
; %bb.1994:
	s_or_b32 exec_lo, exec_lo, s3
                                        ; implicit-def: $vgpr5
.LBB30_1995:
	s_and_not1_saveexec_b32 s2, s2
; %bb.1996:
	v_mov_b32_e32 v4, 0x7f
	v_cmp_lt_u32_e32 vcc_lo, 0x7f800000, v5
	s_delay_alu instid0(VALU_DEP_2)
	v_cndmask_b32_e32 v4, 0x7c, v4, vcc_lo
; %bb.1997:
	s_or_b32 exec_lo, exec_lo, s2
	v_lshrrev_b32_e32 v3, 24, v3
	s_delay_alu instid0(VALU_DEP_1)
	v_and_or_b32 v3, 0x80, v3, v4
	global_store_b8 v[0:1], v3, off
.LBB30_1998:
	s_mov_b32 s2, 0
.LBB30_1999:
	s_delay_alu instid0(SALU_CYCLE_1)
	s_and_not1_b32 vcc_lo, exec_lo, s2
	s_mov_b32 s2, 0
	s_cbranch_vccnz .LBB30_2006
; %bb.2000:
	v_cmp_lt_i16_e32 vcc_lo, 14, v11
	s_mov_b32 s2, -1
	s_cbranch_vccz .LBB30_2004
; %bb.2001:
	v_cmp_eq_u16_e32 vcc_lo, 15, v11
	s_mov_b32 s0, -1
	s_cbranch_vccz .LBB30_2003
; %bb.2002:
	v_cvt_f32_i32_e32 v3, v2
	s_mov_b32 s0, 0
	s_delay_alu instid0(VALU_DEP_1) | instskip(NEXT) | instid1(VALU_DEP_1)
	v_bfe_u32 v4, v3, 16, 1
	v_add3_u32 v3, v3, v4, 0x7fff
	global_store_d16_hi_b16 v[0:1], v3, off
.LBB30_2003:
	s_mov_b32 s2, 0
.LBB30_2004:
	s_delay_alu instid0(SALU_CYCLE_1)
	s_and_b32 vcc_lo, exec_lo, s2
	s_mov_b32 s2, 0
	s_cbranch_vccz .LBB30_2006
; %bb.2005:
	v_cmp_ne_u16_e64 s0, 11, v11
	s_mov_b32 s2, -1
.LBB30_2006:
	s_delay_alu instid0(VALU_DEP_1)
	s_and_b32 vcc_lo, exec_lo, s0
	s_cbranch_vccnz .LBB30_2040
.LBB30_2007:
	s_mov_b32 s0, 0
	s_branch .LBB30_1334
.LBB30_2008:
	s_mov_b32 s0, 0
	s_mov_b32 s2, 0
                                        ; implicit-def: $vgpr11
                                        ; implicit-def: $vgpr0_vgpr1
                                        ; implicit-def: $vgpr2
	s_branch .LBB30_1334
.LBB30_2009:
	s_mov_b32 s2, 0
	s_mov_b32 s0, -1
	s_branch .LBB30_1334
.LBB30_2010:
	s_cbranch_execnz .LBB30_2014
; %bb.2011:
	s_or_b32 s1, s1, exec_lo
                                        ; implicit-def: $vgpr7
	s_cbranch_execz .LBB30_1523
	s_branch .LBB30_1524
.LBB30_2012:
	s_or_saveexec_b32 s10, s10
                                        ; implicit-def: $sgpr11
	s_delay_alu instid0(SALU_CYCLE_1)
	s_xor_b32 exec_lo, exec_lo, s10
	s_cbranch_execz .LBB30_1603
.LBB30_2013:
	v_add_f32_e64 v4, 0x46000000, |v1|
	s_and_not1_b32 s7, s7, exec_lo
	s_mov_b32 s11, 0
	s_delay_alu instid0(VALU_DEP_1) | instskip(NEXT) | instid1(VALU_DEP_1)
	v_and_b32_e32 v4, 0xff, v4
	v_cmp_ne_u32_e32 vcc_lo, 0, v4
	s_and_b32 s12, vcc_lo, exec_lo
	s_delay_alu instid0(SALU_CYCLE_1)
	s_or_b32 s7, s7, s12
	s_or_b32 exec_lo, exec_lo, s10
	v_mov_b32_e32 v6, s11
	s_and_saveexec_b32 s10, s7
	s_cbranch_execnz .LBB30_1604
	s_branch .LBB30_1605
.LBB30_2014:
	s_trap 2
	s_sendmsg_rtn_b32 s0, sendmsg(MSG_RTN_GET_DOORBELL)
	s_mov_b32 ttmp2, m0
	s_waitcnt lgkmcnt(0)
	s_and_b32 s0, s0, 0x3ff
	s_delay_alu instid0(SALU_CYCLE_1) | instskip(NEXT) | instid1(SALU_CYCLE_1)
	s_bitset1_b32 s0, 10
	s_mov_b32 m0, s0
	s_sendmsg sendmsg(MSG_INTERRUPT)
	s_mov_b32 m0, ttmp2
.LBB30_2015:                            ; =>This Inner Loop Header: Depth=1
	s_sethalt 5
	s_branch .LBB30_2015
.LBB30_2016:
	s_cbranch_execnz .LBB30_2022
; %bb.2017:
	s_or_b32 s1, s1, exec_lo
	s_cbranch_execz .LBB30_1651
	s_branch .LBB30_1652
.LBB30_2018:
	s_or_saveexec_b32 s7, s7
                                        ; implicit-def: $sgpr10
	s_delay_alu instid0(SALU_CYCLE_1)
	s_xor_b32 exec_lo, exec_lo, s7
	s_cbranch_execz .LBB30_1616
.LBB30_2019:
	v_add_f32_e64 v4, 0x42800000, |v1|
	s_and_not1_b32 s6, s6, exec_lo
	s_mov_b32 s10, 0
	s_delay_alu instid0(VALU_DEP_1) | instskip(NEXT) | instid1(VALU_DEP_1)
	v_and_b32_e32 v4, 0xff, v4
	v_cmp_ne_u32_e32 vcc_lo, 0, v4
	s_and_b32 s11, vcc_lo, exec_lo
	s_delay_alu instid0(SALU_CYCLE_1)
	s_or_b32 s6, s6, s11
	s_or_b32 exec_lo, exec_lo, s7
	v_mov_b32_e32 v6, s10
	s_and_saveexec_b32 s7, s6
	s_cbranch_execnz .LBB30_1617
	s_branch .LBB30_1618
.LBB30_2020:
	s_or_saveexec_b32 s10, s10
                                        ; implicit-def: $sgpr11
	s_delay_alu instid0(SALU_CYCLE_1)
	s_xor_b32 exec_lo, exec_lo, s10
	s_cbranch_execz .LBB30_1722
.LBB30_2021:
	v_add_f32_e64 v5, 0x46000000, |v1|
	s_and_not1_b32 s7, s7, exec_lo
	s_mov_b32 s11, 0
	s_delay_alu instid0(VALU_DEP_1) | instskip(NEXT) | instid1(VALU_DEP_1)
	v_and_b32_e32 v5, 0xff, v5
	v_cmp_ne_u32_e32 vcc_lo, 0, v5
	s_and_b32 s12, vcc_lo, exec_lo
	s_delay_alu instid0(SALU_CYCLE_1)
	s_or_b32 s7, s7, s12
	s_or_b32 exec_lo, exec_lo, s10
	v_mov_b32_e32 v6, s11
	s_and_saveexec_b32 s10, s7
	s_cbranch_execnz .LBB30_1723
	s_branch .LBB30_1724
.LBB30_2022:
	s_trap 2
	s_sendmsg_rtn_b32 s0, sendmsg(MSG_RTN_GET_DOORBELL)
	s_mov_b32 ttmp2, m0
	s_waitcnt lgkmcnt(0)
	s_and_b32 s0, s0, 0x3ff
	s_delay_alu instid0(SALU_CYCLE_1) | instskip(NEXT) | instid1(SALU_CYCLE_1)
	s_bitset1_b32 s0, 10
	s_mov_b32 m0, s0
	s_sendmsg sendmsg(MSG_INTERRUPT)
	s_mov_b32 m0, ttmp2
.LBB30_2023:                            ; =>This Inner Loop Header: Depth=1
	s_sethalt 5
	s_branch .LBB30_2023
.LBB30_2024:
	s_cbranch_execnz .LBB30_2030
; %bb.2025:
	s_or_b32 s1, s1, exec_lo
	s_cbranch_execz .LBB30_1770
	s_branch .LBB30_1771
.LBB30_2026:
	s_or_saveexec_b32 s7, s7
                                        ; implicit-def: $sgpr10
	s_delay_alu instid0(SALU_CYCLE_1)
	s_xor_b32 exec_lo, exec_lo, s7
	s_cbranch_execz .LBB30_1735
.LBB30_2027:
	v_add_f32_e64 v5, 0x42800000, |v1|
	s_and_not1_b32 s6, s6, exec_lo
	s_mov_b32 s10, 0
	s_delay_alu instid0(VALU_DEP_1) | instskip(NEXT) | instid1(VALU_DEP_1)
	v_and_b32_e32 v5, 0xff, v5
	v_cmp_ne_u32_e32 vcc_lo, 0, v5
	s_and_b32 s11, vcc_lo, exec_lo
	s_delay_alu instid0(SALU_CYCLE_1)
	s_or_b32 s6, s6, s11
	s_or_b32 exec_lo, exec_lo, s7
	v_mov_b32_e32 v6, s10
	s_and_saveexec_b32 s7, s6
	s_cbranch_execnz .LBB30_1736
	s_branch .LBB30_1737
.LBB30_2028:
	s_or_saveexec_b32 s10, s10
                                        ; implicit-def: $sgpr11
	s_delay_alu instid0(SALU_CYCLE_1)
	s_xor_b32 exec_lo, exec_lo, s10
	s_cbranch_execz .LBB30_1841
.LBB30_2029:
	v_add_f32_e64 v5, 0x46000000, |v1|
	s_and_not1_b32 s7, s7, exec_lo
	s_mov_b32 s11, 0
	s_delay_alu instid0(VALU_DEP_1) | instskip(NEXT) | instid1(VALU_DEP_1)
	v_and_b32_e32 v5, 0xff, v5
	v_cmp_ne_u32_e32 vcc_lo, 0, v5
	s_and_b32 s12, vcc_lo, exec_lo
	s_delay_alu instid0(SALU_CYCLE_1)
	s_or_b32 s7, s7, s12
	s_or_b32 exec_lo, exec_lo, s10
	v_mov_b32_e32 v6, s11
	s_and_saveexec_b32 s10, s7
	s_cbranch_execnz .LBB30_1842
	s_branch .LBB30_1843
.LBB30_2030:
	s_trap 2
	s_sendmsg_rtn_b32 s0, sendmsg(MSG_RTN_GET_DOORBELL)
	s_mov_b32 ttmp2, m0
	s_waitcnt lgkmcnt(0)
	s_and_b32 s0, s0, 0x3ff
	s_delay_alu instid0(SALU_CYCLE_1) | instskip(NEXT) | instid1(SALU_CYCLE_1)
	s_bitset1_b32 s0, 10
	s_mov_b32 m0, s0
	s_sendmsg sendmsg(MSG_INTERRUPT)
	s_mov_b32 m0, ttmp2
.LBB30_2031:                            ; =>This Inner Loop Header: Depth=1
	s_sethalt 5
	s_branch .LBB30_2031
.LBB30_2032:
	s_cbranch_execnz .LBB30_2038
; %bb.2033:
	s_or_b32 s1, s1, exec_lo
	s_cbranch_execz .LBB30_1889
	s_branch .LBB30_1890
.LBB30_2034:
	s_or_saveexec_b32 s7, s7
                                        ; implicit-def: $sgpr10
	s_delay_alu instid0(SALU_CYCLE_1)
	s_xor_b32 exec_lo, exec_lo, s7
	s_cbranch_execz .LBB30_1854
.LBB30_2035:
	v_add_f32_e64 v5, 0x42800000, |v1|
	s_and_not1_b32 s6, s6, exec_lo
	s_mov_b32 s10, 0
	s_delay_alu instid0(VALU_DEP_1) | instskip(NEXT) | instid1(VALU_DEP_1)
	v_and_b32_e32 v5, 0xff, v5
	v_cmp_ne_u32_e32 vcc_lo, 0, v5
	s_and_b32 s11, vcc_lo, exec_lo
	s_delay_alu instid0(SALU_CYCLE_1)
	s_or_b32 s6, s6, s11
	s_or_b32 exec_lo, exec_lo, s7
	v_mov_b32_e32 v6, s10
	s_and_saveexec_b32 s7, s6
	s_cbranch_execnz .LBB30_1855
	s_branch .LBB30_1856
.LBB30_2036:
	s_or_saveexec_b32 s5, s5
                                        ; implicit-def: $sgpr6
	s_delay_alu instid0(SALU_CYCLE_1)
	s_xor_b32 exec_lo, exec_lo, s5
	s_cbranch_execz .LBB30_1961
.LBB30_2037:
	v_add_f32_e64 v4, 0x46000000, |v3|
	s_and_not1_b32 s4, s4, exec_lo
	s_mov_b32 s6, 0
	s_delay_alu instid0(VALU_DEP_1) | instskip(NEXT) | instid1(VALU_DEP_1)
	v_and_b32_e32 v4, 0xff, v4
	v_cmp_ne_u32_e32 vcc_lo, 0, v4
	s_and_b32 s7, vcc_lo, exec_lo
	s_delay_alu instid0(SALU_CYCLE_1)
	s_or_b32 s4, s4, s7
	s_or_b32 exec_lo, exec_lo, s5
	v_mov_b32_e32 v5, s6
	s_and_saveexec_b32 s5, s4
	s_cbranch_execnz .LBB30_1962
	s_branch .LBB30_1963
.LBB30_2038:
	s_trap 2
	s_sendmsg_rtn_b32 s0, sendmsg(MSG_RTN_GET_DOORBELL)
	s_mov_b32 ttmp2, m0
	s_waitcnt lgkmcnt(0)
	s_and_b32 s0, s0, 0x3ff
	s_delay_alu instid0(SALU_CYCLE_1) | instskip(NEXT) | instid1(SALU_CYCLE_1)
	s_bitset1_b32 s0, 10
	s_mov_b32 m0, s0
	s_sendmsg sendmsg(MSG_INTERRUPT)
	s_mov_b32 m0, ttmp2
.LBB30_2039:                            ; =>This Inner Loop Header: Depth=1
	s_sethalt 5
	s_branch .LBB30_2039
.LBB30_2040:
	s_cbranch_execnz .LBB30_2044
; %bb.2041:
	s_mov_b32 s2, 0
	s_or_b32 s1, s1, exec_lo
	s_branch .LBB30_2007
.LBB30_2042:
	s_or_saveexec_b32 s4, s4
                                        ; implicit-def: $sgpr5
	s_delay_alu instid0(SALU_CYCLE_1)
	s_xor_b32 exec_lo, exec_lo, s4
	s_cbranch_execz .LBB30_1973
.LBB30_2043:
	v_add_f32_e64 v4, 0x42800000, |v3|
	s_and_not1_b32 s3, s3, exec_lo
	s_mov_b32 s5, 0
	s_delay_alu instid0(VALU_DEP_1) | instskip(NEXT) | instid1(VALU_DEP_1)
	v_and_b32_e32 v4, 0xff, v4
	v_cmp_ne_u32_e32 vcc_lo, 0, v4
	s_and_b32 s6, vcc_lo, exec_lo
	s_delay_alu instid0(SALU_CYCLE_1)
	s_or_b32 s3, s3, s6
	s_or_b32 exec_lo, exec_lo, s4
	v_mov_b32_e32 v5, s5
	s_and_saveexec_b32 s4, s3
	s_cbranch_execnz .LBB30_1974
	s_branch .LBB30_1975
.LBB30_2044:
	s_trap 2
	s_sendmsg_rtn_b32 s0, sendmsg(MSG_RTN_GET_DOORBELL)
	s_mov_b32 ttmp2, m0
	s_waitcnt lgkmcnt(0)
	s_and_b32 s0, s0, 0x3ff
	s_delay_alu instid0(SALU_CYCLE_1) | instskip(NEXT) | instid1(SALU_CYCLE_1)
	s_bitset1_b32 s0, 10
	s_mov_b32 m0, s0
	s_sendmsg sendmsg(MSG_INTERRUPT)
	s_mov_b32 m0, ttmp2
.LBB30_2045:                            ; =>This Inner Loop Header: Depth=1
	s_sethalt 5
	s_branch .LBB30_2045
	.section	.rodata,"a",@progbits
	.p2align	6, 0x0
	.amdhsa_kernel _ZN2at6native32elementwise_kernel_manual_unrollILi128ELi4EZNS0_15gpu_kernel_implIZZZNS0_23bitwise_not_kernel_cudaERNS_18TensorIteratorBaseEENKUlvE_clEvENKUlvE1_clEvEUliE_EEvS4_RKT_EUlibE_EEviT1_
		.amdhsa_group_segment_fixed_size 0
		.amdhsa_private_segment_fixed_size 0
		.amdhsa_kernarg_size 40
		.amdhsa_user_sgpr_count 15
		.amdhsa_user_sgpr_dispatch_ptr 0
		.amdhsa_user_sgpr_queue_ptr 0
		.amdhsa_user_sgpr_kernarg_segment_ptr 1
		.amdhsa_user_sgpr_dispatch_id 0
		.amdhsa_user_sgpr_private_segment_size 0
		.amdhsa_wavefront_size32 1
		.amdhsa_uses_dynamic_stack 0
		.amdhsa_enable_private_segment 0
		.amdhsa_system_sgpr_workgroup_id_x 1
		.amdhsa_system_sgpr_workgroup_id_y 0
		.amdhsa_system_sgpr_workgroup_id_z 0
		.amdhsa_system_sgpr_workgroup_info 0
		.amdhsa_system_vgpr_workitem_id 0
		.amdhsa_next_free_vgpr 16
		.amdhsa_next_free_sgpr 24
		.amdhsa_reserve_vcc 1
		.amdhsa_float_round_mode_32 0
		.amdhsa_float_round_mode_16_64 0
		.amdhsa_float_denorm_mode_32 3
		.amdhsa_float_denorm_mode_16_64 3
		.amdhsa_dx10_clamp 1
		.amdhsa_ieee_mode 1
		.amdhsa_fp16_overflow 0
		.amdhsa_workgroup_processor_mode 1
		.amdhsa_memory_ordered 1
		.amdhsa_forward_progress 0
		.amdhsa_shared_vgpr_count 0
		.amdhsa_exception_fp_ieee_invalid_op 0
		.amdhsa_exception_fp_denorm_src 0
		.amdhsa_exception_fp_ieee_div_zero 0
		.amdhsa_exception_fp_ieee_overflow 0
		.amdhsa_exception_fp_ieee_underflow 0
		.amdhsa_exception_fp_ieee_inexact 0
		.amdhsa_exception_int_div_zero 0
	.end_amdhsa_kernel
	.section	.text._ZN2at6native32elementwise_kernel_manual_unrollILi128ELi4EZNS0_15gpu_kernel_implIZZZNS0_23bitwise_not_kernel_cudaERNS_18TensorIteratorBaseEENKUlvE_clEvENKUlvE1_clEvEUliE_EEvS4_RKT_EUlibE_EEviT1_,"axG",@progbits,_ZN2at6native32elementwise_kernel_manual_unrollILi128ELi4EZNS0_15gpu_kernel_implIZZZNS0_23bitwise_not_kernel_cudaERNS_18TensorIteratorBaseEENKUlvE_clEvENKUlvE1_clEvEUliE_EEvS4_RKT_EUlibE_EEviT1_,comdat
.Lfunc_end30:
	.size	_ZN2at6native32elementwise_kernel_manual_unrollILi128ELi4EZNS0_15gpu_kernel_implIZZZNS0_23bitwise_not_kernel_cudaERNS_18TensorIteratorBaseEENKUlvE_clEvENKUlvE1_clEvEUliE_EEvS4_RKT_EUlibE_EEviT1_, .Lfunc_end30-_ZN2at6native32elementwise_kernel_manual_unrollILi128ELi4EZNS0_15gpu_kernel_implIZZZNS0_23bitwise_not_kernel_cudaERNS_18TensorIteratorBaseEENKUlvE_clEvENKUlvE1_clEvEUliE_EEvS4_RKT_EUlibE_EEviT1_
                                        ; -- End function
	.section	.AMDGPU.csdata,"",@progbits
; Kernel info:
; codeLenInByte = 32592
; NumSgprs: 26
; NumVgprs: 16
; ScratchSize: 0
; MemoryBound: 1
; FloatMode: 240
; IeeeMode: 1
; LDSByteSize: 0 bytes/workgroup (compile time only)
; SGPRBlocks: 3
; VGPRBlocks: 1
; NumSGPRsForWavesPerEU: 26
; NumVGPRsForWavesPerEU: 16
; Occupancy: 16
; WaveLimiterHint : 0
; COMPUTE_PGM_RSRC2:SCRATCH_EN: 0
; COMPUTE_PGM_RSRC2:USER_SGPR: 15
; COMPUTE_PGM_RSRC2:TRAP_HANDLER: 0
; COMPUTE_PGM_RSRC2:TGID_X_EN: 1
; COMPUTE_PGM_RSRC2:TGID_Y_EN: 0
; COMPUTE_PGM_RSRC2:TGID_Z_EN: 0
; COMPUTE_PGM_RSRC2:TIDIG_COMP_CNT: 0
	.section	.text._ZN2at6native32elementwise_kernel_manual_unrollILi128ELi4EZNS0_15gpu_kernel_implIZZZNS0_23bitwise_not_kernel_cudaERNS_18TensorIteratorBaseEENKUlvE_clEvENKUlvE1_clEvEUliE_EEvS4_RKT_EUlibE0_EEviT1_,"axG",@progbits,_ZN2at6native32elementwise_kernel_manual_unrollILi128ELi4EZNS0_15gpu_kernel_implIZZZNS0_23bitwise_not_kernel_cudaERNS_18TensorIteratorBaseEENKUlvE_clEvENKUlvE1_clEvEUliE_EEvS4_RKT_EUlibE0_EEviT1_,comdat
	.globl	_ZN2at6native32elementwise_kernel_manual_unrollILi128ELi4EZNS0_15gpu_kernel_implIZZZNS0_23bitwise_not_kernel_cudaERNS_18TensorIteratorBaseEENKUlvE_clEvENKUlvE1_clEvEUliE_EEvS4_RKT_EUlibE0_EEviT1_ ; -- Begin function _ZN2at6native32elementwise_kernel_manual_unrollILi128ELi4EZNS0_15gpu_kernel_implIZZZNS0_23bitwise_not_kernel_cudaERNS_18TensorIteratorBaseEENKUlvE_clEvENKUlvE1_clEvEUliE_EEvS4_RKT_EUlibE0_EEviT1_
	.p2align	8
	.type	_ZN2at6native32elementwise_kernel_manual_unrollILi128ELi4EZNS0_15gpu_kernel_implIZZZNS0_23bitwise_not_kernel_cudaERNS_18TensorIteratorBaseEENKUlvE_clEvENKUlvE1_clEvEUliE_EEvS4_RKT_EUlibE0_EEviT1_,@function
_ZN2at6native32elementwise_kernel_manual_unrollILi128ELi4EZNS0_15gpu_kernel_implIZZZNS0_23bitwise_not_kernel_cudaERNS_18TensorIteratorBaseEENKUlvE_clEvENKUlvE1_clEvEUliE_EEvS4_RKT_EUlibE0_EEviT1_: ; @_ZN2at6native32elementwise_kernel_manual_unrollILi128ELi4EZNS0_15gpu_kernel_implIZZZNS0_23bitwise_not_kernel_cudaERNS_18TensorIteratorBaseEENKUlvE_clEvENKUlvE1_clEvEUliE_EEvS4_RKT_EUlibE0_EEviT1_
; %bb.0:
	s_clause 0x1
	s_load_b32 s24, s[0:1], 0x8
	s_load_b32 s30, s[0:1], 0x0
	v_lshl_or_b32 v8, s15, 9, v0
	s_or_b32 s16, s0, 8
	s_mov_b32 s3, -1
	s_mov_b32 s26, 0
	s_mov_b32 s17, s1
	v_or_b32_e32 v10, 0x180, v8
	s_mov_b32 s8, 0
	s_mov_b32 s2, exec_lo
	s_waitcnt lgkmcnt(0)
	s_add_i32 s25, s24, -1
	s_delay_alu instid0(SALU_CYCLE_1)
	s_cmp_gt_u32 s25, 1
	s_cselect_b32 s27, -1, 0
	v_cmpx_le_i32_e64 s30, v10
	s_xor_b32 s28, exec_lo, s2
	s_cbranch_execz .LBB31_1060
; %bb.1:
	v_mov_b32_e32 v0, 0
	s_clause 0x3
	s_load_b128 s[12:15], s[16:17], 0x4
	s_load_b64 s[18:19], s[16:17], 0x14
	s_load_b128 s[8:11], s[16:17], 0xc4
	s_load_b128 s[4:7], s[16:17], 0x148
	s_cmp_lg_u32 s24, 0
	s_mov_b32 s37, 0
	s_cselect_b32 s33, -1, 0
	global_load_u16 v5, v0, s[16:17] offset:345
	s_add_u32 s20, s16, 0xc4
	s_addc_u32 s21, s17, 0
	s_min_u32 s31, s25, 15
	s_cmp_gt_u32 s24, 1
	s_mov_b32 s35, 0
	s_cselect_b32 s29, -1, 0
	s_mov_b32 s34, 0
	s_mov_b32 s36, exec_lo
	s_waitcnt vmcnt(0)
	v_lshrrev_b16 v6, 8, v5
	v_cmpx_gt_i32_e64 s30, v8
	s_cbranch_execz .LBB31_259
; %bb.2:
	s_and_not1_b32 vcc_lo, exec_lo, s27
	s_cbranch_vccnz .LBB31_7
; %bb.3:
	v_dual_mov_b32 v0, 0 :: v_dual_mov_b32 v1, 0
	s_and_not1_b32 vcc_lo, exec_lo, s33
	s_cbranch_vccnz .LBB31_12
; %bb.4:
	v_mov_b32_e32 v0, 0
	s_add_i32 s38, s31, 1
	s_cmp_eq_u32 s25, 2
	s_cbranch_scc1 .LBB31_8
; %bb.5:
	v_dual_mov_b32 v1, 0 :: v_dual_mov_b32 v0, 0
	v_mov_b32_e32 v2, v8
	s_and_b32 s35, s38, 28
	s_mov_b32 s39, 0
	s_mov_b64 s[2:3], s[20:21]
	s_mov_b64 s[22:23], s[16:17]
.LBB31_6:                               ; =>This Inner Loop Header: Depth=1
	s_clause 0x1
	s_load_b256 s[40:47], s[22:23], 0x4
	s_load_b128 s[56:59], s[22:23], 0x24
	s_load_b256 s[48:55], s[2:3], 0x0
	s_add_u32 s22, s22, 48
	s_addc_u32 s23, s23, 0
	s_add_i32 s39, s39, 4
	s_add_u32 s2, s2, 32
	s_addc_u32 s3, s3, 0
	s_cmp_lg_u32 s35, s39
	s_waitcnt lgkmcnt(0)
	v_mul_hi_u32 v3, s41, v2
	s_delay_alu instid0(VALU_DEP_1) | instskip(NEXT) | instid1(VALU_DEP_1)
	v_add_nc_u32_e32 v3, v2, v3
	v_lshrrev_b32_e32 v3, s42, v3
	s_delay_alu instid0(VALU_DEP_1) | instskip(SKIP_1) | instid1(VALU_DEP_2)
	v_mul_hi_u32 v4, s44, v3
	v_mul_lo_u32 v9, v3, s40
	v_add_nc_u32_e32 v4, v3, v4
	s_delay_alu instid0(VALU_DEP_2) | instskip(NEXT) | instid1(VALU_DEP_2)
	v_sub_nc_u32_e32 v2, v2, v9
	v_lshrrev_b32_e32 v4, s45, v4
	s_delay_alu instid0(VALU_DEP_2) | instskip(SKIP_1) | instid1(VALU_DEP_3)
	v_mul_lo_u32 v9, v2, s48
	v_mul_lo_u32 v11, v2, s49
	v_mul_hi_u32 v7, s47, v4
	s_delay_alu instid0(VALU_DEP_1) | instskip(NEXT) | instid1(VALU_DEP_1)
	v_add_nc_u32_e32 v7, v4, v7
	v_lshrrev_b32_e32 v7, s56, v7
	s_delay_alu instid0(VALU_DEP_1) | instskip(SKIP_1) | instid1(VALU_DEP_2)
	v_mul_hi_u32 v10, s58, v7
	v_mul_lo_u32 v12, v7, s46
	v_add_nc_u32_e32 v2, v7, v10
	v_mul_lo_u32 v10, v4, s43
	s_delay_alu instid0(VALU_DEP_3) | instskip(NEXT) | instid1(VALU_DEP_3)
	v_sub_nc_u32_e32 v4, v4, v12
	v_lshrrev_b32_e32 v2, s59, v2
	s_delay_alu instid0(VALU_DEP_2) | instskip(SKIP_2) | instid1(VALU_DEP_4)
	v_mul_lo_u32 v12, v4, s52
	v_mul_lo_u32 v4, v4, s53
	v_sub_nc_u32_e32 v3, v3, v10
	v_mul_lo_u32 v13, v2, s57
	s_delay_alu instid0(VALU_DEP_2) | instskip(SKIP_1) | instid1(VALU_DEP_3)
	v_mul_lo_u32 v10, v3, s50
	v_mul_lo_u32 v3, v3, s51
	v_sub_nc_u32_e32 v7, v7, v13
	s_delay_alu instid0(VALU_DEP_3) | instskip(NEXT) | instid1(VALU_DEP_2)
	v_add3_u32 v0, v9, v0, v10
	v_mul_lo_u32 v13, v7, s54
	v_mul_lo_u32 v7, v7, s55
	v_add3_u32 v1, v11, v1, v3
	s_delay_alu instid0(VALU_DEP_3) | instskip(NEXT) | instid1(VALU_DEP_2)
	v_add3_u32 v0, v12, v0, v13
	v_add3_u32 v1, v4, v1, v7
	s_cbranch_scc1 .LBB31_6
	s_branch .LBB31_9
.LBB31_7:
	s_mov_b32 s34, -1
                                        ; implicit-def: $vgpr0
                                        ; implicit-def: $vgpr1
	s_branch .LBB31_12
.LBB31_8:
	v_dual_mov_b32 v2, v8 :: v_dual_mov_b32 v1, 0
.LBB31_9:
	s_and_b32 s38, s38, 3
	s_delay_alu instid0(SALU_CYCLE_1)
	s_cmp_eq_u32 s38, 0
	s_cbranch_scc1 .LBB31_12
; %bb.10:
	s_lshl_b32 s2, s35, 3
	s_mul_i32 s22, s35, 12
	s_add_u32 s2, s2, s16
	s_addc_u32 s3, s17, 0
	s_add_u32 s2, s2, 0xc4
	s_addc_u32 s3, s3, 0
	;; [unrolled: 2-line block ×3, first 2 shown]
	.p2align	6
.LBB31_11:                              ; =>This Inner Loop Header: Depth=1
	s_clause 0x1
	s_load_b64 s[40:41], s[22:23], 0x4
	s_load_b32 s35, s[22:23], 0xc
	s_load_b64 s[42:43], s[2:3], 0x0
	s_add_u32 s22, s22, 12
	s_addc_u32 s23, s23, 0
	s_add_u32 s2, s2, 8
	s_addc_u32 s3, s3, 0
	s_add_i32 s38, s38, -1
	s_delay_alu instid0(SALU_CYCLE_1) | instskip(SKIP_2) | instid1(VALU_DEP_1)
	s_cmp_lg_u32 s38, 0
	s_waitcnt lgkmcnt(0)
	v_mul_hi_u32 v3, s41, v2
	v_add_nc_u32_e32 v3, v2, v3
	s_delay_alu instid0(VALU_DEP_1) | instskip(NEXT) | instid1(VALU_DEP_1)
	v_lshrrev_b32_e32 v7, s35, v3
	v_mul_lo_u32 v3, v7, s40
	s_delay_alu instid0(VALU_DEP_1) | instskip(NEXT) | instid1(VALU_DEP_1)
	v_sub_nc_u32_e32 v2, v2, v3
	v_mad_u64_u32 v[3:4], null, v2, s42, v[0:1]
	v_mad_u64_u32 v[9:10], null, v2, s43, v[1:2]
	v_mov_b32_e32 v2, v7
	s_delay_alu instid0(VALU_DEP_2)
	v_dual_mov_b32 v0, v3 :: v_dual_mov_b32 v1, v9
	s_cbranch_scc1 .LBB31_11
.LBB31_12:
	s_and_not1_b32 vcc_lo, exec_lo, s34
	s_cbranch_vccnz .LBB31_15
; %bb.13:
	s_waitcnt lgkmcnt(0)
	v_mul_hi_u32 v0, s13, v8
	s_and_not1_b32 vcc_lo, exec_lo, s29
	s_delay_alu instid0(VALU_DEP_1) | instskip(NEXT) | instid1(VALU_DEP_1)
	v_add_nc_u32_e32 v0, v8, v0
	v_lshrrev_b32_e32 v2, s14, v0
	s_delay_alu instid0(VALU_DEP_1) | instskip(NEXT) | instid1(VALU_DEP_1)
	v_mul_lo_u32 v0, v2, s12
	v_sub_nc_u32_e32 v1, v8, v0
	s_delay_alu instid0(VALU_DEP_1)
	v_mul_lo_u32 v0, v1, s8
	v_mul_lo_u32 v1, v1, s9
	s_cbranch_vccnz .LBB31_15
; %bb.14:
	v_mul_hi_u32 v3, s18, v2
	s_delay_alu instid0(VALU_DEP_1) | instskip(NEXT) | instid1(VALU_DEP_1)
	v_add_nc_u32_e32 v3, v2, v3
	v_lshrrev_b32_e32 v3, s19, v3
	s_delay_alu instid0(VALU_DEP_1) | instskip(NEXT) | instid1(VALU_DEP_1)
	v_mul_lo_u32 v3, v3, s15
	v_sub_nc_u32_e32 v7, v2, v3
	s_delay_alu instid0(VALU_DEP_1) | instskip(NEXT) | instid1(VALU_DEP_1)
	v_mad_u64_u32 v[2:3], null, v7, s10, v[0:1]
	v_mad_u64_u32 v[3:4], null, v7, s11, v[1:2]
	s_delay_alu instid0(VALU_DEP_1)
	v_dual_mov_b32 v0, v2 :: v_dual_mov_b32 v1, v3
.LBB31_15:
	v_cmp_gt_i16_e32 vcc_lo, 11, v6
	s_waitcnt lgkmcnt(0)
	s_delay_alu instid0(VALU_DEP_2) | instskip(NEXT) | instid1(VALU_DEP_1)
	v_add_co_u32 v1, s2, s6, v1
	v_add_co_ci_u32_e64 v2, null, s7, 0, s2
	s_mov_b32 s3, 0
	s_cbranch_vccnz .LBB31_22
; %bb.16:
	v_cmp_lt_i16_e32 vcc_lo, 25, v6
	s_cbranch_vccz .LBB31_141
; %bb.17:
	v_cmp_lt_i16_e32 vcc_lo, 28, v6
	s_cbranch_vccz .LBB31_142
	;; [unrolled: 3-line block ×4, first 2 shown]
; %bb.20:
	v_cmp_eq_u16_e32 vcc_lo, 46, v6
	s_mov_b32 s22, 0
	s_cbranch_vccz .LBB31_145
; %bb.21:
	global_load_b32 v3, v[1:2], off
	s_mov_b32 s2, -1
	s_waitcnt vmcnt(0)
	v_lshlrev_b32_e32 v3, 16, v3
	s_delay_alu instid0(VALU_DEP_1)
	v_cvt_i32_f32_e32 v7, v3
	s_branch .LBB31_147
.LBB31_22:
	s_mov_b32 s2, 0
                                        ; implicit-def: $vgpr7
	s_cbranch_execnz .LBB31_209
.LBB31_23:
	s_and_not1_b32 vcc_lo, exec_lo, s2
	s_cbranch_vccnz .LBB31_256
.LBB31_24:
	v_and_b32_e32 v9, 0xff, v5
	v_add_co_u32 v3, s22, s4, v0
	s_waitcnt vmcnt(0)
	s_delay_alu instid0(VALU_DEP_3)
	v_not_b32_e32 v1, v7
	v_add_co_ci_u32_e64 v4, null, s5, 0, s22
	v_cmp_gt_i16_e32 vcc_lo, 11, v9
	s_mov_b32 s2, 0
	s_mov_b32 s23, -1
	s_mov_b32 s22, 0
	s_cbranch_vccnz .LBB31_101
; %bb.25:
	v_cmp_lt_i16_e32 vcc_lo, 25, v9
	s_cbranch_vccz .LBB31_58
; %bb.26:
	v_cmp_lt_i16_e32 vcc_lo, 28, v9
	s_cbranch_vccz .LBB31_41
	;; [unrolled: 3-line block ×4, first 2 shown]
; %bb.29:
	v_cmp_eq_u16_e32 vcc_lo, 46, v9
	s_mov_b32 s23, 0
	s_mov_b32 s2, -1
	s_cbranch_vccz .LBB31_31
; %bb.30:
	v_cvt_f32_i32_e32 v0, v1
	s_mov_b32 s22, -1
	s_mov_b32 s2, 0
	s_delay_alu instid0(VALU_DEP_1) | instskip(NEXT) | instid1(VALU_DEP_1)
	v_bfe_u32 v2, v0, 16, 1
	v_add3_u32 v0, v0, v2, 0x7fff
	s_delay_alu instid0(VALU_DEP_1)
	v_lshrrev_b32_e32 v0, 16, v0
	global_store_b32 v[3:4], v0, off
.LBB31_31:
	s_and_b32 vcc_lo, exec_lo, s23
	s_cbranch_vccz .LBB31_36
; %bb.32:
	v_cmp_eq_u16_e32 vcc_lo, 44, v9
	s_mov_b32 s2, -1
	s_cbranch_vccz .LBB31_36
; %bb.33:
	v_cvt_f32_i32_e32 v0, v1
	v_mov_b32_e32 v2, 0xff
	s_mov_b32 s22, exec_lo
	s_delay_alu instid0(VALU_DEP_2) | instskip(NEXT) | instid1(VALU_DEP_1)
	v_bfe_u32 v10, v0, 23, 8
	v_cmpx_ne_u32_e32 0xff, v10
; %bb.34:
	v_and_b32_e32 v2, 0x400000, v0
	v_and_or_b32 v10, 0x3fffff, v0, v10
	v_lshrrev_b32_e32 v0, 23, v0
	s_delay_alu instid0(VALU_DEP_3) | instskip(NEXT) | instid1(VALU_DEP_3)
	v_cmp_ne_u32_e32 vcc_lo, 0, v2
	v_cmp_ne_u32_e64 s2, 0, v10
	s_delay_alu instid0(VALU_DEP_1) | instskip(NEXT) | instid1(SALU_CYCLE_1)
	s_and_b32 s2, vcc_lo, s2
	v_cndmask_b32_e64 v2, 0, 1, s2
	s_delay_alu instid0(VALU_DEP_1)
	v_add_nc_u32_e32 v2, v0, v2
; %bb.35:
	s_or_b32 exec_lo, exec_lo, s22
	s_mov_b32 s22, -1
	s_mov_b32 s2, 0
	global_store_b8 v[3:4], v2, off
.LBB31_36:
	s_mov_b32 s23, 0
.LBB31_37:
	s_delay_alu instid0(SALU_CYCLE_1)
	s_and_b32 vcc_lo, exec_lo, s23
	s_cbranch_vccz .LBB31_40
; %bb.38:
	v_cmp_eq_u16_e32 vcc_lo, 29, v9
	s_mov_b32 s2, -1
	s_cbranch_vccz .LBB31_40
; %bb.39:
	v_ashrrev_i32_e32 v2, 31, v1
	s_mov_b32 s22, -1
	s_mov_b32 s2, 0
	global_store_b64 v[3:4], v[1:2], off
.LBB31_40:
	s_mov_b32 s23, 0
.LBB31_41:
	s_delay_alu instid0(SALU_CYCLE_1)
	s_and_b32 vcc_lo, exec_lo, s23
	s_cbranch_vccz .LBB31_57
; %bb.42:
	v_cmp_gt_i16_e32 vcc_lo, 27, v9
	s_mov_b32 s22, -1
	s_cbranch_vccnz .LBB31_48
; %bb.43:
	v_cmp_lt_i16_e32 vcc_lo, 27, v9
	s_cbranch_vccz .LBB31_45
; %bb.44:
	s_mov_b32 s22, 0
	global_store_b32 v[3:4], v1, off
.LBB31_45:
	s_and_not1_b32 vcc_lo, exec_lo, s22
	s_cbranch_vccnz .LBB31_47
; %bb.46:
	global_store_b16 v[3:4], v1, off
.LBB31_47:
	s_mov_b32 s22, 0
.LBB31_48:
	s_delay_alu instid0(SALU_CYCLE_1)
	s_and_not1_b32 vcc_lo, exec_lo, s22
	s_cbranch_vccnz .LBB31_56
; %bb.49:
	v_cvt_f32_i32_e32 v0, v1
	v_mov_b32_e32 v10, 0x80
	s_mov_b32 s22, exec_lo
	s_delay_alu instid0(VALU_DEP_2) | instskip(NEXT) | instid1(VALU_DEP_1)
	v_and_b32_e32 v2, 0x7fffffff, v0
	v_cmpx_gt_u32_e32 0x43800000, v2
	s_cbranch_execz .LBB31_55
; %bb.50:
	v_cmp_lt_u32_e32 vcc_lo, 0x3bffffff, v2
	s_mov_b32 s23, 0
                                        ; implicit-def: $vgpr2
	s_and_saveexec_b32 s34, vcc_lo
	s_delay_alu instid0(SALU_CYCLE_1)
	s_xor_b32 s34, exec_lo, s34
	s_cbranch_execz .LBB31_150
; %bb.51:
	v_bfe_u32 v2, v0, 20, 1
	s_mov_b32 s23, exec_lo
	s_delay_alu instid0(VALU_DEP_1) | instskip(NEXT) | instid1(VALU_DEP_1)
	v_add3_u32 v2, v0, v2, 0x487ffff
	v_lshrrev_b32_e32 v2, 20, v2
	s_or_saveexec_b32 s34, s34
                                        ; implicit-def: $sgpr35
	s_delay_alu instid0(SALU_CYCLE_1)
	s_xor_b32 exec_lo, exec_lo, s34
	s_cbranch_execnz .LBB31_151
.LBB31_52:
	s_or_b32 exec_lo, exec_lo, s34
	v_mov_b32_e32 v10, s35
	s_and_saveexec_b32 s34, s23
.LBB31_53:
	v_lshrrev_b32_e32 v0, 24, v0
	s_delay_alu instid0(VALU_DEP_1)
	v_and_or_b32 v10, 0x80, v0, v2
.LBB31_54:
	s_or_b32 exec_lo, exec_lo, s34
.LBB31_55:
	s_delay_alu instid0(SALU_CYCLE_1)
	s_or_b32 exec_lo, exec_lo, s22
	global_store_b8 v[3:4], v10, off
.LBB31_56:
	s_mov_b32 s22, -1
.LBB31_57:
	s_mov_b32 s23, 0
.LBB31_58:
	s_delay_alu instid0(SALU_CYCLE_1)
	s_and_b32 vcc_lo, exec_lo, s23
	s_cbranch_vccz .LBB31_99
; %bb.59:
	v_cmp_lt_i16_e32 vcc_lo, 22, v9
	s_mov_b32 s23, -1
	s_cbranch_vccz .LBB31_91
; %bb.60:
	v_cmp_gt_i16_e32 vcc_lo, 24, v9
	s_mov_b32 s22, -1
	s_cbranch_vccnz .LBB31_80
; %bb.61:
	v_cmp_lt_i16_e32 vcc_lo, 24, v9
	s_cbranch_vccz .LBB31_69
; %bb.62:
	v_cvt_f32_i32_e32 v0, v1
	v_mov_b32_e32 v10, 0x80
	s_mov_b32 s22, exec_lo
	s_delay_alu instid0(VALU_DEP_2) | instskip(NEXT) | instid1(VALU_DEP_1)
	v_and_b32_e32 v2, 0x7fffffff, v0
	v_cmpx_gt_u32_e32 0x47800000, v2
	s_cbranch_execz .LBB31_68
; %bb.63:
	v_cmp_lt_u32_e32 vcc_lo, 0x37ffffff, v2
	s_mov_b32 s23, 0
                                        ; implicit-def: $vgpr2
	s_and_saveexec_b32 s34, vcc_lo
	s_delay_alu instid0(SALU_CYCLE_1)
	s_xor_b32 s34, exec_lo, s34
	s_cbranch_execz .LBB31_337
; %bb.64:
	v_bfe_u32 v2, v0, 21, 1
	s_mov_b32 s23, exec_lo
	s_delay_alu instid0(VALU_DEP_1) | instskip(NEXT) | instid1(VALU_DEP_1)
	v_add3_u32 v2, v0, v2, 0x88fffff
	v_lshrrev_b32_e32 v2, 21, v2
	s_or_saveexec_b32 s34, s34
                                        ; implicit-def: $sgpr35
	s_delay_alu instid0(SALU_CYCLE_1)
	s_xor_b32 exec_lo, exec_lo, s34
	s_cbranch_execnz .LBB31_338
.LBB31_65:
	s_or_b32 exec_lo, exec_lo, s34
	v_mov_b32_e32 v10, s35
	s_and_saveexec_b32 s34, s23
.LBB31_66:
	v_lshrrev_b32_e32 v0, 24, v0
	s_delay_alu instid0(VALU_DEP_1)
	v_and_or_b32 v10, 0x80, v0, v2
.LBB31_67:
	s_or_b32 exec_lo, exec_lo, s34
.LBB31_68:
	s_delay_alu instid0(SALU_CYCLE_1)
	s_or_b32 exec_lo, exec_lo, s22
	s_mov_b32 s22, 0
	global_store_b8 v[3:4], v10, off
.LBB31_69:
	s_and_b32 vcc_lo, exec_lo, s22
	s_cbranch_vccz .LBB31_79
; %bb.70:
	v_cvt_f32_i32_e32 v0, v1
	s_mov_b32 s22, exec_lo
                                        ; implicit-def: $vgpr2
	s_delay_alu instid0(VALU_DEP_1) | instskip(NEXT) | instid1(VALU_DEP_1)
	v_and_b32_e32 v10, 0x7fffffff, v0
	v_cmpx_gt_u32_e32 0x43f00000, v10
	s_xor_b32 s22, exec_lo, s22
	s_cbranch_execz .LBB31_76
; %bb.71:
	s_mov_b32 s23, exec_lo
                                        ; implicit-def: $vgpr2
	v_cmpx_lt_u32_e32 0x3c7fffff, v10
	s_xor_b32 s23, exec_lo, s23
; %bb.72:
	v_bfe_u32 v2, v0, 20, 1
	s_delay_alu instid0(VALU_DEP_1) | instskip(NEXT) | instid1(VALU_DEP_1)
	v_add3_u32 v2, v0, v2, 0x407ffff
	v_and_b32_e32 v10, 0xff00000, v2
	v_lshrrev_b32_e32 v2, 20, v2
	s_delay_alu instid0(VALU_DEP_2) | instskip(NEXT) | instid1(VALU_DEP_2)
	v_cmp_ne_u32_e32 vcc_lo, 0x7f00000, v10
	v_cndmask_b32_e32 v2, 0x7e, v2, vcc_lo
; %bb.73:
	s_and_not1_saveexec_b32 s23, s23
; %bb.74:
	v_add_f32_e64 v2, 0x46800000, |v0|
; %bb.75:
	s_or_b32 exec_lo, exec_lo, s23
                                        ; implicit-def: $vgpr10
.LBB31_76:
	s_and_not1_saveexec_b32 s22, s22
; %bb.77:
	v_mov_b32_e32 v2, 0x7f
	v_cmp_lt_u32_e32 vcc_lo, 0x7f800000, v10
	s_delay_alu instid0(VALU_DEP_2)
	v_cndmask_b32_e32 v2, 0x7e, v2, vcc_lo
; %bb.78:
	s_or_b32 exec_lo, exec_lo, s22
	v_lshrrev_b32_e32 v0, 24, v0
	s_delay_alu instid0(VALU_DEP_1)
	v_and_or_b32 v0, 0x80, v0, v2
	global_store_b8 v[3:4], v0, off
.LBB31_79:
	s_mov_b32 s22, 0
.LBB31_80:
	s_delay_alu instid0(SALU_CYCLE_1)
	s_and_not1_b32 vcc_lo, exec_lo, s22
	s_cbranch_vccnz .LBB31_90
; %bb.81:
	v_cvt_f32_i32_e32 v0, v1
	s_mov_b32 s22, exec_lo
                                        ; implicit-def: $vgpr2
	s_delay_alu instid0(VALU_DEP_1) | instskip(NEXT) | instid1(VALU_DEP_1)
	v_and_b32_e32 v10, 0x7fffffff, v0
	v_cmpx_gt_u32_e32 0x47800000, v10
	s_xor_b32 s22, exec_lo, s22
	s_cbranch_execz .LBB31_87
; %bb.82:
	s_mov_b32 s23, exec_lo
                                        ; implicit-def: $vgpr2
	v_cmpx_lt_u32_e32 0x387fffff, v10
	s_xor_b32 s23, exec_lo, s23
; %bb.83:
	v_bfe_u32 v2, v0, 21, 1
	s_delay_alu instid0(VALU_DEP_1) | instskip(NEXT) | instid1(VALU_DEP_1)
	v_add3_u32 v2, v0, v2, 0x80fffff
	v_lshrrev_b32_e32 v2, 21, v2
; %bb.84:
	s_and_not1_saveexec_b32 s23, s23
; %bb.85:
	v_add_f32_e64 v2, 0x43000000, |v0|
; %bb.86:
	s_or_b32 exec_lo, exec_lo, s23
                                        ; implicit-def: $vgpr10
.LBB31_87:
	s_and_not1_saveexec_b32 s22, s22
; %bb.88:
	v_mov_b32_e32 v2, 0x7f
	v_cmp_lt_u32_e32 vcc_lo, 0x7f800000, v10
	s_delay_alu instid0(VALU_DEP_2)
	v_cndmask_b32_e32 v2, 0x7c, v2, vcc_lo
; %bb.89:
	s_or_b32 exec_lo, exec_lo, s22
	v_lshrrev_b32_e32 v0, 24, v0
	s_delay_alu instid0(VALU_DEP_1)
	v_and_or_b32 v0, 0x80, v0, v2
	global_store_b8 v[3:4], v0, off
.LBB31_90:
	s_mov_b32 s23, 0
	s_mov_b32 s22, -1
.LBB31_91:
	s_and_not1_b32 vcc_lo, exec_lo, s23
	s_cbranch_vccnz .LBB31_99
; %bb.92:
	v_cmp_lt_i16_e32 vcc_lo, 14, v9
	s_mov_b32 s23, -1
	s_cbranch_vccz .LBB31_96
; %bb.93:
	v_cmp_eq_u16_e32 vcc_lo, 15, v9
	s_mov_b32 s2, -1
	s_cbranch_vccz .LBB31_95
; %bb.94:
	v_cvt_f32_i32_e32 v0, v1
	s_mov_b32 s22, -1
	s_mov_b32 s2, 0
	s_delay_alu instid0(VALU_DEP_1) | instskip(NEXT) | instid1(VALU_DEP_1)
	v_bfe_u32 v2, v0, 16, 1
	v_add3_u32 v0, v0, v2, 0x7fff
	global_store_d16_hi_b16 v[3:4], v0, off
.LBB31_95:
	s_mov_b32 s23, 0
.LBB31_96:
	s_delay_alu instid0(SALU_CYCLE_1)
	s_and_b32 vcc_lo, exec_lo, s23
	s_cbranch_vccz .LBB31_99
; %bb.97:
	v_cmp_eq_u16_e32 vcc_lo, 11, v9
	s_mov_b32 s2, -1
	s_cbranch_vccz .LBB31_99
; %bb.98:
	v_cmp_ne_u32_e32 vcc_lo, -1, v7
	s_mov_b32 s22, -1
	s_mov_b32 s2, 0
	v_cndmask_b32_e64 v0, 0, 1, vcc_lo
	global_store_b8 v[3:4], v0, off
.LBB31_99:
.LBB31_100:
	s_and_not1_b32 vcc_lo, exec_lo, s22
	s_cbranch_vccz .LBB31_140
	s_branch .LBB31_257
.LBB31_101:
	s_and_b32 vcc_lo, exec_lo, s23
	s_cbranch_vccz .LBB31_100
; %bb.102:
	v_cmp_gt_i16_e32 vcc_lo, 5, v9
	s_mov_b32 s22, -1
	s_cbranch_vccnz .LBB31_123
; %bb.103:
	v_cmp_gt_i16_e32 vcc_lo, 8, v9
	s_cbranch_vccnz .LBB31_113
; %bb.104:
	v_cmp_gt_i16_e32 vcc_lo, 9, v9
	s_cbranch_vccnz .LBB31_110
; %bb.105:
	v_cmp_lt_i16_e32 vcc_lo, 9, v9
	s_cbranch_vccz .LBB31_107
; %bb.106:
	v_cvt_f64_i32_e32 v[10:11], v1
	v_mov_b32_e32 v12, 0
	s_mov_b32 s22, 0
	s_delay_alu instid0(VALU_DEP_1)
	v_mov_b32_e32 v13, v12
	global_store_b128 v[3:4], v[10:13], off
.LBB31_107:
	s_and_not1_b32 vcc_lo, exec_lo, s22
	s_cbranch_vccnz .LBB31_109
; %bb.108:
	v_cvt_f32_i32_e32 v10, v1
	v_mov_b32_e32 v11, 0
	global_store_b64 v[3:4], v[10:11], off
.LBB31_109:
	s_mov_b32 s22, 0
.LBB31_110:
	s_delay_alu instid0(SALU_CYCLE_1)
	s_and_not1_b32 vcc_lo, exec_lo, s22
	s_cbranch_vccnz .LBB31_112
; %bb.111:
	v_cvt_f32_i32_e32 v0, v1
	s_delay_alu instid0(VALU_DEP_1) | instskip(NEXT) | instid1(VALU_DEP_1)
	v_cvt_f16_f32_e32 v0, v0
	v_and_b32_e32 v0, 0xffff, v0
	global_store_b32 v[3:4], v0, off
.LBB31_112:
	s_mov_b32 s22, 0
.LBB31_113:
	s_delay_alu instid0(SALU_CYCLE_1)
	s_and_not1_b32 vcc_lo, exec_lo, s22
	s_cbranch_vccnz .LBB31_122
; %bb.114:
	v_cmp_gt_i16_e32 vcc_lo, 6, v9
	s_mov_b32 s22, -1
	s_cbranch_vccnz .LBB31_120
; %bb.115:
	v_cmp_lt_i16_e32 vcc_lo, 6, v9
	s_cbranch_vccz .LBB31_117
; %bb.116:
	v_cvt_f64_i32_e32 v[10:11], v1
	s_mov_b32 s22, 0
	global_store_b64 v[3:4], v[10:11], off
.LBB31_117:
	s_and_not1_b32 vcc_lo, exec_lo, s22
	s_cbranch_vccnz .LBB31_119
; %bb.118:
	v_cvt_f32_i32_e32 v0, v1
	global_store_b32 v[3:4], v0, off
.LBB31_119:
	s_mov_b32 s22, 0
.LBB31_120:
	s_delay_alu instid0(SALU_CYCLE_1)
	s_and_not1_b32 vcc_lo, exec_lo, s22
	s_cbranch_vccnz .LBB31_122
; %bb.121:
	v_cvt_f32_i32_e32 v0, v1
	s_delay_alu instid0(VALU_DEP_1)
	v_cvt_f16_f32_e32 v0, v0
	global_store_b16 v[3:4], v0, off
.LBB31_122:
	s_mov_b32 s22, 0
.LBB31_123:
	s_delay_alu instid0(SALU_CYCLE_1)
	s_and_not1_b32 vcc_lo, exec_lo, s22
	s_cbranch_vccnz .LBB31_139
; %bb.124:
	v_cmp_gt_i16_e32 vcc_lo, 2, v9
	s_mov_b32 s22, -1
	s_cbranch_vccnz .LBB31_134
; %bb.125:
	v_cmp_gt_i16_e32 vcc_lo, 3, v9
	s_cbranch_vccnz .LBB31_131
; %bb.126:
	v_cmp_lt_i16_e32 vcc_lo, 3, v9
	s_cbranch_vccz .LBB31_128
; %bb.127:
	v_ashrrev_i32_e32 v2, 31, v1
	s_mov_b32 s22, 0
	global_store_b64 v[3:4], v[1:2], off
.LBB31_128:
	s_and_not1_b32 vcc_lo, exec_lo, s22
	s_cbranch_vccnz .LBB31_130
; %bb.129:
	global_store_b32 v[3:4], v1, off
.LBB31_130:
	s_mov_b32 s22, 0
.LBB31_131:
	s_delay_alu instid0(SALU_CYCLE_1)
	s_and_not1_b32 vcc_lo, exec_lo, s22
	s_cbranch_vccnz .LBB31_133
; %bb.132:
	global_store_b16 v[3:4], v1, off
.LBB31_133:
	s_mov_b32 s22, 0
.LBB31_134:
	s_delay_alu instid0(SALU_CYCLE_1)
	s_and_not1_b32 vcc_lo, exec_lo, s22
	s_cbranch_vccnz .LBB31_139
; %bb.135:
	v_cmp_lt_i16_e32 vcc_lo, 0, v9
	s_mov_b32 s22, -1
	s_cbranch_vccz .LBB31_137
; %bb.136:
	s_mov_b32 s22, 0
	global_store_b8 v[3:4], v1, off
.LBB31_137:
	s_and_not1_b32 vcc_lo, exec_lo, s22
	s_cbranch_vccnz .LBB31_139
; %bb.138:
	global_store_b8 v[3:4], v1, off
.LBB31_139:
.LBB31_140:
	v_add_nc_u32_e32 v8, 0x80, v8
	s_mov_b32 s22, -1
	s_branch .LBB31_258
.LBB31_141:
	s_mov_b32 s2, 0
                                        ; implicit-def: $vgpr7
	s_cbranch_execnz .LBB31_176
	s_branch .LBB31_208
.LBB31_142:
	s_mov_b32 s22, -1
	s_mov_b32 s2, 0
                                        ; implicit-def: $vgpr7
	s_branch .LBB31_159
.LBB31_143:
	s_mov_b32 s22, -1
	s_mov_b32 s2, 0
                                        ; implicit-def: $vgpr7
	s_branch .LBB31_154
.LBB31_144:
	s_mov_b32 s22, -1
	s_branch .LBB31_146
.LBB31_145:
	s_mov_b32 s3, -1
.LBB31_146:
	s_mov_b32 s2, 0
                                        ; implicit-def: $vgpr7
.LBB31_147:
	s_and_b32 vcc_lo, exec_lo, s22
	s_cbranch_vccz .LBB31_153
; %bb.148:
	v_cmp_eq_u16_e32 vcc_lo, 44, v6
	s_cbranch_vccz .LBB31_152
; %bb.149:
	global_load_u8 v3, v[1:2], off
	s_mov_b32 s3, 0
	s_mov_b32 s2, -1
	s_waitcnt vmcnt(0)
	v_lshlrev_b32_e32 v4, 23, v3
	v_cmp_ne_u32_e32 vcc_lo, 0, v3
	s_delay_alu instid0(VALU_DEP_2) | instskip(NEXT) | instid1(VALU_DEP_1)
	v_cvt_i32_f32_e32 v4, v4
	v_cndmask_b32_e32 v7, 0, v4, vcc_lo
	s_branch .LBB31_153
.LBB31_150:
	s_or_saveexec_b32 s34, s34
                                        ; implicit-def: $sgpr35
	s_delay_alu instid0(SALU_CYCLE_1)
	s_xor_b32 exec_lo, exec_lo, s34
	s_cbranch_execz .LBB31_52
.LBB31_151:
	v_add_f32_e64 v2, 0x46000000, |v0|
	s_and_not1_b32 s23, s23, exec_lo
	s_mov_b32 s35, 0
	s_delay_alu instid0(VALU_DEP_1) | instskip(NEXT) | instid1(VALU_DEP_1)
	v_and_b32_e32 v2, 0xff, v2
	v_cmp_ne_u32_e32 vcc_lo, 0, v2
	s_and_b32 s38, vcc_lo, exec_lo
	s_delay_alu instid0(SALU_CYCLE_1)
	s_or_b32 s23, s23, s38
	s_or_b32 exec_lo, exec_lo, s34
	v_mov_b32_e32 v10, s35
	s_and_saveexec_b32 s34, s23
	s_cbranch_execnz .LBB31_53
	s_branch .LBB31_54
.LBB31_152:
	s_mov_b32 s3, -1
                                        ; implicit-def: $vgpr7
.LBB31_153:
	s_mov_b32 s22, 0
.LBB31_154:
	s_delay_alu instid0(SALU_CYCLE_1)
	s_and_b32 vcc_lo, exec_lo, s22
	s_cbranch_vccz .LBB31_158
; %bb.155:
	v_cmp_eq_u16_e32 vcc_lo, 29, v6
	s_cbranch_vccz .LBB31_157
; %bb.156:
	global_load_b32 v7, v[1:2], off
	s_mov_b32 s2, -1
	s_mov_b32 s3, 0
	s_branch .LBB31_158
.LBB31_157:
	s_mov_b32 s3, -1
                                        ; implicit-def: $vgpr7
.LBB31_158:
	s_mov_b32 s22, 0
.LBB31_159:
	s_delay_alu instid0(SALU_CYCLE_1)
	s_and_b32 vcc_lo, exec_lo, s22
	s_cbranch_vccz .LBB31_175
; %bb.160:
	v_cmp_gt_i16_e32 vcc_lo, 27, v6
	s_cbranch_vccnz .LBB31_163
; %bb.161:
	v_cmp_lt_i16_e32 vcc_lo, 27, v6
	s_cbranch_vccz .LBB31_164
; %bb.162:
	global_load_b32 v7, v[1:2], off
	s_mov_b32 s2, 0
	s_branch .LBB31_165
.LBB31_163:
	s_mov_b32 s2, -1
                                        ; implicit-def: $vgpr7
	s_branch .LBB31_168
.LBB31_164:
	s_mov_b32 s2, -1
                                        ; implicit-def: $vgpr7
.LBB31_165:
	s_delay_alu instid0(SALU_CYCLE_1)
	s_and_not1_b32 vcc_lo, exec_lo, s2
	s_cbranch_vccnz .LBB31_167
; %bb.166:
	global_load_u16 v7, v[1:2], off
.LBB31_167:
	s_mov_b32 s2, 0
.LBB31_168:
	s_delay_alu instid0(SALU_CYCLE_1)
	s_and_not1_b32 vcc_lo, exec_lo, s2
	s_cbranch_vccnz .LBB31_174
; %bb.169:
	global_load_u8 v3, v[1:2], off
	s_mov_b32 s2, 0
	s_mov_b32 s22, exec_lo
                                        ; implicit-def: $sgpr23
	s_waitcnt vmcnt(0)
	v_cmpx_lt_i16_e32 0x7f, v3
	s_xor_b32 s22, exec_lo, s22
	s_cbranch_execz .LBB31_185
; %bb.170:
	v_cmp_ne_u16_e32 vcc_lo, 0x80, v3
	s_mov_b32 s23, 0
	s_and_b32 s2, vcc_lo, exec_lo
	s_or_saveexec_b32 s22, s22
	v_mov_b32_e32 v7, s23
	s_xor_b32 exec_lo, exec_lo, s22
	s_cbranch_execnz .LBB31_186
.LBB31_171:
	s_or_b32 exec_lo, exec_lo, s22
	s_and_saveexec_b32 s22, s2
	s_cbranch_execz .LBB31_173
.LBB31_172:
	v_and_b32_e32 v4, 0xffff, v3
	v_lshlrev_b32_e32 v3, 24, v3
	s_delay_alu instid0(VALU_DEP_2) | instskip(NEXT) | instid1(VALU_DEP_2)
	v_and_b32_e32 v7, 7, v4
	v_and_b32_e32 v3, 0x80000000, v3
	s_delay_alu instid0(VALU_DEP_2) | instskip(NEXT) | instid1(VALU_DEP_1)
	v_clz_i32_u32_e32 v9, v7
	v_min_u32_e32 v9, 32, v9
	s_delay_alu instid0(VALU_DEP_1) | instskip(SKIP_1) | instid1(VALU_DEP_2)
	v_subrev_nc_u32_e32 v10, 28, v9
	v_sub_nc_u32_e32 v9, 29, v9
	v_lshlrev_b32_e32 v10, v10, v4
	v_bfe_u32 v4, v4, 3, 4
	s_delay_alu instid0(VALU_DEP_2) | instskip(NEXT) | instid1(VALU_DEP_2)
	v_and_b32_e32 v10, 7, v10
	v_cmp_eq_u32_e32 vcc_lo, 0, v4
	s_delay_alu instid0(VALU_DEP_2) | instskip(NEXT) | instid1(VALU_DEP_1)
	v_dual_cndmask_b32 v4, v4, v9 :: v_dual_cndmask_b32 v7, v7, v10
	v_lshl_add_u32 v4, v4, 23, 0x3b800000
	s_delay_alu instid0(VALU_DEP_2) | instskip(NEXT) | instid1(VALU_DEP_1)
	v_lshlrev_b32_e32 v7, 20, v7
	v_or3_b32 v3, v3, v4, v7
	s_delay_alu instid0(VALU_DEP_1)
	v_cvt_i32_f32_e32 v7, v3
.LBB31_173:
	s_or_b32 exec_lo, exec_lo, s22
.LBB31_174:
	s_mov_b32 s2, -1
.LBB31_175:
	s_branch .LBB31_208
.LBB31_176:
	v_cmp_lt_i16_e32 vcc_lo, 22, v6
	s_cbranch_vccz .LBB31_184
; %bb.177:
	v_cmp_gt_i16_e32 vcc_lo, 24, v6
	s_cbranch_vccnz .LBB31_187
; %bb.178:
	v_cmp_lt_i16_e32 vcc_lo, 24, v6
	s_cbranch_vccz .LBB31_188
; %bb.179:
	global_load_u8 v3, v[1:2], off
	s_mov_b32 s2, 0
	s_mov_b32 s22, exec_lo
                                        ; implicit-def: $sgpr23
	s_waitcnt vmcnt(0)
	v_cmpx_lt_i16_e32 0x7f, v3
	s_xor_b32 s22, exec_lo, s22
	s_cbranch_execz .LBB31_200
; %bb.180:
	v_cmp_ne_u16_e32 vcc_lo, 0x80, v3
	s_mov_b32 s23, 0
	s_and_b32 s2, vcc_lo, exec_lo
	s_or_saveexec_b32 s22, s22
	v_mov_b32_e32 v7, s23
	s_xor_b32 exec_lo, exec_lo, s22
	s_cbranch_execnz .LBB31_201
.LBB31_181:
	s_or_b32 exec_lo, exec_lo, s22
	s_and_saveexec_b32 s22, s2
	s_cbranch_execz .LBB31_183
.LBB31_182:
	v_and_b32_e32 v4, 0xffff, v3
	v_lshlrev_b32_e32 v3, 24, v3
	s_delay_alu instid0(VALU_DEP_2) | instskip(NEXT) | instid1(VALU_DEP_2)
	v_and_b32_e32 v7, 3, v4
	v_and_b32_e32 v3, 0x80000000, v3
	s_delay_alu instid0(VALU_DEP_2) | instskip(NEXT) | instid1(VALU_DEP_1)
	v_clz_i32_u32_e32 v9, v7
	v_min_u32_e32 v9, 32, v9
	s_delay_alu instid0(VALU_DEP_1) | instskip(SKIP_1) | instid1(VALU_DEP_2)
	v_subrev_nc_u32_e32 v10, 29, v9
	v_sub_nc_u32_e32 v9, 30, v9
	v_lshlrev_b32_e32 v10, v10, v4
	v_bfe_u32 v4, v4, 2, 5
	s_delay_alu instid0(VALU_DEP_2) | instskip(NEXT) | instid1(VALU_DEP_2)
	v_and_b32_e32 v10, 3, v10
	v_cmp_eq_u32_e32 vcc_lo, 0, v4
	s_delay_alu instid0(VALU_DEP_2) | instskip(NEXT) | instid1(VALU_DEP_1)
	v_dual_cndmask_b32 v4, v4, v9 :: v_dual_cndmask_b32 v7, v7, v10
	v_lshl_add_u32 v4, v4, 23, 0x37800000
	s_delay_alu instid0(VALU_DEP_2) | instskip(NEXT) | instid1(VALU_DEP_1)
	v_lshlrev_b32_e32 v7, 21, v7
	v_or3_b32 v3, v3, v4, v7
	s_delay_alu instid0(VALU_DEP_1)
	v_cvt_i32_f32_e32 v7, v3
.LBB31_183:
	s_or_b32 exec_lo, exec_lo, s22
	s_mov_b32 s2, 0
	s_branch .LBB31_189
.LBB31_184:
	s_mov_b32 s22, -1
                                        ; implicit-def: $vgpr7
	s_branch .LBB31_195
.LBB31_185:
	s_or_saveexec_b32 s22, s22
	v_mov_b32_e32 v7, s23
	s_xor_b32 exec_lo, exec_lo, s22
	s_cbranch_execz .LBB31_171
.LBB31_186:
	v_cmp_ne_u16_e32 vcc_lo, 0, v3
	v_mov_b32_e32 v7, 0
	s_and_not1_b32 s2, s2, exec_lo
	s_and_b32 s23, vcc_lo, exec_lo
	s_delay_alu instid0(SALU_CYCLE_1)
	s_or_b32 s2, s2, s23
	s_or_b32 exec_lo, exec_lo, s22
	s_and_saveexec_b32 s22, s2
	s_cbranch_execnz .LBB31_172
	s_branch .LBB31_173
.LBB31_187:
	s_mov_b32 s2, -1
                                        ; implicit-def: $vgpr7
	s_branch .LBB31_192
.LBB31_188:
	s_mov_b32 s2, -1
                                        ; implicit-def: $vgpr7
.LBB31_189:
	s_delay_alu instid0(SALU_CYCLE_1)
	s_and_b32 vcc_lo, exec_lo, s2
	s_cbranch_vccz .LBB31_191
; %bb.190:
	global_load_u8 v3, v[1:2], off
	s_waitcnt vmcnt(0)
	v_lshlrev_b32_e32 v3, 24, v3
	s_delay_alu instid0(VALU_DEP_1) | instskip(NEXT) | instid1(VALU_DEP_1)
	v_and_b32_e32 v4, 0x7f000000, v3
	v_clz_i32_u32_e32 v7, v4
	v_cmp_ne_u32_e32 vcc_lo, 0, v4
	v_add_nc_u32_e32 v10, 0x1000000, v4
	s_delay_alu instid0(VALU_DEP_3) | instskip(NEXT) | instid1(VALU_DEP_1)
	v_min_u32_e32 v7, 32, v7
	v_sub_nc_u32_e64 v7, v7, 4 clamp
	s_delay_alu instid0(VALU_DEP_1) | instskip(SKIP_1) | instid1(VALU_DEP_2)
	v_lshlrev_b32_e32 v9, v7, v4
	v_lshlrev_b32_e32 v7, 23, v7
	v_lshrrev_b32_e32 v9, 4, v9
	s_delay_alu instid0(VALU_DEP_1) | instskip(SKIP_1) | instid1(VALU_DEP_2)
	v_sub_nc_u32_e32 v7, v9, v7
	v_ashrrev_i32_e32 v9, 8, v10
	v_add_nc_u32_e32 v7, 0x3c000000, v7
	s_delay_alu instid0(VALU_DEP_1) | instskip(NEXT) | instid1(VALU_DEP_1)
	v_and_or_b32 v7, 0x7f800000, v9, v7
	v_cndmask_b32_e32 v4, 0, v7, vcc_lo
	s_delay_alu instid0(VALU_DEP_1) | instskip(NEXT) | instid1(VALU_DEP_1)
	v_and_or_b32 v3, 0x80000000, v3, v4
	v_cvt_i32_f32_e32 v7, v3
.LBB31_191:
	s_mov_b32 s2, 0
.LBB31_192:
	s_delay_alu instid0(SALU_CYCLE_1)
	s_and_not1_b32 vcc_lo, exec_lo, s2
	s_cbranch_vccnz .LBB31_194
; %bb.193:
	global_load_u8 v3, v[1:2], off
	s_waitcnt vmcnt(0)
	v_lshlrev_b32_e32 v4, 25, v3
	v_lshlrev_b16 v3, 8, v3
	s_delay_alu instid0(VALU_DEP_1) | instskip(SKIP_1) | instid1(VALU_DEP_2)
	v_and_or_b32 v9, 0x7f00, v3, 0.5
	v_bfe_i32 v3, v3, 0, 16
	v_add_f32_e32 v9, -0.5, v9
	v_lshrrev_b32_e32 v7, 4, v4
	v_cmp_gt_u32_e32 vcc_lo, 0x8000000, v4
	s_delay_alu instid0(VALU_DEP_2) | instskip(NEXT) | instid1(VALU_DEP_1)
	v_or_b32_e32 v7, 0x70000000, v7
	v_mul_f32_e32 v7, 0x7800000, v7
	s_delay_alu instid0(VALU_DEP_1) | instskip(NEXT) | instid1(VALU_DEP_1)
	v_cndmask_b32_e32 v4, v7, v9, vcc_lo
	v_and_or_b32 v3, 0x80000000, v3, v4
	s_delay_alu instid0(VALU_DEP_1)
	v_cvt_i32_f32_e32 v7, v3
.LBB31_194:
	s_mov_b32 s22, 0
	s_mov_b32 s2, -1
.LBB31_195:
	s_and_not1_b32 vcc_lo, exec_lo, s22
	s_cbranch_vccnz .LBB31_208
; %bb.196:
	v_cmp_lt_i16_e32 vcc_lo, 14, v6
	s_cbranch_vccz .LBB31_199
; %bb.197:
	v_cmp_eq_u16_e32 vcc_lo, 15, v6
	s_cbranch_vccz .LBB31_202
; %bb.198:
	global_load_u16 v3, v[1:2], off
	s_mov_b32 s2, -1
	s_mov_b32 s3, 0
	s_waitcnt vmcnt(0)
	v_lshlrev_b32_e32 v3, 16, v3
	s_delay_alu instid0(VALU_DEP_1)
	v_cvt_i32_f32_e32 v7, v3
	s_branch .LBB31_203
.LBB31_199:
	s_mov_b32 s22, -1
                                        ; implicit-def: $vgpr7
	s_branch .LBB31_204
.LBB31_200:
	s_or_saveexec_b32 s22, s22
	v_mov_b32_e32 v7, s23
	s_xor_b32 exec_lo, exec_lo, s22
	s_cbranch_execz .LBB31_181
.LBB31_201:
	v_cmp_ne_u16_e32 vcc_lo, 0, v3
	v_mov_b32_e32 v7, 0
	s_and_not1_b32 s2, s2, exec_lo
	s_and_b32 s23, vcc_lo, exec_lo
	s_delay_alu instid0(SALU_CYCLE_1)
	s_or_b32 s2, s2, s23
	s_or_b32 exec_lo, exec_lo, s22
	s_and_saveexec_b32 s22, s2
	s_cbranch_execnz .LBB31_182
	s_branch .LBB31_183
.LBB31_202:
	s_mov_b32 s3, -1
                                        ; implicit-def: $vgpr7
.LBB31_203:
	s_mov_b32 s22, 0
.LBB31_204:
	s_delay_alu instid0(SALU_CYCLE_1)
	s_and_b32 vcc_lo, exec_lo, s22
	s_cbranch_vccz .LBB31_208
; %bb.205:
	v_cmp_eq_u16_e32 vcc_lo, 11, v6
	s_cbranch_vccz .LBB31_207
; %bb.206:
	global_load_u8 v3, v[1:2], off
	s_mov_b32 s3, 0
	s_mov_b32 s2, -1
	s_waitcnt vmcnt(0)
	v_cmp_ne_u16_e32 vcc_lo, 0, v3
	v_cndmask_b32_e64 v7, 0, 1, vcc_lo
	s_branch .LBB31_208
.LBB31_207:
	s_mov_b32 s3, -1
                                        ; implicit-def: $vgpr7
.LBB31_208:
	s_branch .LBB31_23
.LBB31_209:
	v_cmp_gt_i16_e32 vcc_lo, 5, v6
	s_cbranch_vccnz .LBB31_214
; %bb.210:
	v_cmp_gt_i16_e32 vcc_lo, 8, v6
	s_cbranch_vccnz .LBB31_215
; %bb.211:
	;; [unrolled: 3-line block ×3, first 2 shown]
	v_cmp_lt_i16_e32 vcc_lo, 9, v6
	s_cbranch_vccz .LBB31_217
; %bb.213:
	global_load_b64 v[3:4], v[1:2], off
	s_mov_b32 s2, 0
	s_waitcnt vmcnt(0)
	v_cvt_i32_f64_e32 v7, v[3:4]
	s_branch .LBB31_218
.LBB31_214:
                                        ; implicit-def: $vgpr7
	s_branch .LBB31_236
.LBB31_215:
	s_mov_b32 s2, -1
                                        ; implicit-def: $vgpr7
	s_branch .LBB31_224
.LBB31_216:
	s_mov_b32 s2, -1
                                        ; implicit-def: $vgpr7
	s_branch .LBB31_221
.LBB31_217:
	s_mov_b32 s2, -1
                                        ; implicit-def: $vgpr7
.LBB31_218:
	s_delay_alu instid0(SALU_CYCLE_1)
	s_and_not1_b32 vcc_lo, exec_lo, s2
	s_cbranch_vccnz .LBB31_220
; %bb.219:
	global_load_b32 v3, v[1:2], off
	s_waitcnt vmcnt(0)
	v_cvt_i32_f32_e32 v7, v3
.LBB31_220:
	s_mov_b32 s2, 0
.LBB31_221:
	s_delay_alu instid0(SALU_CYCLE_1)
	s_and_not1_b32 vcc_lo, exec_lo, s2
	s_cbranch_vccnz .LBB31_223
; %bb.222:
	global_load_b32 v3, v[1:2], off
	s_waitcnt vmcnt(0)
	v_cvt_f32_f16_e32 v3, v3
	s_delay_alu instid0(VALU_DEP_1)
	v_cvt_i32_f32_e32 v7, v3
.LBB31_223:
	s_mov_b32 s2, 0
.LBB31_224:
	s_delay_alu instid0(SALU_CYCLE_1)
	s_and_not1_b32 vcc_lo, exec_lo, s2
	s_cbranch_vccnz .LBB31_235
; %bb.225:
	v_cmp_gt_i16_e32 vcc_lo, 6, v6
	s_cbranch_vccnz .LBB31_228
; %bb.226:
	v_cmp_lt_i16_e32 vcc_lo, 6, v6
	s_cbranch_vccz .LBB31_229
; %bb.227:
	global_load_b64 v[3:4], v[1:2], off
	s_mov_b32 s2, 0
	s_waitcnt vmcnt(0)
	v_cvt_i32_f64_e32 v7, v[3:4]
	s_branch .LBB31_230
.LBB31_228:
	s_mov_b32 s2, -1
                                        ; implicit-def: $vgpr7
	s_branch .LBB31_233
.LBB31_229:
	s_mov_b32 s2, -1
                                        ; implicit-def: $vgpr7
.LBB31_230:
	s_delay_alu instid0(SALU_CYCLE_1)
	s_and_not1_b32 vcc_lo, exec_lo, s2
	s_cbranch_vccnz .LBB31_232
; %bb.231:
	global_load_b32 v3, v[1:2], off
	s_waitcnt vmcnt(0)
	v_cvt_i32_f32_e32 v7, v3
.LBB31_232:
	s_mov_b32 s2, 0
.LBB31_233:
	s_delay_alu instid0(SALU_CYCLE_1)
	s_and_not1_b32 vcc_lo, exec_lo, s2
	s_cbranch_vccnz .LBB31_235
; %bb.234:
	global_load_u16 v3, v[1:2], off
	s_waitcnt vmcnt(0)
	v_cvt_f32_f16_e32 v3, v3
	s_delay_alu instid0(VALU_DEP_1)
	v_cvt_i32_f32_e32 v7, v3
.LBB31_235:
	s_cbranch_execnz .LBB31_255
.LBB31_236:
	v_cmp_gt_i16_e32 vcc_lo, 2, v6
	s_cbranch_vccnz .LBB31_240
; %bb.237:
	v_cmp_gt_i16_e32 vcc_lo, 3, v6
	s_cbranch_vccnz .LBB31_241
; %bb.238:
	v_cmp_lt_i16_e32 vcc_lo, 3, v6
	s_cbranch_vccz .LBB31_242
; %bb.239:
	global_load_b32 v7, v[1:2], off
	s_mov_b32 s2, 0
	s_branch .LBB31_243
.LBB31_240:
	s_mov_b32 s2, -1
                                        ; implicit-def: $vgpr7
	s_branch .LBB31_249
.LBB31_241:
	s_mov_b32 s2, -1
                                        ; implicit-def: $vgpr7
	s_branch .LBB31_246
.LBB31_242:
	s_mov_b32 s2, -1
                                        ; implicit-def: $vgpr7
.LBB31_243:
	s_delay_alu instid0(SALU_CYCLE_1)
	s_and_not1_b32 vcc_lo, exec_lo, s2
	s_cbranch_vccnz .LBB31_245
; %bb.244:
	global_load_b32 v7, v[1:2], off
.LBB31_245:
	s_mov_b32 s2, 0
.LBB31_246:
	s_delay_alu instid0(SALU_CYCLE_1)
	s_and_not1_b32 vcc_lo, exec_lo, s2
	s_cbranch_vccnz .LBB31_248
; %bb.247:
	global_load_i16 v7, v[1:2], off
.LBB31_248:
	s_mov_b32 s2, 0
.LBB31_249:
	s_delay_alu instid0(SALU_CYCLE_1)
	s_and_not1_b32 vcc_lo, exec_lo, s2
	s_cbranch_vccnz .LBB31_255
; %bb.250:
	v_cmp_lt_i16_e32 vcc_lo, 0, v6
	s_mov_b32 s2, 0
	s_cbranch_vccz .LBB31_252
; %bb.251:
	global_load_i8 v7, v[1:2], off
	s_branch .LBB31_253
.LBB31_252:
	s_mov_b32 s2, -1
                                        ; implicit-def: $vgpr7
.LBB31_253:
	s_delay_alu instid0(SALU_CYCLE_1)
	s_and_not1_b32 vcc_lo, exec_lo, s2
	s_cbranch_vccnz .LBB31_255
; %bb.254:
	global_load_u8 v7, v[1:2], off
.LBB31_255:
	s_branch .LBB31_24
.LBB31_256:
	s_mov_b32 s2, 0
.LBB31_257:
	s_mov_b32 s22, 0
                                        ; implicit-def: $vgpr8
.LBB31_258:
	s_and_b32 s34, s2, exec_lo
	s_and_b32 s35, s3, exec_lo
	s_or_not1_b32 s3, s22, exec_lo
.LBB31_259:
	s_or_b32 exec_lo, exec_lo, s36
	s_mov_b32 s22, 0
	s_mov_b32 s2, 0
                                        ; implicit-def: $vgpr1_vgpr2
                                        ; implicit-def: $vgpr0
                                        ; implicit-def: $vgpr7
	s_and_saveexec_b32 s36, s3
	s_cbranch_execz .LBB31_890
; %bb.260:
	s_mov_b32 s2, -1
	s_mov_b32 s37, s35
	s_mov_b32 s38, s34
	s_mov_b32 s39, exec_lo
	v_cmpx_gt_i32_e64 s30, v8
	s_cbranch_execz .LBB31_525
; %bb.261:
	s_and_not1_b32 vcc_lo, exec_lo, s27
	s_cbranch_vccnz .LBB31_266
; %bb.262:
	v_dual_mov_b32 v0, 0 :: v_dual_mov_b32 v1, 0
	s_and_not1_b32 vcc_lo, exec_lo, s33
	s_mov_b32 s37, 0
	s_cbranch_vccnz .LBB31_271
; %bb.263:
	v_mov_b32_e32 v0, 0
	s_add_i32 s40, s31, 1
	s_cmp_eq_u32 s25, 2
	s_mov_b32 s38, 0
	s_cbranch_scc1 .LBB31_267
; %bb.264:
	v_dual_mov_b32 v1, 0 :: v_dual_mov_b32 v0, 0
	v_mov_b32_e32 v2, v8
	s_and_b32 s38, s40, 28
	s_mov_b32 s41, 0
	s_mov_b64 s[2:3], s[20:21]
	s_mov_b64 s[22:23], s[16:17]
.LBB31_265:                             ; =>This Inner Loop Header: Depth=1
	s_clause 0x1
	s_load_b256 s[44:51], s[22:23], 0x4
	s_load_b128 s[60:63], s[22:23], 0x24
	s_load_b256 s[52:59], s[2:3], 0x0
	s_add_u32 s22, s22, 48
	s_addc_u32 s23, s23, 0
	s_add_i32 s41, s41, 4
	s_add_u32 s2, s2, 32
	s_addc_u32 s3, s3, 0
	s_cmp_eq_u32 s38, s41
	s_waitcnt lgkmcnt(0)
	v_mul_hi_u32 v3, s45, v2
	s_delay_alu instid0(VALU_DEP_1) | instskip(NEXT) | instid1(VALU_DEP_1)
	v_add_nc_u32_e32 v3, v2, v3
	v_lshrrev_b32_e32 v3, s46, v3
	s_delay_alu instid0(VALU_DEP_1) | instskip(SKIP_1) | instid1(VALU_DEP_2)
	v_mul_hi_u32 v4, s48, v3
	v_mul_lo_u32 v9, v3, s44
	v_add_nc_u32_e32 v4, v3, v4
	s_delay_alu instid0(VALU_DEP_2) | instskip(NEXT) | instid1(VALU_DEP_2)
	v_sub_nc_u32_e32 v2, v2, v9
	v_lshrrev_b32_e32 v4, s49, v4
	s_delay_alu instid0(VALU_DEP_2) | instskip(SKIP_2) | instid1(VALU_DEP_3)
	v_mul_lo_u32 v9, v2, s52
	v_mul_lo_u32 v11, v2, s53
	s_waitcnt vmcnt(0)
	v_mul_hi_u32 v7, s51, v4
	s_delay_alu instid0(VALU_DEP_1) | instskip(NEXT) | instid1(VALU_DEP_1)
	v_add_nc_u32_e32 v7, v4, v7
	v_lshrrev_b32_e32 v7, s60, v7
	s_delay_alu instid0(VALU_DEP_1) | instskip(SKIP_1) | instid1(VALU_DEP_2)
	v_mul_hi_u32 v10, s62, v7
	v_mul_lo_u32 v12, v7, s50
	v_add_nc_u32_e32 v2, v7, v10
	v_mul_lo_u32 v10, v4, s47
	s_delay_alu instid0(VALU_DEP_3) | instskip(NEXT) | instid1(VALU_DEP_3)
	v_sub_nc_u32_e32 v4, v4, v12
	v_lshrrev_b32_e32 v2, s63, v2
	s_delay_alu instid0(VALU_DEP_2) | instskip(SKIP_2) | instid1(VALU_DEP_4)
	v_mul_lo_u32 v12, v4, s56
	v_mul_lo_u32 v4, v4, s57
	v_sub_nc_u32_e32 v3, v3, v10
	v_mul_lo_u32 v13, v2, s61
	s_delay_alu instid0(VALU_DEP_2) | instskip(SKIP_1) | instid1(VALU_DEP_3)
	v_mul_lo_u32 v10, v3, s54
	v_mul_lo_u32 v3, v3, s55
	v_sub_nc_u32_e32 v7, v7, v13
	s_delay_alu instid0(VALU_DEP_3) | instskip(NEXT) | instid1(VALU_DEP_2)
	v_add3_u32 v0, v9, v0, v10
	v_mul_lo_u32 v13, v7, s58
	v_mul_lo_u32 v7, v7, s59
	v_add3_u32 v1, v11, v1, v3
	s_delay_alu instid0(VALU_DEP_3) | instskip(NEXT) | instid1(VALU_DEP_2)
	v_add3_u32 v0, v12, v0, v13
	v_add3_u32 v1, v4, v1, v7
	s_cbranch_scc0 .LBB31_265
	s_branch .LBB31_268
.LBB31_266:
	s_mov_b32 s37, -1
                                        ; implicit-def: $vgpr0
                                        ; implicit-def: $vgpr1
	s_branch .LBB31_271
.LBB31_267:
	v_dual_mov_b32 v2, v8 :: v_dual_mov_b32 v1, 0
.LBB31_268:
	s_and_b32 s40, s40, 3
	s_delay_alu instid0(SALU_CYCLE_1)
	s_cmp_eq_u32 s40, 0
	s_cbranch_scc1 .LBB31_271
; %bb.269:
	s_lshl_b32 s2, s38, 3
	s_mul_i32 s22, s38, 12
	s_add_u32 s2, s2, s16
	s_addc_u32 s3, s17, 0
	s_add_u32 s2, s2, 0xc4
	s_addc_u32 s3, s3, 0
	s_add_u32 s22, s16, s22
	s_addc_u32 s23, s17, 0
	.p2align	6
.LBB31_270:                             ; =>This Inner Loop Header: Depth=1
	s_clause 0x1
	s_load_b64 s[42:43], s[22:23], 0x4
	s_load_b32 s38, s[22:23], 0xc
	s_load_b64 s[44:45], s[2:3], 0x0
	s_add_u32 s22, s22, 12
	s_addc_u32 s23, s23, 0
	s_add_u32 s2, s2, 8
	s_addc_u32 s3, s3, 0
	s_add_i32 s40, s40, -1
	s_delay_alu instid0(SALU_CYCLE_1) | instskip(SKIP_2) | instid1(VALU_DEP_1)
	s_cmp_lg_u32 s40, 0
	s_waitcnt lgkmcnt(0)
	v_mul_hi_u32 v3, s43, v2
	v_add_nc_u32_e32 v3, v2, v3
	s_waitcnt vmcnt(0)
	s_delay_alu instid0(VALU_DEP_1) | instskip(NEXT) | instid1(VALU_DEP_1)
	v_lshrrev_b32_e32 v7, s38, v3
	v_mul_lo_u32 v3, v7, s42
	s_delay_alu instid0(VALU_DEP_1) | instskip(NEXT) | instid1(VALU_DEP_1)
	v_sub_nc_u32_e32 v2, v2, v3
	v_mad_u64_u32 v[3:4], null, v2, s44, v[0:1]
	v_mad_u64_u32 v[9:10], null, v2, s45, v[1:2]
	v_mov_b32_e32 v2, v7
	s_delay_alu instid0(VALU_DEP_2)
	v_dual_mov_b32 v0, v3 :: v_dual_mov_b32 v1, v9
	s_cbranch_scc1 .LBB31_270
.LBB31_271:
	s_and_not1_b32 vcc_lo, exec_lo, s37
	s_cbranch_vccnz .LBB31_274
; %bb.272:
	s_waitcnt lgkmcnt(0)
	v_mul_hi_u32 v0, s13, v8
	s_and_not1_b32 vcc_lo, exec_lo, s29
	s_delay_alu instid0(VALU_DEP_1) | instskip(NEXT) | instid1(VALU_DEP_1)
	v_add_nc_u32_e32 v0, v8, v0
	v_lshrrev_b32_e32 v2, s14, v0
	s_delay_alu instid0(VALU_DEP_1) | instskip(NEXT) | instid1(VALU_DEP_1)
	v_mul_lo_u32 v0, v2, s12
	v_sub_nc_u32_e32 v1, v8, v0
	s_delay_alu instid0(VALU_DEP_1)
	v_mul_lo_u32 v0, v1, s8
	v_mul_lo_u32 v1, v1, s9
	s_cbranch_vccnz .LBB31_274
; %bb.273:
	v_mul_hi_u32 v3, s18, v2
	s_delay_alu instid0(VALU_DEP_1) | instskip(NEXT) | instid1(VALU_DEP_1)
	v_add_nc_u32_e32 v3, v2, v3
	v_lshrrev_b32_e32 v3, s19, v3
	s_delay_alu instid0(VALU_DEP_1) | instskip(SKIP_1) | instid1(VALU_DEP_1)
	v_mul_lo_u32 v3, v3, s15
	s_waitcnt vmcnt(0)
	v_sub_nc_u32_e32 v7, v2, v3
	s_delay_alu instid0(VALU_DEP_1) | instskip(NEXT) | instid1(VALU_DEP_1)
	v_mad_u64_u32 v[2:3], null, v7, s10, v[0:1]
	v_mad_u64_u32 v[3:4], null, v7, s11, v[1:2]
	s_delay_alu instid0(VALU_DEP_1)
	v_dual_mov_b32 v0, v2 :: v_dual_mov_b32 v1, v3
.LBB31_274:
	v_cmp_gt_i16_e32 vcc_lo, 11, v6
	s_waitcnt lgkmcnt(0)
	s_delay_alu instid0(VALU_DEP_2) | instskip(NEXT) | instid1(VALU_DEP_1)
	v_add_co_u32 v1, s2, s6, v1
	v_add_co_ci_u32_e64 v2, null, s7, 0, s2
	s_mov_b32 s2, 0
	s_cbranch_vccnz .LBB31_281
; %bb.275:
	v_cmp_lt_i16_e32 vcc_lo, 25, v6
	s_cbranch_vccz .LBB31_330
; %bb.276:
	v_cmp_lt_i16_e32 vcc_lo, 28, v6
	s_cbranch_vccz .LBB31_331
	;; [unrolled: 3-line block ×4, first 2 shown]
; %bb.279:
	v_cmp_eq_u16_e32 vcc_lo, 46, v6
	s_mov_b32 s22, 0
	s_cbranch_vccz .LBB31_339
; %bb.280:
	global_load_b32 v3, v[1:2], off
	s_mov_b32 s2, -1
	s_mov_b32 s3, 0
	s_waitcnt vmcnt(0)
	v_lshlrev_b32_e32 v3, 16, v3
	s_delay_alu instid0(VALU_DEP_1)
	v_cvt_i32_f32_e32 v7, v3
	s_branch .LBB31_341
.LBB31_281:
	s_mov_b32 s3, s35
                                        ; implicit-def: $vgpr7
	s_cbranch_execnz .LBB31_474
.LBB31_282:
	s_and_not1_b32 vcc_lo, exec_lo, s2
	s_cbranch_vccnz .LBB31_522
.LBB31_283:
	v_and_b32_e32 v9, 0xff, v5
	v_add_co_u32 v3, s2, s4, v0
	s_waitcnt vmcnt(0)
	s_delay_alu instid0(VALU_DEP_3)
	v_not_b32_e32 v1, v7
	v_add_co_ci_u32_e64 v4, null, s5, 0, s2
	v_cmp_gt_i16_e32 vcc_lo, 11, v9
	s_mov_b32 s22, 0
	s_mov_b32 s23, -1
	s_mov_b32 s2, s34
	s_cbranch_vccnz .LBB31_290
; %bb.284:
	v_cmp_lt_i16_e32 vcc_lo, 25, v9
	s_cbranch_vccz .LBB31_332
; %bb.285:
	v_cmp_lt_i16_e32 vcc_lo, 28, v9
	s_cbranch_vccz .LBB31_334
; %bb.286:
	v_cmp_lt_i16_e32 vcc_lo, 43, v9
	s_cbranch_vccz .LBB31_336
; %bb.287:
	v_cmp_lt_i16_e32 vcc_lo, 45, v9
	s_cbranch_vccz .LBB31_344
; %bb.288:
	v_cmp_eq_u16_e32 vcc_lo, 46, v9
	s_mov_b32 s23, 0
	s_mov_b32 s2, -1
	s_cbranch_vccz .LBB31_345
; %bb.289:
	v_cvt_f32_i32_e32 v0, v1
	s_mov_b32 s22, -1
	s_mov_b32 s2, 0
	s_delay_alu instid0(VALU_DEP_1) | instskip(NEXT) | instid1(VALU_DEP_1)
	v_bfe_u32 v2, v0, 16, 1
	v_add3_u32 v0, v0, v2, 0x7fff
	s_delay_alu instid0(VALU_DEP_1)
	v_lshrrev_b32_e32 v0, 16, v0
	global_store_b32 v[3:4], v0, off
	s_branch .LBB31_345
.LBB31_290:
	s_and_b32 vcc_lo, exec_lo, s23
	s_cbranch_vccz .LBB31_414
; %bb.291:
	v_cmp_gt_i16_e32 vcc_lo, 5, v9
	s_mov_b32 s22, -1
	s_cbranch_vccnz .LBB31_312
; %bb.292:
	v_cmp_gt_i16_e32 vcc_lo, 8, v9
	s_cbranch_vccnz .LBB31_302
; %bb.293:
	v_cmp_gt_i16_e32 vcc_lo, 9, v9
	s_cbranch_vccnz .LBB31_299
; %bb.294:
	v_cmp_lt_i16_e32 vcc_lo, 9, v9
	s_cbranch_vccz .LBB31_296
; %bb.295:
	v_cvt_f64_i32_e32 v[10:11], v1
	v_mov_b32_e32 v12, 0
	s_mov_b32 s22, 0
	s_delay_alu instid0(VALU_DEP_1)
	v_mov_b32_e32 v13, v12
	global_store_b128 v[3:4], v[10:13], off
.LBB31_296:
	s_and_not1_b32 vcc_lo, exec_lo, s22
	s_cbranch_vccnz .LBB31_298
; %bb.297:
	v_cvt_f32_i32_e32 v10, v1
	v_mov_b32_e32 v11, 0
	global_store_b64 v[3:4], v[10:11], off
.LBB31_298:
	s_mov_b32 s22, 0
.LBB31_299:
	s_delay_alu instid0(SALU_CYCLE_1)
	s_and_not1_b32 vcc_lo, exec_lo, s22
	s_cbranch_vccnz .LBB31_301
; %bb.300:
	v_cvt_f32_i32_e32 v0, v1
	s_delay_alu instid0(VALU_DEP_1) | instskip(NEXT) | instid1(VALU_DEP_1)
	v_cvt_f16_f32_e32 v0, v0
	v_and_b32_e32 v0, 0xffff, v0
	global_store_b32 v[3:4], v0, off
.LBB31_301:
	s_mov_b32 s22, 0
.LBB31_302:
	s_delay_alu instid0(SALU_CYCLE_1)
	s_and_not1_b32 vcc_lo, exec_lo, s22
	s_cbranch_vccnz .LBB31_311
; %bb.303:
	v_cmp_gt_i16_e32 vcc_lo, 6, v9
	s_mov_b32 s22, -1
	s_cbranch_vccnz .LBB31_309
; %bb.304:
	v_cmp_lt_i16_e32 vcc_lo, 6, v9
	s_cbranch_vccz .LBB31_306
; %bb.305:
	v_cvt_f64_i32_e32 v[10:11], v1
	s_mov_b32 s22, 0
	global_store_b64 v[3:4], v[10:11], off
.LBB31_306:
	s_and_not1_b32 vcc_lo, exec_lo, s22
	s_cbranch_vccnz .LBB31_308
; %bb.307:
	v_cvt_f32_i32_e32 v0, v1
	global_store_b32 v[3:4], v0, off
.LBB31_308:
	s_mov_b32 s22, 0
.LBB31_309:
	s_delay_alu instid0(SALU_CYCLE_1)
	s_and_not1_b32 vcc_lo, exec_lo, s22
	s_cbranch_vccnz .LBB31_311
; %bb.310:
	v_cvt_f32_i32_e32 v0, v1
	s_delay_alu instid0(VALU_DEP_1)
	v_cvt_f16_f32_e32 v0, v0
	global_store_b16 v[3:4], v0, off
.LBB31_311:
	s_mov_b32 s22, 0
.LBB31_312:
	s_delay_alu instid0(SALU_CYCLE_1)
	s_and_not1_b32 vcc_lo, exec_lo, s22
	s_cbranch_vccnz .LBB31_328
; %bb.313:
	v_cmp_gt_i16_e32 vcc_lo, 2, v9
	s_mov_b32 s22, -1
	s_cbranch_vccnz .LBB31_323
; %bb.314:
	v_cmp_gt_i16_e32 vcc_lo, 3, v9
	s_cbranch_vccnz .LBB31_320
; %bb.315:
	v_cmp_lt_i16_e32 vcc_lo, 3, v9
	s_cbranch_vccz .LBB31_317
; %bb.316:
	v_ashrrev_i32_e32 v2, 31, v1
	s_mov_b32 s22, 0
	global_store_b64 v[3:4], v[1:2], off
.LBB31_317:
	s_and_not1_b32 vcc_lo, exec_lo, s22
	s_cbranch_vccnz .LBB31_319
; %bb.318:
	global_store_b32 v[3:4], v1, off
.LBB31_319:
	s_mov_b32 s22, 0
.LBB31_320:
	s_delay_alu instid0(SALU_CYCLE_1)
	s_and_not1_b32 vcc_lo, exec_lo, s22
	s_cbranch_vccnz .LBB31_322
; %bb.321:
	global_store_b16 v[3:4], v1, off
.LBB31_322:
	s_mov_b32 s22, 0
.LBB31_323:
	s_delay_alu instid0(SALU_CYCLE_1)
	s_and_not1_b32 vcc_lo, exec_lo, s22
	s_cbranch_vccnz .LBB31_328
; %bb.324:
	v_cmp_lt_i16_e32 vcc_lo, 0, v9
	s_mov_b32 s22, -1
	s_cbranch_vccz .LBB31_326
; %bb.325:
	s_mov_b32 s22, 0
	global_store_b8 v[3:4], v1, off
.LBB31_326:
	s_and_not1_b32 vcc_lo, exec_lo, s22
	s_cbranch_vccnz .LBB31_328
; %bb.327:
	global_store_b8 v[3:4], v1, off
.LBB31_328:
	s_branch .LBB31_415
.LBB31_329:
	s_mov_b32 s22, 0
	s_branch .LBB31_523
.LBB31_330:
	s_mov_b32 s22, -1
	s_mov_b32 s3, s35
                                        ; implicit-def: $vgpr7
	s_branch .LBB31_440
.LBB31_331:
	s_mov_b32 s22, -1
	s_mov_b32 s3, s35
                                        ; implicit-def: $vgpr7
	s_branch .LBB31_423
.LBB31_332:
	s_mov_b32 s2, s34
	s_branch .LBB31_372
.LBB31_333:
	s_mov_b32 s22, -1
	s_mov_b32 s3, s35
                                        ; implicit-def: $vgpr7
	s_branch .LBB31_418
.LBB31_334:
	s_mov_b32 s2, s34
	s_branch .LBB31_355
.LBB31_335:
	s_mov_b32 s22, -1
	s_mov_b32 s3, s35
	s_branch .LBB31_340
.LBB31_336:
	s_mov_b32 s2, s34
	s_branch .LBB31_351
.LBB31_337:
	s_or_saveexec_b32 s34, s34
                                        ; implicit-def: $sgpr35
	s_delay_alu instid0(SALU_CYCLE_1)
	s_xor_b32 exec_lo, exec_lo, s34
	s_cbranch_execz .LBB31_65
.LBB31_338:
	v_add_f32_e64 v2, 0x42800000, |v0|
	s_and_not1_b32 s23, s23, exec_lo
	s_mov_b32 s35, 0
	s_delay_alu instid0(VALU_DEP_1) | instskip(NEXT) | instid1(VALU_DEP_1)
	v_and_b32_e32 v2, 0xff, v2
	v_cmp_ne_u32_e32 vcc_lo, 0, v2
	s_and_b32 s38, vcc_lo, exec_lo
	s_delay_alu instid0(SALU_CYCLE_1)
	s_or_b32 s23, s23, s38
	s_or_b32 exec_lo, exec_lo, s34
	v_mov_b32_e32 v10, s35
	s_and_saveexec_b32 s34, s23
	s_cbranch_execnz .LBB31_66
	s_branch .LBB31_67
.LBB31_339:
	s_mov_b32 s3, -1
.LBB31_340:
                                        ; implicit-def: $vgpr7
.LBB31_341:
	s_and_b32 vcc_lo, exec_lo, s22
	s_cbranch_vccz .LBB31_417
; %bb.342:
	v_cmp_eq_u16_e32 vcc_lo, 44, v6
	s_cbranch_vccz .LBB31_416
; %bb.343:
	global_load_u8 v3, v[1:2], off
	s_mov_b32 s3, 0
	s_mov_b32 s2, -1
	s_waitcnt vmcnt(0)
	v_lshlrev_b32_e32 v4, 23, v3
	v_cmp_ne_u32_e32 vcc_lo, 0, v3
	s_delay_alu instid0(VALU_DEP_2) | instskip(NEXT) | instid1(VALU_DEP_1)
	v_cvt_i32_f32_e32 v4, v4
	v_cndmask_b32_e32 v7, 0, v4, vcc_lo
	s_branch .LBB31_417
.LBB31_344:
	s_mov_b32 s2, s34
.LBB31_345:
	s_and_b32 vcc_lo, exec_lo, s23
	s_cbranch_vccz .LBB31_350
; %bb.346:
	v_cmp_eq_u16_e32 vcc_lo, 44, v9
	s_mov_b32 s2, -1
	s_cbranch_vccz .LBB31_350
; %bb.347:
	v_cvt_f32_i32_e32 v0, v1
	v_mov_b32_e32 v2, 0xff
	s_mov_b32 s22, exec_lo
	s_delay_alu instid0(VALU_DEP_2) | instskip(NEXT) | instid1(VALU_DEP_1)
	v_bfe_u32 v10, v0, 23, 8
	v_cmpx_ne_u32_e32 0xff, v10
; %bb.348:
	v_and_b32_e32 v2, 0x400000, v0
	v_and_or_b32 v10, 0x3fffff, v0, v10
	v_lshrrev_b32_e32 v0, 23, v0
	s_delay_alu instid0(VALU_DEP_3) | instskip(NEXT) | instid1(VALU_DEP_3)
	v_cmp_ne_u32_e32 vcc_lo, 0, v2
	v_cmp_ne_u32_e64 s2, 0, v10
	s_delay_alu instid0(VALU_DEP_1) | instskip(NEXT) | instid1(SALU_CYCLE_1)
	s_and_b32 s2, vcc_lo, s2
	v_cndmask_b32_e64 v2, 0, 1, s2
	s_delay_alu instid0(VALU_DEP_1)
	v_add_nc_u32_e32 v2, v0, v2
; %bb.349:
	s_or_b32 exec_lo, exec_lo, s22
	s_mov_b32 s22, -1
	s_mov_b32 s2, 0
	global_store_b8 v[3:4], v2, off
.LBB31_350:
	s_mov_b32 s23, 0
.LBB31_351:
	s_delay_alu instid0(SALU_CYCLE_1)
	s_and_b32 vcc_lo, exec_lo, s23
	s_cbranch_vccz .LBB31_354
; %bb.352:
	v_cmp_eq_u16_e32 vcc_lo, 29, v9
	s_mov_b32 s2, -1
	s_cbranch_vccz .LBB31_354
; %bb.353:
	v_ashrrev_i32_e32 v2, 31, v1
	s_mov_b32 s22, -1
	s_mov_b32 s2, 0
	s_mov_b32 s23, 0
	global_store_b64 v[3:4], v[1:2], off
	s_branch .LBB31_355
.LBB31_354:
	s_mov_b32 s23, 0
.LBB31_355:
	s_delay_alu instid0(SALU_CYCLE_1)
	s_and_b32 vcc_lo, exec_lo, s23
	s_cbranch_vccz .LBB31_371
; %bb.356:
	v_cmp_gt_i16_e32 vcc_lo, 27, v9
	s_mov_b32 s22, -1
	s_cbranch_vccnz .LBB31_362
; %bb.357:
	v_cmp_lt_i16_e32 vcc_lo, 27, v9
	s_cbranch_vccz .LBB31_359
; %bb.358:
	s_mov_b32 s22, 0
	global_store_b32 v[3:4], v1, off
.LBB31_359:
	s_and_not1_b32 vcc_lo, exec_lo, s22
	s_cbranch_vccnz .LBB31_361
; %bb.360:
	global_store_b16 v[3:4], v1, off
.LBB31_361:
	s_mov_b32 s22, 0
.LBB31_362:
	s_delay_alu instid0(SALU_CYCLE_1)
	s_and_not1_b32 vcc_lo, exec_lo, s22
	s_cbranch_vccnz .LBB31_370
; %bb.363:
	v_cvt_f32_i32_e32 v0, v1
	v_mov_b32_e32 v10, 0x80
	s_mov_b32 s22, exec_lo
	s_delay_alu instid0(VALU_DEP_2) | instskip(NEXT) | instid1(VALU_DEP_1)
	v_and_b32_e32 v2, 0x7fffffff, v0
	v_cmpx_gt_u32_e32 0x43800000, v2
	s_cbranch_execz .LBB31_369
; %bb.364:
	v_cmp_lt_u32_e32 vcc_lo, 0x3bffffff, v2
	s_mov_b32 s23, 0
                                        ; implicit-def: $vgpr2
	s_and_saveexec_b32 s37, vcc_lo
	s_delay_alu instid0(SALU_CYCLE_1)
	s_xor_b32 s37, exec_lo, s37
	s_cbranch_execz .LBB31_551
; %bb.365:
	v_bfe_u32 v2, v0, 20, 1
	s_mov_b32 s23, exec_lo
	s_delay_alu instid0(VALU_DEP_1) | instskip(NEXT) | instid1(VALU_DEP_1)
	v_add3_u32 v2, v0, v2, 0x487ffff
	v_lshrrev_b32_e32 v2, 20, v2
	s_or_saveexec_b32 s37, s37
                                        ; implicit-def: $sgpr38
	s_delay_alu instid0(SALU_CYCLE_1)
	s_xor_b32 exec_lo, exec_lo, s37
	s_cbranch_execnz .LBB31_552
.LBB31_366:
	s_or_b32 exec_lo, exec_lo, s37
	v_mov_b32_e32 v10, s38
	s_and_saveexec_b32 s37, s23
.LBB31_367:
	v_lshrrev_b32_e32 v0, 24, v0
	s_delay_alu instid0(VALU_DEP_1)
	v_and_or_b32 v10, 0x80, v0, v2
.LBB31_368:
	s_or_b32 exec_lo, exec_lo, s37
.LBB31_369:
	s_delay_alu instid0(SALU_CYCLE_1)
	s_or_b32 exec_lo, exec_lo, s22
	global_store_b8 v[3:4], v10, off
.LBB31_370:
	s_mov_b32 s22, -1
.LBB31_371:
	s_mov_b32 s23, 0
.LBB31_372:
	s_delay_alu instid0(SALU_CYCLE_1)
	s_and_b32 vcc_lo, exec_lo, s23
	s_cbranch_vccz .LBB31_413
; %bb.373:
	v_cmp_lt_i16_e32 vcc_lo, 22, v9
	s_mov_b32 s23, -1
	s_cbranch_vccz .LBB31_405
; %bb.374:
	v_cmp_gt_i16_e32 vcc_lo, 24, v9
	s_mov_b32 s22, -1
	s_cbranch_vccnz .LBB31_394
; %bb.375:
	v_cmp_lt_i16_e32 vcc_lo, 24, v9
	s_cbranch_vccz .LBB31_383
; %bb.376:
	v_cvt_f32_i32_e32 v0, v1
	v_mov_b32_e32 v10, 0x80
	s_mov_b32 s22, exec_lo
	s_delay_alu instid0(VALU_DEP_2) | instskip(NEXT) | instid1(VALU_DEP_1)
	v_and_b32_e32 v2, 0x7fffffff, v0
	v_cmpx_gt_u32_e32 0x47800000, v2
	s_cbranch_execz .LBB31_382
; %bb.377:
	v_cmp_lt_u32_e32 vcc_lo, 0x37ffffff, v2
	s_mov_b32 s23, 0
                                        ; implicit-def: $vgpr2
	s_and_saveexec_b32 s37, vcc_lo
	s_delay_alu instid0(SALU_CYCLE_1)
	s_xor_b32 s37, exec_lo, s37
	s_cbranch_execz .LBB31_554
; %bb.378:
	v_bfe_u32 v2, v0, 21, 1
	s_mov_b32 s23, exec_lo
	s_delay_alu instid0(VALU_DEP_1) | instskip(NEXT) | instid1(VALU_DEP_1)
	v_add3_u32 v2, v0, v2, 0x88fffff
	v_lshrrev_b32_e32 v2, 21, v2
	s_or_saveexec_b32 s37, s37
                                        ; implicit-def: $sgpr38
	s_delay_alu instid0(SALU_CYCLE_1)
	s_xor_b32 exec_lo, exec_lo, s37
	s_cbranch_execnz .LBB31_555
.LBB31_379:
	s_or_b32 exec_lo, exec_lo, s37
	v_mov_b32_e32 v10, s38
	s_and_saveexec_b32 s37, s23
.LBB31_380:
	v_lshrrev_b32_e32 v0, 24, v0
	s_delay_alu instid0(VALU_DEP_1)
	v_and_or_b32 v10, 0x80, v0, v2
.LBB31_381:
	s_or_b32 exec_lo, exec_lo, s37
.LBB31_382:
	s_delay_alu instid0(SALU_CYCLE_1)
	s_or_b32 exec_lo, exec_lo, s22
	s_mov_b32 s22, 0
	global_store_b8 v[3:4], v10, off
.LBB31_383:
	s_and_b32 vcc_lo, exec_lo, s22
	s_cbranch_vccz .LBB31_393
; %bb.384:
	v_cvt_f32_i32_e32 v0, v1
	s_mov_b32 s22, exec_lo
                                        ; implicit-def: $vgpr2
	s_delay_alu instid0(VALU_DEP_1) | instskip(NEXT) | instid1(VALU_DEP_1)
	v_and_b32_e32 v10, 0x7fffffff, v0
	v_cmpx_gt_u32_e32 0x43f00000, v10
	s_xor_b32 s22, exec_lo, s22
	s_cbranch_execz .LBB31_390
; %bb.385:
	s_mov_b32 s23, exec_lo
                                        ; implicit-def: $vgpr2
	v_cmpx_lt_u32_e32 0x3c7fffff, v10
	s_xor_b32 s23, exec_lo, s23
; %bb.386:
	v_bfe_u32 v2, v0, 20, 1
	s_delay_alu instid0(VALU_DEP_1) | instskip(NEXT) | instid1(VALU_DEP_1)
	v_add3_u32 v2, v0, v2, 0x407ffff
	v_and_b32_e32 v10, 0xff00000, v2
	v_lshrrev_b32_e32 v2, 20, v2
	s_delay_alu instid0(VALU_DEP_2) | instskip(NEXT) | instid1(VALU_DEP_2)
	v_cmp_ne_u32_e32 vcc_lo, 0x7f00000, v10
	v_cndmask_b32_e32 v2, 0x7e, v2, vcc_lo
; %bb.387:
	s_and_not1_saveexec_b32 s23, s23
; %bb.388:
	v_add_f32_e64 v2, 0x46800000, |v0|
; %bb.389:
	s_or_b32 exec_lo, exec_lo, s23
                                        ; implicit-def: $vgpr10
.LBB31_390:
	s_and_not1_saveexec_b32 s22, s22
; %bb.391:
	v_mov_b32_e32 v2, 0x7f
	v_cmp_lt_u32_e32 vcc_lo, 0x7f800000, v10
	s_delay_alu instid0(VALU_DEP_2)
	v_cndmask_b32_e32 v2, 0x7e, v2, vcc_lo
; %bb.392:
	s_or_b32 exec_lo, exec_lo, s22
	v_lshrrev_b32_e32 v0, 24, v0
	s_delay_alu instid0(VALU_DEP_1)
	v_and_or_b32 v0, 0x80, v0, v2
	global_store_b8 v[3:4], v0, off
.LBB31_393:
	s_mov_b32 s22, 0
.LBB31_394:
	s_delay_alu instid0(SALU_CYCLE_1)
	s_and_not1_b32 vcc_lo, exec_lo, s22
	s_cbranch_vccnz .LBB31_404
; %bb.395:
	v_cvt_f32_i32_e32 v0, v1
	s_mov_b32 s22, exec_lo
                                        ; implicit-def: $vgpr2
	s_delay_alu instid0(VALU_DEP_1) | instskip(NEXT) | instid1(VALU_DEP_1)
	v_and_b32_e32 v10, 0x7fffffff, v0
	v_cmpx_gt_u32_e32 0x47800000, v10
	s_xor_b32 s22, exec_lo, s22
	s_cbranch_execz .LBB31_401
; %bb.396:
	s_mov_b32 s23, exec_lo
                                        ; implicit-def: $vgpr2
	v_cmpx_lt_u32_e32 0x387fffff, v10
	s_xor_b32 s23, exec_lo, s23
; %bb.397:
	v_bfe_u32 v2, v0, 21, 1
	s_delay_alu instid0(VALU_DEP_1) | instskip(NEXT) | instid1(VALU_DEP_1)
	v_add3_u32 v2, v0, v2, 0x80fffff
	v_lshrrev_b32_e32 v2, 21, v2
; %bb.398:
	s_and_not1_saveexec_b32 s23, s23
; %bb.399:
	v_add_f32_e64 v2, 0x43000000, |v0|
; %bb.400:
	s_or_b32 exec_lo, exec_lo, s23
                                        ; implicit-def: $vgpr10
.LBB31_401:
	s_and_not1_saveexec_b32 s22, s22
; %bb.402:
	v_mov_b32_e32 v2, 0x7f
	v_cmp_lt_u32_e32 vcc_lo, 0x7f800000, v10
	s_delay_alu instid0(VALU_DEP_2)
	v_cndmask_b32_e32 v2, 0x7c, v2, vcc_lo
; %bb.403:
	s_or_b32 exec_lo, exec_lo, s22
	v_lshrrev_b32_e32 v0, 24, v0
	s_delay_alu instid0(VALU_DEP_1)
	v_and_or_b32 v0, 0x80, v0, v2
	global_store_b8 v[3:4], v0, off
.LBB31_404:
	s_mov_b32 s23, 0
	s_mov_b32 s22, -1
.LBB31_405:
	s_and_not1_b32 vcc_lo, exec_lo, s23
	s_cbranch_vccnz .LBB31_413
; %bb.406:
	v_cmp_lt_i16_e32 vcc_lo, 14, v9
	s_mov_b32 s23, -1
	s_cbranch_vccz .LBB31_410
; %bb.407:
	v_cmp_eq_u16_e32 vcc_lo, 15, v9
	s_mov_b32 s2, -1
	s_cbranch_vccz .LBB31_409
; %bb.408:
	v_cvt_f32_i32_e32 v0, v1
	s_mov_b32 s22, -1
	s_mov_b32 s2, 0
	s_delay_alu instid0(VALU_DEP_1) | instskip(NEXT) | instid1(VALU_DEP_1)
	v_bfe_u32 v2, v0, 16, 1
	v_add3_u32 v0, v0, v2, 0x7fff
	global_store_d16_hi_b16 v[3:4], v0, off
.LBB31_409:
	s_mov_b32 s23, 0
.LBB31_410:
	s_delay_alu instid0(SALU_CYCLE_1)
	s_and_b32 vcc_lo, exec_lo, s23
	s_cbranch_vccz .LBB31_413
; %bb.411:
	v_cmp_eq_u16_e32 vcc_lo, 11, v9
	s_mov_b32 s2, -1
	s_cbranch_vccz .LBB31_413
; %bb.412:
	v_cmp_ne_u32_e32 vcc_lo, -1, v7
	s_mov_b32 s22, -1
	s_mov_b32 s2, 0
	v_cndmask_b32_e64 v0, 0, 1, vcc_lo
	global_store_b8 v[3:4], v0, off
.LBB31_413:
.LBB31_414:
	s_and_not1_b32 vcc_lo, exec_lo, s22
	s_cbranch_vccnz .LBB31_329
.LBB31_415:
	v_add_nc_u32_e32 v8, 0x80, v8
	s_mov_b32 s22, -1
	s_branch .LBB31_524
.LBB31_416:
	s_mov_b32 s3, -1
                                        ; implicit-def: $vgpr7
.LBB31_417:
	s_mov_b32 s22, 0
.LBB31_418:
	s_delay_alu instid0(SALU_CYCLE_1)
	s_and_b32 vcc_lo, exec_lo, s22
	s_cbranch_vccz .LBB31_422
; %bb.419:
	v_cmp_eq_u16_e32 vcc_lo, 29, v6
	s_cbranch_vccz .LBB31_421
; %bb.420:
	global_load_b32 v7, v[1:2], off
	s_mov_b32 s2, -1
	s_mov_b32 s3, 0
	s_branch .LBB31_422
.LBB31_421:
	s_mov_b32 s3, -1
                                        ; implicit-def: $vgpr7
.LBB31_422:
	s_mov_b32 s22, 0
.LBB31_423:
	s_delay_alu instid0(SALU_CYCLE_1)
	s_and_b32 vcc_lo, exec_lo, s22
	s_cbranch_vccz .LBB31_439
; %bb.424:
	v_cmp_gt_i16_e32 vcc_lo, 27, v6
	s_cbranch_vccnz .LBB31_427
; %bb.425:
	v_cmp_lt_i16_e32 vcc_lo, 27, v6
	s_cbranch_vccz .LBB31_428
; %bb.426:
	global_load_b32 v7, v[1:2], off
	s_mov_b32 s2, 0
	s_branch .LBB31_429
.LBB31_427:
	s_mov_b32 s2, -1
                                        ; implicit-def: $vgpr7
	s_branch .LBB31_432
.LBB31_428:
	s_mov_b32 s2, -1
                                        ; implicit-def: $vgpr7
.LBB31_429:
	s_delay_alu instid0(SALU_CYCLE_1)
	s_and_not1_b32 vcc_lo, exec_lo, s2
	s_cbranch_vccnz .LBB31_431
; %bb.430:
	global_load_u16 v7, v[1:2], off
.LBB31_431:
	s_mov_b32 s2, 0
.LBB31_432:
	s_delay_alu instid0(SALU_CYCLE_1)
	s_and_not1_b32 vcc_lo, exec_lo, s2
	s_cbranch_vccnz .LBB31_438
; %bb.433:
	global_load_u8 v3, v[1:2], off
	s_mov_b32 s2, 0
	s_mov_b32 s22, exec_lo
                                        ; implicit-def: $sgpr23
	s_waitcnt vmcnt(0)
	v_cmpx_lt_i16_e32 0x7f, v3
	s_xor_b32 s22, exec_lo, s22
	s_cbranch_execz .LBB31_450
; %bb.434:
	v_cmp_ne_u16_e32 vcc_lo, 0x80, v3
	s_mov_b32 s23, 0
	s_and_b32 s2, vcc_lo, exec_lo
	s_or_saveexec_b32 s22, s22
	v_mov_b32_e32 v7, s23
	s_xor_b32 exec_lo, exec_lo, s22
	s_cbranch_execnz .LBB31_451
.LBB31_435:
	s_or_b32 exec_lo, exec_lo, s22
	s_and_saveexec_b32 s22, s2
	s_cbranch_execz .LBB31_437
.LBB31_436:
	v_and_b32_e32 v4, 0xffff, v3
	v_lshlrev_b32_e32 v3, 24, v3
	s_delay_alu instid0(VALU_DEP_2) | instskip(NEXT) | instid1(VALU_DEP_2)
	v_and_b32_e32 v7, 7, v4
	v_and_b32_e32 v3, 0x80000000, v3
	s_delay_alu instid0(VALU_DEP_2) | instskip(NEXT) | instid1(VALU_DEP_1)
	v_clz_i32_u32_e32 v9, v7
	v_min_u32_e32 v9, 32, v9
	s_delay_alu instid0(VALU_DEP_1) | instskip(SKIP_1) | instid1(VALU_DEP_2)
	v_subrev_nc_u32_e32 v10, 28, v9
	v_sub_nc_u32_e32 v9, 29, v9
	v_lshlrev_b32_e32 v10, v10, v4
	v_bfe_u32 v4, v4, 3, 4
	s_delay_alu instid0(VALU_DEP_2) | instskip(NEXT) | instid1(VALU_DEP_2)
	v_and_b32_e32 v10, 7, v10
	v_cmp_eq_u32_e32 vcc_lo, 0, v4
	s_delay_alu instid0(VALU_DEP_2) | instskip(NEXT) | instid1(VALU_DEP_1)
	v_dual_cndmask_b32 v4, v4, v9 :: v_dual_cndmask_b32 v7, v7, v10
	v_lshl_add_u32 v4, v4, 23, 0x3b800000
	s_delay_alu instid0(VALU_DEP_2) | instskip(NEXT) | instid1(VALU_DEP_1)
	v_lshlrev_b32_e32 v7, 20, v7
	v_or3_b32 v3, v3, v4, v7
	s_delay_alu instid0(VALU_DEP_1)
	v_cvt_i32_f32_e32 v7, v3
.LBB31_437:
	s_or_b32 exec_lo, exec_lo, s22
.LBB31_438:
	s_mov_b32 s2, -1
.LBB31_439:
	s_mov_b32 s22, 0
.LBB31_440:
	s_delay_alu instid0(SALU_CYCLE_1)
	s_and_b32 vcc_lo, exec_lo, s22
	s_cbranch_vccz .LBB31_473
; %bb.441:
	v_cmp_lt_i16_e32 vcc_lo, 22, v6
	s_cbranch_vccz .LBB31_449
; %bb.442:
	v_cmp_gt_i16_e32 vcc_lo, 24, v6
	s_cbranch_vccnz .LBB31_452
; %bb.443:
	v_cmp_lt_i16_e32 vcc_lo, 24, v6
	s_cbranch_vccz .LBB31_453
; %bb.444:
	global_load_u8 v3, v[1:2], off
	s_mov_b32 s2, 0
	s_mov_b32 s22, exec_lo
                                        ; implicit-def: $sgpr23
	s_waitcnt vmcnt(0)
	v_cmpx_lt_i16_e32 0x7f, v3
	s_xor_b32 s22, exec_lo, s22
	s_cbranch_execz .LBB31_465
; %bb.445:
	v_cmp_ne_u16_e32 vcc_lo, 0x80, v3
	s_mov_b32 s23, 0
	s_and_b32 s2, vcc_lo, exec_lo
	s_or_saveexec_b32 s22, s22
	v_mov_b32_e32 v7, s23
	s_xor_b32 exec_lo, exec_lo, s22
	s_cbranch_execnz .LBB31_466
.LBB31_446:
	s_or_b32 exec_lo, exec_lo, s22
	s_and_saveexec_b32 s22, s2
	s_cbranch_execz .LBB31_448
.LBB31_447:
	v_and_b32_e32 v4, 0xffff, v3
	v_lshlrev_b32_e32 v3, 24, v3
	s_delay_alu instid0(VALU_DEP_2) | instskip(NEXT) | instid1(VALU_DEP_2)
	v_and_b32_e32 v7, 3, v4
	v_and_b32_e32 v3, 0x80000000, v3
	s_delay_alu instid0(VALU_DEP_2) | instskip(NEXT) | instid1(VALU_DEP_1)
	v_clz_i32_u32_e32 v9, v7
	v_min_u32_e32 v9, 32, v9
	s_delay_alu instid0(VALU_DEP_1) | instskip(SKIP_1) | instid1(VALU_DEP_2)
	v_subrev_nc_u32_e32 v10, 29, v9
	v_sub_nc_u32_e32 v9, 30, v9
	v_lshlrev_b32_e32 v10, v10, v4
	v_bfe_u32 v4, v4, 2, 5
	s_delay_alu instid0(VALU_DEP_2) | instskip(NEXT) | instid1(VALU_DEP_2)
	v_and_b32_e32 v10, 3, v10
	v_cmp_eq_u32_e32 vcc_lo, 0, v4
	s_delay_alu instid0(VALU_DEP_2) | instskip(NEXT) | instid1(VALU_DEP_1)
	v_dual_cndmask_b32 v4, v4, v9 :: v_dual_cndmask_b32 v7, v7, v10
	v_lshl_add_u32 v4, v4, 23, 0x37800000
	s_delay_alu instid0(VALU_DEP_2) | instskip(NEXT) | instid1(VALU_DEP_1)
	v_lshlrev_b32_e32 v7, 21, v7
	v_or3_b32 v3, v3, v4, v7
	s_delay_alu instid0(VALU_DEP_1)
	v_cvt_i32_f32_e32 v7, v3
.LBB31_448:
	s_or_b32 exec_lo, exec_lo, s22
	s_mov_b32 s2, 0
	s_branch .LBB31_454
.LBB31_449:
	s_mov_b32 s22, -1
                                        ; implicit-def: $vgpr7
	s_branch .LBB31_460
.LBB31_450:
	s_or_saveexec_b32 s22, s22
	v_mov_b32_e32 v7, s23
	s_xor_b32 exec_lo, exec_lo, s22
	s_cbranch_execz .LBB31_435
.LBB31_451:
	v_cmp_ne_u16_e32 vcc_lo, 0, v3
	v_mov_b32_e32 v7, 0
	s_and_not1_b32 s2, s2, exec_lo
	s_and_b32 s23, vcc_lo, exec_lo
	s_delay_alu instid0(SALU_CYCLE_1)
	s_or_b32 s2, s2, s23
	s_or_b32 exec_lo, exec_lo, s22
	s_and_saveexec_b32 s22, s2
	s_cbranch_execnz .LBB31_436
	s_branch .LBB31_437
.LBB31_452:
	s_mov_b32 s2, -1
                                        ; implicit-def: $vgpr7
	s_branch .LBB31_457
.LBB31_453:
	s_mov_b32 s2, -1
                                        ; implicit-def: $vgpr7
.LBB31_454:
	s_delay_alu instid0(SALU_CYCLE_1)
	s_and_b32 vcc_lo, exec_lo, s2
	s_cbranch_vccz .LBB31_456
; %bb.455:
	global_load_u8 v3, v[1:2], off
	s_waitcnt vmcnt(0)
	v_lshlrev_b32_e32 v3, 24, v3
	s_delay_alu instid0(VALU_DEP_1) | instskip(NEXT) | instid1(VALU_DEP_1)
	v_and_b32_e32 v4, 0x7f000000, v3
	v_clz_i32_u32_e32 v7, v4
	v_cmp_ne_u32_e32 vcc_lo, 0, v4
	v_add_nc_u32_e32 v10, 0x1000000, v4
	s_delay_alu instid0(VALU_DEP_3) | instskip(NEXT) | instid1(VALU_DEP_1)
	v_min_u32_e32 v7, 32, v7
	v_sub_nc_u32_e64 v7, v7, 4 clamp
	s_delay_alu instid0(VALU_DEP_1) | instskip(SKIP_1) | instid1(VALU_DEP_2)
	v_lshlrev_b32_e32 v9, v7, v4
	v_lshlrev_b32_e32 v7, 23, v7
	v_lshrrev_b32_e32 v9, 4, v9
	s_delay_alu instid0(VALU_DEP_1) | instskip(SKIP_1) | instid1(VALU_DEP_2)
	v_sub_nc_u32_e32 v7, v9, v7
	v_ashrrev_i32_e32 v9, 8, v10
	v_add_nc_u32_e32 v7, 0x3c000000, v7
	s_delay_alu instid0(VALU_DEP_1) | instskip(NEXT) | instid1(VALU_DEP_1)
	v_and_or_b32 v7, 0x7f800000, v9, v7
	v_cndmask_b32_e32 v4, 0, v7, vcc_lo
	s_delay_alu instid0(VALU_DEP_1) | instskip(NEXT) | instid1(VALU_DEP_1)
	v_and_or_b32 v3, 0x80000000, v3, v4
	v_cvt_i32_f32_e32 v7, v3
.LBB31_456:
	s_mov_b32 s2, 0
.LBB31_457:
	s_delay_alu instid0(SALU_CYCLE_1)
	s_and_not1_b32 vcc_lo, exec_lo, s2
	s_cbranch_vccnz .LBB31_459
; %bb.458:
	global_load_u8 v3, v[1:2], off
	s_waitcnt vmcnt(0)
	v_lshlrev_b32_e32 v4, 25, v3
	v_lshlrev_b16 v3, 8, v3
	s_delay_alu instid0(VALU_DEP_1) | instskip(SKIP_1) | instid1(VALU_DEP_2)
	v_and_or_b32 v9, 0x7f00, v3, 0.5
	v_bfe_i32 v3, v3, 0, 16
	v_add_f32_e32 v9, -0.5, v9
	v_lshrrev_b32_e32 v7, 4, v4
	v_cmp_gt_u32_e32 vcc_lo, 0x8000000, v4
	s_delay_alu instid0(VALU_DEP_2) | instskip(NEXT) | instid1(VALU_DEP_1)
	v_or_b32_e32 v7, 0x70000000, v7
	v_mul_f32_e32 v7, 0x7800000, v7
	s_delay_alu instid0(VALU_DEP_1) | instskip(NEXT) | instid1(VALU_DEP_1)
	v_cndmask_b32_e32 v4, v7, v9, vcc_lo
	v_and_or_b32 v3, 0x80000000, v3, v4
	s_delay_alu instid0(VALU_DEP_1)
	v_cvt_i32_f32_e32 v7, v3
.LBB31_459:
	s_mov_b32 s22, 0
	s_mov_b32 s2, -1
.LBB31_460:
	s_and_not1_b32 vcc_lo, exec_lo, s22
	s_cbranch_vccnz .LBB31_473
; %bb.461:
	v_cmp_lt_i16_e32 vcc_lo, 14, v6
	s_cbranch_vccz .LBB31_464
; %bb.462:
	v_cmp_eq_u16_e32 vcc_lo, 15, v6
	s_cbranch_vccz .LBB31_467
; %bb.463:
	global_load_u16 v3, v[1:2], off
	s_mov_b32 s2, -1
	s_mov_b32 s3, 0
	s_waitcnt vmcnt(0)
	v_lshlrev_b32_e32 v3, 16, v3
	s_delay_alu instid0(VALU_DEP_1)
	v_cvt_i32_f32_e32 v7, v3
	s_branch .LBB31_468
.LBB31_464:
	s_mov_b32 s22, -1
                                        ; implicit-def: $vgpr7
	s_branch .LBB31_469
.LBB31_465:
	s_or_saveexec_b32 s22, s22
	v_mov_b32_e32 v7, s23
	s_xor_b32 exec_lo, exec_lo, s22
	s_cbranch_execz .LBB31_446
.LBB31_466:
	v_cmp_ne_u16_e32 vcc_lo, 0, v3
	v_mov_b32_e32 v7, 0
	s_and_not1_b32 s2, s2, exec_lo
	s_and_b32 s23, vcc_lo, exec_lo
	s_delay_alu instid0(SALU_CYCLE_1)
	s_or_b32 s2, s2, s23
	s_or_b32 exec_lo, exec_lo, s22
	s_and_saveexec_b32 s22, s2
	s_cbranch_execnz .LBB31_447
	s_branch .LBB31_448
.LBB31_467:
	s_mov_b32 s3, -1
                                        ; implicit-def: $vgpr7
.LBB31_468:
	s_mov_b32 s22, 0
.LBB31_469:
	s_delay_alu instid0(SALU_CYCLE_1)
	s_and_b32 vcc_lo, exec_lo, s22
	s_cbranch_vccz .LBB31_473
; %bb.470:
	v_cmp_eq_u16_e32 vcc_lo, 11, v6
	s_cbranch_vccz .LBB31_472
; %bb.471:
	global_load_u8 v3, v[1:2], off
	s_mov_b32 s3, 0
	s_mov_b32 s2, -1
	s_waitcnt vmcnt(0)
	v_cmp_ne_u16_e32 vcc_lo, 0, v3
	v_cndmask_b32_e64 v7, 0, 1, vcc_lo
	s_branch .LBB31_473
.LBB31_472:
	s_mov_b32 s3, -1
                                        ; implicit-def: $vgpr7
.LBB31_473:
	s_branch .LBB31_282
.LBB31_474:
	v_cmp_gt_i16_e32 vcc_lo, 5, v6
	s_cbranch_vccnz .LBB31_479
; %bb.475:
	v_cmp_gt_i16_e32 vcc_lo, 8, v6
	s_cbranch_vccnz .LBB31_480
; %bb.476:
	;; [unrolled: 3-line block ×3, first 2 shown]
	v_cmp_lt_i16_e32 vcc_lo, 9, v6
	s_cbranch_vccz .LBB31_482
; %bb.478:
	global_load_b64 v[3:4], v[1:2], off
	s_mov_b32 s2, 0
	s_waitcnt vmcnt(0)
	v_cvt_i32_f64_e32 v7, v[3:4]
	s_branch .LBB31_483
.LBB31_479:
	s_mov_b32 s2, -1
                                        ; implicit-def: $vgpr7
	s_branch .LBB31_501
.LBB31_480:
	s_mov_b32 s2, -1
                                        ; implicit-def: $vgpr7
	s_branch .LBB31_489
.LBB31_481:
	s_mov_b32 s2, -1
                                        ; implicit-def: $vgpr7
	s_branch .LBB31_486
.LBB31_482:
	s_mov_b32 s2, -1
                                        ; implicit-def: $vgpr7
.LBB31_483:
	s_delay_alu instid0(SALU_CYCLE_1)
	s_and_not1_b32 vcc_lo, exec_lo, s2
	s_cbranch_vccnz .LBB31_485
; %bb.484:
	global_load_b32 v3, v[1:2], off
	s_waitcnt vmcnt(0)
	v_cvt_i32_f32_e32 v7, v3
.LBB31_485:
	s_mov_b32 s2, 0
.LBB31_486:
	s_delay_alu instid0(SALU_CYCLE_1)
	s_and_not1_b32 vcc_lo, exec_lo, s2
	s_cbranch_vccnz .LBB31_488
; %bb.487:
	global_load_b32 v3, v[1:2], off
	s_waitcnt vmcnt(0)
	v_cvt_f32_f16_e32 v3, v3
	s_delay_alu instid0(VALU_DEP_1)
	v_cvt_i32_f32_e32 v7, v3
.LBB31_488:
	s_mov_b32 s2, 0
.LBB31_489:
	s_delay_alu instid0(SALU_CYCLE_1)
	s_and_not1_b32 vcc_lo, exec_lo, s2
	s_cbranch_vccnz .LBB31_500
; %bb.490:
	v_cmp_gt_i16_e32 vcc_lo, 6, v6
	s_cbranch_vccnz .LBB31_493
; %bb.491:
	v_cmp_lt_i16_e32 vcc_lo, 6, v6
	s_cbranch_vccz .LBB31_494
; %bb.492:
	global_load_b64 v[3:4], v[1:2], off
	s_mov_b32 s2, 0
	s_waitcnt vmcnt(0)
	v_cvt_i32_f64_e32 v7, v[3:4]
	s_branch .LBB31_495
.LBB31_493:
	s_mov_b32 s2, -1
                                        ; implicit-def: $vgpr7
	s_branch .LBB31_498
.LBB31_494:
	s_mov_b32 s2, -1
                                        ; implicit-def: $vgpr7
.LBB31_495:
	s_delay_alu instid0(SALU_CYCLE_1)
	s_and_not1_b32 vcc_lo, exec_lo, s2
	s_cbranch_vccnz .LBB31_497
; %bb.496:
	global_load_b32 v3, v[1:2], off
	s_waitcnt vmcnt(0)
	v_cvt_i32_f32_e32 v7, v3
.LBB31_497:
	s_mov_b32 s2, 0
.LBB31_498:
	s_delay_alu instid0(SALU_CYCLE_1)
	s_and_not1_b32 vcc_lo, exec_lo, s2
	s_cbranch_vccnz .LBB31_500
; %bb.499:
	global_load_u16 v3, v[1:2], off
	s_waitcnt vmcnt(0)
	v_cvt_f32_f16_e32 v3, v3
	s_delay_alu instid0(VALU_DEP_1)
	v_cvt_i32_f32_e32 v7, v3
.LBB31_500:
	s_mov_b32 s2, 0
.LBB31_501:
	s_delay_alu instid0(SALU_CYCLE_1)
	s_and_not1_b32 vcc_lo, exec_lo, s2
	s_cbranch_vccnz .LBB31_521
; %bb.502:
	v_cmp_gt_i16_e32 vcc_lo, 2, v6
	s_cbranch_vccnz .LBB31_506
; %bb.503:
	v_cmp_gt_i16_e32 vcc_lo, 3, v6
	s_cbranch_vccnz .LBB31_507
; %bb.504:
	v_cmp_lt_i16_e32 vcc_lo, 3, v6
	s_cbranch_vccz .LBB31_508
; %bb.505:
	global_load_b32 v7, v[1:2], off
	s_mov_b32 s2, 0
	s_branch .LBB31_509
.LBB31_506:
	s_mov_b32 s2, -1
                                        ; implicit-def: $vgpr7
	s_branch .LBB31_515
.LBB31_507:
	s_mov_b32 s2, -1
                                        ; implicit-def: $vgpr7
	s_branch .LBB31_512
.LBB31_508:
	s_mov_b32 s2, -1
                                        ; implicit-def: $vgpr7
.LBB31_509:
	s_delay_alu instid0(SALU_CYCLE_1)
	s_and_not1_b32 vcc_lo, exec_lo, s2
	s_cbranch_vccnz .LBB31_511
; %bb.510:
	global_load_b32 v7, v[1:2], off
.LBB31_511:
	s_mov_b32 s2, 0
.LBB31_512:
	s_delay_alu instid0(SALU_CYCLE_1)
	s_and_not1_b32 vcc_lo, exec_lo, s2
	s_cbranch_vccnz .LBB31_514
; %bb.513:
	global_load_i16 v7, v[1:2], off
.LBB31_514:
	s_mov_b32 s2, 0
.LBB31_515:
	s_delay_alu instid0(SALU_CYCLE_1)
	s_and_not1_b32 vcc_lo, exec_lo, s2
	s_cbranch_vccnz .LBB31_521
; %bb.516:
	v_cmp_lt_i16_e32 vcc_lo, 0, v6
	s_mov_b32 s2, 0
	s_cbranch_vccz .LBB31_518
; %bb.517:
	global_load_i8 v7, v[1:2], off
	s_branch .LBB31_519
.LBB31_518:
	s_mov_b32 s2, -1
                                        ; implicit-def: $vgpr7
.LBB31_519:
	s_delay_alu instid0(SALU_CYCLE_1)
	s_and_not1_b32 vcc_lo, exec_lo, s2
	s_cbranch_vccnz .LBB31_521
; %bb.520:
	global_load_u8 v7, v[1:2], off
.LBB31_521:
	s_branch .LBB31_283
.LBB31_522:
	s_mov_b32 s22, 0
	s_mov_b32 s2, s34
.LBB31_523:
                                        ; implicit-def: $vgpr8
.LBB31_524:
	s_and_not1_b32 s23, s34, exec_lo
	s_and_b32 s2, s2, exec_lo
	s_and_not1_b32 s37, s35, exec_lo
	s_and_b32 s3, s3, exec_lo
	s_or_b32 s38, s23, s2
	s_or_b32 s37, s37, s3
	s_or_not1_b32 s2, s22, exec_lo
.LBB31_525:
	s_or_b32 exec_lo, exec_lo, s39
	s_mov_b32 s3, 0
	s_mov_b32 s23, 0
	;; [unrolled: 1-line block ×3, first 2 shown]
                                        ; implicit-def: $vgpr1_vgpr2
                                        ; implicit-def: $vgpr0
                                        ; implicit-def: $vgpr7
	s_and_saveexec_b32 s39, s2
	s_cbranch_execz .LBB31_889
; %bb.526:
	s_mov_b32 s42, -1
	s_mov_b32 s22, s37
	s_mov_b32 s23, s38
	s_mov_b32 s40, exec_lo
	v_cmpx_gt_i32_e64 s30, v8
	s_cbranch_execz .LBB31_794
; %bb.527:
	s_and_not1_b32 vcc_lo, exec_lo, s27
	s_cbranch_vccnz .LBB31_532
; %bb.528:
	v_dual_mov_b32 v0, 0 :: v_dual_mov_b32 v1, 0
	s_and_not1_b32 vcc_lo, exec_lo, s33
	s_mov_b32 s41, 0
	s_cbranch_vccnz .LBB31_537
; %bb.529:
	v_mov_b32_e32 v0, 0
	s_add_i32 s43, s31, 1
	s_cmp_eq_u32 s25, 2
	s_mov_b32 s42, 0
	s_cbranch_scc1 .LBB31_533
; %bb.530:
	v_dual_mov_b32 v1, 0 :: v_dual_mov_b32 v0, 0
	v_mov_b32_e32 v2, v8
	s_and_b32 s42, s43, 28
	s_mov_b32 s44, 0
	s_mov_b64 s[2:3], s[20:21]
	s_mov_b64 s[22:23], s[16:17]
.LBB31_531:                             ; =>This Inner Loop Header: Depth=1
	s_clause 0x1
	s_load_b256 s[48:55], s[22:23], 0x4
	s_load_b128 s[64:67], s[22:23], 0x24
	s_load_b256 s[56:63], s[2:3], 0x0
	s_add_u32 s22, s22, 48
	s_addc_u32 s23, s23, 0
	s_add_i32 s44, s44, 4
	s_add_u32 s2, s2, 32
	s_addc_u32 s3, s3, 0
	s_cmp_eq_u32 s42, s44
	s_waitcnt lgkmcnt(0)
	v_mul_hi_u32 v3, s49, v2
	s_delay_alu instid0(VALU_DEP_1) | instskip(NEXT) | instid1(VALU_DEP_1)
	v_add_nc_u32_e32 v3, v2, v3
	v_lshrrev_b32_e32 v3, s50, v3
	s_delay_alu instid0(VALU_DEP_1) | instskip(SKIP_1) | instid1(VALU_DEP_2)
	v_mul_hi_u32 v4, s52, v3
	v_mul_lo_u32 v9, v3, s48
	v_add_nc_u32_e32 v4, v3, v4
	s_delay_alu instid0(VALU_DEP_2) | instskip(NEXT) | instid1(VALU_DEP_2)
	v_sub_nc_u32_e32 v2, v2, v9
	v_lshrrev_b32_e32 v4, s53, v4
	s_delay_alu instid0(VALU_DEP_2) | instskip(SKIP_2) | instid1(VALU_DEP_3)
	v_mul_lo_u32 v9, v2, s56
	v_mul_lo_u32 v11, v2, s57
	s_waitcnt vmcnt(0)
	v_mul_hi_u32 v7, s55, v4
	s_delay_alu instid0(VALU_DEP_1) | instskip(NEXT) | instid1(VALU_DEP_1)
	v_add_nc_u32_e32 v7, v4, v7
	v_lshrrev_b32_e32 v7, s64, v7
	s_delay_alu instid0(VALU_DEP_1) | instskip(SKIP_1) | instid1(VALU_DEP_2)
	v_mul_hi_u32 v10, s66, v7
	v_mul_lo_u32 v12, v7, s54
	v_add_nc_u32_e32 v2, v7, v10
	v_mul_lo_u32 v10, v4, s51
	s_delay_alu instid0(VALU_DEP_3) | instskip(NEXT) | instid1(VALU_DEP_3)
	v_sub_nc_u32_e32 v4, v4, v12
	v_lshrrev_b32_e32 v2, s67, v2
	s_delay_alu instid0(VALU_DEP_2) | instskip(SKIP_2) | instid1(VALU_DEP_4)
	v_mul_lo_u32 v12, v4, s60
	v_mul_lo_u32 v4, v4, s61
	v_sub_nc_u32_e32 v3, v3, v10
	v_mul_lo_u32 v13, v2, s65
	s_delay_alu instid0(VALU_DEP_2) | instskip(SKIP_1) | instid1(VALU_DEP_3)
	v_mul_lo_u32 v10, v3, s58
	v_mul_lo_u32 v3, v3, s59
	v_sub_nc_u32_e32 v7, v7, v13
	s_delay_alu instid0(VALU_DEP_3) | instskip(NEXT) | instid1(VALU_DEP_2)
	v_add3_u32 v0, v9, v0, v10
	v_mul_lo_u32 v13, v7, s62
	v_mul_lo_u32 v7, v7, s63
	v_add3_u32 v1, v11, v1, v3
	s_delay_alu instid0(VALU_DEP_3) | instskip(NEXT) | instid1(VALU_DEP_2)
	v_add3_u32 v0, v12, v0, v13
	v_add3_u32 v1, v4, v1, v7
	s_cbranch_scc0 .LBB31_531
	s_branch .LBB31_534
.LBB31_532:
	s_mov_b32 s41, -1
                                        ; implicit-def: $vgpr0
                                        ; implicit-def: $vgpr1
	s_branch .LBB31_537
.LBB31_533:
	v_dual_mov_b32 v2, v8 :: v_dual_mov_b32 v1, 0
.LBB31_534:
	s_and_b32 s43, s43, 3
	s_delay_alu instid0(SALU_CYCLE_1)
	s_cmp_eq_u32 s43, 0
	s_cbranch_scc1 .LBB31_537
; %bb.535:
	s_lshl_b32 s2, s42, 3
	s_mul_i32 s22, s42, 12
	s_add_u32 s2, s2, s16
	s_addc_u32 s3, s17, 0
	s_add_u32 s2, s2, 0xc4
	s_addc_u32 s3, s3, 0
	;; [unrolled: 2-line block ×3, first 2 shown]
	.p2align	6
.LBB31_536:                             ; =>This Inner Loop Header: Depth=1
	s_clause 0x1
	s_load_b64 s[44:45], s[22:23], 0x4
	s_load_b32 s42, s[22:23], 0xc
	s_load_b64 s[46:47], s[2:3], 0x0
	s_add_u32 s22, s22, 12
	s_addc_u32 s23, s23, 0
	s_add_u32 s2, s2, 8
	s_addc_u32 s3, s3, 0
	s_add_i32 s43, s43, -1
	s_delay_alu instid0(SALU_CYCLE_1) | instskip(SKIP_2) | instid1(VALU_DEP_1)
	s_cmp_lg_u32 s43, 0
	s_waitcnt lgkmcnt(0)
	v_mul_hi_u32 v3, s45, v2
	v_add_nc_u32_e32 v3, v2, v3
	s_waitcnt vmcnt(0)
	s_delay_alu instid0(VALU_DEP_1) | instskip(NEXT) | instid1(VALU_DEP_1)
	v_lshrrev_b32_e32 v7, s42, v3
	v_mul_lo_u32 v3, v7, s44
	s_delay_alu instid0(VALU_DEP_1) | instskip(NEXT) | instid1(VALU_DEP_1)
	v_sub_nc_u32_e32 v2, v2, v3
	v_mad_u64_u32 v[3:4], null, v2, s46, v[0:1]
	v_mad_u64_u32 v[9:10], null, v2, s47, v[1:2]
	v_mov_b32_e32 v2, v7
	s_delay_alu instid0(VALU_DEP_2)
	v_dual_mov_b32 v0, v3 :: v_dual_mov_b32 v1, v9
	s_cbranch_scc1 .LBB31_536
.LBB31_537:
	s_and_not1_b32 vcc_lo, exec_lo, s41
	s_cbranch_vccnz .LBB31_540
; %bb.538:
	s_waitcnt lgkmcnt(0)
	v_mul_hi_u32 v0, s13, v8
	s_and_not1_b32 vcc_lo, exec_lo, s29
	s_delay_alu instid0(VALU_DEP_1) | instskip(NEXT) | instid1(VALU_DEP_1)
	v_add_nc_u32_e32 v0, v8, v0
	v_lshrrev_b32_e32 v2, s14, v0
	s_delay_alu instid0(VALU_DEP_1) | instskip(NEXT) | instid1(VALU_DEP_1)
	v_mul_lo_u32 v0, v2, s12
	v_sub_nc_u32_e32 v1, v8, v0
	s_delay_alu instid0(VALU_DEP_1)
	v_mul_lo_u32 v0, v1, s8
	v_mul_lo_u32 v1, v1, s9
	s_cbranch_vccnz .LBB31_540
; %bb.539:
	v_mul_hi_u32 v3, s18, v2
	s_delay_alu instid0(VALU_DEP_1) | instskip(NEXT) | instid1(VALU_DEP_1)
	v_add_nc_u32_e32 v3, v2, v3
	v_lshrrev_b32_e32 v3, s19, v3
	s_delay_alu instid0(VALU_DEP_1) | instskip(SKIP_1) | instid1(VALU_DEP_1)
	v_mul_lo_u32 v3, v3, s15
	s_waitcnt vmcnt(0)
	v_sub_nc_u32_e32 v7, v2, v3
	s_delay_alu instid0(VALU_DEP_1) | instskip(NEXT) | instid1(VALU_DEP_1)
	v_mad_u64_u32 v[2:3], null, v7, s10, v[0:1]
	v_mad_u64_u32 v[3:4], null, v7, s11, v[1:2]
	s_delay_alu instid0(VALU_DEP_1)
	v_dual_mov_b32 v0, v2 :: v_dual_mov_b32 v1, v3
.LBB31_540:
	v_cmp_gt_i16_e32 vcc_lo, 11, v6
	s_waitcnt lgkmcnt(0)
	s_delay_alu instid0(VALU_DEP_2) | instskip(NEXT) | instid1(VALU_DEP_1)
	v_add_co_u32 v1, s2, s6, v1
	v_add_co_ci_u32_e64 v2, null, s7, 0, s2
	s_mov_b32 s2, 0
	s_cbranch_vccnz .LBB31_547
; %bb.541:
	v_cmp_lt_i16_e32 vcc_lo, 25, v6
	s_cbranch_vccz .LBB31_548
; %bb.542:
	v_cmp_lt_i16_e32 vcc_lo, 28, v6
	s_cbranch_vccz .LBB31_549
	;; [unrolled: 3-line block ×4, first 2 shown]
; %bb.545:
	v_cmp_eq_u16_e32 vcc_lo, 46, v6
	s_mov_b32 s22, 0
	s_cbranch_vccz .LBB31_556
; %bb.546:
	global_load_b32 v3, v[1:2], off
	s_mov_b32 s2, -1
	s_mov_b32 s3, 0
	s_waitcnt vmcnt(0)
	v_lshlrev_b32_e32 v3, 16, v3
	s_delay_alu instid0(VALU_DEP_1)
	v_cvt_i32_f32_e32 v7, v3
	s_branch .LBB31_558
.LBB31_547:
	s_mov_b32 s22, -1
	s_mov_b32 s3, s37
                                        ; implicit-def: $vgpr7
	s_branch .LBB31_619
.LBB31_548:
	s_mov_b32 s22, -1
	s_mov_b32 s3, s37
                                        ; implicit-def: $vgpr7
	s_branch .LBB31_585
.LBB31_549:
	s_mov_b32 s22, -1
	s_mov_b32 s3, s37
                                        ; implicit-def: $vgpr7
	s_branch .LBB31_568
.LBB31_550:
	s_mov_b32 s22, -1
	s_mov_b32 s3, s37
                                        ; implicit-def: $vgpr7
	s_branch .LBB31_563
.LBB31_551:
	s_or_saveexec_b32 s37, s37
                                        ; implicit-def: $sgpr38
	s_delay_alu instid0(SALU_CYCLE_1)
	s_xor_b32 exec_lo, exec_lo, s37
	s_cbranch_execz .LBB31_366
.LBB31_552:
	v_add_f32_e64 v2, 0x46000000, |v0|
	s_and_not1_b32 s23, s23, exec_lo
	s_mov_b32 s38, 0
	s_delay_alu instid0(VALU_DEP_1) | instskip(NEXT) | instid1(VALU_DEP_1)
	v_and_b32_e32 v2, 0xff, v2
	v_cmp_ne_u32_e32 vcc_lo, 0, v2
	s_and_b32 s40, vcc_lo, exec_lo
	s_delay_alu instid0(SALU_CYCLE_1)
	s_or_b32 s23, s23, s40
	s_or_b32 exec_lo, exec_lo, s37
	v_mov_b32_e32 v10, s38
	s_and_saveexec_b32 s37, s23
	s_cbranch_execnz .LBB31_367
	s_branch .LBB31_368
.LBB31_553:
	s_mov_b32 s22, -1
	s_mov_b32 s3, s37
	s_branch .LBB31_557
.LBB31_554:
	s_or_saveexec_b32 s37, s37
                                        ; implicit-def: $sgpr38
	s_delay_alu instid0(SALU_CYCLE_1)
	s_xor_b32 exec_lo, exec_lo, s37
	s_cbranch_execz .LBB31_379
.LBB31_555:
	v_add_f32_e64 v2, 0x42800000, |v0|
	s_and_not1_b32 s23, s23, exec_lo
	s_mov_b32 s38, 0
	s_delay_alu instid0(VALU_DEP_1) | instskip(NEXT) | instid1(VALU_DEP_1)
	v_and_b32_e32 v2, 0xff, v2
	v_cmp_ne_u32_e32 vcc_lo, 0, v2
	s_and_b32 s40, vcc_lo, exec_lo
	s_delay_alu instid0(SALU_CYCLE_1)
	s_or_b32 s23, s23, s40
	s_or_b32 exec_lo, exec_lo, s37
	v_mov_b32_e32 v10, s38
	s_and_saveexec_b32 s37, s23
	s_cbranch_execnz .LBB31_380
	s_branch .LBB31_381
.LBB31_556:
	s_mov_b32 s3, -1
.LBB31_557:
                                        ; implicit-def: $vgpr7
.LBB31_558:
	s_and_b32 vcc_lo, exec_lo, s22
	s_cbranch_vccz .LBB31_562
; %bb.559:
	v_cmp_eq_u16_e32 vcc_lo, 44, v6
	s_cbranch_vccz .LBB31_561
; %bb.560:
	global_load_u8 v3, v[1:2], off
	s_mov_b32 s3, 0
	s_mov_b32 s2, -1
	s_waitcnt vmcnt(0)
	v_lshlrev_b32_e32 v4, 23, v3
	v_cmp_ne_u32_e32 vcc_lo, 0, v3
	s_delay_alu instid0(VALU_DEP_2) | instskip(NEXT) | instid1(VALU_DEP_1)
	v_cvt_i32_f32_e32 v4, v4
	v_cndmask_b32_e32 v7, 0, v4, vcc_lo
	s_branch .LBB31_562
.LBB31_561:
	s_mov_b32 s3, -1
                                        ; implicit-def: $vgpr7
.LBB31_562:
	s_mov_b32 s22, 0
.LBB31_563:
	s_delay_alu instid0(SALU_CYCLE_1)
	s_and_b32 vcc_lo, exec_lo, s22
	s_cbranch_vccz .LBB31_567
; %bb.564:
	v_cmp_eq_u16_e32 vcc_lo, 29, v6
	s_cbranch_vccz .LBB31_566
; %bb.565:
	global_load_b32 v7, v[1:2], off
	s_mov_b32 s2, -1
	s_mov_b32 s3, 0
	s_branch .LBB31_567
.LBB31_566:
	s_mov_b32 s3, -1
                                        ; implicit-def: $vgpr7
.LBB31_567:
	s_mov_b32 s22, 0
.LBB31_568:
	s_delay_alu instid0(SALU_CYCLE_1)
	s_and_b32 vcc_lo, exec_lo, s22
	s_cbranch_vccz .LBB31_584
; %bb.569:
	v_cmp_gt_i16_e32 vcc_lo, 27, v6
	s_cbranch_vccnz .LBB31_572
; %bb.570:
	v_cmp_lt_i16_e32 vcc_lo, 27, v6
	s_cbranch_vccz .LBB31_573
; %bb.571:
	global_load_b32 v7, v[1:2], off
	s_mov_b32 s2, 0
	s_branch .LBB31_574
.LBB31_572:
	s_mov_b32 s2, -1
                                        ; implicit-def: $vgpr7
	s_branch .LBB31_577
.LBB31_573:
	s_mov_b32 s2, -1
                                        ; implicit-def: $vgpr7
.LBB31_574:
	s_delay_alu instid0(SALU_CYCLE_1)
	s_and_not1_b32 vcc_lo, exec_lo, s2
	s_cbranch_vccnz .LBB31_576
; %bb.575:
	global_load_u16 v7, v[1:2], off
.LBB31_576:
	s_mov_b32 s2, 0
.LBB31_577:
	s_delay_alu instid0(SALU_CYCLE_1)
	s_and_not1_b32 vcc_lo, exec_lo, s2
	s_cbranch_vccnz .LBB31_583
; %bb.578:
	global_load_u8 v3, v[1:2], off
	s_mov_b32 s2, 0
	s_mov_b32 s22, exec_lo
                                        ; implicit-def: $sgpr23
	s_waitcnt vmcnt(0)
	v_cmpx_lt_i16_e32 0x7f, v3
	s_xor_b32 s22, exec_lo, s22
	s_cbranch_execz .LBB31_595
; %bb.579:
	v_cmp_ne_u16_e32 vcc_lo, 0x80, v3
	s_mov_b32 s23, 0
	s_and_b32 s2, vcc_lo, exec_lo
	s_or_saveexec_b32 s22, s22
	v_mov_b32_e32 v7, s23
	s_xor_b32 exec_lo, exec_lo, s22
	s_cbranch_execnz .LBB31_596
.LBB31_580:
	s_or_b32 exec_lo, exec_lo, s22
	s_and_saveexec_b32 s22, s2
	s_cbranch_execz .LBB31_582
.LBB31_581:
	v_and_b32_e32 v4, 0xffff, v3
	v_lshlrev_b32_e32 v3, 24, v3
	s_delay_alu instid0(VALU_DEP_2) | instskip(NEXT) | instid1(VALU_DEP_2)
	v_and_b32_e32 v7, 7, v4
	v_and_b32_e32 v3, 0x80000000, v3
	s_delay_alu instid0(VALU_DEP_2) | instskip(NEXT) | instid1(VALU_DEP_1)
	v_clz_i32_u32_e32 v9, v7
	v_min_u32_e32 v9, 32, v9
	s_delay_alu instid0(VALU_DEP_1) | instskip(SKIP_1) | instid1(VALU_DEP_2)
	v_subrev_nc_u32_e32 v10, 28, v9
	v_sub_nc_u32_e32 v9, 29, v9
	v_lshlrev_b32_e32 v10, v10, v4
	v_bfe_u32 v4, v4, 3, 4
	s_delay_alu instid0(VALU_DEP_2) | instskip(NEXT) | instid1(VALU_DEP_2)
	v_and_b32_e32 v10, 7, v10
	v_cmp_eq_u32_e32 vcc_lo, 0, v4
	s_delay_alu instid0(VALU_DEP_2) | instskip(NEXT) | instid1(VALU_DEP_1)
	v_dual_cndmask_b32 v4, v4, v9 :: v_dual_cndmask_b32 v7, v7, v10
	v_lshl_add_u32 v4, v4, 23, 0x3b800000
	s_delay_alu instid0(VALU_DEP_2) | instskip(NEXT) | instid1(VALU_DEP_1)
	v_lshlrev_b32_e32 v7, 20, v7
	v_or3_b32 v3, v3, v4, v7
	s_delay_alu instid0(VALU_DEP_1)
	v_cvt_i32_f32_e32 v7, v3
.LBB31_582:
	s_or_b32 exec_lo, exec_lo, s22
.LBB31_583:
	s_mov_b32 s2, -1
.LBB31_584:
	s_mov_b32 s22, 0
.LBB31_585:
	s_delay_alu instid0(SALU_CYCLE_1)
	s_and_b32 vcc_lo, exec_lo, s22
	s_cbranch_vccz .LBB31_618
; %bb.586:
	v_cmp_lt_i16_e32 vcc_lo, 22, v6
	s_cbranch_vccz .LBB31_594
; %bb.587:
	v_cmp_gt_i16_e32 vcc_lo, 24, v6
	s_cbranch_vccnz .LBB31_597
; %bb.588:
	v_cmp_lt_i16_e32 vcc_lo, 24, v6
	s_cbranch_vccz .LBB31_598
; %bb.589:
	global_load_u8 v3, v[1:2], off
	s_mov_b32 s2, 0
	s_mov_b32 s22, exec_lo
                                        ; implicit-def: $sgpr23
	s_waitcnt vmcnt(0)
	v_cmpx_lt_i16_e32 0x7f, v3
	s_xor_b32 s22, exec_lo, s22
	s_cbranch_execz .LBB31_610
; %bb.590:
	v_cmp_ne_u16_e32 vcc_lo, 0x80, v3
	s_mov_b32 s23, 0
	s_and_b32 s2, vcc_lo, exec_lo
	s_or_saveexec_b32 s22, s22
	v_mov_b32_e32 v7, s23
	s_xor_b32 exec_lo, exec_lo, s22
	s_cbranch_execnz .LBB31_611
.LBB31_591:
	s_or_b32 exec_lo, exec_lo, s22
	s_and_saveexec_b32 s22, s2
	s_cbranch_execz .LBB31_593
.LBB31_592:
	v_and_b32_e32 v4, 0xffff, v3
	v_lshlrev_b32_e32 v3, 24, v3
	s_delay_alu instid0(VALU_DEP_2) | instskip(NEXT) | instid1(VALU_DEP_2)
	v_and_b32_e32 v7, 3, v4
	v_and_b32_e32 v3, 0x80000000, v3
	s_delay_alu instid0(VALU_DEP_2) | instskip(NEXT) | instid1(VALU_DEP_1)
	v_clz_i32_u32_e32 v9, v7
	v_min_u32_e32 v9, 32, v9
	s_delay_alu instid0(VALU_DEP_1) | instskip(SKIP_1) | instid1(VALU_DEP_2)
	v_subrev_nc_u32_e32 v10, 29, v9
	v_sub_nc_u32_e32 v9, 30, v9
	v_lshlrev_b32_e32 v10, v10, v4
	v_bfe_u32 v4, v4, 2, 5
	s_delay_alu instid0(VALU_DEP_2) | instskip(NEXT) | instid1(VALU_DEP_2)
	v_and_b32_e32 v10, 3, v10
	v_cmp_eq_u32_e32 vcc_lo, 0, v4
	s_delay_alu instid0(VALU_DEP_2) | instskip(NEXT) | instid1(VALU_DEP_1)
	v_dual_cndmask_b32 v4, v4, v9 :: v_dual_cndmask_b32 v7, v7, v10
	v_lshl_add_u32 v4, v4, 23, 0x37800000
	s_delay_alu instid0(VALU_DEP_2) | instskip(NEXT) | instid1(VALU_DEP_1)
	v_lshlrev_b32_e32 v7, 21, v7
	v_or3_b32 v3, v3, v4, v7
	s_delay_alu instid0(VALU_DEP_1)
	v_cvt_i32_f32_e32 v7, v3
.LBB31_593:
	s_or_b32 exec_lo, exec_lo, s22
	s_mov_b32 s2, 0
	s_branch .LBB31_599
.LBB31_594:
	s_mov_b32 s22, -1
                                        ; implicit-def: $vgpr7
	s_branch .LBB31_605
.LBB31_595:
	s_or_saveexec_b32 s22, s22
	v_mov_b32_e32 v7, s23
	s_xor_b32 exec_lo, exec_lo, s22
	s_cbranch_execz .LBB31_580
.LBB31_596:
	v_cmp_ne_u16_e32 vcc_lo, 0, v3
	v_mov_b32_e32 v7, 0
	s_and_not1_b32 s2, s2, exec_lo
	s_and_b32 s23, vcc_lo, exec_lo
	s_delay_alu instid0(SALU_CYCLE_1)
	s_or_b32 s2, s2, s23
	s_or_b32 exec_lo, exec_lo, s22
	s_and_saveexec_b32 s22, s2
	s_cbranch_execnz .LBB31_581
	s_branch .LBB31_582
.LBB31_597:
	s_mov_b32 s2, -1
                                        ; implicit-def: $vgpr7
	s_branch .LBB31_602
.LBB31_598:
	s_mov_b32 s2, -1
                                        ; implicit-def: $vgpr7
.LBB31_599:
	s_delay_alu instid0(SALU_CYCLE_1)
	s_and_b32 vcc_lo, exec_lo, s2
	s_cbranch_vccz .LBB31_601
; %bb.600:
	global_load_u8 v3, v[1:2], off
	s_waitcnt vmcnt(0)
	v_lshlrev_b32_e32 v3, 24, v3
	s_delay_alu instid0(VALU_DEP_1) | instskip(NEXT) | instid1(VALU_DEP_1)
	v_and_b32_e32 v4, 0x7f000000, v3
	v_clz_i32_u32_e32 v7, v4
	v_cmp_ne_u32_e32 vcc_lo, 0, v4
	v_add_nc_u32_e32 v10, 0x1000000, v4
	s_delay_alu instid0(VALU_DEP_3) | instskip(NEXT) | instid1(VALU_DEP_1)
	v_min_u32_e32 v7, 32, v7
	v_sub_nc_u32_e64 v7, v7, 4 clamp
	s_delay_alu instid0(VALU_DEP_1) | instskip(SKIP_1) | instid1(VALU_DEP_2)
	v_lshlrev_b32_e32 v9, v7, v4
	v_lshlrev_b32_e32 v7, 23, v7
	v_lshrrev_b32_e32 v9, 4, v9
	s_delay_alu instid0(VALU_DEP_1) | instskip(SKIP_1) | instid1(VALU_DEP_2)
	v_sub_nc_u32_e32 v7, v9, v7
	v_ashrrev_i32_e32 v9, 8, v10
	v_add_nc_u32_e32 v7, 0x3c000000, v7
	s_delay_alu instid0(VALU_DEP_1) | instskip(NEXT) | instid1(VALU_DEP_1)
	v_and_or_b32 v7, 0x7f800000, v9, v7
	v_cndmask_b32_e32 v4, 0, v7, vcc_lo
	s_delay_alu instid0(VALU_DEP_1) | instskip(NEXT) | instid1(VALU_DEP_1)
	v_and_or_b32 v3, 0x80000000, v3, v4
	v_cvt_i32_f32_e32 v7, v3
.LBB31_601:
	s_mov_b32 s2, 0
.LBB31_602:
	s_delay_alu instid0(SALU_CYCLE_1)
	s_and_not1_b32 vcc_lo, exec_lo, s2
	s_cbranch_vccnz .LBB31_604
; %bb.603:
	global_load_u8 v3, v[1:2], off
	s_waitcnt vmcnt(0)
	v_lshlrev_b32_e32 v4, 25, v3
	v_lshlrev_b16 v3, 8, v3
	s_delay_alu instid0(VALU_DEP_1) | instskip(SKIP_1) | instid1(VALU_DEP_2)
	v_and_or_b32 v9, 0x7f00, v3, 0.5
	v_bfe_i32 v3, v3, 0, 16
	v_add_f32_e32 v9, -0.5, v9
	v_lshrrev_b32_e32 v7, 4, v4
	v_cmp_gt_u32_e32 vcc_lo, 0x8000000, v4
	s_delay_alu instid0(VALU_DEP_2) | instskip(NEXT) | instid1(VALU_DEP_1)
	v_or_b32_e32 v7, 0x70000000, v7
	v_mul_f32_e32 v7, 0x7800000, v7
	s_delay_alu instid0(VALU_DEP_1) | instskip(NEXT) | instid1(VALU_DEP_1)
	v_cndmask_b32_e32 v4, v7, v9, vcc_lo
	v_and_or_b32 v3, 0x80000000, v3, v4
	s_delay_alu instid0(VALU_DEP_1)
	v_cvt_i32_f32_e32 v7, v3
.LBB31_604:
	s_mov_b32 s22, 0
	s_mov_b32 s2, -1
.LBB31_605:
	s_and_not1_b32 vcc_lo, exec_lo, s22
	s_cbranch_vccnz .LBB31_618
; %bb.606:
	v_cmp_lt_i16_e32 vcc_lo, 14, v6
	s_cbranch_vccz .LBB31_609
; %bb.607:
	v_cmp_eq_u16_e32 vcc_lo, 15, v6
	s_cbranch_vccz .LBB31_612
; %bb.608:
	global_load_u16 v3, v[1:2], off
	s_mov_b32 s2, -1
	s_mov_b32 s3, 0
	s_waitcnt vmcnt(0)
	v_lshlrev_b32_e32 v3, 16, v3
	s_delay_alu instid0(VALU_DEP_1)
	v_cvt_i32_f32_e32 v7, v3
	s_branch .LBB31_613
.LBB31_609:
	s_mov_b32 s22, -1
                                        ; implicit-def: $vgpr7
	s_branch .LBB31_614
.LBB31_610:
	s_or_saveexec_b32 s22, s22
	v_mov_b32_e32 v7, s23
	s_xor_b32 exec_lo, exec_lo, s22
	s_cbranch_execz .LBB31_591
.LBB31_611:
	v_cmp_ne_u16_e32 vcc_lo, 0, v3
	v_mov_b32_e32 v7, 0
	s_and_not1_b32 s2, s2, exec_lo
	s_and_b32 s23, vcc_lo, exec_lo
	s_delay_alu instid0(SALU_CYCLE_1)
	s_or_b32 s2, s2, s23
	s_or_b32 exec_lo, exec_lo, s22
	s_and_saveexec_b32 s22, s2
	s_cbranch_execnz .LBB31_592
	s_branch .LBB31_593
.LBB31_612:
	s_mov_b32 s3, -1
                                        ; implicit-def: $vgpr7
.LBB31_613:
	s_mov_b32 s22, 0
.LBB31_614:
	s_delay_alu instid0(SALU_CYCLE_1)
	s_and_b32 vcc_lo, exec_lo, s22
	s_cbranch_vccz .LBB31_618
; %bb.615:
	v_cmp_eq_u16_e32 vcc_lo, 11, v6
	s_cbranch_vccz .LBB31_617
; %bb.616:
	global_load_u8 v3, v[1:2], off
	s_mov_b32 s3, 0
	s_mov_b32 s2, -1
	s_waitcnt vmcnt(0)
	v_cmp_ne_u16_e32 vcc_lo, 0, v3
	v_cndmask_b32_e64 v7, 0, 1, vcc_lo
	s_branch .LBB31_618
.LBB31_617:
	s_mov_b32 s3, -1
                                        ; implicit-def: $vgpr7
.LBB31_618:
	s_mov_b32 s22, 0
.LBB31_619:
	s_delay_alu instid0(SALU_CYCLE_1)
	s_and_b32 vcc_lo, exec_lo, s22
	s_cbranch_vccz .LBB31_668
; %bb.620:
	v_cmp_gt_i16_e32 vcc_lo, 5, v6
	s_cbranch_vccnz .LBB31_625
; %bb.621:
	v_cmp_gt_i16_e32 vcc_lo, 8, v6
	s_cbranch_vccnz .LBB31_626
	;; [unrolled: 3-line block ×3, first 2 shown]
; %bb.623:
	v_cmp_lt_i16_e32 vcc_lo, 9, v6
	s_cbranch_vccz .LBB31_628
; %bb.624:
	global_load_b64 v[3:4], v[1:2], off
	s_mov_b32 s2, 0
	s_waitcnt vmcnt(0)
	v_cvt_i32_f64_e32 v7, v[3:4]
	s_branch .LBB31_629
.LBB31_625:
	s_mov_b32 s2, -1
                                        ; implicit-def: $vgpr7
	s_branch .LBB31_647
.LBB31_626:
	s_mov_b32 s2, -1
                                        ; implicit-def: $vgpr7
	s_branch .LBB31_635
.LBB31_627:
	s_mov_b32 s2, -1
                                        ; implicit-def: $vgpr7
	s_branch .LBB31_632
.LBB31_628:
	s_mov_b32 s2, -1
                                        ; implicit-def: $vgpr7
.LBB31_629:
	s_delay_alu instid0(SALU_CYCLE_1)
	s_and_not1_b32 vcc_lo, exec_lo, s2
	s_cbranch_vccnz .LBB31_631
; %bb.630:
	global_load_b32 v3, v[1:2], off
	s_waitcnt vmcnt(0)
	v_cvt_i32_f32_e32 v7, v3
.LBB31_631:
	s_mov_b32 s2, 0
.LBB31_632:
	s_delay_alu instid0(SALU_CYCLE_1)
	s_and_not1_b32 vcc_lo, exec_lo, s2
	s_cbranch_vccnz .LBB31_634
; %bb.633:
	global_load_b32 v3, v[1:2], off
	s_waitcnt vmcnt(0)
	v_cvt_f32_f16_e32 v3, v3
	s_delay_alu instid0(VALU_DEP_1)
	v_cvt_i32_f32_e32 v7, v3
.LBB31_634:
	s_mov_b32 s2, 0
.LBB31_635:
	s_delay_alu instid0(SALU_CYCLE_1)
	s_and_not1_b32 vcc_lo, exec_lo, s2
	s_cbranch_vccnz .LBB31_646
; %bb.636:
	v_cmp_gt_i16_e32 vcc_lo, 6, v6
	s_cbranch_vccnz .LBB31_639
; %bb.637:
	v_cmp_lt_i16_e32 vcc_lo, 6, v6
	s_cbranch_vccz .LBB31_640
; %bb.638:
	global_load_b64 v[3:4], v[1:2], off
	s_mov_b32 s2, 0
	s_waitcnt vmcnt(0)
	v_cvt_i32_f64_e32 v7, v[3:4]
	s_branch .LBB31_641
.LBB31_639:
	s_mov_b32 s2, -1
                                        ; implicit-def: $vgpr7
	s_branch .LBB31_644
.LBB31_640:
	s_mov_b32 s2, -1
                                        ; implicit-def: $vgpr7
.LBB31_641:
	s_delay_alu instid0(SALU_CYCLE_1)
	s_and_not1_b32 vcc_lo, exec_lo, s2
	s_cbranch_vccnz .LBB31_643
; %bb.642:
	global_load_b32 v3, v[1:2], off
	s_waitcnt vmcnt(0)
	v_cvt_i32_f32_e32 v7, v3
.LBB31_643:
	s_mov_b32 s2, 0
.LBB31_644:
	s_delay_alu instid0(SALU_CYCLE_1)
	s_and_not1_b32 vcc_lo, exec_lo, s2
	s_cbranch_vccnz .LBB31_646
; %bb.645:
	global_load_u16 v3, v[1:2], off
	s_waitcnt vmcnt(0)
	v_cvt_f32_f16_e32 v3, v3
	s_delay_alu instid0(VALU_DEP_1)
	v_cvt_i32_f32_e32 v7, v3
.LBB31_646:
	s_mov_b32 s2, 0
.LBB31_647:
	s_delay_alu instid0(SALU_CYCLE_1)
	s_and_not1_b32 vcc_lo, exec_lo, s2
	s_cbranch_vccnz .LBB31_667
; %bb.648:
	v_cmp_gt_i16_e32 vcc_lo, 2, v6
	s_cbranch_vccnz .LBB31_652
; %bb.649:
	v_cmp_gt_i16_e32 vcc_lo, 3, v6
	s_cbranch_vccnz .LBB31_653
; %bb.650:
	v_cmp_lt_i16_e32 vcc_lo, 3, v6
	s_cbranch_vccz .LBB31_654
; %bb.651:
	global_load_b32 v7, v[1:2], off
	s_mov_b32 s2, 0
	s_branch .LBB31_655
.LBB31_652:
	s_mov_b32 s2, -1
                                        ; implicit-def: $vgpr7
	s_branch .LBB31_661
.LBB31_653:
	s_mov_b32 s2, -1
                                        ; implicit-def: $vgpr7
	s_branch .LBB31_658
.LBB31_654:
	s_mov_b32 s2, -1
                                        ; implicit-def: $vgpr7
.LBB31_655:
	s_delay_alu instid0(SALU_CYCLE_1)
	s_and_not1_b32 vcc_lo, exec_lo, s2
	s_cbranch_vccnz .LBB31_657
; %bb.656:
	global_load_b32 v7, v[1:2], off
.LBB31_657:
	s_mov_b32 s2, 0
.LBB31_658:
	s_delay_alu instid0(SALU_CYCLE_1)
	s_and_not1_b32 vcc_lo, exec_lo, s2
	s_cbranch_vccnz .LBB31_660
; %bb.659:
	global_load_i16 v7, v[1:2], off
.LBB31_660:
	s_mov_b32 s2, 0
.LBB31_661:
	s_delay_alu instid0(SALU_CYCLE_1)
	s_and_not1_b32 vcc_lo, exec_lo, s2
	s_cbranch_vccnz .LBB31_667
; %bb.662:
	v_cmp_lt_i16_e32 vcc_lo, 0, v6
	s_mov_b32 s2, 0
	s_cbranch_vccz .LBB31_664
; %bb.663:
	global_load_i8 v7, v[1:2], off
	s_branch .LBB31_665
.LBB31_664:
	s_mov_b32 s2, -1
                                        ; implicit-def: $vgpr7
.LBB31_665:
	s_delay_alu instid0(SALU_CYCLE_1)
	s_and_not1_b32 vcc_lo, exec_lo, s2
	s_cbranch_vccnz .LBB31_667
; %bb.666:
	global_load_u8 v7, v[1:2], off
.LBB31_667:
	s_mov_b32 s2, -1
.LBB31_668:
	s_delay_alu instid0(SALU_CYCLE_1)
	s_and_not1_b32 vcc_lo, exec_lo, s2
	s_cbranch_vccnz .LBB31_676
; %bb.669:
	v_and_b32_e32 v9, 0xff, v5
	v_add_co_u32 v3, s2, s4, v0
	s_waitcnt vmcnt(0)
	s_delay_alu instid0(VALU_DEP_3)
	v_not_b32_e32 v1, v7
	v_add_co_ci_u32_e64 v4, null, s5, 0, s2
	v_cmp_gt_i16_e32 vcc_lo, 11, v9
	s_mov_b32 s22, 0
	s_mov_b32 s23, -1
	s_mov_b32 s2, s38
	s_cbranch_vccnz .LBB31_677
; %bb.670:
	v_cmp_lt_i16_e32 vcc_lo, 25, v9
	s_cbranch_vccz .LBB31_718
; %bb.671:
	v_cmp_lt_i16_e32 vcc_lo, 28, v9
	s_cbranch_vccz .LBB31_719
	;; [unrolled: 3-line block ×4, first 2 shown]
; %bb.674:
	v_cmp_eq_u16_e32 vcc_lo, 46, v9
	s_mov_b32 s23, 0
	s_mov_b32 s2, -1
	s_cbranch_vccz .LBB31_722
; %bb.675:
	v_cvt_f32_i32_e32 v0, v1
	s_mov_b32 s22, -1
	s_mov_b32 s2, 0
	s_delay_alu instid0(VALU_DEP_1) | instskip(NEXT) | instid1(VALU_DEP_1)
	v_bfe_u32 v2, v0, 16, 1
	v_add3_u32 v0, v0, v2, 0x7fff
	s_delay_alu instid0(VALU_DEP_1)
	v_lshrrev_b32_e32 v0, 16, v0
	global_store_b32 v[3:4], v0, off
	s_branch .LBB31_722
.LBB31_676:
	s_mov_b32 s41, 0
	s_mov_b32 s2, s38
	s_branch .LBB31_717
.LBB31_677:
	s_and_b32 vcc_lo, exec_lo, s23
	s_cbranch_vccz .LBB31_791
; %bb.678:
	v_cmp_gt_i16_e32 vcc_lo, 5, v9
	s_mov_b32 s22, -1
	s_cbranch_vccnz .LBB31_699
; %bb.679:
	v_cmp_gt_i16_e32 vcc_lo, 8, v9
	s_cbranch_vccnz .LBB31_689
; %bb.680:
	v_cmp_gt_i16_e32 vcc_lo, 9, v9
	s_cbranch_vccnz .LBB31_686
; %bb.681:
	v_cmp_lt_i16_e32 vcc_lo, 9, v9
	s_cbranch_vccz .LBB31_683
; %bb.682:
	v_cvt_f64_i32_e32 v[10:11], v1
	v_mov_b32_e32 v12, 0
	s_mov_b32 s22, 0
	s_delay_alu instid0(VALU_DEP_1)
	v_mov_b32_e32 v13, v12
	global_store_b128 v[3:4], v[10:13], off
.LBB31_683:
	s_and_not1_b32 vcc_lo, exec_lo, s22
	s_cbranch_vccnz .LBB31_685
; %bb.684:
	v_cvt_f32_i32_e32 v10, v1
	v_mov_b32_e32 v11, 0
	global_store_b64 v[3:4], v[10:11], off
.LBB31_685:
	s_mov_b32 s22, 0
.LBB31_686:
	s_delay_alu instid0(SALU_CYCLE_1)
	s_and_not1_b32 vcc_lo, exec_lo, s22
	s_cbranch_vccnz .LBB31_688
; %bb.687:
	v_cvt_f32_i32_e32 v0, v1
	s_delay_alu instid0(VALU_DEP_1) | instskip(NEXT) | instid1(VALU_DEP_1)
	v_cvt_f16_f32_e32 v0, v0
	v_and_b32_e32 v0, 0xffff, v0
	global_store_b32 v[3:4], v0, off
.LBB31_688:
	s_mov_b32 s22, 0
.LBB31_689:
	s_delay_alu instid0(SALU_CYCLE_1)
	s_and_not1_b32 vcc_lo, exec_lo, s22
	s_cbranch_vccnz .LBB31_698
; %bb.690:
	v_cmp_gt_i16_e32 vcc_lo, 6, v9
	s_mov_b32 s22, -1
	s_cbranch_vccnz .LBB31_696
; %bb.691:
	v_cmp_lt_i16_e32 vcc_lo, 6, v9
	s_cbranch_vccz .LBB31_693
; %bb.692:
	v_cvt_f64_i32_e32 v[10:11], v1
	s_mov_b32 s22, 0
	global_store_b64 v[3:4], v[10:11], off
.LBB31_693:
	s_and_not1_b32 vcc_lo, exec_lo, s22
	s_cbranch_vccnz .LBB31_695
; %bb.694:
	v_cvt_f32_i32_e32 v0, v1
	global_store_b32 v[3:4], v0, off
.LBB31_695:
	s_mov_b32 s22, 0
.LBB31_696:
	s_delay_alu instid0(SALU_CYCLE_1)
	s_and_not1_b32 vcc_lo, exec_lo, s22
	s_cbranch_vccnz .LBB31_698
; %bb.697:
	v_cvt_f32_i32_e32 v0, v1
	s_delay_alu instid0(VALU_DEP_1)
	v_cvt_f16_f32_e32 v0, v0
	global_store_b16 v[3:4], v0, off
.LBB31_698:
	s_mov_b32 s22, 0
.LBB31_699:
	s_delay_alu instid0(SALU_CYCLE_1)
	s_and_not1_b32 vcc_lo, exec_lo, s22
	s_cbranch_vccnz .LBB31_715
; %bb.700:
	v_cmp_gt_i16_e32 vcc_lo, 2, v9
	s_mov_b32 s22, -1
	s_cbranch_vccnz .LBB31_710
; %bb.701:
	v_cmp_gt_i16_e32 vcc_lo, 3, v9
	s_cbranch_vccnz .LBB31_707
; %bb.702:
	v_cmp_lt_i16_e32 vcc_lo, 3, v9
	s_cbranch_vccz .LBB31_704
; %bb.703:
	v_ashrrev_i32_e32 v2, 31, v1
	s_mov_b32 s22, 0
	global_store_b64 v[3:4], v[1:2], off
.LBB31_704:
	s_and_not1_b32 vcc_lo, exec_lo, s22
	s_cbranch_vccnz .LBB31_706
; %bb.705:
	global_store_b32 v[3:4], v1, off
.LBB31_706:
	s_mov_b32 s22, 0
.LBB31_707:
	s_delay_alu instid0(SALU_CYCLE_1)
	s_and_not1_b32 vcc_lo, exec_lo, s22
	s_cbranch_vccnz .LBB31_709
; %bb.708:
	global_store_b16 v[3:4], v1, off
.LBB31_709:
	s_mov_b32 s22, 0
.LBB31_710:
	s_delay_alu instid0(SALU_CYCLE_1)
	s_and_not1_b32 vcc_lo, exec_lo, s22
	s_cbranch_vccnz .LBB31_715
; %bb.711:
	v_cmp_lt_i16_e32 vcc_lo, 0, v9
	s_mov_b32 s22, -1
	s_cbranch_vccz .LBB31_713
; %bb.712:
	s_mov_b32 s22, 0
	global_store_b8 v[3:4], v1, off
.LBB31_713:
	s_and_not1_b32 vcc_lo, exec_lo, s22
	s_cbranch_vccnz .LBB31_715
; %bb.714:
	global_store_b8 v[3:4], v1, off
.LBB31_715:
	s_branch .LBB31_792
.LBB31_716:
	s_mov_b32 s41, 0
.LBB31_717:
                                        ; implicit-def: $vgpr8
	s_branch .LBB31_793
.LBB31_718:
	s_mov_b32 s2, s38
	s_branch .LBB31_749
.LBB31_719:
	s_mov_b32 s2, s38
	s_branch .LBB31_732
.LBB31_720:
	s_mov_b32 s2, s38
	s_branch .LBB31_728
.LBB31_721:
	s_mov_b32 s2, s38
.LBB31_722:
	s_and_b32 vcc_lo, exec_lo, s23
	s_cbranch_vccz .LBB31_727
; %bb.723:
	v_cmp_eq_u16_e32 vcc_lo, 44, v9
	s_mov_b32 s2, -1
	s_cbranch_vccz .LBB31_727
; %bb.724:
	v_cvt_f32_i32_e32 v0, v1
	v_mov_b32_e32 v2, 0xff
	s_mov_b32 s22, exec_lo
	s_delay_alu instid0(VALU_DEP_2) | instskip(NEXT) | instid1(VALU_DEP_1)
	v_bfe_u32 v10, v0, 23, 8
	v_cmpx_ne_u32_e32 0xff, v10
; %bb.725:
	v_and_b32_e32 v2, 0x400000, v0
	v_and_or_b32 v10, 0x3fffff, v0, v10
	v_lshrrev_b32_e32 v0, 23, v0
	s_delay_alu instid0(VALU_DEP_3) | instskip(NEXT) | instid1(VALU_DEP_3)
	v_cmp_ne_u32_e32 vcc_lo, 0, v2
	v_cmp_ne_u32_e64 s2, 0, v10
	s_delay_alu instid0(VALU_DEP_1) | instskip(NEXT) | instid1(SALU_CYCLE_1)
	s_and_b32 s2, vcc_lo, s2
	v_cndmask_b32_e64 v2, 0, 1, s2
	s_delay_alu instid0(VALU_DEP_1)
	v_add_nc_u32_e32 v2, v0, v2
; %bb.726:
	s_or_b32 exec_lo, exec_lo, s22
	s_mov_b32 s22, -1
	s_mov_b32 s2, 0
	global_store_b8 v[3:4], v2, off
.LBB31_727:
	s_mov_b32 s23, 0
.LBB31_728:
	s_delay_alu instid0(SALU_CYCLE_1)
	s_and_b32 vcc_lo, exec_lo, s23
	s_cbranch_vccz .LBB31_731
; %bb.729:
	v_cmp_eq_u16_e32 vcc_lo, 29, v9
	s_mov_b32 s2, -1
	s_cbranch_vccz .LBB31_731
; %bb.730:
	v_ashrrev_i32_e32 v2, 31, v1
	s_mov_b32 s22, -1
	s_mov_b32 s2, 0
	s_mov_b32 s23, 0
	global_store_b64 v[3:4], v[1:2], off
	s_branch .LBB31_732
.LBB31_731:
	s_mov_b32 s23, 0
.LBB31_732:
	s_delay_alu instid0(SALU_CYCLE_1)
	s_and_b32 vcc_lo, exec_lo, s23
	s_cbranch_vccz .LBB31_748
; %bb.733:
	v_cmp_gt_i16_e32 vcc_lo, 27, v9
	s_mov_b32 s22, -1
	s_cbranch_vccnz .LBB31_739
; %bb.734:
	v_cmp_lt_i16_e32 vcc_lo, 27, v9
	s_cbranch_vccz .LBB31_736
; %bb.735:
	s_mov_b32 s22, 0
	global_store_b32 v[3:4], v1, off
.LBB31_736:
	s_and_not1_b32 vcc_lo, exec_lo, s22
	s_cbranch_vccnz .LBB31_738
; %bb.737:
	global_store_b16 v[3:4], v1, off
.LBB31_738:
	s_mov_b32 s22, 0
.LBB31_739:
	s_delay_alu instid0(SALU_CYCLE_1)
	s_and_not1_b32 vcc_lo, exec_lo, s22
	s_cbranch_vccnz .LBB31_747
; %bb.740:
	v_cvt_f32_i32_e32 v0, v1
	v_mov_b32_e32 v10, 0x80
	s_mov_b32 s22, exec_lo
	s_delay_alu instid0(VALU_DEP_2) | instskip(NEXT) | instid1(VALU_DEP_1)
	v_and_b32_e32 v2, 0x7fffffff, v0
	v_cmpx_gt_u32_e32 0x43800000, v2
	s_cbranch_execz .LBB31_746
; %bb.741:
	v_cmp_lt_u32_e32 vcc_lo, 0x3bffffff, v2
	s_mov_b32 s23, 0
                                        ; implicit-def: $vgpr2
	s_and_saveexec_b32 s41, vcc_lo
	s_delay_alu instid0(SALU_CYCLE_1)
	s_xor_b32 s41, exec_lo, s41
	s_cbranch_execz .LBB31_820
; %bb.742:
	v_bfe_u32 v2, v0, 20, 1
	s_mov_b32 s23, exec_lo
	s_delay_alu instid0(VALU_DEP_1) | instskip(NEXT) | instid1(VALU_DEP_1)
	v_add3_u32 v2, v0, v2, 0x487ffff
	v_lshrrev_b32_e32 v2, 20, v2
	s_or_saveexec_b32 s41, s41
                                        ; implicit-def: $sgpr42
	s_delay_alu instid0(SALU_CYCLE_1)
	s_xor_b32 exec_lo, exec_lo, s41
	s_cbranch_execnz .LBB31_821
.LBB31_743:
	s_or_b32 exec_lo, exec_lo, s41
	v_mov_b32_e32 v10, s42
	s_and_saveexec_b32 s41, s23
.LBB31_744:
	v_lshrrev_b32_e32 v0, 24, v0
	s_delay_alu instid0(VALU_DEP_1)
	v_and_or_b32 v10, 0x80, v0, v2
.LBB31_745:
	s_or_b32 exec_lo, exec_lo, s41
.LBB31_746:
	s_delay_alu instid0(SALU_CYCLE_1)
	s_or_b32 exec_lo, exec_lo, s22
	global_store_b8 v[3:4], v10, off
.LBB31_747:
	s_mov_b32 s22, -1
.LBB31_748:
	s_mov_b32 s23, 0
.LBB31_749:
	s_delay_alu instid0(SALU_CYCLE_1)
	s_and_b32 vcc_lo, exec_lo, s23
	s_cbranch_vccz .LBB31_790
; %bb.750:
	v_cmp_lt_i16_e32 vcc_lo, 22, v9
	s_mov_b32 s23, -1
	s_cbranch_vccz .LBB31_782
; %bb.751:
	v_cmp_gt_i16_e32 vcc_lo, 24, v9
	s_mov_b32 s22, -1
	s_cbranch_vccnz .LBB31_771
; %bb.752:
	v_cmp_lt_i16_e32 vcc_lo, 24, v9
	s_cbranch_vccz .LBB31_760
; %bb.753:
	v_cvt_f32_i32_e32 v0, v1
	v_mov_b32_e32 v10, 0x80
	s_mov_b32 s22, exec_lo
	s_delay_alu instid0(VALU_DEP_2) | instskip(NEXT) | instid1(VALU_DEP_1)
	v_and_b32_e32 v2, 0x7fffffff, v0
	v_cmpx_gt_u32_e32 0x47800000, v2
	s_cbranch_execz .LBB31_759
; %bb.754:
	v_cmp_lt_u32_e32 vcc_lo, 0x37ffffff, v2
	s_mov_b32 s23, 0
                                        ; implicit-def: $vgpr2
	s_and_saveexec_b32 s41, vcc_lo
	s_delay_alu instid0(SALU_CYCLE_1)
	s_xor_b32 s41, exec_lo, s41
	s_cbranch_execz .LBB31_823
; %bb.755:
	v_bfe_u32 v2, v0, 21, 1
	s_mov_b32 s23, exec_lo
	s_delay_alu instid0(VALU_DEP_1) | instskip(NEXT) | instid1(VALU_DEP_1)
	v_add3_u32 v2, v0, v2, 0x88fffff
	v_lshrrev_b32_e32 v2, 21, v2
	s_or_saveexec_b32 s41, s41
                                        ; implicit-def: $sgpr42
	s_delay_alu instid0(SALU_CYCLE_1)
	s_xor_b32 exec_lo, exec_lo, s41
	s_cbranch_execnz .LBB31_824
.LBB31_756:
	s_or_b32 exec_lo, exec_lo, s41
	v_mov_b32_e32 v10, s42
	s_and_saveexec_b32 s41, s23
.LBB31_757:
	v_lshrrev_b32_e32 v0, 24, v0
	s_delay_alu instid0(VALU_DEP_1)
	v_and_or_b32 v10, 0x80, v0, v2
.LBB31_758:
	s_or_b32 exec_lo, exec_lo, s41
.LBB31_759:
	s_delay_alu instid0(SALU_CYCLE_1)
	s_or_b32 exec_lo, exec_lo, s22
	s_mov_b32 s22, 0
	global_store_b8 v[3:4], v10, off
.LBB31_760:
	s_and_b32 vcc_lo, exec_lo, s22
	s_cbranch_vccz .LBB31_770
; %bb.761:
	v_cvt_f32_i32_e32 v0, v1
	s_mov_b32 s22, exec_lo
                                        ; implicit-def: $vgpr2
	s_delay_alu instid0(VALU_DEP_1) | instskip(NEXT) | instid1(VALU_DEP_1)
	v_and_b32_e32 v10, 0x7fffffff, v0
	v_cmpx_gt_u32_e32 0x43f00000, v10
	s_xor_b32 s22, exec_lo, s22
	s_cbranch_execz .LBB31_767
; %bb.762:
	s_mov_b32 s23, exec_lo
                                        ; implicit-def: $vgpr2
	v_cmpx_lt_u32_e32 0x3c7fffff, v10
	s_xor_b32 s23, exec_lo, s23
; %bb.763:
	v_bfe_u32 v2, v0, 20, 1
	s_delay_alu instid0(VALU_DEP_1) | instskip(NEXT) | instid1(VALU_DEP_1)
	v_add3_u32 v2, v0, v2, 0x407ffff
	v_and_b32_e32 v10, 0xff00000, v2
	v_lshrrev_b32_e32 v2, 20, v2
	s_delay_alu instid0(VALU_DEP_2) | instskip(NEXT) | instid1(VALU_DEP_2)
	v_cmp_ne_u32_e32 vcc_lo, 0x7f00000, v10
	v_cndmask_b32_e32 v2, 0x7e, v2, vcc_lo
; %bb.764:
	s_and_not1_saveexec_b32 s23, s23
; %bb.765:
	v_add_f32_e64 v2, 0x46800000, |v0|
; %bb.766:
	s_or_b32 exec_lo, exec_lo, s23
                                        ; implicit-def: $vgpr10
.LBB31_767:
	s_and_not1_saveexec_b32 s22, s22
; %bb.768:
	v_mov_b32_e32 v2, 0x7f
	v_cmp_lt_u32_e32 vcc_lo, 0x7f800000, v10
	s_delay_alu instid0(VALU_DEP_2)
	v_cndmask_b32_e32 v2, 0x7e, v2, vcc_lo
; %bb.769:
	s_or_b32 exec_lo, exec_lo, s22
	v_lshrrev_b32_e32 v0, 24, v0
	s_delay_alu instid0(VALU_DEP_1)
	v_and_or_b32 v0, 0x80, v0, v2
	global_store_b8 v[3:4], v0, off
.LBB31_770:
	s_mov_b32 s22, 0
.LBB31_771:
	s_delay_alu instid0(SALU_CYCLE_1)
	s_and_not1_b32 vcc_lo, exec_lo, s22
	s_cbranch_vccnz .LBB31_781
; %bb.772:
	v_cvt_f32_i32_e32 v0, v1
	s_mov_b32 s22, exec_lo
                                        ; implicit-def: $vgpr2
	s_delay_alu instid0(VALU_DEP_1) | instskip(NEXT) | instid1(VALU_DEP_1)
	v_and_b32_e32 v10, 0x7fffffff, v0
	v_cmpx_gt_u32_e32 0x47800000, v10
	s_xor_b32 s22, exec_lo, s22
	s_cbranch_execz .LBB31_778
; %bb.773:
	s_mov_b32 s23, exec_lo
                                        ; implicit-def: $vgpr2
	v_cmpx_lt_u32_e32 0x387fffff, v10
	s_xor_b32 s23, exec_lo, s23
; %bb.774:
	v_bfe_u32 v2, v0, 21, 1
	s_delay_alu instid0(VALU_DEP_1) | instskip(NEXT) | instid1(VALU_DEP_1)
	v_add3_u32 v2, v0, v2, 0x80fffff
	v_lshrrev_b32_e32 v2, 21, v2
; %bb.775:
	s_and_not1_saveexec_b32 s23, s23
; %bb.776:
	v_add_f32_e64 v2, 0x43000000, |v0|
; %bb.777:
	s_or_b32 exec_lo, exec_lo, s23
                                        ; implicit-def: $vgpr10
.LBB31_778:
	s_and_not1_saveexec_b32 s22, s22
; %bb.779:
	v_mov_b32_e32 v2, 0x7f
	v_cmp_lt_u32_e32 vcc_lo, 0x7f800000, v10
	s_delay_alu instid0(VALU_DEP_2)
	v_cndmask_b32_e32 v2, 0x7c, v2, vcc_lo
; %bb.780:
	s_or_b32 exec_lo, exec_lo, s22
	v_lshrrev_b32_e32 v0, 24, v0
	s_delay_alu instid0(VALU_DEP_1)
	v_and_or_b32 v0, 0x80, v0, v2
	global_store_b8 v[3:4], v0, off
.LBB31_781:
	s_mov_b32 s23, 0
	s_mov_b32 s22, -1
.LBB31_782:
	s_and_not1_b32 vcc_lo, exec_lo, s23
	s_cbranch_vccnz .LBB31_790
; %bb.783:
	v_cmp_lt_i16_e32 vcc_lo, 14, v9
	s_mov_b32 s23, -1
	s_cbranch_vccz .LBB31_787
; %bb.784:
	v_cmp_eq_u16_e32 vcc_lo, 15, v9
	s_mov_b32 s2, -1
	s_cbranch_vccz .LBB31_786
; %bb.785:
	v_cvt_f32_i32_e32 v0, v1
	s_mov_b32 s22, -1
	s_mov_b32 s2, 0
	s_delay_alu instid0(VALU_DEP_1) | instskip(NEXT) | instid1(VALU_DEP_1)
	v_bfe_u32 v2, v0, 16, 1
	v_add3_u32 v0, v0, v2, 0x7fff
	global_store_d16_hi_b16 v[3:4], v0, off
.LBB31_786:
	s_mov_b32 s23, 0
.LBB31_787:
	s_delay_alu instid0(SALU_CYCLE_1)
	s_and_b32 vcc_lo, exec_lo, s23
	s_cbranch_vccz .LBB31_790
; %bb.788:
	v_cmp_eq_u16_e32 vcc_lo, 11, v9
	s_mov_b32 s2, -1
	s_cbranch_vccz .LBB31_790
; %bb.789:
	v_cmp_ne_u32_e32 vcc_lo, -1, v7
	s_mov_b32 s22, -1
	s_mov_b32 s2, 0
	v_cndmask_b32_e64 v0, 0, 1, vcc_lo
	global_store_b8 v[3:4], v0, off
.LBB31_790:
.LBB31_791:
	s_and_not1_b32 vcc_lo, exec_lo, s22
	s_cbranch_vccnz .LBB31_716
.LBB31_792:
	v_add_nc_u32_e32 v8, 0x80, v8
	s_mov_b32 s41, -1
.LBB31_793:
	s_and_not1_b32 s22, s38, exec_lo
	s_and_b32 s2, s2, exec_lo
	s_and_not1_b32 s42, s37, exec_lo
	s_and_b32 s3, s3, exec_lo
	s_or_b32 s23, s22, s2
	s_or_b32 s22, s42, s3
	s_or_not1_b32 s42, s41, exec_lo
.LBB31_794:
	s_or_b32 exec_lo, exec_lo, s40
	s_mov_b32 s2, 0
	s_mov_b32 s3, 0
	;; [unrolled: 1-line block ×3, first 2 shown]
                                        ; implicit-def: $vgpr1_vgpr2
                                        ; implicit-def: $vgpr0
                                        ; implicit-def: $vgpr7
	s_and_saveexec_b32 s40, s42
	s_cbranch_execz .LBB31_888
; %bb.795:
	v_cmp_gt_i32_e32 vcc_lo, s30, v8
	s_mov_b32 s43, s22
	s_mov_b32 s42, 0
                                        ; implicit-def: $vgpr1_vgpr2
                                        ; implicit-def: $vgpr0
                                        ; implicit-def: $vgpr7
	s_and_saveexec_b32 s30, vcc_lo
	s_cbranch_execz .LBB31_887
; %bb.796:
	s_and_not1_b32 vcc_lo, exec_lo, s27
	s_cbranch_vccnz .LBB31_801
; %bb.797:
	v_dual_mov_b32 v0, 0 :: v_dual_mov_b32 v1, 0
	s_and_not1_b32 vcc_lo, exec_lo, s33
	s_mov_b32 s33, 0
	s_cbranch_vccnz .LBB31_806
; %bb.798:
	v_mov_b32_e32 v0, 0
	s_add_i32 s41, s31, 1
	s_cmp_eq_u32 s25, 2
	s_mov_b32 s31, 0
	s_cbranch_scc1 .LBB31_802
; %bb.799:
	v_dual_mov_b32 v1, 0 :: v_dual_mov_b32 v0, 0
	v_mov_b32_e32 v2, v8
	s_and_b32 s31, s41, 28
	s_mov_b64 s[2:3], s[16:17]
.LBB31_800:                             ; =>This Inner Loop Header: Depth=1
	s_clause 0x1
	s_load_b256 s[44:51], s[2:3], 0x4
	s_load_b128 s[60:63], s[2:3], 0x24
	s_load_b256 s[52:59], s[20:21], 0x0
	s_add_u32 s2, s2, 48
	s_addc_u32 s3, s3, 0
	s_add_i32 s42, s42, 4
	s_add_u32 s20, s20, 32
	s_addc_u32 s21, s21, 0
	s_cmp_eq_u32 s31, s42
	s_waitcnt lgkmcnt(0)
	v_mul_hi_u32 v3, s45, v2
	s_delay_alu instid0(VALU_DEP_1) | instskip(NEXT) | instid1(VALU_DEP_1)
	v_add_nc_u32_e32 v3, v2, v3
	v_lshrrev_b32_e32 v3, s46, v3
	s_delay_alu instid0(VALU_DEP_1) | instskip(SKIP_1) | instid1(VALU_DEP_2)
	v_mul_hi_u32 v4, s48, v3
	v_mul_lo_u32 v9, v3, s44
	v_add_nc_u32_e32 v4, v3, v4
	s_delay_alu instid0(VALU_DEP_2) | instskip(NEXT) | instid1(VALU_DEP_2)
	v_sub_nc_u32_e32 v2, v2, v9
	v_lshrrev_b32_e32 v4, s49, v4
	s_delay_alu instid0(VALU_DEP_2) | instskip(SKIP_2) | instid1(VALU_DEP_3)
	v_mul_lo_u32 v9, v2, s52
	v_mul_lo_u32 v11, v2, s53
	s_waitcnt vmcnt(0)
	v_mul_hi_u32 v7, s51, v4
	s_delay_alu instid0(VALU_DEP_1) | instskip(NEXT) | instid1(VALU_DEP_1)
	v_add_nc_u32_e32 v7, v4, v7
	v_lshrrev_b32_e32 v7, s60, v7
	s_delay_alu instid0(VALU_DEP_1) | instskip(SKIP_1) | instid1(VALU_DEP_2)
	v_mul_hi_u32 v10, s62, v7
	v_mul_lo_u32 v12, v7, s50
	v_add_nc_u32_e32 v2, v7, v10
	v_mul_lo_u32 v10, v4, s47
	s_delay_alu instid0(VALU_DEP_3) | instskip(NEXT) | instid1(VALU_DEP_3)
	v_sub_nc_u32_e32 v4, v4, v12
	v_lshrrev_b32_e32 v2, s63, v2
	s_delay_alu instid0(VALU_DEP_2) | instskip(SKIP_2) | instid1(VALU_DEP_4)
	v_mul_lo_u32 v12, v4, s56
	v_mul_lo_u32 v4, v4, s57
	v_sub_nc_u32_e32 v3, v3, v10
	v_mul_lo_u32 v13, v2, s61
	s_delay_alu instid0(VALU_DEP_2) | instskip(SKIP_1) | instid1(VALU_DEP_3)
	v_mul_lo_u32 v10, v3, s54
	v_mul_lo_u32 v3, v3, s55
	v_sub_nc_u32_e32 v7, v7, v13
	s_delay_alu instid0(VALU_DEP_3) | instskip(NEXT) | instid1(VALU_DEP_2)
	v_add3_u32 v0, v9, v0, v10
	v_mul_lo_u32 v13, v7, s58
	v_mul_lo_u32 v7, v7, s59
	v_add3_u32 v1, v11, v1, v3
	s_delay_alu instid0(VALU_DEP_3) | instskip(NEXT) | instid1(VALU_DEP_2)
	v_add3_u32 v0, v12, v0, v13
	v_add3_u32 v1, v4, v1, v7
	s_cbranch_scc0 .LBB31_800
	s_branch .LBB31_803
.LBB31_801:
	s_mov_b32 s33, -1
                                        ; implicit-def: $vgpr0
                                        ; implicit-def: $vgpr1
	s_branch .LBB31_806
.LBB31_802:
	v_dual_mov_b32 v2, v8 :: v_dual_mov_b32 v1, 0
.LBB31_803:
	s_and_b32 s41, s41, 3
	s_delay_alu instid0(SALU_CYCLE_1)
	s_cmp_eq_u32 s41, 0
	s_cbranch_scc1 .LBB31_806
; %bb.804:
	s_lshl_b32 s2, s31, 3
	s_mul_i32 s20, s31, 12
	s_add_u32 s2, s2, s16
	s_addc_u32 s3, s17, 0
	s_add_u32 s2, s2, 0xc4
	s_addc_u32 s3, s3, 0
	;; [unrolled: 2-line block ×3, first 2 shown]
.LBB31_805:                             ; =>This Inner Loop Header: Depth=1
	s_clause 0x1
	s_load_b64 s[42:43], s[20:21], 0x4
	s_load_b32 s31, s[20:21], 0xc
	s_load_b64 s[44:45], s[2:3], 0x0
	s_add_u32 s20, s20, 12
	s_addc_u32 s21, s21, 0
	s_add_u32 s2, s2, 8
	s_addc_u32 s3, s3, 0
	s_add_i32 s41, s41, -1
	s_delay_alu instid0(SALU_CYCLE_1) | instskip(SKIP_2) | instid1(VALU_DEP_1)
	s_cmp_lg_u32 s41, 0
	s_waitcnt lgkmcnt(0)
	v_mul_hi_u32 v3, s43, v2
	v_add_nc_u32_e32 v3, v2, v3
	s_waitcnt vmcnt(0)
	s_delay_alu instid0(VALU_DEP_1) | instskip(NEXT) | instid1(VALU_DEP_1)
	v_lshrrev_b32_e32 v7, s31, v3
	v_mul_lo_u32 v3, v7, s42
	s_delay_alu instid0(VALU_DEP_1) | instskip(NEXT) | instid1(VALU_DEP_1)
	v_sub_nc_u32_e32 v2, v2, v3
	v_mad_u64_u32 v[3:4], null, v2, s44, v[0:1]
	v_mad_u64_u32 v[9:10], null, v2, s45, v[1:2]
	v_mov_b32_e32 v2, v7
	s_delay_alu instid0(VALU_DEP_2)
	v_dual_mov_b32 v0, v3 :: v_dual_mov_b32 v1, v9
	s_cbranch_scc1 .LBB31_805
.LBB31_806:
	s_and_not1_b32 vcc_lo, exec_lo, s33
	s_cbranch_vccnz .LBB31_809
; %bb.807:
	s_waitcnt lgkmcnt(0)
	v_mul_hi_u32 v0, s13, v8
	s_and_not1_b32 vcc_lo, exec_lo, s29
	s_delay_alu instid0(VALU_DEP_1) | instskip(NEXT) | instid1(VALU_DEP_1)
	v_add_nc_u32_e32 v0, v8, v0
	v_lshrrev_b32_e32 v2, s14, v0
	s_delay_alu instid0(VALU_DEP_1) | instskip(NEXT) | instid1(VALU_DEP_1)
	v_mul_lo_u32 v0, v2, s12
	v_sub_nc_u32_e32 v1, v8, v0
	s_delay_alu instid0(VALU_DEP_1)
	v_mul_lo_u32 v0, v1, s8
	v_mul_lo_u32 v1, v1, s9
	s_cbranch_vccnz .LBB31_809
; %bb.808:
	v_mul_hi_u32 v3, s18, v2
	s_delay_alu instid0(VALU_DEP_1) | instskip(NEXT) | instid1(VALU_DEP_1)
	v_add_nc_u32_e32 v3, v2, v3
	v_lshrrev_b32_e32 v3, s19, v3
	s_delay_alu instid0(VALU_DEP_1) | instskip(SKIP_1) | instid1(VALU_DEP_1)
	v_mul_lo_u32 v3, v3, s15
	s_waitcnt vmcnt(0)
	v_sub_nc_u32_e32 v7, v2, v3
	s_delay_alu instid0(VALU_DEP_1) | instskip(NEXT) | instid1(VALU_DEP_1)
	v_mad_u64_u32 v[2:3], null, v7, s10, v[0:1]
	v_mad_u64_u32 v[3:4], null, v7, s11, v[1:2]
	s_delay_alu instid0(VALU_DEP_1)
	v_dual_mov_b32 v0, v2 :: v_dual_mov_b32 v1, v3
.LBB31_809:
	v_cmp_gt_i16_e32 vcc_lo, 11, v6
	s_waitcnt lgkmcnt(0)
	s_delay_alu instid0(VALU_DEP_2) | instskip(NEXT) | instid1(VALU_DEP_1)
	v_add_co_u32 v1, s2, s6, v1
	v_add_co_ci_u32_e64 v2, null, s7, 0, s2
	s_mov_b32 s6, 0
	s_cbranch_vccnz .LBB31_816
; %bb.810:
	v_cmp_lt_i16_e32 vcc_lo, 25, v6
	s_mov_b32 s3, 0
	s_cbranch_vccz .LBB31_817
; %bb.811:
	v_cmp_lt_i16_e32 vcc_lo, 28, v6
	s_cbranch_vccz .LBB31_818
; %bb.812:
	v_cmp_lt_i16_e32 vcc_lo, 43, v6
	;; [unrolled: 3-line block ×3, first 2 shown]
	s_cbranch_vccz .LBB31_822
; %bb.814:
	v_cmp_eq_u16_e32 vcc_lo, 46, v6
	s_mov_b32 s7, 0
	s_cbranch_vccz .LBB31_825
; %bb.815:
	global_load_b32 v3, v[1:2], off
	s_mov_b32 s2, 0
	s_mov_b32 s6, -1
	s_waitcnt vmcnt(0)
	v_lshlrev_b32_e32 v3, 16, v3
	s_delay_alu instid0(VALU_DEP_1)
	v_cvt_i32_f32_e32 v7, v3
	s_branch .LBB31_827
.LBB31_816:
	s_mov_b32 s7, -1
	s_mov_b32 s3, 0
	s_mov_b32 s2, s22
                                        ; implicit-def: $vgpr7
	s_branch .LBB31_886
.LBB31_817:
	s_mov_b32 s7, -1
	s_mov_b32 s2, s22
                                        ; implicit-def: $vgpr7
	s_branch .LBB31_854
.LBB31_818:
	s_mov_b32 s7, -1
	s_mov_b32 s2, s22
                                        ; implicit-def: $vgpr7
	s_branch .LBB31_837
.LBB31_819:
	s_mov_b32 s7, -1
	s_mov_b32 s2, s22
                                        ; implicit-def: $vgpr7
	s_branch .LBB31_832
.LBB31_820:
	s_or_saveexec_b32 s41, s41
                                        ; implicit-def: $sgpr42
	s_delay_alu instid0(SALU_CYCLE_1)
	s_xor_b32 exec_lo, exec_lo, s41
	s_cbranch_execz .LBB31_743
.LBB31_821:
	v_add_f32_e64 v2, 0x46000000, |v0|
	s_and_not1_b32 s23, s23, exec_lo
	s_mov_b32 s42, 0
	s_delay_alu instid0(VALU_DEP_1) | instskip(NEXT) | instid1(VALU_DEP_1)
	v_and_b32_e32 v2, 0xff, v2
	v_cmp_ne_u32_e32 vcc_lo, 0, v2
	s_and_b32 s43, vcc_lo, exec_lo
	s_delay_alu instid0(SALU_CYCLE_1)
	s_or_b32 s23, s23, s43
	s_or_b32 exec_lo, exec_lo, s41
	v_mov_b32_e32 v10, s42
	s_and_saveexec_b32 s41, s23
	s_cbranch_execnz .LBB31_744
	s_branch .LBB31_745
.LBB31_822:
	s_mov_b32 s7, -1
	s_mov_b32 s2, s22
	s_branch .LBB31_826
.LBB31_823:
	s_or_saveexec_b32 s41, s41
                                        ; implicit-def: $sgpr42
	s_delay_alu instid0(SALU_CYCLE_1)
	s_xor_b32 exec_lo, exec_lo, s41
	s_cbranch_execz .LBB31_756
.LBB31_824:
	v_add_f32_e64 v2, 0x42800000, |v0|
	s_and_not1_b32 s23, s23, exec_lo
	s_mov_b32 s42, 0
	s_delay_alu instid0(VALU_DEP_1) | instskip(NEXT) | instid1(VALU_DEP_1)
	v_and_b32_e32 v2, 0xff, v2
	v_cmp_ne_u32_e32 vcc_lo, 0, v2
	s_and_b32 s43, vcc_lo, exec_lo
	s_delay_alu instid0(SALU_CYCLE_1)
	s_or_b32 s23, s23, s43
	s_or_b32 exec_lo, exec_lo, s41
	v_mov_b32_e32 v10, s42
	s_and_saveexec_b32 s41, s23
	s_cbranch_execnz .LBB31_757
	s_branch .LBB31_758
.LBB31_825:
	s_mov_b32 s2, -1
.LBB31_826:
                                        ; implicit-def: $vgpr7
.LBB31_827:
	s_and_b32 vcc_lo, exec_lo, s7
	s_cbranch_vccz .LBB31_831
; %bb.828:
	v_cmp_eq_u16_e32 vcc_lo, 44, v6
	s_cbranch_vccz .LBB31_830
; %bb.829:
	global_load_u8 v3, v[1:2], off
	s_mov_b32 s2, 0
	s_mov_b32 s6, -1
	s_waitcnt vmcnt(0)
	v_lshlrev_b32_e32 v4, 23, v3
	v_cmp_ne_u32_e32 vcc_lo, 0, v3
	s_delay_alu instid0(VALU_DEP_2) | instskip(NEXT) | instid1(VALU_DEP_1)
	v_cvt_i32_f32_e32 v4, v4
	v_cndmask_b32_e32 v7, 0, v4, vcc_lo
	s_branch .LBB31_831
.LBB31_830:
	s_mov_b32 s2, -1
                                        ; implicit-def: $vgpr7
.LBB31_831:
	s_mov_b32 s7, 0
.LBB31_832:
	s_delay_alu instid0(SALU_CYCLE_1)
	s_and_b32 vcc_lo, exec_lo, s7
	s_cbranch_vccz .LBB31_836
; %bb.833:
	v_cmp_eq_u16_e32 vcc_lo, 29, v6
	s_cbranch_vccz .LBB31_835
; %bb.834:
	global_load_b32 v7, v[1:2], off
	s_mov_b32 s2, 0
	s_mov_b32 s6, -1
	s_branch .LBB31_836
.LBB31_835:
	s_mov_b32 s2, -1
                                        ; implicit-def: $vgpr7
.LBB31_836:
	s_mov_b32 s7, 0
.LBB31_837:
	s_delay_alu instid0(SALU_CYCLE_1)
	s_and_b32 vcc_lo, exec_lo, s7
	s_cbranch_vccz .LBB31_853
; %bb.838:
	v_cmp_gt_i16_e32 vcc_lo, 27, v6
	s_cbranch_vccnz .LBB31_841
; %bb.839:
	v_cmp_lt_i16_e32 vcc_lo, 27, v6
	s_cbranch_vccz .LBB31_842
; %bb.840:
	global_load_b32 v7, v[1:2], off
	s_mov_b32 s6, 0
	s_branch .LBB31_843
.LBB31_841:
	s_mov_b32 s6, -1
                                        ; implicit-def: $vgpr7
	s_branch .LBB31_846
.LBB31_842:
	s_mov_b32 s6, -1
                                        ; implicit-def: $vgpr7
.LBB31_843:
	s_delay_alu instid0(SALU_CYCLE_1)
	s_and_not1_b32 vcc_lo, exec_lo, s6
	s_cbranch_vccnz .LBB31_845
; %bb.844:
	global_load_u16 v7, v[1:2], off
.LBB31_845:
	s_mov_b32 s6, 0
.LBB31_846:
	s_delay_alu instid0(SALU_CYCLE_1)
	s_and_not1_b32 vcc_lo, exec_lo, s6
	s_cbranch_vccnz .LBB31_852
; %bb.847:
	global_load_u8 v3, v[1:2], off
	s_mov_b32 s6, 0
	s_mov_b32 s7, exec_lo
                                        ; implicit-def: $sgpr8
	s_waitcnt vmcnt(0)
	v_cmpx_lt_i16_e32 0x7f, v3
	s_xor_b32 s7, exec_lo, s7
	s_cbranch_execz .LBB31_864
; %bb.848:
	v_cmp_ne_u16_e32 vcc_lo, 0x80, v3
	s_mov_b32 s8, 0
	s_and_b32 s6, vcc_lo, exec_lo
	s_or_saveexec_b32 s7, s7
	v_mov_b32_e32 v7, s8
	s_xor_b32 exec_lo, exec_lo, s7
	s_cbranch_execnz .LBB31_865
.LBB31_849:
	s_or_b32 exec_lo, exec_lo, s7
	s_and_saveexec_b32 s7, s6
	s_cbranch_execz .LBB31_851
.LBB31_850:
	v_and_b32_e32 v4, 0xffff, v3
	v_lshlrev_b32_e32 v3, 24, v3
	s_delay_alu instid0(VALU_DEP_2) | instskip(NEXT) | instid1(VALU_DEP_2)
	v_and_b32_e32 v7, 7, v4
	v_and_b32_e32 v3, 0x80000000, v3
	s_delay_alu instid0(VALU_DEP_2) | instskip(NEXT) | instid1(VALU_DEP_1)
	v_clz_i32_u32_e32 v8, v7
	v_min_u32_e32 v8, 32, v8
	s_delay_alu instid0(VALU_DEP_1) | instskip(SKIP_1) | instid1(VALU_DEP_2)
	v_subrev_nc_u32_e32 v9, 28, v8
	v_sub_nc_u32_e32 v8, 29, v8
	v_lshlrev_b32_e32 v9, v9, v4
	v_bfe_u32 v4, v4, 3, 4
	s_delay_alu instid0(VALU_DEP_1) | instskip(NEXT) | instid1(VALU_DEP_3)
	v_cmp_eq_u32_e32 vcc_lo, 0, v4
	v_dual_cndmask_b32 v4, v4, v8 :: v_dual_and_b32 v9, 7, v9
	s_delay_alu instid0(VALU_DEP_1) | instskip(NEXT) | instid1(VALU_DEP_2)
	v_cndmask_b32_e32 v7, v7, v9, vcc_lo
	v_lshl_add_u32 v4, v4, 23, 0x3b800000
	s_delay_alu instid0(VALU_DEP_2) | instskip(NEXT) | instid1(VALU_DEP_1)
	v_lshlrev_b32_e32 v7, 20, v7
	v_or3_b32 v3, v3, v4, v7
	s_delay_alu instid0(VALU_DEP_1)
	v_cvt_i32_f32_e32 v7, v3
.LBB31_851:
	s_or_b32 exec_lo, exec_lo, s7
.LBB31_852:
	s_mov_b32 s6, -1
.LBB31_853:
	s_mov_b32 s7, 0
.LBB31_854:
	s_delay_alu instid0(SALU_CYCLE_1)
	s_and_b32 vcc_lo, exec_lo, s7
	s_cbranch_vccz .LBB31_885
; %bb.855:
	v_cmp_lt_i16_e32 vcc_lo, 22, v6
	s_cbranch_vccz .LBB31_863
; %bb.856:
	v_cmp_gt_i16_e32 vcc_lo, 24, v6
	s_cbranch_vccnz .LBB31_866
; %bb.857:
	v_cmp_lt_i16_e32 vcc_lo, 24, v6
	s_cbranch_vccz .LBB31_867
; %bb.858:
	global_load_u8 v3, v[1:2], off
	s_mov_b32 s6, exec_lo
                                        ; implicit-def: $sgpr7
	s_waitcnt vmcnt(0)
	v_cmpx_lt_i16_e32 0x7f, v3
	s_xor_b32 s6, exec_lo, s6
	s_cbranch_execz .LBB31_879
; %bb.859:
	v_cmp_ne_u16_e32 vcc_lo, 0x80, v3
	s_mov_b32 s7, 0
	s_and_b32 s3, vcc_lo, exec_lo
	s_or_saveexec_b32 s6, s6
	v_mov_b32_e32 v7, s7
	s_xor_b32 exec_lo, exec_lo, s6
	s_cbranch_execnz .LBB31_880
.LBB31_860:
	s_or_b32 exec_lo, exec_lo, s6
	s_and_saveexec_b32 s6, s3
	s_cbranch_execz .LBB31_862
.LBB31_861:
	v_and_b32_e32 v4, 0xffff, v3
	v_lshlrev_b32_e32 v3, 24, v3
	s_delay_alu instid0(VALU_DEP_2) | instskip(NEXT) | instid1(VALU_DEP_2)
	v_and_b32_e32 v7, 3, v4
	v_and_b32_e32 v3, 0x80000000, v3
	s_delay_alu instid0(VALU_DEP_2) | instskip(NEXT) | instid1(VALU_DEP_1)
	v_clz_i32_u32_e32 v8, v7
	v_min_u32_e32 v8, 32, v8
	s_delay_alu instid0(VALU_DEP_1) | instskip(SKIP_1) | instid1(VALU_DEP_2)
	v_subrev_nc_u32_e32 v9, 29, v8
	v_sub_nc_u32_e32 v8, 30, v8
	v_lshlrev_b32_e32 v9, v9, v4
	v_bfe_u32 v4, v4, 2, 5
	s_delay_alu instid0(VALU_DEP_1) | instskip(NEXT) | instid1(VALU_DEP_3)
	v_cmp_eq_u32_e32 vcc_lo, 0, v4
	v_dual_cndmask_b32 v4, v4, v8 :: v_dual_and_b32 v9, 3, v9
	s_delay_alu instid0(VALU_DEP_1) | instskip(NEXT) | instid1(VALU_DEP_2)
	v_cndmask_b32_e32 v7, v7, v9, vcc_lo
	v_lshl_add_u32 v4, v4, 23, 0x37800000
	s_delay_alu instid0(VALU_DEP_2) | instskip(NEXT) | instid1(VALU_DEP_1)
	v_lshlrev_b32_e32 v7, 21, v7
	v_or3_b32 v3, v3, v4, v7
	s_delay_alu instid0(VALU_DEP_1)
	v_cvt_i32_f32_e32 v7, v3
.LBB31_862:
	s_or_b32 exec_lo, exec_lo, s6
	s_mov_b32 s3, 0
	s_branch .LBB31_868
.LBB31_863:
	s_mov_b32 s3, -1
                                        ; implicit-def: $vgpr7
	s_branch .LBB31_874
.LBB31_864:
	s_or_saveexec_b32 s7, s7
	v_mov_b32_e32 v7, s8
	s_xor_b32 exec_lo, exec_lo, s7
	s_cbranch_execz .LBB31_849
.LBB31_865:
	v_cmp_ne_u16_e32 vcc_lo, 0, v3
	v_mov_b32_e32 v7, 0
	s_and_not1_b32 s6, s6, exec_lo
	s_and_b32 s8, vcc_lo, exec_lo
	s_delay_alu instid0(SALU_CYCLE_1)
	s_or_b32 s6, s6, s8
	s_or_b32 exec_lo, exec_lo, s7
	s_and_saveexec_b32 s7, s6
	s_cbranch_execnz .LBB31_850
	s_branch .LBB31_851
.LBB31_866:
	s_mov_b32 s3, -1
                                        ; implicit-def: $vgpr7
	s_branch .LBB31_871
.LBB31_867:
	s_mov_b32 s3, -1
                                        ; implicit-def: $vgpr7
.LBB31_868:
	s_delay_alu instid0(SALU_CYCLE_1)
	s_and_b32 vcc_lo, exec_lo, s3
	s_cbranch_vccz .LBB31_870
; %bb.869:
	global_load_u8 v3, v[1:2], off
	s_waitcnt vmcnt(0)
	v_lshlrev_b32_e32 v3, 24, v3
	s_delay_alu instid0(VALU_DEP_1) | instskip(NEXT) | instid1(VALU_DEP_1)
	v_and_b32_e32 v4, 0x7f000000, v3
	v_clz_i32_u32_e32 v7, v4
	v_cmp_ne_u32_e32 vcc_lo, 0, v4
	v_add_nc_u32_e32 v9, 0x1000000, v4
	s_delay_alu instid0(VALU_DEP_3) | instskip(NEXT) | instid1(VALU_DEP_1)
	v_min_u32_e32 v7, 32, v7
	v_sub_nc_u32_e64 v7, v7, 4 clamp
	s_delay_alu instid0(VALU_DEP_1) | instskip(SKIP_1) | instid1(VALU_DEP_2)
	v_lshlrev_b32_e32 v8, v7, v4
	v_lshlrev_b32_e32 v7, 23, v7
	v_lshrrev_b32_e32 v8, 4, v8
	s_delay_alu instid0(VALU_DEP_1) | instskip(SKIP_1) | instid1(VALU_DEP_2)
	v_sub_nc_u32_e32 v7, v8, v7
	v_ashrrev_i32_e32 v8, 8, v9
	v_add_nc_u32_e32 v7, 0x3c000000, v7
	s_delay_alu instid0(VALU_DEP_1) | instskip(NEXT) | instid1(VALU_DEP_1)
	v_and_or_b32 v7, 0x7f800000, v8, v7
	v_cndmask_b32_e32 v4, 0, v7, vcc_lo
	s_delay_alu instid0(VALU_DEP_1) | instskip(NEXT) | instid1(VALU_DEP_1)
	v_and_or_b32 v3, 0x80000000, v3, v4
	v_cvt_i32_f32_e32 v7, v3
.LBB31_870:
	s_mov_b32 s3, 0
.LBB31_871:
	s_delay_alu instid0(SALU_CYCLE_1)
	s_and_not1_b32 vcc_lo, exec_lo, s3
	s_cbranch_vccnz .LBB31_873
; %bb.872:
	global_load_u8 v3, v[1:2], off
	s_waitcnt vmcnt(0)
	v_lshlrev_b32_e32 v4, 25, v3
	v_lshlrev_b16 v3, 8, v3
	s_delay_alu instid0(VALU_DEP_2) | instskip(NEXT) | instid1(VALU_DEP_2)
	v_lshrrev_b32_e32 v7, 4, v4
	v_and_or_b32 v8, 0x7f00, v3, 0.5
	v_cmp_gt_u32_e32 vcc_lo, 0x8000000, v4
	v_bfe_i32 v3, v3, 0, 16
	s_delay_alu instid0(VALU_DEP_4) | instskip(NEXT) | instid1(VALU_DEP_1)
	v_or_b32_e32 v7, 0x70000000, v7
	v_dual_add_f32 v8, -0.5, v8 :: v_dual_mul_f32 v7, 0x7800000, v7
	s_delay_alu instid0(VALU_DEP_1) | instskip(NEXT) | instid1(VALU_DEP_1)
	v_cndmask_b32_e32 v4, v7, v8, vcc_lo
	v_and_or_b32 v3, 0x80000000, v3, v4
	s_delay_alu instid0(VALU_DEP_1)
	v_cvt_i32_f32_e32 v7, v3
.LBB31_873:
	s_mov_b32 s3, 0
	s_mov_b32 s6, -1
.LBB31_874:
	s_and_not1_b32 vcc_lo, exec_lo, s3
	s_mov_b32 s3, 0
	s_cbranch_vccnz .LBB31_885
; %bb.875:
	v_cmp_lt_i16_e32 vcc_lo, 14, v6
	s_cbranch_vccz .LBB31_878
; %bb.876:
	v_cmp_eq_u16_e32 vcc_lo, 15, v6
	s_cbranch_vccz .LBB31_881
; %bb.877:
	global_load_u16 v3, v[1:2], off
	s_mov_b32 s2, 0
	s_mov_b32 s6, -1
	s_waitcnt vmcnt(0)
	v_lshlrev_b32_e32 v3, 16, v3
	s_delay_alu instid0(VALU_DEP_1)
	v_cvt_i32_f32_e32 v7, v3
	s_branch .LBB31_883
.LBB31_878:
	s_mov_b32 s3, -1
	s_branch .LBB31_882
.LBB31_879:
	s_or_saveexec_b32 s6, s6
	v_mov_b32_e32 v7, s7
	s_xor_b32 exec_lo, exec_lo, s6
	s_cbranch_execz .LBB31_860
.LBB31_880:
	v_cmp_ne_u16_e32 vcc_lo, 0, v3
	v_mov_b32_e32 v7, 0
	s_and_not1_b32 s3, s3, exec_lo
	s_and_b32 s7, vcc_lo, exec_lo
	s_delay_alu instid0(SALU_CYCLE_1)
	s_or_b32 s3, s3, s7
	s_or_b32 exec_lo, exec_lo, s6
	s_and_saveexec_b32 s6, s3
	s_cbranch_execnz .LBB31_861
	s_branch .LBB31_862
.LBB31_881:
	s_mov_b32 s2, -1
.LBB31_882:
                                        ; implicit-def: $vgpr7
.LBB31_883:
	s_and_b32 vcc_lo, exec_lo, s3
	s_mov_b32 s3, 0
	s_cbranch_vccz .LBB31_885
; %bb.884:
	v_cmp_ne_u16_e32 vcc_lo, 11, v6
	s_and_not1_b32 s2, s2, exec_lo
	s_mov_b32 s3, -1
                                        ; implicit-def: $vgpr7
	s_and_b32 s7, vcc_lo, exec_lo
	s_delay_alu instid0(SALU_CYCLE_1)
	s_or_b32 s2, s2, s7
.LBB31_885:
	s_mov_b32 s7, 0
.LBB31_886:
	s_and_b32 s41, s6, exec_lo
	s_and_b32 s42, s7, exec_lo
	s_and_not1_b32 s6, s22, exec_lo
	s_and_b32 s7, s2, exec_lo
	s_and_b32 s2, s3, exec_lo
	s_or_b32 s43, s6, s7
.LBB31_887:
	s_or_b32 exec_lo, exec_lo, s30
	s_waitcnt lgkmcnt(0)
	s_and_not1_b32 s6, s22, exec_lo
	s_and_b32 s7, s43, exec_lo
	s_and_b32 s41, s41, exec_lo
	;; [unrolled: 1-line block ×4, first 2 shown]
	s_or_b32 s22, s6, s7
.LBB31_888:
	s_or_b32 exec_lo, exec_lo, s40
	s_waitcnt lgkmcnt(0)
	s_and_not1_b32 s6, s38, exec_lo
	s_and_b32 s7, s23, exec_lo
	s_and_b32 s40, s41, exec_lo
	s_or_b32 s38, s6, s7
	s_and_not1_b32 s6, s37, exec_lo
	s_and_b32 s7, s22, exec_lo
	s_and_b32 s23, s3, exec_lo
	;; [unrolled: 1-line block ×3, first 2 shown]
	s_or_b32 s37, s6, s7
.LBB31_889:
	s_or_b32 exec_lo, exec_lo, s39
	s_delay_alu instid0(SALU_CYCLE_1)
	s_and_not1_b32 s2, s34, exec_lo
	s_waitcnt lgkmcnt(0)
	s_and_b32 s6, s38, exec_lo
	s_and_b32 s7, s37, exec_lo
	s_or_b32 s34, s2, s6
	s_and_not1_b32 s6, s35, exec_lo
	s_and_b32 s2, s40, exec_lo
	s_and_b32 s22, s23, exec_lo
	;; [unrolled: 1-line block ×3, first 2 shown]
	s_or_b32 s35, s6, s7
.LBB31_890:
	s_or_b32 exec_lo, exec_lo, s36
	s_mov_b32 s3, 0
	s_waitcnt lgkmcnt(0)
	s_and_saveexec_b32 s6, s35
	s_cbranch_execnz .LBB31_902
; %bb.891:
	s_or_b32 exec_lo, exec_lo, s6
	s_and_saveexec_b32 s6, s37
	s_delay_alu instid0(SALU_CYCLE_1)
	s_xor_b32 s6, exec_lo, s6
	s_cbranch_execz .LBB31_893
.LBB31_892:
	global_load_u8 v3, v[1:2], off
	s_or_b32 s2, s2, exec_lo
	s_waitcnt vmcnt(0)
	v_cmp_ne_u16_e32 vcc_lo, 0, v3
	v_cndmask_b32_e64 v7, 0, 1, vcc_lo
.LBB31_893:
	s_or_b32 exec_lo, exec_lo, s6
	s_and_saveexec_b32 s6, s22
	s_cbranch_execz .LBB31_941
; %bb.894:
	v_cmp_gt_i16_e32 vcc_lo, 5, v6
	s_cbranch_vccnz .LBB31_899
; %bb.895:
	v_cmp_gt_i16_e32 vcc_lo, 8, v6
	s_cbranch_vccnz .LBB31_900
	;; [unrolled: 3-line block ×3, first 2 shown]
; %bb.897:
	v_cmp_lt_i16_e32 vcc_lo, 9, v6
	s_cbranch_vccz .LBB31_904
; %bb.898:
	global_load_b64 v[3:4], v[1:2], off
	s_mov_b32 s7, 0
	s_waitcnt vmcnt(0)
	v_cvt_i32_f64_e32 v7, v[3:4]
	s_branch .LBB31_905
.LBB31_899:
                                        ; implicit-def: $vgpr7
	s_branch .LBB31_922
.LBB31_900:
                                        ; implicit-def: $vgpr7
	s_branch .LBB31_911
.LBB31_901:
	s_mov_b32 s7, -1
                                        ; implicit-def: $vgpr7
	s_branch .LBB31_908
.LBB31_902:
	s_cbranch_execnz .LBB31_1172
; %bb.903:
	s_mov_b32 s3, exec_lo
	s_and_not1_b32 s37, s37, exec_lo
                                        ; implicit-def: $vgpr7
	s_or_b32 exec_lo, exec_lo, s6
	s_and_saveexec_b32 s6, s37
	s_delay_alu instid0(SALU_CYCLE_1)
	s_xor_b32 s6, exec_lo, s6
	s_cbranch_execnz .LBB31_892
	s_branch .LBB31_893
.LBB31_904:
	s_mov_b32 s7, -1
                                        ; implicit-def: $vgpr7
.LBB31_905:
	s_delay_alu instid0(SALU_CYCLE_1)
	s_and_not1_b32 vcc_lo, exec_lo, s7
	s_cbranch_vccnz .LBB31_907
; %bb.906:
	global_load_b32 v3, v[1:2], off
	s_waitcnt vmcnt(0)
	v_cvt_i32_f32_e32 v7, v3
.LBB31_907:
	s_mov_b32 s7, 0
.LBB31_908:
	s_delay_alu instid0(SALU_CYCLE_1)
	s_and_not1_b32 vcc_lo, exec_lo, s7
	s_cbranch_vccnz .LBB31_910
; %bb.909:
	global_load_b32 v3, v[1:2], off
	s_waitcnt vmcnt(0)
	v_cvt_f32_f16_e32 v3, v3
	s_delay_alu instid0(VALU_DEP_1)
	v_cvt_i32_f32_e32 v7, v3
.LBB31_910:
	s_cbranch_execnz .LBB31_921
.LBB31_911:
	v_cmp_gt_i16_e32 vcc_lo, 6, v6
	s_cbranch_vccnz .LBB31_914
; %bb.912:
	v_cmp_lt_i16_e32 vcc_lo, 6, v6
	s_cbranch_vccz .LBB31_915
; %bb.913:
	global_load_b64 v[3:4], v[1:2], off
	s_mov_b32 s7, 0
	s_waitcnt vmcnt(0)
	v_cvt_i32_f64_e32 v7, v[3:4]
	s_branch .LBB31_916
.LBB31_914:
	s_mov_b32 s7, -1
                                        ; implicit-def: $vgpr7
	s_branch .LBB31_919
.LBB31_915:
	s_mov_b32 s7, -1
                                        ; implicit-def: $vgpr7
.LBB31_916:
	s_delay_alu instid0(SALU_CYCLE_1)
	s_and_not1_b32 vcc_lo, exec_lo, s7
	s_cbranch_vccnz .LBB31_918
; %bb.917:
	global_load_b32 v3, v[1:2], off
	s_waitcnt vmcnt(0)
	v_cvt_i32_f32_e32 v7, v3
.LBB31_918:
	s_mov_b32 s7, 0
.LBB31_919:
	s_delay_alu instid0(SALU_CYCLE_1)
	s_and_not1_b32 vcc_lo, exec_lo, s7
	s_cbranch_vccnz .LBB31_921
; %bb.920:
	global_load_u16 v3, v[1:2], off
	s_waitcnt vmcnt(0)
	v_cvt_f32_f16_e32 v3, v3
	s_delay_alu instid0(VALU_DEP_1)
	v_cvt_i32_f32_e32 v7, v3
.LBB31_921:
	s_cbranch_execnz .LBB31_940
.LBB31_922:
	v_cmp_gt_i16_e32 vcc_lo, 2, v6
	s_cbranch_vccnz .LBB31_926
; %bb.923:
	v_cmp_gt_i16_e32 vcc_lo, 3, v6
	s_cbranch_vccnz .LBB31_927
; %bb.924:
	v_cmp_lt_i16_e32 vcc_lo, 3, v6
	s_cbranch_vccz .LBB31_928
; %bb.925:
	global_load_b32 v7, v[1:2], off
	s_mov_b32 s7, 0
	s_branch .LBB31_929
.LBB31_926:
                                        ; implicit-def: $vgpr7
	s_branch .LBB31_935
.LBB31_927:
	s_mov_b32 s7, -1
                                        ; implicit-def: $vgpr7
	s_branch .LBB31_932
.LBB31_928:
	s_mov_b32 s7, -1
                                        ; implicit-def: $vgpr7
.LBB31_929:
	s_delay_alu instid0(SALU_CYCLE_1)
	s_and_not1_b32 vcc_lo, exec_lo, s7
	s_cbranch_vccnz .LBB31_931
; %bb.930:
	global_load_b32 v7, v[1:2], off
.LBB31_931:
	s_mov_b32 s7, 0
.LBB31_932:
	s_delay_alu instid0(SALU_CYCLE_1)
	s_and_not1_b32 vcc_lo, exec_lo, s7
	s_cbranch_vccnz .LBB31_934
; %bb.933:
	global_load_i16 v7, v[1:2], off
.LBB31_934:
	s_cbranch_execnz .LBB31_940
.LBB31_935:
	v_cmp_lt_i16_e32 vcc_lo, 0, v6
	s_mov_b32 s7, 0
	s_cbranch_vccz .LBB31_937
; %bb.936:
	global_load_i8 v7, v[1:2], off
	s_branch .LBB31_938
.LBB31_937:
	s_mov_b32 s7, -1
                                        ; implicit-def: $vgpr7
.LBB31_938:
	s_delay_alu instid0(SALU_CYCLE_1)
	s_and_not1_b32 vcc_lo, exec_lo, s7
	s_cbranch_vccnz .LBB31_940
; %bb.939:
	global_load_u8 v7, v[1:2], off
.LBB31_940:
	s_or_b32 s2, s2, exec_lo
.LBB31_941:
	s_or_b32 exec_lo, exec_lo, s6
	s_mov_b32 s8, 0
	s_mov_b32 s7, 0
                                        ; implicit-def: $vgpr6
                                        ; implicit-def: $vgpr3_vgpr4
                                        ; implicit-def: $vgpr1
	s_and_saveexec_b32 s6, s2
	s_cbranch_execz .LBB31_1018
; %bb.942:
	v_and_b32_e32 v6, 0xff, v5
	v_add_co_u32 v3, s2, s4, v0
	s_waitcnt vmcnt(0)
	s_delay_alu instid0(VALU_DEP_3)
	v_not_b32_e32 v1, v7
	v_add_co_ci_u32_e64 v4, null, s5, 0, s2
	v_cmp_gt_i16_e32 vcc_lo, 11, v6
	s_mov_b32 s4, -1
	s_mov_b32 s2, s34
	s_cbranch_vccnz .LBB31_1017
; %bb.943:
	v_cmp_lt_i16_e32 vcc_lo, 25, v6
	s_mov_b32 s2, s34
	s_cbranch_vccz .LBB31_976
; %bb.944:
	v_cmp_lt_i16_e32 vcc_lo, 28, v6
	s_mov_b32 s2, s34
	s_cbranch_vccz .LBB31_960
	;; [unrolled: 4-line block ×4, first 2 shown]
; %bb.947:
	v_cmp_eq_u16_e32 vcc_lo, 46, v6
	s_mov_b32 s2, -1
	s_cbranch_vccz .LBB31_949
; %bb.948:
	v_cvt_f32_i32_e32 v0, v1
	s_mov_b32 s2, 0
	s_delay_alu instid0(VALU_DEP_1) | instskip(NEXT) | instid1(VALU_DEP_1)
	v_bfe_u32 v2, v0, 16, 1
	v_add3_u32 v0, v0, v2, 0x7fff
	s_delay_alu instid0(VALU_DEP_1)
	v_lshrrev_b32_e32 v0, 16, v0
	global_store_b32 v[3:4], v0, off
.LBB31_949:
	s_mov_b32 s4, 0
.LBB31_950:
	s_delay_alu instid0(SALU_CYCLE_1)
	s_and_b32 vcc_lo, exec_lo, s4
	s_cbranch_vccz .LBB31_955
; %bb.951:
	v_cmp_eq_u16_e32 vcc_lo, 44, v6
	s_mov_b32 s2, -1
	s_cbranch_vccz .LBB31_955
; %bb.952:
	v_cvt_f32_i32_e32 v0, v1
	v_mov_b32_e32 v2, 0xff
	s_mov_b32 s4, exec_lo
	s_delay_alu instid0(VALU_DEP_2) | instskip(NEXT) | instid1(VALU_DEP_1)
	v_bfe_u32 v5, v0, 23, 8
	v_cmpx_ne_u32_e32 0xff, v5
; %bb.953:
	v_and_b32_e32 v2, 0x400000, v0
	v_and_or_b32 v5, 0x3fffff, v0, v5
	v_lshrrev_b32_e32 v0, 23, v0
	s_delay_alu instid0(VALU_DEP_3) | instskip(NEXT) | instid1(VALU_DEP_3)
	v_cmp_ne_u32_e32 vcc_lo, 0, v2
	v_cmp_ne_u32_e64 s2, 0, v5
	s_delay_alu instid0(VALU_DEP_1) | instskip(NEXT) | instid1(SALU_CYCLE_1)
	s_and_b32 s2, vcc_lo, s2
	v_cndmask_b32_e64 v2, 0, 1, s2
	s_delay_alu instid0(VALU_DEP_1)
	v_add_nc_u32_e32 v2, v0, v2
; %bb.954:
	s_or_b32 exec_lo, exec_lo, s4
	s_mov_b32 s2, 0
	global_store_b8 v[3:4], v2, off
.LBB31_955:
	s_mov_b32 s4, 0
.LBB31_956:
	s_delay_alu instid0(SALU_CYCLE_1)
	s_and_b32 vcc_lo, exec_lo, s4
	s_cbranch_vccz .LBB31_959
; %bb.957:
	v_cmp_eq_u16_e32 vcc_lo, 29, v6
	s_mov_b32 s2, -1
	s_cbranch_vccz .LBB31_959
; %bb.958:
	v_ashrrev_i32_e32 v2, 31, v1
	s_mov_b32 s2, 0
	global_store_b64 v[3:4], v[1:2], off
.LBB31_959:
	s_mov_b32 s4, 0
.LBB31_960:
	s_delay_alu instid0(SALU_CYCLE_1)
	s_and_b32 vcc_lo, exec_lo, s4
	s_cbranch_vccz .LBB31_975
; %bb.961:
	v_cmp_gt_i16_e32 vcc_lo, 27, v6
	s_mov_b32 s4, -1
	s_cbranch_vccnz .LBB31_967
; %bb.962:
	v_cmp_lt_i16_e32 vcc_lo, 27, v6
	s_cbranch_vccz .LBB31_964
; %bb.963:
	s_mov_b32 s4, 0
	global_store_b32 v[3:4], v1, off
.LBB31_964:
	s_and_not1_b32 vcc_lo, exec_lo, s4
	s_cbranch_vccnz .LBB31_966
; %bb.965:
	global_store_b16 v[3:4], v1, off
.LBB31_966:
	s_mov_b32 s4, 0
.LBB31_967:
	s_delay_alu instid0(SALU_CYCLE_1)
	s_and_not1_b32 vcc_lo, exec_lo, s4
	s_cbranch_vccnz .LBB31_975
; %bb.968:
	v_cvt_f32_i32_e32 v0, v1
	v_mov_b32_e32 v5, 0x80
	s_mov_b32 s4, exec_lo
	s_delay_alu instid0(VALU_DEP_2) | instskip(NEXT) | instid1(VALU_DEP_1)
	v_and_b32_e32 v2, 0x7fffffff, v0
	v_cmpx_gt_u32_e32 0x43800000, v2
	s_cbranch_execz .LBB31_974
; %bb.969:
	v_cmp_lt_u32_e32 vcc_lo, 0x3bffffff, v2
	s_mov_b32 s5, 0
                                        ; implicit-def: $vgpr2
	s_and_saveexec_b32 s7, vcc_lo
	s_delay_alu instid0(SALU_CYCLE_1)
	s_xor_b32 s7, exec_lo, s7
	s_cbranch_execz .LBB31_1258
; %bb.970:
	v_bfe_u32 v2, v0, 20, 1
	s_mov_b32 s5, exec_lo
	s_delay_alu instid0(VALU_DEP_1) | instskip(NEXT) | instid1(VALU_DEP_1)
	v_add3_u32 v2, v0, v2, 0x487ffff
	v_lshrrev_b32_e32 v2, 20, v2
	s_or_saveexec_b32 s7, s7
                                        ; implicit-def: $sgpr8
	s_delay_alu instid0(SALU_CYCLE_1)
	s_xor_b32 exec_lo, exec_lo, s7
	s_cbranch_execnz .LBB31_1259
.LBB31_971:
	s_or_b32 exec_lo, exec_lo, s7
	v_mov_b32_e32 v5, s8
	s_and_saveexec_b32 s7, s5
.LBB31_972:
	v_lshrrev_b32_e32 v0, 24, v0
	s_delay_alu instid0(VALU_DEP_1)
	v_and_or_b32 v5, 0x80, v0, v2
.LBB31_973:
	s_or_b32 exec_lo, exec_lo, s7
.LBB31_974:
	s_delay_alu instid0(SALU_CYCLE_1)
	s_or_b32 exec_lo, exec_lo, s4
	global_store_b8 v[3:4], v5, off
.LBB31_975:
	s_mov_b32 s4, 0
.LBB31_976:
	s_delay_alu instid0(SALU_CYCLE_1)
	s_and_b32 vcc_lo, exec_lo, s4
	s_mov_b32 s4, 0
	s_cbranch_vccz .LBB31_1016
; %bb.977:
	v_cmp_lt_i16_e32 vcc_lo, 22, v6
	s_mov_b32 s5, -1
	s_cbranch_vccz .LBB31_1009
; %bb.978:
	v_cmp_gt_i16_e32 vcc_lo, 24, v6
	s_cbranch_vccnz .LBB31_998
; %bb.979:
	v_cmp_lt_i16_e32 vcc_lo, 24, v6
	s_cbranch_vccz .LBB31_987
; %bb.980:
	v_cvt_f32_i32_e32 v0, v1
	v_mov_b32_e32 v5, 0x80
	s_mov_b32 s5, exec_lo
	s_delay_alu instid0(VALU_DEP_2) | instskip(NEXT) | instid1(VALU_DEP_1)
	v_and_b32_e32 v2, 0x7fffffff, v0
	v_cmpx_gt_u32_e32 0x47800000, v2
	s_cbranch_execz .LBB31_986
; %bb.981:
	v_cmp_lt_u32_e32 vcc_lo, 0x37ffffff, v2
	s_mov_b32 s7, 0
                                        ; implicit-def: $vgpr2
	s_and_saveexec_b32 s8, vcc_lo
	s_delay_alu instid0(SALU_CYCLE_1)
	s_xor_b32 s8, exec_lo, s8
	s_cbranch_execz .LBB31_1302
; %bb.982:
	v_bfe_u32 v2, v0, 21, 1
	s_mov_b32 s7, exec_lo
	s_delay_alu instid0(VALU_DEP_1) | instskip(NEXT) | instid1(VALU_DEP_1)
	v_add3_u32 v2, v0, v2, 0x88fffff
	v_lshrrev_b32_e32 v2, 21, v2
	s_or_saveexec_b32 s8, s8
                                        ; implicit-def: $sgpr9
	s_delay_alu instid0(SALU_CYCLE_1)
	s_xor_b32 exec_lo, exec_lo, s8
	s_cbranch_execnz .LBB31_1303
.LBB31_983:
	s_or_b32 exec_lo, exec_lo, s8
	v_mov_b32_e32 v5, s9
	s_and_saveexec_b32 s8, s7
.LBB31_984:
	v_lshrrev_b32_e32 v0, 24, v0
	s_delay_alu instid0(VALU_DEP_1)
	v_and_or_b32 v5, 0x80, v0, v2
.LBB31_985:
	s_or_b32 exec_lo, exec_lo, s8
.LBB31_986:
	s_delay_alu instid0(SALU_CYCLE_1)
	s_or_b32 exec_lo, exec_lo, s5
	s_mov_b32 s5, 0
	global_store_b8 v[3:4], v5, off
.LBB31_987:
	s_and_b32 vcc_lo, exec_lo, s5
	s_cbranch_vccz .LBB31_997
; %bb.988:
	v_cvt_f32_i32_e32 v0, v1
	s_mov_b32 s5, exec_lo
                                        ; implicit-def: $vgpr2
	s_delay_alu instid0(VALU_DEP_1) | instskip(NEXT) | instid1(VALU_DEP_1)
	v_and_b32_e32 v5, 0x7fffffff, v0
	v_cmpx_gt_u32_e32 0x43f00000, v5
	s_xor_b32 s5, exec_lo, s5
	s_cbranch_execz .LBB31_994
; %bb.989:
	s_mov_b32 s7, exec_lo
                                        ; implicit-def: $vgpr2
	v_cmpx_lt_u32_e32 0x3c7fffff, v5
	s_xor_b32 s7, exec_lo, s7
; %bb.990:
	v_bfe_u32 v2, v0, 20, 1
	s_delay_alu instid0(VALU_DEP_1) | instskip(NEXT) | instid1(VALU_DEP_1)
	v_add3_u32 v2, v0, v2, 0x407ffff
	v_and_b32_e32 v5, 0xff00000, v2
	v_lshrrev_b32_e32 v2, 20, v2
	s_delay_alu instid0(VALU_DEP_2) | instskip(NEXT) | instid1(VALU_DEP_2)
	v_cmp_ne_u32_e32 vcc_lo, 0x7f00000, v5
	v_cndmask_b32_e32 v2, 0x7e, v2, vcc_lo
; %bb.991:
	s_and_not1_saveexec_b32 s7, s7
; %bb.992:
	v_add_f32_e64 v2, 0x46800000, |v0|
; %bb.993:
	s_or_b32 exec_lo, exec_lo, s7
                                        ; implicit-def: $vgpr5
.LBB31_994:
	s_and_not1_saveexec_b32 s5, s5
; %bb.995:
	v_mov_b32_e32 v2, 0x7f
	v_cmp_lt_u32_e32 vcc_lo, 0x7f800000, v5
	s_delay_alu instid0(VALU_DEP_2)
	v_cndmask_b32_e32 v2, 0x7e, v2, vcc_lo
; %bb.996:
	s_or_b32 exec_lo, exec_lo, s5
	v_lshrrev_b32_e32 v0, 24, v0
	s_delay_alu instid0(VALU_DEP_1)
	v_and_or_b32 v0, 0x80, v0, v2
	global_store_b8 v[3:4], v0, off
.LBB31_997:
	s_mov_b32 s5, 0
.LBB31_998:
	s_delay_alu instid0(SALU_CYCLE_1)
	s_and_not1_b32 vcc_lo, exec_lo, s5
	s_cbranch_vccnz .LBB31_1008
; %bb.999:
	v_cvt_f32_i32_e32 v0, v1
	s_mov_b32 s5, exec_lo
                                        ; implicit-def: $vgpr2
	s_delay_alu instid0(VALU_DEP_1) | instskip(NEXT) | instid1(VALU_DEP_1)
	v_and_b32_e32 v5, 0x7fffffff, v0
	v_cmpx_gt_u32_e32 0x47800000, v5
	s_xor_b32 s5, exec_lo, s5
	s_cbranch_execz .LBB31_1005
; %bb.1000:
	s_mov_b32 s7, exec_lo
                                        ; implicit-def: $vgpr2
	v_cmpx_lt_u32_e32 0x387fffff, v5
	s_xor_b32 s7, exec_lo, s7
; %bb.1001:
	v_bfe_u32 v2, v0, 21, 1
	s_delay_alu instid0(VALU_DEP_1) | instskip(NEXT) | instid1(VALU_DEP_1)
	v_add3_u32 v2, v0, v2, 0x80fffff
	v_lshrrev_b32_e32 v2, 21, v2
; %bb.1002:
	s_and_not1_saveexec_b32 s7, s7
; %bb.1003:
	v_add_f32_e64 v2, 0x43000000, |v0|
; %bb.1004:
	s_or_b32 exec_lo, exec_lo, s7
                                        ; implicit-def: $vgpr5
.LBB31_1005:
	s_and_not1_saveexec_b32 s5, s5
; %bb.1006:
	v_mov_b32_e32 v2, 0x7f
	v_cmp_lt_u32_e32 vcc_lo, 0x7f800000, v5
	s_delay_alu instid0(VALU_DEP_2)
	v_cndmask_b32_e32 v2, 0x7c, v2, vcc_lo
; %bb.1007:
	s_or_b32 exec_lo, exec_lo, s5
	v_lshrrev_b32_e32 v0, 24, v0
	s_delay_alu instid0(VALU_DEP_1)
	v_and_or_b32 v0, 0x80, v0, v2
	global_store_b8 v[3:4], v0, off
.LBB31_1008:
	s_mov_b32 s5, 0
.LBB31_1009:
	s_delay_alu instid0(SALU_CYCLE_1)
	s_and_not1_b32 vcc_lo, exec_lo, s5
	s_mov_b32 s8, 0
	s_cbranch_vccnz .LBB31_1017
; %bb.1010:
	v_cmp_lt_i16_e32 vcc_lo, 14, v6
	s_mov_b32 s5, -1
	s_cbranch_vccz .LBB31_1014
; %bb.1011:
	v_cmp_eq_u16_e32 vcc_lo, 15, v6
	s_mov_b32 s2, -1
	s_cbranch_vccz .LBB31_1013
; %bb.1012:
	v_cvt_f32_i32_e32 v0, v1
	s_mov_b32 s2, 0
	s_delay_alu instid0(VALU_DEP_1) | instskip(NEXT) | instid1(VALU_DEP_1)
	v_bfe_u32 v2, v0, 16, 1
	v_add3_u32 v0, v0, v2, 0x7fff
	global_store_d16_hi_b16 v[3:4], v0, off
.LBB31_1013:
	s_mov_b32 s5, 0
.LBB31_1014:
	s_delay_alu instid0(SALU_CYCLE_1)
	s_and_b32 vcc_lo, exec_lo, s5
	s_cbranch_vccz .LBB31_1017
; %bb.1015:
	v_cmp_ne_u16_e32 vcc_lo, 11, v6
	s_and_not1_b32 s2, s2, exec_lo
	s_mov_b32 s8, -1
	s_and_b32 s5, vcc_lo, exec_lo
	s_delay_alu instid0(SALU_CYCLE_1)
	s_or_b32 s2, s2, s5
	s_branch .LBB31_1017
.LBB31_1016:
	s_mov_b32 s8, 0
.LBB31_1017:
	s_and_b32 s7, s4, exec_lo
	s_and_not1_b32 s4, s34, exec_lo
	s_and_b32 s2, s2, exec_lo
	s_and_b32 s8, s8, exec_lo
	s_or_b32 s34, s4, s2
.LBB31_1018:
	s_or_b32 exec_lo, exec_lo, s6
	s_and_saveexec_b32 s2, s34
	s_cbranch_execnz .LBB31_1132
; %bb.1019:
	s_or_b32 exec_lo, exec_lo, s2
	s_and_saveexec_b32 s2, s8
	s_delay_alu instid0(SALU_CYCLE_1)
	s_xor_b32 s2, exec_lo, s2
	s_cbranch_execz .LBB31_1021
.LBB31_1020:
	s_waitcnt vmcnt(0)
	s_delay_alu instid0(VALU_DEP_1)
	v_cmp_ne_u32_e32 vcc_lo, -1, v7
	v_cndmask_b32_e64 v0, 0, 1, vcc_lo
	global_store_b8 v[3:4], v0, off
.LBB31_1021:
	s_or_b32 exec_lo, exec_lo, s2
	s_and_saveexec_b32 s2, s7
	s_delay_alu instid0(SALU_CYCLE_1)
	s_xor_b32 s2, exec_lo, s2
	s_cbranch_execz .LBB31_1059
; %bb.1022:
	v_cmp_gt_i16_e32 vcc_lo, 5, v6
	s_mov_b32 s4, -1
	s_cbranch_vccnz .LBB31_1043
; %bb.1023:
	v_cmp_gt_i16_e32 vcc_lo, 8, v6
	s_cbranch_vccnz .LBB31_1033
; %bb.1024:
	v_cmp_gt_i16_e32 vcc_lo, 9, v6
	s_cbranch_vccnz .LBB31_1030
; %bb.1025:
	v_cmp_lt_i16_e32 vcc_lo, 9, v6
	s_cbranch_vccz .LBB31_1027
; %bb.1026:
	s_waitcnt vmcnt(0)
	v_cvt_f64_i32_e32 v[7:8], v1
	v_mov_b32_e32 v9, 0
	s_mov_b32 s4, 0
	s_delay_alu instid0(VALU_DEP_1)
	v_mov_b32_e32 v10, v9
	global_store_b128 v[3:4], v[7:10], off
.LBB31_1027:
	s_and_not1_b32 vcc_lo, exec_lo, s4
	s_cbranch_vccnz .LBB31_1029
; %bb.1028:
	s_waitcnt vmcnt(0)
	v_cvt_f32_i32_e32 v7, v1
	v_mov_b32_e32 v8, 0
	global_store_b64 v[3:4], v[7:8], off
.LBB31_1029:
	s_mov_b32 s4, 0
.LBB31_1030:
	s_delay_alu instid0(SALU_CYCLE_1)
	s_and_not1_b32 vcc_lo, exec_lo, s4
	s_cbranch_vccnz .LBB31_1032
; %bb.1031:
	v_cvt_f32_i32_e32 v0, v1
	s_delay_alu instid0(VALU_DEP_1) | instskip(NEXT) | instid1(VALU_DEP_1)
	v_cvt_f16_f32_e32 v0, v0
	v_and_b32_e32 v0, 0xffff, v0
	global_store_b32 v[3:4], v0, off
.LBB31_1032:
	s_mov_b32 s4, 0
.LBB31_1033:
	s_delay_alu instid0(SALU_CYCLE_1)
	s_and_not1_b32 vcc_lo, exec_lo, s4
	s_cbranch_vccnz .LBB31_1042
; %bb.1034:
	v_cmp_gt_i16_e32 vcc_lo, 6, v6
	s_mov_b32 s4, -1
	s_cbranch_vccnz .LBB31_1040
; %bb.1035:
	v_cmp_lt_i16_e32 vcc_lo, 6, v6
	s_cbranch_vccz .LBB31_1037
; %bb.1036:
	s_waitcnt vmcnt(0)
	v_cvt_f64_i32_e32 v[7:8], v1
	s_mov_b32 s4, 0
	global_store_b64 v[3:4], v[7:8], off
.LBB31_1037:
	s_and_not1_b32 vcc_lo, exec_lo, s4
	s_cbranch_vccnz .LBB31_1039
; %bb.1038:
	v_cvt_f32_i32_e32 v0, v1
	global_store_b32 v[3:4], v0, off
.LBB31_1039:
	s_mov_b32 s4, 0
.LBB31_1040:
	s_delay_alu instid0(SALU_CYCLE_1)
	s_and_not1_b32 vcc_lo, exec_lo, s4
	s_cbranch_vccnz .LBB31_1042
; %bb.1041:
	v_cvt_f32_i32_e32 v0, v1
	s_delay_alu instid0(VALU_DEP_1)
	v_cvt_f16_f32_e32 v0, v0
	global_store_b16 v[3:4], v0, off
.LBB31_1042:
	s_mov_b32 s4, 0
.LBB31_1043:
	s_delay_alu instid0(SALU_CYCLE_1)
	s_and_not1_b32 vcc_lo, exec_lo, s4
	s_cbranch_vccnz .LBB31_1059
; %bb.1044:
	v_cmp_gt_i16_e32 vcc_lo, 2, v6
	s_mov_b32 s4, -1
	s_cbranch_vccnz .LBB31_1054
; %bb.1045:
	v_cmp_gt_i16_e32 vcc_lo, 3, v6
	s_cbranch_vccnz .LBB31_1051
; %bb.1046:
	v_cmp_lt_i16_e32 vcc_lo, 3, v6
	s_cbranch_vccz .LBB31_1048
; %bb.1047:
	v_ashrrev_i32_e32 v2, 31, v1
	s_mov_b32 s4, 0
	global_store_b64 v[3:4], v[1:2], off
.LBB31_1048:
	s_and_not1_b32 vcc_lo, exec_lo, s4
	s_cbranch_vccnz .LBB31_1050
; %bb.1049:
	global_store_b32 v[3:4], v1, off
.LBB31_1050:
	s_mov_b32 s4, 0
.LBB31_1051:
	s_delay_alu instid0(SALU_CYCLE_1)
	s_and_not1_b32 vcc_lo, exec_lo, s4
	s_cbranch_vccnz .LBB31_1053
; %bb.1052:
	global_store_b16 v[3:4], v1, off
.LBB31_1053:
	s_mov_b32 s4, 0
.LBB31_1054:
	s_delay_alu instid0(SALU_CYCLE_1)
	s_and_not1_b32 vcc_lo, exec_lo, s4
	s_cbranch_vccnz .LBB31_1059
; %bb.1055:
	v_cmp_lt_i16_e32 vcc_lo, 0, v6
	s_mov_b32 s4, -1
	s_cbranch_vccz .LBB31_1057
; %bb.1056:
	s_mov_b32 s4, 0
	global_store_b8 v[3:4], v1, off
.LBB31_1057:
	s_and_not1_b32 vcc_lo, exec_lo, s4
	s_cbranch_vccnz .LBB31_1059
; %bb.1058:
	global_store_b8 v[3:4], v1, off
.LBB31_1059:
	s_or_b32 exec_lo, exec_lo, s2
	s_delay_alu instid0(SALU_CYCLE_1)
	s_and_b32 s8, s3, exec_lo
                                        ; implicit-def: $vgpr10
                                        ; implicit-def: $vgpr8
.LBB31_1060:
	s_or_saveexec_b32 s9, s28
	s_mov_b32 s3, 0
                                        ; implicit-def: $vgpr0_vgpr1
                                        ; implicit-def: $vgpr12
                                        ; implicit-def: $vgpr2
                                        ; implicit-def: $vgpr9
	s_xor_b32 exec_lo, exec_lo, s9
	s_cbranch_execz .LBB31_1432
; %bb.1061:
	v_cndmask_b32_e64 v0, 0, 1, s27
	s_and_not1_b32 vcc_lo, exec_lo, s27
	s_cbranch_vccnz .LBB31_1067
; %bb.1062:
	v_mov_b32_e32 v3, 0
	s_waitcnt vmcnt(0)
	v_mov_b32_e32 v7, 0
	s_cmp_lg_u32 s24, 0
	s_mov_b32 s6, 0
	s_cbranch_scc0 .LBB31_1071
; %bb.1063:
	s_min_u32 s7, s25, 15
	v_mov_b32_e32 v3, 0
	s_add_i32 s7, s7, 1
	s_cmp_eq_u32 s25, 2
	s_mov_b32 s10, 0
	s_cbranch_scc1 .LBB31_1068
; %bb.1064:
	v_mov_b32_e32 v7, 0
	v_mov_b32_e32 v3, 0
	;; [unrolled: 1-line block ×3, first 2 shown]
	s_add_u32 s2, s16, 0xc4
	s_addc_u32 s3, s17, 0
	s_and_b32 s10, s7, 28
	s_mov_b32 s11, 0
	s_mov_b64 s[4:5], s[16:17]
.LBB31_1065:                            ; =>This Inner Loop Header: Depth=1
	s_clause 0x1
	s_load_b256 s[36:43], s[4:5], 0x4
	s_load_b128 s[12:15], s[4:5], 0x24
	s_load_b256 s[44:51], s[2:3], 0x0
	s_add_u32 s4, s4, 48
	s_addc_u32 s5, s5, 0
	s_add_i32 s11, s11, 4
	s_add_u32 s2, s2, 32
	s_addc_u32 s3, s3, 0
	s_cmp_lg_u32 s10, s11
	s_waitcnt lgkmcnt(0)
	v_mul_hi_u32 v2, s37, v1
	s_delay_alu instid0(VALU_DEP_1) | instskip(NEXT) | instid1(VALU_DEP_1)
	v_add_nc_u32_e32 v2, v1, v2
	v_lshrrev_b32_e32 v2, s38, v2
	s_delay_alu instid0(VALU_DEP_1) | instskip(SKIP_1) | instid1(VALU_DEP_2)
	v_mul_hi_u32 v4, s40, v2
	v_mul_lo_u32 v6, v2, s36
	v_add_nc_u32_e32 v4, v2, v4
	s_delay_alu instid0(VALU_DEP_2) | instskip(NEXT) | instid1(VALU_DEP_2)
	v_sub_nc_u32_e32 v1, v1, v6
	v_lshrrev_b32_e32 v4, s41, v4
	s_delay_alu instid0(VALU_DEP_2) | instskip(SKIP_1) | instid1(VALU_DEP_3)
	v_mul_lo_u32 v6, v1, s44
	v_mul_lo_u32 v11, v1, s45
	v_mul_hi_u32 v5, s43, v4
	s_delay_alu instid0(VALU_DEP_1) | instskip(NEXT) | instid1(VALU_DEP_1)
	v_add_nc_u32_e32 v5, v4, v5
	v_lshrrev_b32_e32 v5, s12, v5
	s_delay_alu instid0(VALU_DEP_1) | instskip(SKIP_1) | instid1(VALU_DEP_2)
	v_mul_hi_u32 v9, s14, v5
	v_mul_lo_u32 v12, v5, s42
	v_add_nc_u32_e32 v1, v5, v9
	v_mul_lo_u32 v9, v4, s39
	s_delay_alu instid0(VALU_DEP_3) | instskip(NEXT) | instid1(VALU_DEP_3)
	v_sub_nc_u32_e32 v4, v4, v12
	v_lshrrev_b32_e32 v1, s15, v1
	s_delay_alu instid0(VALU_DEP_2) | instskip(SKIP_2) | instid1(VALU_DEP_4)
	v_mul_lo_u32 v12, v4, s48
	v_mul_lo_u32 v4, v4, s49
	v_sub_nc_u32_e32 v2, v2, v9
	v_mul_lo_u32 v13, v1, s13
	s_delay_alu instid0(VALU_DEP_2) | instskip(SKIP_1) | instid1(VALU_DEP_3)
	v_mul_lo_u32 v9, v2, s46
	v_mul_lo_u32 v2, v2, s47
	v_sub_nc_u32_e32 v5, v5, v13
	s_delay_alu instid0(VALU_DEP_3) | instskip(NEXT) | instid1(VALU_DEP_2)
	v_add3_u32 v3, v6, v3, v9
	v_mul_lo_u32 v13, v5, s50
	v_mul_lo_u32 v5, v5, s51
	v_add3_u32 v2, v11, v7, v2
	s_delay_alu instid0(VALU_DEP_3) | instskip(NEXT) | instid1(VALU_DEP_2)
	v_add3_u32 v3, v12, v3, v13
	v_add3_u32 v7, v4, v2, v5
	s_cbranch_scc1 .LBB31_1065
; %bb.1066:
	s_and_b32 s7, s7, 3
	s_delay_alu instid0(SALU_CYCLE_1)
	s_cmp_eq_u32 s7, 0
	s_cbranch_scc0 .LBB31_1069
	s_branch .LBB31_1071
.LBB31_1067:
	s_mov_b32 s6, -1
                                        ; implicit-def: $vgpr3
                                        ; implicit-def: $vgpr7
	s_branch .LBB31_1071
.LBB31_1068:
	v_mov_b32_e32 v1, v8
	v_mov_b32_e32 v7, 0
	s_and_b32 s7, s7, 3
	s_delay_alu instid0(SALU_CYCLE_1)
	s_cmp_eq_u32 s7, 0
	s_cbranch_scc1 .LBB31_1071
.LBB31_1069:
	s_lshl_b32 s2, s10, 3
	s_mul_i32 s4, s10, 12
	s_add_u32 s2, s2, s16
	s_addc_u32 s3, 0, s17
	s_add_u32 s2, s2, 0xc4
	s_addc_u32 s3, s3, 0
	;; [unrolled: 2-line block ×3, first 2 shown]
	.p2align	6
.LBB31_1070:                            ; =>This Inner Loop Header: Depth=1
	s_clause 0x1
	s_load_b64 s[10:11], s[4:5], 0x4
	s_load_b32 s14, s[4:5], 0xc
	s_load_b64 s[12:13], s[2:3], 0x0
	s_add_u32 s4, s4, 12
	s_addc_u32 s5, s5, 0
	s_add_u32 s2, s2, 8
	s_addc_u32 s3, s3, 0
	s_add_i32 s7, s7, -1
	s_delay_alu instid0(SALU_CYCLE_1) | instskip(SKIP_2) | instid1(VALU_DEP_1)
	s_cmp_lg_u32 s7, 0
	s_waitcnt lgkmcnt(0)
	v_mul_hi_u32 v2, s11, v1
	v_add_nc_u32_e32 v2, v1, v2
	s_delay_alu instid0(VALU_DEP_1) | instskip(NEXT) | instid1(VALU_DEP_1)
	v_lshrrev_b32_e32 v6, s14, v2
	v_mul_lo_u32 v2, v6, s10
	s_delay_alu instid0(VALU_DEP_1) | instskip(NEXT) | instid1(VALU_DEP_1)
	v_sub_nc_u32_e32 v1, v1, v2
	v_mad_u64_u32 v[4:5], null, v1, s12, v[3:4]
	v_mad_u64_u32 v[2:3], null, v1, s13, v[7:8]
	v_mov_b32_e32 v1, v6
	s_delay_alu instid0(VALU_DEP_3) | instskip(NEXT) | instid1(VALU_DEP_3)
	v_mov_b32_e32 v3, v4
	v_mov_b32_e32 v7, v2
	s_cbranch_scc1 .LBB31_1070
.LBB31_1071:
	s_and_not1_b32 vcc_lo, exec_lo, s6
	s_cbranch_vccnz .LBB31_1074
; %bb.1072:
	s_clause 0x1
	s_load_b128 s[4:7], s[16:17], 0x4
	s_load_b64 s[2:3], s[16:17], 0xc4
	s_cmp_lt_u32 s24, 2
	s_waitcnt lgkmcnt(0)
	v_mul_hi_u32 v1, s5, v8
	s_delay_alu instid0(VALU_DEP_1) | instskip(NEXT) | instid1(VALU_DEP_1)
	v_add_nc_u32_e32 v1, v8, v1
	v_lshrrev_b32_e32 v1, s6, v1
	s_delay_alu instid0(VALU_DEP_1) | instskip(NEXT) | instid1(VALU_DEP_1)
	v_mul_lo_u32 v2, v1, s4
	v_sub_nc_u32_e32 v2, v8, v2
	s_delay_alu instid0(VALU_DEP_1)
	v_mul_lo_u32 v3, v2, s2
	s_waitcnt vmcnt(0)
	v_mul_lo_u32 v7, v2, s3
	s_cbranch_scc1 .LBB31_1074
; %bb.1073:
	s_clause 0x1
	s_load_b128 s[4:7], s[16:17], 0x10
	s_load_b64 s[2:3], s[16:17], 0xcc
	s_waitcnt lgkmcnt(0)
	v_mul_hi_u32 v2, s5, v1
	s_delay_alu instid0(VALU_DEP_1) | instskip(NEXT) | instid1(VALU_DEP_1)
	v_add_nc_u32_e32 v2, v1, v2
	v_lshrrev_b32_e32 v2, s6, v2
	s_delay_alu instid0(VALU_DEP_1) | instskip(NEXT) | instid1(VALU_DEP_1)
	v_mul_lo_u32 v2, v2, s4
	v_sub_nc_u32_e32 v4, v1, v2
	s_delay_alu instid0(VALU_DEP_1) | instskip(SKIP_1) | instid1(VALU_DEP_2)
	v_mad_u64_u32 v[1:2], null, v4, s2, v[3:4]
	v_mad_u64_u32 v[2:3], null, v4, s3, v[7:8]
	v_mov_b32_e32 v3, v1
	s_delay_alu instid0(VALU_DEP_2)
	v_mov_b32_e32 v7, v2
.LBB31_1074:
	v_cmp_ne_u32_e32 vcc_lo, 1, v0
	v_add_nc_u32_e32 v1, 0x80, v8
	s_cbranch_vccnz .LBB31_1080
; %bb.1075:
	v_mov_b32_e32 v2, 0
	v_mov_b32_e32 v6, 0
	s_cmp_lg_u32 s24, 0
	s_mov_b32 s6, 0
	s_cbranch_scc0 .LBB31_1084
; %bb.1076:
	s_min_u32 s7, s25, 15
	v_mov_b32_e32 v2, 0
	s_add_i32 s7, s7, 1
	s_cmp_eq_u32 s25, 2
	s_mov_b32 s10, 0
	s_cbranch_scc1 .LBB31_1081
; %bb.1077:
	v_mov_b32_e32 v6, 0
	v_mov_b32_e32 v2, 0
	;; [unrolled: 1-line block ×3, first 2 shown]
	s_add_u32 s2, s16, 0xc4
	s_addc_u32 s3, s17, 0
	s_and_b32 s10, s7, 28
	s_mov_b32 s11, 0
	s_mov_b64 s[4:5], s[16:17]
.LBB31_1078:                            ; =>This Inner Loop Header: Depth=1
	s_clause 0x1
	s_load_b256 s[36:43], s[4:5], 0x4
	s_load_b128 s[12:15], s[4:5], 0x24
	s_load_b256 s[44:51], s[2:3], 0x0
	s_add_u32 s4, s4, 48
	s_addc_u32 s5, s5, 0
	s_add_i32 s11, s11, 4
	s_add_u32 s2, s2, 32
	s_addc_u32 s3, s3, 0
	s_cmp_lg_u32 s10, s11
	s_waitcnt lgkmcnt(0)
	v_mul_hi_u32 v5, s37, v4
	s_delay_alu instid0(VALU_DEP_1) | instskip(NEXT) | instid1(VALU_DEP_1)
	v_add_nc_u32_e32 v5, v4, v5
	v_lshrrev_b32_e32 v5, s38, v5
	s_delay_alu instid0(VALU_DEP_1) | instskip(SKIP_1) | instid1(VALU_DEP_2)
	v_mul_hi_u32 v9, s40, v5
	v_mul_lo_u32 v12, v5, s36
	v_add_nc_u32_e32 v9, v5, v9
	s_delay_alu instid0(VALU_DEP_2) | instskip(NEXT) | instid1(VALU_DEP_2)
	v_sub_nc_u32_e32 v4, v4, v12
	v_lshrrev_b32_e32 v9, s41, v9
	s_delay_alu instid0(VALU_DEP_2) | instskip(SKIP_1) | instid1(VALU_DEP_3)
	v_mul_lo_u32 v12, v4, s44
	v_mul_lo_u32 v14, v4, s45
	v_mul_hi_u32 v11, s43, v9
	s_delay_alu instid0(VALU_DEP_1) | instskip(NEXT) | instid1(VALU_DEP_1)
	v_add_nc_u32_e32 v11, v9, v11
	v_lshrrev_b32_e32 v11, s12, v11
	s_delay_alu instid0(VALU_DEP_1) | instskip(SKIP_1) | instid1(VALU_DEP_2)
	v_mul_hi_u32 v13, s14, v11
	v_mul_lo_u32 v15, v11, s42
	v_add_nc_u32_e32 v4, v11, v13
	v_mul_lo_u32 v13, v9, s39
	s_delay_alu instid0(VALU_DEP_3) | instskip(NEXT) | instid1(VALU_DEP_3)
	v_sub_nc_u32_e32 v9, v9, v15
	v_lshrrev_b32_e32 v4, s15, v4
	s_delay_alu instid0(VALU_DEP_2) | instskip(SKIP_2) | instid1(VALU_DEP_4)
	v_mul_lo_u32 v15, v9, s48
	v_mul_lo_u32 v9, v9, s49
	v_sub_nc_u32_e32 v5, v5, v13
	v_mul_lo_u32 v16, v4, s13
	s_delay_alu instid0(VALU_DEP_2) | instskip(SKIP_1) | instid1(VALU_DEP_3)
	v_mul_lo_u32 v13, v5, s46
	v_mul_lo_u32 v5, v5, s47
	v_sub_nc_u32_e32 v11, v11, v16
	s_delay_alu instid0(VALU_DEP_3) | instskip(NEXT) | instid1(VALU_DEP_2)
	v_add3_u32 v2, v12, v2, v13
	v_mul_lo_u32 v16, v11, s50
	v_mul_lo_u32 v11, v11, s51
	v_add3_u32 v5, v14, v6, v5
	s_delay_alu instid0(VALU_DEP_3) | instskip(NEXT) | instid1(VALU_DEP_2)
	v_add3_u32 v2, v15, v2, v16
	v_add3_u32 v6, v9, v5, v11
	s_cbranch_scc1 .LBB31_1078
; %bb.1079:
	s_and_b32 s7, s7, 3
	s_delay_alu instid0(SALU_CYCLE_1)
	s_cmp_eq_u32 s7, 0
	s_cbranch_scc0 .LBB31_1082
	s_branch .LBB31_1084
.LBB31_1080:
	s_mov_b32 s6, -1
                                        ; implicit-def: $vgpr2
                                        ; implicit-def: $vgpr6
	s_branch .LBB31_1084
.LBB31_1081:
	v_mov_b32_e32 v4, v1
	v_mov_b32_e32 v6, 0
	s_and_b32 s7, s7, 3
	s_delay_alu instid0(SALU_CYCLE_1)
	s_cmp_eq_u32 s7, 0
	s_cbranch_scc1 .LBB31_1084
.LBB31_1082:
	s_lshl_b32 s2, s10, 3
	s_mul_i32 s4, s10, 12
	s_add_u32 s2, s2, s16
	s_addc_u32 s3, 0, s17
	s_add_u32 s2, s2, 0xc4
	s_addc_u32 s3, s3, 0
	;; [unrolled: 2-line block ×3, first 2 shown]
	.p2align	6
.LBB31_1083:                            ; =>This Inner Loop Header: Depth=1
	s_clause 0x1
	s_load_b64 s[10:11], s[4:5], 0x4
	s_load_b32 s14, s[4:5], 0xc
	s_load_b64 s[12:13], s[2:3], 0x0
	s_add_u32 s4, s4, 12
	s_addc_u32 s5, s5, 0
	s_add_u32 s2, s2, 8
	s_addc_u32 s3, s3, 0
	s_add_i32 s7, s7, -1
	s_delay_alu instid0(SALU_CYCLE_1) | instskip(SKIP_2) | instid1(VALU_DEP_1)
	s_cmp_lg_u32 s7, 0
	s_waitcnt lgkmcnt(0)
	v_mul_hi_u32 v5, s11, v4
	v_add_nc_u32_e32 v5, v4, v5
	s_delay_alu instid0(VALU_DEP_1) | instskip(NEXT) | instid1(VALU_DEP_1)
	v_lshrrev_b32_e32 v5, s14, v5
	v_mul_lo_u32 v9, v5, s10
	s_delay_alu instid0(VALU_DEP_1) | instskip(NEXT) | instid1(VALU_DEP_1)
	v_sub_nc_u32_e32 v4, v4, v9
	v_mad_u64_u32 v[11:12], null, v4, s12, v[2:3]
	s_waitcnt vmcnt(0)
	v_mad_u64_u32 v[12:13], null, v4, s13, v[6:7]
	v_mov_b32_e32 v4, v5
	s_delay_alu instid0(VALU_DEP_3) | instskip(NEXT) | instid1(VALU_DEP_3)
	v_mov_b32_e32 v2, v11
	v_mov_b32_e32 v6, v12
	s_cbranch_scc1 .LBB31_1083
.LBB31_1084:
	s_and_not1_b32 vcc_lo, exec_lo, s6
	s_cbranch_vccnz .LBB31_1087
; %bb.1085:
	s_clause 0x1
	s_load_b128 s[4:7], s[16:17], 0x4
	s_load_b64 s[2:3], s[16:17], 0xc4
	s_cmp_lt_u32 s24, 2
	s_waitcnt lgkmcnt(0)
	v_mul_hi_u32 v2, s5, v1
	s_delay_alu instid0(VALU_DEP_1) | instskip(NEXT) | instid1(VALU_DEP_1)
	v_add_nc_u32_e32 v2, v1, v2
	v_lshrrev_b32_e32 v4, s6, v2
	s_delay_alu instid0(VALU_DEP_1) | instskip(NEXT) | instid1(VALU_DEP_1)
	v_mul_lo_u32 v2, v4, s4
	v_sub_nc_u32_e32 v1, v1, v2
	s_delay_alu instid0(VALU_DEP_1)
	v_mul_lo_u32 v2, v1, s2
	v_mul_lo_u32 v6, v1, s3
	s_cbranch_scc1 .LBB31_1087
; %bb.1086:
	s_clause 0x1
	s_load_b128 s[4:7], s[16:17], 0x10
	s_load_b64 s[2:3], s[16:17], 0xcc
	s_waitcnt lgkmcnt(0)
	v_mul_hi_u32 v1, s5, v4
	s_delay_alu instid0(VALU_DEP_1) | instskip(NEXT) | instid1(VALU_DEP_1)
	v_add_nc_u32_e32 v1, v4, v1
	v_lshrrev_b32_e32 v1, s6, v1
	s_delay_alu instid0(VALU_DEP_1) | instskip(NEXT) | instid1(VALU_DEP_1)
	v_mul_lo_u32 v1, v1, s4
	v_sub_nc_u32_e32 v9, v4, v1
	s_delay_alu instid0(VALU_DEP_1) | instskip(SKIP_2) | instid1(VALU_DEP_2)
	v_mad_u64_u32 v[4:5], null, v9, s2, v[2:3]
	s_waitcnt vmcnt(0)
	v_mad_u64_u32 v[1:2], null, v9, s3, v[6:7]
	v_mov_b32_e32 v2, v4
	s_delay_alu instid0(VALU_DEP_2)
	v_mov_b32_e32 v6, v1
.LBB31_1087:
	v_cmp_ne_u32_e32 vcc_lo, 1, v0
	v_add_nc_u32_e32 v4, 0x100, v8
	s_cbranch_vccnz .LBB31_1093
; %bb.1088:
	v_mov_b32_e32 v1, 0
	v_mov_b32_e32 v5, 0
	s_cmp_lg_u32 s24, 0
	s_mov_b32 s6, 0
	s_cbranch_scc0 .LBB31_1097
; %bb.1089:
	s_min_u32 s7, s25, 15
	v_mov_b32_e32 v1, 0
	s_add_i32 s7, s7, 1
	s_cmp_eq_u32 s25, 2
	s_mov_b32 s10, 0
	s_cbranch_scc1 .LBB31_1094
; %bb.1090:
	v_dual_mov_b32 v5, 0 :: v_dual_mov_b32 v8, v4
	v_mov_b32_e32 v1, 0
	s_add_u32 s2, s16, 0xc4
	s_addc_u32 s3, s17, 0
	s_and_b32 s10, s7, 28
	s_mov_b32 s11, 0
	s_mov_b64 s[4:5], s[16:17]
.LBB31_1091:                            ; =>This Inner Loop Header: Depth=1
	s_clause 0x1
	s_load_b256 s[36:43], s[4:5], 0x4
	s_load_b128 s[12:15], s[4:5], 0x24
	s_load_b256 s[44:51], s[2:3], 0x0
	s_add_u32 s4, s4, 48
	s_addc_u32 s5, s5, 0
	s_add_i32 s11, s11, 4
	s_add_u32 s2, s2, 32
	s_addc_u32 s3, s3, 0
	s_cmp_lg_u32 s10, s11
	s_waitcnt lgkmcnt(0)
	v_mul_hi_u32 v9, s37, v8
	s_delay_alu instid0(VALU_DEP_1) | instskip(NEXT) | instid1(VALU_DEP_1)
	v_add_nc_u32_e32 v9, v8, v9
	v_lshrrev_b32_e32 v9, s38, v9
	s_delay_alu instid0(VALU_DEP_1) | instskip(SKIP_1) | instid1(VALU_DEP_2)
	v_mul_hi_u32 v11, s40, v9
	v_mul_lo_u32 v13, v9, s36
	v_add_nc_u32_e32 v11, v9, v11
	s_delay_alu instid0(VALU_DEP_2) | instskip(NEXT) | instid1(VALU_DEP_2)
	v_sub_nc_u32_e32 v8, v8, v13
	v_lshrrev_b32_e32 v11, s41, v11
	s_delay_alu instid0(VALU_DEP_2) | instskip(SKIP_1) | instid1(VALU_DEP_3)
	v_mul_lo_u32 v13, v8, s44
	v_mul_lo_u32 v15, v8, s45
	v_mul_hi_u32 v12, s43, v11
	s_delay_alu instid0(VALU_DEP_1) | instskip(NEXT) | instid1(VALU_DEP_1)
	v_add_nc_u32_e32 v12, v11, v12
	v_lshrrev_b32_e32 v12, s12, v12
	s_delay_alu instid0(VALU_DEP_1) | instskip(SKIP_1) | instid1(VALU_DEP_2)
	v_mul_hi_u32 v14, s14, v12
	v_mul_lo_u32 v16, v12, s42
	v_add_nc_u32_e32 v8, v12, v14
	v_mul_lo_u32 v14, v11, s39
	s_delay_alu instid0(VALU_DEP_3) | instskip(NEXT) | instid1(VALU_DEP_3)
	v_sub_nc_u32_e32 v11, v11, v16
	v_lshrrev_b32_e32 v8, s15, v8
	s_delay_alu instid0(VALU_DEP_2) | instskip(SKIP_2) | instid1(VALU_DEP_4)
	v_mul_lo_u32 v16, v11, s48
	v_mul_lo_u32 v11, v11, s49
	v_sub_nc_u32_e32 v9, v9, v14
	v_mul_lo_u32 v17, v8, s13
	s_delay_alu instid0(VALU_DEP_2) | instskip(SKIP_1) | instid1(VALU_DEP_3)
	v_mul_lo_u32 v14, v9, s46
	v_mul_lo_u32 v9, v9, s47
	v_sub_nc_u32_e32 v12, v12, v17
	s_delay_alu instid0(VALU_DEP_3) | instskip(NEXT) | instid1(VALU_DEP_2)
	v_add3_u32 v1, v13, v1, v14
	v_mul_lo_u32 v17, v12, s50
	v_mul_lo_u32 v12, v12, s51
	v_add3_u32 v5, v15, v5, v9
	s_delay_alu instid0(VALU_DEP_3) | instskip(NEXT) | instid1(VALU_DEP_2)
	v_add3_u32 v1, v16, v1, v17
	v_add3_u32 v5, v11, v5, v12
	s_cbranch_scc1 .LBB31_1091
; %bb.1092:
	s_and_b32 s7, s7, 3
	s_delay_alu instid0(SALU_CYCLE_1)
	s_cmp_eq_u32 s7, 0
	s_cbranch_scc0 .LBB31_1095
	s_branch .LBB31_1097
.LBB31_1093:
	s_mov_b32 s6, -1
                                        ; implicit-def: $vgpr1
                                        ; implicit-def: $vgpr5
	s_branch .LBB31_1097
.LBB31_1094:
	v_dual_mov_b32 v8, v4 :: v_dual_mov_b32 v5, 0
	s_and_b32 s7, s7, 3
	s_delay_alu instid0(SALU_CYCLE_1)
	s_cmp_eq_u32 s7, 0
	s_cbranch_scc1 .LBB31_1097
.LBB31_1095:
	s_lshl_b32 s2, s10, 3
	s_mul_i32 s4, s10, 12
	s_add_u32 s2, s2, s16
	s_addc_u32 s3, 0, s17
	s_add_u32 s2, s2, 0xc4
	s_addc_u32 s3, s3, 0
	;; [unrolled: 2-line block ×3, first 2 shown]
	.p2align	6
.LBB31_1096:                            ; =>This Inner Loop Header: Depth=1
	s_clause 0x1
	s_load_b64 s[10:11], s[4:5], 0x4
	s_load_b32 s14, s[4:5], 0xc
	s_load_b64 s[12:13], s[2:3], 0x0
	s_add_u32 s4, s4, 12
	s_addc_u32 s5, s5, 0
	s_add_u32 s2, s2, 8
	s_addc_u32 s3, s3, 0
	s_add_i32 s7, s7, -1
	s_delay_alu instid0(SALU_CYCLE_1) | instskip(SKIP_2) | instid1(VALU_DEP_1)
	s_cmp_lg_u32 s7, 0
	s_waitcnt lgkmcnt(0)
	v_mul_hi_u32 v9, s11, v8
	v_add_nc_u32_e32 v9, v8, v9
	s_delay_alu instid0(VALU_DEP_1) | instskip(NEXT) | instid1(VALU_DEP_1)
	v_lshrrev_b32_e32 v9, s14, v9
	v_mul_lo_u32 v11, v9, s10
	s_delay_alu instid0(VALU_DEP_1) | instskip(NEXT) | instid1(VALU_DEP_1)
	v_sub_nc_u32_e32 v8, v8, v11
	v_mad_u64_u32 v[11:12], null, v8, s12, v[1:2]
	v_mad_u64_u32 v[12:13], null, v8, s13, v[5:6]
	s_delay_alu instid0(VALU_DEP_2) | instskip(NEXT) | instid1(VALU_DEP_2)
	v_dual_mov_b32 v8, v9 :: v_dual_mov_b32 v1, v11
	v_mov_b32_e32 v5, v12
	s_cbranch_scc1 .LBB31_1096
.LBB31_1097:
	s_and_not1_b32 vcc_lo, exec_lo, s6
	s_cbranch_vccnz .LBB31_1100
; %bb.1098:
	s_clause 0x1
	s_load_b128 s[4:7], s[16:17], 0x4
	s_load_b64 s[2:3], s[16:17], 0xc4
	s_cmp_lt_u32 s24, 2
	s_waitcnt lgkmcnt(0)
	v_mul_hi_u32 v1, s5, v4
	s_delay_alu instid0(VALU_DEP_1) | instskip(NEXT) | instid1(VALU_DEP_1)
	v_add_nc_u32_e32 v1, v4, v1
	v_lshrrev_b32_e32 v8, s6, v1
	s_delay_alu instid0(VALU_DEP_1) | instskip(NEXT) | instid1(VALU_DEP_1)
	v_mul_lo_u32 v1, v8, s4
	v_sub_nc_u32_e32 v4, v4, v1
	s_delay_alu instid0(VALU_DEP_1)
	v_mul_lo_u32 v1, v4, s2
	v_mul_lo_u32 v5, v4, s3
	s_cbranch_scc1 .LBB31_1100
; %bb.1099:
	s_clause 0x1
	s_load_b128 s[4:7], s[16:17], 0x10
	s_load_b64 s[2:3], s[16:17], 0xcc
	s_waitcnt lgkmcnt(0)
	v_mul_hi_u32 v4, s5, v8
	s_delay_alu instid0(VALU_DEP_1) | instskip(NEXT) | instid1(VALU_DEP_1)
	v_add_nc_u32_e32 v4, v8, v4
	v_lshrrev_b32_e32 v4, s6, v4
	s_delay_alu instid0(VALU_DEP_1) | instskip(NEXT) | instid1(VALU_DEP_1)
	v_mul_lo_u32 v4, v4, s4
	v_sub_nc_u32_e32 v4, v8, v4
	s_delay_alu instid0(VALU_DEP_1) | instskip(SKIP_1) | instid1(VALU_DEP_2)
	v_mad_u64_u32 v[8:9], null, v4, s2, v[1:2]
	v_mad_u64_u32 v[11:12], null, v4, s3, v[5:6]
	v_mov_b32_e32 v1, v8
	s_delay_alu instid0(VALU_DEP_2)
	v_mov_b32_e32 v5, v11
.LBB31_1100:
	v_cmp_ne_u32_e32 vcc_lo, 1, v0
	s_cbranch_vccnz .LBB31_1106
; %bb.1101:
	v_mov_b32_e32 v0, 0
	v_mov_b32_e32 v4, 0
	s_cmp_lg_u32 s24, 0
	s_mov_b32 s6, 0
	s_cbranch_scc0 .LBB31_1110
; %bb.1102:
	s_min_u32 s7, s25, 15
	v_mov_b32_e32 v0, 0
	s_add_i32 s7, s7, 1
	s_cmp_eq_u32 s25, 2
	s_mov_b32 s10, 0
	s_cbranch_scc1 .LBB31_1107
; %bb.1103:
	v_mov_b32_e32 v4, 0
	v_mov_b32_e32 v0, 0
	;; [unrolled: 1-line block ×3, first 2 shown]
	s_add_u32 s2, s16, 0xc4
	s_addc_u32 s3, s17, 0
	s_and_b32 s10, s7, 28
	s_mov_b32 s11, 0
	s_mov_b64 s[4:5], s[16:17]
.LBB31_1104:                            ; =>This Inner Loop Header: Depth=1
	s_clause 0x1
	s_load_b256 s[36:43], s[4:5], 0x4
	s_load_b128 s[12:15], s[4:5], 0x24
	s_load_b256 s[44:51], s[2:3], 0x0
	s_add_u32 s4, s4, 48
	s_addc_u32 s5, s5, 0
	s_add_i32 s11, s11, 4
	s_add_u32 s2, s2, 32
	s_addc_u32 s3, s3, 0
	s_cmp_lg_u32 s10, s11
	s_waitcnt lgkmcnt(0)
	v_mul_hi_u32 v9, s37, v8
	s_delay_alu instid0(VALU_DEP_1) | instskip(NEXT) | instid1(VALU_DEP_1)
	v_add_nc_u32_e32 v9, v8, v9
	v_lshrrev_b32_e32 v9, s38, v9
	s_delay_alu instid0(VALU_DEP_1) | instskip(SKIP_1) | instid1(VALU_DEP_2)
	v_mul_hi_u32 v11, s40, v9
	v_mul_lo_u32 v13, v9, s36
	v_add_nc_u32_e32 v11, v9, v11
	s_delay_alu instid0(VALU_DEP_2) | instskip(NEXT) | instid1(VALU_DEP_2)
	v_sub_nc_u32_e32 v8, v8, v13
	v_lshrrev_b32_e32 v11, s41, v11
	s_delay_alu instid0(VALU_DEP_2) | instskip(SKIP_1) | instid1(VALU_DEP_3)
	v_mul_lo_u32 v13, v8, s44
	v_mul_lo_u32 v15, v8, s45
	v_mul_hi_u32 v12, s43, v11
	s_delay_alu instid0(VALU_DEP_1) | instskip(NEXT) | instid1(VALU_DEP_1)
	v_add_nc_u32_e32 v12, v11, v12
	v_lshrrev_b32_e32 v12, s12, v12
	s_delay_alu instid0(VALU_DEP_1) | instskip(SKIP_1) | instid1(VALU_DEP_2)
	v_mul_hi_u32 v14, s14, v12
	v_mul_lo_u32 v16, v12, s42
	v_add_nc_u32_e32 v8, v12, v14
	v_mul_lo_u32 v14, v11, s39
	s_delay_alu instid0(VALU_DEP_3) | instskip(NEXT) | instid1(VALU_DEP_3)
	v_sub_nc_u32_e32 v11, v11, v16
	v_lshrrev_b32_e32 v8, s15, v8
	s_delay_alu instid0(VALU_DEP_2) | instskip(SKIP_2) | instid1(VALU_DEP_4)
	v_mul_lo_u32 v16, v11, s48
	v_mul_lo_u32 v11, v11, s49
	v_sub_nc_u32_e32 v9, v9, v14
	v_mul_lo_u32 v17, v8, s13
	s_delay_alu instid0(VALU_DEP_2) | instskip(SKIP_1) | instid1(VALU_DEP_3)
	v_mul_lo_u32 v14, v9, s46
	v_mul_lo_u32 v9, v9, s47
	v_sub_nc_u32_e32 v12, v12, v17
	s_delay_alu instid0(VALU_DEP_3) | instskip(NEXT) | instid1(VALU_DEP_2)
	v_add3_u32 v0, v13, v0, v14
	v_mul_lo_u32 v17, v12, s50
	v_mul_lo_u32 v12, v12, s51
	v_add3_u32 v4, v15, v4, v9
	s_delay_alu instid0(VALU_DEP_3) | instskip(NEXT) | instid1(VALU_DEP_2)
	v_add3_u32 v0, v16, v0, v17
	v_add3_u32 v4, v11, v4, v12
	s_cbranch_scc1 .LBB31_1104
; %bb.1105:
	s_and_b32 s7, s7, 3
	s_delay_alu instid0(SALU_CYCLE_1)
	s_cmp_eq_u32 s7, 0
	s_cbranch_scc0 .LBB31_1108
	s_branch .LBB31_1110
.LBB31_1106:
	s_mov_b32 s6, -1
                                        ; implicit-def: $vgpr0
                                        ; implicit-def: $vgpr4
	s_branch .LBB31_1110
.LBB31_1107:
	v_mov_b32_e32 v8, v10
	v_mov_b32_e32 v4, 0
	s_and_b32 s7, s7, 3
	s_delay_alu instid0(SALU_CYCLE_1)
	s_cmp_eq_u32 s7, 0
	s_cbranch_scc1 .LBB31_1110
.LBB31_1108:
	s_lshl_b32 s2, s10, 3
	s_mul_i32 s4, s10, 12
	s_add_u32 s2, s2, s16
	s_addc_u32 s3, 0, s17
	s_add_u32 s2, s2, 0xc4
	s_addc_u32 s3, s3, 0
	s_add_u32 s4, s16, s4
	s_addc_u32 s5, 0, s17
	.p2align	6
.LBB31_1109:                            ; =>This Inner Loop Header: Depth=1
	s_clause 0x1
	s_load_b64 s[10:11], s[4:5], 0x4
	s_load_b32 s14, s[4:5], 0xc
	s_load_b64 s[12:13], s[2:3], 0x0
	s_add_u32 s4, s4, 12
	s_addc_u32 s5, s5, 0
	s_add_u32 s2, s2, 8
	s_addc_u32 s3, s3, 0
	s_add_i32 s7, s7, -1
	s_delay_alu instid0(SALU_CYCLE_1) | instskip(SKIP_2) | instid1(VALU_DEP_1)
	s_cmp_lg_u32 s7, 0
	s_waitcnt lgkmcnt(0)
	v_mul_hi_u32 v9, s11, v8
	v_add_nc_u32_e32 v9, v8, v9
	s_delay_alu instid0(VALU_DEP_1) | instskip(NEXT) | instid1(VALU_DEP_1)
	v_lshrrev_b32_e32 v9, s14, v9
	v_mul_lo_u32 v11, v9, s10
	s_delay_alu instid0(VALU_DEP_1) | instskip(NEXT) | instid1(VALU_DEP_1)
	v_sub_nc_u32_e32 v8, v8, v11
	v_mad_u64_u32 v[11:12], null, v8, s12, v[0:1]
	v_mad_u64_u32 v[12:13], null, v8, s13, v[4:5]
	v_mov_b32_e32 v8, v9
	s_delay_alu instid0(VALU_DEP_3) | instskip(NEXT) | instid1(VALU_DEP_3)
	v_mov_b32_e32 v0, v11
	v_mov_b32_e32 v4, v12
	s_cbranch_scc1 .LBB31_1109
.LBB31_1110:
	s_and_not1_b32 vcc_lo, exec_lo, s6
	s_cbranch_vccnz .LBB31_1113
; %bb.1111:
	s_clause 0x1
	s_load_b128 s[4:7], s[16:17], 0x4
	s_load_b64 s[2:3], s[16:17], 0xc4
	s_cmp_lt_u32 s24, 2
	s_waitcnt lgkmcnt(0)
	v_mul_hi_u32 v0, s5, v10
	s_delay_alu instid0(VALU_DEP_1) | instskip(NEXT) | instid1(VALU_DEP_1)
	v_add_nc_u32_e32 v0, v10, v0
	v_lshrrev_b32_e32 v8, s6, v0
	s_delay_alu instid0(VALU_DEP_1) | instskip(NEXT) | instid1(VALU_DEP_1)
	v_mul_lo_u32 v0, v8, s4
	v_sub_nc_u32_e32 v4, v10, v0
	s_delay_alu instid0(VALU_DEP_1)
	v_mul_lo_u32 v0, v4, s2
	v_mul_lo_u32 v4, v4, s3
	s_cbranch_scc1 .LBB31_1113
; %bb.1112:
	s_clause 0x1
	s_load_b128 s[4:7], s[16:17], 0x10
	s_load_b64 s[2:3], s[16:17], 0xcc
	s_waitcnt lgkmcnt(0)
	v_mul_hi_u32 v9, s5, v8
	s_delay_alu instid0(VALU_DEP_1) | instskip(NEXT) | instid1(VALU_DEP_1)
	v_add_nc_u32_e32 v9, v8, v9
	v_lshrrev_b32_e32 v9, s6, v9
	s_delay_alu instid0(VALU_DEP_1) | instskip(NEXT) | instid1(VALU_DEP_1)
	v_mul_lo_u32 v9, v9, s4
	v_sub_nc_u32_e32 v11, v8, v9
	s_delay_alu instid0(VALU_DEP_1) | instskip(SKIP_1) | instid1(VALU_DEP_2)
	v_mad_u64_u32 v[8:9], null, v11, s2, v[0:1]
	v_mad_u64_u32 v[9:10], null, v11, s3, v[4:5]
	v_mov_b32_e32 v0, v8
	s_delay_alu instid0(VALU_DEP_2)
	v_mov_b32_e32 v4, v9
.LBB31_1113:
	s_clause 0x1
	s_load_b32 s0, s[0:1], 0x160
	s_load_b128 s[4:7], s[16:17], 0x148
	s_mov_b32 s3, 0
	s_waitcnt lgkmcnt(0)
	s_lshr_b32 s1, s0, 16
	s_delay_alu instid0(SALU_CYCLE_1) | instskip(SKIP_2) | instid1(VALU_DEP_1)
	v_and_b32_e64 v12, 0xff, s1
	s_waitcnt vmcnt(0)
	v_add_co_u32 v7, s1, s6, v7
	v_add_co_ci_u32_e64 v8, null, s7, 0, s1
	s_delay_alu instid0(VALU_DEP_3)
	v_cmp_gt_i16_e32 vcc_lo, 11, v12
	s_cbranch_vccnz .LBB31_1120
; %bb.1114:
	v_cmp_lt_i16_e32 vcc_lo, 25, v12
	s_mov_b32 s2, 0
	s_cbranch_vccz .LBB31_1126
; %bb.1115:
	v_cmp_lt_i16_e32 vcc_lo, 28, v12
	s_cbranch_vccz .LBB31_1128
; %bb.1116:
	v_cmp_lt_i16_e32 vcc_lo, 43, v12
	;; [unrolled: 3-line block ×3, first 2 shown]
	s_cbranch_vccz .LBB31_1134
; %bb.1118:
	v_cmp_eq_u16_e32 vcc_lo, 46, v12
	s_mov_b32 s10, 0
	s_cbranch_vccz .LBB31_1176
; %bb.1119:
	global_load_b32 v9, v[7:8], off
	s_mov_b32 s1, 0
	s_mov_b32 s3, -1
	s_waitcnt vmcnt(0)
	v_lshlrev_b32_e32 v9, 16, v9
	s_delay_alu instid0(VALU_DEP_1)
	v_cvt_i32_f32_e32 v11, v9
	s_branch .LBB31_1178
.LBB31_1120:
	s_mov_b32 s1, s8
                                        ; implicit-def: $vgpr11
	s_cbranch_execz .LBB31_1236
; %bb.1121:
	v_cmp_gt_i16_e32 vcc_lo, 5, v12
	s_cbranch_vccnz .LBB31_1127
; %bb.1122:
	v_cmp_gt_i16_e32 vcc_lo, 8, v12
	s_cbranch_vccnz .LBB31_1129
	;; [unrolled: 3-line block ×3, first 2 shown]
; %bb.1124:
	v_cmp_lt_i16_e32 vcc_lo, 9, v12
	s_cbranch_vccz .LBB31_1135
; %bb.1125:
	global_load_b64 v[9:10], v[7:8], off
	s_mov_b32 s2, 0
	s_waitcnt vmcnt(0)
	v_cvt_i32_f64_e32 v11, v[9:10]
	s_branch .LBB31_1136
.LBB31_1126:
	s_mov_b32 s1, 0
                                        ; implicit-def: $vgpr11
	s_cbranch_execnz .LBB31_1203
	s_branch .LBB31_1232
.LBB31_1127:
                                        ; implicit-def: $vgpr11
	s_branch .LBB31_1153
.LBB31_1128:
	s_mov_b32 s1, 0
                                        ; implicit-def: $vgpr11
	s_cbranch_execz .LBB31_1202
	s_branch .LBB31_1187
.LBB31_1129:
                                        ; implicit-def: $vgpr11
	s_branch .LBB31_1142
.LBB31_1130:
	s_mov_b32 s1, 0
                                        ; implicit-def: $vgpr11
	s_cbranch_execnz .LBB31_1183
	s_branch .LBB31_1186
.LBB31_1131:
	s_mov_b32 s2, -1
                                        ; implicit-def: $vgpr11
	s_branch .LBB31_1139
.LBB31_1132:
	s_cbranch_execnz .LBB31_1174
; %bb.1133:
	s_or_b32 s3, s3, exec_lo
	s_and_not1_b32 s8, s8, exec_lo
	s_or_b32 exec_lo, exec_lo, s2
	s_and_saveexec_b32 s2, s8
	s_delay_alu instid0(SALU_CYCLE_1)
	s_xor_b32 s2, exec_lo, s2
	s_cbranch_execnz .LBB31_1020
	s_branch .LBB31_1021
.LBB31_1134:
	s_mov_b32 s10, -1
	s_mov_b32 s1, 0
	s_branch .LBB31_1177
.LBB31_1135:
	s_mov_b32 s2, -1
                                        ; implicit-def: $vgpr11
.LBB31_1136:
	s_delay_alu instid0(SALU_CYCLE_1)
	s_and_not1_b32 vcc_lo, exec_lo, s2
	s_cbranch_vccnz .LBB31_1138
; %bb.1137:
	global_load_b32 v9, v[7:8], off
	s_waitcnt vmcnt(0)
	v_cvt_i32_f32_e32 v11, v9
.LBB31_1138:
	s_mov_b32 s2, 0
.LBB31_1139:
	s_delay_alu instid0(SALU_CYCLE_1)
	s_and_not1_b32 vcc_lo, exec_lo, s2
	s_cbranch_vccnz .LBB31_1141
; %bb.1140:
	global_load_b32 v9, v[7:8], off
	s_waitcnt vmcnt(0)
	v_cvt_f32_f16_e32 v9, v9
	s_delay_alu instid0(VALU_DEP_1)
	v_cvt_i32_f32_e32 v11, v9
.LBB31_1141:
	s_cbranch_execnz .LBB31_1152
.LBB31_1142:
	v_cmp_gt_i16_e32 vcc_lo, 6, v12
	s_cbranch_vccnz .LBB31_1145
; %bb.1143:
	v_cmp_lt_i16_e32 vcc_lo, 6, v12
	s_cbranch_vccz .LBB31_1146
; %bb.1144:
	global_load_b64 v[9:10], v[7:8], off
	s_mov_b32 s2, 0
	s_waitcnt vmcnt(0)
	v_cvt_i32_f64_e32 v11, v[9:10]
	s_branch .LBB31_1147
.LBB31_1145:
	s_mov_b32 s2, -1
                                        ; implicit-def: $vgpr11
	s_branch .LBB31_1150
.LBB31_1146:
	s_mov_b32 s2, -1
                                        ; implicit-def: $vgpr11
.LBB31_1147:
	s_delay_alu instid0(SALU_CYCLE_1)
	s_and_not1_b32 vcc_lo, exec_lo, s2
	s_cbranch_vccnz .LBB31_1149
; %bb.1148:
	global_load_b32 v9, v[7:8], off
	s_waitcnt vmcnt(0)
	v_cvt_i32_f32_e32 v11, v9
.LBB31_1149:
	s_mov_b32 s2, 0
.LBB31_1150:
	s_delay_alu instid0(SALU_CYCLE_1)
	s_and_not1_b32 vcc_lo, exec_lo, s2
	s_cbranch_vccnz .LBB31_1152
; %bb.1151:
	global_load_u16 v9, v[7:8], off
	s_waitcnt vmcnt(0)
	v_cvt_f32_f16_e32 v9, v9
	s_delay_alu instid0(VALU_DEP_1)
	v_cvt_i32_f32_e32 v11, v9
.LBB31_1152:
	s_cbranch_execnz .LBB31_1171
.LBB31_1153:
	v_cmp_gt_i16_e32 vcc_lo, 2, v12
	s_cbranch_vccnz .LBB31_1157
; %bb.1154:
	v_cmp_gt_i16_e32 vcc_lo, 3, v12
	s_cbranch_vccnz .LBB31_1158
; %bb.1155:
	v_cmp_lt_i16_e32 vcc_lo, 3, v12
	s_cbranch_vccz .LBB31_1159
; %bb.1156:
	global_load_b32 v11, v[7:8], off
	s_mov_b32 s2, 0
	s_branch .LBB31_1160
.LBB31_1157:
                                        ; implicit-def: $vgpr11
	s_branch .LBB31_1166
.LBB31_1158:
	s_mov_b32 s2, -1
                                        ; implicit-def: $vgpr11
	s_branch .LBB31_1163
.LBB31_1159:
	s_mov_b32 s2, -1
                                        ; implicit-def: $vgpr11
.LBB31_1160:
	s_delay_alu instid0(SALU_CYCLE_1)
	s_and_not1_b32 vcc_lo, exec_lo, s2
	s_cbranch_vccnz .LBB31_1162
; %bb.1161:
	global_load_b32 v11, v[7:8], off
.LBB31_1162:
	s_mov_b32 s2, 0
.LBB31_1163:
	s_delay_alu instid0(SALU_CYCLE_1)
	s_and_not1_b32 vcc_lo, exec_lo, s2
	s_cbranch_vccnz .LBB31_1165
; %bb.1164:
	global_load_i16 v11, v[7:8], off
.LBB31_1165:
	s_cbranch_execnz .LBB31_1171
.LBB31_1166:
	v_cmp_lt_i16_e32 vcc_lo, 0, v12
	s_mov_b32 s2, 0
	s_cbranch_vccz .LBB31_1168
; %bb.1167:
	global_load_i8 v11, v[7:8], off
	s_branch .LBB31_1169
.LBB31_1168:
	s_mov_b32 s2, -1
                                        ; implicit-def: $vgpr11
.LBB31_1169:
	s_delay_alu instid0(SALU_CYCLE_1)
	s_and_not1_b32 vcc_lo, exec_lo, s2
	s_cbranch_vccnz .LBB31_1171
; %bb.1170:
	global_load_u8 v11, v[7:8], off
.LBB31_1171:
	s_branch .LBB31_1237
.LBB31_1172:
	s_trap 2
	s_sendmsg_rtn_b32 s0, sendmsg(MSG_RTN_GET_DOORBELL)
	s_mov_b32 ttmp2, m0
	s_waitcnt lgkmcnt(0)
	s_and_b32 s0, s0, 0x3ff
	s_delay_alu instid0(SALU_CYCLE_1) | instskip(NEXT) | instid1(SALU_CYCLE_1)
	s_bitset1_b32 s0, 10
	s_mov_b32 m0, s0
	s_sendmsg sendmsg(MSG_INTERRUPT)
	s_mov_b32 m0, ttmp2
.LBB31_1173:                            ; =>This Inner Loop Header: Depth=1
	s_sethalt 5
	s_branch .LBB31_1173
.LBB31_1174:
	s_trap 2
	s_sendmsg_rtn_b32 s0, sendmsg(MSG_RTN_GET_DOORBELL)
	s_mov_b32 ttmp2, m0
	s_waitcnt lgkmcnt(0)
	s_and_b32 s0, s0, 0x3ff
	s_delay_alu instid0(SALU_CYCLE_1) | instskip(NEXT) | instid1(SALU_CYCLE_1)
	s_bitset1_b32 s0, 10
	s_mov_b32 m0, s0
	s_sendmsg sendmsg(MSG_INTERRUPT)
	s_mov_b32 m0, ttmp2
.LBB31_1175:                            ; =>This Inner Loop Header: Depth=1
	s_sethalt 5
	s_branch .LBB31_1175
.LBB31_1176:
	s_mov_b32 s1, -1
.LBB31_1177:
                                        ; implicit-def: $vgpr11
.LBB31_1178:
	s_and_b32 vcc_lo, exec_lo, s10
	s_cbranch_vccz .LBB31_1181
; %bb.1179:
	v_cmp_eq_u16_e32 vcc_lo, 44, v12
	s_cbranch_vccz .LBB31_1182
; %bb.1180:
	global_load_u8 v9, v[7:8], off
	s_mov_b32 s1, 0
	s_mov_b32 s3, -1
	s_waitcnt vmcnt(0)
	v_lshlrev_b32_e32 v10, 23, v9
	v_cmp_ne_u32_e32 vcc_lo, 0, v9
	s_delay_alu instid0(VALU_DEP_2) | instskip(NEXT) | instid1(VALU_DEP_1)
	v_cvt_i32_f32_e32 v10, v10
	v_cndmask_b32_e32 v11, 0, v10, vcc_lo
.LBB31_1181:
	s_branch .LBB31_1186
.LBB31_1182:
	s_mov_b32 s1, -1
                                        ; implicit-def: $vgpr11
	s_branch .LBB31_1186
.LBB31_1183:
	v_cmp_eq_u16_e32 vcc_lo, 29, v12
	s_cbranch_vccz .LBB31_1185
; %bb.1184:
	global_load_b32 v11, v[7:8], off
	s_mov_b32 s1, 0
	s_mov_b32 s3, -1
	s_branch .LBB31_1186
.LBB31_1185:
	s_mov_b32 s1, -1
                                        ; implicit-def: $vgpr11
.LBB31_1186:
	s_branch .LBB31_1202
.LBB31_1187:
	v_cmp_gt_i16_e32 vcc_lo, 27, v12
	s_cbranch_vccnz .LBB31_1190
; %bb.1188:
	v_cmp_lt_i16_e32 vcc_lo, 27, v12
	s_cbranch_vccz .LBB31_1191
; %bb.1189:
	global_load_b32 v11, v[7:8], off
	s_mov_b32 s3, 0
	s_branch .LBB31_1192
.LBB31_1190:
	s_mov_b32 s3, -1
                                        ; implicit-def: $vgpr11
	s_branch .LBB31_1195
.LBB31_1191:
	s_mov_b32 s3, -1
                                        ; implicit-def: $vgpr11
.LBB31_1192:
	s_delay_alu instid0(SALU_CYCLE_1)
	s_and_not1_b32 vcc_lo, exec_lo, s3
	s_cbranch_vccnz .LBB31_1194
; %bb.1193:
	global_load_u16 v11, v[7:8], off
.LBB31_1194:
	s_mov_b32 s3, 0
.LBB31_1195:
	s_delay_alu instid0(SALU_CYCLE_1)
	s_and_not1_b32 vcc_lo, exec_lo, s3
	s_cbranch_vccnz .LBB31_1201
; %bb.1196:
	global_load_u8 v9, v[7:8], off
	s_mov_b32 s3, 0
	s_mov_b32 s10, exec_lo
                                        ; implicit-def: $sgpr11
	s_waitcnt vmcnt(0)
	v_cmpx_lt_i16_e32 0x7f, v9
	s_xor_b32 s10, exec_lo, s10
	s_cbranch_execz .LBB31_1212
; %bb.1197:
	v_cmp_ne_u16_e32 vcc_lo, 0x80, v9
	s_mov_b32 s11, 0
	s_and_b32 s3, vcc_lo, exec_lo
	s_or_saveexec_b32 s10, s10
	v_mov_b32_e32 v11, s11
	s_xor_b32 exec_lo, exec_lo, s10
	s_cbranch_execnz .LBB31_1213
.LBB31_1198:
	s_or_b32 exec_lo, exec_lo, s10
	s_and_saveexec_b32 s10, s3
	s_cbranch_execz .LBB31_1200
.LBB31_1199:
	v_and_b32_e32 v10, 0xffff, v9
	v_lshlrev_b32_e32 v9, 24, v9
	s_delay_alu instid0(VALU_DEP_2) | instskip(NEXT) | instid1(VALU_DEP_2)
	v_and_b32_e32 v11, 7, v10
	v_and_b32_e32 v9, 0x80000000, v9
	s_delay_alu instid0(VALU_DEP_2) | instskip(NEXT) | instid1(VALU_DEP_1)
	v_clz_i32_u32_e32 v13, v11
	v_min_u32_e32 v13, 32, v13
	s_delay_alu instid0(VALU_DEP_1) | instskip(SKIP_1) | instid1(VALU_DEP_2)
	v_subrev_nc_u32_e32 v14, 28, v13
	v_sub_nc_u32_e32 v13, 29, v13
	v_lshlrev_b32_e32 v14, v14, v10
	v_bfe_u32 v10, v10, 3, 4
	s_delay_alu instid0(VALU_DEP_2) | instskip(NEXT) | instid1(VALU_DEP_2)
	v_and_b32_e32 v14, 7, v14
	v_cmp_eq_u32_e32 vcc_lo, 0, v10
	s_delay_alu instid0(VALU_DEP_2) | instskip(NEXT) | instid1(VALU_DEP_1)
	v_dual_cndmask_b32 v10, v10, v13 :: v_dual_cndmask_b32 v11, v11, v14
	v_lshl_add_u32 v10, v10, 23, 0x3b800000
	s_delay_alu instid0(VALU_DEP_2) | instskip(NEXT) | instid1(VALU_DEP_1)
	v_lshlrev_b32_e32 v11, 20, v11
	v_or3_b32 v9, v9, v10, v11
	s_delay_alu instid0(VALU_DEP_1)
	v_cvt_i32_f32_e32 v11, v9
.LBB31_1200:
	s_or_b32 exec_lo, exec_lo, s10
.LBB31_1201:
	s_mov_b32 s3, -1
.LBB31_1202:
	s_branch .LBB31_1232
.LBB31_1203:
	v_cmp_lt_i16_e32 vcc_lo, 22, v12
	s_cbranch_vccz .LBB31_1211
; %bb.1204:
	v_cmp_gt_i16_e32 vcc_lo, 24, v12
	s_cbranch_vccnz .LBB31_1214
; %bb.1205:
	v_cmp_lt_i16_e32 vcc_lo, 24, v12
	s_cbranch_vccz .LBB31_1215
; %bb.1206:
	global_load_u8 v9, v[7:8], off
	s_mov_b32 s3, exec_lo
                                        ; implicit-def: $sgpr10
	s_waitcnt vmcnt(0)
	v_cmpx_lt_i16_e32 0x7f, v9
	s_xor_b32 s3, exec_lo, s3
	s_cbranch_execz .LBB31_1226
; %bb.1207:
	v_cmp_ne_u16_e32 vcc_lo, 0x80, v9
	s_mov_b32 s10, 0
	s_and_b32 s2, vcc_lo, exec_lo
	s_or_saveexec_b32 s3, s3
	v_mov_b32_e32 v11, s10
	s_xor_b32 exec_lo, exec_lo, s3
	s_cbranch_execnz .LBB31_1227
.LBB31_1208:
	s_or_b32 exec_lo, exec_lo, s3
	s_and_saveexec_b32 s3, s2
	s_cbranch_execz .LBB31_1210
.LBB31_1209:
	v_and_b32_e32 v10, 0xffff, v9
	v_lshlrev_b32_e32 v9, 24, v9
	s_delay_alu instid0(VALU_DEP_2) | instskip(NEXT) | instid1(VALU_DEP_2)
	v_and_b32_e32 v11, 3, v10
	v_and_b32_e32 v9, 0x80000000, v9
	s_delay_alu instid0(VALU_DEP_2) | instskip(NEXT) | instid1(VALU_DEP_1)
	v_clz_i32_u32_e32 v13, v11
	v_min_u32_e32 v13, 32, v13
	s_delay_alu instid0(VALU_DEP_1) | instskip(SKIP_1) | instid1(VALU_DEP_2)
	v_subrev_nc_u32_e32 v14, 29, v13
	v_sub_nc_u32_e32 v13, 30, v13
	v_lshlrev_b32_e32 v14, v14, v10
	v_bfe_u32 v10, v10, 2, 5
	s_delay_alu instid0(VALU_DEP_2) | instskip(NEXT) | instid1(VALU_DEP_2)
	v_and_b32_e32 v14, 3, v14
	v_cmp_eq_u32_e32 vcc_lo, 0, v10
	s_delay_alu instid0(VALU_DEP_2) | instskip(NEXT) | instid1(VALU_DEP_1)
	v_dual_cndmask_b32 v10, v10, v13 :: v_dual_cndmask_b32 v11, v11, v14
	v_lshl_add_u32 v10, v10, 23, 0x37800000
	s_delay_alu instid0(VALU_DEP_2) | instskip(NEXT) | instid1(VALU_DEP_1)
	v_lshlrev_b32_e32 v11, 21, v11
	v_or3_b32 v9, v9, v10, v11
	s_delay_alu instid0(VALU_DEP_1)
	v_cvt_i32_f32_e32 v11, v9
.LBB31_1210:
	s_or_b32 exec_lo, exec_lo, s3
	s_mov_b32 s2, 0
	s_branch .LBB31_1216
.LBB31_1211:
                                        ; implicit-def: $vgpr11
	s_mov_b32 s2, 0
	s_branch .LBB31_1222
.LBB31_1212:
	s_or_saveexec_b32 s10, s10
	v_mov_b32_e32 v11, s11
	s_xor_b32 exec_lo, exec_lo, s10
	s_cbranch_execz .LBB31_1198
.LBB31_1213:
	v_cmp_ne_u16_e32 vcc_lo, 0, v9
	v_mov_b32_e32 v11, 0
	s_and_not1_b32 s3, s3, exec_lo
	s_and_b32 s11, vcc_lo, exec_lo
	s_delay_alu instid0(SALU_CYCLE_1)
	s_or_b32 s3, s3, s11
	s_or_b32 exec_lo, exec_lo, s10
	s_and_saveexec_b32 s10, s3
	s_cbranch_execnz .LBB31_1199
	s_branch .LBB31_1200
.LBB31_1214:
	s_mov_b32 s2, -1
                                        ; implicit-def: $vgpr11
	s_branch .LBB31_1219
.LBB31_1215:
	s_mov_b32 s2, -1
                                        ; implicit-def: $vgpr11
.LBB31_1216:
	s_delay_alu instid0(SALU_CYCLE_1)
	s_and_b32 vcc_lo, exec_lo, s2
	s_cbranch_vccz .LBB31_1218
; %bb.1217:
	global_load_u8 v9, v[7:8], off
	s_waitcnt vmcnt(0)
	v_lshlrev_b32_e32 v9, 24, v9
	s_delay_alu instid0(VALU_DEP_1) | instskip(NEXT) | instid1(VALU_DEP_1)
	v_and_b32_e32 v10, 0x7f000000, v9
	v_clz_i32_u32_e32 v11, v10
	v_add_nc_u32_e32 v14, 0x1000000, v10
	v_cmp_ne_u32_e32 vcc_lo, 0, v10
	s_delay_alu instid0(VALU_DEP_3) | instskip(NEXT) | instid1(VALU_DEP_1)
	v_min_u32_e32 v11, 32, v11
	v_sub_nc_u32_e64 v11, v11, 4 clamp
	s_delay_alu instid0(VALU_DEP_1) | instskip(SKIP_1) | instid1(VALU_DEP_2)
	v_lshlrev_b32_e32 v13, v11, v10
	v_lshlrev_b32_e32 v11, 23, v11
	v_lshrrev_b32_e32 v13, 4, v13
	s_delay_alu instid0(VALU_DEP_1) | instskip(SKIP_1) | instid1(VALU_DEP_2)
	v_sub_nc_u32_e32 v11, v13, v11
	v_ashrrev_i32_e32 v13, 8, v14
	v_add_nc_u32_e32 v11, 0x3c000000, v11
	s_delay_alu instid0(VALU_DEP_1) | instskip(NEXT) | instid1(VALU_DEP_1)
	v_and_or_b32 v11, 0x7f800000, v13, v11
	v_cndmask_b32_e32 v10, 0, v11, vcc_lo
	s_delay_alu instid0(VALU_DEP_1) | instskip(NEXT) | instid1(VALU_DEP_1)
	v_and_or_b32 v9, 0x80000000, v9, v10
	v_cvt_i32_f32_e32 v11, v9
.LBB31_1218:
	s_mov_b32 s2, 0
.LBB31_1219:
	s_delay_alu instid0(SALU_CYCLE_1)
	s_and_not1_b32 vcc_lo, exec_lo, s2
	s_cbranch_vccnz .LBB31_1221
; %bb.1220:
	global_load_u8 v9, v[7:8], off
	s_waitcnt vmcnt(0)
	v_lshlrev_b32_e32 v10, 25, v9
	v_lshlrev_b16 v9, 8, v9
	s_delay_alu instid0(VALU_DEP_2) | instskip(NEXT) | instid1(VALU_DEP_2)
	v_lshrrev_b32_e32 v11, 4, v10
	v_and_or_b32 v13, 0x7f00, v9, 0.5
	v_bfe_i32 v9, v9, 0, 16
	s_delay_alu instid0(VALU_DEP_3) | instskip(NEXT) | instid1(VALU_DEP_3)
	v_or_b32_e32 v11, 0x70000000, v11
	v_add_f32_e32 v13, -0.5, v13
	s_delay_alu instid0(VALU_DEP_2) | instskip(SKIP_1) | instid1(VALU_DEP_2)
	v_mul_f32_e32 v11, 0x7800000, v11
	v_cmp_gt_u32_e32 vcc_lo, 0x8000000, v10
	v_cndmask_b32_e32 v10, v11, v13, vcc_lo
	s_delay_alu instid0(VALU_DEP_1) | instskip(NEXT) | instid1(VALU_DEP_1)
	v_and_or_b32 v9, 0x80000000, v9, v10
	v_cvt_i32_f32_e32 v11, v9
.LBB31_1221:
	s_mov_b32 s3, -1
	s_mov_b32 s2, 0
	s_cbranch_execnz .LBB31_1232
.LBB31_1222:
	v_cmp_lt_i16_e32 vcc_lo, 14, v12
	s_cbranch_vccz .LBB31_1225
; %bb.1223:
	v_cmp_eq_u16_e32 vcc_lo, 15, v12
	s_cbranch_vccz .LBB31_1228
; %bb.1224:
	global_load_u16 v9, v[7:8], off
	s_mov_b32 s1, 0
	s_mov_b32 s3, -1
	s_waitcnt vmcnt(0)
	v_lshlrev_b32_e32 v9, 16, v9
	s_delay_alu instid0(VALU_DEP_1)
	v_cvt_i32_f32_e32 v11, v9
	s_branch .LBB31_1230
.LBB31_1225:
	s_mov_b32 s2, -1
	s_branch .LBB31_1229
.LBB31_1226:
	s_or_saveexec_b32 s3, s3
	v_mov_b32_e32 v11, s10
	s_xor_b32 exec_lo, exec_lo, s3
	s_cbranch_execz .LBB31_1208
.LBB31_1227:
	v_cmp_ne_u16_e32 vcc_lo, 0, v9
	v_mov_b32_e32 v11, 0
	s_and_not1_b32 s2, s2, exec_lo
	s_and_b32 s10, vcc_lo, exec_lo
	s_delay_alu instid0(SALU_CYCLE_1)
	s_or_b32 s2, s2, s10
	s_or_b32 exec_lo, exec_lo, s3
	s_and_saveexec_b32 s3, s2
	s_cbranch_execnz .LBB31_1209
	s_branch .LBB31_1210
.LBB31_1228:
	s_mov_b32 s1, -1
.LBB31_1229:
                                        ; implicit-def: $vgpr11
.LBB31_1230:
	s_and_b32 vcc_lo, exec_lo, s2
	s_mov_b32 s2, 0
	s_cbranch_vccz .LBB31_1232
; %bb.1231:
	v_cmp_ne_u16_e64 s1, 11, v12
	s_mov_b32 s2, -1
                                        ; implicit-def: $vgpr11
.LBB31_1232:
	s_delay_alu instid0(VALU_DEP_1)
	s_and_b32 vcc_lo, exec_lo, s1
	s_mov_b32 s1, s8
	s_cbranch_vccnz .LBB31_1256
; %bb.1233:
	s_and_not1_b32 vcc_lo, exec_lo, s2
	s_cbranch_vccnz .LBB31_1235
.LBB31_1234:
	global_load_u8 v9, v[7:8], off
	s_mov_b32 s3, -1
	s_waitcnt vmcnt(0)
	v_cmp_ne_u16_e32 vcc_lo, 0, v9
	v_cndmask_b32_e64 v11, 0, 1, vcc_lo
.LBB31_1235:
.LBB31_1236:
	s_and_not1_b32 vcc_lo, exec_lo, s3
	s_cbranch_vccnz .LBB31_1430
.LBB31_1237:
	v_cmp_gt_i16_e32 vcc_lo, 11, v12
	v_add_co_u32 v6, s2, s6, v6
	s_delay_alu instid0(VALU_DEP_1)
	v_add_co_ci_u32_e64 v7, null, s7, 0, s2
	s_mov_b32 s10, 0
	s_cbranch_vccnz .LBB31_1244
; %bb.1238:
	v_cmp_lt_i16_e32 vcc_lo, 25, v12
	s_mov_b32 s3, 0
	s_cbranch_vccz .LBB31_1250
; %bb.1239:
	v_cmp_lt_i16_e32 vcc_lo, 28, v12
	s_cbranch_vccz .LBB31_1252
; %bb.1240:
	v_cmp_lt_i16_e32 vcc_lo, 43, v12
	;; [unrolled: 3-line block ×3, first 2 shown]
	s_cbranch_vccz .LBB31_1260
; %bb.1242:
	v_cmp_eq_u16_e32 vcc_lo, 46, v12
	s_mov_b32 s11, 0
	s_cbranch_vccz .LBB31_1304
; %bb.1243:
	global_load_b32 v8, v[6:7], off
	s_mov_b32 s2, 0
	s_mov_b32 s10, -1
	s_waitcnt vmcnt(0)
	v_lshlrev_b32_e32 v8, 16, v8
	s_delay_alu instid0(VALU_DEP_1)
	v_cvt_i32_f32_e32 v10, v8
	s_branch .LBB31_1306
.LBB31_1244:
                                        ; implicit-def: $vgpr10
	s_cbranch_execz .LBB31_1367
; %bb.1245:
	v_cmp_gt_i16_e32 vcc_lo, 5, v12
	s_cbranch_vccnz .LBB31_1251
; %bb.1246:
	v_cmp_gt_i16_e32 vcc_lo, 8, v12
	s_cbranch_vccnz .LBB31_1253
	;; [unrolled: 3-line block ×3, first 2 shown]
; %bb.1248:
	v_cmp_lt_i16_e32 vcc_lo, 9, v12
	s_cbranch_vccz .LBB31_1261
; %bb.1249:
	global_load_b64 v[8:9], v[6:7], off
	s_mov_b32 s2, 0
	s_waitcnt vmcnt(0)
	v_cvt_i32_f64_e32 v10, v[8:9]
	s_branch .LBB31_1262
.LBB31_1250:
	s_mov_b32 s2, 0
                                        ; implicit-def: $vgpr10
	s_cbranch_execnz .LBB31_1333
	s_branch .LBB31_1363
.LBB31_1251:
                                        ; implicit-def: $vgpr10
	s_branch .LBB31_1280
.LBB31_1252:
	s_mov_b32 s11, -1
	s_mov_b32 s2, 0
                                        ; implicit-def: $vgpr10
	s_branch .LBB31_1316
.LBB31_1253:
	s_mov_b32 s2, -1
                                        ; implicit-def: $vgpr10
	s_branch .LBB31_1268
.LBB31_1254:
	s_mov_b32 s11, -1
	s_mov_b32 s2, 0
                                        ; implicit-def: $vgpr10
	s_branch .LBB31_1311
.LBB31_1255:
	s_mov_b32 s2, -1
                                        ; implicit-def: $vgpr10
	s_branch .LBB31_1265
.LBB31_1256:
	s_cbranch_execnz .LBB31_1300
; %bb.1257:
	s_or_b32 s1, s8, exec_lo
                                        ; implicit-def: $vgpr11
	s_cbranch_execz .LBB31_1234
	s_branch .LBB31_1235
.LBB31_1258:
	s_or_saveexec_b32 s7, s7
                                        ; implicit-def: $sgpr8
	s_delay_alu instid0(SALU_CYCLE_1)
	s_xor_b32 exec_lo, exec_lo, s7
	s_cbranch_execz .LBB31_971
.LBB31_1259:
	v_add_f32_e64 v2, 0x46000000, |v0|
	s_and_not1_b32 s5, s5, exec_lo
	s_mov_b32 s8, 0
	s_delay_alu instid0(VALU_DEP_1) | instskip(NEXT) | instid1(VALU_DEP_1)
	v_and_b32_e32 v2, 0xff, v2
	v_cmp_ne_u32_e32 vcc_lo, 0, v2
	s_and_b32 s9, vcc_lo, exec_lo
	s_delay_alu instid0(SALU_CYCLE_1)
	s_or_b32 s5, s5, s9
	s_or_b32 exec_lo, exec_lo, s7
	v_mov_b32_e32 v5, s8
	s_and_saveexec_b32 s7, s5
	s_cbranch_execnz .LBB31_972
	s_branch .LBB31_973
.LBB31_1260:
	s_mov_b32 s11, -1
	s_mov_b32 s2, 0
	s_branch .LBB31_1305
.LBB31_1261:
	s_mov_b32 s2, -1
                                        ; implicit-def: $vgpr10
.LBB31_1262:
	s_delay_alu instid0(SALU_CYCLE_1)
	s_and_not1_b32 vcc_lo, exec_lo, s2
	s_cbranch_vccnz .LBB31_1264
; %bb.1263:
	global_load_b32 v8, v[6:7], off
	s_waitcnt vmcnt(0)
	v_cvt_i32_f32_e32 v10, v8
.LBB31_1264:
	s_mov_b32 s2, 0
.LBB31_1265:
	s_delay_alu instid0(SALU_CYCLE_1)
	s_and_not1_b32 vcc_lo, exec_lo, s2
	s_cbranch_vccnz .LBB31_1267
; %bb.1266:
	global_load_b32 v8, v[6:7], off
	s_waitcnt vmcnt(0)
	v_cvt_f32_f16_e32 v8, v8
	s_delay_alu instid0(VALU_DEP_1)
	v_cvt_i32_f32_e32 v10, v8
.LBB31_1267:
	s_mov_b32 s2, 0
.LBB31_1268:
	s_delay_alu instid0(SALU_CYCLE_1)
	s_and_not1_b32 vcc_lo, exec_lo, s2
	s_cbranch_vccnz .LBB31_1279
; %bb.1269:
	v_cmp_gt_i16_e32 vcc_lo, 6, v12
	s_cbranch_vccnz .LBB31_1272
; %bb.1270:
	v_cmp_lt_i16_e32 vcc_lo, 6, v12
	s_cbranch_vccz .LBB31_1273
; %bb.1271:
	global_load_b64 v[8:9], v[6:7], off
	s_mov_b32 s2, 0
	s_waitcnt vmcnt(0)
	v_cvt_i32_f64_e32 v10, v[8:9]
	s_branch .LBB31_1274
.LBB31_1272:
	s_mov_b32 s2, -1
                                        ; implicit-def: $vgpr10
	s_branch .LBB31_1277
.LBB31_1273:
	s_mov_b32 s2, -1
                                        ; implicit-def: $vgpr10
.LBB31_1274:
	s_delay_alu instid0(SALU_CYCLE_1)
	s_and_not1_b32 vcc_lo, exec_lo, s2
	s_cbranch_vccnz .LBB31_1276
; %bb.1275:
	global_load_b32 v8, v[6:7], off
	s_waitcnt vmcnt(0)
	v_cvt_i32_f32_e32 v10, v8
.LBB31_1276:
	s_mov_b32 s2, 0
.LBB31_1277:
	s_delay_alu instid0(SALU_CYCLE_1)
	s_and_not1_b32 vcc_lo, exec_lo, s2
	s_cbranch_vccnz .LBB31_1279
; %bb.1278:
	global_load_u16 v8, v[6:7], off
	s_waitcnt vmcnt(0)
	v_cvt_f32_f16_e32 v8, v8
	s_delay_alu instid0(VALU_DEP_1)
	v_cvt_i32_f32_e32 v10, v8
.LBB31_1279:
	s_cbranch_execnz .LBB31_1299
.LBB31_1280:
	v_cmp_gt_i16_e32 vcc_lo, 2, v12
	s_cbranch_vccnz .LBB31_1284
; %bb.1281:
	v_cmp_gt_i16_e32 vcc_lo, 3, v12
	s_cbranch_vccnz .LBB31_1285
; %bb.1282:
	v_cmp_lt_i16_e32 vcc_lo, 3, v12
	s_cbranch_vccz .LBB31_1286
; %bb.1283:
	global_load_b32 v10, v[6:7], off
	s_mov_b32 s2, 0
	s_branch .LBB31_1287
.LBB31_1284:
	s_mov_b32 s2, -1
                                        ; implicit-def: $vgpr10
	s_branch .LBB31_1293
.LBB31_1285:
	s_mov_b32 s2, -1
                                        ; implicit-def: $vgpr10
	s_branch .LBB31_1290
.LBB31_1286:
	s_mov_b32 s2, -1
                                        ; implicit-def: $vgpr10
.LBB31_1287:
	s_delay_alu instid0(SALU_CYCLE_1)
	s_and_not1_b32 vcc_lo, exec_lo, s2
	s_cbranch_vccnz .LBB31_1289
; %bb.1288:
	global_load_b32 v10, v[6:7], off
.LBB31_1289:
	s_mov_b32 s2, 0
.LBB31_1290:
	s_delay_alu instid0(SALU_CYCLE_1)
	s_and_not1_b32 vcc_lo, exec_lo, s2
	s_cbranch_vccnz .LBB31_1292
; %bb.1291:
	global_load_i16 v10, v[6:7], off
.LBB31_1292:
	s_mov_b32 s2, 0
.LBB31_1293:
	s_delay_alu instid0(SALU_CYCLE_1)
	s_and_not1_b32 vcc_lo, exec_lo, s2
	s_cbranch_vccnz .LBB31_1299
; %bb.1294:
	v_cmp_lt_i16_e32 vcc_lo, 0, v12
	s_mov_b32 s2, 0
	s_cbranch_vccz .LBB31_1296
; %bb.1295:
	global_load_i8 v10, v[6:7], off
	s_branch .LBB31_1297
.LBB31_1296:
	s_mov_b32 s2, -1
                                        ; implicit-def: $vgpr10
.LBB31_1297:
	s_delay_alu instid0(SALU_CYCLE_1)
	s_and_not1_b32 vcc_lo, exec_lo, s2
	s_cbranch_vccnz .LBB31_1299
; %bb.1298:
	global_load_u8 v10, v[6:7], off
.LBB31_1299:
	s_branch .LBB31_1368
.LBB31_1300:
	s_trap 2
	s_sendmsg_rtn_b32 s0, sendmsg(MSG_RTN_GET_DOORBELL)
	s_mov_b32 ttmp2, m0
	s_waitcnt lgkmcnt(0)
	s_and_b32 s0, s0, 0x3ff
	s_delay_alu instid0(SALU_CYCLE_1) | instskip(NEXT) | instid1(SALU_CYCLE_1)
	s_bitset1_b32 s0, 10
	s_mov_b32 m0, s0
	s_sendmsg sendmsg(MSG_INTERRUPT)
	s_mov_b32 m0, ttmp2
.LBB31_1301:                            ; =>This Inner Loop Header: Depth=1
	s_sethalt 5
	s_branch .LBB31_1301
.LBB31_1302:
	s_or_saveexec_b32 s8, s8
                                        ; implicit-def: $sgpr9
	s_delay_alu instid0(SALU_CYCLE_1)
	s_xor_b32 exec_lo, exec_lo, s8
	s_cbranch_execz .LBB31_983
.LBB31_1303:
	v_add_f32_e64 v2, 0x42800000, |v0|
	s_and_not1_b32 s7, s7, exec_lo
	s_mov_b32 s9, 0
	s_delay_alu instid0(VALU_DEP_1) | instskip(NEXT) | instid1(VALU_DEP_1)
	v_and_b32_e32 v2, 0xff, v2
	v_cmp_ne_u32_e32 vcc_lo, 0, v2
	s_and_b32 s10, vcc_lo, exec_lo
	s_delay_alu instid0(SALU_CYCLE_1)
	s_or_b32 s7, s7, s10
	s_or_b32 exec_lo, exec_lo, s8
	v_mov_b32_e32 v5, s9
	s_and_saveexec_b32 s8, s7
	s_cbranch_execnz .LBB31_984
	s_branch .LBB31_985
.LBB31_1304:
	s_mov_b32 s2, -1
.LBB31_1305:
                                        ; implicit-def: $vgpr10
.LBB31_1306:
	s_and_b32 vcc_lo, exec_lo, s11
	s_cbranch_vccz .LBB31_1310
; %bb.1307:
	v_cmp_eq_u16_e32 vcc_lo, 44, v12
	s_cbranch_vccz .LBB31_1309
; %bb.1308:
	global_load_u8 v8, v[6:7], off
	s_mov_b32 s2, 0
	s_mov_b32 s10, -1
	s_waitcnt vmcnt(0)
	v_lshlrev_b32_e32 v9, 23, v8
	v_cmp_ne_u32_e32 vcc_lo, 0, v8
	s_delay_alu instid0(VALU_DEP_2) | instskip(NEXT) | instid1(VALU_DEP_1)
	v_cvt_i32_f32_e32 v9, v9
	v_cndmask_b32_e32 v10, 0, v9, vcc_lo
	s_branch .LBB31_1310
.LBB31_1309:
	s_mov_b32 s2, -1
                                        ; implicit-def: $vgpr10
.LBB31_1310:
	s_mov_b32 s11, 0
.LBB31_1311:
	s_delay_alu instid0(SALU_CYCLE_1)
	s_and_b32 vcc_lo, exec_lo, s11
	s_cbranch_vccz .LBB31_1315
; %bb.1312:
	v_cmp_eq_u16_e32 vcc_lo, 29, v12
	s_cbranch_vccz .LBB31_1314
; %bb.1313:
	global_load_b32 v10, v[6:7], off
	s_mov_b32 s2, 0
	s_mov_b32 s10, -1
	s_branch .LBB31_1315
.LBB31_1314:
	s_mov_b32 s2, -1
                                        ; implicit-def: $vgpr10
.LBB31_1315:
	s_mov_b32 s11, 0
.LBB31_1316:
	s_delay_alu instid0(SALU_CYCLE_1)
	s_and_b32 vcc_lo, exec_lo, s11
	s_cbranch_vccz .LBB31_1332
; %bb.1317:
	v_cmp_gt_i16_e32 vcc_lo, 27, v12
	s_cbranch_vccnz .LBB31_1320
; %bb.1318:
	v_cmp_lt_i16_e32 vcc_lo, 27, v12
	s_cbranch_vccz .LBB31_1321
; %bb.1319:
	global_load_b32 v10, v[6:7], off
	s_mov_b32 s10, 0
	s_branch .LBB31_1322
.LBB31_1320:
	s_mov_b32 s10, -1
                                        ; implicit-def: $vgpr10
	s_branch .LBB31_1325
.LBB31_1321:
	s_mov_b32 s10, -1
                                        ; implicit-def: $vgpr10
.LBB31_1322:
	s_delay_alu instid0(SALU_CYCLE_1)
	s_and_not1_b32 vcc_lo, exec_lo, s10
	s_cbranch_vccnz .LBB31_1324
; %bb.1323:
	global_load_u16 v10, v[6:7], off
.LBB31_1324:
	s_mov_b32 s10, 0
.LBB31_1325:
	s_delay_alu instid0(SALU_CYCLE_1)
	s_and_not1_b32 vcc_lo, exec_lo, s10
	s_cbranch_vccnz .LBB31_1331
; %bb.1326:
	global_load_u8 v8, v[6:7], off
	s_mov_b32 s10, 0
	s_mov_b32 s11, exec_lo
                                        ; implicit-def: $sgpr12
	s_waitcnt vmcnt(0)
	v_cmpx_lt_i16_e32 0x7f, v8
	s_xor_b32 s11, exec_lo, s11
	s_cbranch_execz .LBB31_1342
; %bb.1327:
	v_cmp_ne_u16_e32 vcc_lo, 0x80, v8
	s_mov_b32 s12, 0
	s_and_b32 s10, vcc_lo, exec_lo
	s_or_saveexec_b32 s11, s11
	v_mov_b32_e32 v10, s12
	s_xor_b32 exec_lo, exec_lo, s11
	s_cbranch_execnz .LBB31_1343
.LBB31_1328:
	s_or_b32 exec_lo, exec_lo, s11
	s_and_saveexec_b32 s11, s10
	s_cbranch_execz .LBB31_1330
.LBB31_1329:
	v_and_b32_e32 v9, 0xffff, v8
	v_lshlrev_b32_e32 v8, 24, v8
	s_delay_alu instid0(VALU_DEP_2) | instskip(NEXT) | instid1(VALU_DEP_2)
	v_and_b32_e32 v10, 7, v9
	v_and_b32_e32 v8, 0x80000000, v8
	s_delay_alu instid0(VALU_DEP_2) | instskip(NEXT) | instid1(VALU_DEP_1)
	v_clz_i32_u32_e32 v13, v10
	v_min_u32_e32 v13, 32, v13
	s_delay_alu instid0(VALU_DEP_1) | instskip(SKIP_1) | instid1(VALU_DEP_2)
	v_subrev_nc_u32_e32 v14, 28, v13
	v_sub_nc_u32_e32 v13, 29, v13
	v_lshlrev_b32_e32 v14, v14, v9
	v_bfe_u32 v9, v9, 3, 4
	s_delay_alu instid0(VALU_DEP_1) | instskip(NEXT) | instid1(VALU_DEP_3)
	v_cmp_eq_u32_e32 vcc_lo, 0, v9
	v_dual_cndmask_b32 v9, v9, v13 :: v_dual_and_b32 v14, 7, v14
	s_delay_alu instid0(VALU_DEP_1) | instskip(NEXT) | instid1(VALU_DEP_2)
	v_cndmask_b32_e32 v10, v10, v14, vcc_lo
	v_lshl_add_u32 v9, v9, 23, 0x3b800000
	s_delay_alu instid0(VALU_DEP_2) | instskip(NEXT) | instid1(VALU_DEP_1)
	v_lshlrev_b32_e32 v10, 20, v10
	v_or3_b32 v8, v8, v9, v10
	s_delay_alu instid0(VALU_DEP_1)
	v_cvt_i32_f32_e32 v10, v8
.LBB31_1330:
	s_or_b32 exec_lo, exec_lo, s11
.LBB31_1331:
	s_mov_b32 s10, -1
.LBB31_1332:
	s_branch .LBB31_1363
.LBB31_1333:
	v_cmp_lt_i16_e32 vcc_lo, 22, v12
	s_cbranch_vccz .LBB31_1341
; %bb.1334:
	v_cmp_gt_i16_e32 vcc_lo, 24, v12
	s_cbranch_vccnz .LBB31_1344
; %bb.1335:
	v_cmp_lt_i16_e32 vcc_lo, 24, v12
	s_cbranch_vccz .LBB31_1345
; %bb.1336:
	global_load_u8 v8, v[6:7], off
	s_mov_b32 s10, exec_lo
                                        ; implicit-def: $sgpr11
	s_waitcnt vmcnt(0)
	v_cmpx_lt_i16_e32 0x7f, v8
	s_xor_b32 s10, exec_lo, s10
	s_cbranch_execz .LBB31_1357
; %bb.1337:
	v_cmp_ne_u16_e32 vcc_lo, 0x80, v8
	s_mov_b32 s11, 0
	s_and_b32 s3, vcc_lo, exec_lo
	s_or_saveexec_b32 s10, s10
	v_mov_b32_e32 v10, s11
	s_xor_b32 exec_lo, exec_lo, s10
	s_cbranch_execnz .LBB31_1358
.LBB31_1338:
	s_or_b32 exec_lo, exec_lo, s10
	s_and_saveexec_b32 s10, s3
	s_cbranch_execz .LBB31_1340
.LBB31_1339:
	v_and_b32_e32 v9, 0xffff, v8
	v_lshlrev_b32_e32 v8, 24, v8
	s_delay_alu instid0(VALU_DEP_2) | instskip(NEXT) | instid1(VALU_DEP_2)
	v_and_b32_e32 v10, 3, v9
	v_and_b32_e32 v8, 0x80000000, v8
	s_delay_alu instid0(VALU_DEP_2) | instskip(NEXT) | instid1(VALU_DEP_1)
	v_clz_i32_u32_e32 v13, v10
	v_min_u32_e32 v13, 32, v13
	s_delay_alu instid0(VALU_DEP_1) | instskip(SKIP_1) | instid1(VALU_DEP_2)
	v_subrev_nc_u32_e32 v14, 29, v13
	v_sub_nc_u32_e32 v13, 30, v13
	v_lshlrev_b32_e32 v14, v14, v9
	v_bfe_u32 v9, v9, 2, 5
	s_delay_alu instid0(VALU_DEP_1) | instskip(NEXT) | instid1(VALU_DEP_3)
	v_cmp_eq_u32_e32 vcc_lo, 0, v9
	v_dual_cndmask_b32 v9, v9, v13 :: v_dual_and_b32 v14, 3, v14
	s_delay_alu instid0(VALU_DEP_1) | instskip(NEXT) | instid1(VALU_DEP_2)
	v_cndmask_b32_e32 v10, v10, v14, vcc_lo
	v_lshl_add_u32 v9, v9, 23, 0x37800000
	s_delay_alu instid0(VALU_DEP_2) | instskip(NEXT) | instid1(VALU_DEP_1)
	v_lshlrev_b32_e32 v10, 21, v10
	v_or3_b32 v8, v8, v9, v10
	s_delay_alu instid0(VALU_DEP_1)
	v_cvt_i32_f32_e32 v10, v8
.LBB31_1340:
	s_or_b32 exec_lo, exec_lo, s10
	s_mov_b32 s3, 0
	s_branch .LBB31_1346
.LBB31_1341:
	s_mov_b32 s3, -1
                                        ; implicit-def: $vgpr10
	s_branch .LBB31_1352
.LBB31_1342:
	s_or_saveexec_b32 s11, s11
	v_mov_b32_e32 v10, s12
	s_xor_b32 exec_lo, exec_lo, s11
	s_cbranch_execz .LBB31_1328
.LBB31_1343:
	v_cmp_ne_u16_e32 vcc_lo, 0, v8
	v_mov_b32_e32 v10, 0
	s_and_not1_b32 s10, s10, exec_lo
	s_and_b32 s12, vcc_lo, exec_lo
	s_delay_alu instid0(SALU_CYCLE_1)
	s_or_b32 s10, s10, s12
	s_or_b32 exec_lo, exec_lo, s11
	s_and_saveexec_b32 s11, s10
	s_cbranch_execnz .LBB31_1329
	s_branch .LBB31_1330
.LBB31_1344:
	s_mov_b32 s3, -1
                                        ; implicit-def: $vgpr10
	s_branch .LBB31_1349
.LBB31_1345:
	s_mov_b32 s3, -1
                                        ; implicit-def: $vgpr10
.LBB31_1346:
	s_delay_alu instid0(SALU_CYCLE_1)
	s_and_b32 vcc_lo, exec_lo, s3
	s_cbranch_vccz .LBB31_1348
; %bb.1347:
	global_load_u8 v8, v[6:7], off
	s_waitcnt vmcnt(0)
	v_lshlrev_b32_e32 v8, 24, v8
	s_delay_alu instid0(VALU_DEP_1) | instskip(NEXT) | instid1(VALU_DEP_1)
	v_and_b32_e32 v9, 0x7f000000, v8
	v_clz_i32_u32_e32 v10, v9
	v_add_nc_u32_e32 v14, 0x1000000, v9
	v_cmp_ne_u32_e32 vcc_lo, 0, v9
	s_delay_alu instid0(VALU_DEP_3) | instskip(NEXT) | instid1(VALU_DEP_1)
	v_min_u32_e32 v10, 32, v10
	v_sub_nc_u32_e64 v10, v10, 4 clamp
	s_delay_alu instid0(VALU_DEP_1) | instskip(SKIP_1) | instid1(VALU_DEP_2)
	v_lshlrev_b32_e32 v13, v10, v9
	v_lshlrev_b32_e32 v10, 23, v10
	v_lshrrev_b32_e32 v13, 4, v13
	s_delay_alu instid0(VALU_DEP_1) | instskip(SKIP_1) | instid1(VALU_DEP_2)
	v_sub_nc_u32_e32 v10, v13, v10
	v_ashrrev_i32_e32 v13, 8, v14
	v_add_nc_u32_e32 v10, 0x3c000000, v10
	s_delay_alu instid0(VALU_DEP_1) | instskip(NEXT) | instid1(VALU_DEP_1)
	v_and_or_b32 v10, 0x7f800000, v13, v10
	v_cndmask_b32_e32 v9, 0, v10, vcc_lo
	s_delay_alu instid0(VALU_DEP_1) | instskip(NEXT) | instid1(VALU_DEP_1)
	v_and_or_b32 v8, 0x80000000, v8, v9
	v_cvt_i32_f32_e32 v10, v8
.LBB31_1348:
	s_mov_b32 s3, 0
.LBB31_1349:
	s_delay_alu instid0(SALU_CYCLE_1)
	s_and_not1_b32 vcc_lo, exec_lo, s3
	s_cbranch_vccnz .LBB31_1351
; %bb.1350:
	global_load_u8 v8, v[6:7], off
	s_waitcnt vmcnt(0)
	v_lshlrev_b32_e32 v9, 25, v8
	v_lshlrev_b16 v8, 8, v8
	s_delay_alu instid0(VALU_DEP_2) | instskip(NEXT) | instid1(VALU_DEP_2)
	v_lshrrev_b32_e32 v10, 4, v9
	v_and_or_b32 v13, 0x7f00, v8, 0.5
	v_bfe_i32 v8, v8, 0, 16
	s_delay_alu instid0(VALU_DEP_3) | instskip(NEXT) | instid1(VALU_DEP_1)
	v_or_b32_e32 v10, 0x70000000, v10
	v_dual_add_f32 v13, -0.5, v13 :: v_dual_mul_f32 v10, 0x7800000, v10
	v_cmp_gt_u32_e32 vcc_lo, 0x8000000, v9
	s_delay_alu instid0(VALU_DEP_2) | instskip(NEXT) | instid1(VALU_DEP_1)
	v_cndmask_b32_e32 v9, v10, v13, vcc_lo
	v_and_or_b32 v8, 0x80000000, v8, v9
	s_delay_alu instid0(VALU_DEP_1)
	v_cvt_i32_f32_e32 v10, v8
.LBB31_1351:
	s_mov_b32 s3, 0
	s_mov_b32 s10, -1
.LBB31_1352:
	s_and_not1_b32 vcc_lo, exec_lo, s3
	s_mov_b32 s3, 0
	s_cbranch_vccnz .LBB31_1363
; %bb.1353:
	v_cmp_lt_i16_e32 vcc_lo, 14, v12
	s_cbranch_vccz .LBB31_1356
; %bb.1354:
	v_cmp_eq_u16_e32 vcc_lo, 15, v12
	s_cbranch_vccz .LBB31_1359
; %bb.1355:
	global_load_u16 v8, v[6:7], off
	s_mov_b32 s2, 0
	s_mov_b32 s10, -1
	s_waitcnt vmcnt(0)
	v_lshlrev_b32_e32 v8, 16, v8
	s_delay_alu instid0(VALU_DEP_1)
	v_cvt_i32_f32_e32 v10, v8
	s_branch .LBB31_1361
.LBB31_1356:
	s_mov_b32 s3, -1
	s_branch .LBB31_1360
.LBB31_1357:
	s_or_saveexec_b32 s10, s10
	v_mov_b32_e32 v10, s11
	s_xor_b32 exec_lo, exec_lo, s10
	s_cbranch_execz .LBB31_1338
.LBB31_1358:
	v_cmp_ne_u16_e32 vcc_lo, 0, v8
	v_mov_b32_e32 v10, 0
	s_and_not1_b32 s3, s3, exec_lo
	s_and_b32 s11, vcc_lo, exec_lo
	s_delay_alu instid0(SALU_CYCLE_1)
	s_or_b32 s3, s3, s11
	s_or_b32 exec_lo, exec_lo, s10
	s_and_saveexec_b32 s10, s3
	s_cbranch_execnz .LBB31_1339
	s_branch .LBB31_1340
.LBB31_1359:
	s_mov_b32 s2, -1
.LBB31_1360:
                                        ; implicit-def: $vgpr10
.LBB31_1361:
	s_and_b32 vcc_lo, exec_lo, s3
	s_mov_b32 s3, 0
	s_cbranch_vccz .LBB31_1363
; %bb.1362:
	v_cmp_ne_u16_e64 s2, 11, v12
	s_mov_b32 s3, -1
                                        ; implicit-def: $vgpr10
.LBB31_1363:
	s_delay_alu instid0(VALU_DEP_1)
	s_and_b32 vcc_lo, exec_lo, s2
	s_cbranch_vccnz .LBB31_1387
; %bb.1364:
	s_and_not1_b32 vcc_lo, exec_lo, s3
	s_cbranch_vccnz .LBB31_1366
.LBB31_1365:
	global_load_u8 v8, v[6:7], off
	s_mov_b32 s10, -1
	s_waitcnt vmcnt(0)
	v_cmp_ne_u16_e32 vcc_lo, 0, v8
	v_cndmask_b32_e64 v10, 0, 1, vcc_lo
.LBB31_1366:
.LBB31_1367:
	s_and_not1_b32 vcc_lo, exec_lo, s10
	s_cbranch_vccnz .LBB31_1430
.LBB31_1368:
	v_cmp_gt_i16_e32 vcc_lo, 11, v12
	v_add_co_u32 v5, s2, s6, v5
	s_delay_alu instid0(VALU_DEP_1)
	v_add_co_ci_u32_e64 v6, null, s7, 0, s2
	s_mov_b32 s10, 0
	s_cbranch_vccnz .LBB31_1375
; %bb.1369:
	v_cmp_lt_i16_e32 vcc_lo, 25, v12
	s_mov_b32 s3, 0
	s_cbranch_vccz .LBB31_1381
; %bb.1370:
	v_cmp_lt_i16_e32 vcc_lo, 28, v12
	s_cbranch_vccz .LBB31_1383
; %bb.1371:
	v_cmp_lt_i16_e32 vcc_lo, 43, v12
	;; [unrolled: 3-line block ×3, first 2 shown]
	s_cbranch_vccz .LBB31_1389
; %bb.1373:
	v_cmp_eq_u16_e32 vcc_lo, 46, v12
	s_mov_b32 s11, 0
	s_cbranch_vccz .LBB31_1477
; %bb.1374:
	global_load_b32 v7, v[5:6], off
	s_mov_b32 s2, 0
	s_mov_b32 s10, -1
	s_waitcnt vmcnt(0)
	v_lshlrev_b32_e32 v7, 16, v7
	s_delay_alu instid0(VALU_DEP_1)
	v_cvt_i32_f32_e32 v8, v7
	s_branch .LBB31_1479
.LBB31_1375:
                                        ; implicit-def: $vgpr8
	s_cbranch_execz .LBB31_1541
; %bb.1376:
	v_cmp_gt_i16_e32 vcc_lo, 5, v12
	s_cbranch_vccnz .LBB31_1382
; %bb.1377:
	v_cmp_gt_i16_e32 vcc_lo, 8, v12
	s_cbranch_vccnz .LBB31_1384
	;; [unrolled: 3-line block ×3, first 2 shown]
; %bb.1379:
	v_cmp_lt_i16_e32 vcc_lo, 9, v12
	s_cbranch_vccz .LBB31_1390
; %bb.1380:
	global_load_b64 v[7:8], v[5:6], off
	s_mov_b32 s2, 0
	s_waitcnt vmcnt(0)
	v_cvt_i32_f64_e32 v8, v[7:8]
	s_branch .LBB31_1391
.LBB31_1381:
	s_mov_b32 s11, -1
	s_mov_b32 s2, 0
                                        ; implicit-def: $vgpr8
	s_branch .LBB31_1506
.LBB31_1382:
	s_mov_b32 s2, -1
                                        ; implicit-def: $vgpr8
	s_branch .LBB31_1409
.LBB31_1383:
	s_mov_b32 s11, -1
	s_mov_b32 s2, 0
                                        ; implicit-def: $vgpr8
	s_branch .LBB31_1489
.LBB31_1384:
	s_mov_b32 s2, -1
                                        ; implicit-def: $vgpr8
	s_branch .LBB31_1397
.LBB31_1385:
	s_mov_b32 s11, -1
	s_mov_b32 s2, 0
                                        ; implicit-def: $vgpr8
	s_branch .LBB31_1484
.LBB31_1386:
	s_mov_b32 s2, -1
                                        ; implicit-def: $vgpr8
	s_branch .LBB31_1394
.LBB31_1387:
	s_cbranch_execnz .LBB31_1475
; %bb.1388:
	s_or_b32 s1, s1, exec_lo
                                        ; implicit-def: $vgpr10
	s_cbranch_execz .LBB31_1365
	s_branch .LBB31_1366
.LBB31_1389:
	s_mov_b32 s11, -1
	s_mov_b32 s2, 0
	s_branch .LBB31_1478
.LBB31_1390:
	s_mov_b32 s2, -1
                                        ; implicit-def: $vgpr8
.LBB31_1391:
	s_delay_alu instid0(SALU_CYCLE_1)
	s_and_not1_b32 vcc_lo, exec_lo, s2
	s_cbranch_vccnz .LBB31_1393
; %bb.1392:
	global_load_b32 v7, v[5:6], off
	s_waitcnt vmcnt(0)
	v_cvt_i32_f32_e32 v8, v7
.LBB31_1393:
	s_mov_b32 s2, 0
.LBB31_1394:
	s_delay_alu instid0(SALU_CYCLE_1)
	s_and_not1_b32 vcc_lo, exec_lo, s2
	s_cbranch_vccnz .LBB31_1396
; %bb.1395:
	global_load_b32 v7, v[5:6], off
	s_waitcnt vmcnt(0)
	v_cvt_f32_f16_e32 v7, v7
	s_delay_alu instid0(VALU_DEP_1)
	v_cvt_i32_f32_e32 v8, v7
.LBB31_1396:
	s_mov_b32 s2, 0
.LBB31_1397:
	s_delay_alu instid0(SALU_CYCLE_1)
	s_and_not1_b32 vcc_lo, exec_lo, s2
	s_cbranch_vccnz .LBB31_1408
; %bb.1398:
	v_cmp_gt_i16_e32 vcc_lo, 6, v12
	s_cbranch_vccnz .LBB31_1401
; %bb.1399:
	v_cmp_lt_i16_e32 vcc_lo, 6, v12
	s_cbranch_vccz .LBB31_1402
; %bb.1400:
	global_load_b64 v[7:8], v[5:6], off
	s_mov_b32 s2, 0
	s_waitcnt vmcnt(0)
	v_cvt_i32_f64_e32 v8, v[7:8]
	s_branch .LBB31_1403
.LBB31_1401:
	s_mov_b32 s2, -1
                                        ; implicit-def: $vgpr8
	s_branch .LBB31_1406
.LBB31_1402:
	s_mov_b32 s2, -1
                                        ; implicit-def: $vgpr8
.LBB31_1403:
	s_delay_alu instid0(SALU_CYCLE_1)
	s_and_not1_b32 vcc_lo, exec_lo, s2
	s_cbranch_vccnz .LBB31_1405
; %bb.1404:
	global_load_b32 v7, v[5:6], off
	s_waitcnt vmcnt(0)
	v_cvt_i32_f32_e32 v8, v7
.LBB31_1405:
	s_mov_b32 s2, 0
.LBB31_1406:
	s_delay_alu instid0(SALU_CYCLE_1)
	s_and_not1_b32 vcc_lo, exec_lo, s2
	s_cbranch_vccnz .LBB31_1408
; %bb.1407:
	global_load_u16 v7, v[5:6], off
	s_waitcnt vmcnt(0)
	v_cvt_f32_f16_e32 v7, v7
	s_delay_alu instid0(VALU_DEP_1)
	v_cvt_i32_f32_e32 v8, v7
.LBB31_1408:
	s_mov_b32 s2, 0
.LBB31_1409:
	s_delay_alu instid0(SALU_CYCLE_1)
	s_and_not1_b32 vcc_lo, exec_lo, s2
	s_cbranch_vccnz .LBB31_1429
; %bb.1410:
	v_cmp_gt_i16_e32 vcc_lo, 2, v12
	s_cbranch_vccnz .LBB31_1414
; %bb.1411:
	v_cmp_gt_i16_e32 vcc_lo, 3, v12
	s_cbranch_vccnz .LBB31_1415
; %bb.1412:
	v_cmp_lt_i16_e32 vcc_lo, 3, v12
	s_cbranch_vccz .LBB31_1416
; %bb.1413:
	global_load_b32 v8, v[5:6], off
	s_mov_b32 s2, 0
	s_branch .LBB31_1417
.LBB31_1414:
	s_mov_b32 s2, -1
                                        ; implicit-def: $vgpr8
	s_branch .LBB31_1423
.LBB31_1415:
	s_mov_b32 s2, -1
                                        ; implicit-def: $vgpr8
	s_branch .LBB31_1420
.LBB31_1416:
	s_mov_b32 s2, -1
                                        ; implicit-def: $vgpr8
.LBB31_1417:
	s_delay_alu instid0(SALU_CYCLE_1)
	s_and_not1_b32 vcc_lo, exec_lo, s2
	s_cbranch_vccnz .LBB31_1419
; %bb.1418:
	global_load_b32 v8, v[5:6], off
.LBB31_1419:
	s_mov_b32 s2, 0
.LBB31_1420:
	s_delay_alu instid0(SALU_CYCLE_1)
	s_and_not1_b32 vcc_lo, exec_lo, s2
	s_cbranch_vccnz .LBB31_1422
; %bb.1421:
	global_load_i16 v8, v[5:6], off
.LBB31_1422:
	s_mov_b32 s2, 0
.LBB31_1423:
	s_delay_alu instid0(SALU_CYCLE_1)
	s_and_not1_b32 vcc_lo, exec_lo, s2
	s_cbranch_vccnz .LBB31_1429
; %bb.1424:
	v_cmp_lt_i16_e32 vcc_lo, 0, v12
	s_mov_b32 s2, 0
	s_cbranch_vccz .LBB31_1426
; %bb.1425:
	global_load_i8 v8, v[5:6], off
	s_branch .LBB31_1427
.LBB31_1426:
	s_mov_b32 s2, -1
                                        ; implicit-def: $vgpr8
.LBB31_1427:
	s_delay_alu instid0(SALU_CYCLE_1)
	s_and_not1_b32 vcc_lo, exec_lo, s2
	s_cbranch_vccnz .LBB31_1429
; %bb.1428:
	global_load_u8 v8, v[5:6], off
.LBB31_1429:
	s_branch .LBB31_1542
.LBB31_1430:
	s_mov_b32 s0, 0
	s_mov_b32 s2, 0
                                        ; implicit-def: $vgpr0_vgpr1
                                        ; implicit-def: $vgpr12
                                        ; implicit-def: $vgpr2
                                        ; implicit-def: $vgpr9
.LBB31_1431:
	s_and_b32 s3, s0, exec_lo
	s_and_not1_b32 s0, s8, exec_lo
	s_and_b32 s1, s1, exec_lo
	s_and_b32 s26, s2, exec_lo
	s_or_b32 s8, s0, s1
.LBB31_1432:
	s_or_b32 exec_lo, exec_lo, s9
	s_and_saveexec_b32 s0, s8
	s_cbranch_execz .LBB31_1435
; %bb.1433:
	; divergent unreachable
	s_or_b32 exec_lo, exec_lo, s0
	s_and_saveexec_b32 s0, s26
	s_delay_alu instid0(SALU_CYCLE_1)
	s_xor_b32 s0, exec_lo, s0
	s_cbranch_execnz .LBB31_1436
.LBB31_1434:
	s_or_b32 exec_lo, exec_lo, s0
	s_and_saveexec_b32 s0, s3
	s_cbranch_execnz .LBB31_1437
	s_branch .LBB31_1474
.LBB31_1435:
	s_or_b32 exec_lo, exec_lo, s0
	s_and_saveexec_b32 s0, s26
	s_delay_alu instid0(SALU_CYCLE_1)
	s_xor_b32 s0, exec_lo, s0
	s_cbranch_execz .LBB31_1434
.LBB31_1436:
	s_waitcnt vmcnt(0)
	s_delay_alu instid0(VALU_DEP_1)
	v_cmp_ne_u32_e32 vcc_lo, -1, v9
	v_cndmask_b32_e64 v3, 0, 1, vcc_lo
	global_store_b8 v[0:1], v3, off
	s_or_b32 exec_lo, exec_lo, s0
	s_and_saveexec_b32 s0, s3
	s_cbranch_execz .LBB31_1474
.LBB31_1437:
	v_cmp_gt_i16_e32 vcc_lo, 5, v12
	s_mov_b32 s0, -1
	s_cbranch_vccnz .LBB31_1458
; %bb.1438:
	v_cmp_gt_i16_e32 vcc_lo, 8, v12
	s_cbranch_vccnz .LBB31_1448
; %bb.1439:
	v_cmp_gt_i16_e32 vcc_lo, 9, v12
	s_cbranch_vccnz .LBB31_1445
; %bb.1440:
	v_cmp_lt_i16_e32 vcc_lo, 9, v12
	s_cbranch_vccz .LBB31_1442
; %bb.1441:
	v_cvt_f64_i32_e32 v[3:4], v2
	v_mov_b32_e32 v5, 0
	s_mov_b32 s0, 0
	s_delay_alu instid0(VALU_DEP_1)
	v_mov_b32_e32 v6, v5
	global_store_b128 v[0:1], v[3:6], off
.LBB31_1442:
	s_and_not1_b32 vcc_lo, exec_lo, s0
	s_cbranch_vccnz .LBB31_1444
; %bb.1443:
	v_cvt_f32_i32_e32 v3, v2
	v_mov_b32_e32 v4, 0
	global_store_b64 v[0:1], v[3:4], off
.LBB31_1444:
	s_mov_b32 s0, 0
.LBB31_1445:
	s_delay_alu instid0(SALU_CYCLE_1)
	s_and_not1_b32 vcc_lo, exec_lo, s0
	s_cbranch_vccnz .LBB31_1447
; %bb.1446:
	v_cvt_f32_i32_e32 v3, v2
	s_delay_alu instid0(VALU_DEP_1) | instskip(NEXT) | instid1(VALU_DEP_1)
	v_cvt_f16_f32_e32 v3, v3
	v_and_b32_e32 v3, 0xffff, v3
	global_store_b32 v[0:1], v3, off
.LBB31_1447:
	s_mov_b32 s0, 0
.LBB31_1448:
	s_delay_alu instid0(SALU_CYCLE_1)
	s_and_not1_b32 vcc_lo, exec_lo, s0
	s_cbranch_vccnz .LBB31_1457
; %bb.1449:
	v_cmp_gt_i16_e32 vcc_lo, 6, v12
	s_mov_b32 s0, -1
	s_cbranch_vccnz .LBB31_1455
; %bb.1450:
	v_cmp_lt_i16_e32 vcc_lo, 6, v12
	s_cbranch_vccz .LBB31_1452
; %bb.1451:
	v_cvt_f64_i32_e32 v[3:4], v2
	s_mov_b32 s0, 0
	global_store_b64 v[0:1], v[3:4], off
.LBB31_1452:
	s_and_not1_b32 vcc_lo, exec_lo, s0
	s_cbranch_vccnz .LBB31_1454
; %bb.1453:
	v_cvt_f32_i32_e32 v3, v2
	global_store_b32 v[0:1], v3, off
.LBB31_1454:
	s_mov_b32 s0, 0
.LBB31_1455:
	s_delay_alu instid0(SALU_CYCLE_1)
	s_and_not1_b32 vcc_lo, exec_lo, s0
	s_cbranch_vccnz .LBB31_1457
; %bb.1456:
	v_cvt_f32_i32_e32 v3, v2
	s_delay_alu instid0(VALU_DEP_1)
	v_cvt_f16_f32_e32 v3, v3
	global_store_b16 v[0:1], v3, off
.LBB31_1457:
	s_mov_b32 s0, 0
.LBB31_1458:
	s_delay_alu instid0(SALU_CYCLE_1)
	s_and_not1_b32 vcc_lo, exec_lo, s0
	s_cbranch_vccnz .LBB31_1474
; %bb.1459:
	v_cmp_gt_i16_e32 vcc_lo, 2, v12
	s_mov_b32 s0, -1
	s_cbranch_vccnz .LBB31_1469
; %bb.1460:
	v_cmp_gt_i16_e32 vcc_lo, 3, v12
	s_cbranch_vccnz .LBB31_1466
; %bb.1461:
	v_cmp_lt_i16_e32 vcc_lo, 3, v12
	s_cbranch_vccz .LBB31_1463
; %bb.1462:
	v_ashrrev_i32_e32 v3, 31, v2
	s_mov_b32 s0, 0
	global_store_b64 v[0:1], v[2:3], off
.LBB31_1463:
	s_and_not1_b32 vcc_lo, exec_lo, s0
	s_cbranch_vccnz .LBB31_1465
; %bb.1464:
	global_store_b32 v[0:1], v2, off
.LBB31_1465:
	s_mov_b32 s0, 0
.LBB31_1466:
	s_delay_alu instid0(SALU_CYCLE_1)
	s_and_not1_b32 vcc_lo, exec_lo, s0
	s_cbranch_vccnz .LBB31_1468
; %bb.1467:
	global_store_b16 v[0:1], v2, off
.LBB31_1468:
	s_mov_b32 s0, 0
.LBB31_1469:
	s_delay_alu instid0(SALU_CYCLE_1)
	s_and_not1_b32 vcc_lo, exec_lo, s0
	s_cbranch_vccnz .LBB31_1474
; %bb.1470:
	v_cmp_lt_i16_e32 vcc_lo, 0, v12
	s_mov_b32 s0, -1
	s_cbranch_vccz .LBB31_1472
; %bb.1471:
	s_mov_b32 s0, 0
	global_store_b8 v[0:1], v2, off
.LBB31_1472:
	s_and_not1_b32 vcc_lo, exec_lo, s0
	s_cbranch_vccnz .LBB31_1474
; %bb.1473:
	global_store_b8 v[0:1], v2, off
	s_nop 0
	s_sendmsg sendmsg(MSG_DEALLOC_VGPRS)
	s_endpgm
.LBB31_1474:
	s_nop 0
	s_sendmsg sendmsg(MSG_DEALLOC_VGPRS)
	s_endpgm
.LBB31_1475:
	s_trap 2
	s_sendmsg_rtn_b32 s0, sendmsg(MSG_RTN_GET_DOORBELL)
	s_mov_b32 ttmp2, m0
	s_waitcnt lgkmcnt(0)
	s_and_b32 s0, s0, 0x3ff
	s_delay_alu instid0(SALU_CYCLE_1) | instskip(NEXT) | instid1(SALU_CYCLE_1)
	s_bitset1_b32 s0, 10
	s_mov_b32 m0, s0
	s_sendmsg sendmsg(MSG_INTERRUPT)
	s_mov_b32 m0, ttmp2
.LBB31_1476:                            ; =>This Inner Loop Header: Depth=1
	s_sethalt 5
	s_branch .LBB31_1476
.LBB31_1477:
	s_mov_b32 s2, -1
.LBB31_1478:
                                        ; implicit-def: $vgpr8
.LBB31_1479:
	s_and_b32 vcc_lo, exec_lo, s11
	s_cbranch_vccz .LBB31_1483
; %bb.1480:
	v_cmp_eq_u16_e32 vcc_lo, 44, v12
	s_cbranch_vccz .LBB31_1482
; %bb.1481:
	global_load_u8 v7, v[5:6], off
	s_mov_b32 s2, 0
	s_mov_b32 s10, -1
	s_waitcnt vmcnt(0)
	v_lshlrev_b32_e32 v8, 23, v7
	v_cmp_ne_u32_e32 vcc_lo, 0, v7
	s_delay_alu instid0(VALU_DEP_2) | instskip(NEXT) | instid1(VALU_DEP_1)
	v_cvt_i32_f32_e32 v8, v8
	v_cndmask_b32_e32 v8, 0, v8, vcc_lo
	s_branch .LBB31_1483
.LBB31_1482:
	s_mov_b32 s2, -1
                                        ; implicit-def: $vgpr8
.LBB31_1483:
	s_mov_b32 s11, 0
.LBB31_1484:
	s_delay_alu instid0(SALU_CYCLE_1)
	s_and_b32 vcc_lo, exec_lo, s11
	s_cbranch_vccz .LBB31_1488
; %bb.1485:
	v_cmp_eq_u16_e32 vcc_lo, 29, v12
	s_cbranch_vccz .LBB31_1487
; %bb.1486:
	global_load_b32 v8, v[5:6], off
	s_mov_b32 s2, 0
	s_mov_b32 s10, -1
	s_branch .LBB31_1488
.LBB31_1487:
	s_mov_b32 s2, -1
                                        ; implicit-def: $vgpr8
.LBB31_1488:
	s_mov_b32 s11, 0
.LBB31_1489:
	s_delay_alu instid0(SALU_CYCLE_1)
	s_and_b32 vcc_lo, exec_lo, s11
	s_cbranch_vccz .LBB31_1505
; %bb.1490:
	v_cmp_gt_i16_e32 vcc_lo, 27, v12
	s_cbranch_vccnz .LBB31_1493
; %bb.1491:
	v_cmp_lt_i16_e32 vcc_lo, 27, v12
	s_cbranch_vccz .LBB31_1494
; %bb.1492:
	global_load_b32 v8, v[5:6], off
	s_mov_b32 s10, 0
	s_branch .LBB31_1495
.LBB31_1493:
	s_mov_b32 s10, -1
                                        ; implicit-def: $vgpr8
	s_branch .LBB31_1498
.LBB31_1494:
	s_mov_b32 s10, -1
                                        ; implicit-def: $vgpr8
.LBB31_1495:
	s_delay_alu instid0(SALU_CYCLE_1)
	s_and_not1_b32 vcc_lo, exec_lo, s10
	s_cbranch_vccnz .LBB31_1497
; %bb.1496:
	global_load_u16 v8, v[5:6], off
.LBB31_1497:
	s_mov_b32 s10, 0
.LBB31_1498:
	s_delay_alu instid0(SALU_CYCLE_1)
	s_and_not1_b32 vcc_lo, exec_lo, s10
	s_cbranch_vccnz .LBB31_1504
; %bb.1499:
	global_load_u8 v7, v[5:6], off
	s_mov_b32 s10, 0
	s_mov_b32 s11, exec_lo
                                        ; implicit-def: $sgpr12
	s_waitcnt vmcnt(0)
	v_cmpx_lt_i16_e32 0x7f, v7
	s_xor_b32 s11, exec_lo, s11
	s_cbranch_execz .LBB31_1516
; %bb.1500:
	v_cmp_ne_u16_e32 vcc_lo, 0x80, v7
	s_mov_b32 s12, 0
	s_and_b32 s10, vcc_lo, exec_lo
	s_or_saveexec_b32 s11, s11
	v_mov_b32_e32 v8, s12
	s_xor_b32 exec_lo, exec_lo, s11
	s_cbranch_execnz .LBB31_1517
.LBB31_1501:
	s_or_b32 exec_lo, exec_lo, s11
	s_and_saveexec_b32 s11, s10
	s_cbranch_execz .LBB31_1503
.LBB31_1502:
	v_and_b32_e32 v8, 0xffff, v7
	v_lshlrev_b32_e32 v7, 24, v7
	s_delay_alu instid0(VALU_DEP_2) | instskip(NEXT) | instid1(VALU_DEP_2)
	v_and_b32_e32 v9, 7, v8
	v_and_b32_e32 v7, 0x80000000, v7
	s_delay_alu instid0(VALU_DEP_2) | instskip(NEXT) | instid1(VALU_DEP_1)
	v_clz_i32_u32_e32 v13, v9
	v_min_u32_e32 v13, 32, v13
	s_delay_alu instid0(VALU_DEP_1) | instskip(SKIP_1) | instid1(VALU_DEP_2)
	v_subrev_nc_u32_e32 v14, 28, v13
	v_sub_nc_u32_e32 v13, 29, v13
	v_lshlrev_b32_e32 v14, v14, v8
	v_bfe_u32 v8, v8, 3, 4
	s_delay_alu instid0(VALU_DEP_2) | instskip(NEXT) | instid1(VALU_DEP_2)
	v_and_b32_e32 v14, 7, v14
	v_cmp_eq_u32_e32 vcc_lo, 0, v8
	s_delay_alu instid0(VALU_DEP_2) | instskip(NEXT) | instid1(VALU_DEP_1)
	v_dual_cndmask_b32 v8, v8, v13 :: v_dual_cndmask_b32 v9, v9, v14
	v_lshl_add_u32 v8, v8, 23, 0x3b800000
	s_delay_alu instid0(VALU_DEP_2) | instskip(NEXT) | instid1(VALU_DEP_1)
	v_lshlrev_b32_e32 v9, 20, v9
	v_or3_b32 v7, v7, v8, v9
	s_delay_alu instid0(VALU_DEP_1)
	v_cvt_i32_f32_e32 v8, v7
.LBB31_1503:
	s_or_b32 exec_lo, exec_lo, s11
.LBB31_1504:
	s_mov_b32 s10, -1
.LBB31_1505:
	s_mov_b32 s11, 0
.LBB31_1506:
	s_delay_alu instid0(SALU_CYCLE_1)
	s_and_b32 vcc_lo, exec_lo, s11
	s_cbranch_vccz .LBB31_1537
; %bb.1507:
	v_cmp_lt_i16_e32 vcc_lo, 22, v12
	s_cbranch_vccz .LBB31_1515
; %bb.1508:
	v_cmp_gt_i16_e32 vcc_lo, 24, v12
	s_cbranch_vccnz .LBB31_1518
; %bb.1509:
	v_cmp_lt_i16_e32 vcc_lo, 24, v12
	s_cbranch_vccz .LBB31_1519
; %bb.1510:
	global_load_u8 v7, v[5:6], off
	s_mov_b32 s10, exec_lo
                                        ; implicit-def: $sgpr11
	s_waitcnt vmcnt(0)
	v_cmpx_lt_i16_e32 0x7f, v7
	s_xor_b32 s10, exec_lo, s10
	s_cbranch_execz .LBB31_1531
; %bb.1511:
	v_cmp_ne_u16_e32 vcc_lo, 0x80, v7
	s_mov_b32 s11, 0
	s_and_b32 s3, vcc_lo, exec_lo
	s_or_saveexec_b32 s10, s10
	v_mov_b32_e32 v8, s11
	s_xor_b32 exec_lo, exec_lo, s10
	s_cbranch_execnz .LBB31_1532
.LBB31_1512:
	s_or_b32 exec_lo, exec_lo, s10
	s_and_saveexec_b32 s10, s3
	s_cbranch_execz .LBB31_1514
.LBB31_1513:
	v_and_b32_e32 v8, 0xffff, v7
	v_lshlrev_b32_e32 v7, 24, v7
	s_delay_alu instid0(VALU_DEP_2) | instskip(NEXT) | instid1(VALU_DEP_2)
	v_and_b32_e32 v9, 3, v8
	v_and_b32_e32 v7, 0x80000000, v7
	s_delay_alu instid0(VALU_DEP_2) | instskip(NEXT) | instid1(VALU_DEP_1)
	v_clz_i32_u32_e32 v13, v9
	v_min_u32_e32 v13, 32, v13
	s_delay_alu instid0(VALU_DEP_1) | instskip(SKIP_1) | instid1(VALU_DEP_2)
	v_subrev_nc_u32_e32 v14, 29, v13
	v_sub_nc_u32_e32 v13, 30, v13
	v_lshlrev_b32_e32 v14, v14, v8
	v_bfe_u32 v8, v8, 2, 5
	s_delay_alu instid0(VALU_DEP_2) | instskip(NEXT) | instid1(VALU_DEP_2)
	v_and_b32_e32 v14, 3, v14
	v_cmp_eq_u32_e32 vcc_lo, 0, v8
	s_delay_alu instid0(VALU_DEP_2) | instskip(NEXT) | instid1(VALU_DEP_1)
	v_dual_cndmask_b32 v8, v8, v13 :: v_dual_cndmask_b32 v9, v9, v14
	v_lshl_add_u32 v8, v8, 23, 0x37800000
	s_delay_alu instid0(VALU_DEP_2) | instskip(NEXT) | instid1(VALU_DEP_1)
	v_lshlrev_b32_e32 v9, 21, v9
	v_or3_b32 v7, v7, v8, v9
	s_delay_alu instid0(VALU_DEP_1)
	v_cvt_i32_f32_e32 v8, v7
.LBB31_1514:
	s_or_b32 exec_lo, exec_lo, s10
	s_mov_b32 s3, 0
	s_branch .LBB31_1520
.LBB31_1515:
	s_mov_b32 s3, -1
                                        ; implicit-def: $vgpr8
	s_branch .LBB31_1526
.LBB31_1516:
	s_or_saveexec_b32 s11, s11
	v_mov_b32_e32 v8, s12
	s_xor_b32 exec_lo, exec_lo, s11
	s_cbranch_execz .LBB31_1501
.LBB31_1517:
	v_cmp_ne_u16_e32 vcc_lo, 0, v7
	v_mov_b32_e32 v8, 0
	s_and_not1_b32 s10, s10, exec_lo
	s_and_b32 s12, vcc_lo, exec_lo
	s_delay_alu instid0(SALU_CYCLE_1)
	s_or_b32 s10, s10, s12
	s_or_b32 exec_lo, exec_lo, s11
	s_and_saveexec_b32 s11, s10
	s_cbranch_execnz .LBB31_1502
	s_branch .LBB31_1503
.LBB31_1518:
	s_mov_b32 s3, -1
                                        ; implicit-def: $vgpr8
	s_branch .LBB31_1523
.LBB31_1519:
	s_mov_b32 s3, -1
                                        ; implicit-def: $vgpr8
.LBB31_1520:
	s_delay_alu instid0(SALU_CYCLE_1)
	s_and_b32 vcc_lo, exec_lo, s3
	s_cbranch_vccz .LBB31_1522
; %bb.1521:
	global_load_u8 v7, v[5:6], off
	s_waitcnt vmcnt(0)
	v_lshlrev_b32_e32 v7, 24, v7
	s_delay_alu instid0(VALU_DEP_1) | instskip(NEXT) | instid1(VALU_DEP_1)
	v_and_b32_e32 v8, 0x7f000000, v7
	v_clz_i32_u32_e32 v9, v8
	v_add_nc_u32_e32 v14, 0x1000000, v8
	v_cmp_ne_u32_e32 vcc_lo, 0, v8
	s_delay_alu instid0(VALU_DEP_3) | instskip(NEXT) | instid1(VALU_DEP_1)
	v_min_u32_e32 v9, 32, v9
	v_sub_nc_u32_e64 v9, v9, 4 clamp
	s_delay_alu instid0(VALU_DEP_1) | instskip(SKIP_1) | instid1(VALU_DEP_2)
	v_lshlrev_b32_e32 v13, v9, v8
	v_lshlrev_b32_e32 v9, 23, v9
	v_lshrrev_b32_e32 v13, 4, v13
	s_delay_alu instid0(VALU_DEP_1) | instskip(SKIP_1) | instid1(VALU_DEP_2)
	v_sub_nc_u32_e32 v9, v13, v9
	v_ashrrev_i32_e32 v13, 8, v14
	v_add_nc_u32_e32 v9, 0x3c000000, v9
	s_delay_alu instid0(VALU_DEP_1) | instskip(NEXT) | instid1(VALU_DEP_1)
	v_and_or_b32 v9, 0x7f800000, v13, v9
	v_cndmask_b32_e32 v8, 0, v9, vcc_lo
	s_delay_alu instid0(VALU_DEP_1) | instskip(NEXT) | instid1(VALU_DEP_1)
	v_and_or_b32 v7, 0x80000000, v7, v8
	v_cvt_i32_f32_e32 v8, v7
.LBB31_1522:
	s_mov_b32 s3, 0
.LBB31_1523:
	s_delay_alu instid0(SALU_CYCLE_1)
	s_and_not1_b32 vcc_lo, exec_lo, s3
	s_cbranch_vccnz .LBB31_1525
; %bb.1524:
	global_load_u8 v7, v[5:6], off
	s_waitcnt vmcnt(0)
	v_lshlrev_b32_e32 v8, 25, v7
	v_lshlrev_b16 v7, 8, v7
	s_delay_alu instid0(VALU_DEP_1) | instskip(SKIP_1) | instid1(VALU_DEP_2)
	v_and_or_b32 v13, 0x7f00, v7, 0.5
	v_bfe_i32 v7, v7, 0, 16
	v_add_f32_e32 v13, -0.5, v13
	v_lshrrev_b32_e32 v9, 4, v8
	v_cmp_gt_u32_e32 vcc_lo, 0x8000000, v8
	s_delay_alu instid0(VALU_DEP_2) | instskip(NEXT) | instid1(VALU_DEP_1)
	v_or_b32_e32 v9, 0x70000000, v9
	v_mul_f32_e32 v9, 0x7800000, v9
	s_delay_alu instid0(VALU_DEP_1) | instskip(NEXT) | instid1(VALU_DEP_1)
	v_cndmask_b32_e32 v8, v9, v13, vcc_lo
	v_and_or_b32 v7, 0x80000000, v7, v8
	s_delay_alu instid0(VALU_DEP_1)
	v_cvt_i32_f32_e32 v8, v7
.LBB31_1525:
	s_mov_b32 s3, 0
	s_mov_b32 s10, -1
.LBB31_1526:
	s_and_not1_b32 vcc_lo, exec_lo, s3
	s_mov_b32 s3, 0
	s_cbranch_vccnz .LBB31_1537
; %bb.1527:
	v_cmp_lt_i16_e32 vcc_lo, 14, v12
	s_cbranch_vccz .LBB31_1530
; %bb.1528:
	v_cmp_eq_u16_e32 vcc_lo, 15, v12
	s_cbranch_vccz .LBB31_1533
; %bb.1529:
	global_load_u16 v7, v[5:6], off
	s_mov_b32 s2, 0
	s_mov_b32 s10, -1
	s_waitcnt vmcnt(0)
	v_lshlrev_b32_e32 v7, 16, v7
	s_delay_alu instid0(VALU_DEP_1)
	v_cvt_i32_f32_e32 v8, v7
	s_branch .LBB31_1535
.LBB31_1530:
	s_mov_b32 s3, -1
	s_branch .LBB31_1534
.LBB31_1531:
	s_or_saveexec_b32 s10, s10
	v_mov_b32_e32 v8, s11
	s_xor_b32 exec_lo, exec_lo, s10
	s_cbranch_execz .LBB31_1512
.LBB31_1532:
	v_cmp_ne_u16_e32 vcc_lo, 0, v7
	v_mov_b32_e32 v8, 0
	s_and_not1_b32 s3, s3, exec_lo
	s_and_b32 s11, vcc_lo, exec_lo
	s_delay_alu instid0(SALU_CYCLE_1)
	s_or_b32 s3, s3, s11
	s_or_b32 exec_lo, exec_lo, s10
	s_and_saveexec_b32 s10, s3
	s_cbranch_execnz .LBB31_1513
	s_branch .LBB31_1514
.LBB31_1533:
	s_mov_b32 s2, -1
.LBB31_1534:
                                        ; implicit-def: $vgpr8
.LBB31_1535:
	s_and_b32 vcc_lo, exec_lo, s3
	s_mov_b32 s3, 0
	s_cbranch_vccz .LBB31_1537
; %bb.1536:
	v_cmp_ne_u16_e64 s2, 11, v12
	s_mov_b32 s3, -1
                                        ; implicit-def: $vgpr8
.LBB31_1537:
	s_delay_alu instid0(VALU_DEP_1)
	s_and_b32 vcc_lo, exec_lo, s2
	s_cbranch_vccnz .LBB31_1553
; %bb.1538:
	s_and_not1_b32 vcc_lo, exec_lo, s3
	s_cbranch_vccnz .LBB31_1540
.LBB31_1539:
	global_load_u8 v7, v[5:6], off
	s_mov_b32 s10, -1
	s_waitcnt vmcnt(0)
	v_cmp_ne_u16_e32 vcc_lo, 0, v7
	v_cndmask_b32_e64 v8, 0, 1, vcc_lo
.LBB31_1540:
.LBB31_1541:
	s_and_not1_b32 vcc_lo, exec_lo, s10
	s_cbranch_vccnz .LBB31_1430
.LBB31_1542:
	v_cmp_gt_i16_e32 vcc_lo, 11, v12
	v_add_co_u32 v4, s2, s6, v4
	s_delay_alu instid0(VALU_DEP_1)
	v_add_co_ci_u32_e64 v5, null, s7, 0, s2
	s_mov_b32 s6, 0
	s_cbranch_vccnz .LBB31_1549
; %bb.1543:
	v_cmp_lt_i16_e32 vcc_lo, 25, v12
	s_mov_b32 s3, 0
	s_cbranch_vccz .LBB31_1550
; %bb.1544:
	v_cmp_lt_i16_e32 vcc_lo, 28, v12
	s_cbranch_vccz .LBB31_1551
; %bb.1545:
	v_cmp_lt_i16_e32 vcc_lo, 43, v12
	;; [unrolled: 3-line block ×3, first 2 shown]
	s_cbranch_vccz .LBB31_1555
; %bb.1547:
	v_cmp_eq_u16_e32 vcc_lo, 46, v12
	s_mov_b32 s7, 0
	s_cbranch_vccz .LBB31_1558
; %bb.1548:
	global_load_b32 v6, v[4:5], off
	s_mov_b32 s2, 0
	s_mov_b32 s6, -1
	s_waitcnt vmcnt(0)
	v_lshlrev_b32_e32 v6, 16, v6
	s_delay_alu instid0(VALU_DEP_1)
	v_cvt_i32_f32_e32 v9, v6
	s_branch .LBB31_1560
.LBB31_1549:
	s_mov_b32 s2, -1
                                        ; implicit-def: $vgpr9
	s_branch .LBB31_1622
.LBB31_1550:
	s_mov_b32 s7, -1
	s_mov_b32 s2, 0
                                        ; implicit-def: $vgpr9
	s_branch .LBB31_1587
.LBB31_1551:
	s_mov_b32 s7, -1
	s_mov_b32 s2, 0
                                        ; implicit-def: $vgpr9
	s_branch .LBB31_1570
.LBB31_1552:
	s_mov_b32 s7, -1
	s_mov_b32 s2, 0
                                        ; implicit-def: $vgpr9
	s_branch .LBB31_1565
.LBB31_1553:
	s_cbranch_execnz .LBB31_1556
; %bb.1554:
	s_or_b32 s1, s1, exec_lo
                                        ; implicit-def: $vgpr8
	s_cbranch_execz .LBB31_1539
	s_branch .LBB31_1540
.LBB31_1555:
	s_mov_b32 s7, -1
	s_mov_b32 s2, 0
	s_branch .LBB31_1559
.LBB31_1556:
	s_trap 2
	s_sendmsg_rtn_b32 s0, sendmsg(MSG_RTN_GET_DOORBELL)
	s_mov_b32 ttmp2, m0
	s_waitcnt lgkmcnt(0)
	s_and_b32 s0, s0, 0x3ff
	s_delay_alu instid0(SALU_CYCLE_1) | instskip(NEXT) | instid1(SALU_CYCLE_1)
	s_bitset1_b32 s0, 10
	s_mov_b32 m0, s0
	s_sendmsg sendmsg(MSG_INTERRUPT)
	s_mov_b32 m0, ttmp2
.LBB31_1557:                            ; =>This Inner Loop Header: Depth=1
	s_sethalt 5
	s_branch .LBB31_1557
.LBB31_1558:
	s_mov_b32 s2, -1
.LBB31_1559:
                                        ; implicit-def: $vgpr9
.LBB31_1560:
	s_and_b32 vcc_lo, exec_lo, s7
	s_cbranch_vccz .LBB31_1564
; %bb.1561:
	v_cmp_eq_u16_e32 vcc_lo, 44, v12
	s_cbranch_vccz .LBB31_1563
; %bb.1562:
	global_load_u8 v6, v[4:5], off
	s_mov_b32 s2, 0
	s_mov_b32 s6, -1
	s_waitcnt vmcnt(0)
	v_lshlrev_b32_e32 v7, 23, v6
	v_cmp_ne_u32_e32 vcc_lo, 0, v6
	s_delay_alu instid0(VALU_DEP_2) | instskip(NEXT) | instid1(VALU_DEP_1)
	v_cvt_i32_f32_e32 v7, v7
	v_cndmask_b32_e32 v9, 0, v7, vcc_lo
	s_branch .LBB31_1564
.LBB31_1563:
	s_mov_b32 s2, -1
                                        ; implicit-def: $vgpr9
.LBB31_1564:
	s_mov_b32 s7, 0
.LBB31_1565:
	s_delay_alu instid0(SALU_CYCLE_1)
	s_and_b32 vcc_lo, exec_lo, s7
	s_cbranch_vccz .LBB31_1569
; %bb.1566:
	v_cmp_eq_u16_e32 vcc_lo, 29, v12
	s_cbranch_vccz .LBB31_1568
; %bb.1567:
	global_load_b32 v9, v[4:5], off
	s_mov_b32 s2, 0
	s_mov_b32 s6, -1
	s_branch .LBB31_1569
.LBB31_1568:
	s_mov_b32 s2, -1
                                        ; implicit-def: $vgpr9
.LBB31_1569:
	s_mov_b32 s7, 0
.LBB31_1570:
	s_delay_alu instid0(SALU_CYCLE_1)
	s_and_b32 vcc_lo, exec_lo, s7
	s_cbranch_vccz .LBB31_1586
; %bb.1571:
	v_cmp_gt_i16_e32 vcc_lo, 27, v12
	s_cbranch_vccnz .LBB31_1574
; %bb.1572:
	v_cmp_lt_i16_e32 vcc_lo, 27, v12
	s_cbranch_vccz .LBB31_1575
; %bb.1573:
	global_load_b32 v9, v[4:5], off
	s_mov_b32 s6, 0
	s_branch .LBB31_1576
.LBB31_1574:
	s_mov_b32 s6, -1
                                        ; implicit-def: $vgpr9
	s_branch .LBB31_1579
.LBB31_1575:
	s_mov_b32 s6, -1
                                        ; implicit-def: $vgpr9
.LBB31_1576:
	s_delay_alu instid0(SALU_CYCLE_1)
	s_and_not1_b32 vcc_lo, exec_lo, s6
	s_cbranch_vccnz .LBB31_1578
; %bb.1577:
	global_load_u16 v9, v[4:5], off
.LBB31_1578:
	s_mov_b32 s6, 0
.LBB31_1579:
	s_delay_alu instid0(SALU_CYCLE_1)
	s_and_not1_b32 vcc_lo, exec_lo, s6
	s_cbranch_vccnz .LBB31_1585
; %bb.1580:
	global_load_u8 v6, v[4:5], off
	s_mov_b32 s6, 0
	s_mov_b32 s7, exec_lo
                                        ; implicit-def: $sgpr10
	s_waitcnt vmcnt(0)
	v_cmpx_lt_i16_e32 0x7f, v6
	s_xor_b32 s7, exec_lo, s7
	s_cbranch_execz .LBB31_1597
; %bb.1581:
	v_cmp_ne_u16_e32 vcc_lo, 0x80, v6
	s_mov_b32 s10, 0
	s_and_b32 s6, vcc_lo, exec_lo
	s_or_saveexec_b32 s7, s7
	v_mov_b32_e32 v9, s10
	s_xor_b32 exec_lo, exec_lo, s7
	s_cbranch_execnz .LBB31_1598
.LBB31_1582:
	s_or_b32 exec_lo, exec_lo, s7
	s_and_saveexec_b32 s7, s6
	s_cbranch_execz .LBB31_1584
.LBB31_1583:
	v_and_b32_e32 v7, 0xffff, v6
	v_lshlrev_b32_e32 v6, 24, v6
	s_delay_alu instid0(VALU_DEP_2) | instskip(NEXT) | instid1(VALU_DEP_2)
	v_and_b32_e32 v9, 7, v7
	v_and_b32_e32 v6, 0x80000000, v6
	s_delay_alu instid0(VALU_DEP_2) | instskip(NEXT) | instid1(VALU_DEP_1)
	v_clz_i32_u32_e32 v13, v9
	v_min_u32_e32 v13, 32, v13
	s_delay_alu instid0(VALU_DEP_1) | instskip(SKIP_1) | instid1(VALU_DEP_2)
	v_subrev_nc_u32_e32 v14, 28, v13
	v_sub_nc_u32_e32 v13, 29, v13
	v_lshlrev_b32_e32 v14, v14, v7
	v_bfe_u32 v7, v7, 3, 4
	s_delay_alu instid0(VALU_DEP_1) | instskip(NEXT) | instid1(VALU_DEP_3)
	v_cmp_eq_u32_e32 vcc_lo, 0, v7
	v_dual_cndmask_b32 v7, v7, v13 :: v_dual_and_b32 v14, 7, v14
	s_delay_alu instid0(VALU_DEP_1) | instskip(NEXT) | instid1(VALU_DEP_2)
	v_lshl_add_u32 v7, v7, 23, 0x3b800000
	v_cndmask_b32_e32 v9, v9, v14, vcc_lo
	s_delay_alu instid0(VALU_DEP_1) | instskip(NEXT) | instid1(VALU_DEP_1)
	v_lshlrev_b32_e32 v9, 20, v9
	v_or3_b32 v6, v6, v7, v9
	s_delay_alu instid0(VALU_DEP_1)
	v_cvt_i32_f32_e32 v9, v6
.LBB31_1584:
	s_or_b32 exec_lo, exec_lo, s7
.LBB31_1585:
	s_mov_b32 s6, -1
.LBB31_1586:
	s_mov_b32 s7, 0
.LBB31_1587:
	s_delay_alu instid0(SALU_CYCLE_1)
	s_and_b32 vcc_lo, exec_lo, s7
	s_cbranch_vccz .LBB31_1618
; %bb.1588:
	v_cmp_lt_i16_e32 vcc_lo, 22, v12
	s_cbranch_vccz .LBB31_1596
; %bb.1589:
	v_cmp_gt_i16_e32 vcc_lo, 24, v12
	s_cbranch_vccnz .LBB31_1599
; %bb.1590:
	v_cmp_lt_i16_e32 vcc_lo, 24, v12
	s_cbranch_vccz .LBB31_1600
; %bb.1591:
	global_load_u8 v6, v[4:5], off
	s_mov_b32 s6, exec_lo
                                        ; implicit-def: $sgpr7
	s_waitcnt vmcnt(0)
	v_cmpx_lt_i16_e32 0x7f, v6
	s_xor_b32 s6, exec_lo, s6
	s_cbranch_execz .LBB31_1612
; %bb.1592:
	v_cmp_ne_u16_e32 vcc_lo, 0x80, v6
	s_mov_b32 s7, 0
	s_and_b32 s3, vcc_lo, exec_lo
	s_or_saveexec_b32 s6, s6
	v_mov_b32_e32 v9, s7
	s_xor_b32 exec_lo, exec_lo, s6
	s_cbranch_execnz .LBB31_1613
.LBB31_1593:
	s_or_b32 exec_lo, exec_lo, s6
	s_and_saveexec_b32 s6, s3
	s_cbranch_execz .LBB31_1595
.LBB31_1594:
	v_and_b32_e32 v7, 0xffff, v6
	v_lshlrev_b32_e32 v6, 24, v6
	s_delay_alu instid0(VALU_DEP_2) | instskip(NEXT) | instid1(VALU_DEP_2)
	v_and_b32_e32 v9, 3, v7
	v_and_b32_e32 v6, 0x80000000, v6
	s_delay_alu instid0(VALU_DEP_2) | instskip(NEXT) | instid1(VALU_DEP_1)
	v_clz_i32_u32_e32 v13, v9
	v_min_u32_e32 v13, 32, v13
	s_delay_alu instid0(VALU_DEP_1) | instskip(SKIP_1) | instid1(VALU_DEP_2)
	v_subrev_nc_u32_e32 v14, 29, v13
	v_sub_nc_u32_e32 v13, 30, v13
	v_lshlrev_b32_e32 v14, v14, v7
	v_bfe_u32 v7, v7, 2, 5
	s_delay_alu instid0(VALU_DEP_1) | instskip(NEXT) | instid1(VALU_DEP_3)
	v_cmp_eq_u32_e32 vcc_lo, 0, v7
	v_dual_cndmask_b32 v7, v7, v13 :: v_dual_and_b32 v14, 3, v14
	s_delay_alu instid0(VALU_DEP_1) | instskip(NEXT) | instid1(VALU_DEP_2)
	v_lshl_add_u32 v7, v7, 23, 0x37800000
	v_cndmask_b32_e32 v9, v9, v14, vcc_lo
	s_delay_alu instid0(VALU_DEP_1) | instskip(NEXT) | instid1(VALU_DEP_1)
	v_lshlrev_b32_e32 v9, 21, v9
	v_or3_b32 v6, v6, v7, v9
	s_delay_alu instid0(VALU_DEP_1)
	v_cvt_i32_f32_e32 v9, v6
.LBB31_1595:
	s_or_b32 exec_lo, exec_lo, s6
	s_mov_b32 s3, 0
	s_branch .LBB31_1601
.LBB31_1596:
	s_mov_b32 s3, -1
                                        ; implicit-def: $vgpr9
	s_branch .LBB31_1607
.LBB31_1597:
	s_or_saveexec_b32 s7, s7
	v_mov_b32_e32 v9, s10
	s_xor_b32 exec_lo, exec_lo, s7
	s_cbranch_execz .LBB31_1582
.LBB31_1598:
	v_cmp_ne_u16_e32 vcc_lo, 0, v6
	v_mov_b32_e32 v9, 0
	s_and_not1_b32 s6, s6, exec_lo
	s_and_b32 s10, vcc_lo, exec_lo
	s_delay_alu instid0(SALU_CYCLE_1)
	s_or_b32 s6, s6, s10
	s_or_b32 exec_lo, exec_lo, s7
	s_and_saveexec_b32 s7, s6
	s_cbranch_execnz .LBB31_1583
	s_branch .LBB31_1584
.LBB31_1599:
	s_mov_b32 s3, -1
                                        ; implicit-def: $vgpr9
	s_branch .LBB31_1604
.LBB31_1600:
	s_mov_b32 s3, -1
                                        ; implicit-def: $vgpr9
.LBB31_1601:
	s_delay_alu instid0(SALU_CYCLE_1)
	s_and_b32 vcc_lo, exec_lo, s3
	s_cbranch_vccz .LBB31_1603
; %bb.1602:
	global_load_u8 v6, v[4:5], off
	s_waitcnt vmcnt(0)
	v_lshlrev_b32_e32 v6, 24, v6
	s_delay_alu instid0(VALU_DEP_1) | instskip(NEXT) | instid1(VALU_DEP_1)
	v_and_b32_e32 v7, 0x7f000000, v6
	v_clz_i32_u32_e32 v9, v7
	v_add_nc_u32_e32 v14, 0x1000000, v7
	v_cmp_ne_u32_e32 vcc_lo, 0, v7
	s_delay_alu instid0(VALU_DEP_3) | instskip(NEXT) | instid1(VALU_DEP_1)
	v_min_u32_e32 v9, 32, v9
	v_sub_nc_u32_e64 v9, v9, 4 clamp
	s_delay_alu instid0(VALU_DEP_1) | instskip(SKIP_1) | instid1(VALU_DEP_2)
	v_lshlrev_b32_e32 v13, v9, v7
	v_lshlrev_b32_e32 v9, 23, v9
	v_lshrrev_b32_e32 v13, 4, v13
	s_delay_alu instid0(VALU_DEP_1) | instskip(SKIP_1) | instid1(VALU_DEP_2)
	v_sub_nc_u32_e32 v9, v13, v9
	v_ashrrev_i32_e32 v13, 8, v14
	v_add_nc_u32_e32 v9, 0x3c000000, v9
	s_delay_alu instid0(VALU_DEP_1) | instskip(NEXT) | instid1(VALU_DEP_1)
	v_and_or_b32 v9, 0x7f800000, v13, v9
	v_cndmask_b32_e32 v7, 0, v9, vcc_lo
	s_delay_alu instid0(VALU_DEP_1) | instskip(NEXT) | instid1(VALU_DEP_1)
	v_and_or_b32 v6, 0x80000000, v6, v7
	v_cvt_i32_f32_e32 v9, v6
.LBB31_1603:
	s_mov_b32 s3, 0
.LBB31_1604:
	s_delay_alu instid0(SALU_CYCLE_1)
	s_and_not1_b32 vcc_lo, exec_lo, s3
	s_cbranch_vccnz .LBB31_1606
; %bb.1605:
	global_load_u8 v6, v[4:5], off
	s_waitcnt vmcnt(0)
	v_lshlrev_b32_e32 v7, 25, v6
	v_lshlrev_b16 v6, 8, v6
	s_delay_alu instid0(VALU_DEP_2) | instskip(NEXT) | instid1(VALU_DEP_2)
	v_lshrrev_b32_e32 v9, 4, v7
	v_and_or_b32 v13, 0x7f00, v6, 0.5
	v_cmp_gt_u32_e32 vcc_lo, 0x8000000, v7
	v_bfe_i32 v6, v6, 0, 16
	s_delay_alu instid0(VALU_DEP_4) | instskip(NEXT) | instid1(VALU_DEP_4)
	v_or_b32_e32 v9, 0x70000000, v9
	v_add_f32_e32 v13, -0.5, v13
	s_delay_alu instid0(VALU_DEP_2) | instskip(NEXT) | instid1(VALU_DEP_1)
	v_mul_f32_e32 v9, 0x7800000, v9
	v_cndmask_b32_e32 v7, v9, v13, vcc_lo
	s_delay_alu instid0(VALU_DEP_1) | instskip(NEXT) | instid1(VALU_DEP_1)
	v_and_or_b32 v6, 0x80000000, v6, v7
	v_cvt_i32_f32_e32 v9, v6
.LBB31_1606:
	s_mov_b32 s3, 0
	s_mov_b32 s6, -1
.LBB31_1607:
	s_and_not1_b32 vcc_lo, exec_lo, s3
	s_mov_b32 s3, 0
	s_cbranch_vccnz .LBB31_1618
; %bb.1608:
	v_cmp_lt_i16_e32 vcc_lo, 14, v12
	s_cbranch_vccz .LBB31_1611
; %bb.1609:
	v_cmp_eq_u16_e32 vcc_lo, 15, v12
	s_cbranch_vccz .LBB31_1614
; %bb.1610:
	global_load_u16 v6, v[4:5], off
	s_mov_b32 s2, 0
	s_mov_b32 s6, -1
	s_waitcnt vmcnt(0)
	v_lshlrev_b32_e32 v6, 16, v6
	s_delay_alu instid0(VALU_DEP_1)
	v_cvt_i32_f32_e32 v9, v6
	s_branch .LBB31_1616
.LBB31_1611:
	s_mov_b32 s3, -1
	s_branch .LBB31_1615
.LBB31_1612:
	s_or_saveexec_b32 s6, s6
	v_mov_b32_e32 v9, s7
	s_xor_b32 exec_lo, exec_lo, s6
	s_cbranch_execz .LBB31_1593
.LBB31_1613:
	v_cmp_ne_u16_e32 vcc_lo, 0, v6
	v_mov_b32_e32 v9, 0
	s_and_not1_b32 s3, s3, exec_lo
	s_and_b32 s7, vcc_lo, exec_lo
	s_delay_alu instid0(SALU_CYCLE_1)
	s_or_b32 s3, s3, s7
	s_or_b32 exec_lo, exec_lo, s6
	s_and_saveexec_b32 s6, s3
	s_cbranch_execnz .LBB31_1594
	s_branch .LBB31_1595
.LBB31_1614:
	s_mov_b32 s2, -1
.LBB31_1615:
                                        ; implicit-def: $vgpr9
.LBB31_1616:
	s_and_b32 vcc_lo, exec_lo, s3
	s_mov_b32 s3, 0
	s_cbranch_vccz .LBB31_1618
; %bb.1617:
	v_cmp_ne_u16_e64 s2, 11, v12
	s_mov_b32 s3, -1
                                        ; implicit-def: $vgpr9
.LBB31_1618:
	s_delay_alu instid0(VALU_DEP_1)
	s_and_b32 vcc_lo, exec_lo, s2
	s_cbranch_vccnz .LBB31_2103
; %bb.1619:
	s_and_not1_b32 vcc_lo, exec_lo, s3
	s_cbranch_vccnz .LBB31_1621
.LBB31_1620:
	global_load_u8 v6, v[4:5], off
	s_mov_b32 s6, -1
	s_waitcnt vmcnt(0)
	v_cmp_ne_u16_e32 vcc_lo, 0, v6
	v_cndmask_b32_e64 v9, 0, 1, vcc_lo
.LBB31_1621:
	s_mov_b32 s2, 0
.LBB31_1622:
	s_delay_alu instid0(SALU_CYCLE_1)
	s_and_b32 vcc_lo, exec_lo, s2
	s_cbranch_vccz .LBB31_1671
; %bb.1623:
	v_cmp_gt_i16_e32 vcc_lo, 5, v12
	s_cbranch_vccnz .LBB31_1628
; %bb.1624:
	v_cmp_gt_i16_e32 vcc_lo, 8, v12
	s_cbranch_vccnz .LBB31_1629
	;; [unrolled: 3-line block ×3, first 2 shown]
; %bb.1626:
	v_cmp_lt_i16_e32 vcc_lo, 9, v12
	s_cbranch_vccz .LBB31_1631
; %bb.1627:
	global_load_b64 v[6:7], v[4:5], off
	s_mov_b32 s2, 0
	s_waitcnt vmcnt(0)
	v_cvt_i32_f64_e32 v9, v[6:7]
	s_branch .LBB31_1632
.LBB31_1628:
	s_mov_b32 s2, -1
                                        ; implicit-def: $vgpr9
	s_branch .LBB31_1650
.LBB31_1629:
	s_mov_b32 s2, -1
                                        ; implicit-def: $vgpr9
	s_branch .LBB31_1638
.LBB31_1630:
	s_mov_b32 s2, -1
                                        ; implicit-def: $vgpr9
	s_branch .LBB31_1635
.LBB31_1631:
	s_mov_b32 s2, -1
                                        ; implicit-def: $vgpr9
.LBB31_1632:
	s_delay_alu instid0(SALU_CYCLE_1)
	s_and_not1_b32 vcc_lo, exec_lo, s2
	s_cbranch_vccnz .LBB31_1634
; %bb.1633:
	global_load_b32 v6, v[4:5], off
	s_waitcnt vmcnt(0)
	v_cvt_i32_f32_e32 v9, v6
.LBB31_1634:
	s_mov_b32 s2, 0
.LBB31_1635:
	s_delay_alu instid0(SALU_CYCLE_1)
	s_and_not1_b32 vcc_lo, exec_lo, s2
	s_cbranch_vccnz .LBB31_1637
; %bb.1636:
	global_load_b32 v6, v[4:5], off
	s_waitcnt vmcnt(0)
	v_cvt_f32_f16_e32 v6, v6
	s_delay_alu instid0(VALU_DEP_1)
	v_cvt_i32_f32_e32 v9, v6
.LBB31_1637:
	s_mov_b32 s2, 0
.LBB31_1638:
	s_delay_alu instid0(SALU_CYCLE_1)
	s_and_not1_b32 vcc_lo, exec_lo, s2
	s_cbranch_vccnz .LBB31_1649
; %bb.1639:
	v_cmp_gt_i16_e32 vcc_lo, 6, v12
	s_cbranch_vccnz .LBB31_1642
; %bb.1640:
	v_cmp_lt_i16_e32 vcc_lo, 6, v12
	s_cbranch_vccz .LBB31_1643
; %bb.1641:
	global_load_b64 v[6:7], v[4:5], off
	s_mov_b32 s2, 0
	s_waitcnt vmcnt(0)
	v_cvt_i32_f64_e32 v9, v[6:7]
	s_branch .LBB31_1644
.LBB31_1642:
	s_mov_b32 s2, -1
                                        ; implicit-def: $vgpr9
	s_branch .LBB31_1647
.LBB31_1643:
	s_mov_b32 s2, -1
                                        ; implicit-def: $vgpr9
.LBB31_1644:
	s_delay_alu instid0(SALU_CYCLE_1)
	s_and_not1_b32 vcc_lo, exec_lo, s2
	s_cbranch_vccnz .LBB31_1646
; %bb.1645:
	global_load_b32 v6, v[4:5], off
	s_waitcnt vmcnt(0)
	v_cvt_i32_f32_e32 v9, v6
.LBB31_1646:
	s_mov_b32 s2, 0
.LBB31_1647:
	s_delay_alu instid0(SALU_CYCLE_1)
	s_and_not1_b32 vcc_lo, exec_lo, s2
	s_cbranch_vccnz .LBB31_1649
; %bb.1648:
	global_load_u16 v6, v[4:5], off
	s_waitcnt vmcnt(0)
	v_cvt_f32_f16_e32 v6, v6
	s_delay_alu instid0(VALU_DEP_1)
	v_cvt_i32_f32_e32 v9, v6
.LBB31_1649:
	s_mov_b32 s2, 0
.LBB31_1650:
	s_delay_alu instid0(SALU_CYCLE_1)
	s_and_not1_b32 vcc_lo, exec_lo, s2
	s_cbranch_vccnz .LBB31_1670
; %bb.1651:
	v_cmp_gt_i16_e32 vcc_lo, 2, v12
	s_cbranch_vccnz .LBB31_1655
; %bb.1652:
	v_cmp_gt_i16_e32 vcc_lo, 3, v12
	s_cbranch_vccnz .LBB31_1656
; %bb.1653:
	v_cmp_lt_i16_e32 vcc_lo, 3, v12
	s_cbranch_vccz .LBB31_1657
; %bb.1654:
	global_load_b32 v9, v[4:5], off
	s_mov_b32 s2, 0
	s_branch .LBB31_1658
.LBB31_1655:
	s_mov_b32 s2, -1
                                        ; implicit-def: $vgpr9
	s_branch .LBB31_1664
.LBB31_1656:
	s_mov_b32 s2, -1
                                        ; implicit-def: $vgpr9
	s_branch .LBB31_1661
.LBB31_1657:
	s_mov_b32 s2, -1
                                        ; implicit-def: $vgpr9
.LBB31_1658:
	s_delay_alu instid0(SALU_CYCLE_1)
	s_and_not1_b32 vcc_lo, exec_lo, s2
	s_cbranch_vccnz .LBB31_1660
; %bb.1659:
	global_load_b32 v9, v[4:5], off
.LBB31_1660:
	s_mov_b32 s2, 0
.LBB31_1661:
	s_delay_alu instid0(SALU_CYCLE_1)
	s_and_not1_b32 vcc_lo, exec_lo, s2
	s_cbranch_vccnz .LBB31_1663
; %bb.1662:
	global_load_i16 v9, v[4:5], off
.LBB31_1663:
	s_mov_b32 s2, 0
.LBB31_1664:
	s_delay_alu instid0(SALU_CYCLE_1)
	s_and_not1_b32 vcc_lo, exec_lo, s2
	s_cbranch_vccnz .LBB31_1670
; %bb.1665:
	v_cmp_lt_i16_e32 vcc_lo, 0, v12
	s_mov_b32 s2, 0
	s_cbranch_vccz .LBB31_1667
; %bb.1666:
	global_load_i8 v9, v[4:5], off
	s_branch .LBB31_1668
.LBB31_1667:
	s_mov_b32 s2, -1
                                        ; implicit-def: $vgpr9
.LBB31_1668:
	s_delay_alu instid0(SALU_CYCLE_1)
	s_and_not1_b32 vcc_lo, exec_lo, s2
	s_cbranch_vccnz .LBB31_1670
; %bb.1669:
	global_load_u8 v9, v[4:5], off
.LBB31_1670:
	s_mov_b32 s6, -1
.LBB31_1671:
	s_delay_alu instid0(SALU_CYCLE_1)
	s_and_not1_b32 vcc_lo, exec_lo, s6
	s_cbranch_vccnz .LBB31_2102
; %bb.1672:
	s_lshr_b32 s0, s0, 8
	s_waitcnt vmcnt(0)
	v_not_b32_e32 v4, v11
	v_and_b32_e64 v12, 0xff, s0
	v_add_co_u32 v6, s0, s4, v3
	s_delay_alu instid0(VALU_DEP_1) | instskip(NEXT) | instid1(VALU_DEP_3)
	v_add_co_ci_u32_e64 v7, null, s5, 0, s0
	v_cmp_gt_i16_e32 vcc_lo, 11, v12
	s_mov_b32 s3, 0
	s_mov_b32 s0, -1
	s_cbranch_vccnz .LBB31_1750
; %bb.1673:
	v_cmp_lt_i16_e32 vcc_lo, 25, v12
	s_mov_b32 s6, -1
	s_mov_b32 s2, 0
	s_mov_b32 s0, 0
	s_cbranch_vccz .LBB31_1706
; %bb.1674:
	v_cmp_lt_i16_e32 vcc_lo, 28, v12
	s_cbranch_vccz .LBB31_1689
; %bb.1675:
	v_cmp_lt_i16_e32 vcc_lo, 43, v12
	;; [unrolled: 3-line block ×3, first 2 shown]
	s_cbranch_vccz .LBB31_1679
; %bb.1677:
	v_cmp_eq_u16_e32 vcc_lo, 46, v12
	s_mov_b32 s0, -1
	s_mov_b32 s6, 0
	s_cbranch_vccz .LBB31_1679
; %bb.1678:
	v_cvt_f32_i32_e32 v3, v4
	s_mov_b32 s0, 0
	s_mov_b32 s3, -1
	s_delay_alu instid0(VALU_DEP_1) | instskip(NEXT) | instid1(VALU_DEP_1)
	v_bfe_u32 v5, v3, 16, 1
	v_add3_u32 v3, v3, v5, 0x7fff
	s_delay_alu instid0(VALU_DEP_1)
	v_lshrrev_b32_e32 v3, 16, v3
	global_store_b32 v[6:7], v3, off
.LBB31_1679:
	s_and_b32 vcc_lo, exec_lo, s6
	s_cbranch_vccz .LBB31_1684
; %bb.1680:
	v_cmp_eq_u16_e32 vcc_lo, 44, v12
	s_mov_b32 s0, -1
	s_cbranch_vccz .LBB31_1684
; %bb.1681:
	v_cvt_f32_i32_e32 v3, v4
	v_mov_b32_e32 v5, 0xff
	s_mov_b32 s3, exec_lo
	s_delay_alu instid0(VALU_DEP_2) | instskip(NEXT) | instid1(VALU_DEP_1)
	v_bfe_u32 v13, v3, 23, 8
	v_cmpx_ne_u32_e32 0xff, v13
; %bb.1682:
	v_and_b32_e32 v5, 0x400000, v3
	v_and_or_b32 v13, 0x3fffff, v3, v13
	v_lshrrev_b32_e32 v3, 23, v3
	s_delay_alu instid0(VALU_DEP_3) | instskip(NEXT) | instid1(VALU_DEP_3)
	v_cmp_ne_u32_e32 vcc_lo, 0, v5
	v_cmp_ne_u32_e64 s0, 0, v13
	s_delay_alu instid0(VALU_DEP_1) | instskip(NEXT) | instid1(SALU_CYCLE_1)
	s_and_b32 s0, vcc_lo, s0
	v_cndmask_b32_e64 v5, 0, 1, s0
	s_delay_alu instid0(VALU_DEP_1)
	v_add_nc_u32_e32 v5, v3, v5
; %bb.1683:
	s_or_b32 exec_lo, exec_lo, s3
	s_mov_b32 s0, 0
	s_mov_b32 s3, -1
	global_store_b8 v[6:7], v5, off
.LBB31_1684:
	s_mov_b32 s6, 0
.LBB31_1685:
	s_delay_alu instid0(SALU_CYCLE_1)
	s_and_b32 vcc_lo, exec_lo, s6
	s_cbranch_vccz .LBB31_1688
; %bb.1686:
	v_cmp_eq_u16_e32 vcc_lo, 29, v12
	s_mov_b32 s0, -1
	s_cbranch_vccz .LBB31_1688
; %bb.1687:
	v_ashrrev_i32_e32 v5, 31, v4
	s_mov_b32 s0, 0
	s_mov_b32 s3, -1
	global_store_b64 v[6:7], v[4:5], off
.LBB31_1688:
	s_mov_b32 s6, 0
.LBB31_1689:
	s_delay_alu instid0(SALU_CYCLE_1)
	s_and_b32 vcc_lo, exec_lo, s6
	s_cbranch_vccz .LBB31_1705
; %bb.1690:
	v_cmp_gt_i16_e32 vcc_lo, 27, v12
	s_mov_b32 s3, -1
	s_cbranch_vccnz .LBB31_1696
; %bb.1691:
	v_cmp_lt_i16_e32 vcc_lo, 27, v12
	s_cbranch_vccz .LBB31_1693
; %bb.1692:
	s_mov_b32 s3, 0
	global_store_b32 v[6:7], v4, off
.LBB31_1693:
	s_and_not1_b32 vcc_lo, exec_lo, s3
	s_cbranch_vccnz .LBB31_1695
; %bb.1694:
	global_store_b16 v[6:7], v4, off
.LBB31_1695:
	s_mov_b32 s3, 0
.LBB31_1696:
	s_delay_alu instid0(SALU_CYCLE_1)
	s_and_not1_b32 vcc_lo, exec_lo, s3
	s_cbranch_vccnz .LBB31_1704
; %bb.1697:
	v_cvt_f32_i32_e32 v3, v4
	v_mov_b32_e32 v13, 0x80
	s_mov_b32 s3, exec_lo
	s_delay_alu instid0(VALU_DEP_2) | instskip(NEXT) | instid1(VALU_DEP_1)
	v_and_b32_e32 v5, 0x7fffffff, v3
	v_cmpx_gt_u32_e32 0x43800000, v5
	s_cbranch_execz .LBB31_1703
; %bb.1698:
	v_cmp_lt_u32_e32 vcc_lo, 0x3bffffff, v5
	s_mov_b32 s6, 0
                                        ; implicit-def: $vgpr5
	s_and_saveexec_b32 s7, vcc_lo
	s_delay_alu instid0(SALU_CYCLE_1)
	s_xor_b32 s7, exec_lo, s7
	s_cbranch_execz .LBB31_2105
; %bb.1699:
	v_bfe_u32 v5, v3, 20, 1
	s_mov_b32 s6, exec_lo
	s_delay_alu instid0(VALU_DEP_1) | instskip(NEXT) | instid1(VALU_DEP_1)
	v_add3_u32 v5, v3, v5, 0x487ffff
	v_lshrrev_b32_e32 v5, 20, v5
	s_or_saveexec_b32 s7, s7
                                        ; implicit-def: $sgpr10
	s_delay_alu instid0(SALU_CYCLE_1)
	s_xor_b32 exec_lo, exec_lo, s7
	s_cbranch_execnz .LBB31_2106
.LBB31_1700:
	s_or_b32 exec_lo, exec_lo, s7
	v_mov_b32_e32 v13, s10
	s_and_saveexec_b32 s7, s6
.LBB31_1701:
	v_lshrrev_b32_e32 v3, 24, v3
	s_delay_alu instid0(VALU_DEP_1)
	v_and_or_b32 v13, 0x80, v3, v5
.LBB31_1702:
	s_or_b32 exec_lo, exec_lo, s7
.LBB31_1703:
	s_delay_alu instid0(SALU_CYCLE_1)
	s_or_b32 exec_lo, exec_lo, s3
	global_store_b8 v[6:7], v13, off
.LBB31_1704:
	s_mov_b32 s3, -1
.LBB31_1705:
	s_mov_b32 s6, 0
.LBB31_1706:
	s_delay_alu instid0(SALU_CYCLE_1)
	s_and_b32 vcc_lo, exec_lo, s6
	s_cbranch_vccz .LBB31_1746
; %bb.1707:
	v_cmp_lt_i16_e32 vcc_lo, 22, v12
	s_mov_b32 s2, -1
	s_cbranch_vccz .LBB31_1739
; %bb.1708:
	v_cmp_gt_i16_e32 vcc_lo, 24, v12
	s_cbranch_vccnz .LBB31_1728
; %bb.1709:
	v_cmp_lt_i16_e32 vcc_lo, 24, v12
	s_cbranch_vccz .LBB31_1717
; %bb.1710:
	v_cvt_f32_i32_e32 v3, v4
	v_mov_b32_e32 v13, 0x80
	s_mov_b32 s2, exec_lo
	s_delay_alu instid0(VALU_DEP_2) | instskip(NEXT) | instid1(VALU_DEP_1)
	v_and_b32_e32 v5, 0x7fffffff, v3
	v_cmpx_gt_u32_e32 0x47800000, v5
	s_cbranch_execz .LBB31_1716
; %bb.1711:
	v_cmp_lt_u32_e32 vcc_lo, 0x37ffffff, v5
	s_mov_b32 s3, 0
                                        ; implicit-def: $vgpr5
	s_and_saveexec_b32 s6, vcc_lo
	s_delay_alu instid0(SALU_CYCLE_1)
	s_xor_b32 s6, exec_lo, s6
	s_cbranch_execz .LBB31_2111
; %bb.1712:
	v_bfe_u32 v5, v3, 21, 1
	s_mov_b32 s3, exec_lo
	s_delay_alu instid0(VALU_DEP_1) | instskip(NEXT) | instid1(VALU_DEP_1)
	v_add3_u32 v5, v3, v5, 0x88fffff
	v_lshrrev_b32_e32 v5, 21, v5
	s_or_saveexec_b32 s6, s6
                                        ; implicit-def: $sgpr7
	s_delay_alu instid0(SALU_CYCLE_1)
	s_xor_b32 exec_lo, exec_lo, s6
	s_cbranch_execnz .LBB31_2112
.LBB31_1713:
	s_or_b32 exec_lo, exec_lo, s6
	v_mov_b32_e32 v13, s7
	s_and_saveexec_b32 s6, s3
.LBB31_1714:
	v_lshrrev_b32_e32 v3, 24, v3
	s_delay_alu instid0(VALU_DEP_1)
	v_and_or_b32 v13, 0x80, v3, v5
.LBB31_1715:
	s_or_b32 exec_lo, exec_lo, s6
.LBB31_1716:
	s_delay_alu instid0(SALU_CYCLE_1)
	s_or_b32 exec_lo, exec_lo, s2
	s_mov_b32 s2, 0
	global_store_b8 v[6:7], v13, off
.LBB31_1717:
	s_and_b32 vcc_lo, exec_lo, s2
	s_cbranch_vccz .LBB31_1727
; %bb.1718:
	v_cvt_f32_i32_e32 v3, v4
	s_mov_b32 s2, exec_lo
                                        ; implicit-def: $vgpr5
	s_delay_alu instid0(VALU_DEP_1) | instskip(NEXT) | instid1(VALU_DEP_1)
	v_and_b32_e32 v13, 0x7fffffff, v3
	v_cmpx_gt_u32_e32 0x43f00000, v13
	s_xor_b32 s2, exec_lo, s2
	s_cbranch_execz .LBB31_1724
; %bb.1719:
	s_mov_b32 s3, exec_lo
                                        ; implicit-def: $vgpr5
	v_cmpx_lt_u32_e32 0x3c7fffff, v13
	s_xor_b32 s3, exec_lo, s3
; %bb.1720:
	v_bfe_u32 v5, v3, 20, 1
	s_delay_alu instid0(VALU_DEP_1) | instskip(NEXT) | instid1(VALU_DEP_1)
	v_add3_u32 v5, v3, v5, 0x407ffff
	v_and_b32_e32 v13, 0xff00000, v5
	v_lshrrev_b32_e32 v5, 20, v5
	s_delay_alu instid0(VALU_DEP_2) | instskip(NEXT) | instid1(VALU_DEP_2)
	v_cmp_ne_u32_e32 vcc_lo, 0x7f00000, v13
	v_cndmask_b32_e32 v5, 0x7e, v5, vcc_lo
; %bb.1721:
	s_and_not1_saveexec_b32 s3, s3
; %bb.1722:
	v_add_f32_e64 v5, 0x46800000, |v3|
; %bb.1723:
	s_or_b32 exec_lo, exec_lo, s3
                                        ; implicit-def: $vgpr13
.LBB31_1724:
	s_and_not1_saveexec_b32 s2, s2
; %bb.1725:
	v_mov_b32_e32 v5, 0x7f
	v_cmp_lt_u32_e32 vcc_lo, 0x7f800000, v13
	s_delay_alu instid0(VALU_DEP_2)
	v_cndmask_b32_e32 v5, 0x7e, v5, vcc_lo
; %bb.1726:
	s_or_b32 exec_lo, exec_lo, s2
	v_lshrrev_b32_e32 v3, 24, v3
	s_delay_alu instid0(VALU_DEP_1)
	v_and_or_b32 v3, 0x80, v3, v5
	global_store_b8 v[6:7], v3, off
.LBB31_1727:
	s_mov_b32 s2, 0
.LBB31_1728:
	s_delay_alu instid0(SALU_CYCLE_1)
	s_and_not1_b32 vcc_lo, exec_lo, s2
	s_cbranch_vccnz .LBB31_1738
; %bb.1729:
	v_cvt_f32_i32_e32 v3, v4
	s_mov_b32 s2, exec_lo
                                        ; implicit-def: $vgpr5
	s_delay_alu instid0(VALU_DEP_1) | instskip(NEXT) | instid1(VALU_DEP_1)
	v_and_b32_e32 v13, 0x7fffffff, v3
	v_cmpx_gt_u32_e32 0x47800000, v13
	s_xor_b32 s2, exec_lo, s2
	s_cbranch_execz .LBB31_1735
; %bb.1730:
	s_mov_b32 s3, exec_lo
                                        ; implicit-def: $vgpr5
	v_cmpx_lt_u32_e32 0x387fffff, v13
	s_xor_b32 s3, exec_lo, s3
; %bb.1731:
	v_bfe_u32 v5, v3, 21, 1
	s_delay_alu instid0(VALU_DEP_1) | instskip(NEXT) | instid1(VALU_DEP_1)
	v_add3_u32 v5, v3, v5, 0x80fffff
	v_lshrrev_b32_e32 v5, 21, v5
; %bb.1732:
	s_and_not1_saveexec_b32 s3, s3
; %bb.1733:
	v_add_f32_e64 v5, 0x43000000, |v3|
; %bb.1734:
	s_or_b32 exec_lo, exec_lo, s3
                                        ; implicit-def: $vgpr13
.LBB31_1735:
	s_and_not1_saveexec_b32 s2, s2
; %bb.1736:
	v_mov_b32_e32 v5, 0x7f
	v_cmp_lt_u32_e32 vcc_lo, 0x7f800000, v13
	s_delay_alu instid0(VALU_DEP_2)
	v_cndmask_b32_e32 v5, 0x7c, v5, vcc_lo
; %bb.1737:
	s_or_b32 exec_lo, exec_lo, s2
	v_lshrrev_b32_e32 v3, 24, v3
	s_delay_alu instid0(VALU_DEP_1)
	v_and_or_b32 v3, 0x80, v3, v5
	global_store_b8 v[6:7], v3, off
.LBB31_1738:
	s_mov_b32 s2, 0
	s_mov_b32 s3, -1
.LBB31_1739:
	s_and_not1_b32 vcc_lo, exec_lo, s2
	s_mov_b32 s2, 0
	s_cbranch_vccnz .LBB31_1746
; %bb.1740:
	v_cmp_lt_i16_e32 vcc_lo, 14, v12
	s_mov_b32 s2, -1
	s_cbranch_vccz .LBB31_1744
; %bb.1741:
	v_cmp_eq_u16_e32 vcc_lo, 15, v12
	s_mov_b32 s0, -1
	s_cbranch_vccz .LBB31_1743
; %bb.1742:
	v_cvt_f32_i32_e32 v3, v4
	s_mov_b32 s0, 0
	s_mov_b32 s3, -1
	s_delay_alu instid0(VALU_DEP_1) | instskip(NEXT) | instid1(VALU_DEP_1)
	v_bfe_u32 v5, v3, 16, 1
	v_add3_u32 v3, v3, v5, 0x7fff
	global_store_d16_hi_b16 v[6:7], v3, off
.LBB31_1743:
	s_mov_b32 s2, 0
.LBB31_1744:
	s_delay_alu instid0(SALU_CYCLE_1)
	s_and_b32 vcc_lo, exec_lo, s2
	s_mov_b32 s2, 0
	s_cbranch_vccz .LBB31_1746
; %bb.1745:
	v_cmp_ne_u16_e64 s0, 11, v12
	s_mov_b32 s2, -1
.LBB31_1746:
	s_delay_alu instid0(VALU_DEP_1)
	s_and_b32 vcc_lo, exec_lo, s0
	s_cbranch_vccnz .LBB31_2109
; %bb.1747:
	s_and_not1_b32 vcc_lo, exec_lo, s2
	s_cbranch_vccnz .LBB31_1749
.LBB31_1748:
	v_cmp_ne_u32_e32 vcc_lo, -1, v11
	s_mov_b32 s3, -1
	v_cndmask_b32_e64 v3, 0, 1, vcc_lo
	global_store_b8 v[6:7], v3, off
.LBB31_1749:
	s_mov_b32 s0, 0
.LBB31_1750:
	s_delay_alu instid0(SALU_CYCLE_1)
	s_and_b32 vcc_lo, exec_lo, s0
	s_cbranch_vccz .LBB31_1789
; %bb.1751:
	v_cmp_gt_i16_e32 vcc_lo, 5, v12
	s_mov_b32 s0, -1
	s_cbranch_vccnz .LBB31_1772
; %bb.1752:
	v_cmp_gt_i16_e32 vcc_lo, 8, v12
	s_cbranch_vccnz .LBB31_1762
; %bb.1753:
	v_cmp_gt_i16_e32 vcc_lo, 9, v12
	s_cbranch_vccnz .LBB31_1759
; %bb.1754:
	v_cmp_lt_i16_e32 vcc_lo, 9, v12
	s_cbranch_vccz .LBB31_1756
; %bb.1755:
	v_cvt_f64_i32_e32 v[13:14], v4
	v_mov_b32_e32 v15, 0
	s_mov_b32 s0, 0
	s_delay_alu instid0(VALU_DEP_1)
	v_mov_b32_e32 v16, v15
	global_store_b128 v[6:7], v[13:16], off
.LBB31_1756:
	s_and_not1_b32 vcc_lo, exec_lo, s0
	s_cbranch_vccnz .LBB31_1758
; %bb.1757:
	v_cvt_f32_i32_e32 v13, v4
	v_mov_b32_e32 v14, 0
	global_store_b64 v[6:7], v[13:14], off
.LBB31_1758:
	s_mov_b32 s0, 0
.LBB31_1759:
	s_delay_alu instid0(SALU_CYCLE_1)
	s_and_not1_b32 vcc_lo, exec_lo, s0
	s_cbranch_vccnz .LBB31_1761
; %bb.1760:
	v_cvt_f32_i32_e32 v3, v4
	s_delay_alu instid0(VALU_DEP_1) | instskip(NEXT) | instid1(VALU_DEP_1)
	v_cvt_f16_f32_e32 v3, v3
	v_and_b32_e32 v3, 0xffff, v3
	global_store_b32 v[6:7], v3, off
.LBB31_1761:
	s_mov_b32 s0, 0
.LBB31_1762:
	s_delay_alu instid0(SALU_CYCLE_1)
	s_and_not1_b32 vcc_lo, exec_lo, s0
	s_cbranch_vccnz .LBB31_1771
; %bb.1763:
	v_cmp_gt_i16_e32 vcc_lo, 6, v12
	s_mov_b32 s0, -1
	s_cbranch_vccnz .LBB31_1769
; %bb.1764:
	v_cmp_lt_i16_e32 vcc_lo, 6, v12
	s_cbranch_vccz .LBB31_1766
; %bb.1765:
	v_cvt_f64_i32_e32 v[13:14], v4
	s_mov_b32 s0, 0
	global_store_b64 v[6:7], v[13:14], off
.LBB31_1766:
	s_and_not1_b32 vcc_lo, exec_lo, s0
	s_cbranch_vccnz .LBB31_1768
; %bb.1767:
	v_cvt_f32_i32_e32 v3, v4
	global_store_b32 v[6:7], v3, off
.LBB31_1768:
	s_mov_b32 s0, 0
.LBB31_1769:
	s_delay_alu instid0(SALU_CYCLE_1)
	s_and_not1_b32 vcc_lo, exec_lo, s0
	s_cbranch_vccnz .LBB31_1771
; %bb.1770:
	v_cvt_f32_i32_e32 v3, v4
	s_delay_alu instid0(VALU_DEP_1)
	v_cvt_f16_f32_e32 v3, v3
	global_store_b16 v[6:7], v3, off
.LBB31_1771:
	s_mov_b32 s0, 0
.LBB31_1772:
	s_delay_alu instid0(SALU_CYCLE_1)
	s_and_not1_b32 vcc_lo, exec_lo, s0
	s_cbranch_vccnz .LBB31_1788
; %bb.1773:
	v_cmp_gt_i16_e32 vcc_lo, 2, v12
	s_mov_b32 s0, -1
	s_cbranch_vccnz .LBB31_1783
; %bb.1774:
	v_cmp_gt_i16_e32 vcc_lo, 3, v12
	s_cbranch_vccnz .LBB31_1780
; %bb.1775:
	v_cmp_lt_i16_e32 vcc_lo, 3, v12
	s_cbranch_vccz .LBB31_1777
; %bb.1776:
	v_ashrrev_i32_e32 v5, 31, v4
	s_mov_b32 s0, 0
	global_store_b64 v[6:7], v[4:5], off
.LBB31_1777:
	s_and_not1_b32 vcc_lo, exec_lo, s0
	s_cbranch_vccnz .LBB31_1779
; %bb.1778:
	global_store_b32 v[6:7], v4, off
.LBB31_1779:
	s_mov_b32 s0, 0
.LBB31_1780:
	s_delay_alu instid0(SALU_CYCLE_1)
	s_and_not1_b32 vcc_lo, exec_lo, s0
	s_cbranch_vccnz .LBB31_1782
; %bb.1781:
	global_store_b16 v[6:7], v4, off
.LBB31_1782:
	s_mov_b32 s0, 0
.LBB31_1783:
	s_delay_alu instid0(SALU_CYCLE_1)
	s_and_not1_b32 vcc_lo, exec_lo, s0
	s_cbranch_vccnz .LBB31_1788
; %bb.1784:
	v_cmp_lt_i16_e32 vcc_lo, 0, v12
	s_mov_b32 s0, -1
	s_cbranch_vccz .LBB31_1786
; %bb.1785:
	s_mov_b32 s0, 0
	global_store_b8 v[6:7], v4, off
.LBB31_1786:
	s_and_not1_b32 vcc_lo, exec_lo, s0
	s_cbranch_vccnz .LBB31_1788
; %bb.1787:
	global_store_b8 v[6:7], v4, off
.LBB31_1788:
	s_mov_b32 s3, -1
.LBB31_1789:
	s_delay_alu instid0(SALU_CYCLE_1)
	s_and_not1_b32 vcc_lo, exec_lo, s3
	s_cbranch_vccnz .LBB31_2102
; %bb.1790:
	v_cmp_gt_i16_e32 vcc_lo, 11, v12
	v_add_co_u32 v5, s0, s4, v2
	v_not_b32_e32 v3, v10
	v_add_co_ci_u32_e64 v6, null, s5, 0, s0
	s_mov_b32 s3, 0
	s_mov_b32 s0, -1
	s_cbranch_vccnz .LBB31_1868
; %bb.1791:
	v_cmp_lt_i16_e32 vcc_lo, 25, v12
	s_mov_b32 s6, -1
	s_mov_b32 s2, 0
	s_mov_b32 s0, 0
	s_cbranch_vccz .LBB31_1824
; %bb.1792:
	v_cmp_lt_i16_e32 vcc_lo, 28, v12
	s_cbranch_vccz .LBB31_1807
; %bb.1793:
	v_cmp_lt_i16_e32 vcc_lo, 43, v12
	;; [unrolled: 3-line block ×3, first 2 shown]
	s_cbranch_vccz .LBB31_1797
; %bb.1795:
	v_cmp_eq_u16_e32 vcc_lo, 46, v12
	s_mov_b32 s0, -1
	s_mov_b32 s6, 0
	s_cbranch_vccz .LBB31_1797
; %bb.1796:
	v_cvt_f32_i32_e32 v2, v3
	s_mov_b32 s0, 0
	s_mov_b32 s3, -1
	s_delay_alu instid0(VALU_DEP_1) | instskip(NEXT) | instid1(VALU_DEP_1)
	v_bfe_u32 v4, v2, 16, 1
	v_add3_u32 v2, v2, v4, 0x7fff
	s_delay_alu instid0(VALU_DEP_1)
	v_lshrrev_b32_e32 v2, 16, v2
	global_store_b32 v[5:6], v2, off
.LBB31_1797:
	s_and_b32 vcc_lo, exec_lo, s6
	s_cbranch_vccz .LBB31_1802
; %bb.1798:
	v_cmp_eq_u16_e32 vcc_lo, 44, v12
	s_mov_b32 s0, -1
	s_cbranch_vccz .LBB31_1802
; %bb.1799:
	v_cvt_f32_i32_e32 v2, v3
	v_mov_b32_e32 v4, 0xff
	s_mov_b32 s3, exec_lo
	s_delay_alu instid0(VALU_DEP_2) | instskip(NEXT) | instid1(VALU_DEP_1)
	v_bfe_u32 v7, v2, 23, 8
	v_cmpx_ne_u32_e32 0xff, v7
; %bb.1800:
	v_and_b32_e32 v4, 0x400000, v2
	v_and_or_b32 v7, 0x3fffff, v2, v7
	v_lshrrev_b32_e32 v2, 23, v2
	s_delay_alu instid0(VALU_DEP_3) | instskip(NEXT) | instid1(VALU_DEP_3)
	v_cmp_ne_u32_e32 vcc_lo, 0, v4
	v_cmp_ne_u32_e64 s0, 0, v7
	s_delay_alu instid0(VALU_DEP_1) | instskip(NEXT) | instid1(SALU_CYCLE_1)
	s_and_b32 s0, vcc_lo, s0
	v_cndmask_b32_e64 v4, 0, 1, s0
	s_delay_alu instid0(VALU_DEP_1)
	v_add_nc_u32_e32 v4, v2, v4
; %bb.1801:
	s_or_b32 exec_lo, exec_lo, s3
	s_mov_b32 s0, 0
	s_mov_b32 s3, -1
	global_store_b8 v[5:6], v4, off
.LBB31_1802:
	s_mov_b32 s6, 0
.LBB31_1803:
	s_delay_alu instid0(SALU_CYCLE_1)
	s_and_b32 vcc_lo, exec_lo, s6
	s_cbranch_vccz .LBB31_1806
; %bb.1804:
	v_cmp_eq_u16_e32 vcc_lo, 29, v12
	s_mov_b32 s0, -1
	s_cbranch_vccz .LBB31_1806
; %bb.1805:
	v_ashrrev_i32_e32 v4, 31, v3
	s_mov_b32 s0, 0
	s_mov_b32 s3, -1
	global_store_b64 v[5:6], v[3:4], off
.LBB31_1806:
	s_mov_b32 s6, 0
.LBB31_1807:
	s_delay_alu instid0(SALU_CYCLE_1)
	s_and_b32 vcc_lo, exec_lo, s6
	s_cbranch_vccz .LBB31_1823
; %bb.1808:
	v_cmp_gt_i16_e32 vcc_lo, 27, v12
	s_mov_b32 s3, -1
	s_cbranch_vccnz .LBB31_1814
; %bb.1809:
	v_cmp_lt_i16_e32 vcc_lo, 27, v12
	s_cbranch_vccz .LBB31_1811
; %bb.1810:
	s_mov_b32 s3, 0
	global_store_b32 v[5:6], v3, off
.LBB31_1811:
	s_and_not1_b32 vcc_lo, exec_lo, s3
	s_cbranch_vccnz .LBB31_1813
; %bb.1812:
	global_store_b16 v[5:6], v3, off
.LBB31_1813:
	s_mov_b32 s3, 0
.LBB31_1814:
	s_delay_alu instid0(SALU_CYCLE_1)
	s_and_not1_b32 vcc_lo, exec_lo, s3
	s_cbranch_vccnz .LBB31_1822
; %bb.1815:
	v_cvt_f32_i32_e32 v2, v3
	v_mov_b32_e32 v7, 0x80
	s_mov_b32 s3, exec_lo
	s_delay_alu instid0(VALU_DEP_2) | instskip(NEXT) | instid1(VALU_DEP_1)
	v_and_b32_e32 v4, 0x7fffffff, v2
	v_cmpx_gt_u32_e32 0x43800000, v4
	s_cbranch_execz .LBB31_1821
; %bb.1816:
	v_cmp_lt_u32_e32 vcc_lo, 0x3bffffff, v4
	s_mov_b32 s6, 0
                                        ; implicit-def: $vgpr4
	s_and_saveexec_b32 s7, vcc_lo
	s_delay_alu instid0(SALU_CYCLE_1)
	s_xor_b32 s7, exec_lo, s7
	s_cbranch_execz .LBB31_2113
; %bb.1817:
	v_bfe_u32 v4, v2, 20, 1
	s_mov_b32 s6, exec_lo
	s_delay_alu instid0(VALU_DEP_1) | instskip(NEXT) | instid1(VALU_DEP_1)
	v_add3_u32 v4, v2, v4, 0x487ffff
	v_lshrrev_b32_e32 v4, 20, v4
	s_or_saveexec_b32 s7, s7
                                        ; implicit-def: $sgpr10
	s_delay_alu instid0(SALU_CYCLE_1)
	s_xor_b32 exec_lo, exec_lo, s7
	s_cbranch_execnz .LBB31_2114
.LBB31_1818:
	s_or_b32 exec_lo, exec_lo, s7
	v_mov_b32_e32 v7, s10
	s_and_saveexec_b32 s7, s6
.LBB31_1819:
	v_lshrrev_b32_e32 v2, 24, v2
	s_delay_alu instid0(VALU_DEP_1)
	v_and_or_b32 v7, 0x80, v2, v4
.LBB31_1820:
	s_or_b32 exec_lo, exec_lo, s7
.LBB31_1821:
	s_delay_alu instid0(SALU_CYCLE_1)
	s_or_b32 exec_lo, exec_lo, s3
	global_store_b8 v[5:6], v7, off
.LBB31_1822:
	s_mov_b32 s3, -1
.LBB31_1823:
	s_mov_b32 s6, 0
.LBB31_1824:
	s_delay_alu instid0(SALU_CYCLE_1)
	s_and_b32 vcc_lo, exec_lo, s6
	s_cbranch_vccz .LBB31_1864
; %bb.1825:
	v_cmp_lt_i16_e32 vcc_lo, 22, v12
	s_mov_b32 s2, -1
	s_cbranch_vccz .LBB31_1857
; %bb.1826:
	v_cmp_gt_i16_e32 vcc_lo, 24, v12
	s_cbranch_vccnz .LBB31_1846
; %bb.1827:
	v_cmp_lt_i16_e32 vcc_lo, 24, v12
	s_cbranch_vccz .LBB31_1835
; %bb.1828:
	v_cvt_f32_i32_e32 v2, v3
	v_mov_b32_e32 v7, 0x80
	s_mov_b32 s2, exec_lo
	s_delay_alu instid0(VALU_DEP_2) | instskip(NEXT) | instid1(VALU_DEP_1)
	v_and_b32_e32 v4, 0x7fffffff, v2
	v_cmpx_gt_u32_e32 0x47800000, v4
	s_cbranch_execz .LBB31_1834
; %bb.1829:
	v_cmp_lt_u32_e32 vcc_lo, 0x37ffffff, v4
	s_mov_b32 s3, 0
                                        ; implicit-def: $vgpr4
	s_and_saveexec_b32 s6, vcc_lo
	s_delay_alu instid0(SALU_CYCLE_1)
	s_xor_b32 s6, exec_lo, s6
	s_cbranch_execz .LBB31_2119
; %bb.1830:
	v_bfe_u32 v4, v2, 21, 1
	s_mov_b32 s3, exec_lo
	s_delay_alu instid0(VALU_DEP_1) | instskip(NEXT) | instid1(VALU_DEP_1)
	v_add3_u32 v4, v2, v4, 0x88fffff
	v_lshrrev_b32_e32 v4, 21, v4
	s_or_saveexec_b32 s6, s6
                                        ; implicit-def: $sgpr7
	s_delay_alu instid0(SALU_CYCLE_1)
	s_xor_b32 exec_lo, exec_lo, s6
	s_cbranch_execnz .LBB31_2120
.LBB31_1831:
	s_or_b32 exec_lo, exec_lo, s6
	v_mov_b32_e32 v7, s7
	s_and_saveexec_b32 s6, s3
.LBB31_1832:
	v_lshrrev_b32_e32 v2, 24, v2
	s_delay_alu instid0(VALU_DEP_1)
	v_and_or_b32 v7, 0x80, v2, v4
.LBB31_1833:
	s_or_b32 exec_lo, exec_lo, s6
.LBB31_1834:
	s_delay_alu instid0(SALU_CYCLE_1)
	s_or_b32 exec_lo, exec_lo, s2
	s_mov_b32 s2, 0
	global_store_b8 v[5:6], v7, off
.LBB31_1835:
	s_and_b32 vcc_lo, exec_lo, s2
	s_cbranch_vccz .LBB31_1845
; %bb.1836:
	v_cvt_f32_i32_e32 v2, v3
	s_mov_b32 s2, exec_lo
                                        ; implicit-def: $vgpr4
	s_delay_alu instid0(VALU_DEP_1) | instskip(NEXT) | instid1(VALU_DEP_1)
	v_and_b32_e32 v7, 0x7fffffff, v2
	v_cmpx_gt_u32_e32 0x43f00000, v7
	s_xor_b32 s2, exec_lo, s2
	s_cbranch_execz .LBB31_1842
; %bb.1837:
	s_mov_b32 s3, exec_lo
                                        ; implicit-def: $vgpr4
	v_cmpx_lt_u32_e32 0x3c7fffff, v7
	s_xor_b32 s3, exec_lo, s3
; %bb.1838:
	v_bfe_u32 v4, v2, 20, 1
	s_delay_alu instid0(VALU_DEP_1) | instskip(NEXT) | instid1(VALU_DEP_1)
	v_add3_u32 v4, v2, v4, 0x407ffff
	v_and_b32_e32 v7, 0xff00000, v4
	v_lshrrev_b32_e32 v4, 20, v4
	s_delay_alu instid0(VALU_DEP_2) | instskip(NEXT) | instid1(VALU_DEP_2)
	v_cmp_ne_u32_e32 vcc_lo, 0x7f00000, v7
	v_cndmask_b32_e32 v4, 0x7e, v4, vcc_lo
; %bb.1839:
	s_and_not1_saveexec_b32 s3, s3
; %bb.1840:
	v_add_f32_e64 v4, 0x46800000, |v2|
; %bb.1841:
	s_or_b32 exec_lo, exec_lo, s3
                                        ; implicit-def: $vgpr7
.LBB31_1842:
	s_and_not1_saveexec_b32 s2, s2
; %bb.1843:
	v_mov_b32_e32 v4, 0x7f
	v_cmp_lt_u32_e32 vcc_lo, 0x7f800000, v7
	s_delay_alu instid0(VALU_DEP_2)
	v_cndmask_b32_e32 v4, 0x7e, v4, vcc_lo
; %bb.1844:
	s_or_b32 exec_lo, exec_lo, s2
	v_lshrrev_b32_e32 v2, 24, v2
	s_delay_alu instid0(VALU_DEP_1)
	v_and_or_b32 v2, 0x80, v2, v4
	global_store_b8 v[5:6], v2, off
.LBB31_1845:
	s_mov_b32 s2, 0
.LBB31_1846:
	s_delay_alu instid0(SALU_CYCLE_1)
	s_and_not1_b32 vcc_lo, exec_lo, s2
	s_cbranch_vccnz .LBB31_1856
; %bb.1847:
	v_cvt_f32_i32_e32 v2, v3
	s_mov_b32 s2, exec_lo
                                        ; implicit-def: $vgpr4
	s_delay_alu instid0(VALU_DEP_1) | instskip(NEXT) | instid1(VALU_DEP_1)
	v_and_b32_e32 v7, 0x7fffffff, v2
	v_cmpx_gt_u32_e32 0x47800000, v7
	s_xor_b32 s2, exec_lo, s2
	s_cbranch_execz .LBB31_1853
; %bb.1848:
	s_mov_b32 s3, exec_lo
                                        ; implicit-def: $vgpr4
	v_cmpx_lt_u32_e32 0x387fffff, v7
	s_xor_b32 s3, exec_lo, s3
; %bb.1849:
	v_bfe_u32 v4, v2, 21, 1
	s_delay_alu instid0(VALU_DEP_1) | instskip(NEXT) | instid1(VALU_DEP_1)
	v_add3_u32 v4, v2, v4, 0x80fffff
	v_lshrrev_b32_e32 v4, 21, v4
; %bb.1850:
	s_and_not1_saveexec_b32 s3, s3
; %bb.1851:
	v_add_f32_e64 v4, 0x43000000, |v2|
; %bb.1852:
	s_or_b32 exec_lo, exec_lo, s3
                                        ; implicit-def: $vgpr7
.LBB31_1853:
	s_and_not1_saveexec_b32 s2, s2
; %bb.1854:
	v_mov_b32_e32 v4, 0x7f
	v_cmp_lt_u32_e32 vcc_lo, 0x7f800000, v7
	s_delay_alu instid0(VALU_DEP_2)
	v_cndmask_b32_e32 v4, 0x7c, v4, vcc_lo
; %bb.1855:
	s_or_b32 exec_lo, exec_lo, s2
	v_lshrrev_b32_e32 v2, 24, v2
	s_delay_alu instid0(VALU_DEP_1)
	v_and_or_b32 v2, 0x80, v2, v4
	global_store_b8 v[5:6], v2, off
.LBB31_1856:
	s_mov_b32 s2, 0
	s_mov_b32 s3, -1
.LBB31_1857:
	s_and_not1_b32 vcc_lo, exec_lo, s2
	s_mov_b32 s2, 0
	s_cbranch_vccnz .LBB31_1864
; %bb.1858:
	v_cmp_lt_i16_e32 vcc_lo, 14, v12
	s_mov_b32 s2, -1
	s_cbranch_vccz .LBB31_1862
; %bb.1859:
	v_cmp_eq_u16_e32 vcc_lo, 15, v12
	s_mov_b32 s0, -1
	s_cbranch_vccz .LBB31_1861
; %bb.1860:
	v_cvt_f32_i32_e32 v2, v3
	s_mov_b32 s0, 0
	s_mov_b32 s3, -1
	s_delay_alu instid0(VALU_DEP_1) | instskip(NEXT) | instid1(VALU_DEP_1)
	v_bfe_u32 v4, v2, 16, 1
	v_add3_u32 v2, v2, v4, 0x7fff
	global_store_d16_hi_b16 v[5:6], v2, off
.LBB31_1861:
	s_mov_b32 s2, 0
.LBB31_1862:
	s_delay_alu instid0(SALU_CYCLE_1)
	s_and_b32 vcc_lo, exec_lo, s2
	s_mov_b32 s2, 0
	s_cbranch_vccz .LBB31_1864
; %bb.1863:
	v_cmp_ne_u16_e64 s0, 11, v12
	s_mov_b32 s2, -1
.LBB31_1864:
	s_delay_alu instid0(VALU_DEP_1)
	s_and_b32 vcc_lo, exec_lo, s0
	s_cbranch_vccnz .LBB31_2117
; %bb.1865:
	s_and_not1_b32 vcc_lo, exec_lo, s2
	s_cbranch_vccnz .LBB31_1867
.LBB31_1866:
	v_cmp_ne_u32_e32 vcc_lo, -1, v10
	s_mov_b32 s3, -1
	v_cndmask_b32_e64 v2, 0, 1, vcc_lo
	global_store_b8 v[5:6], v2, off
.LBB31_1867:
	s_mov_b32 s0, 0
.LBB31_1868:
	s_delay_alu instid0(SALU_CYCLE_1)
	s_and_b32 vcc_lo, exec_lo, s0
	s_cbranch_vccz .LBB31_1907
; %bb.1869:
	v_cmp_gt_i16_e32 vcc_lo, 5, v12
	s_mov_b32 s0, -1
	s_cbranch_vccnz .LBB31_1890
; %bb.1870:
	v_cmp_gt_i16_e32 vcc_lo, 8, v12
	s_cbranch_vccnz .LBB31_1880
; %bb.1871:
	v_cmp_gt_i16_e32 vcc_lo, 9, v12
	s_cbranch_vccnz .LBB31_1877
; %bb.1872:
	v_cmp_lt_i16_e32 vcc_lo, 9, v12
	s_cbranch_vccz .LBB31_1874
; %bb.1873:
	v_cvt_f64_i32_e32 v[13:14], v3
	v_mov_b32_e32 v15, 0
	s_mov_b32 s0, 0
	s_delay_alu instid0(VALU_DEP_1)
	v_mov_b32_e32 v16, v15
	global_store_b128 v[5:6], v[13:16], off
.LBB31_1874:
	s_and_not1_b32 vcc_lo, exec_lo, s0
	s_cbranch_vccnz .LBB31_1876
; %bb.1875:
	v_cvt_f32_i32_e32 v10, v3
	v_mov_b32_e32 v11, 0
	global_store_b64 v[5:6], v[10:11], off
.LBB31_1876:
	s_mov_b32 s0, 0
.LBB31_1877:
	s_delay_alu instid0(SALU_CYCLE_1)
	s_and_not1_b32 vcc_lo, exec_lo, s0
	s_cbranch_vccnz .LBB31_1879
; %bb.1878:
	v_cvt_f32_i32_e32 v2, v3
	s_delay_alu instid0(VALU_DEP_1) | instskip(NEXT) | instid1(VALU_DEP_1)
	v_cvt_f16_f32_e32 v2, v2
	v_and_b32_e32 v2, 0xffff, v2
	global_store_b32 v[5:6], v2, off
.LBB31_1879:
	s_mov_b32 s0, 0
.LBB31_1880:
	s_delay_alu instid0(SALU_CYCLE_1)
	s_and_not1_b32 vcc_lo, exec_lo, s0
	s_cbranch_vccnz .LBB31_1889
; %bb.1881:
	v_cmp_gt_i16_e32 vcc_lo, 6, v12
	s_mov_b32 s0, -1
	s_cbranch_vccnz .LBB31_1887
; %bb.1882:
	v_cmp_lt_i16_e32 vcc_lo, 6, v12
	s_cbranch_vccz .LBB31_1884
; %bb.1883:
	v_cvt_f64_i32_e32 v[10:11], v3
	s_mov_b32 s0, 0
	global_store_b64 v[5:6], v[10:11], off
.LBB31_1884:
	s_and_not1_b32 vcc_lo, exec_lo, s0
	s_cbranch_vccnz .LBB31_1886
; %bb.1885:
	v_cvt_f32_i32_e32 v2, v3
	global_store_b32 v[5:6], v2, off
.LBB31_1886:
	s_mov_b32 s0, 0
.LBB31_1887:
	s_delay_alu instid0(SALU_CYCLE_1)
	s_and_not1_b32 vcc_lo, exec_lo, s0
	s_cbranch_vccnz .LBB31_1889
; %bb.1888:
	v_cvt_f32_i32_e32 v2, v3
	s_delay_alu instid0(VALU_DEP_1)
	v_cvt_f16_f32_e32 v2, v2
	global_store_b16 v[5:6], v2, off
.LBB31_1889:
	s_mov_b32 s0, 0
.LBB31_1890:
	s_delay_alu instid0(SALU_CYCLE_1)
	s_and_not1_b32 vcc_lo, exec_lo, s0
	s_cbranch_vccnz .LBB31_1906
; %bb.1891:
	v_cmp_gt_i16_e32 vcc_lo, 2, v12
	s_mov_b32 s0, -1
	s_cbranch_vccnz .LBB31_1901
; %bb.1892:
	v_cmp_gt_i16_e32 vcc_lo, 3, v12
	s_cbranch_vccnz .LBB31_1898
; %bb.1893:
	v_cmp_lt_i16_e32 vcc_lo, 3, v12
	s_cbranch_vccz .LBB31_1895
; %bb.1894:
	v_ashrrev_i32_e32 v4, 31, v3
	s_mov_b32 s0, 0
	global_store_b64 v[5:6], v[3:4], off
.LBB31_1895:
	s_and_not1_b32 vcc_lo, exec_lo, s0
	s_cbranch_vccnz .LBB31_1897
; %bb.1896:
	global_store_b32 v[5:6], v3, off
.LBB31_1897:
	s_mov_b32 s0, 0
.LBB31_1898:
	s_delay_alu instid0(SALU_CYCLE_1)
	s_and_not1_b32 vcc_lo, exec_lo, s0
	s_cbranch_vccnz .LBB31_1900
; %bb.1899:
	global_store_b16 v[5:6], v3, off
.LBB31_1900:
	s_mov_b32 s0, 0
.LBB31_1901:
	s_delay_alu instid0(SALU_CYCLE_1)
	s_and_not1_b32 vcc_lo, exec_lo, s0
	s_cbranch_vccnz .LBB31_1906
; %bb.1902:
	v_cmp_lt_i16_e32 vcc_lo, 0, v12
	s_mov_b32 s0, -1
	s_cbranch_vccz .LBB31_1904
; %bb.1903:
	s_mov_b32 s0, 0
	global_store_b8 v[5:6], v3, off
.LBB31_1904:
	s_and_not1_b32 vcc_lo, exec_lo, s0
	s_cbranch_vccnz .LBB31_1906
; %bb.1905:
	global_store_b8 v[5:6], v3, off
.LBB31_1906:
	s_mov_b32 s3, -1
.LBB31_1907:
	s_delay_alu instid0(SALU_CYCLE_1)
	s_and_not1_b32 vcc_lo, exec_lo, s3
	s_cbranch_vccnz .LBB31_2102
; %bb.1908:
	v_cmp_gt_i16_e32 vcc_lo, 11, v12
	v_add_co_u32 v4, s0, s4, v1
	v_not_b32_e32 v2, v8
	v_add_co_ci_u32_e64 v5, null, s5, 0, s0
	s_mov_b32 s3, 0
	s_mov_b32 s0, -1
	s_cbranch_vccnz .LBB31_1986
; %bb.1909:
	v_cmp_lt_i16_e32 vcc_lo, 25, v12
	s_mov_b32 s6, -1
	s_mov_b32 s2, 0
	s_mov_b32 s0, 0
	s_cbranch_vccz .LBB31_1942
; %bb.1910:
	v_cmp_lt_i16_e32 vcc_lo, 28, v12
	s_cbranch_vccz .LBB31_1925
; %bb.1911:
	v_cmp_lt_i16_e32 vcc_lo, 43, v12
	;; [unrolled: 3-line block ×3, first 2 shown]
	s_cbranch_vccz .LBB31_1915
; %bb.1913:
	v_cmp_eq_u16_e32 vcc_lo, 46, v12
	s_mov_b32 s0, -1
	s_mov_b32 s6, 0
	s_cbranch_vccz .LBB31_1915
; %bb.1914:
	v_cvt_f32_i32_e32 v1, v2
	s_mov_b32 s0, 0
	s_mov_b32 s3, -1
	s_delay_alu instid0(VALU_DEP_1) | instskip(NEXT) | instid1(VALU_DEP_1)
	v_bfe_u32 v3, v1, 16, 1
	v_add3_u32 v1, v1, v3, 0x7fff
	s_delay_alu instid0(VALU_DEP_1)
	v_lshrrev_b32_e32 v1, 16, v1
	global_store_b32 v[4:5], v1, off
.LBB31_1915:
	s_and_b32 vcc_lo, exec_lo, s6
	s_cbranch_vccz .LBB31_1920
; %bb.1916:
	v_cmp_eq_u16_e32 vcc_lo, 44, v12
	s_mov_b32 s0, -1
	s_cbranch_vccz .LBB31_1920
; %bb.1917:
	v_cvt_f32_i32_e32 v1, v2
	v_mov_b32_e32 v3, 0xff
	s_mov_b32 s3, exec_lo
	s_delay_alu instid0(VALU_DEP_2) | instskip(NEXT) | instid1(VALU_DEP_1)
	v_bfe_u32 v6, v1, 23, 8
	v_cmpx_ne_u32_e32 0xff, v6
; %bb.1918:
	v_and_b32_e32 v3, 0x400000, v1
	v_and_or_b32 v6, 0x3fffff, v1, v6
	v_lshrrev_b32_e32 v1, 23, v1
	s_delay_alu instid0(VALU_DEP_3) | instskip(NEXT) | instid1(VALU_DEP_3)
	v_cmp_ne_u32_e32 vcc_lo, 0, v3
	v_cmp_ne_u32_e64 s0, 0, v6
	s_delay_alu instid0(VALU_DEP_1) | instskip(NEXT) | instid1(SALU_CYCLE_1)
	s_and_b32 s0, vcc_lo, s0
	v_cndmask_b32_e64 v3, 0, 1, s0
	s_delay_alu instid0(VALU_DEP_1)
	v_add_nc_u32_e32 v3, v1, v3
; %bb.1919:
	s_or_b32 exec_lo, exec_lo, s3
	s_mov_b32 s0, 0
	s_mov_b32 s3, -1
	global_store_b8 v[4:5], v3, off
.LBB31_1920:
	s_mov_b32 s6, 0
.LBB31_1921:
	s_delay_alu instid0(SALU_CYCLE_1)
	s_and_b32 vcc_lo, exec_lo, s6
	s_cbranch_vccz .LBB31_1924
; %bb.1922:
	v_cmp_eq_u16_e32 vcc_lo, 29, v12
	s_mov_b32 s0, -1
	s_cbranch_vccz .LBB31_1924
; %bb.1923:
	v_ashrrev_i32_e32 v3, 31, v2
	s_mov_b32 s0, 0
	s_mov_b32 s3, -1
	global_store_b64 v[4:5], v[2:3], off
.LBB31_1924:
	s_mov_b32 s6, 0
.LBB31_1925:
	s_delay_alu instid0(SALU_CYCLE_1)
	s_and_b32 vcc_lo, exec_lo, s6
	s_cbranch_vccz .LBB31_1941
; %bb.1926:
	v_cmp_gt_i16_e32 vcc_lo, 27, v12
	s_mov_b32 s3, -1
	s_cbranch_vccnz .LBB31_1932
; %bb.1927:
	v_cmp_lt_i16_e32 vcc_lo, 27, v12
	s_cbranch_vccz .LBB31_1929
; %bb.1928:
	s_mov_b32 s3, 0
	global_store_b32 v[4:5], v2, off
.LBB31_1929:
	s_and_not1_b32 vcc_lo, exec_lo, s3
	s_cbranch_vccnz .LBB31_1931
; %bb.1930:
	global_store_b16 v[4:5], v2, off
.LBB31_1931:
	s_mov_b32 s3, 0
.LBB31_1932:
	s_delay_alu instid0(SALU_CYCLE_1)
	s_and_not1_b32 vcc_lo, exec_lo, s3
	s_cbranch_vccnz .LBB31_1940
; %bb.1933:
	v_cvt_f32_i32_e32 v1, v2
	v_mov_b32_e32 v6, 0x80
	s_mov_b32 s3, exec_lo
	s_delay_alu instid0(VALU_DEP_2) | instskip(NEXT) | instid1(VALU_DEP_1)
	v_and_b32_e32 v3, 0x7fffffff, v1
	v_cmpx_gt_u32_e32 0x43800000, v3
	s_cbranch_execz .LBB31_1939
; %bb.1934:
	v_cmp_lt_u32_e32 vcc_lo, 0x3bffffff, v3
	s_mov_b32 s6, 0
                                        ; implicit-def: $vgpr3
	s_and_saveexec_b32 s7, vcc_lo
	s_delay_alu instid0(SALU_CYCLE_1)
	s_xor_b32 s7, exec_lo, s7
	s_cbranch_execz .LBB31_2121
; %bb.1935:
	v_bfe_u32 v3, v1, 20, 1
	s_mov_b32 s6, exec_lo
	s_delay_alu instid0(VALU_DEP_1) | instskip(NEXT) | instid1(VALU_DEP_1)
	v_add3_u32 v3, v1, v3, 0x487ffff
	v_lshrrev_b32_e32 v3, 20, v3
	s_or_saveexec_b32 s7, s7
                                        ; implicit-def: $sgpr10
	s_delay_alu instid0(SALU_CYCLE_1)
	s_xor_b32 exec_lo, exec_lo, s7
	s_cbranch_execnz .LBB31_2122
.LBB31_1936:
	s_or_b32 exec_lo, exec_lo, s7
	v_mov_b32_e32 v6, s10
	s_and_saveexec_b32 s7, s6
.LBB31_1937:
	v_lshrrev_b32_e32 v1, 24, v1
	s_delay_alu instid0(VALU_DEP_1)
	v_and_or_b32 v6, 0x80, v1, v3
.LBB31_1938:
	s_or_b32 exec_lo, exec_lo, s7
.LBB31_1939:
	s_delay_alu instid0(SALU_CYCLE_1)
	s_or_b32 exec_lo, exec_lo, s3
	global_store_b8 v[4:5], v6, off
.LBB31_1940:
	s_mov_b32 s3, -1
.LBB31_1941:
	s_mov_b32 s6, 0
.LBB31_1942:
	s_delay_alu instid0(SALU_CYCLE_1)
	s_and_b32 vcc_lo, exec_lo, s6
	s_cbranch_vccz .LBB31_1982
; %bb.1943:
	v_cmp_lt_i16_e32 vcc_lo, 22, v12
	s_mov_b32 s2, -1
	s_cbranch_vccz .LBB31_1975
; %bb.1944:
	v_cmp_gt_i16_e32 vcc_lo, 24, v12
	s_cbranch_vccnz .LBB31_1964
; %bb.1945:
	v_cmp_lt_i16_e32 vcc_lo, 24, v12
	s_cbranch_vccz .LBB31_1953
; %bb.1946:
	v_cvt_f32_i32_e32 v1, v2
	v_mov_b32_e32 v6, 0x80
	s_mov_b32 s2, exec_lo
	s_delay_alu instid0(VALU_DEP_2) | instskip(NEXT) | instid1(VALU_DEP_1)
	v_and_b32_e32 v3, 0x7fffffff, v1
	v_cmpx_gt_u32_e32 0x47800000, v3
	s_cbranch_execz .LBB31_1952
; %bb.1947:
	v_cmp_lt_u32_e32 vcc_lo, 0x37ffffff, v3
	s_mov_b32 s3, 0
                                        ; implicit-def: $vgpr3
	s_and_saveexec_b32 s6, vcc_lo
	s_delay_alu instid0(SALU_CYCLE_1)
	s_xor_b32 s6, exec_lo, s6
	s_cbranch_execz .LBB31_2127
; %bb.1948:
	v_bfe_u32 v3, v1, 21, 1
	s_mov_b32 s3, exec_lo
	s_delay_alu instid0(VALU_DEP_1) | instskip(NEXT) | instid1(VALU_DEP_1)
	v_add3_u32 v3, v1, v3, 0x88fffff
	v_lshrrev_b32_e32 v3, 21, v3
	s_or_saveexec_b32 s6, s6
                                        ; implicit-def: $sgpr7
	s_delay_alu instid0(SALU_CYCLE_1)
	s_xor_b32 exec_lo, exec_lo, s6
	s_cbranch_execnz .LBB31_2128
.LBB31_1949:
	s_or_b32 exec_lo, exec_lo, s6
	v_mov_b32_e32 v6, s7
	s_and_saveexec_b32 s6, s3
.LBB31_1950:
	v_lshrrev_b32_e32 v1, 24, v1
	s_delay_alu instid0(VALU_DEP_1)
	v_and_or_b32 v6, 0x80, v1, v3
.LBB31_1951:
	s_or_b32 exec_lo, exec_lo, s6
.LBB31_1952:
	s_delay_alu instid0(SALU_CYCLE_1)
	s_or_b32 exec_lo, exec_lo, s2
	s_mov_b32 s2, 0
	global_store_b8 v[4:5], v6, off
.LBB31_1953:
	s_and_b32 vcc_lo, exec_lo, s2
	s_cbranch_vccz .LBB31_1963
; %bb.1954:
	v_cvt_f32_i32_e32 v1, v2
	s_mov_b32 s2, exec_lo
                                        ; implicit-def: $vgpr3
	s_delay_alu instid0(VALU_DEP_1) | instskip(NEXT) | instid1(VALU_DEP_1)
	v_and_b32_e32 v6, 0x7fffffff, v1
	v_cmpx_gt_u32_e32 0x43f00000, v6
	s_xor_b32 s2, exec_lo, s2
	s_cbranch_execz .LBB31_1960
; %bb.1955:
	s_mov_b32 s3, exec_lo
                                        ; implicit-def: $vgpr3
	v_cmpx_lt_u32_e32 0x3c7fffff, v6
	s_xor_b32 s3, exec_lo, s3
; %bb.1956:
	v_bfe_u32 v3, v1, 20, 1
	s_delay_alu instid0(VALU_DEP_1) | instskip(NEXT) | instid1(VALU_DEP_1)
	v_add3_u32 v3, v1, v3, 0x407ffff
	v_and_b32_e32 v6, 0xff00000, v3
	v_lshrrev_b32_e32 v3, 20, v3
	s_delay_alu instid0(VALU_DEP_2) | instskip(NEXT) | instid1(VALU_DEP_2)
	v_cmp_ne_u32_e32 vcc_lo, 0x7f00000, v6
	v_cndmask_b32_e32 v3, 0x7e, v3, vcc_lo
; %bb.1957:
	s_and_not1_saveexec_b32 s3, s3
; %bb.1958:
	v_add_f32_e64 v3, 0x46800000, |v1|
; %bb.1959:
	s_or_b32 exec_lo, exec_lo, s3
                                        ; implicit-def: $vgpr6
.LBB31_1960:
	s_and_not1_saveexec_b32 s2, s2
; %bb.1961:
	v_mov_b32_e32 v3, 0x7f
	v_cmp_lt_u32_e32 vcc_lo, 0x7f800000, v6
	s_delay_alu instid0(VALU_DEP_2)
	v_cndmask_b32_e32 v3, 0x7e, v3, vcc_lo
; %bb.1962:
	s_or_b32 exec_lo, exec_lo, s2
	v_lshrrev_b32_e32 v1, 24, v1
	s_delay_alu instid0(VALU_DEP_1)
	v_and_or_b32 v1, 0x80, v1, v3
	global_store_b8 v[4:5], v1, off
.LBB31_1963:
	s_mov_b32 s2, 0
.LBB31_1964:
	s_delay_alu instid0(SALU_CYCLE_1)
	s_and_not1_b32 vcc_lo, exec_lo, s2
	s_cbranch_vccnz .LBB31_1974
; %bb.1965:
	v_cvt_f32_i32_e32 v1, v2
	s_mov_b32 s2, exec_lo
                                        ; implicit-def: $vgpr3
	s_delay_alu instid0(VALU_DEP_1) | instskip(NEXT) | instid1(VALU_DEP_1)
	v_and_b32_e32 v6, 0x7fffffff, v1
	v_cmpx_gt_u32_e32 0x47800000, v6
	s_xor_b32 s2, exec_lo, s2
	s_cbranch_execz .LBB31_1971
; %bb.1966:
	s_mov_b32 s3, exec_lo
                                        ; implicit-def: $vgpr3
	v_cmpx_lt_u32_e32 0x387fffff, v6
	s_xor_b32 s3, exec_lo, s3
; %bb.1967:
	v_bfe_u32 v3, v1, 21, 1
	s_delay_alu instid0(VALU_DEP_1) | instskip(NEXT) | instid1(VALU_DEP_1)
	v_add3_u32 v3, v1, v3, 0x80fffff
	v_lshrrev_b32_e32 v3, 21, v3
; %bb.1968:
	s_and_not1_saveexec_b32 s3, s3
; %bb.1969:
	v_add_f32_e64 v3, 0x43000000, |v1|
; %bb.1970:
	s_or_b32 exec_lo, exec_lo, s3
                                        ; implicit-def: $vgpr6
.LBB31_1971:
	s_and_not1_saveexec_b32 s2, s2
; %bb.1972:
	v_mov_b32_e32 v3, 0x7f
	v_cmp_lt_u32_e32 vcc_lo, 0x7f800000, v6
	s_delay_alu instid0(VALU_DEP_2)
	v_cndmask_b32_e32 v3, 0x7c, v3, vcc_lo
; %bb.1973:
	s_or_b32 exec_lo, exec_lo, s2
	v_lshrrev_b32_e32 v1, 24, v1
	s_delay_alu instid0(VALU_DEP_1)
	v_and_or_b32 v1, 0x80, v1, v3
	global_store_b8 v[4:5], v1, off
.LBB31_1974:
	s_mov_b32 s2, 0
	s_mov_b32 s3, -1
.LBB31_1975:
	s_and_not1_b32 vcc_lo, exec_lo, s2
	s_mov_b32 s2, 0
	s_cbranch_vccnz .LBB31_1982
; %bb.1976:
	v_cmp_lt_i16_e32 vcc_lo, 14, v12
	s_mov_b32 s2, -1
	s_cbranch_vccz .LBB31_1980
; %bb.1977:
	v_cmp_eq_u16_e32 vcc_lo, 15, v12
	s_mov_b32 s0, -1
	s_cbranch_vccz .LBB31_1979
; %bb.1978:
	v_cvt_f32_i32_e32 v1, v2
	s_mov_b32 s0, 0
	s_mov_b32 s3, -1
	s_delay_alu instid0(VALU_DEP_1) | instskip(NEXT) | instid1(VALU_DEP_1)
	v_bfe_u32 v3, v1, 16, 1
	v_add3_u32 v1, v1, v3, 0x7fff
	global_store_d16_hi_b16 v[4:5], v1, off
.LBB31_1979:
	s_mov_b32 s2, 0
.LBB31_1980:
	s_delay_alu instid0(SALU_CYCLE_1)
	s_and_b32 vcc_lo, exec_lo, s2
	s_mov_b32 s2, 0
	s_cbranch_vccz .LBB31_1982
; %bb.1981:
	v_cmp_ne_u16_e64 s0, 11, v12
	s_mov_b32 s2, -1
.LBB31_1982:
	s_delay_alu instid0(VALU_DEP_1)
	s_and_b32 vcc_lo, exec_lo, s0
	s_cbranch_vccnz .LBB31_2125
; %bb.1983:
	s_and_not1_b32 vcc_lo, exec_lo, s2
	s_cbranch_vccnz .LBB31_1985
.LBB31_1984:
	v_cmp_ne_u32_e32 vcc_lo, -1, v8
	s_mov_b32 s3, -1
	v_cndmask_b32_e64 v1, 0, 1, vcc_lo
	global_store_b8 v[4:5], v1, off
.LBB31_1985:
	s_mov_b32 s0, 0
.LBB31_1986:
	s_delay_alu instid0(SALU_CYCLE_1)
	s_and_b32 vcc_lo, exec_lo, s0
	s_cbranch_vccz .LBB31_2025
; %bb.1987:
	v_cmp_gt_i16_e32 vcc_lo, 5, v12
	s_mov_b32 s0, -1
	s_cbranch_vccnz .LBB31_2008
; %bb.1988:
	v_cmp_gt_i16_e32 vcc_lo, 8, v12
	s_cbranch_vccnz .LBB31_1998
; %bb.1989:
	v_cmp_gt_i16_e32 vcc_lo, 9, v12
	s_cbranch_vccnz .LBB31_1995
; %bb.1990:
	v_cmp_lt_i16_e32 vcc_lo, 9, v12
	s_cbranch_vccz .LBB31_1992
; %bb.1991:
	v_cvt_f64_i32_e32 v[13:14], v2
	v_mov_b32_e32 v15, 0
	s_mov_b32 s0, 0
	s_delay_alu instid0(VALU_DEP_1)
	v_mov_b32_e32 v16, v15
	global_store_b128 v[4:5], v[13:16], off
.LBB31_1992:
	s_and_not1_b32 vcc_lo, exec_lo, s0
	s_cbranch_vccnz .LBB31_1994
; %bb.1993:
	v_cvt_f32_i32_e32 v6, v2
	v_mov_b32_e32 v7, 0
	global_store_b64 v[4:5], v[6:7], off
.LBB31_1994:
	s_mov_b32 s0, 0
.LBB31_1995:
	s_delay_alu instid0(SALU_CYCLE_1)
	s_and_not1_b32 vcc_lo, exec_lo, s0
	s_cbranch_vccnz .LBB31_1997
; %bb.1996:
	v_cvt_f32_i32_e32 v1, v2
	s_delay_alu instid0(VALU_DEP_1) | instskip(NEXT) | instid1(VALU_DEP_1)
	v_cvt_f16_f32_e32 v1, v1
	v_and_b32_e32 v1, 0xffff, v1
	global_store_b32 v[4:5], v1, off
.LBB31_1997:
	s_mov_b32 s0, 0
.LBB31_1998:
	s_delay_alu instid0(SALU_CYCLE_1)
	s_and_not1_b32 vcc_lo, exec_lo, s0
	s_cbranch_vccnz .LBB31_2007
; %bb.1999:
	v_cmp_gt_i16_e32 vcc_lo, 6, v12
	s_mov_b32 s0, -1
	s_cbranch_vccnz .LBB31_2005
; %bb.2000:
	v_cmp_lt_i16_e32 vcc_lo, 6, v12
	s_cbranch_vccz .LBB31_2002
; %bb.2001:
	v_cvt_f64_i32_e32 v[6:7], v2
	s_mov_b32 s0, 0
	global_store_b64 v[4:5], v[6:7], off
.LBB31_2002:
	s_and_not1_b32 vcc_lo, exec_lo, s0
	s_cbranch_vccnz .LBB31_2004
; %bb.2003:
	v_cvt_f32_i32_e32 v1, v2
	global_store_b32 v[4:5], v1, off
.LBB31_2004:
	s_mov_b32 s0, 0
.LBB31_2005:
	s_delay_alu instid0(SALU_CYCLE_1)
	s_and_not1_b32 vcc_lo, exec_lo, s0
	s_cbranch_vccnz .LBB31_2007
; %bb.2006:
	v_cvt_f32_i32_e32 v1, v2
	s_delay_alu instid0(VALU_DEP_1)
	v_cvt_f16_f32_e32 v1, v1
	global_store_b16 v[4:5], v1, off
.LBB31_2007:
	s_mov_b32 s0, 0
.LBB31_2008:
	s_delay_alu instid0(SALU_CYCLE_1)
	s_and_not1_b32 vcc_lo, exec_lo, s0
	s_cbranch_vccnz .LBB31_2024
; %bb.2009:
	v_cmp_gt_i16_e32 vcc_lo, 2, v12
	s_mov_b32 s0, -1
	s_cbranch_vccnz .LBB31_2019
; %bb.2010:
	v_cmp_gt_i16_e32 vcc_lo, 3, v12
	s_cbranch_vccnz .LBB31_2016
; %bb.2011:
	v_cmp_lt_i16_e32 vcc_lo, 3, v12
	s_cbranch_vccz .LBB31_2013
; %bb.2012:
	v_ashrrev_i32_e32 v3, 31, v2
	s_mov_b32 s0, 0
	global_store_b64 v[4:5], v[2:3], off
.LBB31_2013:
	s_and_not1_b32 vcc_lo, exec_lo, s0
	s_cbranch_vccnz .LBB31_2015
; %bb.2014:
	global_store_b32 v[4:5], v2, off
.LBB31_2015:
	s_mov_b32 s0, 0
.LBB31_2016:
	s_delay_alu instid0(SALU_CYCLE_1)
	s_and_not1_b32 vcc_lo, exec_lo, s0
	s_cbranch_vccnz .LBB31_2018
; %bb.2017:
	global_store_b16 v[4:5], v2, off
.LBB31_2018:
	s_mov_b32 s0, 0
.LBB31_2019:
	s_delay_alu instid0(SALU_CYCLE_1)
	s_and_not1_b32 vcc_lo, exec_lo, s0
	s_cbranch_vccnz .LBB31_2024
; %bb.2020:
	v_cmp_lt_i16_e32 vcc_lo, 0, v12
	s_mov_b32 s0, -1
	s_cbranch_vccz .LBB31_2022
; %bb.2021:
	s_mov_b32 s0, 0
	global_store_b8 v[4:5], v2, off
.LBB31_2022:
	s_and_not1_b32 vcc_lo, exec_lo, s0
	s_cbranch_vccnz .LBB31_2024
; %bb.2023:
	global_store_b8 v[4:5], v2, off
.LBB31_2024:
	s_mov_b32 s3, -1
.LBB31_2025:
	s_delay_alu instid0(SALU_CYCLE_1)
	s_and_not1_b32 vcc_lo, exec_lo, s3
	s_cbranch_vccnz .LBB31_2102
; %bb.2026:
	v_cmp_gt_i16_e32 vcc_lo, 11, v12
	v_add_co_u32 v0, s0, s4, v0
	v_not_b32_e32 v2, v9
	v_add_co_ci_u32_e64 v1, null, s5, 0, s0
	s_mov_b32 s2, 0
	s_mov_b32 s0, -1
	s_cbranch_vccnz .LBB31_1431
; %bb.2027:
	v_cmp_lt_i16_e32 vcc_lo, 25, v12
	s_mov_b32 s3, -1
	s_mov_b32 s0, 0
	s_cbranch_vccz .LBB31_2060
; %bb.2028:
	v_cmp_lt_i16_e32 vcc_lo, 28, v12
	s_cbranch_vccz .LBB31_2044
; %bb.2029:
	v_cmp_lt_i16_e32 vcc_lo, 43, v12
	;; [unrolled: 3-line block ×3, first 2 shown]
	s_cbranch_vccz .LBB31_2034
; %bb.2031:
	v_cmp_eq_u16_e32 vcc_lo, 46, v12
	s_mov_b32 s0, -1
	s_cbranch_vccz .LBB31_2033
; %bb.2032:
	v_cvt_f32_i32_e32 v3, v2
	s_mov_b32 s0, 0
	s_delay_alu instid0(VALU_DEP_1) | instskip(NEXT) | instid1(VALU_DEP_1)
	v_bfe_u32 v4, v3, 16, 1
	v_add3_u32 v3, v3, v4, 0x7fff
	s_delay_alu instid0(VALU_DEP_1)
	v_lshrrev_b32_e32 v3, 16, v3
	global_store_b32 v[0:1], v3, off
.LBB31_2033:
	s_mov_b32 s3, 0
.LBB31_2034:
	s_delay_alu instid0(SALU_CYCLE_1)
	s_and_b32 vcc_lo, exec_lo, s3
	s_cbranch_vccz .LBB31_2039
; %bb.2035:
	v_cmp_eq_u16_e32 vcc_lo, 44, v12
	s_mov_b32 s0, -1
	s_cbranch_vccz .LBB31_2039
; %bb.2036:
	v_cvt_f32_i32_e32 v3, v2
	v_mov_b32_e32 v4, 0xff
	s_mov_b32 s3, exec_lo
	s_delay_alu instid0(VALU_DEP_2) | instskip(NEXT) | instid1(VALU_DEP_1)
	v_bfe_u32 v5, v3, 23, 8
	v_cmpx_ne_u32_e32 0xff, v5
; %bb.2037:
	v_and_b32_e32 v4, 0x400000, v3
	v_and_or_b32 v5, 0x3fffff, v3, v5
	v_lshrrev_b32_e32 v3, 23, v3
	s_delay_alu instid0(VALU_DEP_3) | instskip(NEXT) | instid1(VALU_DEP_3)
	v_cmp_ne_u32_e32 vcc_lo, 0, v4
	v_cmp_ne_u32_e64 s0, 0, v5
	s_delay_alu instid0(VALU_DEP_1) | instskip(NEXT) | instid1(SALU_CYCLE_1)
	s_and_b32 s0, vcc_lo, s0
	v_cndmask_b32_e64 v4, 0, 1, s0
	s_delay_alu instid0(VALU_DEP_1)
	v_add_nc_u32_e32 v4, v3, v4
; %bb.2038:
	s_or_b32 exec_lo, exec_lo, s3
	s_mov_b32 s0, 0
	global_store_b8 v[0:1], v4, off
.LBB31_2039:
	s_mov_b32 s3, 0
.LBB31_2040:
	s_delay_alu instid0(SALU_CYCLE_1)
	s_and_b32 vcc_lo, exec_lo, s3
	s_cbranch_vccz .LBB31_2043
; %bb.2041:
	v_cmp_eq_u16_e32 vcc_lo, 29, v12
	s_mov_b32 s0, -1
	s_cbranch_vccz .LBB31_2043
; %bb.2042:
	v_ashrrev_i32_e32 v3, 31, v2
	s_mov_b32 s0, 0
	global_store_b64 v[0:1], v[2:3], off
.LBB31_2043:
	s_mov_b32 s3, 0
.LBB31_2044:
	s_delay_alu instid0(SALU_CYCLE_1)
	s_and_b32 vcc_lo, exec_lo, s3
	s_cbranch_vccz .LBB31_2059
; %bb.2045:
	v_cmp_gt_i16_e32 vcc_lo, 27, v12
	s_mov_b32 s3, -1
	s_cbranch_vccnz .LBB31_2051
; %bb.2046:
	v_cmp_lt_i16_e32 vcc_lo, 27, v12
	s_cbranch_vccz .LBB31_2048
; %bb.2047:
	s_mov_b32 s3, 0
	global_store_b32 v[0:1], v2, off
.LBB31_2048:
	s_and_not1_b32 vcc_lo, exec_lo, s3
	s_cbranch_vccnz .LBB31_2050
; %bb.2049:
	global_store_b16 v[0:1], v2, off
.LBB31_2050:
	s_mov_b32 s3, 0
.LBB31_2051:
	s_delay_alu instid0(SALU_CYCLE_1)
	s_and_not1_b32 vcc_lo, exec_lo, s3
	s_cbranch_vccnz .LBB31_2059
; %bb.2052:
	v_cvt_f32_i32_e32 v3, v2
	v_mov_b32_e32 v5, 0x80
	s_mov_b32 s3, exec_lo
	s_delay_alu instid0(VALU_DEP_2) | instskip(NEXT) | instid1(VALU_DEP_1)
	v_and_b32_e32 v4, 0x7fffffff, v3
	v_cmpx_gt_u32_e32 0x43800000, v4
	s_cbranch_execz .LBB31_2058
; %bb.2053:
	v_cmp_lt_u32_e32 vcc_lo, 0x3bffffff, v4
	s_mov_b32 s4, 0
                                        ; implicit-def: $vgpr4
	s_and_saveexec_b32 s5, vcc_lo
	s_delay_alu instid0(SALU_CYCLE_1)
	s_xor_b32 s5, exec_lo, s5
	s_cbranch_execz .LBB31_2129
; %bb.2054:
	v_bfe_u32 v4, v3, 20, 1
	s_mov_b32 s4, exec_lo
	s_delay_alu instid0(VALU_DEP_1) | instskip(NEXT) | instid1(VALU_DEP_1)
	v_add3_u32 v4, v3, v4, 0x487ffff
	v_lshrrev_b32_e32 v4, 20, v4
	s_or_saveexec_b32 s5, s5
                                        ; implicit-def: $sgpr6
	s_delay_alu instid0(SALU_CYCLE_1)
	s_xor_b32 exec_lo, exec_lo, s5
	s_cbranch_execnz .LBB31_2130
.LBB31_2055:
	s_or_b32 exec_lo, exec_lo, s5
	v_mov_b32_e32 v5, s6
	s_and_saveexec_b32 s5, s4
.LBB31_2056:
	v_lshrrev_b32_e32 v3, 24, v3
	s_delay_alu instid0(VALU_DEP_1)
	v_and_or_b32 v5, 0x80, v3, v4
.LBB31_2057:
	s_or_b32 exec_lo, exec_lo, s5
.LBB31_2058:
	s_delay_alu instid0(SALU_CYCLE_1)
	s_or_b32 exec_lo, exec_lo, s3
	global_store_b8 v[0:1], v5, off
.LBB31_2059:
	s_mov_b32 s3, 0
.LBB31_2060:
	s_delay_alu instid0(SALU_CYCLE_1)
	s_and_b32 vcc_lo, exec_lo, s3
	s_cbranch_vccz .LBB31_2100
; %bb.2061:
	v_cmp_lt_i16_e32 vcc_lo, 22, v12
	s_mov_b32 s2, -1
	s_cbranch_vccz .LBB31_2093
; %bb.2062:
	v_cmp_gt_i16_e32 vcc_lo, 24, v12
	s_cbranch_vccnz .LBB31_2082
; %bb.2063:
	v_cmp_lt_i16_e32 vcc_lo, 24, v12
	s_cbranch_vccz .LBB31_2071
; %bb.2064:
	v_cvt_f32_i32_e32 v3, v2
	v_mov_b32_e32 v5, 0x80
	s_mov_b32 s2, exec_lo
	s_delay_alu instid0(VALU_DEP_2) | instskip(NEXT) | instid1(VALU_DEP_1)
	v_and_b32_e32 v4, 0x7fffffff, v3
	v_cmpx_gt_u32_e32 0x47800000, v4
	s_cbranch_execz .LBB31_2070
; %bb.2065:
	v_cmp_lt_u32_e32 vcc_lo, 0x37ffffff, v4
	s_mov_b32 s3, 0
                                        ; implicit-def: $vgpr4
	s_and_saveexec_b32 s4, vcc_lo
	s_delay_alu instid0(SALU_CYCLE_1)
	s_xor_b32 s4, exec_lo, s4
	s_cbranch_execz .LBB31_2135
; %bb.2066:
	v_bfe_u32 v4, v3, 21, 1
	s_mov_b32 s3, exec_lo
	s_delay_alu instid0(VALU_DEP_1) | instskip(NEXT) | instid1(VALU_DEP_1)
	v_add3_u32 v4, v3, v4, 0x88fffff
	v_lshrrev_b32_e32 v4, 21, v4
	s_or_saveexec_b32 s4, s4
                                        ; implicit-def: $sgpr5
	s_delay_alu instid0(SALU_CYCLE_1)
	s_xor_b32 exec_lo, exec_lo, s4
	s_cbranch_execnz .LBB31_2136
.LBB31_2067:
	s_or_b32 exec_lo, exec_lo, s4
	v_mov_b32_e32 v5, s5
	s_and_saveexec_b32 s4, s3
.LBB31_2068:
	v_lshrrev_b32_e32 v3, 24, v3
	s_delay_alu instid0(VALU_DEP_1)
	v_and_or_b32 v5, 0x80, v3, v4
.LBB31_2069:
	s_or_b32 exec_lo, exec_lo, s4
.LBB31_2070:
	s_delay_alu instid0(SALU_CYCLE_1)
	s_or_b32 exec_lo, exec_lo, s2
	s_mov_b32 s2, 0
	global_store_b8 v[0:1], v5, off
.LBB31_2071:
	s_and_b32 vcc_lo, exec_lo, s2
	s_cbranch_vccz .LBB31_2081
; %bb.2072:
	v_cvt_f32_i32_e32 v3, v2
	s_mov_b32 s2, exec_lo
                                        ; implicit-def: $vgpr4
	s_delay_alu instid0(VALU_DEP_1) | instskip(NEXT) | instid1(VALU_DEP_1)
	v_and_b32_e32 v5, 0x7fffffff, v3
	v_cmpx_gt_u32_e32 0x43f00000, v5
	s_xor_b32 s2, exec_lo, s2
	s_cbranch_execz .LBB31_2078
; %bb.2073:
	s_mov_b32 s3, exec_lo
                                        ; implicit-def: $vgpr4
	v_cmpx_lt_u32_e32 0x3c7fffff, v5
	s_xor_b32 s3, exec_lo, s3
; %bb.2074:
	v_bfe_u32 v4, v3, 20, 1
	s_delay_alu instid0(VALU_DEP_1) | instskip(NEXT) | instid1(VALU_DEP_1)
	v_add3_u32 v4, v3, v4, 0x407ffff
	v_and_b32_e32 v5, 0xff00000, v4
	v_lshrrev_b32_e32 v4, 20, v4
	s_delay_alu instid0(VALU_DEP_2) | instskip(NEXT) | instid1(VALU_DEP_2)
	v_cmp_ne_u32_e32 vcc_lo, 0x7f00000, v5
	v_cndmask_b32_e32 v4, 0x7e, v4, vcc_lo
; %bb.2075:
	s_and_not1_saveexec_b32 s3, s3
; %bb.2076:
	v_add_f32_e64 v4, 0x46800000, |v3|
; %bb.2077:
	s_or_b32 exec_lo, exec_lo, s3
                                        ; implicit-def: $vgpr5
.LBB31_2078:
	s_and_not1_saveexec_b32 s2, s2
; %bb.2079:
	v_mov_b32_e32 v4, 0x7f
	v_cmp_lt_u32_e32 vcc_lo, 0x7f800000, v5
	s_delay_alu instid0(VALU_DEP_2)
	v_cndmask_b32_e32 v4, 0x7e, v4, vcc_lo
; %bb.2080:
	s_or_b32 exec_lo, exec_lo, s2
	v_lshrrev_b32_e32 v3, 24, v3
	s_delay_alu instid0(VALU_DEP_1)
	v_and_or_b32 v3, 0x80, v3, v4
	global_store_b8 v[0:1], v3, off
.LBB31_2081:
	s_mov_b32 s2, 0
.LBB31_2082:
	s_delay_alu instid0(SALU_CYCLE_1)
	s_and_not1_b32 vcc_lo, exec_lo, s2
	s_cbranch_vccnz .LBB31_2092
; %bb.2083:
	v_cvt_f32_i32_e32 v3, v2
	s_mov_b32 s2, exec_lo
                                        ; implicit-def: $vgpr4
	s_delay_alu instid0(VALU_DEP_1) | instskip(NEXT) | instid1(VALU_DEP_1)
	v_and_b32_e32 v5, 0x7fffffff, v3
	v_cmpx_gt_u32_e32 0x47800000, v5
	s_xor_b32 s2, exec_lo, s2
	s_cbranch_execz .LBB31_2089
; %bb.2084:
	s_mov_b32 s3, exec_lo
                                        ; implicit-def: $vgpr4
	v_cmpx_lt_u32_e32 0x387fffff, v5
	s_xor_b32 s3, exec_lo, s3
; %bb.2085:
	v_bfe_u32 v4, v3, 21, 1
	s_delay_alu instid0(VALU_DEP_1) | instskip(NEXT) | instid1(VALU_DEP_1)
	v_add3_u32 v4, v3, v4, 0x80fffff
	v_lshrrev_b32_e32 v4, 21, v4
; %bb.2086:
	s_and_not1_saveexec_b32 s3, s3
; %bb.2087:
	v_add_f32_e64 v4, 0x43000000, |v3|
; %bb.2088:
	s_or_b32 exec_lo, exec_lo, s3
                                        ; implicit-def: $vgpr5
.LBB31_2089:
	s_and_not1_saveexec_b32 s2, s2
; %bb.2090:
	v_mov_b32_e32 v4, 0x7f
	v_cmp_lt_u32_e32 vcc_lo, 0x7f800000, v5
	s_delay_alu instid0(VALU_DEP_2)
	v_cndmask_b32_e32 v4, 0x7c, v4, vcc_lo
; %bb.2091:
	s_or_b32 exec_lo, exec_lo, s2
	v_lshrrev_b32_e32 v3, 24, v3
	s_delay_alu instid0(VALU_DEP_1)
	v_and_or_b32 v3, 0x80, v3, v4
	global_store_b8 v[0:1], v3, off
.LBB31_2092:
	s_mov_b32 s2, 0
.LBB31_2093:
	s_delay_alu instid0(SALU_CYCLE_1)
	s_and_not1_b32 vcc_lo, exec_lo, s2
	s_mov_b32 s2, 0
	s_cbranch_vccnz .LBB31_2100
; %bb.2094:
	v_cmp_lt_i16_e32 vcc_lo, 14, v12
	s_mov_b32 s2, -1
	s_cbranch_vccz .LBB31_2098
; %bb.2095:
	v_cmp_eq_u16_e32 vcc_lo, 15, v12
	s_mov_b32 s0, -1
	s_cbranch_vccz .LBB31_2097
; %bb.2096:
	v_cvt_f32_i32_e32 v3, v2
	s_mov_b32 s0, 0
	s_delay_alu instid0(VALU_DEP_1) | instskip(NEXT) | instid1(VALU_DEP_1)
	v_bfe_u32 v4, v3, 16, 1
	v_add3_u32 v3, v3, v4, 0x7fff
	global_store_d16_hi_b16 v[0:1], v3, off
.LBB31_2097:
	s_mov_b32 s2, 0
.LBB31_2098:
	s_delay_alu instid0(SALU_CYCLE_1)
	s_and_b32 vcc_lo, exec_lo, s2
	s_mov_b32 s2, 0
	s_cbranch_vccz .LBB31_2100
; %bb.2099:
	v_cmp_ne_u16_e64 s0, 11, v12
	s_mov_b32 s2, -1
.LBB31_2100:
	s_delay_alu instid0(VALU_DEP_1)
	s_and_b32 vcc_lo, exec_lo, s0
	s_cbranch_vccnz .LBB31_2133
.LBB31_2101:
	s_mov_b32 s0, 0
	s_branch .LBB31_1431
.LBB31_2102:
	s_mov_b32 s0, 0
	s_mov_b32 s2, 0
                                        ; implicit-def: $vgpr0_vgpr1
                                        ; implicit-def: $vgpr12
                                        ; implicit-def: $vgpr2
	s_branch .LBB31_1431
.LBB31_2103:
	s_cbranch_execnz .LBB31_2107
; %bb.2104:
	s_or_b32 s1, s1, exec_lo
                                        ; implicit-def: $vgpr9
	s_cbranch_execz .LBB31_1620
	s_branch .LBB31_1621
.LBB31_2105:
	s_or_saveexec_b32 s7, s7
                                        ; implicit-def: $sgpr10
	s_delay_alu instid0(SALU_CYCLE_1)
	s_xor_b32 exec_lo, exec_lo, s7
	s_cbranch_execz .LBB31_1700
.LBB31_2106:
	v_add_f32_e64 v5, 0x46000000, |v3|
	s_and_not1_b32 s6, s6, exec_lo
	s_mov_b32 s10, 0
	s_delay_alu instid0(VALU_DEP_1) | instskip(NEXT) | instid1(VALU_DEP_1)
	v_and_b32_e32 v5, 0xff, v5
	v_cmp_ne_u32_e32 vcc_lo, 0, v5
	s_and_b32 s11, vcc_lo, exec_lo
	s_delay_alu instid0(SALU_CYCLE_1)
	s_or_b32 s6, s6, s11
	s_or_b32 exec_lo, exec_lo, s7
	v_mov_b32_e32 v13, s10
	s_and_saveexec_b32 s7, s6
	s_cbranch_execnz .LBB31_1701
	s_branch .LBB31_1702
.LBB31_2107:
	s_trap 2
	s_sendmsg_rtn_b32 s0, sendmsg(MSG_RTN_GET_DOORBELL)
	s_mov_b32 ttmp2, m0
	s_waitcnt lgkmcnt(0)
	s_and_b32 s0, s0, 0x3ff
	s_delay_alu instid0(SALU_CYCLE_1) | instskip(NEXT) | instid1(SALU_CYCLE_1)
	s_bitset1_b32 s0, 10
	s_mov_b32 m0, s0
	s_sendmsg sendmsg(MSG_INTERRUPT)
	s_mov_b32 m0, ttmp2
.LBB31_2108:                            ; =>This Inner Loop Header: Depth=1
	s_sethalt 5
	s_branch .LBB31_2108
.LBB31_2109:
	s_cbranch_execnz .LBB31_2115
; %bb.2110:
	s_or_b32 s1, s1, exec_lo
	s_cbranch_execz .LBB31_1748
	s_branch .LBB31_1749
.LBB31_2111:
	s_or_saveexec_b32 s6, s6
                                        ; implicit-def: $sgpr7
	s_delay_alu instid0(SALU_CYCLE_1)
	s_xor_b32 exec_lo, exec_lo, s6
	s_cbranch_execz .LBB31_1713
.LBB31_2112:
	v_add_f32_e64 v5, 0x42800000, |v3|
	s_and_not1_b32 s3, s3, exec_lo
	s_mov_b32 s7, 0
	s_delay_alu instid0(VALU_DEP_1) | instskip(NEXT) | instid1(VALU_DEP_1)
	v_and_b32_e32 v5, 0xff, v5
	v_cmp_ne_u32_e32 vcc_lo, 0, v5
	s_and_b32 s10, vcc_lo, exec_lo
	s_delay_alu instid0(SALU_CYCLE_1)
	s_or_b32 s3, s3, s10
	s_or_b32 exec_lo, exec_lo, s6
	v_mov_b32_e32 v13, s7
	s_and_saveexec_b32 s6, s3
	s_cbranch_execnz .LBB31_1714
	s_branch .LBB31_1715
.LBB31_2113:
	s_or_saveexec_b32 s7, s7
                                        ; implicit-def: $sgpr10
	s_delay_alu instid0(SALU_CYCLE_1)
	s_xor_b32 exec_lo, exec_lo, s7
	s_cbranch_execz .LBB31_1818
.LBB31_2114:
	v_add_f32_e64 v4, 0x46000000, |v2|
	s_and_not1_b32 s6, s6, exec_lo
	s_mov_b32 s10, 0
	s_delay_alu instid0(VALU_DEP_1) | instskip(NEXT) | instid1(VALU_DEP_1)
	v_and_b32_e32 v4, 0xff, v4
	v_cmp_ne_u32_e32 vcc_lo, 0, v4
	s_and_b32 s11, vcc_lo, exec_lo
	s_delay_alu instid0(SALU_CYCLE_1)
	s_or_b32 s6, s6, s11
	s_or_b32 exec_lo, exec_lo, s7
	v_mov_b32_e32 v7, s10
	s_and_saveexec_b32 s7, s6
	s_cbranch_execnz .LBB31_1819
	s_branch .LBB31_1820
.LBB31_2115:
	s_trap 2
	s_sendmsg_rtn_b32 s0, sendmsg(MSG_RTN_GET_DOORBELL)
	s_mov_b32 ttmp2, m0
	s_waitcnt lgkmcnt(0)
	s_and_b32 s0, s0, 0x3ff
	s_delay_alu instid0(SALU_CYCLE_1) | instskip(NEXT) | instid1(SALU_CYCLE_1)
	s_bitset1_b32 s0, 10
	s_mov_b32 m0, s0
	s_sendmsg sendmsg(MSG_INTERRUPT)
	s_mov_b32 m0, ttmp2
.LBB31_2116:                            ; =>This Inner Loop Header: Depth=1
	s_sethalt 5
	s_branch .LBB31_2116
.LBB31_2117:
	s_cbranch_execnz .LBB31_2123
; %bb.2118:
	s_or_b32 s1, s1, exec_lo
	s_cbranch_execz .LBB31_1866
	s_branch .LBB31_1867
.LBB31_2119:
	s_or_saveexec_b32 s6, s6
                                        ; implicit-def: $sgpr7
	s_delay_alu instid0(SALU_CYCLE_1)
	s_xor_b32 exec_lo, exec_lo, s6
	s_cbranch_execz .LBB31_1831
.LBB31_2120:
	v_add_f32_e64 v4, 0x42800000, |v2|
	s_and_not1_b32 s3, s3, exec_lo
	s_mov_b32 s7, 0
	s_delay_alu instid0(VALU_DEP_1) | instskip(NEXT) | instid1(VALU_DEP_1)
	v_and_b32_e32 v4, 0xff, v4
	v_cmp_ne_u32_e32 vcc_lo, 0, v4
	s_and_b32 s10, vcc_lo, exec_lo
	s_delay_alu instid0(SALU_CYCLE_1)
	s_or_b32 s3, s3, s10
	s_or_b32 exec_lo, exec_lo, s6
	v_mov_b32_e32 v7, s7
	s_and_saveexec_b32 s6, s3
	s_cbranch_execnz .LBB31_1832
	s_branch .LBB31_1833
.LBB31_2121:
	s_or_saveexec_b32 s7, s7
                                        ; implicit-def: $sgpr10
	s_delay_alu instid0(SALU_CYCLE_1)
	s_xor_b32 exec_lo, exec_lo, s7
	s_cbranch_execz .LBB31_1936
.LBB31_2122:
	v_add_f32_e64 v3, 0x46000000, |v1|
	s_and_not1_b32 s6, s6, exec_lo
	s_mov_b32 s10, 0
	s_delay_alu instid0(VALU_DEP_1) | instskip(NEXT) | instid1(VALU_DEP_1)
	v_and_b32_e32 v3, 0xff, v3
	v_cmp_ne_u32_e32 vcc_lo, 0, v3
	s_and_b32 s11, vcc_lo, exec_lo
	s_delay_alu instid0(SALU_CYCLE_1)
	s_or_b32 s6, s6, s11
	s_or_b32 exec_lo, exec_lo, s7
	v_mov_b32_e32 v6, s10
	s_and_saveexec_b32 s7, s6
	s_cbranch_execnz .LBB31_1937
	s_branch .LBB31_1938
.LBB31_2123:
	s_trap 2
	s_sendmsg_rtn_b32 s0, sendmsg(MSG_RTN_GET_DOORBELL)
	s_mov_b32 ttmp2, m0
	s_waitcnt lgkmcnt(0)
	s_and_b32 s0, s0, 0x3ff
	s_delay_alu instid0(SALU_CYCLE_1) | instskip(NEXT) | instid1(SALU_CYCLE_1)
	s_bitset1_b32 s0, 10
	s_mov_b32 m0, s0
	s_sendmsg sendmsg(MSG_INTERRUPT)
	s_mov_b32 m0, ttmp2
.LBB31_2124:                            ; =>This Inner Loop Header: Depth=1
	s_sethalt 5
	s_branch .LBB31_2124
.LBB31_2125:
	s_cbranch_execnz .LBB31_2131
; %bb.2126:
	s_or_b32 s1, s1, exec_lo
	s_cbranch_execz .LBB31_1984
	s_branch .LBB31_1985
.LBB31_2127:
	s_or_saveexec_b32 s6, s6
                                        ; implicit-def: $sgpr7
	s_delay_alu instid0(SALU_CYCLE_1)
	s_xor_b32 exec_lo, exec_lo, s6
	s_cbranch_execz .LBB31_1949
.LBB31_2128:
	v_add_f32_e64 v3, 0x42800000, |v1|
	s_and_not1_b32 s3, s3, exec_lo
	s_mov_b32 s7, 0
	s_delay_alu instid0(VALU_DEP_1) | instskip(NEXT) | instid1(VALU_DEP_1)
	v_and_b32_e32 v3, 0xff, v3
	v_cmp_ne_u32_e32 vcc_lo, 0, v3
	s_and_b32 s10, vcc_lo, exec_lo
	s_delay_alu instid0(SALU_CYCLE_1)
	s_or_b32 s3, s3, s10
	s_or_b32 exec_lo, exec_lo, s6
	v_mov_b32_e32 v6, s7
	s_and_saveexec_b32 s6, s3
	s_cbranch_execnz .LBB31_1950
	s_branch .LBB31_1951
.LBB31_2129:
	s_or_saveexec_b32 s5, s5
                                        ; implicit-def: $sgpr6
	s_delay_alu instid0(SALU_CYCLE_1)
	s_xor_b32 exec_lo, exec_lo, s5
	s_cbranch_execz .LBB31_2055
.LBB31_2130:
	v_add_f32_e64 v4, 0x46000000, |v3|
	s_and_not1_b32 s4, s4, exec_lo
	s_mov_b32 s6, 0
	s_delay_alu instid0(VALU_DEP_1) | instskip(NEXT) | instid1(VALU_DEP_1)
	v_and_b32_e32 v4, 0xff, v4
	v_cmp_ne_u32_e32 vcc_lo, 0, v4
	s_and_b32 s7, vcc_lo, exec_lo
	s_delay_alu instid0(SALU_CYCLE_1)
	s_or_b32 s4, s4, s7
	s_or_b32 exec_lo, exec_lo, s5
	v_mov_b32_e32 v5, s6
	s_and_saveexec_b32 s5, s4
	s_cbranch_execnz .LBB31_2056
	s_branch .LBB31_2057
.LBB31_2131:
	s_trap 2
	s_sendmsg_rtn_b32 s0, sendmsg(MSG_RTN_GET_DOORBELL)
	s_mov_b32 ttmp2, m0
	s_waitcnt lgkmcnt(0)
	s_and_b32 s0, s0, 0x3ff
	s_delay_alu instid0(SALU_CYCLE_1) | instskip(NEXT) | instid1(SALU_CYCLE_1)
	s_bitset1_b32 s0, 10
	s_mov_b32 m0, s0
	s_sendmsg sendmsg(MSG_INTERRUPT)
	s_mov_b32 m0, ttmp2
.LBB31_2132:                            ; =>This Inner Loop Header: Depth=1
	s_sethalt 5
	s_branch .LBB31_2132
.LBB31_2133:
	s_cbranch_execnz .LBB31_2137
; %bb.2134:
	s_mov_b32 s2, 0
	s_or_b32 s1, s1, exec_lo
	s_branch .LBB31_2101
.LBB31_2135:
	s_or_saveexec_b32 s4, s4
                                        ; implicit-def: $sgpr5
	s_delay_alu instid0(SALU_CYCLE_1)
	s_xor_b32 exec_lo, exec_lo, s4
	s_cbranch_execz .LBB31_2067
.LBB31_2136:
	v_add_f32_e64 v4, 0x42800000, |v3|
	s_and_not1_b32 s3, s3, exec_lo
	s_mov_b32 s5, 0
	s_delay_alu instid0(VALU_DEP_1) | instskip(NEXT) | instid1(VALU_DEP_1)
	v_and_b32_e32 v4, 0xff, v4
	v_cmp_ne_u32_e32 vcc_lo, 0, v4
	s_and_b32 s6, vcc_lo, exec_lo
	s_delay_alu instid0(SALU_CYCLE_1)
	s_or_b32 s3, s3, s6
	s_or_b32 exec_lo, exec_lo, s4
	v_mov_b32_e32 v5, s5
	s_and_saveexec_b32 s4, s3
	s_cbranch_execnz .LBB31_2068
	s_branch .LBB31_2069
.LBB31_2137:
	s_trap 2
	s_sendmsg_rtn_b32 s0, sendmsg(MSG_RTN_GET_DOORBELL)
	s_mov_b32 ttmp2, m0
	s_waitcnt lgkmcnt(0)
	s_and_b32 s0, s0, 0x3ff
	s_delay_alu instid0(SALU_CYCLE_1) | instskip(NEXT) | instid1(SALU_CYCLE_1)
	s_bitset1_b32 s0, 10
	s_mov_b32 m0, s0
	s_sendmsg sendmsg(MSG_INTERRUPT)
	s_mov_b32 m0, ttmp2
.LBB31_2138:                            ; =>This Inner Loop Header: Depth=1
	s_sethalt 5
	s_branch .LBB31_2138
	.section	.rodata,"a",@progbits
	.p2align	6, 0x0
	.amdhsa_kernel _ZN2at6native32elementwise_kernel_manual_unrollILi128ELi4EZNS0_15gpu_kernel_implIZZZNS0_23bitwise_not_kernel_cudaERNS_18TensorIteratorBaseEENKUlvE_clEvENKUlvE1_clEvEUliE_EEvS4_RKT_EUlibE0_EEviT1_
		.amdhsa_group_segment_fixed_size 0
		.amdhsa_private_segment_fixed_size 0
		.amdhsa_kernarg_size 360
		.amdhsa_user_sgpr_count 15
		.amdhsa_user_sgpr_dispatch_ptr 0
		.amdhsa_user_sgpr_queue_ptr 0
		.amdhsa_user_sgpr_kernarg_segment_ptr 1
		.amdhsa_user_sgpr_dispatch_id 0
		.amdhsa_user_sgpr_private_segment_size 0
		.amdhsa_wavefront_size32 1
		.amdhsa_uses_dynamic_stack 0
		.amdhsa_enable_private_segment 0
		.amdhsa_system_sgpr_workgroup_id_x 1
		.amdhsa_system_sgpr_workgroup_id_y 0
		.amdhsa_system_sgpr_workgroup_id_z 0
		.amdhsa_system_sgpr_workgroup_info 0
		.amdhsa_system_vgpr_workitem_id 0
		.amdhsa_next_free_vgpr 18
		.amdhsa_next_free_sgpr 68
		.amdhsa_reserve_vcc 1
		.amdhsa_float_round_mode_32 0
		.amdhsa_float_round_mode_16_64 0
		.amdhsa_float_denorm_mode_32 3
		.amdhsa_float_denorm_mode_16_64 3
		.amdhsa_dx10_clamp 1
		.amdhsa_ieee_mode 1
		.amdhsa_fp16_overflow 0
		.amdhsa_workgroup_processor_mode 1
		.amdhsa_memory_ordered 1
		.amdhsa_forward_progress 0
		.amdhsa_shared_vgpr_count 0
		.amdhsa_exception_fp_ieee_invalid_op 0
		.amdhsa_exception_fp_denorm_src 0
		.amdhsa_exception_fp_ieee_div_zero 0
		.amdhsa_exception_fp_ieee_overflow 0
		.amdhsa_exception_fp_ieee_underflow 0
		.amdhsa_exception_fp_ieee_inexact 0
		.amdhsa_exception_int_div_zero 0
	.end_amdhsa_kernel
	.section	.text._ZN2at6native32elementwise_kernel_manual_unrollILi128ELi4EZNS0_15gpu_kernel_implIZZZNS0_23bitwise_not_kernel_cudaERNS_18TensorIteratorBaseEENKUlvE_clEvENKUlvE1_clEvEUliE_EEvS4_RKT_EUlibE0_EEviT1_,"axG",@progbits,_ZN2at6native32elementwise_kernel_manual_unrollILi128ELi4EZNS0_15gpu_kernel_implIZZZNS0_23bitwise_not_kernel_cudaERNS_18TensorIteratorBaseEENKUlvE_clEvENKUlvE1_clEvEUliE_EEvS4_RKT_EUlibE0_EEviT1_,comdat
.Lfunc_end31:
	.size	_ZN2at6native32elementwise_kernel_manual_unrollILi128ELi4EZNS0_15gpu_kernel_implIZZZNS0_23bitwise_not_kernel_cudaERNS_18TensorIteratorBaseEENKUlvE_clEvENKUlvE1_clEvEUliE_EEvS4_RKT_EUlibE0_EEviT1_, .Lfunc_end31-_ZN2at6native32elementwise_kernel_manual_unrollILi128ELi4EZNS0_15gpu_kernel_implIZZZNS0_23bitwise_not_kernel_cudaERNS_18TensorIteratorBaseEENKUlvE_clEvENKUlvE1_clEvEUliE_EEvS4_RKT_EUlibE0_EEviT1_
                                        ; -- End function
	.section	.AMDGPU.csdata,"",@progbits
; Kernel info:
; codeLenInByte = 38500
; NumSgprs: 70
; NumVgprs: 18
; ScratchSize: 0
; MemoryBound: 1
; FloatMode: 240
; IeeeMode: 1
; LDSByteSize: 0 bytes/workgroup (compile time only)
; SGPRBlocks: 8
; VGPRBlocks: 2
; NumSGPRsForWavesPerEU: 70
; NumVGPRsForWavesPerEU: 18
; Occupancy: 16
; WaveLimiterHint : 1
; COMPUTE_PGM_RSRC2:SCRATCH_EN: 0
; COMPUTE_PGM_RSRC2:USER_SGPR: 15
; COMPUTE_PGM_RSRC2:TRAP_HANDLER: 0
; COMPUTE_PGM_RSRC2:TGID_X_EN: 1
; COMPUTE_PGM_RSRC2:TGID_Y_EN: 0
; COMPUTE_PGM_RSRC2:TGID_Z_EN: 0
; COMPUTE_PGM_RSRC2:TIDIG_COMP_CNT: 0
	.section	.text._ZN2at6native29vectorized_elementwise_kernelILi16EZZZNS0_23bitwise_not_kernel_cudaERNS_18TensorIteratorBaseEENKUlvE_clEvENKUlvE2_clEvEUllE_St5arrayIPcLm2EEEEviT0_T1_,"axG",@progbits,_ZN2at6native29vectorized_elementwise_kernelILi16EZZZNS0_23bitwise_not_kernel_cudaERNS_18TensorIteratorBaseEENKUlvE_clEvENKUlvE2_clEvEUllE_St5arrayIPcLm2EEEEviT0_T1_,comdat
	.globl	_ZN2at6native29vectorized_elementwise_kernelILi16EZZZNS0_23bitwise_not_kernel_cudaERNS_18TensorIteratorBaseEENKUlvE_clEvENKUlvE2_clEvEUllE_St5arrayIPcLm2EEEEviT0_T1_ ; -- Begin function _ZN2at6native29vectorized_elementwise_kernelILi16EZZZNS0_23bitwise_not_kernel_cudaERNS_18TensorIteratorBaseEENKUlvE_clEvENKUlvE2_clEvEUllE_St5arrayIPcLm2EEEEviT0_T1_
	.p2align	8
	.type	_ZN2at6native29vectorized_elementwise_kernelILi16EZZZNS0_23bitwise_not_kernel_cudaERNS_18TensorIteratorBaseEENKUlvE_clEvENKUlvE2_clEvEUllE_St5arrayIPcLm2EEEEviT0_T1_,@function
_ZN2at6native29vectorized_elementwise_kernelILi16EZZZNS0_23bitwise_not_kernel_cudaERNS_18TensorIteratorBaseEENKUlvE_clEvENKUlvE2_clEvEUllE_St5arrayIPcLm2EEEEviT0_T1_: ; @_ZN2at6native29vectorized_elementwise_kernelILi16EZZZNS0_23bitwise_not_kernel_cudaERNS_18TensorIteratorBaseEENKUlvE_clEvENKUlvE2_clEvEUllE_St5arrayIPcLm2EEEEviT0_T1_
; %bb.0:
	s_clause 0x1
	s_load_b32 s3, s[0:1], 0x0
	s_load_b128 s[4:7], s[0:1], 0x8
	s_lshl_b32 s2, s15, 10
	s_mov_b32 s0, -1
	s_waitcnt lgkmcnt(0)
	s_sub_i32 s1, s3, s2
	s_delay_alu instid0(SALU_CYCLE_1)
	s_cmpk_gt_i32 s1, 0x3ff
	s_cbranch_scc0 .LBB32_2
; %bb.1:
	s_ashr_i32 s3, s2, 31
	v_lshlrev_b32_e32 v9, 5, v0
	s_lshl_b64 s[8:9], s[2:3], 3
	s_mov_b32 s0, 0
	s_add_u32 s10, s6, s8
	s_addc_u32 s11, s7, s9
	s_add_u32 s8, s4, s8
	s_clause 0x1
	global_load_b128 v[1:4], v9, s[10:11]
	global_load_b128 v[5:8], v9, s[10:11] offset:16
	s_addc_u32 s9, s5, s9
	s_waitcnt vmcnt(1)
	v_not_b32_e32 v2, v2
	v_not_b32_e32 v1, v1
	;; [unrolled: 1-line block ×4, first 2 shown]
	s_waitcnt vmcnt(0)
	v_not_b32_e32 v6, v6
	v_not_b32_e32 v5, v5
	;; [unrolled: 1-line block ×4, first 2 shown]
	s_clause 0x1
	global_store_b128 v9, v[1:4], s[8:9]
	global_store_b128 v9, v[5:8], s[8:9] offset:16
.LBB32_2:
	s_and_not1_b32 vcc_lo, exec_lo, s0
	s_cbranch_vccnz .LBB32_14
; %bb.3:
	v_dual_mov_b32 v1, -1 :: v_dual_mov_b32 v6, v0
	v_mov_b32_e32 v2, -1
	v_cmp_gt_i32_e32 vcc_lo, s1, v0
	v_or_b32_e32 v5, s2, v0
	v_or_b32_e32 v11, 0x100, v0
	s_delay_alu instid0(VALU_DEP_4)
	v_dual_mov_b32 v8, v2 :: v_dual_mov_b32 v7, v1
	s_and_saveexec_b32 s3, vcc_lo
	s_cbranch_execz .LBB32_5
; %bb.4:
	v_mov_b32_e32 v6, 0
	s_delay_alu instid0(VALU_DEP_1) | instskip(SKIP_1) | instid1(VALU_DEP_2)
	v_lshlrev_b64 v[3:4], 3, v[5:6]
	v_or_b32_e32 v6, 0x100, v0
	v_add_co_u32 v3, s0, s6, v3
	s_delay_alu instid0(VALU_DEP_1)
	v_add_co_ci_u32_e64 v4, s0, s7, v4, s0
	global_load_b64 v[3:4], v[3:4], off
	s_waitcnt vmcnt(0)
	v_not_b32_e32 v8, v4
	v_not_b32_e32 v7, v3
.LBB32_5:
	s_or_b32 exec_lo, exec_lo, s3
	s_delay_alu instid0(SALU_CYCLE_1)
	s_mov_b32 s3, exec_lo
	v_cmpx_gt_i32_e64 s1, v6
	s_cbranch_execz .LBB32_7
; %bb.6:
	v_dual_mov_b32 v2, 0 :: v_dual_add_nc_u32 v1, s2, v6
	v_add_nc_u32_e32 v6, 0x100, v6
	s_delay_alu instid0(VALU_DEP_2) | instskip(NEXT) | instid1(VALU_DEP_1)
	v_lshlrev_b64 v[1:2], 3, v[1:2]
	v_add_co_u32 v1, s0, s6, v1
	s_delay_alu instid0(VALU_DEP_1)
	v_add_co_ci_u32_e64 v2, s0, s7, v2, s0
	global_load_b64 v[1:2], v[1:2], off
	s_waitcnt vmcnt(0)
	v_not_b32_e32 v2, v2
	v_not_b32_e32 v1, v1
.LBB32_7:
	s_or_b32 exec_lo, exec_lo, s3
	v_mov_b32_e32 v3, -1
	v_mov_b32_e32 v4, -1
	s_mov_b32 s3, exec_lo
	s_delay_alu instid0(VALU_DEP_1)
	v_dual_mov_b32 v10, v4 :: v_dual_mov_b32 v9, v3
	v_cmpx_gt_i32_e64 s1, v6
	s_cbranch_execnz .LBB32_15
; %bb.8:
	s_or_b32 exec_lo, exec_lo, s3
	s_delay_alu instid0(SALU_CYCLE_1)
	s_mov_b32 s3, exec_lo
	v_cmpx_gt_i32_e64 s1, v6
	s_cbranch_execnz .LBB32_16
.LBB32_9:
	s_or_b32 exec_lo, exec_lo, s3
	s_and_saveexec_b32 s0, vcc_lo
	s_cbranch_execnz .LBB32_17
.LBB32_10:
	s_or_b32 exec_lo, exec_lo, s0
	s_delay_alu instid0(SALU_CYCLE_1)
	s_mov_b32 s0, exec_lo
	v_cmpx_gt_i32_e64 s1, v0
	s_cbranch_execnz .LBB32_18
.LBB32_11:
	s_or_b32 exec_lo, exec_lo, s0
	s_delay_alu instid0(SALU_CYCLE_1)
	s_mov_b32 s0, exec_lo
	v_cmpx_gt_i32_e64 s1, v0
	s_cbranch_execnz .LBB32_19
.LBB32_12:
	s_or_b32 exec_lo, exec_lo, s0
	s_delay_alu instid0(SALU_CYCLE_1)
	s_mov_b32 s0, exec_lo
	v_cmpx_gt_i32_e64 s1, v0
	s_cbranch_execz .LBB32_14
.LBB32_13:
	v_dual_mov_b32 v1, 0 :: v_dual_add_nc_u32 v0, s2, v0
	s_delay_alu instid0(VALU_DEP_1) | instskip(NEXT) | instid1(VALU_DEP_1)
	v_lshlrev_b64 v[0:1], 3, v[0:1]
	v_add_co_u32 v0, vcc_lo, s4, v0
	s_delay_alu instid0(VALU_DEP_2)
	v_add_co_ci_u32_e32 v1, vcc_lo, s5, v1, vcc_lo
	global_store_b64 v[0:1], v[3:4], off
.LBB32_14:
	s_nop 0
	s_sendmsg sendmsg(MSG_DEALLOC_VGPRS)
	s_endpgm
.LBB32_15:
	v_dual_mov_b32 v10, 0 :: v_dual_add_nc_u32 v9, s2, v6
	v_add_nc_u32_e32 v6, 0x100, v6
	s_delay_alu instid0(VALU_DEP_2) | instskip(NEXT) | instid1(VALU_DEP_1)
	v_lshlrev_b64 v[9:10], 3, v[9:10]
	v_add_co_u32 v9, s0, s6, v9
	s_delay_alu instid0(VALU_DEP_1)
	v_add_co_ci_u32_e64 v10, s0, s7, v10, s0
	global_load_b64 v[9:10], v[9:10], off
	s_waitcnt vmcnt(0)
	v_not_b32_e32 v10, v10
	v_not_b32_e32 v9, v9
	s_or_b32 exec_lo, exec_lo, s3
	s_delay_alu instid0(SALU_CYCLE_1)
	s_mov_b32 s3, exec_lo
	v_cmpx_gt_i32_e64 s1, v6
	s_cbranch_execz .LBB32_9
.LBB32_16:
	v_dual_mov_b32 v4, 0 :: v_dual_add_nc_u32 v3, s2, v6
	s_delay_alu instid0(VALU_DEP_1) | instskip(NEXT) | instid1(VALU_DEP_1)
	v_lshlrev_b64 v[3:4], 3, v[3:4]
	v_add_co_u32 v3, s0, s6, v3
	s_delay_alu instid0(VALU_DEP_1)
	v_add_co_ci_u32_e64 v4, s0, s7, v4, s0
	global_load_b64 v[3:4], v[3:4], off
	s_waitcnt vmcnt(0)
	v_not_b32_e32 v4, v4
	v_not_b32_e32 v3, v3
	s_or_b32 exec_lo, exec_lo, s3
	s_and_saveexec_b32 s0, vcc_lo
	s_cbranch_execz .LBB32_10
.LBB32_17:
	v_mov_b32_e32 v6, 0
	v_mov_b32_e32 v0, v11
	s_delay_alu instid0(VALU_DEP_2) | instskip(NEXT) | instid1(VALU_DEP_1)
	v_lshlrev_b64 v[5:6], 3, v[5:6]
	v_add_co_u32 v5, vcc_lo, s4, v5
	s_delay_alu instid0(VALU_DEP_2) | instskip(SKIP_2) | instid1(SALU_CYCLE_1)
	v_add_co_ci_u32_e32 v6, vcc_lo, s5, v6, vcc_lo
	global_store_b64 v[5:6], v[7:8], off
	s_or_b32 exec_lo, exec_lo, s0
	s_mov_b32 s0, exec_lo
	v_cmpx_gt_i32_e64 s1, v0
	s_cbranch_execz .LBB32_11
.LBB32_18:
	v_dual_mov_b32 v6, 0 :: v_dual_add_nc_u32 v5, s2, v0
	v_add_nc_u32_e32 v0, 0x100, v0
	s_delay_alu instid0(VALU_DEP_2) | instskip(NEXT) | instid1(VALU_DEP_1)
	v_lshlrev_b64 v[5:6], 3, v[5:6]
	v_add_co_u32 v5, vcc_lo, s4, v5
	s_delay_alu instid0(VALU_DEP_2) | instskip(SKIP_2) | instid1(SALU_CYCLE_1)
	v_add_co_ci_u32_e32 v6, vcc_lo, s5, v6, vcc_lo
	global_store_b64 v[5:6], v[1:2], off
	s_or_b32 exec_lo, exec_lo, s0
	s_mov_b32 s0, exec_lo
	v_cmpx_gt_i32_e64 s1, v0
	s_cbranch_execz .LBB32_12
.LBB32_19:
	v_dual_mov_b32 v2, 0 :: v_dual_add_nc_u32 v1, s2, v0
	v_add_nc_u32_e32 v0, 0x100, v0
	s_delay_alu instid0(VALU_DEP_2) | instskip(NEXT) | instid1(VALU_DEP_1)
	v_lshlrev_b64 v[1:2], 3, v[1:2]
	v_add_co_u32 v1, vcc_lo, s4, v1
	s_delay_alu instid0(VALU_DEP_2) | instskip(SKIP_2) | instid1(SALU_CYCLE_1)
	v_add_co_ci_u32_e32 v2, vcc_lo, s5, v2, vcc_lo
	global_store_b64 v[1:2], v[9:10], off
	s_or_b32 exec_lo, exec_lo, s0
	s_mov_b32 s0, exec_lo
	v_cmpx_gt_i32_e64 s1, v0
	s_cbranch_execnz .LBB32_13
	s_branch .LBB32_14
	.section	.rodata,"a",@progbits
	.p2align	6, 0x0
	.amdhsa_kernel _ZN2at6native29vectorized_elementwise_kernelILi16EZZZNS0_23bitwise_not_kernel_cudaERNS_18TensorIteratorBaseEENKUlvE_clEvENKUlvE2_clEvEUllE_St5arrayIPcLm2EEEEviT0_T1_
		.amdhsa_group_segment_fixed_size 0
		.amdhsa_private_segment_fixed_size 0
		.amdhsa_kernarg_size 24
		.amdhsa_user_sgpr_count 15
		.amdhsa_user_sgpr_dispatch_ptr 0
		.amdhsa_user_sgpr_queue_ptr 0
		.amdhsa_user_sgpr_kernarg_segment_ptr 1
		.amdhsa_user_sgpr_dispatch_id 0
		.amdhsa_user_sgpr_private_segment_size 0
		.amdhsa_wavefront_size32 1
		.amdhsa_uses_dynamic_stack 0
		.amdhsa_enable_private_segment 0
		.amdhsa_system_sgpr_workgroup_id_x 1
		.amdhsa_system_sgpr_workgroup_id_y 0
		.amdhsa_system_sgpr_workgroup_id_z 0
		.amdhsa_system_sgpr_workgroup_info 0
		.amdhsa_system_vgpr_workitem_id 0
		.amdhsa_next_free_vgpr 12
		.amdhsa_next_free_sgpr 16
		.amdhsa_reserve_vcc 1
		.amdhsa_float_round_mode_32 0
		.amdhsa_float_round_mode_16_64 0
		.amdhsa_float_denorm_mode_32 3
		.amdhsa_float_denorm_mode_16_64 3
		.amdhsa_dx10_clamp 1
		.amdhsa_ieee_mode 1
		.amdhsa_fp16_overflow 0
		.amdhsa_workgroup_processor_mode 1
		.amdhsa_memory_ordered 1
		.amdhsa_forward_progress 0
		.amdhsa_shared_vgpr_count 0
		.amdhsa_exception_fp_ieee_invalid_op 0
		.amdhsa_exception_fp_denorm_src 0
		.amdhsa_exception_fp_ieee_div_zero 0
		.amdhsa_exception_fp_ieee_overflow 0
		.amdhsa_exception_fp_ieee_underflow 0
		.amdhsa_exception_fp_ieee_inexact 0
		.amdhsa_exception_int_div_zero 0
	.end_amdhsa_kernel
	.section	.text._ZN2at6native29vectorized_elementwise_kernelILi16EZZZNS0_23bitwise_not_kernel_cudaERNS_18TensorIteratorBaseEENKUlvE_clEvENKUlvE2_clEvEUllE_St5arrayIPcLm2EEEEviT0_T1_,"axG",@progbits,_ZN2at6native29vectorized_elementwise_kernelILi16EZZZNS0_23bitwise_not_kernel_cudaERNS_18TensorIteratorBaseEENKUlvE_clEvENKUlvE2_clEvEUllE_St5arrayIPcLm2EEEEviT0_T1_,comdat
.Lfunc_end32:
	.size	_ZN2at6native29vectorized_elementwise_kernelILi16EZZZNS0_23bitwise_not_kernel_cudaERNS_18TensorIteratorBaseEENKUlvE_clEvENKUlvE2_clEvEUllE_St5arrayIPcLm2EEEEviT0_T1_, .Lfunc_end32-_ZN2at6native29vectorized_elementwise_kernelILi16EZZZNS0_23bitwise_not_kernel_cudaERNS_18TensorIteratorBaseEENKUlvE_clEvENKUlvE2_clEvEUllE_St5arrayIPcLm2EEEEviT0_T1_
                                        ; -- End function
	.section	.AMDGPU.csdata,"",@progbits
; Kernel info:
; codeLenInByte = 952
; NumSgprs: 18
; NumVgprs: 12
; ScratchSize: 0
; MemoryBound: 0
; FloatMode: 240
; IeeeMode: 1
; LDSByteSize: 0 bytes/workgroup (compile time only)
; SGPRBlocks: 2
; VGPRBlocks: 1
; NumSGPRsForWavesPerEU: 18
; NumVGPRsForWavesPerEU: 12
; Occupancy: 16
; WaveLimiterHint : 0
; COMPUTE_PGM_RSRC2:SCRATCH_EN: 0
; COMPUTE_PGM_RSRC2:USER_SGPR: 15
; COMPUTE_PGM_RSRC2:TRAP_HANDLER: 0
; COMPUTE_PGM_RSRC2:TGID_X_EN: 1
; COMPUTE_PGM_RSRC2:TGID_Y_EN: 0
; COMPUTE_PGM_RSRC2:TGID_Z_EN: 0
; COMPUTE_PGM_RSRC2:TIDIG_COMP_CNT: 0
	.section	.text._ZN2at6native29vectorized_elementwise_kernelILi8EZZZNS0_23bitwise_not_kernel_cudaERNS_18TensorIteratorBaseEENKUlvE_clEvENKUlvE2_clEvEUllE_St5arrayIPcLm2EEEEviT0_T1_,"axG",@progbits,_ZN2at6native29vectorized_elementwise_kernelILi8EZZZNS0_23bitwise_not_kernel_cudaERNS_18TensorIteratorBaseEENKUlvE_clEvENKUlvE2_clEvEUllE_St5arrayIPcLm2EEEEviT0_T1_,comdat
	.globl	_ZN2at6native29vectorized_elementwise_kernelILi8EZZZNS0_23bitwise_not_kernel_cudaERNS_18TensorIteratorBaseEENKUlvE_clEvENKUlvE2_clEvEUllE_St5arrayIPcLm2EEEEviT0_T1_ ; -- Begin function _ZN2at6native29vectorized_elementwise_kernelILi8EZZZNS0_23bitwise_not_kernel_cudaERNS_18TensorIteratorBaseEENKUlvE_clEvENKUlvE2_clEvEUllE_St5arrayIPcLm2EEEEviT0_T1_
	.p2align	8
	.type	_ZN2at6native29vectorized_elementwise_kernelILi8EZZZNS0_23bitwise_not_kernel_cudaERNS_18TensorIteratorBaseEENKUlvE_clEvENKUlvE2_clEvEUllE_St5arrayIPcLm2EEEEviT0_T1_,@function
_ZN2at6native29vectorized_elementwise_kernelILi8EZZZNS0_23bitwise_not_kernel_cudaERNS_18TensorIteratorBaseEENKUlvE_clEvENKUlvE2_clEvEUllE_St5arrayIPcLm2EEEEviT0_T1_: ; @_ZN2at6native29vectorized_elementwise_kernelILi8EZZZNS0_23bitwise_not_kernel_cudaERNS_18TensorIteratorBaseEENKUlvE_clEvENKUlvE2_clEvEUllE_St5arrayIPcLm2EEEEviT0_T1_
; %bb.0:
	s_clause 0x1
	s_load_b32 s3, s[0:1], 0x0
	s_load_b128 s[4:7], s[0:1], 0x8
	s_lshl_b32 s2, s15, 10
	s_mov_b32 s0, -1
	s_waitcnt lgkmcnt(0)
	s_sub_i32 s1, s3, s2
	s_delay_alu instid0(SALU_CYCLE_1)
	s_cmpk_gt_i32 s1, 0x3ff
	s_cbranch_scc0 .LBB33_2
; %bb.1:
	s_ashr_i32 s3, s2, 31
	v_lshlrev_b32_e32 v9, 5, v0
	s_lshl_b64 s[8:9], s[2:3], 3
	s_mov_b32 s0, 0
	s_add_u32 s10, s6, s8
	s_addc_u32 s11, s7, s9
	s_add_u32 s8, s4, s8
	s_clause 0x1
	global_load_b128 v[1:4], v9, s[10:11]
	global_load_b128 v[5:8], v9, s[10:11] offset:16
	s_addc_u32 s9, s5, s9
	s_waitcnt vmcnt(1)
	v_not_b32_e32 v2, v2
	v_not_b32_e32 v1, v1
	;; [unrolled: 1-line block ×4, first 2 shown]
	s_waitcnt vmcnt(0)
	v_not_b32_e32 v6, v6
	v_not_b32_e32 v5, v5
	;; [unrolled: 1-line block ×4, first 2 shown]
	s_clause 0x1
	global_store_b128 v9, v[1:4], s[8:9]
	global_store_b128 v9, v[5:8], s[8:9] offset:16
.LBB33_2:
	s_and_not1_b32 vcc_lo, exec_lo, s0
	s_cbranch_vccnz .LBB33_14
; %bb.3:
	v_dual_mov_b32 v1, -1 :: v_dual_mov_b32 v6, v0
	v_mov_b32_e32 v2, -1
	v_cmp_gt_i32_e32 vcc_lo, s1, v0
	v_or_b32_e32 v5, s2, v0
	v_or_b32_e32 v11, 0x100, v0
	s_delay_alu instid0(VALU_DEP_4)
	v_dual_mov_b32 v8, v2 :: v_dual_mov_b32 v7, v1
	s_and_saveexec_b32 s3, vcc_lo
	s_cbranch_execz .LBB33_5
; %bb.4:
	v_mov_b32_e32 v6, 0
	s_delay_alu instid0(VALU_DEP_1) | instskip(SKIP_1) | instid1(VALU_DEP_2)
	v_lshlrev_b64 v[3:4], 3, v[5:6]
	v_or_b32_e32 v6, 0x100, v0
	v_add_co_u32 v3, s0, s6, v3
	s_delay_alu instid0(VALU_DEP_1)
	v_add_co_ci_u32_e64 v4, s0, s7, v4, s0
	global_load_b64 v[3:4], v[3:4], off
	s_waitcnt vmcnt(0)
	v_not_b32_e32 v8, v4
	v_not_b32_e32 v7, v3
.LBB33_5:
	s_or_b32 exec_lo, exec_lo, s3
	s_delay_alu instid0(SALU_CYCLE_1)
	s_mov_b32 s3, exec_lo
	v_cmpx_gt_i32_e64 s1, v6
	s_cbranch_execz .LBB33_7
; %bb.6:
	v_dual_mov_b32 v2, 0 :: v_dual_add_nc_u32 v1, s2, v6
	v_add_nc_u32_e32 v6, 0x100, v6
	s_delay_alu instid0(VALU_DEP_2) | instskip(NEXT) | instid1(VALU_DEP_1)
	v_lshlrev_b64 v[1:2], 3, v[1:2]
	v_add_co_u32 v1, s0, s6, v1
	s_delay_alu instid0(VALU_DEP_1)
	v_add_co_ci_u32_e64 v2, s0, s7, v2, s0
	global_load_b64 v[1:2], v[1:2], off
	s_waitcnt vmcnt(0)
	v_not_b32_e32 v2, v2
	v_not_b32_e32 v1, v1
.LBB33_7:
	s_or_b32 exec_lo, exec_lo, s3
	v_mov_b32_e32 v3, -1
	v_mov_b32_e32 v4, -1
	s_mov_b32 s3, exec_lo
	s_delay_alu instid0(VALU_DEP_1)
	v_dual_mov_b32 v10, v4 :: v_dual_mov_b32 v9, v3
	v_cmpx_gt_i32_e64 s1, v6
	s_cbranch_execnz .LBB33_15
; %bb.8:
	s_or_b32 exec_lo, exec_lo, s3
	s_delay_alu instid0(SALU_CYCLE_1)
	s_mov_b32 s3, exec_lo
	v_cmpx_gt_i32_e64 s1, v6
	s_cbranch_execnz .LBB33_16
.LBB33_9:
	s_or_b32 exec_lo, exec_lo, s3
	s_and_saveexec_b32 s0, vcc_lo
	s_cbranch_execnz .LBB33_17
.LBB33_10:
	s_or_b32 exec_lo, exec_lo, s0
	s_delay_alu instid0(SALU_CYCLE_1)
	s_mov_b32 s0, exec_lo
	v_cmpx_gt_i32_e64 s1, v0
	s_cbranch_execnz .LBB33_18
.LBB33_11:
	s_or_b32 exec_lo, exec_lo, s0
	s_delay_alu instid0(SALU_CYCLE_1)
	s_mov_b32 s0, exec_lo
	v_cmpx_gt_i32_e64 s1, v0
	s_cbranch_execnz .LBB33_19
.LBB33_12:
	s_or_b32 exec_lo, exec_lo, s0
	s_delay_alu instid0(SALU_CYCLE_1)
	s_mov_b32 s0, exec_lo
	v_cmpx_gt_i32_e64 s1, v0
	s_cbranch_execz .LBB33_14
.LBB33_13:
	v_dual_mov_b32 v1, 0 :: v_dual_add_nc_u32 v0, s2, v0
	s_delay_alu instid0(VALU_DEP_1) | instskip(NEXT) | instid1(VALU_DEP_1)
	v_lshlrev_b64 v[0:1], 3, v[0:1]
	v_add_co_u32 v0, vcc_lo, s4, v0
	s_delay_alu instid0(VALU_DEP_2)
	v_add_co_ci_u32_e32 v1, vcc_lo, s5, v1, vcc_lo
	global_store_b64 v[0:1], v[3:4], off
.LBB33_14:
	s_nop 0
	s_sendmsg sendmsg(MSG_DEALLOC_VGPRS)
	s_endpgm
.LBB33_15:
	v_dual_mov_b32 v10, 0 :: v_dual_add_nc_u32 v9, s2, v6
	v_add_nc_u32_e32 v6, 0x100, v6
	s_delay_alu instid0(VALU_DEP_2) | instskip(NEXT) | instid1(VALU_DEP_1)
	v_lshlrev_b64 v[9:10], 3, v[9:10]
	v_add_co_u32 v9, s0, s6, v9
	s_delay_alu instid0(VALU_DEP_1)
	v_add_co_ci_u32_e64 v10, s0, s7, v10, s0
	global_load_b64 v[9:10], v[9:10], off
	s_waitcnt vmcnt(0)
	v_not_b32_e32 v10, v10
	v_not_b32_e32 v9, v9
	s_or_b32 exec_lo, exec_lo, s3
	s_delay_alu instid0(SALU_CYCLE_1)
	s_mov_b32 s3, exec_lo
	v_cmpx_gt_i32_e64 s1, v6
	s_cbranch_execz .LBB33_9
.LBB33_16:
	v_dual_mov_b32 v4, 0 :: v_dual_add_nc_u32 v3, s2, v6
	s_delay_alu instid0(VALU_DEP_1) | instskip(NEXT) | instid1(VALU_DEP_1)
	v_lshlrev_b64 v[3:4], 3, v[3:4]
	v_add_co_u32 v3, s0, s6, v3
	s_delay_alu instid0(VALU_DEP_1)
	v_add_co_ci_u32_e64 v4, s0, s7, v4, s0
	global_load_b64 v[3:4], v[3:4], off
	s_waitcnt vmcnt(0)
	v_not_b32_e32 v4, v4
	v_not_b32_e32 v3, v3
	s_or_b32 exec_lo, exec_lo, s3
	s_and_saveexec_b32 s0, vcc_lo
	s_cbranch_execz .LBB33_10
.LBB33_17:
	v_mov_b32_e32 v6, 0
	v_mov_b32_e32 v0, v11
	s_delay_alu instid0(VALU_DEP_2) | instskip(NEXT) | instid1(VALU_DEP_1)
	v_lshlrev_b64 v[5:6], 3, v[5:6]
	v_add_co_u32 v5, vcc_lo, s4, v5
	s_delay_alu instid0(VALU_DEP_2) | instskip(SKIP_2) | instid1(SALU_CYCLE_1)
	v_add_co_ci_u32_e32 v6, vcc_lo, s5, v6, vcc_lo
	global_store_b64 v[5:6], v[7:8], off
	s_or_b32 exec_lo, exec_lo, s0
	s_mov_b32 s0, exec_lo
	v_cmpx_gt_i32_e64 s1, v0
	s_cbranch_execz .LBB33_11
.LBB33_18:
	v_dual_mov_b32 v6, 0 :: v_dual_add_nc_u32 v5, s2, v0
	v_add_nc_u32_e32 v0, 0x100, v0
	s_delay_alu instid0(VALU_DEP_2) | instskip(NEXT) | instid1(VALU_DEP_1)
	v_lshlrev_b64 v[5:6], 3, v[5:6]
	v_add_co_u32 v5, vcc_lo, s4, v5
	s_delay_alu instid0(VALU_DEP_2) | instskip(SKIP_2) | instid1(SALU_CYCLE_1)
	v_add_co_ci_u32_e32 v6, vcc_lo, s5, v6, vcc_lo
	global_store_b64 v[5:6], v[1:2], off
	s_or_b32 exec_lo, exec_lo, s0
	s_mov_b32 s0, exec_lo
	v_cmpx_gt_i32_e64 s1, v0
	s_cbranch_execz .LBB33_12
.LBB33_19:
	v_dual_mov_b32 v2, 0 :: v_dual_add_nc_u32 v1, s2, v0
	v_add_nc_u32_e32 v0, 0x100, v0
	s_delay_alu instid0(VALU_DEP_2) | instskip(NEXT) | instid1(VALU_DEP_1)
	v_lshlrev_b64 v[1:2], 3, v[1:2]
	v_add_co_u32 v1, vcc_lo, s4, v1
	s_delay_alu instid0(VALU_DEP_2) | instskip(SKIP_2) | instid1(SALU_CYCLE_1)
	v_add_co_ci_u32_e32 v2, vcc_lo, s5, v2, vcc_lo
	global_store_b64 v[1:2], v[9:10], off
	s_or_b32 exec_lo, exec_lo, s0
	s_mov_b32 s0, exec_lo
	v_cmpx_gt_i32_e64 s1, v0
	s_cbranch_execnz .LBB33_13
	s_branch .LBB33_14
	.section	.rodata,"a",@progbits
	.p2align	6, 0x0
	.amdhsa_kernel _ZN2at6native29vectorized_elementwise_kernelILi8EZZZNS0_23bitwise_not_kernel_cudaERNS_18TensorIteratorBaseEENKUlvE_clEvENKUlvE2_clEvEUllE_St5arrayIPcLm2EEEEviT0_T1_
		.amdhsa_group_segment_fixed_size 0
		.amdhsa_private_segment_fixed_size 0
		.amdhsa_kernarg_size 24
		.amdhsa_user_sgpr_count 15
		.amdhsa_user_sgpr_dispatch_ptr 0
		.amdhsa_user_sgpr_queue_ptr 0
		.amdhsa_user_sgpr_kernarg_segment_ptr 1
		.amdhsa_user_sgpr_dispatch_id 0
		.amdhsa_user_sgpr_private_segment_size 0
		.amdhsa_wavefront_size32 1
		.amdhsa_uses_dynamic_stack 0
		.amdhsa_enable_private_segment 0
		.amdhsa_system_sgpr_workgroup_id_x 1
		.amdhsa_system_sgpr_workgroup_id_y 0
		.amdhsa_system_sgpr_workgroup_id_z 0
		.amdhsa_system_sgpr_workgroup_info 0
		.amdhsa_system_vgpr_workitem_id 0
		.amdhsa_next_free_vgpr 12
		.amdhsa_next_free_sgpr 16
		.amdhsa_reserve_vcc 1
		.amdhsa_float_round_mode_32 0
		.amdhsa_float_round_mode_16_64 0
		.amdhsa_float_denorm_mode_32 3
		.amdhsa_float_denorm_mode_16_64 3
		.amdhsa_dx10_clamp 1
		.amdhsa_ieee_mode 1
		.amdhsa_fp16_overflow 0
		.amdhsa_workgroup_processor_mode 1
		.amdhsa_memory_ordered 1
		.amdhsa_forward_progress 0
		.amdhsa_shared_vgpr_count 0
		.amdhsa_exception_fp_ieee_invalid_op 0
		.amdhsa_exception_fp_denorm_src 0
		.amdhsa_exception_fp_ieee_div_zero 0
		.amdhsa_exception_fp_ieee_overflow 0
		.amdhsa_exception_fp_ieee_underflow 0
		.amdhsa_exception_fp_ieee_inexact 0
		.amdhsa_exception_int_div_zero 0
	.end_amdhsa_kernel
	.section	.text._ZN2at6native29vectorized_elementwise_kernelILi8EZZZNS0_23bitwise_not_kernel_cudaERNS_18TensorIteratorBaseEENKUlvE_clEvENKUlvE2_clEvEUllE_St5arrayIPcLm2EEEEviT0_T1_,"axG",@progbits,_ZN2at6native29vectorized_elementwise_kernelILi8EZZZNS0_23bitwise_not_kernel_cudaERNS_18TensorIteratorBaseEENKUlvE_clEvENKUlvE2_clEvEUllE_St5arrayIPcLm2EEEEviT0_T1_,comdat
.Lfunc_end33:
	.size	_ZN2at6native29vectorized_elementwise_kernelILi8EZZZNS0_23bitwise_not_kernel_cudaERNS_18TensorIteratorBaseEENKUlvE_clEvENKUlvE2_clEvEUllE_St5arrayIPcLm2EEEEviT0_T1_, .Lfunc_end33-_ZN2at6native29vectorized_elementwise_kernelILi8EZZZNS0_23bitwise_not_kernel_cudaERNS_18TensorIteratorBaseEENKUlvE_clEvENKUlvE2_clEvEUllE_St5arrayIPcLm2EEEEviT0_T1_
                                        ; -- End function
	.section	.AMDGPU.csdata,"",@progbits
; Kernel info:
; codeLenInByte = 952
; NumSgprs: 18
; NumVgprs: 12
; ScratchSize: 0
; MemoryBound: 0
; FloatMode: 240
; IeeeMode: 1
; LDSByteSize: 0 bytes/workgroup (compile time only)
; SGPRBlocks: 2
; VGPRBlocks: 1
; NumSGPRsForWavesPerEU: 18
; NumVGPRsForWavesPerEU: 12
; Occupancy: 16
; WaveLimiterHint : 0
; COMPUTE_PGM_RSRC2:SCRATCH_EN: 0
; COMPUTE_PGM_RSRC2:USER_SGPR: 15
; COMPUTE_PGM_RSRC2:TRAP_HANDLER: 0
; COMPUTE_PGM_RSRC2:TGID_X_EN: 1
; COMPUTE_PGM_RSRC2:TGID_Y_EN: 0
; COMPUTE_PGM_RSRC2:TGID_Z_EN: 0
; COMPUTE_PGM_RSRC2:TIDIG_COMP_CNT: 0
	.section	.text._ZN2at6native29vectorized_elementwise_kernelILi4EZZZNS0_23bitwise_not_kernel_cudaERNS_18TensorIteratorBaseEENKUlvE_clEvENKUlvE2_clEvEUllE_St5arrayIPcLm2EEEEviT0_T1_,"axG",@progbits,_ZN2at6native29vectorized_elementwise_kernelILi4EZZZNS0_23bitwise_not_kernel_cudaERNS_18TensorIteratorBaseEENKUlvE_clEvENKUlvE2_clEvEUllE_St5arrayIPcLm2EEEEviT0_T1_,comdat
	.globl	_ZN2at6native29vectorized_elementwise_kernelILi4EZZZNS0_23bitwise_not_kernel_cudaERNS_18TensorIteratorBaseEENKUlvE_clEvENKUlvE2_clEvEUllE_St5arrayIPcLm2EEEEviT0_T1_ ; -- Begin function _ZN2at6native29vectorized_elementwise_kernelILi4EZZZNS0_23bitwise_not_kernel_cudaERNS_18TensorIteratorBaseEENKUlvE_clEvENKUlvE2_clEvEUllE_St5arrayIPcLm2EEEEviT0_T1_
	.p2align	8
	.type	_ZN2at6native29vectorized_elementwise_kernelILi4EZZZNS0_23bitwise_not_kernel_cudaERNS_18TensorIteratorBaseEENKUlvE_clEvENKUlvE2_clEvEUllE_St5arrayIPcLm2EEEEviT0_T1_,@function
_ZN2at6native29vectorized_elementwise_kernelILi4EZZZNS0_23bitwise_not_kernel_cudaERNS_18TensorIteratorBaseEENKUlvE_clEvENKUlvE2_clEvEUllE_St5arrayIPcLm2EEEEviT0_T1_: ; @_ZN2at6native29vectorized_elementwise_kernelILi4EZZZNS0_23bitwise_not_kernel_cudaERNS_18TensorIteratorBaseEENKUlvE_clEvENKUlvE2_clEvEUllE_St5arrayIPcLm2EEEEviT0_T1_
; %bb.0:
	s_clause 0x1
	s_load_b32 s3, s[0:1], 0x0
	s_load_b128 s[4:7], s[0:1], 0x8
	s_lshl_b32 s2, s15, 10
	s_mov_b32 s0, -1
	s_waitcnt lgkmcnt(0)
	s_sub_i32 s1, s3, s2
	s_delay_alu instid0(SALU_CYCLE_1)
	s_cmpk_gt_i32 s1, 0x3ff
	s_cbranch_scc0 .LBB34_2
; %bb.1:
	s_ashr_i32 s3, s2, 31
	v_lshlrev_b32_e32 v9, 5, v0
	s_lshl_b64 s[8:9], s[2:3], 3
	s_mov_b32 s0, 0
	s_add_u32 s10, s6, s8
	s_addc_u32 s11, s7, s9
	s_add_u32 s8, s4, s8
	s_clause 0x1
	global_load_b128 v[1:4], v9, s[10:11]
	global_load_b128 v[5:8], v9, s[10:11] offset:16
	s_addc_u32 s9, s5, s9
	s_waitcnt vmcnt(1)
	v_not_b32_e32 v2, v2
	v_not_b32_e32 v1, v1
	;; [unrolled: 1-line block ×4, first 2 shown]
	s_waitcnt vmcnt(0)
	v_not_b32_e32 v6, v6
	v_not_b32_e32 v5, v5
	;; [unrolled: 1-line block ×4, first 2 shown]
	s_clause 0x1
	global_store_b128 v9, v[1:4], s[8:9]
	global_store_b128 v9, v[5:8], s[8:9] offset:16
.LBB34_2:
	s_and_not1_b32 vcc_lo, exec_lo, s0
	s_cbranch_vccnz .LBB34_14
; %bb.3:
	v_dual_mov_b32 v1, -1 :: v_dual_mov_b32 v6, v0
	v_mov_b32_e32 v2, -1
	v_cmp_gt_i32_e32 vcc_lo, s1, v0
	v_or_b32_e32 v5, s2, v0
	v_or_b32_e32 v11, 0x100, v0
	s_delay_alu instid0(VALU_DEP_4)
	v_dual_mov_b32 v8, v2 :: v_dual_mov_b32 v7, v1
	s_and_saveexec_b32 s3, vcc_lo
	s_cbranch_execz .LBB34_5
; %bb.4:
	v_mov_b32_e32 v6, 0
	s_delay_alu instid0(VALU_DEP_1) | instskip(SKIP_1) | instid1(VALU_DEP_2)
	v_lshlrev_b64 v[3:4], 3, v[5:6]
	v_or_b32_e32 v6, 0x100, v0
	v_add_co_u32 v3, s0, s6, v3
	s_delay_alu instid0(VALU_DEP_1)
	v_add_co_ci_u32_e64 v4, s0, s7, v4, s0
	global_load_b64 v[3:4], v[3:4], off
	s_waitcnt vmcnt(0)
	v_not_b32_e32 v8, v4
	v_not_b32_e32 v7, v3
.LBB34_5:
	s_or_b32 exec_lo, exec_lo, s3
	s_delay_alu instid0(SALU_CYCLE_1)
	s_mov_b32 s3, exec_lo
	v_cmpx_gt_i32_e64 s1, v6
	s_cbranch_execz .LBB34_7
; %bb.6:
	v_dual_mov_b32 v2, 0 :: v_dual_add_nc_u32 v1, s2, v6
	v_add_nc_u32_e32 v6, 0x100, v6
	s_delay_alu instid0(VALU_DEP_2) | instskip(NEXT) | instid1(VALU_DEP_1)
	v_lshlrev_b64 v[1:2], 3, v[1:2]
	v_add_co_u32 v1, s0, s6, v1
	s_delay_alu instid0(VALU_DEP_1)
	v_add_co_ci_u32_e64 v2, s0, s7, v2, s0
	global_load_b64 v[1:2], v[1:2], off
	s_waitcnt vmcnt(0)
	v_not_b32_e32 v2, v2
	v_not_b32_e32 v1, v1
.LBB34_7:
	s_or_b32 exec_lo, exec_lo, s3
	v_mov_b32_e32 v3, -1
	v_mov_b32_e32 v4, -1
	s_mov_b32 s3, exec_lo
	s_delay_alu instid0(VALU_DEP_1)
	v_dual_mov_b32 v10, v4 :: v_dual_mov_b32 v9, v3
	v_cmpx_gt_i32_e64 s1, v6
	s_cbranch_execnz .LBB34_15
; %bb.8:
	s_or_b32 exec_lo, exec_lo, s3
	s_delay_alu instid0(SALU_CYCLE_1)
	s_mov_b32 s3, exec_lo
	v_cmpx_gt_i32_e64 s1, v6
	s_cbranch_execnz .LBB34_16
.LBB34_9:
	s_or_b32 exec_lo, exec_lo, s3
	s_and_saveexec_b32 s0, vcc_lo
	s_cbranch_execnz .LBB34_17
.LBB34_10:
	s_or_b32 exec_lo, exec_lo, s0
	s_delay_alu instid0(SALU_CYCLE_1)
	s_mov_b32 s0, exec_lo
	v_cmpx_gt_i32_e64 s1, v0
	s_cbranch_execnz .LBB34_18
.LBB34_11:
	s_or_b32 exec_lo, exec_lo, s0
	s_delay_alu instid0(SALU_CYCLE_1)
	s_mov_b32 s0, exec_lo
	v_cmpx_gt_i32_e64 s1, v0
	s_cbranch_execnz .LBB34_19
.LBB34_12:
	s_or_b32 exec_lo, exec_lo, s0
	s_delay_alu instid0(SALU_CYCLE_1)
	s_mov_b32 s0, exec_lo
	v_cmpx_gt_i32_e64 s1, v0
	s_cbranch_execz .LBB34_14
.LBB34_13:
	v_dual_mov_b32 v1, 0 :: v_dual_add_nc_u32 v0, s2, v0
	s_delay_alu instid0(VALU_DEP_1) | instskip(NEXT) | instid1(VALU_DEP_1)
	v_lshlrev_b64 v[0:1], 3, v[0:1]
	v_add_co_u32 v0, vcc_lo, s4, v0
	s_delay_alu instid0(VALU_DEP_2)
	v_add_co_ci_u32_e32 v1, vcc_lo, s5, v1, vcc_lo
	global_store_b64 v[0:1], v[3:4], off
.LBB34_14:
	s_nop 0
	s_sendmsg sendmsg(MSG_DEALLOC_VGPRS)
	s_endpgm
.LBB34_15:
	v_dual_mov_b32 v10, 0 :: v_dual_add_nc_u32 v9, s2, v6
	v_add_nc_u32_e32 v6, 0x100, v6
	s_delay_alu instid0(VALU_DEP_2) | instskip(NEXT) | instid1(VALU_DEP_1)
	v_lshlrev_b64 v[9:10], 3, v[9:10]
	v_add_co_u32 v9, s0, s6, v9
	s_delay_alu instid0(VALU_DEP_1)
	v_add_co_ci_u32_e64 v10, s0, s7, v10, s0
	global_load_b64 v[9:10], v[9:10], off
	s_waitcnt vmcnt(0)
	v_not_b32_e32 v10, v10
	v_not_b32_e32 v9, v9
	s_or_b32 exec_lo, exec_lo, s3
	s_delay_alu instid0(SALU_CYCLE_1)
	s_mov_b32 s3, exec_lo
	v_cmpx_gt_i32_e64 s1, v6
	s_cbranch_execz .LBB34_9
.LBB34_16:
	v_dual_mov_b32 v4, 0 :: v_dual_add_nc_u32 v3, s2, v6
	s_delay_alu instid0(VALU_DEP_1) | instskip(NEXT) | instid1(VALU_DEP_1)
	v_lshlrev_b64 v[3:4], 3, v[3:4]
	v_add_co_u32 v3, s0, s6, v3
	s_delay_alu instid0(VALU_DEP_1)
	v_add_co_ci_u32_e64 v4, s0, s7, v4, s0
	global_load_b64 v[3:4], v[3:4], off
	s_waitcnt vmcnt(0)
	v_not_b32_e32 v4, v4
	v_not_b32_e32 v3, v3
	s_or_b32 exec_lo, exec_lo, s3
	s_and_saveexec_b32 s0, vcc_lo
	s_cbranch_execz .LBB34_10
.LBB34_17:
	v_mov_b32_e32 v6, 0
	v_mov_b32_e32 v0, v11
	s_delay_alu instid0(VALU_DEP_2) | instskip(NEXT) | instid1(VALU_DEP_1)
	v_lshlrev_b64 v[5:6], 3, v[5:6]
	v_add_co_u32 v5, vcc_lo, s4, v5
	s_delay_alu instid0(VALU_DEP_2) | instskip(SKIP_2) | instid1(SALU_CYCLE_1)
	v_add_co_ci_u32_e32 v6, vcc_lo, s5, v6, vcc_lo
	global_store_b64 v[5:6], v[7:8], off
	s_or_b32 exec_lo, exec_lo, s0
	s_mov_b32 s0, exec_lo
	v_cmpx_gt_i32_e64 s1, v0
	s_cbranch_execz .LBB34_11
.LBB34_18:
	v_dual_mov_b32 v6, 0 :: v_dual_add_nc_u32 v5, s2, v0
	v_add_nc_u32_e32 v0, 0x100, v0
	s_delay_alu instid0(VALU_DEP_2) | instskip(NEXT) | instid1(VALU_DEP_1)
	v_lshlrev_b64 v[5:6], 3, v[5:6]
	v_add_co_u32 v5, vcc_lo, s4, v5
	s_delay_alu instid0(VALU_DEP_2) | instskip(SKIP_2) | instid1(SALU_CYCLE_1)
	v_add_co_ci_u32_e32 v6, vcc_lo, s5, v6, vcc_lo
	global_store_b64 v[5:6], v[1:2], off
	s_or_b32 exec_lo, exec_lo, s0
	s_mov_b32 s0, exec_lo
	v_cmpx_gt_i32_e64 s1, v0
	s_cbranch_execz .LBB34_12
.LBB34_19:
	v_dual_mov_b32 v2, 0 :: v_dual_add_nc_u32 v1, s2, v0
	v_add_nc_u32_e32 v0, 0x100, v0
	s_delay_alu instid0(VALU_DEP_2) | instskip(NEXT) | instid1(VALU_DEP_1)
	v_lshlrev_b64 v[1:2], 3, v[1:2]
	v_add_co_u32 v1, vcc_lo, s4, v1
	s_delay_alu instid0(VALU_DEP_2) | instskip(SKIP_2) | instid1(SALU_CYCLE_1)
	v_add_co_ci_u32_e32 v2, vcc_lo, s5, v2, vcc_lo
	global_store_b64 v[1:2], v[9:10], off
	s_or_b32 exec_lo, exec_lo, s0
	s_mov_b32 s0, exec_lo
	v_cmpx_gt_i32_e64 s1, v0
	s_cbranch_execnz .LBB34_13
	s_branch .LBB34_14
	.section	.rodata,"a",@progbits
	.p2align	6, 0x0
	.amdhsa_kernel _ZN2at6native29vectorized_elementwise_kernelILi4EZZZNS0_23bitwise_not_kernel_cudaERNS_18TensorIteratorBaseEENKUlvE_clEvENKUlvE2_clEvEUllE_St5arrayIPcLm2EEEEviT0_T1_
		.amdhsa_group_segment_fixed_size 0
		.amdhsa_private_segment_fixed_size 0
		.amdhsa_kernarg_size 24
		.amdhsa_user_sgpr_count 15
		.amdhsa_user_sgpr_dispatch_ptr 0
		.amdhsa_user_sgpr_queue_ptr 0
		.amdhsa_user_sgpr_kernarg_segment_ptr 1
		.amdhsa_user_sgpr_dispatch_id 0
		.amdhsa_user_sgpr_private_segment_size 0
		.amdhsa_wavefront_size32 1
		.amdhsa_uses_dynamic_stack 0
		.amdhsa_enable_private_segment 0
		.amdhsa_system_sgpr_workgroup_id_x 1
		.amdhsa_system_sgpr_workgroup_id_y 0
		.amdhsa_system_sgpr_workgroup_id_z 0
		.amdhsa_system_sgpr_workgroup_info 0
		.amdhsa_system_vgpr_workitem_id 0
		.amdhsa_next_free_vgpr 12
		.amdhsa_next_free_sgpr 16
		.amdhsa_reserve_vcc 1
		.amdhsa_float_round_mode_32 0
		.amdhsa_float_round_mode_16_64 0
		.amdhsa_float_denorm_mode_32 3
		.amdhsa_float_denorm_mode_16_64 3
		.amdhsa_dx10_clamp 1
		.amdhsa_ieee_mode 1
		.amdhsa_fp16_overflow 0
		.amdhsa_workgroup_processor_mode 1
		.amdhsa_memory_ordered 1
		.amdhsa_forward_progress 0
		.amdhsa_shared_vgpr_count 0
		.amdhsa_exception_fp_ieee_invalid_op 0
		.amdhsa_exception_fp_denorm_src 0
		.amdhsa_exception_fp_ieee_div_zero 0
		.amdhsa_exception_fp_ieee_overflow 0
		.amdhsa_exception_fp_ieee_underflow 0
		.amdhsa_exception_fp_ieee_inexact 0
		.amdhsa_exception_int_div_zero 0
	.end_amdhsa_kernel
	.section	.text._ZN2at6native29vectorized_elementwise_kernelILi4EZZZNS0_23bitwise_not_kernel_cudaERNS_18TensorIteratorBaseEENKUlvE_clEvENKUlvE2_clEvEUllE_St5arrayIPcLm2EEEEviT0_T1_,"axG",@progbits,_ZN2at6native29vectorized_elementwise_kernelILi4EZZZNS0_23bitwise_not_kernel_cudaERNS_18TensorIteratorBaseEENKUlvE_clEvENKUlvE2_clEvEUllE_St5arrayIPcLm2EEEEviT0_T1_,comdat
.Lfunc_end34:
	.size	_ZN2at6native29vectorized_elementwise_kernelILi4EZZZNS0_23bitwise_not_kernel_cudaERNS_18TensorIteratorBaseEENKUlvE_clEvENKUlvE2_clEvEUllE_St5arrayIPcLm2EEEEviT0_T1_, .Lfunc_end34-_ZN2at6native29vectorized_elementwise_kernelILi4EZZZNS0_23bitwise_not_kernel_cudaERNS_18TensorIteratorBaseEENKUlvE_clEvENKUlvE2_clEvEUllE_St5arrayIPcLm2EEEEviT0_T1_
                                        ; -- End function
	.section	.AMDGPU.csdata,"",@progbits
; Kernel info:
; codeLenInByte = 952
; NumSgprs: 18
; NumVgprs: 12
; ScratchSize: 0
; MemoryBound: 0
; FloatMode: 240
; IeeeMode: 1
; LDSByteSize: 0 bytes/workgroup (compile time only)
; SGPRBlocks: 2
; VGPRBlocks: 1
; NumSGPRsForWavesPerEU: 18
; NumVGPRsForWavesPerEU: 12
; Occupancy: 16
; WaveLimiterHint : 0
; COMPUTE_PGM_RSRC2:SCRATCH_EN: 0
; COMPUTE_PGM_RSRC2:USER_SGPR: 15
; COMPUTE_PGM_RSRC2:TRAP_HANDLER: 0
; COMPUTE_PGM_RSRC2:TGID_X_EN: 1
; COMPUTE_PGM_RSRC2:TGID_Y_EN: 0
; COMPUTE_PGM_RSRC2:TGID_Z_EN: 0
; COMPUTE_PGM_RSRC2:TIDIG_COMP_CNT: 0
	.section	.text._ZN2at6native29vectorized_elementwise_kernelILi2EZZZNS0_23bitwise_not_kernel_cudaERNS_18TensorIteratorBaseEENKUlvE_clEvENKUlvE2_clEvEUllE_St5arrayIPcLm2EEEEviT0_T1_,"axG",@progbits,_ZN2at6native29vectorized_elementwise_kernelILi2EZZZNS0_23bitwise_not_kernel_cudaERNS_18TensorIteratorBaseEENKUlvE_clEvENKUlvE2_clEvEUllE_St5arrayIPcLm2EEEEviT0_T1_,comdat
	.globl	_ZN2at6native29vectorized_elementwise_kernelILi2EZZZNS0_23bitwise_not_kernel_cudaERNS_18TensorIteratorBaseEENKUlvE_clEvENKUlvE2_clEvEUllE_St5arrayIPcLm2EEEEviT0_T1_ ; -- Begin function _ZN2at6native29vectorized_elementwise_kernelILi2EZZZNS0_23bitwise_not_kernel_cudaERNS_18TensorIteratorBaseEENKUlvE_clEvENKUlvE2_clEvEUllE_St5arrayIPcLm2EEEEviT0_T1_
	.p2align	8
	.type	_ZN2at6native29vectorized_elementwise_kernelILi2EZZZNS0_23bitwise_not_kernel_cudaERNS_18TensorIteratorBaseEENKUlvE_clEvENKUlvE2_clEvEUllE_St5arrayIPcLm2EEEEviT0_T1_,@function
_ZN2at6native29vectorized_elementwise_kernelILi2EZZZNS0_23bitwise_not_kernel_cudaERNS_18TensorIteratorBaseEENKUlvE_clEvENKUlvE2_clEvEUllE_St5arrayIPcLm2EEEEviT0_T1_: ; @_ZN2at6native29vectorized_elementwise_kernelILi2EZZZNS0_23bitwise_not_kernel_cudaERNS_18TensorIteratorBaseEENKUlvE_clEvENKUlvE2_clEvEUllE_St5arrayIPcLm2EEEEviT0_T1_
; %bb.0:
	s_clause 0x1
	s_load_b32 s3, s[0:1], 0x0
	s_load_b128 s[4:7], s[0:1], 0x8
	s_lshl_b32 s2, s15, 10
	s_mov_b32 s0, -1
	s_waitcnt lgkmcnt(0)
	s_sub_i32 s1, s3, s2
	s_delay_alu instid0(SALU_CYCLE_1)
	s_cmpk_gt_i32 s1, 0x3ff
	s_cbranch_scc0 .LBB35_2
; %bb.1:
	s_ashr_i32 s3, s2, 31
	v_lshlrev_b32_e32 v11, 4, v0
	s_lshl_b64 s[8:9], s[2:3], 3
	s_delay_alu instid0(SALU_CYCLE_1) | instskip(SKIP_1) | instid1(VALU_DEP_1)
	s_add_u32 s10, s6, s8
	s_addc_u32 s11, s7, s9
	v_add_co_u32 v1, s0, s10, v11
	s_delay_alu instid0(VALU_DEP_1) | instskip(SKIP_1) | instid1(VALU_DEP_2)
	v_add_co_ci_u32_e64 v2, null, s11, 0, s0
	s_add_u32 s8, s4, s8
	v_add_co_u32 v5, vcc_lo, 0x1000, v1
	s_delay_alu instid0(VALU_DEP_2)
	v_add_co_ci_u32_e32 v6, vcc_lo, 0, v2, vcc_lo
	s_addc_u32 s9, s5, s9
	v_add_co_u32 v9, s0, s8, v11
	s_clause 0x1
	global_load_b128 v[1:4], v11, s[10:11]
	global_load_b128 v[5:8], v[5:6], off
	v_add_co_ci_u32_e64 v10, null, s9, 0, s0
	v_add_co_u32 v9, vcc_lo, 0x1000, v9
	s_mov_b32 s0, 0
	s_delay_alu instid0(VALU_DEP_2)
	v_add_co_ci_u32_e32 v10, vcc_lo, 0, v10, vcc_lo
	s_waitcnt vmcnt(1)
	v_not_b32_e32 v2, v2
	v_not_b32_e32 v1, v1
	;; [unrolled: 1-line block ×4, first 2 shown]
	s_waitcnt vmcnt(0)
	v_not_b32_e32 v6, v6
	v_not_b32_e32 v5, v5
	;; [unrolled: 1-line block ×4, first 2 shown]
	s_clause 0x1
	global_store_b128 v11, v[1:4], s[8:9]
	global_store_b128 v[9:10], v[5:8], off
.LBB35_2:
	s_and_not1_b32 vcc_lo, exec_lo, s0
	s_cbranch_vccnz .LBB35_14
; %bb.3:
	v_dual_mov_b32 v1, -1 :: v_dual_mov_b32 v6, v0
	v_mov_b32_e32 v2, -1
	v_cmp_gt_i32_e32 vcc_lo, s1, v0
	v_or_b32_e32 v5, s2, v0
	v_or_b32_e32 v11, 0x100, v0
	s_delay_alu instid0(VALU_DEP_4)
	v_dual_mov_b32 v8, v2 :: v_dual_mov_b32 v7, v1
	s_and_saveexec_b32 s3, vcc_lo
	s_cbranch_execz .LBB35_5
; %bb.4:
	v_mov_b32_e32 v6, 0
	s_delay_alu instid0(VALU_DEP_1) | instskip(SKIP_1) | instid1(VALU_DEP_2)
	v_lshlrev_b64 v[3:4], 3, v[5:6]
	v_or_b32_e32 v6, 0x100, v0
	v_add_co_u32 v3, s0, s6, v3
	s_delay_alu instid0(VALU_DEP_1)
	v_add_co_ci_u32_e64 v4, s0, s7, v4, s0
	global_load_b64 v[3:4], v[3:4], off
	s_waitcnt vmcnt(0)
	v_not_b32_e32 v8, v4
	v_not_b32_e32 v7, v3
.LBB35_5:
	s_or_b32 exec_lo, exec_lo, s3
	s_delay_alu instid0(SALU_CYCLE_1)
	s_mov_b32 s3, exec_lo
	v_cmpx_gt_i32_e64 s1, v6
	s_cbranch_execz .LBB35_7
; %bb.6:
	v_dual_mov_b32 v2, 0 :: v_dual_add_nc_u32 v1, s2, v6
	v_add_nc_u32_e32 v6, 0x100, v6
	s_delay_alu instid0(VALU_DEP_2) | instskip(NEXT) | instid1(VALU_DEP_1)
	v_lshlrev_b64 v[1:2], 3, v[1:2]
	v_add_co_u32 v1, s0, s6, v1
	s_delay_alu instid0(VALU_DEP_1)
	v_add_co_ci_u32_e64 v2, s0, s7, v2, s0
	global_load_b64 v[1:2], v[1:2], off
	s_waitcnt vmcnt(0)
	v_not_b32_e32 v2, v2
	v_not_b32_e32 v1, v1
.LBB35_7:
	s_or_b32 exec_lo, exec_lo, s3
	v_mov_b32_e32 v3, -1
	v_mov_b32_e32 v4, -1
	s_mov_b32 s3, exec_lo
	s_delay_alu instid0(VALU_DEP_1)
	v_dual_mov_b32 v10, v4 :: v_dual_mov_b32 v9, v3
	v_cmpx_gt_i32_e64 s1, v6
	s_cbranch_execnz .LBB35_15
; %bb.8:
	s_or_b32 exec_lo, exec_lo, s3
	s_delay_alu instid0(SALU_CYCLE_1)
	s_mov_b32 s3, exec_lo
	v_cmpx_gt_i32_e64 s1, v6
	s_cbranch_execnz .LBB35_16
.LBB35_9:
	s_or_b32 exec_lo, exec_lo, s3
	s_and_saveexec_b32 s0, vcc_lo
	s_cbranch_execnz .LBB35_17
.LBB35_10:
	s_or_b32 exec_lo, exec_lo, s0
	s_delay_alu instid0(SALU_CYCLE_1)
	s_mov_b32 s0, exec_lo
	v_cmpx_gt_i32_e64 s1, v0
	s_cbranch_execnz .LBB35_18
.LBB35_11:
	s_or_b32 exec_lo, exec_lo, s0
	s_delay_alu instid0(SALU_CYCLE_1)
	s_mov_b32 s0, exec_lo
	v_cmpx_gt_i32_e64 s1, v0
	s_cbranch_execnz .LBB35_19
.LBB35_12:
	s_or_b32 exec_lo, exec_lo, s0
	s_delay_alu instid0(SALU_CYCLE_1)
	s_mov_b32 s0, exec_lo
	v_cmpx_gt_i32_e64 s1, v0
	s_cbranch_execz .LBB35_14
.LBB35_13:
	v_dual_mov_b32 v1, 0 :: v_dual_add_nc_u32 v0, s2, v0
	s_delay_alu instid0(VALU_DEP_1) | instskip(NEXT) | instid1(VALU_DEP_1)
	v_lshlrev_b64 v[0:1], 3, v[0:1]
	v_add_co_u32 v0, vcc_lo, s4, v0
	s_delay_alu instid0(VALU_DEP_2)
	v_add_co_ci_u32_e32 v1, vcc_lo, s5, v1, vcc_lo
	global_store_b64 v[0:1], v[3:4], off
.LBB35_14:
	s_nop 0
	s_sendmsg sendmsg(MSG_DEALLOC_VGPRS)
	s_endpgm
.LBB35_15:
	v_dual_mov_b32 v10, 0 :: v_dual_add_nc_u32 v9, s2, v6
	v_add_nc_u32_e32 v6, 0x100, v6
	s_delay_alu instid0(VALU_DEP_2) | instskip(NEXT) | instid1(VALU_DEP_1)
	v_lshlrev_b64 v[9:10], 3, v[9:10]
	v_add_co_u32 v9, s0, s6, v9
	s_delay_alu instid0(VALU_DEP_1)
	v_add_co_ci_u32_e64 v10, s0, s7, v10, s0
	global_load_b64 v[9:10], v[9:10], off
	s_waitcnt vmcnt(0)
	v_not_b32_e32 v10, v10
	v_not_b32_e32 v9, v9
	s_or_b32 exec_lo, exec_lo, s3
	s_delay_alu instid0(SALU_CYCLE_1)
	s_mov_b32 s3, exec_lo
	v_cmpx_gt_i32_e64 s1, v6
	s_cbranch_execz .LBB35_9
.LBB35_16:
	v_dual_mov_b32 v4, 0 :: v_dual_add_nc_u32 v3, s2, v6
	s_delay_alu instid0(VALU_DEP_1) | instskip(NEXT) | instid1(VALU_DEP_1)
	v_lshlrev_b64 v[3:4], 3, v[3:4]
	v_add_co_u32 v3, s0, s6, v3
	s_delay_alu instid0(VALU_DEP_1)
	v_add_co_ci_u32_e64 v4, s0, s7, v4, s0
	global_load_b64 v[3:4], v[3:4], off
	s_waitcnt vmcnt(0)
	v_not_b32_e32 v4, v4
	v_not_b32_e32 v3, v3
	s_or_b32 exec_lo, exec_lo, s3
	s_and_saveexec_b32 s0, vcc_lo
	s_cbranch_execz .LBB35_10
.LBB35_17:
	v_mov_b32_e32 v6, 0
	v_mov_b32_e32 v0, v11
	s_delay_alu instid0(VALU_DEP_2) | instskip(NEXT) | instid1(VALU_DEP_1)
	v_lshlrev_b64 v[5:6], 3, v[5:6]
	v_add_co_u32 v5, vcc_lo, s4, v5
	s_delay_alu instid0(VALU_DEP_2) | instskip(SKIP_2) | instid1(SALU_CYCLE_1)
	v_add_co_ci_u32_e32 v6, vcc_lo, s5, v6, vcc_lo
	global_store_b64 v[5:6], v[7:8], off
	s_or_b32 exec_lo, exec_lo, s0
	s_mov_b32 s0, exec_lo
	v_cmpx_gt_i32_e64 s1, v0
	s_cbranch_execz .LBB35_11
.LBB35_18:
	v_dual_mov_b32 v6, 0 :: v_dual_add_nc_u32 v5, s2, v0
	v_add_nc_u32_e32 v0, 0x100, v0
	s_delay_alu instid0(VALU_DEP_2) | instskip(NEXT) | instid1(VALU_DEP_1)
	v_lshlrev_b64 v[5:6], 3, v[5:6]
	v_add_co_u32 v5, vcc_lo, s4, v5
	s_delay_alu instid0(VALU_DEP_2) | instskip(SKIP_2) | instid1(SALU_CYCLE_1)
	v_add_co_ci_u32_e32 v6, vcc_lo, s5, v6, vcc_lo
	global_store_b64 v[5:6], v[1:2], off
	s_or_b32 exec_lo, exec_lo, s0
	s_mov_b32 s0, exec_lo
	v_cmpx_gt_i32_e64 s1, v0
	s_cbranch_execz .LBB35_12
.LBB35_19:
	v_dual_mov_b32 v2, 0 :: v_dual_add_nc_u32 v1, s2, v0
	v_add_nc_u32_e32 v0, 0x100, v0
	s_delay_alu instid0(VALU_DEP_2) | instskip(NEXT) | instid1(VALU_DEP_1)
	v_lshlrev_b64 v[1:2], 3, v[1:2]
	v_add_co_u32 v1, vcc_lo, s4, v1
	s_delay_alu instid0(VALU_DEP_2) | instskip(SKIP_2) | instid1(SALU_CYCLE_1)
	v_add_co_ci_u32_e32 v2, vcc_lo, s5, v2, vcc_lo
	global_store_b64 v[1:2], v[9:10], off
	s_or_b32 exec_lo, exec_lo, s0
	s_mov_b32 s0, exec_lo
	v_cmpx_gt_i32_e64 s1, v0
	s_cbranch_execnz .LBB35_13
	s_branch .LBB35_14
	.section	.rodata,"a",@progbits
	.p2align	6, 0x0
	.amdhsa_kernel _ZN2at6native29vectorized_elementwise_kernelILi2EZZZNS0_23bitwise_not_kernel_cudaERNS_18TensorIteratorBaseEENKUlvE_clEvENKUlvE2_clEvEUllE_St5arrayIPcLm2EEEEviT0_T1_
		.amdhsa_group_segment_fixed_size 0
		.amdhsa_private_segment_fixed_size 0
		.amdhsa_kernarg_size 24
		.amdhsa_user_sgpr_count 15
		.amdhsa_user_sgpr_dispatch_ptr 0
		.amdhsa_user_sgpr_queue_ptr 0
		.amdhsa_user_sgpr_kernarg_segment_ptr 1
		.amdhsa_user_sgpr_dispatch_id 0
		.amdhsa_user_sgpr_private_segment_size 0
		.amdhsa_wavefront_size32 1
		.amdhsa_uses_dynamic_stack 0
		.amdhsa_enable_private_segment 0
		.amdhsa_system_sgpr_workgroup_id_x 1
		.amdhsa_system_sgpr_workgroup_id_y 0
		.amdhsa_system_sgpr_workgroup_id_z 0
		.amdhsa_system_sgpr_workgroup_info 0
		.amdhsa_system_vgpr_workitem_id 0
		.amdhsa_next_free_vgpr 12
		.amdhsa_next_free_sgpr 16
		.amdhsa_reserve_vcc 1
		.amdhsa_float_round_mode_32 0
		.amdhsa_float_round_mode_16_64 0
		.amdhsa_float_denorm_mode_32 3
		.amdhsa_float_denorm_mode_16_64 3
		.amdhsa_dx10_clamp 1
		.amdhsa_ieee_mode 1
		.amdhsa_fp16_overflow 0
		.amdhsa_workgroup_processor_mode 1
		.amdhsa_memory_ordered 1
		.amdhsa_forward_progress 0
		.amdhsa_shared_vgpr_count 0
		.amdhsa_exception_fp_ieee_invalid_op 0
		.amdhsa_exception_fp_denorm_src 0
		.amdhsa_exception_fp_ieee_div_zero 0
		.amdhsa_exception_fp_ieee_overflow 0
		.amdhsa_exception_fp_ieee_underflow 0
		.amdhsa_exception_fp_ieee_inexact 0
		.amdhsa_exception_int_div_zero 0
	.end_amdhsa_kernel
	.section	.text._ZN2at6native29vectorized_elementwise_kernelILi2EZZZNS0_23bitwise_not_kernel_cudaERNS_18TensorIteratorBaseEENKUlvE_clEvENKUlvE2_clEvEUllE_St5arrayIPcLm2EEEEviT0_T1_,"axG",@progbits,_ZN2at6native29vectorized_elementwise_kernelILi2EZZZNS0_23bitwise_not_kernel_cudaERNS_18TensorIteratorBaseEENKUlvE_clEvENKUlvE2_clEvEUllE_St5arrayIPcLm2EEEEviT0_T1_,comdat
.Lfunc_end35:
	.size	_ZN2at6native29vectorized_elementwise_kernelILi2EZZZNS0_23bitwise_not_kernel_cudaERNS_18TensorIteratorBaseEENKUlvE_clEvENKUlvE2_clEvEUllE_St5arrayIPcLm2EEEEviT0_T1_, .Lfunc_end35-_ZN2at6native29vectorized_elementwise_kernelILi2EZZZNS0_23bitwise_not_kernel_cudaERNS_18TensorIteratorBaseEENKUlvE_clEvENKUlvE2_clEvEUllE_St5arrayIPcLm2EEEEviT0_T1_
                                        ; -- End function
	.section	.AMDGPU.csdata,"",@progbits
; Kernel info:
; codeLenInByte = 1032
; NumSgprs: 18
; NumVgprs: 12
; ScratchSize: 0
; MemoryBound: 0
; FloatMode: 240
; IeeeMode: 1
; LDSByteSize: 0 bytes/workgroup (compile time only)
; SGPRBlocks: 2
; VGPRBlocks: 1
; NumSGPRsForWavesPerEU: 18
; NumVGPRsForWavesPerEU: 12
; Occupancy: 16
; WaveLimiterHint : 1
; COMPUTE_PGM_RSRC2:SCRATCH_EN: 0
; COMPUTE_PGM_RSRC2:USER_SGPR: 15
; COMPUTE_PGM_RSRC2:TRAP_HANDLER: 0
; COMPUTE_PGM_RSRC2:TGID_X_EN: 1
; COMPUTE_PGM_RSRC2:TGID_Y_EN: 0
; COMPUTE_PGM_RSRC2:TGID_Z_EN: 0
; COMPUTE_PGM_RSRC2:TIDIG_COMP_CNT: 0
	.section	.text._ZN2at6native27unrolled_elementwise_kernelIZZZNS0_23bitwise_not_kernel_cudaERNS_18TensorIteratorBaseEENKUlvE_clEvENKUlvE2_clEvEUllE_St5arrayIPcLm2EELi4E23TrivialOffsetCalculatorILi1EjESB_NS0_6memory15LoadWithoutCastENSC_16StoreWithoutCastEEEviT_T0_T2_T3_T4_T5_,"axG",@progbits,_ZN2at6native27unrolled_elementwise_kernelIZZZNS0_23bitwise_not_kernel_cudaERNS_18TensorIteratorBaseEENKUlvE_clEvENKUlvE2_clEvEUllE_St5arrayIPcLm2EELi4E23TrivialOffsetCalculatorILi1EjESB_NS0_6memory15LoadWithoutCastENSC_16StoreWithoutCastEEEviT_T0_T2_T3_T4_T5_,comdat
	.globl	_ZN2at6native27unrolled_elementwise_kernelIZZZNS0_23bitwise_not_kernel_cudaERNS_18TensorIteratorBaseEENKUlvE_clEvENKUlvE2_clEvEUllE_St5arrayIPcLm2EELi4E23TrivialOffsetCalculatorILi1EjESB_NS0_6memory15LoadWithoutCastENSC_16StoreWithoutCastEEEviT_T0_T2_T3_T4_T5_ ; -- Begin function _ZN2at6native27unrolled_elementwise_kernelIZZZNS0_23bitwise_not_kernel_cudaERNS_18TensorIteratorBaseEENKUlvE_clEvENKUlvE2_clEvEUllE_St5arrayIPcLm2EELi4E23TrivialOffsetCalculatorILi1EjESB_NS0_6memory15LoadWithoutCastENSC_16StoreWithoutCastEEEviT_T0_T2_T3_T4_T5_
	.p2align	8
	.type	_ZN2at6native27unrolled_elementwise_kernelIZZZNS0_23bitwise_not_kernel_cudaERNS_18TensorIteratorBaseEENKUlvE_clEvENKUlvE2_clEvEUllE_St5arrayIPcLm2EELi4E23TrivialOffsetCalculatorILi1EjESB_NS0_6memory15LoadWithoutCastENSC_16StoreWithoutCastEEEviT_T0_T2_T3_T4_T5_,@function
_ZN2at6native27unrolled_elementwise_kernelIZZZNS0_23bitwise_not_kernel_cudaERNS_18TensorIteratorBaseEENKUlvE_clEvENKUlvE2_clEvEUllE_St5arrayIPcLm2EELi4E23TrivialOffsetCalculatorILi1EjESB_NS0_6memory15LoadWithoutCastENSC_16StoreWithoutCastEEEviT_T0_T2_T3_T4_T5_: ; @_ZN2at6native27unrolled_elementwise_kernelIZZZNS0_23bitwise_not_kernel_cudaERNS_18TensorIteratorBaseEENKUlvE_clEvENKUlvE2_clEvEUllE_St5arrayIPcLm2EELi4E23TrivialOffsetCalculatorILi1EjESB_NS0_6memory15LoadWithoutCastENSC_16StoreWithoutCastEEEviT_T0_T2_T3_T4_T5_
; %bb.0:
	s_clause 0x1
	s_load_b32 s2, s[0:1], 0x0
	s_load_b128 s[4:7], s[0:1], 0x8
	v_dual_mov_b32 v1, -1 :: v_dual_mov_b32 v6, v0
	v_mov_b32_e32 v2, -1
	s_lshl_b32 s1, s15, 10
	v_or_b32_e32 v11, 0x100, v0
	v_or_b32_e32 v5, s1, v0
	s_delay_alu instid0(VALU_DEP_3) | instskip(SKIP_2) | instid1(SALU_CYCLE_1)
	v_dual_mov_b32 v8, v2 :: v_dual_mov_b32 v7, v1
	s_waitcnt lgkmcnt(0)
	s_sub_i32 s2, s2, s1
	v_cmp_gt_i32_e32 vcc_lo, s2, v0
	s_and_saveexec_b32 s3, vcc_lo
	s_cbranch_execz .LBB36_2
; %bb.1:
	v_mov_b32_e32 v6, 0
	s_delay_alu instid0(VALU_DEP_1) | instskip(SKIP_1) | instid1(VALU_DEP_2)
	v_lshlrev_b64 v[3:4], 3, v[5:6]
	v_or_b32_e32 v6, 0x100, v0
	v_add_co_u32 v3, s0, s6, v3
	s_delay_alu instid0(VALU_DEP_1)
	v_add_co_ci_u32_e64 v4, s0, s7, v4, s0
	global_load_b64 v[3:4], v[3:4], off
	s_waitcnt vmcnt(0)
	v_not_b32_e32 v8, v4
	v_not_b32_e32 v7, v3
.LBB36_2:
	s_or_b32 exec_lo, exec_lo, s3
	s_delay_alu instid0(SALU_CYCLE_1)
	s_mov_b32 s3, exec_lo
	v_cmpx_gt_i32_e64 s2, v6
	s_cbranch_execz .LBB36_4
; %bb.3:
	v_dual_mov_b32 v2, 0 :: v_dual_add_nc_u32 v1, s1, v6
	v_add_nc_u32_e32 v6, 0x100, v6
	s_delay_alu instid0(VALU_DEP_2) | instskip(NEXT) | instid1(VALU_DEP_1)
	v_lshlrev_b64 v[1:2], 3, v[1:2]
	v_add_co_u32 v1, s0, s6, v1
	s_delay_alu instid0(VALU_DEP_1)
	v_add_co_ci_u32_e64 v2, s0, s7, v2, s0
	global_load_b64 v[1:2], v[1:2], off
	s_waitcnt vmcnt(0)
	v_not_b32_e32 v2, v2
	v_not_b32_e32 v1, v1
.LBB36_4:
	s_or_b32 exec_lo, exec_lo, s3
	v_mov_b32_e32 v3, -1
	v_mov_b32_e32 v4, -1
	s_mov_b32 s3, exec_lo
	s_delay_alu instid0(VALU_DEP_1)
	v_dual_mov_b32 v10, v4 :: v_dual_mov_b32 v9, v3
	v_cmpx_gt_i32_e64 s2, v6
	s_cbranch_execnz .LBB36_11
; %bb.5:
	s_or_b32 exec_lo, exec_lo, s3
	s_delay_alu instid0(SALU_CYCLE_1)
	s_mov_b32 s3, exec_lo
	v_cmpx_gt_i32_e64 s2, v6
	s_cbranch_execnz .LBB36_12
.LBB36_6:
	s_or_b32 exec_lo, exec_lo, s3
	s_and_saveexec_b32 s0, vcc_lo
	s_cbranch_execnz .LBB36_13
.LBB36_7:
	s_or_b32 exec_lo, exec_lo, s0
	s_delay_alu instid0(SALU_CYCLE_1)
	s_mov_b32 s0, exec_lo
	v_cmpx_gt_i32_e64 s2, v0
	s_cbranch_execnz .LBB36_14
.LBB36_8:
	s_or_b32 exec_lo, exec_lo, s0
	s_delay_alu instid0(SALU_CYCLE_1)
	s_mov_b32 s0, exec_lo
	v_cmpx_gt_i32_e64 s2, v0
	s_cbranch_execnz .LBB36_15
.LBB36_9:
	s_or_b32 exec_lo, exec_lo, s0
	s_delay_alu instid0(SALU_CYCLE_1)
	s_mov_b32 s0, exec_lo
	v_cmpx_gt_i32_e64 s2, v0
	s_cbranch_execnz .LBB36_16
.LBB36_10:
	s_nop 0
	s_sendmsg sendmsg(MSG_DEALLOC_VGPRS)
	s_endpgm
.LBB36_11:
	v_dual_mov_b32 v10, 0 :: v_dual_add_nc_u32 v9, s1, v6
	v_add_nc_u32_e32 v6, 0x100, v6
	s_delay_alu instid0(VALU_DEP_2) | instskip(NEXT) | instid1(VALU_DEP_1)
	v_lshlrev_b64 v[9:10], 3, v[9:10]
	v_add_co_u32 v9, s0, s6, v9
	s_delay_alu instid0(VALU_DEP_1)
	v_add_co_ci_u32_e64 v10, s0, s7, v10, s0
	global_load_b64 v[9:10], v[9:10], off
	s_waitcnt vmcnt(0)
	v_not_b32_e32 v10, v10
	v_not_b32_e32 v9, v9
	s_or_b32 exec_lo, exec_lo, s3
	s_delay_alu instid0(SALU_CYCLE_1)
	s_mov_b32 s3, exec_lo
	v_cmpx_gt_i32_e64 s2, v6
	s_cbranch_execz .LBB36_6
.LBB36_12:
	v_dual_mov_b32 v4, 0 :: v_dual_add_nc_u32 v3, s1, v6
	s_delay_alu instid0(VALU_DEP_1) | instskip(NEXT) | instid1(VALU_DEP_1)
	v_lshlrev_b64 v[3:4], 3, v[3:4]
	v_add_co_u32 v3, s0, s6, v3
	s_delay_alu instid0(VALU_DEP_1)
	v_add_co_ci_u32_e64 v4, s0, s7, v4, s0
	global_load_b64 v[3:4], v[3:4], off
	s_waitcnt vmcnt(0)
	v_not_b32_e32 v4, v4
	v_not_b32_e32 v3, v3
	s_or_b32 exec_lo, exec_lo, s3
	s_and_saveexec_b32 s0, vcc_lo
	s_cbranch_execz .LBB36_7
.LBB36_13:
	v_mov_b32_e32 v6, 0
	v_mov_b32_e32 v0, v11
	s_delay_alu instid0(VALU_DEP_2) | instskip(NEXT) | instid1(VALU_DEP_1)
	v_lshlrev_b64 v[5:6], 3, v[5:6]
	v_add_co_u32 v5, vcc_lo, s4, v5
	s_delay_alu instid0(VALU_DEP_2) | instskip(SKIP_2) | instid1(SALU_CYCLE_1)
	v_add_co_ci_u32_e32 v6, vcc_lo, s5, v6, vcc_lo
	global_store_b64 v[5:6], v[7:8], off
	s_or_b32 exec_lo, exec_lo, s0
	s_mov_b32 s0, exec_lo
	v_cmpx_gt_i32_e64 s2, v0
	s_cbranch_execz .LBB36_8
.LBB36_14:
	v_dual_mov_b32 v6, 0 :: v_dual_add_nc_u32 v5, s1, v0
	v_add_nc_u32_e32 v0, 0x100, v0
	s_delay_alu instid0(VALU_DEP_2) | instskip(NEXT) | instid1(VALU_DEP_1)
	v_lshlrev_b64 v[5:6], 3, v[5:6]
	v_add_co_u32 v5, vcc_lo, s4, v5
	s_delay_alu instid0(VALU_DEP_2) | instskip(SKIP_2) | instid1(SALU_CYCLE_1)
	v_add_co_ci_u32_e32 v6, vcc_lo, s5, v6, vcc_lo
	global_store_b64 v[5:6], v[1:2], off
	s_or_b32 exec_lo, exec_lo, s0
	s_mov_b32 s0, exec_lo
	v_cmpx_gt_i32_e64 s2, v0
	s_cbranch_execz .LBB36_9
.LBB36_15:
	v_dual_mov_b32 v2, 0 :: v_dual_add_nc_u32 v1, s1, v0
	v_add_nc_u32_e32 v0, 0x100, v0
	s_delay_alu instid0(VALU_DEP_2) | instskip(NEXT) | instid1(VALU_DEP_1)
	v_lshlrev_b64 v[1:2], 3, v[1:2]
	v_add_co_u32 v1, vcc_lo, s4, v1
	s_delay_alu instid0(VALU_DEP_2) | instskip(SKIP_2) | instid1(SALU_CYCLE_1)
	v_add_co_ci_u32_e32 v2, vcc_lo, s5, v2, vcc_lo
	global_store_b64 v[1:2], v[9:10], off
	s_or_b32 exec_lo, exec_lo, s0
	s_mov_b32 s0, exec_lo
	v_cmpx_gt_i32_e64 s2, v0
	s_cbranch_execz .LBB36_10
.LBB36_16:
	v_dual_mov_b32 v1, 0 :: v_dual_add_nc_u32 v0, s1, v0
	s_delay_alu instid0(VALU_DEP_1) | instskip(NEXT) | instid1(VALU_DEP_1)
	v_lshlrev_b64 v[0:1], 3, v[0:1]
	v_add_co_u32 v0, vcc_lo, s4, v0
	s_delay_alu instid0(VALU_DEP_2)
	v_add_co_ci_u32_e32 v1, vcc_lo, s5, v1, vcc_lo
	global_store_b64 v[0:1], v[3:4], off
	s_nop 0
	s_sendmsg sendmsg(MSG_DEALLOC_VGPRS)
	s_endpgm
	.section	.rodata,"a",@progbits
	.p2align	6, 0x0
	.amdhsa_kernel _ZN2at6native27unrolled_elementwise_kernelIZZZNS0_23bitwise_not_kernel_cudaERNS_18TensorIteratorBaseEENKUlvE_clEvENKUlvE2_clEvEUllE_St5arrayIPcLm2EELi4E23TrivialOffsetCalculatorILi1EjESB_NS0_6memory15LoadWithoutCastENSC_16StoreWithoutCastEEEviT_T0_T2_T3_T4_T5_
		.amdhsa_group_segment_fixed_size 0
		.amdhsa_private_segment_fixed_size 0
		.amdhsa_kernarg_size 28
		.amdhsa_user_sgpr_count 15
		.amdhsa_user_sgpr_dispatch_ptr 0
		.amdhsa_user_sgpr_queue_ptr 0
		.amdhsa_user_sgpr_kernarg_segment_ptr 1
		.amdhsa_user_sgpr_dispatch_id 0
		.amdhsa_user_sgpr_private_segment_size 0
		.amdhsa_wavefront_size32 1
		.amdhsa_uses_dynamic_stack 0
		.amdhsa_enable_private_segment 0
		.amdhsa_system_sgpr_workgroup_id_x 1
		.amdhsa_system_sgpr_workgroup_id_y 0
		.amdhsa_system_sgpr_workgroup_id_z 0
		.amdhsa_system_sgpr_workgroup_info 0
		.amdhsa_system_vgpr_workitem_id 0
		.amdhsa_next_free_vgpr 12
		.amdhsa_next_free_sgpr 16
		.amdhsa_reserve_vcc 1
		.amdhsa_float_round_mode_32 0
		.amdhsa_float_round_mode_16_64 0
		.amdhsa_float_denorm_mode_32 3
		.amdhsa_float_denorm_mode_16_64 3
		.amdhsa_dx10_clamp 1
		.amdhsa_ieee_mode 1
		.amdhsa_fp16_overflow 0
		.amdhsa_workgroup_processor_mode 1
		.amdhsa_memory_ordered 1
		.amdhsa_forward_progress 0
		.amdhsa_shared_vgpr_count 0
		.amdhsa_exception_fp_ieee_invalid_op 0
		.amdhsa_exception_fp_denorm_src 0
		.amdhsa_exception_fp_ieee_div_zero 0
		.amdhsa_exception_fp_ieee_overflow 0
		.amdhsa_exception_fp_ieee_underflow 0
		.amdhsa_exception_fp_ieee_inexact 0
		.amdhsa_exception_int_div_zero 0
	.end_amdhsa_kernel
	.section	.text._ZN2at6native27unrolled_elementwise_kernelIZZZNS0_23bitwise_not_kernel_cudaERNS_18TensorIteratorBaseEENKUlvE_clEvENKUlvE2_clEvEUllE_St5arrayIPcLm2EELi4E23TrivialOffsetCalculatorILi1EjESB_NS0_6memory15LoadWithoutCastENSC_16StoreWithoutCastEEEviT_T0_T2_T3_T4_T5_,"axG",@progbits,_ZN2at6native27unrolled_elementwise_kernelIZZZNS0_23bitwise_not_kernel_cudaERNS_18TensorIteratorBaseEENKUlvE_clEvENKUlvE2_clEvEUllE_St5arrayIPcLm2EELi4E23TrivialOffsetCalculatorILi1EjESB_NS0_6memory15LoadWithoutCastENSC_16StoreWithoutCastEEEviT_T0_T2_T3_T4_T5_,comdat
.Lfunc_end36:
	.size	_ZN2at6native27unrolled_elementwise_kernelIZZZNS0_23bitwise_not_kernel_cudaERNS_18TensorIteratorBaseEENKUlvE_clEvENKUlvE2_clEvEUllE_St5arrayIPcLm2EELi4E23TrivialOffsetCalculatorILi1EjESB_NS0_6memory15LoadWithoutCastENSC_16StoreWithoutCastEEEviT_T0_T2_T3_T4_T5_, .Lfunc_end36-_ZN2at6native27unrolled_elementwise_kernelIZZZNS0_23bitwise_not_kernel_cudaERNS_18TensorIteratorBaseEENKUlvE_clEvENKUlvE2_clEvEUllE_St5arrayIPcLm2EELi4E23TrivialOffsetCalculatorILi1EjESB_NS0_6memory15LoadWithoutCastENSC_16StoreWithoutCastEEEviT_T0_T2_T3_T4_T5_
                                        ; -- End function
	.section	.AMDGPU.csdata,"",@progbits
; Kernel info:
; codeLenInByte = 824
; NumSgprs: 18
; NumVgprs: 12
; ScratchSize: 0
; MemoryBound: 0
; FloatMode: 240
; IeeeMode: 1
; LDSByteSize: 0 bytes/workgroup (compile time only)
; SGPRBlocks: 2
; VGPRBlocks: 1
; NumSGPRsForWavesPerEU: 18
; NumVGPRsForWavesPerEU: 12
; Occupancy: 16
; WaveLimiterHint : 0
; COMPUTE_PGM_RSRC2:SCRATCH_EN: 0
; COMPUTE_PGM_RSRC2:USER_SGPR: 15
; COMPUTE_PGM_RSRC2:TRAP_HANDLER: 0
; COMPUTE_PGM_RSRC2:TGID_X_EN: 1
; COMPUTE_PGM_RSRC2:TGID_Y_EN: 0
; COMPUTE_PGM_RSRC2:TGID_Z_EN: 0
; COMPUTE_PGM_RSRC2:TIDIG_COMP_CNT: 0
	.section	.text._ZN2at6native32elementwise_kernel_manual_unrollILi128ELi4EZNS0_22gpu_kernel_impl_nocastIZZZNS0_23bitwise_not_kernel_cudaERNS_18TensorIteratorBaseEENKUlvE_clEvENKUlvE2_clEvEUllE_EEvS4_RKT_EUlibE_EEviT1_,"axG",@progbits,_ZN2at6native32elementwise_kernel_manual_unrollILi128ELi4EZNS0_22gpu_kernel_impl_nocastIZZZNS0_23bitwise_not_kernel_cudaERNS_18TensorIteratorBaseEENKUlvE_clEvENKUlvE2_clEvEUllE_EEvS4_RKT_EUlibE_EEviT1_,comdat
	.globl	_ZN2at6native32elementwise_kernel_manual_unrollILi128ELi4EZNS0_22gpu_kernel_impl_nocastIZZZNS0_23bitwise_not_kernel_cudaERNS_18TensorIteratorBaseEENKUlvE_clEvENKUlvE2_clEvEUllE_EEvS4_RKT_EUlibE_EEviT1_ ; -- Begin function _ZN2at6native32elementwise_kernel_manual_unrollILi128ELi4EZNS0_22gpu_kernel_impl_nocastIZZZNS0_23bitwise_not_kernel_cudaERNS_18TensorIteratorBaseEENKUlvE_clEvENKUlvE2_clEvEUllE_EEvS4_RKT_EUlibE_EEviT1_
	.p2align	8
	.type	_ZN2at6native32elementwise_kernel_manual_unrollILi128ELi4EZNS0_22gpu_kernel_impl_nocastIZZZNS0_23bitwise_not_kernel_cudaERNS_18TensorIteratorBaseEENKUlvE_clEvENKUlvE2_clEvEUllE_EEvS4_RKT_EUlibE_EEviT1_,@function
_ZN2at6native32elementwise_kernel_manual_unrollILi128ELi4EZNS0_22gpu_kernel_impl_nocastIZZZNS0_23bitwise_not_kernel_cudaERNS_18TensorIteratorBaseEENKUlvE_clEvENKUlvE2_clEvEUllE_EEvS4_RKT_EUlibE_EEviT1_: ; @_ZN2at6native32elementwise_kernel_manual_unrollILi128ELi4EZNS0_22gpu_kernel_impl_nocastIZZZNS0_23bitwise_not_kernel_cudaERNS_18TensorIteratorBaseEENKUlvE_clEvENKUlvE2_clEvEUllE_EEvS4_RKT_EUlibE_EEviT1_
; %bb.0:
	s_clause 0x1
	s_load_b32 s22, s[0:1], 0x8
	s_load_b32 s27, s[0:1], 0x0
	v_lshl_or_b32 v4, s15, 9, v0
	s_or_b32 s0, s0, 8
	s_mov_b32 s2, exec_lo
	s_delay_alu instid0(VALU_DEP_1) | instskip(SKIP_2) | instid1(SALU_CYCLE_1)
	v_or_b32_e32 v8, 0x180, v4
	s_waitcnt lgkmcnt(0)
	s_add_i32 s23, s22, -1
	s_cmp_gt_u32 s23, 1
	s_cselect_b32 s24, -1, 0
	v_cmpx_le_i32_e64 s27, v8
	s_xor_b32 s25, exec_lo, s2
	s_cbranch_execz .LBB37_7
; %bb.1:
	s_clause 0x3
	s_load_b128 s[12:15], s[0:1], 0x4
	s_load_b64 s[2:3], s[0:1], 0x14
	s_load_b128 s[8:11], s[0:1], 0xc4
	s_load_b128 s[4:7], s[0:1], 0x148
	s_cmp_lg_u32 s22, 0
	s_mov_b32 s30, exec_lo
	s_cselect_b32 s29, -1, 0
	s_add_u32 s16, s0, 0xc4
	s_addc_u32 s17, s1, 0
	s_min_u32 s28, s23, 15
	s_cmp_gt_u32 s22, 1
	s_cselect_b32 s26, -1, 0
	v_cmpx_gt_i32_e64 s27, v4
	s_cbranch_execz .LBB37_14
; %bb.2:
	s_and_not1_b32 vcc_lo, exec_lo, s24
	s_cbranch_vccnz .LBB37_21
; %bb.3:
	v_dual_mov_b32 v0, 0 :: v_dual_mov_b32 v1, 0
	s_and_not1_b32 vcc_lo, exec_lo, s29
	s_mov_b32 s31, 0
	s_cbranch_vccnz .LBB37_73
; %bb.4:
	v_mov_b32_e32 v0, 0
	s_add_i32 s34, s28, 1
	s_cmp_eq_u32 s23, 2
	s_mov_b32 s33, 0
	s_cbranch_scc1 .LBB37_69
; %bb.5:
	v_dual_mov_b32 v1, 0 :: v_dual_mov_b32 v0, 0
	v_mov_b32_e32 v2, v4
	s_and_b32 s33, s34, 28
	s_mov_b32 s35, 0
	s_mov_b64 s[18:19], s[16:17]
	s_mov_b64 s[20:21], s[0:1]
.LBB37_6:                               ; =>This Inner Loop Header: Depth=1
	s_clause 0x1
	s_load_b256 s[36:43], s[20:21], 0x4
	s_load_b128 s[52:55], s[20:21], 0x24
	s_load_b256 s[44:51], s[18:19], 0x0
	s_add_u32 s20, s20, 48
	s_addc_u32 s21, s21, 0
	s_add_i32 s35, s35, 4
	s_add_u32 s18, s18, 32
	s_addc_u32 s19, s19, 0
	s_cmp_lg_u32 s33, s35
	s_waitcnt lgkmcnt(0)
	v_mul_hi_u32 v3, s37, v2
	s_delay_alu instid0(VALU_DEP_1) | instskip(NEXT) | instid1(VALU_DEP_1)
	v_add_nc_u32_e32 v3, v2, v3
	v_lshrrev_b32_e32 v3, s38, v3
	s_delay_alu instid0(VALU_DEP_1) | instskip(SKIP_1) | instid1(VALU_DEP_2)
	v_mul_hi_u32 v5, s40, v3
	v_mul_lo_u32 v7, v3, s36
	v_add_nc_u32_e32 v5, v3, v5
	s_delay_alu instid0(VALU_DEP_2) | instskip(NEXT) | instid1(VALU_DEP_2)
	v_sub_nc_u32_e32 v2, v2, v7
	v_lshrrev_b32_e32 v5, s41, v5
	s_delay_alu instid0(VALU_DEP_2) | instskip(SKIP_1) | instid1(VALU_DEP_3)
	v_mul_lo_u32 v7, v2, s44
	v_mul_lo_u32 v9, v2, s45
	v_mul_hi_u32 v6, s43, v5
	s_delay_alu instid0(VALU_DEP_1) | instskip(NEXT) | instid1(VALU_DEP_1)
	v_add_nc_u32_e32 v6, v5, v6
	v_lshrrev_b32_e32 v6, s52, v6
	s_delay_alu instid0(VALU_DEP_1) | instskip(SKIP_1) | instid1(VALU_DEP_2)
	v_mul_hi_u32 v8, s54, v6
	v_mul_lo_u32 v10, v6, s42
	v_add_nc_u32_e32 v2, v6, v8
	v_mul_lo_u32 v8, v5, s39
	s_delay_alu instid0(VALU_DEP_3) | instskip(NEXT) | instid1(VALU_DEP_3)
	v_sub_nc_u32_e32 v5, v5, v10
	v_lshrrev_b32_e32 v2, s55, v2
	s_delay_alu instid0(VALU_DEP_2) | instskip(SKIP_2) | instid1(VALU_DEP_4)
	v_mul_lo_u32 v10, v5, s48
	v_mul_lo_u32 v5, v5, s49
	v_sub_nc_u32_e32 v3, v3, v8
	v_mul_lo_u32 v11, v2, s53
	s_delay_alu instid0(VALU_DEP_2) | instskip(SKIP_1) | instid1(VALU_DEP_3)
	v_mul_lo_u32 v8, v3, s46
	v_mul_lo_u32 v3, v3, s47
	v_sub_nc_u32_e32 v6, v6, v11
	s_delay_alu instid0(VALU_DEP_3) | instskip(NEXT) | instid1(VALU_DEP_2)
	v_add3_u32 v0, v7, v0, v8
	v_mul_lo_u32 v11, v6, s50
	v_mul_lo_u32 v6, v6, s51
	v_add3_u32 v1, v9, v1, v3
	s_delay_alu instid0(VALU_DEP_3) | instskip(NEXT) | instid1(VALU_DEP_2)
	v_add3_u32 v0, v10, v0, v11
	v_add3_u32 v1, v5, v1, v6
	s_cbranch_scc1 .LBB37_6
	s_branch .LBB37_70
.LBB37_7:
	s_and_not1_saveexec_b32 s2, s25
	s_cbranch_execz .LBB37_94
.LBB37_8:
	v_cndmask_b32_e64 v6, 0, 1, s24
	s_and_not1_b32 vcc_lo, exec_lo, s24
	s_cbranch_vccnz .LBB37_20
; %bb.9:
	v_dual_mov_b32 v0, 0 :: v_dual_mov_b32 v1, 0
	s_cmp_lg_u32 s22, 0
	s_mov_b32 s6, 0
	s_cbranch_scc0 .LBB37_26
; %bb.10:
	s_min_u32 s7, s23, 15
	v_mov_b32_e32 v0, 0
	s_add_i32 s7, s7, 1
	s_cmp_eq_u32 s23, 2
	s_mov_b32 s8, 0
	s_cbranch_scc1 .LBB37_23
; %bb.11:
	v_dual_mov_b32 v1, 0 :: v_dual_mov_b32 v0, 0
	v_mov_b32_e32 v2, v4
	s_add_u32 s2, s0, 0xc4
	s_addc_u32 s3, s1, 0
	s_and_b32 s8, s7, 28
	s_mov_b32 s9, 0
	s_mov_b64 s[4:5], s[0:1]
.LBB37_12:                              ; =>This Inner Loop Header: Depth=1
	s_clause 0x1
	s_load_b256 s[12:19], s[4:5], 0x4
	s_load_b128 s[36:39], s[4:5], 0x24
	s_load_b256 s[24:31], s[2:3], 0x0
	s_add_u32 s4, s4, 48
	s_addc_u32 s5, s5, 0
	s_add_i32 s9, s9, 4
	s_add_u32 s2, s2, 32
	s_addc_u32 s3, s3, 0
	s_cmp_lg_u32 s8, s9
	s_waitcnt lgkmcnt(0)
	v_mul_hi_u32 v3, s13, v2
	s_delay_alu instid0(VALU_DEP_1) | instskip(NEXT) | instid1(VALU_DEP_1)
	v_add_nc_u32_e32 v3, v2, v3
	v_lshrrev_b32_e32 v3, s14, v3
	s_delay_alu instid0(VALU_DEP_1) | instskip(SKIP_1) | instid1(VALU_DEP_2)
	v_mul_hi_u32 v5, s16, v3
	v_mul_lo_u32 v9, v3, s12
	v_add_nc_u32_e32 v5, v3, v5
	s_delay_alu instid0(VALU_DEP_2) | instskip(NEXT) | instid1(VALU_DEP_2)
	v_sub_nc_u32_e32 v2, v2, v9
	v_lshrrev_b32_e32 v5, s17, v5
	s_delay_alu instid0(VALU_DEP_2) | instskip(SKIP_1) | instid1(VALU_DEP_3)
	v_mul_lo_u32 v9, v2, s24
	v_mul_lo_u32 v11, v2, s25
	v_mul_hi_u32 v7, s19, v5
	s_delay_alu instid0(VALU_DEP_1) | instskip(NEXT) | instid1(VALU_DEP_1)
	v_add_nc_u32_e32 v7, v5, v7
	v_lshrrev_b32_e32 v7, s36, v7
	s_delay_alu instid0(VALU_DEP_1) | instskip(SKIP_1) | instid1(VALU_DEP_2)
	v_mul_hi_u32 v10, s38, v7
	v_mul_lo_u32 v12, v7, s18
	v_add_nc_u32_e32 v2, v7, v10
	v_mul_lo_u32 v10, v5, s15
	s_delay_alu instid0(VALU_DEP_3) | instskip(NEXT) | instid1(VALU_DEP_3)
	v_sub_nc_u32_e32 v5, v5, v12
	v_lshrrev_b32_e32 v2, s39, v2
	s_delay_alu instid0(VALU_DEP_2) | instskip(SKIP_2) | instid1(VALU_DEP_4)
	v_mul_lo_u32 v12, v5, s28
	v_mul_lo_u32 v5, v5, s29
	v_sub_nc_u32_e32 v3, v3, v10
	v_mul_lo_u32 v13, v2, s37
	s_delay_alu instid0(VALU_DEP_2) | instskip(SKIP_1) | instid1(VALU_DEP_3)
	v_mul_lo_u32 v10, v3, s26
	v_mul_lo_u32 v3, v3, s27
	v_sub_nc_u32_e32 v7, v7, v13
	s_delay_alu instid0(VALU_DEP_3) | instskip(NEXT) | instid1(VALU_DEP_2)
	v_add3_u32 v0, v9, v0, v10
	v_mul_lo_u32 v13, v7, s30
	v_mul_lo_u32 v7, v7, s31
	v_add3_u32 v1, v11, v1, v3
	s_delay_alu instid0(VALU_DEP_3) | instskip(NEXT) | instid1(VALU_DEP_2)
	v_add3_u32 v0, v12, v0, v13
	v_add3_u32 v1, v5, v1, v7
	s_cbranch_scc1 .LBB37_12
; %bb.13:
	s_and_b32 s7, s7, 3
	s_delay_alu instid0(SALU_CYCLE_1)
	s_cmp_eq_u32 s7, 0
	s_cbranch_scc0 .LBB37_24
	s_branch .LBB37_26
.LBB37_14:
	s_or_b32 exec_lo, exec_lo, s30
	s_delay_alu instid0(SALU_CYCLE_1)
	s_mov_b32 s30, exec_lo
	v_cmpx_gt_i32_e64 s27, v4
	s_cbranch_execz .LBB37_77
.LBB37_15:
	s_and_not1_b32 vcc_lo, exec_lo, s24
	s_cbranch_vccnz .LBB37_22
; %bb.16:
	v_dual_mov_b32 v0, 0 :: v_dual_mov_b32 v1, 0
	s_and_not1_b32 vcc_lo, exec_lo, s29
	s_mov_b32 s31, 0
	s_cbranch_vccnz .LBB37_88
; %bb.17:
	v_mov_b32_e32 v0, 0
	s_add_i32 s34, s28, 1
	s_cmp_eq_u32 s23, 2
	s_mov_b32 s33, 0
	s_cbranch_scc1 .LBB37_84
; %bb.18:
	v_dual_mov_b32 v1, 0 :: v_dual_mov_b32 v0, 0
	v_mov_b32_e32 v2, v4
	s_and_b32 s33, s34, 28
	s_mov_b32 s35, 0
	s_mov_b64 s[18:19], s[16:17]
	s_mov_b64 s[20:21], s[0:1]
.LBB37_19:                              ; =>This Inner Loop Header: Depth=1
	s_clause 0x1
	s_load_b256 s[36:43], s[20:21], 0x4
	s_load_b128 s[52:55], s[20:21], 0x24
	s_load_b256 s[44:51], s[18:19], 0x0
	s_add_u32 s20, s20, 48
	s_addc_u32 s21, s21, 0
	s_add_i32 s35, s35, 4
	s_add_u32 s18, s18, 32
	s_addc_u32 s19, s19, 0
	s_cmp_eq_u32 s33, s35
	s_waitcnt lgkmcnt(0)
	v_mul_hi_u32 v3, s37, v2
	s_delay_alu instid0(VALU_DEP_1) | instskip(NEXT) | instid1(VALU_DEP_1)
	v_add_nc_u32_e32 v3, v2, v3
	v_lshrrev_b32_e32 v3, s38, v3
	s_delay_alu instid0(VALU_DEP_1) | instskip(SKIP_1) | instid1(VALU_DEP_2)
	v_mul_hi_u32 v5, s40, v3
	v_mul_lo_u32 v7, v3, s36
	v_add_nc_u32_e32 v5, v3, v5
	s_delay_alu instid0(VALU_DEP_2) | instskip(NEXT) | instid1(VALU_DEP_2)
	v_sub_nc_u32_e32 v2, v2, v7
	v_lshrrev_b32_e32 v5, s41, v5
	s_delay_alu instid0(VALU_DEP_2) | instskip(SKIP_1) | instid1(VALU_DEP_3)
	v_mul_lo_u32 v7, v2, s44
	v_mul_lo_u32 v9, v2, s45
	v_mul_hi_u32 v6, s43, v5
	s_delay_alu instid0(VALU_DEP_1) | instskip(NEXT) | instid1(VALU_DEP_1)
	v_add_nc_u32_e32 v6, v5, v6
	v_lshrrev_b32_e32 v6, s52, v6
	s_delay_alu instid0(VALU_DEP_1) | instskip(SKIP_1) | instid1(VALU_DEP_2)
	v_mul_hi_u32 v8, s54, v6
	v_mul_lo_u32 v10, v6, s42
	v_add_nc_u32_e32 v2, v6, v8
	v_mul_lo_u32 v8, v5, s39
	s_delay_alu instid0(VALU_DEP_3) | instskip(NEXT) | instid1(VALU_DEP_3)
	v_sub_nc_u32_e32 v5, v5, v10
	v_lshrrev_b32_e32 v2, s55, v2
	s_delay_alu instid0(VALU_DEP_2) | instskip(SKIP_2) | instid1(VALU_DEP_4)
	v_mul_lo_u32 v10, v5, s48
	v_mul_lo_u32 v5, v5, s49
	v_sub_nc_u32_e32 v3, v3, v8
	v_mul_lo_u32 v11, v2, s53
	s_delay_alu instid0(VALU_DEP_2) | instskip(SKIP_1) | instid1(VALU_DEP_3)
	v_mul_lo_u32 v8, v3, s46
	v_mul_lo_u32 v3, v3, s47
	v_sub_nc_u32_e32 v6, v6, v11
	s_delay_alu instid0(VALU_DEP_3) | instskip(NEXT) | instid1(VALU_DEP_2)
	v_add3_u32 v0, v7, v0, v8
	v_mul_lo_u32 v11, v6, s50
	v_mul_lo_u32 v6, v6, s51
	v_add3_u32 v1, v9, v1, v3
	s_delay_alu instid0(VALU_DEP_3) | instskip(NEXT) | instid1(VALU_DEP_2)
	v_add3_u32 v0, v10, v0, v11
	v_add3_u32 v1, v5, v1, v6
	s_cbranch_scc0 .LBB37_19
	s_branch .LBB37_85
.LBB37_20:
	s_mov_b32 s6, -1
                                        ; implicit-def: $vgpr0
                                        ; implicit-def: $vgpr1
	s_branch .LBB37_26
.LBB37_21:
	s_mov_b32 s31, -1
                                        ; implicit-def: $vgpr0
                                        ; implicit-def: $vgpr1
	s_branch .LBB37_73
.LBB37_22:
	s_mov_b32 s31, -1
                                        ; implicit-def: $vgpr0
                                        ; implicit-def: $vgpr1
	s_branch .LBB37_88
.LBB37_23:
	v_dual_mov_b32 v2, v4 :: v_dual_mov_b32 v1, 0
	s_and_b32 s7, s7, 3
	s_delay_alu instid0(SALU_CYCLE_1)
	s_cmp_eq_u32 s7, 0
	s_cbranch_scc1 .LBB37_26
.LBB37_24:
	s_lshl_b32 s2, s8, 3
	s_mul_i32 s4, s8, 12
	s_add_u32 s2, s2, s0
	s_addc_u32 s3, 0, s1
	s_add_u32 s2, s2, 0xc4
	s_addc_u32 s3, s3, 0
	;; [unrolled: 2-line block ×3, first 2 shown]
	.p2align	6
.LBB37_25:                              ; =>This Inner Loop Header: Depth=1
	s_clause 0x1
	s_load_b64 s[8:9], s[4:5], 0x4
	s_load_b32 s12, s[4:5], 0xc
	s_load_b64 s[10:11], s[2:3], 0x0
	s_add_u32 s4, s4, 12
	s_addc_u32 s5, s5, 0
	s_add_u32 s2, s2, 8
	s_addc_u32 s3, s3, 0
	s_add_i32 s7, s7, -1
	s_delay_alu instid0(SALU_CYCLE_1) | instskip(SKIP_2) | instid1(VALU_DEP_1)
	s_cmp_lg_u32 s7, 0
	s_waitcnt lgkmcnt(0)
	v_mul_hi_u32 v3, s9, v2
	v_add_nc_u32_e32 v3, v2, v3
	s_delay_alu instid0(VALU_DEP_1) | instskip(NEXT) | instid1(VALU_DEP_1)
	v_lshrrev_b32_e32 v3, s12, v3
	v_mul_lo_u32 v5, v3, s8
	s_delay_alu instid0(VALU_DEP_1) | instskip(NEXT) | instid1(VALU_DEP_1)
	v_sub_nc_u32_e32 v2, v2, v5
	v_mad_u64_u32 v[9:10], null, v2, s10, v[0:1]
	v_mad_u64_u32 v[10:11], null, v2, s11, v[1:2]
	v_mov_b32_e32 v2, v3
	s_delay_alu instid0(VALU_DEP_2)
	v_dual_mov_b32 v0, v9 :: v_dual_mov_b32 v1, v10
	s_cbranch_scc1 .LBB37_25
.LBB37_26:
	s_and_not1_b32 vcc_lo, exec_lo, s6
	s_cbranch_vccnz .LBB37_29
; %bb.27:
	s_clause 0x1
	s_load_b128 s[4:7], s[0:1], 0x4
	s_load_b64 s[2:3], s[0:1], 0xc4
	s_cmp_lt_u32 s22, 2
	s_waitcnt lgkmcnt(0)
	v_mul_hi_u32 v0, s5, v4
	s_delay_alu instid0(VALU_DEP_1) | instskip(NEXT) | instid1(VALU_DEP_1)
	v_add_nc_u32_e32 v0, v4, v0
	v_lshrrev_b32_e32 v2, s6, v0
	s_delay_alu instid0(VALU_DEP_1) | instskip(NEXT) | instid1(VALU_DEP_1)
	v_mul_lo_u32 v0, v2, s4
	v_sub_nc_u32_e32 v1, v4, v0
	s_delay_alu instid0(VALU_DEP_1)
	v_mul_lo_u32 v0, v1, s2
	v_mul_lo_u32 v1, v1, s3
	s_cbranch_scc1 .LBB37_29
; %bb.28:
	s_clause 0x1
	s_load_b128 s[4:7], s[0:1], 0x10
	s_load_b64 s[2:3], s[0:1], 0xcc
	s_waitcnt lgkmcnt(0)
	v_mul_hi_u32 v3, s5, v2
	s_delay_alu instid0(VALU_DEP_1) | instskip(NEXT) | instid1(VALU_DEP_1)
	v_add_nc_u32_e32 v3, v2, v3
	v_lshrrev_b32_e32 v3, s6, v3
	s_delay_alu instid0(VALU_DEP_1) | instskip(NEXT) | instid1(VALU_DEP_1)
	v_mul_lo_u32 v3, v3, s4
	v_sub_nc_u32_e32 v5, v2, v3
	s_delay_alu instid0(VALU_DEP_1) | instskip(NEXT) | instid1(VALU_DEP_1)
	v_mad_u64_u32 v[2:3], null, v5, s2, v[0:1]
	v_mad_u64_u32 v[9:10], null, v5, s3, v[1:2]
	s_delay_alu instid0(VALU_DEP_1)
	v_dual_mov_b32 v0, v2 :: v_dual_mov_b32 v1, v9
.LBB37_29:
	v_cmp_ne_u32_e32 vcc_lo, 1, v6
	v_add_nc_u32_e32 v5, 0x80, v4
	s_cbranch_vccnz .LBB37_35
; %bb.30:
	v_dual_mov_b32 v2, 0 :: v_dual_mov_b32 v3, 0
	s_cmp_lg_u32 s22, 0
	s_mov_b32 s6, 0
	s_cbranch_scc0 .LBB37_39
; %bb.31:
	s_min_u32 s7, s23, 15
	v_mov_b32_e32 v2, 0
	s_add_i32 s7, s7, 1
	s_cmp_eq_u32 s23, 2
	s_mov_b32 s8, 0
	s_cbranch_scc1 .LBB37_36
; %bb.32:
	v_dual_mov_b32 v3, 0 :: v_dual_mov_b32 v2, 0
	v_mov_b32_e32 v7, v5
	s_add_u32 s2, s0, 0xc4
	s_addc_u32 s3, s1, 0
	s_and_b32 s8, s7, 28
	s_mov_b32 s9, 0
	s_mov_b64 s[4:5], s[0:1]
.LBB37_33:                              ; =>This Inner Loop Header: Depth=1
	s_clause 0x1
	s_load_b256 s[12:19], s[4:5], 0x4
	s_load_b128 s[36:39], s[4:5], 0x24
	s_load_b256 s[24:31], s[2:3], 0x0
	s_add_u32 s4, s4, 48
	s_addc_u32 s5, s5, 0
	s_add_i32 s9, s9, 4
	s_add_u32 s2, s2, 32
	s_addc_u32 s3, s3, 0
	s_cmp_lg_u32 s8, s9
	s_waitcnt lgkmcnt(0)
	v_mul_hi_u32 v9, s13, v7
	s_delay_alu instid0(VALU_DEP_1) | instskip(NEXT) | instid1(VALU_DEP_1)
	v_add_nc_u32_e32 v9, v7, v9
	v_lshrrev_b32_e32 v9, s14, v9
	s_delay_alu instid0(VALU_DEP_1) | instskip(SKIP_1) | instid1(VALU_DEP_2)
	v_mul_hi_u32 v10, s16, v9
	v_mul_lo_u32 v12, v9, s12
	v_add_nc_u32_e32 v10, v9, v10
	s_delay_alu instid0(VALU_DEP_2) | instskip(NEXT) | instid1(VALU_DEP_2)
	v_sub_nc_u32_e32 v7, v7, v12
	v_lshrrev_b32_e32 v10, s17, v10
	s_delay_alu instid0(VALU_DEP_2) | instskip(SKIP_1) | instid1(VALU_DEP_3)
	v_mul_lo_u32 v12, v7, s24
	v_mul_lo_u32 v14, v7, s25
	v_mul_hi_u32 v11, s19, v10
	s_delay_alu instid0(VALU_DEP_1) | instskip(NEXT) | instid1(VALU_DEP_1)
	v_add_nc_u32_e32 v11, v10, v11
	v_lshrrev_b32_e32 v11, s36, v11
	s_delay_alu instid0(VALU_DEP_1) | instskip(SKIP_1) | instid1(VALU_DEP_2)
	v_mul_hi_u32 v13, s38, v11
	v_mul_lo_u32 v15, v11, s18
	v_add_nc_u32_e32 v7, v11, v13
	v_mul_lo_u32 v13, v10, s15
	s_delay_alu instid0(VALU_DEP_3) | instskip(NEXT) | instid1(VALU_DEP_3)
	v_sub_nc_u32_e32 v10, v10, v15
	v_lshrrev_b32_e32 v7, s39, v7
	s_delay_alu instid0(VALU_DEP_2) | instskip(SKIP_2) | instid1(VALU_DEP_4)
	v_mul_lo_u32 v15, v10, s28
	v_mul_lo_u32 v10, v10, s29
	v_sub_nc_u32_e32 v9, v9, v13
	v_mul_lo_u32 v16, v7, s37
	s_delay_alu instid0(VALU_DEP_2) | instskip(SKIP_1) | instid1(VALU_DEP_3)
	v_mul_lo_u32 v13, v9, s26
	v_mul_lo_u32 v9, v9, s27
	v_sub_nc_u32_e32 v11, v11, v16
	s_delay_alu instid0(VALU_DEP_3) | instskip(NEXT) | instid1(VALU_DEP_2)
	v_add3_u32 v2, v12, v2, v13
	v_mul_lo_u32 v16, v11, s30
	v_mul_lo_u32 v11, v11, s31
	v_add3_u32 v3, v14, v3, v9
	s_delay_alu instid0(VALU_DEP_3) | instskip(NEXT) | instid1(VALU_DEP_2)
	v_add3_u32 v2, v15, v2, v16
	v_add3_u32 v3, v10, v3, v11
	s_cbranch_scc1 .LBB37_33
; %bb.34:
	s_and_b32 s7, s7, 3
	s_delay_alu instid0(SALU_CYCLE_1)
	s_cmp_eq_u32 s7, 0
	s_cbranch_scc0 .LBB37_37
	s_branch .LBB37_39
.LBB37_35:
	s_mov_b32 s6, -1
                                        ; implicit-def: $vgpr2
                                        ; implicit-def: $vgpr3
	s_branch .LBB37_39
.LBB37_36:
	v_mov_b32_e32 v7, v5
	v_mov_b32_e32 v3, 0
	s_and_b32 s7, s7, 3
	s_delay_alu instid0(SALU_CYCLE_1)
	s_cmp_eq_u32 s7, 0
	s_cbranch_scc1 .LBB37_39
.LBB37_37:
	s_lshl_b32 s2, s8, 3
	s_mul_i32 s4, s8, 12
	s_add_u32 s2, s2, s0
	s_addc_u32 s3, 0, s1
	s_add_u32 s2, s2, 0xc4
	s_addc_u32 s3, s3, 0
	;; [unrolled: 2-line block ×3, first 2 shown]
	.p2align	6
.LBB37_38:                              ; =>This Inner Loop Header: Depth=1
	s_clause 0x1
	s_load_b64 s[8:9], s[4:5], 0x4
	s_load_b32 s12, s[4:5], 0xc
	s_load_b64 s[10:11], s[2:3], 0x0
	s_add_u32 s4, s4, 12
	s_addc_u32 s5, s5, 0
	s_add_u32 s2, s2, 8
	s_addc_u32 s3, s3, 0
	s_add_i32 s7, s7, -1
	s_delay_alu instid0(SALU_CYCLE_1) | instskip(SKIP_2) | instid1(VALU_DEP_1)
	s_cmp_lg_u32 s7, 0
	s_waitcnt lgkmcnt(0)
	v_mul_hi_u32 v9, s9, v7
	v_add_nc_u32_e32 v9, v7, v9
	s_delay_alu instid0(VALU_DEP_1) | instskip(NEXT) | instid1(VALU_DEP_1)
	v_lshrrev_b32_e32 v12, s12, v9
	v_mul_lo_u32 v9, v12, s8
	s_delay_alu instid0(VALU_DEP_1) | instskip(NEXT) | instid1(VALU_DEP_1)
	v_sub_nc_u32_e32 v7, v7, v9
	v_mad_u64_u32 v[9:10], null, v7, s10, v[2:3]
	v_mad_u64_u32 v[10:11], null, v7, s11, v[3:4]
	s_delay_alu instid0(VALU_DEP_2) | instskip(NEXT) | instid1(VALU_DEP_2)
	v_dual_mov_b32 v7, v12 :: v_dual_mov_b32 v2, v9
	v_mov_b32_e32 v3, v10
	s_cbranch_scc1 .LBB37_38
.LBB37_39:
	s_and_not1_b32 vcc_lo, exec_lo, s6
	s_cbranch_vccnz .LBB37_42
; %bb.40:
	s_clause 0x1
	s_load_b128 s[4:7], s[0:1], 0x4
	s_load_b64 s[2:3], s[0:1], 0xc4
	s_cmp_lt_u32 s22, 2
	s_waitcnt lgkmcnt(0)
	v_mul_hi_u32 v2, s5, v5
	s_delay_alu instid0(VALU_DEP_1) | instskip(NEXT) | instid1(VALU_DEP_1)
	v_add_nc_u32_e32 v2, v5, v2
	v_lshrrev_b32_e32 v7, s6, v2
	s_delay_alu instid0(VALU_DEP_1) | instskip(NEXT) | instid1(VALU_DEP_1)
	v_mul_lo_u32 v2, v7, s4
	v_sub_nc_u32_e32 v3, v5, v2
	s_delay_alu instid0(VALU_DEP_1)
	v_mul_lo_u32 v2, v3, s2
	v_mul_lo_u32 v3, v3, s3
	s_cbranch_scc1 .LBB37_42
; %bb.41:
	s_clause 0x1
	s_load_b128 s[4:7], s[0:1], 0x10
	s_load_b64 s[2:3], s[0:1], 0xcc
	s_waitcnt lgkmcnt(0)
	v_mul_hi_u32 v5, s5, v7
	s_delay_alu instid0(VALU_DEP_1) | instskip(NEXT) | instid1(VALU_DEP_1)
	v_add_nc_u32_e32 v5, v7, v5
	v_lshrrev_b32_e32 v5, s6, v5
	s_delay_alu instid0(VALU_DEP_1) | instskip(NEXT) | instid1(VALU_DEP_1)
	v_mul_lo_u32 v5, v5, s4
	v_sub_nc_u32_e32 v5, v7, v5
	s_delay_alu instid0(VALU_DEP_1) | instskip(SKIP_1) | instid1(VALU_DEP_1)
	v_mad_u64_u32 v[9:10], null, v5, s2, v[2:3]
	v_mad_u64_u32 v[10:11], null, v5, s3, v[3:4]
	v_dual_mov_b32 v2, v9 :: v_dual_mov_b32 v3, v10
.LBB37_42:
	v_cmp_ne_u32_e32 vcc_lo, 1, v6
	v_add_nc_u32_e32 v7, 0x100, v4
	s_cbranch_vccnz .LBB37_48
; %bb.43:
	v_dual_mov_b32 v4, 0 :: v_dual_mov_b32 v5, 0
	s_cmp_lg_u32 s22, 0
	s_mov_b32 s6, 0
	s_cbranch_scc0 .LBB37_52
; %bb.44:
	s_min_u32 s7, s23, 15
	v_mov_b32_e32 v4, 0
	s_add_i32 s7, s7, 1
	s_cmp_eq_u32 s23, 2
	s_mov_b32 s8, 0
	s_cbranch_scc1 .LBB37_49
; %bb.45:
	v_dual_mov_b32 v5, 0 :: v_dual_mov_b32 v4, 0
	v_mov_b32_e32 v9, v7
	s_add_u32 s2, s0, 0xc4
	s_addc_u32 s3, s1, 0
	s_and_b32 s8, s7, 28
	s_mov_b32 s9, 0
	s_mov_b64 s[4:5], s[0:1]
.LBB37_46:                              ; =>This Inner Loop Header: Depth=1
	s_clause 0x1
	s_load_b256 s[12:19], s[4:5], 0x4
	s_load_b128 s[36:39], s[4:5], 0x24
	s_load_b256 s[24:31], s[2:3], 0x0
	s_add_u32 s4, s4, 48
	s_addc_u32 s5, s5, 0
	s_add_i32 s9, s9, 4
	s_add_u32 s2, s2, 32
	s_addc_u32 s3, s3, 0
	s_cmp_lg_u32 s8, s9
	s_waitcnt lgkmcnt(0)
	v_mul_hi_u32 v10, s13, v9
	s_delay_alu instid0(VALU_DEP_1) | instskip(NEXT) | instid1(VALU_DEP_1)
	v_add_nc_u32_e32 v10, v9, v10
	v_lshrrev_b32_e32 v10, s14, v10
	s_delay_alu instid0(VALU_DEP_1) | instskip(SKIP_1) | instid1(VALU_DEP_2)
	v_mul_hi_u32 v11, s16, v10
	v_mul_lo_u32 v13, v10, s12
	v_add_nc_u32_e32 v11, v10, v11
	s_delay_alu instid0(VALU_DEP_2) | instskip(NEXT) | instid1(VALU_DEP_2)
	v_sub_nc_u32_e32 v9, v9, v13
	v_lshrrev_b32_e32 v11, s17, v11
	s_delay_alu instid0(VALU_DEP_2) | instskip(SKIP_1) | instid1(VALU_DEP_3)
	v_mul_lo_u32 v13, v9, s24
	v_mul_lo_u32 v15, v9, s25
	v_mul_hi_u32 v12, s19, v11
	s_delay_alu instid0(VALU_DEP_1) | instskip(NEXT) | instid1(VALU_DEP_1)
	v_add_nc_u32_e32 v12, v11, v12
	v_lshrrev_b32_e32 v12, s36, v12
	s_delay_alu instid0(VALU_DEP_1) | instskip(SKIP_1) | instid1(VALU_DEP_2)
	v_mul_hi_u32 v14, s38, v12
	v_mul_lo_u32 v16, v12, s18
	v_add_nc_u32_e32 v9, v12, v14
	v_mul_lo_u32 v14, v11, s15
	s_delay_alu instid0(VALU_DEP_3) | instskip(NEXT) | instid1(VALU_DEP_3)
	v_sub_nc_u32_e32 v11, v11, v16
	v_lshrrev_b32_e32 v9, s39, v9
	s_delay_alu instid0(VALU_DEP_2) | instskip(SKIP_2) | instid1(VALU_DEP_4)
	v_mul_lo_u32 v16, v11, s28
	v_mul_lo_u32 v11, v11, s29
	v_sub_nc_u32_e32 v10, v10, v14
	v_mul_lo_u32 v17, v9, s37
	s_delay_alu instid0(VALU_DEP_2) | instskip(SKIP_1) | instid1(VALU_DEP_3)
	v_mul_lo_u32 v14, v10, s26
	v_mul_lo_u32 v10, v10, s27
	v_sub_nc_u32_e32 v12, v12, v17
	s_delay_alu instid0(VALU_DEP_3) | instskip(NEXT) | instid1(VALU_DEP_2)
	v_add3_u32 v4, v13, v4, v14
	v_mul_lo_u32 v17, v12, s30
	v_mul_lo_u32 v12, v12, s31
	v_add3_u32 v5, v15, v5, v10
	s_delay_alu instid0(VALU_DEP_3) | instskip(NEXT) | instid1(VALU_DEP_2)
	v_add3_u32 v4, v16, v4, v17
	v_add3_u32 v5, v11, v5, v12
	s_cbranch_scc1 .LBB37_46
; %bb.47:
	s_and_b32 s7, s7, 3
	s_delay_alu instid0(SALU_CYCLE_1)
	s_cmp_eq_u32 s7, 0
	s_cbranch_scc0 .LBB37_50
	s_branch .LBB37_52
.LBB37_48:
	s_mov_b32 s6, -1
                                        ; implicit-def: $vgpr4
                                        ; implicit-def: $vgpr5
	s_branch .LBB37_52
.LBB37_49:
	v_mov_b32_e32 v9, v7
	v_mov_b32_e32 v5, 0
	s_and_b32 s7, s7, 3
	s_delay_alu instid0(SALU_CYCLE_1)
	s_cmp_eq_u32 s7, 0
	s_cbranch_scc1 .LBB37_52
.LBB37_50:
	s_lshl_b32 s2, s8, 3
	s_mul_i32 s4, s8, 12
	s_add_u32 s2, s2, s0
	s_addc_u32 s3, 0, s1
	s_add_u32 s2, s2, 0xc4
	s_addc_u32 s3, s3, 0
	;; [unrolled: 2-line block ×3, first 2 shown]
	.p2align	6
.LBB37_51:                              ; =>This Inner Loop Header: Depth=1
	s_clause 0x1
	s_load_b64 s[8:9], s[4:5], 0x4
	s_load_b32 s12, s[4:5], 0xc
	s_load_b64 s[10:11], s[2:3], 0x0
	s_add_u32 s4, s4, 12
	s_addc_u32 s5, s5, 0
	s_add_u32 s2, s2, 8
	s_addc_u32 s3, s3, 0
	s_add_i32 s7, s7, -1
	s_delay_alu instid0(SALU_CYCLE_1) | instskip(SKIP_2) | instid1(VALU_DEP_1)
	s_cmp_lg_u32 s7, 0
	s_waitcnt lgkmcnt(0)
	v_mul_hi_u32 v10, s9, v9
	v_add_nc_u32_e32 v10, v9, v10
	s_delay_alu instid0(VALU_DEP_1) | instskip(NEXT) | instid1(VALU_DEP_1)
	v_lshrrev_b32_e32 v13, s12, v10
	v_mul_lo_u32 v10, v13, s8
	s_delay_alu instid0(VALU_DEP_1) | instskip(NEXT) | instid1(VALU_DEP_1)
	v_sub_nc_u32_e32 v9, v9, v10
	v_mad_u64_u32 v[10:11], null, v9, s10, v[4:5]
	v_mad_u64_u32 v[11:12], null, v9, s11, v[5:6]
	s_delay_alu instid0(VALU_DEP_2) | instskip(NEXT) | instid1(VALU_DEP_2)
	v_dual_mov_b32 v9, v13 :: v_dual_mov_b32 v4, v10
	v_mov_b32_e32 v5, v11
	s_cbranch_scc1 .LBB37_51
.LBB37_52:
	s_and_not1_b32 vcc_lo, exec_lo, s6
	s_cbranch_vccnz .LBB37_55
; %bb.53:
	s_clause 0x1
	s_load_b128 s[4:7], s[0:1], 0x4
	s_load_b64 s[2:3], s[0:1], 0xc4
	s_cmp_lt_u32 s22, 2
	s_waitcnt lgkmcnt(0)
	v_mul_hi_u32 v4, s5, v7
	s_delay_alu instid0(VALU_DEP_1) | instskip(NEXT) | instid1(VALU_DEP_1)
	v_add_nc_u32_e32 v4, v7, v4
	v_lshrrev_b32_e32 v9, s6, v4
	s_delay_alu instid0(VALU_DEP_1) | instskip(NEXT) | instid1(VALU_DEP_1)
	v_mul_lo_u32 v4, v9, s4
	v_sub_nc_u32_e32 v5, v7, v4
	s_delay_alu instid0(VALU_DEP_1)
	v_mul_lo_u32 v4, v5, s2
	v_mul_lo_u32 v5, v5, s3
	s_cbranch_scc1 .LBB37_55
; %bb.54:
	s_clause 0x1
	s_load_b128 s[4:7], s[0:1], 0x10
	s_load_b64 s[2:3], s[0:1], 0xcc
	s_waitcnt lgkmcnt(0)
	v_mul_hi_u32 v7, s5, v9
	s_delay_alu instid0(VALU_DEP_1) | instskip(NEXT) | instid1(VALU_DEP_1)
	v_add_nc_u32_e32 v7, v9, v7
	v_lshrrev_b32_e32 v7, s6, v7
	s_delay_alu instid0(VALU_DEP_1) | instskip(NEXT) | instid1(VALU_DEP_1)
	v_mul_lo_u32 v7, v7, s4
	v_sub_nc_u32_e32 v7, v9, v7
	s_delay_alu instid0(VALU_DEP_1) | instskip(SKIP_1) | instid1(VALU_DEP_1)
	v_mad_u64_u32 v[9:10], null, v7, s2, v[4:5]
	v_mad_u64_u32 v[10:11], null, v7, s3, v[5:6]
	v_dual_mov_b32 v4, v9 :: v_dual_mov_b32 v5, v10
.LBB37_55:
	v_cmp_ne_u32_e32 vcc_lo, 1, v6
	s_cbranch_vccnz .LBB37_61
; %bb.56:
	v_dual_mov_b32 v6, 0 :: v_dual_mov_b32 v7, 0
	s_cmp_lg_u32 s22, 0
	s_mov_b32 s6, 0
	s_cbranch_scc0 .LBB37_65
; %bb.57:
	s_min_u32 s7, s23, 15
	v_mov_b32_e32 v6, 0
	s_add_i32 s7, s7, 1
	s_cmp_eq_u32 s23, 2
	s_mov_b32 s8, 0
	s_cbranch_scc1 .LBB37_62
; %bb.58:
	v_dual_mov_b32 v7, 0 :: v_dual_mov_b32 v6, 0
	v_mov_b32_e32 v9, v8
	s_add_u32 s2, s0, 0xc4
	s_addc_u32 s3, s1, 0
	s_and_b32 s8, s7, 28
	s_mov_b32 s9, 0
	s_mov_b64 s[4:5], s[0:1]
.LBB37_59:                              ; =>This Inner Loop Header: Depth=1
	s_clause 0x1
	s_load_b256 s[12:19], s[4:5], 0x4
	s_load_b128 s[36:39], s[4:5], 0x24
	s_load_b256 s[24:31], s[2:3], 0x0
	s_add_u32 s4, s4, 48
	s_addc_u32 s5, s5, 0
	s_add_i32 s9, s9, 4
	s_add_u32 s2, s2, 32
	s_addc_u32 s3, s3, 0
	s_cmp_lg_u32 s8, s9
	s_waitcnt lgkmcnt(0)
	v_mul_hi_u32 v10, s13, v9
	s_delay_alu instid0(VALU_DEP_1) | instskip(NEXT) | instid1(VALU_DEP_1)
	v_add_nc_u32_e32 v10, v9, v10
	v_lshrrev_b32_e32 v10, s14, v10
	s_delay_alu instid0(VALU_DEP_1) | instskip(SKIP_1) | instid1(VALU_DEP_2)
	v_mul_hi_u32 v11, s16, v10
	v_mul_lo_u32 v13, v10, s12
	v_add_nc_u32_e32 v11, v10, v11
	s_delay_alu instid0(VALU_DEP_2) | instskip(NEXT) | instid1(VALU_DEP_2)
	v_sub_nc_u32_e32 v9, v9, v13
	v_lshrrev_b32_e32 v11, s17, v11
	s_delay_alu instid0(VALU_DEP_2) | instskip(SKIP_1) | instid1(VALU_DEP_3)
	v_mul_lo_u32 v13, v9, s24
	v_mul_lo_u32 v15, v9, s25
	v_mul_hi_u32 v12, s19, v11
	s_delay_alu instid0(VALU_DEP_1) | instskip(NEXT) | instid1(VALU_DEP_1)
	v_add_nc_u32_e32 v12, v11, v12
	v_lshrrev_b32_e32 v12, s36, v12
	s_delay_alu instid0(VALU_DEP_1) | instskip(SKIP_1) | instid1(VALU_DEP_2)
	v_mul_hi_u32 v14, s38, v12
	v_mul_lo_u32 v16, v12, s18
	v_add_nc_u32_e32 v9, v12, v14
	v_mul_lo_u32 v14, v11, s15
	s_delay_alu instid0(VALU_DEP_3) | instskip(NEXT) | instid1(VALU_DEP_3)
	v_sub_nc_u32_e32 v11, v11, v16
	v_lshrrev_b32_e32 v9, s39, v9
	s_delay_alu instid0(VALU_DEP_2) | instskip(SKIP_2) | instid1(VALU_DEP_4)
	v_mul_lo_u32 v16, v11, s28
	v_mul_lo_u32 v11, v11, s29
	v_sub_nc_u32_e32 v10, v10, v14
	v_mul_lo_u32 v17, v9, s37
	s_delay_alu instid0(VALU_DEP_2) | instskip(SKIP_1) | instid1(VALU_DEP_3)
	v_mul_lo_u32 v14, v10, s26
	v_mul_lo_u32 v10, v10, s27
	v_sub_nc_u32_e32 v12, v12, v17
	s_delay_alu instid0(VALU_DEP_3) | instskip(NEXT) | instid1(VALU_DEP_2)
	v_add3_u32 v6, v13, v6, v14
	v_mul_lo_u32 v17, v12, s30
	v_mul_lo_u32 v12, v12, s31
	v_add3_u32 v7, v15, v7, v10
	s_delay_alu instid0(VALU_DEP_3) | instskip(NEXT) | instid1(VALU_DEP_2)
	v_add3_u32 v6, v16, v6, v17
	v_add3_u32 v7, v11, v7, v12
	s_cbranch_scc1 .LBB37_59
; %bb.60:
	s_and_b32 s7, s7, 3
	s_delay_alu instid0(SALU_CYCLE_1)
	s_cmp_eq_u32 s7, 0
	s_cbranch_scc0 .LBB37_63
	s_branch .LBB37_65
.LBB37_61:
	s_mov_b32 s6, -1
                                        ; implicit-def: $vgpr6
                                        ; implicit-def: $vgpr7
	s_branch .LBB37_65
.LBB37_62:
	v_mov_b32_e32 v9, v8
	v_mov_b32_e32 v7, 0
	s_and_b32 s7, s7, 3
	s_delay_alu instid0(SALU_CYCLE_1)
	s_cmp_eq_u32 s7, 0
	s_cbranch_scc1 .LBB37_65
.LBB37_63:
	s_lshl_b32 s2, s8, 3
	s_mul_i32 s4, s8, 12
	s_add_u32 s2, s2, s0
	s_addc_u32 s3, 0, s1
	s_add_u32 s2, s2, 0xc4
	s_addc_u32 s3, s3, 0
	;; [unrolled: 2-line block ×3, first 2 shown]
	.p2align	6
.LBB37_64:                              ; =>This Inner Loop Header: Depth=1
	s_clause 0x1
	s_load_b64 s[8:9], s[4:5], 0x4
	s_load_b32 s12, s[4:5], 0xc
	s_load_b64 s[10:11], s[2:3], 0x0
	s_add_u32 s4, s4, 12
	s_addc_u32 s5, s5, 0
	s_add_u32 s2, s2, 8
	s_addc_u32 s3, s3, 0
	s_add_i32 s7, s7, -1
	s_delay_alu instid0(SALU_CYCLE_1) | instskip(SKIP_2) | instid1(VALU_DEP_1)
	s_cmp_lg_u32 s7, 0
	s_waitcnt lgkmcnt(0)
	v_mul_hi_u32 v10, s9, v9
	v_add_nc_u32_e32 v10, v9, v10
	s_delay_alu instid0(VALU_DEP_1) | instskip(NEXT) | instid1(VALU_DEP_1)
	v_lshrrev_b32_e32 v13, s12, v10
	v_mul_lo_u32 v10, v13, s8
	s_delay_alu instid0(VALU_DEP_1) | instskip(NEXT) | instid1(VALU_DEP_1)
	v_sub_nc_u32_e32 v9, v9, v10
	v_mad_u64_u32 v[10:11], null, v9, s10, v[6:7]
	v_mad_u64_u32 v[11:12], null, v9, s11, v[7:8]
	s_delay_alu instid0(VALU_DEP_2) | instskip(NEXT) | instid1(VALU_DEP_2)
	v_dual_mov_b32 v9, v13 :: v_dual_mov_b32 v6, v10
	v_mov_b32_e32 v7, v11
	s_cbranch_scc1 .LBB37_64
.LBB37_65:
	s_and_not1_b32 vcc_lo, exec_lo, s6
	s_cbranch_vccnz .LBB37_68
; %bb.66:
	s_clause 0x1
	s_load_b128 s[4:7], s[0:1], 0x4
	s_load_b64 s[2:3], s[0:1], 0xc4
	s_cmp_lt_u32 s22, 2
	s_waitcnt lgkmcnt(0)
	v_mul_hi_u32 v6, s5, v8
	s_delay_alu instid0(VALU_DEP_1) | instskip(NEXT) | instid1(VALU_DEP_1)
	v_add_nc_u32_e32 v6, v8, v6
	v_lshrrev_b32_e32 v9, s6, v6
	s_delay_alu instid0(VALU_DEP_1) | instskip(NEXT) | instid1(VALU_DEP_1)
	v_mul_lo_u32 v6, v9, s4
	v_sub_nc_u32_e32 v7, v8, v6
	s_delay_alu instid0(VALU_DEP_1)
	v_mul_lo_u32 v6, v7, s2
	v_mul_lo_u32 v7, v7, s3
	s_cbranch_scc1 .LBB37_68
; %bb.67:
	s_clause 0x1
	s_load_b128 s[4:7], s[0:1], 0x10
	s_load_b64 s[2:3], s[0:1], 0xcc
	s_waitcnt lgkmcnt(0)
	v_mul_hi_u32 v8, s5, v9
	s_delay_alu instid0(VALU_DEP_1) | instskip(NEXT) | instid1(VALU_DEP_1)
	v_add_nc_u32_e32 v8, v9, v8
	v_lshrrev_b32_e32 v8, s6, v8
	s_delay_alu instid0(VALU_DEP_1) | instskip(NEXT) | instid1(VALU_DEP_1)
	v_mul_lo_u32 v8, v8, s4
	v_sub_nc_u32_e32 v11, v9, v8
	s_delay_alu instid0(VALU_DEP_1) | instskip(NEXT) | instid1(VALU_DEP_1)
	v_mad_u64_u32 v[8:9], null, v11, s2, v[6:7]
	v_mad_u64_u32 v[9:10], null, v11, s3, v[7:8]
	s_delay_alu instid0(VALU_DEP_1)
	v_dual_mov_b32 v6, v8 :: v_dual_mov_b32 v7, v9
.LBB37_68:
	s_load_b128 s[0:3], s[0:1], 0x148
	s_waitcnt lgkmcnt(0)
	s_clause 0x3
	global_load_b64 v[8:9], v1, s[2:3]
	global_load_b64 v[10:11], v3, s[2:3]
	;; [unrolled: 1-line block ×4, first 2 shown]
	s_waitcnt vmcnt(3)
	v_not_b32_e32 v9, v9
	v_not_b32_e32 v8, v8
	s_waitcnt vmcnt(2)
	v_not_b32_e32 v11, v11
	v_not_b32_e32 v10, v10
	s_waitcnt vmcnt(1)
	v_not_b32_e32 v13, v13
	v_not_b32_e32 v12, v12
	s_waitcnt vmcnt(0)
	v_not_b32_e32 v15, v15
	v_not_b32_e32 v14, v14
	s_clause 0x3
	global_store_b64 v0, v[8:9], s[0:1]
	global_store_b64 v2, v[10:11], s[0:1]
	;; [unrolled: 1-line block ×4, first 2 shown]
	s_nop 0
	s_sendmsg sendmsg(MSG_DEALLOC_VGPRS)
	s_endpgm
.LBB37_69:
	v_dual_mov_b32 v2, v4 :: v_dual_mov_b32 v1, 0
.LBB37_70:
	s_and_b32 s34, s34, 3
	s_delay_alu instid0(SALU_CYCLE_1)
	s_cmp_eq_u32 s34, 0
	s_cbranch_scc1 .LBB37_73
; %bb.71:
	s_lshl_b32 s18, s33, 3
	s_mul_i32 s20, s33, 12
	s_add_u32 s18, s18, s0
	s_addc_u32 s19, s1, 0
	s_add_u32 s18, s18, 0xc4
	s_addc_u32 s19, s19, 0
	;; [unrolled: 2-line block ×3, first 2 shown]
	.p2align	6
.LBB37_72:                              ; =>This Inner Loop Header: Depth=1
	s_clause 0x1
	s_load_b64 s[36:37], s[20:21], 0x4
	s_load_b32 s33, s[20:21], 0xc
	s_load_b64 s[38:39], s[18:19], 0x0
	s_add_u32 s20, s20, 12
	s_addc_u32 s21, s21, 0
	s_add_u32 s18, s18, 8
	s_addc_u32 s19, s19, 0
	s_add_i32 s34, s34, -1
	s_delay_alu instid0(SALU_CYCLE_1) | instskip(SKIP_2) | instid1(VALU_DEP_1)
	s_cmp_lg_u32 s34, 0
	s_waitcnt lgkmcnt(0)
	v_mul_hi_u32 v3, s37, v2
	v_add_nc_u32_e32 v3, v2, v3
	s_delay_alu instid0(VALU_DEP_1) | instskip(NEXT) | instid1(VALU_DEP_1)
	v_lshrrev_b32_e32 v3, s33, v3
	v_mul_lo_u32 v5, v3, s36
	s_delay_alu instid0(VALU_DEP_1) | instskip(NEXT) | instid1(VALU_DEP_1)
	v_sub_nc_u32_e32 v2, v2, v5
	v_mad_u64_u32 v[5:6], null, v2, s38, v[0:1]
	v_mad_u64_u32 v[6:7], null, v2, s39, v[1:2]
	v_mov_b32_e32 v2, v3
	s_delay_alu instid0(VALU_DEP_2)
	v_dual_mov_b32 v0, v5 :: v_dual_mov_b32 v1, v6
	s_cbranch_scc1 .LBB37_72
.LBB37_73:
	s_and_not1_b32 vcc_lo, exec_lo, s31
	s_cbranch_vccnz .LBB37_76
; %bb.74:
	s_waitcnt lgkmcnt(0)
	v_mul_hi_u32 v0, s13, v4
	s_and_not1_b32 vcc_lo, exec_lo, s26
	s_delay_alu instid0(VALU_DEP_1) | instskip(NEXT) | instid1(VALU_DEP_1)
	v_add_nc_u32_e32 v0, v4, v0
	v_lshrrev_b32_e32 v2, s14, v0
	s_delay_alu instid0(VALU_DEP_1) | instskip(NEXT) | instid1(VALU_DEP_1)
	v_mul_lo_u32 v0, v2, s12
	v_sub_nc_u32_e32 v1, v4, v0
	s_delay_alu instid0(VALU_DEP_1)
	v_mul_lo_u32 v0, v1, s8
	v_mul_lo_u32 v1, v1, s9
	s_cbranch_vccnz .LBB37_76
; %bb.75:
	v_mul_hi_u32 v3, s2, v2
	s_delay_alu instid0(VALU_DEP_1) | instskip(NEXT) | instid1(VALU_DEP_1)
	v_add_nc_u32_e32 v3, v2, v3
	v_lshrrev_b32_e32 v3, s3, v3
	s_delay_alu instid0(VALU_DEP_1) | instskip(NEXT) | instid1(VALU_DEP_1)
	v_mul_lo_u32 v3, v3, s15
	v_sub_nc_u32_e32 v7, v2, v3
	s_delay_alu instid0(VALU_DEP_1) | instskip(NEXT) | instid1(VALU_DEP_1)
	v_mad_u64_u32 v[2:3], null, v7, s10, v[0:1]
	v_mad_u64_u32 v[5:6], null, v7, s11, v[1:2]
	s_delay_alu instid0(VALU_DEP_1)
	v_dual_mov_b32 v0, v2 :: v_dual_mov_b32 v1, v5
.LBB37_76:
	s_waitcnt lgkmcnt(0)
	global_load_b64 v[1:2], v1, s[6:7]
	v_add_nc_u32_e32 v4, 0x80, v4
	s_waitcnt vmcnt(0)
	v_not_b32_e32 v2, v2
	v_not_b32_e32 v1, v1
	global_store_b64 v0, v[1:2], s[4:5]
	s_or_b32 exec_lo, exec_lo, s30
	s_delay_alu instid0(SALU_CYCLE_1)
	s_mov_b32 s30, exec_lo
	v_cmpx_gt_i32_e64 s27, v4
	s_cbranch_execnz .LBB37_15
.LBB37_77:
	s_or_b32 exec_lo, exec_lo, s30
	s_delay_alu instid0(SALU_CYCLE_1)
	s_mov_b32 s30, exec_lo
	v_cmpx_gt_i32_e64 s27, v4
	s_cbranch_execz .LBB37_92
.LBB37_78:
	s_and_not1_b32 vcc_lo, exec_lo, s24
	s_cbranch_vccnz .LBB37_83
; %bb.79:
	v_dual_mov_b32 v0, 0 :: v_dual_mov_b32 v1, 0
	s_and_not1_b32 vcc_lo, exec_lo, s29
	s_mov_b32 s31, 0
	s_cbranch_vccnz .LBB37_99
; %bb.80:
	v_mov_b32_e32 v0, 0
	s_add_i32 s34, s28, 1
	s_cmp_eq_u32 s23, 2
	s_mov_b32 s33, 0
	s_cbranch_scc1 .LBB37_95
; %bb.81:
	v_dual_mov_b32 v1, 0 :: v_dual_mov_b32 v0, 0
	v_mov_b32_e32 v2, v4
	s_and_b32 s33, s34, 28
	s_mov_b32 s35, 0
	s_mov_b64 s[18:19], s[16:17]
	s_mov_b64 s[20:21], s[0:1]
.LBB37_82:                              ; =>This Inner Loop Header: Depth=1
	s_clause 0x1
	s_load_b256 s[36:43], s[20:21], 0x4
	s_load_b128 s[52:55], s[20:21], 0x24
	s_load_b256 s[44:51], s[18:19], 0x0
	s_add_u32 s20, s20, 48
	s_addc_u32 s21, s21, 0
	s_add_i32 s35, s35, 4
	s_add_u32 s18, s18, 32
	s_addc_u32 s19, s19, 0
	s_cmp_eq_u32 s33, s35
	s_waitcnt lgkmcnt(0)
	v_mul_hi_u32 v3, s37, v2
	s_delay_alu instid0(VALU_DEP_1) | instskip(NEXT) | instid1(VALU_DEP_1)
	v_add_nc_u32_e32 v3, v2, v3
	v_lshrrev_b32_e32 v3, s38, v3
	s_delay_alu instid0(VALU_DEP_1) | instskip(SKIP_1) | instid1(VALU_DEP_2)
	v_mul_hi_u32 v5, s40, v3
	v_mul_lo_u32 v7, v3, s36
	v_add_nc_u32_e32 v5, v3, v5
	s_delay_alu instid0(VALU_DEP_2) | instskip(NEXT) | instid1(VALU_DEP_2)
	v_sub_nc_u32_e32 v2, v2, v7
	v_lshrrev_b32_e32 v5, s41, v5
	s_delay_alu instid0(VALU_DEP_2) | instskip(SKIP_1) | instid1(VALU_DEP_3)
	v_mul_lo_u32 v7, v2, s44
	v_mul_lo_u32 v9, v2, s45
	v_mul_hi_u32 v6, s43, v5
	s_delay_alu instid0(VALU_DEP_1) | instskip(NEXT) | instid1(VALU_DEP_1)
	v_add_nc_u32_e32 v6, v5, v6
	v_lshrrev_b32_e32 v6, s52, v6
	s_delay_alu instid0(VALU_DEP_1) | instskip(SKIP_1) | instid1(VALU_DEP_2)
	v_mul_hi_u32 v8, s54, v6
	v_mul_lo_u32 v10, v6, s42
	v_add_nc_u32_e32 v2, v6, v8
	v_mul_lo_u32 v8, v5, s39
	s_delay_alu instid0(VALU_DEP_3) | instskip(NEXT) | instid1(VALU_DEP_3)
	v_sub_nc_u32_e32 v5, v5, v10
	v_lshrrev_b32_e32 v2, s55, v2
	s_delay_alu instid0(VALU_DEP_2) | instskip(SKIP_2) | instid1(VALU_DEP_4)
	v_mul_lo_u32 v10, v5, s48
	v_mul_lo_u32 v5, v5, s49
	v_sub_nc_u32_e32 v3, v3, v8
	v_mul_lo_u32 v11, v2, s53
	s_delay_alu instid0(VALU_DEP_2) | instskip(SKIP_1) | instid1(VALU_DEP_3)
	v_mul_lo_u32 v8, v3, s46
	v_mul_lo_u32 v3, v3, s47
	v_sub_nc_u32_e32 v6, v6, v11
	s_delay_alu instid0(VALU_DEP_3) | instskip(NEXT) | instid1(VALU_DEP_2)
	v_add3_u32 v0, v7, v0, v8
	v_mul_lo_u32 v11, v6, s50
	v_mul_lo_u32 v6, v6, s51
	v_add3_u32 v1, v9, v1, v3
	s_delay_alu instid0(VALU_DEP_3) | instskip(NEXT) | instid1(VALU_DEP_2)
	v_add3_u32 v0, v10, v0, v11
	v_add3_u32 v1, v5, v1, v6
	s_cbranch_scc0 .LBB37_82
	s_branch .LBB37_96
.LBB37_83:
	s_mov_b32 s31, -1
                                        ; implicit-def: $vgpr0
                                        ; implicit-def: $vgpr1
	s_branch .LBB37_99
.LBB37_84:
	v_dual_mov_b32 v2, v4 :: v_dual_mov_b32 v1, 0
.LBB37_85:
	s_and_b32 s34, s34, 3
	s_delay_alu instid0(SALU_CYCLE_1)
	s_cmp_eq_u32 s34, 0
	s_cbranch_scc1 .LBB37_88
; %bb.86:
	s_lshl_b32 s18, s33, 3
	s_mul_i32 s20, s33, 12
	s_add_u32 s18, s18, s0
	s_addc_u32 s19, s1, 0
	s_add_u32 s18, s18, 0xc4
	s_addc_u32 s19, s19, 0
	;; [unrolled: 2-line block ×3, first 2 shown]
	.p2align	6
.LBB37_87:                              ; =>This Inner Loop Header: Depth=1
	s_clause 0x1
	s_load_b64 s[36:37], s[20:21], 0x4
	s_load_b32 s33, s[20:21], 0xc
	s_load_b64 s[38:39], s[18:19], 0x0
	s_add_u32 s20, s20, 12
	s_addc_u32 s21, s21, 0
	s_add_u32 s18, s18, 8
	s_addc_u32 s19, s19, 0
	s_add_i32 s34, s34, -1
	s_delay_alu instid0(SALU_CYCLE_1) | instskip(SKIP_2) | instid1(VALU_DEP_1)
	s_cmp_lg_u32 s34, 0
	s_waitcnt lgkmcnt(0)
	v_mul_hi_u32 v3, s37, v2
	v_add_nc_u32_e32 v3, v2, v3
	s_delay_alu instid0(VALU_DEP_1) | instskip(NEXT) | instid1(VALU_DEP_1)
	v_lshrrev_b32_e32 v3, s33, v3
	v_mul_lo_u32 v5, v3, s36
	s_delay_alu instid0(VALU_DEP_1) | instskip(NEXT) | instid1(VALU_DEP_1)
	v_sub_nc_u32_e32 v2, v2, v5
	v_mad_u64_u32 v[5:6], null, v2, s38, v[0:1]
	v_mad_u64_u32 v[6:7], null, v2, s39, v[1:2]
	v_mov_b32_e32 v2, v3
	s_delay_alu instid0(VALU_DEP_2)
	v_dual_mov_b32 v0, v5 :: v_dual_mov_b32 v1, v6
	s_cbranch_scc1 .LBB37_87
.LBB37_88:
	s_and_not1_b32 vcc_lo, exec_lo, s31
	s_cbranch_vccnz .LBB37_91
; %bb.89:
	s_waitcnt lgkmcnt(0)
	v_mul_hi_u32 v0, s13, v4
	s_and_not1_b32 vcc_lo, exec_lo, s26
	s_delay_alu instid0(VALU_DEP_1) | instskip(NEXT) | instid1(VALU_DEP_1)
	v_add_nc_u32_e32 v0, v4, v0
	v_lshrrev_b32_e32 v2, s14, v0
	s_delay_alu instid0(VALU_DEP_1) | instskip(NEXT) | instid1(VALU_DEP_1)
	v_mul_lo_u32 v0, v2, s12
	v_sub_nc_u32_e32 v1, v4, v0
	s_delay_alu instid0(VALU_DEP_1)
	v_mul_lo_u32 v0, v1, s8
	v_mul_lo_u32 v1, v1, s9
	s_cbranch_vccnz .LBB37_91
; %bb.90:
	v_mul_hi_u32 v3, s2, v2
	s_delay_alu instid0(VALU_DEP_1) | instskip(NEXT) | instid1(VALU_DEP_1)
	v_add_nc_u32_e32 v3, v2, v3
	v_lshrrev_b32_e32 v3, s3, v3
	s_delay_alu instid0(VALU_DEP_1) | instskip(NEXT) | instid1(VALU_DEP_1)
	v_mul_lo_u32 v3, v3, s15
	v_sub_nc_u32_e32 v7, v2, v3
	s_delay_alu instid0(VALU_DEP_1) | instskip(NEXT) | instid1(VALU_DEP_1)
	v_mad_u64_u32 v[2:3], null, v7, s10, v[0:1]
	v_mad_u64_u32 v[5:6], null, v7, s11, v[1:2]
	s_delay_alu instid0(VALU_DEP_1)
	v_dual_mov_b32 v0, v2 :: v_dual_mov_b32 v1, v5
.LBB37_91:
	s_waitcnt lgkmcnt(0)
	global_load_b64 v[1:2], v1, s[6:7]
	v_add_nc_u32_e32 v4, 0x80, v4
	s_waitcnt vmcnt(0)
	v_not_b32_e32 v2, v2
	v_not_b32_e32 v1, v1
	global_store_b64 v0, v[1:2], s[4:5]
	s_or_b32 exec_lo, exec_lo, s30
	s_delay_alu instid0(SALU_CYCLE_1)
	s_mov_b32 s30, exec_lo
	v_cmpx_gt_i32_e64 s27, v4
	s_cbranch_execnz .LBB37_78
.LBB37_92:
	s_or_b32 exec_lo, exec_lo, s30
	s_delay_alu instid0(SALU_CYCLE_1)
	s_mov_b32 s20, exec_lo
	v_cmpx_gt_i32_e64 s27, v4
	s_cbranch_execnz .LBB37_103
.LBB37_93:
	s_or_b32 exec_lo, exec_lo, s20
                                        ; implicit-def: $vgpr8
                                        ; implicit-def: $vgpr4
	s_waitcnt lgkmcnt(0)
	s_and_not1_saveexec_b32 s2, s25
	s_cbranch_execnz .LBB37_8
.LBB37_94:
	s_nop 0
	s_sendmsg sendmsg(MSG_DEALLOC_VGPRS)
	s_endpgm
.LBB37_95:
	v_dual_mov_b32 v2, v4 :: v_dual_mov_b32 v1, 0
.LBB37_96:
	s_and_b32 s34, s34, 3
	s_delay_alu instid0(SALU_CYCLE_1)
	s_cmp_eq_u32 s34, 0
	s_cbranch_scc1 .LBB37_99
; %bb.97:
	s_lshl_b32 s18, s33, 3
	s_mul_i32 s20, s33, 12
	s_add_u32 s18, s18, s0
	s_addc_u32 s19, s1, 0
	s_add_u32 s18, s18, 0xc4
	s_addc_u32 s19, s19, 0
	;; [unrolled: 2-line block ×3, first 2 shown]
	.p2align	6
.LBB37_98:                              ; =>This Inner Loop Header: Depth=1
	s_clause 0x1
	s_load_b64 s[36:37], s[20:21], 0x4
	s_load_b32 s33, s[20:21], 0xc
	s_load_b64 s[38:39], s[18:19], 0x0
	s_add_u32 s20, s20, 12
	s_addc_u32 s21, s21, 0
	s_add_u32 s18, s18, 8
	s_addc_u32 s19, s19, 0
	s_add_i32 s34, s34, -1
	s_delay_alu instid0(SALU_CYCLE_1) | instskip(SKIP_2) | instid1(VALU_DEP_1)
	s_cmp_lg_u32 s34, 0
	s_waitcnt lgkmcnt(0)
	v_mul_hi_u32 v3, s37, v2
	v_add_nc_u32_e32 v3, v2, v3
	s_delay_alu instid0(VALU_DEP_1) | instskip(NEXT) | instid1(VALU_DEP_1)
	v_lshrrev_b32_e32 v3, s33, v3
	v_mul_lo_u32 v5, v3, s36
	s_delay_alu instid0(VALU_DEP_1) | instskip(NEXT) | instid1(VALU_DEP_1)
	v_sub_nc_u32_e32 v2, v2, v5
	v_mad_u64_u32 v[5:6], null, v2, s38, v[0:1]
	v_mad_u64_u32 v[6:7], null, v2, s39, v[1:2]
	v_mov_b32_e32 v2, v3
	s_delay_alu instid0(VALU_DEP_2)
	v_dual_mov_b32 v0, v5 :: v_dual_mov_b32 v1, v6
	s_cbranch_scc1 .LBB37_98
.LBB37_99:
	s_and_not1_b32 vcc_lo, exec_lo, s31
	s_cbranch_vccnz .LBB37_102
; %bb.100:
	s_waitcnt lgkmcnt(0)
	v_mul_hi_u32 v0, s13, v4
	s_and_not1_b32 vcc_lo, exec_lo, s26
	s_delay_alu instid0(VALU_DEP_1) | instskip(NEXT) | instid1(VALU_DEP_1)
	v_add_nc_u32_e32 v0, v4, v0
	v_lshrrev_b32_e32 v2, s14, v0
	s_delay_alu instid0(VALU_DEP_1) | instskip(NEXT) | instid1(VALU_DEP_1)
	v_mul_lo_u32 v0, v2, s12
	v_sub_nc_u32_e32 v1, v4, v0
	s_delay_alu instid0(VALU_DEP_1)
	v_mul_lo_u32 v0, v1, s8
	v_mul_lo_u32 v1, v1, s9
	s_cbranch_vccnz .LBB37_102
; %bb.101:
	v_mul_hi_u32 v3, s2, v2
	s_delay_alu instid0(VALU_DEP_1) | instskip(NEXT) | instid1(VALU_DEP_1)
	v_add_nc_u32_e32 v3, v2, v3
	v_lshrrev_b32_e32 v3, s3, v3
	s_delay_alu instid0(VALU_DEP_1) | instskip(NEXT) | instid1(VALU_DEP_1)
	v_mul_lo_u32 v3, v3, s15
	v_sub_nc_u32_e32 v7, v2, v3
	s_delay_alu instid0(VALU_DEP_1) | instskip(NEXT) | instid1(VALU_DEP_1)
	v_mad_u64_u32 v[2:3], null, v7, s10, v[0:1]
	v_mad_u64_u32 v[5:6], null, v7, s11, v[1:2]
	s_delay_alu instid0(VALU_DEP_1)
	v_dual_mov_b32 v0, v2 :: v_dual_mov_b32 v1, v5
.LBB37_102:
	s_waitcnt lgkmcnt(0)
	global_load_b64 v[1:2], v1, s[6:7]
	v_add_nc_u32_e32 v4, 0x80, v4
	s_waitcnt vmcnt(0)
	v_not_b32_e32 v2, v2
	v_not_b32_e32 v1, v1
	global_store_b64 v0, v[1:2], s[4:5]
	s_or_b32 exec_lo, exec_lo, s30
	s_delay_alu instid0(SALU_CYCLE_1)
	s_mov_b32 s20, exec_lo
	v_cmpx_gt_i32_e64 s27, v4
	s_cbranch_execz .LBB37_93
.LBB37_103:
	s_and_not1_b32 vcc_lo, exec_lo, s24
	s_cbranch_vccnz .LBB37_108
; %bb.104:
	v_dual_mov_b32 v0, 0 :: v_dual_mov_b32 v1, 0
	s_and_not1_b32 vcc_lo, exec_lo, s29
	s_mov_b32 s21, 0
	s_cbranch_vccnz .LBB37_113
; %bb.105:
	v_mov_b32_e32 v0, 0
	s_add_i32 s28, s28, 1
	s_cmp_eq_u32 s23, 2
	s_mov_b32 s27, 0
	s_cbranch_scc1 .LBB37_109
; %bb.106:
	v_dual_mov_b32 v1, 0 :: v_dual_mov_b32 v0, 0
	v_mov_b32_e32 v2, v4
	s_and_b32 s27, s28, 28
	s_mov_b32 s29, 0
	s_mov_b64 s[18:19], s[0:1]
.LBB37_107:                             ; =>This Inner Loop Header: Depth=1
	s_clause 0x1
	s_load_b256 s[36:43], s[18:19], 0x4
	s_load_b128 s[52:55], s[18:19], 0x24
	s_load_b256 s[44:51], s[16:17], 0x0
	s_add_u32 s18, s18, 48
	s_addc_u32 s19, s19, 0
	s_add_i32 s29, s29, 4
	s_add_u32 s16, s16, 32
	s_addc_u32 s17, s17, 0
	s_cmp_eq_u32 s27, s29
	s_waitcnt lgkmcnt(0)
	v_mul_hi_u32 v3, s37, v2
	s_delay_alu instid0(VALU_DEP_1) | instskip(NEXT) | instid1(VALU_DEP_1)
	v_add_nc_u32_e32 v3, v2, v3
	v_lshrrev_b32_e32 v3, s38, v3
	s_delay_alu instid0(VALU_DEP_1) | instskip(SKIP_1) | instid1(VALU_DEP_2)
	v_mul_hi_u32 v5, s40, v3
	v_mul_lo_u32 v7, v3, s36
	v_add_nc_u32_e32 v5, v3, v5
	s_delay_alu instid0(VALU_DEP_2) | instskip(NEXT) | instid1(VALU_DEP_2)
	v_sub_nc_u32_e32 v2, v2, v7
	v_lshrrev_b32_e32 v5, s41, v5
	s_delay_alu instid0(VALU_DEP_2) | instskip(SKIP_1) | instid1(VALU_DEP_3)
	v_mul_lo_u32 v7, v2, s44
	v_mul_lo_u32 v9, v2, s45
	v_mul_hi_u32 v6, s43, v5
	s_delay_alu instid0(VALU_DEP_1) | instskip(NEXT) | instid1(VALU_DEP_1)
	v_add_nc_u32_e32 v6, v5, v6
	v_lshrrev_b32_e32 v6, s52, v6
	s_delay_alu instid0(VALU_DEP_1) | instskip(SKIP_1) | instid1(VALU_DEP_2)
	v_mul_hi_u32 v8, s54, v6
	v_mul_lo_u32 v10, v6, s42
	v_add_nc_u32_e32 v2, v6, v8
	v_mul_lo_u32 v8, v5, s39
	s_delay_alu instid0(VALU_DEP_3) | instskip(NEXT) | instid1(VALU_DEP_3)
	v_sub_nc_u32_e32 v5, v5, v10
	v_lshrrev_b32_e32 v2, s55, v2
	s_delay_alu instid0(VALU_DEP_2) | instskip(SKIP_2) | instid1(VALU_DEP_4)
	v_mul_lo_u32 v10, v5, s48
	v_mul_lo_u32 v5, v5, s49
	v_sub_nc_u32_e32 v3, v3, v8
	v_mul_lo_u32 v11, v2, s53
	s_delay_alu instid0(VALU_DEP_2) | instskip(SKIP_1) | instid1(VALU_DEP_3)
	v_mul_lo_u32 v8, v3, s46
	v_mul_lo_u32 v3, v3, s47
	v_sub_nc_u32_e32 v6, v6, v11
	s_delay_alu instid0(VALU_DEP_3) | instskip(NEXT) | instid1(VALU_DEP_2)
	v_add3_u32 v0, v7, v0, v8
	v_mul_lo_u32 v11, v6, s50
	v_mul_lo_u32 v6, v6, s51
	v_add3_u32 v1, v9, v1, v3
	s_delay_alu instid0(VALU_DEP_3) | instskip(NEXT) | instid1(VALU_DEP_2)
	v_add3_u32 v0, v10, v0, v11
	v_add3_u32 v1, v5, v1, v6
	s_cbranch_scc0 .LBB37_107
	s_branch .LBB37_110
.LBB37_108:
	s_mov_b32 s21, -1
                                        ; implicit-def: $vgpr0
                                        ; implicit-def: $vgpr1
	s_branch .LBB37_113
.LBB37_109:
	v_dual_mov_b32 v2, v4 :: v_dual_mov_b32 v1, 0
.LBB37_110:
	s_and_b32 s28, s28, 3
	s_delay_alu instid0(SALU_CYCLE_1)
	s_cmp_eq_u32 s28, 0
	s_cbranch_scc1 .LBB37_113
; %bb.111:
	s_lshl_b32 s16, s27, 3
	s_mul_i32 s18, s27, 12
	s_add_u32 s16, s16, s0
	s_addc_u32 s17, s1, 0
	s_add_u32 s16, s16, 0xc4
	s_addc_u32 s17, s17, 0
	;; [unrolled: 2-line block ×3, first 2 shown]
	.p2align	6
.LBB37_112:                             ; =>This Inner Loop Header: Depth=1
	s_clause 0x1
	s_load_b64 s[30:31], s[18:19], 0x4
	s_load_b32 s27, s[18:19], 0xc
	s_load_b64 s[34:35], s[16:17], 0x0
	s_add_u32 s18, s18, 12
	s_addc_u32 s19, s19, 0
	s_add_u32 s16, s16, 8
	s_addc_u32 s17, s17, 0
	s_add_i32 s28, s28, -1
	s_delay_alu instid0(SALU_CYCLE_1) | instskip(SKIP_2) | instid1(VALU_DEP_1)
	s_cmp_lg_u32 s28, 0
	s_waitcnt lgkmcnt(0)
	v_mul_hi_u32 v3, s31, v2
	v_add_nc_u32_e32 v3, v2, v3
	s_delay_alu instid0(VALU_DEP_1) | instskip(NEXT) | instid1(VALU_DEP_1)
	v_lshrrev_b32_e32 v3, s27, v3
	v_mul_lo_u32 v5, v3, s30
	s_delay_alu instid0(VALU_DEP_1) | instskip(NEXT) | instid1(VALU_DEP_1)
	v_sub_nc_u32_e32 v2, v2, v5
	v_mad_u64_u32 v[5:6], null, v2, s34, v[0:1]
	v_mad_u64_u32 v[6:7], null, v2, s35, v[1:2]
	v_mov_b32_e32 v2, v3
	s_delay_alu instid0(VALU_DEP_2)
	v_dual_mov_b32 v0, v5 :: v_dual_mov_b32 v1, v6
	s_cbranch_scc1 .LBB37_112
.LBB37_113:
	s_and_not1_b32 vcc_lo, exec_lo, s21
	s_cbranch_vccnz .LBB37_116
; %bb.114:
	s_waitcnt lgkmcnt(0)
	v_mul_hi_u32 v0, s13, v4
	s_and_not1_b32 vcc_lo, exec_lo, s26
	s_delay_alu instid0(VALU_DEP_1) | instskip(NEXT) | instid1(VALU_DEP_1)
	v_add_nc_u32_e32 v0, v4, v0
	v_lshrrev_b32_e32 v2, s14, v0
	s_delay_alu instid0(VALU_DEP_1) | instskip(NEXT) | instid1(VALU_DEP_1)
	v_mul_lo_u32 v0, v2, s12
	v_sub_nc_u32_e32 v1, v4, v0
	s_delay_alu instid0(VALU_DEP_1)
	v_mul_lo_u32 v0, v1, s8
	v_mul_lo_u32 v1, v1, s9
	s_cbranch_vccnz .LBB37_116
; %bb.115:
	v_mul_hi_u32 v3, s2, v2
	s_delay_alu instid0(VALU_DEP_1) | instskip(NEXT) | instid1(VALU_DEP_1)
	v_add_nc_u32_e32 v3, v2, v3
	v_lshrrev_b32_e32 v3, s3, v3
	s_delay_alu instid0(VALU_DEP_1) | instskip(NEXT) | instid1(VALU_DEP_1)
	v_mul_lo_u32 v3, v3, s15
	v_sub_nc_u32_e32 v5, v2, v3
	s_delay_alu instid0(VALU_DEP_1) | instskip(NEXT) | instid1(VALU_DEP_1)
	v_mad_u64_u32 v[2:3], null, v5, s10, v[0:1]
	v_mad_u64_u32 v[3:4], null, v5, s11, v[1:2]
	s_delay_alu instid0(VALU_DEP_1)
	v_dual_mov_b32 v0, v2 :: v_dual_mov_b32 v1, v3
.LBB37_116:
	s_waitcnt lgkmcnt(0)
	global_load_b64 v[1:2], v1, s[6:7]
	s_waitcnt vmcnt(0)
	v_not_b32_e32 v2, v2
	v_not_b32_e32 v1, v1
	global_store_b64 v0, v[1:2], s[4:5]
	s_or_b32 exec_lo, exec_lo, s20
                                        ; implicit-def: $vgpr8
                                        ; implicit-def: $vgpr4
	s_and_not1_saveexec_b32 s2, s25
	s_cbranch_execz .LBB37_94
	s_branch .LBB37_8
	.section	.rodata,"a",@progbits
	.p2align	6, 0x0
	.amdhsa_kernel _ZN2at6native32elementwise_kernel_manual_unrollILi128ELi4EZNS0_22gpu_kernel_impl_nocastIZZZNS0_23bitwise_not_kernel_cudaERNS_18TensorIteratorBaseEENKUlvE_clEvENKUlvE2_clEvEUllE_EEvS4_RKT_EUlibE_EEviT1_
		.amdhsa_group_segment_fixed_size 0
		.amdhsa_private_segment_fixed_size 0
		.amdhsa_kernarg_size 360
		.amdhsa_user_sgpr_count 15
		.amdhsa_user_sgpr_dispatch_ptr 0
		.amdhsa_user_sgpr_queue_ptr 0
		.amdhsa_user_sgpr_kernarg_segment_ptr 1
		.amdhsa_user_sgpr_dispatch_id 0
		.amdhsa_user_sgpr_private_segment_size 0
		.amdhsa_wavefront_size32 1
		.amdhsa_uses_dynamic_stack 0
		.amdhsa_enable_private_segment 0
		.amdhsa_system_sgpr_workgroup_id_x 1
		.amdhsa_system_sgpr_workgroup_id_y 0
		.amdhsa_system_sgpr_workgroup_id_z 0
		.amdhsa_system_sgpr_workgroup_info 0
		.amdhsa_system_vgpr_workitem_id 0
		.amdhsa_next_free_vgpr 18
		.amdhsa_next_free_sgpr 56
		.amdhsa_reserve_vcc 1
		.amdhsa_float_round_mode_32 0
		.amdhsa_float_round_mode_16_64 0
		.amdhsa_float_denorm_mode_32 3
		.amdhsa_float_denorm_mode_16_64 3
		.amdhsa_dx10_clamp 1
		.amdhsa_ieee_mode 1
		.amdhsa_fp16_overflow 0
		.amdhsa_workgroup_processor_mode 1
		.amdhsa_memory_ordered 1
		.amdhsa_forward_progress 0
		.amdhsa_shared_vgpr_count 0
		.amdhsa_exception_fp_ieee_invalid_op 0
		.amdhsa_exception_fp_denorm_src 0
		.amdhsa_exception_fp_ieee_div_zero 0
		.amdhsa_exception_fp_ieee_overflow 0
		.amdhsa_exception_fp_ieee_underflow 0
		.amdhsa_exception_fp_ieee_inexact 0
		.amdhsa_exception_int_div_zero 0
	.end_amdhsa_kernel
	.section	.text._ZN2at6native32elementwise_kernel_manual_unrollILi128ELi4EZNS0_22gpu_kernel_impl_nocastIZZZNS0_23bitwise_not_kernel_cudaERNS_18TensorIteratorBaseEENKUlvE_clEvENKUlvE2_clEvEUllE_EEvS4_RKT_EUlibE_EEviT1_,"axG",@progbits,_ZN2at6native32elementwise_kernel_manual_unrollILi128ELi4EZNS0_22gpu_kernel_impl_nocastIZZZNS0_23bitwise_not_kernel_cudaERNS_18TensorIteratorBaseEENKUlvE_clEvENKUlvE2_clEvEUllE_EEvS4_RKT_EUlibE_EEviT1_,comdat
.Lfunc_end37:
	.size	_ZN2at6native32elementwise_kernel_manual_unrollILi128ELi4EZNS0_22gpu_kernel_impl_nocastIZZZNS0_23bitwise_not_kernel_cudaERNS_18TensorIteratorBaseEENKUlvE_clEvENKUlvE2_clEvEUllE_EEvS4_RKT_EUlibE_EEviT1_, .Lfunc_end37-_ZN2at6native32elementwise_kernel_manual_unrollILi128ELi4EZNS0_22gpu_kernel_impl_nocastIZZZNS0_23bitwise_not_kernel_cudaERNS_18TensorIteratorBaseEENKUlvE_clEvENKUlvE2_clEvEUllE_EEvS4_RKT_EUlibE_EEviT1_
                                        ; -- End function
	.section	.AMDGPU.csdata,"",@progbits
; Kernel info:
; codeLenInByte = 6844
; NumSgprs: 58
; NumVgprs: 18
; ScratchSize: 0
; MemoryBound: 0
; FloatMode: 240
; IeeeMode: 1
; LDSByteSize: 0 bytes/workgroup (compile time only)
; SGPRBlocks: 7
; VGPRBlocks: 2
; NumSGPRsForWavesPerEU: 58
; NumVGPRsForWavesPerEU: 18
; Occupancy: 16
; WaveLimiterHint : 1
; COMPUTE_PGM_RSRC2:SCRATCH_EN: 0
; COMPUTE_PGM_RSRC2:USER_SGPR: 15
; COMPUTE_PGM_RSRC2:TRAP_HANDLER: 0
; COMPUTE_PGM_RSRC2:TGID_X_EN: 1
; COMPUTE_PGM_RSRC2:TGID_Y_EN: 0
; COMPUTE_PGM_RSRC2:TGID_Z_EN: 0
; COMPUTE_PGM_RSRC2:TIDIG_COMP_CNT: 0
	.section	.text._ZN2at6native32elementwise_kernel_manual_unrollILi128ELi4EZNS0_15gpu_kernel_implIZZZNS0_23bitwise_not_kernel_cudaERNS_18TensorIteratorBaseEENKUlvE_clEvENKUlvE2_clEvEUllE_EEvS4_RKT_EUlibE_EEviT1_,"axG",@progbits,_ZN2at6native32elementwise_kernel_manual_unrollILi128ELi4EZNS0_15gpu_kernel_implIZZZNS0_23bitwise_not_kernel_cudaERNS_18TensorIteratorBaseEENKUlvE_clEvENKUlvE2_clEvEUllE_EEvS4_RKT_EUlibE_EEviT1_,comdat
	.globl	_ZN2at6native32elementwise_kernel_manual_unrollILi128ELi4EZNS0_15gpu_kernel_implIZZZNS0_23bitwise_not_kernel_cudaERNS_18TensorIteratorBaseEENKUlvE_clEvENKUlvE2_clEvEUllE_EEvS4_RKT_EUlibE_EEviT1_ ; -- Begin function _ZN2at6native32elementwise_kernel_manual_unrollILi128ELi4EZNS0_15gpu_kernel_implIZZZNS0_23bitwise_not_kernel_cudaERNS_18TensorIteratorBaseEENKUlvE_clEvENKUlvE2_clEvEUllE_EEvS4_RKT_EUlibE_EEviT1_
	.p2align	8
	.type	_ZN2at6native32elementwise_kernel_manual_unrollILi128ELi4EZNS0_15gpu_kernel_implIZZZNS0_23bitwise_not_kernel_cudaERNS_18TensorIteratorBaseEENKUlvE_clEvENKUlvE2_clEvEUllE_EEvS4_RKT_EUlibE_EEviT1_,@function
_ZN2at6native32elementwise_kernel_manual_unrollILi128ELi4EZNS0_15gpu_kernel_implIZZZNS0_23bitwise_not_kernel_cudaERNS_18TensorIteratorBaseEENKUlvE_clEvENKUlvE2_clEvEUllE_EEvS4_RKT_EUlibE_EEviT1_: ; @_ZN2at6native32elementwise_kernel_manual_unrollILi128ELi4EZNS0_15gpu_kernel_implIZZZNS0_23bitwise_not_kernel_cudaERNS_18TensorIteratorBaseEENKUlvE_clEvENKUlvE2_clEvEUllE_EEvS4_RKT_EUlibE_EEviT1_
; %bb.0:
	v_mov_b32_e32 v1, 0
	s_clause 0x2
	s_load_b32 s11, s[0:1], 0x0
	s_load_b64 s[2:3], s[0:1], 0x18
	s_load_b128 s[4:7], s[0:1], 0x8
	v_lshl_or_b32 v11, s15, 9, v0
	s_mov_b32 s8, 0
	s_mov_b32 s10, 0
	global_load_u16 v10, v1, s[0:1] offset:33
	s_mov_b32 s0, exec_lo
	v_or_b32_e32 v0, 0x180, v11
	s_waitcnt vmcnt(0)
	v_lshrrev_b16 v12, 8, v10
	s_waitcnt lgkmcnt(0)
	s_delay_alu instid0(VALU_DEP_2)
	v_cmpx_le_i32_e64 s11, v0
	s_xor_b32 s9, exec_lo, s0
	s_cbranch_execz .LBB38_1016
; %bb.1:
	s_mov_b32 s1, -1
	s_mov_b32 s14, 0
	s_mov_b32 s12, 0
	s_mov_b32 s13, exec_lo
	v_cmpx_gt_i32_e64 s11, v11
	s_cbranch_execz .LBB38_247
; %bb.2:
	v_mul_lo_u32 v0, v11, s3
	v_cmp_gt_i16_e32 vcc_lo, 11, v12
	s_delay_alu instid0(VALU_DEP_2) | instskip(SKIP_1) | instid1(VALU_DEP_1)
	v_ashrrev_i32_e32 v1, 31, v0
	v_add_co_u32 v2, s0, s6, v0
	v_add_co_ci_u32_e64 v3, s0, s7, v1, s0
	s_cbranch_vccnz .LBB38_9
; %bb.3:
	v_cmp_lt_i16_e32 vcc_lo, 25, v12
	s_cbranch_vccz .LBB38_18
; %bb.4:
	v_cmp_lt_i16_e32 vcc_lo, 28, v12
	s_cbranch_vccz .LBB38_21
	;; [unrolled: 3-line block ×4, first 2 shown]
; %bb.7:
	v_cmp_eq_u16_e32 vcc_lo, 46, v12
	s_mov_b32 s1, 0
	s_cbranch_vccz .LBB38_26
; %bb.8:
	global_load_b32 v0, v[2:3], off
	s_mov_b32 s0, -1
	s_waitcnt vmcnt(0)
	v_lshlrev_b32_e32 v0, 16, v0
	s_delay_alu instid0(VALU_DEP_1) | instskip(NEXT) | instid1(VALU_DEP_1)
	v_trunc_f32_e32 v0, v0
	v_mul_f32_e64 v1, 0x2f800000, |v0|
	v_ashrrev_i32_e32 v5, 31, v0
	s_delay_alu instid0(VALU_DEP_2) | instskip(NEXT) | instid1(VALU_DEP_1)
	v_floor_f32_e32 v1, v1
	v_fma_f32 v4, 0xcf800000, v1, |v0|
	v_cvt_u32_f32_e32 v1, v1
	s_delay_alu instid0(VALU_DEP_2) | instskip(NEXT) | instid1(VALU_DEP_2)
	v_cvt_u32_f32_e32 v0, v4
	v_xor_b32_e32 v1, v1, v5
	s_delay_alu instid0(VALU_DEP_2) | instskip(NEXT) | instid1(VALU_DEP_1)
	v_xor_b32_e32 v0, v0, v5
	v_sub_co_u32 v0, vcc_lo, v0, v5
	s_delay_alu instid0(VALU_DEP_3)
	v_sub_co_ci_u32_e32 v1, vcc_lo, v1, v5, vcc_lo
	s_branch .LBB38_28
.LBB38_9:
	s_mov_b32 s0, 0
                                        ; implicit-def: $vgpr0_vgpr1
	s_and_b32 vcc_lo, exec_lo, s1
	s_cbranch_vccnz .LBB38_197
.LBB38_10:
	s_and_not1_b32 vcc_lo, exec_lo, s0
	s_cbranch_vccnz .LBB38_244
.LBB38_11:
	v_mul_lo_u32 v4, v11, s2
	v_and_b32_e32 v6, 0xff, v10
	s_waitcnt vmcnt(0)
	s_delay_alu instid0(VALU_DEP_3) | instskip(NEXT) | instid1(VALU_DEP_4)
	v_not_b32_e32 v3, v1
	v_not_b32_e32 v2, v0
	s_delay_alu instid0(VALU_DEP_3) | instskip(SKIP_2) | instid1(VALU_DEP_1)
	v_cmp_gt_i16_e32 vcc_lo, 11, v6
	v_ashrrev_i32_e32 v5, 31, v4
	v_add_co_u32 v4, s0, s4, v4
	v_add_co_ci_u32_e64 v5, s0, s5, v5, s0
	s_cbranch_vccnz .LBB38_19
; %bb.12:
	v_cmp_lt_i16_e32 vcc_lo, 25, v6
	s_cbranch_vccz .LBB38_22
; %bb.13:
	v_cmp_lt_i16_e32 vcc_lo, 28, v6
	s_cbranch_vccz .LBB38_24
	;; [unrolled: 3-line block ×4, first 2 shown]
; %bb.16:
	v_cmp_eq_u16_e32 vcc_lo, 46, v6
	s_mov_b32 s10, 0
	s_mov_b32 s0, -1
	s_mov_b32 s1, 0
	s_cbranch_vccz .LBB38_32
; %bb.17:
	v_xor_b32_e32 v7, v2, v3
	v_cls_i32_e32 v8, v3
	s_mov_b32 s1, -1
	s_mov_b32 s0, 0
	s_delay_alu instid0(VALU_DEP_2) | instskip(NEXT) | instid1(VALU_DEP_2)
	v_ashrrev_i32_e32 v7, 31, v7
	v_add_nc_u32_e32 v8, -1, v8
	s_delay_alu instid0(VALU_DEP_2) | instskip(NEXT) | instid1(VALU_DEP_1)
	v_add_nc_u32_e32 v7, 32, v7
	v_min_u32_e32 v9, v8, v7
	s_delay_alu instid0(VALU_DEP_1) | instskip(NEXT) | instid1(VALU_DEP_1)
	v_lshlrev_b64 v[7:8], v9, v[2:3]
	v_min_u32_e32 v7, 1, v7
	s_delay_alu instid0(VALU_DEP_1) | instskip(SKIP_1) | instid1(VALU_DEP_2)
	v_or_b32_e32 v7, v8, v7
	v_sub_nc_u32_e32 v8, 32, v9
	v_cvt_f32_i32_e32 v7, v7
	s_delay_alu instid0(VALU_DEP_1) | instskip(NEXT) | instid1(VALU_DEP_1)
	v_ldexp_f32 v7, v7, v8
	v_bfe_u32 v8, v7, 16, 1
	s_delay_alu instid0(VALU_DEP_1) | instskip(NEXT) | instid1(VALU_DEP_1)
	v_add3_u32 v7, v7, v8, 0x7fff
	v_lshrrev_b32_e32 v7, 16, v7
	global_store_b32 v[4:5], v7, off
	s_branch .LBB38_32
.LBB38_18:
	s_mov_b32 s0, 0
                                        ; implicit-def: $vgpr0_vgpr1
	s_and_b32 vcc_lo, exec_lo, s1
	s_cbranch_vccnz .LBB38_166
	s_branch .LBB38_196
.LBB38_19:
	s_mov_b32 s0, 0
	s_mov_b32 s1, 0
	s_cbranch_execnz .LBB38_101
.LBB38_20:
	s_and_not1_b32 vcc_lo, exec_lo, s1
	s_cbranch_vccnz .LBB38_245
	s_branch .LBB38_139
.LBB38_21:
	s_mov_b32 s0, 0
                                        ; implicit-def: $vgpr0_vgpr1
	s_branch .LBB38_147
.LBB38_22:
	s_mov_b32 s10, -1
	s_mov_b32 s0, 0
	s_mov_b32 s1, 0
	s_branch .LBB38_59
.LBB38_23:
	s_mov_b32 s0, 0
                                        ; implicit-def: $vgpr0_vgpr1
	s_branch .LBB38_142
.LBB38_24:
	s_mov_b32 s10, -1
	s_mov_b32 s0, 0
	s_mov_b32 s1, 0
	s_branch .LBB38_42
.LBB38_25:
	s_mov_b32 s10, -1
	s_mov_b32 s0, 0
	s_mov_b32 s1, 0
	s_branch .LBB38_38
.LBB38_26:
	s_mov_b32 s12, -1
.LBB38_27:
	s_mov_b32 s0, 0
                                        ; implicit-def: $vgpr0_vgpr1
.LBB38_28:
	s_and_b32 vcc_lo, exec_lo, s1
	s_cbranch_vccz .LBB38_141
; %bb.29:
	v_cmp_eq_u16_e32 vcc_lo, 44, v12
	s_cbranch_vccz .LBB38_140
; %bb.30:
	global_load_u8 v0, v[2:3], off
	s_mov_b32 s12, 0
	s_mov_b32 s0, -1
	s_waitcnt vmcnt(0)
	v_lshlrev_b32_e32 v1, 23, v0
	s_delay_alu instid0(VALU_DEP_1) | instskip(NEXT) | instid1(VALU_DEP_1)
	v_trunc_f32_e32 v1, v1
	v_mul_f32_e64 v4, 0x2f800000, |v1|
	s_delay_alu instid0(VALU_DEP_1) | instskip(NEXT) | instid1(VALU_DEP_1)
	v_floor_f32_e32 v4, v4
	v_fma_f32 v5, 0xcf800000, v4, |v1|
	v_ashrrev_i32_e32 v1, 31, v1
	v_cvt_u32_f32_e32 v4, v4
	s_delay_alu instid0(VALU_DEP_3) | instskip(NEXT) | instid1(VALU_DEP_2)
	v_cvt_u32_f32_e32 v5, v5
	v_xor_b32_e32 v4, v4, v1
	s_delay_alu instid0(VALU_DEP_2) | instskip(NEXT) | instid1(VALU_DEP_1)
	v_xor_b32_e32 v5, v5, v1
	v_sub_co_u32 v5, vcc_lo, v5, v1
	s_delay_alu instid0(VALU_DEP_3) | instskip(SKIP_1) | instid1(VALU_DEP_3)
	v_sub_co_ci_u32_e32 v1, vcc_lo, v4, v1, vcc_lo
	v_cmp_ne_u32_e32 vcc_lo, 0, v0
	v_cndmask_b32_e32 v0, 0, v5, vcc_lo
	s_delay_alu instid0(VALU_DEP_3)
	v_cndmask_b32_e32 v1, 0, v1, vcc_lo
	s_branch .LBB38_141
.LBB38_31:
	s_mov_b32 s10, -1
	s_mov_b32 s0, 0
	s_mov_b32 s1, 0
.LBB38_32:
	s_and_b32 vcc_lo, exec_lo, s10
	s_cbranch_vccz .LBB38_37
; %bb.33:
	v_cmp_eq_u16_e32 vcc_lo, 44, v6
	s_mov_b32 s0, -1
	s_cbranch_vccz .LBB38_37
; %bb.34:
	v_xor_b32_e32 v7, v2, v3
	v_cls_i32_e32 v8, v3
	s_mov_b32 s1, -1
	s_mov_b32 s10, exec_lo
	s_delay_alu instid0(VALU_DEP_2) | instskip(NEXT) | instid1(VALU_DEP_2)
	v_ashrrev_i32_e32 v7, 31, v7
	v_add_nc_u32_e32 v8, -1, v8
	s_delay_alu instid0(VALU_DEP_2) | instskip(NEXT) | instid1(VALU_DEP_1)
	v_add_nc_u32_e32 v7, 32, v7
	v_min_u32_e32 v9, v8, v7
	s_delay_alu instid0(VALU_DEP_1) | instskip(NEXT) | instid1(VALU_DEP_1)
	v_lshlrev_b64 v[7:8], v9, v[2:3]
	v_min_u32_e32 v7, 1, v7
	s_delay_alu instid0(VALU_DEP_1) | instskip(SKIP_1) | instid1(VALU_DEP_2)
	v_or_b32_e32 v7, v8, v7
	v_sub_nc_u32_e32 v8, 32, v9
	v_cvt_f32_i32_e32 v7, v7
	s_delay_alu instid0(VALU_DEP_1) | instskip(SKIP_1) | instid1(VALU_DEP_2)
	v_ldexp_f32 v7, v7, v8
	v_mov_b32_e32 v8, 0xff
	v_bfe_u32 v9, v7, 23, 8
	s_delay_alu instid0(VALU_DEP_1)
	v_cmpx_ne_u32_e32 0xff, v9
; %bb.35:
	v_and_b32_e32 v8, 0x400000, v7
	v_and_or_b32 v9, 0x3fffff, v7, v9
	v_lshrrev_b32_e32 v7, 23, v7
	s_delay_alu instid0(VALU_DEP_3) | instskip(NEXT) | instid1(VALU_DEP_3)
	v_cmp_ne_u32_e32 vcc_lo, 0, v8
	v_cmp_ne_u32_e64 s0, 0, v9
	s_delay_alu instid0(VALU_DEP_1) | instskip(NEXT) | instid1(SALU_CYCLE_1)
	s_and_b32 s0, vcc_lo, s0
	v_cndmask_b32_e64 v8, 0, 1, s0
	s_delay_alu instid0(VALU_DEP_1)
	v_add_nc_u32_e32 v8, v7, v8
; %bb.36:
	s_or_b32 exec_lo, exec_lo, s10
	s_mov_b32 s0, 0
	global_store_b8 v[4:5], v8, off
.LBB38_37:
	s_mov_b32 s10, 0
.LBB38_38:
	s_delay_alu instid0(SALU_CYCLE_1)
	s_and_b32 vcc_lo, exec_lo, s10
	s_cbranch_vccz .LBB38_41
; %bb.39:
	v_cmp_eq_u16_e32 vcc_lo, 29, v6
	s_mov_b32 s0, -1
	s_cbranch_vccz .LBB38_41
; %bb.40:
	s_mov_b32 s1, -1
	s_mov_b32 s0, 0
	global_store_b64 v[4:5], v[2:3], off
.LBB38_41:
	s_mov_b32 s10, 0
.LBB38_42:
	s_delay_alu instid0(SALU_CYCLE_1)
	s_and_b32 vcc_lo, exec_lo, s10
	s_cbranch_vccz .LBB38_58
; %bb.43:
	v_cmp_gt_i16_e32 vcc_lo, 27, v6
	s_mov_b32 s1, -1
	s_cbranch_vccnz .LBB38_49
; %bb.44:
	v_cmp_lt_i16_e32 vcc_lo, 27, v6
	s_cbranch_vccz .LBB38_46
; %bb.45:
	s_mov_b32 s1, 0
	global_store_b32 v[4:5], v2, off
.LBB38_46:
	s_and_not1_b32 vcc_lo, exec_lo, s1
	s_cbranch_vccnz .LBB38_48
; %bb.47:
	global_store_b16 v[4:5], v2, off
.LBB38_48:
	s_mov_b32 s1, 0
.LBB38_49:
	s_delay_alu instid0(SALU_CYCLE_1)
	s_and_not1_b32 vcc_lo, exec_lo, s1
	s_cbranch_vccnz .LBB38_57
; %bb.50:
	v_xor_b32_e32 v7, v2, v3
	v_cls_i32_e32 v8, v3
	s_mov_b32 s1, exec_lo
	s_delay_alu instid0(VALU_DEP_2) | instskip(NEXT) | instid1(VALU_DEP_2)
	v_ashrrev_i32_e32 v7, 31, v7
	v_add_nc_u32_e32 v8, -1, v8
	s_delay_alu instid0(VALU_DEP_2) | instskip(NEXT) | instid1(VALU_DEP_1)
	v_add_nc_u32_e32 v7, 32, v7
	v_min_u32_e32 v9, v8, v7
	s_delay_alu instid0(VALU_DEP_1) | instskip(NEXT) | instid1(VALU_DEP_1)
	v_lshlrev_b64 v[7:8], v9, v[2:3]
	v_min_u32_e32 v7, 1, v7
	s_delay_alu instid0(VALU_DEP_1) | instskip(SKIP_2) | instid1(VALU_DEP_3)
	v_or_b32_e32 v7, v8, v7
	v_sub_nc_u32_e32 v8, 32, v9
	v_mov_b32_e32 v9, 0x80
	v_cvt_f32_i32_e32 v7, v7
	s_delay_alu instid0(VALU_DEP_1) | instskip(NEXT) | instid1(VALU_DEP_1)
	v_ldexp_f32 v7, v7, v8
	v_and_b32_e32 v8, 0x7fffffff, v7
	s_delay_alu instid0(VALU_DEP_1)
	v_cmpx_gt_u32_e32 0x43800000, v8
	s_cbranch_execz .LBB38_56
; %bb.51:
	v_cmp_lt_u32_e32 vcc_lo, 0x3bffffff, v8
	s_mov_b32 s10, 0
                                        ; implicit-def: $vgpr8
	s_and_saveexec_b32 s15, vcc_lo
	s_delay_alu instid0(SALU_CYCLE_1)
	s_xor_b32 s15, exec_lo, s15
	s_cbranch_execz .LBB38_271
; %bb.52:
	v_bfe_u32 v8, v7, 20, 1
	s_mov_b32 s10, exec_lo
	s_delay_alu instid0(VALU_DEP_1) | instskip(NEXT) | instid1(VALU_DEP_1)
	v_add3_u32 v8, v7, v8, 0x487ffff
	v_lshrrev_b32_e32 v8, 20, v8
	s_or_saveexec_b32 s15, s15
                                        ; implicit-def: $sgpr16
	s_delay_alu instid0(SALU_CYCLE_1)
	s_xor_b32 exec_lo, exec_lo, s15
	s_cbranch_execnz .LBB38_272
.LBB38_53:
	s_or_b32 exec_lo, exec_lo, s15
	v_mov_b32_e32 v9, s16
	s_and_saveexec_b32 s15, s10
.LBB38_54:
	v_lshrrev_b32_e32 v7, 24, v7
	s_delay_alu instid0(VALU_DEP_1)
	v_and_or_b32 v9, 0x80, v7, v8
.LBB38_55:
	s_or_b32 exec_lo, exec_lo, s15
.LBB38_56:
	s_delay_alu instid0(SALU_CYCLE_1)
	s_or_b32 exec_lo, exec_lo, s1
	global_store_b8 v[4:5], v9, off
.LBB38_57:
	s_mov_b32 s1, -1
.LBB38_58:
	s_mov_b32 s10, 0
.LBB38_59:
	s_delay_alu instid0(SALU_CYCLE_1)
	s_and_b32 vcc_lo, exec_lo, s10
	s_cbranch_vccz .LBB38_100
; %bb.60:
	v_cmp_lt_i16_e32 vcc_lo, 22, v6
	s_mov_b32 s10, -1
	s_cbranch_vccz .LBB38_92
; %bb.61:
	v_cmp_gt_i16_e32 vcc_lo, 24, v6
	s_mov_b32 s1, -1
	s_cbranch_vccnz .LBB38_81
; %bb.62:
	v_cmp_lt_i16_e32 vcc_lo, 24, v6
	s_cbranch_vccz .LBB38_70
; %bb.63:
	v_xor_b32_e32 v7, v2, v3
	v_cls_i32_e32 v8, v3
	s_mov_b32 s1, exec_lo
	s_delay_alu instid0(VALU_DEP_2) | instskip(NEXT) | instid1(VALU_DEP_2)
	v_ashrrev_i32_e32 v7, 31, v7
	v_add_nc_u32_e32 v8, -1, v8
	s_delay_alu instid0(VALU_DEP_2) | instskip(NEXT) | instid1(VALU_DEP_1)
	v_add_nc_u32_e32 v7, 32, v7
	v_min_u32_e32 v9, v8, v7
	s_delay_alu instid0(VALU_DEP_1) | instskip(NEXT) | instid1(VALU_DEP_1)
	v_lshlrev_b64 v[7:8], v9, v[2:3]
	v_min_u32_e32 v7, 1, v7
	s_delay_alu instid0(VALU_DEP_1) | instskip(SKIP_2) | instid1(VALU_DEP_3)
	v_or_b32_e32 v7, v8, v7
	v_sub_nc_u32_e32 v8, 32, v9
	v_mov_b32_e32 v9, 0x80
	v_cvt_f32_i32_e32 v7, v7
	s_delay_alu instid0(VALU_DEP_1) | instskip(NEXT) | instid1(VALU_DEP_1)
	v_ldexp_f32 v7, v7, v8
	v_and_b32_e32 v8, 0x7fffffff, v7
	s_delay_alu instid0(VALU_DEP_1)
	v_cmpx_gt_u32_e32 0x47800000, v8
	s_cbranch_execz .LBB38_69
; %bb.64:
	v_cmp_lt_u32_e32 vcc_lo, 0x37ffffff, v8
	s_mov_b32 s10, 0
                                        ; implicit-def: $vgpr8
	s_and_saveexec_b32 s15, vcc_lo
	s_delay_alu instid0(SALU_CYCLE_1)
	s_xor_b32 s15, exec_lo, s15
	s_cbranch_execz .LBB38_275
; %bb.65:
	v_bfe_u32 v8, v7, 21, 1
	s_mov_b32 s10, exec_lo
	s_delay_alu instid0(VALU_DEP_1) | instskip(NEXT) | instid1(VALU_DEP_1)
	v_add3_u32 v8, v7, v8, 0x88fffff
	v_lshrrev_b32_e32 v8, 21, v8
	s_or_saveexec_b32 s15, s15
                                        ; implicit-def: $sgpr16
	s_delay_alu instid0(SALU_CYCLE_1)
	s_xor_b32 exec_lo, exec_lo, s15
	s_cbranch_execnz .LBB38_276
.LBB38_66:
	s_or_b32 exec_lo, exec_lo, s15
	v_mov_b32_e32 v9, s16
	s_and_saveexec_b32 s15, s10
.LBB38_67:
	v_lshrrev_b32_e32 v7, 24, v7
	s_delay_alu instid0(VALU_DEP_1)
	v_and_or_b32 v9, 0x80, v7, v8
.LBB38_68:
	s_or_b32 exec_lo, exec_lo, s15
.LBB38_69:
	s_delay_alu instid0(SALU_CYCLE_1)
	s_or_b32 exec_lo, exec_lo, s1
	s_mov_b32 s1, 0
	global_store_b8 v[4:5], v9, off
.LBB38_70:
	s_and_b32 vcc_lo, exec_lo, s1
	s_cbranch_vccz .LBB38_80
; %bb.71:
	v_xor_b32_e32 v7, v2, v3
	v_cls_i32_e32 v8, v3
	s_mov_b32 s1, exec_lo
	s_delay_alu instid0(VALU_DEP_2) | instskip(NEXT) | instid1(VALU_DEP_2)
	v_ashrrev_i32_e32 v7, 31, v7
	v_add_nc_u32_e32 v8, -1, v8
	s_delay_alu instid0(VALU_DEP_2) | instskip(NEXT) | instid1(VALU_DEP_1)
	v_add_nc_u32_e32 v7, 32, v7
	v_min_u32_e32 v9, v8, v7
	s_delay_alu instid0(VALU_DEP_1) | instskip(NEXT) | instid1(VALU_DEP_1)
	v_lshlrev_b64 v[7:8], v9, v[2:3]
	v_min_u32_e32 v7, 1, v7
	s_delay_alu instid0(VALU_DEP_1) | instskip(SKIP_1) | instid1(VALU_DEP_2)
	v_or_b32_e32 v7, v8, v7
	v_sub_nc_u32_e32 v8, 32, v9
	v_cvt_f32_i32_e32 v7, v7
	s_delay_alu instid0(VALU_DEP_1) | instskip(NEXT) | instid1(VALU_DEP_1)
	v_ldexp_f32 v7, v7, v8
                                        ; implicit-def: $vgpr8
	v_and_b32_e32 v9, 0x7fffffff, v7
	s_delay_alu instid0(VALU_DEP_1)
	v_cmpx_gt_u32_e32 0x43f00000, v9
	s_xor_b32 s1, exec_lo, s1
	s_cbranch_execz .LBB38_77
; %bb.72:
	s_mov_b32 s10, exec_lo
                                        ; implicit-def: $vgpr8
	v_cmpx_lt_u32_e32 0x3c7fffff, v9
	s_xor_b32 s10, exec_lo, s10
; %bb.73:
	v_bfe_u32 v8, v7, 20, 1
	s_delay_alu instid0(VALU_DEP_1) | instskip(NEXT) | instid1(VALU_DEP_1)
	v_add3_u32 v8, v7, v8, 0x407ffff
	v_and_b32_e32 v9, 0xff00000, v8
	v_lshrrev_b32_e32 v8, 20, v8
	s_delay_alu instid0(VALU_DEP_2) | instskip(NEXT) | instid1(VALU_DEP_2)
	v_cmp_ne_u32_e32 vcc_lo, 0x7f00000, v9
	v_cndmask_b32_e32 v8, 0x7e, v8, vcc_lo
; %bb.74:
	s_and_not1_saveexec_b32 s10, s10
; %bb.75:
	v_add_f32_e64 v8, 0x46800000, |v7|
; %bb.76:
	s_or_b32 exec_lo, exec_lo, s10
                                        ; implicit-def: $vgpr9
.LBB38_77:
	s_and_not1_saveexec_b32 s1, s1
; %bb.78:
	v_mov_b32_e32 v8, 0x7f
	v_cmp_lt_u32_e32 vcc_lo, 0x7f800000, v9
	s_delay_alu instid0(VALU_DEP_2)
	v_cndmask_b32_e32 v8, 0x7e, v8, vcc_lo
; %bb.79:
	s_or_b32 exec_lo, exec_lo, s1
	v_lshrrev_b32_e32 v7, 24, v7
	s_delay_alu instid0(VALU_DEP_1)
	v_and_or_b32 v7, 0x80, v7, v8
	global_store_b8 v[4:5], v7, off
.LBB38_80:
	s_mov_b32 s1, 0
.LBB38_81:
	s_delay_alu instid0(SALU_CYCLE_1)
	s_and_not1_b32 vcc_lo, exec_lo, s1
	s_cbranch_vccnz .LBB38_91
; %bb.82:
	v_xor_b32_e32 v7, v2, v3
	v_cls_i32_e32 v8, v3
	s_mov_b32 s1, exec_lo
	s_delay_alu instid0(VALU_DEP_2) | instskip(NEXT) | instid1(VALU_DEP_2)
	v_ashrrev_i32_e32 v7, 31, v7
	v_add_nc_u32_e32 v8, -1, v8
	s_delay_alu instid0(VALU_DEP_2) | instskip(NEXT) | instid1(VALU_DEP_1)
	v_add_nc_u32_e32 v7, 32, v7
	v_min_u32_e32 v9, v8, v7
	s_delay_alu instid0(VALU_DEP_1) | instskip(NEXT) | instid1(VALU_DEP_1)
	v_lshlrev_b64 v[7:8], v9, v[2:3]
	v_min_u32_e32 v7, 1, v7
	s_delay_alu instid0(VALU_DEP_1) | instskip(SKIP_1) | instid1(VALU_DEP_2)
	v_or_b32_e32 v7, v8, v7
	v_sub_nc_u32_e32 v8, 32, v9
	v_cvt_f32_i32_e32 v7, v7
	s_delay_alu instid0(VALU_DEP_1) | instskip(NEXT) | instid1(VALU_DEP_1)
	v_ldexp_f32 v7, v7, v8
                                        ; implicit-def: $vgpr8
	v_and_b32_e32 v9, 0x7fffffff, v7
	s_delay_alu instid0(VALU_DEP_1)
	v_cmpx_gt_u32_e32 0x47800000, v9
	s_xor_b32 s1, exec_lo, s1
	s_cbranch_execz .LBB38_88
; %bb.83:
	s_mov_b32 s10, exec_lo
                                        ; implicit-def: $vgpr8
	v_cmpx_lt_u32_e32 0x387fffff, v9
	s_xor_b32 s10, exec_lo, s10
; %bb.84:
	v_bfe_u32 v8, v7, 21, 1
	s_delay_alu instid0(VALU_DEP_1) | instskip(NEXT) | instid1(VALU_DEP_1)
	v_add3_u32 v8, v7, v8, 0x80fffff
	v_lshrrev_b32_e32 v8, 21, v8
; %bb.85:
	s_and_not1_saveexec_b32 s10, s10
; %bb.86:
	v_add_f32_e64 v8, 0x43000000, |v7|
; %bb.87:
	s_or_b32 exec_lo, exec_lo, s10
                                        ; implicit-def: $vgpr9
.LBB38_88:
	s_and_not1_saveexec_b32 s1, s1
; %bb.89:
	v_mov_b32_e32 v8, 0x7f
	v_cmp_lt_u32_e32 vcc_lo, 0x7f800000, v9
	s_delay_alu instid0(VALU_DEP_2)
	v_cndmask_b32_e32 v8, 0x7c, v8, vcc_lo
; %bb.90:
	s_or_b32 exec_lo, exec_lo, s1
	v_lshrrev_b32_e32 v7, 24, v7
	s_delay_alu instid0(VALU_DEP_1)
	v_and_or_b32 v7, 0x80, v7, v8
	global_store_b8 v[4:5], v7, off
.LBB38_91:
	s_mov_b32 s10, 0
	s_mov_b32 s1, -1
.LBB38_92:
	s_and_not1_b32 vcc_lo, exec_lo, s10
	s_cbranch_vccnz .LBB38_100
; %bb.93:
	v_cmp_lt_i16_e32 vcc_lo, 14, v6
	s_mov_b32 s10, -1
	s_cbranch_vccz .LBB38_97
; %bb.94:
	v_cmp_eq_u16_e32 vcc_lo, 15, v6
	s_mov_b32 s0, -1
	s_cbranch_vccz .LBB38_96
; %bb.95:
	v_xor_b32_e32 v7, v2, v3
	v_cls_i32_e32 v8, v3
	s_mov_b32 s1, -1
	s_mov_b32 s0, 0
	s_delay_alu instid0(VALU_DEP_2) | instskip(NEXT) | instid1(VALU_DEP_2)
	v_ashrrev_i32_e32 v7, 31, v7
	v_add_nc_u32_e32 v8, -1, v8
	s_delay_alu instid0(VALU_DEP_2) | instskip(NEXT) | instid1(VALU_DEP_1)
	v_add_nc_u32_e32 v7, 32, v7
	v_min_u32_e32 v9, v8, v7
	s_delay_alu instid0(VALU_DEP_1) | instskip(NEXT) | instid1(VALU_DEP_1)
	v_lshlrev_b64 v[7:8], v9, v[2:3]
	v_min_u32_e32 v7, 1, v7
	s_delay_alu instid0(VALU_DEP_1) | instskip(SKIP_1) | instid1(VALU_DEP_2)
	v_or_b32_e32 v7, v8, v7
	v_sub_nc_u32_e32 v8, 32, v9
	v_cvt_f32_i32_e32 v7, v7
	s_delay_alu instid0(VALU_DEP_1) | instskip(NEXT) | instid1(VALU_DEP_1)
	v_ldexp_f32 v7, v7, v8
	v_bfe_u32 v8, v7, 16, 1
	s_delay_alu instid0(VALU_DEP_1)
	v_add3_u32 v7, v7, v8, 0x7fff
	global_store_d16_hi_b16 v[4:5], v7, off
.LBB38_96:
	s_mov_b32 s10, 0
.LBB38_97:
	s_delay_alu instid0(SALU_CYCLE_1)
	s_and_b32 vcc_lo, exec_lo, s10
	s_cbranch_vccz .LBB38_100
; %bb.98:
	v_cmp_eq_u16_e32 vcc_lo, 11, v6
	s_mov_b32 s0, -1
	s_cbranch_vccz .LBB38_100
; %bb.99:
	v_cmp_ne_u64_e32 vcc_lo, -1, v[0:1]
	s_mov_b32 s1, -1
	s_mov_b32 s0, 0
	v_cndmask_b32_e64 v0, 0, 1, vcc_lo
	global_store_b8 v[4:5], v0, off
.LBB38_100:
	s_branch .LBB38_20
.LBB38_101:
	v_cmp_gt_i16_e32 vcc_lo, 5, v6
	s_mov_b32 s1, -1
	s_cbranch_vccnz .LBB38_122
; %bb.102:
	v_cmp_gt_i16_e32 vcc_lo, 8, v6
	s_cbranch_vccnz .LBB38_112
; %bb.103:
	v_cmp_gt_i16_e32 vcc_lo, 9, v6
	s_cbranch_vccnz .LBB38_109
; %bb.104:
	v_cmp_lt_i16_e32 vcc_lo, 9, v6
	s_cbranch_vccz .LBB38_106
; %bb.105:
	v_cvt_f64_i32_e32 v[0:1], v3
	v_cvt_f64_u32_e32 v[7:8], v2
	v_mov_b32_e32 v15, 0
	s_mov_b32 s1, 0
	s_delay_alu instid0(VALU_DEP_1) | instskip(NEXT) | instid1(VALU_DEP_4)
	v_mov_b32_e32 v16, v15
	v_ldexp_f64 v[0:1], v[0:1], 32
	s_delay_alu instid0(VALU_DEP_1)
	v_add_f64 v[13:14], v[0:1], v[7:8]
	global_store_b128 v[4:5], v[13:16], off
.LBB38_106:
	s_and_not1_b32 vcc_lo, exec_lo, s1
	s_cbranch_vccnz .LBB38_108
; %bb.107:
	v_xor_b32_e32 v0, v2, v3
	v_cls_i32_e32 v1, v3
	s_delay_alu instid0(VALU_DEP_2) | instskip(NEXT) | instid1(VALU_DEP_2)
	v_ashrrev_i32_e32 v0, 31, v0
	v_add_nc_u32_e32 v1, -1, v1
	s_delay_alu instid0(VALU_DEP_2) | instskip(NEXT) | instid1(VALU_DEP_1)
	v_add_nc_u32_e32 v0, 32, v0
	v_min_u32_e32 v7, v1, v0
	s_delay_alu instid0(VALU_DEP_1) | instskip(NEXT) | instid1(VALU_DEP_1)
	v_lshlrev_b64 v[0:1], v7, v[2:3]
	v_min_u32_e32 v0, 1, v0
	s_delay_alu instid0(VALU_DEP_1) | instskip(SKIP_1) | instid1(VALU_DEP_2)
	v_or_b32_e32 v0, v1, v0
	v_sub_nc_u32_e32 v1, 32, v7
	v_cvt_f32_i32_e32 v0, v0
	s_delay_alu instid0(VALU_DEP_1)
	v_ldexp_f32 v0, v0, v1
	v_mov_b32_e32 v1, 0
	global_store_b64 v[4:5], v[0:1], off
.LBB38_108:
	s_mov_b32 s1, 0
.LBB38_109:
	s_delay_alu instid0(SALU_CYCLE_1)
	s_and_not1_b32 vcc_lo, exec_lo, s1
	s_cbranch_vccnz .LBB38_111
; %bb.110:
	v_xor_b32_e32 v0, v2, v3
	v_cls_i32_e32 v1, v3
	s_delay_alu instid0(VALU_DEP_2) | instskip(NEXT) | instid1(VALU_DEP_2)
	v_ashrrev_i32_e32 v0, 31, v0
	v_add_nc_u32_e32 v1, -1, v1
	s_delay_alu instid0(VALU_DEP_2) | instskip(NEXT) | instid1(VALU_DEP_1)
	v_add_nc_u32_e32 v0, 32, v0
	v_min_u32_e32 v7, v1, v0
	s_delay_alu instid0(VALU_DEP_1) | instskip(NEXT) | instid1(VALU_DEP_1)
	v_lshlrev_b64 v[0:1], v7, v[2:3]
	v_min_u32_e32 v0, 1, v0
	s_delay_alu instid0(VALU_DEP_1) | instskip(SKIP_1) | instid1(VALU_DEP_2)
	v_or_b32_e32 v0, v1, v0
	v_sub_nc_u32_e32 v1, 32, v7
	v_cvt_f32_i32_e32 v0, v0
	s_delay_alu instid0(VALU_DEP_1) | instskip(NEXT) | instid1(VALU_DEP_1)
	v_ldexp_f32 v0, v0, v1
	v_cvt_f16_f32_e32 v0, v0
	s_delay_alu instid0(VALU_DEP_1)
	v_and_b32_e32 v0, 0xffff, v0
	global_store_b32 v[4:5], v0, off
.LBB38_111:
	s_mov_b32 s1, 0
.LBB38_112:
	s_delay_alu instid0(SALU_CYCLE_1)
	s_and_not1_b32 vcc_lo, exec_lo, s1
	s_cbranch_vccnz .LBB38_121
; %bb.113:
	v_cmp_gt_i16_e32 vcc_lo, 6, v6
	s_mov_b32 s1, -1
	s_cbranch_vccnz .LBB38_119
; %bb.114:
	v_cmp_lt_i16_e32 vcc_lo, 6, v6
	s_cbranch_vccz .LBB38_116
; %bb.115:
	v_cvt_f64_i32_e32 v[0:1], v3
	v_cvt_f64_u32_e32 v[7:8], v2
	s_mov_b32 s1, 0
	s_delay_alu instid0(VALU_DEP_2) | instskip(NEXT) | instid1(VALU_DEP_1)
	v_ldexp_f64 v[0:1], v[0:1], 32
	v_add_f64 v[0:1], v[0:1], v[7:8]
	global_store_b64 v[4:5], v[0:1], off
.LBB38_116:
	s_and_not1_b32 vcc_lo, exec_lo, s1
	s_cbranch_vccnz .LBB38_118
; %bb.117:
	v_xor_b32_e32 v0, v2, v3
	v_cls_i32_e32 v1, v3
	s_delay_alu instid0(VALU_DEP_2) | instskip(NEXT) | instid1(VALU_DEP_2)
	v_ashrrev_i32_e32 v0, 31, v0
	v_add_nc_u32_e32 v1, -1, v1
	s_delay_alu instid0(VALU_DEP_2) | instskip(NEXT) | instid1(VALU_DEP_1)
	v_add_nc_u32_e32 v0, 32, v0
	v_min_u32_e32 v7, v1, v0
	s_delay_alu instid0(VALU_DEP_1) | instskip(NEXT) | instid1(VALU_DEP_1)
	v_lshlrev_b64 v[0:1], v7, v[2:3]
	v_min_u32_e32 v0, 1, v0
	s_delay_alu instid0(VALU_DEP_1) | instskip(SKIP_1) | instid1(VALU_DEP_2)
	v_or_b32_e32 v0, v1, v0
	v_sub_nc_u32_e32 v1, 32, v7
	v_cvt_f32_i32_e32 v0, v0
	s_delay_alu instid0(VALU_DEP_1)
	v_ldexp_f32 v0, v0, v1
	global_store_b32 v[4:5], v0, off
.LBB38_118:
	s_mov_b32 s1, 0
.LBB38_119:
	s_delay_alu instid0(SALU_CYCLE_1)
	s_and_not1_b32 vcc_lo, exec_lo, s1
	s_cbranch_vccnz .LBB38_121
; %bb.120:
	v_xor_b32_e32 v0, v2, v3
	v_cls_i32_e32 v1, v3
	s_delay_alu instid0(VALU_DEP_2) | instskip(NEXT) | instid1(VALU_DEP_2)
	v_ashrrev_i32_e32 v0, 31, v0
	v_add_nc_u32_e32 v1, -1, v1
	s_delay_alu instid0(VALU_DEP_2) | instskip(NEXT) | instid1(VALU_DEP_1)
	v_add_nc_u32_e32 v0, 32, v0
	v_min_u32_e32 v7, v1, v0
	s_delay_alu instid0(VALU_DEP_1) | instskip(NEXT) | instid1(VALU_DEP_1)
	v_lshlrev_b64 v[0:1], v7, v[2:3]
	v_min_u32_e32 v0, 1, v0
	s_delay_alu instid0(VALU_DEP_1) | instskip(SKIP_1) | instid1(VALU_DEP_2)
	v_or_b32_e32 v0, v1, v0
	v_sub_nc_u32_e32 v1, 32, v7
	v_cvt_f32_i32_e32 v0, v0
	s_delay_alu instid0(VALU_DEP_1) | instskip(NEXT) | instid1(VALU_DEP_1)
	v_ldexp_f32 v0, v0, v1
	v_cvt_f16_f32_e32 v0, v0
	global_store_b16 v[4:5], v0, off
.LBB38_121:
	s_mov_b32 s1, 0
.LBB38_122:
	s_delay_alu instid0(SALU_CYCLE_1)
	s_and_not1_b32 vcc_lo, exec_lo, s1
	s_cbranch_vccnz .LBB38_138
; %bb.123:
	v_cmp_gt_i16_e32 vcc_lo, 2, v6
	s_mov_b32 s1, -1
	s_cbranch_vccnz .LBB38_133
; %bb.124:
	v_cmp_gt_i16_e32 vcc_lo, 3, v6
	s_cbranch_vccnz .LBB38_130
; %bb.125:
	v_cmp_lt_i16_e32 vcc_lo, 3, v6
	s_cbranch_vccz .LBB38_127
; %bb.126:
	s_mov_b32 s1, 0
	global_store_b64 v[4:5], v[2:3], off
.LBB38_127:
	s_and_not1_b32 vcc_lo, exec_lo, s1
	s_cbranch_vccnz .LBB38_129
; %bb.128:
	global_store_b32 v[4:5], v2, off
.LBB38_129:
	s_mov_b32 s1, 0
.LBB38_130:
	s_delay_alu instid0(SALU_CYCLE_1)
	s_and_not1_b32 vcc_lo, exec_lo, s1
	s_cbranch_vccnz .LBB38_132
; %bb.131:
	global_store_b16 v[4:5], v2, off
.LBB38_132:
	s_mov_b32 s1, 0
.LBB38_133:
	s_delay_alu instid0(SALU_CYCLE_1)
	s_and_not1_b32 vcc_lo, exec_lo, s1
	s_cbranch_vccnz .LBB38_138
; %bb.134:
	v_cmp_lt_i16_e32 vcc_lo, 0, v6
	s_mov_b32 s1, -1
	s_cbranch_vccz .LBB38_136
; %bb.135:
	s_mov_b32 s1, 0
	global_store_b8 v[4:5], v2, off
.LBB38_136:
	s_and_not1_b32 vcc_lo, exec_lo, s1
	s_cbranch_vccnz .LBB38_138
; %bb.137:
	global_store_b8 v[4:5], v2, off
.LBB38_138:
.LBB38_139:
	v_add_nc_u32_e32 v11, 0x80, v11
	s_mov_b32 s1, -1
	s_branch .LBB38_246
.LBB38_140:
	s_mov_b32 s12, -1
                                        ; implicit-def: $vgpr0_vgpr1
.LBB38_141:
	s_mov_b32 s1, 0
.LBB38_142:
	s_delay_alu instid0(SALU_CYCLE_1)
	s_and_b32 vcc_lo, exec_lo, s1
	s_cbranch_vccz .LBB38_146
; %bb.143:
	v_cmp_eq_u16_e32 vcc_lo, 29, v12
	s_cbranch_vccz .LBB38_145
; %bb.144:
	global_load_b64 v[0:1], v[2:3], off
	s_mov_b32 s0, -1
	s_mov_b32 s12, 0
	s_branch .LBB38_146
.LBB38_145:
	s_mov_b32 s12, -1
                                        ; implicit-def: $vgpr0_vgpr1
.LBB38_146:
	s_mov_b32 s1, 0
.LBB38_147:
	s_delay_alu instid0(SALU_CYCLE_1)
	s_and_b32 vcc_lo, exec_lo, s1
	s_cbranch_vccz .LBB38_165
; %bb.148:
	v_cmp_gt_i16_e32 vcc_lo, 27, v12
	s_cbranch_vccnz .LBB38_151
; %bb.149:
	v_cmp_lt_i16_e32 vcc_lo, 27, v12
	s_cbranch_vccz .LBB38_152
; %bb.150:
	global_load_b32 v0, v[2:3], off
	s_waitcnt vmcnt(1)
	v_mov_b32_e32 v1, 0
	s_mov_b32 s0, 0
	s_branch .LBB38_153
.LBB38_151:
	s_mov_b32 s0, -1
                                        ; implicit-def: $vgpr0_vgpr1
	s_branch .LBB38_156
.LBB38_152:
	s_mov_b32 s0, -1
                                        ; implicit-def: $vgpr0_vgpr1
.LBB38_153:
	s_delay_alu instid0(SALU_CYCLE_1)
	s_and_not1_b32 vcc_lo, exec_lo, s0
	s_cbranch_vccnz .LBB38_155
; %bb.154:
	global_load_u16 v0, v[2:3], off
	s_mov_b32 s0, 0
	s_waitcnt vmcnt(0)
	v_dual_mov_b32 v1, s0 :: v_dual_and_b32 v0, 0xffff, v0
.LBB38_155:
	s_mov_b32 s0, 0
.LBB38_156:
	s_delay_alu instid0(SALU_CYCLE_1)
	s_and_not1_b32 vcc_lo, exec_lo, s0
	s_cbranch_vccnz .LBB38_164
; %bb.157:
	global_load_u8 v4, v[2:3], off
	s_mov_b32 s15, exec_lo
                                        ; implicit-def: $sgpr0_sgpr1
	s_waitcnt vmcnt(0)
	v_cmpx_lt_i16_e32 0x7f, v4
	s_xor_b32 s15, exec_lo, s15
; %bb.158:
	v_cmp_ne_u16_e32 vcc_lo, 0x80, v4
	s_mov_b64 s[0:1], 0
	s_and_b32 s10, vcc_lo, exec_lo
; %bb.159:
	s_or_saveexec_b32 s15, s15
	v_dual_mov_b32 v0, s0 :: v_dual_mov_b32 v1, s1
	s_xor_b32 exec_lo, exec_lo, s15
; %bb.160:
	v_cmp_ne_u16_e32 vcc_lo, 0, v4
	v_mov_b32_e32 v0, 0
	v_mov_b32_e32 v1, 0
	s_and_not1_b32 s0, s10, exec_lo
	s_and_b32 s1, vcc_lo, exec_lo
	s_delay_alu instid0(SALU_CYCLE_1)
	s_or_b32 s10, s0, s1
; %bb.161:
	s_or_b32 exec_lo, exec_lo, s15
	s_and_saveexec_b32 s0, s10
	s_cbranch_execz .LBB38_163
; %bb.162:
	v_and_b32_e32 v0, 0xffff, v4
	v_lshlrev_b32_e32 v4, 24, v4
	s_delay_alu instid0(VALU_DEP_2) | instskip(NEXT) | instid1(VALU_DEP_2)
	v_and_b32_e32 v1, 7, v0
	v_and_b32_e32 v4, 0x80000000, v4
	s_delay_alu instid0(VALU_DEP_2) | instskip(NEXT) | instid1(VALU_DEP_1)
	v_clz_i32_u32_e32 v5, v1
	v_min_u32_e32 v5, 32, v5
	s_delay_alu instid0(VALU_DEP_1) | instskip(SKIP_1) | instid1(VALU_DEP_2)
	v_subrev_nc_u32_e32 v6, 28, v5
	v_sub_nc_u32_e32 v5, 29, v5
	v_lshlrev_b32_e32 v6, v6, v0
	v_bfe_u32 v0, v0, 3, 4
	s_delay_alu instid0(VALU_DEP_2) | instskip(NEXT) | instid1(VALU_DEP_2)
	v_and_b32_e32 v6, 7, v6
	v_cmp_eq_u32_e32 vcc_lo, 0, v0
	s_delay_alu instid0(VALU_DEP_2) | instskip(NEXT) | instid1(VALU_DEP_1)
	v_dual_cndmask_b32 v0, v0, v5 :: v_dual_cndmask_b32 v1, v1, v6
	v_lshl_add_u32 v0, v0, 23, 0x3b800000
	s_delay_alu instid0(VALU_DEP_2) | instskip(NEXT) | instid1(VALU_DEP_1)
	v_lshlrev_b32_e32 v1, 20, v1
	v_or3_b32 v0, v4, v0, v1
	s_delay_alu instid0(VALU_DEP_1) | instskip(NEXT) | instid1(VALU_DEP_1)
	v_trunc_f32_e32 v0, v0
	v_mul_f32_e64 v1, 0x2f800000, |v0|
	v_ashrrev_i32_e32 v5, 31, v0
	s_delay_alu instid0(VALU_DEP_2) | instskip(NEXT) | instid1(VALU_DEP_1)
	v_floor_f32_e32 v1, v1
	v_fma_f32 v4, 0xcf800000, v1, |v0|
	v_cvt_u32_f32_e32 v1, v1
	s_delay_alu instid0(VALU_DEP_2) | instskip(NEXT) | instid1(VALU_DEP_2)
	v_cvt_u32_f32_e32 v0, v4
	v_xor_b32_e32 v1, v1, v5
	s_delay_alu instid0(VALU_DEP_2) | instskip(NEXT) | instid1(VALU_DEP_1)
	v_xor_b32_e32 v0, v0, v5
	v_sub_co_u32 v0, vcc_lo, v0, v5
	s_delay_alu instid0(VALU_DEP_3)
	v_sub_co_ci_u32_e32 v1, vcc_lo, v1, v5, vcc_lo
.LBB38_163:
	s_or_b32 exec_lo, exec_lo, s0
.LBB38_164:
	s_mov_b32 s0, -1
.LBB38_165:
	s_branch .LBB38_196
.LBB38_166:
	v_cmp_lt_i16_e32 vcc_lo, 22, v12
	s_cbranch_vccz .LBB38_176
; %bb.167:
	v_cmp_gt_i16_e32 vcc_lo, 24, v12
	s_cbranch_vccnz .LBB38_177
; %bb.168:
	v_cmp_lt_i16_e32 vcc_lo, 24, v12
	s_cbranch_vccz .LBB38_178
; %bb.169:
	global_load_u8 v4, v[2:3], off
	s_mov_b32 s10, 0
	s_mov_b32 s15, exec_lo
                                        ; implicit-def: $sgpr0_sgpr1
	s_waitcnt vmcnt(0)
	v_cmpx_lt_i16_e32 0x7f, v4
	s_xor_b32 s15, exec_lo, s15
; %bb.170:
	v_cmp_ne_u16_e32 vcc_lo, 0x80, v4
	s_mov_b64 s[0:1], 0
	s_and_b32 s10, vcc_lo, exec_lo
; %bb.171:
	s_or_saveexec_b32 s15, s15
	v_dual_mov_b32 v0, s0 :: v_dual_mov_b32 v1, s1
	s_xor_b32 exec_lo, exec_lo, s15
; %bb.172:
	v_cmp_ne_u16_e32 vcc_lo, 0, v4
	v_mov_b32_e32 v0, 0
	v_mov_b32_e32 v1, 0
	s_and_not1_b32 s0, s10, exec_lo
	s_and_b32 s1, vcc_lo, exec_lo
	s_delay_alu instid0(SALU_CYCLE_1)
	s_or_b32 s10, s0, s1
; %bb.173:
	s_or_b32 exec_lo, exec_lo, s15
	s_and_saveexec_b32 s0, s10
	s_cbranch_execz .LBB38_175
; %bb.174:
	v_and_b32_e32 v0, 0xffff, v4
	v_lshlrev_b32_e32 v4, 24, v4
	s_delay_alu instid0(VALU_DEP_2) | instskip(NEXT) | instid1(VALU_DEP_2)
	v_and_b32_e32 v1, 3, v0
	v_and_b32_e32 v4, 0x80000000, v4
	s_delay_alu instid0(VALU_DEP_2) | instskip(NEXT) | instid1(VALU_DEP_1)
	v_clz_i32_u32_e32 v5, v1
	v_min_u32_e32 v5, 32, v5
	s_delay_alu instid0(VALU_DEP_1) | instskip(SKIP_1) | instid1(VALU_DEP_2)
	v_subrev_nc_u32_e32 v6, 29, v5
	v_sub_nc_u32_e32 v5, 30, v5
	v_lshlrev_b32_e32 v6, v6, v0
	v_bfe_u32 v0, v0, 2, 5
	s_delay_alu instid0(VALU_DEP_2) | instskip(NEXT) | instid1(VALU_DEP_2)
	v_and_b32_e32 v6, 3, v6
	v_cmp_eq_u32_e32 vcc_lo, 0, v0
	s_delay_alu instid0(VALU_DEP_2) | instskip(NEXT) | instid1(VALU_DEP_1)
	v_dual_cndmask_b32 v0, v0, v5 :: v_dual_cndmask_b32 v1, v1, v6
	v_lshl_add_u32 v0, v0, 23, 0x37800000
	s_delay_alu instid0(VALU_DEP_2) | instskip(NEXT) | instid1(VALU_DEP_1)
	v_lshlrev_b32_e32 v1, 21, v1
	v_or3_b32 v0, v4, v0, v1
	s_delay_alu instid0(VALU_DEP_1) | instskip(NEXT) | instid1(VALU_DEP_1)
	v_trunc_f32_e32 v0, v0
	v_mul_f32_e64 v1, 0x2f800000, |v0|
	v_ashrrev_i32_e32 v5, 31, v0
	s_delay_alu instid0(VALU_DEP_2) | instskip(NEXT) | instid1(VALU_DEP_1)
	v_floor_f32_e32 v1, v1
	v_fma_f32 v4, 0xcf800000, v1, |v0|
	v_cvt_u32_f32_e32 v1, v1
	s_delay_alu instid0(VALU_DEP_2) | instskip(NEXT) | instid1(VALU_DEP_2)
	v_cvt_u32_f32_e32 v0, v4
	v_xor_b32_e32 v1, v1, v5
	s_delay_alu instid0(VALU_DEP_2) | instskip(NEXT) | instid1(VALU_DEP_1)
	v_xor_b32_e32 v0, v0, v5
	v_sub_co_u32 v0, vcc_lo, v0, v5
	s_delay_alu instid0(VALU_DEP_3)
	v_sub_co_ci_u32_e32 v1, vcc_lo, v1, v5, vcc_lo
.LBB38_175:
	s_or_b32 exec_lo, exec_lo, s0
	s_mov_b32 s0, 0
	s_branch .LBB38_179
.LBB38_176:
	s_mov_b32 s1, -1
                                        ; implicit-def: $vgpr0_vgpr1
	s_branch .LBB38_185
.LBB38_177:
	s_mov_b32 s0, -1
                                        ; implicit-def: $vgpr0_vgpr1
	s_branch .LBB38_182
.LBB38_178:
	s_mov_b32 s0, -1
                                        ; implicit-def: $vgpr0_vgpr1
.LBB38_179:
	s_delay_alu instid0(SALU_CYCLE_1)
	s_and_b32 vcc_lo, exec_lo, s0
	s_cbranch_vccz .LBB38_181
; %bb.180:
	global_load_u8 v0, v[2:3], off
	s_waitcnt vmcnt(0)
	v_lshlrev_b32_e32 v0, 24, v0
	s_delay_alu instid0(VALU_DEP_1) | instskip(NEXT) | instid1(VALU_DEP_1)
	v_and_b32_e32 v1, 0x7f000000, v0
	v_clz_i32_u32_e32 v4, v1
	v_cmp_ne_u32_e32 vcc_lo, 0, v1
	v_add_nc_u32_e32 v6, 0x1000000, v1
	s_delay_alu instid0(VALU_DEP_3) | instskip(NEXT) | instid1(VALU_DEP_1)
	v_min_u32_e32 v4, 32, v4
	v_sub_nc_u32_e64 v4, v4, 4 clamp
	s_delay_alu instid0(VALU_DEP_1) | instskip(SKIP_1) | instid1(VALU_DEP_2)
	v_lshlrev_b32_e32 v5, v4, v1
	v_lshlrev_b32_e32 v4, 23, v4
	v_lshrrev_b32_e32 v5, 4, v5
	s_delay_alu instid0(VALU_DEP_1) | instskip(SKIP_1) | instid1(VALU_DEP_2)
	v_sub_nc_u32_e32 v4, v5, v4
	v_ashrrev_i32_e32 v5, 8, v6
	v_add_nc_u32_e32 v4, 0x3c000000, v4
	s_delay_alu instid0(VALU_DEP_1) | instskip(NEXT) | instid1(VALU_DEP_1)
	v_and_or_b32 v4, 0x7f800000, v5, v4
	v_cndmask_b32_e32 v1, 0, v4, vcc_lo
	s_delay_alu instid0(VALU_DEP_1) | instskip(NEXT) | instid1(VALU_DEP_1)
	v_and_or_b32 v0, 0x80000000, v0, v1
	v_trunc_f32_e32 v0, v0
	s_delay_alu instid0(VALU_DEP_1) | instskip(SKIP_1) | instid1(VALU_DEP_2)
	v_mul_f32_e64 v1, 0x2f800000, |v0|
	v_ashrrev_i32_e32 v5, 31, v0
	v_floor_f32_e32 v1, v1
	s_delay_alu instid0(VALU_DEP_1) | instskip(SKIP_1) | instid1(VALU_DEP_2)
	v_fma_f32 v4, 0xcf800000, v1, |v0|
	v_cvt_u32_f32_e32 v1, v1
	v_cvt_u32_f32_e32 v0, v4
	s_delay_alu instid0(VALU_DEP_2) | instskip(NEXT) | instid1(VALU_DEP_2)
	v_xor_b32_e32 v1, v1, v5
	v_xor_b32_e32 v0, v0, v5
	s_delay_alu instid0(VALU_DEP_1) | instskip(NEXT) | instid1(VALU_DEP_3)
	v_sub_co_u32 v0, vcc_lo, v0, v5
	v_sub_co_ci_u32_e32 v1, vcc_lo, v1, v5, vcc_lo
.LBB38_181:
	s_mov_b32 s0, 0
.LBB38_182:
	s_delay_alu instid0(SALU_CYCLE_1)
	s_and_not1_b32 vcc_lo, exec_lo, s0
	s_cbranch_vccnz .LBB38_184
; %bb.183:
	global_load_u8 v0, v[2:3], off
	s_waitcnt vmcnt(0)
	v_lshlrev_b32_e32 v1, 25, v0
	v_lshlrev_b16 v0, 8, v0
	s_delay_alu instid0(VALU_DEP_2) | instskip(NEXT) | instid1(VALU_DEP_2)
	v_lshrrev_b32_e32 v4, 4, v1
	v_and_or_b32 v5, 0x7f00, v0, 0.5
	v_cmp_gt_u32_e32 vcc_lo, 0x8000000, v1
	v_bfe_i32 v0, v0, 0, 16
	s_delay_alu instid0(VALU_DEP_4) | instskip(NEXT) | instid1(VALU_DEP_1)
	v_or_b32_e32 v4, 0x70000000, v4
	v_dual_add_f32 v5, -0.5, v5 :: v_dual_mul_f32 v4, 0x7800000, v4
	s_delay_alu instid0(VALU_DEP_1) | instskip(NEXT) | instid1(VALU_DEP_1)
	v_cndmask_b32_e32 v1, v4, v5, vcc_lo
	v_and_or_b32 v0, 0x80000000, v0, v1
	s_delay_alu instid0(VALU_DEP_1) | instskip(NEXT) | instid1(VALU_DEP_1)
	v_trunc_f32_e32 v0, v0
	v_mul_f32_e64 v1, 0x2f800000, |v0|
	v_ashrrev_i32_e32 v5, 31, v0
	s_delay_alu instid0(VALU_DEP_2) | instskip(NEXT) | instid1(VALU_DEP_1)
	v_floor_f32_e32 v1, v1
	v_fma_f32 v4, 0xcf800000, v1, |v0|
	v_cvt_u32_f32_e32 v1, v1
	s_delay_alu instid0(VALU_DEP_2) | instskip(NEXT) | instid1(VALU_DEP_2)
	v_cvt_u32_f32_e32 v0, v4
	v_xor_b32_e32 v1, v1, v5
	s_delay_alu instid0(VALU_DEP_2) | instskip(NEXT) | instid1(VALU_DEP_1)
	v_xor_b32_e32 v0, v0, v5
	v_sub_co_u32 v0, vcc_lo, v0, v5
	s_delay_alu instid0(VALU_DEP_3)
	v_sub_co_ci_u32_e32 v1, vcc_lo, v1, v5, vcc_lo
.LBB38_184:
	s_mov_b32 s1, 0
	s_mov_b32 s0, -1
.LBB38_185:
	s_and_not1_b32 vcc_lo, exec_lo, s1
	s_cbranch_vccnz .LBB38_196
; %bb.186:
	v_cmp_lt_i16_e32 vcc_lo, 14, v12
	s_cbranch_vccz .LBB38_189
; %bb.187:
	v_cmp_eq_u16_e32 vcc_lo, 15, v12
	s_cbranch_vccz .LBB38_190
; %bb.188:
	global_load_u16 v0, v[2:3], off
	s_mov_b32 s0, -1
	s_mov_b32 s12, 0
	s_waitcnt vmcnt(0)
	v_lshlrev_b32_e32 v0, 16, v0
	s_delay_alu instid0(VALU_DEP_1) | instskip(NEXT) | instid1(VALU_DEP_1)
	v_trunc_f32_e32 v0, v0
	v_mul_f32_e64 v1, 0x2f800000, |v0|
	v_ashrrev_i32_e32 v5, 31, v0
	s_delay_alu instid0(VALU_DEP_2) | instskip(NEXT) | instid1(VALU_DEP_1)
	v_floor_f32_e32 v1, v1
	v_fma_f32 v4, 0xcf800000, v1, |v0|
	v_cvt_u32_f32_e32 v1, v1
	s_delay_alu instid0(VALU_DEP_2) | instskip(NEXT) | instid1(VALU_DEP_2)
	v_cvt_u32_f32_e32 v0, v4
	v_xor_b32_e32 v1, v1, v5
	s_delay_alu instid0(VALU_DEP_2) | instskip(NEXT) | instid1(VALU_DEP_1)
	v_xor_b32_e32 v0, v0, v5
	v_sub_co_u32 v0, vcc_lo, v0, v5
	s_delay_alu instid0(VALU_DEP_3)
	v_sub_co_ci_u32_e32 v1, vcc_lo, v1, v5, vcc_lo
	s_branch .LBB38_191
.LBB38_189:
	s_mov_b32 s1, -1
                                        ; implicit-def: $vgpr0_vgpr1
	s_branch .LBB38_192
.LBB38_190:
	s_mov_b32 s12, -1
                                        ; implicit-def: $vgpr0_vgpr1
.LBB38_191:
	s_mov_b32 s1, 0
.LBB38_192:
	s_delay_alu instid0(SALU_CYCLE_1)
	s_and_b32 vcc_lo, exec_lo, s1
	s_cbranch_vccz .LBB38_196
; %bb.193:
	v_cmp_eq_u16_e32 vcc_lo, 11, v12
	s_cbranch_vccz .LBB38_195
; %bb.194:
	global_load_u8 v0, v[2:3], off
	s_mov_b32 s12, 0
	s_mov_b32 s0, -1
	s_waitcnt vmcnt(1)
	v_mov_b32_e32 v1, s12
	s_waitcnt vmcnt(0)
	v_cmp_ne_u16_e32 vcc_lo, 0, v0
	v_cndmask_b32_e64 v0, 0, 1, vcc_lo
	s_branch .LBB38_196
.LBB38_195:
	s_mov_b32 s12, -1
                                        ; implicit-def: $vgpr0_vgpr1
.LBB38_196:
	s_branch .LBB38_10
.LBB38_197:
	v_cmp_gt_i16_e32 vcc_lo, 5, v12
	s_cbranch_vccnz .LBB38_202
; %bb.198:
	v_cmp_gt_i16_e32 vcc_lo, 8, v12
	s_cbranch_vccnz .LBB38_203
; %bb.199:
	;; [unrolled: 3-line block ×3, first 2 shown]
	v_cmp_lt_i16_e32 vcc_lo, 9, v12
	s_cbranch_vccz .LBB38_205
; %bb.201:
	global_load_b64 v[0:1], v[2:3], off
	s_mov_b32 s0, 0
	s_waitcnt vmcnt(0)
	v_trunc_f64_e32 v[0:1], v[0:1]
	s_delay_alu instid0(VALU_DEP_1) | instskip(NEXT) | instid1(VALU_DEP_1)
	v_ldexp_f64 v[4:5], v[0:1], 0xffffffe0
	v_floor_f64_e32 v[4:5], v[4:5]
	s_delay_alu instid0(VALU_DEP_1) | instskip(SKIP_1) | instid1(VALU_DEP_2)
	v_fma_f64 v[6:7], 0xc1f00000, v[4:5], v[0:1]
	v_cvt_i32_f64_e32 v1, v[4:5]
	v_cvt_u32_f64_e32 v0, v[6:7]
	s_branch .LBB38_206
.LBB38_202:
                                        ; implicit-def: $vgpr0_vgpr1
	s_branch .LBB38_224
.LBB38_203:
	s_mov_b32 s0, -1
                                        ; implicit-def: $vgpr0_vgpr1
	s_branch .LBB38_212
.LBB38_204:
	s_mov_b32 s0, -1
                                        ; implicit-def: $vgpr0_vgpr1
	s_branch .LBB38_209
.LBB38_205:
	s_mov_b32 s0, -1
                                        ; implicit-def: $vgpr0_vgpr1
.LBB38_206:
	s_delay_alu instid0(SALU_CYCLE_1)
	s_and_not1_b32 vcc_lo, exec_lo, s0
	s_cbranch_vccnz .LBB38_208
; %bb.207:
	global_load_b32 v0, v[2:3], off
	s_waitcnt vmcnt(0)
	v_trunc_f32_e32 v0, v0
	s_delay_alu instid0(VALU_DEP_1) | instskip(SKIP_1) | instid1(VALU_DEP_2)
	v_mul_f32_e64 v1, 0x2f800000, |v0|
	v_ashrrev_i32_e32 v5, 31, v0
	v_floor_f32_e32 v1, v1
	s_delay_alu instid0(VALU_DEP_1) | instskip(SKIP_1) | instid1(VALU_DEP_2)
	v_fma_f32 v4, 0xcf800000, v1, |v0|
	v_cvt_u32_f32_e32 v1, v1
	v_cvt_u32_f32_e32 v0, v4
	s_delay_alu instid0(VALU_DEP_2) | instskip(NEXT) | instid1(VALU_DEP_2)
	v_xor_b32_e32 v1, v1, v5
	v_xor_b32_e32 v0, v0, v5
	s_delay_alu instid0(VALU_DEP_1) | instskip(NEXT) | instid1(VALU_DEP_3)
	v_sub_co_u32 v0, vcc_lo, v0, v5
	v_sub_co_ci_u32_e32 v1, vcc_lo, v1, v5, vcc_lo
.LBB38_208:
	s_mov_b32 s0, 0
.LBB38_209:
	s_delay_alu instid0(SALU_CYCLE_1)
	s_and_not1_b32 vcc_lo, exec_lo, s0
	s_cbranch_vccnz .LBB38_211
; %bb.210:
	global_load_b32 v0, v[2:3], off
	s_waitcnt vmcnt(0)
	v_cvt_f32_f16_e32 v0, v0
	s_delay_alu instid0(VALU_DEP_1) | instskip(NEXT) | instid1(VALU_DEP_1)
	v_cvt_i32_f32_e32 v0, v0
	v_ashrrev_i32_e32 v1, 31, v0
.LBB38_211:
	s_mov_b32 s0, 0
.LBB38_212:
	s_delay_alu instid0(SALU_CYCLE_1)
	s_and_not1_b32 vcc_lo, exec_lo, s0
	s_cbranch_vccnz .LBB38_223
; %bb.213:
	v_cmp_gt_i16_e32 vcc_lo, 6, v12
	s_cbranch_vccnz .LBB38_216
; %bb.214:
	v_cmp_lt_i16_e32 vcc_lo, 6, v12
	s_cbranch_vccz .LBB38_217
; %bb.215:
	global_load_b64 v[0:1], v[2:3], off
	s_mov_b32 s0, 0
	s_waitcnt vmcnt(0)
	v_trunc_f64_e32 v[0:1], v[0:1]
	s_delay_alu instid0(VALU_DEP_1) | instskip(NEXT) | instid1(VALU_DEP_1)
	v_ldexp_f64 v[4:5], v[0:1], 0xffffffe0
	v_floor_f64_e32 v[4:5], v[4:5]
	s_delay_alu instid0(VALU_DEP_1) | instskip(SKIP_1) | instid1(VALU_DEP_2)
	v_fma_f64 v[6:7], 0xc1f00000, v[4:5], v[0:1]
	v_cvt_i32_f64_e32 v1, v[4:5]
	v_cvt_u32_f64_e32 v0, v[6:7]
	s_branch .LBB38_218
.LBB38_216:
	s_mov_b32 s0, -1
                                        ; implicit-def: $vgpr0_vgpr1
	s_branch .LBB38_221
.LBB38_217:
	s_mov_b32 s0, -1
                                        ; implicit-def: $vgpr0_vgpr1
.LBB38_218:
	s_delay_alu instid0(SALU_CYCLE_1)
	s_and_not1_b32 vcc_lo, exec_lo, s0
	s_cbranch_vccnz .LBB38_220
; %bb.219:
	global_load_b32 v0, v[2:3], off
	s_waitcnt vmcnt(0)
	v_trunc_f32_e32 v0, v0
	s_delay_alu instid0(VALU_DEP_1) | instskip(SKIP_1) | instid1(VALU_DEP_2)
	v_mul_f32_e64 v1, 0x2f800000, |v0|
	v_ashrrev_i32_e32 v5, 31, v0
	v_floor_f32_e32 v1, v1
	s_delay_alu instid0(VALU_DEP_1) | instskip(SKIP_1) | instid1(VALU_DEP_2)
	v_fma_f32 v4, 0xcf800000, v1, |v0|
	v_cvt_u32_f32_e32 v1, v1
	v_cvt_u32_f32_e32 v0, v4
	s_delay_alu instid0(VALU_DEP_2) | instskip(NEXT) | instid1(VALU_DEP_2)
	v_xor_b32_e32 v1, v1, v5
	v_xor_b32_e32 v0, v0, v5
	s_delay_alu instid0(VALU_DEP_1) | instskip(NEXT) | instid1(VALU_DEP_3)
	v_sub_co_u32 v0, vcc_lo, v0, v5
	v_sub_co_ci_u32_e32 v1, vcc_lo, v1, v5, vcc_lo
.LBB38_220:
	s_mov_b32 s0, 0
.LBB38_221:
	s_delay_alu instid0(SALU_CYCLE_1)
	s_and_not1_b32 vcc_lo, exec_lo, s0
	s_cbranch_vccnz .LBB38_223
; %bb.222:
	global_load_u16 v0, v[2:3], off
	s_waitcnt vmcnt(0)
	v_cvt_f32_f16_e32 v0, v0
	s_delay_alu instid0(VALU_DEP_1) | instskip(NEXT) | instid1(VALU_DEP_1)
	v_cvt_i32_f32_e32 v0, v0
	v_ashrrev_i32_e32 v1, 31, v0
.LBB38_223:
	s_cbranch_execnz .LBB38_243
.LBB38_224:
	v_cmp_gt_i16_e32 vcc_lo, 2, v12
	s_cbranch_vccnz .LBB38_228
; %bb.225:
	v_cmp_gt_i16_e32 vcc_lo, 3, v12
	s_cbranch_vccnz .LBB38_229
; %bb.226:
	v_cmp_lt_i16_e32 vcc_lo, 3, v12
	s_cbranch_vccz .LBB38_230
; %bb.227:
	global_load_b64 v[0:1], v[2:3], off
	s_mov_b32 s0, 0
	s_branch .LBB38_231
.LBB38_228:
	s_mov_b32 s0, -1
                                        ; implicit-def: $vgpr0_vgpr1
	s_branch .LBB38_237
.LBB38_229:
	s_mov_b32 s0, -1
                                        ; implicit-def: $vgpr0_vgpr1
	s_branch .LBB38_234
.LBB38_230:
	s_mov_b32 s0, -1
                                        ; implicit-def: $vgpr0_vgpr1
.LBB38_231:
	s_delay_alu instid0(SALU_CYCLE_1)
	s_and_not1_b32 vcc_lo, exec_lo, s0
	s_cbranch_vccnz .LBB38_233
; %bb.232:
	global_load_b32 v0, v[2:3], off
	s_waitcnt vmcnt(0)
	v_ashrrev_i32_e32 v1, 31, v0
.LBB38_233:
	s_mov_b32 s0, 0
.LBB38_234:
	s_delay_alu instid0(SALU_CYCLE_1)
	s_and_not1_b32 vcc_lo, exec_lo, s0
	s_cbranch_vccnz .LBB38_236
; %bb.235:
	global_load_u16 v0, v[2:3], off
	s_waitcnt vmcnt(0)
	v_bfe_i32 v0, v0, 0, 16
	s_delay_alu instid0(VALU_DEP_1)
	v_ashrrev_i32_e32 v1, 31, v0
.LBB38_236:
	s_mov_b32 s0, 0
.LBB38_237:
	s_delay_alu instid0(SALU_CYCLE_1)
	s_and_not1_b32 vcc_lo, exec_lo, s0
	s_cbranch_vccnz .LBB38_243
; %bb.238:
	v_cmp_lt_i16_e32 vcc_lo, 0, v12
	s_mov_b32 s0, 0
	s_cbranch_vccz .LBB38_240
; %bb.239:
	global_load_i8 v0, v[2:3], off
	s_waitcnt vmcnt(0)
	v_bfe_i32 v0, v0, 0, 16
	s_delay_alu instid0(VALU_DEP_1)
	v_ashrrev_i32_e32 v1, 31, v0
	s_branch .LBB38_241
.LBB38_240:
	s_mov_b32 s0, -1
                                        ; implicit-def: $vgpr0_vgpr1
.LBB38_241:
	s_delay_alu instid0(SALU_CYCLE_1)
	s_and_not1_b32 vcc_lo, exec_lo, s0
	s_cbranch_vccnz .LBB38_243
; %bb.242:
	global_load_u8 v0, v[2:3], off
	s_mov_b32 s0, 0
	s_waitcnt vmcnt(0)
	v_dual_mov_b32 v1, s0 :: v_dual_and_b32 v0, 0xffff, v0
.LBB38_243:
	s_branch .LBB38_11
.LBB38_244:
	s_mov_b32 s0, 0
.LBB38_245:
	s_mov_b32 s1, 0
                                        ; implicit-def: $vgpr11
.LBB38_246:
	s_and_b32 s10, s0, exec_lo
	s_and_b32 s12, s12, exec_lo
	s_or_not1_b32 s1, s1, exec_lo
.LBB38_247:
	s_or_b32 exec_lo, exec_lo, s13
	s_mov_b32 s15, 0
	s_mov_b32 s0, 0
                                        ; implicit-def: $vgpr2_vgpr3
                                        ; implicit-def: $vgpr0_vgpr1
	s_and_saveexec_b32 s13, s1
	s_cbranch_execz .LBB38_843
; %bb.248:
	s_mov_b32 s18, -1
	s_mov_b32 s14, s12
	s_mov_b32 s15, s10
	s_mov_b32 s16, exec_lo
	v_cmpx_gt_i32_e64 s11, v11
	s_cbranch_execz .LBB38_503
; %bb.249:
	s_waitcnt vmcnt(0)
	v_mul_lo_u32 v0, v11, s3
	v_cmp_gt_i16_e32 vcc_lo, 11, v12
	s_delay_alu instid0(VALU_DEP_2) | instskip(SKIP_1) | instid1(VALU_DEP_1)
	v_ashrrev_i32_e32 v1, 31, v0
	v_add_co_u32 v2, s0, s6, v0
	v_add_co_ci_u32_e64 v3, s0, s7, v1, s0
	s_cbranch_vccnz .LBB38_256
; %bb.250:
	v_cmp_lt_i16_e32 vcc_lo, 25, v12
	s_cbranch_vccz .LBB38_265
; %bb.251:
	v_cmp_lt_i16_e32 vcc_lo, 28, v12
	s_cbranch_vccz .LBB38_267
; %bb.252:
	v_cmp_lt_i16_e32 vcc_lo, 43, v12
	s_cbranch_vccz .LBB38_269
; %bb.253:
	v_cmp_lt_i16_e32 vcc_lo, 45, v12
	s_cbranch_vccz .LBB38_273
; %bb.254:
	v_cmp_eq_u16_e32 vcc_lo, 46, v12
	s_mov_b32 s1, 0
	s_cbranch_vccz .LBB38_277
; %bb.255:
	global_load_b32 v0, v[2:3], off
	s_mov_b32 s0, -1
	s_mov_b32 s14, 0
	s_waitcnt vmcnt(0)
	v_lshlrev_b32_e32 v0, 16, v0
	s_delay_alu instid0(VALU_DEP_1) | instskip(NEXT) | instid1(VALU_DEP_1)
	v_trunc_f32_e32 v0, v0
	v_mul_f32_e64 v1, 0x2f800000, |v0|
	v_ashrrev_i32_e32 v5, 31, v0
	s_delay_alu instid0(VALU_DEP_2) | instskip(NEXT) | instid1(VALU_DEP_1)
	v_floor_f32_e32 v1, v1
	v_fma_f32 v4, 0xcf800000, v1, |v0|
	v_cvt_u32_f32_e32 v1, v1
	s_delay_alu instid0(VALU_DEP_2) | instskip(NEXT) | instid1(VALU_DEP_2)
	v_cvt_u32_f32_e32 v0, v4
	v_xor_b32_e32 v1, v1, v5
	s_delay_alu instid0(VALU_DEP_2) | instskip(NEXT) | instid1(VALU_DEP_1)
	v_xor_b32_e32 v0, v0, v5
	v_sub_co_u32 v0, vcc_lo, v0, v5
	s_delay_alu instid0(VALU_DEP_3)
	v_sub_co_ci_u32_e32 v1, vcc_lo, v1, v5, vcc_lo
	s_branch .LBB38_279
.LBB38_256:
	s_mov_b32 s0, 0
	s_mov_b32 s14, s12
                                        ; implicit-def: $vgpr0_vgpr1
	s_cbranch_execnz .LBB38_452
.LBB38_257:
	s_and_not1_b32 vcc_lo, exec_lo, s0
	s_cbranch_vccnz .LBB38_500
.LBB38_258:
	v_mul_lo_u32 v4, v11, s2
	v_and_b32_e32 v6, 0xff, v10
	s_waitcnt vmcnt(0)
	s_delay_alu instid0(VALU_DEP_3) | instskip(NEXT) | instid1(VALU_DEP_4)
	v_not_b32_e32 v3, v1
	v_not_b32_e32 v2, v0
	s_delay_alu instid0(VALU_DEP_3) | instskip(SKIP_2) | instid1(VALU_DEP_1)
	v_cmp_gt_i16_e32 vcc_lo, 11, v6
	v_ashrrev_i32_e32 v5, 31, v4
	v_add_co_u32 v4, s0, s4, v4
	v_add_co_ci_u32_e64 v5, s0, s5, v5, s0
	s_cbranch_vccnz .LBB38_266
; %bb.259:
	v_cmp_lt_i16_e32 vcc_lo, 25, v6
	s_cbranch_vccz .LBB38_268
; %bb.260:
	v_cmp_lt_i16_e32 vcc_lo, 28, v6
	s_cbranch_vccz .LBB38_270
	;; [unrolled: 3-line block ×4, first 2 shown]
; %bb.263:
	v_cmp_eq_u16_e32 vcc_lo, 46, v6
	s_mov_b32 s15, 0
	s_mov_b32 s0, -1
	s_mov_b32 s1, 0
	s_cbranch_vccz .LBB38_283
; %bb.264:
	v_xor_b32_e32 v7, v2, v3
	v_cls_i32_e32 v8, v3
	s_mov_b32 s1, -1
	s_mov_b32 s0, 0
	s_delay_alu instid0(VALU_DEP_2) | instskip(NEXT) | instid1(VALU_DEP_2)
	v_ashrrev_i32_e32 v7, 31, v7
	v_add_nc_u32_e32 v8, -1, v8
	s_delay_alu instid0(VALU_DEP_2) | instskip(NEXT) | instid1(VALU_DEP_1)
	v_add_nc_u32_e32 v7, 32, v7
	v_min_u32_e32 v9, v8, v7
	s_delay_alu instid0(VALU_DEP_1) | instskip(NEXT) | instid1(VALU_DEP_1)
	v_lshlrev_b64 v[7:8], v9, v[2:3]
	v_min_u32_e32 v7, 1, v7
	s_delay_alu instid0(VALU_DEP_1) | instskip(SKIP_1) | instid1(VALU_DEP_2)
	v_or_b32_e32 v7, v8, v7
	v_sub_nc_u32_e32 v8, 32, v9
	v_cvt_f32_i32_e32 v7, v7
	s_delay_alu instid0(VALU_DEP_1) | instskip(NEXT) | instid1(VALU_DEP_1)
	v_ldexp_f32 v7, v7, v8
	v_bfe_u32 v8, v7, 16, 1
	s_delay_alu instid0(VALU_DEP_1) | instskip(NEXT) | instid1(VALU_DEP_1)
	v_add3_u32 v7, v7, v8, 0x7fff
	v_lshrrev_b32_e32 v7, 16, v7
	global_store_b32 v[4:5], v7, off
	s_branch .LBB38_283
.LBB38_265:
	s_mov_b32 s1, -1
	s_mov_b32 s0, 0
	s_mov_b32 s14, s12
                                        ; implicit-def: $vgpr0_vgpr1
	s_branch .LBB38_420
.LBB38_266:
	s_mov_b32 s15, -1
	s_mov_b32 s1, 0
	s_mov_b32 s0, s10
	s_branch .LBB38_352
.LBB38_267:
	s_mov_b32 s1, -1
	s_mov_b32 s0, 0
	s_mov_b32 s14, s12
                                        ; implicit-def: $vgpr0_vgpr1
	s_branch .LBB38_401
.LBB38_268:
	s_mov_b32 s15, -1
	s_mov_b32 s1, 0
	s_mov_b32 s0, s10
	s_branch .LBB38_310
.LBB38_269:
	s_mov_b32 s1, -1
	s_mov_b32 s0, 0
	s_mov_b32 s14, s12
                                        ; implicit-def: $vgpr0_vgpr1
	s_branch .LBB38_396
.LBB38_270:
	s_mov_b32 s15, -1
	s_mov_b32 s1, 0
	s_mov_b32 s0, s10
	s_branch .LBB38_293
.LBB38_271:
	s_or_saveexec_b32 s15, s15
                                        ; implicit-def: $sgpr16
	s_delay_alu instid0(SALU_CYCLE_1)
	s_xor_b32 exec_lo, exec_lo, s15
	s_cbranch_execz .LBB38_53
.LBB38_272:
	v_add_f32_e64 v8, 0x46000000, |v7|
	s_and_not1_b32 s10, s10, exec_lo
	s_mov_b32 s16, 0
	s_delay_alu instid0(VALU_DEP_1) | instskip(NEXT) | instid1(VALU_DEP_1)
	v_and_b32_e32 v8, 0xff, v8
	v_cmp_ne_u32_e32 vcc_lo, 0, v8
	s_and_b32 s17, vcc_lo, exec_lo
	s_delay_alu instid0(SALU_CYCLE_1)
	s_or_b32 s10, s10, s17
	s_or_b32 exec_lo, exec_lo, s15
	v_mov_b32_e32 v9, s16
	s_and_saveexec_b32 s15, s10
	s_cbranch_execnz .LBB38_54
	s_branch .LBB38_55
.LBB38_273:
	s_mov_b32 s1, -1
	s_mov_b32 s0, 0
	s_mov_b32 s14, s12
	s_branch .LBB38_278
.LBB38_274:
	s_mov_b32 s15, -1
	s_mov_b32 s1, 0
	s_mov_b32 s0, s10
	s_branch .LBB38_289
.LBB38_275:
	s_or_saveexec_b32 s15, s15
                                        ; implicit-def: $sgpr16
	s_delay_alu instid0(SALU_CYCLE_1)
	s_xor_b32 exec_lo, exec_lo, s15
	s_cbranch_execz .LBB38_66
.LBB38_276:
	v_add_f32_e64 v8, 0x42800000, |v7|
	s_and_not1_b32 s10, s10, exec_lo
	s_mov_b32 s16, 0
	s_delay_alu instid0(VALU_DEP_1) | instskip(NEXT) | instid1(VALU_DEP_1)
	v_and_b32_e32 v8, 0xff, v8
	v_cmp_ne_u32_e32 vcc_lo, 0, v8
	s_and_b32 s17, vcc_lo, exec_lo
	s_delay_alu instid0(SALU_CYCLE_1)
	s_or_b32 s10, s10, s17
	s_or_b32 exec_lo, exec_lo, s15
	v_mov_b32_e32 v9, s16
	s_and_saveexec_b32 s15, s10
	s_cbranch_execnz .LBB38_67
	s_branch .LBB38_68
.LBB38_277:
	s_mov_b32 s14, -1
	s_mov_b32 s0, 0
.LBB38_278:
                                        ; implicit-def: $vgpr0_vgpr1
.LBB38_279:
	s_and_b32 vcc_lo, exec_lo, s1
	s_cbranch_vccz .LBB38_395
; %bb.280:
	v_cmp_eq_u16_e32 vcc_lo, 44, v12
	s_cbranch_vccz .LBB38_394
; %bb.281:
	global_load_u8 v0, v[2:3], off
	s_mov_b32 s14, 0
	s_mov_b32 s0, -1
	s_waitcnt vmcnt(0)
	v_lshlrev_b32_e32 v1, 23, v0
	s_delay_alu instid0(VALU_DEP_1) | instskip(NEXT) | instid1(VALU_DEP_1)
	v_trunc_f32_e32 v1, v1
	v_mul_f32_e64 v4, 0x2f800000, |v1|
	s_delay_alu instid0(VALU_DEP_1) | instskip(NEXT) | instid1(VALU_DEP_1)
	v_floor_f32_e32 v4, v4
	v_fma_f32 v5, 0xcf800000, v4, |v1|
	v_ashrrev_i32_e32 v1, 31, v1
	v_cvt_u32_f32_e32 v4, v4
	s_delay_alu instid0(VALU_DEP_3) | instskip(NEXT) | instid1(VALU_DEP_2)
	v_cvt_u32_f32_e32 v5, v5
	v_xor_b32_e32 v4, v4, v1
	s_delay_alu instid0(VALU_DEP_2) | instskip(NEXT) | instid1(VALU_DEP_1)
	v_xor_b32_e32 v5, v5, v1
	v_sub_co_u32 v5, vcc_lo, v5, v1
	s_delay_alu instid0(VALU_DEP_3) | instskip(SKIP_1) | instid1(VALU_DEP_3)
	v_sub_co_ci_u32_e32 v1, vcc_lo, v4, v1, vcc_lo
	v_cmp_ne_u32_e32 vcc_lo, 0, v0
	v_cndmask_b32_e32 v0, 0, v5, vcc_lo
	s_delay_alu instid0(VALU_DEP_3)
	v_cndmask_b32_e32 v1, 0, v1, vcc_lo
	s_branch .LBB38_395
.LBB38_282:
	s_mov_b32 s15, -1
	s_mov_b32 s1, 0
	s_mov_b32 s0, s10
.LBB38_283:
	s_and_b32 vcc_lo, exec_lo, s15
	s_cbranch_vccz .LBB38_288
; %bb.284:
	v_cmp_eq_u16_e32 vcc_lo, 44, v6
	s_mov_b32 s0, -1
	s_cbranch_vccz .LBB38_288
; %bb.285:
	v_xor_b32_e32 v7, v2, v3
	v_cls_i32_e32 v8, v3
	s_mov_b32 s1, -1
	s_mov_b32 s15, exec_lo
	s_delay_alu instid0(VALU_DEP_2) | instskip(NEXT) | instid1(VALU_DEP_2)
	v_ashrrev_i32_e32 v7, 31, v7
	v_add_nc_u32_e32 v8, -1, v8
	s_delay_alu instid0(VALU_DEP_2) | instskip(NEXT) | instid1(VALU_DEP_1)
	v_add_nc_u32_e32 v7, 32, v7
	v_min_u32_e32 v9, v8, v7
	s_delay_alu instid0(VALU_DEP_1) | instskip(NEXT) | instid1(VALU_DEP_1)
	v_lshlrev_b64 v[7:8], v9, v[2:3]
	v_min_u32_e32 v7, 1, v7
	s_delay_alu instid0(VALU_DEP_1) | instskip(SKIP_1) | instid1(VALU_DEP_2)
	v_or_b32_e32 v7, v8, v7
	v_sub_nc_u32_e32 v8, 32, v9
	v_cvt_f32_i32_e32 v7, v7
	s_delay_alu instid0(VALU_DEP_1) | instskip(SKIP_1) | instid1(VALU_DEP_2)
	v_ldexp_f32 v7, v7, v8
	v_mov_b32_e32 v8, 0xff
	v_bfe_u32 v9, v7, 23, 8
	s_delay_alu instid0(VALU_DEP_1)
	v_cmpx_ne_u32_e32 0xff, v9
; %bb.286:
	v_and_b32_e32 v8, 0x400000, v7
	v_and_or_b32 v9, 0x3fffff, v7, v9
	v_lshrrev_b32_e32 v7, 23, v7
	s_delay_alu instid0(VALU_DEP_3) | instskip(NEXT) | instid1(VALU_DEP_3)
	v_cmp_ne_u32_e32 vcc_lo, 0, v8
	v_cmp_ne_u32_e64 s0, 0, v9
	s_delay_alu instid0(VALU_DEP_1) | instskip(NEXT) | instid1(SALU_CYCLE_1)
	s_and_b32 s0, vcc_lo, s0
	v_cndmask_b32_e64 v8, 0, 1, s0
	s_delay_alu instid0(VALU_DEP_1)
	v_add_nc_u32_e32 v8, v7, v8
; %bb.287:
	s_or_b32 exec_lo, exec_lo, s15
	s_mov_b32 s0, 0
	global_store_b8 v[4:5], v8, off
.LBB38_288:
	s_mov_b32 s15, 0
.LBB38_289:
	s_delay_alu instid0(SALU_CYCLE_1)
	s_and_b32 vcc_lo, exec_lo, s15
	s_cbranch_vccz .LBB38_292
; %bb.290:
	v_cmp_eq_u16_e32 vcc_lo, 29, v6
	s_mov_b32 s0, -1
	s_cbranch_vccz .LBB38_292
; %bb.291:
	s_mov_b32 s1, -1
	s_mov_b32 s0, 0
	global_store_b64 v[4:5], v[2:3], off
.LBB38_292:
	s_mov_b32 s15, 0
.LBB38_293:
	s_delay_alu instid0(SALU_CYCLE_1)
	s_and_b32 vcc_lo, exec_lo, s15
	s_cbranch_vccz .LBB38_309
; %bb.294:
	v_cmp_gt_i16_e32 vcc_lo, 27, v6
	s_mov_b32 s1, -1
	s_cbranch_vccnz .LBB38_300
; %bb.295:
	v_cmp_lt_i16_e32 vcc_lo, 27, v6
	s_cbranch_vccz .LBB38_297
; %bb.296:
	s_mov_b32 s1, 0
	global_store_b32 v[4:5], v2, off
.LBB38_297:
	s_and_not1_b32 vcc_lo, exec_lo, s1
	s_cbranch_vccnz .LBB38_299
; %bb.298:
	global_store_b16 v[4:5], v2, off
.LBB38_299:
	s_mov_b32 s1, 0
.LBB38_300:
	s_delay_alu instid0(SALU_CYCLE_1)
	s_and_not1_b32 vcc_lo, exec_lo, s1
	s_cbranch_vccnz .LBB38_308
; %bb.301:
	v_xor_b32_e32 v7, v2, v3
	v_cls_i32_e32 v8, v3
	s_mov_b32 s1, exec_lo
	s_delay_alu instid0(VALU_DEP_2) | instskip(NEXT) | instid1(VALU_DEP_2)
	v_ashrrev_i32_e32 v7, 31, v7
	v_add_nc_u32_e32 v8, -1, v8
	s_delay_alu instid0(VALU_DEP_2) | instskip(NEXT) | instid1(VALU_DEP_1)
	v_add_nc_u32_e32 v7, 32, v7
	v_min_u32_e32 v9, v8, v7
	s_delay_alu instid0(VALU_DEP_1) | instskip(NEXT) | instid1(VALU_DEP_1)
	v_lshlrev_b64 v[7:8], v9, v[2:3]
	v_min_u32_e32 v7, 1, v7
	s_delay_alu instid0(VALU_DEP_1) | instskip(SKIP_2) | instid1(VALU_DEP_3)
	v_or_b32_e32 v7, v8, v7
	v_sub_nc_u32_e32 v8, 32, v9
	v_mov_b32_e32 v9, 0x80
	v_cvt_f32_i32_e32 v7, v7
	s_delay_alu instid0(VALU_DEP_1) | instskip(NEXT) | instid1(VALU_DEP_1)
	v_ldexp_f32 v7, v7, v8
	v_and_b32_e32 v8, 0x7fffffff, v7
	s_delay_alu instid0(VALU_DEP_1)
	v_cmpx_gt_u32_e32 0x43800000, v8
	s_cbranch_execz .LBB38_307
; %bb.302:
	v_cmp_lt_u32_e32 vcc_lo, 0x3bffffff, v8
	s_mov_b32 s15, 0
                                        ; implicit-def: $vgpr8
	s_and_saveexec_b32 s17, vcc_lo
	s_delay_alu instid0(SALU_CYCLE_1)
	s_xor_b32 s17, exec_lo, s17
	s_cbranch_execz .LBB38_516
; %bb.303:
	v_bfe_u32 v8, v7, 20, 1
	s_mov_b32 s15, exec_lo
	s_delay_alu instid0(VALU_DEP_1) | instskip(NEXT) | instid1(VALU_DEP_1)
	v_add3_u32 v8, v7, v8, 0x487ffff
	v_lshrrev_b32_e32 v8, 20, v8
	s_or_saveexec_b32 s17, s17
                                        ; implicit-def: $sgpr18
	s_delay_alu instid0(SALU_CYCLE_1)
	s_xor_b32 exec_lo, exec_lo, s17
	s_cbranch_execnz .LBB38_517
.LBB38_304:
	s_or_b32 exec_lo, exec_lo, s17
	v_mov_b32_e32 v9, s18
	s_and_saveexec_b32 s17, s15
.LBB38_305:
	v_lshrrev_b32_e32 v7, 24, v7
	s_delay_alu instid0(VALU_DEP_1)
	v_and_or_b32 v9, 0x80, v7, v8
.LBB38_306:
	s_or_b32 exec_lo, exec_lo, s17
.LBB38_307:
	s_delay_alu instid0(SALU_CYCLE_1)
	s_or_b32 exec_lo, exec_lo, s1
	global_store_b8 v[4:5], v9, off
.LBB38_308:
	s_mov_b32 s1, -1
.LBB38_309:
	s_mov_b32 s15, 0
.LBB38_310:
	s_delay_alu instid0(SALU_CYCLE_1)
	s_and_b32 vcc_lo, exec_lo, s15
	s_cbranch_vccz .LBB38_351
; %bb.311:
	v_cmp_lt_i16_e32 vcc_lo, 22, v6
	s_mov_b32 s15, -1
	s_cbranch_vccz .LBB38_343
; %bb.312:
	v_cmp_gt_i16_e32 vcc_lo, 24, v6
	s_mov_b32 s1, -1
	s_cbranch_vccnz .LBB38_332
; %bb.313:
	v_cmp_lt_i16_e32 vcc_lo, 24, v6
	s_cbranch_vccz .LBB38_321
; %bb.314:
	v_xor_b32_e32 v7, v2, v3
	v_cls_i32_e32 v8, v3
	s_mov_b32 s1, exec_lo
	s_delay_alu instid0(VALU_DEP_2) | instskip(NEXT) | instid1(VALU_DEP_2)
	v_ashrrev_i32_e32 v7, 31, v7
	v_add_nc_u32_e32 v8, -1, v8
	s_delay_alu instid0(VALU_DEP_2) | instskip(NEXT) | instid1(VALU_DEP_1)
	v_add_nc_u32_e32 v7, 32, v7
	v_min_u32_e32 v9, v8, v7
	s_delay_alu instid0(VALU_DEP_1) | instskip(NEXT) | instid1(VALU_DEP_1)
	v_lshlrev_b64 v[7:8], v9, v[2:3]
	v_min_u32_e32 v7, 1, v7
	s_delay_alu instid0(VALU_DEP_1) | instskip(SKIP_2) | instid1(VALU_DEP_3)
	v_or_b32_e32 v7, v8, v7
	v_sub_nc_u32_e32 v8, 32, v9
	v_mov_b32_e32 v9, 0x80
	v_cvt_f32_i32_e32 v7, v7
	s_delay_alu instid0(VALU_DEP_1) | instskip(NEXT) | instid1(VALU_DEP_1)
	v_ldexp_f32 v7, v7, v8
	v_and_b32_e32 v8, 0x7fffffff, v7
	s_delay_alu instid0(VALU_DEP_1)
	v_cmpx_gt_u32_e32 0x47800000, v8
	s_cbranch_execz .LBB38_320
; %bb.315:
	v_cmp_lt_u32_e32 vcc_lo, 0x37ffffff, v8
	s_mov_b32 s15, 0
                                        ; implicit-def: $vgpr8
	s_and_saveexec_b32 s17, vcc_lo
	s_delay_alu instid0(SALU_CYCLE_1)
	s_xor_b32 s17, exec_lo, s17
	s_cbranch_execz .LBB38_519
; %bb.316:
	v_bfe_u32 v8, v7, 21, 1
	s_mov_b32 s15, exec_lo
	s_delay_alu instid0(VALU_DEP_1) | instskip(NEXT) | instid1(VALU_DEP_1)
	v_add3_u32 v8, v7, v8, 0x88fffff
	v_lshrrev_b32_e32 v8, 21, v8
	s_or_saveexec_b32 s17, s17
                                        ; implicit-def: $sgpr18
	s_delay_alu instid0(SALU_CYCLE_1)
	s_xor_b32 exec_lo, exec_lo, s17
	s_cbranch_execnz .LBB38_520
.LBB38_317:
	s_or_b32 exec_lo, exec_lo, s17
	v_mov_b32_e32 v9, s18
	s_and_saveexec_b32 s17, s15
.LBB38_318:
	v_lshrrev_b32_e32 v7, 24, v7
	s_delay_alu instid0(VALU_DEP_1)
	v_and_or_b32 v9, 0x80, v7, v8
.LBB38_319:
	s_or_b32 exec_lo, exec_lo, s17
.LBB38_320:
	s_delay_alu instid0(SALU_CYCLE_1)
	s_or_b32 exec_lo, exec_lo, s1
	s_mov_b32 s1, 0
	global_store_b8 v[4:5], v9, off
.LBB38_321:
	s_and_b32 vcc_lo, exec_lo, s1
	s_cbranch_vccz .LBB38_331
; %bb.322:
	v_xor_b32_e32 v7, v2, v3
	v_cls_i32_e32 v8, v3
	s_mov_b32 s1, exec_lo
	s_delay_alu instid0(VALU_DEP_2) | instskip(NEXT) | instid1(VALU_DEP_2)
	v_ashrrev_i32_e32 v7, 31, v7
	v_add_nc_u32_e32 v8, -1, v8
	s_delay_alu instid0(VALU_DEP_2) | instskip(NEXT) | instid1(VALU_DEP_1)
	v_add_nc_u32_e32 v7, 32, v7
	v_min_u32_e32 v9, v8, v7
	s_delay_alu instid0(VALU_DEP_1) | instskip(NEXT) | instid1(VALU_DEP_1)
	v_lshlrev_b64 v[7:8], v9, v[2:3]
	v_min_u32_e32 v7, 1, v7
	s_delay_alu instid0(VALU_DEP_1) | instskip(SKIP_1) | instid1(VALU_DEP_2)
	v_or_b32_e32 v7, v8, v7
	v_sub_nc_u32_e32 v8, 32, v9
	v_cvt_f32_i32_e32 v7, v7
	s_delay_alu instid0(VALU_DEP_1) | instskip(NEXT) | instid1(VALU_DEP_1)
	v_ldexp_f32 v7, v7, v8
                                        ; implicit-def: $vgpr8
	v_and_b32_e32 v9, 0x7fffffff, v7
	s_delay_alu instid0(VALU_DEP_1)
	v_cmpx_gt_u32_e32 0x43f00000, v9
	s_xor_b32 s1, exec_lo, s1
	s_cbranch_execz .LBB38_328
; %bb.323:
	s_mov_b32 s15, exec_lo
                                        ; implicit-def: $vgpr8
	v_cmpx_lt_u32_e32 0x3c7fffff, v9
	s_xor_b32 s15, exec_lo, s15
; %bb.324:
	v_bfe_u32 v8, v7, 20, 1
	s_delay_alu instid0(VALU_DEP_1) | instskip(NEXT) | instid1(VALU_DEP_1)
	v_add3_u32 v8, v7, v8, 0x407ffff
	v_and_b32_e32 v9, 0xff00000, v8
	v_lshrrev_b32_e32 v8, 20, v8
	s_delay_alu instid0(VALU_DEP_2) | instskip(NEXT) | instid1(VALU_DEP_2)
	v_cmp_ne_u32_e32 vcc_lo, 0x7f00000, v9
	v_cndmask_b32_e32 v8, 0x7e, v8, vcc_lo
; %bb.325:
	s_and_not1_saveexec_b32 s15, s15
; %bb.326:
	v_add_f32_e64 v8, 0x46800000, |v7|
; %bb.327:
	s_or_b32 exec_lo, exec_lo, s15
                                        ; implicit-def: $vgpr9
.LBB38_328:
	s_and_not1_saveexec_b32 s1, s1
; %bb.329:
	v_mov_b32_e32 v8, 0x7f
	v_cmp_lt_u32_e32 vcc_lo, 0x7f800000, v9
	s_delay_alu instid0(VALU_DEP_2)
	v_cndmask_b32_e32 v8, 0x7e, v8, vcc_lo
; %bb.330:
	s_or_b32 exec_lo, exec_lo, s1
	v_lshrrev_b32_e32 v7, 24, v7
	s_delay_alu instid0(VALU_DEP_1)
	v_and_or_b32 v7, 0x80, v7, v8
	global_store_b8 v[4:5], v7, off
.LBB38_331:
	s_mov_b32 s1, 0
.LBB38_332:
	s_delay_alu instid0(SALU_CYCLE_1)
	s_and_not1_b32 vcc_lo, exec_lo, s1
	s_cbranch_vccnz .LBB38_342
; %bb.333:
	v_xor_b32_e32 v7, v2, v3
	v_cls_i32_e32 v8, v3
	s_mov_b32 s1, exec_lo
	s_delay_alu instid0(VALU_DEP_2) | instskip(NEXT) | instid1(VALU_DEP_2)
	v_ashrrev_i32_e32 v7, 31, v7
	v_add_nc_u32_e32 v8, -1, v8
	s_delay_alu instid0(VALU_DEP_2) | instskip(NEXT) | instid1(VALU_DEP_1)
	v_add_nc_u32_e32 v7, 32, v7
	v_min_u32_e32 v9, v8, v7
	s_delay_alu instid0(VALU_DEP_1) | instskip(NEXT) | instid1(VALU_DEP_1)
	v_lshlrev_b64 v[7:8], v9, v[2:3]
	v_min_u32_e32 v7, 1, v7
	s_delay_alu instid0(VALU_DEP_1) | instskip(SKIP_1) | instid1(VALU_DEP_2)
	v_or_b32_e32 v7, v8, v7
	v_sub_nc_u32_e32 v8, 32, v9
	v_cvt_f32_i32_e32 v7, v7
	s_delay_alu instid0(VALU_DEP_1) | instskip(NEXT) | instid1(VALU_DEP_1)
	v_ldexp_f32 v7, v7, v8
                                        ; implicit-def: $vgpr8
	v_and_b32_e32 v9, 0x7fffffff, v7
	s_delay_alu instid0(VALU_DEP_1)
	v_cmpx_gt_u32_e32 0x47800000, v9
	s_xor_b32 s1, exec_lo, s1
	s_cbranch_execz .LBB38_339
; %bb.334:
	s_mov_b32 s15, exec_lo
                                        ; implicit-def: $vgpr8
	v_cmpx_lt_u32_e32 0x387fffff, v9
	s_xor_b32 s15, exec_lo, s15
; %bb.335:
	v_bfe_u32 v8, v7, 21, 1
	s_delay_alu instid0(VALU_DEP_1) | instskip(NEXT) | instid1(VALU_DEP_1)
	v_add3_u32 v8, v7, v8, 0x80fffff
	v_lshrrev_b32_e32 v8, 21, v8
; %bb.336:
	s_and_not1_saveexec_b32 s15, s15
; %bb.337:
	v_add_f32_e64 v8, 0x43000000, |v7|
; %bb.338:
	s_or_b32 exec_lo, exec_lo, s15
                                        ; implicit-def: $vgpr9
.LBB38_339:
	s_and_not1_saveexec_b32 s1, s1
; %bb.340:
	v_mov_b32_e32 v8, 0x7f
	v_cmp_lt_u32_e32 vcc_lo, 0x7f800000, v9
	s_delay_alu instid0(VALU_DEP_2)
	v_cndmask_b32_e32 v8, 0x7c, v8, vcc_lo
; %bb.341:
	s_or_b32 exec_lo, exec_lo, s1
	v_lshrrev_b32_e32 v7, 24, v7
	s_delay_alu instid0(VALU_DEP_1)
	v_and_or_b32 v7, 0x80, v7, v8
	global_store_b8 v[4:5], v7, off
.LBB38_342:
	s_mov_b32 s15, 0
	s_mov_b32 s1, -1
.LBB38_343:
	s_and_not1_b32 vcc_lo, exec_lo, s15
	s_cbranch_vccnz .LBB38_351
; %bb.344:
	v_cmp_lt_i16_e32 vcc_lo, 14, v6
	s_mov_b32 s15, -1
	s_cbranch_vccz .LBB38_348
; %bb.345:
	v_cmp_eq_u16_e32 vcc_lo, 15, v6
	s_mov_b32 s0, -1
	s_cbranch_vccz .LBB38_347
; %bb.346:
	v_xor_b32_e32 v7, v2, v3
	v_cls_i32_e32 v8, v3
	s_mov_b32 s1, -1
	s_mov_b32 s0, 0
	s_delay_alu instid0(VALU_DEP_2) | instskip(NEXT) | instid1(VALU_DEP_2)
	v_ashrrev_i32_e32 v7, 31, v7
	v_add_nc_u32_e32 v8, -1, v8
	s_delay_alu instid0(VALU_DEP_2) | instskip(NEXT) | instid1(VALU_DEP_1)
	v_add_nc_u32_e32 v7, 32, v7
	v_min_u32_e32 v9, v8, v7
	s_delay_alu instid0(VALU_DEP_1) | instskip(NEXT) | instid1(VALU_DEP_1)
	v_lshlrev_b64 v[7:8], v9, v[2:3]
	v_min_u32_e32 v7, 1, v7
	s_delay_alu instid0(VALU_DEP_1) | instskip(SKIP_1) | instid1(VALU_DEP_2)
	v_or_b32_e32 v7, v8, v7
	v_sub_nc_u32_e32 v8, 32, v9
	v_cvt_f32_i32_e32 v7, v7
	s_delay_alu instid0(VALU_DEP_1) | instskip(NEXT) | instid1(VALU_DEP_1)
	v_ldexp_f32 v7, v7, v8
	v_bfe_u32 v8, v7, 16, 1
	s_delay_alu instid0(VALU_DEP_1)
	v_add3_u32 v7, v7, v8, 0x7fff
	global_store_d16_hi_b16 v[4:5], v7, off
.LBB38_347:
	s_mov_b32 s15, 0
.LBB38_348:
	s_delay_alu instid0(SALU_CYCLE_1)
	s_and_b32 vcc_lo, exec_lo, s15
	s_cbranch_vccz .LBB38_351
; %bb.349:
	v_cmp_eq_u16_e32 vcc_lo, 11, v6
	s_mov_b32 s0, -1
	s_cbranch_vccz .LBB38_351
; %bb.350:
	v_cmp_ne_u64_e32 vcc_lo, -1, v[0:1]
	s_mov_b32 s1, -1
	s_mov_b32 s0, 0
	v_cndmask_b32_e64 v0, 0, 1, vcc_lo
	global_store_b8 v[4:5], v0, off
.LBB38_351:
	s_mov_b32 s15, 0
.LBB38_352:
	s_delay_alu instid0(SALU_CYCLE_1)
	s_and_b32 vcc_lo, exec_lo, s15
	s_cbranch_vccz .LBB38_391
; %bb.353:
	v_cmp_gt_i16_e32 vcc_lo, 5, v6
	s_mov_b32 s1, -1
	s_cbranch_vccnz .LBB38_374
; %bb.354:
	v_cmp_gt_i16_e32 vcc_lo, 8, v6
	s_cbranch_vccnz .LBB38_364
; %bb.355:
	v_cmp_gt_i16_e32 vcc_lo, 9, v6
	s_cbranch_vccnz .LBB38_361
; %bb.356:
	v_cmp_lt_i16_e32 vcc_lo, 9, v6
	s_cbranch_vccz .LBB38_358
; %bb.357:
	v_cvt_f64_i32_e32 v[0:1], v3
	v_cvt_f64_u32_e32 v[7:8], v2
	v_mov_b32_e32 v15, 0
	s_mov_b32 s1, 0
	s_delay_alu instid0(VALU_DEP_1) | instskip(NEXT) | instid1(VALU_DEP_4)
	v_mov_b32_e32 v16, v15
	v_ldexp_f64 v[0:1], v[0:1], 32
	s_delay_alu instid0(VALU_DEP_1)
	v_add_f64 v[13:14], v[0:1], v[7:8]
	global_store_b128 v[4:5], v[13:16], off
.LBB38_358:
	s_and_not1_b32 vcc_lo, exec_lo, s1
	s_cbranch_vccnz .LBB38_360
; %bb.359:
	v_xor_b32_e32 v0, v2, v3
	v_cls_i32_e32 v1, v3
	s_delay_alu instid0(VALU_DEP_2) | instskip(NEXT) | instid1(VALU_DEP_2)
	v_ashrrev_i32_e32 v0, 31, v0
	v_add_nc_u32_e32 v1, -1, v1
	s_delay_alu instid0(VALU_DEP_2) | instskip(NEXT) | instid1(VALU_DEP_1)
	v_add_nc_u32_e32 v0, 32, v0
	v_min_u32_e32 v7, v1, v0
	s_delay_alu instid0(VALU_DEP_1) | instskip(NEXT) | instid1(VALU_DEP_1)
	v_lshlrev_b64 v[0:1], v7, v[2:3]
	v_min_u32_e32 v0, 1, v0
	s_delay_alu instid0(VALU_DEP_1) | instskip(SKIP_1) | instid1(VALU_DEP_2)
	v_or_b32_e32 v0, v1, v0
	v_sub_nc_u32_e32 v1, 32, v7
	v_cvt_f32_i32_e32 v0, v0
	s_delay_alu instid0(VALU_DEP_1)
	v_ldexp_f32 v0, v0, v1
	v_mov_b32_e32 v1, 0
	global_store_b64 v[4:5], v[0:1], off
.LBB38_360:
	s_mov_b32 s1, 0
.LBB38_361:
	s_delay_alu instid0(SALU_CYCLE_1)
	s_and_not1_b32 vcc_lo, exec_lo, s1
	s_cbranch_vccnz .LBB38_363
; %bb.362:
	v_xor_b32_e32 v0, v2, v3
	v_cls_i32_e32 v1, v3
	s_delay_alu instid0(VALU_DEP_2) | instskip(NEXT) | instid1(VALU_DEP_2)
	v_ashrrev_i32_e32 v0, 31, v0
	v_add_nc_u32_e32 v1, -1, v1
	s_delay_alu instid0(VALU_DEP_2) | instskip(NEXT) | instid1(VALU_DEP_1)
	v_add_nc_u32_e32 v0, 32, v0
	v_min_u32_e32 v7, v1, v0
	s_delay_alu instid0(VALU_DEP_1) | instskip(NEXT) | instid1(VALU_DEP_1)
	v_lshlrev_b64 v[0:1], v7, v[2:3]
	v_min_u32_e32 v0, 1, v0
	s_delay_alu instid0(VALU_DEP_1) | instskip(SKIP_1) | instid1(VALU_DEP_2)
	v_or_b32_e32 v0, v1, v0
	v_sub_nc_u32_e32 v1, 32, v7
	v_cvt_f32_i32_e32 v0, v0
	s_delay_alu instid0(VALU_DEP_1) | instskip(NEXT) | instid1(VALU_DEP_1)
	v_ldexp_f32 v0, v0, v1
	v_cvt_f16_f32_e32 v0, v0
	s_delay_alu instid0(VALU_DEP_1)
	v_and_b32_e32 v0, 0xffff, v0
	global_store_b32 v[4:5], v0, off
.LBB38_363:
	s_mov_b32 s1, 0
.LBB38_364:
	s_delay_alu instid0(SALU_CYCLE_1)
	s_and_not1_b32 vcc_lo, exec_lo, s1
	s_cbranch_vccnz .LBB38_373
; %bb.365:
	v_cmp_gt_i16_e32 vcc_lo, 6, v6
	s_mov_b32 s1, -1
	s_cbranch_vccnz .LBB38_371
; %bb.366:
	v_cmp_lt_i16_e32 vcc_lo, 6, v6
	s_cbranch_vccz .LBB38_368
; %bb.367:
	v_cvt_f64_i32_e32 v[0:1], v3
	v_cvt_f64_u32_e32 v[7:8], v2
	s_mov_b32 s1, 0
	s_delay_alu instid0(VALU_DEP_2) | instskip(NEXT) | instid1(VALU_DEP_1)
	v_ldexp_f64 v[0:1], v[0:1], 32
	v_add_f64 v[0:1], v[0:1], v[7:8]
	global_store_b64 v[4:5], v[0:1], off
.LBB38_368:
	s_and_not1_b32 vcc_lo, exec_lo, s1
	s_cbranch_vccnz .LBB38_370
; %bb.369:
	v_xor_b32_e32 v0, v2, v3
	v_cls_i32_e32 v1, v3
	s_delay_alu instid0(VALU_DEP_2) | instskip(NEXT) | instid1(VALU_DEP_2)
	v_ashrrev_i32_e32 v0, 31, v0
	v_add_nc_u32_e32 v1, -1, v1
	s_delay_alu instid0(VALU_DEP_2) | instskip(NEXT) | instid1(VALU_DEP_1)
	v_add_nc_u32_e32 v0, 32, v0
	v_min_u32_e32 v7, v1, v0
	s_delay_alu instid0(VALU_DEP_1) | instskip(NEXT) | instid1(VALU_DEP_1)
	v_lshlrev_b64 v[0:1], v7, v[2:3]
	v_min_u32_e32 v0, 1, v0
	s_delay_alu instid0(VALU_DEP_1) | instskip(SKIP_1) | instid1(VALU_DEP_2)
	v_or_b32_e32 v0, v1, v0
	v_sub_nc_u32_e32 v1, 32, v7
	v_cvt_f32_i32_e32 v0, v0
	s_delay_alu instid0(VALU_DEP_1)
	v_ldexp_f32 v0, v0, v1
	global_store_b32 v[4:5], v0, off
.LBB38_370:
	s_mov_b32 s1, 0
.LBB38_371:
	s_delay_alu instid0(SALU_CYCLE_1)
	s_and_not1_b32 vcc_lo, exec_lo, s1
	s_cbranch_vccnz .LBB38_373
; %bb.372:
	v_xor_b32_e32 v0, v2, v3
	v_cls_i32_e32 v1, v3
	s_delay_alu instid0(VALU_DEP_2) | instskip(NEXT) | instid1(VALU_DEP_2)
	v_ashrrev_i32_e32 v0, 31, v0
	v_add_nc_u32_e32 v1, -1, v1
	s_delay_alu instid0(VALU_DEP_2) | instskip(NEXT) | instid1(VALU_DEP_1)
	v_add_nc_u32_e32 v0, 32, v0
	v_min_u32_e32 v7, v1, v0
	s_delay_alu instid0(VALU_DEP_1) | instskip(NEXT) | instid1(VALU_DEP_1)
	v_lshlrev_b64 v[0:1], v7, v[2:3]
	v_min_u32_e32 v0, 1, v0
	s_delay_alu instid0(VALU_DEP_1) | instskip(SKIP_1) | instid1(VALU_DEP_2)
	v_or_b32_e32 v0, v1, v0
	v_sub_nc_u32_e32 v1, 32, v7
	v_cvt_f32_i32_e32 v0, v0
	s_delay_alu instid0(VALU_DEP_1) | instskip(NEXT) | instid1(VALU_DEP_1)
	v_ldexp_f32 v0, v0, v1
	v_cvt_f16_f32_e32 v0, v0
	global_store_b16 v[4:5], v0, off
.LBB38_373:
	s_mov_b32 s1, 0
.LBB38_374:
	s_delay_alu instid0(SALU_CYCLE_1)
	s_and_not1_b32 vcc_lo, exec_lo, s1
	s_cbranch_vccnz .LBB38_390
; %bb.375:
	v_cmp_gt_i16_e32 vcc_lo, 2, v6
	s_mov_b32 s1, -1
	s_cbranch_vccnz .LBB38_385
; %bb.376:
	v_cmp_gt_i16_e32 vcc_lo, 3, v6
	s_cbranch_vccnz .LBB38_382
; %bb.377:
	v_cmp_lt_i16_e32 vcc_lo, 3, v6
	s_cbranch_vccz .LBB38_379
; %bb.378:
	s_mov_b32 s1, 0
	global_store_b64 v[4:5], v[2:3], off
.LBB38_379:
	s_and_not1_b32 vcc_lo, exec_lo, s1
	s_cbranch_vccnz .LBB38_381
; %bb.380:
	global_store_b32 v[4:5], v2, off
.LBB38_381:
	s_mov_b32 s1, 0
.LBB38_382:
	s_delay_alu instid0(SALU_CYCLE_1)
	s_and_not1_b32 vcc_lo, exec_lo, s1
	s_cbranch_vccnz .LBB38_384
; %bb.383:
	global_store_b16 v[4:5], v2, off
.LBB38_384:
	s_mov_b32 s1, 0
.LBB38_385:
	s_delay_alu instid0(SALU_CYCLE_1)
	s_and_not1_b32 vcc_lo, exec_lo, s1
	s_cbranch_vccnz .LBB38_390
; %bb.386:
	v_cmp_lt_i16_e32 vcc_lo, 0, v6
	s_mov_b32 s1, -1
	s_cbranch_vccz .LBB38_388
; %bb.387:
	s_mov_b32 s1, 0
	global_store_b8 v[4:5], v2, off
.LBB38_388:
	s_and_not1_b32 vcc_lo, exec_lo, s1
	s_cbranch_vccnz .LBB38_390
; %bb.389:
	global_store_b8 v[4:5], v2, off
.LBB38_390:
	s_mov_b32 s1, -1
.LBB38_391:
	s_delay_alu instid0(SALU_CYCLE_1)
	s_and_not1_b32 vcc_lo, exec_lo, s1
	s_cbranch_vccnz .LBB38_393
; %bb.392:
	v_add_nc_u32_e32 v11, 0x80, v11
	s_mov_b32 s1, -1
	s_branch .LBB38_502
.LBB38_393:
	s_mov_b32 s1, 0
	s_branch .LBB38_501
.LBB38_394:
	s_mov_b32 s14, -1
                                        ; implicit-def: $vgpr0_vgpr1
.LBB38_395:
	s_mov_b32 s1, 0
.LBB38_396:
	s_delay_alu instid0(SALU_CYCLE_1)
	s_and_b32 vcc_lo, exec_lo, s1
	s_cbranch_vccz .LBB38_400
; %bb.397:
	v_cmp_eq_u16_e32 vcc_lo, 29, v12
	s_cbranch_vccz .LBB38_399
; %bb.398:
	global_load_b64 v[0:1], v[2:3], off
	s_mov_b32 s0, -1
	s_mov_b32 s14, 0
	s_branch .LBB38_400
.LBB38_399:
	s_mov_b32 s14, -1
                                        ; implicit-def: $vgpr0_vgpr1
.LBB38_400:
	s_mov_b32 s1, 0
.LBB38_401:
	s_delay_alu instid0(SALU_CYCLE_1)
	s_and_b32 vcc_lo, exec_lo, s1
	s_cbranch_vccz .LBB38_419
; %bb.402:
	v_cmp_gt_i16_e32 vcc_lo, 27, v12
	s_cbranch_vccnz .LBB38_405
; %bb.403:
	v_cmp_lt_i16_e32 vcc_lo, 27, v12
	s_cbranch_vccz .LBB38_406
; %bb.404:
	global_load_b32 v0, v[2:3], off
	s_waitcnt vmcnt(1)
	v_mov_b32_e32 v1, 0
	s_mov_b32 s0, 0
	s_branch .LBB38_407
.LBB38_405:
	s_mov_b32 s0, -1
                                        ; implicit-def: $vgpr0_vgpr1
	s_branch .LBB38_410
.LBB38_406:
	s_mov_b32 s0, -1
                                        ; implicit-def: $vgpr0_vgpr1
.LBB38_407:
	s_delay_alu instid0(SALU_CYCLE_1)
	s_and_not1_b32 vcc_lo, exec_lo, s0
	s_cbranch_vccnz .LBB38_409
; %bb.408:
	global_load_u16 v0, v[2:3], off
	s_mov_b32 s0, 0
	s_waitcnt vmcnt(0)
	v_dual_mov_b32 v1, s0 :: v_dual_and_b32 v0, 0xffff, v0
.LBB38_409:
	s_mov_b32 s0, 0
.LBB38_410:
	s_delay_alu instid0(SALU_CYCLE_1)
	s_and_not1_b32 vcc_lo, exec_lo, s0
	s_cbranch_vccnz .LBB38_418
; %bb.411:
	global_load_u8 v4, v[2:3], off
	s_mov_b32 s15, 0
	s_mov_b32 s17, exec_lo
                                        ; implicit-def: $sgpr0_sgpr1
	s_waitcnt vmcnt(0)
	v_cmpx_lt_i16_e32 0x7f, v4
	s_xor_b32 s17, exec_lo, s17
; %bb.412:
	v_cmp_ne_u16_e32 vcc_lo, 0x80, v4
	s_mov_b64 s[0:1], 0
	s_and_b32 s15, vcc_lo, exec_lo
; %bb.413:
	s_or_saveexec_b32 s17, s17
	v_dual_mov_b32 v0, s0 :: v_dual_mov_b32 v1, s1
	s_xor_b32 exec_lo, exec_lo, s17
; %bb.414:
	v_cmp_ne_u16_e32 vcc_lo, 0, v4
	v_mov_b32_e32 v0, 0
	v_mov_b32_e32 v1, 0
	s_and_not1_b32 s0, s15, exec_lo
	s_and_b32 s1, vcc_lo, exec_lo
	s_delay_alu instid0(SALU_CYCLE_1)
	s_or_b32 s15, s0, s1
; %bb.415:
	s_or_b32 exec_lo, exec_lo, s17
	s_and_saveexec_b32 s0, s15
	s_cbranch_execz .LBB38_417
; %bb.416:
	v_and_b32_e32 v0, 0xffff, v4
	v_lshlrev_b32_e32 v4, 24, v4
	s_delay_alu instid0(VALU_DEP_2) | instskip(NEXT) | instid1(VALU_DEP_2)
	v_and_b32_e32 v1, 7, v0
	v_and_b32_e32 v4, 0x80000000, v4
	s_delay_alu instid0(VALU_DEP_2) | instskip(NEXT) | instid1(VALU_DEP_1)
	v_clz_i32_u32_e32 v5, v1
	v_min_u32_e32 v5, 32, v5
	s_delay_alu instid0(VALU_DEP_1) | instskip(SKIP_1) | instid1(VALU_DEP_2)
	v_subrev_nc_u32_e32 v6, 28, v5
	v_sub_nc_u32_e32 v5, 29, v5
	v_lshlrev_b32_e32 v6, v6, v0
	v_bfe_u32 v0, v0, 3, 4
	s_delay_alu instid0(VALU_DEP_2) | instskip(NEXT) | instid1(VALU_DEP_2)
	v_and_b32_e32 v6, 7, v6
	v_cmp_eq_u32_e32 vcc_lo, 0, v0
	s_delay_alu instid0(VALU_DEP_2) | instskip(NEXT) | instid1(VALU_DEP_1)
	v_dual_cndmask_b32 v0, v0, v5 :: v_dual_cndmask_b32 v1, v1, v6
	v_lshl_add_u32 v0, v0, 23, 0x3b800000
	s_delay_alu instid0(VALU_DEP_2) | instskip(NEXT) | instid1(VALU_DEP_1)
	v_lshlrev_b32_e32 v1, 20, v1
	v_or3_b32 v0, v4, v0, v1
	s_delay_alu instid0(VALU_DEP_1) | instskip(NEXT) | instid1(VALU_DEP_1)
	v_trunc_f32_e32 v0, v0
	v_mul_f32_e64 v1, 0x2f800000, |v0|
	v_ashrrev_i32_e32 v5, 31, v0
	s_delay_alu instid0(VALU_DEP_2) | instskip(NEXT) | instid1(VALU_DEP_1)
	v_floor_f32_e32 v1, v1
	v_fma_f32 v4, 0xcf800000, v1, |v0|
	v_cvt_u32_f32_e32 v1, v1
	s_delay_alu instid0(VALU_DEP_2) | instskip(NEXT) | instid1(VALU_DEP_2)
	v_cvt_u32_f32_e32 v0, v4
	v_xor_b32_e32 v1, v1, v5
	s_delay_alu instid0(VALU_DEP_2) | instskip(NEXT) | instid1(VALU_DEP_1)
	v_xor_b32_e32 v0, v0, v5
	v_sub_co_u32 v0, vcc_lo, v0, v5
	s_delay_alu instid0(VALU_DEP_3)
	v_sub_co_ci_u32_e32 v1, vcc_lo, v1, v5, vcc_lo
.LBB38_417:
	s_or_b32 exec_lo, exec_lo, s0
.LBB38_418:
	s_mov_b32 s0, -1
.LBB38_419:
	s_mov_b32 s1, 0
.LBB38_420:
	s_delay_alu instid0(SALU_CYCLE_1)
	s_and_b32 vcc_lo, exec_lo, s1
	s_cbranch_vccz .LBB38_451
; %bb.421:
	v_cmp_lt_i16_e32 vcc_lo, 22, v12
	s_cbranch_vccz .LBB38_431
; %bb.422:
	v_cmp_gt_i16_e32 vcc_lo, 24, v12
	s_cbranch_vccnz .LBB38_432
; %bb.423:
	v_cmp_lt_i16_e32 vcc_lo, 24, v12
	s_cbranch_vccz .LBB38_433
; %bb.424:
	global_load_u8 v4, v[2:3], off
	s_mov_b32 s15, 0
	s_mov_b32 s17, exec_lo
                                        ; implicit-def: $sgpr0_sgpr1
	s_waitcnt vmcnt(0)
	v_cmpx_lt_i16_e32 0x7f, v4
	s_xor_b32 s17, exec_lo, s17
; %bb.425:
	v_cmp_ne_u16_e32 vcc_lo, 0x80, v4
	s_mov_b64 s[0:1], 0
	s_and_b32 s15, vcc_lo, exec_lo
; %bb.426:
	s_or_saveexec_b32 s17, s17
	v_dual_mov_b32 v0, s0 :: v_dual_mov_b32 v1, s1
	s_xor_b32 exec_lo, exec_lo, s17
; %bb.427:
	v_cmp_ne_u16_e32 vcc_lo, 0, v4
	v_mov_b32_e32 v0, 0
	v_mov_b32_e32 v1, 0
	s_and_not1_b32 s0, s15, exec_lo
	s_and_b32 s1, vcc_lo, exec_lo
	s_delay_alu instid0(SALU_CYCLE_1)
	s_or_b32 s15, s0, s1
; %bb.428:
	s_or_b32 exec_lo, exec_lo, s17
	s_and_saveexec_b32 s0, s15
	s_cbranch_execz .LBB38_430
; %bb.429:
	v_and_b32_e32 v0, 0xffff, v4
	v_lshlrev_b32_e32 v4, 24, v4
	s_delay_alu instid0(VALU_DEP_2) | instskip(NEXT) | instid1(VALU_DEP_2)
	v_and_b32_e32 v1, 3, v0
	v_and_b32_e32 v4, 0x80000000, v4
	s_delay_alu instid0(VALU_DEP_2) | instskip(NEXT) | instid1(VALU_DEP_1)
	v_clz_i32_u32_e32 v5, v1
	v_min_u32_e32 v5, 32, v5
	s_delay_alu instid0(VALU_DEP_1) | instskip(SKIP_1) | instid1(VALU_DEP_2)
	v_subrev_nc_u32_e32 v6, 29, v5
	v_sub_nc_u32_e32 v5, 30, v5
	v_lshlrev_b32_e32 v6, v6, v0
	v_bfe_u32 v0, v0, 2, 5
	s_delay_alu instid0(VALU_DEP_2) | instskip(NEXT) | instid1(VALU_DEP_2)
	v_and_b32_e32 v6, 3, v6
	v_cmp_eq_u32_e32 vcc_lo, 0, v0
	s_delay_alu instid0(VALU_DEP_2) | instskip(NEXT) | instid1(VALU_DEP_1)
	v_dual_cndmask_b32 v0, v0, v5 :: v_dual_cndmask_b32 v1, v1, v6
	v_lshl_add_u32 v0, v0, 23, 0x37800000
	s_delay_alu instid0(VALU_DEP_2) | instskip(NEXT) | instid1(VALU_DEP_1)
	v_lshlrev_b32_e32 v1, 21, v1
	v_or3_b32 v0, v4, v0, v1
	s_delay_alu instid0(VALU_DEP_1) | instskip(NEXT) | instid1(VALU_DEP_1)
	v_trunc_f32_e32 v0, v0
	v_mul_f32_e64 v1, 0x2f800000, |v0|
	v_ashrrev_i32_e32 v5, 31, v0
	s_delay_alu instid0(VALU_DEP_2) | instskip(NEXT) | instid1(VALU_DEP_1)
	v_floor_f32_e32 v1, v1
	v_fma_f32 v4, 0xcf800000, v1, |v0|
	v_cvt_u32_f32_e32 v1, v1
	s_delay_alu instid0(VALU_DEP_2) | instskip(NEXT) | instid1(VALU_DEP_2)
	v_cvt_u32_f32_e32 v0, v4
	v_xor_b32_e32 v1, v1, v5
	s_delay_alu instid0(VALU_DEP_2) | instskip(NEXT) | instid1(VALU_DEP_1)
	v_xor_b32_e32 v0, v0, v5
	v_sub_co_u32 v0, vcc_lo, v0, v5
	s_delay_alu instid0(VALU_DEP_3)
	v_sub_co_ci_u32_e32 v1, vcc_lo, v1, v5, vcc_lo
.LBB38_430:
	s_or_b32 exec_lo, exec_lo, s0
	s_mov_b32 s0, 0
	s_branch .LBB38_434
.LBB38_431:
	s_mov_b32 s1, -1
                                        ; implicit-def: $vgpr0_vgpr1
	s_branch .LBB38_440
.LBB38_432:
	s_mov_b32 s0, -1
                                        ; implicit-def: $vgpr0_vgpr1
	s_branch .LBB38_437
.LBB38_433:
	s_mov_b32 s0, -1
                                        ; implicit-def: $vgpr0_vgpr1
.LBB38_434:
	s_delay_alu instid0(SALU_CYCLE_1)
	s_and_b32 vcc_lo, exec_lo, s0
	s_cbranch_vccz .LBB38_436
; %bb.435:
	global_load_u8 v0, v[2:3], off
	s_waitcnt vmcnt(0)
	v_lshlrev_b32_e32 v0, 24, v0
	s_delay_alu instid0(VALU_DEP_1) | instskip(NEXT) | instid1(VALU_DEP_1)
	v_and_b32_e32 v1, 0x7f000000, v0
	v_clz_i32_u32_e32 v4, v1
	v_cmp_ne_u32_e32 vcc_lo, 0, v1
	v_add_nc_u32_e32 v6, 0x1000000, v1
	s_delay_alu instid0(VALU_DEP_3) | instskip(NEXT) | instid1(VALU_DEP_1)
	v_min_u32_e32 v4, 32, v4
	v_sub_nc_u32_e64 v4, v4, 4 clamp
	s_delay_alu instid0(VALU_DEP_1) | instskip(SKIP_1) | instid1(VALU_DEP_2)
	v_lshlrev_b32_e32 v5, v4, v1
	v_lshlrev_b32_e32 v4, 23, v4
	v_lshrrev_b32_e32 v5, 4, v5
	s_delay_alu instid0(VALU_DEP_1) | instskip(SKIP_1) | instid1(VALU_DEP_2)
	v_sub_nc_u32_e32 v4, v5, v4
	v_ashrrev_i32_e32 v5, 8, v6
	v_add_nc_u32_e32 v4, 0x3c000000, v4
	s_delay_alu instid0(VALU_DEP_1) | instskip(NEXT) | instid1(VALU_DEP_1)
	v_and_or_b32 v4, 0x7f800000, v5, v4
	v_cndmask_b32_e32 v1, 0, v4, vcc_lo
	s_delay_alu instid0(VALU_DEP_1) | instskip(NEXT) | instid1(VALU_DEP_1)
	v_and_or_b32 v0, 0x80000000, v0, v1
	v_trunc_f32_e32 v0, v0
	s_delay_alu instid0(VALU_DEP_1) | instskip(SKIP_1) | instid1(VALU_DEP_2)
	v_mul_f32_e64 v1, 0x2f800000, |v0|
	v_ashrrev_i32_e32 v5, 31, v0
	v_floor_f32_e32 v1, v1
	s_delay_alu instid0(VALU_DEP_1) | instskip(SKIP_1) | instid1(VALU_DEP_2)
	v_fma_f32 v4, 0xcf800000, v1, |v0|
	v_cvt_u32_f32_e32 v1, v1
	v_cvt_u32_f32_e32 v0, v4
	s_delay_alu instid0(VALU_DEP_2) | instskip(NEXT) | instid1(VALU_DEP_2)
	v_xor_b32_e32 v1, v1, v5
	v_xor_b32_e32 v0, v0, v5
	s_delay_alu instid0(VALU_DEP_1) | instskip(NEXT) | instid1(VALU_DEP_3)
	v_sub_co_u32 v0, vcc_lo, v0, v5
	v_sub_co_ci_u32_e32 v1, vcc_lo, v1, v5, vcc_lo
.LBB38_436:
	s_mov_b32 s0, 0
.LBB38_437:
	s_delay_alu instid0(SALU_CYCLE_1)
	s_and_not1_b32 vcc_lo, exec_lo, s0
	s_cbranch_vccnz .LBB38_439
; %bb.438:
	global_load_u8 v0, v[2:3], off
	s_waitcnt vmcnt(0)
	v_lshlrev_b32_e32 v1, 25, v0
	v_lshlrev_b16 v0, 8, v0
	s_delay_alu instid0(VALU_DEP_2) | instskip(NEXT) | instid1(VALU_DEP_2)
	v_lshrrev_b32_e32 v4, 4, v1
	v_and_or_b32 v5, 0x7f00, v0, 0.5
	v_cmp_gt_u32_e32 vcc_lo, 0x8000000, v1
	v_bfe_i32 v0, v0, 0, 16
	s_delay_alu instid0(VALU_DEP_4) | instskip(NEXT) | instid1(VALU_DEP_1)
	v_or_b32_e32 v4, 0x70000000, v4
	v_dual_add_f32 v5, -0.5, v5 :: v_dual_mul_f32 v4, 0x7800000, v4
	s_delay_alu instid0(VALU_DEP_1) | instskip(NEXT) | instid1(VALU_DEP_1)
	v_cndmask_b32_e32 v1, v4, v5, vcc_lo
	v_and_or_b32 v0, 0x80000000, v0, v1
	s_delay_alu instid0(VALU_DEP_1) | instskip(NEXT) | instid1(VALU_DEP_1)
	v_trunc_f32_e32 v0, v0
	v_mul_f32_e64 v1, 0x2f800000, |v0|
	v_ashrrev_i32_e32 v5, 31, v0
	s_delay_alu instid0(VALU_DEP_2) | instskip(NEXT) | instid1(VALU_DEP_1)
	v_floor_f32_e32 v1, v1
	v_fma_f32 v4, 0xcf800000, v1, |v0|
	v_cvt_u32_f32_e32 v1, v1
	s_delay_alu instid0(VALU_DEP_2) | instskip(NEXT) | instid1(VALU_DEP_2)
	v_cvt_u32_f32_e32 v0, v4
	v_xor_b32_e32 v1, v1, v5
	s_delay_alu instid0(VALU_DEP_2) | instskip(NEXT) | instid1(VALU_DEP_1)
	v_xor_b32_e32 v0, v0, v5
	v_sub_co_u32 v0, vcc_lo, v0, v5
	s_delay_alu instid0(VALU_DEP_3)
	v_sub_co_ci_u32_e32 v1, vcc_lo, v1, v5, vcc_lo
.LBB38_439:
	s_mov_b32 s1, 0
	s_mov_b32 s0, -1
.LBB38_440:
	s_and_not1_b32 vcc_lo, exec_lo, s1
	s_cbranch_vccnz .LBB38_451
; %bb.441:
	v_cmp_lt_i16_e32 vcc_lo, 14, v12
	s_cbranch_vccz .LBB38_444
; %bb.442:
	v_cmp_eq_u16_e32 vcc_lo, 15, v12
	s_cbranch_vccz .LBB38_445
; %bb.443:
	global_load_u16 v0, v[2:3], off
	s_mov_b32 s0, -1
	s_mov_b32 s14, 0
	s_waitcnt vmcnt(0)
	v_lshlrev_b32_e32 v0, 16, v0
	s_delay_alu instid0(VALU_DEP_1) | instskip(NEXT) | instid1(VALU_DEP_1)
	v_trunc_f32_e32 v0, v0
	v_mul_f32_e64 v1, 0x2f800000, |v0|
	v_ashrrev_i32_e32 v5, 31, v0
	s_delay_alu instid0(VALU_DEP_2) | instskip(NEXT) | instid1(VALU_DEP_1)
	v_floor_f32_e32 v1, v1
	v_fma_f32 v4, 0xcf800000, v1, |v0|
	v_cvt_u32_f32_e32 v1, v1
	s_delay_alu instid0(VALU_DEP_2) | instskip(NEXT) | instid1(VALU_DEP_2)
	v_cvt_u32_f32_e32 v0, v4
	v_xor_b32_e32 v1, v1, v5
	s_delay_alu instid0(VALU_DEP_2) | instskip(NEXT) | instid1(VALU_DEP_1)
	v_xor_b32_e32 v0, v0, v5
	v_sub_co_u32 v0, vcc_lo, v0, v5
	s_delay_alu instid0(VALU_DEP_3)
	v_sub_co_ci_u32_e32 v1, vcc_lo, v1, v5, vcc_lo
	s_branch .LBB38_446
.LBB38_444:
	s_mov_b32 s1, -1
                                        ; implicit-def: $vgpr0_vgpr1
	s_branch .LBB38_447
.LBB38_445:
	s_mov_b32 s14, -1
                                        ; implicit-def: $vgpr0_vgpr1
.LBB38_446:
	s_mov_b32 s1, 0
.LBB38_447:
	s_delay_alu instid0(SALU_CYCLE_1)
	s_and_b32 vcc_lo, exec_lo, s1
	s_cbranch_vccz .LBB38_451
; %bb.448:
	v_cmp_eq_u16_e32 vcc_lo, 11, v12
	s_cbranch_vccz .LBB38_450
; %bb.449:
	global_load_u8 v0, v[2:3], off
	s_mov_b32 s14, 0
	s_mov_b32 s0, -1
	s_waitcnt vmcnt(1)
	v_mov_b32_e32 v1, s14
	s_waitcnt vmcnt(0)
	v_cmp_ne_u16_e32 vcc_lo, 0, v0
	v_cndmask_b32_e64 v0, 0, 1, vcc_lo
	s_branch .LBB38_451
.LBB38_450:
	s_mov_b32 s14, -1
                                        ; implicit-def: $vgpr0_vgpr1
.LBB38_451:
	s_branch .LBB38_257
.LBB38_452:
	v_cmp_gt_i16_e32 vcc_lo, 5, v12
	s_cbranch_vccnz .LBB38_457
; %bb.453:
	v_cmp_gt_i16_e32 vcc_lo, 8, v12
	s_cbranch_vccnz .LBB38_458
; %bb.454:
	;; [unrolled: 3-line block ×3, first 2 shown]
	v_cmp_lt_i16_e32 vcc_lo, 9, v12
	s_cbranch_vccz .LBB38_460
; %bb.456:
	global_load_b64 v[0:1], v[2:3], off
	s_mov_b32 s0, 0
	s_waitcnt vmcnt(0)
	v_trunc_f64_e32 v[0:1], v[0:1]
	s_delay_alu instid0(VALU_DEP_1) | instskip(NEXT) | instid1(VALU_DEP_1)
	v_ldexp_f64 v[4:5], v[0:1], 0xffffffe0
	v_floor_f64_e32 v[4:5], v[4:5]
	s_delay_alu instid0(VALU_DEP_1) | instskip(SKIP_1) | instid1(VALU_DEP_2)
	v_fma_f64 v[6:7], 0xc1f00000, v[4:5], v[0:1]
	v_cvt_i32_f64_e32 v1, v[4:5]
	v_cvt_u32_f64_e32 v0, v[6:7]
	s_branch .LBB38_461
.LBB38_457:
	s_mov_b32 s0, -1
                                        ; implicit-def: $vgpr0_vgpr1
	s_branch .LBB38_479
.LBB38_458:
	s_mov_b32 s0, -1
                                        ; implicit-def: $vgpr0_vgpr1
	s_branch .LBB38_467
.LBB38_459:
	s_mov_b32 s0, -1
                                        ; implicit-def: $vgpr0_vgpr1
	s_branch .LBB38_464
.LBB38_460:
	s_mov_b32 s0, -1
                                        ; implicit-def: $vgpr0_vgpr1
.LBB38_461:
	s_delay_alu instid0(SALU_CYCLE_1)
	s_and_not1_b32 vcc_lo, exec_lo, s0
	s_cbranch_vccnz .LBB38_463
; %bb.462:
	global_load_b32 v0, v[2:3], off
	s_waitcnt vmcnt(0)
	v_trunc_f32_e32 v0, v0
	s_delay_alu instid0(VALU_DEP_1) | instskip(SKIP_1) | instid1(VALU_DEP_2)
	v_mul_f32_e64 v1, 0x2f800000, |v0|
	v_ashrrev_i32_e32 v5, 31, v0
	v_floor_f32_e32 v1, v1
	s_delay_alu instid0(VALU_DEP_1) | instskip(SKIP_1) | instid1(VALU_DEP_2)
	v_fma_f32 v4, 0xcf800000, v1, |v0|
	v_cvt_u32_f32_e32 v1, v1
	v_cvt_u32_f32_e32 v0, v4
	s_delay_alu instid0(VALU_DEP_2) | instskip(NEXT) | instid1(VALU_DEP_2)
	v_xor_b32_e32 v1, v1, v5
	v_xor_b32_e32 v0, v0, v5
	s_delay_alu instid0(VALU_DEP_1) | instskip(NEXT) | instid1(VALU_DEP_3)
	v_sub_co_u32 v0, vcc_lo, v0, v5
	v_sub_co_ci_u32_e32 v1, vcc_lo, v1, v5, vcc_lo
.LBB38_463:
	s_mov_b32 s0, 0
.LBB38_464:
	s_delay_alu instid0(SALU_CYCLE_1)
	s_and_not1_b32 vcc_lo, exec_lo, s0
	s_cbranch_vccnz .LBB38_466
; %bb.465:
	global_load_b32 v0, v[2:3], off
	s_waitcnt vmcnt(0)
	v_cvt_f32_f16_e32 v0, v0
	s_delay_alu instid0(VALU_DEP_1) | instskip(NEXT) | instid1(VALU_DEP_1)
	v_cvt_i32_f32_e32 v0, v0
	v_ashrrev_i32_e32 v1, 31, v0
.LBB38_466:
	s_mov_b32 s0, 0
.LBB38_467:
	s_delay_alu instid0(SALU_CYCLE_1)
	s_and_not1_b32 vcc_lo, exec_lo, s0
	s_cbranch_vccnz .LBB38_478
; %bb.468:
	v_cmp_gt_i16_e32 vcc_lo, 6, v12
	s_cbranch_vccnz .LBB38_471
; %bb.469:
	v_cmp_lt_i16_e32 vcc_lo, 6, v12
	s_cbranch_vccz .LBB38_472
; %bb.470:
	global_load_b64 v[0:1], v[2:3], off
	s_mov_b32 s0, 0
	s_waitcnt vmcnt(0)
	v_trunc_f64_e32 v[0:1], v[0:1]
	s_delay_alu instid0(VALU_DEP_1) | instskip(NEXT) | instid1(VALU_DEP_1)
	v_ldexp_f64 v[4:5], v[0:1], 0xffffffe0
	v_floor_f64_e32 v[4:5], v[4:5]
	s_delay_alu instid0(VALU_DEP_1) | instskip(SKIP_1) | instid1(VALU_DEP_2)
	v_fma_f64 v[6:7], 0xc1f00000, v[4:5], v[0:1]
	v_cvt_i32_f64_e32 v1, v[4:5]
	v_cvt_u32_f64_e32 v0, v[6:7]
	s_branch .LBB38_473
.LBB38_471:
	s_mov_b32 s0, -1
                                        ; implicit-def: $vgpr0_vgpr1
	s_branch .LBB38_476
.LBB38_472:
	s_mov_b32 s0, -1
                                        ; implicit-def: $vgpr0_vgpr1
.LBB38_473:
	s_delay_alu instid0(SALU_CYCLE_1)
	s_and_not1_b32 vcc_lo, exec_lo, s0
	s_cbranch_vccnz .LBB38_475
; %bb.474:
	global_load_b32 v0, v[2:3], off
	s_waitcnt vmcnt(0)
	v_trunc_f32_e32 v0, v0
	s_delay_alu instid0(VALU_DEP_1) | instskip(SKIP_1) | instid1(VALU_DEP_2)
	v_mul_f32_e64 v1, 0x2f800000, |v0|
	v_ashrrev_i32_e32 v5, 31, v0
	v_floor_f32_e32 v1, v1
	s_delay_alu instid0(VALU_DEP_1) | instskip(SKIP_1) | instid1(VALU_DEP_2)
	v_fma_f32 v4, 0xcf800000, v1, |v0|
	v_cvt_u32_f32_e32 v1, v1
	v_cvt_u32_f32_e32 v0, v4
	s_delay_alu instid0(VALU_DEP_2) | instskip(NEXT) | instid1(VALU_DEP_2)
	v_xor_b32_e32 v1, v1, v5
	v_xor_b32_e32 v0, v0, v5
	s_delay_alu instid0(VALU_DEP_1) | instskip(NEXT) | instid1(VALU_DEP_3)
	v_sub_co_u32 v0, vcc_lo, v0, v5
	v_sub_co_ci_u32_e32 v1, vcc_lo, v1, v5, vcc_lo
.LBB38_475:
	s_mov_b32 s0, 0
.LBB38_476:
	s_delay_alu instid0(SALU_CYCLE_1)
	s_and_not1_b32 vcc_lo, exec_lo, s0
	s_cbranch_vccnz .LBB38_478
; %bb.477:
	global_load_u16 v0, v[2:3], off
	s_waitcnt vmcnt(0)
	v_cvt_f32_f16_e32 v0, v0
	s_delay_alu instid0(VALU_DEP_1) | instskip(NEXT) | instid1(VALU_DEP_1)
	v_cvt_i32_f32_e32 v0, v0
	v_ashrrev_i32_e32 v1, 31, v0
.LBB38_478:
	s_mov_b32 s0, 0
.LBB38_479:
	s_delay_alu instid0(SALU_CYCLE_1)
	s_and_not1_b32 vcc_lo, exec_lo, s0
	s_cbranch_vccnz .LBB38_499
; %bb.480:
	v_cmp_gt_i16_e32 vcc_lo, 2, v12
	s_cbranch_vccnz .LBB38_484
; %bb.481:
	v_cmp_gt_i16_e32 vcc_lo, 3, v12
	s_cbranch_vccnz .LBB38_485
; %bb.482:
	v_cmp_lt_i16_e32 vcc_lo, 3, v12
	s_cbranch_vccz .LBB38_486
; %bb.483:
	global_load_b64 v[0:1], v[2:3], off
	s_mov_b32 s0, 0
	s_branch .LBB38_487
.LBB38_484:
	s_mov_b32 s0, -1
                                        ; implicit-def: $vgpr0_vgpr1
	s_branch .LBB38_493
.LBB38_485:
	s_mov_b32 s0, -1
                                        ; implicit-def: $vgpr0_vgpr1
	s_branch .LBB38_490
.LBB38_486:
	s_mov_b32 s0, -1
                                        ; implicit-def: $vgpr0_vgpr1
.LBB38_487:
	s_delay_alu instid0(SALU_CYCLE_1)
	s_and_not1_b32 vcc_lo, exec_lo, s0
	s_cbranch_vccnz .LBB38_489
; %bb.488:
	global_load_b32 v0, v[2:3], off
	s_waitcnt vmcnt(0)
	v_ashrrev_i32_e32 v1, 31, v0
.LBB38_489:
	s_mov_b32 s0, 0
.LBB38_490:
	s_delay_alu instid0(SALU_CYCLE_1)
	s_and_not1_b32 vcc_lo, exec_lo, s0
	s_cbranch_vccnz .LBB38_492
; %bb.491:
	global_load_u16 v0, v[2:3], off
	s_waitcnt vmcnt(0)
	v_bfe_i32 v0, v0, 0, 16
	s_delay_alu instid0(VALU_DEP_1)
	v_ashrrev_i32_e32 v1, 31, v0
.LBB38_492:
	s_mov_b32 s0, 0
.LBB38_493:
	s_delay_alu instid0(SALU_CYCLE_1)
	s_and_not1_b32 vcc_lo, exec_lo, s0
	s_cbranch_vccnz .LBB38_499
; %bb.494:
	v_cmp_lt_i16_e32 vcc_lo, 0, v12
	s_mov_b32 s0, 0
	s_cbranch_vccz .LBB38_496
; %bb.495:
	global_load_i8 v0, v[2:3], off
	s_waitcnt vmcnt(0)
	v_bfe_i32 v0, v0, 0, 16
	s_delay_alu instid0(VALU_DEP_1)
	v_ashrrev_i32_e32 v1, 31, v0
	s_branch .LBB38_497
.LBB38_496:
	s_mov_b32 s0, -1
                                        ; implicit-def: $vgpr0_vgpr1
.LBB38_497:
	s_delay_alu instid0(SALU_CYCLE_1)
	s_and_not1_b32 vcc_lo, exec_lo, s0
	s_cbranch_vccnz .LBB38_499
; %bb.498:
	global_load_u8 v0, v[2:3], off
	s_mov_b32 s0, 0
	s_waitcnt vmcnt(0)
	v_dual_mov_b32 v1, s0 :: v_dual_and_b32 v0, 0xffff, v0
.LBB38_499:
	s_branch .LBB38_258
.LBB38_500:
	s_mov_b32 s1, 0
	s_mov_b32 s0, s10
.LBB38_501:
                                        ; implicit-def: $vgpr11
.LBB38_502:
	s_and_not1_b32 s15, s10, exec_lo
	s_and_b32 s0, s0, exec_lo
	s_and_not1_b32 s17, s12, exec_lo
	s_and_b32 s14, s14, exec_lo
	s_or_b32 s15, s15, s0
	s_or_b32 s14, s17, s14
	s_or_not1_b32 s18, s1, exec_lo
.LBB38_503:
	s_or_b32 exec_lo, exec_lo, s16
	s_mov_b32 s1, 0
	s_mov_b32 s17, 0
	;; [unrolled: 1-line block ×3, first 2 shown]
                                        ; implicit-def: $vgpr2_vgpr3
                                        ; implicit-def: $vgpr0_vgpr1
	s_and_saveexec_b32 s16, s18
	s_cbranch_execz .LBB38_842
; %bb.504:
	s_mov_b32 s0, -1
	s_mov_b32 s18, s14
	s_mov_b32 s19, s15
	s_mov_b32 s17, exec_lo
	v_cmpx_gt_i32_e64 s11, v11
	s_cbranch_execz .LBB38_760
; %bb.505:
	s_waitcnt vmcnt(0)
	v_mul_lo_u32 v0, v11, s3
	v_cmp_gt_i16_e32 vcc_lo, 11, v12
	s_delay_alu instid0(VALU_DEP_2) | instskip(SKIP_1) | instid1(VALU_DEP_1)
	v_ashrrev_i32_e32 v1, 31, v0
	v_add_co_u32 v2, s0, s6, v0
	v_add_co_ci_u32_e64 v3, s0, s7, v1, s0
	s_cbranch_vccnz .LBB38_512
; %bb.506:
	v_cmp_lt_i16_e32 vcc_lo, 25, v12
	s_cbranch_vccz .LBB38_513
; %bb.507:
	v_cmp_lt_i16_e32 vcc_lo, 28, v12
	s_cbranch_vccz .LBB38_514
	;; [unrolled: 3-line block ×4, first 2 shown]
; %bb.510:
	v_cmp_eq_u16_e32 vcc_lo, 46, v12
	s_cbranch_vccz .LBB38_521
; %bb.511:
	global_load_b32 v0, v[2:3], off
	s_mov_b32 s0, -1
	s_mov_b32 s18, 0
	s_waitcnt vmcnt(0)
	v_lshlrev_b32_e32 v0, 16, v0
	s_delay_alu instid0(VALU_DEP_1) | instskip(NEXT) | instid1(VALU_DEP_1)
	v_trunc_f32_e32 v0, v0
	v_mul_f32_e64 v1, 0x2f800000, |v0|
	v_ashrrev_i32_e32 v5, 31, v0
	s_delay_alu instid0(VALU_DEP_2) | instskip(NEXT) | instid1(VALU_DEP_1)
	v_floor_f32_e32 v1, v1
	v_fma_f32 v4, 0xcf800000, v1, |v0|
	v_cvt_u32_f32_e32 v1, v1
	s_delay_alu instid0(VALU_DEP_2) | instskip(NEXT) | instid1(VALU_DEP_2)
	v_cvt_u32_f32_e32 v0, v4
	v_xor_b32_e32 v1, v1, v5
	s_delay_alu instid0(VALU_DEP_2) | instskip(NEXT) | instid1(VALU_DEP_1)
	v_xor_b32_e32 v0, v0, v5
	v_sub_co_u32 v0, vcc_lo, v0, v5
	s_delay_alu instid0(VALU_DEP_3)
	v_sub_co_ci_u32_e32 v1, vcc_lo, v1, v5, vcc_lo
	s_branch .LBB38_523
.LBB38_512:
	s_mov_b32 s1, -1
	s_mov_b32 s0, 0
	s_mov_b32 s18, s14
                                        ; implicit-def: $vgpr0_vgpr1
	s_branch .LBB38_584
.LBB38_513:
	s_mov_b32 s1, -1
	s_mov_b32 s0, 0
	s_mov_b32 s18, s14
                                        ; implicit-def: $vgpr0_vgpr1
	s_branch .LBB38_552
.LBB38_514:
	s_mov_b32 s1, -1
	s_mov_b32 s0, 0
	s_mov_b32 s18, s14
                                        ; implicit-def: $vgpr0_vgpr1
	s_branch .LBB38_533
.LBB38_515:
	s_mov_b32 s1, -1
	s_mov_b32 s0, 0
	s_mov_b32 s18, s14
                                        ; implicit-def: $vgpr0_vgpr1
	s_branch .LBB38_528
.LBB38_516:
	s_or_saveexec_b32 s17, s17
                                        ; implicit-def: $sgpr18
	s_delay_alu instid0(SALU_CYCLE_1)
	s_xor_b32 exec_lo, exec_lo, s17
	s_cbranch_execz .LBB38_304
.LBB38_517:
	v_add_f32_e64 v8, 0x46000000, |v7|
	s_and_not1_b32 s15, s15, exec_lo
	s_mov_b32 s18, 0
	s_delay_alu instid0(VALU_DEP_1) | instskip(NEXT) | instid1(VALU_DEP_1)
	v_and_b32_e32 v8, 0xff, v8
	v_cmp_ne_u32_e32 vcc_lo, 0, v8
	s_and_b32 s19, vcc_lo, exec_lo
	s_delay_alu instid0(SALU_CYCLE_1)
	s_or_b32 s15, s15, s19
	s_or_b32 exec_lo, exec_lo, s17
	v_mov_b32_e32 v9, s18
	s_and_saveexec_b32 s17, s15
	s_cbranch_execnz .LBB38_305
	s_branch .LBB38_306
.LBB38_518:
	s_mov_b32 s1, -1
	s_mov_b32 s0, 0
	s_mov_b32 s18, s14
	s_branch .LBB38_522
.LBB38_519:
	s_or_saveexec_b32 s17, s17
                                        ; implicit-def: $sgpr18
	s_delay_alu instid0(SALU_CYCLE_1)
	s_xor_b32 exec_lo, exec_lo, s17
	s_cbranch_execz .LBB38_317
.LBB38_520:
	v_add_f32_e64 v8, 0x42800000, |v7|
	s_and_not1_b32 s15, s15, exec_lo
	s_mov_b32 s18, 0
	s_delay_alu instid0(VALU_DEP_1) | instskip(NEXT) | instid1(VALU_DEP_1)
	v_and_b32_e32 v8, 0xff, v8
	v_cmp_ne_u32_e32 vcc_lo, 0, v8
	s_and_b32 s19, vcc_lo, exec_lo
	s_delay_alu instid0(SALU_CYCLE_1)
	s_or_b32 s15, s15, s19
	s_or_b32 exec_lo, exec_lo, s17
	v_mov_b32_e32 v9, s18
	s_and_saveexec_b32 s17, s15
	s_cbranch_execnz .LBB38_318
	s_branch .LBB38_319
.LBB38_521:
	s_mov_b32 s18, -1
	s_mov_b32 s0, 0
.LBB38_522:
                                        ; implicit-def: $vgpr0_vgpr1
.LBB38_523:
	s_and_b32 vcc_lo, exec_lo, s1
	s_cbranch_vccz .LBB38_527
; %bb.524:
	v_cmp_eq_u16_e32 vcc_lo, 44, v12
	s_cbranch_vccz .LBB38_526
; %bb.525:
	global_load_u8 v0, v[2:3], off
	s_mov_b32 s18, 0
	s_mov_b32 s0, -1
	s_waitcnt vmcnt(0)
	v_lshlrev_b32_e32 v1, 23, v0
	s_delay_alu instid0(VALU_DEP_1) | instskip(NEXT) | instid1(VALU_DEP_1)
	v_trunc_f32_e32 v1, v1
	v_mul_f32_e64 v4, 0x2f800000, |v1|
	s_delay_alu instid0(VALU_DEP_1) | instskip(NEXT) | instid1(VALU_DEP_1)
	v_floor_f32_e32 v4, v4
	v_fma_f32 v5, 0xcf800000, v4, |v1|
	v_ashrrev_i32_e32 v1, 31, v1
	v_cvt_u32_f32_e32 v4, v4
	s_delay_alu instid0(VALU_DEP_3) | instskip(NEXT) | instid1(VALU_DEP_2)
	v_cvt_u32_f32_e32 v5, v5
	v_xor_b32_e32 v4, v4, v1
	s_delay_alu instid0(VALU_DEP_2) | instskip(NEXT) | instid1(VALU_DEP_1)
	v_xor_b32_e32 v5, v5, v1
	v_sub_co_u32 v5, vcc_lo, v5, v1
	s_delay_alu instid0(VALU_DEP_3) | instskip(SKIP_1) | instid1(VALU_DEP_3)
	v_sub_co_ci_u32_e32 v1, vcc_lo, v4, v1, vcc_lo
	v_cmp_ne_u32_e32 vcc_lo, 0, v0
	v_cndmask_b32_e32 v0, 0, v5, vcc_lo
	s_delay_alu instid0(VALU_DEP_3)
	v_cndmask_b32_e32 v1, 0, v1, vcc_lo
	s_branch .LBB38_527
.LBB38_526:
	s_mov_b32 s18, -1
                                        ; implicit-def: $vgpr0_vgpr1
.LBB38_527:
	s_mov_b32 s1, 0
.LBB38_528:
	s_delay_alu instid0(SALU_CYCLE_1)
	s_and_b32 vcc_lo, exec_lo, s1
	s_cbranch_vccz .LBB38_532
; %bb.529:
	v_cmp_eq_u16_e32 vcc_lo, 29, v12
	s_cbranch_vccz .LBB38_531
; %bb.530:
	global_load_b64 v[0:1], v[2:3], off
	s_mov_b32 s0, -1
	s_mov_b32 s18, 0
	s_branch .LBB38_532
.LBB38_531:
	s_mov_b32 s18, -1
                                        ; implicit-def: $vgpr0_vgpr1
.LBB38_532:
	s_mov_b32 s1, 0
.LBB38_533:
	s_delay_alu instid0(SALU_CYCLE_1)
	s_and_b32 vcc_lo, exec_lo, s1
	s_cbranch_vccz .LBB38_551
; %bb.534:
	v_cmp_gt_i16_e32 vcc_lo, 27, v12
	s_cbranch_vccnz .LBB38_537
; %bb.535:
	v_cmp_lt_i16_e32 vcc_lo, 27, v12
	s_cbranch_vccz .LBB38_538
; %bb.536:
	global_load_b32 v0, v[2:3], off
	s_waitcnt vmcnt(1)
	v_mov_b32_e32 v1, 0
	s_mov_b32 s0, 0
	s_branch .LBB38_539
.LBB38_537:
	s_mov_b32 s0, -1
                                        ; implicit-def: $vgpr0_vgpr1
	s_branch .LBB38_542
.LBB38_538:
	s_mov_b32 s0, -1
                                        ; implicit-def: $vgpr0_vgpr1
.LBB38_539:
	s_delay_alu instid0(SALU_CYCLE_1)
	s_and_not1_b32 vcc_lo, exec_lo, s0
	s_cbranch_vccnz .LBB38_541
; %bb.540:
	global_load_u16 v0, v[2:3], off
	s_mov_b32 s0, 0
	s_waitcnt vmcnt(0)
	v_dual_mov_b32 v1, s0 :: v_dual_and_b32 v0, 0xffff, v0
.LBB38_541:
	s_mov_b32 s0, 0
.LBB38_542:
	s_delay_alu instid0(SALU_CYCLE_1)
	s_and_not1_b32 vcc_lo, exec_lo, s0
	s_cbranch_vccnz .LBB38_550
; %bb.543:
	global_load_u8 v4, v[2:3], off
	s_mov_b32 s19, 0
	s_mov_b32 s20, exec_lo
                                        ; implicit-def: $sgpr0_sgpr1
	s_waitcnt vmcnt(0)
	v_cmpx_lt_i16_e32 0x7f, v4
	s_xor_b32 s20, exec_lo, s20
; %bb.544:
	v_cmp_ne_u16_e32 vcc_lo, 0x80, v4
	s_mov_b64 s[0:1], 0
	s_and_b32 s19, vcc_lo, exec_lo
; %bb.545:
	s_or_saveexec_b32 s20, s20
	v_dual_mov_b32 v0, s0 :: v_dual_mov_b32 v1, s1
	s_xor_b32 exec_lo, exec_lo, s20
; %bb.546:
	v_cmp_ne_u16_e32 vcc_lo, 0, v4
	v_mov_b32_e32 v0, 0
	v_mov_b32_e32 v1, 0
	s_and_not1_b32 s0, s19, exec_lo
	s_and_b32 s1, vcc_lo, exec_lo
	s_delay_alu instid0(SALU_CYCLE_1)
	s_or_b32 s19, s0, s1
; %bb.547:
	s_or_b32 exec_lo, exec_lo, s20
	s_and_saveexec_b32 s0, s19
	s_cbranch_execz .LBB38_549
; %bb.548:
	v_and_b32_e32 v0, 0xffff, v4
	v_lshlrev_b32_e32 v4, 24, v4
	s_delay_alu instid0(VALU_DEP_2) | instskip(NEXT) | instid1(VALU_DEP_2)
	v_and_b32_e32 v1, 7, v0
	v_and_b32_e32 v4, 0x80000000, v4
	s_delay_alu instid0(VALU_DEP_2) | instskip(NEXT) | instid1(VALU_DEP_1)
	v_clz_i32_u32_e32 v5, v1
	v_min_u32_e32 v5, 32, v5
	s_delay_alu instid0(VALU_DEP_1) | instskip(SKIP_1) | instid1(VALU_DEP_2)
	v_subrev_nc_u32_e32 v6, 28, v5
	v_sub_nc_u32_e32 v5, 29, v5
	v_lshlrev_b32_e32 v6, v6, v0
	v_bfe_u32 v0, v0, 3, 4
	s_delay_alu instid0(VALU_DEP_2) | instskip(NEXT) | instid1(VALU_DEP_2)
	v_and_b32_e32 v6, 7, v6
	v_cmp_eq_u32_e32 vcc_lo, 0, v0
	s_delay_alu instid0(VALU_DEP_2) | instskip(NEXT) | instid1(VALU_DEP_1)
	v_dual_cndmask_b32 v0, v0, v5 :: v_dual_cndmask_b32 v1, v1, v6
	v_lshl_add_u32 v0, v0, 23, 0x3b800000
	s_delay_alu instid0(VALU_DEP_2) | instskip(NEXT) | instid1(VALU_DEP_1)
	v_lshlrev_b32_e32 v1, 20, v1
	v_or3_b32 v0, v4, v0, v1
	s_delay_alu instid0(VALU_DEP_1) | instskip(NEXT) | instid1(VALU_DEP_1)
	v_trunc_f32_e32 v0, v0
	v_mul_f32_e64 v1, 0x2f800000, |v0|
	v_ashrrev_i32_e32 v5, 31, v0
	s_delay_alu instid0(VALU_DEP_2) | instskip(NEXT) | instid1(VALU_DEP_1)
	v_floor_f32_e32 v1, v1
	v_fma_f32 v4, 0xcf800000, v1, |v0|
	v_cvt_u32_f32_e32 v1, v1
	s_delay_alu instid0(VALU_DEP_2) | instskip(NEXT) | instid1(VALU_DEP_2)
	v_cvt_u32_f32_e32 v0, v4
	v_xor_b32_e32 v1, v1, v5
	s_delay_alu instid0(VALU_DEP_2) | instskip(NEXT) | instid1(VALU_DEP_1)
	v_xor_b32_e32 v0, v0, v5
	v_sub_co_u32 v0, vcc_lo, v0, v5
	s_delay_alu instid0(VALU_DEP_3)
	v_sub_co_ci_u32_e32 v1, vcc_lo, v1, v5, vcc_lo
.LBB38_549:
	s_or_b32 exec_lo, exec_lo, s0
.LBB38_550:
	s_mov_b32 s0, -1
.LBB38_551:
	s_mov_b32 s1, 0
.LBB38_552:
	s_delay_alu instid0(SALU_CYCLE_1)
	s_and_b32 vcc_lo, exec_lo, s1
	s_cbranch_vccz .LBB38_583
; %bb.553:
	v_cmp_lt_i16_e32 vcc_lo, 22, v12
	s_cbranch_vccz .LBB38_563
; %bb.554:
	v_cmp_gt_i16_e32 vcc_lo, 24, v12
	s_cbranch_vccnz .LBB38_564
; %bb.555:
	v_cmp_lt_i16_e32 vcc_lo, 24, v12
	s_cbranch_vccz .LBB38_565
; %bb.556:
	global_load_u8 v4, v[2:3], off
	s_mov_b32 s19, 0
	s_mov_b32 s20, exec_lo
                                        ; implicit-def: $sgpr0_sgpr1
	s_waitcnt vmcnt(0)
	v_cmpx_lt_i16_e32 0x7f, v4
	s_xor_b32 s20, exec_lo, s20
; %bb.557:
	v_cmp_ne_u16_e32 vcc_lo, 0x80, v4
	s_mov_b64 s[0:1], 0
	s_and_b32 s19, vcc_lo, exec_lo
; %bb.558:
	s_or_saveexec_b32 s20, s20
	v_dual_mov_b32 v0, s0 :: v_dual_mov_b32 v1, s1
	s_xor_b32 exec_lo, exec_lo, s20
; %bb.559:
	v_cmp_ne_u16_e32 vcc_lo, 0, v4
	v_mov_b32_e32 v0, 0
	v_mov_b32_e32 v1, 0
	s_and_not1_b32 s0, s19, exec_lo
	s_and_b32 s1, vcc_lo, exec_lo
	s_delay_alu instid0(SALU_CYCLE_1)
	s_or_b32 s19, s0, s1
; %bb.560:
	s_or_b32 exec_lo, exec_lo, s20
	s_and_saveexec_b32 s0, s19
	s_cbranch_execz .LBB38_562
; %bb.561:
	v_and_b32_e32 v0, 0xffff, v4
	v_lshlrev_b32_e32 v4, 24, v4
	s_delay_alu instid0(VALU_DEP_2) | instskip(NEXT) | instid1(VALU_DEP_2)
	v_and_b32_e32 v1, 3, v0
	v_and_b32_e32 v4, 0x80000000, v4
	s_delay_alu instid0(VALU_DEP_2) | instskip(NEXT) | instid1(VALU_DEP_1)
	v_clz_i32_u32_e32 v5, v1
	v_min_u32_e32 v5, 32, v5
	s_delay_alu instid0(VALU_DEP_1) | instskip(SKIP_1) | instid1(VALU_DEP_2)
	v_subrev_nc_u32_e32 v6, 29, v5
	v_sub_nc_u32_e32 v5, 30, v5
	v_lshlrev_b32_e32 v6, v6, v0
	v_bfe_u32 v0, v0, 2, 5
	s_delay_alu instid0(VALU_DEP_2) | instskip(NEXT) | instid1(VALU_DEP_2)
	v_and_b32_e32 v6, 3, v6
	v_cmp_eq_u32_e32 vcc_lo, 0, v0
	s_delay_alu instid0(VALU_DEP_2) | instskip(NEXT) | instid1(VALU_DEP_1)
	v_dual_cndmask_b32 v0, v0, v5 :: v_dual_cndmask_b32 v1, v1, v6
	v_lshl_add_u32 v0, v0, 23, 0x37800000
	s_delay_alu instid0(VALU_DEP_2) | instskip(NEXT) | instid1(VALU_DEP_1)
	v_lshlrev_b32_e32 v1, 21, v1
	v_or3_b32 v0, v4, v0, v1
	s_delay_alu instid0(VALU_DEP_1) | instskip(NEXT) | instid1(VALU_DEP_1)
	v_trunc_f32_e32 v0, v0
	v_mul_f32_e64 v1, 0x2f800000, |v0|
	v_ashrrev_i32_e32 v5, 31, v0
	s_delay_alu instid0(VALU_DEP_2) | instskip(NEXT) | instid1(VALU_DEP_1)
	v_floor_f32_e32 v1, v1
	v_fma_f32 v4, 0xcf800000, v1, |v0|
	v_cvt_u32_f32_e32 v1, v1
	s_delay_alu instid0(VALU_DEP_2) | instskip(NEXT) | instid1(VALU_DEP_2)
	v_cvt_u32_f32_e32 v0, v4
	v_xor_b32_e32 v1, v1, v5
	s_delay_alu instid0(VALU_DEP_2) | instskip(NEXT) | instid1(VALU_DEP_1)
	v_xor_b32_e32 v0, v0, v5
	v_sub_co_u32 v0, vcc_lo, v0, v5
	s_delay_alu instid0(VALU_DEP_3)
	v_sub_co_ci_u32_e32 v1, vcc_lo, v1, v5, vcc_lo
.LBB38_562:
	s_or_b32 exec_lo, exec_lo, s0
	s_mov_b32 s0, 0
	s_branch .LBB38_566
.LBB38_563:
	s_mov_b32 s1, -1
                                        ; implicit-def: $vgpr0_vgpr1
	s_branch .LBB38_572
.LBB38_564:
	s_mov_b32 s0, -1
                                        ; implicit-def: $vgpr0_vgpr1
	s_branch .LBB38_569
.LBB38_565:
	s_mov_b32 s0, -1
                                        ; implicit-def: $vgpr0_vgpr1
.LBB38_566:
	s_delay_alu instid0(SALU_CYCLE_1)
	s_and_b32 vcc_lo, exec_lo, s0
	s_cbranch_vccz .LBB38_568
; %bb.567:
	global_load_u8 v0, v[2:3], off
	s_waitcnt vmcnt(0)
	v_lshlrev_b32_e32 v0, 24, v0
	s_delay_alu instid0(VALU_DEP_1) | instskip(NEXT) | instid1(VALU_DEP_1)
	v_and_b32_e32 v1, 0x7f000000, v0
	v_clz_i32_u32_e32 v4, v1
	v_cmp_ne_u32_e32 vcc_lo, 0, v1
	v_add_nc_u32_e32 v6, 0x1000000, v1
	s_delay_alu instid0(VALU_DEP_3) | instskip(NEXT) | instid1(VALU_DEP_1)
	v_min_u32_e32 v4, 32, v4
	v_sub_nc_u32_e64 v4, v4, 4 clamp
	s_delay_alu instid0(VALU_DEP_1) | instskip(SKIP_1) | instid1(VALU_DEP_2)
	v_lshlrev_b32_e32 v5, v4, v1
	v_lshlrev_b32_e32 v4, 23, v4
	v_lshrrev_b32_e32 v5, 4, v5
	s_delay_alu instid0(VALU_DEP_1) | instskip(SKIP_1) | instid1(VALU_DEP_2)
	v_sub_nc_u32_e32 v4, v5, v4
	v_ashrrev_i32_e32 v5, 8, v6
	v_add_nc_u32_e32 v4, 0x3c000000, v4
	s_delay_alu instid0(VALU_DEP_1) | instskip(NEXT) | instid1(VALU_DEP_1)
	v_and_or_b32 v4, 0x7f800000, v5, v4
	v_cndmask_b32_e32 v1, 0, v4, vcc_lo
	s_delay_alu instid0(VALU_DEP_1) | instskip(NEXT) | instid1(VALU_DEP_1)
	v_and_or_b32 v0, 0x80000000, v0, v1
	v_trunc_f32_e32 v0, v0
	s_delay_alu instid0(VALU_DEP_1) | instskip(SKIP_1) | instid1(VALU_DEP_2)
	v_mul_f32_e64 v1, 0x2f800000, |v0|
	v_ashrrev_i32_e32 v5, 31, v0
	v_floor_f32_e32 v1, v1
	s_delay_alu instid0(VALU_DEP_1) | instskip(SKIP_1) | instid1(VALU_DEP_2)
	v_fma_f32 v4, 0xcf800000, v1, |v0|
	v_cvt_u32_f32_e32 v1, v1
	v_cvt_u32_f32_e32 v0, v4
	s_delay_alu instid0(VALU_DEP_2) | instskip(NEXT) | instid1(VALU_DEP_2)
	v_xor_b32_e32 v1, v1, v5
	v_xor_b32_e32 v0, v0, v5
	s_delay_alu instid0(VALU_DEP_1) | instskip(NEXT) | instid1(VALU_DEP_3)
	v_sub_co_u32 v0, vcc_lo, v0, v5
	v_sub_co_ci_u32_e32 v1, vcc_lo, v1, v5, vcc_lo
.LBB38_568:
	s_mov_b32 s0, 0
.LBB38_569:
	s_delay_alu instid0(SALU_CYCLE_1)
	s_and_not1_b32 vcc_lo, exec_lo, s0
	s_cbranch_vccnz .LBB38_571
; %bb.570:
	global_load_u8 v0, v[2:3], off
	s_waitcnt vmcnt(0)
	v_lshlrev_b32_e32 v1, 25, v0
	v_lshlrev_b16 v0, 8, v0
	s_delay_alu instid0(VALU_DEP_2) | instskip(NEXT) | instid1(VALU_DEP_2)
	v_lshrrev_b32_e32 v4, 4, v1
	v_and_or_b32 v5, 0x7f00, v0, 0.5
	v_cmp_gt_u32_e32 vcc_lo, 0x8000000, v1
	v_bfe_i32 v0, v0, 0, 16
	s_delay_alu instid0(VALU_DEP_4) | instskip(NEXT) | instid1(VALU_DEP_1)
	v_or_b32_e32 v4, 0x70000000, v4
	v_dual_add_f32 v5, -0.5, v5 :: v_dual_mul_f32 v4, 0x7800000, v4
	s_delay_alu instid0(VALU_DEP_1) | instskip(NEXT) | instid1(VALU_DEP_1)
	v_cndmask_b32_e32 v1, v4, v5, vcc_lo
	v_and_or_b32 v0, 0x80000000, v0, v1
	s_delay_alu instid0(VALU_DEP_1) | instskip(NEXT) | instid1(VALU_DEP_1)
	v_trunc_f32_e32 v0, v0
	v_mul_f32_e64 v1, 0x2f800000, |v0|
	v_ashrrev_i32_e32 v5, 31, v0
	s_delay_alu instid0(VALU_DEP_2) | instskip(NEXT) | instid1(VALU_DEP_1)
	v_floor_f32_e32 v1, v1
	v_fma_f32 v4, 0xcf800000, v1, |v0|
	v_cvt_u32_f32_e32 v1, v1
	s_delay_alu instid0(VALU_DEP_2) | instskip(NEXT) | instid1(VALU_DEP_2)
	v_cvt_u32_f32_e32 v0, v4
	v_xor_b32_e32 v1, v1, v5
	s_delay_alu instid0(VALU_DEP_2) | instskip(NEXT) | instid1(VALU_DEP_1)
	v_xor_b32_e32 v0, v0, v5
	v_sub_co_u32 v0, vcc_lo, v0, v5
	s_delay_alu instid0(VALU_DEP_3)
	v_sub_co_ci_u32_e32 v1, vcc_lo, v1, v5, vcc_lo
.LBB38_571:
	s_mov_b32 s1, 0
	s_mov_b32 s0, -1
.LBB38_572:
	s_and_not1_b32 vcc_lo, exec_lo, s1
	s_cbranch_vccnz .LBB38_583
; %bb.573:
	v_cmp_lt_i16_e32 vcc_lo, 14, v12
	s_cbranch_vccz .LBB38_576
; %bb.574:
	v_cmp_eq_u16_e32 vcc_lo, 15, v12
	s_cbranch_vccz .LBB38_577
; %bb.575:
	global_load_u16 v0, v[2:3], off
	s_mov_b32 s0, -1
	s_mov_b32 s18, 0
	s_waitcnt vmcnt(0)
	v_lshlrev_b32_e32 v0, 16, v0
	s_delay_alu instid0(VALU_DEP_1) | instskip(NEXT) | instid1(VALU_DEP_1)
	v_trunc_f32_e32 v0, v0
	v_mul_f32_e64 v1, 0x2f800000, |v0|
	v_ashrrev_i32_e32 v5, 31, v0
	s_delay_alu instid0(VALU_DEP_2) | instskip(NEXT) | instid1(VALU_DEP_1)
	v_floor_f32_e32 v1, v1
	v_fma_f32 v4, 0xcf800000, v1, |v0|
	v_cvt_u32_f32_e32 v1, v1
	s_delay_alu instid0(VALU_DEP_2) | instskip(NEXT) | instid1(VALU_DEP_2)
	v_cvt_u32_f32_e32 v0, v4
	v_xor_b32_e32 v1, v1, v5
	s_delay_alu instid0(VALU_DEP_2) | instskip(NEXT) | instid1(VALU_DEP_1)
	v_xor_b32_e32 v0, v0, v5
	v_sub_co_u32 v0, vcc_lo, v0, v5
	s_delay_alu instid0(VALU_DEP_3)
	v_sub_co_ci_u32_e32 v1, vcc_lo, v1, v5, vcc_lo
	s_branch .LBB38_578
.LBB38_576:
	s_mov_b32 s1, -1
                                        ; implicit-def: $vgpr0_vgpr1
	s_branch .LBB38_579
.LBB38_577:
	s_mov_b32 s18, -1
                                        ; implicit-def: $vgpr0_vgpr1
.LBB38_578:
	s_mov_b32 s1, 0
.LBB38_579:
	s_delay_alu instid0(SALU_CYCLE_1)
	s_and_b32 vcc_lo, exec_lo, s1
	s_cbranch_vccz .LBB38_583
; %bb.580:
	v_cmp_eq_u16_e32 vcc_lo, 11, v12
	s_cbranch_vccz .LBB38_582
; %bb.581:
	global_load_u8 v0, v[2:3], off
	s_mov_b32 s18, 0
	s_mov_b32 s0, -1
	s_waitcnt vmcnt(1)
	v_mov_b32_e32 v1, s18
	s_waitcnt vmcnt(0)
	v_cmp_ne_u16_e32 vcc_lo, 0, v0
	v_cndmask_b32_e64 v0, 0, 1, vcc_lo
	s_branch .LBB38_583
.LBB38_582:
	s_mov_b32 s18, -1
                                        ; implicit-def: $vgpr0_vgpr1
.LBB38_583:
	s_mov_b32 s1, 0
.LBB38_584:
	s_delay_alu instid0(SALU_CYCLE_1)
	s_and_b32 vcc_lo, exec_lo, s1
	s_cbranch_vccz .LBB38_633
; %bb.585:
	v_cmp_gt_i16_e32 vcc_lo, 5, v12
	s_cbranch_vccnz .LBB38_590
; %bb.586:
	v_cmp_gt_i16_e32 vcc_lo, 8, v12
	s_cbranch_vccnz .LBB38_591
; %bb.587:
	v_cmp_gt_i16_e32 vcc_lo, 9, v12
	s_cbranch_vccnz .LBB38_592
; %bb.588:
	v_cmp_lt_i16_e32 vcc_lo, 9, v12
	s_cbranch_vccz .LBB38_593
; %bb.589:
	global_load_b64 v[0:1], v[2:3], off
	s_mov_b32 s0, 0
	s_waitcnt vmcnt(0)
	v_trunc_f64_e32 v[0:1], v[0:1]
	s_delay_alu instid0(VALU_DEP_1) | instskip(NEXT) | instid1(VALU_DEP_1)
	v_ldexp_f64 v[4:5], v[0:1], 0xffffffe0
	v_floor_f64_e32 v[4:5], v[4:5]
	s_delay_alu instid0(VALU_DEP_1) | instskip(SKIP_1) | instid1(VALU_DEP_2)
	v_fma_f64 v[6:7], 0xc1f00000, v[4:5], v[0:1]
	v_cvt_i32_f64_e32 v1, v[4:5]
	v_cvt_u32_f64_e32 v0, v[6:7]
	s_branch .LBB38_594
.LBB38_590:
	s_mov_b32 s0, -1
                                        ; implicit-def: $vgpr0_vgpr1
	s_branch .LBB38_612
.LBB38_591:
	s_mov_b32 s0, -1
                                        ; implicit-def: $vgpr0_vgpr1
	s_branch .LBB38_600
.LBB38_592:
	s_mov_b32 s0, -1
                                        ; implicit-def: $vgpr0_vgpr1
	s_branch .LBB38_597
.LBB38_593:
	s_mov_b32 s0, -1
                                        ; implicit-def: $vgpr0_vgpr1
.LBB38_594:
	s_delay_alu instid0(SALU_CYCLE_1)
	s_and_not1_b32 vcc_lo, exec_lo, s0
	s_cbranch_vccnz .LBB38_596
; %bb.595:
	global_load_b32 v0, v[2:3], off
	s_waitcnt vmcnt(0)
	v_trunc_f32_e32 v0, v0
	s_delay_alu instid0(VALU_DEP_1) | instskip(SKIP_1) | instid1(VALU_DEP_2)
	v_mul_f32_e64 v1, 0x2f800000, |v0|
	v_ashrrev_i32_e32 v5, 31, v0
	v_floor_f32_e32 v1, v1
	s_delay_alu instid0(VALU_DEP_1) | instskip(SKIP_1) | instid1(VALU_DEP_2)
	v_fma_f32 v4, 0xcf800000, v1, |v0|
	v_cvt_u32_f32_e32 v1, v1
	v_cvt_u32_f32_e32 v0, v4
	s_delay_alu instid0(VALU_DEP_2) | instskip(NEXT) | instid1(VALU_DEP_2)
	v_xor_b32_e32 v1, v1, v5
	v_xor_b32_e32 v0, v0, v5
	s_delay_alu instid0(VALU_DEP_1) | instskip(NEXT) | instid1(VALU_DEP_3)
	v_sub_co_u32 v0, vcc_lo, v0, v5
	v_sub_co_ci_u32_e32 v1, vcc_lo, v1, v5, vcc_lo
.LBB38_596:
	s_mov_b32 s0, 0
.LBB38_597:
	s_delay_alu instid0(SALU_CYCLE_1)
	s_and_not1_b32 vcc_lo, exec_lo, s0
	s_cbranch_vccnz .LBB38_599
; %bb.598:
	global_load_b32 v0, v[2:3], off
	s_waitcnt vmcnt(0)
	v_cvt_f32_f16_e32 v0, v0
	s_delay_alu instid0(VALU_DEP_1) | instskip(NEXT) | instid1(VALU_DEP_1)
	v_cvt_i32_f32_e32 v0, v0
	v_ashrrev_i32_e32 v1, 31, v0
.LBB38_599:
	s_mov_b32 s0, 0
.LBB38_600:
	s_delay_alu instid0(SALU_CYCLE_1)
	s_and_not1_b32 vcc_lo, exec_lo, s0
	s_cbranch_vccnz .LBB38_611
; %bb.601:
	v_cmp_gt_i16_e32 vcc_lo, 6, v12
	s_cbranch_vccnz .LBB38_604
; %bb.602:
	v_cmp_lt_i16_e32 vcc_lo, 6, v12
	s_cbranch_vccz .LBB38_605
; %bb.603:
	global_load_b64 v[0:1], v[2:3], off
	s_mov_b32 s0, 0
	s_waitcnt vmcnt(0)
	v_trunc_f64_e32 v[0:1], v[0:1]
	s_delay_alu instid0(VALU_DEP_1) | instskip(NEXT) | instid1(VALU_DEP_1)
	v_ldexp_f64 v[4:5], v[0:1], 0xffffffe0
	v_floor_f64_e32 v[4:5], v[4:5]
	s_delay_alu instid0(VALU_DEP_1) | instskip(SKIP_1) | instid1(VALU_DEP_2)
	v_fma_f64 v[6:7], 0xc1f00000, v[4:5], v[0:1]
	v_cvt_i32_f64_e32 v1, v[4:5]
	v_cvt_u32_f64_e32 v0, v[6:7]
	s_branch .LBB38_606
.LBB38_604:
	s_mov_b32 s0, -1
                                        ; implicit-def: $vgpr0_vgpr1
	s_branch .LBB38_609
.LBB38_605:
	s_mov_b32 s0, -1
                                        ; implicit-def: $vgpr0_vgpr1
.LBB38_606:
	s_delay_alu instid0(SALU_CYCLE_1)
	s_and_not1_b32 vcc_lo, exec_lo, s0
	s_cbranch_vccnz .LBB38_608
; %bb.607:
	global_load_b32 v0, v[2:3], off
	s_waitcnt vmcnt(0)
	v_trunc_f32_e32 v0, v0
	s_delay_alu instid0(VALU_DEP_1) | instskip(SKIP_1) | instid1(VALU_DEP_2)
	v_mul_f32_e64 v1, 0x2f800000, |v0|
	v_ashrrev_i32_e32 v5, 31, v0
	v_floor_f32_e32 v1, v1
	s_delay_alu instid0(VALU_DEP_1) | instskip(SKIP_1) | instid1(VALU_DEP_2)
	v_fma_f32 v4, 0xcf800000, v1, |v0|
	v_cvt_u32_f32_e32 v1, v1
	v_cvt_u32_f32_e32 v0, v4
	s_delay_alu instid0(VALU_DEP_2) | instskip(NEXT) | instid1(VALU_DEP_2)
	v_xor_b32_e32 v1, v1, v5
	v_xor_b32_e32 v0, v0, v5
	s_delay_alu instid0(VALU_DEP_1) | instskip(NEXT) | instid1(VALU_DEP_3)
	v_sub_co_u32 v0, vcc_lo, v0, v5
	v_sub_co_ci_u32_e32 v1, vcc_lo, v1, v5, vcc_lo
.LBB38_608:
	s_mov_b32 s0, 0
.LBB38_609:
	s_delay_alu instid0(SALU_CYCLE_1)
	s_and_not1_b32 vcc_lo, exec_lo, s0
	s_cbranch_vccnz .LBB38_611
; %bb.610:
	global_load_u16 v0, v[2:3], off
	s_waitcnt vmcnt(0)
	v_cvt_f32_f16_e32 v0, v0
	s_delay_alu instid0(VALU_DEP_1) | instskip(NEXT) | instid1(VALU_DEP_1)
	v_cvt_i32_f32_e32 v0, v0
	v_ashrrev_i32_e32 v1, 31, v0
.LBB38_611:
	s_mov_b32 s0, 0
.LBB38_612:
	s_delay_alu instid0(SALU_CYCLE_1)
	s_and_not1_b32 vcc_lo, exec_lo, s0
	s_cbranch_vccnz .LBB38_632
; %bb.613:
	v_cmp_gt_i16_e32 vcc_lo, 2, v12
	s_cbranch_vccnz .LBB38_617
; %bb.614:
	v_cmp_gt_i16_e32 vcc_lo, 3, v12
	s_cbranch_vccnz .LBB38_618
; %bb.615:
	v_cmp_lt_i16_e32 vcc_lo, 3, v12
	s_cbranch_vccz .LBB38_619
; %bb.616:
	global_load_b64 v[0:1], v[2:3], off
	s_mov_b32 s0, 0
	s_branch .LBB38_620
.LBB38_617:
	s_mov_b32 s0, -1
                                        ; implicit-def: $vgpr0_vgpr1
	s_branch .LBB38_626
.LBB38_618:
	s_mov_b32 s0, -1
                                        ; implicit-def: $vgpr0_vgpr1
	s_branch .LBB38_623
.LBB38_619:
	s_mov_b32 s0, -1
                                        ; implicit-def: $vgpr0_vgpr1
.LBB38_620:
	s_delay_alu instid0(SALU_CYCLE_1)
	s_and_not1_b32 vcc_lo, exec_lo, s0
	s_cbranch_vccnz .LBB38_622
; %bb.621:
	global_load_b32 v0, v[2:3], off
	s_waitcnt vmcnt(0)
	v_ashrrev_i32_e32 v1, 31, v0
.LBB38_622:
	s_mov_b32 s0, 0
.LBB38_623:
	s_delay_alu instid0(SALU_CYCLE_1)
	s_and_not1_b32 vcc_lo, exec_lo, s0
	s_cbranch_vccnz .LBB38_625
; %bb.624:
	global_load_u16 v0, v[2:3], off
	s_waitcnt vmcnt(0)
	v_bfe_i32 v0, v0, 0, 16
	s_delay_alu instid0(VALU_DEP_1)
	v_ashrrev_i32_e32 v1, 31, v0
.LBB38_625:
	s_mov_b32 s0, 0
.LBB38_626:
	s_delay_alu instid0(SALU_CYCLE_1)
	s_and_not1_b32 vcc_lo, exec_lo, s0
	s_cbranch_vccnz .LBB38_632
; %bb.627:
	v_cmp_lt_i16_e32 vcc_lo, 0, v12
	s_mov_b32 s0, 0
	s_cbranch_vccz .LBB38_629
; %bb.628:
	global_load_i8 v0, v[2:3], off
	s_waitcnt vmcnt(0)
	v_bfe_i32 v0, v0, 0, 16
	s_delay_alu instid0(VALU_DEP_1)
	v_ashrrev_i32_e32 v1, 31, v0
	s_branch .LBB38_630
.LBB38_629:
	s_mov_b32 s0, -1
                                        ; implicit-def: $vgpr0_vgpr1
.LBB38_630:
	s_delay_alu instid0(SALU_CYCLE_1)
	s_and_not1_b32 vcc_lo, exec_lo, s0
	s_cbranch_vccnz .LBB38_632
; %bb.631:
	global_load_u8 v0, v[2:3], off
	s_mov_b32 s0, 0
	s_waitcnt vmcnt(0)
	v_dual_mov_b32 v1, s0 :: v_dual_and_b32 v0, 0xffff, v0
.LBB38_632:
	s_mov_b32 s0, -1
.LBB38_633:
	s_delay_alu instid0(SALU_CYCLE_1)
	s_and_not1_b32 vcc_lo, exec_lo, s0
	s_cbranch_vccnz .LBB38_641
; %bb.634:
	v_mul_lo_u32 v4, v11, s2
	v_and_b32_e32 v6, 0xff, v10
	s_waitcnt vmcnt(0)
	s_delay_alu instid0(VALU_DEP_3) | instskip(NEXT) | instid1(VALU_DEP_4)
	v_not_b32_e32 v3, v1
	v_not_b32_e32 v2, v0
	s_delay_alu instid0(VALU_DEP_3) | instskip(SKIP_2) | instid1(VALU_DEP_1)
	v_cmp_gt_i16_e32 vcc_lo, 11, v6
	v_ashrrev_i32_e32 v5, 31, v4
	v_add_co_u32 v4, s0, s4, v4
	v_add_co_ci_u32_e64 v5, s0, s5, v5, s0
	s_cbranch_vccnz .LBB38_642
; %bb.635:
	v_cmp_lt_i16_e32 vcc_lo, 25, v6
	s_cbranch_vccz .LBB38_643
; %bb.636:
	v_cmp_lt_i16_e32 vcc_lo, 28, v6
	s_cbranch_vccz .LBB38_644
	;; [unrolled: 3-line block ×4, first 2 shown]
; %bb.639:
	v_cmp_eq_u16_e32 vcc_lo, 46, v6
	s_mov_b32 s19, 0
	s_mov_b32 s0, -1
	s_mov_b32 s1, 0
	s_cbranch_vccz .LBB38_647
; %bb.640:
	v_xor_b32_e32 v7, v2, v3
	v_cls_i32_e32 v8, v3
	s_mov_b32 s1, -1
	s_mov_b32 s0, 0
	s_delay_alu instid0(VALU_DEP_2) | instskip(NEXT) | instid1(VALU_DEP_2)
	v_ashrrev_i32_e32 v7, 31, v7
	v_add_nc_u32_e32 v8, -1, v8
	s_delay_alu instid0(VALU_DEP_2) | instskip(NEXT) | instid1(VALU_DEP_1)
	v_add_nc_u32_e32 v7, 32, v7
	v_min_u32_e32 v9, v8, v7
	s_delay_alu instid0(VALU_DEP_1) | instskip(NEXT) | instid1(VALU_DEP_1)
	v_lshlrev_b64 v[7:8], v9, v[2:3]
	v_min_u32_e32 v7, 1, v7
	s_delay_alu instid0(VALU_DEP_1) | instskip(SKIP_1) | instid1(VALU_DEP_2)
	v_or_b32_e32 v7, v8, v7
	v_sub_nc_u32_e32 v8, 32, v9
	v_cvt_f32_i32_e32 v7, v7
	s_delay_alu instid0(VALU_DEP_1) | instskip(NEXT) | instid1(VALU_DEP_1)
	v_ldexp_f32 v7, v7, v8
	v_bfe_u32 v8, v7, 16, 1
	s_delay_alu instid0(VALU_DEP_1) | instskip(NEXT) | instid1(VALU_DEP_1)
	v_add3_u32 v7, v7, v8, 0x7fff
	v_lshrrev_b32_e32 v7, 16, v7
	global_store_b32 v[4:5], v7, off
	s_branch .LBB38_647
.LBB38_641:
	s_mov_b32 s1, 0
	s_mov_b32 s0, s15
	s_branch .LBB38_758
.LBB38_642:
	s_mov_b32 s19, -1
	s_mov_b32 s1, 0
	s_mov_b32 s0, s15
	s_branch .LBB38_716
.LBB38_643:
	s_mov_b32 s19, -1
	s_mov_b32 s1, 0
	s_mov_b32 s0, s15
	s_branch .LBB38_674
.LBB38_644:
	s_mov_b32 s19, -1
	s_mov_b32 s1, 0
	s_mov_b32 s0, s15
	s_branch .LBB38_657
.LBB38_645:
	s_mov_b32 s19, -1
	s_mov_b32 s1, 0
	s_mov_b32 s0, s15
	s_branch .LBB38_653
.LBB38_646:
	s_mov_b32 s19, -1
	s_mov_b32 s1, 0
	s_mov_b32 s0, s15
.LBB38_647:
	s_and_b32 vcc_lo, exec_lo, s19
	s_cbranch_vccz .LBB38_652
; %bb.648:
	v_cmp_eq_u16_e32 vcc_lo, 44, v6
	s_mov_b32 s0, -1
	s_cbranch_vccz .LBB38_652
; %bb.649:
	v_xor_b32_e32 v7, v2, v3
	v_cls_i32_e32 v8, v3
	s_mov_b32 s1, -1
	s_mov_b32 s19, exec_lo
	s_delay_alu instid0(VALU_DEP_2) | instskip(NEXT) | instid1(VALU_DEP_2)
	v_ashrrev_i32_e32 v7, 31, v7
	v_add_nc_u32_e32 v8, -1, v8
	s_delay_alu instid0(VALU_DEP_2) | instskip(NEXT) | instid1(VALU_DEP_1)
	v_add_nc_u32_e32 v7, 32, v7
	v_min_u32_e32 v9, v8, v7
	s_delay_alu instid0(VALU_DEP_1) | instskip(NEXT) | instid1(VALU_DEP_1)
	v_lshlrev_b64 v[7:8], v9, v[2:3]
	v_min_u32_e32 v7, 1, v7
	s_delay_alu instid0(VALU_DEP_1) | instskip(SKIP_1) | instid1(VALU_DEP_2)
	v_or_b32_e32 v7, v8, v7
	v_sub_nc_u32_e32 v8, 32, v9
	v_cvt_f32_i32_e32 v7, v7
	s_delay_alu instid0(VALU_DEP_1) | instskip(SKIP_1) | instid1(VALU_DEP_2)
	v_ldexp_f32 v7, v7, v8
	v_mov_b32_e32 v8, 0xff
	v_bfe_u32 v9, v7, 23, 8
	s_delay_alu instid0(VALU_DEP_1)
	v_cmpx_ne_u32_e32 0xff, v9
; %bb.650:
	v_and_b32_e32 v8, 0x400000, v7
	v_and_or_b32 v9, 0x3fffff, v7, v9
	v_lshrrev_b32_e32 v7, 23, v7
	s_delay_alu instid0(VALU_DEP_3) | instskip(NEXT) | instid1(VALU_DEP_3)
	v_cmp_ne_u32_e32 vcc_lo, 0, v8
	v_cmp_ne_u32_e64 s0, 0, v9
	s_delay_alu instid0(VALU_DEP_1) | instskip(NEXT) | instid1(SALU_CYCLE_1)
	s_and_b32 s0, vcc_lo, s0
	v_cndmask_b32_e64 v8, 0, 1, s0
	s_delay_alu instid0(VALU_DEP_1)
	v_add_nc_u32_e32 v8, v7, v8
; %bb.651:
	s_or_b32 exec_lo, exec_lo, s19
	s_mov_b32 s0, 0
	global_store_b8 v[4:5], v8, off
.LBB38_652:
	s_mov_b32 s19, 0
.LBB38_653:
	s_delay_alu instid0(SALU_CYCLE_1)
	s_and_b32 vcc_lo, exec_lo, s19
	s_cbranch_vccz .LBB38_656
; %bb.654:
	v_cmp_eq_u16_e32 vcc_lo, 29, v6
	s_mov_b32 s0, -1
	s_cbranch_vccz .LBB38_656
; %bb.655:
	s_mov_b32 s1, -1
	s_mov_b32 s0, 0
	global_store_b64 v[4:5], v[2:3], off
.LBB38_656:
	s_mov_b32 s19, 0
.LBB38_657:
	s_delay_alu instid0(SALU_CYCLE_1)
	s_and_b32 vcc_lo, exec_lo, s19
	s_cbranch_vccz .LBB38_673
; %bb.658:
	v_cmp_gt_i16_e32 vcc_lo, 27, v6
	s_mov_b32 s1, -1
	s_cbranch_vccnz .LBB38_664
; %bb.659:
	v_cmp_lt_i16_e32 vcc_lo, 27, v6
	s_cbranch_vccz .LBB38_661
; %bb.660:
	s_mov_b32 s1, 0
	global_store_b32 v[4:5], v2, off
.LBB38_661:
	s_and_not1_b32 vcc_lo, exec_lo, s1
	s_cbranch_vccnz .LBB38_663
; %bb.662:
	global_store_b16 v[4:5], v2, off
.LBB38_663:
	s_mov_b32 s1, 0
.LBB38_664:
	s_delay_alu instid0(SALU_CYCLE_1)
	s_and_not1_b32 vcc_lo, exec_lo, s1
	s_cbranch_vccnz .LBB38_672
; %bb.665:
	v_xor_b32_e32 v7, v2, v3
	v_cls_i32_e32 v8, v3
	s_mov_b32 s1, exec_lo
	s_delay_alu instid0(VALU_DEP_2) | instskip(NEXT) | instid1(VALU_DEP_2)
	v_ashrrev_i32_e32 v7, 31, v7
	v_add_nc_u32_e32 v8, -1, v8
	s_delay_alu instid0(VALU_DEP_2) | instskip(NEXT) | instid1(VALU_DEP_1)
	v_add_nc_u32_e32 v7, 32, v7
	v_min_u32_e32 v9, v8, v7
	s_delay_alu instid0(VALU_DEP_1) | instskip(NEXT) | instid1(VALU_DEP_1)
	v_lshlrev_b64 v[7:8], v9, v[2:3]
	v_min_u32_e32 v7, 1, v7
	s_delay_alu instid0(VALU_DEP_1) | instskip(SKIP_2) | instid1(VALU_DEP_3)
	v_or_b32_e32 v7, v8, v7
	v_sub_nc_u32_e32 v8, 32, v9
	v_mov_b32_e32 v9, 0x80
	v_cvt_f32_i32_e32 v7, v7
	s_delay_alu instid0(VALU_DEP_1) | instskip(NEXT) | instid1(VALU_DEP_1)
	v_ldexp_f32 v7, v7, v8
	v_and_b32_e32 v8, 0x7fffffff, v7
	s_delay_alu instid0(VALU_DEP_1)
	v_cmpx_gt_u32_e32 0x43800000, v8
	s_cbranch_execz .LBB38_671
; %bb.666:
	v_cmp_lt_u32_e32 vcc_lo, 0x3bffffff, v8
	s_mov_b32 s19, 0
                                        ; implicit-def: $vgpr8
	s_and_saveexec_b32 s20, vcc_lo
	s_delay_alu instid0(SALU_CYCLE_1)
	s_xor_b32 s20, exec_lo, s20
	s_cbranch_execz .LBB38_773
; %bb.667:
	v_bfe_u32 v8, v7, 20, 1
	s_mov_b32 s19, exec_lo
	s_delay_alu instid0(VALU_DEP_1) | instskip(NEXT) | instid1(VALU_DEP_1)
	v_add3_u32 v8, v7, v8, 0x487ffff
	v_lshrrev_b32_e32 v8, 20, v8
	s_or_saveexec_b32 s20, s20
                                        ; implicit-def: $sgpr21
	s_delay_alu instid0(SALU_CYCLE_1)
	s_xor_b32 exec_lo, exec_lo, s20
	s_cbranch_execnz .LBB38_774
.LBB38_668:
	s_or_b32 exec_lo, exec_lo, s20
	v_mov_b32_e32 v9, s21
	s_and_saveexec_b32 s20, s19
.LBB38_669:
	v_lshrrev_b32_e32 v7, 24, v7
	s_delay_alu instid0(VALU_DEP_1)
	v_and_or_b32 v9, 0x80, v7, v8
.LBB38_670:
	s_or_b32 exec_lo, exec_lo, s20
.LBB38_671:
	s_delay_alu instid0(SALU_CYCLE_1)
	s_or_b32 exec_lo, exec_lo, s1
	global_store_b8 v[4:5], v9, off
.LBB38_672:
	s_mov_b32 s1, -1
.LBB38_673:
	s_mov_b32 s19, 0
.LBB38_674:
	s_delay_alu instid0(SALU_CYCLE_1)
	s_and_b32 vcc_lo, exec_lo, s19
	s_cbranch_vccz .LBB38_715
; %bb.675:
	v_cmp_lt_i16_e32 vcc_lo, 22, v6
	s_mov_b32 s19, -1
	s_cbranch_vccz .LBB38_707
; %bb.676:
	v_cmp_gt_i16_e32 vcc_lo, 24, v6
	s_mov_b32 s1, -1
	s_cbranch_vccnz .LBB38_696
; %bb.677:
	v_cmp_lt_i16_e32 vcc_lo, 24, v6
	s_cbranch_vccz .LBB38_685
; %bb.678:
	v_xor_b32_e32 v7, v2, v3
	v_cls_i32_e32 v8, v3
	s_mov_b32 s1, exec_lo
	s_delay_alu instid0(VALU_DEP_2) | instskip(NEXT) | instid1(VALU_DEP_2)
	v_ashrrev_i32_e32 v7, 31, v7
	v_add_nc_u32_e32 v8, -1, v8
	s_delay_alu instid0(VALU_DEP_2) | instskip(NEXT) | instid1(VALU_DEP_1)
	v_add_nc_u32_e32 v7, 32, v7
	v_min_u32_e32 v9, v8, v7
	s_delay_alu instid0(VALU_DEP_1) | instskip(NEXT) | instid1(VALU_DEP_1)
	v_lshlrev_b64 v[7:8], v9, v[2:3]
	v_min_u32_e32 v7, 1, v7
	s_delay_alu instid0(VALU_DEP_1) | instskip(SKIP_2) | instid1(VALU_DEP_3)
	v_or_b32_e32 v7, v8, v7
	v_sub_nc_u32_e32 v8, 32, v9
	v_mov_b32_e32 v9, 0x80
	v_cvt_f32_i32_e32 v7, v7
	s_delay_alu instid0(VALU_DEP_1) | instskip(NEXT) | instid1(VALU_DEP_1)
	v_ldexp_f32 v7, v7, v8
	v_and_b32_e32 v8, 0x7fffffff, v7
	s_delay_alu instid0(VALU_DEP_1)
	v_cmpx_gt_u32_e32 0x47800000, v8
	s_cbranch_execz .LBB38_684
; %bb.679:
	v_cmp_lt_u32_e32 vcc_lo, 0x37ffffff, v8
	s_mov_b32 s19, 0
                                        ; implicit-def: $vgpr8
	s_and_saveexec_b32 s20, vcc_lo
	s_delay_alu instid0(SALU_CYCLE_1)
	s_xor_b32 s20, exec_lo, s20
	s_cbranch_execz .LBB38_776
; %bb.680:
	v_bfe_u32 v8, v7, 21, 1
	s_mov_b32 s19, exec_lo
	s_delay_alu instid0(VALU_DEP_1) | instskip(NEXT) | instid1(VALU_DEP_1)
	v_add3_u32 v8, v7, v8, 0x88fffff
	v_lshrrev_b32_e32 v8, 21, v8
	s_or_saveexec_b32 s20, s20
                                        ; implicit-def: $sgpr21
	s_delay_alu instid0(SALU_CYCLE_1)
	s_xor_b32 exec_lo, exec_lo, s20
	s_cbranch_execnz .LBB38_777
.LBB38_681:
	s_or_b32 exec_lo, exec_lo, s20
	v_mov_b32_e32 v9, s21
	s_and_saveexec_b32 s20, s19
.LBB38_682:
	v_lshrrev_b32_e32 v7, 24, v7
	s_delay_alu instid0(VALU_DEP_1)
	v_and_or_b32 v9, 0x80, v7, v8
.LBB38_683:
	s_or_b32 exec_lo, exec_lo, s20
.LBB38_684:
	s_delay_alu instid0(SALU_CYCLE_1)
	s_or_b32 exec_lo, exec_lo, s1
	s_mov_b32 s1, 0
	global_store_b8 v[4:5], v9, off
.LBB38_685:
	s_and_b32 vcc_lo, exec_lo, s1
	s_cbranch_vccz .LBB38_695
; %bb.686:
	v_xor_b32_e32 v7, v2, v3
	v_cls_i32_e32 v8, v3
	s_mov_b32 s1, exec_lo
	s_delay_alu instid0(VALU_DEP_2) | instskip(NEXT) | instid1(VALU_DEP_2)
	v_ashrrev_i32_e32 v7, 31, v7
	v_add_nc_u32_e32 v8, -1, v8
	s_delay_alu instid0(VALU_DEP_2) | instskip(NEXT) | instid1(VALU_DEP_1)
	v_add_nc_u32_e32 v7, 32, v7
	v_min_u32_e32 v9, v8, v7
	s_delay_alu instid0(VALU_DEP_1) | instskip(NEXT) | instid1(VALU_DEP_1)
	v_lshlrev_b64 v[7:8], v9, v[2:3]
	v_min_u32_e32 v7, 1, v7
	s_delay_alu instid0(VALU_DEP_1) | instskip(SKIP_1) | instid1(VALU_DEP_2)
	v_or_b32_e32 v7, v8, v7
	v_sub_nc_u32_e32 v8, 32, v9
	v_cvt_f32_i32_e32 v7, v7
	s_delay_alu instid0(VALU_DEP_1) | instskip(NEXT) | instid1(VALU_DEP_1)
	v_ldexp_f32 v7, v7, v8
                                        ; implicit-def: $vgpr8
	v_and_b32_e32 v9, 0x7fffffff, v7
	s_delay_alu instid0(VALU_DEP_1)
	v_cmpx_gt_u32_e32 0x43f00000, v9
	s_xor_b32 s1, exec_lo, s1
	s_cbranch_execz .LBB38_692
; %bb.687:
	s_mov_b32 s19, exec_lo
                                        ; implicit-def: $vgpr8
	v_cmpx_lt_u32_e32 0x3c7fffff, v9
	s_xor_b32 s19, exec_lo, s19
; %bb.688:
	v_bfe_u32 v8, v7, 20, 1
	s_delay_alu instid0(VALU_DEP_1) | instskip(NEXT) | instid1(VALU_DEP_1)
	v_add3_u32 v8, v7, v8, 0x407ffff
	v_and_b32_e32 v9, 0xff00000, v8
	v_lshrrev_b32_e32 v8, 20, v8
	s_delay_alu instid0(VALU_DEP_2) | instskip(NEXT) | instid1(VALU_DEP_2)
	v_cmp_ne_u32_e32 vcc_lo, 0x7f00000, v9
	v_cndmask_b32_e32 v8, 0x7e, v8, vcc_lo
; %bb.689:
	s_and_not1_saveexec_b32 s19, s19
; %bb.690:
	v_add_f32_e64 v8, 0x46800000, |v7|
; %bb.691:
	s_or_b32 exec_lo, exec_lo, s19
                                        ; implicit-def: $vgpr9
.LBB38_692:
	s_and_not1_saveexec_b32 s1, s1
; %bb.693:
	v_mov_b32_e32 v8, 0x7f
	v_cmp_lt_u32_e32 vcc_lo, 0x7f800000, v9
	s_delay_alu instid0(VALU_DEP_2)
	v_cndmask_b32_e32 v8, 0x7e, v8, vcc_lo
; %bb.694:
	s_or_b32 exec_lo, exec_lo, s1
	v_lshrrev_b32_e32 v7, 24, v7
	s_delay_alu instid0(VALU_DEP_1)
	v_and_or_b32 v7, 0x80, v7, v8
	global_store_b8 v[4:5], v7, off
.LBB38_695:
	s_mov_b32 s1, 0
.LBB38_696:
	s_delay_alu instid0(SALU_CYCLE_1)
	s_and_not1_b32 vcc_lo, exec_lo, s1
	s_cbranch_vccnz .LBB38_706
; %bb.697:
	v_xor_b32_e32 v7, v2, v3
	v_cls_i32_e32 v8, v3
	s_mov_b32 s1, exec_lo
	s_delay_alu instid0(VALU_DEP_2) | instskip(NEXT) | instid1(VALU_DEP_2)
	v_ashrrev_i32_e32 v7, 31, v7
	v_add_nc_u32_e32 v8, -1, v8
	s_delay_alu instid0(VALU_DEP_2) | instskip(NEXT) | instid1(VALU_DEP_1)
	v_add_nc_u32_e32 v7, 32, v7
	v_min_u32_e32 v9, v8, v7
	s_delay_alu instid0(VALU_DEP_1) | instskip(NEXT) | instid1(VALU_DEP_1)
	v_lshlrev_b64 v[7:8], v9, v[2:3]
	v_min_u32_e32 v7, 1, v7
	s_delay_alu instid0(VALU_DEP_1) | instskip(SKIP_1) | instid1(VALU_DEP_2)
	v_or_b32_e32 v7, v8, v7
	v_sub_nc_u32_e32 v8, 32, v9
	v_cvt_f32_i32_e32 v7, v7
	s_delay_alu instid0(VALU_DEP_1) | instskip(NEXT) | instid1(VALU_DEP_1)
	v_ldexp_f32 v7, v7, v8
                                        ; implicit-def: $vgpr8
	v_and_b32_e32 v9, 0x7fffffff, v7
	s_delay_alu instid0(VALU_DEP_1)
	v_cmpx_gt_u32_e32 0x47800000, v9
	s_xor_b32 s1, exec_lo, s1
	s_cbranch_execz .LBB38_703
; %bb.698:
	s_mov_b32 s19, exec_lo
                                        ; implicit-def: $vgpr8
	v_cmpx_lt_u32_e32 0x387fffff, v9
	s_xor_b32 s19, exec_lo, s19
; %bb.699:
	v_bfe_u32 v8, v7, 21, 1
	s_delay_alu instid0(VALU_DEP_1) | instskip(NEXT) | instid1(VALU_DEP_1)
	v_add3_u32 v8, v7, v8, 0x80fffff
	v_lshrrev_b32_e32 v8, 21, v8
; %bb.700:
	s_and_not1_saveexec_b32 s19, s19
; %bb.701:
	v_add_f32_e64 v8, 0x43000000, |v7|
; %bb.702:
	s_or_b32 exec_lo, exec_lo, s19
                                        ; implicit-def: $vgpr9
.LBB38_703:
	s_and_not1_saveexec_b32 s1, s1
; %bb.704:
	v_mov_b32_e32 v8, 0x7f
	v_cmp_lt_u32_e32 vcc_lo, 0x7f800000, v9
	s_delay_alu instid0(VALU_DEP_2)
	v_cndmask_b32_e32 v8, 0x7c, v8, vcc_lo
; %bb.705:
	s_or_b32 exec_lo, exec_lo, s1
	v_lshrrev_b32_e32 v7, 24, v7
	s_delay_alu instid0(VALU_DEP_1)
	v_and_or_b32 v7, 0x80, v7, v8
	global_store_b8 v[4:5], v7, off
.LBB38_706:
	s_mov_b32 s19, 0
	s_mov_b32 s1, -1
.LBB38_707:
	s_and_not1_b32 vcc_lo, exec_lo, s19
	s_cbranch_vccnz .LBB38_715
; %bb.708:
	v_cmp_lt_i16_e32 vcc_lo, 14, v6
	s_mov_b32 s19, -1
	s_cbranch_vccz .LBB38_712
; %bb.709:
	v_cmp_eq_u16_e32 vcc_lo, 15, v6
	s_mov_b32 s0, -1
	s_cbranch_vccz .LBB38_711
; %bb.710:
	v_xor_b32_e32 v7, v2, v3
	v_cls_i32_e32 v8, v3
	s_mov_b32 s1, -1
	s_mov_b32 s0, 0
	s_delay_alu instid0(VALU_DEP_2) | instskip(NEXT) | instid1(VALU_DEP_2)
	v_ashrrev_i32_e32 v7, 31, v7
	v_add_nc_u32_e32 v8, -1, v8
	s_delay_alu instid0(VALU_DEP_2) | instskip(NEXT) | instid1(VALU_DEP_1)
	v_add_nc_u32_e32 v7, 32, v7
	v_min_u32_e32 v9, v8, v7
	s_delay_alu instid0(VALU_DEP_1) | instskip(NEXT) | instid1(VALU_DEP_1)
	v_lshlrev_b64 v[7:8], v9, v[2:3]
	v_min_u32_e32 v7, 1, v7
	s_delay_alu instid0(VALU_DEP_1) | instskip(SKIP_1) | instid1(VALU_DEP_2)
	v_or_b32_e32 v7, v8, v7
	v_sub_nc_u32_e32 v8, 32, v9
	v_cvt_f32_i32_e32 v7, v7
	s_delay_alu instid0(VALU_DEP_1) | instskip(NEXT) | instid1(VALU_DEP_1)
	v_ldexp_f32 v7, v7, v8
	v_bfe_u32 v8, v7, 16, 1
	s_delay_alu instid0(VALU_DEP_1)
	v_add3_u32 v7, v7, v8, 0x7fff
	global_store_d16_hi_b16 v[4:5], v7, off
.LBB38_711:
	s_mov_b32 s19, 0
.LBB38_712:
	s_delay_alu instid0(SALU_CYCLE_1)
	s_and_b32 vcc_lo, exec_lo, s19
	s_cbranch_vccz .LBB38_715
; %bb.713:
	v_cmp_eq_u16_e32 vcc_lo, 11, v6
	s_mov_b32 s0, -1
	s_cbranch_vccz .LBB38_715
; %bb.714:
	v_cmp_ne_u64_e32 vcc_lo, -1, v[0:1]
	s_mov_b32 s1, -1
	s_mov_b32 s0, 0
	v_cndmask_b32_e64 v0, 0, 1, vcc_lo
	global_store_b8 v[4:5], v0, off
.LBB38_715:
	s_mov_b32 s19, 0
.LBB38_716:
	s_delay_alu instid0(SALU_CYCLE_1)
	s_and_b32 vcc_lo, exec_lo, s19
	s_cbranch_vccz .LBB38_755
; %bb.717:
	v_cmp_gt_i16_e32 vcc_lo, 5, v6
	s_mov_b32 s1, -1
	s_cbranch_vccnz .LBB38_738
; %bb.718:
	v_cmp_gt_i16_e32 vcc_lo, 8, v6
	s_cbranch_vccnz .LBB38_728
; %bb.719:
	v_cmp_gt_i16_e32 vcc_lo, 9, v6
	s_cbranch_vccnz .LBB38_725
; %bb.720:
	v_cmp_lt_i16_e32 vcc_lo, 9, v6
	s_cbranch_vccz .LBB38_722
; %bb.721:
	v_cvt_f64_i32_e32 v[0:1], v3
	v_cvt_f64_u32_e32 v[7:8], v2
	v_mov_b32_e32 v15, 0
	s_mov_b32 s1, 0
	s_delay_alu instid0(VALU_DEP_1) | instskip(NEXT) | instid1(VALU_DEP_4)
	v_mov_b32_e32 v16, v15
	v_ldexp_f64 v[0:1], v[0:1], 32
	s_delay_alu instid0(VALU_DEP_1)
	v_add_f64 v[13:14], v[0:1], v[7:8]
	global_store_b128 v[4:5], v[13:16], off
.LBB38_722:
	s_and_not1_b32 vcc_lo, exec_lo, s1
	s_cbranch_vccnz .LBB38_724
; %bb.723:
	v_xor_b32_e32 v0, v2, v3
	v_cls_i32_e32 v1, v3
	s_delay_alu instid0(VALU_DEP_2) | instskip(NEXT) | instid1(VALU_DEP_2)
	v_ashrrev_i32_e32 v0, 31, v0
	v_add_nc_u32_e32 v1, -1, v1
	s_delay_alu instid0(VALU_DEP_2) | instskip(NEXT) | instid1(VALU_DEP_1)
	v_add_nc_u32_e32 v0, 32, v0
	v_min_u32_e32 v7, v1, v0
	s_delay_alu instid0(VALU_DEP_1) | instskip(NEXT) | instid1(VALU_DEP_1)
	v_lshlrev_b64 v[0:1], v7, v[2:3]
	v_min_u32_e32 v0, 1, v0
	s_delay_alu instid0(VALU_DEP_1) | instskip(SKIP_1) | instid1(VALU_DEP_2)
	v_or_b32_e32 v0, v1, v0
	v_sub_nc_u32_e32 v1, 32, v7
	v_cvt_f32_i32_e32 v0, v0
	s_delay_alu instid0(VALU_DEP_1)
	v_ldexp_f32 v0, v0, v1
	v_mov_b32_e32 v1, 0
	global_store_b64 v[4:5], v[0:1], off
.LBB38_724:
	s_mov_b32 s1, 0
.LBB38_725:
	s_delay_alu instid0(SALU_CYCLE_1)
	s_and_not1_b32 vcc_lo, exec_lo, s1
	s_cbranch_vccnz .LBB38_727
; %bb.726:
	v_xor_b32_e32 v0, v2, v3
	v_cls_i32_e32 v1, v3
	s_delay_alu instid0(VALU_DEP_2) | instskip(NEXT) | instid1(VALU_DEP_2)
	v_ashrrev_i32_e32 v0, 31, v0
	v_add_nc_u32_e32 v1, -1, v1
	s_delay_alu instid0(VALU_DEP_2) | instskip(NEXT) | instid1(VALU_DEP_1)
	v_add_nc_u32_e32 v0, 32, v0
	v_min_u32_e32 v7, v1, v0
	s_delay_alu instid0(VALU_DEP_1) | instskip(NEXT) | instid1(VALU_DEP_1)
	v_lshlrev_b64 v[0:1], v7, v[2:3]
	v_min_u32_e32 v0, 1, v0
	s_delay_alu instid0(VALU_DEP_1) | instskip(SKIP_1) | instid1(VALU_DEP_2)
	v_or_b32_e32 v0, v1, v0
	v_sub_nc_u32_e32 v1, 32, v7
	v_cvt_f32_i32_e32 v0, v0
	s_delay_alu instid0(VALU_DEP_1) | instskip(NEXT) | instid1(VALU_DEP_1)
	v_ldexp_f32 v0, v0, v1
	v_cvt_f16_f32_e32 v0, v0
	s_delay_alu instid0(VALU_DEP_1)
	v_and_b32_e32 v0, 0xffff, v0
	global_store_b32 v[4:5], v0, off
.LBB38_727:
	s_mov_b32 s1, 0
.LBB38_728:
	s_delay_alu instid0(SALU_CYCLE_1)
	s_and_not1_b32 vcc_lo, exec_lo, s1
	s_cbranch_vccnz .LBB38_737
; %bb.729:
	v_cmp_gt_i16_e32 vcc_lo, 6, v6
	s_mov_b32 s1, -1
	s_cbranch_vccnz .LBB38_735
; %bb.730:
	v_cmp_lt_i16_e32 vcc_lo, 6, v6
	s_cbranch_vccz .LBB38_732
; %bb.731:
	v_cvt_f64_i32_e32 v[0:1], v3
	v_cvt_f64_u32_e32 v[7:8], v2
	s_mov_b32 s1, 0
	s_delay_alu instid0(VALU_DEP_2) | instskip(NEXT) | instid1(VALU_DEP_1)
	v_ldexp_f64 v[0:1], v[0:1], 32
	v_add_f64 v[0:1], v[0:1], v[7:8]
	global_store_b64 v[4:5], v[0:1], off
.LBB38_732:
	s_and_not1_b32 vcc_lo, exec_lo, s1
	s_cbranch_vccnz .LBB38_734
; %bb.733:
	v_xor_b32_e32 v0, v2, v3
	v_cls_i32_e32 v1, v3
	s_delay_alu instid0(VALU_DEP_2) | instskip(NEXT) | instid1(VALU_DEP_2)
	v_ashrrev_i32_e32 v0, 31, v0
	v_add_nc_u32_e32 v1, -1, v1
	s_delay_alu instid0(VALU_DEP_2) | instskip(NEXT) | instid1(VALU_DEP_1)
	v_add_nc_u32_e32 v0, 32, v0
	v_min_u32_e32 v7, v1, v0
	s_delay_alu instid0(VALU_DEP_1) | instskip(NEXT) | instid1(VALU_DEP_1)
	v_lshlrev_b64 v[0:1], v7, v[2:3]
	v_min_u32_e32 v0, 1, v0
	s_delay_alu instid0(VALU_DEP_1) | instskip(SKIP_1) | instid1(VALU_DEP_2)
	v_or_b32_e32 v0, v1, v0
	v_sub_nc_u32_e32 v1, 32, v7
	v_cvt_f32_i32_e32 v0, v0
	s_delay_alu instid0(VALU_DEP_1)
	v_ldexp_f32 v0, v0, v1
	global_store_b32 v[4:5], v0, off
.LBB38_734:
	s_mov_b32 s1, 0
.LBB38_735:
	s_delay_alu instid0(SALU_CYCLE_1)
	s_and_not1_b32 vcc_lo, exec_lo, s1
	s_cbranch_vccnz .LBB38_737
; %bb.736:
	v_xor_b32_e32 v0, v2, v3
	v_cls_i32_e32 v1, v3
	s_delay_alu instid0(VALU_DEP_2) | instskip(NEXT) | instid1(VALU_DEP_2)
	v_ashrrev_i32_e32 v0, 31, v0
	v_add_nc_u32_e32 v1, -1, v1
	s_delay_alu instid0(VALU_DEP_2) | instskip(NEXT) | instid1(VALU_DEP_1)
	v_add_nc_u32_e32 v0, 32, v0
	v_min_u32_e32 v7, v1, v0
	s_delay_alu instid0(VALU_DEP_1) | instskip(NEXT) | instid1(VALU_DEP_1)
	v_lshlrev_b64 v[0:1], v7, v[2:3]
	v_min_u32_e32 v0, 1, v0
	s_delay_alu instid0(VALU_DEP_1) | instskip(SKIP_1) | instid1(VALU_DEP_2)
	v_or_b32_e32 v0, v1, v0
	v_sub_nc_u32_e32 v1, 32, v7
	v_cvt_f32_i32_e32 v0, v0
	s_delay_alu instid0(VALU_DEP_1) | instskip(NEXT) | instid1(VALU_DEP_1)
	v_ldexp_f32 v0, v0, v1
	v_cvt_f16_f32_e32 v0, v0
	global_store_b16 v[4:5], v0, off
.LBB38_737:
	s_mov_b32 s1, 0
.LBB38_738:
	s_delay_alu instid0(SALU_CYCLE_1)
	s_and_not1_b32 vcc_lo, exec_lo, s1
	s_cbranch_vccnz .LBB38_754
; %bb.739:
	v_cmp_gt_i16_e32 vcc_lo, 2, v6
	s_mov_b32 s1, -1
	s_cbranch_vccnz .LBB38_749
; %bb.740:
	v_cmp_gt_i16_e32 vcc_lo, 3, v6
	s_cbranch_vccnz .LBB38_746
; %bb.741:
	v_cmp_lt_i16_e32 vcc_lo, 3, v6
	s_cbranch_vccz .LBB38_743
; %bb.742:
	s_mov_b32 s1, 0
	global_store_b64 v[4:5], v[2:3], off
.LBB38_743:
	s_and_not1_b32 vcc_lo, exec_lo, s1
	s_cbranch_vccnz .LBB38_745
; %bb.744:
	global_store_b32 v[4:5], v2, off
.LBB38_745:
	s_mov_b32 s1, 0
.LBB38_746:
	s_delay_alu instid0(SALU_CYCLE_1)
	s_and_not1_b32 vcc_lo, exec_lo, s1
	s_cbranch_vccnz .LBB38_748
; %bb.747:
	global_store_b16 v[4:5], v2, off
.LBB38_748:
	s_mov_b32 s1, 0
.LBB38_749:
	s_delay_alu instid0(SALU_CYCLE_1)
	s_and_not1_b32 vcc_lo, exec_lo, s1
	s_cbranch_vccnz .LBB38_754
; %bb.750:
	v_cmp_lt_i16_e32 vcc_lo, 0, v6
	s_mov_b32 s1, -1
	s_cbranch_vccz .LBB38_752
; %bb.751:
	s_mov_b32 s1, 0
	global_store_b8 v[4:5], v2, off
.LBB38_752:
	s_and_not1_b32 vcc_lo, exec_lo, s1
	s_cbranch_vccnz .LBB38_754
; %bb.753:
	global_store_b8 v[4:5], v2, off
.LBB38_754:
	s_mov_b32 s1, -1
.LBB38_755:
	s_delay_alu instid0(SALU_CYCLE_1)
	s_and_not1_b32 vcc_lo, exec_lo, s1
	s_cbranch_vccnz .LBB38_757
; %bb.756:
	v_add_nc_u32_e32 v11, 0x80, v11
	s_mov_b32 s1, -1
	s_branch .LBB38_759
.LBB38_757:
	s_mov_b32 s1, 0
.LBB38_758:
                                        ; implicit-def: $vgpr11
.LBB38_759:
	s_and_not1_b32 s19, s15, exec_lo
	s_and_b32 s0, s0, exec_lo
	s_and_not1_b32 s20, s14, exec_lo
	s_and_b32 s18, s18, exec_lo
	s_or_b32 s19, s19, s0
	s_or_b32 s18, s20, s18
	s_or_not1_b32 s0, s1, exec_lo
.LBB38_760:
	s_or_b32 exec_lo, exec_lo, s17
	s_mov_b32 s1, 0
	s_mov_b32 s20, 0
	;; [unrolled: 1-line block ×3, first 2 shown]
                                        ; implicit-def: $vgpr2_vgpr3
                                        ; implicit-def: $vgpr0_vgpr1
	s_and_saveexec_b32 s17, s0
	s_cbranch_execz .LBB38_841
; %bb.761:
	v_cmp_gt_i32_e32 vcc_lo, s11, v11
	s_mov_b32 s0, 0
	s_mov_b32 s22, s18
	;; [unrolled: 1-line block ×3, first 2 shown]
                                        ; implicit-def: $vgpr2_vgpr3
                                        ; implicit-def: $vgpr0_vgpr1
	s_and_saveexec_b32 s11, vcc_lo
	s_cbranch_execz .LBB38_840
; %bb.762:
	s_waitcnt vmcnt(0)
	v_mul_lo_u32 v0, v11, s3
	v_cmp_gt_i16_e32 vcc_lo, 11, v12
	s_delay_alu instid0(VALU_DEP_2) | instskip(SKIP_1) | instid1(VALU_DEP_1)
	v_ashrrev_i32_e32 v1, 31, v0
	v_add_co_u32 v2, s0, s6, v0
	v_add_co_ci_u32_e64 v3, s0, s7, v1, s0
	s_cbranch_vccnz .LBB38_769
; %bb.763:
	v_cmp_lt_i16_e32 vcc_lo, 25, v12
	s_cbranch_vccz .LBB38_770
; %bb.764:
	v_cmp_lt_i16_e32 vcc_lo, 28, v12
	s_cbranch_vccz .LBB38_771
	;; [unrolled: 3-line block ×4, first 2 shown]
; %bb.767:
	v_cmp_eq_u16_e32 vcc_lo, 46, v12
	s_cbranch_vccz .LBB38_778
; %bb.768:
	global_load_b32 v0, v[2:3], off
	s_mov_b32 s0, -1
	s_waitcnt vmcnt(0)
	v_lshlrev_b32_e32 v0, 16, v0
	s_delay_alu instid0(VALU_DEP_1) | instskip(NEXT) | instid1(VALU_DEP_1)
	v_trunc_f32_e32 v0, v0
	v_mul_f32_e64 v1, 0x2f800000, |v0|
	v_ashrrev_i32_e32 v5, 31, v0
	s_delay_alu instid0(VALU_DEP_2) | instskip(NEXT) | instid1(VALU_DEP_1)
	v_floor_f32_e32 v1, v1
	v_fma_f32 v4, 0xcf800000, v1, |v0|
	v_cvt_u32_f32_e32 v1, v1
	s_delay_alu instid0(VALU_DEP_2) | instskip(NEXT) | instid1(VALU_DEP_2)
	v_cvt_u32_f32_e32 v0, v4
	v_xor_b32_e32 v1, v1, v5
	s_delay_alu instid0(VALU_DEP_2) | instskip(NEXT) | instid1(VALU_DEP_1)
	v_xor_b32_e32 v0, v0, v5
	v_sub_co_u32 v0, vcc_lo, v0, v5
	s_delay_alu instid0(VALU_DEP_3)
	v_sub_co_ci_u32_e32 v1, vcc_lo, v1, v5, vcc_lo
	s_branch .LBB38_780
.LBB38_769:
	s_mov_b32 s1, -1
	s_mov_b32 s0, 0
	s_mov_b32 s20, s18
                                        ; implicit-def: $vgpr0_vgpr1
	s_branch .LBB38_839
.LBB38_770:
	s_mov_b32 s1, -1
	s_mov_b32 s0, 0
	s_mov_b32 s20, s18
                                        ; implicit-def: $vgpr0_vgpr1
	s_branch .LBB38_809
.LBB38_771:
	s_mov_b32 s1, -1
	s_mov_b32 s0, 0
	s_mov_b32 s20, s18
                                        ; implicit-def: $vgpr0_vgpr1
	s_branch .LBB38_790
.LBB38_772:
	s_mov_b32 s1, -1
	s_mov_b32 s0, 0
	s_mov_b32 s20, s18
                                        ; implicit-def: $vgpr0_vgpr1
	s_branch .LBB38_785
.LBB38_773:
	s_or_saveexec_b32 s20, s20
                                        ; implicit-def: $sgpr21
	s_delay_alu instid0(SALU_CYCLE_1)
	s_xor_b32 exec_lo, exec_lo, s20
	s_cbranch_execz .LBB38_668
.LBB38_774:
	v_add_f32_e64 v8, 0x46000000, |v7|
	s_and_not1_b32 s19, s19, exec_lo
	s_mov_b32 s21, 0
	s_delay_alu instid0(VALU_DEP_1) | instskip(NEXT) | instid1(VALU_DEP_1)
	v_and_b32_e32 v8, 0xff, v8
	v_cmp_ne_u32_e32 vcc_lo, 0, v8
	s_and_b32 s22, vcc_lo, exec_lo
	s_delay_alu instid0(SALU_CYCLE_1)
	s_or_b32 s19, s19, s22
	s_or_b32 exec_lo, exec_lo, s20
	v_mov_b32_e32 v9, s21
	s_and_saveexec_b32 s20, s19
	s_cbranch_execnz .LBB38_669
	s_branch .LBB38_670
.LBB38_775:
	s_mov_b32 s1, -1
	s_mov_b32 s0, 0
	s_mov_b32 s20, s18
	s_branch .LBB38_779
.LBB38_776:
	s_or_saveexec_b32 s20, s20
                                        ; implicit-def: $sgpr21
	s_delay_alu instid0(SALU_CYCLE_1)
	s_xor_b32 exec_lo, exec_lo, s20
	s_cbranch_execz .LBB38_681
.LBB38_777:
	v_add_f32_e64 v8, 0x42800000, |v7|
	s_and_not1_b32 s19, s19, exec_lo
	s_mov_b32 s21, 0
	s_delay_alu instid0(VALU_DEP_1) | instskip(NEXT) | instid1(VALU_DEP_1)
	v_and_b32_e32 v8, 0xff, v8
	v_cmp_ne_u32_e32 vcc_lo, 0, v8
	s_and_b32 s22, vcc_lo, exec_lo
	s_delay_alu instid0(SALU_CYCLE_1)
	s_or_b32 s19, s19, s22
	s_or_b32 exec_lo, exec_lo, s20
	v_mov_b32_e32 v9, s21
	s_and_saveexec_b32 s20, s19
	s_cbranch_execnz .LBB38_682
	s_branch .LBB38_683
.LBB38_778:
	s_mov_b32 s20, -1
	s_mov_b32 s0, 0
.LBB38_779:
                                        ; implicit-def: $vgpr0_vgpr1
.LBB38_780:
	s_and_b32 vcc_lo, exec_lo, s1
	s_cbranch_vccz .LBB38_784
; %bb.781:
	v_cmp_eq_u16_e32 vcc_lo, 44, v12
	s_cbranch_vccz .LBB38_783
; %bb.782:
	global_load_u8 v0, v[2:3], off
	s_mov_b32 s20, 0
	s_mov_b32 s0, -1
	s_waitcnt vmcnt(0)
	v_lshlrev_b32_e32 v1, 23, v0
	s_delay_alu instid0(VALU_DEP_1) | instskip(NEXT) | instid1(VALU_DEP_1)
	v_trunc_f32_e32 v1, v1
	v_mul_f32_e64 v4, 0x2f800000, |v1|
	s_delay_alu instid0(VALU_DEP_1) | instskip(NEXT) | instid1(VALU_DEP_1)
	v_floor_f32_e32 v4, v4
	v_fma_f32 v5, 0xcf800000, v4, |v1|
	v_ashrrev_i32_e32 v1, 31, v1
	v_cvt_u32_f32_e32 v4, v4
	s_delay_alu instid0(VALU_DEP_3) | instskip(NEXT) | instid1(VALU_DEP_2)
	v_cvt_u32_f32_e32 v5, v5
	v_xor_b32_e32 v4, v4, v1
	s_delay_alu instid0(VALU_DEP_2) | instskip(NEXT) | instid1(VALU_DEP_1)
	v_xor_b32_e32 v5, v5, v1
	v_sub_co_u32 v5, vcc_lo, v5, v1
	s_delay_alu instid0(VALU_DEP_3) | instskip(SKIP_1) | instid1(VALU_DEP_3)
	v_sub_co_ci_u32_e32 v1, vcc_lo, v4, v1, vcc_lo
	v_cmp_ne_u32_e32 vcc_lo, 0, v0
	v_cndmask_b32_e32 v0, 0, v5, vcc_lo
	s_delay_alu instid0(VALU_DEP_3)
	v_cndmask_b32_e32 v1, 0, v1, vcc_lo
	s_branch .LBB38_784
.LBB38_783:
	s_mov_b32 s20, -1
                                        ; implicit-def: $vgpr0_vgpr1
.LBB38_784:
	s_mov_b32 s1, 0
.LBB38_785:
	s_delay_alu instid0(SALU_CYCLE_1)
	s_and_b32 vcc_lo, exec_lo, s1
	s_cbranch_vccz .LBB38_789
; %bb.786:
	v_cmp_eq_u16_e32 vcc_lo, 29, v12
	s_cbranch_vccz .LBB38_788
; %bb.787:
	global_load_b64 v[0:1], v[2:3], off
	s_mov_b32 s20, 0
	s_mov_b32 s0, -1
	s_branch .LBB38_789
.LBB38_788:
	s_mov_b32 s20, -1
                                        ; implicit-def: $vgpr0_vgpr1
.LBB38_789:
	s_mov_b32 s1, 0
.LBB38_790:
	s_delay_alu instid0(SALU_CYCLE_1)
	s_and_b32 vcc_lo, exec_lo, s1
	s_cbranch_vccz .LBB38_808
; %bb.791:
	v_cmp_gt_i16_e32 vcc_lo, 27, v12
	s_cbranch_vccnz .LBB38_794
; %bb.792:
	v_cmp_lt_i16_e32 vcc_lo, 27, v12
	s_cbranch_vccz .LBB38_795
; %bb.793:
	global_load_b32 v0, v[2:3], off
	s_waitcnt vmcnt(1)
	v_mov_b32_e32 v1, 0
	s_mov_b32 s0, 0
	s_branch .LBB38_796
.LBB38_794:
	s_mov_b32 s0, -1
                                        ; implicit-def: $vgpr0_vgpr1
	s_branch .LBB38_799
.LBB38_795:
	s_mov_b32 s0, -1
                                        ; implicit-def: $vgpr0_vgpr1
.LBB38_796:
	s_delay_alu instid0(SALU_CYCLE_1)
	s_and_not1_b32 vcc_lo, exec_lo, s0
	s_cbranch_vccnz .LBB38_798
; %bb.797:
	global_load_u16 v0, v[2:3], off
	s_mov_b32 s0, 0
	s_waitcnt vmcnt(0)
	v_dual_mov_b32 v1, s0 :: v_dual_and_b32 v0, 0xffff, v0
.LBB38_798:
	s_mov_b32 s0, 0
.LBB38_799:
	s_delay_alu instid0(SALU_CYCLE_1)
	s_and_not1_b32 vcc_lo, exec_lo, s0
	s_cbranch_vccnz .LBB38_807
; %bb.800:
	global_load_u8 v4, v[2:3], off
	s_mov_b32 s22, 0
	s_mov_b32 s23, exec_lo
                                        ; implicit-def: $sgpr0_sgpr1
	s_waitcnt vmcnt(0)
	v_cmpx_lt_i16_e32 0x7f, v4
	s_xor_b32 s23, exec_lo, s23
; %bb.801:
	v_cmp_ne_u16_e32 vcc_lo, 0x80, v4
	s_mov_b64 s[0:1], 0
	s_and_b32 s22, vcc_lo, exec_lo
; %bb.802:
	s_or_saveexec_b32 s23, s23
	v_dual_mov_b32 v0, s0 :: v_dual_mov_b32 v1, s1
	s_xor_b32 exec_lo, exec_lo, s23
; %bb.803:
	v_cmp_ne_u16_e32 vcc_lo, 0, v4
	v_mov_b32_e32 v0, 0
	v_mov_b32_e32 v1, 0
	s_and_not1_b32 s0, s22, exec_lo
	s_and_b32 s1, vcc_lo, exec_lo
	s_delay_alu instid0(SALU_CYCLE_1)
	s_or_b32 s22, s0, s1
; %bb.804:
	s_or_b32 exec_lo, exec_lo, s23
	s_and_saveexec_b32 s0, s22
	s_cbranch_execz .LBB38_806
; %bb.805:
	v_and_b32_e32 v0, 0xffff, v4
	v_lshlrev_b32_e32 v4, 24, v4
	s_delay_alu instid0(VALU_DEP_2) | instskip(NEXT) | instid1(VALU_DEP_2)
	v_and_b32_e32 v1, 7, v0
	v_and_b32_e32 v4, 0x80000000, v4
	s_delay_alu instid0(VALU_DEP_2) | instskip(NEXT) | instid1(VALU_DEP_1)
	v_clz_i32_u32_e32 v5, v1
	v_min_u32_e32 v5, 32, v5
	s_delay_alu instid0(VALU_DEP_1) | instskip(SKIP_1) | instid1(VALU_DEP_2)
	v_subrev_nc_u32_e32 v6, 28, v5
	v_sub_nc_u32_e32 v5, 29, v5
	v_lshlrev_b32_e32 v6, v6, v0
	v_bfe_u32 v0, v0, 3, 4
	s_delay_alu instid0(VALU_DEP_2) | instskip(NEXT) | instid1(VALU_DEP_2)
	v_and_b32_e32 v6, 7, v6
	v_cmp_eq_u32_e32 vcc_lo, 0, v0
	s_delay_alu instid0(VALU_DEP_2) | instskip(NEXT) | instid1(VALU_DEP_1)
	v_dual_cndmask_b32 v0, v0, v5 :: v_dual_cndmask_b32 v1, v1, v6
	v_lshl_add_u32 v0, v0, 23, 0x3b800000
	s_delay_alu instid0(VALU_DEP_2) | instskip(NEXT) | instid1(VALU_DEP_1)
	v_lshlrev_b32_e32 v1, 20, v1
	v_or3_b32 v0, v4, v0, v1
	s_delay_alu instid0(VALU_DEP_1) | instskip(NEXT) | instid1(VALU_DEP_1)
	v_trunc_f32_e32 v0, v0
	v_mul_f32_e64 v1, 0x2f800000, |v0|
	v_ashrrev_i32_e32 v5, 31, v0
	s_delay_alu instid0(VALU_DEP_2) | instskip(NEXT) | instid1(VALU_DEP_1)
	v_floor_f32_e32 v1, v1
	v_fma_f32 v4, 0xcf800000, v1, |v0|
	v_cvt_u32_f32_e32 v1, v1
	s_delay_alu instid0(VALU_DEP_2) | instskip(NEXT) | instid1(VALU_DEP_2)
	v_cvt_u32_f32_e32 v0, v4
	v_xor_b32_e32 v1, v1, v5
	s_delay_alu instid0(VALU_DEP_2) | instskip(NEXT) | instid1(VALU_DEP_1)
	v_xor_b32_e32 v0, v0, v5
	v_sub_co_u32 v0, vcc_lo, v0, v5
	s_delay_alu instid0(VALU_DEP_3)
	v_sub_co_ci_u32_e32 v1, vcc_lo, v1, v5, vcc_lo
.LBB38_806:
	s_or_b32 exec_lo, exec_lo, s0
.LBB38_807:
	s_mov_b32 s0, -1
.LBB38_808:
	s_mov_b32 s1, 0
.LBB38_809:
	s_delay_alu instid0(SALU_CYCLE_1)
	s_and_b32 vcc_lo, exec_lo, s1
	s_cbranch_vccz .LBB38_838
; %bb.810:
	v_cmp_lt_i16_e32 vcc_lo, 22, v12
	s_cbranch_vccz .LBB38_820
; %bb.811:
	v_cmp_gt_i16_e32 vcc_lo, 24, v12
	s_cbranch_vccnz .LBB38_821
; %bb.812:
	v_cmp_lt_i16_e32 vcc_lo, 24, v12
	s_cbranch_vccz .LBB38_822
; %bb.813:
	global_load_u8 v4, v[2:3], off
	s_mov_b32 s22, exec_lo
                                        ; implicit-def: $sgpr0_sgpr1
	s_waitcnt vmcnt(0)
	v_cmpx_lt_i16_e32 0x7f, v4
	s_xor_b32 s22, exec_lo, s22
; %bb.814:
	v_cmp_ne_u16_e32 vcc_lo, 0x80, v4
	s_mov_b64 s[0:1], 0
	s_and_b32 s21, vcc_lo, exec_lo
; %bb.815:
	s_or_saveexec_b32 s22, s22
	v_dual_mov_b32 v0, s0 :: v_dual_mov_b32 v1, s1
	s_xor_b32 exec_lo, exec_lo, s22
; %bb.816:
	v_cmp_ne_u16_e32 vcc_lo, 0, v4
	v_mov_b32_e32 v0, 0
	v_mov_b32_e32 v1, 0
	s_and_not1_b32 s0, s21, exec_lo
	s_and_b32 s1, vcc_lo, exec_lo
	s_delay_alu instid0(SALU_CYCLE_1)
	s_or_b32 s21, s0, s1
; %bb.817:
	s_or_b32 exec_lo, exec_lo, s22
	s_and_saveexec_b32 s0, s21
	s_cbranch_execz .LBB38_819
; %bb.818:
	v_and_b32_e32 v0, 0xffff, v4
	v_lshlrev_b32_e32 v4, 24, v4
	s_delay_alu instid0(VALU_DEP_2) | instskip(NEXT) | instid1(VALU_DEP_2)
	v_and_b32_e32 v1, 3, v0
	v_and_b32_e32 v4, 0x80000000, v4
	s_delay_alu instid0(VALU_DEP_2) | instskip(NEXT) | instid1(VALU_DEP_1)
	v_clz_i32_u32_e32 v5, v1
	v_min_u32_e32 v5, 32, v5
	s_delay_alu instid0(VALU_DEP_1) | instskip(SKIP_1) | instid1(VALU_DEP_2)
	v_subrev_nc_u32_e32 v6, 29, v5
	v_sub_nc_u32_e32 v5, 30, v5
	v_lshlrev_b32_e32 v6, v6, v0
	v_bfe_u32 v0, v0, 2, 5
	s_delay_alu instid0(VALU_DEP_2) | instskip(NEXT) | instid1(VALU_DEP_2)
	v_and_b32_e32 v6, 3, v6
	v_cmp_eq_u32_e32 vcc_lo, 0, v0
	s_delay_alu instid0(VALU_DEP_2) | instskip(NEXT) | instid1(VALU_DEP_1)
	v_dual_cndmask_b32 v0, v0, v5 :: v_dual_cndmask_b32 v1, v1, v6
	v_lshl_add_u32 v0, v0, 23, 0x37800000
	s_delay_alu instid0(VALU_DEP_2) | instskip(NEXT) | instid1(VALU_DEP_1)
	v_lshlrev_b32_e32 v1, 21, v1
	v_or3_b32 v0, v4, v0, v1
	s_delay_alu instid0(VALU_DEP_1) | instskip(NEXT) | instid1(VALU_DEP_1)
	v_trunc_f32_e32 v0, v0
	v_mul_f32_e64 v1, 0x2f800000, |v0|
	v_ashrrev_i32_e32 v5, 31, v0
	s_delay_alu instid0(VALU_DEP_2) | instskip(NEXT) | instid1(VALU_DEP_1)
	v_floor_f32_e32 v1, v1
	v_fma_f32 v4, 0xcf800000, v1, |v0|
	v_cvt_u32_f32_e32 v1, v1
	s_delay_alu instid0(VALU_DEP_2) | instskip(NEXT) | instid1(VALU_DEP_2)
	v_cvt_u32_f32_e32 v0, v4
	v_xor_b32_e32 v1, v1, v5
	s_delay_alu instid0(VALU_DEP_2) | instskip(NEXT) | instid1(VALU_DEP_1)
	v_xor_b32_e32 v0, v0, v5
	v_sub_co_u32 v0, vcc_lo, v0, v5
	s_delay_alu instid0(VALU_DEP_3)
	v_sub_co_ci_u32_e32 v1, vcc_lo, v1, v5, vcc_lo
.LBB38_819:
	s_or_b32 exec_lo, exec_lo, s0
	s_mov_b32 s0, 0
	s_branch .LBB38_823
.LBB38_820:
	s_mov_b32 s1, -1
                                        ; implicit-def: $vgpr0_vgpr1
	s_branch .LBB38_829
.LBB38_821:
	s_mov_b32 s0, -1
                                        ; implicit-def: $vgpr0_vgpr1
	s_branch .LBB38_826
.LBB38_822:
	s_mov_b32 s0, -1
                                        ; implicit-def: $vgpr0_vgpr1
.LBB38_823:
	s_delay_alu instid0(SALU_CYCLE_1)
	s_and_b32 vcc_lo, exec_lo, s0
	s_cbranch_vccz .LBB38_825
; %bb.824:
	global_load_u8 v0, v[2:3], off
	s_waitcnt vmcnt(0)
	v_lshlrev_b32_e32 v0, 24, v0
	s_delay_alu instid0(VALU_DEP_1) | instskip(NEXT) | instid1(VALU_DEP_1)
	v_and_b32_e32 v1, 0x7f000000, v0
	v_clz_i32_u32_e32 v4, v1
	v_cmp_ne_u32_e32 vcc_lo, 0, v1
	v_add_nc_u32_e32 v6, 0x1000000, v1
	s_delay_alu instid0(VALU_DEP_3) | instskip(NEXT) | instid1(VALU_DEP_1)
	v_min_u32_e32 v4, 32, v4
	v_sub_nc_u32_e64 v4, v4, 4 clamp
	s_delay_alu instid0(VALU_DEP_1) | instskip(SKIP_1) | instid1(VALU_DEP_2)
	v_lshlrev_b32_e32 v5, v4, v1
	v_lshlrev_b32_e32 v4, 23, v4
	v_lshrrev_b32_e32 v5, 4, v5
	s_delay_alu instid0(VALU_DEP_1) | instskip(SKIP_1) | instid1(VALU_DEP_2)
	v_sub_nc_u32_e32 v4, v5, v4
	v_ashrrev_i32_e32 v5, 8, v6
	v_add_nc_u32_e32 v4, 0x3c000000, v4
	s_delay_alu instid0(VALU_DEP_1) | instskip(NEXT) | instid1(VALU_DEP_1)
	v_and_or_b32 v4, 0x7f800000, v5, v4
	v_cndmask_b32_e32 v1, 0, v4, vcc_lo
	s_delay_alu instid0(VALU_DEP_1) | instskip(NEXT) | instid1(VALU_DEP_1)
	v_and_or_b32 v0, 0x80000000, v0, v1
	v_trunc_f32_e32 v0, v0
	s_delay_alu instid0(VALU_DEP_1) | instskip(SKIP_1) | instid1(VALU_DEP_2)
	v_mul_f32_e64 v1, 0x2f800000, |v0|
	v_ashrrev_i32_e32 v5, 31, v0
	v_floor_f32_e32 v1, v1
	s_delay_alu instid0(VALU_DEP_1) | instskip(SKIP_1) | instid1(VALU_DEP_2)
	v_fma_f32 v4, 0xcf800000, v1, |v0|
	v_cvt_u32_f32_e32 v1, v1
	v_cvt_u32_f32_e32 v0, v4
	s_delay_alu instid0(VALU_DEP_2) | instskip(NEXT) | instid1(VALU_DEP_2)
	v_xor_b32_e32 v1, v1, v5
	v_xor_b32_e32 v0, v0, v5
	s_delay_alu instid0(VALU_DEP_1) | instskip(NEXT) | instid1(VALU_DEP_3)
	v_sub_co_u32 v0, vcc_lo, v0, v5
	v_sub_co_ci_u32_e32 v1, vcc_lo, v1, v5, vcc_lo
.LBB38_825:
	s_mov_b32 s0, 0
.LBB38_826:
	s_delay_alu instid0(SALU_CYCLE_1)
	s_and_not1_b32 vcc_lo, exec_lo, s0
	s_cbranch_vccnz .LBB38_828
; %bb.827:
	global_load_u8 v0, v[2:3], off
	s_waitcnt vmcnt(0)
	v_lshlrev_b32_e32 v1, 25, v0
	v_lshlrev_b16 v0, 8, v0
	s_delay_alu instid0(VALU_DEP_2) | instskip(NEXT) | instid1(VALU_DEP_2)
	v_lshrrev_b32_e32 v4, 4, v1
	v_and_or_b32 v5, 0x7f00, v0, 0.5
	v_cmp_gt_u32_e32 vcc_lo, 0x8000000, v1
	v_bfe_i32 v0, v0, 0, 16
	s_delay_alu instid0(VALU_DEP_4) | instskip(NEXT) | instid1(VALU_DEP_1)
	v_or_b32_e32 v4, 0x70000000, v4
	v_dual_add_f32 v5, -0.5, v5 :: v_dual_mul_f32 v4, 0x7800000, v4
	s_delay_alu instid0(VALU_DEP_1) | instskip(NEXT) | instid1(VALU_DEP_1)
	v_cndmask_b32_e32 v1, v4, v5, vcc_lo
	v_and_or_b32 v0, 0x80000000, v0, v1
	s_delay_alu instid0(VALU_DEP_1) | instskip(NEXT) | instid1(VALU_DEP_1)
	v_trunc_f32_e32 v0, v0
	v_mul_f32_e64 v1, 0x2f800000, |v0|
	v_ashrrev_i32_e32 v5, 31, v0
	s_delay_alu instid0(VALU_DEP_2) | instskip(NEXT) | instid1(VALU_DEP_1)
	v_floor_f32_e32 v1, v1
	v_fma_f32 v4, 0xcf800000, v1, |v0|
	v_cvt_u32_f32_e32 v1, v1
	s_delay_alu instid0(VALU_DEP_2) | instskip(NEXT) | instid1(VALU_DEP_2)
	v_cvt_u32_f32_e32 v0, v4
	v_xor_b32_e32 v1, v1, v5
	s_delay_alu instid0(VALU_DEP_2) | instskip(NEXT) | instid1(VALU_DEP_1)
	v_xor_b32_e32 v0, v0, v5
	v_sub_co_u32 v0, vcc_lo, v0, v5
	s_delay_alu instid0(VALU_DEP_3)
	v_sub_co_ci_u32_e32 v1, vcc_lo, v1, v5, vcc_lo
.LBB38_828:
	s_mov_b32 s1, 0
	s_mov_b32 s0, -1
.LBB38_829:
	s_and_not1_b32 vcc_lo, exec_lo, s1
	s_mov_b32 s21, 0
	s_cbranch_vccnz .LBB38_838
; %bb.830:
	v_cmp_lt_i16_e32 vcc_lo, 14, v12
	s_cbranch_vccz .LBB38_833
; %bb.831:
	v_cmp_eq_u16_e32 vcc_lo, 15, v12
	s_cbranch_vccz .LBB38_834
; %bb.832:
	global_load_u16 v0, v[2:3], off
	s_mov_b32 s20, 0
	s_mov_b32 s0, -1
	s_waitcnt vmcnt(0)
	v_lshlrev_b32_e32 v0, 16, v0
	s_delay_alu instid0(VALU_DEP_1) | instskip(NEXT) | instid1(VALU_DEP_1)
	v_trunc_f32_e32 v0, v0
	v_mul_f32_e64 v1, 0x2f800000, |v0|
	v_ashrrev_i32_e32 v5, 31, v0
	s_delay_alu instid0(VALU_DEP_2) | instskip(NEXT) | instid1(VALU_DEP_1)
	v_floor_f32_e32 v1, v1
	v_fma_f32 v4, 0xcf800000, v1, |v0|
	v_cvt_u32_f32_e32 v1, v1
	s_delay_alu instid0(VALU_DEP_2) | instskip(NEXT) | instid1(VALU_DEP_2)
	v_cvt_u32_f32_e32 v0, v4
	v_xor_b32_e32 v1, v1, v5
	s_delay_alu instid0(VALU_DEP_2) | instskip(NEXT) | instid1(VALU_DEP_1)
	v_xor_b32_e32 v0, v0, v5
	v_sub_co_u32 v0, vcc_lo, v0, v5
	s_delay_alu instid0(VALU_DEP_3)
	v_sub_co_ci_u32_e32 v1, vcc_lo, v1, v5, vcc_lo
	s_branch .LBB38_835
.LBB38_833:
	s_mov_b32 s1, -1
                                        ; implicit-def: $vgpr0_vgpr1
	s_branch .LBB38_836
.LBB38_834:
	s_mov_b32 s20, -1
                                        ; implicit-def: $vgpr0_vgpr1
.LBB38_835:
	s_mov_b32 s1, 0
.LBB38_836:
	s_delay_alu instid0(SALU_CYCLE_1)
	s_and_b32 vcc_lo, exec_lo, s1
	s_cbranch_vccz .LBB38_838
; %bb.837:
	v_cmp_ne_u16_e32 vcc_lo, 11, v12
	s_and_not1_b32 s1, s20, exec_lo
	s_mov_b32 s21, -1
                                        ; implicit-def: $vgpr0_vgpr1
	s_and_b32 s20, vcc_lo, exec_lo
	s_delay_alu instid0(SALU_CYCLE_1)
	s_or_b32 s20, s1, s20
.LBB38_838:
	s_mov_b32 s1, 0
.LBB38_839:
	s_and_not1_b32 s22, s18, exec_lo
	s_and_b32 s20, s20, exec_lo
	s_and_b32 s23, s0, exec_lo
	;; [unrolled: 1-line block ×4, first 2 shown]
	s_or_b32 s22, s22, s20
.LBB38_840:
	s_or_b32 exec_lo, exec_lo, s11
	s_delay_alu instid0(SALU_CYCLE_1)
	s_and_not1_b32 s11, s18, exec_lo
	s_and_b32 s18, s22, exec_lo
	s_and_b32 s21, s23, exec_lo
	;; [unrolled: 1-line block ×4, first 2 shown]
	s_or_b32 s18, s11, s18
.LBB38_841:
	s_or_b32 exec_lo, exec_lo, s17
	s_delay_alu instid0(SALU_CYCLE_1)
	s_and_not1_b32 s0, s15, exec_lo
	s_and_b32 s11, s19, exec_lo
	s_and_b32 s17, s20, exec_lo
	s_or_b32 s15, s0, s11
	s_and_not1_b32 s11, s14, exec_lo
	s_and_b32 s14, s18, exec_lo
	s_and_b32 s0, s21, exec_lo
	;; [unrolled: 1-line block ×3, first 2 shown]
	s_or_b32 s14, s11, s14
.LBB38_842:
	s_or_b32 exec_lo, exec_lo, s16
	s_delay_alu instid0(SALU_CYCLE_1)
	s_and_not1_b32 s10, s10, exec_lo
	s_and_b32 s11, s15, exec_lo
	s_and_b32 s0, s0, exec_lo
	s_or_b32 s10, s10, s11
	s_and_not1_b32 s11, s12, exec_lo
	s_and_b32 s12, s14, exec_lo
	s_and_b32 s15, s17, exec_lo
	;; [unrolled: 1-line block ×3, first 2 shown]
	s_or_b32 s12, s11, s12
.LBB38_843:
	s_or_b32 exec_lo, exec_lo, s13
	s_mov_b32 s1, 0
	s_and_saveexec_b32 s11, s12
	s_cbranch_execnz .LBB38_855
; %bb.844:
	s_or_b32 exec_lo, exec_lo, s11
	s_and_saveexec_b32 s11, s14
	s_delay_alu instid0(SALU_CYCLE_1)
	s_xor_b32 s11, exec_lo, s11
	s_cbranch_execz .LBB38_846
.LBB38_845:
	global_load_u8 v0, v[2:3], off
	s_mov_b32 s12, 0
	s_or_b32 s0, s0, exec_lo
	s_waitcnt vmcnt(1)
	v_mov_b32_e32 v1, s12
	s_waitcnt vmcnt(0)
	v_cmp_ne_u16_e32 vcc_lo, 0, v0
	v_cndmask_b32_e64 v0, 0, 1, vcc_lo
.LBB38_846:
	s_or_b32 exec_lo, exec_lo, s11
	s_and_saveexec_b32 s11, s15
	s_cbranch_execz .LBB38_894
; %bb.847:
	v_cmp_gt_i16_e32 vcc_lo, 5, v12
	s_cbranch_vccnz .LBB38_852
; %bb.848:
	v_cmp_gt_i16_e32 vcc_lo, 8, v12
	s_cbranch_vccnz .LBB38_853
; %bb.849:
	v_cmp_gt_i16_e32 vcc_lo, 9, v12
	s_cbranch_vccnz .LBB38_854
; %bb.850:
	v_cmp_lt_i16_e32 vcc_lo, 9, v12
	s_cbranch_vccz .LBB38_857
; %bb.851:
	global_load_b64 v[0:1], v[2:3], off
	s_mov_b32 s12, 0
	s_waitcnt vmcnt(0)
	v_trunc_f64_e32 v[0:1], v[0:1]
	s_delay_alu instid0(VALU_DEP_1) | instskip(NEXT) | instid1(VALU_DEP_1)
	v_ldexp_f64 v[4:5], v[0:1], 0xffffffe0
	v_floor_f64_e32 v[4:5], v[4:5]
	s_delay_alu instid0(VALU_DEP_1) | instskip(SKIP_1) | instid1(VALU_DEP_2)
	v_fma_f64 v[6:7], 0xc1f00000, v[4:5], v[0:1]
	v_cvt_i32_f64_e32 v1, v[4:5]
	v_cvt_u32_f64_e32 v0, v[6:7]
	s_branch .LBB38_858
.LBB38_852:
                                        ; implicit-def: $vgpr0_vgpr1
	s_branch .LBB38_875
.LBB38_853:
                                        ; implicit-def: $vgpr0_vgpr1
	s_branch .LBB38_864
.LBB38_854:
	s_mov_b32 s12, -1
                                        ; implicit-def: $vgpr0_vgpr1
	s_branch .LBB38_861
.LBB38_855:
	s_cbranch_execnz .LBB38_903
; %bb.856:
	s_mov_b32 s1, exec_lo
	s_and_not1_b32 s14, s14, exec_lo
                                        ; implicit-def: $vgpr0_vgpr1
	s_or_b32 exec_lo, exec_lo, s11
	s_and_saveexec_b32 s11, s14
	s_delay_alu instid0(SALU_CYCLE_1)
	s_xor_b32 s11, exec_lo, s11
	s_cbranch_execnz .LBB38_845
	s_branch .LBB38_846
.LBB38_857:
	s_mov_b32 s12, -1
                                        ; implicit-def: $vgpr0_vgpr1
.LBB38_858:
	s_delay_alu instid0(SALU_CYCLE_1)
	s_and_not1_b32 vcc_lo, exec_lo, s12
	s_cbranch_vccnz .LBB38_860
; %bb.859:
	global_load_b32 v0, v[2:3], off
	s_waitcnt vmcnt(0)
	v_trunc_f32_e32 v0, v0
	s_delay_alu instid0(VALU_DEP_1) | instskip(SKIP_1) | instid1(VALU_DEP_2)
	v_mul_f32_e64 v1, 0x2f800000, |v0|
	v_ashrrev_i32_e32 v5, 31, v0
	v_floor_f32_e32 v1, v1
	s_delay_alu instid0(VALU_DEP_1) | instskip(SKIP_1) | instid1(VALU_DEP_2)
	v_fma_f32 v4, 0xcf800000, v1, |v0|
	v_cvt_u32_f32_e32 v1, v1
	v_cvt_u32_f32_e32 v0, v4
	s_delay_alu instid0(VALU_DEP_2) | instskip(NEXT) | instid1(VALU_DEP_2)
	v_xor_b32_e32 v1, v1, v5
	v_xor_b32_e32 v0, v0, v5
	s_delay_alu instid0(VALU_DEP_1) | instskip(NEXT) | instid1(VALU_DEP_3)
	v_sub_co_u32 v0, vcc_lo, v0, v5
	v_sub_co_ci_u32_e32 v1, vcc_lo, v1, v5, vcc_lo
.LBB38_860:
	s_mov_b32 s12, 0
.LBB38_861:
	s_delay_alu instid0(SALU_CYCLE_1)
	s_and_not1_b32 vcc_lo, exec_lo, s12
	s_cbranch_vccnz .LBB38_863
; %bb.862:
	global_load_b32 v0, v[2:3], off
	s_waitcnt vmcnt(0)
	v_cvt_f32_f16_e32 v0, v0
	s_delay_alu instid0(VALU_DEP_1) | instskip(NEXT) | instid1(VALU_DEP_1)
	v_cvt_i32_f32_e32 v0, v0
	v_ashrrev_i32_e32 v1, 31, v0
.LBB38_863:
	s_cbranch_execnz .LBB38_874
.LBB38_864:
	v_cmp_gt_i16_e32 vcc_lo, 6, v12
	s_cbranch_vccnz .LBB38_867
; %bb.865:
	v_cmp_lt_i16_e32 vcc_lo, 6, v12
	s_cbranch_vccz .LBB38_868
; %bb.866:
	global_load_b64 v[0:1], v[2:3], off
	s_mov_b32 s12, 0
	s_waitcnt vmcnt(0)
	v_trunc_f64_e32 v[0:1], v[0:1]
	s_delay_alu instid0(VALU_DEP_1) | instskip(NEXT) | instid1(VALU_DEP_1)
	v_ldexp_f64 v[4:5], v[0:1], 0xffffffe0
	v_floor_f64_e32 v[4:5], v[4:5]
	s_delay_alu instid0(VALU_DEP_1) | instskip(SKIP_1) | instid1(VALU_DEP_2)
	v_fma_f64 v[6:7], 0xc1f00000, v[4:5], v[0:1]
	v_cvt_i32_f64_e32 v1, v[4:5]
	v_cvt_u32_f64_e32 v0, v[6:7]
	s_branch .LBB38_869
.LBB38_867:
	s_mov_b32 s12, -1
                                        ; implicit-def: $vgpr0_vgpr1
	s_branch .LBB38_872
.LBB38_868:
	s_mov_b32 s12, -1
                                        ; implicit-def: $vgpr0_vgpr1
.LBB38_869:
	s_delay_alu instid0(SALU_CYCLE_1)
	s_and_not1_b32 vcc_lo, exec_lo, s12
	s_cbranch_vccnz .LBB38_871
; %bb.870:
	global_load_b32 v0, v[2:3], off
	s_waitcnt vmcnt(0)
	v_trunc_f32_e32 v0, v0
	s_delay_alu instid0(VALU_DEP_1) | instskip(SKIP_1) | instid1(VALU_DEP_2)
	v_mul_f32_e64 v1, 0x2f800000, |v0|
	v_ashrrev_i32_e32 v5, 31, v0
	v_floor_f32_e32 v1, v1
	s_delay_alu instid0(VALU_DEP_1) | instskip(SKIP_1) | instid1(VALU_DEP_2)
	v_fma_f32 v4, 0xcf800000, v1, |v0|
	v_cvt_u32_f32_e32 v1, v1
	v_cvt_u32_f32_e32 v0, v4
	s_delay_alu instid0(VALU_DEP_2) | instskip(NEXT) | instid1(VALU_DEP_2)
	v_xor_b32_e32 v1, v1, v5
	v_xor_b32_e32 v0, v0, v5
	s_delay_alu instid0(VALU_DEP_1) | instskip(NEXT) | instid1(VALU_DEP_3)
	v_sub_co_u32 v0, vcc_lo, v0, v5
	v_sub_co_ci_u32_e32 v1, vcc_lo, v1, v5, vcc_lo
.LBB38_871:
	s_mov_b32 s12, 0
.LBB38_872:
	s_delay_alu instid0(SALU_CYCLE_1)
	s_and_not1_b32 vcc_lo, exec_lo, s12
	s_cbranch_vccnz .LBB38_874
; %bb.873:
	global_load_u16 v0, v[2:3], off
	s_waitcnt vmcnt(0)
	v_cvt_f32_f16_e32 v0, v0
	s_delay_alu instid0(VALU_DEP_1) | instskip(NEXT) | instid1(VALU_DEP_1)
	v_cvt_i32_f32_e32 v0, v0
	v_ashrrev_i32_e32 v1, 31, v0
.LBB38_874:
	s_cbranch_execnz .LBB38_893
.LBB38_875:
	v_cmp_gt_i16_e32 vcc_lo, 2, v12
	s_cbranch_vccnz .LBB38_879
; %bb.876:
	v_cmp_gt_i16_e32 vcc_lo, 3, v12
	s_cbranch_vccnz .LBB38_880
; %bb.877:
	v_cmp_lt_i16_e32 vcc_lo, 3, v12
	s_cbranch_vccz .LBB38_881
; %bb.878:
	global_load_b64 v[0:1], v[2:3], off
	s_mov_b32 s12, 0
	s_branch .LBB38_882
.LBB38_879:
                                        ; implicit-def: $vgpr0_vgpr1
	s_branch .LBB38_888
.LBB38_880:
	s_mov_b32 s12, -1
                                        ; implicit-def: $vgpr0_vgpr1
	s_branch .LBB38_885
.LBB38_881:
	s_mov_b32 s12, -1
                                        ; implicit-def: $vgpr0_vgpr1
.LBB38_882:
	s_delay_alu instid0(SALU_CYCLE_1)
	s_and_not1_b32 vcc_lo, exec_lo, s12
	s_cbranch_vccnz .LBB38_884
; %bb.883:
	global_load_b32 v0, v[2:3], off
	s_waitcnt vmcnt(0)
	v_ashrrev_i32_e32 v1, 31, v0
.LBB38_884:
	s_mov_b32 s12, 0
.LBB38_885:
	s_delay_alu instid0(SALU_CYCLE_1)
	s_and_not1_b32 vcc_lo, exec_lo, s12
	s_cbranch_vccnz .LBB38_887
; %bb.886:
	global_load_u16 v0, v[2:3], off
	s_waitcnt vmcnt(0)
	v_bfe_i32 v0, v0, 0, 16
	s_delay_alu instid0(VALU_DEP_1)
	v_ashrrev_i32_e32 v1, 31, v0
.LBB38_887:
	s_cbranch_execnz .LBB38_893
.LBB38_888:
	v_cmp_lt_i16_e32 vcc_lo, 0, v12
	s_mov_b32 s12, 0
	s_cbranch_vccz .LBB38_890
; %bb.889:
	global_load_i8 v0, v[2:3], off
	s_waitcnt vmcnt(0)
	v_bfe_i32 v0, v0, 0, 16
	s_delay_alu instid0(VALU_DEP_1)
	v_ashrrev_i32_e32 v1, 31, v0
	s_branch .LBB38_891
.LBB38_890:
	s_mov_b32 s12, -1
                                        ; implicit-def: $vgpr0_vgpr1
.LBB38_891:
	s_delay_alu instid0(SALU_CYCLE_1)
	s_and_not1_b32 vcc_lo, exec_lo, s12
	s_cbranch_vccnz .LBB38_893
; %bb.892:
	global_load_u8 v0, v[2:3], off
	s_mov_b32 s12, 0
	s_waitcnt vmcnt(0)
	v_dual_mov_b32 v1, s12 :: v_dual_and_b32 v0, 0xffff, v0
.LBB38_893:
	s_or_b32 s0, s0, exec_lo
.LBB38_894:
	s_or_b32 exec_lo, exec_lo, s11
	s_mov_b32 s13, 0
	s_mov_b32 s12, 0
                                        ; implicit-def: $vgpr6
                                        ; implicit-def: $vgpr4_vgpr5
                                        ; implicit-def: $vgpr2_vgpr3
	s_and_saveexec_b32 s11, s0
	s_cbranch_execz .LBB38_974
; %bb.895:
	v_mul_lo_u32 v4, v11, s2
	v_and_b32_e32 v6, 0xff, v10
	s_waitcnt vmcnt(0)
	s_delay_alu instid0(VALU_DEP_3) | instskip(NEXT) | instid1(VALU_DEP_4)
	v_not_b32_e32 v3, v1
	v_not_b32_e32 v2, v0
	s_delay_alu instid0(VALU_DEP_3) | instskip(SKIP_2) | instid1(VALU_DEP_1)
	v_cmp_gt_i16_e32 vcc_lo, 11, v6
	v_ashrrev_i32_e32 v5, 31, v4
	v_add_co_u32 v4, s0, s4, v4
	v_add_co_ci_u32_e64 v5, s0, s5, v5, s0
	s_cbranch_vccnz .LBB38_902
; %bb.896:
	v_cmp_lt_i16_e32 vcc_lo, 25, v6
	s_mov_b32 s12, -1
	s_mov_b32 s0, s10
	s_cbranch_vccz .LBB38_932
; %bb.897:
	v_cmp_lt_i16_e32 vcc_lo, 28, v6
	s_mov_b32 s0, s10
	s_cbranch_vccz .LBB38_916
; %bb.898:
	v_cmp_lt_i16_e32 vcc_lo, 43, v6
	s_mov_b32 s0, s10
	s_cbranch_vccz .LBB38_912
; %bb.899:
	v_cmp_lt_i16_e32 vcc_lo, 45, v6
	s_mov_b32 s0, s10
	s_cbranch_vccz .LBB38_906
; %bb.900:
	v_cmp_eq_u16_e32 vcc_lo, 46, v6
	s_mov_b32 s0, -1
	s_cbranch_vccz .LBB38_905
; %bb.901:
	v_xor_b32_e32 v7, v2, v3
	v_cls_i32_e32 v8, v3
	s_mov_b32 s0, 0
	s_mov_b32 s12, 0
	s_delay_alu instid0(VALU_DEP_2) | instskip(NEXT) | instid1(VALU_DEP_2)
	v_ashrrev_i32_e32 v7, 31, v7
	v_add_nc_u32_e32 v8, -1, v8
	s_delay_alu instid0(VALU_DEP_2) | instskip(NEXT) | instid1(VALU_DEP_1)
	v_add_nc_u32_e32 v7, 32, v7
	v_min_u32_e32 v9, v8, v7
	s_delay_alu instid0(VALU_DEP_1) | instskip(NEXT) | instid1(VALU_DEP_1)
	v_lshlrev_b64 v[7:8], v9, v[2:3]
	v_min_u32_e32 v7, 1, v7
	s_delay_alu instid0(VALU_DEP_1) | instskip(SKIP_1) | instid1(VALU_DEP_2)
	v_or_b32_e32 v7, v8, v7
	v_sub_nc_u32_e32 v8, 32, v9
	v_cvt_f32_i32_e32 v7, v7
	s_delay_alu instid0(VALU_DEP_1) | instskip(NEXT) | instid1(VALU_DEP_1)
	v_ldexp_f32 v7, v7, v8
	v_bfe_u32 v8, v7, 16, 1
	s_delay_alu instid0(VALU_DEP_1) | instskip(NEXT) | instid1(VALU_DEP_1)
	v_add3_u32 v7, v7, v8, 0x7fff
	v_lshrrev_b32_e32 v7, 16, v7
	global_store_b32 v[4:5], v7, off
	s_branch .LBB38_906
.LBB38_902:
	s_mov_b32 s12, -1
	s_mov_b32 s0, s10
	s_branch .LBB38_973
.LBB38_903:
	s_trap 2
	s_sendmsg_rtn_b32 s0, sendmsg(MSG_RTN_GET_DOORBELL)
	s_mov_b32 ttmp2, m0
	s_waitcnt lgkmcnt(0)
	s_and_b32 s0, s0, 0x3ff
	s_delay_alu instid0(SALU_CYCLE_1) | instskip(NEXT) | instid1(SALU_CYCLE_1)
	s_bitset1_b32 s0, 10
	s_mov_b32 m0, s0
	s_sendmsg sendmsg(MSG_INTERRUPT)
	s_mov_b32 m0, ttmp2
.LBB38_904:                             ; =>This Inner Loop Header: Depth=1
	s_sethalt 5
	s_branch .LBB38_904
.LBB38_905:
	s_mov_b32 s12, 0
.LBB38_906:
	s_delay_alu instid0(SALU_CYCLE_1)
	s_and_b32 vcc_lo, exec_lo, s12
	s_cbranch_vccz .LBB38_911
; %bb.907:
	v_cmp_eq_u16_e32 vcc_lo, 44, v6
	s_mov_b32 s0, -1
	s_cbranch_vccz .LBB38_911
; %bb.908:
	v_xor_b32_e32 v7, v2, v3
	v_cls_i32_e32 v8, v3
	s_mov_b32 s12, exec_lo
	s_delay_alu instid0(VALU_DEP_2) | instskip(NEXT) | instid1(VALU_DEP_2)
	v_ashrrev_i32_e32 v7, 31, v7
	v_add_nc_u32_e32 v8, -1, v8
	s_delay_alu instid0(VALU_DEP_2) | instskip(NEXT) | instid1(VALU_DEP_1)
	v_add_nc_u32_e32 v7, 32, v7
	v_min_u32_e32 v9, v8, v7
	s_delay_alu instid0(VALU_DEP_1) | instskip(NEXT) | instid1(VALU_DEP_1)
	v_lshlrev_b64 v[7:8], v9, v[2:3]
	v_min_u32_e32 v7, 1, v7
	s_delay_alu instid0(VALU_DEP_1) | instskip(SKIP_1) | instid1(VALU_DEP_2)
	v_or_b32_e32 v7, v8, v7
	v_sub_nc_u32_e32 v8, 32, v9
	v_cvt_f32_i32_e32 v7, v7
	s_delay_alu instid0(VALU_DEP_1) | instskip(SKIP_1) | instid1(VALU_DEP_2)
	v_ldexp_f32 v7, v7, v8
	v_mov_b32_e32 v8, 0xff
	v_bfe_u32 v9, v7, 23, 8
	s_delay_alu instid0(VALU_DEP_1)
	v_cmpx_ne_u32_e32 0xff, v9
; %bb.909:
	v_and_b32_e32 v8, 0x400000, v7
	v_and_or_b32 v9, 0x3fffff, v7, v9
	v_lshrrev_b32_e32 v7, 23, v7
	s_delay_alu instid0(VALU_DEP_3) | instskip(NEXT) | instid1(VALU_DEP_3)
	v_cmp_ne_u32_e32 vcc_lo, 0, v8
	v_cmp_ne_u32_e64 s0, 0, v9
	s_delay_alu instid0(VALU_DEP_1) | instskip(NEXT) | instid1(SALU_CYCLE_1)
	s_and_b32 s0, vcc_lo, s0
	v_cndmask_b32_e64 v8, 0, 1, s0
	s_delay_alu instid0(VALU_DEP_1)
	v_add_nc_u32_e32 v8, v7, v8
; %bb.910:
	s_or_b32 exec_lo, exec_lo, s12
	s_mov_b32 s0, 0
	global_store_b8 v[4:5], v8, off
.LBB38_911:
	s_mov_b32 s12, 0
.LBB38_912:
	s_delay_alu instid0(SALU_CYCLE_1)
	s_and_b32 vcc_lo, exec_lo, s12
	s_cbranch_vccz .LBB38_915
; %bb.913:
	v_cmp_eq_u16_e32 vcc_lo, 29, v6
	s_mov_b32 s0, -1
	s_cbranch_vccz .LBB38_915
; %bb.914:
	s_mov_b32 s0, 0
	global_store_b64 v[4:5], v[2:3], off
.LBB38_915:
	s_mov_b32 s12, 0
.LBB38_916:
	s_delay_alu instid0(SALU_CYCLE_1)
	s_and_b32 vcc_lo, exec_lo, s12
	s_cbranch_vccz .LBB38_931
; %bb.917:
	v_cmp_gt_i16_e32 vcc_lo, 27, v6
	s_mov_b32 s12, -1
	s_cbranch_vccnz .LBB38_923
; %bb.918:
	v_cmp_lt_i16_e32 vcc_lo, 27, v6
	s_cbranch_vccz .LBB38_920
; %bb.919:
	s_mov_b32 s12, 0
	global_store_b32 v[4:5], v2, off
.LBB38_920:
	s_and_not1_b32 vcc_lo, exec_lo, s12
	s_cbranch_vccnz .LBB38_922
; %bb.921:
	global_store_b16 v[4:5], v2, off
.LBB38_922:
	s_mov_b32 s12, 0
.LBB38_923:
	s_delay_alu instid0(SALU_CYCLE_1)
	s_and_not1_b32 vcc_lo, exec_lo, s12
	s_cbranch_vccnz .LBB38_931
; %bb.924:
	v_xor_b32_e32 v7, v2, v3
	v_cls_i32_e32 v8, v3
	s_mov_b32 s12, exec_lo
	s_delay_alu instid0(VALU_DEP_2) | instskip(NEXT) | instid1(VALU_DEP_2)
	v_ashrrev_i32_e32 v7, 31, v7
	v_add_nc_u32_e32 v8, -1, v8
	s_delay_alu instid0(VALU_DEP_2) | instskip(NEXT) | instid1(VALU_DEP_1)
	v_add_nc_u32_e32 v7, 32, v7
	v_min_u32_e32 v9, v8, v7
	s_delay_alu instid0(VALU_DEP_1) | instskip(NEXT) | instid1(VALU_DEP_1)
	v_lshlrev_b64 v[7:8], v9, v[2:3]
	v_min_u32_e32 v7, 1, v7
	s_delay_alu instid0(VALU_DEP_1) | instskip(SKIP_2) | instid1(VALU_DEP_3)
	v_or_b32_e32 v7, v8, v7
	v_sub_nc_u32_e32 v8, 32, v9
	v_mov_b32_e32 v9, 0x80
	v_cvt_f32_i32_e32 v7, v7
	s_delay_alu instid0(VALU_DEP_1) | instskip(NEXT) | instid1(VALU_DEP_1)
	v_ldexp_f32 v7, v7, v8
	v_and_b32_e32 v8, 0x7fffffff, v7
	s_delay_alu instid0(VALU_DEP_1)
	v_cmpx_gt_u32_e32 0x43800000, v8
	s_cbranch_execz .LBB38_930
; %bb.925:
	v_cmp_lt_u32_e32 vcc_lo, 0x3bffffff, v8
                                        ; implicit-def: $vgpr8
	s_and_saveexec_b32 s14, vcc_lo
	s_delay_alu instid0(SALU_CYCLE_1)
	s_xor_b32 s14, exec_lo, s14
	s_cbranch_execz .LBB38_1160
; %bb.926:
	v_bfe_u32 v8, v7, 20, 1
	s_mov_b32 s13, exec_lo
	s_delay_alu instid0(VALU_DEP_1) | instskip(NEXT) | instid1(VALU_DEP_1)
	v_add3_u32 v8, v7, v8, 0x487ffff
	v_lshrrev_b32_e32 v8, 20, v8
	s_or_saveexec_b32 s14, s14
                                        ; implicit-def: $sgpr15
	s_delay_alu instid0(SALU_CYCLE_1)
	s_xor_b32 exec_lo, exec_lo, s14
	s_cbranch_execnz .LBB38_1161
.LBB38_927:
	s_or_b32 exec_lo, exec_lo, s14
	v_mov_b32_e32 v9, s15
	s_and_saveexec_b32 s14, s13
.LBB38_928:
	v_lshrrev_b32_e32 v7, 24, v7
	s_delay_alu instid0(VALU_DEP_1)
	v_and_or_b32 v9, 0x80, v7, v8
.LBB38_929:
	s_or_b32 exec_lo, exec_lo, s14
.LBB38_930:
	s_delay_alu instid0(SALU_CYCLE_1)
	s_or_b32 exec_lo, exec_lo, s12
	global_store_b8 v[4:5], v9, off
.LBB38_931:
	s_mov_b32 s12, 0
.LBB38_932:
	s_delay_alu instid0(SALU_CYCLE_1)
	s_and_b32 vcc_lo, exec_lo, s12
	s_mov_b32 s12, 0
	s_cbranch_vccz .LBB38_972
; %bb.933:
	v_cmp_lt_i16_e32 vcc_lo, 22, v6
	s_mov_b32 s13, -1
	s_cbranch_vccz .LBB38_965
; %bb.934:
	v_cmp_gt_i16_e32 vcc_lo, 24, v6
	s_cbranch_vccnz .LBB38_954
; %bb.935:
	v_cmp_lt_i16_e32 vcc_lo, 24, v6
	s_cbranch_vccz .LBB38_943
; %bb.936:
	v_xor_b32_e32 v7, v2, v3
	v_cls_i32_e32 v8, v3
	s_mov_b32 s13, exec_lo
	s_delay_alu instid0(VALU_DEP_2) | instskip(NEXT) | instid1(VALU_DEP_2)
	v_ashrrev_i32_e32 v7, 31, v7
	v_add_nc_u32_e32 v8, -1, v8
	s_delay_alu instid0(VALU_DEP_2) | instskip(NEXT) | instid1(VALU_DEP_1)
	v_add_nc_u32_e32 v7, 32, v7
	v_min_u32_e32 v9, v8, v7
	s_delay_alu instid0(VALU_DEP_1) | instskip(NEXT) | instid1(VALU_DEP_1)
	v_lshlrev_b64 v[7:8], v9, v[2:3]
	v_min_u32_e32 v7, 1, v7
	s_delay_alu instid0(VALU_DEP_1) | instskip(SKIP_2) | instid1(VALU_DEP_3)
	v_or_b32_e32 v7, v8, v7
	v_sub_nc_u32_e32 v8, 32, v9
	v_mov_b32_e32 v9, 0x80
	v_cvt_f32_i32_e32 v7, v7
	s_delay_alu instid0(VALU_DEP_1) | instskip(NEXT) | instid1(VALU_DEP_1)
	v_ldexp_f32 v7, v7, v8
	v_and_b32_e32 v8, 0x7fffffff, v7
	s_delay_alu instid0(VALU_DEP_1)
	v_cmpx_gt_u32_e32 0x47800000, v8
	s_cbranch_execz .LBB38_942
; %bb.937:
	v_cmp_lt_u32_e32 vcc_lo, 0x37ffffff, v8
	s_mov_b32 s14, 0
                                        ; implicit-def: $vgpr8
	s_and_saveexec_b32 s15, vcc_lo
	s_delay_alu instid0(SALU_CYCLE_1)
	s_xor_b32 s15, exec_lo, s15
	s_cbranch_execz .LBB38_1204
; %bb.938:
	v_bfe_u32 v8, v7, 21, 1
	s_mov_b32 s14, exec_lo
	s_delay_alu instid0(VALU_DEP_1) | instskip(NEXT) | instid1(VALU_DEP_1)
	v_add3_u32 v8, v7, v8, 0x88fffff
	v_lshrrev_b32_e32 v8, 21, v8
	s_or_saveexec_b32 s15, s15
                                        ; implicit-def: $sgpr16
	s_delay_alu instid0(SALU_CYCLE_1)
	s_xor_b32 exec_lo, exec_lo, s15
	s_cbranch_execnz .LBB38_1205
.LBB38_939:
	s_or_b32 exec_lo, exec_lo, s15
	v_mov_b32_e32 v9, s16
	s_and_saveexec_b32 s15, s14
.LBB38_940:
	v_lshrrev_b32_e32 v7, 24, v7
	s_delay_alu instid0(VALU_DEP_1)
	v_and_or_b32 v9, 0x80, v7, v8
.LBB38_941:
	s_or_b32 exec_lo, exec_lo, s15
.LBB38_942:
	s_delay_alu instid0(SALU_CYCLE_1)
	s_or_b32 exec_lo, exec_lo, s13
	s_mov_b32 s13, 0
	global_store_b8 v[4:5], v9, off
.LBB38_943:
	s_and_b32 vcc_lo, exec_lo, s13
	s_cbranch_vccz .LBB38_953
; %bb.944:
	v_xor_b32_e32 v7, v2, v3
	v_cls_i32_e32 v8, v3
	s_mov_b32 s13, exec_lo
	s_delay_alu instid0(VALU_DEP_2) | instskip(NEXT) | instid1(VALU_DEP_2)
	v_ashrrev_i32_e32 v7, 31, v7
	v_add_nc_u32_e32 v8, -1, v8
	s_delay_alu instid0(VALU_DEP_2) | instskip(NEXT) | instid1(VALU_DEP_1)
	v_add_nc_u32_e32 v7, 32, v7
	v_min_u32_e32 v9, v8, v7
	s_delay_alu instid0(VALU_DEP_1) | instskip(NEXT) | instid1(VALU_DEP_1)
	v_lshlrev_b64 v[7:8], v9, v[2:3]
	v_min_u32_e32 v7, 1, v7
	s_delay_alu instid0(VALU_DEP_1) | instskip(SKIP_1) | instid1(VALU_DEP_2)
	v_or_b32_e32 v7, v8, v7
	v_sub_nc_u32_e32 v8, 32, v9
	v_cvt_f32_i32_e32 v7, v7
	s_delay_alu instid0(VALU_DEP_1) | instskip(NEXT) | instid1(VALU_DEP_1)
	v_ldexp_f32 v7, v7, v8
                                        ; implicit-def: $vgpr8
	v_and_b32_e32 v9, 0x7fffffff, v7
	s_delay_alu instid0(VALU_DEP_1)
	v_cmpx_gt_u32_e32 0x43f00000, v9
	s_xor_b32 s13, exec_lo, s13
	s_cbranch_execz .LBB38_950
; %bb.945:
	s_mov_b32 s14, exec_lo
                                        ; implicit-def: $vgpr8
	v_cmpx_lt_u32_e32 0x3c7fffff, v9
	s_xor_b32 s14, exec_lo, s14
; %bb.946:
	v_bfe_u32 v8, v7, 20, 1
	s_delay_alu instid0(VALU_DEP_1) | instskip(NEXT) | instid1(VALU_DEP_1)
	v_add3_u32 v8, v7, v8, 0x407ffff
	v_and_b32_e32 v9, 0xff00000, v8
	v_lshrrev_b32_e32 v8, 20, v8
	s_delay_alu instid0(VALU_DEP_2) | instskip(NEXT) | instid1(VALU_DEP_2)
	v_cmp_ne_u32_e32 vcc_lo, 0x7f00000, v9
	v_cndmask_b32_e32 v8, 0x7e, v8, vcc_lo
; %bb.947:
	s_and_not1_saveexec_b32 s14, s14
; %bb.948:
	v_add_f32_e64 v8, 0x46800000, |v7|
; %bb.949:
	s_or_b32 exec_lo, exec_lo, s14
                                        ; implicit-def: $vgpr9
.LBB38_950:
	s_and_not1_saveexec_b32 s13, s13
; %bb.951:
	v_mov_b32_e32 v8, 0x7f
	v_cmp_lt_u32_e32 vcc_lo, 0x7f800000, v9
	s_delay_alu instid0(VALU_DEP_2)
	v_cndmask_b32_e32 v8, 0x7e, v8, vcc_lo
; %bb.952:
	s_or_b32 exec_lo, exec_lo, s13
	v_lshrrev_b32_e32 v7, 24, v7
	s_delay_alu instid0(VALU_DEP_1)
	v_and_or_b32 v7, 0x80, v7, v8
	global_store_b8 v[4:5], v7, off
.LBB38_953:
	s_mov_b32 s13, 0
.LBB38_954:
	s_delay_alu instid0(SALU_CYCLE_1)
	s_and_not1_b32 vcc_lo, exec_lo, s13
	s_cbranch_vccnz .LBB38_964
; %bb.955:
	v_xor_b32_e32 v7, v2, v3
	v_cls_i32_e32 v8, v3
	s_mov_b32 s13, exec_lo
	s_delay_alu instid0(VALU_DEP_2) | instskip(NEXT) | instid1(VALU_DEP_2)
	v_ashrrev_i32_e32 v7, 31, v7
	v_add_nc_u32_e32 v8, -1, v8
	s_delay_alu instid0(VALU_DEP_2) | instskip(NEXT) | instid1(VALU_DEP_1)
	v_add_nc_u32_e32 v7, 32, v7
	v_min_u32_e32 v9, v8, v7
	s_delay_alu instid0(VALU_DEP_1) | instskip(NEXT) | instid1(VALU_DEP_1)
	v_lshlrev_b64 v[7:8], v9, v[2:3]
	v_min_u32_e32 v7, 1, v7
	s_delay_alu instid0(VALU_DEP_1) | instskip(SKIP_1) | instid1(VALU_DEP_2)
	v_or_b32_e32 v7, v8, v7
	v_sub_nc_u32_e32 v8, 32, v9
	v_cvt_f32_i32_e32 v7, v7
	s_delay_alu instid0(VALU_DEP_1) | instskip(NEXT) | instid1(VALU_DEP_1)
	v_ldexp_f32 v7, v7, v8
                                        ; implicit-def: $vgpr8
	v_and_b32_e32 v9, 0x7fffffff, v7
	s_delay_alu instid0(VALU_DEP_1)
	v_cmpx_gt_u32_e32 0x47800000, v9
	s_xor_b32 s13, exec_lo, s13
	s_cbranch_execz .LBB38_961
; %bb.956:
	s_mov_b32 s14, exec_lo
                                        ; implicit-def: $vgpr8
	v_cmpx_lt_u32_e32 0x387fffff, v9
	s_xor_b32 s14, exec_lo, s14
; %bb.957:
	v_bfe_u32 v8, v7, 21, 1
	s_delay_alu instid0(VALU_DEP_1) | instskip(NEXT) | instid1(VALU_DEP_1)
	v_add3_u32 v8, v7, v8, 0x80fffff
	v_lshrrev_b32_e32 v8, 21, v8
; %bb.958:
	s_and_not1_saveexec_b32 s14, s14
; %bb.959:
	v_add_f32_e64 v8, 0x43000000, |v7|
; %bb.960:
	s_or_b32 exec_lo, exec_lo, s14
                                        ; implicit-def: $vgpr9
.LBB38_961:
	s_and_not1_saveexec_b32 s13, s13
; %bb.962:
	v_mov_b32_e32 v8, 0x7f
	v_cmp_lt_u32_e32 vcc_lo, 0x7f800000, v9
	s_delay_alu instid0(VALU_DEP_2)
	v_cndmask_b32_e32 v8, 0x7c, v8, vcc_lo
; %bb.963:
	s_or_b32 exec_lo, exec_lo, s13
	v_lshrrev_b32_e32 v7, 24, v7
	s_delay_alu instid0(VALU_DEP_1)
	v_and_or_b32 v7, 0x80, v7, v8
	global_store_b8 v[4:5], v7, off
.LBB38_964:
	s_mov_b32 s13, 0
.LBB38_965:
	s_delay_alu instid0(SALU_CYCLE_1)
	s_and_not1_b32 vcc_lo, exec_lo, s13
	s_mov_b32 s13, 0
	s_cbranch_vccnz .LBB38_973
; %bb.966:
	v_cmp_lt_i16_e32 vcc_lo, 14, v6
	s_mov_b32 s13, -1
	s_cbranch_vccz .LBB38_970
; %bb.967:
	v_cmp_eq_u16_e32 vcc_lo, 15, v6
	s_mov_b32 s0, -1
	s_cbranch_vccz .LBB38_969
; %bb.968:
	v_xor_b32_e32 v7, v2, v3
	v_cls_i32_e32 v8, v3
	s_mov_b32 s0, 0
	s_delay_alu instid0(VALU_DEP_2) | instskip(NEXT) | instid1(VALU_DEP_2)
	v_ashrrev_i32_e32 v7, 31, v7
	v_add_nc_u32_e32 v8, -1, v8
	s_delay_alu instid0(VALU_DEP_2) | instskip(NEXT) | instid1(VALU_DEP_1)
	v_add_nc_u32_e32 v7, 32, v7
	v_min_u32_e32 v9, v8, v7
	s_delay_alu instid0(VALU_DEP_1) | instskip(NEXT) | instid1(VALU_DEP_1)
	v_lshlrev_b64 v[7:8], v9, v[2:3]
	v_min_u32_e32 v7, 1, v7
	s_delay_alu instid0(VALU_DEP_1) | instskip(SKIP_1) | instid1(VALU_DEP_2)
	v_or_b32_e32 v7, v8, v7
	v_sub_nc_u32_e32 v8, 32, v9
	v_cvt_f32_i32_e32 v7, v7
	s_delay_alu instid0(VALU_DEP_1) | instskip(NEXT) | instid1(VALU_DEP_1)
	v_ldexp_f32 v7, v7, v8
	v_bfe_u32 v8, v7, 16, 1
	s_delay_alu instid0(VALU_DEP_1)
	v_add3_u32 v7, v7, v8, 0x7fff
	global_store_d16_hi_b16 v[4:5], v7, off
.LBB38_969:
	s_mov_b32 s13, 0
.LBB38_970:
	s_delay_alu instid0(SALU_CYCLE_1)
	s_and_b32 vcc_lo, exec_lo, s13
	s_mov_b32 s13, 0
	s_cbranch_vccz .LBB38_973
; %bb.971:
	v_cmp_ne_u16_e32 vcc_lo, 11, v6
	s_and_not1_b32 s0, s0, exec_lo
	s_mov_b32 s13, -1
	s_and_b32 s14, vcc_lo, exec_lo
	s_delay_alu instid0(SALU_CYCLE_1)
	s_or_b32 s0, s0, s14
	s_branch .LBB38_973
.LBB38_972:
	s_mov_b32 s13, 0
.LBB38_973:
	s_and_not1_b32 s10, s10, exec_lo
	s_and_b32 s0, s0, exec_lo
	s_and_b32 s12, s12, exec_lo
	;; [unrolled: 1-line block ×3, first 2 shown]
	s_or_b32 s10, s10, s0
.LBB38_974:
	s_or_b32 exec_lo, exec_lo, s11
	s_and_saveexec_b32 s0, s10
	s_cbranch_execnz .LBB38_1036
; %bb.975:
	s_or_b32 exec_lo, exec_lo, s0
	s_and_saveexec_b32 s0, s13
	s_delay_alu instid0(SALU_CYCLE_1)
	s_xor_b32 s0, exec_lo, s0
	s_cbranch_execz .LBB38_977
.LBB38_976:
	s_waitcnt vmcnt(0)
	s_delay_alu instid0(VALU_DEP_1)
	v_cmp_ne_u64_e32 vcc_lo, -1, v[0:1]
	v_cndmask_b32_e64 v0, 0, 1, vcc_lo
	global_store_b8 v[4:5], v0, off
.LBB38_977:
	s_or_b32 exec_lo, exec_lo, s0
	s_and_saveexec_b32 s0, s12
	s_delay_alu instid0(SALU_CYCLE_1)
	s_xor_b32 s0, exec_lo, s0
	s_cbranch_execz .LBB38_1015
; %bb.978:
	v_cmp_gt_i16_e32 vcc_lo, 5, v6
	s_mov_b32 s10, -1
	s_cbranch_vccnz .LBB38_999
; %bb.979:
	v_cmp_gt_i16_e32 vcc_lo, 8, v6
	s_cbranch_vccnz .LBB38_989
; %bb.980:
	v_cmp_gt_i16_e32 vcc_lo, 9, v6
	s_cbranch_vccnz .LBB38_986
; %bb.981:
	v_cmp_lt_i16_e32 vcc_lo, 9, v6
	s_cbranch_vccz .LBB38_983
; %bb.982:
	s_waitcnt vmcnt(0)
	v_cvt_f64_i32_e32 v[0:1], v3
	v_cvt_f64_u32_e32 v[7:8], v2
	v_mov_b32_e32 v9, 0
	s_mov_b32 s10, 0
	s_delay_alu instid0(VALU_DEP_1) | instskip(NEXT) | instid1(VALU_DEP_4)
	v_mov_b32_e32 v10, v9
	v_ldexp_f64 v[0:1], v[0:1], 32
	s_delay_alu instid0(VALU_DEP_1)
	v_add_f64 v[7:8], v[0:1], v[7:8]
	global_store_b128 v[4:5], v[7:10], off
.LBB38_983:
	s_and_not1_b32 vcc_lo, exec_lo, s10
	s_cbranch_vccnz .LBB38_985
; %bb.984:
	s_waitcnt vmcnt(0)
	v_xor_b32_e32 v0, v2, v3
	v_cls_i32_e32 v1, v3
	s_delay_alu instid0(VALU_DEP_2) | instskip(NEXT) | instid1(VALU_DEP_2)
	v_ashrrev_i32_e32 v0, 31, v0
	v_add_nc_u32_e32 v1, -1, v1
	s_delay_alu instid0(VALU_DEP_2) | instskip(NEXT) | instid1(VALU_DEP_1)
	v_add_nc_u32_e32 v0, 32, v0
	v_min_u32_e32 v7, v1, v0
	s_delay_alu instid0(VALU_DEP_1) | instskip(NEXT) | instid1(VALU_DEP_1)
	v_lshlrev_b64 v[0:1], v7, v[2:3]
	v_min_u32_e32 v0, 1, v0
	s_delay_alu instid0(VALU_DEP_1) | instskip(SKIP_1) | instid1(VALU_DEP_2)
	v_or_b32_e32 v0, v1, v0
	v_sub_nc_u32_e32 v1, 32, v7
	v_cvt_f32_i32_e32 v0, v0
	s_delay_alu instid0(VALU_DEP_1)
	v_ldexp_f32 v0, v0, v1
	v_mov_b32_e32 v1, 0
	global_store_b64 v[4:5], v[0:1], off
.LBB38_985:
	s_mov_b32 s10, 0
.LBB38_986:
	s_delay_alu instid0(SALU_CYCLE_1)
	s_and_not1_b32 vcc_lo, exec_lo, s10
	s_cbranch_vccnz .LBB38_988
; %bb.987:
	s_waitcnt vmcnt(0)
	v_xor_b32_e32 v0, v2, v3
	v_cls_i32_e32 v1, v3
	s_delay_alu instid0(VALU_DEP_2) | instskip(NEXT) | instid1(VALU_DEP_2)
	v_ashrrev_i32_e32 v0, 31, v0
	v_add_nc_u32_e32 v1, -1, v1
	s_delay_alu instid0(VALU_DEP_2) | instskip(NEXT) | instid1(VALU_DEP_1)
	v_add_nc_u32_e32 v0, 32, v0
	v_min_u32_e32 v7, v1, v0
	s_delay_alu instid0(VALU_DEP_1) | instskip(NEXT) | instid1(VALU_DEP_1)
	v_lshlrev_b64 v[0:1], v7, v[2:3]
	v_min_u32_e32 v0, 1, v0
	s_delay_alu instid0(VALU_DEP_1) | instskip(SKIP_1) | instid1(VALU_DEP_2)
	v_or_b32_e32 v0, v1, v0
	v_sub_nc_u32_e32 v1, 32, v7
	v_cvt_f32_i32_e32 v0, v0
	s_delay_alu instid0(VALU_DEP_1) | instskip(NEXT) | instid1(VALU_DEP_1)
	v_ldexp_f32 v0, v0, v1
	v_cvt_f16_f32_e32 v0, v0
	s_delay_alu instid0(VALU_DEP_1)
	v_and_b32_e32 v0, 0xffff, v0
	global_store_b32 v[4:5], v0, off
.LBB38_988:
	s_mov_b32 s10, 0
.LBB38_989:
	s_delay_alu instid0(SALU_CYCLE_1)
	s_and_not1_b32 vcc_lo, exec_lo, s10
	s_cbranch_vccnz .LBB38_998
; %bb.990:
	v_cmp_gt_i16_e32 vcc_lo, 6, v6
	s_mov_b32 s10, -1
	s_cbranch_vccnz .LBB38_996
; %bb.991:
	v_cmp_lt_i16_e32 vcc_lo, 6, v6
	s_cbranch_vccz .LBB38_993
; %bb.992:
	s_waitcnt vmcnt(0)
	v_cvt_f64_i32_e32 v[0:1], v3
	v_cvt_f64_u32_e32 v[7:8], v2
	s_mov_b32 s10, 0
	s_delay_alu instid0(VALU_DEP_2) | instskip(NEXT) | instid1(VALU_DEP_1)
	v_ldexp_f64 v[0:1], v[0:1], 32
	v_add_f64 v[0:1], v[0:1], v[7:8]
	global_store_b64 v[4:5], v[0:1], off
.LBB38_993:
	s_and_not1_b32 vcc_lo, exec_lo, s10
	s_cbranch_vccnz .LBB38_995
; %bb.994:
	s_waitcnt vmcnt(0)
	v_xor_b32_e32 v0, v2, v3
	v_cls_i32_e32 v1, v3
	s_delay_alu instid0(VALU_DEP_2) | instskip(NEXT) | instid1(VALU_DEP_2)
	v_ashrrev_i32_e32 v0, 31, v0
	v_add_nc_u32_e32 v1, -1, v1
	s_delay_alu instid0(VALU_DEP_2) | instskip(NEXT) | instid1(VALU_DEP_1)
	v_add_nc_u32_e32 v0, 32, v0
	v_min_u32_e32 v7, v1, v0
	s_delay_alu instid0(VALU_DEP_1) | instskip(NEXT) | instid1(VALU_DEP_1)
	v_lshlrev_b64 v[0:1], v7, v[2:3]
	v_min_u32_e32 v0, 1, v0
	s_delay_alu instid0(VALU_DEP_1) | instskip(SKIP_1) | instid1(VALU_DEP_2)
	v_or_b32_e32 v0, v1, v0
	v_sub_nc_u32_e32 v1, 32, v7
	v_cvt_f32_i32_e32 v0, v0
	s_delay_alu instid0(VALU_DEP_1)
	v_ldexp_f32 v0, v0, v1
	global_store_b32 v[4:5], v0, off
.LBB38_995:
	s_mov_b32 s10, 0
.LBB38_996:
	s_delay_alu instid0(SALU_CYCLE_1)
	s_and_not1_b32 vcc_lo, exec_lo, s10
	s_cbranch_vccnz .LBB38_998
; %bb.997:
	s_waitcnt vmcnt(0)
	v_xor_b32_e32 v0, v2, v3
	v_cls_i32_e32 v1, v3
	s_delay_alu instid0(VALU_DEP_2) | instskip(NEXT) | instid1(VALU_DEP_2)
	v_ashrrev_i32_e32 v0, 31, v0
	v_add_nc_u32_e32 v1, -1, v1
	s_delay_alu instid0(VALU_DEP_2) | instskip(NEXT) | instid1(VALU_DEP_1)
	v_add_nc_u32_e32 v0, 32, v0
	v_min_u32_e32 v7, v1, v0
	s_delay_alu instid0(VALU_DEP_1) | instskip(NEXT) | instid1(VALU_DEP_1)
	v_lshlrev_b64 v[0:1], v7, v[2:3]
	v_min_u32_e32 v0, 1, v0
	s_delay_alu instid0(VALU_DEP_1) | instskip(SKIP_1) | instid1(VALU_DEP_2)
	v_or_b32_e32 v0, v1, v0
	v_sub_nc_u32_e32 v1, 32, v7
	v_cvt_f32_i32_e32 v0, v0
	s_delay_alu instid0(VALU_DEP_1) | instskip(NEXT) | instid1(VALU_DEP_1)
	v_ldexp_f32 v0, v0, v1
	v_cvt_f16_f32_e32 v0, v0
	global_store_b16 v[4:5], v0, off
.LBB38_998:
	s_mov_b32 s10, 0
.LBB38_999:
	s_delay_alu instid0(SALU_CYCLE_1)
	s_and_not1_b32 vcc_lo, exec_lo, s10
	s_cbranch_vccnz .LBB38_1015
; %bb.1000:
	v_cmp_gt_i16_e32 vcc_lo, 2, v6
	s_mov_b32 s10, -1
	s_cbranch_vccnz .LBB38_1010
; %bb.1001:
	v_cmp_gt_i16_e32 vcc_lo, 3, v6
	s_cbranch_vccnz .LBB38_1007
; %bb.1002:
	v_cmp_lt_i16_e32 vcc_lo, 3, v6
	s_cbranch_vccz .LBB38_1004
; %bb.1003:
	s_mov_b32 s10, 0
	global_store_b64 v[4:5], v[2:3], off
.LBB38_1004:
	s_and_not1_b32 vcc_lo, exec_lo, s10
	s_cbranch_vccnz .LBB38_1006
; %bb.1005:
	global_store_b32 v[4:5], v2, off
.LBB38_1006:
	s_mov_b32 s10, 0
.LBB38_1007:
	s_delay_alu instid0(SALU_CYCLE_1)
	s_and_not1_b32 vcc_lo, exec_lo, s10
	s_cbranch_vccnz .LBB38_1009
; %bb.1008:
	global_store_b16 v[4:5], v2, off
.LBB38_1009:
	s_mov_b32 s10, 0
.LBB38_1010:
	s_delay_alu instid0(SALU_CYCLE_1)
	s_and_not1_b32 vcc_lo, exec_lo, s10
	s_cbranch_vccnz .LBB38_1015
; %bb.1011:
	v_cmp_lt_i16_e32 vcc_lo, 0, v6
	s_mov_b32 s10, -1
	s_cbranch_vccz .LBB38_1013
; %bb.1012:
	s_mov_b32 s10, 0
	global_store_b8 v[4:5], v2, off
.LBB38_1013:
	s_and_not1_b32 vcc_lo, exec_lo, s10
	s_cbranch_vccnz .LBB38_1015
; %bb.1014:
	global_store_b8 v[4:5], v2, off
.LBB38_1015:
	s_or_b32 exec_lo, exec_lo, s0
	s_delay_alu instid0(SALU_CYCLE_1)
	s_and_b32 s10, s1, exec_lo
                                        ; implicit-def: $vgpr11
                                        ; implicit-def: $vgpr12
                                        ; implicit-def: $vgpr10
.LBB38_1016:
	s_or_saveexec_b32 s9, s9
	s_mov_b32 s0, 0
                                        ; implicit-def: $vgpr13
                                        ; implicit-def: $vgpr2_vgpr3
                                        ; implicit-def: $vgpr4_vgpr5
                                        ; implicit-def: $vgpr0_vgpr1
	s_xor_b32 exec_lo, exec_lo, s9
	s_cbranch_execz .LBB38_1334
; %bb.1017:
	v_mul_lo_u32 v4, s3, v11
	v_cmp_gt_i16_e32 vcc_lo, 11, v12
	s_and_b32 vcc_lo, exec_lo, vcc_lo
	s_waitcnt vmcnt(0)
	s_delay_alu instid0(VALU_DEP_2) | instskip(SKIP_1) | instid1(VALU_DEP_1)
	v_ashrrev_i32_e32 v1, 31, v4
	v_add_co_u32 v0, s0, s6, v4
	v_add_co_ci_u32_e64 v1, s0, s7, v1, s0
	s_cbranch_vccnz .LBB38_1024
; %bb.1018:
	v_cmp_lt_i16_e32 vcc_lo, 25, v12
	s_mov_b32 s11, 0
	s_cbranch_vccz .LBB38_1030
; %bb.1019:
	v_cmp_lt_i16_e32 vcc_lo, 28, v12
	s_cbranch_vccz .LBB38_1032
; %bb.1020:
	v_cmp_lt_i16_e32 vcc_lo, 43, v12
	;; [unrolled: 3-line block ×3, first 2 shown]
	s_cbranch_vccz .LBB38_1038
; %bb.1022:
	v_cmp_eq_u16_e32 vcc_lo, 46, v12
	s_mov_b32 s1, 0
	s_cbranch_vccz .LBB38_1078
; %bb.1023:
	global_load_b32 v2, v[0:1], off
	s_mov_b32 s0, -1
	s_waitcnt vmcnt(0)
	v_lshlrev_b32_e32 v2, 16, v2
	s_delay_alu instid0(VALU_DEP_1) | instskip(NEXT) | instid1(VALU_DEP_1)
	v_trunc_f32_e32 v2, v2
	v_mul_f32_e64 v3, 0x2f800000, |v2|
	v_ashrrev_i32_e32 v6, 31, v2
	s_delay_alu instid0(VALU_DEP_2) | instskip(NEXT) | instid1(VALU_DEP_1)
	v_floor_f32_e32 v3, v3
	v_fma_f32 v5, 0xcf800000, v3, |v2|
	v_cvt_u32_f32_e32 v3, v3
	s_delay_alu instid0(VALU_DEP_2) | instskip(NEXT) | instid1(VALU_DEP_2)
	v_cvt_u32_f32_e32 v2, v5
	v_xor_b32_e32 v3, v3, v6
	s_delay_alu instid0(VALU_DEP_2) | instskip(NEXT) | instid1(VALU_DEP_1)
	v_xor_b32_e32 v2, v2, v6
	v_sub_co_u32 v2, vcc_lo, v2, v6
	s_delay_alu instid0(VALU_DEP_3)
	v_sub_co_ci_u32_e32 v3, vcc_lo, v3, v6, vcc_lo
	s_branch .LBB38_1080
.LBB38_1024:
	s_mov_b32 s0, 0
	s_mov_b32 s8, s10
                                        ; implicit-def: $vgpr2_vgpr3
	s_cbranch_execz .LBB38_1138
; %bb.1025:
	v_cmp_gt_i16_e32 vcc_lo, 5, v12
	s_cbranch_vccnz .LBB38_1031
; %bb.1026:
	v_cmp_gt_i16_e32 vcc_lo, 8, v12
	s_cbranch_vccnz .LBB38_1033
	;; [unrolled: 3-line block ×3, first 2 shown]
; %bb.1028:
	v_cmp_lt_i16_e32 vcc_lo, 9, v12
	s_cbranch_vccz .LBB38_1039
; %bb.1029:
	global_load_b64 v[2:3], v[0:1], off
	s_mov_b32 s0, 0
	s_waitcnt vmcnt(0)
	v_trunc_f64_e32 v[2:3], v[2:3]
	s_delay_alu instid0(VALU_DEP_1) | instskip(NEXT) | instid1(VALU_DEP_1)
	v_ldexp_f64 v[5:6], v[2:3], 0xffffffe0
	v_floor_f64_e32 v[5:6], v[5:6]
	s_delay_alu instid0(VALU_DEP_1) | instskip(SKIP_1) | instid1(VALU_DEP_2)
	v_fma_f64 v[7:8], 0xc1f00000, v[5:6], v[2:3]
	v_cvt_i32_f64_e32 v3, v[5:6]
	v_cvt_u32_f64_e32 v2, v[7:8]
	s_branch .LBB38_1040
.LBB38_1030:
	s_mov_b32 s0, 0
                                        ; implicit-def: $vgpr2_vgpr3
	s_cbranch_execnz .LBB38_1107
	s_branch .LBB38_1134
.LBB38_1031:
                                        ; implicit-def: $vgpr2_vgpr3
	s_branch .LBB38_1057
.LBB38_1032:
	s_mov_b32 s0, 0
                                        ; implicit-def: $vgpr2_vgpr3
	s_cbranch_execz .LBB38_1106
	s_branch .LBB38_1089
.LBB38_1033:
                                        ; implicit-def: $vgpr2_vgpr3
	s_branch .LBB38_1046
.LBB38_1034:
	s_mov_b32 s0, 0
                                        ; implicit-def: $vgpr2_vgpr3
	s_cbranch_execnz .LBB38_1085
	s_branch .LBB38_1088
.LBB38_1035:
	s_mov_b32 s0, -1
                                        ; implicit-def: $vgpr2_vgpr3
	s_branch .LBB38_1043
.LBB38_1036:
	s_cbranch_execnz .LBB38_1076
; %bb.1037:
	s_or_b32 s1, s1, exec_lo
	s_and_not1_b32 s13, s13, exec_lo
	s_or_b32 exec_lo, exec_lo, s0
	s_and_saveexec_b32 s0, s13
	s_delay_alu instid0(SALU_CYCLE_1)
	s_xor_b32 s0, exec_lo, s0
	s_cbranch_execnz .LBB38_976
	s_branch .LBB38_977
.LBB38_1038:
	s_mov_b32 s1, -1
	s_branch .LBB38_1079
.LBB38_1039:
	s_mov_b32 s0, -1
                                        ; implicit-def: $vgpr2_vgpr3
.LBB38_1040:
	s_delay_alu instid0(SALU_CYCLE_1)
	s_and_not1_b32 vcc_lo, exec_lo, s0
	s_cbranch_vccnz .LBB38_1042
; %bb.1041:
	global_load_b32 v2, v[0:1], off
	s_waitcnt vmcnt(0)
	v_trunc_f32_e32 v2, v2
	s_delay_alu instid0(VALU_DEP_1) | instskip(SKIP_1) | instid1(VALU_DEP_2)
	v_mul_f32_e64 v3, 0x2f800000, |v2|
	v_ashrrev_i32_e32 v6, 31, v2
	v_floor_f32_e32 v3, v3
	s_delay_alu instid0(VALU_DEP_1) | instskip(SKIP_1) | instid1(VALU_DEP_2)
	v_fma_f32 v5, 0xcf800000, v3, |v2|
	v_cvt_u32_f32_e32 v3, v3
	v_cvt_u32_f32_e32 v2, v5
	s_delay_alu instid0(VALU_DEP_2) | instskip(NEXT) | instid1(VALU_DEP_2)
	v_xor_b32_e32 v3, v3, v6
	v_xor_b32_e32 v2, v2, v6
	s_delay_alu instid0(VALU_DEP_1) | instskip(NEXT) | instid1(VALU_DEP_3)
	v_sub_co_u32 v2, vcc_lo, v2, v6
	v_sub_co_ci_u32_e32 v3, vcc_lo, v3, v6, vcc_lo
.LBB38_1042:
	s_mov_b32 s0, 0
.LBB38_1043:
	s_delay_alu instid0(SALU_CYCLE_1)
	s_and_not1_b32 vcc_lo, exec_lo, s0
	s_cbranch_vccnz .LBB38_1045
; %bb.1044:
	global_load_b32 v2, v[0:1], off
	s_waitcnt vmcnt(0)
	v_cvt_f32_f16_e32 v2, v2
	s_delay_alu instid0(VALU_DEP_1) | instskip(NEXT) | instid1(VALU_DEP_1)
	v_cvt_i32_f32_e32 v2, v2
	v_ashrrev_i32_e32 v3, 31, v2
.LBB38_1045:
	s_cbranch_execnz .LBB38_1056
.LBB38_1046:
	v_cmp_gt_i16_e32 vcc_lo, 6, v12
	s_cbranch_vccnz .LBB38_1049
; %bb.1047:
	v_cmp_lt_i16_e32 vcc_lo, 6, v12
	s_cbranch_vccz .LBB38_1050
; %bb.1048:
	global_load_b64 v[2:3], v[0:1], off
	s_mov_b32 s0, 0
	s_waitcnt vmcnt(0)
	v_trunc_f64_e32 v[2:3], v[2:3]
	s_delay_alu instid0(VALU_DEP_1) | instskip(NEXT) | instid1(VALU_DEP_1)
	v_ldexp_f64 v[5:6], v[2:3], 0xffffffe0
	v_floor_f64_e32 v[5:6], v[5:6]
	s_delay_alu instid0(VALU_DEP_1) | instskip(SKIP_1) | instid1(VALU_DEP_2)
	v_fma_f64 v[7:8], 0xc1f00000, v[5:6], v[2:3]
	v_cvt_i32_f64_e32 v3, v[5:6]
	v_cvt_u32_f64_e32 v2, v[7:8]
	s_branch .LBB38_1051
.LBB38_1049:
	s_mov_b32 s0, -1
                                        ; implicit-def: $vgpr2_vgpr3
	s_branch .LBB38_1054
.LBB38_1050:
	s_mov_b32 s0, -1
                                        ; implicit-def: $vgpr2_vgpr3
.LBB38_1051:
	s_delay_alu instid0(SALU_CYCLE_1)
	s_and_not1_b32 vcc_lo, exec_lo, s0
	s_cbranch_vccnz .LBB38_1053
; %bb.1052:
	global_load_b32 v2, v[0:1], off
	s_waitcnt vmcnt(0)
	v_trunc_f32_e32 v2, v2
	s_delay_alu instid0(VALU_DEP_1) | instskip(SKIP_1) | instid1(VALU_DEP_2)
	v_mul_f32_e64 v3, 0x2f800000, |v2|
	v_ashrrev_i32_e32 v6, 31, v2
	v_floor_f32_e32 v3, v3
	s_delay_alu instid0(VALU_DEP_1) | instskip(SKIP_1) | instid1(VALU_DEP_2)
	v_fma_f32 v5, 0xcf800000, v3, |v2|
	v_cvt_u32_f32_e32 v3, v3
	v_cvt_u32_f32_e32 v2, v5
	s_delay_alu instid0(VALU_DEP_2) | instskip(NEXT) | instid1(VALU_DEP_2)
	v_xor_b32_e32 v3, v3, v6
	v_xor_b32_e32 v2, v2, v6
	s_delay_alu instid0(VALU_DEP_1) | instskip(NEXT) | instid1(VALU_DEP_3)
	v_sub_co_u32 v2, vcc_lo, v2, v6
	v_sub_co_ci_u32_e32 v3, vcc_lo, v3, v6, vcc_lo
.LBB38_1053:
	s_mov_b32 s0, 0
.LBB38_1054:
	s_delay_alu instid0(SALU_CYCLE_1)
	s_and_not1_b32 vcc_lo, exec_lo, s0
	s_cbranch_vccnz .LBB38_1056
; %bb.1055:
	global_load_u16 v2, v[0:1], off
	s_waitcnt vmcnt(0)
	v_cvt_f32_f16_e32 v2, v2
	s_delay_alu instid0(VALU_DEP_1) | instskip(NEXT) | instid1(VALU_DEP_1)
	v_cvt_i32_f32_e32 v2, v2
	v_ashrrev_i32_e32 v3, 31, v2
.LBB38_1056:
	s_cbranch_execnz .LBB38_1075
.LBB38_1057:
	v_cmp_gt_i16_e32 vcc_lo, 2, v12
	s_cbranch_vccnz .LBB38_1061
; %bb.1058:
	v_cmp_gt_i16_e32 vcc_lo, 3, v12
	s_cbranch_vccnz .LBB38_1062
; %bb.1059:
	v_cmp_lt_i16_e32 vcc_lo, 3, v12
	s_cbranch_vccz .LBB38_1063
; %bb.1060:
	global_load_b64 v[2:3], v[0:1], off
	s_mov_b32 s0, 0
	s_branch .LBB38_1064
.LBB38_1061:
                                        ; implicit-def: $vgpr2_vgpr3
	s_branch .LBB38_1070
.LBB38_1062:
	s_mov_b32 s0, -1
                                        ; implicit-def: $vgpr2_vgpr3
	s_branch .LBB38_1067
.LBB38_1063:
	s_mov_b32 s0, -1
                                        ; implicit-def: $vgpr2_vgpr3
.LBB38_1064:
	s_delay_alu instid0(SALU_CYCLE_1)
	s_and_not1_b32 vcc_lo, exec_lo, s0
	s_cbranch_vccnz .LBB38_1066
; %bb.1065:
	global_load_b32 v2, v[0:1], off
	s_waitcnt vmcnt(0)
	v_ashrrev_i32_e32 v3, 31, v2
.LBB38_1066:
	s_mov_b32 s0, 0
.LBB38_1067:
	s_delay_alu instid0(SALU_CYCLE_1)
	s_and_not1_b32 vcc_lo, exec_lo, s0
	s_cbranch_vccnz .LBB38_1069
; %bb.1068:
	global_load_u16 v2, v[0:1], off
	s_waitcnt vmcnt(0)
	v_bfe_i32 v2, v2, 0, 16
	s_delay_alu instid0(VALU_DEP_1)
	v_ashrrev_i32_e32 v3, 31, v2
.LBB38_1069:
	s_cbranch_execnz .LBB38_1075
.LBB38_1070:
	v_cmp_lt_i16_e32 vcc_lo, 0, v12
	s_mov_b32 s0, 0
	s_cbranch_vccz .LBB38_1072
; %bb.1071:
	global_load_i8 v2, v[0:1], off
	s_waitcnt vmcnt(0)
	v_bfe_i32 v2, v2, 0, 16
	s_delay_alu instid0(VALU_DEP_1)
	v_ashrrev_i32_e32 v3, 31, v2
	s_branch .LBB38_1073
.LBB38_1072:
	s_mov_b32 s0, -1
                                        ; implicit-def: $vgpr2_vgpr3
.LBB38_1073:
	s_delay_alu instid0(SALU_CYCLE_1)
	s_and_not1_b32 vcc_lo, exec_lo, s0
	s_cbranch_vccnz .LBB38_1075
; %bb.1074:
	global_load_u8 v0, v[0:1], off
	s_mov_b32 s0, 0
	s_waitcnt vmcnt(0)
	v_dual_mov_b32 v3, s0 :: v_dual_and_b32 v2, 0xffff, v0
.LBB38_1075:
	s_branch .LBB38_1139
.LBB38_1076:
	s_trap 2
	s_sendmsg_rtn_b32 s0, sendmsg(MSG_RTN_GET_DOORBELL)
	s_mov_b32 ttmp2, m0
	s_waitcnt lgkmcnt(0)
	s_and_b32 s0, s0, 0x3ff
	s_delay_alu instid0(SALU_CYCLE_1) | instskip(NEXT) | instid1(SALU_CYCLE_1)
	s_bitset1_b32 s0, 10
	s_mov_b32 m0, s0
	s_sendmsg sendmsg(MSG_INTERRUPT)
	s_mov_b32 m0, ttmp2
.LBB38_1077:                            ; =>This Inner Loop Header: Depth=1
	s_sethalt 5
	s_branch .LBB38_1077
.LBB38_1078:
	s_mov_b32 s8, -1
.LBB38_1079:
	s_mov_b32 s0, 0
                                        ; implicit-def: $vgpr2_vgpr3
.LBB38_1080:
	s_and_b32 vcc_lo, exec_lo, s1
	s_cbranch_vccz .LBB38_1083
; %bb.1081:
	v_cmp_eq_u16_e32 vcc_lo, 44, v12
	s_cbranch_vccz .LBB38_1084
; %bb.1082:
	global_load_u8 v2, v[0:1], off
	s_mov_b32 s8, 0
	s_mov_b32 s0, -1
	s_waitcnt vmcnt(0)
	v_lshlrev_b32_e32 v3, 23, v2
	s_delay_alu instid0(VALU_DEP_1) | instskip(NEXT) | instid1(VALU_DEP_1)
	v_trunc_f32_e32 v3, v3
	v_mul_f32_e64 v5, 0x2f800000, |v3|
	s_delay_alu instid0(VALU_DEP_1) | instskip(NEXT) | instid1(VALU_DEP_1)
	v_floor_f32_e32 v5, v5
	v_fma_f32 v6, 0xcf800000, v5, |v3|
	v_ashrrev_i32_e32 v3, 31, v3
	v_cvt_u32_f32_e32 v5, v5
	s_delay_alu instid0(VALU_DEP_3) | instskip(NEXT) | instid1(VALU_DEP_2)
	v_cvt_u32_f32_e32 v6, v6
	v_xor_b32_e32 v5, v5, v3
	s_delay_alu instid0(VALU_DEP_2) | instskip(NEXT) | instid1(VALU_DEP_1)
	v_xor_b32_e32 v6, v6, v3
	v_sub_co_u32 v6, vcc_lo, v6, v3
	s_delay_alu instid0(VALU_DEP_3) | instskip(SKIP_1) | instid1(VALU_DEP_2)
	v_sub_co_ci_u32_e32 v3, vcc_lo, v5, v3, vcc_lo
	v_cmp_ne_u32_e32 vcc_lo, 0, v2
	v_dual_cndmask_b32 v3, 0, v3 :: v_dual_cndmask_b32 v2, 0, v6
.LBB38_1083:
	s_branch .LBB38_1088
.LBB38_1084:
	s_mov_b32 s8, -1
                                        ; implicit-def: $vgpr2_vgpr3
	s_branch .LBB38_1088
.LBB38_1085:
	v_cmp_eq_u16_e32 vcc_lo, 29, v12
	s_cbranch_vccz .LBB38_1087
; %bb.1086:
	global_load_b64 v[2:3], v[0:1], off
	s_mov_b32 s8, 0
	s_mov_b32 s0, -1
	s_branch .LBB38_1088
.LBB38_1087:
	s_mov_b32 s8, -1
                                        ; implicit-def: $vgpr2_vgpr3
.LBB38_1088:
	s_branch .LBB38_1106
.LBB38_1089:
	v_cmp_gt_i16_e32 vcc_lo, 27, v12
	s_cbranch_vccnz .LBB38_1092
; %bb.1090:
	v_cmp_lt_i16_e32 vcc_lo, 27, v12
	s_cbranch_vccz .LBB38_1093
; %bb.1091:
	global_load_b32 v2, v[0:1], off
	s_waitcnt vmcnt(1)
	v_mov_b32_e32 v3, 0
	s_mov_b32 s0, 0
	s_branch .LBB38_1094
.LBB38_1092:
	s_mov_b32 s0, -1
                                        ; implicit-def: $vgpr2_vgpr3
	s_branch .LBB38_1097
.LBB38_1093:
	s_mov_b32 s0, -1
                                        ; implicit-def: $vgpr2_vgpr3
.LBB38_1094:
	s_delay_alu instid0(SALU_CYCLE_1)
	s_and_not1_b32 vcc_lo, exec_lo, s0
	s_cbranch_vccnz .LBB38_1096
; %bb.1095:
	global_load_u16 v2, v[0:1], off
	s_mov_b32 s0, 0
	s_waitcnt vmcnt(0)
	v_dual_mov_b32 v3, s0 :: v_dual_and_b32 v2, 0xffff, v2
.LBB38_1096:
	s_mov_b32 s0, 0
.LBB38_1097:
	s_delay_alu instid0(SALU_CYCLE_1)
	s_and_not1_b32 vcc_lo, exec_lo, s0
	s_cbranch_vccnz .LBB38_1105
; %bb.1098:
	global_load_u8 v5, v[0:1], off
	s_mov_b32 s12, 0
	s_mov_b32 s13, exec_lo
                                        ; implicit-def: $sgpr0_sgpr1
	s_waitcnt vmcnt(0)
	v_cmpx_lt_i16_e32 0x7f, v5
	s_xor_b32 s13, exec_lo, s13
; %bb.1099:
	v_cmp_ne_u16_e32 vcc_lo, 0x80, v5
	s_mov_b64 s[0:1], 0
	s_and_b32 s12, vcc_lo, exec_lo
; %bb.1100:
	s_or_saveexec_b32 s13, s13
	v_dual_mov_b32 v3, s1 :: v_dual_mov_b32 v2, s0
	s_xor_b32 exec_lo, exec_lo, s13
; %bb.1101:
	v_cmp_ne_u16_e32 vcc_lo, 0, v5
	v_mov_b32_e32 v2, 0
	v_mov_b32_e32 v3, 0
	s_and_not1_b32 s0, s12, exec_lo
	s_and_b32 s1, vcc_lo, exec_lo
	s_delay_alu instid0(SALU_CYCLE_1)
	s_or_b32 s12, s0, s1
; %bb.1102:
	s_or_b32 exec_lo, exec_lo, s13
	s_and_saveexec_b32 s0, s12
	s_cbranch_execz .LBB38_1104
; %bb.1103:
	v_and_b32_e32 v2, 0xffff, v5
	v_lshlrev_b32_e32 v5, 24, v5
	s_delay_alu instid0(VALU_DEP_2) | instskip(NEXT) | instid1(VALU_DEP_2)
	v_and_b32_e32 v3, 7, v2
	v_and_b32_e32 v5, 0x80000000, v5
	s_delay_alu instid0(VALU_DEP_2) | instskip(NEXT) | instid1(VALU_DEP_1)
	v_clz_i32_u32_e32 v6, v3
	v_min_u32_e32 v6, 32, v6
	s_delay_alu instid0(VALU_DEP_1) | instskip(SKIP_1) | instid1(VALU_DEP_2)
	v_subrev_nc_u32_e32 v7, 28, v6
	v_sub_nc_u32_e32 v6, 29, v6
	v_lshlrev_b32_e32 v7, v7, v2
	v_bfe_u32 v2, v2, 3, 4
	s_delay_alu instid0(VALU_DEP_1) | instskip(NEXT) | instid1(VALU_DEP_3)
	v_cmp_eq_u32_e32 vcc_lo, 0, v2
	v_dual_cndmask_b32 v2, v2, v6 :: v_dual_and_b32 v7, 7, v7
	s_delay_alu instid0(VALU_DEP_1) | instskip(NEXT) | instid1(VALU_DEP_2)
	v_cndmask_b32_e32 v3, v3, v7, vcc_lo
	v_lshl_add_u32 v2, v2, 23, 0x3b800000
	s_delay_alu instid0(VALU_DEP_2) | instskip(NEXT) | instid1(VALU_DEP_1)
	v_lshlrev_b32_e32 v3, 20, v3
	v_or3_b32 v2, v5, v2, v3
	s_delay_alu instid0(VALU_DEP_1) | instskip(NEXT) | instid1(VALU_DEP_1)
	v_trunc_f32_e32 v2, v2
	v_mul_f32_e64 v3, 0x2f800000, |v2|
	v_ashrrev_i32_e32 v6, 31, v2
	s_delay_alu instid0(VALU_DEP_2) | instskip(NEXT) | instid1(VALU_DEP_1)
	v_floor_f32_e32 v3, v3
	v_fma_f32 v5, 0xcf800000, v3, |v2|
	v_cvt_u32_f32_e32 v3, v3
	s_delay_alu instid0(VALU_DEP_2) | instskip(NEXT) | instid1(VALU_DEP_2)
	v_cvt_u32_f32_e32 v2, v5
	v_xor_b32_e32 v3, v3, v6
	s_delay_alu instid0(VALU_DEP_2) | instskip(NEXT) | instid1(VALU_DEP_1)
	v_xor_b32_e32 v2, v2, v6
	v_sub_co_u32 v2, vcc_lo, v2, v6
	s_delay_alu instid0(VALU_DEP_3)
	v_sub_co_ci_u32_e32 v3, vcc_lo, v3, v6, vcc_lo
.LBB38_1104:
	s_or_b32 exec_lo, exec_lo, s0
.LBB38_1105:
	s_mov_b32 s0, -1
.LBB38_1106:
	s_branch .LBB38_1134
.LBB38_1107:
	v_cmp_lt_i16_e32 vcc_lo, 22, v12
	s_cbranch_vccz .LBB38_1117
; %bb.1108:
	v_cmp_gt_i16_e32 vcc_lo, 24, v12
	s_cbranch_vccnz .LBB38_1118
; %bb.1109:
	v_cmp_lt_i16_e32 vcc_lo, 24, v12
	s_cbranch_vccz .LBB38_1119
; %bb.1110:
	global_load_u8 v5, v[0:1], off
	s_mov_b32 s12, exec_lo
                                        ; implicit-def: $sgpr0_sgpr1
	s_waitcnt vmcnt(0)
	v_cmpx_lt_i16_e32 0x7f, v5
	s_xor_b32 s12, exec_lo, s12
; %bb.1111:
	v_cmp_ne_u16_e32 vcc_lo, 0x80, v5
	s_mov_b64 s[0:1], 0
	s_and_b32 s11, vcc_lo, exec_lo
; %bb.1112:
	s_or_saveexec_b32 s12, s12
	v_dual_mov_b32 v3, s1 :: v_dual_mov_b32 v2, s0
	s_xor_b32 exec_lo, exec_lo, s12
; %bb.1113:
	v_cmp_ne_u16_e32 vcc_lo, 0, v5
	v_mov_b32_e32 v2, 0
	v_mov_b32_e32 v3, 0
	s_and_not1_b32 s0, s11, exec_lo
	s_and_b32 s1, vcc_lo, exec_lo
	s_delay_alu instid0(SALU_CYCLE_1)
	s_or_b32 s11, s0, s1
; %bb.1114:
	s_or_b32 exec_lo, exec_lo, s12
	s_and_saveexec_b32 s0, s11
	s_cbranch_execz .LBB38_1116
; %bb.1115:
	v_and_b32_e32 v2, 0xffff, v5
	v_lshlrev_b32_e32 v5, 24, v5
	s_delay_alu instid0(VALU_DEP_2) | instskip(NEXT) | instid1(VALU_DEP_2)
	v_and_b32_e32 v3, 3, v2
	v_and_b32_e32 v5, 0x80000000, v5
	s_delay_alu instid0(VALU_DEP_2) | instskip(NEXT) | instid1(VALU_DEP_1)
	v_clz_i32_u32_e32 v6, v3
	v_min_u32_e32 v6, 32, v6
	s_delay_alu instid0(VALU_DEP_1) | instskip(SKIP_1) | instid1(VALU_DEP_2)
	v_subrev_nc_u32_e32 v7, 29, v6
	v_sub_nc_u32_e32 v6, 30, v6
	v_lshlrev_b32_e32 v7, v7, v2
	v_bfe_u32 v2, v2, 2, 5
	s_delay_alu instid0(VALU_DEP_1) | instskip(NEXT) | instid1(VALU_DEP_3)
	v_cmp_eq_u32_e32 vcc_lo, 0, v2
	v_dual_cndmask_b32 v2, v2, v6 :: v_dual_and_b32 v7, 3, v7
	s_delay_alu instid0(VALU_DEP_1) | instskip(NEXT) | instid1(VALU_DEP_2)
	v_cndmask_b32_e32 v3, v3, v7, vcc_lo
	v_lshl_add_u32 v2, v2, 23, 0x37800000
	s_delay_alu instid0(VALU_DEP_2) | instskip(NEXT) | instid1(VALU_DEP_1)
	v_lshlrev_b32_e32 v3, 21, v3
	v_or3_b32 v2, v5, v2, v3
	s_delay_alu instid0(VALU_DEP_1) | instskip(NEXT) | instid1(VALU_DEP_1)
	v_trunc_f32_e32 v2, v2
	v_mul_f32_e64 v3, 0x2f800000, |v2|
	v_ashrrev_i32_e32 v6, 31, v2
	s_delay_alu instid0(VALU_DEP_2) | instskip(NEXT) | instid1(VALU_DEP_1)
	v_floor_f32_e32 v3, v3
	v_fma_f32 v5, 0xcf800000, v3, |v2|
	v_cvt_u32_f32_e32 v3, v3
	s_delay_alu instid0(VALU_DEP_2) | instskip(NEXT) | instid1(VALU_DEP_2)
	v_cvt_u32_f32_e32 v2, v5
	v_xor_b32_e32 v3, v3, v6
	s_delay_alu instid0(VALU_DEP_2) | instskip(NEXT) | instid1(VALU_DEP_1)
	v_xor_b32_e32 v2, v2, v6
	v_sub_co_u32 v2, vcc_lo, v2, v6
	s_delay_alu instid0(VALU_DEP_3)
	v_sub_co_ci_u32_e32 v3, vcc_lo, v3, v6, vcc_lo
.LBB38_1116:
	s_or_b32 exec_lo, exec_lo, s0
	s_mov_b32 s0, 0
	s_branch .LBB38_1120
.LBB38_1117:
                                        ; implicit-def: $vgpr2_vgpr3
	s_mov_b32 s11, 0
	s_branch .LBB38_1126
.LBB38_1118:
	s_mov_b32 s0, -1
                                        ; implicit-def: $vgpr2_vgpr3
	s_branch .LBB38_1123
.LBB38_1119:
	s_mov_b32 s0, -1
                                        ; implicit-def: $vgpr2_vgpr3
.LBB38_1120:
	s_delay_alu instid0(SALU_CYCLE_1)
	s_and_b32 vcc_lo, exec_lo, s0
	s_cbranch_vccz .LBB38_1122
; %bb.1121:
	global_load_u8 v2, v[0:1], off
	s_waitcnt vmcnt(0)
	v_lshlrev_b32_e32 v2, 24, v2
	s_delay_alu instid0(VALU_DEP_1) | instskip(NEXT) | instid1(VALU_DEP_1)
	v_and_b32_e32 v3, 0x7f000000, v2
	v_clz_i32_u32_e32 v5, v3
	v_add_nc_u32_e32 v7, 0x1000000, v3
	v_cmp_ne_u32_e32 vcc_lo, 0, v3
	s_delay_alu instid0(VALU_DEP_3) | instskip(NEXT) | instid1(VALU_DEP_1)
	v_min_u32_e32 v5, 32, v5
	v_sub_nc_u32_e64 v5, v5, 4 clamp
	s_delay_alu instid0(VALU_DEP_1) | instskip(SKIP_1) | instid1(VALU_DEP_2)
	v_lshlrev_b32_e32 v6, v5, v3
	v_lshlrev_b32_e32 v5, 23, v5
	v_lshrrev_b32_e32 v6, 4, v6
	s_delay_alu instid0(VALU_DEP_1) | instskip(SKIP_1) | instid1(VALU_DEP_2)
	v_sub_nc_u32_e32 v5, v6, v5
	v_ashrrev_i32_e32 v6, 8, v7
	v_add_nc_u32_e32 v5, 0x3c000000, v5
	s_delay_alu instid0(VALU_DEP_1) | instskip(NEXT) | instid1(VALU_DEP_1)
	v_and_or_b32 v5, 0x7f800000, v6, v5
	v_cndmask_b32_e32 v3, 0, v5, vcc_lo
	s_delay_alu instid0(VALU_DEP_1) | instskip(NEXT) | instid1(VALU_DEP_1)
	v_and_or_b32 v2, 0x80000000, v2, v3
	v_trunc_f32_e32 v2, v2
	s_delay_alu instid0(VALU_DEP_1) | instskip(SKIP_1) | instid1(VALU_DEP_2)
	v_mul_f32_e64 v3, 0x2f800000, |v2|
	v_ashrrev_i32_e32 v6, 31, v2
	v_floor_f32_e32 v3, v3
	s_delay_alu instid0(VALU_DEP_1) | instskip(SKIP_1) | instid1(VALU_DEP_2)
	v_fma_f32 v5, 0xcf800000, v3, |v2|
	v_cvt_u32_f32_e32 v3, v3
	v_cvt_u32_f32_e32 v2, v5
	s_delay_alu instid0(VALU_DEP_2) | instskip(NEXT) | instid1(VALU_DEP_2)
	v_xor_b32_e32 v3, v3, v6
	v_xor_b32_e32 v2, v2, v6
	s_delay_alu instid0(VALU_DEP_1) | instskip(NEXT) | instid1(VALU_DEP_3)
	v_sub_co_u32 v2, vcc_lo, v2, v6
	v_sub_co_ci_u32_e32 v3, vcc_lo, v3, v6, vcc_lo
.LBB38_1122:
	s_mov_b32 s0, 0
.LBB38_1123:
	s_delay_alu instid0(SALU_CYCLE_1)
	s_and_not1_b32 vcc_lo, exec_lo, s0
	s_cbranch_vccnz .LBB38_1125
; %bb.1124:
	global_load_u8 v2, v[0:1], off
	s_waitcnt vmcnt(0)
	v_lshlrev_b32_e32 v3, 25, v2
	v_lshlrev_b16 v2, 8, v2
	s_delay_alu instid0(VALU_DEP_2) | instskip(NEXT) | instid1(VALU_DEP_2)
	v_lshrrev_b32_e32 v5, 4, v3
	v_and_or_b32 v6, 0x7f00, v2, 0.5
	v_cmp_gt_u32_e32 vcc_lo, 0x8000000, v3
	v_bfe_i32 v2, v2, 0, 16
	s_delay_alu instid0(VALU_DEP_4) | instskip(NEXT) | instid1(VALU_DEP_1)
	v_or_b32_e32 v5, 0x70000000, v5
	v_dual_add_f32 v6, -0.5, v6 :: v_dual_mul_f32 v5, 0x7800000, v5
	s_delay_alu instid0(VALU_DEP_1) | instskip(NEXT) | instid1(VALU_DEP_1)
	v_cndmask_b32_e32 v3, v5, v6, vcc_lo
	v_and_or_b32 v2, 0x80000000, v2, v3
	s_delay_alu instid0(VALU_DEP_1) | instskip(NEXT) | instid1(VALU_DEP_1)
	v_trunc_f32_e32 v2, v2
	v_mul_f32_e64 v3, 0x2f800000, |v2|
	v_ashrrev_i32_e32 v6, 31, v2
	s_delay_alu instid0(VALU_DEP_2) | instskip(NEXT) | instid1(VALU_DEP_1)
	v_floor_f32_e32 v3, v3
	v_fma_f32 v5, 0xcf800000, v3, |v2|
	v_cvt_u32_f32_e32 v3, v3
	s_delay_alu instid0(VALU_DEP_2) | instskip(NEXT) | instid1(VALU_DEP_2)
	v_cvt_u32_f32_e32 v2, v5
	v_xor_b32_e32 v3, v3, v6
	s_delay_alu instid0(VALU_DEP_2) | instskip(NEXT) | instid1(VALU_DEP_1)
	v_xor_b32_e32 v2, v2, v6
	v_sub_co_u32 v2, vcc_lo, v2, v6
	s_delay_alu instid0(VALU_DEP_3)
	v_sub_co_ci_u32_e32 v3, vcc_lo, v3, v6, vcc_lo
.LBB38_1125:
	s_mov_b32 s0, -1
	s_mov_b32 s11, 0
	s_cbranch_execnz .LBB38_1134
.LBB38_1126:
	v_cmp_lt_i16_e32 vcc_lo, 14, v12
	s_cbranch_vccz .LBB38_1129
; %bb.1127:
	v_cmp_eq_u16_e32 vcc_lo, 15, v12
	s_cbranch_vccz .LBB38_1130
; %bb.1128:
	global_load_u16 v2, v[0:1], off
	s_mov_b32 s8, 0
	s_mov_b32 s0, -1
	s_waitcnt vmcnt(0)
	v_lshlrev_b32_e32 v2, 16, v2
	s_delay_alu instid0(VALU_DEP_1) | instskip(NEXT) | instid1(VALU_DEP_1)
	v_trunc_f32_e32 v2, v2
	v_mul_f32_e64 v3, 0x2f800000, |v2|
	v_ashrrev_i32_e32 v6, 31, v2
	s_delay_alu instid0(VALU_DEP_2) | instskip(NEXT) | instid1(VALU_DEP_1)
	v_floor_f32_e32 v3, v3
	v_fma_f32 v5, 0xcf800000, v3, |v2|
	v_cvt_u32_f32_e32 v3, v3
	s_delay_alu instid0(VALU_DEP_2) | instskip(NEXT) | instid1(VALU_DEP_2)
	v_cvt_u32_f32_e32 v2, v5
	v_xor_b32_e32 v3, v3, v6
	s_delay_alu instid0(VALU_DEP_2) | instskip(NEXT) | instid1(VALU_DEP_1)
	v_xor_b32_e32 v2, v2, v6
	v_sub_co_u32 v2, vcc_lo, v2, v6
	s_delay_alu instid0(VALU_DEP_3)
	v_sub_co_ci_u32_e32 v3, vcc_lo, v3, v6, vcc_lo
	s_branch .LBB38_1131
.LBB38_1129:
	s_mov_b32 s1, -1
                                        ; implicit-def: $vgpr2_vgpr3
	s_branch .LBB38_1132
.LBB38_1130:
	s_mov_b32 s8, -1
                                        ; implicit-def: $vgpr2_vgpr3
.LBB38_1131:
	s_mov_b32 s1, 0
.LBB38_1132:
	s_delay_alu instid0(SALU_CYCLE_1)
	s_and_b32 vcc_lo, exec_lo, s1
	s_cbranch_vccz .LBB38_1134
; %bb.1133:
	v_cmp_ne_u16_e64 s8, 11, v12
	s_mov_b32 s11, -1
                                        ; implicit-def: $vgpr2_vgpr3
.LBB38_1134:
	s_delay_alu instid0(VALU_DEP_1)
	s_and_b32 vcc_lo, exec_lo, s8
	s_mov_b32 s8, s10
	s_cbranch_vccnz .LBB38_1158
; %bb.1135:
	s_and_not1_b32 vcc_lo, exec_lo, s11
	s_cbranch_vccnz .LBB38_1137
.LBB38_1136:
	global_load_u8 v2, v[0:1], off
	s_mov_b32 s0, 0
	s_waitcnt vmcnt(1)
	v_mov_b32_e32 v3, s0
	s_mov_b32 s0, -1
	s_waitcnt vmcnt(0)
	v_cmp_ne_u16_e32 vcc_lo, 0, v2
	v_cndmask_b32_e64 v2, 0, 1, vcc_lo
.LBB38_1137:
.LBB38_1138:
	s_and_not1_b32 vcc_lo, exec_lo, s0
	s_cbranch_vccnz .LBB38_1332
.LBB38_1139:
	s_lshl_b32 s3, s3, 7
	v_cmp_gt_i16_e32 vcc_lo, 11, v12
	v_add_nc_u32_e32 v6, s3, v4
	s_delay_alu instid0(VALU_DEP_1) | instskip(SKIP_1) | instid1(VALU_DEP_1)
	v_ashrrev_i32_e32 v1, 31, v6
	v_add_co_u32 v0, s0, s6, v6
	v_add_co_ci_u32_e64 v1, s0, s7, v1, s0
	s_cbranch_vccnz .LBB38_1146
; %bb.1140:
	v_cmp_lt_i16_e32 vcc_lo, 25, v12
	s_mov_b32 s12, 0
	s_cbranch_vccz .LBB38_1152
; %bb.1141:
	v_cmp_lt_i16_e32 vcc_lo, 28, v12
	s_cbranch_vccz .LBB38_1154
; %bb.1142:
	v_cmp_lt_i16_e32 vcc_lo, 43, v12
	;; [unrolled: 3-line block ×3, first 2 shown]
	s_cbranch_vccz .LBB38_1162
; %bb.1144:
	v_cmp_eq_u16_e32 vcc_lo, 46, v12
	s_mov_b32 s1, 0
	s_cbranch_vccz .LBB38_1206
; %bb.1145:
	global_load_b32 v4, v[0:1], off
	s_mov_b32 s11, 0
	s_mov_b32 s0, -1
	s_waitcnt vmcnt(0)
	v_lshlrev_b32_e32 v4, 16, v4
	s_delay_alu instid0(VALU_DEP_1) | instskip(NEXT) | instid1(VALU_DEP_1)
	v_trunc_f32_e32 v4, v4
	v_mul_f32_e64 v5, 0x2f800000, |v4|
	v_ashrrev_i32_e32 v8, 31, v4
	s_delay_alu instid0(VALU_DEP_2) | instskip(NEXT) | instid1(VALU_DEP_1)
	v_floor_f32_e32 v5, v5
	v_fma_f32 v7, 0xcf800000, v5, |v4|
	v_cvt_u32_f32_e32 v5, v5
	s_delay_alu instid0(VALU_DEP_2) | instskip(NEXT) | instid1(VALU_DEP_2)
	v_cvt_u32_f32_e32 v4, v7
	v_xor_b32_e32 v5, v5, v8
	s_delay_alu instid0(VALU_DEP_2) | instskip(NEXT) | instid1(VALU_DEP_1)
	v_xor_b32_e32 v4, v4, v8
	v_sub_co_u32 v4, vcc_lo, v4, v8
	s_delay_alu instid0(VALU_DEP_3)
	v_sub_co_ci_u32_e32 v5, vcc_lo, v5, v8, vcc_lo
	s_branch .LBB38_1208
.LBB38_1146:
	s_mov_b32 s0, 0
                                        ; implicit-def: $vgpr4_vgpr5
	s_cbranch_execz .LBB38_1269
; %bb.1147:
	v_cmp_gt_i16_e32 vcc_lo, 5, v12
	s_cbranch_vccnz .LBB38_1153
; %bb.1148:
	v_cmp_gt_i16_e32 vcc_lo, 8, v12
	s_cbranch_vccnz .LBB38_1155
; %bb.1149:
	v_cmp_gt_i16_e32 vcc_lo, 9, v12
	s_cbranch_vccnz .LBB38_1157
; %bb.1150:
	v_cmp_lt_i16_e32 vcc_lo, 9, v12
	s_cbranch_vccz .LBB38_1163
; %bb.1151:
	global_load_b64 v[4:5], v[0:1], off
	s_mov_b32 s0, 0
	s_waitcnt vmcnt(0)
	v_trunc_f64_e32 v[4:5], v[4:5]
	s_delay_alu instid0(VALU_DEP_1) | instskip(NEXT) | instid1(VALU_DEP_1)
	v_ldexp_f64 v[7:8], v[4:5], 0xffffffe0
	v_floor_f64_e32 v[7:8], v[7:8]
	s_delay_alu instid0(VALU_DEP_1) | instskip(SKIP_1) | instid1(VALU_DEP_2)
	v_fma_f64 v[13:14], 0xc1f00000, v[7:8], v[4:5]
	v_cvt_i32_f64_e32 v5, v[7:8]
	v_cvt_u32_f64_e32 v4, v[13:14]
	s_branch .LBB38_1164
.LBB38_1152:
	s_mov_b32 s0, 0
	s_mov_b32 s11, 0
                                        ; implicit-def: $vgpr4_vgpr5
	s_cbranch_execnz .LBB38_1237
	s_branch .LBB38_1265
.LBB38_1153:
                                        ; implicit-def: $vgpr4_vgpr5
	s_branch .LBB38_1182
.LBB38_1154:
	s_mov_b32 s1, -1
	s_mov_b32 s0, 0
	s_mov_b32 s11, 0
                                        ; implicit-def: $vgpr4_vgpr5
	s_branch .LBB38_1218
.LBB38_1155:
	s_mov_b32 s0, -1
                                        ; implicit-def: $vgpr4_vgpr5
	s_branch .LBB38_1170
.LBB38_1156:
	s_mov_b32 s1, -1
	s_mov_b32 s0, 0
	s_mov_b32 s11, 0
                                        ; implicit-def: $vgpr4_vgpr5
	s_branch .LBB38_1213
.LBB38_1157:
	s_mov_b32 s0, -1
                                        ; implicit-def: $vgpr4_vgpr5
	s_branch .LBB38_1167
.LBB38_1158:
	s_cbranch_execnz .LBB38_1202
; %bb.1159:
	s_or_b32 s8, s10, exec_lo
                                        ; implicit-def: $vgpr2_vgpr3
	s_cbranch_execz .LBB38_1136
	s_branch .LBB38_1137
.LBB38_1160:
	s_or_saveexec_b32 s14, s14
                                        ; implicit-def: $sgpr15
	s_delay_alu instid0(SALU_CYCLE_1)
	s_xor_b32 exec_lo, exec_lo, s14
	s_cbranch_execz .LBB38_927
.LBB38_1161:
	v_add_f32_e64 v8, 0x46000000, |v7|
	s_and_not1_b32 s13, s13, exec_lo
	s_mov_b32 s15, 0
	s_delay_alu instid0(VALU_DEP_1) | instskip(NEXT) | instid1(VALU_DEP_1)
	v_and_b32_e32 v8, 0xff, v8
	v_cmp_ne_u32_e32 vcc_lo, 0, v8
	s_and_b32 s16, vcc_lo, exec_lo
	s_delay_alu instid0(SALU_CYCLE_1)
	s_or_b32 s13, s13, s16
	s_or_b32 exec_lo, exec_lo, s14
	v_mov_b32_e32 v9, s15
	s_and_saveexec_b32 s14, s13
	s_cbranch_execnz .LBB38_928
	s_branch .LBB38_929
.LBB38_1162:
	s_mov_b32 s1, -1
	s_mov_b32 s0, 0
	s_mov_b32 s11, 0
	s_branch .LBB38_1207
.LBB38_1163:
	s_mov_b32 s0, -1
                                        ; implicit-def: $vgpr4_vgpr5
.LBB38_1164:
	s_delay_alu instid0(SALU_CYCLE_1)
	s_and_not1_b32 vcc_lo, exec_lo, s0
	s_cbranch_vccnz .LBB38_1166
; %bb.1165:
	global_load_b32 v4, v[0:1], off
	s_waitcnt vmcnt(0)
	v_trunc_f32_e32 v4, v4
	s_delay_alu instid0(VALU_DEP_1) | instskip(SKIP_1) | instid1(VALU_DEP_2)
	v_mul_f32_e64 v5, 0x2f800000, |v4|
	v_ashrrev_i32_e32 v8, 31, v4
	v_floor_f32_e32 v5, v5
	s_delay_alu instid0(VALU_DEP_1) | instskip(SKIP_1) | instid1(VALU_DEP_2)
	v_fma_f32 v7, 0xcf800000, v5, |v4|
	v_cvt_u32_f32_e32 v5, v5
	v_cvt_u32_f32_e32 v4, v7
	s_delay_alu instid0(VALU_DEP_2) | instskip(NEXT) | instid1(VALU_DEP_2)
	v_xor_b32_e32 v5, v5, v8
	v_xor_b32_e32 v4, v4, v8
	s_delay_alu instid0(VALU_DEP_1) | instskip(NEXT) | instid1(VALU_DEP_3)
	v_sub_co_u32 v4, vcc_lo, v4, v8
	v_sub_co_ci_u32_e32 v5, vcc_lo, v5, v8, vcc_lo
.LBB38_1166:
	s_mov_b32 s0, 0
.LBB38_1167:
	s_delay_alu instid0(SALU_CYCLE_1)
	s_and_not1_b32 vcc_lo, exec_lo, s0
	s_cbranch_vccnz .LBB38_1169
; %bb.1168:
	global_load_b32 v4, v[0:1], off
	s_waitcnt vmcnt(0)
	v_cvt_f32_f16_e32 v4, v4
	s_delay_alu instid0(VALU_DEP_1) | instskip(NEXT) | instid1(VALU_DEP_1)
	v_cvt_i32_f32_e32 v4, v4
	v_ashrrev_i32_e32 v5, 31, v4
.LBB38_1169:
	s_mov_b32 s0, 0
.LBB38_1170:
	s_delay_alu instid0(SALU_CYCLE_1)
	s_and_not1_b32 vcc_lo, exec_lo, s0
	s_cbranch_vccnz .LBB38_1181
; %bb.1171:
	v_cmp_gt_i16_e32 vcc_lo, 6, v12
	s_cbranch_vccnz .LBB38_1174
; %bb.1172:
	v_cmp_lt_i16_e32 vcc_lo, 6, v12
	s_cbranch_vccz .LBB38_1175
; %bb.1173:
	global_load_b64 v[4:5], v[0:1], off
	s_mov_b32 s0, 0
	s_waitcnt vmcnt(0)
	v_trunc_f64_e32 v[4:5], v[4:5]
	s_delay_alu instid0(VALU_DEP_1) | instskip(NEXT) | instid1(VALU_DEP_1)
	v_ldexp_f64 v[7:8], v[4:5], 0xffffffe0
	v_floor_f64_e32 v[7:8], v[7:8]
	s_delay_alu instid0(VALU_DEP_1) | instskip(SKIP_1) | instid1(VALU_DEP_2)
	v_fma_f64 v[13:14], 0xc1f00000, v[7:8], v[4:5]
	v_cvt_i32_f64_e32 v5, v[7:8]
	v_cvt_u32_f64_e32 v4, v[13:14]
	s_branch .LBB38_1176
.LBB38_1174:
	s_mov_b32 s0, -1
                                        ; implicit-def: $vgpr4_vgpr5
	s_branch .LBB38_1179
.LBB38_1175:
	s_mov_b32 s0, -1
                                        ; implicit-def: $vgpr4_vgpr5
.LBB38_1176:
	s_delay_alu instid0(SALU_CYCLE_1)
	s_and_not1_b32 vcc_lo, exec_lo, s0
	s_cbranch_vccnz .LBB38_1178
; %bb.1177:
	global_load_b32 v4, v[0:1], off
	s_waitcnt vmcnt(0)
	v_trunc_f32_e32 v4, v4
	s_delay_alu instid0(VALU_DEP_1) | instskip(SKIP_1) | instid1(VALU_DEP_2)
	v_mul_f32_e64 v5, 0x2f800000, |v4|
	v_ashrrev_i32_e32 v8, 31, v4
	v_floor_f32_e32 v5, v5
	s_delay_alu instid0(VALU_DEP_1) | instskip(SKIP_1) | instid1(VALU_DEP_2)
	v_fma_f32 v7, 0xcf800000, v5, |v4|
	v_cvt_u32_f32_e32 v5, v5
	v_cvt_u32_f32_e32 v4, v7
	s_delay_alu instid0(VALU_DEP_2) | instskip(NEXT) | instid1(VALU_DEP_2)
	v_xor_b32_e32 v5, v5, v8
	v_xor_b32_e32 v4, v4, v8
	s_delay_alu instid0(VALU_DEP_1) | instskip(NEXT) | instid1(VALU_DEP_3)
	v_sub_co_u32 v4, vcc_lo, v4, v8
	v_sub_co_ci_u32_e32 v5, vcc_lo, v5, v8, vcc_lo
.LBB38_1178:
	s_mov_b32 s0, 0
.LBB38_1179:
	s_delay_alu instid0(SALU_CYCLE_1)
	s_and_not1_b32 vcc_lo, exec_lo, s0
	s_cbranch_vccnz .LBB38_1181
; %bb.1180:
	global_load_u16 v4, v[0:1], off
	s_waitcnt vmcnt(0)
	v_cvt_f32_f16_e32 v4, v4
	s_delay_alu instid0(VALU_DEP_1) | instskip(NEXT) | instid1(VALU_DEP_1)
	v_cvt_i32_f32_e32 v4, v4
	v_ashrrev_i32_e32 v5, 31, v4
.LBB38_1181:
	s_cbranch_execnz .LBB38_1201
.LBB38_1182:
	v_cmp_gt_i16_e32 vcc_lo, 2, v12
	s_cbranch_vccnz .LBB38_1186
; %bb.1183:
	v_cmp_gt_i16_e32 vcc_lo, 3, v12
	s_cbranch_vccnz .LBB38_1187
; %bb.1184:
	v_cmp_lt_i16_e32 vcc_lo, 3, v12
	s_cbranch_vccz .LBB38_1188
; %bb.1185:
	global_load_b64 v[4:5], v[0:1], off
	s_mov_b32 s0, 0
	s_branch .LBB38_1189
.LBB38_1186:
	s_mov_b32 s0, -1
                                        ; implicit-def: $vgpr4_vgpr5
	s_branch .LBB38_1195
.LBB38_1187:
	s_mov_b32 s0, -1
                                        ; implicit-def: $vgpr4_vgpr5
	s_branch .LBB38_1192
.LBB38_1188:
	s_mov_b32 s0, -1
                                        ; implicit-def: $vgpr4_vgpr5
.LBB38_1189:
	s_delay_alu instid0(SALU_CYCLE_1)
	s_and_not1_b32 vcc_lo, exec_lo, s0
	s_cbranch_vccnz .LBB38_1191
; %bb.1190:
	global_load_b32 v4, v[0:1], off
	s_waitcnt vmcnt(0)
	v_ashrrev_i32_e32 v5, 31, v4
.LBB38_1191:
	s_mov_b32 s0, 0
.LBB38_1192:
	s_delay_alu instid0(SALU_CYCLE_1)
	s_and_not1_b32 vcc_lo, exec_lo, s0
	s_cbranch_vccnz .LBB38_1194
; %bb.1193:
	global_load_u16 v4, v[0:1], off
	s_waitcnt vmcnt(0)
	v_bfe_i32 v4, v4, 0, 16
	s_delay_alu instid0(VALU_DEP_1)
	v_ashrrev_i32_e32 v5, 31, v4
.LBB38_1194:
	s_mov_b32 s0, 0
.LBB38_1195:
	s_delay_alu instid0(SALU_CYCLE_1)
	s_and_not1_b32 vcc_lo, exec_lo, s0
	s_cbranch_vccnz .LBB38_1201
; %bb.1196:
	v_cmp_lt_i16_e32 vcc_lo, 0, v12
	s_mov_b32 s0, 0
	s_cbranch_vccz .LBB38_1198
; %bb.1197:
	global_load_i8 v4, v[0:1], off
	s_waitcnt vmcnt(0)
	v_bfe_i32 v4, v4, 0, 16
	s_delay_alu instid0(VALU_DEP_1)
	v_ashrrev_i32_e32 v5, 31, v4
	s_branch .LBB38_1199
.LBB38_1198:
	s_mov_b32 s0, -1
                                        ; implicit-def: $vgpr4_vgpr5
.LBB38_1199:
	s_delay_alu instid0(SALU_CYCLE_1)
	s_and_not1_b32 vcc_lo, exec_lo, s0
	s_cbranch_vccnz .LBB38_1201
; %bb.1200:
	global_load_u8 v0, v[0:1], off
	s_mov_b32 s0, 0
	s_waitcnt vmcnt(0)
	v_dual_mov_b32 v5, s0 :: v_dual_and_b32 v4, 0xffff, v0
.LBB38_1201:
	s_branch .LBB38_1270
.LBB38_1202:
	s_trap 2
	s_sendmsg_rtn_b32 s0, sendmsg(MSG_RTN_GET_DOORBELL)
	s_mov_b32 ttmp2, m0
	s_waitcnt lgkmcnt(0)
	s_and_b32 s0, s0, 0x3ff
	s_delay_alu instid0(SALU_CYCLE_1) | instskip(NEXT) | instid1(SALU_CYCLE_1)
	s_bitset1_b32 s0, 10
	s_mov_b32 m0, s0
	s_sendmsg sendmsg(MSG_INTERRUPT)
	s_mov_b32 m0, ttmp2
.LBB38_1203:                            ; =>This Inner Loop Header: Depth=1
	s_sethalt 5
	s_branch .LBB38_1203
.LBB38_1204:
	s_or_saveexec_b32 s15, s15
                                        ; implicit-def: $sgpr16
	s_delay_alu instid0(SALU_CYCLE_1)
	s_xor_b32 exec_lo, exec_lo, s15
	s_cbranch_execz .LBB38_939
.LBB38_1205:
	v_add_f32_e64 v8, 0x42800000, |v7|
	s_and_not1_b32 s14, s14, exec_lo
	s_mov_b32 s16, 0
	s_delay_alu instid0(VALU_DEP_1) | instskip(NEXT) | instid1(VALU_DEP_1)
	v_and_b32_e32 v8, 0xff, v8
	v_cmp_ne_u32_e32 vcc_lo, 0, v8
	s_and_b32 s17, vcc_lo, exec_lo
	s_delay_alu instid0(SALU_CYCLE_1)
	s_or_b32 s14, s14, s17
	s_or_b32 exec_lo, exec_lo, s15
	v_mov_b32_e32 v9, s16
	s_and_saveexec_b32 s15, s14
	s_cbranch_execnz .LBB38_940
	s_branch .LBB38_941
.LBB38_1206:
	s_mov_b32 s11, -1
	s_mov_b32 s0, 0
.LBB38_1207:
                                        ; implicit-def: $vgpr4_vgpr5
.LBB38_1208:
	s_and_b32 vcc_lo, exec_lo, s1
	s_cbranch_vccz .LBB38_1212
; %bb.1209:
	v_cmp_eq_u16_e32 vcc_lo, 44, v12
	s_cbranch_vccz .LBB38_1211
; %bb.1210:
	global_load_u8 v4, v[0:1], off
	s_mov_b32 s11, 0
	s_mov_b32 s0, -1
	s_waitcnt vmcnt(0)
	v_lshlrev_b32_e32 v5, 23, v4
	s_delay_alu instid0(VALU_DEP_1) | instskip(NEXT) | instid1(VALU_DEP_1)
	v_trunc_f32_e32 v5, v5
	v_mul_f32_e64 v7, 0x2f800000, |v5|
	s_delay_alu instid0(VALU_DEP_1) | instskip(NEXT) | instid1(VALU_DEP_1)
	v_floor_f32_e32 v7, v7
	v_fma_f32 v8, 0xcf800000, v7, |v5|
	v_ashrrev_i32_e32 v5, 31, v5
	v_cvt_u32_f32_e32 v7, v7
	s_delay_alu instid0(VALU_DEP_3) | instskip(NEXT) | instid1(VALU_DEP_2)
	v_cvt_u32_f32_e32 v8, v8
	v_xor_b32_e32 v7, v7, v5
	s_delay_alu instid0(VALU_DEP_2) | instskip(NEXT) | instid1(VALU_DEP_1)
	v_xor_b32_e32 v8, v8, v5
	v_sub_co_u32 v8, vcc_lo, v8, v5
	s_delay_alu instid0(VALU_DEP_3) | instskip(SKIP_1) | instid1(VALU_DEP_2)
	v_sub_co_ci_u32_e32 v5, vcc_lo, v7, v5, vcc_lo
	v_cmp_ne_u32_e32 vcc_lo, 0, v4
	v_dual_cndmask_b32 v5, 0, v5 :: v_dual_cndmask_b32 v4, 0, v8
	s_branch .LBB38_1212
.LBB38_1211:
	s_mov_b32 s11, -1
                                        ; implicit-def: $vgpr4_vgpr5
.LBB38_1212:
	s_mov_b32 s1, 0
.LBB38_1213:
	s_delay_alu instid0(SALU_CYCLE_1)
	s_and_b32 vcc_lo, exec_lo, s1
	s_cbranch_vccz .LBB38_1217
; %bb.1214:
	v_cmp_eq_u16_e32 vcc_lo, 29, v12
	s_cbranch_vccz .LBB38_1216
; %bb.1215:
	global_load_b64 v[4:5], v[0:1], off
	s_mov_b32 s11, 0
	s_mov_b32 s0, -1
	s_branch .LBB38_1217
.LBB38_1216:
	s_mov_b32 s11, -1
                                        ; implicit-def: $vgpr4_vgpr5
.LBB38_1217:
	s_mov_b32 s1, 0
.LBB38_1218:
	s_delay_alu instid0(SALU_CYCLE_1)
	s_and_b32 vcc_lo, exec_lo, s1
	s_cbranch_vccz .LBB38_1236
; %bb.1219:
	v_cmp_gt_i16_e32 vcc_lo, 27, v12
	s_cbranch_vccnz .LBB38_1222
; %bb.1220:
	v_cmp_lt_i16_e32 vcc_lo, 27, v12
	s_cbranch_vccz .LBB38_1223
; %bb.1221:
	global_load_b32 v4, v[0:1], off
	s_waitcnt vmcnt(1)
	v_mov_b32_e32 v5, 0
	s_mov_b32 s0, 0
	s_branch .LBB38_1224
.LBB38_1222:
	s_mov_b32 s0, -1
                                        ; implicit-def: $vgpr4_vgpr5
	s_branch .LBB38_1227
.LBB38_1223:
	s_mov_b32 s0, -1
                                        ; implicit-def: $vgpr4_vgpr5
.LBB38_1224:
	s_delay_alu instid0(SALU_CYCLE_1)
	s_and_not1_b32 vcc_lo, exec_lo, s0
	s_cbranch_vccnz .LBB38_1226
; %bb.1225:
	global_load_u16 v4, v[0:1], off
	s_mov_b32 s0, 0
	s_waitcnt vmcnt(0)
	v_dual_mov_b32 v5, s0 :: v_dual_and_b32 v4, 0xffff, v4
.LBB38_1226:
	s_mov_b32 s0, 0
.LBB38_1227:
	s_delay_alu instid0(SALU_CYCLE_1)
	s_and_not1_b32 vcc_lo, exec_lo, s0
	s_cbranch_vccnz .LBB38_1235
; %bb.1228:
	global_load_u8 v7, v[0:1], off
	s_mov_b32 s13, 0
	s_mov_b32 s14, exec_lo
                                        ; implicit-def: $sgpr0_sgpr1
	s_waitcnt vmcnt(0)
	v_cmpx_lt_i16_e32 0x7f, v7
	s_xor_b32 s14, exec_lo, s14
; %bb.1229:
	v_cmp_ne_u16_e32 vcc_lo, 0x80, v7
	s_mov_b64 s[0:1], 0
	s_and_b32 s13, vcc_lo, exec_lo
; %bb.1230:
	s_or_saveexec_b32 s14, s14
	v_dual_mov_b32 v5, s1 :: v_dual_mov_b32 v4, s0
	s_xor_b32 exec_lo, exec_lo, s14
; %bb.1231:
	v_cmp_ne_u16_e32 vcc_lo, 0, v7
	v_mov_b32_e32 v4, 0
	v_mov_b32_e32 v5, 0
	s_and_not1_b32 s0, s13, exec_lo
	s_and_b32 s1, vcc_lo, exec_lo
	s_delay_alu instid0(SALU_CYCLE_1)
	s_or_b32 s13, s0, s1
; %bb.1232:
	s_or_b32 exec_lo, exec_lo, s14
	s_and_saveexec_b32 s0, s13
	s_cbranch_execz .LBB38_1234
; %bb.1233:
	v_and_b32_e32 v4, 0xffff, v7
	v_lshlrev_b32_e32 v7, 24, v7
	s_delay_alu instid0(VALU_DEP_2) | instskip(NEXT) | instid1(VALU_DEP_2)
	v_and_b32_e32 v5, 7, v4
	v_and_b32_e32 v7, 0x80000000, v7
	s_delay_alu instid0(VALU_DEP_2) | instskip(NEXT) | instid1(VALU_DEP_1)
	v_clz_i32_u32_e32 v8, v5
	v_min_u32_e32 v8, 32, v8
	s_delay_alu instid0(VALU_DEP_1) | instskip(SKIP_1) | instid1(VALU_DEP_2)
	v_subrev_nc_u32_e32 v9, 28, v8
	v_sub_nc_u32_e32 v8, 29, v8
	v_lshlrev_b32_e32 v9, v9, v4
	v_bfe_u32 v4, v4, 3, 4
	s_delay_alu instid0(VALU_DEP_1) | instskip(NEXT) | instid1(VALU_DEP_3)
	v_cmp_eq_u32_e32 vcc_lo, 0, v4
	v_dual_cndmask_b32 v4, v4, v8 :: v_dual_and_b32 v9, 7, v9
	s_delay_alu instid0(VALU_DEP_1) | instskip(NEXT) | instid1(VALU_DEP_2)
	v_cndmask_b32_e32 v5, v5, v9, vcc_lo
	v_lshl_add_u32 v4, v4, 23, 0x3b800000
	s_delay_alu instid0(VALU_DEP_2) | instskip(NEXT) | instid1(VALU_DEP_1)
	v_lshlrev_b32_e32 v5, 20, v5
	v_or3_b32 v4, v7, v4, v5
	s_delay_alu instid0(VALU_DEP_1) | instskip(NEXT) | instid1(VALU_DEP_1)
	v_trunc_f32_e32 v4, v4
	v_mul_f32_e64 v5, 0x2f800000, |v4|
	v_ashrrev_i32_e32 v8, 31, v4
	s_delay_alu instid0(VALU_DEP_2) | instskip(NEXT) | instid1(VALU_DEP_1)
	v_floor_f32_e32 v5, v5
	v_fma_f32 v7, 0xcf800000, v5, |v4|
	v_cvt_u32_f32_e32 v5, v5
	s_delay_alu instid0(VALU_DEP_2) | instskip(NEXT) | instid1(VALU_DEP_2)
	v_cvt_u32_f32_e32 v4, v7
	v_xor_b32_e32 v5, v5, v8
	s_delay_alu instid0(VALU_DEP_2) | instskip(NEXT) | instid1(VALU_DEP_1)
	v_xor_b32_e32 v4, v4, v8
	v_sub_co_u32 v4, vcc_lo, v4, v8
	s_delay_alu instid0(VALU_DEP_3)
	v_sub_co_ci_u32_e32 v5, vcc_lo, v5, v8, vcc_lo
.LBB38_1234:
	s_or_b32 exec_lo, exec_lo, s0
.LBB38_1235:
	s_mov_b32 s0, -1
.LBB38_1236:
	s_branch .LBB38_1265
.LBB38_1237:
	v_cmp_lt_i16_e32 vcc_lo, 22, v12
	s_cbranch_vccz .LBB38_1247
; %bb.1238:
	v_cmp_gt_i16_e32 vcc_lo, 24, v12
	s_cbranch_vccnz .LBB38_1248
; %bb.1239:
	v_cmp_lt_i16_e32 vcc_lo, 24, v12
	s_cbranch_vccz .LBB38_1249
; %bb.1240:
	global_load_u8 v7, v[0:1], off
	s_mov_b32 s13, exec_lo
                                        ; implicit-def: $sgpr0_sgpr1
	s_waitcnt vmcnt(0)
	v_cmpx_lt_i16_e32 0x7f, v7
	s_xor_b32 s13, exec_lo, s13
; %bb.1241:
	v_cmp_ne_u16_e32 vcc_lo, 0x80, v7
	s_mov_b64 s[0:1], 0
	s_and_b32 s12, vcc_lo, exec_lo
; %bb.1242:
	s_or_saveexec_b32 s13, s13
	v_dual_mov_b32 v5, s1 :: v_dual_mov_b32 v4, s0
	s_xor_b32 exec_lo, exec_lo, s13
; %bb.1243:
	v_cmp_ne_u16_e32 vcc_lo, 0, v7
	v_mov_b32_e32 v4, 0
	v_mov_b32_e32 v5, 0
	s_and_not1_b32 s0, s12, exec_lo
	s_and_b32 s1, vcc_lo, exec_lo
	s_delay_alu instid0(SALU_CYCLE_1)
	s_or_b32 s12, s0, s1
; %bb.1244:
	s_or_b32 exec_lo, exec_lo, s13
	s_and_saveexec_b32 s0, s12
	s_cbranch_execz .LBB38_1246
; %bb.1245:
	v_and_b32_e32 v4, 0xffff, v7
	v_lshlrev_b32_e32 v7, 24, v7
	s_delay_alu instid0(VALU_DEP_2) | instskip(NEXT) | instid1(VALU_DEP_2)
	v_and_b32_e32 v5, 3, v4
	v_and_b32_e32 v7, 0x80000000, v7
	s_delay_alu instid0(VALU_DEP_2) | instskip(NEXT) | instid1(VALU_DEP_1)
	v_clz_i32_u32_e32 v8, v5
	v_min_u32_e32 v8, 32, v8
	s_delay_alu instid0(VALU_DEP_1) | instskip(SKIP_1) | instid1(VALU_DEP_2)
	v_subrev_nc_u32_e32 v9, 29, v8
	v_sub_nc_u32_e32 v8, 30, v8
	v_lshlrev_b32_e32 v9, v9, v4
	v_bfe_u32 v4, v4, 2, 5
	s_delay_alu instid0(VALU_DEP_1) | instskip(NEXT) | instid1(VALU_DEP_3)
	v_cmp_eq_u32_e32 vcc_lo, 0, v4
	v_dual_cndmask_b32 v4, v4, v8 :: v_dual_and_b32 v9, 3, v9
	s_delay_alu instid0(VALU_DEP_1) | instskip(NEXT) | instid1(VALU_DEP_2)
	v_cndmask_b32_e32 v5, v5, v9, vcc_lo
	v_lshl_add_u32 v4, v4, 23, 0x37800000
	s_delay_alu instid0(VALU_DEP_2) | instskip(NEXT) | instid1(VALU_DEP_1)
	v_lshlrev_b32_e32 v5, 21, v5
	v_or3_b32 v4, v7, v4, v5
	s_delay_alu instid0(VALU_DEP_1) | instskip(NEXT) | instid1(VALU_DEP_1)
	v_trunc_f32_e32 v4, v4
	v_mul_f32_e64 v5, 0x2f800000, |v4|
	v_ashrrev_i32_e32 v8, 31, v4
	s_delay_alu instid0(VALU_DEP_2) | instskip(NEXT) | instid1(VALU_DEP_1)
	v_floor_f32_e32 v5, v5
	v_fma_f32 v7, 0xcf800000, v5, |v4|
	v_cvt_u32_f32_e32 v5, v5
	s_delay_alu instid0(VALU_DEP_2) | instskip(NEXT) | instid1(VALU_DEP_2)
	v_cvt_u32_f32_e32 v4, v7
	v_xor_b32_e32 v5, v5, v8
	s_delay_alu instid0(VALU_DEP_2) | instskip(NEXT) | instid1(VALU_DEP_1)
	v_xor_b32_e32 v4, v4, v8
	v_sub_co_u32 v4, vcc_lo, v4, v8
	s_delay_alu instid0(VALU_DEP_3)
	v_sub_co_ci_u32_e32 v5, vcc_lo, v5, v8, vcc_lo
.LBB38_1246:
	s_or_b32 exec_lo, exec_lo, s0
	s_mov_b32 s0, 0
	s_branch .LBB38_1250
.LBB38_1247:
	s_mov_b32 s1, -1
                                        ; implicit-def: $vgpr4_vgpr5
	s_branch .LBB38_1256
.LBB38_1248:
	s_mov_b32 s0, -1
                                        ; implicit-def: $vgpr4_vgpr5
	s_branch .LBB38_1253
.LBB38_1249:
	s_mov_b32 s0, -1
                                        ; implicit-def: $vgpr4_vgpr5
.LBB38_1250:
	s_delay_alu instid0(SALU_CYCLE_1)
	s_and_b32 vcc_lo, exec_lo, s0
	s_cbranch_vccz .LBB38_1252
; %bb.1251:
	global_load_u8 v4, v[0:1], off
	s_waitcnt vmcnt(0)
	v_lshlrev_b32_e32 v4, 24, v4
	s_delay_alu instid0(VALU_DEP_1) | instskip(NEXT) | instid1(VALU_DEP_1)
	v_and_b32_e32 v5, 0x7f000000, v4
	v_clz_i32_u32_e32 v7, v5
	v_add_nc_u32_e32 v9, 0x1000000, v5
	v_cmp_ne_u32_e32 vcc_lo, 0, v5
	s_delay_alu instid0(VALU_DEP_3) | instskip(NEXT) | instid1(VALU_DEP_1)
	v_min_u32_e32 v7, 32, v7
	v_sub_nc_u32_e64 v7, v7, 4 clamp
	s_delay_alu instid0(VALU_DEP_1) | instskip(SKIP_1) | instid1(VALU_DEP_2)
	v_lshlrev_b32_e32 v8, v7, v5
	v_lshlrev_b32_e32 v7, 23, v7
	v_lshrrev_b32_e32 v8, 4, v8
	s_delay_alu instid0(VALU_DEP_1) | instskip(SKIP_1) | instid1(VALU_DEP_2)
	v_sub_nc_u32_e32 v7, v8, v7
	v_ashrrev_i32_e32 v8, 8, v9
	v_add_nc_u32_e32 v7, 0x3c000000, v7
	s_delay_alu instid0(VALU_DEP_1) | instskip(NEXT) | instid1(VALU_DEP_1)
	v_and_or_b32 v7, 0x7f800000, v8, v7
	v_cndmask_b32_e32 v5, 0, v7, vcc_lo
	s_delay_alu instid0(VALU_DEP_1) | instskip(NEXT) | instid1(VALU_DEP_1)
	v_and_or_b32 v4, 0x80000000, v4, v5
	v_trunc_f32_e32 v4, v4
	s_delay_alu instid0(VALU_DEP_1) | instskip(SKIP_1) | instid1(VALU_DEP_2)
	v_mul_f32_e64 v5, 0x2f800000, |v4|
	v_ashrrev_i32_e32 v8, 31, v4
	v_floor_f32_e32 v5, v5
	s_delay_alu instid0(VALU_DEP_1) | instskip(SKIP_1) | instid1(VALU_DEP_2)
	v_fma_f32 v7, 0xcf800000, v5, |v4|
	v_cvt_u32_f32_e32 v5, v5
	v_cvt_u32_f32_e32 v4, v7
	s_delay_alu instid0(VALU_DEP_2) | instskip(NEXT) | instid1(VALU_DEP_2)
	v_xor_b32_e32 v5, v5, v8
	v_xor_b32_e32 v4, v4, v8
	s_delay_alu instid0(VALU_DEP_1) | instskip(NEXT) | instid1(VALU_DEP_3)
	v_sub_co_u32 v4, vcc_lo, v4, v8
	v_sub_co_ci_u32_e32 v5, vcc_lo, v5, v8, vcc_lo
.LBB38_1252:
	s_mov_b32 s0, 0
.LBB38_1253:
	s_delay_alu instid0(SALU_CYCLE_1)
	s_and_not1_b32 vcc_lo, exec_lo, s0
	s_cbranch_vccnz .LBB38_1255
; %bb.1254:
	global_load_u8 v4, v[0:1], off
	s_waitcnt vmcnt(0)
	v_lshlrev_b32_e32 v5, 25, v4
	v_lshlrev_b16 v4, 8, v4
	s_delay_alu instid0(VALU_DEP_2) | instskip(NEXT) | instid1(VALU_DEP_2)
	v_lshrrev_b32_e32 v7, 4, v5
	v_and_or_b32 v8, 0x7f00, v4, 0.5
	v_cmp_gt_u32_e32 vcc_lo, 0x8000000, v5
	v_bfe_i32 v4, v4, 0, 16
	s_delay_alu instid0(VALU_DEP_4) | instskip(NEXT) | instid1(VALU_DEP_1)
	v_or_b32_e32 v7, 0x70000000, v7
	v_dual_add_f32 v8, -0.5, v8 :: v_dual_mul_f32 v7, 0x7800000, v7
	s_delay_alu instid0(VALU_DEP_1) | instskip(NEXT) | instid1(VALU_DEP_1)
	v_cndmask_b32_e32 v5, v7, v8, vcc_lo
	v_and_or_b32 v4, 0x80000000, v4, v5
	s_delay_alu instid0(VALU_DEP_1) | instskip(NEXT) | instid1(VALU_DEP_1)
	v_trunc_f32_e32 v4, v4
	v_mul_f32_e64 v5, 0x2f800000, |v4|
	v_ashrrev_i32_e32 v8, 31, v4
	s_delay_alu instid0(VALU_DEP_2) | instskip(NEXT) | instid1(VALU_DEP_1)
	v_floor_f32_e32 v5, v5
	v_fma_f32 v7, 0xcf800000, v5, |v4|
	v_cvt_u32_f32_e32 v5, v5
	s_delay_alu instid0(VALU_DEP_2) | instskip(NEXT) | instid1(VALU_DEP_2)
	v_cvt_u32_f32_e32 v4, v7
	v_xor_b32_e32 v5, v5, v8
	s_delay_alu instid0(VALU_DEP_2) | instskip(NEXT) | instid1(VALU_DEP_1)
	v_xor_b32_e32 v4, v4, v8
	v_sub_co_u32 v4, vcc_lo, v4, v8
	s_delay_alu instid0(VALU_DEP_3)
	v_sub_co_ci_u32_e32 v5, vcc_lo, v5, v8, vcc_lo
.LBB38_1255:
	s_mov_b32 s1, 0
	s_mov_b32 s0, -1
.LBB38_1256:
	s_and_not1_b32 vcc_lo, exec_lo, s1
	s_mov_b32 s12, 0
	s_cbranch_vccnz .LBB38_1265
; %bb.1257:
	v_cmp_lt_i16_e32 vcc_lo, 14, v12
	s_cbranch_vccz .LBB38_1260
; %bb.1258:
	v_cmp_eq_u16_e32 vcc_lo, 15, v12
	s_cbranch_vccz .LBB38_1261
; %bb.1259:
	global_load_u16 v4, v[0:1], off
	s_mov_b32 s11, 0
	s_mov_b32 s0, -1
	s_waitcnt vmcnt(0)
	v_lshlrev_b32_e32 v4, 16, v4
	s_delay_alu instid0(VALU_DEP_1) | instskip(NEXT) | instid1(VALU_DEP_1)
	v_trunc_f32_e32 v4, v4
	v_mul_f32_e64 v5, 0x2f800000, |v4|
	v_ashrrev_i32_e32 v8, 31, v4
	s_delay_alu instid0(VALU_DEP_2) | instskip(NEXT) | instid1(VALU_DEP_1)
	v_floor_f32_e32 v5, v5
	v_fma_f32 v7, 0xcf800000, v5, |v4|
	v_cvt_u32_f32_e32 v5, v5
	s_delay_alu instid0(VALU_DEP_2) | instskip(NEXT) | instid1(VALU_DEP_2)
	v_cvt_u32_f32_e32 v4, v7
	v_xor_b32_e32 v5, v5, v8
	s_delay_alu instid0(VALU_DEP_2) | instskip(NEXT) | instid1(VALU_DEP_1)
	v_xor_b32_e32 v4, v4, v8
	v_sub_co_u32 v4, vcc_lo, v4, v8
	s_delay_alu instid0(VALU_DEP_3)
	v_sub_co_ci_u32_e32 v5, vcc_lo, v5, v8, vcc_lo
	s_branch .LBB38_1262
.LBB38_1260:
	s_mov_b32 s1, -1
                                        ; implicit-def: $vgpr4_vgpr5
	s_branch .LBB38_1263
.LBB38_1261:
	s_mov_b32 s11, -1
                                        ; implicit-def: $vgpr4_vgpr5
.LBB38_1262:
	s_mov_b32 s1, 0
.LBB38_1263:
	s_delay_alu instid0(SALU_CYCLE_1)
	s_and_b32 vcc_lo, exec_lo, s1
	s_cbranch_vccz .LBB38_1265
; %bb.1264:
	v_cmp_ne_u16_e64 s11, 11, v12
	s_mov_b32 s12, -1
                                        ; implicit-def: $vgpr4_vgpr5
.LBB38_1265:
	s_delay_alu instid0(VALU_DEP_1)
	s_and_b32 vcc_lo, exec_lo, s11
	s_cbranch_vccnz .LBB38_1289
; %bb.1266:
	s_and_not1_b32 vcc_lo, exec_lo, s12
	s_cbranch_vccnz .LBB38_1268
.LBB38_1267:
	global_load_u8 v4, v[0:1], off
	s_mov_b32 s0, 0
	s_waitcnt vmcnt(1)
	v_mov_b32_e32 v5, s0
	s_mov_b32 s0, -1
	s_waitcnt vmcnt(0)
	v_cmp_ne_u16_e32 vcc_lo, 0, v4
	v_cndmask_b32_e64 v4, 0, 1, vcc_lo
.LBB38_1268:
.LBB38_1269:
	s_and_not1_b32 vcc_lo, exec_lo, s0
	s_cbranch_vccnz .LBB38_1332
.LBB38_1270:
	v_add_nc_u32_e32 v8, s3, v6
	v_cmp_gt_i16_e32 vcc_lo, 11, v12
	s_delay_alu instid0(VALU_DEP_2) | instskip(SKIP_1) | instid1(VALU_DEP_1)
	v_ashrrev_i32_e32 v1, 31, v8
	v_add_co_u32 v0, s0, s6, v8
	v_add_co_ci_u32_e64 v1, s0, s7, v1, s0
	s_cbranch_vccnz .LBB38_1277
; %bb.1271:
	v_cmp_lt_i16_e32 vcc_lo, 25, v12
	s_mov_b32 s12, 0
	s_cbranch_vccz .LBB38_1283
; %bb.1272:
	v_cmp_lt_i16_e32 vcc_lo, 28, v12
	s_cbranch_vccz .LBB38_1285
; %bb.1273:
	v_cmp_lt_i16_e32 vcc_lo, 43, v12
	;; [unrolled: 3-line block ×3, first 2 shown]
	s_cbranch_vccz .LBB38_1291
; %bb.1275:
	v_cmp_eq_u16_e32 vcc_lo, 46, v12
	s_mov_b32 s1, 0
	s_cbranch_vccz .LBB38_1379
; %bb.1276:
	global_load_b32 v6, v[0:1], off
	s_mov_b32 s11, 0
	s_mov_b32 s0, -1
	s_waitcnt vmcnt(0)
	v_lshlrev_b32_e32 v6, 16, v6
	s_delay_alu instid0(VALU_DEP_1) | instskip(NEXT) | instid1(VALU_DEP_1)
	v_trunc_f32_e32 v6, v6
	v_mul_f32_e64 v7, 0x2f800000, |v6|
	v_ashrrev_i32_e32 v13, 31, v6
	s_delay_alu instid0(VALU_DEP_2) | instskip(NEXT) | instid1(VALU_DEP_1)
	v_floor_f32_e32 v7, v7
	v_fma_f32 v9, 0xcf800000, v7, |v6|
	v_cvt_u32_f32_e32 v7, v7
	s_delay_alu instid0(VALU_DEP_2) | instskip(NEXT) | instid1(VALU_DEP_2)
	v_cvt_u32_f32_e32 v6, v9
	v_xor_b32_e32 v7, v7, v13
	s_delay_alu instid0(VALU_DEP_2) | instskip(NEXT) | instid1(VALU_DEP_1)
	v_xor_b32_e32 v6, v6, v13
	v_sub_co_u32 v6, vcc_lo, v6, v13
	s_delay_alu instid0(VALU_DEP_3)
	v_sub_co_ci_u32_e32 v7, vcc_lo, v7, v13, vcc_lo
	s_branch .LBB38_1381
.LBB38_1277:
	s_mov_b32 s0, 0
                                        ; implicit-def: $vgpr6_vgpr7
	s_cbranch_execz .LBB38_1443
; %bb.1278:
	v_cmp_gt_i16_e32 vcc_lo, 5, v12
	s_cbranch_vccnz .LBB38_1284
; %bb.1279:
	v_cmp_gt_i16_e32 vcc_lo, 8, v12
	s_cbranch_vccnz .LBB38_1286
	;; [unrolled: 3-line block ×3, first 2 shown]
; %bb.1281:
	v_cmp_lt_i16_e32 vcc_lo, 9, v12
	s_cbranch_vccz .LBB38_1292
; %bb.1282:
	global_load_b64 v[6:7], v[0:1], off
	s_mov_b32 s0, 0
	s_waitcnt vmcnt(0)
	v_trunc_f64_e32 v[6:7], v[6:7]
	s_delay_alu instid0(VALU_DEP_1) | instskip(NEXT) | instid1(VALU_DEP_1)
	v_ldexp_f64 v[13:14], v[6:7], 0xffffffe0
	v_floor_f64_e32 v[13:14], v[13:14]
	s_delay_alu instid0(VALU_DEP_1) | instskip(SKIP_1) | instid1(VALU_DEP_2)
	v_fma_f64 v[15:16], 0xc1f00000, v[13:14], v[6:7]
	v_cvt_i32_f64_e32 v7, v[13:14]
	v_cvt_u32_f64_e32 v6, v[15:16]
	s_branch .LBB38_1293
.LBB38_1283:
	s_mov_b32 s1, -1
	s_mov_b32 s0, 0
	s_mov_b32 s11, 0
                                        ; implicit-def: $vgpr6_vgpr7
	s_branch .LBB38_1410
.LBB38_1284:
	s_mov_b32 s0, -1
                                        ; implicit-def: $vgpr6_vgpr7
	s_branch .LBB38_1311
.LBB38_1285:
	s_mov_b32 s1, -1
	s_mov_b32 s0, 0
	s_mov_b32 s11, 0
                                        ; implicit-def: $vgpr6_vgpr7
	s_branch .LBB38_1391
.LBB38_1286:
	s_mov_b32 s0, -1
                                        ; implicit-def: $vgpr6_vgpr7
	s_branch .LBB38_1299
.LBB38_1287:
	s_mov_b32 s1, -1
	s_mov_b32 s0, 0
	s_mov_b32 s11, 0
                                        ; implicit-def: $vgpr6_vgpr7
	s_branch .LBB38_1386
.LBB38_1288:
	s_mov_b32 s0, -1
                                        ; implicit-def: $vgpr6_vgpr7
	s_branch .LBB38_1296
.LBB38_1289:
	s_cbranch_execnz .LBB38_1377
; %bb.1290:
	s_or_b32 s8, s8, exec_lo
                                        ; implicit-def: $vgpr4_vgpr5
	s_cbranch_execz .LBB38_1267
	s_branch .LBB38_1268
.LBB38_1291:
	s_mov_b32 s1, -1
	s_mov_b32 s0, 0
	s_mov_b32 s11, 0
	s_branch .LBB38_1380
.LBB38_1292:
	s_mov_b32 s0, -1
                                        ; implicit-def: $vgpr6_vgpr7
.LBB38_1293:
	s_delay_alu instid0(SALU_CYCLE_1)
	s_and_not1_b32 vcc_lo, exec_lo, s0
	s_cbranch_vccnz .LBB38_1295
; %bb.1294:
	global_load_b32 v6, v[0:1], off
	s_waitcnt vmcnt(0)
	v_trunc_f32_e32 v6, v6
	s_delay_alu instid0(VALU_DEP_1) | instskip(SKIP_1) | instid1(VALU_DEP_2)
	v_mul_f32_e64 v7, 0x2f800000, |v6|
	v_ashrrev_i32_e32 v13, 31, v6
	v_floor_f32_e32 v7, v7
	s_delay_alu instid0(VALU_DEP_1) | instskip(SKIP_1) | instid1(VALU_DEP_2)
	v_fma_f32 v9, 0xcf800000, v7, |v6|
	v_cvt_u32_f32_e32 v7, v7
	v_cvt_u32_f32_e32 v6, v9
	s_delay_alu instid0(VALU_DEP_2) | instskip(NEXT) | instid1(VALU_DEP_2)
	v_xor_b32_e32 v7, v7, v13
	v_xor_b32_e32 v6, v6, v13
	s_delay_alu instid0(VALU_DEP_1) | instskip(NEXT) | instid1(VALU_DEP_3)
	v_sub_co_u32 v6, vcc_lo, v6, v13
	v_sub_co_ci_u32_e32 v7, vcc_lo, v7, v13, vcc_lo
.LBB38_1295:
	s_mov_b32 s0, 0
.LBB38_1296:
	s_delay_alu instid0(SALU_CYCLE_1)
	s_and_not1_b32 vcc_lo, exec_lo, s0
	s_cbranch_vccnz .LBB38_1298
; %bb.1297:
	global_load_b32 v6, v[0:1], off
	s_waitcnt vmcnt(0)
	v_cvt_f32_f16_e32 v6, v6
	s_delay_alu instid0(VALU_DEP_1) | instskip(NEXT) | instid1(VALU_DEP_1)
	v_cvt_i32_f32_e32 v6, v6
	v_ashrrev_i32_e32 v7, 31, v6
.LBB38_1298:
	s_mov_b32 s0, 0
.LBB38_1299:
	s_delay_alu instid0(SALU_CYCLE_1)
	s_and_not1_b32 vcc_lo, exec_lo, s0
	s_cbranch_vccnz .LBB38_1310
; %bb.1300:
	v_cmp_gt_i16_e32 vcc_lo, 6, v12
	s_cbranch_vccnz .LBB38_1303
; %bb.1301:
	v_cmp_lt_i16_e32 vcc_lo, 6, v12
	s_cbranch_vccz .LBB38_1304
; %bb.1302:
	global_load_b64 v[6:7], v[0:1], off
	s_mov_b32 s0, 0
	s_waitcnt vmcnt(0)
	v_trunc_f64_e32 v[6:7], v[6:7]
	s_delay_alu instid0(VALU_DEP_1) | instskip(NEXT) | instid1(VALU_DEP_1)
	v_ldexp_f64 v[13:14], v[6:7], 0xffffffe0
	v_floor_f64_e32 v[13:14], v[13:14]
	s_delay_alu instid0(VALU_DEP_1) | instskip(SKIP_1) | instid1(VALU_DEP_2)
	v_fma_f64 v[15:16], 0xc1f00000, v[13:14], v[6:7]
	v_cvt_i32_f64_e32 v7, v[13:14]
	v_cvt_u32_f64_e32 v6, v[15:16]
	s_branch .LBB38_1305
.LBB38_1303:
	s_mov_b32 s0, -1
                                        ; implicit-def: $vgpr6_vgpr7
	s_branch .LBB38_1308
.LBB38_1304:
	s_mov_b32 s0, -1
                                        ; implicit-def: $vgpr6_vgpr7
.LBB38_1305:
	s_delay_alu instid0(SALU_CYCLE_1)
	s_and_not1_b32 vcc_lo, exec_lo, s0
	s_cbranch_vccnz .LBB38_1307
; %bb.1306:
	global_load_b32 v6, v[0:1], off
	s_waitcnt vmcnt(0)
	v_trunc_f32_e32 v6, v6
	s_delay_alu instid0(VALU_DEP_1) | instskip(SKIP_1) | instid1(VALU_DEP_2)
	v_mul_f32_e64 v7, 0x2f800000, |v6|
	v_ashrrev_i32_e32 v13, 31, v6
	v_floor_f32_e32 v7, v7
	s_delay_alu instid0(VALU_DEP_1) | instskip(SKIP_1) | instid1(VALU_DEP_2)
	v_fma_f32 v9, 0xcf800000, v7, |v6|
	v_cvt_u32_f32_e32 v7, v7
	v_cvt_u32_f32_e32 v6, v9
	s_delay_alu instid0(VALU_DEP_2) | instskip(NEXT) | instid1(VALU_DEP_2)
	v_xor_b32_e32 v7, v7, v13
	v_xor_b32_e32 v6, v6, v13
	s_delay_alu instid0(VALU_DEP_1) | instskip(NEXT) | instid1(VALU_DEP_3)
	v_sub_co_u32 v6, vcc_lo, v6, v13
	v_sub_co_ci_u32_e32 v7, vcc_lo, v7, v13, vcc_lo
.LBB38_1307:
	s_mov_b32 s0, 0
.LBB38_1308:
	s_delay_alu instid0(SALU_CYCLE_1)
	s_and_not1_b32 vcc_lo, exec_lo, s0
	s_cbranch_vccnz .LBB38_1310
; %bb.1309:
	global_load_u16 v6, v[0:1], off
	s_waitcnt vmcnt(0)
	v_cvt_f32_f16_e32 v6, v6
	s_delay_alu instid0(VALU_DEP_1) | instskip(NEXT) | instid1(VALU_DEP_1)
	v_cvt_i32_f32_e32 v6, v6
	v_ashrrev_i32_e32 v7, 31, v6
.LBB38_1310:
	s_mov_b32 s0, 0
.LBB38_1311:
	s_delay_alu instid0(SALU_CYCLE_1)
	s_and_not1_b32 vcc_lo, exec_lo, s0
	s_cbranch_vccnz .LBB38_1331
; %bb.1312:
	v_cmp_gt_i16_e32 vcc_lo, 2, v12
	s_cbranch_vccnz .LBB38_1316
; %bb.1313:
	v_cmp_gt_i16_e32 vcc_lo, 3, v12
	s_cbranch_vccnz .LBB38_1317
; %bb.1314:
	v_cmp_lt_i16_e32 vcc_lo, 3, v12
	s_cbranch_vccz .LBB38_1318
; %bb.1315:
	global_load_b64 v[6:7], v[0:1], off
	s_mov_b32 s0, 0
	s_branch .LBB38_1319
.LBB38_1316:
	s_mov_b32 s0, -1
                                        ; implicit-def: $vgpr6_vgpr7
	s_branch .LBB38_1325
.LBB38_1317:
	s_mov_b32 s0, -1
                                        ; implicit-def: $vgpr6_vgpr7
	s_branch .LBB38_1322
.LBB38_1318:
	s_mov_b32 s0, -1
                                        ; implicit-def: $vgpr6_vgpr7
.LBB38_1319:
	s_delay_alu instid0(SALU_CYCLE_1)
	s_and_not1_b32 vcc_lo, exec_lo, s0
	s_cbranch_vccnz .LBB38_1321
; %bb.1320:
	global_load_b32 v6, v[0:1], off
	s_waitcnt vmcnt(0)
	v_ashrrev_i32_e32 v7, 31, v6
.LBB38_1321:
	s_mov_b32 s0, 0
.LBB38_1322:
	s_delay_alu instid0(SALU_CYCLE_1)
	s_and_not1_b32 vcc_lo, exec_lo, s0
	s_cbranch_vccnz .LBB38_1324
; %bb.1323:
	global_load_u16 v6, v[0:1], off
	s_waitcnt vmcnt(0)
	v_bfe_i32 v6, v6, 0, 16
	s_delay_alu instid0(VALU_DEP_1)
	v_ashrrev_i32_e32 v7, 31, v6
.LBB38_1324:
	s_mov_b32 s0, 0
.LBB38_1325:
	s_delay_alu instid0(SALU_CYCLE_1)
	s_and_not1_b32 vcc_lo, exec_lo, s0
	s_cbranch_vccnz .LBB38_1331
; %bb.1326:
	v_cmp_lt_i16_e32 vcc_lo, 0, v12
	s_mov_b32 s0, 0
	s_cbranch_vccz .LBB38_1328
; %bb.1327:
	global_load_i8 v6, v[0:1], off
	s_waitcnt vmcnt(0)
	v_bfe_i32 v6, v6, 0, 16
	s_delay_alu instid0(VALU_DEP_1)
	v_ashrrev_i32_e32 v7, 31, v6
	s_branch .LBB38_1329
.LBB38_1328:
	s_mov_b32 s0, -1
                                        ; implicit-def: $vgpr6_vgpr7
.LBB38_1329:
	s_delay_alu instid0(SALU_CYCLE_1)
	s_and_not1_b32 vcc_lo, exec_lo, s0
	s_cbranch_vccnz .LBB38_1331
; %bb.1330:
	global_load_u8 v0, v[0:1], off
	s_mov_b32 s0, 0
	s_waitcnt vmcnt(0)
	v_dual_mov_b32 v7, s0 :: v_dual_and_b32 v6, 0xffff, v0
.LBB38_1331:
	s_branch .LBB38_1444
.LBB38_1332:
	s_mov_b32 s0, 0
	s_mov_b32 s1, 0
                                        ; implicit-def: $vgpr13
                                        ; implicit-def: $vgpr2_vgpr3
                                        ; implicit-def: $vgpr4_vgpr5
                                        ; implicit-def: $vgpr0_vgpr1
.LBB38_1333:
	s_and_not1_b32 s2, s10, exec_lo
	s_and_b32 s3, s8, exec_lo
	s_and_b32 s0, s0, exec_lo
	s_and_b32 s8, s1, exec_lo
	s_or_b32 s10, s2, s3
.LBB38_1334:
	s_or_b32 exec_lo, exec_lo, s9
	s_and_saveexec_b32 s1, s10
	s_cbranch_execz .LBB38_1337
; %bb.1335:
	; divergent unreachable
	s_or_b32 exec_lo, exec_lo, s1
	s_and_saveexec_b32 s1, s8
	s_delay_alu instid0(SALU_CYCLE_1)
	s_xor_b32 s1, exec_lo, s1
	s_cbranch_execnz .LBB38_1338
.LBB38_1336:
	s_or_b32 exec_lo, exec_lo, s1
	s_and_saveexec_b32 s1, s0
	s_cbranch_execnz .LBB38_1339
	s_branch .LBB38_1376
.LBB38_1337:
	s_or_b32 exec_lo, exec_lo, s1
	s_and_saveexec_b32 s1, s8
	s_delay_alu instid0(SALU_CYCLE_1)
	s_xor_b32 s1, exec_lo, s1
	s_cbranch_execz .LBB38_1336
.LBB38_1338:
	s_waitcnt vmcnt(0)
	s_delay_alu instid0(VALU_DEP_1)
	v_cmp_ne_u64_e32 vcc_lo, -1, v[0:1]
	v_cndmask_b32_e64 v0, 0, 1, vcc_lo
	global_store_b8 v[2:3], v0, off
	s_or_b32 exec_lo, exec_lo, s1
	s_and_saveexec_b32 s1, s0
	s_cbranch_execz .LBB38_1376
.LBB38_1339:
	v_cmp_gt_i16_e32 vcc_lo, 5, v13
	s_mov_b32 s0, -1
	s_cbranch_vccnz .LBB38_1360
; %bb.1340:
	v_cmp_gt_i16_e32 vcc_lo, 8, v13
	s_cbranch_vccnz .LBB38_1350
; %bb.1341:
	v_cmp_gt_i16_e32 vcc_lo, 9, v13
	s_cbranch_vccnz .LBB38_1347
; %bb.1342:
	v_cmp_lt_i16_e32 vcc_lo, 9, v13
	s_cbranch_vccz .LBB38_1344
; %bb.1343:
	s_waitcnt vmcnt(0)
	v_cvt_f64_i32_e32 v[0:1], v5
	v_cvt_f64_u32_e32 v[6:7], v4
	v_mov_b32_e32 v8, 0
	s_mov_b32 s0, 0
	s_delay_alu instid0(VALU_DEP_1) | instskip(NEXT) | instid1(VALU_DEP_4)
	v_mov_b32_e32 v9, v8
	v_ldexp_f64 v[0:1], v[0:1], 32
	s_delay_alu instid0(VALU_DEP_1)
	v_add_f64 v[6:7], v[0:1], v[6:7]
	global_store_b128 v[2:3], v[6:9], off
.LBB38_1344:
	s_and_not1_b32 vcc_lo, exec_lo, s0
	s_cbranch_vccnz .LBB38_1346
; %bb.1345:
	s_waitcnt vmcnt(0)
	v_xor_b32_e32 v0, v4, v5
	v_cls_i32_e32 v1, v5
	s_delay_alu instid0(VALU_DEP_2) | instskip(NEXT) | instid1(VALU_DEP_2)
	v_ashrrev_i32_e32 v0, 31, v0
	v_add_nc_u32_e32 v1, -1, v1
	s_delay_alu instid0(VALU_DEP_2) | instskip(NEXT) | instid1(VALU_DEP_1)
	v_add_nc_u32_e32 v0, 32, v0
	v_min_u32_e32 v6, v1, v0
	s_delay_alu instid0(VALU_DEP_1) | instskip(NEXT) | instid1(VALU_DEP_1)
	v_lshlrev_b64 v[0:1], v6, v[4:5]
	v_min_u32_e32 v0, 1, v0
	s_delay_alu instid0(VALU_DEP_1) | instskip(SKIP_1) | instid1(VALU_DEP_2)
	v_or_b32_e32 v0, v1, v0
	v_sub_nc_u32_e32 v1, 32, v6
	v_cvt_f32_i32_e32 v0, v0
	s_delay_alu instid0(VALU_DEP_1)
	v_ldexp_f32 v0, v0, v1
	v_mov_b32_e32 v1, 0
	global_store_b64 v[2:3], v[0:1], off
.LBB38_1346:
	s_mov_b32 s0, 0
.LBB38_1347:
	s_delay_alu instid0(SALU_CYCLE_1)
	s_and_not1_b32 vcc_lo, exec_lo, s0
	s_cbranch_vccnz .LBB38_1349
; %bb.1348:
	s_waitcnt vmcnt(0)
	v_xor_b32_e32 v0, v4, v5
	v_cls_i32_e32 v1, v5
	s_delay_alu instid0(VALU_DEP_2) | instskip(NEXT) | instid1(VALU_DEP_2)
	v_ashrrev_i32_e32 v0, 31, v0
	v_add_nc_u32_e32 v1, -1, v1
	s_delay_alu instid0(VALU_DEP_2) | instskip(NEXT) | instid1(VALU_DEP_1)
	v_add_nc_u32_e32 v0, 32, v0
	v_min_u32_e32 v6, v1, v0
	s_delay_alu instid0(VALU_DEP_1) | instskip(NEXT) | instid1(VALU_DEP_1)
	v_lshlrev_b64 v[0:1], v6, v[4:5]
	v_min_u32_e32 v0, 1, v0
	s_delay_alu instid0(VALU_DEP_1) | instskip(SKIP_1) | instid1(VALU_DEP_2)
	v_or_b32_e32 v0, v1, v0
	v_sub_nc_u32_e32 v1, 32, v6
	v_cvt_f32_i32_e32 v0, v0
	s_delay_alu instid0(VALU_DEP_1) | instskip(NEXT) | instid1(VALU_DEP_1)
	v_ldexp_f32 v0, v0, v1
	v_cvt_f16_f32_e32 v0, v0
	s_delay_alu instid0(VALU_DEP_1)
	v_and_b32_e32 v0, 0xffff, v0
	global_store_b32 v[2:3], v0, off
.LBB38_1349:
	s_mov_b32 s0, 0
.LBB38_1350:
	s_delay_alu instid0(SALU_CYCLE_1)
	s_and_not1_b32 vcc_lo, exec_lo, s0
	s_cbranch_vccnz .LBB38_1359
; %bb.1351:
	v_cmp_gt_i16_e32 vcc_lo, 6, v13
	s_mov_b32 s0, -1
	s_cbranch_vccnz .LBB38_1357
; %bb.1352:
	v_cmp_lt_i16_e32 vcc_lo, 6, v13
	s_cbranch_vccz .LBB38_1354
; %bb.1353:
	s_waitcnt vmcnt(0)
	v_cvt_f64_i32_e32 v[0:1], v5
	v_cvt_f64_u32_e32 v[6:7], v4
	s_mov_b32 s0, 0
	s_delay_alu instid0(VALU_DEP_2) | instskip(NEXT) | instid1(VALU_DEP_1)
	v_ldexp_f64 v[0:1], v[0:1], 32
	v_add_f64 v[0:1], v[0:1], v[6:7]
	global_store_b64 v[2:3], v[0:1], off
.LBB38_1354:
	s_and_not1_b32 vcc_lo, exec_lo, s0
	s_cbranch_vccnz .LBB38_1356
; %bb.1355:
	s_waitcnt vmcnt(0)
	v_xor_b32_e32 v0, v4, v5
	v_cls_i32_e32 v1, v5
	s_delay_alu instid0(VALU_DEP_2) | instskip(NEXT) | instid1(VALU_DEP_2)
	v_ashrrev_i32_e32 v0, 31, v0
	v_add_nc_u32_e32 v1, -1, v1
	s_delay_alu instid0(VALU_DEP_2) | instskip(NEXT) | instid1(VALU_DEP_1)
	v_add_nc_u32_e32 v0, 32, v0
	v_min_u32_e32 v6, v1, v0
	s_delay_alu instid0(VALU_DEP_1) | instskip(NEXT) | instid1(VALU_DEP_1)
	v_lshlrev_b64 v[0:1], v6, v[4:5]
	v_min_u32_e32 v0, 1, v0
	s_delay_alu instid0(VALU_DEP_1) | instskip(SKIP_1) | instid1(VALU_DEP_2)
	v_or_b32_e32 v0, v1, v0
	v_sub_nc_u32_e32 v1, 32, v6
	v_cvt_f32_i32_e32 v0, v0
	s_delay_alu instid0(VALU_DEP_1)
	v_ldexp_f32 v0, v0, v1
	global_store_b32 v[2:3], v0, off
.LBB38_1356:
	s_mov_b32 s0, 0
.LBB38_1357:
	s_delay_alu instid0(SALU_CYCLE_1)
	s_and_not1_b32 vcc_lo, exec_lo, s0
	s_cbranch_vccnz .LBB38_1359
; %bb.1358:
	s_waitcnt vmcnt(0)
	v_xor_b32_e32 v0, v4, v5
	v_cls_i32_e32 v1, v5
	s_delay_alu instid0(VALU_DEP_2) | instskip(NEXT) | instid1(VALU_DEP_2)
	v_ashrrev_i32_e32 v0, 31, v0
	v_add_nc_u32_e32 v1, -1, v1
	s_delay_alu instid0(VALU_DEP_2) | instskip(NEXT) | instid1(VALU_DEP_1)
	v_add_nc_u32_e32 v0, 32, v0
	v_min_u32_e32 v6, v1, v0
	s_delay_alu instid0(VALU_DEP_1) | instskip(NEXT) | instid1(VALU_DEP_1)
	v_lshlrev_b64 v[0:1], v6, v[4:5]
	v_min_u32_e32 v0, 1, v0
	s_delay_alu instid0(VALU_DEP_1) | instskip(SKIP_1) | instid1(VALU_DEP_2)
	v_or_b32_e32 v0, v1, v0
	v_sub_nc_u32_e32 v1, 32, v6
	v_cvt_f32_i32_e32 v0, v0
	s_delay_alu instid0(VALU_DEP_1) | instskip(NEXT) | instid1(VALU_DEP_1)
	v_ldexp_f32 v0, v0, v1
	v_cvt_f16_f32_e32 v0, v0
	global_store_b16 v[2:3], v0, off
.LBB38_1359:
	s_mov_b32 s0, 0
.LBB38_1360:
	s_delay_alu instid0(SALU_CYCLE_1)
	s_and_not1_b32 vcc_lo, exec_lo, s0
	s_cbranch_vccnz .LBB38_1376
; %bb.1361:
	v_cmp_gt_i16_e32 vcc_lo, 2, v13
	s_mov_b32 s0, -1
	s_cbranch_vccnz .LBB38_1371
; %bb.1362:
	v_cmp_gt_i16_e32 vcc_lo, 3, v13
	s_cbranch_vccnz .LBB38_1368
; %bb.1363:
	v_cmp_lt_i16_e32 vcc_lo, 3, v13
	s_cbranch_vccz .LBB38_1365
; %bb.1364:
	s_mov_b32 s0, 0
	s_waitcnt vmcnt(0)
	global_store_b64 v[2:3], v[4:5], off
.LBB38_1365:
	s_and_not1_b32 vcc_lo, exec_lo, s0
	s_cbranch_vccnz .LBB38_1367
; %bb.1366:
	s_waitcnt vmcnt(0)
	global_store_b32 v[2:3], v4, off
.LBB38_1367:
	s_mov_b32 s0, 0
.LBB38_1368:
	s_delay_alu instid0(SALU_CYCLE_1)
	s_and_not1_b32 vcc_lo, exec_lo, s0
	s_cbranch_vccnz .LBB38_1370
; %bb.1369:
	s_waitcnt vmcnt(0)
	global_store_b16 v[2:3], v4, off
.LBB38_1370:
	s_mov_b32 s0, 0
.LBB38_1371:
	s_delay_alu instid0(SALU_CYCLE_1)
	s_and_not1_b32 vcc_lo, exec_lo, s0
	s_cbranch_vccnz .LBB38_1376
; %bb.1372:
	v_cmp_lt_i16_e32 vcc_lo, 0, v13
	s_mov_b32 s0, -1
	s_cbranch_vccz .LBB38_1374
; %bb.1373:
	s_mov_b32 s0, 0
	s_waitcnt vmcnt(0)
	global_store_b8 v[2:3], v4, off
.LBB38_1374:
	s_and_not1_b32 vcc_lo, exec_lo, s0
	s_cbranch_vccnz .LBB38_1376
; %bb.1375:
	s_waitcnt vmcnt(0)
	global_store_b8 v[2:3], v4, off
	s_nop 0
	s_sendmsg sendmsg(MSG_DEALLOC_VGPRS)
	s_endpgm
.LBB38_1376:
	s_nop 0
	s_sendmsg sendmsg(MSG_DEALLOC_VGPRS)
	s_endpgm
.LBB38_1377:
	s_trap 2
	s_sendmsg_rtn_b32 s0, sendmsg(MSG_RTN_GET_DOORBELL)
	s_mov_b32 ttmp2, m0
	s_waitcnt lgkmcnt(0)
	s_and_b32 s0, s0, 0x3ff
	s_delay_alu instid0(SALU_CYCLE_1) | instskip(NEXT) | instid1(SALU_CYCLE_1)
	s_bitset1_b32 s0, 10
	s_mov_b32 m0, s0
	s_sendmsg sendmsg(MSG_INTERRUPT)
	s_mov_b32 m0, ttmp2
.LBB38_1378:                            ; =>This Inner Loop Header: Depth=1
	s_sethalt 5
	s_branch .LBB38_1378
.LBB38_1379:
	s_mov_b32 s11, -1
	s_mov_b32 s0, 0
.LBB38_1380:
                                        ; implicit-def: $vgpr6_vgpr7
.LBB38_1381:
	s_and_b32 vcc_lo, exec_lo, s1
	s_cbranch_vccz .LBB38_1385
; %bb.1382:
	v_cmp_eq_u16_e32 vcc_lo, 44, v12
	s_cbranch_vccz .LBB38_1384
; %bb.1383:
	global_load_u8 v6, v[0:1], off
	s_mov_b32 s11, 0
	s_mov_b32 s0, -1
	s_waitcnt vmcnt(0)
	v_lshlrev_b32_e32 v7, 23, v6
	s_delay_alu instid0(VALU_DEP_1) | instskip(NEXT) | instid1(VALU_DEP_1)
	v_trunc_f32_e32 v7, v7
	v_mul_f32_e64 v9, 0x2f800000, |v7|
	s_delay_alu instid0(VALU_DEP_1) | instskip(NEXT) | instid1(VALU_DEP_1)
	v_floor_f32_e32 v9, v9
	v_fma_f32 v13, 0xcf800000, v9, |v7|
	v_ashrrev_i32_e32 v7, 31, v7
	v_cvt_u32_f32_e32 v9, v9
	s_delay_alu instid0(VALU_DEP_3) | instskip(NEXT) | instid1(VALU_DEP_2)
	v_cvt_u32_f32_e32 v13, v13
	v_xor_b32_e32 v9, v9, v7
	s_delay_alu instid0(VALU_DEP_2) | instskip(NEXT) | instid1(VALU_DEP_1)
	v_xor_b32_e32 v13, v13, v7
	v_sub_co_u32 v13, vcc_lo, v13, v7
	s_delay_alu instid0(VALU_DEP_3) | instskip(SKIP_1) | instid1(VALU_DEP_2)
	v_sub_co_ci_u32_e32 v7, vcc_lo, v9, v7, vcc_lo
	v_cmp_ne_u32_e32 vcc_lo, 0, v6
	v_dual_cndmask_b32 v6, 0, v13 :: v_dual_cndmask_b32 v7, 0, v7
	s_branch .LBB38_1385
.LBB38_1384:
	s_mov_b32 s11, -1
                                        ; implicit-def: $vgpr6_vgpr7
.LBB38_1385:
	s_mov_b32 s1, 0
.LBB38_1386:
	s_delay_alu instid0(SALU_CYCLE_1)
	s_and_b32 vcc_lo, exec_lo, s1
	s_cbranch_vccz .LBB38_1390
; %bb.1387:
	v_cmp_eq_u16_e32 vcc_lo, 29, v12
	s_cbranch_vccz .LBB38_1389
; %bb.1388:
	global_load_b64 v[6:7], v[0:1], off
	s_mov_b32 s11, 0
	s_mov_b32 s0, -1
	s_branch .LBB38_1390
.LBB38_1389:
	s_mov_b32 s11, -1
                                        ; implicit-def: $vgpr6_vgpr7
.LBB38_1390:
	s_mov_b32 s1, 0
.LBB38_1391:
	s_delay_alu instid0(SALU_CYCLE_1)
	s_and_b32 vcc_lo, exec_lo, s1
	s_cbranch_vccz .LBB38_1409
; %bb.1392:
	v_cmp_gt_i16_e32 vcc_lo, 27, v12
	s_cbranch_vccnz .LBB38_1395
; %bb.1393:
	v_cmp_lt_i16_e32 vcc_lo, 27, v12
	s_cbranch_vccz .LBB38_1396
; %bb.1394:
	global_load_b32 v6, v[0:1], off
	s_waitcnt vmcnt(1)
	v_mov_b32_e32 v7, 0
	s_mov_b32 s0, 0
	s_branch .LBB38_1397
.LBB38_1395:
	s_mov_b32 s0, -1
                                        ; implicit-def: $vgpr6_vgpr7
	s_branch .LBB38_1400
.LBB38_1396:
	s_mov_b32 s0, -1
                                        ; implicit-def: $vgpr6_vgpr7
.LBB38_1397:
	s_delay_alu instid0(SALU_CYCLE_1)
	s_and_not1_b32 vcc_lo, exec_lo, s0
	s_cbranch_vccnz .LBB38_1399
; %bb.1398:
	global_load_u16 v6, v[0:1], off
	s_mov_b32 s0, 0
	s_waitcnt vmcnt(0)
	v_dual_mov_b32 v7, s0 :: v_dual_and_b32 v6, 0xffff, v6
.LBB38_1399:
	s_mov_b32 s0, 0
.LBB38_1400:
	s_delay_alu instid0(SALU_CYCLE_1)
	s_and_not1_b32 vcc_lo, exec_lo, s0
	s_cbranch_vccnz .LBB38_1408
; %bb.1401:
	global_load_u8 v9, v[0:1], off
	s_mov_b32 s13, 0
	s_mov_b32 s14, exec_lo
                                        ; implicit-def: $sgpr0_sgpr1
	s_waitcnt vmcnt(0)
	v_cmpx_lt_i16_e32 0x7f, v9
	s_xor_b32 s14, exec_lo, s14
; %bb.1402:
	v_cmp_ne_u16_e32 vcc_lo, 0x80, v9
	s_mov_b64 s[0:1], 0
	s_and_b32 s13, vcc_lo, exec_lo
; %bb.1403:
	s_or_saveexec_b32 s14, s14
	v_dual_mov_b32 v7, s1 :: v_dual_mov_b32 v6, s0
	s_xor_b32 exec_lo, exec_lo, s14
; %bb.1404:
	v_cmp_ne_u16_e32 vcc_lo, 0, v9
	v_mov_b32_e32 v6, 0
	v_mov_b32_e32 v7, 0
	s_and_not1_b32 s0, s13, exec_lo
	s_and_b32 s1, vcc_lo, exec_lo
	s_delay_alu instid0(SALU_CYCLE_1)
	s_or_b32 s13, s0, s1
; %bb.1405:
	s_or_b32 exec_lo, exec_lo, s14
	s_and_saveexec_b32 s0, s13
	s_cbranch_execz .LBB38_1407
; %bb.1406:
	v_and_b32_e32 v6, 0xffff, v9
	v_lshlrev_b32_e32 v9, 24, v9
	s_delay_alu instid0(VALU_DEP_2) | instskip(NEXT) | instid1(VALU_DEP_2)
	v_and_b32_e32 v7, 7, v6
	v_and_b32_e32 v9, 0x80000000, v9
	s_delay_alu instid0(VALU_DEP_2) | instskip(NEXT) | instid1(VALU_DEP_1)
	v_clz_i32_u32_e32 v13, v7
	v_min_u32_e32 v13, 32, v13
	s_delay_alu instid0(VALU_DEP_1) | instskip(SKIP_1) | instid1(VALU_DEP_2)
	v_subrev_nc_u32_e32 v14, 28, v13
	v_sub_nc_u32_e32 v13, 29, v13
	v_lshlrev_b32_e32 v14, v14, v6
	v_bfe_u32 v6, v6, 3, 4
	s_delay_alu instid0(VALU_DEP_2) | instskip(NEXT) | instid1(VALU_DEP_2)
	v_and_b32_e32 v14, 7, v14
	v_cmp_eq_u32_e32 vcc_lo, 0, v6
	s_delay_alu instid0(VALU_DEP_2) | instskip(NEXT) | instid1(VALU_DEP_1)
	v_dual_cndmask_b32 v6, v6, v13 :: v_dual_cndmask_b32 v7, v7, v14
	v_lshl_add_u32 v6, v6, 23, 0x3b800000
	s_delay_alu instid0(VALU_DEP_2) | instskip(NEXT) | instid1(VALU_DEP_1)
	v_lshlrev_b32_e32 v7, 20, v7
	v_or3_b32 v6, v9, v6, v7
	s_delay_alu instid0(VALU_DEP_1) | instskip(NEXT) | instid1(VALU_DEP_1)
	v_trunc_f32_e32 v6, v6
	v_mul_f32_e64 v7, 0x2f800000, |v6|
	v_ashrrev_i32_e32 v13, 31, v6
	s_delay_alu instid0(VALU_DEP_2) | instskip(NEXT) | instid1(VALU_DEP_1)
	v_floor_f32_e32 v7, v7
	v_fma_f32 v9, 0xcf800000, v7, |v6|
	v_cvt_u32_f32_e32 v7, v7
	s_delay_alu instid0(VALU_DEP_2) | instskip(NEXT) | instid1(VALU_DEP_2)
	v_cvt_u32_f32_e32 v6, v9
	v_xor_b32_e32 v7, v7, v13
	s_delay_alu instid0(VALU_DEP_2) | instskip(NEXT) | instid1(VALU_DEP_1)
	v_xor_b32_e32 v6, v6, v13
	v_sub_co_u32 v6, vcc_lo, v6, v13
	s_delay_alu instid0(VALU_DEP_3)
	v_sub_co_ci_u32_e32 v7, vcc_lo, v7, v13, vcc_lo
.LBB38_1407:
	s_or_b32 exec_lo, exec_lo, s0
.LBB38_1408:
	s_mov_b32 s0, -1
.LBB38_1409:
	s_mov_b32 s1, 0
.LBB38_1410:
	s_delay_alu instid0(SALU_CYCLE_1)
	s_and_b32 vcc_lo, exec_lo, s1
	s_cbranch_vccz .LBB38_1439
; %bb.1411:
	v_cmp_lt_i16_e32 vcc_lo, 22, v12
	s_cbranch_vccz .LBB38_1421
; %bb.1412:
	v_cmp_gt_i16_e32 vcc_lo, 24, v12
	s_cbranch_vccnz .LBB38_1422
; %bb.1413:
	v_cmp_lt_i16_e32 vcc_lo, 24, v12
	s_cbranch_vccz .LBB38_1423
; %bb.1414:
	global_load_u8 v9, v[0:1], off
	s_mov_b32 s13, exec_lo
                                        ; implicit-def: $sgpr0_sgpr1
	s_waitcnt vmcnt(0)
	v_cmpx_lt_i16_e32 0x7f, v9
	s_xor_b32 s13, exec_lo, s13
; %bb.1415:
	v_cmp_ne_u16_e32 vcc_lo, 0x80, v9
	s_mov_b64 s[0:1], 0
	s_and_b32 s12, vcc_lo, exec_lo
; %bb.1416:
	s_or_saveexec_b32 s13, s13
	v_dual_mov_b32 v7, s1 :: v_dual_mov_b32 v6, s0
	s_xor_b32 exec_lo, exec_lo, s13
; %bb.1417:
	v_cmp_ne_u16_e32 vcc_lo, 0, v9
	v_mov_b32_e32 v6, 0
	v_mov_b32_e32 v7, 0
	s_and_not1_b32 s0, s12, exec_lo
	s_and_b32 s1, vcc_lo, exec_lo
	s_delay_alu instid0(SALU_CYCLE_1)
	s_or_b32 s12, s0, s1
; %bb.1418:
	s_or_b32 exec_lo, exec_lo, s13
	s_and_saveexec_b32 s0, s12
	s_cbranch_execz .LBB38_1420
; %bb.1419:
	v_and_b32_e32 v6, 0xffff, v9
	v_lshlrev_b32_e32 v9, 24, v9
	s_delay_alu instid0(VALU_DEP_2) | instskip(NEXT) | instid1(VALU_DEP_2)
	v_and_b32_e32 v7, 3, v6
	v_and_b32_e32 v9, 0x80000000, v9
	s_delay_alu instid0(VALU_DEP_2) | instskip(NEXT) | instid1(VALU_DEP_1)
	v_clz_i32_u32_e32 v13, v7
	v_min_u32_e32 v13, 32, v13
	s_delay_alu instid0(VALU_DEP_1) | instskip(SKIP_1) | instid1(VALU_DEP_2)
	v_subrev_nc_u32_e32 v14, 29, v13
	v_sub_nc_u32_e32 v13, 30, v13
	v_lshlrev_b32_e32 v14, v14, v6
	v_bfe_u32 v6, v6, 2, 5
	s_delay_alu instid0(VALU_DEP_2) | instskip(NEXT) | instid1(VALU_DEP_2)
	v_and_b32_e32 v14, 3, v14
	v_cmp_eq_u32_e32 vcc_lo, 0, v6
	s_delay_alu instid0(VALU_DEP_2) | instskip(NEXT) | instid1(VALU_DEP_1)
	v_dual_cndmask_b32 v6, v6, v13 :: v_dual_cndmask_b32 v7, v7, v14
	v_lshl_add_u32 v6, v6, 23, 0x37800000
	s_delay_alu instid0(VALU_DEP_2) | instskip(NEXT) | instid1(VALU_DEP_1)
	v_lshlrev_b32_e32 v7, 21, v7
	v_or3_b32 v6, v9, v6, v7
	s_delay_alu instid0(VALU_DEP_1) | instskip(NEXT) | instid1(VALU_DEP_1)
	v_trunc_f32_e32 v6, v6
	v_mul_f32_e64 v7, 0x2f800000, |v6|
	v_ashrrev_i32_e32 v13, 31, v6
	s_delay_alu instid0(VALU_DEP_2) | instskip(NEXT) | instid1(VALU_DEP_1)
	v_floor_f32_e32 v7, v7
	v_fma_f32 v9, 0xcf800000, v7, |v6|
	v_cvt_u32_f32_e32 v7, v7
	s_delay_alu instid0(VALU_DEP_2) | instskip(NEXT) | instid1(VALU_DEP_2)
	v_cvt_u32_f32_e32 v6, v9
	v_xor_b32_e32 v7, v7, v13
	s_delay_alu instid0(VALU_DEP_2) | instskip(NEXT) | instid1(VALU_DEP_1)
	v_xor_b32_e32 v6, v6, v13
	v_sub_co_u32 v6, vcc_lo, v6, v13
	s_delay_alu instid0(VALU_DEP_3)
	v_sub_co_ci_u32_e32 v7, vcc_lo, v7, v13, vcc_lo
.LBB38_1420:
	s_or_b32 exec_lo, exec_lo, s0
	s_mov_b32 s0, 0
	s_branch .LBB38_1424
.LBB38_1421:
	s_mov_b32 s1, -1
                                        ; implicit-def: $vgpr6_vgpr7
	s_branch .LBB38_1430
.LBB38_1422:
	s_mov_b32 s0, -1
                                        ; implicit-def: $vgpr6_vgpr7
	s_branch .LBB38_1427
.LBB38_1423:
	s_mov_b32 s0, -1
                                        ; implicit-def: $vgpr6_vgpr7
.LBB38_1424:
	s_delay_alu instid0(SALU_CYCLE_1)
	s_and_b32 vcc_lo, exec_lo, s0
	s_cbranch_vccz .LBB38_1426
; %bb.1425:
	global_load_u8 v6, v[0:1], off
	s_waitcnt vmcnt(0)
	v_lshlrev_b32_e32 v6, 24, v6
	s_delay_alu instid0(VALU_DEP_1) | instskip(NEXT) | instid1(VALU_DEP_1)
	v_and_b32_e32 v7, 0x7f000000, v6
	v_clz_i32_u32_e32 v9, v7
	v_add_nc_u32_e32 v14, 0x1000000, v7
	v_cmp_ne_u32_e32 vcc_lo, 0, v7
	s_delay_alu instid0(VALU_DEP_3) | instskip(NEXT) | instid1(VALU_DEP_1)
	v_min_u32_e32 v9, 32, v9
	v_sub_nc_u32_e64 v9, v9, 4 clamp
	s_delay_alu instid0(VALU_DEP_1) | instskip(SKIP_1) | instid1(VALU_DEP_2)
	v_lshlrev_b32_e32 v13, v9, v7
	v_lshlrev_b32_e32 v9, 23, v9
	v_lshrrev_b32_e32 v13, 4, v13
	s_delay_alu instid0(VALU_DEP_1) | instskip(SKIP_1) | instid1(VALU_DEP_2)
	v_sub_nc_u32_e32 v9, v13, v9
	v_ashrrev_i32_e32 v13, 8, v14
	v_add_nc_u32_e32 v9, 0x3c000000, v9
	s_delay_alu instid0(VALU_DEP_1) | instskip(NEXT) | instid1(VALU_DEP_1)
	v_and_or_b32 v9, 0x7f800000, v13, v9
	v_cndmask_b32_e32 v7, 0, v9, vcc_lo
	s_delay_alu instid0(VALU_DEP_1) | instskip(NEXT) | instid1(VALU_DEP_1)
	v_and_or_b32 v6, 0x80000000, v6, v7
	v_trunc_f32_e32 v6, v6
	s_delay_alu instid0(VALU_DEP_1) | instskip(SKIP_1) | instid1(VALU_DEP_2)
	v_mul_f32_e64 v7, 0x2f800000, |v6|
	v_ashrrev_i32_e32 v13, 31, v6
	v_floor_f32_e32 v7, v7
	s_delay_alu instid0(VALU_DEP_1) | instskip(SKIP_1) | instid1(VALU_DEP_2)
	v_fma_f32 v9, 0xcf800000, v7, |v6|
	v_cvt_u32_f32_e32 v7, v7
	v_cvt_u32_f32_e32 v6, v9
	s_delay_alu instid0(VALU_DEP_2) | instskip(NEXT) | instid1(VALU_DEP_2)
	v_xor_b32_e32 v7, v7, v13
	v_xor_b32_e32 v6, v6, v13
	s_delay_alu instid0(VALU_DEP_1) | instskip(NEXT) | instid1(VALU_DEP_3)
	v_sub_co_u32 v6, vcc_lo, v6, v13
	v_sub_co_ci_u32_e32 v7, vcc_lo, v7, v13, vcc_lo
.LBB38_1426:
	s_mov_b32 s0, 0
.LBB38_1427:
	s_delay_alu instid0(SALU_CYCLE_1)
	s_and_not1_b32 vcc_lo, exec_lo, s0
	s_cbranch_vccnz .LBB38_1429
; %bb.1428:
	global_load_u8 v6, v[0:1], off
	s_waitcnt vmcnt(0)
	v_lshlrev_b32_e32 v7, 25, v6
	v_lshlrev_b16 v6, 8, v6
	s_delay_alu instid0(VALU_DEP_2) | instskip(NEXT) | instid1(VALU_DEP_2)
	v_lshrrev_b32_e32 v9, 4, v7
	v_and_or_b32 v13, 0x7f00, v6, 0.5
	v_cmp_gt_u32_e32 vcc_lo, 0x8000000, v7
	v_bfe_i32 v6, v6, 0, 16
	s_delay_alu instid0(VALU_DEP_4) | instskip(NEXT) | instid1(VALU_DEP_4)
	v_or_b32_e32 v9, 0x70000000, v9
	v_add_f32_e32 v13, -0.5, v13
	s_delay_alu instid0(VALU_DEP_2) | instskip(NEXT) | instid1(VALU_DEP_1)
	v_mul_f32_e32 v9, 0x7800000, v9
	v_cndmask_b32_e32 v7, v9, v13, vcc_lo
	s_delay_alu instid0(VALU_DEP_1) | instskip(NEXT) | instid1(VALU_DEP_1)
	v_and_or_b32 v6, 0x80000000, v6, v7
	v_trunc_f32_e32 v6, v6
	s_delay_alu instid0(VALU_DEP_1) | instskip(SKIP_1) | instid1(VALU_DEP_2)
	v_mul_f32_e64 v7, 0x2f800000, |v6|
	v_ashrrev_i32_e32 v13, 31, v6
	v_floor_f32_e32 v7, v7
	s_delay_alu instid0(VALU_DEP_1) | instskip(SKIP_1) | instid1(VALU_DEP_2)
	v_fma_f32 v9, 0xcf800000, v7, |v6|
	v_cvt_u32_f32_e32 v7, v7
	v_cvt_u32_f32_e32 v6, v9
	s_delay_alu instid0(VALU_DEP_2) | instskip(NEXT) | instid1(VALU_DEP_2)
	v_xor_b32_e32 v7, v7, v13
	v_xor_b32_e32 v6, v6, v13
	s_delay_alu instid0(VALU_DEP_1) | instskip(NEXT) | instid1(VALU_DEP_3)
	v_sub_co_u32 v6, vcc_lo, v6, v13
	v_sub_co_ci_u32_e32 v7, vcc_lo, v7, v13, vcc_lo
.LBB38_1429:
	s_mov_b32 s1, 0
	s_mov_b32 s0, -1
.LBB38_1430:
	s_and_not1_b32 vcc_lo, exec_lo, s1
	s_mov_b32 s12, 0
	s_cbranch_vccnz .LBB38_1439
; %bb.1431:
	v_cmp_lt_i16_e32 vcc_lo, 14, v12
	s_cbranch_vccz .LBB38_1434
; %bb.1432:
	v_cmp_eq_u16_e32 vcc_lo, 15, v12
	s_cbranch_vccz .LBB38_1435
; %bb.1433:
	global_load_u16 v6, v[0:1], off
	s_mov_b32 s11, 0
	s_mov_b32 s0, -1
	s_waitcnt vmcnt(0)
	v_lshlrev_b32_e32 v6, 16, v6
	s_delay_alu instid0(VALU_DEP_1) | instskip(NEXT) | instid1(VALU_DEP_1)
	v_trunc_f32_e32 v6, v6
	v_mul_f32_e64 v7, 0x2f800000, |v6|
	v_ashrrev_i32_e32 v13, 31, v6
	s_delay_alu instid0(VALU_DEP_2) | instskip(NEXT) | instid1(VALU_DEP_1)
	v_floor_f32_e32 v7, v7
	v_fma_f32 v9, 0xcf800000, v7, |v6|
	v_cvt_u32_f32_e32 v7, v7
	s_delay_alu instid0(VALU_DEP_2) | instskip(NEXT) | instid1(VALU_DEP_2)
	v_cvt_u32_f32_e32 v6, v9
	v_xor_b32_e32 v7, v7, v13
	s_delay_alu instid0(VALU_DEP_2) | instskip(NEXT) | instid1(VALU_DEP_1)
	v_xor_b32_e32 v6, v6, v13
	v_sub_co_u32 v6, vcc_lo, v6, v13
	s_delay_alu instid0(VALU_DEP_3)
	v_sub_co_ci_u32_e32 v7, vcc_lo, v7, v13, vcc_lo
	s_branch .LBB38_1436
.LBB38_1434:
	s_mov_b32 s1, -1
                                        ; implicit-def: $vgpr6_vgpr7
	s_branch .LBB38_1437
.LBB38_1435:
	s_mov_b32 s11, -1
                                        ; implicit-def: $vgpr6_vgpr7
.LBB38_1436:
	s_mov_b32 s1, 0
.LBB38_1437:
	s_delay_alu instid0(SALU_CYCLE_1)
	s_and_b32 vcc_lo, exec_lo, s1
	s_cbranch_vccz .LBB38_1439
; %bb.1438:
	v_cmp_ne_u16_e64 s11, 11, v12
	s_mov_b32 s12, -1
                                        ; implicit-def: $vgpr6_vgpr7
.LBB38_1439:
	s_delay_alu instid0(VALU_DEP_1)
	s_and_b32 vcc_lo, exec_lo, s11
	s_cbranch_vccnz .LBB38_1455
; %bb.1440:
	s_and_not1_b32 vcc_lo, exec_lo, s12
	s_cbranch_vccnz .LBB38_1442
.LBB38_1441:
	global_load_u8 v6, v[0:1], off
	s_mov_b32 s0, 0
	s_waitcnt vmcnt(1)
	v_mov_b32_e32 v7, s0
	s_mov_b32 s0, -1
	s_waitcnt vmcnt(0)
	v_cmp_ne_u16_e32 vcc_lo, 0, v6
	v_cndmask_b32_e64 v6, 0, 1, vcc_lo
.LBB38_1442:
.LBB38_1443:
	s_and_not1_b32 vcc_lo, exec_lo, s0
	s_cbranch_vccnz .LBB38_1332
.LBB38_1444:
	v_add_nc_u32_e32 v0, s3, v8
	v_cmp_gt_i16_e32 vcc_lo, 11, v12
	s_delay_alu instid0(VALU_DEP_2) | instskip(SKIP_1) | instid1(VALU_DEP_1)
	v_ashrrev_i32_e32 v1, 31, v0
	v_add_co_u32 v8, s0, s6, v0
	v_add_co_ci_u32_e64 v9, s0, s7, v1, s0
	s_cbranch_vccnz .LBB38_1451
; %bb.1445:
	v_cmp_lt_i16_e32 vcc_lo, 25, v12
	s_mov_b32 s6, 0
	s_cbranch_vccz .LBB38_1452
; %bb.1446:
	v_cmp_lt_i16_e32 vcc_lo, 28, v12
	s_cbranch_vccz .LBB38_1453
; %bb.1447:
	v_cmp_lt_i16_e32 vcc_lo, 43, v12
	;; [unrolled: 3-line block ×3, first 2 shown]
	s_cbranch_vccz .LBB38_1457
; %bb.1449:
	v_cmp_eq_u16_e32 vcc_lo, 46, v12
	s_mov_b32 s1, 0
	s_cbranch_vccz .LBB38_1460
; %bb.1450:
	global_load_b32 v0, v[8:9], off
	s_mov_b32 s3, 0
	s_mov_b32 s0, -1
	s_waitcnt vmcnt(0)
	v_lshlrev_b32_e32 v0, 16, v0
	s_delay_alu instid0(VALU_DEP_1) | instskip(NEXT) | instid1(VALU_DEP_1)
	v_trunc_f32_e32 v0, v0
	v_mul_f32_e64 v1, 0x2f800000, |v0|
	v_ashrrev_i32_e32 v14, 31, v0
	s_delay_alu instid0(VALU_DEP_2) | instskip(NEXT) | instid1(VALU_DEP_1)
	v_floor_f32_e32 v1, v1
	v_fma_f32 v13, 0xcf800000, v1, |v0|
	v_cvt_u32_f32_e32 v1, v1
	s_delay_alu instid0(VALU_DEP_2) | instskip(NEXT) | instid1(VALU_DEP_2)
	v_cvt_u32_f32_e32 v0, v13
	v_xor_b32_e32 v1, v1, v14
	s_delay_alu instid0(VALU_DEP_2) | instskip(NEXT) | instid1(VALU_DEP_1)
	v_xor_b32_e32 v0, v0, v14
	v_sub_co_u32 v0, vcc_lo, v0, v14
	s_delay_alu instid0(VALU_DEP_3)
	v_sub_co_ci_u32_e32 v1, vcc_lo, v1, v14, vcc_lo
	s_branch .LBB38_1462
.LBB38_1451:
	s_mov_b32 s1, -1
	s_mov_b32 s0, 0
                                        ; implicit-def: $vgpr0_vgpr1
	s_branch .LBB38_1524
.LBB38_1452:
	s_mov_b32 s1, -1
	s_mov_b32 s0, 0
	s_mov_b32 s3, 0
                                        ; implicit-def: $vgpr0_vgpr1
	s_branch .LBB38_1491
.LBB38_1453:
	s_mov_b32 s1, -1
	s_mov_b32 s0, 0
	s_mov_b32 s3, 0
                                        ; implicit-def: $vgpr0_vgpr1
	s_branch .LBB38_1472
.LBB38_1454:
	s_mov_b32 s1, -1
	s_mov_b32 s0, 0
	s_mov_b32 s3, 0
                                        ; implicit-def: $vgpr0_vgpr1
	s_branch .LBB38_1467
.LBB38_1455:
	s_cbranch_execnz .LBB38_1458
; %bb.1456:
	s_or_b32 s8, s8, exec_lo
                                        ; implicit-def: $vgpr6_vgpr7
	s_cbranch_execz .LBB38_1441
	s_branch .LBB38_1442
.LBB38_1457:
	s_mov_b32 s1, -1
	s_mov_b32 s0, 0
	s_mov_b32 s3, 0
	s_branch .LBB38_1461
.LBB38_1458:
	s_trap 2
	s_sendmsg_rtn_b32 s0, sendmsg(MSG_RTN_GET_DOORBELL)
	s_mov_b32 ttmp2, m0
	s_waitcnt lgkmcnt(0)
	s_and_b32 s0, s0, 0x3ff
	s_delay_alu instid0(SALU_CYCLE_1) | instskip(NEXT) | instid1(SALU_CYCLE_1)
	s_bitset1_b32 s0, 10
	s_mov_b32 m0, s0
	s_sendmsg sendmsg(MSG_INTERRUPT)
	s_mov_b32 m0, ttmp2
.LBB38_1459:                            ; =>This Inner Loop Header: Depth=1
	s_sethalt 5
	s_branch .LBB38_1459
.LBB38_1460:
	s_mov_b32 s3, -1
	s_mov_b32 s0, 0
.LBB38_1461:
                                        ; implicit-def: $vgpr0_vgpr1
.LBB38_1462:
	s_and_b32 vcc_lo, exec_lo, s1
	s_cbranch_vccz .LBB38_1466
; %bb.1463:
	v_cmp_eq_u16_e32 vcc_lo, 44, v12
	s_cbranch_vccz .LBB38_1465
; %bb.1464:
	global_load_u8 v0, v[8:9], off
	s_mov_b32 s3, 0
	s_mov_b32 s0, -1
	s_waitcnt vmcnt(0)
	v_lshlrev_b32_e32 v1, 23, v0
	s_delay_alu instid0(VALU_DEP_1) | instskip(NEXT) | instid1(VALU_DEP_1)
	v_trunc_f32_e32 v1, v1
	v_mul_f32_e64 v13, 0x2f800000, |v1|
	s_delay_alu instid0(VALU_DEP_1) | instskip(NEXT) | instid1(VALU_DEP_1)
	v_floor_f32_e32 v13, v13
	v_fma_f32 v14, 0xcf800000, v13, |v1|
	v_ashrrev_i32_e32 v1, 31, v1
	v_cvt_u32_f32_e32 v13, v13
	s_delay_alu instid0(VALU_DEP_3) | instskip(NEXT) | instid1(VALU_DEP_2)
	v_cvt_u32_f32_e32 v14, v14
	v_xor_b32_e32 v13, v13, v1
	s_delay_alu instid0(VALU_DEP_2) | instskip(NEXT) | instid1(VALU_DEP_1)
	v_xor_b32_e32 v14, v14, v1
	v_sub_co_u32 v14, vcc_lo, v14, v1
	s_delay_alu instid0(VALU_DEP_3) | instskip(SKIP_1) | instid1(VALU_DEP_2)
	v_sub_co_ci_u32_e32 v1, vcc_lo, v13, v1, vcc_lo
	v_cmp_ne_u32_e32 vcc_lo, 0, v0
	v_dual_cndmask_b32 v0, 0, v14 :: v_dual_cndmask_b32 v1, 0, v1
	s_branch .LBB38_1466
.LBB38_1465:
	s_mov_b32 s3, -1
                                        ; implicit-def: $vgpr0_vgpr1
.LBB38_1466:
	s_mov_b32 s1, 0
.LBB38_1467:
	s_delay_alu instid0(SALU_CYCLE_1)
	s_and_b32 vcc_lo, exec_lo, s1
	s_cbranch_vccz .LBB38_1471
; %bb.1468:
	v_cmp_eq_u16_e32 vcc_lo, 29, v12
	s_cbranch_vccz .LBB38_1470
; %bb.1469:
	global_load_b64 v[0:1], v[8:9], off
	s_mov_b32 s3, 0
	s_mov_b32 s0, -1
	s_branch .LBB38_1471
.LBB38_1470:
	s_mov_b32 s3, -1
                                        ; implicit-def: $vgpr0_vgpr1
.LBB38_1471:
	s_mov_b32 s1, 0
.LBB38_1472:
	s_delay_alu instid0(SALU_CYCLE_1)
	s_and_b32 vcc_lo, exec_lo, s1
	s_cbranch_vccz .LBB38_1490
; %bb.1473:
	v_cmp_gt_i16_e32 vcc_lo, 27, v12
	s_cbranch_vccnz .LBB38_1476
; %bb.1474:
	v_cmp_lt_i16_e32 vcc_lo, 27, v12
	s_cbranch_vccz .LBB38_1477
; %bb.1475:
	global_load_b32 v0, v[8:9], off
	s_waitcnt vmcnt(1)
	v_mov_b32_e32 v1, 0
	s_mov_b32 s0, 0
	s_branch .LBB38_1478
.LBB38_1476:
	s_mov_b32 s0, -1
                                        ; implicit-def: $vgpr0_vgpr1
	s_branch .LBB38_1481
.LBB38_1477:
	s_mov_b32 s0, -1
                                        ; implicit-def: $vgpr0_vgpr1
.LBB38_1478:
	s_delay_alu instid0(SALU_CYCLE_1)
	s_and_not1_b32 vcc_lo, exec_lo, s0
	s_cbranch_vccnz .LBB38_1480
; %bb.1479:
	global_load_u16 v0, v[8:9], off
	s_mov_b32 s0, 0
	s_waitcnt vmcnt(0)
	v_dual_mov_b32 v1, s0 :: v_dual_and_b32 v0, 0xffff, v0
.LBB38_1480:
	s_mov_b32 s0, 0
.LBB38_1481:
	s_delay_alu instid0(SALU_CYCLE_1)
	s_and_not1_b32 vcc_lo, exec_lo, s0
	s_cbranch_vccnz .LBB38_1489
; %bb.1482:
	global_load_u8 v13, v[8:9], off
	s_mov_b32 s7, 0
	s_mov_b32 s11, exec_lo
                                        ; implicit-def: $sgpr0_sgpr1
	s_waitcnt vmcnt(0)
	v_cmpx_lt_i16_e32 0x7f, v13
	s_xor_b32 s11, exec_lo, s11
; %bb.1483:
	v_cmp_ne_u16_e32 vcc_lo, 0x80, v13
	s_mov_b64 s[0:1], 0
	s_and_b32 s7, vcc_lo, exec_lo
; %bb.1484:
	s_or_saveexec_b32 s11, s11
	v_dual_mov_b32 v0, s0 :: v_dual_mov_b32 v1, s1
	s_xor_b32 exec_lo, exec_lo, s11
; %bb.1485:
	v_cmp_ne_u16_e32 vcc_lo, 0, v13
	v_mov_b32_e32 v0, 0
	v_mov_b32_e32 v1, 0
	s_and_not1_b32 s0, s7, exec_lo
	s_and_b32 s1, vcc_lo, exec_lo
	s_delay_alu instid0(SALU_CYCLE_1)
	s_or_b32 s7, s0, s1
; %bb.1486:
	s_or_b32 exec_lo, exec_lo, s11
	s_and_saveexec_b32 s0, s7
	s_cbranch_execz .LBB38_1488
; %bb.1487:
	v_and_b32_e32 v0, 0xffff, v13
	v_lshlrev_b32_e32 v13, 24, v13
	s_delay_alu instid0(VALU_DEP_2) | instskip(NEXT) | instid1(VALU_DEP_2)
	v_and_b32_e32 v1, 7, v0
	v_and_b32_e32 v13, 0x80000000, v13
	s_delay_alu instid0(VALU_DEP_2) | instskip(NEXT) | instid1(VALU_DEP_1)
	v_clz_i32_u32_e32 v14, v1
	v_min_u32_e32 v14, 32, v14
	s_delay_alu instid0(VALU_DEP_1) | instskip(SKIP_1) | instid1(VALU_DEP_2)
	v_subrev_nc_u32_e32 v15, 28, v14
	v_sub_nc_u32_e32 v14, 29, v14
	v_lshlrev_b32_e32 v15, v15, v0
	v_bfe_u32 v0, v0, 3, 4
	s_delay_alu instid0(VALU_DEP_2) | instskip(NEXT) | instid1(VALU_DEP_2)
	v_and_b32_e32 v15, 7, v15
	v_cmp_eq_u32_e32 vcc_lo, 0, v0
	s_delay_alu instid0(VALU_DEP_2) | instskip(NEXT) | instid1(VALU_DEP_1)
	v_dual_cndmask_b32 v0, v0, v14 :: v_dual_cndmask_b32 v1, v1, v15
	v_lshl_add_u32 v0, v0, 23, 0x3b800000
	s_delay_alu instid0(VALU_DEP_2) | instskip(NEXT) | instid1(VALU_DEP_1)
	v_lshlrev_b32_e32 v1, 20, v1
	v_or3_b32 v0, v13, v0, v1
	s_delay_alu instid0(VALU_DEP_1) | instskip(NEXT) | instid1(VALU_DEP_1)
	v_trunc_f32_e32 v0, v0
	v_mul_f32_e64 v1, 0x2f800000, |v0|
	v_ashrrev_i32_e32 v14, 31, v0
	s_delay_alu instid0(VALU_DEP_2) | instskip(NEXT) | instid1(VALU_DEP_1)
	v_floor_f32_e32 v1, v1
	v_fma_f32 v13, 0xcf800000, v1, |v0|
	v_cvt_u32_f32_e32 v1, v1
	s_delay_alu instid0(VALU_DEP_2) | instskip(NEXT) | instid1(VALU_DEP_2)
	v_cvt_u32_f32_e32 v0, v13
	v_xor_b32_e32 v1, v1, v14
	s_delay_alu instid0(VALU_DEP_2) | instskip(NEXT) | instid1(VALU_DEP_1)
	v_xor_b32_e32 v0, v0, v14
	v_sub_co_u32 v0, vcc_lo, v0, v14
	s_delay_alu instid0(VALU_DEP_3)
	v_sub_co_ci_u32_e32 v1, vcc_lo, v1, v14, vcc_lo
.LBB38_1488:
	s_or_b32 exec_lo, exec_lo, s0
.LBB38_1489:
	s_mov_b32 s0, -1
.LBB38_1490:
	s_mov_b32 s1, 0
.LBB38_1491:
	s_delay_alu instid0(SALU_CYCLE_1)
	s_and_b32 vcc_lo, exec_lo, s1
	s_cbranch_vccz .LBB38_1520
; %bb.1492:
	v_cmp_lt_i16_e32 vcc_lo, 22, v12
	s_cbranch_vccz .LBB38_1502
; %bb.1493:
	v_cmp_gt_i16_e32 vcc_lo, 24, v12
	s_cbranch_vccnz .LBB38_1503
; %bb.1494:
	v_cmp_lt_i16_e32 vcc_lo, 24, v12
	s_cbranch_vccz .LBB38_1504
; %bb.1495:
	global_load_u8 v13, v[8:9], off
	s_mov_b32 s7, exec_lo
                                        ; implicit-def: $sgpr0_sgpr1
	s_waitcnt vmcnt(0)
	v_cmpx_lt_i16_e32 0x7f, v13
	s_xor_b32 s7, exec_lo, s7
; %bb.1496:
	v_cmp_ne_u16_e32 vcc_lo, 0x80, v13
	s_mov_b64 s[0:1], 0
	s_and_b32 s6, vcc_lo, exec_lo
; %bb.1497:
	s_or_saveexec_b32 s7, s7
	v_dual_mov_b32 v0, s0 :: v_dual_mov_b32 v1, s1
	s_xor_b32 exec_lo, exec_lo, s7
; %bb.1498:
	v_cmp_ne_u16_e32 vcc_lo, 0, v13
	v_mov_b32_e32 v0, 0
	v_mov_b32_e32 v1, 0
	s_and_not1_b32 s0, s6, exec_lo
	s_and_b32 s1, vcc_lo, exec_lo
	s_delay_alu instid0(SALU_CYCLE_1)
	s_or_b32 s6, s0, s1
; %bb.1499:
	s_or_b32 exec_lo, exec_lo, s7
	s_and_saveexec_b32 s0, s6
	s_cbranch_execz .LBB38_1501
; %bb.1500:
	v_and_b32_e32 v0, 0xffff, v13
	v_lshlrev_b32_e32 v13, 24, v13
	s_delay_alu instid0(VALU_DEP_2) | instskip(NEXT) | instid1(VALU_DEP_2)
	v_and_b32_e32 v1, 3, v0
	v_and_b32_e32 v13, 0x80000000, v13
	s_delay_alu instid0(VALU_DEP_2) | instskip(NEXT) | instid1(VALU_DEP_1)
	v_clz_i32_u32_e32 v14, v1
	v_min_u32_e32 v14, 32, v14
	s_delay_alu instid0(VALU_DEP_1) | instskip(SKIP_1) | instid1(VALU_DEP_2)
	v_subrev_nc_u32_e32 v15, 29, v14
	v_sub_nc_u32_e32 v14, 30, v14
	v_lshlrev_b32_e32 v15, v15, v0
	v_bfe_u32 v0, v0, 2, 5
	s_delay_alu instid0(VALU_DEP_2) | instskip(NEXT) | instid1(VALU_DEP_2)
	v_and_b32_e32 v15, 3, v15
	v_cmp_eq_u32_e32 vcc_lo, 0, v0
	s_delay_alu instid0(VALU_DEP_2) | instskip(NEXT) | instid1(VALU_DEP_1)
	v_dual_cndmask_b32 v0, v0, v14 :: v_dual_cndmask_b32 v1, v1, v15
	v_lshl_add_u32 v0, v0, 23, 0x37800000
	s_delay_alu instid0(VALU_DEP_2) | instskip(NEXT) | instid1(VALU_DEP_1)
	v_lshlrev_b32_e32 v1, 21, v1
	v_or3_b32 v0, v13, v0, v1
	s_delay_alu instid0(VALU_DEP_1) | instskip(NEXT) | instid1(VALU_DEP_1)
	v_trunc_f32_e32 v0, v0
	v_mul_f32_e64 v1, 0x2f800000, |v0|
	v_ashrrev_i32_e32 v14, 31, v0
	s_delay_alu instid0(VALU_DEP_2) | instskip(NEXT) | instid1(VALU_DEP_1)
	v_floor_f32_e32 v1, v1
	v_fma_f32 v13, 0xcf800000, v1, |v0|
	v_cvt_u32_f32_e32 v1, v1
	s_delay_alu instid0(VALU_DEP_2) | instskip(NEXT) | instid1(VALU_DEP_2)
	v_cvt_u32_f32_e32 v0, v13
	v_xor_b32_e32 v1, v1, v14
	s_delay_alu instid0(VALU_DEP_2) | instskip(NEXT) | instid1(VALU_DEP_1)
	v_xor_b32_e32 v0, v0, v14
	v_sub_co_u32 v0, vcc_lo, v0, v14
	s_delay_alu instid0(VALU_DEP_3)
	v_sub_co_ci_u32_e32 v1, vcc_lo, v1, v14, vcc_lo
.LBB38_1501:
	s_or_b32 exec_lo, exec_lo, s0
	s_mov_b32 s0, 0
	s_branch .LBB38_1505
.LBB38_1502:
	s_mov_b32 s1, -1
                                        ; implicit-def: $vgpr0_vgpr1
	s_branch .LBB38_1511
.LBB38_1503:
	s_mov_b32 s0, -1
                                        ; implicit-def: $vgpr0_vgpr1
	s_branch .LBB38_1508
.LBB38_1504:
	s_mov_b32 s0, -1
                                        ; implicit-def: $vgpr0_vgpr1
.LBB38_1505:
	s_delay_alu instid0(SALU_CYCLE_1)
	s_and_b32 vcc_lo, exec_lo, s0
	s_cbranch_vccz .LBB38_1507
; %bb.1506:
	global_load_u8 v0, v[8:9], off
	s_waitcnt vmcnt(0)
	v_lshlrev_b32_e32 v0, 24, v0
	s_delay_alu instid0(VALU_DEP_1) | instskip(NEXT) | instid1(VALU_DEP_1)
	v_and_b32_e32 v1, 0x7f000000, v0
	v_clz_i32_u32_e32 v13, v1
	v_add_nc_u32_e32 v15, 0x1000000, v1
	v_cmp_ne_u32_e32 vcc_lo, 0, v1
	s_delay_alu instid0(VALU_DEP_3) | instskip(NEXT) | instid1(VALU_DEP_1)
	v_min_u32_e32 v13, 32, v13
	v_sub_nc_u32_e64 v13, v13, 4 clamp
	s_delay_alu instid0(VALU_DEP_1) | instskip(SKIP_1) | instid1(VALU_DEP_2)
	v_lshlrev_b32_e32 v14, v13, v1
	v_lshlrev_b32_e32 v13, 23, v13
	v_lshrrev_b32_e32 v14, 4, v14
	s_delay_alu instid0(VALU_DEP_1) | instskip(SKIP_1) | instid1(VALU_DEP_2)
	v_sub_nc_u32_e32 v13, v14, v13
	v_ashrrev_i32_e32 v14, 8, v15
	v_add_nc_u32_e32 v13, 0x3c000000, v13
	s_delay_alu instid0(VALU_DEP_1) | instskip(NEXT) | instid1(VALU_DEP_1)
	v_and_or_b32 v13, 0x7f800000, v14, v13
	v_cndmask_b32_e32 v1, 0, v13, vcc_lo
	s_delay_alu instid0(VALU_DEP_1) | instskip(NEXT) | instid1(VALU_DEP_1)
	v_and_or_b32 v0, 0x80000000, v0, v1
	v_trunc_f32_e32 v0, v0
	s_delay_alu instid0(VALU_DEP_1) | instskip(SKIP_1) | instid1(VALU_DEP_2)
	v_mul_f32_e64 v1, 0x2f800000, |v0|
	v_ashrrev_i32_e32 v14, 31, v0
	v_floor_f32_e32 v1, v1
	s_delay_alu instid0(VALU_DEP_1) | instskip(SKIP_1) | instid1(VALU_DEP_2)
	v_fma_f32 v13, 0xcf800000, v1, |v0|
	v_cvt_u32_f32_e32 v1, v1
	v_cvt_u32_f32_e32 v0, v13
	s_delay_alu instid0(VALU_DEP_2) | instskip(NEXT) | instid1(VALU_DEP_2)
	v_xor_b32_e32 v1, v1, v14
	v_xor_b32_e32 v0, v0, v14
	s_delay_alu instid0(VALU_DEP_1) | instskip(NEXT) | instid1(VALU_DEP_3)
	v_sub_co_u32 v0, vcc_lo, v0, v14
	v_sub_co_ci_u32_e32 v1, vcc_lo, v1, v14, vcc_lo
.LBB38_1507:
	s_mov_b32 s0, 0
.LBB38_1508:
	s_delay_alu instid0(SALU_CYCLE_1)
	s_and_not1_b32 vcc_lo, exec_lo, s0
	s_cbranch_vccnz .LBB38_1510
; %bb.1509:
	global_load_u8 v0, v[8:9], off
	s_waitcnt vmcnt(0)
	v_lshlrev_b32_e32 v1, 25, v0
	v_lshlrev_b16 v0, 8, v0
	s_delay_alu instid0(VALU_DEP_1) | instskip(SKIP_1) | instid1(VALU_DEP_2)
	v_and_or_b32 v14, 0x7f00, v0, 0.5
	v_bfe_i32 v0, v0, 0, 16
	v_add_f32_e32 v14, -0.5, v14
	v_lshrrev_b32_e32 v13, 4, v1
	v_cmp_gt_u32_e32 vcc_lo, 0x8000000, v1
	s_delay_alu instid0(VALU_DEP_2) | instskip(NEXT) | instid1(VALU_DEP_1)
	v_or_b32_e32 v13, 0x70000000, v13
	v_mul_f32_e32 v13, 0x7800000, v13
	s_delay_alu instid0(VALU_DEP_1) | instskip(NEXT) | instid1(VALU_DEP_1)
	v_cndmask_b32_e32 v1, v13, v14, vcc_lo
	v_and_or_b32 v0, 0x80000000, v0, v1
	s_delay_alu instid0(VALU_DEP_1) | instskip(NEXT) | instid1(VALU_DEP_1)
	v_trunc_f32_e32 v0, v0
	v_mul_f32_e64 v1, 0x2f800000, |v0|
	v_ashrrev_i32_e32 v14, 31, v0
	s_delay_alu instid0(VALU_DEP_2) | instskip(NEXT) | instid1(VALU_DEP_1)
	v_floor_f32_e32 v1, v1
	v_fma_f32 v13, 0xcf800000, v1, |v0|
	v_cvt_u32_f32_e32 v1, v1
	s_delay_alu instid0(VALU_DEP_2) | instskip(NEXT) | instid1(VALU_DEP_2)
	v_cvt_u32_f32_e32 v0, v13
	v_xor_b32_e32 v1, v1, v14
	s_delay_alu instid0(VALU_DEP_2) | instskip(NEXT) | instid1(VALU_DEP_1)
	v_xor_b32_e32 v0, v0, v14
	v_sub_co_u32 v0, vcc_lo, v0, v14
	s_delay_alu instid0(VALU_DEP_3)
	v_sub_co_ci_u32_e32 v1, vcc_lo, v1, v14, vcc_lo
.LBB38_1510:
	s_mov_b32 s1, 0
	s_mov_b32 s0, -1
.LBB38_1511:
	s_and_not1_b32 vcc_lo, exec_lo, s1
	s_mov_b32 s6, 0
	s_cbranch_vccnz .LBB38_1520
; %bb.1512:
	v_cmp_lt_i16_e32 vcc_lo, 14, v12
	s_cbranch_vccz .LBB38_1515
; %bb.1513:
	v_cmp_eq_u16_e32 vcc_lo, 15, v12
	s_cbranch_vccz .LBB38_1516
; %bb.1514:
	global_load_u16 v0, v[8:9], off
	s_mov_b32 s3, 0
	s_mov_b32 s0, -1
	s_waitcnt vmcnt(0)
	v_lshlrev_b32_e32 v0, 16, v0
	s_delay_alu instid0(VALU_DEP_1) | instskip(NEXT) | instid1(VALU_DEP_1)
	v_trunc_f32_e32 v0, v0
	v_mul_f32_e64 v1, 0x2f800000, |v0|
	v_ashrrev_i32_e32 v14, 31, v0
	s_delay_alu instid0(VALU_DEP_2) | instskip(NEXT) | instid1(VALU_DEP_1)
	v_floor_f32_e32 v1, v1
	v_fma_f32 v13, 0xcf800000, v1, |v0|
	v_cvt_u32_f32_e32 v1, v1
	s_delay_alu instid0(VALU_DEP_2) | instskip(NEXT) | instid1(VALU_DEP_2)
	v_cvt_u32_f32_e32 v0, v13
	v_xor_b32_e32 v1, v1, v14
	s_delay_alu instid0(VALU_DEP_2) | instskip(NEXT) | instid1(VALU_DEP_1)
	v_xor_b32_e32 v0, v0, v14
	v_sub_co_u32 v0, vcc_lo, v0, v14
	s_delay_alu instid0(VALU_DEP_3)
	v_sub_co_ci_u32_e32 v1, vcc_lo, v1, v14, vcc_lo
	s_branch .LBB38_1517
.LBB38_1515:
	s_mov_b32 s1, -1
                                        ; implicit-def: $vgpr0_vgpr1
	s_branch .LBB38_1518
.LBB38_1516:
	s_mov_b32 s3, -1
                                        ; implicit-def: $vgpr0_vgpr1
.LBB38_1517:
	s_mov_b32 s1, 0
.LBB38_1518:
	s_delay_alu instid0(SALU_CYCLE_1)
	s_and_b32 vcc_lo, exec_lo, s1
	s_cbranch_vccz .LBB38_1520
; %bb.1519:
	v_cmp_ne_u16_e64 s3, 11, v12
	s_mov_b32 s6, -1
                                        ; implicit-def: $vgpr0_vgpr1
.LBB38_1520:
	s_delay_alu instid0(VALU_DEP_1)
	s_and_b32 vcc_lo, exec_lo, s3
	s_cbranch_vccnz .LBB38_2009
; %bb.1521:
	s_and_not1_b32 vcc_lo, exec_lo, s6
	s_cbranch_vccnz .LBB38_1523
.LBB38_1522:
	global_load_u8 v0, v[8:9], off
	s_mov_b32 s0, 0
	s_waitcnt vmcnt(1)
	v_mov_b32_e32 v1, s0
	s_mov_b32 s0, -1
	s_waitcnt vmcnt(0)
	v_cmp_ne_u16_e32 vcc_lo, 0, v0
	v_cndmask_b32_e64 v0, 0, 1, vcc_lo
.LBB38_1523:
	s_mov_b32 s1, 0
.LBB38_1524:
	s_delay_alu instid0(SALU_CYCLE_1)
	s_and_b32 vcc_lo, exec_lo, s1
	s_cbranch_vccz .LBB38_1573
; %bb.1525:
	v_cmp_gt_i16_e32 vcc_lo, 5, v12
	s_cbranch_vccnz .LBB38_1530
; %bb.1526:
	v_cmp_gt_i16_e32 vcc_lo, 8, v12
	s_cbranch_vccnz .LBB38_1531
	;; [unrolled: 3-line block ×3, first 2 shown]
; %bb.1528:
	v_cmp_lt_i16_e32 vcc_lo, 9, v12
	s_cbranch_vccz .LBB38_1533
; %bb.1529:
	global_load_b64 v[0:1], v[8:9], off
	s_mov_b32 s0, 0
	s_waitcnt vmcnt(0)
	v_trunc_f64_e32 v[0:1], v[0:1]
	s_delay_alu instid0(VALU_DEP_1) | instskip(NEXT) | instid1(VALU_DEP_1)
	v_ldexp_f64 v[13:14], v[0:1], 0xffffffe0
	v_floor_f64_e32 v[13:14], v[13:14]
	s_delay_alu instid0(VALU_DEP_1) | instskip(SKIP_1) | instid1(VALU_DEP_2)
	v_fma_f64 v[15:16], 0xc1f00000, v[13:14], v[0:1]
	v_cvt_i32_f64_e32 v1, v[13:14]
	v_cvt_u32_f64_e32 v0, v[15:16]
	s_branch .LBB38_1534
.LBB38_1530:
	s_mov_b32 s0, -1
                                        ; implicit-def: $vgpr0_vgpr1
	s_branch .LBB38_1552
.LBB38_1531:
	s_mov_b32 s0, -1
                                        ; implicit-def: $vgpr0_vgpr1
	s_branch .LBB38_1540
.LBB38_1532:
	s_mov_b32 s0, -1
                                        ; implicit-def: $vgpr0_vgpr1
	s_branch .LBB38_1537
.LBB38_1533:
	s_mov_b32 s0, -1
                                        ; implicit-def: $vgpr0_vgpr1
.LBB38_1534:
	s_delay_alu instid0(SALU_CYCLE_1)
	s_and_not1_b32 vcc_lo, exec_lo, s0
	s_cbranch_vccnz .LBB38_1536
; %bb.1535:
	global_load_b32 v0, v[8:9], off
	s_waitcnt vmcnt(0)
	v_trunc_f32_e32 v0, v0
	s_delay_alu instid0(VALU_DEP_1) | instskip(SKIP_1) | instid1(VALU_DEP_2)
	v_mul_f32_e64 v1, 0x2f800000, |v0|
	v_ashrrev_i32_e32 v14, 31, v0
	v_floor_f32_e32 v1, v1
	s_delay_alu instid0(VALU_DEP_1) | instskip(SKIP_1) | instid1(VALU_DEP_2)
	v_fma_f32 v13, 0xcf800000, v1, |v0|
	v_cvt_u32_f32_e32 v1, v1
	v_cvt_u32_f32_e32 v0, v13
	s_delay_alu instid0(VALU_DEP_2) | instskip(NEXT) | instid1(VALU_DEP_2)
	v_xor_b32_e32 v1, v1, v14
	v_xor_b32_e32 v0, v0, v14
	s_delay_alu instid0(VALU_DEP_1) | instskip(NEXT) | instid1(VALU_DEP_3)
	v_sub_co_u32 v0, vcc_lo, v0, v14
	v_sub_co_ci_u32_e32 v1, vcc_lo, v1, v14, vcc_lo
.LBB38_1536:
	s_mov_b32 s0, 0
.LBB38_1537:
	s_delay_alu instid0(SALU_CYCLE_1)
	s_and_not1_b32 vcc_lo, exec_lo, s0
	s_cbranch_vccnz .LBB38_1539
; %bb.1538:
	global_load_b32 v0, v[8:9], off
	s_waitcnt vmcnt(0)
	v_cvt_f32_f16_e32 v0, v0
	s_delay_alu instid0(VALU_DEP_1) | instskip(NEXT) | instid1(VALU_DEP_1)
	v_cvt_i32_f32_e32 v0, v0
	v_ashrrev_i32_e32 v1, 31, v0
.LBB38_1539:
	s_mov_b32 s0, 0
.LBB38_1540:
	s_delay_alu instid0(SALU_CYCLE_1)
	s_and_not1_b32 vcc_lo, exec_lo, s0
	s_cbranch_vccnz .LBB38_1551
; %bb.1541:
	v_cmp_gt_i16_e32 vcc_lo, 6, v12
	s_cbranch_vccnz .LBB38_1544
; %bb.1542:
	v_cmp_lt_i16_e32 vcc_lo, 6, v12
	s_cbranch_vccz .LBB38_1545
; %bb.1543:
	global_load_b64 v[0:1], v[8:9], off
	s_mov_b32 s0, 0
	s_waitcnt vmcnt(0)
	v_trunc_f64_e32 v[0:1], v[0:1]
	s_delay_alu instid0(VALU_DEP_1) | instskip(NEXT) | instid1(VALU_DEP_1)
	v_ldexp_f64 v[13:14], v[0:1], 0xffffffe0
	v_floor_f64_e32 v[13:14], v[13:14]
	s_delay_alu instid0(VALU_DEP_1) | instskip(SKIP_1) | instid1(VALU_DEP_2)
	v_fma_f64 v[15:16], 0xc1f00000, v[13:14], v[0:1]
	v_cvt_i32_f64_e32 v1, v[13:14]
	v_cvt_u32_f64_e32 v0, v[15:16]
	s_branch .LBB38_1546
.LBB38_1544:
	s_mov_b32 s0, -1
                                        ; implicit-def: $vgpr0_vgpr1
	s_branch .LBB38_1549
.LBB38_1545:
	s_mov_b32 s0, -1
                                        ; implicit-def: $vgpr0_vgpr1
.LBB38_1546:
	s_delay_alu instid0(SALU_CYCLE_1)
	s_and_not1_b32 vcc_lo, exec_lo, s0
	s_cbranch_vccnz .LBB38_1548
; %bb.1547:
	global_load_b32 v0, v[8:9], off
	s_waitcnt vmcnt(0)
	v_trunc_f32_e32 v0, v0
	s_delay_alu instid0(VALU_DEP_1) | instskip(SKIP_1) | instid1(VALU_DEP_2)
	v_mul_f32_e64 v1, 0x2f800000, |v0|
	v_ashrrev_i32_e32 v14, 31, v0
	v_floor_f32_e32 v1, v1
	s_delay_alu instid0(VALU_DEP_1) | instskip(SKIP_1) | instid1(VALU_DEP_2)
	v_fma_f32 v13, 0xcf800000, v1, |v0|
	v_cvt_u32_f32_e32 v1, v1
	v_cvt_u32_f32_e32 v0, v13
	s_delay_alu instid0(VALU_DEP_2) | instskip(NEXT) | instid1(VALU_DEP_2)
	v_xor_b32_e32 v1, v1, v14
	v_xor_b32_e32 v0, v0, v14
	s_delay_alu instid0(VALU_DEP_1) | instskip(NEXT) | instid1(VALU_DEP_3)
	v_sub_co_u32 v0, vcc_lo, v0, v14
	v_sub_co_ci_u32_e32 v1, vcc_lo, v1, v14, vcc_lo
.LBB38_1548:
	s_mov_b32 s0, 0
.LBB38_1549:
	s_delay_alu instid0(SALU_CYCLE_1)
	s_and_not1_b32 vcc_lo, exec_lo, s0
	s_cbranch_vccnz .LBB38_1551
; %bb.1550:
	global_load_u16 v0, v[8:9], off
	s_waitcnt vmcnt(0)
	v_cvt_f32_f16_e32 v0, v0
	s_delay_alu instid0(VALU_DEP_1) | instskip(NEXT) | instid1(VALU_DEP_1)
	v_cvt_i32_f32_e32 v0, v0
	v_ashrrev_i32_e32 v1, 31, v0
.LBB38_1551:
	s_mov_b32 s0, 0
.LBB38_1552:
	s_delay_alu instid0(SALU_CYCLE_1)
	s_and_not1_b32 vcc_lo, exec_lo, s0
	s_cbranch_vccnz .LBB38_1572
; %bb.1553:
	v_cmp_gt_i16_e32 vcc_lo, 2, v12
	s_cbranch_vccnz .LBB38_1557
; %bb.1554:
	v_cmp_gt_i16_e32 vcc_lo, 3, v12
	s_cbranch_vccnz .LBB38_1558
; %bb.1555:
	v_cmp_lt_i16_e32 vcc_lo, 3, v12
	s_cbranch_vccz .LBB38_1559
; %bb.1556:
	global_load_b64 v[0:1], v[8:9], off
	s_mov_b32 s0, 0
	s_branch .LBB38_1560
.LBB38_1557:
	s_mov_b32 s0, -1
                                        ; implicit-def: $vgpr0_vgpr1
	s_branch .LBB38_1566
.LBB38_1558:
	s_mov_b32 s0, -1
                                        ; implicit-def: $vgpr0_vgpr1
	s_branch .LBB38_1563
.LBB38_1559:
	s_mov_b32 s0, -1
                                        ; implicit-def: $vgpr0_vgpr1
.LBB38_1560:
	s_delay_alu instid0(SALU_CYCLE_1)
	s_and_not1_b32 vcc_lo, exec_lo, s0
	s_cbranch_vccnz .LBB38_1562
; %bb.1561:
	global_load_b32 v0, v[8:9], off
	s_waitcnt vmcnt(0)
	v_ashrrev_i32_e32 v1, 31, v0
.LBB38_1562:
	s_mov_b32 s0, 0
.LBB38_1563:
	s_delay_alu instid0(SALU_CYCLE_1)
	s_and_not1_b32 vcc_lo, exec_lo, s0
	s_cbranch_vccnz .LBB38_1565
; %bb.1564:
	global_load_u16 v0, v[8:9], off
	s_waitcnt vmcnt(0)
	v_bfe_i32 v0, v0, 0, 16
	s_delay_alu instid0(VALU_DEP_1)
	v_ashrrev_i32_e32 v1, 31, v0
.LBB38_1565:
	s_mov_b32 s0, 0
.LBB38_1566:
	s_delay_alu instid0(SALU_CYCLE_1)
	s_and_not1_b32 vcc_lo, exec_lo, s0
	s_cbranch_vccnz .LBB38_1572
; %bb.1567:
	v_cmp_lt_i16_e32 vcc_lo, 0, v12
	s_mov_b32 s0, 0
	s_cbranch_vccz .LBB38_1569
; %bb.1568:
	global_load_i8 v0, v[8:9], off
	s_waitcnt vmcnt(0)
	v_bfe_i32 v0, v0, 0, 16
	s_delay_alu instid0(VALU_DEP_1)
	v_ashrrev_i32_e32 v1, 31, v0
	s_branch .LBB38_1570
.LBB38_1569:
	s_mov_b32 s0, -1
                                        ; implicit-def: $vgpr0_vgpr1
.LBB38_1570:
	s_delay_alu instid0(SALU_CYCLE_1)
	s_and_not1_b32 vcc_lo, exec_lo, s0
	s_cbranch_vccnz .LBB38_1572
; %bb.1571:
	global_load_u8 v0, v[8:9], off
	s_mov_b32 s0, 0
	s_waitcnt vmcnt(0)
	v_dual_mov_b32 v1, s0 :: v_dual_and_b32 v0, 0xffff, v0
.LBB38_1572:
	s_mov_b32 s0, -1
.LBB38_1573:
	s_delay_alu instid0(SALU_CYCLE_1)
	s_and_not1_b32 vcc_lo, exec_lo, s0
	s_cbranch_vccnz .LBB38_2007
; %bb.1574:
	v_mul_lo_u32 v12, s2, v11
	v_and_b32_e32 v13, 0xff, v10
	s_waitcnt vmcnt(0)
	v_not_b32_e32 v9, v3
	v_not_b32_e32 v8, v2
	s_delay_alu instid0(VALU_DEP_3) | instskip(SKIP_2) | instid1(VALU_DEP_1)
	v_cmp_gt_i16_e32 vcc_lo, 11, v13
	v_ashrrev_i32_e32 v11, 31, v12
	v_add_co_u32 v10, s0, s4, v12
	v_add_co_ci_u32_e64 v11, s0, s5, v11, s0
	s_cbranch_vccnz .LBB38_1652
; %bb.1575:
	v_cmp_lt_i16_e32 vcc_lo, 25, v13
	s_mov_b32 s6, -1
	s_mov_b32 s1, 0
	s_mov_b32 s3, 0
	;; [unrolled: 1-line block ×3, first 2 shown]
	s_cbranch_vccz .LBB38_1608
; %bb.1576:
	v_cmp_lt_i16_e32 vcc_lo, 28, v13
	s_cbranch_vccz .LBB38_1591
; %bb.1577:
	v_cmp_lt_i16_e32 vcc_lo, 43, v13
	;; [unrolled: 3-line block ×3, first 2 shown]
	s_cbranch_vccz .LBB38_1581
; %bb.1579:
	v_cmp_eq_u16_e32 vcc_lo, 46, v13
	s_mov_b32 s0, -1
	s_mov_b32 s6, 0
	s_cbranch_vccz .LBB38_1581
; %bb.1580:
	v_xor_b32_e32 v14, v8, v9
	v_cls_i32_e32 v15, v9
	s_mov_b32 s3, -1
	s_mov_b32 s0, 0
	s_delay_alu instid0(VALU_DEP_2) | instskip(NEXT) | instid1(VALU_DEP_2)
	v_ashrrev_i32_e32 v14, 31, v14
	v_add_nc_u32_e32 v15, -1, v15
	s_delay_alu instid0(VALU_DEP_2) | instskip(NEXT) | instid1(VALU_DEP_1)
	v_add_nc_u32_e32 v14, 32, v14
	v_min_u32_e32 v16, v15, v14
	s_delay_alu instid0(VALU_DEP_1) | instskip(NEXT) | instid1(VALU_DEP_1)
	v_lshlrev_b64 v[14:15], v16, v[8:9]
	v_min_u32_e32 v14, 1, v14
	s_delay_alu instid0(VALU_DEP_1) | instskip(SKIP_1) | instid1(VALU_DEP_2)
	v_or_b32_e32 v14, v15, v14
	v_sub_nc_u32_e32 v15, 32, v16
	v_cvt_f32_i32_e32 v14, v14
	s_delay_alu instid0(VALU_DEP_1) | instskip(NEXT) | instid1(VALU_DEP_1)
	v_ldexp_f32 v14, v14, v15
	v_bfe_u32 v15, v14, 16, 1
	s_delay_alu instid0(VALU_DEP_1) | instskip(NEXT) | instid1(VALU_DEP_1)
	v_add3_u32 v14, v14, v15, 0x7fff
	v_lshrrev_b32_e32 v14, 16, v14
	global_store_b32 v[10:11], v14, off
.LBB38_1581:
	s_and_b32 vcc_lo, exec_lo, s6
	s_cbranch_vccz .LBB38_1586
; %bb.1582:
	v_cmp_eq_u16_e32 vcc_lo, 44, v13
	s_mov_b32 s0, -1
	s_cbranch_vccz .LBB38_1586
; %bb.1583:
	v_xor_b32_e32 v14, v8, v9
	v_cls_i32_e32 v15, v9
	s_mov_b32 s3, -1
	s_mov_b32 s6, exec_lo
	s_delay_alu instid0(VALU_DEP_2) | instskip(NEXT) | instid1(VALU_DEP_2)
	v_ashrrev_i32_e32 v14, 31, v14
	v_add_nc_u32_e32 v15, -1, v15
	s_delay_alu instid0(VALU_DEP_2) | instskip(NEXT) | instid1(VALU_DEP_1)
	v_add_nc_u32_e32 v14, 32, v14
	v_min_u32_e32 v16, v15, v14
	s_delay_alu instid0(VALU_DEP_1) | instskip(NEXT) | instid1(VALU_DEP_1)
	v_lshlrev_b64 v[14:15], v16, v[8:9]
	v_min_u32_e32 v14, 1, v14
	s_delay_alu instid0(VALU_DEP_1) | instskip(SKIP_1) | instid1(VALU_DEP_2)
	v_or_b32_e32 v14, v15, v14
	v_sub_nc_u32_e32 v15, 32, v16
	v_cvt_f32_i32_e32 v14, v14
	s_delay_alu instid0(VALU_DEP_1) | instskip(SKIP_1) | instid1(VALU_DEP_2)
	v_ldexp_f32 v14, v14, v15
	v_mov_b32_e32 v15, 0xff
	v_bfe_u32 v16, v14, 23, 8
	s_delay_alu instid0(VALU_DEP_1)
	v_cmpx_ne_u32_e32 0xff, v16
; %bb.1584:
	v_and_b32_e32 v15, 0x400000, v14
	v_and_or_b32 v16, 0x3fffff, v14, v16
	v_lshrrev_b32_e32 v14, 23, v14
	s_delay_alu instid0(VALU_DEP_3) | instskip(NEXT) | instid1(VALU_DEP_3)
	v_cmp_ne_u32_e32 vcc_lo, 0, v15
	v_cmp_ne_u32_e64 s0, 0, v16
	s_delay_alu instid0(VALU_DEP_1) | instskip(NEXT) | instid1(SALU_CYCLE_1)
	s_and_b32 s0, vcc_lo, s0
	v_cndmask_b32_e64 v15, 0, 1, s0
	s_delay_alu instid0(VALU_DEP_1)
	v_add_nc_u32_e32 v15, v14, v15
; %bb.1585:
	s_or_b32 exec_lo, exec_lo, s6
	s_mov_b32 s0, 0
	global_store_b8 v[10:11], v15, off
.LBB38_1586:
	s_mov_b32 s6, 0
.LBB38_1587:
	s_delay_alu instid0(SALU_CYCLE_1)
	s_and_b32 vcc_lo, exec_lo, s6
	s_cbranch_vccz .LBB38_1590
; %bb.1588:
	v_cmp_eq_u16_e32 vcc_lo, 29, v13
	s_mov_b32 s0, -1
	s_cbranch_vccz .LBB38_1590
; %bb.1589:
	s_mov_b32 s0, 0
	s_mov_b32 s3, -1
	global_store_b64 v[10:11], v[8:9], off
.LBB38_1590:
	s_mov_b32 s6, 0
.LBB38_1591:
	s_delay_alu instid0(SALU_CYCLE_1)
	s_and_b32 vcc_lo, exec_lo, s6
	s_cbranch_vccz .LBB38_1607
; %bb.1592:
	v_cmp_gt_i16_e32 vcc_lo, 27, v13
	s_mov_b32 s3, -1
	s_cbranch_vccnz .LBB38_1598
; %bb.1593:
	v_cmp_lt_i16_e32 vcc_lo, 27, v13
	s_cbranch_vccz .LBB38_1595
; %bb.1594:
	s_mov_b32 s3, 0
	global_store_b32 v[10:11], v8, off
.LBB38_1595:
	s_and_not1_b32 vcc_lo, exec_lo, s3
	s_cbranch_vccnz .LBB38_1597
; %bb.1596:
	global_store_b16 v[10:11], v8, off
.LBB38_1597:
	s_mov_b32 s3, 0
.LBB38_1598:
	s_delay_alu instid0(SALU_CYCLE_1)
	s_and_not1_b32 vcc_lo, exec_lo, s3
	s_cbranch_vccnz .LBB38_1606
; %bb.1599:
	v_xor_b32_e32 v14, v8, v9
	v_cls_i32_e32 v15, v9
	s_mov_b32 s3, exec_lo
	s_delay_alu instid0(VALU_DEP_2) | instskip(NEXT) | instid1(VALU_DEP_2)
	v_ashrrev_i32_e32 v14, 31, v14
	v_add_nc_u32_e32 v15, -1, v15
	s_delay_alu instid0(VALU_DEP_2) | instskip(NEXT) | instid1(VALU_DEP_1)
	v_add_nc_u32_e32 v14, 32, v14
	v_min_u32_e32 v16, v15, v14
	s_delay_alu instid0(VALU_DEP_1) | instskip(NEXT) | instid1(VALU_DEP_1)
	v_lshlrev_b64 v[14:15], v16, v[8:9]
	v_min_u32_e32 v14, 1, v14
	s_delay_alu instid0(VALU_DEP_1) | instskip(SKIP_2) | instid1(VALU_DEP_3)
	v_or_b32_e32 v14, v15, v14
	v_sub_nc_u32_e32 v15, 32, v16
	v_mov_b32_e32 v16, 0x80
	v_cvt_f32_i32_e32 v14, v14
	s_delay_alu instid0(VALU_DEP_1) | instskip(NEXT) | instid1(VALU_DEP_1)
	v_ldexp_f32 v14, v14, v15
	v_and_b32_e32 v15, 0x7fffffff, v14
	s_delay_alu instid0(VALU_DEP_1)
	v_cmpx_gt_u32_e32 0x43800000, v15
	s_cbranch_execz .LBB38_1605
; %bb.1600:
	v_cmp_lt_u32_e32 vcc_lo, 0x3bffffff, v15
	s_mov_b32 s6, 0
                                        ; implicit-def: $vgpr15
	s_and_saveexec_b32 s7, vcc_lo
	s_delay_alu instid0(SALU_CYCLE_1)
	s_xor_b32 s7, exec_lo, s7
	s_cbranch_execz .LBB38_2011
; %bb.1601:
	v_bfe_u32 v15, v14, 20, 1
	s_mov_b32 s6, exec_lo
	s_delay_alu instid0(VALU_DEP_1) | instskip(NEXT) | instid1(VALU_DEP_1)
	v_add3_u32 v15, v14, v15, 0x487ffff
	v_lshrrev_b32_e32 v15, 20, v15
	s_or_saveexec_b32 s7, s7
                                        ; implicit-def: $sgpr11
	s_delay_alu instid0(SALU_CYCLE_1)
	s_xor_b32 exec_lo, exec_lo, s7
	s_cbranch_execnz .LBB38_2012
.LBB38_1602:
	s_or_b32 exec_lo, exec_lo, s7
	v_mov_b32_e32 v16, s11
	s_and_saveexec_b32 s7, s6
.LBB38_1603:
	v_lshrrev_b32_e32 v14, 24, v14
	s_delay_alu instid0(VALU_DEP_1)
	v_and_or_b32 v16, 0x80, v14, v15
.LBB38_1604:
	s_or_b32 exec_lo, exec_lo, s7
.LBB38_1605:
	s_delay_alu instid0(SALU_CYCLE_1)
	s_or_b32 exec_lo, exec_lo, s3
	global_store_b8 v[10:11], v16, off
.LBB38_1606:
	s_mov_b32 s3, -1
.LBB38_1607:
	s_mov_b32 s6, 0
.LBB38_1608:
	s_delay_alu instid0(SALU_CYCLE_1)
	s_and_b32 vcc_lo, exec_lo, s6
	s_cbranch_vccz .LBB38_1648
; %bb.1609:
	v_cmp_lt_i16_e32 vcc_lo, 22, v13
	s_mov_b32 s1, -1
	s_cbranch_vccz .LBB38_1641
; %bb.1610:
	v_cmp_gt_i16_e32 vcc_lo, 24, v13
	s_cbranch_vccnz .LBB38_1630
; %bb.1611:
	v_cmp_lt_i16_e32 vcc_lo, 24, v13
	s_cbranch_vccz .LBB38_1619
; %bb.1612:
	v_xor_b32_e32 v14, v8, v9
	v_cls_i32_e32 v15, v9
	s_mov_b32 s1, exec_lo
	s_delay_alu instid0(VALU_DEP_2) | instskip(NEXT) | instid1(VALU_DEP_2)
	v_ashrrev_i32_e32 v14, 31, v14
	v_add_nc_u32_e32 v15, -1, v15
	s_delay_alu instid0(VALU_DEP_2) | instskip(NEXT) | instid1(VALU_DEP_1)
	v_add_nc_u32_e32 v14, 32, v14
	v_min_u32_e32 v16, v15, v14
	s_delay_alu instid0(VALU_DEP_1) | instskip(NEXT) | instid1(VALU_DEP_1)
	v_lshlrev_b64 v[14:15], v16, v[8:9]
	v_min_u32_e32 v14, 1, v14
	s_delay_alu instid0(VALU_DEP_1) | instskip(SKIP_2) | instid1(VALU_DEP_3)
	v_or_b32_e32 v14, v15, v14
	v_sub_nc_u32_e32 v15, 32, v16
	v_mov_b32_e32 v16, 0x80
	v_cvt_f32_i32_e32 v14, v14
	s_delay_alu instid0(VALU_DEP_1) | instskip(NEXT) | instid1(VALU_DEP_1)
	v_ldexp_f32 v14, v14, v15
	v_and_b32_e32 v15, 0x7fffffff, v14
	s_delay_alu instid0(VALU_DEP_1)
	v_cmpx_gt_u32_e32 0x47800000, v15
	s_cbranch_execz .LBB38_1618
; %bb.1613:
	v_cmp_lt_u32_e32 vcc_lo, 0x37ffffff, v15
	s_mov_b32 s3, 0
                                        ; implicit-def: $vgpr15
	s_and_saveexec_b32 s6, vcc_lo
	s_delay_alu instid0(SALU_CYCLE_1)
	s_xor_b32 s6, exec_lo, s6
	s_cbranch_execz .LBB38_2017
; %bb.1614:
	v_bfe_u32 v15, v14, 21, 1
	s_mov_b32 s3, exec_lo
	s_delay_alu instid0(VALU_DEP_1) | instskip(NEXT) | instid1(VALU_DEP_1)
	v_add3_u32 v15, v14, v15, 0x88fffff
	v_lshrrev_b32_e32 v15, 21, v15
	s_or_saveexec_b32 s6, s6
                                        ; implicit-def: $sgpr7
	s_delay_alu instid0(SALU_CYCLE_1)
	s_xor_b32 exec_lo, exec_lo, s6
	s_cbranch_execnz .LBB38_2018
.LBB38_1615:
	s_or_b32 exec_lo, exec_lo, s6
	v_mov_b32_e32 v16, s7
	s_and_saveexec_b32 s6, s3
.LBB38_1616:
	v_lshrrev_b32_e32 v14, 24, v14
	s_delay_alu instid0(VALU_DEP_1)
	v_and_or_b32 v16, 0x80, v14, v15
.LBB38_1617:
	s_or_b32 exec_lo, exec_lo, s6
.LBB38_1618:
	s_delay_alu instid0(SALU_CYCLE_1)
	s_or_b32 exec_lo, exec_lo, s1
	s_mov_b32 s1, 0
	global_store_b8 v[10:11], v16, off
.LBB38_1619:
	s_and_b32 vcc_lo, exec_lo, s1
	s_cbranch_vccz .LBB38_1629
; %bb.1620:
	v_xor_b32_e32 v14, v8, v9
	v_cls_i32_e32 v15, v9
	s_mov_b32 s1, exec_lo
	s_delay_alu instid0(VALU_DEP_2) | instskip(NEXT) | instid1(VALU_DEP_2)
	v_ashrrev_i32_e32 v14, 31, v14
	v_add_nc_u32_e32 v15, -1, v15
	s_delay_alu instid0(VALU_DEP_2) | instskip(NEXT) | instid1(VALU_DEP_1)
	v_add_nc_u32_e32 v14, 32, v14
	v_min_u32_e32 v16, v15, v14
	s_delay_alu instid0(VALU_DEP_1) | instskip(NEXT) | instid1(VALU_DEP_1)
	v_lshlrev_b64 v[14:15], v16, v[8:9]
	v_min_u32_e32 v14, 1, v14
	s_delay_alu instid0(VALU_DEP_1) | instskip(SKIP_1) | instid1(VALU_DEP_2)
	v_or_b32_e32 v14, v15, v14
	v_sub_nc_u32_e32 v15, 32, v16
	v_cvt_f32_i32_e32 v14, v14
	s_delay_alu instid0(VALU_DEP_1) | instskip(NEXT) | instid1(VALU_DEP_1)
	v_ldexp_f32 v14, v14, v15
                                        ; implicit-def: $vgpr15
	v_and_b32_e32 v16, 0x7fffffff, v14
	s_delay_alu instid0(VALU_DEP_1)
	v_cmpx_gt_u32_e32 0x43f00000, v16
	s_xor_b32 s1, exec_lo, s1
	s_cbranch_execz .LBB38_1626
; %bb.1621:
	s_mov_b32 s3, exec_lo
                                        ; implicit-def: $vgpr15
	v_cmpx_lt_u32_e32 0x3c7fffff, v16
	s_xor_b32 s3, exec_lo, s3
; %bb.1622:
	v_bfe_u32 v15, v14, 20, 1
	s_delay_alu instid0(VALU_DEP_1) | instskip(NEXT) | instid1(VALU_DEP_1)
	v_add3_u32 v15, v14, v15, 0x407ffff
	v_and_b32_e32 v16, 0xff00000, v15
	v_lshrrev_b32_e32 v15, 20, v15
	s_delay_alu instid0(VALU_DEP_2) | instskip(NEXT) | instid1(VALU_DEP_2)
	v_cmp_ne_u32_e32 vcc_lo, 0x7f00000, v16
	v_cndmask_b32_e32 v15, 0x7e, v15, vcc_lo
; %bb.1623:
	s_and_not1_saveexec_b32 s3, s3
; %bb.1624:
	v_add_f32_e64 v15, 0x46800000, |v14|
; %bb.1625:
	s_or_b32 exec_lo, exec_lo, s3
                                        ; implicit-def: $vgpr16
.LBB38_1626:
	s_and_not1_saveexec_b32 s1, s1
; %bb.1627:
	v_mov_b32_e32 v15, 0x7f
	v_cmp_lt_u32_e32 vcc_lo, 0x7f800000, v16
	s_delay_alu instid0(VALU_DEP_2)
	v_cndmask_b32_e32 v15, 0x7e, v15, vcc_lo
; %bb.1628:
	s_or_b32 exec_lo, exec_lo, s1
	v_lshrrev_b32_e32 v14, 24, v14
	s_delay_alu instid0(VALU_DEP_1)
	v_and_or_b32 v14, 0x80, v14, v15
	global_store_b8 v[10:11], v14, off
.LBB38_1629:
	s_mov_b32 s1, 0
.LBB38_1630:
	s_delay_alu instid0(SALU_CYCLE_1)
	s_and_not1_b32 vcc_lo, exec_lo, s1
	s_cbranch_vccnz .LBB38_1640
; %bb.1631:
	v_xor_b32_e32 v14, v8, v9
	v_cls_i32_e32 v15, v9
	s_mov_b32 s1, exec_lo
	s_delay_alu instid0(VALU_DEP_2) | instskip(NEXT) | instid1(VALU_DEP_2)
	v_ashrrev_i32_e32 v14, 31, v14
	v_add_nc_u32_e32 v15, -1, v15
	s_delay_alu instid0(VALU_DEP_2) | instskip(NEXT) | instid1(VALU_DEP_1)
	v_add_nc_u32_e32 v14, 32, v14
	v_min_u32_e32 v16, v15, v14
	s_delay_alu instid0(VALU_DEP_1) | instskip(NEXT) | instid1(VALU_DEP_1)
	v_lshlrev_b64 v[14:15], v16, v[8:9]
	v_min_u32_e32 v14, 1, v14
	s_delay_alu instid0(VALU_DEP_1) | instskip(SKIP_1) | instid1(VALU_DEP_2)
	v_or_b32_e32 v14, v15, v14
	v_sub_nc_u32_e32 v15, 32, v16
	v_cvt_f32_i32_e32 v14, v14
	s_delay_alu instid0(VALU_DEP_1) | instskip(NEXT) | instid1(VALU_DEP_1)
	v_ldexp_f32 v14, v14, v15
                                        ; implicit-def: $vgpr15
	v_and_b32_e32 v16, 0x7fffffff, v14
	s_delay_alu instid0(VALU_DEP_1)
	v_cmpx_gt_u32_e32 0x47800000, v16
	s_xor_b32 s1, exec_lo, s1
	s_cbranch_execz .LBB38_1637
; %bb.1632:
	s_mov_b32 s3, exec_lo
                                        ; implicit-def: $vgpr15
	v_cmpx_lt_u32_e32 0x387fffff, v16
	s_xor_b32 s3, exec_lo, s3
; %bb.1633:
	v_bfe_u32 v15, v14, 21, 1
	s_delay_alu instid0(VALU_DEP_1) | instskip(NEXT) | instid1(VALU_DEP_1)
	v_add3_u32 v15, v14, v15, 0x80fffff
	v_lshrrev_b32_e32 v15, 21, v15
; %bb.1634:
	s_and_not1_saveexec_b32 s3, s3
; %bb.1635:
	v_add_f32_e64 v15, 0x43000000, |v14|
; %bb.1636:
	s_or_b32 exec_lo, exec_lo, s3
                                        ; implicit-def: $vgpr16
.LBB38_1637:
	s_and_not1_saveexec_b32 s1, s1
; %bb.1638:
	v_mov_b32_e32 v15, 0x7f
	v_cmp_lt_u32_e32 vcc_lo, 0x7f800000, v16
	s_delay_alu instid0(VALU_DEP_2)
	v_cndmask_b32_e32 v15, 0x7c, v15, vcc_lo
; %bb.1639:
	s_or_b32 exec_lo, exec_lo, s1
	v_lshrrev_b32_e32 v14, 24, v14
	s_delay_alu instid0(VALU_DEP_1)
	v_and_or_b32 v14, 0x80, v14, v15
	global_store_b8 v[10:11], v14, off
.LBB38_1640:
	s_mov_b32 s1, 0
	s_mov_b32 s3, -1
.LBB38_1641:
	s_and_not1_b32 vcc_lo, exec_lo, s1
	s_mov_b32 s1, 0
	s_cbranch_vccnz .LBB38_1648
; %bb.1642:
	v_cmp_lt_i16_e32 vcc_lo, 14, v13
	s_mov_b32 s1, -1
	s_cbranch_vccz .LBB38_1646
; %bb.1643:
	v_cmp_eq_u16_e32 vcc_lo, 15, v13
	s_mov_b32 s0, -1
	s_cbranch_vccz .LBB38_1645
; %bb.1644:
	v_xor_b32_e32 v14, v8, v9
	v_cls_i32_e32 v15, v9
	s_mov_b32 s3, -1
	s_mov_b32 s0, 0
	s_delay_alu instid0(VALU_DEP_2) | instskip(NEXT) | instid1(VALU_DEP_2)
	v_ashrrev_i32_e32 v14, 31, v14
	v_add_nc_u32_e32 v15, -1, v15
	s_delay_alu instid0(VALU_DEP_2) | instskip(NEXT) | instid1(VALU_DEP_1)
	v_add_nc_u32_e32 v14, 32, v14
	v_min_u32_e32 v16, v15, v14
	s_delay_alu instid0(VALU_DEP_1) | instskip(NEXT) | instid1(VALU_DEP_1)
	v_lshlrev_b64 v[14:15], v16, v[8:9]
	v_min_u32_e32 v14, 1, v14
	s_delay_alu instid0(VALU_DEP_1) | instskip(SKIP_1) | instid1(VALU_DEP_2)
	v_or_b32_e32 v14, v15, v14
	v_sub_nc_u32_e32 v15, 32, v16
	v_cvt_f32_i32_e32 v14, v14
	s_delay_alu instid0(VALU_DEP_1) | instskip(NEXT) | instid1(VALU_DEP_1)
	v_ldexp_f32 v14, v14, v15
	v_bfe_u32 v15, v14, 16, 1
	s_delay_alu instid0(VALU_DEP_1)
	v_add3_u32 v14, v14, v15, 0x7fff
	global_store_d16_hi_b16 v[10:11], v14, off
.LBB38_1645:
	s_mov_b32 s1, 0
.LBB38_1646:
	s_delay_alu instid0(SALU_CYCLE_1)
	s_and_b32 vcc_lo, exec_lo, s1
	s_mov_b32 s1, 0
	s_cbranch_vccz .LBB38_1648
; %bb.1647:
	v_cmp_ne_u16_e64 s0, 11, v13
	s_mov_b32 s1, -1
.LBB38_1648:
	s_delay_alu instid0(VALU_DEP_1)
	s_and_b32 vcc_lo, exec_lo, s0
	s_cbranch_vccnz .LBB38_2015
; %bb.1649:
	s_and_not1_b32 vcc_lo, exec_lo, s1
	s_cbranch_vccnz .LBB38_1651
.LBB38_1650:
	v_cmp_ne_u64_e32 vcc_lo, -1, v[2:3]
	s_mov_b32 s3, -1
	v_cndmask_b32_e64 v2, 0, 1, vcc_lo
	global_store_b8 v[10:11], v2, off
.LBB38_1651:
	s_mov_b32 s0, 0
	s_branch .LBB38_1653
.LBB38_1652:
	s_mov_b32 s0, -1
	s_mov_b32 s3, 0
.LBB38_1653:
	s_and_b32 vcc_lo, exec_lo, s0
	s_cbranch_vccz .LBB38_1692
; %bb.1654:
	v_cmp_gt_i16_e32 vcc_lo, 5, v13
	s_mov_b32 s0, -1
	s_cbranch_vccnz .LBB38_1675
; %bb.1655:
	v_cmp_gt_i16_e32 vcc_lo, 8, v13
	s_cbranch_vccnz .LBB38_1665
; %bb.1656:
	v_cmp_gt_i16_e32 vcc_lo, 9, v13
	s_cbranch_vccnz .LBB38_1662
; %bb.1657:
	v_cmp_lt_i16_e32 vcc_lo, 9, v13
	s_cbranch_vccz .LBB38_1659
; %bb.1658:
	v_cvt_f64_i32_e32 v[2:3], v9
	v_cvt_f64_u32_e32 v[14:15], v8
	v_mov_b32_e32 v16, 0
	s_mov_b32 s0, 0
	s_delay_alu instid0(VALU_DEP_1) | instskip(NEXT) | instid1(VALU_DEP_4)
	v_mov_b32_e32 v17, v16
	v_ldexp_f64 v[2:3], v[2:3], 32
	s_delay_alu instid0(VALU_DEP_1)
	v_add_f64 v[14:15], v[2:3], v[14:15]
	global_store_b128 v[10:11], v[14:17], off
.LBB38_1659:
	s_and_not1_b32 vcc_lo, exec_lo, s0
	s_cbranch_vccnz .LBB38_1661
; %bb.1660:
	v_xor_b32_e32 v2, v8, v9
	v_cls_i32_e32 v3, v9
	s_delay_alu instid0(VALU_DEP_2) | instskip(NEXT) | instid1(VALU_DEP_2)
	v_ashrrev_i32_e32 v2, 31, v2
	v_add_nc_u32_e32 v3, -1, v3
	s_delay_alu instid0(VALU_DEP_2) | instskip(NEXT) | instid1(VALU_DEP_1)
	v_add_nc_u32_e32 v2, 32, v2
	v_min_u32_e32 v14, v3, v2
	s_delay_alu instid0(VALU_DEP_1) | instskip(NEXT) | instid1(VALU_DEP_1)
	v_lshlrev_b64 v[2:3], v14, v[8:9]
	v_min_u32_e32 v2, 1, v2
	s_delay_alu instid0(VALU_DEP_1) | instskip(SKIP_1) | instid1(VALU_DEP_2)
	v_or_b32_e32 v2, v3, v2
	v_sub_nc_u32_e32 v3, 32, v14
	v_cvt_f32_i32_e32 v2, v2
	s_delay_alu instid0(VALU_DEP_1)
	v_ldexp_f32 v2, v2, v3
	v_mov_b32_e32 v3, 0
	global_store_b64 v[10:11], v[2:3], off
.LBB38_1661:
	s_mov_b32 s0, 0
.LBB38_1662:
	s_delay_alu instid0(SALU_CYCLE_1)
	s_and_not1_b32 vcc_lo, exec_lo, s0
	s_cbranch_vccnz .LBB38_1664
; %bb.1663:
	v_xor_b32_e32 v2, v8, v9
	v_cls_i32_e32 v3, v9
	s_delay_alu instid0(VALU_DEP_2) | instskip(NEXT) | instid1(VALU_DEP_2)
	v_ashrrev_i32_e32 v2, 31, v2
	v_add_nc_u32_e32 v3, -1, v3
	s_delay_alu instid0(VALU_DEP_2) | instskip(NEXT) | instid1(VALU_DEP_1)
	v_add_nc_u32_e32 v2, 32, v2
	v_min_u32_e32 v14, v3, v2
	s_delay_alu instid0(VALU_DEP_1) | instskip(NEXT) | instid1(VALU_DEP_1)
	v_lshlrev_b64 v[2:3], v14, v[8:9]
	v_min_u32_e32 v2, 1, v2
	s_delay_alu instid0(VALU_DEP_1) | instskip(SKIP_1) | instid1(VALU_DEP_2)
	v_or_b32_e32 v2, v3, v2
	v_sub_nc_u32_e32 v3, 32, v14
	v_cvt_f32_i32_e32 v2, v2
	s_delay_alu instid0(VALU_DEP_1) | instskip(NEXT) | instid1(VALU_DEP_1)
	v_ldexp_f32 v2, v2, v3
	v_cvt_f16_f32_e32 v2, v2
	s_delay_alu instid0(VALU_DEP_1)
	v_and_b32_e32 v2, 0xffff, v2
	global_store_b32 v[10:11], v2, off
.LBB38_1664:
	s_mov_b32 s0, 0
.LBB38_1665:
	s_delay_alu instid0(SALU_CYCLE_1)
	s_and_not1_b32 vcc_lo, exec_lo, s0
	s_cbranch_vccnz .LBB38_1674
; %bb.1666:
	v_cmp_gt_i16_e32 vcc_lo, 6, v13
	s_mov_b32 s0, -1
	s_cbranch_vccnz .LBB38_1672
; %bb.1667:
	v_cmp_lt_i16_e32 vcc_lo, 6, v13
	s_cbranch_vccz .LBB38_1669
; %bb.1668:
	v_cvt_f64_i32_e32 v[2:3], v9
	v_cvt_f64_u32_e32 v[14:15], v8
	s_mov_b32 s0, 0
	s_delay_alu instid0(VALU_DEP_2) | instskip(NEXT) | instid1(VALU_DEP_1)
	v_ldexp_f64 v[2:3], v[2:3], 32
	v_add_f64 v[2:3], v[2:3], v[14:15]
	global_store_b64 v[10:11], v[2:3], off
.LBB38_1669:
	s_and_not1_b32 vcc_lo, exec_lo, s0
	s_cbranch_vccnz .LBB38_1671
; %bb.1670:
	v_xor_b32_e32 v2, v8, v9
	v_cls_i32_e32 v3, v9
	s_delay_alu instid0(VALU_DEP_2) | instskip(NEXT) | instid1(VALU_DEP_2)
	v_ashrrev_i32_e32 v2, 31, v2
	v_add_nc_u32_e32 v3, -1, v3
	s_delay_alu instid0(VALU_DEP_2) | instskip(NEXT) | instid1(VALU_DEP_1)
	v_add_nc_u32_e32 v2, 32, v2
	v_min_u32_e32 v14, v3, v2
	s_delay_alu instid0(VALU_DEP_1) | instskip(NEXT) | instid1(VALU_DEP_1)
	v_lshlrev_b64 v[2:3], v14, v[8:9]
	v_min_u32_e32 v2, 1, v2
	s_delay_alu instid0(VALU_DEP_1) | instskip(SKIP_1) | instid1(VALU_DEP_2)
	v_or_b32_e32 v2, v3, v2
	v_sub_nc_u32_e32 v3, 32, v14
	v_cvt_f32_i32_e32 v2, v2
	s_delay_alu instid0(VALU_DEP_1)
	v_ldexp_f32 v2, v2, v3
	global_store_b32 v[10:11], v2, off
.LBB38_1671:
	s_mov_b32 s0, 0
.LBB38_1672:
	s_delay_alu instid0(SALU_CYCLE_1)
	s_and_not1_b32 vcc_lo, exec_lo, s0
	s_cbranch_vccnz .LBB38_1674
; %bb.1673:
	v_xor_b32_e32 v2, v8, v9
	v_cls_i32_e32 v3, v9
	s_delay_alu instid0(VALU_DEP_2) | instskip(NEXT) | instid1(VALU_DEP_2)
	v_ashrrev_i32_e32 v2, 31, v2
	v_add_nc_u32_e32 v3, -1, v3
	s_delay_alu instid0(VALU_DEP_2) | instskip(NEXT) | instid1(VALU_DEP_1)
	v_add_nc_u32_e32 v2, 32, v2
	v_min_u32_e32 v14, v3, v2
	s_delay_alu instid0(VALU_DEP_1) | instskip(NEXT) | instid1(VALU_DEP_1)
	v_lshlrev_b64 v[2:3], v14, v[8:9]
	v_min_u32_e32 v2, 1, v2
	s_delay_alu instid0(VALU_DEP_1) | instskip(SKIP_1) | instid1(VALU_DEP_2)
	v_or_b32_e32 v2, v3, v2
	v_sub_nc_u32_e32 v3, 32, v14
	v_cvt_f32_i32_e32 v2, v2
	s_delay_alu instid0(VALU_DEP_1) | instskip(NEXT) | instid1(VALU_DEP_1)
	v_ldexp_f32 v2, v2, v3
	v_cvt_f16_f32_e32 v2, v2
	global_store_b16 v[10:11], v2, off
.LBB38_1674:
	s_mov_b32 s0, 0
.LBB38_1675:
	s_delay_alu instid0(SALU_CYCLE_1)
	s_and_not1_b32 vcc_lo, exec_lo, s0
	s_cbranch_vccnz .LBB38_1691
; %bb.1676:
	v_cmp_gt_i16_e32 vcc_lo, 2, v13
	s_mov_b32 s0, -1
	s_cbranch_vccnz .LBB38_1686
; %bb.1677:
	v_cmp_gt_i16_e32 vcc_lo, 3, v13
	s_cbranch_vccnz .LBB38_1683
; %bb.1678:
	v_cmp_lt_i16_e32 vcc_lo, 3, v13
	s_cbranch_vccz .LBB38_1680
; %bb.1679:
	s_mov_b32 s0, 0
	global_store_b64 v[10:11], v[8:9], off
.LBB38_1680:
	s_and_not1_b32 vcc_lo, exec_lo, s0
	s_cbranch_vccnz .LBB38_1682
; %bb.1681:
	global_store_b32 v[10:11], v8, off
.LBB38_1682:
	s_mov_b32 s0, 0
.LBB38_1683:
	s_delay_alu instid0(SALU_CYCLE_1)
	s_and_not1_b32 vcc_lo, exec_lo, s0
	s_cbranch_vccnz .LBB38_1685
; %bb.1684:
	global_store_b16 v[10:11], v8, off
.LBB38_1685:
	s_mov_b32 s0, 0
.LBB38_1686:
	s_delay_alu instid0(SALU_CYCLE_1)
	s_and_not1_b32 vcc_lo, exec_lo, s0
	s_cbranch_vccnz .LBB38_1691
; %bb.1687:
	v_cmp_lt_i16_e32 vcc_lo, 0, v13
	s_mov_b32 s0, -1
	s_cbranch_vccz .LBB38_1689
; %bb.1688:
	s_mov_b32 s0, 0
	global_store_b8 v[10:11], v8, off
.LBB38_1689:
	s_and_not1_b32 vcc_lo, exec_lo, s0
	s_cbranch_vccnz .LBB38_1691
; %bb.1690:
	global_store_b8 v[10:11], v8, off
.LBB38_1691:
	s_mov_b32 s3, -1
.LBB38_1692:
	s_delay_alu instid0(SALU_CYCLE_1)
	s_and_not1_b32 vcc_lo, exec_lo, s3
	s_cbranch_vccnz .LBB38_2007
; %bb.1693:
	s_lshl_b32 s1, s2, 7
	v_cmp_gt_i16_e32 vcc_lo, 11, v13
	v_add_nc_u32_e32 v10, s1, v12
	v_not_b32_e32 v3, v5
	v_not_b32_e32 v2, v4
	s_delay_alu instid0(VALU_DEP_3) | instskip(SKIP_1) | instid1(VALU_DEP_1)
	v_ashrrev_i32_e32 v9, 31, v10
	v_add_co_u32 v8, s0, s4, v10
	v_add_co_ci_u32_e64 v9, s0, s5, v9, s0
	s_cbranch_vccnz .LBB38_1771
; %bb.1694:
	v_cmp_lt_i16_e32 vcc_lo, 25, v13
	s_mov_b32 s6, -1
	s_mov_b32 s2, 0
	s_mov_b32 s3, 0
	;; [unrolled: 1-line block ×3, first 2 shown]
	s_cbranch_vccz .LBB38_1727
; %bb.1695:
	v_cmp_lt_i16_e32 vcc_lo, 28, v13
	s_cbranch_vccz .LBB38_1710
; %bb.1696:
	v_cmp_lt_i16_e32 vcc_lo, 43, v13
	;; [unrolled: 3-line block ×3, first 2 shown]
	s_cbranch_vccz .LBB38_1700
; %bb.1698:
	v_cmp_eq_u16_e32 vcc_lo, 46, v13
	s_mov_b32 s0, -1
	s_mov_b32 s6, 0
	s_cbranch_vccz .LBB38_1700
; %bb.1699:
	v_xor_b32_e32 v11, v2, v3
	v_cls_i32_e32 v12, v3
	s_mov_b32 s3, -1
	s_mov_b32 s0, 0
	s_delay_alu instid0(VALU_DEP_2) | instskip(NEXT) | instid1(VALU_DEP_2)
	v_ashrrev_i32_e32 v11, 31, v11
	v_add_nc_u32_e32 v12, -1, v12
	s_delay_alu instid0(VALU_DEP_2) | instskip(NEXT) | instid1(VALU_DEP_1)
	v_add_nc_u32_e32 v11, 32, v11
	v_min_u32_e32 v14, v12, v11
	s_delay_alu instid0(VALU_DEP_1) | instskip(NEXT) | instid1(VALU_DEP_1)
	v_lshlrev_b64 v[11:12], v14, v[2:3]
	v_min_u32_e32 v11, 1, v11
	s_delay_alu instid0(VALU_DEP_1) | instskip(SKIP_1) | instid1(VALU_DEP_2)
	v_or_b32_e32 v11, v12, v11
	v_sub_nc_u32_e32 v12, 32, v14
	v_cvt_f32_i32_e32 v11, v11
	s_delay_alu instid0(VALU_DEP_1) | instskip(NEXT) | instid1(VALU_DEP_1)
	v_ldexp_f32 v11, v11, v12
	v_bfe_u32 v12, v11, 16, 1
	s_delay_alu instid0(VALU_DEP_1) | instskip(NEXT) | instid1(VALU_DEP_1)
	v_add3_u32 v11, v11, v12, 0x7fff
	v_lshrrev_b32_e32 v11, 16, v11
	global_store_b32 v[8:9], v11, off
.LBB38_1700:
	s_and_b32 vcc_lo, exec_lo, s6
	s_cbranch_vccz .LBB38_1705
; %bb.1701:
	v_cmp_eq_u16_e32 vcc_lo, 44, v13
	s_mov_b32 s0, -1
	s_cbranch_vccz .LBB38_1705
; %bb.1702:
	v_xor_b32_e32 v11, v2, v3
	v_cls_i32_e32 v12, v3
	s_mov_b32 s3, -1
	s_mov_b32 s6, exec_lo
	s_delay_alu instid0(VALU_DEP_2) | instskip(NEXT) | instid1(VALU_DEP_2)
	v_ashrrev_i32_e32 v11, 31, v11
	v_add_nc_u32_e32 v12, -1, v12
	s_delay_alu instid0(VALU_DEP_2) | instskip(NEXT) | instid1(VALU_DEP_1)
	v_add_nc_u32_e32 v11, 32, v11
	v_min_u32_e32 v14, v12, v11
	s_delay_alu instid0(VALU_DEP_1) | instskip(NEXT) | instid1(VALU_DEP_1)
	v_lshlrev_b64 v[11:12], v14, v[2:3]
	v_min_u32_e32 v11, 1, v11
	s_delay_alu instid0(VALU_DEP_1) | instskip(SKIP_1) | instid1(VALU_DEP_2)
	v_or_b32_e32 v11, v12, v11
	v_sub_nc_u32_e32 v12, 32, v14
	v_cvt_f32_i32_e32 v11, v11
	s_delay_alu instid0(VALU_DEP_1) | instskip(SKIP_1) | instid1(VALU_DEP_2)
	v_ldexp_f32 v11, v11, v12
	v_mov_b32_e32 v12, 0xff
	v_bfe_u32 v14, v11, 23, 8
	s_delay_alu instid0(VALU_DEP_1)
	v_cmpx_ne_u32_e32 0xff, v14
; %bb.1703:
	v_and_b32_e32 v12, 0x400000, v11
	v_and_or_b32 v14, 0x3fffff, v11, v14
	v_lshrrev_b32_e32 v11, 23, v11
	s_delay_alu instid0(VALU_DEP_3) | instskip(NEXT) | instid1(VALU_DEP_3)
	v_cmp_ne_u32_e32 vcc_lo, 0, v12
	v_cmp_ne_u32_e64 s0, 0, v14
	s_delay_alu instid0(VALU_DEP_1) | instskip(NEXT) | instid1(SALU_CYCLE_1)
	s_and_b32 s0, vcc_lo, s0
	v_cndmask_b32_e64 v12, 0, 1, s0
	s_delay_alu instid0(VALU_DEP_1)
	v_add_nc_u32_e32 v12, v11, v12
; %bb.1704:
	s_or_b32 exec_lo, exec_lo, s6
	s_mov_b32 s0, 0
	global_store_b8 v[8:9], v12, off
.LBB38_1705:
	s_mov_b32 s6, 0
.LBB38_1706:
	s_delay_alu instid0(SALU_CYCLE_1)
	s_and_b32 vcc_lo, exec_lo, s6
	s_cbranch_vccz .LBB38_1709
; %bb.1707:
	v_cmp_eq_u16_e32 vcc_lo, 29, v13
	s_mov_b32 s0, -1
	s_cbranch_vccz .LBB38_1709
; %bb.1708:
	s_mov_b32 s0, 0
	s_mov_b32 s3, -1
	global_store_b64 v[8:9], v[2:3], off
.LBB38_1709:
	s_mov_b32 s6, 0
.LBB38_1710:
	s_delay_alu instid0(SALU_CYCLE_1)
	s_and_b32 vcc_lo, exec_lo, s6
	s_cbranch_vccz .LBB38_1726
; %bb.1711:
	v_cmp_gt_i16_e32 vcc_lo, 27, v13
	s_mov_b32 s3, -1
	s_cbranch_vccnz .LBB38_1717
; %bb.1712:
	v_cmp_lt_i16_e32 vcc_lo, 27, v13
	s_cbranch_vccz .LBB38_1714
; %bb.1713:
	s_mov_b32 s3, 0
	global_store_b32 v[8:9], v2, off
.LBB38_1714:
	s_and_not1_b32 vcc_lo, exec_lo, s3
	s_cbranch_vccnz .LBB38_1716
; %bb.1715:
	global_store_b16 v[8:9], v2, off
.LBB38_1716:
	s_mov_b32 s3, 0
.LBB38_1717:
	s_delay_alu instid0(SALU_CYCLE_1)
	s_and_not1_b32 vcc_lo, exec_lo, s3
	s_cbranch_vccnz .LBB38_1725
; %bb.1718:
	v_xor_b32_e32 v11, v2, v3
	v_cls_i32_e32 v12, v3
	s_mov_b32 s3, exec_lo
	s_delay_alu instid0(VALU_DEP_2) | instskip(NEXT) | instid1(VALU_DEP_2)
	v_ashrrev_i32_e32 v11, 31, v11
	v_add_nc_u32_e32 v12, -1, v12
	s_delay_alu instid0(VALU_DEP_2) | instskip(NEXT) | instid1(VALU_DEP_1)
	v_add_nc_u32_e32 v11, 32, v11
	v_min_u32_e32 v14, v12, v11
	s_delay_alu instid0(VALU_DEP_1) | instskip(NEXT) | instid1(VALU_DEP_1)
	v_lshlrev_b64 v[11:12], v14, v[2:3]
	v_min_u32_e32 v11, 1, v11
	s_delay_alu instid0(VALU_DEP_1) | instskip(SKIP_2) | instid1(VALU_DEP_3)
	v_or_b32_e32 v11, v12, v11
	v_sub_nc_u32_e32 v12, 32, v14
	v_mov_b32_e32 v14, 0x80
	v_cvt_f32_i32_e32 v11, v11
	s_delay_alu instid0(VALU_DEP_1) | instskip(NEXT) | instid1(VALU_DEP_1)
	v_ldexp_f32 v11, v11, v12
	v_and_b32_e32 v12, 0x7fffffff, v11
	s_delay_alu instid0(VALU_DEP_1)
	v_cmpx_gt_u32_e32 0x43800000, v12
	s_cbranch_execz .LBB38_1724
; %bb.1719:
	v_cmp_lt_u32_e32 vcc_lo, 0x3bffffff, v12
	s_mov_b32 s6, 0
                                        ; implicit-def: $vgpr12
	s_and_saveexec_b32 s7, vcc_lo
	s_delay_alu instid0(SALU_CYCLE_1)
	s_xor_b32 s7, exec_lo, s7
	s_cbranch_execz .LBB38_2019
; %bb.1720:
	v_bfe_u32 v12, v11, 20, 1
	s_mov_b32 s6, exec_lo
	s_delay_alu instid0(VALU_DEP_1) | instskip(NEXT) | instid1(VALU_DEP_1)
	v_add3_u32 v12, v11, v12, 0x487ffff
	v_lshrrev_b32_e32 v12, 20, v12
	s_or_saveexec_b32 s7, s7
                                        ; implicit-def: $sgpr11
	s_delay_alu instid0(SALU_CYCLE_1)
	s_xor_b32 exec_lo, exec_lo, s7
	s_cbranch_execnz .LBB38_2020
.LBB38_1721:
	s_or_b32 exec_lo, exec_lo, s7
	v_mov_b32_e32 v14, s11
	s_and_saveexec_b32 s7, s6
.LBB38_1722:
	v_lshrrev_b32_e32 v11, 24, v11
	s_delay_alu instid0(VALU_DEP_1)
	v_and_or_b32 v14, 0x80, v11, v12
.LBB38_1723:
	s_or_b32 exec_lo, exec_lo, s7
.LBB38_1724:
	s_delay_alu instid0(SALU_CYCLE_1)
	s_or_b32 exec_lo, exec_lo, s3
	global_store_b8 v[8:9], v14, off
.LBB38_1725:
	s_mov_b32 s3, -1
.LBB38_1726:
	s_mov_b32 s6, 0
.LBB38_1727:
	s_delay_alu instid0(SALU_CYCLE_1)
	s_and_b32 vcc_lo, exec_lo, s6
	s_cbranch_vccz .LBB38_1767
; %bb.1728:
	v_cmp_lt_i16_e32 vcc_lo, 22, v13
	s_mov_b32 s2, -1
	s_cbranch_vccz .LBB38_1760
; %bb.1729:
	v_cmp_gt_i16_e32 vcc_lo, 24, v13
	s_cbranch_vccnz .LBB38_1749
; %bb.1730:
	v_cmp_lt_i16_e32 vcc_lo, 24, v13
	s_cbranch_vccz .LBB38_1738
; %bb.1731:
	v_xor_b32_e32 v11, v2, v3
	v_cls_i32_e32 v12, v3
	s_mov_b32 s2, exec_lo
	s_delay_alu instid0(VALU_DEP_2) | instskip(NEXT) | instid1(VALU_DEP_2)
	v_ashrrev_i32_e32 v11, 31, v11
	v_add_nc_u32_e32 v12, -1, v12
	s_delay_alu instid0(VALU_DEP_2) | instskip(NEXT) | instid1(VALU_DEP_1)
	v_add_nc_u32_e32 v11, 32, v11
	v_min_u32_e32 v14, v12, v11
	s_delay_alu instid0(VALU_DEP_1) | instskip(NEXT) | instid1(VALU_DEP_1)
	v_lshlrev_b64 v[11:12], v14, v[2:3]
	v_min_u32_e32 v11, 1, v11
	s_delay_alu instid0(VALU_DEP_1) | instskip(SKIP_2) | instid1(VALU_DEP_3)
	v_or_b32_e32 v11, v12, v11
	v_sub_nc_u32_e32 v12, 32, v14
	v_mov_b32_e32 v14, 0x80
	v_cvt_f32_i32_e32 v11, v11
	s_delay_alu instid0(VALU_DEP_1) | instskip(NEXT) | instid1(VALU_DEP_1)
	v_ldexp_f32 v11, v11, v12
	v_and_b32_e32 v12, 0x7fffffff, v11
	s_delay_alu instid0(VALU_DEP_1)
	v_cmpx_gt_u32_e32 0x47800000, v12
	s_cbranch_execz .LBB38_1737
; %bb.1732:
	v_cmp_lt_u32_e32 vcc_lo, 0x37ffffff, v12
	s_mov_b32 s3, 0
                                        ; implicit-def: $vgpr12
	s_and_saveexec_b32 s6, vcc_lo
	s_delay_alu instid0(SALU_CYCLE_1)
	s_xor_b32 s6, exec_lo, s6
	s_cbranch_execz .LBB38_2025
; %bb.1733:
	v_bfe_u32 v12, v11, 21, 1
	s_mov_b32 s3, exec_lo
	s_delay_alu instid0(VALU_DEP_1) | instskip(NEXT) | instid1(VALU_DEP_1)
	v_add3_u32 v12, v11, v12, 0x88fffff
	v_lshrrev_b32_e32 v12, 21, v12
	s_or_saveexec_b32 s6, s6
                                        ; implicit-def: $sgpr7
	s_delay_alu instid0(SALU_CYCLE_1)
	s_xor_b32 exec_lo, exec_lo, s6
	s_cbranch_execnz .LBB38_2026
.LBB38_1734:
	s_or_b32 exec_lo, exec_lo, s6
	v_mov_b32_e32 v14, s7
	s_and_saveexec_b32 s6, s3
.LBB38_1735:
	v_lshrrev_b32_e32 v11, 24, v11
	s_delay_alu instid0(VALU_DEP_1)
	v_and_or_b32 v14, 0x80, v11, v12
.LBB38_1736:
	s_or_b32 exec_lo, exec_lo, s6
.LBB38_1737:
	s_delay_alu instid0(SALU_CYCLE_1)
	s_or_b32 exec_lo, exec_lo, s2
	s_mov_b32 s2, 0
	global_store_b8 v[8:9], v14, off
.LBB38_1738:
	s_and_b32 vcc_lo, exec_lo, s2
	s_cbranch_vccz .LBB38_1748
; %bb.1739:
	v_xor_b32_e32 v11, v2, v3
	v_cls_i32_e32 v12, v3
	s_mov_b32 s2, exec_lo
	s_delay_alu instid0(VALU_DEP_2) | instskip(NEXT) | instid1(VALU_DEP_2)
	v_ashrrev_i32_e32 v11, 31, v11
	v_add_nc_u32_e32 v12, -1, v12
	s_delay_alu instid0(VALU_DEP_2) | instskip(NEXT) | instid1(VALU_DEP_1)
	v_add_nc_u32_e32 v11, 32, v11
	v_min_u32_e32 v14, v12, v11
	s_delay_alu instid0(VALU_DEP_1) | instskip(NEXT) | instid1(VALU_DEP_1)
	v_lshlrev_b64 v[11:12], v14, v[2:3]
	v_min_u32_e32 v11, 1, v11
	s_delay_alu instid0(VALU_DEP_1) | instskip(SKIP_1) | instid1(VALU_DEP_2)
	v_or_b32_e32 v11, v12, v11
	v_sub_nc_u32_e32 v12, 32, v14
	v_cvt_f32_i32_e32 v11, v11
	s_delay_alu instid0(VALU_DEP_1) | instskip(NEXT) | instid1(VALU_DEP_1)
	v_ldexp_f32 v11, v11, v12
                                        ; implicit-def: $vgpr12
	v_and_b32_e32 v14, 0x7fffffff, v11
	s_delay_alu instid0(VALU_DEP_1)
	v_cmpx_gt_u32_e32 0x43f00000, v14
	s_xor_b32 s2, exec_lo, s2
	s_cbranch_execz .LBB38_1745
; %bb.1740:
	s_mov_b32 s3, exec_lo
                                        ; implicit-def: $vgpr12
	v_cmpx_lt_u32_e32 0x3c7fffff, v14
	s_xor_b32 s3, exec_lo, s3
; %bb.1741:
	v_bfe_u32 v12, v11, 20, 1
	s_delay_alu instid0(VALU_DEP_1) | instskip(NEXT) | instid1(VALU_DEP_1)
	v_add3_u32 v12, v11, v12, 0x407ffff
	v_and_b32_e32 v14, 0xff00000, v12
	v_lshrrev_b32_e32 v12, 20, v12
	s_delay_alu instid0(VALU_DEP_2) | instskip(NEXT) | instid1(VALU_DEP_2)
	v_cmp_ne_u32_e32 vcc_lo, 0x7f00000, v14
	v_cndmask_b32_e32 v12, 0x7e, v12, vcc_lo
; %bb.1742:
	s_and_not1_saveexec_b32 s3, s3
; %bb.1743:
	v_add_f32_e64 v12, 0x46800000, |v11|
; %bb.1744:
	s_or_b32 exec_lo, exec_lo, s3
                                        ; implicit-def: $vgpr14
.LBB38_1745:
	s_and_not1_saveexec_b32 s2, s2
; %bb.1746:
	v_mov_b32_e32 v12, 0x7f
	v_cmp_lt_u32_e32 vcc_lo, 0x7f800000, v14
	s_delay_alu instid0(VALU_DEP_2)
	v_cndmask_b32_e32 v12, 0x7e, v12, vcc_lo
; %bb.1747:
	s_or_b32 exec_lo, exec_lo, s2
	v_lshrrev_b32_e32 v11, 24, v11
	s_delay_alu instid0(VALU_DEP_1)
	v_and_or_b32 v11, 0x80, v11, v12
	global_store_b8 v[8:9], v11, off
.LBB38_1748:
	s_mov_b32 s2, 0
.LBB38_1749:
	s_delay_alu instid0(SALU_CYCLE_1)
	s_and_not1_b32 vcc_lo, exec_lo, s2
	s_cbranch_vccnz .LBB38_1759
; %bb.1750:
	v_xor_b32_e32 v11, v2, v3
	v_cls_i32_e32 v12, v3
	s_mov_b32 s2, exec_lo
	s_delay_alu instid0(VALU_DEP_2) | instskip(NEXT) | instid1(VALU_DEP_2)
	v_ashrrev_i32_e32 v11, 31, v11
	v_add_nc_u32_e32 v12, -1, v12
	s_delay_alu instid0(VALU_DEP_2) | instskip(NEXT) | instid1(VALU_DEP_1)
	v_add_nc_u32_e32 v11, 32, v11
	v_min_u32_e32 v14, v12, v11
	s_delay_alu instid0(VALU_DEP_1) | instskip(NEXT) | instid1(VALU_DEP_1)
	v_lshlrev_b64 v[11:12], v14, v[2:3]
	v_min_u32_e32 v11, 1, v11
	s_delay_alu instid0(VALU_DEP_1) | instskip(SKIP_1) | instid1(VALU_DEP_2)
	v_or_b32_e32 v11, v12, v11
	v_sub_nc_u32_e32 v12, 32, v14
	v_cvt_f32_i32_e32 v11, v11
	s_delay_alu instid0(VALU_DEP_1) | instskip(NEXT) | instid1(VALU_DEP_1)
	v_ldexp_f32 v11, v11, v12
                                        ; implicit-def: $vgpr12
	v_and_b32_e32 v14, 0x7fffffff, v11
	s_delay_alu instid0(VALU_DEP_1)
	v_cmpx_gt_u32_e32 0x47800000, v14
	s_xor_b32 s2, exec_lo, s2
	s_cbranch_execz .LBB38_1756
; %bb.1751:
	s_mov_b32 s3, exec_lo
                                        ; implicit-def: $vgpr12
	v_cmpx_lt_u32_e32 0x387fffff, v14
	s_xor_b32 s3, exec_lo, s3
; %bb.1752:
	v_bfe_u32 v12, v11, 21, 1
	s_delay_alu instid0(VALU_DEP_1) | instskip(NEXT) | instid1(VALU_DEP_1)
	v_add3_u32 v12, v11, v12, 0x80fffff
	v_lshrrev_b32_e32 v12, 21, v12
; %bb.1753:
	s_and_not1_saveexec_b32 s3, s3
; %bb.1754:
	v_add_f32_e64 v12, 0x43000000, |v11|
; %bb.1755:
	s_or_b32 exec_lo, exec_lo, s3
                                        ; implicit-def: $vgpr14
.LBB38_1756:
	s_and_not1_saveexec_b32 s2, s2
; %bb.1757:
	v_mov_b32_e32 v12, 0x7f
	v_cmp_lt_u32_e32 vcc_lo, 0x7f800000, v14
	s_delay_alu instid0(VALU_DEP_2)
	v_cndmask_b32_e32 v12, 0x7c, v12, vcc_lo
; %bb.1758:
	s_or_b32 exec_lo, exec_lo, s2
	v_lshrrev_b32_e32 v11, 24, v11
	s_delay_alu instid0(VALU_DEP_1)
	v_and_or_b32 v11, 0x80, v11, v12
	global_store_b8 v[8:9], v11, off
.LBB38_1759:
	s_mov_b32 s2, 0
	s_mov_b32 s3, -1
.LBB38_1760:
	s_and_not1_b32 vcc_lo, exec_lo, s2
	s_mov_b32 s2, 0
	s_cbranch_vccnz .LBB38_1767
; %bb.1761:
	v_cmp_lt_i16_e32 vcc_lo, 14, v13
	s_mov_b32 s2, -1
	s_cbranch_vccz .LBB38_1765
; %bb.1762:
	v_cmp_eq_u16_e32 vcc_lo, 15, v13
	s_mov_b32 s0, -1
	s_cbranch_vccz .LBB38_1764
; %bb.1763:
	v_xor_b32_e32 v11, v2, v3
	v_cls_i32_e32 v12, v3
	s_mov_b32 s3, -1
	s_mov_b32 s0, 0
	s_delay_alu instid0(VALU_DEP_2) | instskip(NEXT) | instid1(VALU_DEP_2)
	v_ashrrev_i32_e32 v11, 31, v11
	v_add_nc_u32_e32 v12, -1, v12
	s_delay_alu instid0(VALU_DEP_2) | instskip(NEXT) | instid1(VALU_DEP_1)
	v_add_nc_u32_e32 v11, 32, v11
	v_min_u32_e32 v14, v12, v11
	s_delay_alu instid0(VALU_DEP_1) | instskip(NEXT) | instid1(VALU_DEP_1)
	v_lshlrev_b64 v[11:12], v14, v[2:3]
	v_min_u32_e32 v11, 1, v11
	s_delay_alu instid0(VALU_DEP_1) | instskip(SKIP_1) | instid1(VALU_DEP_2)
	v_or_b32_e32 v11, v12, v11
	v_sub_nc_u32_e32 v12, 32, v14
	v_cvt_f32_i32_e32 v11, v11
	s_delay_alu instid0(VALU_DEP_1) | instskip(NEXT) | instid1(VALU_DEP_1)
	v_ldexp_f32 v11, v11, v12
	v_bfe_u32 v12, v11, 16, 1
	s_delay_alu instid0(VALU_DEP_1)
	v_add3_u32 v11, v11, v12, 0x7fff
	global_store_d16_hi_b16 v[8:9], v11, off
.LBB38_1764:
	s_mov_b32 s2, 0
.LBB38_1765:
	s_delay_alu instid0(SALU_CYCLE_1)
	s_and_b32 vcc_lo, exec_lo, s2
	s_mov_b32 s2, 0
	s_cbranch_vccz .LBB38_1767
; %bb.1766:
	v_cmp_ne_u16_e64 s0, 11, v13
	s_mov_b32 s2, -1
.LBB38_1767:
	s_delay_alu instid0(VALU_DEP_1)
	s_and_b32 vcc_lo, exec_lo, s0
	s_cbranch_vccnz .LBB38_2023
; %bb.1768:
	s_and_not1_b32 vcc_lo, exec_lo, s2
	s_cbranch_vccnz .LBB38_1770
.LBB38_1769:
	v_cmp_ne_u64_e32 vcc_lo, -1, v[4:5]
	s_mov_b32 s3, -1
	v_cndmask_b32_e64 v4, 0, 1, vcc_lo
	global_store_b8 v[8:9], v4, off
.LBB38_1770:
	s_mov_b32 s0, 0
	s_branch .LBB38_1772
.LBB38_1771:
	s_mov_b32 s0, -1
	s_mov_b32 s3, 0
.LBB38_1772:
	s_and_b32 vcc_lo, exec_lo, s0
	s_cbranch_vccz .LBB38_1811
; %bb.1773:
	v_cmp_gt_i16_e32 vcc_lo, 5, v13
	s_mov_b32 s0, -1
	s_cbranch_vccnz .LBB38_1794
; %bb.1774:
	v_cmp_gt_i16_e32 vcc_lo, 8, v13
	s_cbranch_vccnz .LBB38_1784
; %bb.1775:
	v_cmp_gt_i16_e32 vcc_lo, 9, v13
	s_cbranch_vccnz .LBB38_1781
; %bb.1776:
	v_cmp_lt_i16_e32 vcc_lo, 9, v13
	s_cbranch_vccz .LBB38_1778
; %bb.1777:
	v_cvt_f64_i32_e32 v[4:5], v3
	v_cvt_f64_u32_e32 v[11:12], v2
	v_mov_b32_e32 v16, 0
	s_mov_b32 s0, 0
	s_delay_alu instid0(VALU_DEP_1) | instskip(NEXT) | instid1(VALU_DEP_4)
	v_mov_b32_e32 v17, v16
	v_ldexp_f64 v[4:5], v[4:5], 32
	s_delay_alu instid0(VALU_DEP_1)
	v_add_f64 v[14:15], v[4:5], v[11:12]
	global_store_b128 v[8:9], v[14:17], off
.LBB38_1778:
	s_and_not1_b32 vcc_lo, exec_lo, s0
	s_cbranch_vccnz .LBB38_1780
; %bb.1779:
	v_xor_b32_e32 v4, v2, v3
	v_cls_i32_e32 v5, v3
	s_delay_alu instid0(VALU_DEP_2) | instskip(NEXT) | instid1(VALU_DEP_2)
	v_ashrrev_i32_e32 v4, 31, v4
	v_add_nc_u32_e32 v5, -1, v5
	s_delay_alu instid0(VALU_DEP_2) | instskip(NEXT) | instid1(VALU_DEP_1)
	v_add_nc_u32_e32 v4, 32, v4
	v_min_u32_e32 v11, v5, v4
	s_delay_alu instid0(VALU_DEP_1) | instskip(NEXT) | instid1(VALU_DEP_1)
	v_lshlrev_b64 v[4:5], v11, v[2:3]
	v_min_u32_e32 v4, 1, v4
	s_delay_alu instid0(VALU_DEP_1) | instskip(SKIP_1) | instid1(VALU_DEP_2)
	v_or_b32_e32 v4, v5, v4
	v_sub_nc_u32_e32 v5, 32, v11
	v_cvt_f32_i32_e32 v4, v4
	s_delay_alu instid0(VALU_DEP_1)
	v_ldexp_f32 v4, v4, v5
	v_mov_b32_e32 v5, 0
	global_store_b64 v[8:9], v[4:5], off
.LBB38_1780:
	s_mov_b32 s0, 0
.LBB38_1781:
	s_delay_alu instid0(SALU_CYCLE_1)
	s_and_not1_b32 vcc_lo, exec_lo, s0
	s_cbranch_vccnz .LBB38_1783
; %bb.1782:
	v_xor_b32_e32 v4, v2, v3
	v_cls_i32_e32 v5, v3
	s_delay_alu instid0(VALU_DEP_2) | instskip(NEXT) | instid1(VALU_DEP_2)
	v_ashrrev_i32_e32 v4, 31, v4
	v_add_nc_u32_e32 v5, -1, v5
	s_delay_alu instid0(VALU_DEP_2) | instskip(NEXT) | instid1(VALU_DEP_1)
	v_add_nc_u32_e32 v4, 32, v4
	v_min_u32_e32 v11, v5, v4
	s_delay_alu instid0(VALU_DEP_1) | instskip(NEXT) | instid1(VALU_DEP_1)
	v_lshlrev_b64 v[4:5], v11, v[2:3]
	v_min_u32_e32 v4, 1, v4
	s_delay_alu instid0(VALU_DEP_1) | instskip(SKIP_1) | instid1(VALU_DEP_2)
	v_or_b32_e32 v4, v5, v4
	v_sub_nc_u32_e32 v5, 32, v11
	v_cvt_f32_i32_e32 v4, v4
	s_delay_alu instid0(VALU_DEP_1) | instskip(NEXT) | instid1(VALU_DEP_1)
	v_ldexp_f32 v4, v4, v5
	v_cvt_f16_f32_e32 v4, v4
	s_delay_alu instid0(VALU_DEP_1)
	v_and_b32_e32 v4, 0xffff, v4
	global_store_b32 v[8:9], v4, off
.LBB38_1783:
	s_mov_b32 s0, 0
.LBB38_1784:
	s_delay_alu instid0(SALU_CYCLE_1)
	s_and_not1_b32 vcc_lo, exec_lo, s0
	s_cbranch_vccnz .LBB38_1793
; %bb.1785:
	v_cmp_gt_i16_e32 vcc_lo, 6, v13
	s_mov_b32 s0, -1
	s_cbranch_vccnz .LBB38_1791
; %bb.1786:
	v_cmp_lt_i16_e32 vcc_lo, 6, v13
	s_cbranch_vccz .LBB38_1788
; %bb.1787:
	v_cvt_f64_i32_e32 v[4:5], v3
	v_cvt_f64_u32_e32 v[11:12], v2
	s_mov_b32 s0, 0
	s_delay_alu instid0(VALU_DEP_2) | instskip(NEXT) | instid1(VALU_DEP_1)
	v_ldexp_f64 v[4:5], v[4:5], 32
	v_add_f64 v[4:5], v[4:5], v[11:12]
	global_store_b64 v[8:9], v[4:5], off
.LBB38_1788:
	s_and_not1_b32 vcc_lo, exec_lo, s0
	s_cbranch_vccnz .LBB38_1790
; %bb.1789:
	v_xor_b32_e32 v4, v2, v3
	v_cls_i32_e32 v5, v3
	s_delay_alu instid0(VALU_DEP_2) | instskip(NEXT) | instid1(VALU_DEP_2)
	v_ashrrev_i32_e32 v4, 31, v4
	v_add_nc_u32_e32 v5, -1, v5
	s_delay_alu instid0(VALU_DEP_2) | instskip(NEXT) | instid1(VALU_DEP_1)
	v_add_nc_u32_e32 v4, 32, v4
	v_min_u32_e32 v11, v5, v4
	s_delay_alu instid0(VALU_DEP_1) | instskip(NEXT) | instid1(VALU_DEP_1)
	v_lshlrev_b64 v[4:5], v11, v[2:3]
	v_min_u32_e32 v4, 1, v4
	s_delay_alu instid0(VALU_DEP_1) | instskip(SKIP_1) | instid1(VALU_DEP_2)
	v_or_b32_e32 v4, v5, v4
	v_sub_nc_u32_e32 v5, 32, v11
	v_cvt_f32_i32_e32 v4, v4
	s_delay_alu instid0(VALU_DEP_1)
	v_ldexp_f32 v4, v4, v5
	global_store_b32 v[8:9], v4, off
.LBB38_1790:
	s_mov_b32 s0, 0
.LBB38_1791:
	s_delay_alu instid0(SALU_CYCLE_1)
	s_and_not1_b32 vcc_lo, exec_lo, s0
	s_cbranch_vccnz .LBB38_1793
; %bb.1792:
	v_xor_b32_e32 v4, v2, v3
	v_cls_i32_e32 v5, v3
	s_delay_alu instid0(VALU_DEP_2) | instskip(NEXT) | instid1(VALU_DEP_2)
	v_ashrrev_i32_e32 v4, 31, v4
	v_add_nc_u32_e32 v5, -1, v5
	s_delay_alu instid0(VALU_DEP_2) | instskip(NEXT) | instid1(VALU_DEP_1)
	v_add_nc_u32_e32 v4, 32, v4
	v_min_u32_e32 v11, v5, v4
	s_delay_alu instid0(VALU_DEP_1) | instskip(NEXT) | instid1(VALU_DEP_1)
	v_lshlrev_b64 v[4:5], v11, v[2:3]
	v_min_u32_e32 v4, 1, v4
	s_delay_alu instid0(VALU_DEP_1) | instskip(SKIP_1) | instid1(VALU_DEP_2)
	v_or_b32_e32 v4, v5, v4
	v_sub_nc_u32_e32 v5, 32, v11
	v_cvt_f32_i32_e32 v4, v4
	s_delay_alu instid0(VALU_DEP_1) | instskip(NEXT) | instid1(VALU_DEP_1)
	v_ldexp_f32 v4, v4, v5
	v_cvt_f16_f32_e32 v4, v4
	global_store_b16 v[8:9], v4, off
.LBB38_1793:
	s_mov_b32 s0, 0
.LBB38_1794:
	s_delay_alu instid0(SALU_CYCLE_1)
	s_and_not1_b32 vcc_lo, exec_lo, s0
	s_cbranch_vccnz .LBB38_1810
; %bb.1795:
	v_cmp_gt_i16_e32 vcc_lo, 2, v13
	s_mov_b32 s0, -1
	s_cbranch_vccnz .LBB38_1805
; %bb.1796:
	v_cmp_gt_i16_e32 vcc_lo, 3, v13
	s_cbranch_vccnz .LBB38_1802
; %bb.1797:
	v_cmp_lt_i16_e32 vcc_lo, 3, v13
	s_cbranch_vccz .LBB38_1799
; %bb.1798:
	s_mov_b32 s0, 0
	global_store_b64 v[8:9], v[2:3], off
.LBB38_1799:
	s_and_not1_b32 vcc_lo, exec_lo, s0
	s_cbranch_vccnz .LBB38_1801
; %bb.1800:
	global_store_b32 v[8:9], v2, off
.LBB38_1801:
	s_mov_b32 s0, 0
.LBB38_1802:
	s_delay_alu instid0(SALU_CYCLE_1)
	s_and_not1_b32 vcc_lo, exec_lo, s0
	s_cbranch_vccnz .LBB38_1804
; %bb.1803:
	global_store_b16 v[8:9], v2, off
.LBB38_1804:
	s_mov_b32 s0, 0
.LBB38_1805:
	s_delay_alu instid0(SALU_CYCLE_1)
	s_and_not1_b32 vcc_lo, exec_lo, s0
	s_cbranch_vccnz .LBB38_1810
; %bb.1806:
	v_cmp_lt_i16_e32 vcc_lo, 0, v13
	s_mov_b32 s0, -1
	s_cbranch_vccz .LBB38_1808
; %bb.1807:
	s_mov_b32 s0, 0
	global_store_b8 v[8:9], v2, off
.LBB38_1808:
	s_and_not1_b32 vcc_lo, exec_lo, s0
	s_cbranch_vccnz .LBB38_1810
; %bb.1809:
	global_store_b8 v[8:9], v2, off
.LBB38_1810:
	s_mov_b32 s3, -1
.LBB38_1811:
	s_delay_alu instid0(SALU_CYCLE_1)
	s_and_not1_b32 vcc_lo, exec_lo, s3
	s_cbranch_vccnz .LBB38_2007
; %bb.1812:
	v_add_nc_u32_e32 v8, s1, v10
	v_cmp_gt_i16_e32 vcc_lo, 11, v13
	v_not_b32_e32 v3, v7
	v_not_b32_e32 v2, v6
	s_delay_alu instid0(VALU_DEP_4) | instskip(SKIP_1) | instid1(VALU_DEP_1)
	v_ashrrev_i32_e32 v5, 31, v8
	v_add_co_u32 v4, s0, s4, v8
	v_add_co_ci_u32_e64 v5, s0, s5, v5, s0
	s_cbranch_vccnz .LBB38_1890
; %bb.1813:
	v_cmp_lt_i16_e32 vcc_lo, 25, v13
	s_mov_b32 s6, -1
	s_mov_b32 s2, 0
	s_mov_b32 s3, 0
	;; [unrolled: 1-line block ×3, first 2 shown]
	s_cbranch_vccz .LBB38_1846
; %bb.1814:
	v_cmp_lt_i16_e32 vcc_lo, 28, v13
	s_cbranch_vccz .LBB38_1829
; %bb.1815:
	v_cmp_lt_i16_e32 vcc_lo, 43, v13
	;; [unrolled: 3-line block ×3, first 2 shown]
	s_cbranch_vccz .LBB38_1819
; %bb.1817:
	v_cmp_eq_u16_e32 vcc_lo, 46, v13
	s_mov_b32 s0, -1
	s_mov_b32 s6, 0
	s_cbranch_vccz .LBB38_1819
; %bb.1818:
	v_xor_b32_e32 v9, v2, v3
	v_cls_i32_e32 v10, v3
	s_mov_b32 s3, -1
	s_mov_b32 s0, 0
	s_delay_alu instid0(VALU_DEP_2) | instskip(NEXT) | instid1(VALU_DEP_2)
	v_ashrrev_i32_e32 v9, 31, v9
	v_add_nc_u32_e32 v10, -1, v10
	s_delay_alu instid0(VALU_DEP_2) | instskip(NEXT) | instid1(VALU_DEP_1)
	v_add_nc_u32_e32 v9, 32, v9
	v_min_u32_e32 v11, v10, v9
	s_delay_alu instid0(VALU_DEP_1) | instskip(NEXT) | instid1(VALU_DEP_1)
	v_lshlrev_b64 v[9:10], v11, v[2:3]
	v_min_u32_e32 v9, 1, v9
	s_delay_alu instid0(VALU_DEP_1) | instskip(SKIP_1) | instid1(VALU_DEP_2)
	v_or_b32_e32 v9, v10, v9
	v_sub_nc_u32_e32 v10, 32, v11
	v_cvt_f32_i32_e32 v9, v9
	s_delay_alu instid0(VALU_DEP_1) | instskip(NEXT) | instid1(VALU_DEP_1)
	v_ldexp_f32 v9, v9, v10
	v_bfe_u32 v10, v9, 16, 1
	s_delay_alu instid0(VALU_DEP_1) | instskip(NEXT) | instid1(VALU_DEP_1)
	v_add3_u32 v9, v9, v10, 0x7fff
	v_lshrrev_b32_e32 v9, 16, v9
	global_store_b32 v[4:5], v9, off
.LBB38_1819:
	s_and_b32 vcc_lo, exec_lo, s6
	s_cbranch_vccz .LBB38_1824
; %bb.1820:
	v_cmp_eq_u16_e32 vcc_lo, 44, v13
	s_mov_b32 s0, -1
	s_cbranch_vccz .LBB38_1824
; %bb.1821:
	v_xor_b32_e32 v9, v2, v3
	v_cls_i32_e32 v10, v3
	s_mov_b32 s3, -1
	s_mov_b32 s6, exec_lo
	s_delay_alu instid0(VALU_DEP_2) | instskip(NEXT) | instid1(VALU_DEP_2)
	v_ashrrev_i32_e32 v9, 31, v9
	v_add_nc_u32_e32 v10, -1, v10
	s_delay_alu instid0(VALU_DEP_2) | instskip(NEXT) | instid1(VALU_DEP_1)
	v_add_nc_u32_e32 v9, 32, v9
	v_min_u32_e32 v11, v10, v9
	s_delay_alu instid0(VALU_DEP_1) | instskip(NEXT) | instid1(VALU_DEP_1)
	v_lshlrev_b64 v[9:10], v11, v[2:3]
	v_min_u32_e32 v9, 1, v9
	s_delay_alu instid0(VALU_DEP_1) | instskip(SKIP_1) | instid1(VALU_DEP_2)
	v_or_b32_e32 v9, v10, v9
	v_sub_nc_u32_e32 v10, 32, v11
	v_cvt_f32_i32_e32 v9, v9
	s_delay_alu instid0(VALU_DEP_1) | instskip(SKIP_1) | instid1(VALU_DEP_2)
	v_ldexp_f32 v9, v9, v10
	v_mov_b32_e32 v10, 0xff
	v_bfe_u32 v11, v9, 23, 8
	s_delay_alu instid0(VALU_DEP_1)
	v_cmpx_ne_u32_e32 0xff, v11
; %bb.1822:
	v_and_b32_e32 v10, 0x400000, v9
	v_and_or_b32 v11, 0x3fffff, v9, v11
	v_lshrrev_b32_e32 v9, 23, v9
	s_delay_alu instid0(VALU_DEP_3) | instskip(NEXT) | instid1(VALU_DEP_3)
	v_cmp_ne_u32_e32 vcc_lo, 0, v10
	v_cmp_ne_u32_e64 s0, 0, v11
	s_delay_alu instid0(VALU_DEP_1) | instskip(NEXT) | instid1(SALU_CYCLE_1)
	s_and_b32 s0, vcc_lo, s0
	v_cndmask_b32_e64 v10, 0, 1, s0
	s_delay_alu instid0(VALU_DEP_1)
	v_add_nc_u32_e32 v10, v9, v10
; %bb.1823:
	s_or_b32 exec_lo, exec_lo, s6
	s_mov_b32 s0, 0
	global_store_b8 v[4:5], v10, off
.LBB38_1824:
	s_mov_b32 s6, 0
.LBB38_1825:
	s_delay_alu instid0(SALU_CYCLE_1)
	s_and_b32 vcc_lo, exec_lo, s6
	s_cbranch_vccz .LBB38_1828
; %bb.1826:
	v_cmp_eq_u16_e32 vcc_lo, 29, v13
	s_mov_b32 s0, -1
	s_cbranch_vccz .LBB38_1828
; %bb.1827:
	s_mov_b32 s0, 0
	s_mov_b32 s3, -1
	global_store_b64 v[4:5], v[2:3], off
.LBB38_1828:
	s_mov_b32 s6, 0
.LBB38_1829:
	s_delay_alu instid0(SALU_CYCLE_1)
	s_and_b32 vcc_lo, exec_lo, s6
	s_cbranch_vccz .LBB38_1845
; %bb.1830:
	v_cmp_gt_i16_e32 vcc_lo, 27, v13
	s_mov_b32 s3, -1
	s_cbranch_vccnz .LBB38_1836
; %bb.1831:
	v_cmp_lt_i16_e32 vcc_lo, 27, v13
	s_cbranch_vccz .LBB38_1833
; %bb.1832:
	s_mov_b32 s3, 0
	global_store_b32 v[4:5], v2, off
.LBB38_1833:
	s_and_not1_b32 vcc_lo, exec_lo, s3
	s_cbranch_vccnz .LBB38_1835
; %bb.1834:
	global_store_b16 v[4:5], v2, off
.LBB38_1835:
	s_mov_b32 s3, 0
.LBB38_1836:
	s_delay_alu instid0(SALU_CYCLE_1)
	s_and_not1_b32 vcc_lo, exec_lo, s3
	s_cbranch_vccnz .LBB38_1844
; %bb.1837:
	v_xor_b32_e32 v9, v2, v3
	v_cls_i32_e32 v10, v3
	s_mov_b32 s3, exec_lo
	s_delay_alu instid0(VALU_DEP_2) | instskip(NEXT) | instid1(VALU_DEP_2)
	v_ashrrev_i32_e32 v9, 31, v9
	v_add_nc_u32_e32 v10, -1, v10
	s_delay_alu instid0(VALU_DEP_2) | instskip(NEXT) | instid1(VALU_DEP_1)
	v_add_nc_u32_e32 v9, 32, v9
	v_min_u32_e32 v11, v10, v9
	s_delay_alu instid0(VALU_DEP_1) | instskip(NEXT) | instid1(VALU_DEP_1)
	v_lshlrev_b64 v[9:10], v11, v[2:3]
	v_min_u32_e32 v9, 1, v9
	s_delay_alu instid0(VALU_DEP_1) | instskip(SKIP_2) | instid1(VALU_DEP_3)
	v_or_b32_e32 v9, v10, v9
	v_sub_nc_u32_e32 v10, 32, v11
	v_mov_b32_e32 v11, 0x80
	v_cvt_f32_i32_e32 v9, v9
	s_delay_alu instid0(VALU_DEP_1) | instskip(NEXT) | instid1(VALU_DEP_1)
	v_ldexp_f32 v9, v9, v10
	v_and_b32_e32 v10, 0x7fffffff, v9
	s_delay_alu instid0(VALU_DEP_1)
	v_cmpx_gt_u32_e32 0x43800000, v10
	s_cbranch_execz .LBB38_1843
; %bb.1838:
	v_cmp_lt_u32_e32 vcc_lo, 0x3bffffff, v10
	s_mov_b32 s6, 0
                                        ; implicit-def: $vgpr10
	s_and_saveexec_b32 s7, vcc_lo
	s_delay_alu instid0(SALU_CYCLE_1)
	s_xor_b32 s7, exec_lo, s7
	s_cbranch_execz .LBB38_2027
; %bb.1839:
	v_bfe_u32 v10, v9, 20, 1
	s_mov_b32 s6, exec_lo
	s_delay_alu instid0(VALU_DEP_1) | instskip(NEXT) | instid1(VALU_DEP_1)
	v_add3_u32 v10, v9, v10, 0x487ffff
	v_lshrrev_b32_e32 v10, 20, v10
	s_or_saveexec_b32 s7, s7
                                        ; implicit-def: $sgpr11
	s_delay_alu instid0(SALU_CYCLE_1)
	s_xor_b32 exec_lo, exec_lo, s7
	s_cbranch_execnz .LBB38_2028
.LBB38_1840:
	s_or_b32 exec_lo, exec_lo, s7
	v_mov_b32_e32 v11, s11
	s_and_saveexec_b32 s7, s6
.LBB38_1841:
	v_lshrrev_b32_e32 v9, 24, v9
	s_delay_alu instid0(VALU_DEP_1)
	v_and_or_b32 v11, 0x80, v9, v10
.LBB38_1842:
	s_or_b32 exec_lo, exec_lo, s7
.LBB38_1843:
	s_delay_alu instid0(SALU_CYCLE_1)
	s_or_b32 exec_lo, exec_lo, s3
	global_store_b8 v[4:5], v11, off
.LBB38_1844:
	s_mov_b32 s3, -1
.LBB38_1845:
	s_mov_b32 s6, 0
.LBB38_1846:
	s_delay_alu instid0(SALU_CYCLE_1)
	s_and_b32 vcc_lo, exec_lo, s6
	s_cbranch_vccz .LBB38_1886
; %bb.1847:
	v_cmp_lt_i16_e32 vcc_lo, 22, v13
	s_mov_b32 s2, -1
	s_cbranch_vccz .LBB38_1879
; %bb.1848:
	v_cmp_gt_i16_e32 vcc_lo, 24, v13
	s_cbranch_vccnz .LBB38_1868
; %bb.1849:
	v_cmp_lt_i16_e32 vcc_lo, 24, v13
	s_cbranch_vccz .LBB38_1857
; %bb.1850:
	v_xor_b32_e32 v9, v2, v3
	v_cls_i32_e32 v10, v3
	s_mov_b32 s2, exec_lo
	s_delay_alu instid0(VALU_DEP_2) | instskip(NEXT) | instid1(VALU_DEP_2)
	v_ashrrev_i32_e32 v9, 31, v9
	v_add_nc_u32_e32 v10, -1, v10
	s_delay_alu instid0(VALU_DEP_2) | instskip(NEXT) | instid1(VALU_DEP_1)
	v_add_nc_u32_e32 v9, 32, v9
	v_min_u32_e32 v11, v10, v9
	s_delay_alu instid0(VALU_DEP_1) | instskip(NEXT) | instid1(VALU_DEP_1)
	v_lshlrev_b64 v[9:10], v11, v[2:3]
	v_min_u32_e32 v9, 1, v9
	s_delay_alu instid0(VALU_DEP_1) | instskip(SKIP_2) | instid1(VALU_DEP_3)
	v_or_b32_e32 v9, v10, v9
	v_sub_nc_u32_e32 v10, 32, v11
	v_mov_b32_e32 v11, 0x80
	v_cvt_f32_i32_e32 v9, v9
	s_delay_alu instid0(VALU_DEP_1) | instskip(NEXT) | instid1(VALU_DEP_1)
	v_ldexp_f32 v9, v9, v10
	v_and_b32_e32 v10, 0x7fffffff, v9
	s_delay_alu instid0(VALU_DEP_1)
	v_cmpx_gt_u32_e32 0x47800000, v10
	s_cbranch_execz .LBB38_1856
; %bb.1851:
	v_cmp_lt_u32_e32 vcc_lo, 0x37ffffff, v10
	s_mov_b32 s3, 0
                                        ; implicit-def: $vgpr10
	s_and_saveexec_b32 s6, vcc_lo
	s_delay_alu instid0(SALU_CYCLE_1)
	s_xor_b32 s6, exec_lo, s6
	s_cbranch_execz .LBB38_2033
; %bb.1852:
	v_bfe_u32 v10, v9, 21, 1
	s_mov_b32 s3, exec_lo
	s_delay_alu instid0(VALU_DEP_1) | instskip(NEXT) | instid1(VALU_DEP_1)
	v_add3_u32 v10, v9, v10, 0x88fffff
	v_lshrrev_b32_e32 v10, 21, v10
	s_or_saveexec_b32 s6, s6
                                        ; implicit-def: $sgpr7
	s_delay_alu instid0(SALU_CYCLE_1)
	s_xor_b32 exec_lo, exec_lo, s6
	s_cbranch_execnz .LBB38_2034
.LBB38_1853:
	s_or_b32 exec_lo, exec_lo, s6
	v_mov_b32_e32 v11, s7
	s_and_saveexec_b32 s6, s3
.LBB38_1854:
	v_lshrrev_b32_e32 v9, 24, v9
	s_delay_alu instid0(VALU_DEP_1)
	v_and_or_b32 v11, 0x80, v9, v10
.LBB38_1855:
	s_or_b32 exec_lo, exec_lo, s6
.LBB38_1856:
	s_delay_alu instid0(SALU_CYCLE_1)
	s_or_b32 exec_lo, exec_lo, s2
	s_mov_b32 s2, 0
	global_store_b8 v[4:5], v11, off
.LBB38_1857:
	s_and_b32 vcc_lo, exec_lo, s2
	s_cbranch_vccz .LBB38_1867
; %bb.1858:
	v_xor_b32_e32 v9, v2, v3
	v_cls_i32_e32 v10, v3
	s_mov_b32 s2, exec_lo
	s_delay_alu instid0(VALU_DEP_2) | instskip(NEXT) | instid1(VALU_DEP_2)
	v_ashrrev_i32_e32 v9, 31, v9
	v_add_nc_u32_e32 v10, -1, v10
	s_delay_alu instid0(VALU_DEP_2) | instskip(NEXT) | instid1(VALU_DEP_1)
	v_add_nc_u32_e32 v9, 32, v9
	v_min_u32_e32 v11, v10, v9
	s_delay_alu instid0(VALU_DEP_1) | instskip(NEXT) | instid1(VALU_DEP_1)
	v_lshlrev_b64 v[9:10], v11, v[2:3]
	v_min_u32_e32 v9, 1, v9
	s_delay_alu instid0(VALU_DEP_1) | instskip(SKIP_1) | instid1(VALU_DEP_2)
	v_or_b32_e32 v9, v10, v9
	v_sub_nc_u32_e32 v10, 32, v11
	v_cvt_f32_i32_e32 v9, v9
	s_delay_alu instid0(VALU_DEP_1) | instskip(NEXT) | instid1(VALU_DEP_1)
	v_ldexp_f32 v9, v9, v10
                                        ; implicit-def: $vgpr10
	v_and_b32_e32 v11, 0x7fffffff, v9
	s_delay_alu instid0(VALU_DEP_1)
	v_cmpx_gt_u32_e32 0x43f00000, v11
	s_xor_b32 s2, exec_lo, s2
	s_cbranch_execz .LBB38_1864
; %bb.1859:
	s_mov_b32 s3, exec_lo
                                        ; implicit-def: $vgpr10
	v_cmpx_lt_u32_e32 0x3c7fffff, v11
	s_xor_b32 s3, exec_lo, s3
; %bb.1860:
	v_bfe_u32 v10, v9, 20, 1
	s_delay_alu instid0(VALU_DEP_1) | instskip(NEXT) | instid1(VALU_DEP_1)
	v_add3_u32 v10, v9, v10, 0x407ffff
	v_and_b32_e32 v11, 0xff00000, v10
	v_lshrrev_b32_e32 v10, 20, v10
	s_delay_alu instid0(VALU_DEP_2) | instskip(NEXT) | instid1(VALU_DEP_2)
	v_cmp_ne_u32_e32 vcc_lo, 0x7f00000, v11
	v_cndmask_b32_e32 v10, 0x7e, v10, vcc_lo
; %bb.1861:
	s_and_not1_saveexec_b32 s3, s3
; %bb.1862:
	v_add_f32_e64 v10, 0x46800000, |v9|
; %bb.1863:
	s_or_b32 exec_lo, exec_lo, s3
                                        ; implicit-def: $vgpr11
.LBB38_1864:
	s_and_not1_saveexec_b32 s2, s2
; %bb.1865:
	v_mov_b32_e32 v10, 0x7f
	v_cmp_lt_u32_e32 vcc_lo, 0x7f800000, v11
	s_delay_alu instid0(VALU_DEP_2)
	v_cndmask_b32_e32 v10, 0x7e, v10, vcc_lo
; %bb.1866:
	s_or_b32 exec_lo, exec_lo, s2
	v_lshrrev_b32_e32 v9, 24, v9
	s_delay_alu instid0(VALU_DEP_1)
	v_and_or_b32 v9, 0x80, v9, v10
	global_store_b8 v[4:5], v9, off
.LBB38_1867:
	s_mov_b32 s2, 0
.LBB38_1868:
	s_delay_alu instid0(SALU_CYCLE_1)
	s_and_not1_b32 vcc_lo, exec_lo, s2
	s_cbranch_vccnz .LBB38_1878
; %bb.1869:
	v_xor_b32_e32 v9, v2, v3
	v_cls_i32_e32 v10, v3
	s_mov_b32 s2, exec_lo
	s_delay_alu instid0(VALU_DEP_2) | instskip(NEXT) | instid1(VALU_DEP_2)
	v_ashrrev_i32_e32 v9, 31, v9
	v_add_nc_u32_e32 v10, -1, v10
	s_delay_alu instid0(VALU_DEP_2) | instskip(NEXT) | instid1(VALU_DEP_1)
	v_add_nc_u32_e32 v9, 32, v9
	v_min_u32_e32 v11, v10, v9
	s_delay_alu instid0(VALU_DEP_1) | instskip(NEXT) | instid1(VALU_DEP_1)
	v_lshlrev_b64 v[9:10], v11, v[2:3]
	v_min_u32_e32 v9, 1, v9
	s_delay_alu instid0(VALU_DEP_1) | instskip(SKIP_1) | instid1(VALU_DEP_2)
	v_or_b32_e32 v9, v10, v9
	v_sub_nc_u32_e32 v10, 32, v11
	v_cvt_f32_i32_e32 v9, v9
	s_delay_alu instid0(VALU_DEP_1) | instskip(NEXT) | instid1(VALU_DEP_1)
	v_ldexp_f32 v9, v9, v10
                                        ; implicit-def: $vgpr10
	v_and_b32_e32 v11, 0x7fffffff, v9
	s_delay_alu instid0(VALU_DEP_1)
	v_cmpx_gt_u32_e32 0x47800000, v11
	s_xor_b32 s2, exec_lo, s2
	s_cbranch_execz .LBB38_1875
; %bb.1870:
	s_mov_b32 s3, exec_lo
                                        ; implicit-def: $vgpr10
	v_cmpx_lt_u32_e32 0x387fffff, v11
	s_xor_b32 s3, exec_lo, s3
; %bb.1871:
	v_bfe_u32 v10, v9, 21, 1
	s_delay_alu instid0(VALU_DEP_1) | instskip(NEXT) | instid1(VALU_DEP_1)
	v_add3_u32 v10, v9, v10, 0x80fffff
	v_lshrrev_b32_e32 v10, 21, v10
; %bb.1872:
	s_and_not1_saveexec_b32 s3, s3
; %bb.1873:
	v_add_f32_e64 v10, 0x43000000, |v9|
; %bb.1874:
	s_or_b32 exec_lo, exec_lo, s3
                                        ; implicit-def: $vgpr11
.LBB38_1875:
	s_and_not1_saveexec_b32 s2, s2
; %bb.1876:
	v_mov_b32_e32 v10, 0x7f
	v_cmp_lt_u32_e32 vcc_lo, 0x7f800000, v11
	s_delay_alu instid0(VALU_DEP_2)
	v_cndmask_b32_e32 v10, 0x7c, v10, vcc_lo
; %bb.1877:
	s_or_b32 exec_lo, exec_lo, s2
	v_lshrrev_b32_e32 v9, 24, v9
	s_delay_alu instid0(VALU_DEP_1)
	v_and_or_b32 v9, 0x80, v9, v10
	global_store_b8 v[4:5], v9, off
.LBB38_1878:
	s_mov_b32 s2, 0
	s_mov_b32 s3, -1
.LBB38_1879:
	s_and_not1_b32 vcc_lo, exec_lo, s2
	s_mov_b32 s2, 0
	s_cbranch_vccnz .LBB38_1886
; %bb.1880:
	v_cmp_lt_i16_e32 vcc_lo, 14, v13
	s_mov_b32 s2, -1
	s_cbranch_vccz .LBB38_1884
; %bb.1881:
	v_cmp_eq_u16_e32 vcc_lo, 15, v13
	s_mov_b32 s0, -1
	s_cbranch_vccz .LBB38_1883
; %bb.1882:
	v_xor_b32_e32 v9, v2, v3
	v_cls_i32_e32 v10, v3
	s_mov_b32 s3, -1
	s_mov_b32 s0, 0
	s_delay_alu instid0(VALU_DEP_2) | instskip(NEXT) | instid1(VALU_DEP_2)
	v_ashrrev_i32_e32 v9, 31, v9
	v_add_nc_u32_e32 v10, -1, v10
	s_delay_alu instid0(VALU_DEP_2) | instskip(NEXT) | instid1(VALU_DEP_1)
	v_add_nc_u32_e32 v9, 32, v9
	v_min_u32_e32 v11, v10, v9
	s_delay_alu instid0(VALU_DEP_1) | instskip(NEXT) | instid1(VALU_DEP_1)
	v_lshlrev_b64 v[9:10], v11, v[2:3]
	v_min_u32_e32 v9, 1, v9
	s_delay_alu instid0(VALU_DEP_1) | instskip(SKIP_1) | instid1(VALU_DEP_2)
	v_or_b32_e32 v9, v10, v9
	v_sub_nc_u32_e32 v10, 32, v11
	v_cvt_f32_i32_e32 v9, v9
	s_delay_alu instid0(VALU_DEP_1) | instskip(NEXT) | instid1(VALU_DEP_1)
	v_ldexp_f32 v9, v9, v10
	v_bfe_u32 v10, v9, 16, 1
	s_delay_alu instid0(VALU_DEP_1)
	v_add3_u32 v9, v9, v10, 0x7fff
	global_store_d16_hi_b16 v[4:5], v9, off
.LBB38_1883:
	s_mov_b32 s2, 0
.LBB38_1884:
	s_delay_alu instid0(SALU_CYCLE_1)
	s_and_b32 vcc_lo, exec_lo, s2
	s_mov_b32 s2, 0
	s_cbranch_vccz .LBB38_1886
; %bb.1885:
	v_cmp_ne_u16_e64 s0, 11, v13
	s_mov_b32 s2, -1
.LBB38_1886:
	s_delay_alu instid0(VALU_DEP_1)
	s_and_b32 vcc_lo, exec_lo, s0
	s_cbranch_vccnz .LBB38_2031
; %bb.1887:
	s_and_not1_b32 vcc_lo, exec_lo, s2
	s_cbranch_vccnz .LBB38_1889
.LBB38_1888:
	v_cmp_ne_u64_e32 vcc_lo, -1, v[6:7]
	s_mov_b32 s3, -1
	v_cndmask_b32_e64 v6, 0, 1, vcc_lo
	global_store_b8 v[4:5], v6, off
.LBB38_1889:
	s_mov_b32 s0, 0
	s_branch .LBB38_1891
.LBB38_1890:
	s_mov_b32 s0, -1
	s_mov_b32 s3, 0
.LBB38_1891:
	s_and_b32 vcc_lo, exec_lo, s0
	s_cbranch_vccz .LBB38_1930
; %bb.1892:
	v_cmp_gt_i16_e32 vcc_lo, 5, v13
	s_mov_b32 s0, -1
	s_cbranch_vccnz .LBB38_1913
; %bb.1893:
	v_cmp_gt_i16_e32 vcc_lo, 8, v13
	s_cbranch_vccnz .LBB38_1903
; %bb.1894:
	v_cmp_gt_i16_e32 vcc_lo, 9, v13
	s_cbranch_vccnz .LBB38_1900
; %bb.1895:
	v_cmp_lt_i16_e32 vcc_lo, 9, v13
	s_cbranch_vccz .LBB38_1897
; %bb.1896:
	v_cvt_f64_i32_e32 v[6:7], v3
	v_cvt_f64_u32_e32 v[9:10], v2
	v_mov_b32_e32 v11, 0
	s_mov_b32 s0, 0
	s_delay_alu instid0(VALU_DEP_1) | instskip(NEXT) | instid1(VALU_DEP_4)
	v_mov_b32_e32 v12, v11
	v_ldexp_f64 v[6:7], v[6:7], 32
	s_delay_alu instid0(VALU_DEP_1)
	v_add_f64 v[9:10], v[6:7], v[9:10]
	global_store_b128 v[4:5], v[9:12], off
.LBB38_1897:
	s_and_not1_b32 vcc_lo, exec_lo, s0
	s_cbranch_vccnz .LBB38_1899
; %bb.1898:
	v_xor_b32_e32 v6, v2, v3
	v_cls_i32_e32 v7, v3
	s_delay_alu instid0(VALU_DEP_2) | instskip(NEXT) | instid1(VALU_DEP_2)
	v_ashrrev_i32_e32 v6, 31, v6
	v_add_nc_u32_e32 v7, -1, v7
	s_delay_alu instid0(VALU_DEP_2) | instskip(NEXT) | instid1(VALU_DEP_1)
	v_add_nc_u32_e32 v6, 32, v6
	v_min_u32_e32 v9, v7, v6
	s_delay_alu instid0(VALU_DEP_1) | instskip(NEXT) | instid1(VALU_DEP_1)
	v_lshlrev_b64 v[6:7], v9, v[2:3]
	v_min_u32_e32 v6, 1, v6
	s_delay_alu instid0(VALU_DEP_1) | instskip(SKIP_1) | instid1(VALU_DEP_2)
	v_or_b32_e32 v6, v7, v6
	v_sub_nc_u32_e32 v7, 32, v9
	v_cvt_f32_i32_e32 v6, v6
	s_delay_alu instid0(VALU_DEP_1)
	v_ldexp_f32 v6, v6, v7
	v_mov_b32_e32 v7, 0
	global_store_b64 v[4:5], v[6:7], off
.LBB38_1899:
	s_mov_b32 s0, 0
.LBB38_1900:
	s_delay_alu instid0(SALU_CYCLE_1)
	s_and_not1_b32 vcc_lo, exec_lo, s0
	s_cbranch_vccnz .LBB38_1902
; %bb.1901:
	v_xor_b32_e32 v6, v2, v3
	v_cls_i32_e32 v7, v3
	s_delay_alu instid0(VALU_DEP_2) | instskip(NEXT) | instid1(VALU_DEP_2)
	v_ashrrev_i32_e32 v6, 31, v6
	v_add_nc_u32_e32 v7, -1, v7
	s_delay_alu instid0(VALU_DEP_2) | instskip(NEXT) | instid1(VALU_DEP_1)
	v_add_nc_u32_e32 v6, 32, v6
	v_min_u32_e32 v9, v7, v6
	s_delay_alu instid0(VALU_DEP_1) | instskip(NEXT) | instid1(VALU_DEP_1)
	v_lshlrev_b64 v[6:7], v9, v[2:3]
	v_min_u32_e32 v6, 1, v6
	s_delay_alu instid0(VALU_DEP_1) | instskip(SKIP_1) | instid1(VALU_DEP_2)
	v_or_b32_e32 v6, v7, v6
	v_sub_nc_u32_e32 v7, 32, v9
	v_cvt_f32_i32_e32 v6, v6
	s_delay_alu instid0(VALU_DEP_1) | instskip(NEXT) | instid1(VALU_DEP_1)
	v_ldexp_f32 v6, v6, v7
	v_cvt_f16_f32_e32 v6, v6
	s_delay_alu instid0(VALU_DEP_1)
	v_and_b32_e32 v6, 0xffff, v6
	global_store_b32 v[4:5], v6, off
.LBB38_1902:
	s_mov_b32 s0, 0
.LBB38_1903:
	s_delay_alu instid0(SALU_CYCLE_1)
	s_and_not1_b32 vcc_lo, exec_lo, s0
	s_cbranch_vccnz .LBB38_1912
; %bb.1904:
	v_cmp_gt_i16_e32 vcc_lo, 6, v13
	s_mov_b32 s0, -1
	s_cbranch_vccnz .LBB38_1910
; %bb.1905:
	v_cmp_lt_i16_e32 vcc_lo, 6, v13
	s_cbranch_vccz .LBB38_1907
; %bb.1906:
	v_cvt_f64_i32_e32 v[6:7], v3
	v_cvt_f64_u32_e32 v[9:10], v2
	s_mov_b32 s0, 0
	s_delay_alu instid0(VALU_DEP_2) | instskip(NEXT) | instid1(VALU_DEP_1)
	v_ldexp_f64 v[6:7], v[6:7], 32
	v_add_f64 v[6:7], v[6:7], v[9:10]
	global_store_b64 v[4:5], v[6:7], off
.LBB38_1907:
	s_and_not1_b32 vcc_lo, exec_lo, s0
	s_cbranch_vccnz .LBB38_1909
; %bb.1908:
	v_xor_b32_e32 v6, v2, v3
	v_cls_i32_e32 v7, v3
	s_delay_alu instid0(VALU_DEP_2) | instskip(NEXT) | instid1(VALU_DEP_2)
	v_ashrrev_i32_e32 v6, 31, v6
	v_add_nc_u32_e32 v7, -1, v7
	s_delay_alu instid0(VALU_DEP_2) | instskip(NEXT) | instid1(VALU_DEP_1)
	v_add_nc_u32_e32 v6, 32, v6
	v_min_u32_e32 v9, v7, v6
	s_delay_alu instid0(VALU_DEP_1) | instskip(NEXT) | instid1(VALU_DEP_1)
	v_lshlrev_b64 v[6:7], v9, v[2:3]
	v_min_u32_e32 v6, 1, v6
	s_delay_alu instid0(VALU_DEP_1) | instskip(SKIP_1) | instid1(VALU_DEP_2)
	v_or_b32_e32 v6, v7, v6
	v_sub_nc_u32_e32 v7, 32, v9
	v_cvt_f32_i32_e32 v6, v6
	s_delay_alu instid0(VALU_DEP_1)
	v_ldexp_f32 v6, v6, v7
	global_store_b32 v[4:5], v6, off
.LBB38_1909:
	s_mov_b32 s0, 0
.LBB38_1910:
	s_delay_alu instid0(SALU_CYCLE_1)
	s_and_not1_b32 vcc_lo, exec_lo, s0
	s_cbranch_vccnz .LBB38_1912
; %bb.1911:
	v_xor_b32_e32 v6, v2, v3
	v_cls_i32_e32 v7, v3
	s_delay_alu instid0(VALU_DEP_2) | instskip(NEXT) | instid1(VALU_DEP_2)
	v_ashrrev_i32_e32 v6, 31, v6
	v_add_nc_u32_e32 v7, -1, v7
	s_delay_alu instid0(VALU_DEP_2) | instskip(NEXT) | instid1(VALU_DEP_1)
	v_add_nc_u32_e32 v6, 32, v6
	v_min_u32_e32 v9, v7, v6
	s_delay_alu instid0(VALU_DEP_1) | instskip(NEXT) | instid1(VALU_DEP_1)
	v_lshlrev_b64 v[6:7], v9, v[2:3]
	v_min_u32_e32 v6, 1, v6
	s_delay_alu instid0(VALU_DEP_1) | instskip(SKIP_1) | instid1(VALU_DEP_2)
	v_or_b32_e32 v6, v7, v6
	v_sub_nc_u32_e32 v7, 32, v9
	v_cvt_f32_i32_e32 v6, v6
	s_delay_alu instid0(VALU_DEP_1) | instskip(NEXT) | instid1(VALU_DEP_1)
	v_ldexp_f32 v6, v6, v7
	v_cvt_f16_f32_e32 v6, v6
	global_store_b16 v[4:5], v6, off
.LBB38_1912:
	s_mov_b32 s0, 0
.LBB38_1913:
	s_delay_alu instid0(SALU_CYCLE_1)
	s_and_not1_b32 vcc_lo, exec_lo, s0
	s_cbranch_vccnz .LBB38_1929
; %bb.1914:
	v_cmp_gt_i16_e32 vcc_lo, 2, v13
	s_mov_b32 s0, -1
	s_cbranch_vccnz .LBB38_1924
; %bb.1915:
	v_cmp_gt_i16_e32 vcc_lo, 3, v13
	s_cbranch_vccnz .LBB38_1921
; %bb.1916:
	v_cmp_lt_i16_e32 vcc_lo, 3, v13
	s_cbranch_vccz .LBB38_1918
; %bb.1917:
	s_mov_b32 s0, 0
	global_store_b64 v[4:5], v[2:3], off
.LBB38_1918:
	s_and_not1_b32 vcc_lo, exec_lo, s0
	s_cbranch_vccnz .LBB38_1920
; %bb.1919:
	global_store_b32 v[4:5], v2, off
.LBB38_1920:
	s_mov_b32 s0, 0
.LBB38_1921:
	s_delay_alu instid0(SALU_CYCLE_1)
	s_and_not1_b32 vcc_lo, exec_lo, s0
	s_cbranch_vccnz .LBB38_1923
; %bb.1922:
	global_store_b16 v[4:5], v2, off
.LBB38_1923:
	s_mov_b32 s0, 0
.LBB38_1924:
	s_delay_alu instid0(SALU_CYCLE_1)
	s_and_not1_b32 vcc_lo, exec_lo, s0
	s_cbranch_vccnz .LBB38_1929
; %bb.1925:
	v_cmp_lt_i16_e32 vcc_lo, 0, v13
	s_mov_b32 s0, -1
	s_cbranch_vccz .LBB38_1927
; %bb.1926:
	s_mov_b32 s0, 0
	global_store_b8 v[4:5], v2, off
.LBB38_1927:
	s_and_not1_b32 vcc_lo, exec_lo, s0
	s_cbranch_vccnz .LBB38_1929
; %bb.1928:
	global_store_b8 v[4:5], v2, off
.LBB38_1929:
	s_mov_b32 s3, -1
.LBB38_1930:
	s_delay_alu instid0(SALU_CYCLE_1)
	s_and_not1_b32 vcc_lo, exec_lo, s3
	s_cbranch_vccnz .LBB38_2007
; %bb.1931:
	v_add_nc_u32_e32 v2, s1, v8
	v_cmp_gt_i16_e32 vcc_lo, 11, v13
	v_not_b32_e32 v5, v1
	v_not_b32_e32 v4, v0
	s_delay_alu instid0(VALU_DEP_4) | instskip(SKIP_1) | instid1(VALU_DEP_1)
	v_ashrrev_i32_e32 v3, 31, v2
	v_add_co_u32 v2, s0, s4, v2
	v_add_co_ci_u32_e64 v3, s0, s5, v3, s0
	s_cbranch_vccnz .LBB38_2008
; %bb.1932:
	v_cmp_lt_i16_e32 vcc_lo, 25, v13
	s_mov_b32 s2, -1
	s_mov_b32 s1, 0
	s_mov_b32 s0, 0
	s_cbranch_vccz .LBB38_1965
; %bb.1933:
	v_cmp_lt_i16_e32 vcc_lo, 28, v13
	s_cbranch_vccz .LBB38_1949
; %bb.1934:
	v_cmp_lt_i16_e32 vcc_lo, 43, v13
	;; [unrolled: 3-line block ×3, first 2 shown]
	s_cbranch_vccz .LBB38_1939
; %bb.1936:
	v_cmp_eq_u16_e32 vcc_lo, 46, v13
	s_mov_b32 s0, -1
	s_cbranch_vccz .LBB38_1938
; %bb.1937:
	v_xor_b32_e32 v6, v4, v5
	v_cls_i32_e32 v7, v5
	s_mov_b32 s0, 0
	s_delay_alu instid0(VALU_DEP_2) | instskip(NEXT) | instid1(VALU_DEP_2)
	v_ashrrev_i32_e32 v6, 31, v6
	v_add_nc_u32_e32 v7, -1, v7
	s_delay_alu instid0(VALU_DEP_2) | instskip(NEXT) | instid1(VALU_DEP_1)
	v_add_nc_u32_e32 v6, 32, v6
	v_min_u32_e32 v8, v7, v6
	s_delay_alu instid0(VALU_DEP_1) | instskip(NEXT) | instid1(VALU_DEP_1)
	v_lshlrev_b64 v[6:7], v8, v[4:5]
	v_min_u32_e32 v6, 1, v6
	s_delay_alu instid0(VALU_DEP_1) | instskip(SKIP_1) | instid1(VALU_DEP_2)
	v_or_b32_e32 v6, v7, v6
	v_sub_nc_u32_e32 v7, 32, v8
	v_cvt_f32_i32_e32 v6, v6
	s_delay_alu instid0(VALU_DEP_1) | instskip(NEXT) | instid1(VALU_DEP_1)
	v_ldexp_f32 v6, v6, v7
	v_bfe_u32 v7, v6, 16, 1
	s_delay_alu instid0(VALU_DEP_1) | instskip(NEXT) | instid1(VALU_DEP_1)
	v_add3_u32 v6, v6, v7, 0x7fff
	v_lshrrev_b32_e32 v6, 16, v6
	global_store_b32 v[2:3], v6, off
.LBB38_1938:
	s_mov_b32 s2, 0
.LBB38_1939:
	s_delay_alu instid0(SALU_CYCLE_1)
	s_and_b32 vcc_lo, exec_lo, s2
	s_cbranch_vccz .LBB38_1944
; %bb.1940:
	v_cmp_eq_u16_e32 vcc_lo, 44, v13
	s_mov_b32 s0, -1
	s_cbranch_vccz .LBB38_1944
; %bb.1941:
	v_xor_b32_e32 v6, v4, v5
	v_cls_i32_e32 v7, v5
	s_mov_b32 s2, exec_lo
	s_delay_alu instid0(VALU_DEP_2) | instskip(NEXT) | instid1(VALU_DEP_2)
	v_ashrrev_i32_e32 v6, 31, v6
	v_add_nc_u32_e32 v7, -1, v7
	s_delay_alu instid0(VALU_DEP_2) | instskip(NEXT) | instid1(VALU_DEP_1)
	v_add_nc_u32_e32 v6, 32, v6
	v_min_u32_e32 v8, v7, v6
	s_delay_alu instid0(VALU_DEP_1) | instskip(NEXT) | instid1(VALU_DEP_1)
	v_lshlrev_b64 v[6:7], v8, v[4:5]
	v_min_u32_e32 v6, 1, v6
	s_delay_alu instid0(VALU_DEP_1) | instskip(SKIP_1) | instid1(VALU_DEP_2)
	v_or_b32_e32 v6, v7, v6
	v_sub_nc_u32_e32 v7, 32, v8
	v_cvt_f32_i32_e32 v6, v6
	s_delay_alu instid0(VALU_DEP_1) | instskip(SKIP_1) | instid1(VALU_DEP_2)
	v_ldexp_f32 v6, v6, v7
	v_mov_b32_e32 v7, 0xff
	v_bfe_u32 v8, v6, 23, 8
	s_delay_alu instid0(VALU_DEP_1)
	v_cmpx_ne_u32_e32 0xff, v8
; %bb.1942:
	v_and_b32_e32 v7, 0x400000, v6
	v_and_or_b32 v8, 0x3fffff, v6, v8
	v_lshrrev_b32_e32 v6, 23, v6
	s_delay_alu instid0(VALU_DEP_3) | instskip(NEXT) | instid1(VALU_DEP_3)
	v_cmp_ne_u32_e32 vcc_lo, 0, v7
	v_cmp_ne_u32_e64 s0, 0, v8
	s_delay_alu instid0(VALU_DEP_1) | instskip(NEXT) | instid1(SALU_CYCLE_1)
	s_and_b32 s0, vcc_lo, s0
	v_cndmask_b32_e64 v7, 0, 1, s0
	s_delay_alu instid0(VALU_DEP_1)
	v_add_nc_u32_e32 v7, v6, v7
; %bb.1943:
	s_or_b32 exec_lo, exec_lo, s2
	s_mov_b32 s0, 0
	global_store_b8 v[2:3], v7, off
.LBB38_1944:
	s_mov_b32 s2, 0
.LBB38_1945:
	s_delay_alu instid0(SALU_CYCLE_1)
	s_and_b32 vcc_lo, exec_lo, s2
	s_cbranch_vccz .LBB38_1948
; %bb.1946:
	v_cmp_eq_u16_e32 vcc_lo, 29, v13
	s_mov_b32 s0, -1
	s_cbranch_vccz .LBB38_1948
; %bb.1947:
	s_mov_b32 s0, 0
	global_store_b64 v[2:3], v[4:5], off
.LBB38_1948:
	s_mov_b32 s2, 0
.LBB38_1949:
	s_delay_alu instid0(SALU_CYCLE_1)
	s_and_b32 vcc_lo, exec_lo, s2
	s_cbranch_vccz .LBB38_1964
; %bb.1950:
	v_cmp_gt_i16_e32 vcc_lo, 27, v13
	s_mov_b32 s2, -1
	s_cbranch_vccnz .LBB38_1956
; %bb.1951:
	v_cmp_lt_i16_e32 vcc_lo, 27, v13
	s_cbranch_vccz .LBB38_1953
; %bb.1952:
	s_mov_b32 s2, 0
	global_store_b32 v[2:3], v4, off
.LBB38_1953:
	s_and_not1_b32 vcc_lo, exec_lo, s2
	s_cbranch_vccnz .LBB38_1955
; %bb.1954:
	global_store_b16 v[2:3], v4, off
.LBB38_1955:
	s_mov_b32 s2, 0
.LBB38_1956:
	s_delay_alu instid0(SALU_CYCLE_1)
	s_and_not1_b32 vcc_lo, exec_lo, s2
	s_cbranch_vccnz .LBB38_1964
; %bb.1957:
	v_xor_b32_e32 v6, v4, v5
	v_cls_i32_e32 v7, v5
	s_mov_b32 s2, exec_lo
	s_delay_alu instid0(VALU_DEP_2) | instskip(NEXT) | instid1(VALU_DEP_2)
	v_ashrrev_i32_e32 v6, 31, v6
	v_add_nc_u32_e32 v7, -1, v7
	s_delay_alu instid0(VALU_DEP_2) | instskip(NEXT) | instid1(VALU_DEP_1)
	v_add_nc_u32_e32 v6, 32, v6
	v_min_u32_e32 v8, v7, v6
	s_delay_alu instid0(VALU_DEP_1) | instskip(NEXT) | instid1(VALU_DEP_1)
	v_lshlrev_b64 v[6:7], v8, v[4:5]
	v_min_u32_e32 v6, 1, v6
	s_delay_alu instid0(VALU_DEP_1) | instskip(SKIP_2) | instid1(VALU_DEP_3)
	v_or_b32_e32 v6, v7, v6
	v_sub_nc_u32_e32 v7, 32, v8
	v_mov_b32_e32 v8, 0x80
	v_cvt_f32_i32_e32 v6, v6
	s_delay_alu instid0(VALU_DEP_1) | instskip(NEXT) | instid1(VALU_DEP_1)
	v_ldexp_f32 v6, v6, v7
	v_and_b32_e32 v7, 0x7fffffff, v6
	s_delay_alu instid0(VALU_DEP_1)
	v_cmpx_gt_u32_e32 0x43800000, v7
	s_cbranch_execz .LBB38_1963
; %bb.1958:
	v_cmp_lt_u32_e32 vcc_lo, 0x3bffffff, v7
	s_mov_b32 s3, 0
                                        ; implicit-def: $vgpr7
	s_and_saveexec_b32 s4, vcc_lo
	s_delay_alu instid0(SALU_CYCLE_1)
	s_xor_b32 s4, exec_lo, s4
	s_cbranch_execz .LBB38_2035
; %bb.1959:
	v_bfe_u32 v7, v6, 20, 1
	s_mov_b32 s3, exec_lo
	s_delay_alu instid0(VALU_DEP_1) | instskip(NEXT) | instid1(VALU_DEP_1)
	v_add3_u32 v7, v6, v7, 0x487ffff
	v_lshrrev_b32_e32 v7, 20, v7
	s_or_saveexec_b32 s4, s4
                                        ; implicit-def: $sgpr5
	s_delay_alu instid0(SALU_CYCLE_1)
	s_xor_b32 exec_lo, exec_lo, s4
	s_cbranch_execnz .LBB38_2036
.LBB38_1960:
	s_or_b32 exec_lo, exec_lo, s4
	v_mov_b32_e32 v8, s5
	s_and_saveexec_b32 s4, s3
.LBB38_1961:
	v_lshrrev_b32_e32 v6, 24, v6
	s_delay_alu instid0(VALU_DEP_1)
	v_and_or_b32 v8, 0x80, v6, v7
.LBB38_1962:
	s_or_b32 exec_lo, exec_lo, s4
.LBB38_1963:
	s_delay_alu instid0(SALU_CYCLE_1)
	s_or_b32 exec_lo, exec_lo, s2
	global_store_b8 v[2:3], v8, off
.LBB38_1964:
	s_mov_b32 s2, 0
.LBB38_1965:
	s_delay_alu instid0(SALU_CYCLE_1)
	s_and_b32 vcc_lo, exec_lo, s2
	s_cbranch_vccz .LBB38_2005
; %bb.1966:
	v_cmp_lt_i16_e32 vcc_lo, 22, v13
	s_mov_b32 s1, -1
	s_cbranch_vccz .LBB38_1998
; %bb.1967:
	v_cmp_gt_i16_e32 vcc_lo, 24, v13
	s_cbranch_vccnz .LBB38_1987
; %bb.1968:
	v_cmp_lt_i16_e32 vcc_lo, 24, v13
	s_cbranch_vccz .LBB38_1976
; %bb.1969:
	v_xor_b32_e32 v6, v4, v5
	v_cls_i32_e32 v7, v5
	s_mov_b32 s1, exec_lo
	s_delay_alu instid0(VALU_DEP_2) | instskip(NEXT) | instid1(VALU_DEP_2)
	v_ashrrev_i32_e32 v6, 31, v6
	v_add_nc_u32_e32 v7, -1, v7
	s_delay_alu instid0(VALU_DEP_2) | instskip(NEXT) | instid1(VALU_DEP_1)
	v_add_nc_u32_e32 v6, 32, v6
	v_min_u32_e32 v8, v7, v6
	s_delay_alu instid0(VALU_DEP_1) | instskip(NEXT) | instid1(VALU_DEP_1)
	v_lshlrev_b64 v[6:7], v8, v[4:5]
	v_min_u32_e32 v6, 1, v6
	s_delay_alu instid0(VALU_DEP_1) | instskip(SKIP_2) | instid1(VALU_DEP_3)
	v_or_b32_e32 v6, v7, v6
	v_sub_nc_u32_e32 v7, 32, v8
	v_mov_b32_e32 v8, 0x80
	v_cvt_f32_i32_e32 v6, v6
	s_delay_alu instid0(VALU_DEP_1) | instskip(NEXT) | instid1(VALU_DEP_1)
	v_ldexp_f32 v6, v6, v7
	v_and_b32_e32 v7, 0x7fffffff, v6
	s_delay_alu instid0(VALU_DEP_1)
	v_cmpx_gt_u32_e32 0x47800000, v7
	s_cbranch_execz .LBB38_1975
; %bb.1970:
	v_cmp_lt_u32_e32 vcc_lo, 0x37ffffff, v7
	s_mov_b32 s2, 0
                                        ; implicit-def: $vgpr7
	s_and_saveexec_b32 s3, vcc_lo
	s_delay_alu instid0(SALU_CYCLE_1)
	s_xor_b32 s3, exec_lo, s3
	s_cbranch_execz .LBB38_2041
; %bb.1971:
	v_bfe_u32 v7, v6, 21, 1
	s_mov_b32 s2, exec_lo
	s_delay_alu instid0(VALU_DEP_1) | instskip(NEXT) | instid1(VALU_DEP_1)
	v_add3_u32 v7, v6, v7, 0x88fffff
	v_lshrrev_b32_e32 v7, 21, v7
	s_or_saveexec_b32 s3, s3
                                        ; implicit-def: $sgpr4
	s_delay_alu instid0(SALU_CYCLE_1)
	s_xor_b32 exec_lo, exec_lo, s3
	s_cbranch_execnz .LBB38_2042
.LBB38_1972:
	s_or_b32 exec_lo, exec_lo, s3
	v_mov_b32_e32 v8, s4
	s_and_saveexec_b32 s3, s2
.LBB38_1973:
	v_lshrrev_b32_e32 v6, 24, v6
	s_delay_alu instid0(VALU_DEP_1)
	v_and_or_b32 v8, 0x80, v6, v7
.LBB38_1974:
	s_or_b32 exec_lo, exec_lo, s3
.LBB38_1975:
	s_delay_alu instid0(SALU_CYCLE_1)
	s_or_b32 exec_lo, exec_lo, s1
	s_mov_b32 s1, 0
	global_store_b8 v[2:3], v8, off
.LBB38_1976:
	s_and_b32 vcc_lo, exec_lo, s1
	s_cbranch_vccz .LBB38_1986
; %bb.1977:
	v_xor_b32_e32 v6, v4, v5
	v_cls_i32_e32 v7, v5
	s_mov_b32 s1, exec_lo
	s_delay_alu instid0(VALU_DEP_2) | instskip(NEXT) | instid1(VALU_DEP_2)
	v_ashrrev_i32_e32 v6, 31, v6
	v_add_nc_u32_e32 v7, -1, v7
	s_delay_alu instid0(VALU_DEP_2) | instskip(NEXT) | instid1(VALU_DEP_1)
	v_add_nc_u32_e32 v6, 32, v6
	v_min_u32_e32 v8, v7, v6
	s_delay_alu instid0(VALU_DEP_1) | instskip(NEXT) | instid1(VALU_DEP_1)
	v_lshlrev_b64 v[6:7], v8, v[4:5]
	v_min_u32_e32 v6, 1, v6
	s_delay_alu instid0(VALU_DEP_1) | instskip(SKIP_1) | instid1(VALU_DEP_2)
	v_or_b32_e32 v6, v7, v6
	v_sub_nc_u32_e32 v7, 32, v8
	v_cvt_f32_i32_e32 v6, v6
	s_delay_alu instid0(VALU_DEP_1) | instskip(NEXT) | instid1(VALU_DEP_1)
	v_ldexp_f32 v6, v6, v7
                                        ; implicit-def: $vgpr7
	v_and_b32_e32 v8, 0x7fffffff, v6
	s_delay_alu instid0(VALU_DEP_1)
	v_cmpx_gt_u32_e32 0x43f00000, v8
	s_xor_b32 s1, exec_lo, s1
	s_cbranch_execz .LBB38_1983
; %bb.1978:
	s_mov_b32 s2, exec_lo
                                        ; implicit-def: $vgpr7
	v_cmpx_lt_u32_e32 0x3c7fffff, v8
	s_xor_b32 s2, exec_lo, s2
; %bb.1979:
	v_bfe_u32 v7, v6, 20, 1
	s_delay_alu instid0(VALU_DEP_1) | instskip(NEXT) | instid1(VALU_DEP_1)
	v_add3_u32 v7, v6, v7, 0x407ffff
	v_and_b32_e32 v8, 0xff00000, v7
	v_lshrrev_b32_e32 v7, 20, v7
	s_delay_alu instid0(VALU_DEP_2) | instskip(NEXT) | instid1(VALU_DEP_2)
	v_cmp_ne_u32_e32 vcc_lo, 0x7f00000, v8
	v_cndmask_b32_e32 v7, 0x7e, v7, vcc_lo
; %bb.1980:
	s_and_not1_saveexec_b32 s2, s2
; %bb.1981:
	v_add_f32_e64 v7, 0x46800000, |v6|
; %bb.1982:
	s_or_b32 exec_lo, exec_lo, s2
                                        ; implicit-def: $vgpr8
.LBB38_1983:
	s_and_not1_saveexec_b32 s1, s1
; %bb.1984:
	v_mov_b32_e32 v7, 0x7f
	v_cmp_lt_u32_e32 vcc_lo, 0x7f800000, v8
	s_delay_alu instid0(VALU_DEP_2)
	v_cndmask_b32_e32 v7, 0x7e, v7, vcc_lo
; %bb.1985:
	s_or_b32 exec_lo, exec_lo, s1
	v_lshrrev_b32_e32 v6, 24, v6
	s_delay_alu instid0(VALU_DEP_1)
	v_and_or_b32 v6, 0x80, v6, v7
	global_store_b8 v[2:3], v6, off
.LBB38_1986:
	s_mov_b32 s1, 0
.LBB38_1987:
	s_delay_alu instid0(SALU_CYCLE_1)
	s_and_not1_b32 vcc_lo, exec_lo, s1
	s_cbranch_vccnz .LBB38_1997
; %bb.1988:
	v_xor_b32_e32 v6, v4, v5
	v_cls_i32_e32 v7, v5
	s_mov_b32 s1, exec_lo
	s_delay_alu instid0(VALU_DEP_2) | instskip(NEXT) | instid1(VALU_DEP_2)
	v_ashrrev_i32_e32 v6, 31, v6
	v_add_nc_u32_e32 v7, -1, v7
	s_delay_alu instid0(VALU_DEP_2) | instskip(NEXT) | instid1(VALU_DEP_1)
	v_add_nc_u32_e32 v6, 32, v6
	v_min_u32_e32 v8, v7, v6
	s_delay_alu instid0(VALU_DEP_1) | instskip(NEXT) | instid1(VALU_DEP_1)
	v_lshlrev_b64 v[6:7], v8, v[4:5]
	v_min_u32_e32 v6, 1, v6
	s_delay_alu instid0(VALU_DEP_1) | instskip(SKIP_1) | instid1(VALU_DEP_2)
	v_or_b32_e32 v6, v7, v6
	v_sub_nc_u32_e32 v7, 32, v8
	v_cvt_f32_i32_e32 v6, v6
	s_delay_alu instid0(VALU_DEP_1) | instskip(NEXT) | instid1(VALU_DEP_1)
	v_ldexp_f32 v6, v6, v7
                                        ; implicit-def: $vgpr7
	v_and_b32_e32 v8, 0x7fffffff, v6
	s_delay_alu instid0(VALU_DEP_1)
	v_cmpx_gt_u32_e32 0x47800000, v8
	s_xor_b32 s1, exec_lo, s1
	s_cbranch_execz .LBB38_1994
; %bb.1989:
	s_mov_b32 s2, exec_lo
                                        ; implicit-def: $vgpr7
	v_cmpx_lt_u32_e32 0x387fffff, v8
	s_xor_b32 s2, exec_lo, s2
; %bb.1990:
	v_bfe_u32 v7, v6, 21, 1
	s_delay_alu instid0(VALU_DEP_1) | instskip(NEXT) | instid1(VALU_DEP_1)
	v_add3_u32 v7, v6, v7, 0x80fffff
	v_lshrrev_b32_e32 v7, 21, v7
; %bb.1991:
	s_and_not1_saveexec_b32 s2, s2
; %bb.1992:
	v_add_f32_e64 v7, 0x43000000, |v6|
; %bb.1993:
	s_or_b32 exec_lo, exec_lo, s2
                                        ; implicit-def: $vgpr8
.LBB38_1994:
	s_and_not1_saveexec_b32 s1, s1
; %bb.1995:
	v_mov_b32_e32 v7, 0x7f
	v_cmp_lt_u32_e32 vcc_lo, 0x7f800000, v8
	s_delay_alu instid0(VALU_DEP_2)
	v_cndmask_b32_e32 v7, 0x7c, v7, vcc_lo
; %bb.1996:
	s_or_b32 exec_lo, exec_lo, s1
	v_lshrrev_b32_e32 v6, 24, v6
	s_delay_alu instid0(VALU_DEP_1)
	v_and_or_b32 v6, 0x80, v6, v7
	global_store_b8 v[2:3], v6, off
.LBB38_1997:
	s_mov_b32 s1, 0
.LBB38_1998:
	s_delay_alu instid0(SALU_CYCLE_1)
	s_and_not1_b32 vcc_lo, exec_lo, s1
	s_mov_b32 s1, 0
	s_cbranch_vccnz .LBB38_2005
; %bb.1999:
	v_cmp_lt_i16_e32 vcc_lo, 14, v13
	s_mov_b32 s1, -1
	s_cbranch_vccz .LBB38_2003
; %bb.2000:
	v_cmp_eq_u16_e32 vcc_lo, 15, v13
	s_mov_b32 s0, -1
	s_cbranch_vccz .LBB38_2002
; %bb.2001:
	v_xor_b32_e32 v6, v4, v5
	v_cls_i32_e32 v7, v5
	s_mov_b32 s0, 0
	s_delay_alu instid0(VALU_DEP_2) | instskip(NEXT) | instid1(VALU_DEP_2)
	v_ashrrev_i32_e32 v6, 31, v6
	v_add_nc_u32_e32 v7, -1, v7
	s_delay_alu instid0(VALU_DEP_2) | instskip(NEXT) | instid1(VALU_DEP_1)
	v_add_nc_u32_e32 v6, 32, v6
	v_min_u32_e32 v8, v7, v6
	s_delay_alu instid0(VALU_DEP_1) | instskip(NEXT) | instid1(VALU_DEP_1)
	v_lshlrev_b64 v[6:7], v8, v[4:5]
	v_min_u32_e32 v6, 1, v6
	s_delay_alu instid0(VALU_DEP_1) | instskip(SKIP_1) | instid1(VALU_DEP_2)
	v_or_b32_e32 v6, v7, v6
	v_sub_nc_u32_e32 v7, 32, v8
	v_cvt_f32_i32_e32 v6, v6
	s_delay_alu instid0(VALU_DEP_1) | instskip(NEXT) | instid1(VALU_DEP_1)
	v_ldexp_f32 v6, v6, v7
	v_bfe_u32 v7, v6, 16, 1
	s_delay_alu instid0(VALU_DEP_1)
	v_add3_u32 v6, v6, v7, 0x7fff
	global_store_d16_hi_b16 v[2:3], v6, off
.LBB38_2002:
	s_mov_b32 s1, 0
.LBB38_2003:
	s_delay_alu instid0(SALU_CYCLE_1)
	s_and_b32 vcc_lo, exec_lo, s1
	s_mov_b32 s1, 0
	s_cbranch_vccz .LBB38_2005
; %bb.2004:
	v_cmp_ne_u16_e64 s0, 11, v13
	s_mov_b32 s1, -1
.LBB38_2005:
	s_delay_alu instid0(VALU_DEP_1)
	s_and_b32 vcc_lo, exec_lo, s0
	s_cbranch_vccnz .LBB38_2039
.LBB38_2006:
	s_mov_b32 s0, 0
	s_branch .LBB38_1333
.LBB38_2007:
	s_mov_b32 s0, 0
	s_mov_b32 s1, 0
                                        ; implicit-def: $vgpr13
                                        ; implicit-def: $vgpr2_vgpr3
                                        ; implicit-def: $vgpr4_vgpr5
	s_branch .LBB38_1333
.LBB38_2008:
	s_mov_b32 s1, 0
	s_mov_b32 s0, -1
	s_branch .LBB38_1333
.LBB38_2009:
	s_cbranch_execnz .LBB38_2013
; %bb.2010:
	s_or_b32 s8, s8, exec_lo
                                        ; implicit-def: $vgpr0_vgpr1
	s_cbranch_execz .LBB38_1522
	s_branch .LBB38_1523
.LBB38_2011:
	s_or_saveexec_b32 s7, s7
                                        ; implicit-def: $sgpr11
	s_delay_alu instid0(SALU_CYCLE_1)
	s_xor_b32 exec_lo, exec_lo, s7
	s_cbranch_execz .LBB38_1602
.LBB38_2012:
	v_add_f32_e64 v15, 0x46000000, |v14|
	s_and_not1_b32 s6, s6, exec_lo
	s_mov_b32 s11, 0
	s_delay_alu instid0(VALU_DEP_1) | instskip(NEXT) | instid1(VALU_DEP_1)
	v_and_b32_e32 v15, 0xff, v15
	v_cmp_ne_u32_e32 vcc_lo, 0, v15
	s_and_b32 s12, vcc_lo, exec_lo
	s_delay_alu instid0(SALU_CYCLE_1)
	s_or_b32 s6, s6, s12
	s_or_b32 exec_lo, exec_lo, s7
	v_mov_b32_e32 v16, s11
	s_and_saveexec_b32 s7, s6
	s_cbranch_execnz .LBB38_1603
	s_branch .LBB38_1604
.LBB38_2013:
	s_trap 2
	s_sendmsg_rtn_b32 s0, sendmsg(MSG_RTN_GET_DOORBELL)
	s_mov_b32 ttmp2, m0
	s_waitcnt lgkmcnt(0)
	s_and_b32 s0, s0, 0x3ff
	s_delay_alu instid0(SALU_CYCLE_1) | instskip(NEXT) | instid1(SALU_CYCLE_1)
	s_bitset1_b32 s0, 10
	s_mov_b32 m0, s0
	s_sendmsg sendmsg(MSG_INTERRUPT)
	s_mov_b32 m0, ttmp2
.LBB38_2014:                            ; =>This Inner Loop Header: Depth=1
	s_sethalt 5
	s_branch .LBB38_2014
.LBB38_2015:
	s_cbranch_execnz .LBB38_2021
; %bb.2016:
	s_or_b32 s8, s8, exec_lo
	s_cbranch_execz .LBB38_1650
	s_branch .LBB38_1651
.LBB38_2017:
	s_or_saveexec_b32 s6, s6
                                        ; implicit-def: $sgpr7
	s_delay_alu instid0(SALU_CYCLE_1)
	s_xor_b32 exec_lo, exec_lo, s6
	s_cbranch_execz .LBB38_1615
.LBB38_2018:
	v_add_f32_e64 v15, 0x42800000, |v14|
	s_and_not1_b32 s3, s3, exec_lo
	s_mov_b32 s7, 0
	s_delay_alu instid0(VALU_DEP_1) | instskip(NEXT) | instid1(VALU_DEP_1)
	v_and_b32_e32 v15, 0xff, v15
	v_cmp_ne_u32_e32 vcc_lo, 0, v15
	s_and_b32 s11, vcc_lo, exec_lo
	s_delay_alu instid0(SALU_CYCLE_1)
	s_or_b32 s3, s3, s11
	s_or_b32 exec_lo, exec_lo, s6
	v_mov_b32_e32 v16, s7
	s_and_saveexec_b32 s6, s3
	s_cbranch_execnz .LBB38_1616
	s_branch .LBB38_1617
.LBB38_2019:
	s_or_saveexec_b32 s7, s7
                                        ; implicit-def: $sgpr11
	s_delay_alu instid0(SALU_CYCLE_1)
	s_xor_b32 exec_lo, exec_lo, s7
	s_cbranch_execz .LBB38_1721
.LBB38_2020:
	v_add_f32_e64 v12, 0x46000000, |v11|
	s_and_not1_b32 s6, s6, exec_lo
	s_mov_b32 s11, 0
	s_delay_alu instid0(VALU_DEP_1) | instskip(NEXT) | instid1(VALU_DEP_1)
	v_and_b32_e32 v12, 0xff, v12
	v_cmp_ne_u32_e32 vcc_lo, 0, v12
	s_and_b32 s12, vcc_lo, exec_lo
	s_delay_alu instid0(SALU_CYCLE_1)
	s_or_b32 s6, s6, s12
	s_or_b32 exec_lo, exec_lo, s7
	v_mov_b32_e32 v14, s11
	s_and_saveexec_b32 s7, s6
	s_cbranch_execnz .LBB38_1722
	s_branch .LBB38_1723
.LBB38_2021:
	s_trap 2
	s_sendmsg_rtn_b32 s0, sendmsg(MSG_RTN_GET_DOORBELL)
	s_mov_b32 ttmp2, m0
	s_waitcnt lgkmcnt(0)
	s_and_b32 s0, s0, 0x3ff
	s_delay_alu instid0(SALU_CYCLE_1) | instskip(NEXT) | instid1(SALU_CYCLE_1)
	s_bitset1_b32 s0, 10
	s_mov_b32 m0, s0
	s_sendmsg sendmsg(MSG_INTERRUPT)
	s_mov_b32 m0, ttmp2
.LBB38_2022:                            ; =>This Inner Loop Header: Depth=1
	s_sethalt 5
	s_branch .LBB38_2022
.LBB38_2023:
	s_cbranch_execnz .LBB38_2029
; %bb.2024:
	s_or_b32 s8, s8, exec_lo
	s_cbranch_execz .LBB38_1769
	s_branch .LBB38_1770
.LBB38_2025:
	s_or_saveexec_b32 s6, s6
                                        ; implicit-def: $sgpr7
	s_delay_alu instid0(SALU_CYCLE_1)
	s_xor_b32 exec_lo, exec_lo, s6
	s_cbranch_execz .LBB38_1734
.LBB38_2026:
	v_add_f32_e64 v12, 0x42800000, |v11|
	s_and_not1_b32 s3, s3, exec_lo
	s_mov_b32 s7, 0
	s_delay_alu instid0(VALU_DEP_1) | instskip(NEXT) | instid1(VALU_DEP_1)
	v_and_b32_e32 v12, 0xff, v12
	v_cmp_ne_u32_e32 vcc_lo, 0, v12
	s_and_b32 s11, vcc_lo, exec_lo
	s_delay_alu instid0(SALU_CYCLE_1)
	s_or_b32 s3, s3, s11
	s_or_b32 exec_lo, exec_lo, s6
	v_mov_b32_e32 v14, s7
	s_and_saveexec_b32 s6, s3
	s_cbranch_execnz .LBB38_1735
	s_branch .LBB38_1736
.LBB38_2027:
	s_or_saveexec_b32 s7, s7
                                        ; implicit-def: $sgpr11
	s_delay_alu instid0(SALU_CYCLE_1)
	s_xor_b32 exec_lo, exec_lo, s7
	s_cbranch_execz .LBB38_1840
.LBB38_2028:
	v_add_f32_e64 v10, 0x46000000, |v9|
	s_and_not1_b32 s6, s6, exec_lo
	s_mov_b32 s11, 0
	s_delay_alu instid0(VALU_DEP_1) | instskip(NEXT) | instid1(VALU_DEP_1)
	v_and_b32_e32 v10, 0xff, v10
	v_cmp_ne_u32_e32 vcc_lo, 0, v10
	s_and_b32 s12, vcc_lo, exec_lo
	s_delay_alu instid0(SALU_CYCLE_1)
	s_or_b32 s6, s6, s12
	s_or_b32 exec_lo, exec_lo, s7
	v_mov_b32_e32 v11, s11
	s_and_saveexec_b32 s7, s6
	s_cbranch_execnz .LBB38_1841
	s_branch .LBB38_1842
.LBB38_2029:
	s_trap 2
	s_sendmsg_rtn_b32 s0, sendmsg(MSG_RTN_GET_DOORBELL)
	s_mov_b32 ttmp2, m0
	s_waitcnt lgkmcnt(0)
	s_and_b32 s0, s0, 0x3ff
	s_delay_alu instid0(SALU_CYCLE_1) | instskip(NEXT) | instid1(SALU_CYCLE_1)
	s_bitset1_b32 s0, 10
	s_mov_b32 m0, s0
	s_sendmsg sendmsg(MSG_INTERRUPT)
	s_mov_b32 m0, ttmp2
.LBB38_2030:                            ; =>This Inner Loop Header: Depth=1
	s_sethalt 5
	s_branch .LBB38_2030
.LBB38_2031:
	s_cbranch_execnz .LBB38_2037
; %bb.2032:
	s_or_b32 s8, s8, exec_lo
	s_cbranch_execz .LBB38_1888
	s_branch .LBB38_1889
.LBB38_2033:
	s_or_saveexec_b32 s6, s6
                                        ; implicit-def: $sgpr7
	s_delay_alu instid0(SALU_CYCLE_1)
	s_xor_b32 exec_lo, exec_lo, s6
	s_cbranch_execz .LBB38_1853
.LBB38_2034:
	v_add_f32_e64 v10, 0x42800000, |v9|
	s_and_not1_b32 s3, s3, exec_lo
	s_mov_b32 s7, 0
	s_delay_alu instid0(VALU_DEP_1) | instskip(NEXT) | instid1(VALU_DEP_1)
	v_and_b32_e32 v10, 0xff, v10
	v_cmp_ne_u32_e32 vcc_lo, 0, v10
	s_and_b32 s11, vcc_lo, exec_lo
	s_delay_alu instid0(SALU_CYCLE_1)
	s_or_b32 s3, s3, s11
	s_or_b32 exec_lo, exec_lo, s6
	v_mov_b32_e32 v11, s7
	s_and_saveexec_b32 s6, s3
	s_cbranch_execnz .LBB38_1854
	s_branch .LBB38_1855
.LBB38_2035:
	s_or_saveexec_b32 s4, s4
                                        ; implicit-def: $sgpr5
	s_delay_alu instid0(SALU_CYCLE_1)
	s_xor_b32 exec_lo, exec_lo, s4
	s_cbranch_execz .LBB38_1960
.LBB38_2036:
	v_add_f32_e64 v7, 0x46000000, |v6|
	s_and_not1_b32 s3, s3, exec_lo
	s_mov_b32 s5, 0
	s_delay_alu instid0(VALU_DEP_1) | instskip(NEXT) | instid1(VALU_DEP_1)
	v_and_b32_e32 v7, 0xff, v7
	v_cmp_ne_u32_e32 vcc_lo, 0, v7
	s_and_b32 s6, vcc_lo, exec_lo
	s_delay_alu instid0(SALU_CYCLE_1)
	s_or_b32 s3, s3, s6
	s_or_b32 exec_lo, exec_lo, s4
	v_mov_b32_e32 v8, s5
	s_and_saveexec_b32 s4, s3
	s_cbranch_execnz .LBB38_1961
	s_branch .LBB38_1962
.LBB38_2037:
	s_trap 2
	s_sendmsg_rtn_b32 s0, sendmsg(MSG_RTN_GET_DOORBELL)
	s_mov_b32 ttmp2, m0
	s_waitcnt lgkmcnt(0)
	s_and_b32 s0, s0, 0x3ff
	s_delay_alu instid0(SALU_CYCLE_1) | instskip(NEXT) | instid1(SALU_CYCLE_1)
	s_bitset1_b32 s0, 10
	s_mov_b32 m0, s0
	s_sendmsg sendmsg(MSG_INTERRUPT)
	s_mov_b32 m0, ttmp2
.LBB38_2038:                            ; =>This Inner Loop Header: Depth=1
	s_sethalt 5
	s_branch .LBB38_2038
.LBB38_2039:
	s_cbranch_execnz .LBB38_2043
; %bb.2040:
	s_mov_b32 s1, 0
	s_or_b32 s8, s8, exec_lo
	s_branch .LBB38_2006
.LBB38_2041:
	s_or_saveexec_b32 s3, s3
                                        ; implicit-def: $sgpr4
	s_delay_alu instid0(SALU_CYCLE_1)
	s_xor_b32 exec_lo, exec_lo, s3
	s_cbranch_execz .LBB38_1972
.LBB38_2042:
	v_add_f32_e64 v7, 0x42800000, |v6|
	s_and_not1_b32 s2, s2, exec_lo
	s_mov_b32 s4, 0
	s_delay_alu instid0(VALU_DEP_1) | instskip(NEXT) | instid1(VALU_DEP_1)
	v_and_b32_e32 v7, 0xff, v7
	v_cmp_ne_u32_e32 vcc_lo, 0, v7
	s_and_b32 s5, vcc_lo, exec_lo
	s_delay_alu instid0(SALU_CYCLE_1)
	s_or_b32 s2, s2, s5
	s_or_b32 exec_lo, exec_lo, s3
	v_mov_b32_e32 v8, s4
	s_and_saveexec_b32 s3, s2
	s_cbranch_execnz .LBB38_1973
	s_branch .LBB38_1974
.LBB38_2043:
	s_trap 2
	s_sendmsg_rtn_b32 s0, sendmsg(MSG_RTN_GET_DOORBELL)
	s_mov_b32 ttmp2, m0
	s_waitcnt lgkmcnt(0)
	s_and_b32 s0, s0, 0x3ff
	s_delay_alu instid0(SALU_CYCLE_1) | instskip(NEXT) | instid1(SALU_CYCLE_1)
	s_bitset1_b32 s0, 10
	s_mov_b32 m0, s0
	s_sendmsg sendmsg(MSG_INTERRUPT)
	s_mov_b32 m0, ttmp2
.LBB38_2044:                            ; =>This Inner Loop Header: Depth=1
	s_sethalt 5
	s_branch .LBB38_2044
	.section	.rodata,"a",@progbits
	.p2align	6, 0x0
	.amdhsa_kernel _ZN2at6native32elementwise_kernel_manual_unrollILi128ELi4EZNS0_15gpu_kernel_implIZZZNS0_23bitwise_not_kernel_cudaERNS_18TensorIteratorBaseEENKUlvE_clEvENKUlvE2_clEvEUllE_EEvS4_RKT_EUlibE_EEviT1_
		.amdhsa_group_segment_fixed_size 0
		.amdhsa_private_segment_fixed_size 0
		.amdhsa_kernarg_size 40
		.amdhsa_user_sgpr_count 15
		.amdhsa_user_sgpr_dispatch_ptr 0
		.amdhsa_user_sgpr_queue_ptr 0
		.amdhsa_user_sgpr_kernarg_segment_ptr 1
		.amdhsa_user_sgpr_dispatch_id 0
		.amdhsa_user_sgpr_private_segment_size 0
		.amdhsa_wavefront_size32 1
		.amdhsa_uses_dynamic_stack 0
		.amdhsa_enable_private_segment 0
		.amdhsa_system_sgpr_workgroup_id_x 1
		.amdhsa_system_sgpr_workgroup_id_y 0
		.amdhsa_system_sgpr_workgroup_id_z 0
		.amdhsa_system_sgpr_workgroup_info 0
		.amdhsa_system_vgpr_workitem_id 0
		.amdhsa_next_free_vgpr 18
		.amdhsa_next_free_sgpr 24
		.amdhsa_reserve_vcc 1
		.amdhsa_float_round_mode_32 0
		.amdhsa_float_round_mode_16_64 0
		.amdhsa_float_denorm_mode_32 3
		.amdhsa_float_denorm_mode_16_64 3
		.amdhsa_dx10_clamp 1
		.amdhsa_ieee_mode 1
		.amdhsa_fp16_overflow 0
		.amdhsa_workgroup_processor_mode 1
		.amdhsa_memory_ordered 1
		.amdhsa_forward_progress 0
		.amdhsa_shared_vgpr_count 0
		.amdhsa_exception_fp_ieee_invalid_op 0
		.amdhsa_exception_fp_denorm_src 0
		.amdhsa_exception_fp_ieee_div_zero 0
		.amdhsa_exception_fp_ieee_overflow 0
		.amdhsa_exception_fp_ieee_underflow 0
		.amdhsa_exception_fp_ieee_inexact 0
		.amdhsa_exception_int_div_zero 0
	.end_amdhsa_kernel
	.section	.text._ZN2at6native32elementwise_kernel_manual_unrollILi128ELi4EZNS0_15gpu_kernel_implIZZZNS0_23bitwise_not_kernel_cudaERNS_18TensorIteratorBaseEENKUlvE_clEvENKUlvE2_clEvEUllE_EEvS4_RKT_EUlibE_EEviT1_,"axG",@progbits,_ZN2at6native32elementwise_kernel_manual_unrollILi128ELi4EZNS0_15gpu_kernel_implIZZZNS0_23bitwise_not_kernel_cudaERNS_18TensorIteratorBaseEENKUlvE_clEvENKUlvE2_clEvEUllE_EEvS4_RKT_EUlibE_EEviT1_,comdat
.Lfunc_end38:
	.size	_ZN2at6native32elementwise_kernel_manual_unrollILi128ELi4EZNS0_15gpu_kernel_implIZZZNS0_23bitwise_not_kernel_cudaERNS_18TensorIteratorBaseEENKUlvE_clEvENKUlvE2_clEvEUllE_EEvS4_RKT_EUlibE_EEviT1_, .Lfunc_end38-_ZN2at6native32elementwise_kernel_manual_unrollILi128ELi4EZNS0_15gpu_kernel_implIZZZNS0_23bitwise_not_kernel_cudaERNS_18TensorIteratorBaseEENKUlvE_clEvENKUlvE2_clEvEUllE_EEvS4_RKT_EUlibE_EEviT1_
                                        ; -- End function
	.section	.AMDGPU.csdata,"",@progbits
; Kernel info:
; codeLenInByte = 45924
; NumSgprs: 26
; NumVgprs: 18
; ScratchSize: 0
; MemoryBound: 1
; FloatMode: 240
; IeeeMode: 1
; LDSByteSize: 0 bytes/workgroup (compile time only)
; SGPRBlocks: 3
; VGPRBlocks: 2
; NumSGPRsForWavesPerEU: 26
; NumVGPRsForWavesPerEU: 18
; Occupancy: 16
; WaveLimiterHint : 0
; COMPUTE_PGM_RSRC2:SCRATCH_EN: 0
; COMPUTE_PGM_RSRC2:USER_SGPR: 15
; COMPUTE_PGM_RSRC2:TRAP_HANDLER: 0
; COMPUTE_PGM_RSRC2:TGID_X_EN: 1
; COMPUTE_PGM_RSRC2:TGID_Y_EN: 0
; COMPUTE_PGM_RSRC2:TGID_Z_EN: 0
; COMPUTE_PGM_RSRC2:TIDIG_COMP_CNT: 0
	.section	.text._ZN2at6native32elementwise_kernel_manual_unrollILi128ELi4EZNS0_15gpu_kernel_implIZZZNS0_23bitwise_not_kernel_cudaERNS_18TensorIteratorBaseEENKUlvE_clEvENKUlvE2_clEvEUllE_EEvS4_RKT_EUlibE0_EEviT1_,"axG",@progbits,_ZN2at6native32elementwise_kernel_manual_unrollILi128ELi4EZNS0_15gpu_kernel_implIZZZNS0_23bitwise_not_kernel_cudaERNS_18TensorIteratorBaseEENKUlvE_clEvENKUlvE2_clEvEUllE_EEvS4_RKT_EUlibE0_EEviT1_,comdat
	.globl	_ZN2at6native32elementwise_kernel_manual_unrollILi128ELi4EZNS0_15gpu_kernel_implIZZZNS0_23bitwise_not_kernel_cudaERNS_18TensorIteratorBaseEENKUlvE_clEvENKUlvE2_clEvEUllE_EEvS4_RKT_EUlibE0_EEviT1_ ; -- Begin function _ZN2at6native32elementwise_kernel_manual_unrollILi128ELi4EZNS0_15gpu_kernel_implIZZZNS0_23bitwise_not_kernel_cudaERNS_18TensorIteratorBaseEENKUlvE_clEvENKUlvE2_clEvEUllE_EEvS4_RKT_EUlibE0_EEviT1_
	.p2align	8
	.type	_ZN2at6native32elementwise_kernel_manual_unrollILi128ELi4EZNS0_15gpu_kernel_implIZZZNS0_23bitwise_not_kernel_cudaERNS_18TensorIteratorBaseEENKUlvE_clEvENKUlvE2_clEvEUllE_EEvS4_RKT_EUlibE0_EEviT1_,@function
_ZN2at6native32elementwise_kernel_manual_unrollILi128ELi4EZNS0_15gpu_kernel_implIZZZNS0_23bitwise_not_kernel_cudaERNS_18TensorIteratorBaseEENKUlvE_clEvENKUlvE2_clEvEUllE_EEvS4_RKT_EUlibE0_EEviT1_: ; @_ZN2at6native32elementwise_kernel_manual_unrollILi128ELi4EZNS0_15gpu_kernel_implIZZZNS0_23bitwise_not_kernel_cudaERNS_18TensorIteratorBaseEENKUlvE_clEvENKUlvE2_clEvEUllE_EEvS4_RKT_EUlibE0_EEviT1_
; %bb.0:
	s_clause 0x1
	s_load_b32 s24, s[0:1], 0x8
	s_load_b32 s30, s[0:1], 0x0
	v_lshl_or_b32 v9, s15, 9, v0
	s_or_b32 s16, s0, 8
	s_mov_b32 s3, -1
	s_mov_b32 s26, 0
	s_mov_b32 s17, s1
	v_or_b32_e32 v7, 0x180, v9
	s_mov_b32 s8, 0
	s_mov_b32 s2, exec_lo
	s_waitcnt lgkmcnt(0)
	s_add_i32 s25, s24, -1
	s_delay_alu instid0(SALU_CYCLE_1)
	s_cmp_gt_u32 s25, 1
	s_cselect_b32 s27, -1, 0
	v_cmpx_le_i32_e64 s30, v7
	s_xor_b32 s28, exec_lo, s2
	s_cbranch_execz .LBB39_1060
; %bb.1:
	v_mov_b32_e32 v0, 0
	s_clause 0x3
	s_load_b128 s[12:15], s[16:17], 0x4
	s_load_b64 s[18:19], s[16:17], 0x14
	s_load_b128 s[8:11], s[16:17], 0xc4
	s_load_b128 s[4:7], s[16:17], 0x148
	s_cmp_lg_u32 s24, 0
	s_mov_b32 s37, 0
	s_cselect_b32 s33, -1, 0
	global_load_u16 v7, v0, s[16:17] offset:345
	s_add_u32 s20, s16, 0xc4
	s_addc_u32 s21, s17, 0
	s_min_u32 s31, s25, 15
	s_cmp_gt_u32 s24, 1
	s_mov_b32 s35, 0
	s_cselect_b32 s29, -1, 0
	s_mov_b32 s34, 0
	s_mov_b32 s36, exec_lo
	s_waitcnt vmcnt(0)
	v_lshrrev_b16 v8, 8, v7
	v_cmpx_gt_i32_e64 s30, v9
	s_cbranch_execz .LBB39_259
; %bb.2:
	s_and_not1_b32 vcc_lo, exec_lo, s27
	s_cbranch_vccnz .LBB39_7
; %bb.3:
	v_mov_b32_e32 v2, 0
	v_mov_b32_e32 v0, 0
	s_and_not1_b32 vcc_lo, exec_lo, s33
	s_cbranch_vccnz .LBB39_12
; %bb.4:
	v_mov_b32_e32 v2, 0
	s_add_i32 s38, s31, 1
	s_cmp_eq_u32 s25, 2
	s_cbranch_scc1 .LBB39_8
; %bb.5:
	v_dual_mov_b32 v0, 0 :: v_dual_mov_b32 v1, v9
	v_mov_b32_e32 v2, 0
	s_and_b32 s35, s38, 28
	s_mov_b32 s39, 0
	s_mov_b64 s[2:3], s[20:21]
	s_mov_b64 s[22:23], s[16:17]
.LBB39_6:                               ; =>This Inner Loop Header: Depth=1
	s_clause 0x1
	s_load_b256 s[40:47], s[22:23], 0x4
	s_load_b128 s[56:59], s[22:23], 0x24
	s_load_b256 s[48:55], s[2:3], 0x0
	s_add_u32 s22, s22, 48
	s_addc_u32 s23, s23, 0
	s_add_i32 s39, s39, 4
	s_add_u32 s2, s2, 32
	s_addc_u32 s3, s3, 0
	s_cmp_lg_u32 s35, s39
	s_waitcnt lgkmcnt(0)
	v_mul_hi_u32 v3, s41, v1
	s_delay_alu instid0(VALU_DEP_1) | instskip(NEXT) | instid1(VALU_DEP_1)
	v_add_nc_u32_e32 v3, v1, v3
	v_lshrrev_b32_e32 v3, s42, v3
	s_delay_alu instid0(VALU_DEP_1) | instskip(SKIP_1) | instid1(VALU_DEP_2)
	v_mul_hi_u32 v4, s44, v3
	v_mul_lo_u32 v6, v3, s40
	v_add_nc_u32_e32 v4, v3, v4
	s_delay_alu instid0(VALU_DEP_2) | instskip(NEXT) | instid1(VALU_DEP_2)
	v_sub_nc_u32_e32 v1, v1, v6
	v_lshrrev_b32_e32 v4, s45, v4
	s_delay_alu instid0(VALU_DEP_2) | instskip(SKIP_1) | instid1(VALU_DEP_3)
	v_mul_lo_u32 v6, v1, s48
	v_mul_lo_u32 v11, v1, s49
	v_mul_hi_u32 v5, s47, v4
	s_delay_alu instid0(VALU_DEP_1) | instskip(NEXT) | instid1(VALU_DEP_1)
	v_add_nc_u32_e32 v5, v4, v5
	v_lshrrev_b32_e32 v5, s56, v5
	s_delay_alu instid0(VALU_DEP_1) | instskip(SKIP_1) | instid1(VALU_DEP_2)
	v_mul_hi_u32 v10, s58, v5
	v_mul_lo_u32 v12, v5, s46
	v_add_nc_u32_e32 v1, v5, v10
	v_mul_lo_u32 v10, v4, s43
	s_delay_alu instid0(VALU_DEP_3) | instskip(NEXT) | instid1(VALU_DEP_3)
	v_sub_nc_u32_e32 v4, v4, v12
	v_lshrrev_b32_e32 v1, s59, v1
	s_delay_alu instid0(VALU_DEP_2) | instskip(SKIP_2) | instid1(VALU_DEP_4)
	v_mul_lo_u32 v12, v4, s52
	v_mul_lo_u32 v4, v4, s53
	v_sub_nc_u32_e32 v3, v3, v10
	v_mul_lo_u32 v13, v1, s57
	s_delay_alu instid0(VALU_DEP_2) | instskip(SKIP_1) | instid1(VALU_DEP_3)
	v_mul_lo_u32 v10, v3, s50
	v_mul_lo_u32 v3, v3, s51
	v_sub_nc_u32_e32 v5, v5, v13
	s_delay_alu instid0(VALU_DEP_3) | instskip(NEXT) | instid1(VALU_DEP_2)
	v_add3_u32 v2, v6, v2, v10
	v_mul_lo_u32 v13, v5, s54
	v_mul_lo_u32 v5, v5, s55
	v_add3_u32 v0, v11, v0, v3
	s_delay_alu instid0(VALU_DEP_3) | instskip(NEXT) | instid1(VALU_DEP_2)
	v_add3_u32 v2, v12, v2, v13
	v_add3_u32 v0, v4, v0, v5
	s_cbranch_scc1 .LBB39_6
	s_branch .LBB39_9
.LBB39_7:
	s_mov_b32 s34, -1
                                        ; implicit-def: $vgpr2
                                        ; implicit-def: $vgpr0
	s_branch .LBB39_12
.LBB39_8:
	v_dual_mov_b32 v1, v9 :: v_dual_mov_b32 v0, 0
.LBB39_9:
	s_and_b32 s38, s38, 3
	s_delay_alu instid0(SALU_CYCLE_1)
	s_cmp_eq_u32 s38, 0
	s_cbranch_scc1 .LBB39_12
; %bb.10:
	s_lshl_b32 s2, s35, 3
	s_mul_i32 s22, s35, 12
	s_add_u32 s2, s2, s16
	s_addc_u32 s3, s17, 0
	s_add_u32 s2, s2, 0xc4
	s_addc_u32 s3, s3, 0
	;; [unrolled: 2-line block ×3, first 2 shown]
	.p2align	6
.LBB39_11:                              ; =>This Inner Loop Header: Depth=1
	s_clause 0x1
	s_load_b64 s[40:41], s[22:23], 0x4
	s_load_b32 s35, s[22:23], 0xc
	s_load_b64 s[42:43], s[2:3], 0x0
	s_add_u32 s22, s22, 12
	s_addc_u32 s23, s23, 0
	s_add_u32 s2, s2, 8
	s_addc_u32 s3, s3, 0
	s_add_i32 s38, s38, -1
	s_delay_alu instid0(SALU_CYCLE_1) | instskip(SKIP_2) | instid1(VALU_DEP_1)
	s_cmp_lg_u32 s38, 0
	s_waitcnt lgkmcnt(0)
	v_mul_hi_u32 v3, s41, v1
	v_add_nc_u32_e32 v3, v1, v3
	s_delay_alu instid0(VALU_DEP_1) | instskip(NEXT) | instid1(VALU_DEP_1)
	v_lshrrev_b32_e32 v6, s35, v3
	v_mul_lo_u32 v3, v6, s40
	s_delay_alu instid0(VALU_DEP_1) | instskip(NEXT) | instid1(VALU_DEP_1)
	v_sub_nc_u32_e32 v1, v1, v3
	v_mad_u64_u32 v[3:4], null, v1, s42, v[2:3]
	v_mad_u64_u32 v[4:5], null, v1, s43, v[0:1]
	s_delay_alu instid0(VALU_DEP_2) | instskip(NEXT) | instid1(VALU_DEP_2)
	v_dual_mov_b32 v1, v6 :: v_dual_mov_b32 v2, v3
	v_mov_b32_e32 v0, v4
	s_cbranch_scc1 .LBB39_11
.LBB39_12:
	s_and_not1_b32 vcc_lo, exec_lo, s34
	s_cbranch_vccnz .LBB39_15
; %bb.13:
	s_waitcnt lgkmcnt(0)
	v_mul_hi_u32 v0, s13, v9
	s_and_not1_b32 vcc_lo, exec_lo, s29
	s_delay_alu instid0(VALU_DEP_1) | instskip(NEXT) | instid1(VALU_DEP_1)
	v_add_nc_u32_e32 v0, v9, v0
	v_lshrrev_b32_e32 v1, s14, v0
	s_delay_alu instid0(VALU_DEP_1) | instskip(NEXT) | instid1(VALU_DEP_1)
	v_mul_lo_u32 v0, v1, s12
	v_sub_nc_u32_e32 v0, v9, v0
	s_delay_alu instid0(VALU_DEP_1)
	v_mul_lo_u32 v2, v0, s8
	v_mul_lo_u32 v0, v0, s9
	s_cbranch_vccnz .LBB39_15
; %bb.14:
	v_mul_hi_u32 v3, s18, v1
	s_delay_alu instid0(VALU_DEP_1) | instskip(NEXT) | instid1(VALU_DEP_1)
	v_add_nc_u32_e32 v3, v1, v3
	v_lshrrev_b32_e32 v3, s19, v3
	s_delay_alu instid0(VALU_DEP_1) | instskip(NEXT) | instid1(VALU_DEP_1)
	v_mul_lo_u32 v3, v3, s15
	v_sub_nc_u32_e32 v5, v1, v3
	s_delay_alu instid0(VALU_DEP_1) | instskip(SKIP_1) | instid1(VALU_DEP_2)
	v_mad_u64_u32 v[3:4], null, v5, s10, v[2:3]
	v_mad_u64_u32 v[1:2], null, v5, s11, v[0:1]
	v_mov_b32_e32 v2, v3
	s_delay_alu instid0(VALU_DEP_2)
	v_mov_b32_e32 v0, v1
.LBB39_15:
	v_cmp_gt_i16_e32 vcc_lo, 11, v8
	s_waitcnt lgkmcnt(0)
	s_delay_alu instid0(VALU_DEP_2) | instskip(NEXT) | instid1(VALU_DEP_1)
	v_add_co_u32 v3, s2, s6, v0
	v_add_co_ci_u32_e64 v4, null, s7, 0, s2
	s_mov_b32 s22, 0
	s_cbranch_vccnz .LBB39_22
; %bb.16:
	v_cmp_lt_i16_e32 vcc_lo, 25, v8
	s_cbranch_vccz .LBB39_141
; %bb.17:
	v_cmp_lt_i16_e32 vcc_lo, 28, v8
	s_cbranch_vccz .LBB39_142
	;; [unrolled: 3-line block ×4, first 2 shown]
; %bb.20:
	v_cmp_eq_u16_e32 vcc_lo, 46, v8
	s_mov_b32 s3, 0
	s_cbranch_vccz .LBB39_145
; %bb.21:
	global_load_b32 v0, v[3:4], off
	s_mov_b32 s2, -1
	s_waitcnt vmcnt(0)
	v_lshlrev_b32_e32 v0, 16, v0
	s_delay_alu instid0(VALU_DEP_1) | instskip(NEXT) | instid1(VALU_DEP_1)
	v_trunc_f32_e32 v0, v0
	v_mul_f32_e64 v1, 0x2f800000, |v0|
	v_ashrrev_i32_e32 v6, 31, v0
	s_delay_alu instid0(VALU_DEP_2) | instskip(NEXT) | instid1(VALU_DEP_1)
	v_floor_f32_e32 v1, v1
	v_fma_f32 v5, 0xcf800000, v1, |v0|
	v_cvt_u32_f32_e32 v1, v1
	s_delay_alu instid0(VALU_DEP_2) | instskip(NEXT) | instid1(VALU_DEP_2)
	v_cvt_u32_f32_e32 v0, v5
	v_xor_b32_e32 v1, v1, v6
	s_delay_alu instid0(VALU_DEP_2) | instskip(NEXT) | instid1(VALU_DEP_1)
	v_xor_b32_e32 v0, v0, v6
	v_sub_co_u32 v0, vcc_lo, v0, v6
	s_delay_alu instid0(VALU_DEP_3)
	v_sub_co_ci_u32_e32 v1, vcc_lo, v1, v6, vcc_lo
	s_branch .LBB39_147
.LBB39_22:
	s_mov_b32 s2, 0
                                        ; implicit-def: $vgpr0_vgpr1
	s_cbranch_execnz .LBB39_209
.LBB39_23:
	s_and_not1_b32 vcc_lo, exec_lo, s2
	s_cbranch_vccnz .LBB39_256
.LBB39_24:
	v_and_b32_e32 v10, 0xff, v7
	v_add_co_u32 v5, s3, s4, v2
	s_waitcnt vmcnt(0)
	s_delay_alu instid0(VALU_DEP_3) | instskip(NEXT) | instid1(VALU_DEP_4)
	v_not_b32_e32 v4, v1
	v_not_b32_e32 v3, v0
	v_cmp_gt_i16_e32 vcc_lo, 11, v10
	v_add_co_ci_u32_e64 v6, null, s5, 0, s3
	s_mov_b32 s2, 0
	s_mov_b32 s23, -1
	s_mov_b32 s3, 0
	s_cbranch_vccnz .LBB39_101
; %bb.25:
	v_cmp_lt_i16_e32 vcc_lo, 25, v10
	s_cbranch_vccz .LBB39_58
; %bb.26:
	v_cmp_lt_i16_e32 vcc_lo, 28, v10
	s_cbranch_vccz .LBB39_41
	;; [unrolled: 3-line block ×4, first 2 shown]
; %bb.29:
	v_cmp_eq_u16_e32 vcc_lo, 46, v10
	s_mov_b32 s23, 0
	s_mov_b32 s2, -1
	s_cbranch_vccz .LBB39_31
; %bb.30:
	v_xor_b32_e32 v2, v3, v4
	v_cls_i32_e32 v11, v4
	s_mov_b32 s3, -1
	s_mov_b32 s2, 0
	s_delay_alu instid0(VALU_DEP_2) | instskip(NEXT) | instid1(VALU_DEP_2)
	v_ashrrev_i32_e32 v2, 31, v2
	v_add_nc_u32_e32 v11, -1, v11
	s_delay_alu instid0(VALU_DEP_2) | instskip(NEXT) | instid1(VALU_DEP_1)
	v_add_nc_u32_e32 v2, 32, v2
	v_min_u32_e32 v2, v11, v2
	s_delay_alu instid0(VALU_DEP_1) | instskip(SKIP_1) | instid1(VALU_DEP_2)
	v_lshlrev_b64 v[11:12], v2, v[3:4]
	v_sub_nc_u32_e32 v2, 32, v2
	v_min_u32_e32 v11, 1, v11
	s_delay_alu instid0(VALU_DEP_1) | instskip(NEXT) | instid1(VALU_DEP_1)
	v_or_b32_e32 v11, v12, v11
	v_cvt_f32_i32_e32 v11, v11
	s_delay_alu instid0(VALU_DEP_1) | instskip(NEXT) | instid1(VALU_DEP_1)
	v_ldexp_f32 v2, v11, v2
	v_bfe_u32 v11, v2, 16, 1
	s_delay_alu instid0(VALU_DEP_1) | instskip(NEXT) | instid1(VALU_DEP_1)
	v_add3_u32 v2, v2, v11, 0x7fff
	v_lshrrev_b32_e32 v2, 16, v2
	global_store_b32 v[5:6], v2, off
.LBB39_31:
	s_and_b32 vcc_lo, exec_lo, s23
	s_cbranch_vccz .LBB39_36
; %bb.32:
	v_cmp_eq_u16_e32 vcc_lo, 44, v10
	s_mov_b32 s2, -1
	s_cbranch_vccz .LBB39_36
; %bb.33:
	v_xor_b32_e32 v2, v3, v4
	v_cls_i32_e32 v11, v4
	s_mov_b32 s3, -1
	s_mov_b32 s23, exec_lo
	s_delay_alu instid0(VALU_DEP_2) | instskip(NEXT) | instid1(VALU_DEP_2)
	v_ashrrev_i32_e32 v2, 31, v2
	v_add_nc_u32_e32 v11, -1, v11
	s_delay_alu instid0(VALU_DEP_2) | instskip(NEXT) | instid1(VALU_DEP_1)
	v_add_nc_u32_e32 v2, 32, v2
	v_min_u32_e32 v2, v11, v2
	s_delay_alu instid0(VALU_DEP_1) | instskip(SKIP_1) | instid1(VALU_DEP_2)
	v_lshlrev_b64 v[11:12], v2, v[3:4]
	v_sub_nc_u32_e32 v2, 32, v2
	v_min_u32_e32 v11, 1, v11
	s_delay_alu instid0(VALU_DEP_1) | instskip(NEXT) | instid1(VALU_DEP_1)
	v_or_b32_e32 v11, v12, v11
	v_cvt_f32_i32_e32 v11, v11
	s_delay_alu instid0(VALU_DEP_1) | instskip(SKIP_1) | instid1(VALU_DEP_2)
	v_ldexp_f32 v2, v11, v2
	v_mov_b32_e32 v11, 0xff
	v_bfe_u32 v12, v2, 23, 8
	s_delay_alu instid0(VALU_DEP_1)
	v_cmpx_ne_u32_e32 0xff, v12
; %bb.34:
	v_and_b32_e32 v11, 0x400000, v2
	v_and_or_b32 v12, 0x3fffff, v2, v12
	v_lshrrev_b32_e32 v2, 23, v2
	s_delay_alu instid0(VALU_DEP_3) | instskip(NEXT) | instid1(VALU_DEP_3)
	v_cmp_ne_u32_e32 vcc_lo, 0, v11
	v_cmp_ne_u32_e64 s2, 0, v12
	s_delay_alu instid0(VALU_DEP_1) | instskip(NEXT) | instid1(SALU_CYCLE_1)
	s_and_b32 s2, vcc_lo, s2
	v_cndmask_b32_e64 v11, 0, 1, s2
	s_delay_alu instid0(VALU_DEP_1)
	v_add_nc_u32_e32 v11, v2, v11
; %bb.35:
	s_or_b32 exec_lo, exec_lo, s23
	s_mov_b32 s2, 0
	global_store_b8 v[5:6], v11, off
.LBB39_36:
	s_mov_b32 s23, 0
.LBB39_37:
	s_delay_alu instid0(SALU_CYCLE_1)
	s_and_b32 vcc_lo, exec_lo, s23
	s_cbranch_vccz .LBB39_40
; %bb.38:
	v_cmp_eq_u16_e32 vcc_lo, 29, v10
	s_mov_b32 s2, -1
	s_cbranch_vccz .LBB39_40
; %bb.39:
	s_mov_b32 s3, -1
	s_mov_b32 s2, 0
	global_store_b64 v[5:6], v[3:4], off
.LBB39_40:
	s_mov_b32 s23, 0
.LBB39_41:
	s_delay_alu instid0(SALU_CYCLE_1)
	s_and_b32 vcc_lo, exec_lo, s23
	s_cbranch_vccz .LBB39_57
; %bb.42:
	v_cmp_gt_i16_e32 vcc_lo, 27, v10
	s_mov_b32 s3, -1
	s_cbranch_vccnz .LBB39_48
; %bb.43:
	v_cmp_lt_i16_e32 vcc_lo, 27, v10
	s_cbranch_vccz .LBB39_45
; %bb.44:
	s_mov_b32 s3, 0
	global_store_b32 v[5:6], v3, off
.LBB39_45:
	s_and_not1_b32 vcc_lo, exec_lo, s3
	s_cbranch_vccnz .LBB39_47
; %bb.46:
	global_store_b16 v[5:6], v3, off
.LBB39_47:
	s_mov_b32 s3, 0
.LBB39_48:
	s_delay_alu instid0(SALU_CYCLE_1)
	s_and_not1_b32 vcc_lo, exec_lo, s3
	s_cbranch_vccnz .LBB39_56
; %bb.49:
	v_xor_b32_e32 v2, v3, v4
	v_cls_i32_e32 v11, v4
	s_mov_b32 s3, exec_lo
	s_delay_alu instid0(VALU_DEP_2) | instskip(NEXT) | instid1(VALU_DEP_2)
	v_ashrrev_i32_e32 v2, 31, v2
	v_add_nc_u32_e32 v11, -1, v11
	s_delay_alu instid0(VALU_DEP_2) | instskip(NEXT) | instid1(VALU_DEP_1)
	v_add_nc_u32_e32 v2, 32, v2
	v_min_u32_e32 v2, v11, v2
	s_delay_alu instid0(VALU_DEP_1) | instskip(SKIP_1) | instid1(VALU_DEP_2)
	v_lshlrev_b64 v[11:12], v2, v[3:4]
	v_sub_nc_u32_e32 v2, 32, v2
	v_min_u32_e32 v11, 1, v11
	s_delay_alu instid0(VALU_DEP_1) | instskip(SKIP_1) | instid1(VALU_DEP_2)
	v_or_b32_e32 v11, v12, v11
	v_mov_b32_e32 v12, 0x80
	v_cvt_f32_i32_e32 v11, v11
	s_delay_alu instid0(VALU_DEP_1) | instskip(NEXT) | instid1(VALU_DEP_1)
	v_ldexp_f32 v2, v11, v2
	v_and_b32_e32 v11, 0x7fffffff, v2
	s_delay_alu instid0(VALU_DEP_1)
	v_cmpx_gt_u32_e32 0x43800000, v11
	s_cbranch_execz .LBB39_55
; %bb.50:
	v_cmp_lt_u32_e32 vcc_lo, 0x3bffffff, v11
	s_mov_b32 s23, 0
                                        ; implicit-def: $vgpr11
	s_and_saveexec_b32 s34, vcc_lo
	s_delay_alu instid0(SALU_CYCLE_1)
	s_xor_b32 s34, exec_lo, s34
	s_cbranch_execz .LBB39_150
; %bb.51:
	v_bfe_u32 v11, v2, 20, 1
	s_mov_b32 s23, exec_lo
	s_delay_alu instid0(VALU_DEP_1) | instskip(NEXT) | instid1(VALU_DEP_1)
	v_add3_u32 v11, v2, v11, 0x487ffff
	v_lshrrev_b32_e32 v11, 20, v11
	s_or_saveexec_b32 s34, s34
                                        ; implicit-def: $sgpr35
	s_delay_alu instid0(SALU_CYCLE_1)
	s_xor_b32 exec_lo, exec_lo, s34
	s_cbranch_execnz .LBB39_151
.LBB39_52:
	s_or_b32 exec_lo, exec_lo, s34
	v_mov_b32_e32 v12, s35
	s_and_saveexec_b32 s34, s23
.LBB39_53:
	v_lshrrev_b32_e32 v2, 24, v2
	s_delay_alu instid0(VALU_DEP_1)
	v_and_or_b32 v12, 0x80, v2, v11
.LBB39_54:
	s_or_b32 exec_lo, exec_lo, s34
.LBB39_55:
	s_delay_alu instid0(SALU_CYCLE_1)
	s_or_b32 exec_lo, exec_lo, s3
	global_store_b8 v[5:6], v12, off
.LBB39_56:
	s_mov_b32 s3, -1
.LBB39_57:
	s_mov_b32 s23, 0
.LBB39_58:
	s_delay_alu instid0(SALU_CYCLE_1)
	s_and_b32 vcc_lo, exec_lo, s23
	s_cbranch_vccz .LBB39_99
; %bb.59:
	v_cmp_lt_i16_e32 vcc_lo, 22, v10
	s_mov_b32 s23, -1
	s_cbranch_vccz .LBB39_91
; %bb.60:
	v_cmp_gt_i16_e32 vcc_lo, 24, v10
	s_mov_b32 s3, -1
	s_cbranch_vccnz .LBB39_80
; %bb.61:
	v_cmp_lt_i16_e32 vcc_lo, 24, v10
	s_cbranch_vccz .LBB39_69
; %bb.62:
	v_xor_b32_e32 v2, v3, v4
	v_cls_i32_e32 v11, v4
	s_mov_b32 s3, exec_lo
	s_delay_alu instid0(VALU_DEP_2) | instskip(NEXT) | instid1(VALU_DEP_2)
	v_ashrrev_i32_e32 v2, 31, v2
	v_add_nc_u32_e32 v11, -1, v11
	s_delay_alu instid0(VALU_DEP_2) | instskip(NEXT) | instid1(VALU_DEP_1)
	v_add_nc_u32_e32 v2, 32, v2
	v_min_u32_e32 v2, v11, v2
	s_delay_alu instid0(VALU_DEP_1) | instskip(SKIP_1) | instid1(VALU_DEP_2)
	v_lshlrev_b64 v[11:12], v2, v[3:4]
	v_sub_nc_u32_e32 v2, 32, v2
	v_min_u32_e32 v11, 1, v11
	s_delay_alu instid0(VALU_DEP_1) | instskip(SKIP_1) | instid1(VALU_DEP_2)
	v_or_b32_e32 v11, v12, v11
	v_mov_b32_e32 v12, 0x80
	v_cvt_f32_i32_e32 v11, v11
	s_delay_alu instid0(VALU_DEP_1) | instskip(NEXT) | instid1(VALU_DEP_1)
	v_ldexp_f32 v2, v11, v2
	v_and_b32_e32 v11, 0x7fffffff, v2
	s_delay_alu instid0(VALU_DEP_1)
	v_cmpx_gt_u32_e32 0x47800000, v11
	s_cbranch_execz .LBB39_68
; %bb.63:
	v_cmp_lt_u32_e32 vcc_lo, 0x37ffffff, v11
	s_mov_b32 s23, 0
                                        ; implicit-def: $vgpr11
	s_and_saveexec_b32 s34, vcc_lo
	s_delay_alu instid0(SALU_CYCLE_1)
	s_xor_b32 s34, exec_lo, s34
	s_cbranch_execz .LBB39_337
; %bb.64:
	v_bfe_u32 v11, v2, 21, 1
	s_mov_b32 s23, exec_lo
	s_delay_alu instid0(VALU_DEP_1) | instskip(NEXT) | instid1(VALU_DEP_1)
	v_add3_u32 v11, v2, v11, 0x88fffff
	v_lshrrev_b32_e32 v11, 21, v11
	s_or_saveexec_b32 s34, s34
                                        ; implicit-def: $sgpr35
	s_delay_alu instid0(SALU_CYCLE_1)
	s_xor_b32 exec_lo, exec_lo, s34
	s_cbranch_execnz .LBB39_338
.LBB39_65:
	s_or_b32 exec_lo, exec_lo, s34
	v_mov_b32_e32 v12, s35
	s_and_saveexec_b32 s34, s23
.LBB39_66:
	v_lshrrev_b32_e32 v2, 24, v2
	s_delay_alu instid0(VALU_DEP_1)
	v_and_or_b32 v12, 0x80, v2, v11
.LBB39_67:
	s_or_b32 exec_lo, exec_lo, s34
.LBB39_68:
	s_delay_alu instid0(SALU_CYCLE_1)
	s_or_b32 exec_lo, exec_lo, s3
	s_mov_b32 s3, 0
	global_store_b8 v[5:6], v12, off
.LBB39_69:
	s_and_b32 vcc_lo, exec_lo, s3
	s_cbranch_vccz .LBB39_79
; %bb.70:
	v_xor_b32_e32 v2, v3, v4
	v_cls_i32_e32 v11, v4
	s_mov_b32 s3, exec_lo
	s_delay_alu instid0(VALU_DEP_2) | instskip(NEXT) | instid1(VALU_DEP_2)
	v_ashrrev_i32_e32 v2, 31, v2
	v_add_nc_u32_e32 v11, -1, v11
	s_delay_alu instid0(VALU_DEP_2) | instskip(NEXT) | instid1(VALU_DEP_1)
	v_add_nc_u32_e32 v2, 32, v2
	v_min_u32_e32 v2, v11, v2
	s_delay_alu instid0(VALU_DEP_1) | instskip(SKIP_1) | instid1(VALU_DEP_2)
	v_lshlrev_b64 v[11:12], v2, v[3:4]
	v_sub_nc_u32_e32 v2, 32, v2
	v_min_u32_e32 v11, 1, v11
	s_delay_alu instid0(VALU_DEP_1) | instskip(NEXT) | instid1(VALU_DEP_1)
	v_or_b32_e32 v11, v12, v11
	v_cvt_f32_i32_e32 v11, v11
	s_delay_alu instid0(VALU_DEP_1) | instskip(NEXT) | instid1(VALU_DEP_1)
	v_ldexp_f32 v2, v11, v2
                                        ; implicit-def: $vgpr11
	v_and_b32_e32 v12, 0x7fffffff, v2
	s_delay_alu instid0(VALU_DEP_1)
	v_cmpx_gt_u32_e32 0x43f00000, v12
	s_xor_b32 s3, exec_lo, s3
	s_cbranch_execz .LBB39_76
; %bb.71:
	s_mov_b32 s23, exec_lo
                                        ; implicit-def: $vgpr11
	v_cmpx_lt_u32_e32 0x3c7fffff, v12
	s_xor_b32 s23, exec_lo, s23
; %bb.72:
	v_bfe_u32 v11, v2, 20, 1
	s_delay_alu instid0(VALU_DEP_1) | instskip(NEXT) | instid1(VALU_DEP_1)
	v_add3_u32 v11, v2, v11, 0x407ffff
	v_and_b32_e32 v12, 0xff00000, v11
	v_lshrrev_b32_e32 v11, 20, v11
	s_delay_alu instid0(VALU_DEP_2) | instskip(NEXT) | instid1(VALU_DEP_2)
	v_cmp_ne_u32_e32 vcc_lo, 0x7f00000, v12
	v_cndmask_b32_e32 v11, 0x7e, v11, vcc_lo
; %bb.73:
	s_and_not1_saveexec_b32 s23, s23
; %bb.74:
	v_add_f32_e64 v11, 0x46800000, |v2|
; %bb.75:
	s_or_b32 exec_lo, exec_lo, s23
                                        ; implicit-def: $vgpr12
.LBB39_76:
	s_and_not1_saveexec_b32 s3, s3
; %bb.77:
	v_mov_b32_e32 v11, 0x7f
	v_cmp_lt_u32_e32 vcc_lo, 0x7f800000, v12
	s_delay_alu instid0(VALU_DEP_2)
	v_cndmask_b32_e32 v11, 0x7e, v11, vcc_lo
; %bb.78:
	s_or_b32 exec_lo, exec_lo, s3
	v_lshrrev_b32_e32 v2, 24, v2
	s_delay_alu instid0(VALU_DEP_1)
	v_and_or_b32 v2, 0x80, v2, v11
	global_store_b8 v[5:6], v2, off
.LBB39_79:
	s_mov_b32 s3, 0
.LBB39_80:
	s_delay_alu instid0(SALU_CYCLE_1)
	s_and_not1_b32 vcc_lo, exec_lo, s3
	s_cbranch_vccnz .LBB39_90
; %bb.81:
	v_xor_b32_e32 v2, v3, v4
	v_cls_i32_e32 v11, v4
	s_mov_b32 s3, exec_lo
	s_delay_alu instid0(VALU_DEP_2) | instskip(NEXT) | instid1(VALU_DEP_2)
	v_ashrrev_i32_e32 v2, 31, v2
	v_add_nc_u32_e32 v11, -1, v11
	s_delay_alu instid0(VALU_DEP_2) | instskip(NEXT) | instid1(VALU_DEP_1)
	v_add_nc_u32_e32 v2, 32, v2
	v_min_u32_e32 v2, v11, v2
	s_delay_alu instid0(VALU_DEP_1) | instskip(SKIP_1) | instid1(VALU_DEP_2)
	v_lshlrev_b64 v[11:12], v2, v[3:4]
	v_sub_nc_u32_e32 v2, 32, v2
	v_min_u32_e32 v11, 1, v11
	s_delay_alu instid0(VALU_DEP_1) | instskip(NEXT) | instid1(VALU_DEP_1)
	v_or_b32_e32 v11, v12, v11
	v_cvt_f32_i32_e32 v11, v11
	s_delay_alu instid0(VALU_DEP_1) | instskip(NEXT) | instid1(VALU_DEP_1)
	v_ldexp_f32 v2, v11, v2
                                        ; implicit-def: $vgpr11
	v_and_b32_e32 v12, 0x7fffffff, v2
	s_delay_alu instid0(VALU_DEP_1)
	v_cmpx_gt_u32_e32 0x47800000, v12
	s_xor_b32 s3, exec_lo, s3
	s_cbranch_execz .LBB39_87
; %bb.82:
	s_mov_b32 s23, exec_lo
                                        ; implicit-def: $vgpr11
	v_cmpx_lt_u32_e32 0x387fffff, v12
	s_xor_b32 s23, exec_lo, s23
; %bb.83:
	v_bfe_u32 v11, v2, 21, 1
	s_delay_alu instid0(VALU_DEP_1) | instskip(NEXT) | instid1(VALU_DEP_1)
	v_add3_u32 v11, v2, v11, 0x80fffff
	v_lshrrev_b32_e32 v11, 21, v11
; %bb.84:
	s_and_not1_saveexec_b32 s23, s23
; %bb.85:
	v_add_f32_e64 v11, 0x43000000, |v2|
; %bb.86:
	s_or_b32 exec_lo, exec_lo, s23
                                        ; implicit-def: $vgpr12
.LBB39_87:
	s_and_not1_saveexec_b32 s3, s3
; %bb.88:
	v_mov_b32_e32 v11, 0x7f
	v_cmp_lt_u32_e32 vcc_lo, 0x7f800000, v12
	s_delay_alu instid0(VALU_DEP_2)
	v_cndmask_b32_e32 v11, 0x7c, v11, vcc_lo
; %bb.89:
	s_or_b32 exec_lo, exec_lo, s3
	v_lshrrev_b32_e32 v2, 24, v2
	s_delay_alu instid0(VALU_DEP_1)
	v_and_or_b32 v2, 0x80, v2, v11
	global_store_b8 v[5:6], v2, off
.LBB39_90:
	s_mov_b32 s23, 0
	s_mov_b32 s3, -1
.LBB39_91:
	s_and_not1_b32 vcc_lo, exec_lo, s23
	s_cbranch_vccnz .LBB39_99
; %bb.92:
	v_cmp_lt_i16_e32 vcc_lo, 14, v10
	s_mov_b32 s23, -1
	s_cbranch_vccz .LBB39_96
; %bb.93:
	v_cmp_eq_u16_e32 vcc_lo, 15, v10
	s_mov_b32 s2, -1
	s_cbranch_vccz .LBB39_95
; %bb.94:
	v_xor_b32_e32 v2, v3, v4
	v_cls_i32_e32 v11, v4
	s_mov_b32 s3, -1
	s_mov_b32 s2, 0
	s_delay_alu instid0(VALU_DEP_2) | instskip(NEXT) | instid1(VALU_DEP_2)
	v_ashrrev_i32_e32 v2, 31, v2
	v_add_nc_u32_e32 v11, -1, v11
	s_delay_alu instid0(VALU_DEP_2) | instskip(NEXT) | instid1(VALU_DEP_1)
	v_add_nc_u32_e32 v2, 32, v2
	v_min_u32_e32 v2, v11, v2
	s_delay_alu instid0(VALU_DEP_1) | instskip(SKIP_1) | instid1(VALU_DEP_2)
	v_lshlrev_b64 v[11:12], v2, v[3:4]
	v_sub_nc_u32_e32 v2, 32, v2
	v_min_u32_e32 v11, 1, v11
	s_delay_alu instid0(VALU_DEP_1) | instskip(NEXT) | instid1(VALU_DEP_1)
	v_or_b32_e32 v11, v12, v11
	v_cvt_f32_i32_e32 v11, v11
	s_delay_alu instid0(VALU_DEP_1) | instskip(NEXT) | instid1(VALU_DEP_1)
	v_ldexp_f32 v2, v11, v2
	v_bfe_u32 v11, v2, 16, 1
	s_delay_alu instid0(VALU_DEP_1)
	v_add3_u32 v2, v2, v11, 0x7fff
	global_store_d16_hi_b16 v[5:6], v2, off
.LBB39_95:
	s_mov_b32 s23, 0
.LBB39_96:
	s_delay_alu instid0(SALU_CYCLE_1)
	s_and_b32 vcc_lo, exec_lo, s23
	s_cbranch_vccz .LBB39_99
; %bb.97:
	v_cmp_eq_u16_e32 vcc_lo, 11, v10
	s_mov_b32 s2, -1
	s_cbranch_vccz .LBB39_99
; %bb.98:
	v_cmp_ne_u64_e32 vcc_lo, -1, v[0:1]
	s_mov_b32 s3, -1
	s_mov_b32 s2, 0
	v_cndmask_b32_e64 v0, 0, 1, vcc_lo
	global_store_b8 v[5:6], v0, off
.LBB39_99:
.LBB39_100:
	s_and_not1_b32 vcc_lo, exec_lo, s3
	s_cbranch_vccz .LBB39_140
	s_branch .LBB39_257
.LBB39_101:
	s_and_b32 vcc_lo, exec_lo, s23
	s_cbranch_vccz .LBB39_100
; %bb.102:
	v_cmp_gt_i16_e32 vcc_lo, 5, v10
	s_mov_b32 s3, -1
	s_cbranch_vccnz .LBB39_123
; %bb.103:
	v_cmp_gt_i16_e32 vcc_lo, 8, v10
	s_cbranch_vccnz .LBB39_113
; %bb.104:
	v_cmp_gt_i16_e32 vcc_lo, 9, v10
	s_cbranch_vccnz .LBB39_110
; %bb.105:
	v_cmp_lt_i16_e32 vcc_lo, 9, v10
	s_cbranch_vccz .LBB39_107
; %bb.106:
	v_cvt_f64_i32_e32 v[0:1], v4
	v_cvt_f64_u32_e32 v[11:12], v3
	v_mov_b32_e32 v13, 0
	s_mov_b32 s3, 0
	s_delay_alu instid0(VALU_DEP_1) | instskip(NEXT) | instid1(VALU_DEP_4)
	v_mov_b32_e32 v14, v13
	v_ldexp_f64 v[0:1], v[0:1], 32
	s_delay_alu instid0(VALU_DEP_1)
	v_add_f64 v[11:12], v[0:1], v[11:12]
	global_store_b128 v[5:6], v[11:14], off
.LBB39_107:
	s_and_not1_b32 vcc_lo, exec_lo, s3
	s_cbranch_vccnz .LBB39_109
; %bb.108:
	v_xor_b32_e32 v0, v3, v4
	v_cls_i32_e32 v1, v4
	s_delay_alu instid0(VALU_DEP_2) | instskip(NEXT) | instid1(VALU_DEP_2)
	v_ashrrev_i32_e32 v0, 31, v0
	v_add_nc_u32_e32 v1, -1, v1
	s_delay_alu instid0(VALU_DEP_2) | instskip(NEXT) | instid1(VALU_DEP_1)
	v_add_nc_u32_e32 v0, 32, v0
	v_min_u32_e32 v2, v1, v0
	s_delay_alu instid0(VALU_DEP_1) | instskip(NEXT) | instid1(VALU_DEP_1)
	v_lshlrev_b64 v[0:1], v2, v[3:4]
	v_min_u32_e32 v0, 1, v0
	s_delay_alu instid0(VALU_DEP_1) | instskip(SKIP_1) | instid1(VALU_DEP_2)
	v_or_b32_e32 v0, v1, v0
	v_sub_nc_u32_e32 v1, 32, v2
	v_cvt_f32_i32_e32 v0, v0
	s_delay_alu instid0(VALU_DEP_1)
	v_ldexp_f32 v0, v0, v1
	v_mov_b32_e32 v1, 0
	global_store_b64 v[5:6], v[0:1], off
.LBB39_109:
	s_mov_b32 s3, 0
.LBB39_110:
	s_delay_alu instid0(SALU_CYCLE_1)
	s_and_not1_b32 vcc_lo, exec_lo, s3
	s_cbranch_vccnz .LBB39_112
; %bb.111:
	v_xor_b32_e32 v0, v3, v4
	v_cls_i32_e32 v1, v4
	s_delay_alu instid0(VALU_DEP_2) | instskip(NEXT) | instid1(VALU_DEP_2)
	v_ashrrev_i32_e32 v0, 31, v0
	v_add_nc_u32_e32 v1, -1, v1
	s_delay_alu instid0(VALU_DEP_2) | instskip(NEXT) | instid1(VALU_DEP_1)
	v_add_nc_u32_e32 v0, 32, v0
	v_min_u32_e32 v2, v1, v0
	s_delay_alu instid0(VALU_DEP_1) | instskip(NEXT) | instid1(VALU_DEP_1)
	v_lshlrev_b64 v[0:1], v2, v[3:4]
	v_min_u32_e32 v0, 1, v0
	s_delay_alu instid0(VALU_DEP_1) | instskip(SKIP_1) | instid1(VALU_DEP_2)
	v_or_b32_e32 v0, v1, v0
	v_sub_nc_u32_e32 v1, 32, v2
	v_cvt_f32_i32_e32 v0, v0
	s_delay_alu instid0(VALU_DEP_1) | instskip(NEXT) | instid1(VALU_DEP_1)
	v_ldexp_f32 v0, v0, v1
	v_cvt_f16_f32_e32 v0, v0
	s_delay_alu instid0(VALU_DEP_1)
	v_and_b32_e32 v0, 0xffff, v0
	global_store_b32 v[5:6], v0, off
.LBB39_112:
	s_mov_b32 s3, 0
.LBB39_113:
	s_delay_alu instid0(SALU_CYCLE_1)
	s_and_not1_b32 vcc_lo, exec_lo, s3
	s_cbranch_vccnz .LBB39_122
; %bb.114:
	v_cmp_gt_i16_e32 vcc_lo, 6, v10
	s_mov_b32 s3, -1
	s_cbranch_vccnz .LBB39_120
; %bb.115:
	v_cmp_lt_i16_e32 vcc_lo, 6, v10
	s_cbranch_vccz .LBB39_117
; %bb.116:
	v_cvt_f64_i32_e32 v[0:1], v4
	v_cvt_f64_u32_e32 v[11:12], v3
	s_mov_b32 s3, 0
	s_delay_alu instid0(VALU_DEP_2) | instskip(NEXT) | instid1(VALU_DEP_1)
	v_ldexp_f64 v[0:1], v[0:1], 32
	v_add_f64 v[0:1], v[0:1], v[11:12]
	global_store_b64 v[5:6], v[0:1], off
.LBB39_117:
	s_and_not1_b32 vcc_lo, exec_lo, s3
	s_cbranch_vccnz .LBB39_119
; %bb.118:
	v_xor_b32_e32 v0, v3, v4
	v_cls_i32_e32 v1, v4
	s_delay_alu instid0(VALU_DEP_2) | instskip(NEXT) | instid1(VALU_DEP_2)
	v_ashrrev_i32_e32 v0, 31, v0
	v_add_nc_u32_e32 v1, -1, v1
	s_delay_alu instid0(VALU_DEP_2) | instskip(NEXT) | instid1(VALU_DEP_1)
	v_add_nc_u32_e32 v0, 32, v0
	v_min_u32_e32 v2, v1, v0
	s_delay_alu instid0(VALU_DEP_1) | instskip(NEXT) | instid1(VALU_DEP_1)
	v_lshlrev_b64 v[0:1], v2, v[3:4]
	v_min_u32_e32 v0, 1, v0
	s_delay_alu instid0(VALU_DEP_1) | instskip(SKIP_1) | instid1(VALU_DEP_2)
	v_or_b32_e32 v0, v1, v0
	v_sub_nc_u32_e32 v1, 32, v2
	v_cvt_f32_i32_e32 v0, v0
	s_delay_alu instid0(VALU_DEP_1)
	v_ldexp_f32 v0, v0, v1
	global_store_b32 v[5:6], v0, off
.LBB39_119:
	s_mov_b32 s3, 0
.LBB39_120:
	s_delay_alu instid0(SALU_CYCLE_1)
	s_and_not1_b32 vcc_lo, exec_lo, s3
	s_cbranch_vccnz .LBB39_122
; %bb.121:
	v_xor_b32_e32 v0, v3, v4
	v_cls_i32_e32 v1, v4
	s_delay_alu instid0(VALU_DEP_2) | instskip(NEXT) | instid1(VALU_DEP_2)
	v_ashrrev_i32_e32 v0, 31, v0
	v_add_nc_u32_e32 v1, -1, v1
	s_delay_alu instid0(VALU_DEP_2) | instskip(NEXT) | instid1(VALU_DEP_1)
	v_add_nc_u32_e32 v0, 32, v0
	v_min_u32_e32 v2, v1, v0
	s_delay_alu instid0(VALU_DEP_1) | instskip(NEXT) | instid1(VALU_DEP_1)
	v_lshlrev_b64 v[0:1], v2, v[3:4]
	v_min_u32_e32 v0, 1, v0
	s_delay_alu instid0(VALU_DEP_1) | instskip(SKIP_1) | instid1(VALU_DEP_2)
	v_or_b32_e32 v0, v1, v0
	v_sub_nc_u32_e32 v1, 32, v2
	v_cvt_f32_i32_e32 v0, v0
	s_delay_alu instid0(VALU_DEP_1) | instskip(NEXT) | instid1(VALU_DEP_1)
	v_ldexp_f32 v0, v0, v1
	v_cvt_f16_f32_e32 v0, v0
	global_store_b16 v[5:6], v0, off
.LBB39_122:
	s_mov_b32 s3, 0
.LBB39_123:
	s_delay_alu instid0(SALU_CYCLE_1)
	s_and_not1_b32 vcc_lo, exec_lo, s3
	s_cbranch_vccnz .LBB39_139
; %bb.124:
	v_cmp_gt_i16_e32 vcc_lo, 2, v10
	s_mov_b32 s3, -1
	s_cbranch_vccnz .LBB39_134
; %bb.125:
	v_cmp_gt_i16_e32 vcc_lo, 3, v10
	s_cbranch_vccnz .LBB39_131
; %bb.126:
	v_cmp_lt_i16_e32 vcc_lo, 3, v10
	s_cbranch_vccz .LBB39_128
; %bb.127:
	s_mov_b32 s3, 0
	global_store_b64 v[5:6], v[3:4], off
.LBB39_128:
	s_and_not1_b32 vcc_lo, exec_lo, s3
	s_cbranch_vccnz .LBB39_130
; %bb.129:
	global_store_b32 v[5:6], v3, off
.LBB39_130:
	s_mov_b32 s3, 0
.LBB39_131:
	s_delay_alu instid0(SALU_CYCLE_1)
	s_and_not1_b32 vcc_lo, exec_lo, s3
	s_cbranch_vccnz .LBB39_133
; %bb.132:
	global_store_b16 v[5:6], v3, off
.LBB39_133:
	s_mov_b32 s3, 0
.LBB39_134:
	s_delay_alu instid0(SALU_CYCLE_1)
	s_and_not1_b32 vcc_lo, exec_lo, s3
	s_cbranch_vccnz .LBB39_139
; %bb.135:
	v_cmp_lt_i16_e32 vcc_lo, 0, v10
	s_mov_b32 s3, -1
	s_cbranch_vccz .LBB39_137
; %bb.136:
	s_mov_b32 s3, 0
	global_store_b8 v[5:6], v3, off
.LBB39_137:
	s_and_not1_b32 vcc_lo, exec_lo, s3
	s_cbranch_vccnz .LBB39_139
; %bb.138:
	global_store_b8 v[5:6], v3, off
.LBB39_139:
.LBB39_140:
	v_add_nc_u32_e32 v9, 0x80, v9
	s_mov_b32 s3, -1
	s_branch .LBB39_258
.LBB39_141:
	s_mov_b32 s2, 0
                                        ; implicit-def: $vgpr0_vgpr1
	s_cbranch_execnz .LBB39_178
	s_branch .LBB39_208
.LBB39_142:
	s_mov_b32 s3, -1
	s_mov_b32 s2, 0
                                        ; implicit-def: $vgpr0_vgpr1
	s_branch .LBB39_159
.LBB39_143:
	s_mov_b32 s3, -1
	s_mov_b32 s2, 0
                                        ; implicit-def: $vgpr0_vgpr1
	s_branch .LBB39_154
.LBB39_144:
	s_mov_b32 s3, -1
	s_branch .LBB39_146
.LBB39_145:
	s_mov_b32 s22, -1
.LBB39_146:
	s_mov_b32 s2, 0
                                        ; implicit-def: $vgpr0_vgpr1
.LBB39_147:
	s_and_b32 vcc_lo, exec_lo, s3
	s_cbranch_vccz .LBB39_153
; %bb.148:
	v_cmp_eq_u16_e32 vcc_lo, 44, v8
	s_cbranch_vccz .LBB39_152
; %bb.149:
	global_load_u8 v0, v[3:4], off
	s_mov_b32 s22, 0
	s_mov_b32 s2, -1
	s_waitcnt vmcnt(0)
	v_lshlrev_b32_e32 v1, 23, v0
	s_delay_alu instid0(VALU_DEP_1) | instskip(NEXT) | instid1(VALU_DEP_1)
	v_trunc_f32_e32 v1, v1
	v_mul_f32_e64 v5, 0x2f800000, |v1|
	s_delay_alu instid0(VALU_DEP_1) | instskip(NEXT) | instid1(VALU_DEP_1)
	v_floor_f32_e32 v5, v5
	v_fma_f32 v6, 0xcf800000, v5, |v1|
	v_ashrrev_i32_e32 v1, 31, v1
	v_cvt_u32_f32_e32 v5, v5
	s_delay_alu instid0(VALU_DEP_3) | instskip(NEXT) | instid1(VALU_DEP_2)
	v_cvt_u32_f32_e32 v6, v6
	v_xor_b32_e32 v5, v5, v1
	s_delay_alu instid0(VALU_DEP_2) | instskip(NEXT) | instid1(VALU_DEP_1)
	v_xor_b32_e32 v6, v6, v1
	v_sub_co_u32 v6, vcc_lo, v6, v1
	s_delay_alu instid0(VALU_DEP_3) | instskip(SKIP_1) | instid1(VALU_DEP_2)
	v_sub_co_ci_u32_e32 v1, vcc_lo, v5, v1, vcc_lo
	v_cmp_ne_u32_e32 vcc_lo, 0, v0
	v_dual_cndmask_b32 v0, 0, v6 :: v_dual_cndmask_b32 v1, 0, v1
	s_branch .LBB39_153
.LBB39_150:
	s_or_saveexec_b32 s34, s34
                                        ; implicit-def: $sgpr35
	s_delay_alu instid0(SALU_CYCLE_1)
	s_xor_b32 exec_lo, exec_lo, s34
	s_cbranch_execz .LBB39_52
.LBB39_151:
	v_add_f32_e64 v11, 0x46000000, |v2|
	s_and_not1_b32 s23, s23, exec_lo
	s_mov_b32 s35, 0
	s_delay_alu instid0(VALU_DEP_1) | instskip(NEXT) | instid1(VALU_DEP_1)
	v_and_b32_e32 v11, 0xff, v11
	v_cmp_ne_u32_e32 vcc_lo, 0, v11
	s_and_b32 s38, vcc_lo, exec_lo
	s_delay_alu instid0(SALU_CYCLE_1)
	s_or_b32 s23, s23, s38
	s_or_b32 exec_lo, exec_lo, s34
	v_mov_b32_e32 v12, s35
	s_and_saveexec_b32 s34, s23
	s_cbranch_execnz .LBB39_53
	s_branch .LBB39_54
.LBB39_152:
	s_mov_b32 s22, -1
                                        ; implicit-def: $vgpr0_vgpr1
.LBB39_153:
	s_mov_b32 s3, 0
.LBB39_154:
	s_delay_alu instid0(SALU_CYCLE_1)
	s_and_b32 vcc_lo, exec_lo, s3
	s_cbranch_vccz .LBB39_158
; %bb.155:
	v_cmp_eq_u16_e32 vcc_lo, 29, v8
	s_cbranch_vccz .LBB39_157
; %bb.156:
	global_load_b64 v[0:1], v[3:4], off
	s_mov_b32 s2, -1
	s_mov_b32 s22, 0
	s_branch .LBB39_158
.LBB39_157:
	s_mov_b32 s22, -1
                                        ; implicit-def: $vgpr0_vgpr1
.LBB39_158:
	s_mov_b32 s3, 0
.LBB39_159:
	s_delay_alu instid0(SALU_CYCLE_1)
	s_and_b32 vcc_lo, exec_lo, s3
	s_cbranch_vccz .LBB39_177
; %bb.160:
	v_cmp_gt_i16_e32 vcc_lo, 27, v8
	s_cbranch_vccnz .LBB39_163
; %bb.161:
	v_cmp_lt_i16_e32 vcc_lo, 27, v8
	s_cbranch_vccz .LBB39_164
; %bb.162:
	global_load_b32 v0, v[3:4], off
	s_waitcnt vmcnt(1)
	v_mov_b32_e32 v1, 0
	s_mov_b32 s2, 0
	s_branch .LBB39_165
.LBB39_163:
	s_mov_b32 s2, -1
                                        ; implicit-def: $vgpr0_vgpr1
	s_branch .LBB39_168
.LBB39_164:
	s_mov_b32 s2, -1
                                        ; implicit-def: $vgpr0_vgpr1
.LBB39_165:
	s_delay_alu instid0(SALU_CYCLE_1)
	s_and_not1_b32 vcc_lo, exec_lo, s2
	s_cbranch_vccnz .LBB39_167
; %bb.166:
	global_load_u16 v0, v[3:4], off
	s_mov_b32 s2, 0
	s_waitcnt vmcnt(0)
	v_dual_mov_b32 v1, s2 :: v_dual_and_b32 v0, 0xffff, v0
.LBB39_167:
	s_mov_b32 s2, 0
.LBB39_168:
	s_delay_alu instid0(SALU_CYCLE_1)
	s_and_not1_b32 vcc_lo, exec_lo, s2
	s_cbranch_vccnz .LBB39_176
; %bb.169:
	global_load_u8 v5, v[3:4], off
	s_mov_b32 s23, 0
	s_mov_b32 s34, exec_lo
                                        ; implicit-def: $sgpr2_sgpr3
	s_waitcnt vmcnt(0)
	v_cmpx_lt_i16_e32 0x7f, v5
	s_xor_b32 s34, exec_lo, s34
; %bb.170:
	v_cmp_ne_u16_e32 vcc_lo, 0x80, v5
	s_mov_b64 s[2:3], 0
	s_and_b32 s23, vcc_lo, exec_lo
; %bb.171:
	s_or_saveexec_b32 s34, s34
	v_dual_mov_b32 v0, s2 :: v_dual_mov_b32 v1, s3
	s_xor_b32 exec_lo, exec_lo, s34
; %bb.172:
	v_cmp_ne_u16_e32 vcc_lo, 0, v5
	v_mov_b32_e32 v0, 0
	v_mov_b32_e32 v1, 0
	s_and_not1_b32 s2, s23, exec_lo
	s_and_b32 s3, vcc_lo, exec_lo
	s_delay_alu instid0(SALU_CYCLE_1)
	s_or_b32 s23, s2, s3
; %bb.173:
	s_or_b32 exec_lo, exec_lo, s34
	s_and_saveexec_b32 s2, s23
	s_cbranch_execz .LBB39_175
; %bb.174:
	v_and_b32_e32 v0, 0xffff, v5
	v_lshlrev_b32_e32 v5, 24, v5
	s_delay_alu instid0(VALU_DEP_2) | instskip(NEXT) | instid1(VALU_DEP_2)
	v_and_b32_e32 v1, 7, v0
	v_and_b32_e32 v5, 0x80000000, v5
	s_delay_alu instid0(VALU_DEP_2) | instskip(NEXT) | instid1(VALU_DEP_1)
	v_clz_i32_u32_e32 v6, v1
	v_min_u32_e32 v6, 32, v6
	s_delay_alu instid0(VALU_DEP_1) | instskip(SKIP_1) | instid1(VALU_DEP_2)
	v_subrev_nc_u32_e32 v10, 28, v6
	v_sub_nc_u32_e32 v6, 29, v6
	v_lshlrev_b32_e32 v10, v10, v0
	v_bfe_u32 v0, v0, 3, 4
	s_delay_alu instid0(VALU_DEP_2) | instskip(NEXT) | instid1(VALU_DEP_2)
	v_and_b32_e32 v10, 7, v10
	v_cmp_eq_u32_e32 vcc_lo, 0, v0
	v_cndmask_b32_e32 v0, v0, v6, vcc_lo
	s_delay_alu instid0(VALU_DEP_3) | instskip(NEXT) | instid1(VALU_DEP_2)
	v_cndmask_b32_e32 v1, v1, v10, vcc_lo
	v_lshl_add_u32 v0, v0, 23, 0x3b800000
	s_delay_alu instid0(VALU_DEP_2) | instskip(NEXT) | instid1(VALU_DEP_1)
	v_lshlrev_b32_e32 v1, 20, v1
	v_or3_b32 v0, v5, v0, v1
	s_delay_alu instid0(VALU_DEP_1) | instskip(NEXT) | instid1(VALU_DEP_1)
	v_trunc_f32_e32 v0, v0
	v_mul_f32_e64 v1, 0x2f800000, |v0|
	v_ashrrev_i32_e32 v6, 31, v0
	s_delay_alu instid0(VALU_DEP_2) | instskip(NEXT) | instid1(VALU_DEP_1)
	v_floor_f32_e32 v1, v1
	v_fma_f32 v5, 0xcf800000, v1, |v0|
	v_cvt_u32_f32_e32 v1, v1
	s_delay_alu instid0(VALU_DEP_2) | instskip(NEXT) | instid1(VALU_DEP_2)
	v_cvt_u32_f32_e32 v0, v5
	v_xor_b32_e32 v1, v1, v6
	s_delay_alu instid0(VALU_DEP_2) | instskip(NEXT) | instid1(VALU_DEP_1)
	v_xor_b32_e32 v0, v0, v6
	v_sub_co_u32 v0, vcc_lo, v0, v6
	s_delay_alu instid0(VALU_DEP_3)
	v_sub_co_ci_u32_e32 v1, vcc_lo, v1, v6, vcc_lo
.LBB39_175:
	s_or_b32 exec_lo, exec_lo, s2
.LBB39_176:
	s_mov_b32 s2, -1
.LBB39_177:
	s_branch .LBB39_208
.LBB39_178:
	v_cmp_lt_i16_e32 vcc_lo, 22, v8
	s_cbranch_vccz .LBB39_188
; %bb.179:
	v_cmp_gt_i16_e32 vcc_lo, 24, v8
	s_cbranch_vccnz .LBB39_189
; %bb.180:
	v_cmp_lt_i16_e32 vcc_lo, 24, v8
	s_cbranch_vccz .LBB39_190
; %bb.181:
	global_load_u8 v5, v[3:4], off
	s_mov_b32 s23, 0
	s_mov_b32 s34, exec_lo
                                        ; implicit-def: $sgpr2_sgpr3
	s_waitcnt vmcnt(0)
	v_cmpx_lt_i16_e32 0x7f, v5
	s_xor_b32 s34, exec_lo, s34
; %bb.182:
	v_cmp_ne_u16_e32 vcc_lo, 0x80, v5
	s_mov_b64 s[2:3], 0
	s_and_b32 s23, vcc_lo, exec_lo
; %bb.183:
	s_or_saveexec_b32 s34, s34
	v_dual_mov_b32 v0, s2 :: v_dual_mov_b32 v1, s3
	s_xor_b32 exec_lo, exec_lo, s34
; %bb.184:
	v_cmp_ne_u16_e32 vcc_lo, 0, v5
	v_mov_b32_e32 v0, 0
	v_mov_b32_e32 v1, 0
	s_and_not1_b32 s2, s23, exec_lo
	s_and_b32 s3, vcc_lo, exec_lo
	s_delay_alu instid0(SALU_CYCLE_1)
	s_or_b32 s23, s2, s3
; %bb.185:
	s_or_b32 exec_lo, exec_lo, s34
	s_and_saveexec_b32 s2, s23
	s_cbranch_execz .LBB39_187
; %bb.186:
	v_and_b32_e32 v0, 0xffff, v5
	v_lshlrev_b32_e32 v5, 24, v5
	s_delay_alu instid0(VALU_DEP_2) | instskip(NEXT) | instid1(VALU_DEP_2)
	v_and_b32_e32 v1, 3, v0
	v_and_b32_e32 v5, 0x80000000, v5
	s_delay_alu instid0(VALU_DEP_2) | instskip(NEXT) | instid1(VALU_DEP_1)
	v_clz_i32_u32_e32 v6, v1
	v_min_u32_e32 v6, 32, v6
	s_delay_alu instid0(VALU_DEP_1) | instskip(SKIP_1) | instid1(VALU_DEP_2)
	v_subrev_nc_u32_e32 v10, 29, v6
	v_sub_nc_u32_e32 v6, 30, v6
	v_lshlrev_b32_e32 v10, v10, v0
	v_bfe_u32 v0, v0, 2, 5
	s_delay_alu instid0(VALU_DEP_2) | instskip(NEXT) | instid1(VALU_DEP_2)
	v_and_b32_e32 v10, 3, v10
	v_cmp_eq_u32_e32 vcc_lo, 0, v0
	v_cndmask_b32_e32 v0, v0, v6, vcc_lo
	s_delay_alu instid0(VALU_DEP_3) | instskip(NEXT) | instid1(VALU_DEP_2)
	v_cndmask_b32_e32 v1, v1, v10, vcc_lo
	v_lshl_add_u32 v0, v0, 23, 0x37800000
	s_delay_alu instid0(VALU_DEP_2) | instskip(NEXT) | instid1(VALU_DEP_1)
	v_lshlrev_b32_e32 v1, 21, v1
	v_or3_b32 v0, v5, v0, v1
	s_delay_alu instid0(VALU_DEP_1) | instskip(NEXT) | instid1(VALU_DEP_1)
	v_trunc_f32_e32 v0, v0
	v_mul_f32_e64 v1, 0x2f800000, |v0|
	v_ashrrev_i32_e32 v6, 31, v0
	s_delay_alu instid0(VALU_DEP_2) | instskip(NEXT) | instid1(VALU_DEP_1)
	v_floor_f32_e32 v1, v1
	v_fma_f32 v5, 0xcf800000, v1, |v0|
	v_cvt_u32_f32_e32 v1, v1
	s_delay_alu instid0(VALU_DEP_2) | instskip(NEXT) | instid1(VALU_DEP_2)
	v_cvt_u32_f32_e32 v0, v5
	v_xor_b32_e32 v1, v1, v6
	s_delay_alu instid0(VALU_DEP_2) | instskip(NEXT) | instid1(VALU_DEP_1)
	v_xor_b32_e32 v0, v0, v6
	v_sub_co_u32 v0, vcc_lo, v0, v6
	s_delay_alu instid0(VALU_DEP_3)
	v_sub_co_ci_u32_e32 v1, vcc_lo, v1, v6, vcc_lo
.LBB39_187:
	s_or_b32 exec_lo, exec_lo, s2
	s_mov_b32 s2, 0
	s_branch .LBB39_191
.LBB39_188:
	s_mov_b32 s3, -1
                                        ; implicit-def: $vgpr0_vgpr1
	s_branch .LBB39_197
.LBB39_189:
	s_mov_b32 s2, -1
                                        ; implicit-def: $vgpr0_vgpr1
	s_branch .LBB39_194
.LBB39_190:
	s_mov_b32 s2, -1
                                        ; implicit-def: $vgpr0_vgpr1
.LBB39_191:
	s_delay_alu instid0(SALU_CYCLE_1)
	s_and_b32 vcc_lo, exec_lo, s2
	s_cbranch_vccz .LBB39_193
; %bb.192:
	global_load_u8 v0, v[3:4], off
	s_waitcnt vmcnt(0)
	v_lshlrev_b32_e32 v0, 24, v0
	s_delay_alu instid0(VALU_DEP_1) | instskip(NEXT) | instid1(VALU_DEP_1)
	v_and_b32_e32 v1, 0x7f000000, v0
	v_clz_i32_u32_e32 v5, v1
	v_add_nc_u32_e32 v10, 0x1000000, v1
	v_cmp_ne_u32_e32 vcc_lo, 0, v1
	s_delay_alu instid0(VALU_DEP_3) | instskip(NEXT) | instid1(VALU_DEP_1)
	v_min_u32_e32 v5, 32, v5
	v_sub_nc_u32_e64 v5, v5, 4 clamp
	s_delay_alu instid0(VALU_DEP_1) | instskip(SKIP_1) | instid1(VALU_DEP_2)
	v_lshlrev_b32_e32 v6, v5, v1
	v_lshlrev_b32_e32 v5, 23, v5
	v_lshrrev_b32_e32 v6, 4, v6
	s_delay_alu instid0(VALU_DEP_1) | instskip(SKIP_1) | instid1(VALU_DEP_2)
	v_sub_nc_u32_e32 v5, v6, v5
	v_ashrrev_i32_e32 v6, 8, v10
	v_add_nc_u32_e32 v5, 0x3c000000, v5
	s_delay_alu instid0(VALU_DEP_1) | instskip(NEXT) | instid1(VALU_DEP_1)
	v_and_or_b32 v5, 0x7f800000, v6, v5
	v_cndmask_b32_e32 v1, 0, v5, vcc_lo
	s_delay_alu instid0(VALU_DEP_1) | instskip(NEXT) | instid1(VALU_DEP_1)
	v_and_or_b32 v0, 0x80000000, v0, v1
	v_trunc_f32_e32 v0, v0
	s_delay_alu instid0(VALU_DEP_1) | instskip(SKIP_1) | instid1(VALU_DEP_2)
	v_mul_f32_e64 v1, 0x2f800000, |v0|
	v_ashrrev_i32_e32 v6, 31, v0
	v_floor_f32_e32 v1, v1
	s_delay_alu instid0(VALU_DEP_1) | instskip(SKIP_1) | instid1(VALU_DEP_2)
	v_fma_f32 v5, 0xcf800000, v1, |v0|
	v_cvt_u32_f32_e32 v1, v1
	v_cvt_u32_f32_e32 v0, v5
	s_delay_alu instid0(VALU_DEP_2) | instskip(NEXT) | instid1(VALU_DEP_2)
	v_xor_b32_e32 v1, v1, v6
	v_xor_b32_e32 v0, v0, v6
	s_delay_alu instid0(VALU_DEP_1) | instskip(NEXT) | instid1(VALU_DEP_3)
	v_sub_co_u32 v0, vcc_lo, v0, v6
	v_sub_co_ci_u32_e32 v1, vcc_lo, v1, v6, vcc_lo
.LBB39_193:
	s_mov_b32 s2, 0
.LBB39_194:
	s_delay_alu instid0(SALU_CYCLE_1)
	s_and_not1_b32 vcc_lo, exec_lo, s2
	s_cbranch_vccnz .LBB39_196
; %bb.195:
	global_load_u8 v0, v[3:4], off
	s_waitcnt vmcnt(0)
	v_lshlrev_b32_e32 v1, 25, v0
	v_lshlrev_b16 v0, 8, v0
	s_delay_alu instid0(VALU_DEP_1) | instskip(SKIP_1) | instid1(VALU_DEP_2)
	v_and_or_b32 v6, 0x7f00, v0, 0.5
	v_bfe_i32 v0, v0, 0, 16
	v_add_f32_e32 v6, -0.5, v6
	v_lshrrev_b32_e32 v5, 4, v1
	v_cmp_gt_u32_e32 vcc_lo, 0x8000000, v1
	s_delay_alu instid0(VALU_DEP_2) | instskip(NEXT) | instid1(VALU_DEP_1)
	v_or_b32_e32 v5, 0x70000000, v5
	v_mul_f32_e32 v5, 0x7800000, v5
	s_delay_alu instid0(VALU_DEP_1) | instskip(NEXT) | instid1(VALU_DEP_1)
	v_cndmask_b32_e32 v1, v5, v6, vcc_lo
	v_and_or_b32 v0, 0x80000000, v0, v1
	s_delay_alu instid0(VALU_DEP_1) | instskip(NEXT) | instid1(VALU_DEP_1)
	v_trunc_f32_e32 v0, v0
	v_mul_f32_e64 v1, 0x2f800000, |v0|
	v_ashrrev_i32_e32 v6, 31, v0
	s_delay_alu instid0(VALU_DEP_2) | instskip(NEXT) | instid1(VALU_DEP_1)
	v_floor_f32_e32 v1, v1
	v_fma_f32 v5, 0xcf800000, v1, |v0|
	v_cvt_u32_f32_e32 v1, v1
	s_delay_alu instid0(VALU_DEP_2) | instskip(NEXT) | instid1(VALU_DEP_2)
	v_cvt_u32_f32_e32 v0, v5
	v_xor_b32_e32 v1, v1, v6
	s_delay_alu instid0(VALU_DEP_2) | instskip(NEXT) | instid1(VALU_DEP_1)
	v_xor_b32_e32 v0, v0, v6
	v_sub_co_u32 v0, vcc_lo, v0, v6
	s_delay_alu instid0(VALU_DEP_3)
	v_sub_co_ci_u32_e32 v1, vcc_lo, v1, v6, vcc_lo
.LBB39_196:
	s_mov_b32 s3, 0
	s_mov_b32 s2, -1
.LBB39_197:
	s_and_not1_b32 vcc_lo, exec_lo, s3
	s_cbranch_vccnz .LBB39_208
; %bb.198:
	v_cmp_lt_i16_e32 vcc_lo, 14, v8
	s_cbranch_vccz .LBB39_201
; %bb.199:
	v_cmp_eq_u16_e32 vcc_lo, 15, v8
	s_cbranch_vccz .LBB39_202
; %bb.200:
	global_load_u16 v0, v[3:4], off
	s_mov_b32 s2, -1
	s_mov_b32 s22, 0
	s_waitcnt vmcnt(0)
	v_lshlrev_b32_e32 v0, 16, v0
	s_delay_alu instid0(VALU_DEP_1) | instskip(NEXT) | instid1(VALU_DEP_1)
	v_trunc_f32_e32 v0, v0
	v_mul_f32_e64 v1, 0x2f800000, |v0|
	v_ashrrev_i32_e32 v6, 31, v0
	s_delay_alu instid0(VALU_DEP_2) | instskip(NEXT) | instid1(VALU_DEP_1)
	v_floor_f32_e32 v1, v1
	v_fma_f32 v5, 0xcf800000, v1, |v0|
	v_cvt_u32_f32_e32 v1, v1
	s_delay_alu instid0(VALU_DEP_2) | instskip(NEXT) | instid1(VALU_DEP_2)
	v_cvt_u32_f32_e32 v0, v5
	v_xor_b32_e32 v1, v1, v6
	s_delay_alu instid0(VALU_DEP_2) | instskip(NEXT) | instid1(VALU_DEP_1)
	v_xor_b32_e32 v0, v0, v6
	v_sub_co_u32 v0, vcc_lo, v0, v6
	s_delay_alu instid0(VALU_DEP_3)
	v_sub_co_ci_u32_e32 v1, vcc_lo, v1, v6, vcc_lo
	s_branch .LBB39_203
.LBB39_201:
	s_mov_b32 s3, -1
                                        ; implicit-def: $vgpr0_vgpr1
	s_branch .LBB39_204
.LBB39_202:
	s_mov_b32 s22, -1
                                        ; implicit-def: $vgpr0_vgpr1
.LBB39_203:
	s_mov_b32 s3, 0
.LBB39_204:
	s_delay_alu instid0(SALU_CYCLE_1)
	s_and_b32 vcc_lo, exec_lo, s3
	s_cbranch_vccz .LBB39_208
; %bb.205:
	v_cmp_eq_u16_e32 vcc_lo, 11, v8
	s_cbranch_vccz .LBB39_207
; %bb.206:
	global_load_u8 v0, v[3:4], off
	s_mov_b32 s22, 0
	s_mov_b32 s2, -1
	s_waitcnt vmcnt(1)
	v_mov_b32_e32 v1, s22
	s_waitcnt vmcnt(0)
	v_cmp_ne_u16_e32 vcc_lo, 0, v0
	v_cndmask_b32_e64 v0, 0, 1, vcc_lo
	s_branch .LBB39_208
.LBB39_207:
	s_mov_b32 s22, -1
                                        ; implicit-def: $vgpr0_vgpr1
.LBB39_208:
	s_branch .LBB39_23
.LBB39_209:
	v_cmp_gt_i16_e32 vcc_lo, 5, v8
	s_cbranch_vccnz .LBB39_214
; %bb.210:
	v_cmp_gt_i16_e32 vcc_lo, 8, v8
	s_cbranch_vccnz .LBB39_215
; %bb.211:
	;; [unrolled: 3-line block ×3, first 2 shown]
	v_cmp_lt_i16_e32 vcc_lo, 9, v8
	s_cbranch_vccz .LBB39_217
; %bb.213:
	global_load_b64 v[0:1], v[3:4], off
	s_mov_b32 s2, 0
	s_waitcnt vmcnt(0)
	v_trunc_f64_e32 v[0:1], v[0:1]
	s_delay_alu instid0(VALU_DEP_1) | instskip(NEXT) | instid1(VALU_DEP_1)
	v_ldexp_f64 v[5:6], v[0:1], 0xffffffe0
	v_floor_f64_e32 v[5:6], v[5:6]
	s_delay_alu instid0(VALU_DEP_1) | instskip(SKIP_1) | instid1(VALU_DEP_2)
	v_fma_f64 v[10:11], 0xc1f00000, v[5:6], v[0:1]
	v_cvt_i32_f64_e32 v1, v[5:6]
	v_cvt_u32_f64_e32 v0, v[10:11]
	s_branch .LBB39_218
.LBB39_214:
                                        ; implicit-def: $vgpr0_vgpr1
	s_branch .LBB39_236
.LBB39_215:
	s_mov_b32 s2, -1
                                        ; implicit-def: $vgpr0_vgpr1
	s_branch .LBB39_224
.LBB39_216:
	s_mov_b32 s2, -1
                                        ; implicit-def: $vgpr0_vgpr1
	s_branch .LBB39_221
.LBB39_217:
	s_mov_b32 s2, -1
                                        ; implicit-def: $vgpr0_vgpr1
.LBB39_218:
	s_delay_alu instid0(SALU_CYCLE_1)
	s_and_not1_b32 vcc_lo, exec_lo, s2
	s_cbranch_vccnz .LBB39_220
; %bb.219:
	global_load_b32 v0, v[3:4], off
	s_waitcnt vmcnt(0)
	v_trunc_f32_e32 v0, v0
	s_delay_alu instid0(VALU_DEP_1) | instskip(SKIP_1) | instid1(VALU_DEP_2)
	v_mul_f32_e64 v1, 0x2f800000, |v0|
	v_ashrrev_i32_e32 v6, 31, v0
	v_floor_f32_e32 v1, v1
	s_delay_alu instid0(VALU_DEP_1) | instskip(SKIP_1) | instid1(VALU_DEP_2)
	v_fma_f32 v5, 0xcf800000, v1, |v0|
	v_cvt_u32_f32_e32 v1, v1
	v_cvt_u32_f32_e32 v0, v5
	s_delay_alu instid0(VALU_DEP_2) | instskip(NEXT) | instid1(VALU_DEP_2)
	v_xor_b32_e32 v1, v1, v6
	v_xor_b32_e32 v0, v0, v6
	s_delay_alu instid0(VALU_DEP_1) | instskip(NEXT) | instid1(VALU_DEP_3)
	v_sub_co_u32 v0, vcc_lo, v0, v6
	v_sub_co_ci_u32_e32 v1, vcc_lo, v1, v6, vcc_lo
.LBB39_220:
	s_mov_b32 s2, 0
.LBB39_221:
	s_delay_alu instid0(SALU_CYCLE_1)
	s_and_not1_b32 vcc_lo, exec_lo, s2
	s_cbranch_vccnz .LBB39_223
; %bb.222:
	global_load_b32 v0, v[3:4], off
	s_waitcnt vmcnt(0)
	v_cvt_f32_f16_e32 v0, v0
	s_delay_alu instid0(VALU_DEP_1) | instskip(NEXT) | instid1(VALU_DEP_1)
	v_cvt_i32_f32_e32 v0, v0
	v_ashrrev_i32_e32 v1, 31, v0
.LBB39_223:
	s_mov_b32 s2, 0
.LBB39_224:
	s_delay_alu instid0(SALU_CYCLE_1)
	s_and_not1_b32 vcc_lo, exec_lo, s2
	s_cbranch_vccnz .LBB39_235
; %bb.225:
	v_cmp_gt_i16_e32 vcc_lo, 6, v8
	s_cbranch_vccnz .LBB39_228
; %bb.226:
	v_cmp_lt_i16_e32 vcc_lo, 6, v8
	s_cbranch_vccz .LBB39_229
; %bb.227:
	global_load_b64 v[0:1], v[3:4], off
	s_mov_b32 s2, 0
	s_waitcnt vmcnt(0)
	v_trunc_f64_e32 v[0:1], v[0:1]
	s_delay_alu instid0(VALU_DEP_1) | instskip(NEXT) | instid1(VALU_DEP_1)
	v_ldexp_f64 v[5:6], v[0:1], 0xffffffe0
	v_floor_f64_e32 v[5:6], v[5:6]
	s_delay_alu instid0(VALU_DEP_1) | instskip(SKIP_1) | instid1(VALU_DEP_2)
	v_fma_f64 v[10:11], 0xc1f00000, v[5:6], v[0:1]
	v_cvt_i32_f64_e32 v1, v[5:6]
	v_cvt_u32_f64_e32 v0, v[10:11]
	s_branch .LBB39_230
.LBB39_228:
	s_mov_b32 s2, -1
                                        ; implicit-def: $vgpr0_vgpr1
	s_branch .LBB39_233
.LBB39_229:
	s_mov_b32 s2, -1
                                        ; implicit-def: $vgpr0_vgpr1
.LBB39_230:
	s_delay_alu instid0(SALU_CYCLE_1)
	s_and_not1_b32 vcc_lo, exec_lo, s2
	s_cbranch_vccnz .LBB39_232
; %bb.231:
	global_load_b32 v0, v[3:4], off
	s_waitcnt vmcnt(0)
	v_trunc_f32_e32 v0, v0
	s_delay_alu instid0(VALU_DEP_1) | instskip(SKIP_1) | instid1(VALU_DEP_2)
	v_mul_f32_e64 v1, 0x2f800000, |v0|
	v_ashrrev_i32_e32 v6, 31, v0
	v_floor_f32_e32 v1, v1
	s_delay_alu instid0(VALU_DEP_1) | instskip(SKIP_1) | instid1(VALU_DEP_2)
	v_fma_f32 v5, 0xcf800000, v1, |v0|
	v_cvt_u32_f32_e32 v1, v1
	v_cvt_u32_f32_e32 v0, v5
	s_delay_alu instid0(VALU_DEP_2) | instskip(NEXT) | instid1(VALU_DEP_2)
	v_xor_b32_e32 v1, v1, v6
	v_xor_b32_e32 v0, v0, v6
	s_delay_alu instid0(VALU_DEP_1) | instskip(NEXT) | instid1(VALU_DEP_3)
	v_sub_co_u32 v0, vcc_lo, v0, v6
	v_sub_co_ci_u32_e32 v1, vcc_lo, v1, v6, vcc_lo
.LBB39_232:
	s_mov_b32 s2, 0
.LBB39_233:
	s_delay_alu instid0(SALU_CYCLE_1)
	s_and_not1_b32 vcc_lo, exec_lo, s2
	s_cbranch_vccnz .LBB39_235
; %bb.234:
	global_load_u16 v0, v[3:4], off
	s_waitcnt vmcnt(0)
	v_cvt_f32_f16_e32 v0, v0
	s_delay_alu instid0(VALU_DEP_1) | instskip(NEXT) | instid1(VALU_DEP_1)
	v_cvt_i32_f32_e32 v0, v0
	v_ashrrev_i32_e32 v1, 31, v0
.LBB39_235:
	s_cbranch_execnz .LBB39_255
.LBB39_236:
	v_cmp_gt_i16_e32 vcc_lo, 2, v8
	s_cbranch_vccnz .LBB39_240
; %bb.237:
	v_cmp_gt_i16_e32 vcc_lo, 3, v8
	s_cbranch_vccnz .LBB39_241
; %bb.238:
	v_cmp_lt_i16_e32 vcc_lo, 3, v8
	s_cbranch_vccz .LBB39_242
; %bb.239:
	global_load_b64 v[0:1], v[3:4], off
	s_mov_b32 s2, 0
	s_branch .LBB39_243
.LBB39_240:
	s_mov_b32 s2, -1
                                        ; implicit-def: $vgpr0_vgpr1
	s_branch .LBB39_249
.LBB39_241:
	s_mov_b32 s2, -1
                                        ; implicit-def: $vgpr0_vgpr1
	s_branch .LBB39_246
.LBB39_242:
	s_mov_b32 s2, -1
                                        ; implicit-def: $vgpr0_vgpr1
.LBB39_243:
	s_delay_alu instid0(SALU_CYCLE_1)
	s_and_not1_b32 vcc_lo, exec_lo, s2
	s_cbranch_vccnz .LBB39_245
; %bb.244:
	global_load_b32 v0, v[3:4], off
	s_waitcnt vmcnt(0)
	v_ashrrev_i32_e32 v1, 31, v0
.LBB39_245:
	s_mov_b32 s2, 0
.LBB39_246:
	s_delay_alu instid0(SALU_CYCLE_1)
	s_and_not1_b32 vcc_lo, exec_lo, s2
	s_cbranch_vccnz .LBB39_248
; %bb.247:
	global_load_u16 v0, v[3:4], off
	s_waitcnt vmcnt(0)
	v_bfe_i32 v0, v0, 0, 16
	s_delay_alu instid0(VALU_DEP_1)
	v_ashrrev_i32_e32 v1, 31, v0
.LBB39_248:
	s_mov_b32 s2, 0
.LBB39_249:
	s_delay_alu instid0(SALU_CYCLE_1)
	s_and_not1_b32 vcc_lo, exec_lo, s2
	s_cbranch_vccnz .LBB39_255
; %bb.250:
	v_cmp_lt_i16_e32 vcc_lo, 0, v8
	s_mov_b32 s2, 0
	s_cbranch_vccz .LBB39_252
; %bb.251:
	global_load_i8 v0, v[3:4], off
	s_waitcnt vmcnt(0)
	v_bfe_i32 v0, v0, 0, 16
	s_delay_alu instid0(VALU_DEP_1)
	v_ashrrev_i32_e32 v1, 31, v0
	s_branch .LBB39_253
.LBB39_252:
	s_mov_b32 s2, -1
                                        ; implicit-def: $vgpr0_vgpr1
.LBB39_253:
	s_delay_alu instid0(SALU_CYCLE_1)
	s_and_not1_b32 vcc_lo, exec_lo, s2
	s_cbranch_vccnz .LBB39_255
; %bb.254:
	global_load_u8 v0, v[3:4], off
	s_mov_b32 s2, 0
	s_waitcnt vmcnt(0)
	v_dual_mov_b32 v1, s2 :: v_dual_and_b32 v0, 0xffff, v0
.LBB39_255:
	s_branch .LBB39_24
.LBB39_256:
	s_mov_b32 s2, 0
.LBB39_257:
	s_mov_b32 s3, 0
                                        ; implicit-def: $vgpr9
.LBB39_258:
	s_and_b32 s34, s2, exec_lo
	s_and_b32 s35, s22, exec_lo
	s_or_not1_b32 s3, s3, exec_lo
.LBB39_259:
	s_or_b32 exec_lo, exec_lo, s36
	s_mov_b32 s22, 0
	s_mov_b32 s2, 0
                                        ; implicit-def: $vgpr3_vgpr4
                                        ; implicit-def: $vgpr2
                                        ; implicit-def: $vgpr0_vgpr1
	s_and_saveexec_b32 s36, s3
	s_cbranch_execz .LBB39_890
; %bb.260:
	s_mov_b32 s2, -1
	s_mov_b32 s37, s35
	s_mov_b32 s38, s34
	s_mov_b32 s39, exec_lo
	v_cmpx_gt_i32_e64 s30, v9
	s_cbranch_execz .LBB39_525
; %bb.261:
	s_and_not1_b32 vcc_lo, exec_lo, s27
	s_cbranch_vccnz .LBB39_266
; %bb.262:
	v_mov_b32_e32 v2, 0
	s_waitcnt vmcnt(0)
	v_mov_b32_e32 v0, 0
	s_and_not1_b32 vcc_lo, exec_lo, s33
	s_mov_b32 s37, 0
	s_cbranch_vccnz .LBB39_271
; %bb.263:
	v_mov_b32_e32 v2, 0
	s_add_i32 s40, s31, 1
	s_cmp_eq_u32 s25, 2
	s_mov_b32 s38, 0
	s_cbranch_scc1 .LBB39_267
; %bb.264:
	v_dual_mov_b32 v0, 0 :: v_dual_mov_b32 v1, v9
	v_mov_b32_e32 v2, 0
	s_and_b32 s38, s40, 28
	s_mov_b32 s41, 0
	s_mov_b64 s[2:3], s[20:21]
	s_mov_b64 s[22:23], s[16:17]
.LBB39_265:                             ; =>This Inner Loop Header: Depth=1
	s_clause 0x1
	s_load_b256 s[44:51], s[22:23], 0x4
	s_load_b128 s[60:63], s[22:23], 0x24
	s_load_b256 s[52:59], s[2:3], 0x0
	s_add_u32 s22, s22, 48
	s_addc_u32 s23, s23, 0
	s_add_i32 s41, s41, 4
	s_add_u32 s2, s2, 32
	s_addc_u32 s3, s3, 0
	s_cmp_eq_u32 s38, s41
	s_waitcnt lgkmcnt(0)
	v_mul_hi_u32 v3, s45, v1
	s_delay_alu instid0(VALU_DEP_1) | instskip(NEXT) | instid1(VALU_DEP_1)
	v_add_nc_u32_e32 v3, v1, v3
	v_lshrrev_b32_e32 v3, s46, v3
	s_delay_alu instid0(VALU_DEP_1) | instskip(SKIP_1) | instid1(VALU_DEP_2)
	v_mul_hi_u32 v4, s48, v3
	v_mul_lo_u32 v6, v3, s44
	v_add_nc_u32_e32 v4, v3, v4
	s_delay_alu instid0(VALU_DEP_2) | instskip(NEXT) | instid1(VALU_DEP_2)
	v_sub_nc_u32_e32 v1, v1, v6
	v_lshrrev_b32_e32 v4, s49, v4
	s_delay_alu instid0(VALU_DEP_2) | instskip(SKIP_1) | instid1(VALU_DEP_3)
	v_mul_lo_u32 v6, v1, s52
	v_mul_lo_u32 v11, v1, s53
	v_mul_hi_u32 v5, s51, v4
	s_delay_alu instid0(VALU_DEP_1) | instskip(NEXT) | instid1(VALU_DEP_1)
	v_add_nc_u32_e32 v5, v4, v5
	v_lshrrev_b32_e32 v5, s60, v5
	s_delay_alu instid0(VALU_DEP_1) | instskip(SKIP_1) | instid1(VALU_DEP_2)
	v_mul_hi_u32 v10, s62, v5
	v_mul_lo_u32 v12, v5, s50
	v_add_nc_u32_e32 v1, v5, v10
	v_mul_lo_u32 v10, v4, s47
	s_delay_alu instid0(VALU_DEP_3) | instskip(NEXT) | instid1(VALU_DEP_3)
	v_sub_nc_u32_e32 v4, v4, v12
	v_lshrrev_b32_e32 v1, s63, v1
	s_delay_alu instid0(VALU_DEP_2) | instskip(SKIP_2) | instid1(VALU_DEP_4)
	v_mul_lo_u32 v12, v4, s56
	v_mul_lo_u32 v4, v4, s57
	v_sub_nc_u32_e32 v3, v3, v10
	v_mul_lo_u32 v13, v1, s61
	s_delay_alu instid0(VALU_DEP_2) | instskip(SKIP_1) | instid1(VALU_DEP_3)
	v_mul_lo_u32 v10, v3, s54
	v_mul_lo_u32 v3, v3, s55
	v_sub_nc_u32_e32 v5, v5, v13
	s_delay_alu instid0(VALU_DEP_3) | instskip(NEXT) | instid1(VALU_DEP_2)
	v_add3_u32 v2, v6, v2, v10
	v_mul_lo_u32 v13, v5, s58
	v_mul_lo_u32 v5, v5, s59
	v_add3_u32 v0, v11, v0, v3
	s_delay_alu instid0(VALU_DEP_3) | instskip(NEXT) | instid1(VALU_DEP_2)
	v_add3_u32 v2, v12, v2, v13
	v_add3_u32 v0, v4, v0, v5
	s_cbranch_scc0 .LBB39_265
	s_branch .LBB39_268
.LBB39_266:
	s_mov_b32 s37, -1
                                        ; implicit-def: $vgpr2
                                        ; implicit-def: $vgpr0
	s_branch .LBB39_271
.LBB39_267:
	v_dual_mov_b32 v1, v9 :: v_dual_mov_b32 v0, 0
.LBB39_268:
	s_and_b32 s40, s40, 3
	s_delay_alu instid0(SALU_CYCLE_1)
	s_cmp_eq_u32 s40, 0
	s_cbranch_scc1 .LBB39_271
; %bb.269:
	s_lshl_b32 s2, s38, 3
	s_mul_i32 s22, s38, 12
	s_add_u32 s2, s2, s16
	s_addc_u32 s3, s17, 0
	s_add_u32 s2, s2, 0xc4
	s_addc_u32 s3, s3, 0
	;; [unrolled: 2-line block ×3, first 2 shown]
	.p2align	6
.LBB39_270:                             ; =>This Inner Loop Header: Depth=1
	s_clause 0x1
	s_load_b64 s[42:43], s[22:23], 0x4
	s_load_b32 s38, s[22:23], 0xc
	s_load_b64 s[44:45], s[2:3], 0x0
	s_add_u32 s22, s22, 12
	s_addc_u32 s23, s23, 0
	s_add_u32 s2, s2, 8
	s_addc_u32 s3, s3, 0
	s_add_i32 s40, s40, -1
	s_delay_alu instid0(SALU_CYCLE_1) | instskip(SKIP_2) | instid1(VALU_DEP_1)
	s_cmp_lg_u32 s40, 0
	s_waitcnt lgkmcnt(0)
	v_mul_hi_u32 v3, s43, v1
	v_add_nc_u32_e32 v3, v1, v3
	s_delay_alu instid0(VALU_DEP_1) | instskip(NEXT) | instid1(VALU_DEP_1)
	v_lshrrev_b32_e32 v6, s38, v3
	v_mul_lo_u32 v3, v6, s42
	s_delay_alu instid0(VALU_DEP_1) | instskip(NEXT) | instid1(VALU_DEP_1)
	v_sub_nc_u32_e32 v1, v1, v3
	v_mad_u64_u32 v[3:4], null, v1, s44, v[2:3]
	v_mad_u64_u32 v[4:5], null, v1, s45, v[0:1]
	s_delay_alu instid0(VALU_DEP_2) | instskip(NEXT) | instid1(VALU_DEP_2)
	v_dual_mov_b32 v1, v6 :: v_dual_mov_b32 v2, v3
	v_mov_b32_e32 v0, v4
	s_cbranch_scc1 .LBB39_270
.LBB39_271:
	s_and_not1_b32 vcc_lo, exec_lo, s37
	s_cbranch_vccnz .LBB39_274
; %bb.272:
	s_waitcnt vmcnt(0) lgkmcnt(0)
	v_mul_hi_u32 v0, s13, v9
	s_and_not1_b32 vcc_lo, exec_lo, s29
	s_delay_alu instid0(VALU_DEP_1) | instskip(NEXT) | instid1(VALU_DEP_1)
	v_add_nc_u32_e32 v0, v9, v0
	v_lshrrev_b32_e32 v1, s14, v0
	s_delay_alu instid0(VALU_DEP_1) | instskip(NEXT) | instid1(VALU_DEP_1)
	v_mul_lo_u32 v0, v1, s12
	v_sub_nc_u32_e32 v0, v9, v0
	s_delay_alu instid0(VALU_DEP_1)
	v_mul_lo_u32 v2, v0, s8
	v_mul_lo_u32 v0, v0, s9
	s_cbranch_vccnz .LBB39_274
; %bb.273:
	v_mul_hi_u32 v3, s18, v1
	s_delay_alu instid0(VALU_DEP_1) | instskip(NEXT) | instid1(VALU_DEP_1)
	v_add_nc_u32_e32 v3, v1, v3
	v_lshrrev_b32_e32 v3, s19, v3
	s_delay_alu instid0(VALU_DEP_1) | instskip(NEXT) | instid1(VALU_DEP_1)
	v_mul_lo_u32 v3, v3, s15
	v_sub_nc_u32_e32 v5, v1, v3
	s_delay_alu instid0(VALU_DEP_1) | instskip(SKIP_1) | instid1(VALU_DEP_2)
	v_mad_u64_u32 v[3:4], null, v5, s10, v[2:3]
	v_mad_u64_u32 v[1:2], null, v5, s11, v[0:1]
	v_mov_b32_e32 v2, v3
	s_delay_alu instid0(VALU_DEP_2)
	v_mov_b32_e32 v0, v1
.LBB39_274:
	v_cmp_gt_i16_e32 vcc_lo, 11, v8
	s_waitcnt vmcnt(0) lgkmcnt(0)
	s_delay_alu instid0(VALU_DEP_2) | instskip(NEXT) | instid1(VALU_DEP_1)
	v_add_co_u32 v3, s2, s6, v0
	v_add_co_ci_u32_e64 v4, null, s7, 0, s2
	s_mov_b32 s2, 0
	s_cbranch_vccnz .LBB39_281
; %bb.275:
	v_cmp_lt_i16_e32 vcc_lo, 25, v8
	s_cbranch_vccz .LBB39_330
; %bb.276:
	v_cmp_lt_i16_e32 vcc_lo, 28, v8
	s_cbranch_vccz .LBB39_331
	;; [unrolled: 3-line block ×4, first 2 shown]
; %bb.279:
	v_cmp_eq_u16_e32 vcc_lo, 46, v8
	s_mov_b32 s3, 0
	s_cbranch_vccz .LBB39_339
; %bb.280:
	global_load_b32 v0, v[3:4], off
	s_mov_b32 s2, -1
	s_mov_b32 s22, 0
	s_waitcnt vmcnt(0)
	v_lshlrev_b32_e32 v0, 16, v0
	s_delay_alu instid0(VALU_DEP_1) | instskip(NEXT) | instid1(VALU_DEP_1)
	v_trunc_f32_e32 v0, v0
	v_mul_f32_e64 v1, 0x2f800000, |v0|
	v_ashrrev_i32_e32 v6, 31, v0
	s_delay_alu instid0(VALU_DEP_2) | instskip(NEXT) | instid1(VALU_DEP_1)
	v_floor_f32_e32 v1, v1
	v_fma_f32 v5, 0xcf800000, v1, |v0|
	v_cvt_u32_f32_e32 v1, v1
	s_delay_alu instid0(VALU_DEP_2) | instskip(NEXT) | instid1(VALU_DEP_2)
	v_cvt_u32_f32_e32 v0, v5
	v_xor_b32_e32 v1, v1, v6
	s_delay_alu instid0(VALU_DEP_2) | instskip(NEXT) | instid1(VALU_DEP_1)
	v_xor_b32_e32 v0, v0, v6
	v_sub_co_u32 v0, vcc_lo, v0, v6
	s_delay_alu instid0(VALU_DEP_3)
	v_sub_co_ci_u32_e32 v1, vcc_lo, v1, v6, vcc_lo
	s_branch .LBB39_341
.LBB39_281:
	s_mov_b32 s22, s35
                                        ; implicit-def: $vgpr0_vgpr1
	s_cbranch_execnz .LBB39_474
.LBB39_282:
	s_and_not1_b32 vcc_lo, exec_lo, s2
	s_cbranch_vccnz .LBB39_522
.LBB39_283:
	v_and_b32_e32 v10, 0xff, v7
	v_add_co_u32 v5, s2, s4, v2
	s_waitcnt vmcnt(0)
	s_delay_alu instid0(VALU_DEP_3) | instskip(NEXT) | instid1(VALU_DEP_4)
	v_not_b32_e32 v4, v1
	v_not_b32_e32 v3, v0
	v_cmp_gt_i16_e32 vcc_lo, 11, v10
	v_add_co_ci_u32_e64 v6, null, s5, 0, s2
	s_mov_b32 s3, 0
	s_mov_b32 s23, -1
	s_mov_b32 s2, s34
	s_cbranch_vccnz .LBB39_290
; %bb.284:
	v_cmp_lt_i16_e32 vcc_lo, 25, v10
	s_cbranch_vccz .LBB39_332
; %bb.285:
	v_cmp_lt_i16_e32 vcc_lo, 28, v10
	s_cbranch_vccz .LBB39_334
	;; [unrolled: 3-line block ×4, first 2 shown]
; %bb.288:
	v_cmp_eq_u16_e32 vcc_lo, 46, v10
	s_mov_b32 s23, 0
	s_mov_b32 s2, -1
	s_cbranch_vccz .LBB39_345
; %bb.289:
	v_xor_b32_e32 v2, v3, v4
	v_cls_i32_e32 v11, v4
	s_mov_b32 s3, -1
	s_mov_b32 s2, 0
	s_delay_alu instid0(VALU_DEP_2) | instskip(NEXT) | instid1(VALU_DEP_2)
	v_ashrrev_i32_e32 v2, 31, v2
	v_add_nc_u32_e32 v11, -1, v11
	s_delay_alu instid0(VALU_DEP_2) | instskip(NEXT) | instid1(VALU_DEP_1)
	v_add_nc_u32_e32 v2, 32, v2
	v_min_u32_e32 v2, v11, v2
	s_delay_alu instid0(VALU_DEP_1) | instskip(SKIP_1) | instid1(VALU_DEP_2)
	v_lshlrev_b64 v[11:12], v2, v[3:4]
	v_sub_nc_u32_e32 v2, 32, v2
	v_min_u32_e32 v11, 1, v11
	s_delay_alu instid0(VALU_DEP_1) | instskip(NEXT) | instid1(VALU_DEP_1)
	v_or_b32_e32 v11, v12, v11
	v_cvt_f32_i32_e32 v11, v11
	s_delay_alu instid0(VALU_DEP_1) | instskip(NEXT) | instid1(VALU_DEP_1)
	v_ldexp_f32 v2, v11, v2
	v_bfe_u32 v11, v2, 16, 1
	s_delay_alu instid0(VALU_DEP_1) | instskip(NEXT) | instid1(VALU_DEP_1)
	v_add3_u32 v2, v2, v11, 0x7fff
	v_lshrrev_b32_e32 v2, 16, v2
	global_store_b32 v[5:6], v2, off
	s_branch .LBB39_345
.LBB39_290:
	s_and_b32 vcc_lo, exec_lo, s23
	s_cbranch_vccz .LBB39_414
; %bb.291:
	v_cmp_gt_i16_e32 vcc_lo, 5, v10
	s_mov_b32 s3, -1
	s_cbranch_vccnz .LBB39_312
; %bb.292:
	v_cmp_gt_i16_e32 vcc_lo, 8, v10
	s_cbranch_vccnz .LBB39_302
; %bb.293:
	v_cmp_gt_i16_e32 vcc_lo, 9, v10
	s_cbranch_vccnz .LBB39_299
; %bb.294:
	v_cmp_lt_i16_e32 vcc_lo, 9, v10
	s_cbranch_vccz .LBB39_296
; %bb.295:
	v_cvt_f64_i32_e32 v[0:1], v4
	v_cvt_f64_u32_e32 v[11:12], v3
	v_mov_b32_e32 v13, 0
	s_mov_b32 s3, 0
	s_delay_alu instid0(VALU_DEP_1) | instskip(NEXT) | instid1(VALU_DEP_4)
	v_mov_b32_e32 v14, v13
	v_ldexp_f64 v[0:1], v[0:1], 32
	s_delay_alu instid0(VALU_DEP_1)
	v_add_f64 v[11:12], v[0:1], v[11:12]
	global_store_b128 v[5:6], v[11:14], off
.LBB39_296:
	s_and_not1_b32 vcc_lo, exec_lo, s3
	s_cbranch_vccnz .LBB39_298
; %bb.297:
	v_xor_b32_e32 v0, v3, v4
	v_cls_i32_e32 v1, v4
	s_delay_alu instid0(VALU_DEP_2) | instskip(NEXT) | instid1(VALU_DEP_2)
	v_ashrrev_i32_e32 v0, 31, v0
	v_add_nc_u32_e32 v1, -1, v1
	s_delay_alu instid0(VALU_DEP_2) | instskip(NEXT) | instid1(VALU_DEP_1)
	v_add_nc_u32_e32 v0, 32, v0
	v_min_u32_e32 v2, v1, v0
	s_delay_alu instid0(VALU_DEP_1) | instskip(NEXT) | instid1(VALU_DEP_1)
	v_lshlrev_b64 v[0:1], v2, v[3:4]
	v_min_u32_e32 v0, 1, v0
	s_delay_alu instid0(VALU_DEP_1) | instskip(SKIP_1) | instid1(VALU_DEP_2)
	v_or_b32_e32 v0, v1, v0
	v_sub_nc_u32_e32 v1, 32, v2
	v_cvt_f32_i32_e32 v0, v0
	s_delay_alu instid0(VALU_DEP_1)
	v_ldexp_f32 v0, v0, v1
	v_mov_b32_e32 v1, 0
	global_store_b64 v[5:6], v[0:1], off
.LBB39_298:
	s_mov_b32 s3, 0
.LBB39_299:
	s_delay_alu instid0(SALU_CYCLE_1)
	s_and_not1_b32 vcc_lo, exec_lo, s3
	s_cbranch_vccnz .LBB39_301
; %bb.300:
	v_xor_b32_e32 v0, v3, v4
	v_cls_i32_e32 v1, v4
	s_delay_alu instid0(VALU_DEP_2) | instskip(NEXT) | instid1(VALU_DEP_2)
	v_ashrrev_i32_e32 v0, 31, v0
	v_add_nc_u32_e32 v1, -1, v1
	s_delay_alu instid0(VALU_DEP_2) | instskip(NEXT) | instid1(VALU_DEP_1)
	v_add_nc_u32_e32 v0, 32, v0
	v_min_u32_e32 v2, v1, v0
	s_delay_alu instid0(VALU_DEP_1) | instskip(NEXT) | instid1(VALU_DEP_1)
	v_lshlrev_b64 v[0:1], v2, v[3:4]
	v_min_u32_e32 v0, 1, v0
	s_delay_alu instid0(VALU_DEP_1) | instskip(SKIP_1) | instid1(VALU_DEP_2)
	v_or_b32_e32 v0, v1, v0
	v_sub_nc_u32_e32 v1, 32, v2
	v_cvt_f32_i32_e32 v0, v0
	s_delay_alu instid0(VALU_DEP_1) | instskip(NEXT) | instid1(VALU_DEP_1)
	v_ldexp_f32 v0, v0, v1
	v_cvt_f16_f32_e32 v0, v0
	s_delay_alu instid0(VALU_DEP_1)
	v_and_b32_e32 v0, 0xffff, v0
	global_store_b32 v[5:6], v0, off
.LBB39_301:
	s_mov_b32 s3, 0
.LBB39_302:
	s_delay_alu instid0(SALU_CYCLE_1)
	s_and_not1_b32 vcc_lo, exec_lo, s3
	s_cbranch_vccnz .LBB39_311
; %bb.303:
	v_cmp_gt_i16_e32 vcc_lo, 6, v10
	s_mov_b32 s3, -1
	s_cbranch_vccnz .LBB39_309
; %bb.304:
	v_cmp_lt_i16_e32 vcc_lo, 6, v10
	s_cbranch_vccz .LBB39_306
; %bb.305:
	v_cvt_f64_i32_e32 v[0:1], v4
	v_cvt_f64_u32_e32 v[11:12], v3
	s_mov_b32 s3, 0
	s_delay_alu instid0(VALU_DEP_2) | instskip(NEXT) | instid1(VALU_DEP_1)
	v_ldexp_f64 v[0:1], v[0:1], 32
	v_add_f64 v[0:1], v[0:1], v[11:12]
	global_store_b64 v[5:6], v[0:1], off
.LBB39_306:
	s_and_not1_b32 vcc_lo, exec_lo, s3
	s_cbranch_vccnz .LBB39_308
; %bb.307:
	v_xor_b32_e32 v0, v3, v4
	v_cls_i32_e32 v1, v4
	s_delay_alu instid0(VALU_DEP_2) | instskip(NEXT) | instid1(VALU_DEP_2)
	v_ashrrev_i32_e32 v0, 31, v0
	v_add_nc_u32_e32 v1, -1, v1
	s_delay_alu instid0(VALU_DEP_2) | instskip(NEXT) | instid1(VALU_DEP_1)
	v_add_nc_u32_e32 v0, 32, v0
	v_min_u32_e32 v2, v1, v0
	s_delay_alu instid0(VALU_DEP_1) | instskip(NEXT) | instid1(VALU_DEP_1)
	v_lshlrev_b64 v[0:1], v2, v[3:4]
	v_min_u32_e32 v0, 1, v0
	s_delay_alu instid0(VALU_DEP_1) | instskip(SKIP_1) | instid1(VALU_DEP_2)
	v_or_b32_e32 v0, v1, v0
	v_sub_nc_u32_e32 v1, 32, v2
	v_cvt_f32_i32_e32 v0, v0
	s_delay_alu instid0(VALU_DEP_1)
	v_ldexp_f32 v0, v0, v1
	global_store_b32 v[5:6], v0, off
.LBB39_308:
	s_mov_b32 s3, 0
.LBB39_309:
	s_delay_alu instid0(SALU_CYCLE_1)
	s_and_not1_b32 vcc_lo, exec_lo, s3
	s_cbranch_vccnz .LBB39_311
; %bb.310:
	v_xor_b32_e32 v0, v3, v4
	v_cls_i32_e32 v1, v4
	s_delay_alu instid0(VALU_DEP_2) | instskip(NEXT) | instid1(VALU_DEP_2)
	v_ashrrev_i32_e32 v0, 31, v0
	v_add_nc_u32_e32 v1, -1, v1
	s_delay_alu instid0(VALU_DEP_2) | instskip(NEXT) | instid1(VALU_DEP_1)
	v_add_nc_u32_e32 v0, 32, v0
	v_min_u32_e32 v2, v1, v0
	s_delay_alu instid0(VALU_DEP_1) | instskip(NEXT) | instid1(VALU_DEP_1)
	v_lshlrev_b64 v[0:1], v2, v[3:4]
	v_min_u32_e32 v0, 1, v0
	s_delay_alu instid0(VALU_DEP_1) | instskip(SKIP_1) | instid1(VALU_DEP_2)
	v_or_b32_e32 v0, v1, v0
	v_sub_nc_u32_e32 v1, 32, v2
	v_cvt_f32_i32_e32 v0, v0
	s_delay_alu instid0(VALU_DEP_1) | instskip(NEXT) | instid1(VALU_DEP_1)
	v_ldexp_f32 v0, v0, v1
	v_cvt_f16_f32_e32 v0, v0
	global_store_b16 v[5:6], v0, off
.LBB39_311:
	s_mov_b32 s3, 0
.LBB39_312:
	s_delay_alu instid0(SALU_CYCLE_1)
	s_and_not1_b32 vcc_lo, exec_lo, s3
	s_cbranch_vccnz .LBB39_328
; %bb.313:
	v_cmp_gt_i16_e32 vcc_lo, 2, v10
	s_mov_b32 s3, -1
	s_cbranch_vccnz .LBB39_323
; %bb.314:
	v_cmp_gt_i16_e32 vcc_lo, 3, v10
	s_cbranch_vccnz .LBB39_320
; %bb.315:
	v_cmp_lt_i16_e32 vcc_lo, 3, v10
	s_cbranch_vccz .LBB39_317
; %bb.316:
	s_mov_b32 s3, 0
	global_store_b64 v[5:6], v[3:4], off
.LBB39_317:
	s_and_not1_b32 vcc_lo, exec_lo, s3
	s_cbranch_vccnz .LBB39_319
; %bb.318:
	global_store_b32 v[5:6], v3, off
.LBB39_319:
	s_mov_b32 s3, 0
.LBB39_320:
	s_delay_alu instid0(SALU_CYCLE_1)
	s_and_not1_b32 vcc_lo, exec_lo, s3
	s_cbranch_vccnz .LBB39_322
; %bb.321:
	global_store_b16 v[5:6], v3, off
.LBB39_322:
	s_mov_b32 s3, 0
.LBB39_323:
	s_delay_alu instid0(SALU_CYCLE_1)
	s_and_not1_b32 vcc_lo, exec_lo, s3
	s_cbranch_vccnz .LBB39_328
; %bb.324:
	v_cmp_lt_i16_e32 vcc_lo, 0, v10
	s_mov_b32 s3, -1
	s_cbranch_vccz .LBB39_326
; %bb.325:
	s_mov_b32 s3, 0
	global_store_b8 v[5:6], v3, off
.LBB39_326:
	s_and_not1_b32 vcc_lo, exec_lo, s3
	s_cbranch_vccnz .LBB39_328
; %bb.327:
	global_store_b8 v[5:6], v3, off
.LBB39_328:
	s_branch .LBB39_415
.LBB39_329:
	s_mov_b32 s3, 0
	s_branch .LBB39_523
.LBB39_330:
	s_mov_b32 s3, -1
	s_mov_b32 s22, s35
                                        ; implicit-def: $vgpr0_vgpr1
	s_branch .LBB39_442
.LBB39_331:
	s_mov_b32 s3, -1
	s_mov_b32 s22, s35
                                        ; implicit-def: $vgpr0_vgpr1
	s_branch .LBB39_423
.LBB39_332:
	s_mov_b32 s2, s34
	s_branch .LBB39_372
.LBB39_333:
	s_mov_b32 s3, -1
	s_mov_b32 s22, s35
                                        ; implicit-def: $vgpr0_vgpr1
	s_branch .LBB39_418
.LBB39_334:
	s_mov_b32 s2, s34
	s_branch .LBB39_355
.LBB39_335:
	s_mov_b32 s3, -1
	s_mov_b32 s22, s35
	s_branch .LBB39_340
.LBB39_336:
	s_mov_b32 s2, s34
	s_branch .LBB39_351
.LBB39_337:
	s_or_saveexec_b32 s34, s34
                                        ; implicit-def: $sgpr35
	s_delay_alu instid0(SALU_CYCLE_1)
	s_xor_b32 exec_lo, exec_lo, s34
	s_cbranch_execz .LBB39_65
.LBB39_338:
	v_add_f32_e64 v11, 0x42800000, |v2|
	s_and_not1_b32 s23, s23, exec_lo
	s_mov_b32 s35, 0
	s_delay_alu instid0(VALU_DEP_1) | instskip(NEXT) | instid1(VALU_DEP_1)
	v_and_b32_e32 v11, 0xff, v11
	v_cmp_ne_u32_e32 vcc_lo, 0, v11
	s_and_b32 s38, vcc_lo, exec_lo
	s_delay_alu instid0(SALU_CYCLE_1)
	s_or_b32 s23, s23, s38
	s_or_b32 exec_lo, exec_lo, s34
	v_mov_b32_e32 v12, s35
	s_and_saveexec_b32 s34, s23
	s_cbranch_execnz .LBB39_66
	s_branch .LBB39_67
.LBB39_339:
	s_mov_b32 s22, -1
.LBB39_340:
                                        ; implicit-def: $vgpr0_vgpr1
.LBB39_341:
	s_and_b32 vcc_lo, exec_lo, s3
	s_cbranch_vccz .LBB39_417
; %bb.342:
	v_cmp_eq_u16_e32 vcc_lo, 44, v8
	s_cbranch_vccz .LBB39_416
; %bb.343:
	global_load_u8 v0, v[3:4], off
	s_mov_b32 s22, 0
	s_mov_b32 s2, -1
	s_waitcnt vmcnt(0)
	v_lshlrev_b32_e32 v1, 23, v0
	s_delay_alu instid0(VALU_DEP_1) | instskip(NEXT) | instid1(VALU_DEP_1)
	v_trunc_f32_e32 v1, v1
	v_mul_f32_e64 v5, 0x2f800000, |v1|
	s_delay_alu instid0(VALU_DEP_1) | instskip(NEXT) | instid1(VALU_DEP_1)
	v_floor_f32_e32 v5, v5
	v_fma_f32 v6, 0xcf800000, v5, |v1|
	v_ashrrev_i32_e32 v1, 31, v1
	v_cvt_u32_f32_e32 v5, v5
	s_delay_alu instid0(VALU_DEP_3) | instskip(NEXT) | instid1(VALU_DEP_2)
	v_cvt_u32_f32_e32 v6, v6
	v_xor_b32_e32 v5, v5, v1
	s_delay_alu instid0(VALU_DEP_2) | instskip(NEXT) | instid1(VALU_DEP_1)
	v_xor_b32_e32 v6, v6, v1
	v_sub_co_u32 v6, vcc_lo, v6, v1
	s_delay_alu instid0(VALU_DEP_3) | instskip(SKIP_1) | instid1(VALU_DEP_2)
	v_sub_co_ci_u32_e32 v1, vcc_lo, v5, v1, vcc_lo
	v_cmp_ne_u32_e32 vcc_lo, 0, v0
	v_dual_cndmask_b32 v0, 0, v6 :: v_dual_cndmask_b32 v1, 0, v1
	s_branch .LBB39_417
.LBB39_344:
	s_mov_b32 s2, s34
.LBB39_345:
	s_and_b32 vcc_lo, exec_lo, s23
	s_cbranch_vccz .LBB39_350
; %bb.346:
	v_cmp_eq_u16_e32 vcc_lo, 44, v10
	s_mov_b32 s2, -1
	s_cbranch_vccz .LBB39_350
; %bb.347:
	v_xor_b32_e32 v2, v3, v4
	v_cls_i32_e32 v11, v4
	s_mov_b32 s3, -1
	s_mov_b32 s23, exec_lo
	s_delay_alu instid0(VALU_DEP_2) | instskip(NEXT) | instid1(VALU_DEP_2)
	v_ashrrev_i32_e32 v2, 31, v2
	v_add_nc_u32_e32 v11, -1, v11
	s_delay_alu instid0(VALU_DEP_2) | instskip(NEXT) | instid1(VALU_DEP_1)
	v_add_nc_u32_e32 v2, 32, v2
	v_min_u32_e32 v2, v11, v2
	s_delay_alu instid0(VALU_DEP_1) | instskip(SKIP_1) | instid1(VALU_DEP_2)
	v_lshlrev_b64 v[11:12], v2, v[3:4]
	v_sub_nc_u32_e32 v2, 32, v2
	v_min_u32_e32 v11, 1, v11
	s_delay_alu instid0(VALU_DEP_1) | instskip(NEXT) | instid1(VALU_DEP_1)
	v_or_b32_e32 v11, v12, v11
	v_cvt_f32_i32_e32 v11, v11
	s_delay_alu instid0(VALU_DEP_1) | instskip(SKIP_1) | instid1(VALU_DEP_2)
	v_ldexp_f32 v2, v11, v2
	v_mov_b32_e32 v11, 0xff
	v_bfe_u32 v12, v2, 23, 8
	s_delay_alu instid0(VALU_DEP_1)
	v_cmpx_ne_u32_e32 0xff, v12
; %bb.348:
	v_and_b32_e32 v11, 0x400000, v2
	v_and_or_b32 v12, 0x3fffff, v2, v12
	v_lshrrev_b32_e32 v2, 23, v2
	s_delay_alu instid0(VALU_DEP_3) | instskip(NEXT) | instid1(VALU_DEP_3)
	v_cmp_ne_u32_e32 vcc_lo, 0, v11
	v_cmp_ne_u32_e64 s2, 0, v12
	s_delay_alu instid0(VALU_DEP_1) | instskip(NEXT) | instid1(SALU_CYCLE_1)
	s_and_b32 s2, vcc_lo, s2
	v_cndmask_b32_e64 v11, 0, 1, s2
	s_delay_alu instid0(VALU_DEP_1)
	v_add_nc_u32_e32 v11, v2, v11
; %bb.349:
	s_or_b32 exec_lo, exec_lo, s23
	s_mov_b32 s2, 0
	global_store_b8 v[5:6], v11, off
.LBB39_350:
	s_mov_b32 s23, 0
.LBB39_351:
	s_delay_alu instid0(SALU_CYCLE_1)
	s_and_b32 vcc_lo, exec_lo, s23
	s_cbranch_vccz .LBB39_354
; %bb.352:
	v_cmp_eq_u16_e32 vcc_lo, 29, v10
	s_mov_b32 s2, -1
	s_cbranch_vccz .LBB39_354
; %bb.353:
	s_mov_b32 s3, -1
	s_mov_b32 s2, 0
	global_store_b64 v[5:6], v[3:4], off
.LBB39_354:
	s_mov_b32 s23, 0
.LBB39_355:
	s_delay_alu instid0(SALU_CYCLE_1)
	s_and_b32 vcc_lo, exec_lo, s23
	s_cbranch_vccz .LBB39_371
; %bb.356:
	v_cmp_gt_i16_e32 vcc_lo, 27, v10
	s_mov_b32 s3, -1
	s_cbranch_vccnz .LBB39_362
; %bb.357:
	v_cmp_lt_i16_e32 vcc_lo, 27, v10
	s_cbranch_vccz .LBB39_359
; %bb.358:
	s_mov_b32 s3, 0
	global_store_b32 v[5:6], v3, off
.LBB39_359:
	s_and_not1_b32 vcc_lo, exec_lo, s3
	s_cbranch_vccnz .LBB39_361
; %bb.360:
	global_store_b16 v[5:6], v3, off
.LBB39_361:
	s_mov_b32 s3, 0
.LBB39_362:
	s_delay_alu instid0(SALU_CYCLE_1)
	s_and_not1_b32 vcc_lo, exec_lo, s3
	s_cbranch_vccnz .LBB39_370
; %bb.363:
	v_xor_b32_e32 v2, v3, v4
	v_cls_i32_e32 v11, v4
	s_mov_b32 s3, exec_lo
	s_delay_alu instid0(VALU_DEP_2) | instskip(NEXT) | instid1(VALU_DEP_2)
	v_ashrrev_i32_e32 v2, 31, v2
	v_add_nc_u32_e32 v11, -1, v11
	s_delay_alu instid0(VALU_DEP_2) | instskip(NEXT) | instid1(VALU_DEP_1)
	v_add_nc_u32_e32 v2, 32, v2
	v_min_u32_e32 v2, v11, v2
	s_delay_alu instid0(VALU_DEP_1) | instskip(SKIP_1) | instid1(VALU_DEP_2)
	v_lshlrev_b64 v[11:12], v2, v[3:4]
	v_sub_nc_u32_e32 v2, 32, v2
	v_min_u32_e32 v11, 1, v11
	s_delay_alu instid0(VALU_DEP_1) | instskip(SKIP_1) | instid1(VALU_DEP_2)
	v_or_b32_e32 v11, v12, v11
	v_mov_b32_e32 v12, 0x80
	v_cvt_f32_i32_e32 v11, v11
	s_delay_alu instid0(VALU_DEP_1) | instskip(NEXT) | instid1(VALU_DEP_1)
	v_ldexp_f32 v2, v11, v2
	v_and_b32_e32 v11, 0x7fffffff, v2
	s_delay_alu instid0(VALU_DEP_1)
	v_cmpx_gt_u32_e32 0x43800000, v11
	s_cbranch_execz .LBB39_369
; %bb.364:
	v_cmp_lt_u32_e32 vcc_lo, 0x3bffffff, v11
	s_mov_b32 s23, 0
                                        ; implicit-def: $vgpr11
	s_and_saveexec_b32 s37, vcc_lo
	s_delay_alu instid0(SALU_CYCLE_1)
	s_xor_b32 s37, exec_lo, s37
	s_cbranch_execz .LBB39_551
; %bb.365:
	v_bfe_u32 v11, v2, 20, 1
	s_mov_b32 s23, exec_lo
	s_delay_alu instid0(VALU_DEP_1) | instskip(NEXT) | instid1(VALU_DEP_1)
	v_add3_u32 v11, v2, v11, 0x487ffff
	v_lshrrev_b32_e32 v11, 20, v11
	s_or_saveexec_b32 s37, s37
                                        ; implicit-def: $sgpr38
	s_delay_alu instid0(SALU_CYCLE_1)
	s_xor_b32 exec_lo, exec_lo, s37
	s_cbranch_execnz .LBB39_552
.LBB39_366:
	s_or_b32 exec_lo, exec_lo, s37
	v_mov_b32_e32 v12, s38
	s_and_saveexec_b32 s37, s23
.LBB39_367:
	v_lshrrev_b32_e32 v2, 24, v2
	s_delay_alu instid0(VALU_DEP_1)
	v_and_or_b32 v12, 0x80, v2, v11
.LBB39_368:
	s_or_b32 exec_lo, exec_lo, s37
.LBB39_369:
	s_delay_alu instid0(SALU_CYCLE_1)
	s_or_b32 exec_lo, exec_lo, s3
	global_store_b8 v[5:6], v12, off
.LBB39_370:
	s_mov_b32 s3, -1
.LBB39_371:
	s_mov_b32 s23, 0
.LBB39_372:
	s_delay_alu instid0(SALU_CYCLE_1)
	s_and_b32 vcc_lo, exec_lo, s23
	s_cbranch_vccz .LBB39_413
; %bb.373:
	v_cmp_lt_i16_e32 vcc_lo, 22, v10
	s_mov_b32 s23, -1
	s_cbranch_vccz .LBB39_405
; %bb.374:
	v_cmp_gt_i16_e32 vcc_lo, 24, v10
	s_mov_b32 s3, -1
	s_cbranch_vccnz .LBB39_394
; %bb.375:
	v_cmp_lt_i16_e32 vcc_lo, 24, v10
	s_cbranch_vccz .LBB39_383
; %bb.376:
	v_xor_b32_e32 v2, v3, v4
	v_cls_i32_e32 v11, v4
	s_mov_b32 s3, exec_lo
	s_delay_alu instid0(VALU_DEP_2) | instskip(NEXT) | instid1(VALU_DEP_2)
	v_ashrrev_i32_e32 v2, 31, v2
	v_add_nc_u32_e32 v11, -1, v11
	s_delay_alu instid0(VALU_DEP_2) | instskip(NEXT) | instid1(VALU_DEP_1)
	v_add_nc_u32_e32 v2, 32, v2
	v_min_u32_e32 v2, v11, v2
	s_delay_alu instid0(VALU_DEP_1) | instskip(SKIP_1) | instid1(VALU_DEP_2)
	v_lshlrev_b64 v[11:12], v2, v[3:4]
	v_sub_nc_u32_e32 v2, 32, v2
	v_min_u32_e32 v11, 1, v11
	s_delay_alu instid0(VALU_DEP_1) | instskip(SKIP_1) | instid1(VALU_DEP_2)
	v_or_b32_e32 v11, v12, v11
	v_mov_b32_e32 v12, 0x80
	v_cvt_f32_i32_e32 v11, v11
	s_delay_alu instid0(VALU_DEP_1) | instskip(NEXT) | instid1(VALU_DEP_1)
	v_ldexp_f32 v2, v11, v2
	v_and_b32_e32 v11, 0x7fffffff, v2
	s_delay_alu instid0(VALU_DEP_1)
	v_cmpx_gt_u32_e32 0x47800000, v11
	s_cbranch_execz .LBB39_382
; %bb.377:
	v_cmp_lt_u32_e32 vcc_lo, 0x37ffffff, v11
	s_mov_b32 s23, 0
                                        ; implicit-def: $vgpr11
	s_and_saveexec_b32 s37, vcc_lo
	s_delay_alu instid0(SALU_CYCLE_1)
	s_xor_b32 s37, exec_lo, s37
	s_cbranch_execz .LBB39_554
; %bb.378:
	v_bfe_u32 v11, v2, 21, 1
	s_mov_b32 s23, exec_lo
	s_delay_alu instid0(VALU_DEP_1) | instskip(NEXT) | instid1(VALU_DEP_1)
	v_add3_u32 v11, v2, v11, 0x88fffff
	v_lshrrev_b32_e32 v11, 21, v11
	s_or_saveexec_b32 s37, s37
                                        ; implicit-def: $sgpr38
	s_delay_alu instid0(SALU_CYCLE_1)
	s_xor_b32 exec_lo, exec_lo, s37
	s_cbranch_execnz .LBB39_555
.LBB39_379:
	s_or_b32 exec_lo, exec_lo, s37
	v_mov_b32_e32 v12, s38
	s_and_saveexec_b32 s37, s23
.LBB39_380:
	v_lshrrev_b32_e32 v2, 24, v2
	s_delay_alu instid0(VALU_DEP_1)
	v_and_or_b32 v12, 0x80, v2, v11
.LBB39_381:
	s_or_b32 exec_lo, exec_lo, s37
.LBB39_382:
	s_delay_alu instid0(SALU_CYCLE_1)
	s_or_b32 exec_lo, exec_lo, s3
	s_mov_b32 s3, 0
	global_store_b8 v[5:6], v12, off
.LBB39_383:
	s_and_b32 vcc_lo, exec_lo, s3
	s_cbranch_vccz .LBB39_393
; %bb.384:
	v_xor_b32_e32 v2, v3, v4
	v_cls_i32_e32 v11, v4
	s_mov_b32 s3, exec_lo
	s_delay_alu instid0(VALU_DEP_2) | instskip(NEXT) | instid1(VALU_DEP_2)
	v_ashrrev_i32_e32 v2, 31, v2
	v_add_nc_u32_e32 v11, -1, v11
	s_delay_alu instid0(VALU_DEP_2) | instskip(NEXT) | instid1(VALU_DEP_1)
	v_add_nc_u32_e32 v2, 32, v2
	v_min_u32_e32 v2, v11, v2
	s_delay_alu instid0(VALU_DEP_1) | instskip(SKIP_1) | instid1(VALU_DEP_2)
	v_lshlrev_b64 v[11:12], v2, v[3:4]
	v_sub_nc_u32_e32 v2, 32, v2
	v_min_u32_e32 v11, 1, v11
	s_delay_alu instid0(VALU_DEP_1) | instskip(NEXT) | instid1(VALU_DEP_1)
	v_or_b32_e32 v11, v12, v11
	v_cvt_f32_i32_e32 v11, v11
	s_delay_alu instid0(VALU_DEP_1) | instskip(NEXT) | instid1(VALU_DEP_1)
	v_ldexp_f32 v2, v11, v2
                                        ; implicit-def: $vgpr11
	v_and_b32_e32 v12, 0x7fffffff, v2
	s_delay_alu instid0(VALU_DEP_1)
	v_cmpx_gt_u32_e32 0x43f00000, v12
	s_xor_b32 s3, exec_lo, s3
	s_cbranch_execz .LBB39_390
; %bb.385:
	s_mov_b32 s23, exec_lo
                                        ; implicit-def: $vgpr11
	v_cmpx_lt_u32_e32 0x3c7fffff, v12
	s_xor_b32 s23, exec_lo, s23
; %bb.386:
	v_bfe_u32 v11, v2, 20, 1
	s_delay_alu instid0(VALU_DEP_1) | instskip(NEXT) | instid1(VALU_DEP_1)
	v_add3_u32 v11, v2, v11, 0x407ffff
	v_and_b32_e32 v12, 0xff00000, v11
	v_lshrrev_b32_e32 v11, 20, v11
	s_delay_alu instid0(VALU_DEP_2) | instskip(NEXT) | instid1(VALU_DEP_2)
	v_cmp_ne_u32_e32 vcc_lo, 0x7f00000, v12
	v_cndmask_b32_e32 v11, 0x7e, v11, vcc_lo
; %bb.387:
	s_and_not1_saveexec_b32 s23, s23
; %bb.388:
	v_add_f32_e64 v11, 0x46800000, |v2|
; %bb.389:
	s_or_b32 exec_lo, exec_lo, s23
                                        ; implicit-def: $vgpr12
.LBB39_390:
	s_and_not1_saveexec_b32 s3, s3
; %bb.391:
	v_mov_b32_e32 v11, 0x7f
	v_cmp_lt_u32_e32 vcc_lo, 0x7f800000, v12
	s_delay_alu instid0(VALU_DEP_2)
	v_cndmask_b32_e32 v11, 0x7e, v11, vcc_lo
; %bb.392:
	s_or_b32 exec_lo, exec_lo, s3
	v_lshrrev_b32_e32 v2, 24, v2
	s_delay_alu instid0(VALU_DEP_1)
	v_and_or_b32 v2, 0x80, v2, v11
	global_store_b8 v[5:6], v2, off
.LBB39_393:
	s_mov_b32 s3, 0
.LBB39_394:
	s_delay_alu instid0(SALU_CYCLE_1)
	s_and_not1_b32 vcc_lo, exec_lo, s3
	s_cbranch_vccnz .LBB39_404
; %bb.395:
	v_xor_b32_e32 v2, v3, v4
	v_cls_i32_e32 v11, v4
	s_mov_b32 s3, exec_lo
	s_delay_alu instid0(VALU_DEP_2) | instskip(NEXT) | instid1(VALU_DEP_2)
	v_ashrrev_i32_e32 v2, 31, v2
	v_add_nc_u32_e32 v11, -1, v11
	s_delay_alu instid0(VALU_DEP_2) | instskip(NEXT) | instid1(VALU_DEP_1)
	v_add_nc_u32_e32 v2, 32, v2
	v_min_u32_e32 v2, v11, v2
	s_delay_alu instid0(VALU_DEP_1) | instskip(SKIP_1) | instid1(VALU_DEP_2)
	v_lshlrev_b64 v[11:12], v2, v[3:4]
	v_sub_nc_u32_e32 v2, 32, v2
	v_min_u32_e32 v11, 1, v11
	s_delay_alu instid0(VALU_DEP_1) | instskip(NEXT) | instid1(VALU_DEP_1)
	v_or_b32_e32 v11, v12, v11
	v_cvt_f32_i32_e32 v11, v11
	s_delay_alu instid0(VALU_DEP_1) | instskip(NEXT) | instid1(VALU_DEP_1)
	v_ldexp_f32 v2, v11, v2
                                        ; implicit-def: $vgpr11
	v_and_b32_e32 v12, 0x7fffffff, v2
	s_delay_alu instid0(VALU_DEP_1)
	v_cmpx_gt_u32_e32 0x47800000, v12
	s_xor_b32 s3, exec_lo, s3
	s_cbranch_execz .LBB39_401
; %bb.396:
	s_mov_b32 s23, exec_lo
                                        ; implicit-def: $vgpr11
	v_cmpx_lt_u32_e32 0x387fffff, v12
	s_xor_b32 s23, exec_lo, s23
; %bb.397:
	v_bfe_u32 v11, v2, 21, 1
	s_delay_alu instid0(VALU_DEP_1) | instskip(NEXT) | instid1(VALU_DEP_1)
	v_add3_u32 v11, v2, v11, 0x80fffff
	v_lshrrev_b32_e32 v11, 21, v11
; %bb.398:
	s_and_not1_saveexec_b32 s23, s23
; %bb.399:
	v_add_f32_e64 v11, 0x43000000, |v2|
; %bb.400:
	s_or_b32 exec_lo, exec_lo, s23
                                        ; implicit-def: $vgpr12
.LBB39_401:
	s_and_not1_saveexec_b32 s3, s3
; %bb.402:
	v_mov_b32_e32 v11, 0x7f
	v_cmp_lt_u32_e32 vcc_lo, 0x7f800000, v12
	s_delay_alu instid0(VALU_DEP_2)
	v_cndmask_b32_e32 v11, 0x7c, v11, vcc_lo
; %bb.403:
	s_or_b32 exec_lo, exec_lo, s3
	v_lshrrev_b32_e32 v2, 24, v2
	s_delay_alu instid0(VALU_DEP_1)
	v_and_or_b32 v2, 0x80, v2, v11
	global_store_b8 v[5:6], v2, off
.LBB39_404:
	s_mov_b32 s23, 0
	s_mov_b32 s3, -1
.LBB39_405:
	s_and_not1_b32 vcc_lo, exec_lo, s23
	s_cbranch_vccnz .LBB39_413
; %bb.406:
	v_cmp_lt_i16_e32 vcc_lo, 14, v10
	s_mov_b32 s23, -1
	s_cbranch_vccz .LBB39_410
; %bb.407:
	v_cmp_eq_u16_e32 vcc_lo, 15, v10
	s_mov_b32 s2, -1
	s_cbranch_vccz .LBB39_409
; %bb.408:
	v_xor_b32_e32 v2, v3, v4
	v_cls_i32_e32 v11, v4
	s_mov_b32 s3, -1
	s_mov_b32 s2, 0
	s_delay_alu instid0(VALU_DEP_2) | instskip(NEXT) | instid1(VALU_DEP_2)
	v_ashrrev_i32_e32 v2, 31, v2
	v_add_nc_u32_e32 v11, -1, v11
	s_delay_alu instid0(VALU_DEP_2) | instskip(NEXT) | instid1(VALU_DEP_1)
	v_add_nc_u32_e32 v2, 32, v2
	v_min_u32_e32 v2, v11, v2
	s_delay_alu instid0(VALU_DEP_1) | instskip(SKIP_1) | instid1(VALU_DEP_2)
	v_lshlrev_b64 v[11:12], v2, v[3:4]
	v_sub_nc_u32_e32 v2, 32, v2
	v_min_u32_e32 v11, 1, v11
	s_delay_alu instid0(VALU_DEP_1) | instskip(NEXT) | instid1(VALU_DEP_1)
	v_or_b32_e32 v11, v12, v11
	v_cvt_f32_i32_e32 v11, v11
	s_delay_alu instid0(VALU_DEP_1) | instskip(NEXT) | instid1(VALU_DEP_1)
	v_ldexp_f32 v2, v11, v2
	v_bfe_u32 v11, v2, 16, 1
	s_delay_alu instid0(VALU_DEP_1)
	v_add3_u32 v2, v2, v11, 0x7fff
	global_store_d16_hi_b16 v[5:6], v2, off
.LBB39_409:
	s_mov_b32 s23, 0
.LBB39_410:
	s_delay_alu instid0(SALU_CYCLE_1)
	s_and_b32 vcc_lo, exec_lo, s23
	s_cbranch_vccz .LBB39_413
; %bb.411:
	v_cmp_eq_u16_e32 vcc_lo, 11, v10
	s_mov_b32 s2, -1
	s_cbranch_vccz .LBB39_413
; %bb.412:
	v_cmp_ne_u64_e32 vcc_lo, -1, v[0:1]
	s_mov_b32 s3, -1
	s_mov_b32 s2, 0
	v_cndmask_b32_e64 v0, 0, 1, vcc_lo
	global_store_b8 v[5:6], v0, off
.LBB39_413:
.LBB39_414:
	s_and_not1_b32 vcc_lo, exec_lo, s3
	s_cbranch_vccnz .LBB39_329
.LBB39_415:
	v_add_nc_u32_e32 v9, 0x80, v9
	s_mov_b32 s3, -1
	s_branch .LBB39_524
.LBB39_416:
	s_mov_b32 s22, -1
                                        ; implicit-def: $vgpr0_vgpr1
.LBB39_417:
	s_mov_b32 s3, 0
.LBB39_418:
	s_delay_alu instid0(SALU_CYCLE_1)
	s_and_b32 vcc_lo, exec_lo, s3
	s_cbranch_vccz .LBB39_422
; %bb.419:
	v_cmp_eq_u16_e32 vcc_lo, 29, v8
	s_cbranch_vccz .LBB39_421
; %bb.420:
	global_load_b64 v[0:1], v[3:4], off
	s_mov_b32 s2, -1
	s_mov_b32 s22, 0
	s_branch .LBB39_422
.LBB39_421:
	s_mov_b32 s22, -1
                                        ; implicit-def: $vgpr0_vgpr1
.LBB39_422:
	s_mov_b32 s3, 0
.LBB39_423:
	s_delay_alu instid0(SALU_CYCLE_1)
	s_and_b32 vcc_lo, exec_lo, s3
	s_cbranch_vccz .LBB39_441
; %bb.424:
	v_cmp_gt_i16_e32 vcc_lo, 27, v8
	s_cbranch_vccnz .LBB39_427
; %bb.425:
	v_cmp_lt_i16_e32 vcc_lo, 27, v8
	s_cbranch_vccz .LBB39_428
; %bb.426:
	global_load_b32 v0, v[3:4], off
	s_waitcnt vmcnt(1)
	v_mov_b32_e32 v1, 0
	s_mov_b32 s2, 0
	s_branch .LBB39_429
.LBB39_427:
	s_mov_b32 s2, -1
                                        ; implicit-def: $vgpr0_vgpr1
	s_branch .LBB39_432
.LBB39_428:
	s_mov_b32 s2, -1
                                        ; implicit-def: $vgpr0_vgpr1
.LBB39_429:
	s_delay_alu instid0(SALU_CYCLE_1)
	s_and_not1_b32 vcc_lo, exec_lo, s2
	s_cbranch_vccnz .LBB39_431
; %bb.430:
	global_load_u16 v0, v[3:4], off
	s_mov_b32 s2, 0
	s_waitcnt vmcnt(0)
	v_dual_mov_b32 v1, s2 :: v_dual_and_b32 v0, 0xffff, v0
.LBB39_431:
	s_mov_b32 s2, 0
.LBB39_432:
	s_delay_alu instid0(SALU_CYCLE_1)
	s_and_not1_b32 vcc_lo, exec_lo, s2
	s_cbranch_vccnz .LBB39_440
; %bb.433:
	global_load_u8 v5, v[3:4], off
	s_mov_b32 s23, 0
	s_mov_b32 s37, exec_lo
                                        ; implicit-def: $sgpr2_sgpr3
	s_waitcnt vmcnt(0)
	v_cmpx_lt_i16_e32 0x7f, v5
	s_xor_b32 s37, exec_lo, s37
; %bb.434:
	v_cmp_ne_u16_e32 vcc_lo, 0x80, v5
	s_mov_b64 s[2:3], 0
	s_and_b32 s23, vcc_lo, exec_lo
; %bb.435:
	s_or_saveexec_b32 s37, s37
	v_dual_mov_b32 v0, s2 :: v_dual_mov_b32 v1, s3
	s_xor_b32 exec_lo, exec_lo, s37
; %bb.436:
	v_cmp_ne_u16_e32 vcc_lo, 0, v5
	v_mov_b32_e32 v0, 0
	v_mov_b32_e32 v1, 0
	s_and_not1_b32 s2, s23, exec_lo
	s_and_b32 s3, vcc_lo, exec_lo
	s_delay_alu instid0(SALU_CYCLE_1)
	s_or_b32 s23, s2, s3
; %bb.437:
	s_or_b32 exec_lo, exec_lo, s37
	s_and_saveexec_b32 s2, s23
	s_cbranch_execz .LBB39_439
; %bb.438:
	v_and_b32_e32 v0, 0xffff, v5
	v_lshlrev_b32_e32 v5, 24, v5
	s_delay_alu instid0(VALU_DEP_2) | instskip(NEXT) | instid1(VALU_DEP_2)
	v_and_b32_e32 v1, 7, v0
	v_and_b32_e32 v5, 0x80000000, v5
	s_delay_alu instid0(VALU_DEP_2) | instskip(NEXT) | instid1(VALU_DEP_1)
	v_clz_i32_u32_e32 v6, v1
	v_min_u32_e32 v6, 32, v6
	s_delay_alu instid0(VALU_DEP_1) | instskip(SKIP_1) | instid1(VALU_DEP_2)
	v_subrev_nc_u32_e32 v10, 28, v6
	v_sub_nc_u32_e32 v6, 29, v6
	v_lshlrev_b32_e32 v10, v10, v0
	v_bfe_u32 v0, v0, 3, 4
	s_delay_alu instid0(VALU_DEP_2) | instskip(NEXT) | instid1(VALU_DEP_2)
	v_and_b32_e32 v10, 7, v10
	v_cmp_eq_u32_e32 vcc_lo, 0, v0
	v_cndmask_b32_e32 v0, v0, v6, vcc_lo
	s_delay_alu instid0(VALU_DEP_3) | instskip(NEXT) | instid1(VALU_DEP_2)
	v_cndmask_b32_e32 v1, v1, v10, vcc_lo
	v_lshl_add_u32 v0, v0, 23, 0x3b800000
	s_delay_alu instid0(VALU_DEP_2) | instskip(NEXT) | instid1(VALU_DEP_1)
	v_lshlrev_b32_e32 v1, 20, v1
	v_or3_b32 v0, v5, v0, v1
	s_delay_alu instid0(VALU_DEP_1) | instskip(NEXT) | instid1(VALU_DEP_1)
	v_trunc_f32_e32 v0, v0
	v_mul_f32_e64 v1, 0x2f800000, |v0|
	v_ashrrev_i32_e32 v6, 31, v0
	s_delay_alu instid0(VALU_DEP_2) | instskip(NEXT) | instid1(VALU_DEP_1)
	v_floor_f32_e32 v1, v1
	v_fma_f32 v5, 0xcf800000, v1, |v0|
	v_cvt_u32_f32_e32 v1, v1
	s_delay_alu instid0(VALU_DEP_2) | instskip(NEXT) | instid1(VALU_DEP_2)
	v_cvt_u32_f32_e32 v0, v5
	v_xor_b32_e32 v1, v1, v6
	s_delay_alu instid0(VALU_DEP_2) | instskip(NEXT) | instid1(VALU_DEP_1)
	v_xor_b32_e32 v0, v0, v6
	v_sub_co_u32 v0, vcc_lo, v0, v6
	s_delay_alu instid0(VALU_DEP_3)
	v_sub_co_ci_u32_e32 v1, vcc_lo, v1, v6, vcc_lo
.LBB39_439:
	s_or_b32 exec_lo, exec_lo, s2
.LBB39_440:
	s_mov_b32 s2, -1
.LBB39_441:
	s_mov_b32 s3, 0
.LBB39_442:
	s_delay_alu instid0(SALU_CYCLE_1)
	s_and_b32 vcc_lo, exec_lo, s3
	s_cbranch_vccz .LBB39_473
; %bb.443:
	v_cmp_lt_i16_e32 vcc_lo, 22, v8
	s_cbranch_vccz .LBB39_453
; %bb.444:
	v_cmp_gt_i16_e32 vcc_lo, 24, v8
	s_cbranch_vccnz .LBB39_454
; %bb.445:
	v_cmp_lt_i16_e32 vcc_lo, 24, v8
	s_cbranch_vccz .LBB39_455
; %bb.446:
	global_load_u8 v5, v[3:4], off
	s_mov_b32 s23, 0
	s_mov_b32 s37, exec_lo
                                        ; implicit-def: $sgpr2_sgpr3
	s_waitcnt vmcnt(0)
	v_cmpx_lt_i16_e32 0x7f, v5
	s_xor_b32 s37, exec_lo, s37
; %bb.447:
	v_cmp_ne_u16_e32 vcc_lo, 0x80, v5
	s_mov_b64 s[2:3], 0
	s_and_b32 s23, vcc_lo, exec_lo
; %bb.448:
	s_or_saveexec_b32 s37, s37
	v_dual_mov_b32 v0, s2 :: v_dual_mov_b32 v1, s3
	s_xor_b32 exec_lo, exec_lo, s37
; %bb.449:
	v_cmp_ne_u16_e32 vcc_lo, 0, v5
	v_mov_b32_e32 v0, 0
	v_mov_b32_e32 v1, 0
	s_and_not1_b32 s2, s23, exec_lo
	s_and_b32 s3, vcc_lo, exec_lo
	s_delay_alu instid0(SALU_CYCLE_1)
	s_or_b32 s23, s2, s3
; %bb.450:
	s_or_b32 exec_lo, exec_lo, s37
	s_and_saveexec_b32 s2, s23
	s_cbranch_execz .LBB39_452
; %bb.451:
	v_and_b32_e32 v0, 0xffff, v5
	v_lshlrev_b32_e32 v5, 24, v5
	s_delay_alu instid0(VALU_DEP_2) | instskip(NEXT) | instid1(VALU_DEP_2)
	v_and_b32_e32 v1, 3, v0
	v_and_b32_e32 v5, 0x80000000, v5
	s_delay_alu instid0(VALU_DEP_2) | instskip(NEXT) | instid1(VALU_DEP_1)
	v_clz_i32_u32_e32 v6, v1
	v_min_u32_e32 v6, 32, v6
	s_delay_alu instid0(VALU_DEP_1) | instskip(SKIP_1) | instid1(VALU_DEP_2)
	v_subrev_nc_u32_e32 v10, 29, v6
	v_sub_nc_u32_e32 v6, 30, v6
	v_lshlrev_b32_e32 v10, v10, v0
	v_bfe_u32 v0, v0, 2, 5
	s_delay_alu instid0(VALU_DEP_2) | instskip(NEXT) | instid1(VALU_DEP_2)
	v_and_b32_e32 v10, 3, v10
	v_cmp_eq_u32_e32 vcc_lo, 0, v0
	v_cndmask_b32_e32 v0, v0, v6, vcc_lo
	s_delay_alu instid0(VALU_DEP_3) | instskip(NEXT) | instid1(VALU_DEP_2)
	v_cndmask_b32_e32 v1, v1, v10, vcc_lo
	v_lshl_add_u32 v0, v0, 23, 0x37800000
	s_delay_alu instid0(VALU_DEP_2) | instskip(NEXT) | instid1(VALU_DEP_1)
	v_lshlrev_b32_e32 v1, 21, v1
	v_or3_b32 v0, v5, v0, v1
	s_delay_alu instid0(VALU_DEP_1) | instskip(NEXT) | instid1(VALU_DEP_1)
	v_trunc_f32_e32 v0, v0
	v_mul_f32_e64 v1, 0x2f800000, |v0|
	v_ashrrev_i32_e32 v6, 31, v0
	s_delay_alu instid0(VALU_DEP_2) | instskip(NEXT) | instid1(VALU_DEP_1)
	v_floor_f32_e32 v1, v1
	v_fma_f32 v5, 0xcf800000, v1, |v0|
	v_cvt_u32_f32_e32 v1, v1
	s_delay_alu instid0(VALU_DEP_2) | instskip(NEXT) | instid1(VALU_DEP_2)
	v_cvt_u32_f32_e32 v0, v5
	v_xor_b32_e32 v1, v1, v6
	s_delay_alu instid0(VALU_DEP_2) | instskip(NEXT) | instid1(VALU_DEP_1)
	v_xor_b32_e32 v0, v0, v6
	v_sub_co_u32 v0, vcc_lo, v0, v6
	s_delay_alu instid0(VALU_DEP_3)
	v_sub_co_ci_u32_e32 v1, vcc_lo, v1, v6, vcc_lo
.LBB39_452:
	s_or_b32 exec_lo, exec_lo, s2
	s_mov_b32 s2, 0
	s_branch .LBB39_456
.LBB39_453:
	s_mov_b32 s3, -1
                                        ; implicit-def: $vgpr0_vgpr1
	s_branch .LBB39_462
.LBB39_454:
	s_mov_b32 s2, -1
                                        ; implicit-def: $vgpr0_vgpr1
	s_branch .LBB39_459
.LBB39_455:
	s_mov_b32 s2, -1
                                        ; implicit-def: $vgpr0_vgpr1
.LBB39_456:
	s_delay_alu instid0(SALU_CYCLE_1)
	s_and_b32 vcc_lo, exec_lo, s2
	s_cbranch_vccz .LBB39_458
; %bb.457:
	global_load_u8 v0, v[3:4], off
	s_waitcnt vmcnt(0)
	v_lshlrev_b32_e32 v0, 24, v0
	s_delay_alu instid0(VALU_DEP_1) | instskip(NEXT) | instid1(VALU_DEP_1)
	v_and_b32_e32 v1, 0x7f000000, v0
	v_clz_i32_u32_e32 v5, v1
	v_add_nc_u32_e32 v10, 0x1000000, v1
	v_cmp_ne_u32_e32 vcc_lo, 0, v1
	s_delay_alu instid0(VALU_DEP_3) | instskip(NEXT) | instid1(VALU_DEP_1)
	v_min_u32_e32 v5, 32, v5
	v_sub_nc_u32_e64 v5, v5, 4 clamp
	s_delay_alu instid0(VALU_DEP_1) | instskip(SKIP_1) | instid1(VALU_DEP_2)
	v_lshlrev_b32_e32 v6, v5, v1
	v_lshlrev_b32_e32 v5, 23, v5
	v_lshrrev_b32_e32 v6, 4, v6
	s_delay_alu instid0(VALU_DEP_1) | instskip(SKIP_1) | instid1(VALU_DEP_2)
	v_sub_nc_u32_e32 v5, v6, v5
	v_ashrrev_i32_e32 v6, 8, v10
	v_add_nc_u32_e32 v5, 0x3c000000, v5
	s_delay_alu instid0(VALU_DEP_1) | instskip(NEXT) | instid1(VALU_DEP_1)
	v_and_or_b32 v5, 0x7f800000, v6, v5
	v_cndmask_b32_e32 v1, 0, v5, vcc_lo
	s_delay_alu instid0(VALU_DEP_1) | instskip(NEXT) | instid1(VALU_DEP_1)
	v_and_or_b32 v0, 0x80000000, v0, v1
	v_trunc_f32_e32 v0, v0
	s_delay_alu instid0(VALU_DEP_1) | instskip(SKIP_1) | instid1(VALU_DEP_2)
	v_mul_f32_e64 v1, 0x2f800000, |v0|
	v_ashrrev_i32_e32 v6, 31, v0
	v_floor_f32_e32 v1, v1
	s_delay_alu instid0(VALU_DEP_1) | instskip(SKIP_1) | instid1(VALU_DEP_2)
	v_fma_f32 v5, 0xcf800000, v1, |v0|
	v_cvt_u32_f32_e32 v1, v1
	v_cvt_u32_f32_e32 v0, v5
	s_delay_alu instid0(VALU_DEP_2) | instskip(NEXT) | instid1(VALU_DEP_2)
	v_xor_b32_e32 v1, v1, v6
	v_xor_b32_e32 v0, v0, v6
	s_delay_alu instid0(VALU_DEP_1) | instskip(NEXT) | instid1(VALU_DEP_3)
	v_sub_co_u32 v0, vcc_lo, v0, v6
	v_sub_co_ci_u32_e32 v1, vcc_lo, v1, v6, vcc_lo
.LBB39_458:
	s_mov_b32 s2, 0
.LBB39_459:
	s_delay_alu instid0(SALU_CYCLE_1)
	s_and_not1_b32 vcc_lo, exec_lo, s2
	s_cbranch_vccnz .LBB39_461
; %bb.460:
	global_load_u8 v0, v[3:4], off
	s_waitcnt vmcnt(0)
	v_lshlrev_b32_e32 v1, 25, v0
	v_lshlrev_b16 v0, 8, v0
	s_delay_alu instid0(VALU_DEP_1) | instskip(SKIP_1) | instid1(VALU_DEP_2)
	v_and_or_b32 v6, 0x7f00, v0, 0.5
	v_bfe_i32 v0, v0, 0, 16
	v_add_f32_e32 v6, -0.5, v6
	v_lshrrev_b32_e32 v5, 4, v1
	v_cmp_gt_u32_e32 vcc_lo, 0x8000000, v1
	s_delay_alu instid0(VALU_DEP_2) | instskip(NEXT) | instid1(VALU_DEP_1)
	v_or_b32_e32 v5, 0x70000000, v5
	v_mul_f32_e32 v5, 0x7800000, v5
	s_delay_alu instid0(VALU_DEP_1) | instskip(NEXT) | instid1(VALU_DEP_1)
	v_cndmask_b32_e32 v1, v5, v6, vcc_lo
	v_and_or_b32 v0, 0x80000000, v0, v1
	s_delay_alu instid0(VALU_DEP_1) | instskip(NEXT) | instid1(VALU_DEP_1)
	v_trunc_f32_e32 v0, v0
	v_mul_f32_e64 v1, 0x2f800000, |v0|
	v_ashrrev_i32_e32 v6, 31, v0
	s_delay_alu instid0(VALU_DEP_2) | instskip(NEXT) | instid1(VALU_DEP_1)
	v_floor_f32_e32 v1, v1
	v_fma_f32 v5, 0xcf800000, v1, |v0|
	v_cvt_u32_f32_e32 v1, v1
	s_delay_alu instid0(VALU_DEP_2) | instskip(NEXT) | instid1(VALU_DEP_2)
	v_cvt_u32_f32_e32 v0, v5
	v_xor_b32_e32 v1, v1, v6
	s_delay_alu instid0(VALU_DEP_2) | instskip(NEXT) | instid1(VALU_DEP_1)
	v_xor_b32_e32 v0, v0, v6
	v_sub_co_u32 v0, vcc_lo, v0, v6
	s_delay_alu instid0(VALU_DEP_3)
	v_sub_co_ci_u32_e32 v1, vcc_lo, v1, v6, vcc_lo
.LBB39_461:
	s_mov_b32 s3, 0
	s_mov_b32 s2, -1
.LBB39_462:
	s_and_not1_b32 vcc_lo, exec_lo, s3
	s_cbranch_vccnz .LBB39_473
; %bb.463:
	v_cmp_lt_i16_e32 vcc_lo, 14, v8
	s_cbranch_vccz .LBB39_466
; %bb.464:
	v_cmp_eq_u16_e32 vcc_lo, 15, v8
	s_cbranch_vccz .LBB39_467
; %bb.465:
	global_load_u16 v0, v[3:4], off
	s_mov_b32 s2, -1
	s_mov_b32 s22, 0
	s_waitcnt vmcnt(0)
	v_lshlrev_b32_e32 v0, 16, v0
	s_delay_alu instid0(VALU_DEP_1) | instskip(NEXT) | instid1(VALU_DEP_1)
	v_trunc_f32_e32 v0, v0
	v_mul_f32_e64 v1, 0x2f800000, |v0|
	v_ashrrev_i32_e32 v6, 31, v0
	s_delay_alu instid0(VALU_DEP_2) | instskip(NEXT) | instid1(VALU_DEP_1)
	v_floor_f32_e32 v1, v1
	v_fma_f32 v5, 0xcf800000, v1, |v0|
	v_cvt_u32_f32_e32 v1, v1
	s_delay_alu instid0(VALU_DEP_2) | instskip(NEXT) | instid1(VALU_DEP_2)
	v_cvt_u32_f32_e32 v0, v5
	v_xor_b32_e32 v1, v1, v6
	s_delay_alu instid0(VALU_DEP_2) | instskip(NEXT) | instid1(VALU_DEP_1)
	v_xor_b32_e32 v0, v0, v6
	v_sub_co_u32 v0, vcc_lo, v0, v6
	s_delay_alu instid0(VALU_DEP_3)
	v_sub_co_ci_u32_e32 v1, vcc_lo, v1, v6, vcc_lo
	s_branch .LBB39_468
.LBB39_466:
	s_mov_b32 s3, -1
                                        ; implicit-def: $vgpr0_vgpr1
	s_branch .LBB39_469
.LBB39_467:
	s_mov_b32 s22, -1
                                        ; implicit-def: $vgpr0_vgpr1
.LBB39_468:
	s_mov_b32 s3, 0
.LBB39_469:
	s_delay_alu instid0(SALU_CYCLE_1)
	s_and_b32 vcc_lo, exec_lo, s3
	s_cbranch_vccz .LBB39_473
; %bb.470:
	v_cmp_eq_u16_e32 vcc_lo, 11, v8
	s_cbranch_vccz .LBB39_472
; %bb.471:
	global_load_u8 v0, v[3:4], off
	s_mov_b32 s22, 0
	s_mov_b32 s2, -1
	s_waitcnt vmcnt(1)
	v_mov_b32_e32 v1, s22
	s_waitcnt vmcnt(0)
	v_cmp_ne_u16_e32 vcc_lo, 0, v0
	v_cndmask_b32_e64 v0, 0, 1, vcc_lo
	s_branch .LBB39_473
.LBB39_472:
	s_mov_b32 s22, -1
                                        ; implicit-def: $vgpr0_vgpr1
.LBB39_473:
	s_branch .LBB39_282
.LBB39_474:
	v_cmp_gt_i16_e32 vcc_lo, 5, v8
	s_cbranch_vccnz .LBB39_479
; %bb.475:
	v_cmp_gt_i16_e32 vcc_lo, 8, v8
	s_cbranch_vccnz .LBB39_480
; %bb.476:
	;; [unrolled: 3-line block ×3, first 2 shown]
	v_cmp_lt_i16_e32 vcc_lo, 9, v8
	s_cbranch_vccz .LBB39_482
; %bb.478:
	global_load_b64 v[0:1], v[3:4], off
	s_mov_b32 s2, 0
	s_waitcnt vmcnt(0)
	v_trunc_f64_e32 v[0:1], v[0:1]
	s_delay_alu instid0(VALU_DEP_1) | instskip(NEXT) | instid1(VALU_DEP_1)
	v_ldexp_f64 v[5:6], v[0:1], 0xffffffe0
	v_floor_f64_e32 v[5:6], v[5:6]
	s_delay_alu instid0(VALU_DEP_1) | instskip(SKIP_1) | instid1(VALU_DEP_2)
	v_fma_f64 v[10:11], 0xc1f00000, v[5:6], v[0:1]
	v_cvt_i32_f64_e32 v1, v[5:6]
	v_cvt_u32_f64_e32 v0, v[10:11]
	s_branch .LBB39_483
.LBB39_479:
	s_mov_b32 s2, -1
                                        ; implicit-def: $vgpr0_vgpr1
	s_branch .LBB39_501
.LBB39_480:
	s_mov_b32 s2, -1
                                        ; implicit-def: $vgpr0_vgpr1
	s_branch .LBB39_489
.LBB39_481:
	s_mov_b32 s2, -1
                                        ; implicit-def: $vgpr0_vgpr1
	s_branch .LBB39_486
.LBB39_482:
	s_mov_b32 s2, -1
                                        ; implicit-def: $vgpr0_vgpr1
.LBB39_483:
	s_delay_alu instid0(SALU_CYCLE_1)
	s_and_not1_b32 vcc_lo, exec_lo, s2
	s_cbranch_vccnz .LBB39_485
; %bb.484:
	global_load_b32 v0, v[3:4], off
	s_waitcnt vmcnt(0)
	v_trunc_f32_e32 v0, v0
	s_delay_alu instid0(VALU_DEP_1) | instskip(SKIP_1) | instid1(VALU_DEP_2)
	v_mul_f32_e64 v1, 0x2f800000, |v0|
	v_ashrrev_i32_e32 v6, 31, v0
	v_floor_f32_e32 v1, v1
	s_delay_alu instid0(VALU_DEP_1) | instskip(SKIP_1) | instid1(VALU_DEP_2)
	v_fma_f32 v5, 0xcf800000, v1, |v0|
	v_cvt_u32_f32_e32 v1, v1
	v_cvt_u32_f32_e32 v0, v5
	s_delay_alu instid0(VALU_DEP_2) | instskip(NEXT) | instid1(VALU_DEP_2)
	v_xor_b32_e32 v1, v1, v6
	v_xor_b32_e32 v0, v0, v6
	s_delay_alu instid0(VALU_DEP_1) | instskip(NEXT) | instid1(VALU_DEP_3)
	v_sub_co_u32 v0, vcc_lo, v0, v6
	v_sub_co_ci_u32_e32 v1, vcc_lo, v1, v6, vcc_lo
.LBB39_485:
	s_mov_b32 s2, 0
.LBB39_486:
	s_delay_alu instid0(SALU_CYCLE_1)
	s_and_not1_b32 vcc_lo, exec_lo, s2
	s_cbranch_vccnz .LBB39_488
; %bb.487:
	global_load_b32 v0, v[3:4], off
	s_waitcnt vmcnt(0)
	v_cvt_f32_f16_e32 v0, v0
	s_delay_alu instid0(VALU_DEP_1) | instskip(NEXT) | instid1(VALU_DEP_1)
	v_cvt_i32_f32_e32 v0, v0
	v_ashrrev_i32_e32 v1, 31, v0
.LBB39_488:
	s_mov_b32 s2, 0
.LBB39_489:
	s_delay_alu instid0(SALU_CYCLE_1)
	s_and_not1_b32 vcc_lo, exec_lo, s2
	s_cbranch_vccnz .LBB39_500
; %bb.490:
	v_cmp_gt_i16_e32 vcc_lo, 6, v8
	s_cbranch_vccnz .LBB39_493
; %bb.491:
	v_cmp_lt_i16_e32 vcc_lo, 6, v8
	s_cbranch_vccz .LBB39_494
; %bb.492:
	global_load_b64 v[0:1], v[3:4], off
	s_mov_b32 s2, 0
	s_waitcnt vmcnt(0)
	v_trunc_f64_e32 v[0:1], v[0:1]
	s_delay_alu instid0(VALU_DEP_1) | instskip(NEXT) | instid1(VALU_DEP_1)
	v_ldexp_f64 v[5:6], v[0:1], 0xffffffe0
	v_floor_f64_e32 v[5:6], v[5:6]
	s_delay_alu instid0(VALU_DEP_1) | instskip(SKIP_1) | instid1(VALU_DEP_2)
	v_fma_f64 v[10:11], 0xc1f00000, v[5:6], v[0:1]
	v_cvt_i32_f64_e32 v1, v[5:6]
	v_cvt_u32_f64_e32 v0, v[10:11]
	s_branch .LBB39_495
.LBB39_493:
	s_mov_b32 s2, -1
                                        ; implicit-def: $vgpr0_vgpr1
	s_branch .LBB39_498
.LBB39_494:
	s_mov_b32 s2, -1
                                        ; implicit-def: $vgpr0_vgpr1
.LBB39_495:
	s_delay_alu instid0(SALU_CYCLE_1)
	s_and_not1_b32 vcc_lo, exec_lo, s2
	s_cbranch_vccnz .LBB39_497
; %bb.496:
	global_load_b32 v0, v[3:4], off
	s_waitcnt vmcnt(0)
	v_trunc_f32_e32 v0, v0
	s_delay_alu instid0(VALU_DEP_1) | instskip(SKIP_1) | instid1(VALU_DEP_2)
	v_mul_f32_e64 v1, 0x2f800000, |v0|
	v_ashrrev_i32_e32 v6, 31, v0
	v_floor_f32_e32 v1, v1
	s_delay_alu instid0(VALU_DEP_1) | instskip(SKIP_1) | instid1(VALU_DEP_2)
	v_fma_f32 v5, 0xcf800000, v1, |v0|
	v_cvt_u32_f32_e32 v1, v1
	v_cvt_u32_f32_e32 v0, v5
	s_delay_alu instid0(VALU_DEP_2) | instskip(NEXT) | instid1(VALU_DEP_2)
	v_xor_b32_e32 v1, v1, v6
	v_xor_b32_e32 v0, v0, v6
	s_delay_alu instid0(VALU_DEP_1) | instskip(NEXT) | instid1(VALU_DEP_3)
	v_sub_co_u32 v0, vcc_lo, v0, v6
	v_sub_co_ci_u32_e32 v1, vcc_lo, v1, v6, vcc_lo
.LBB39_497:
	s_mov_b32 s2, 0
.LBB39_498:
	s_delay_alu instid0(SALU_CYCLE_1)
	s_and_not1_b32 vcc_lo, exec_lo, s2
	s_cbranch_vccnz .LBB39_500
; %bb.499:
	global_load_u16 v0, v[3:4], off
	s_waitcnt vmcnt(0)
	v_cvt_f32_f16_e32 v0, v0
	s_delay_alu instid0(VALU_DEP_1) | instskip(NEXT) | instid1(VALU_DEP_1)
	v_cvt_i32_f32_e32 v0, v0
	v_ashrrev_i32_e32 v1, 31, v0
.LBB39_500:
	s_mov_b32 s2, 0
.LBB39_501:
	s_delay_alu instid0(SALU_CYCLE_1)
	s_and_not1_b32 vcc_lo, exec_lo, s2
	s_cbranch_vccnz .LBB39_521
; %bb.502:
	v_cmp_gt_i16_e32 vcc_lo, 2, v8
	s_cbranch_vccnz .LBB39_506
; %bb.503:
	v_cmp_gt_i16_e32 vcc_lo, 3, v8
	s_cbranch_vccnz .LBB39_507
; %bb.504:
	v_cmp_lt_i16_e32 vcc_lo, 3, v8
	s_cbranch_vccz .LBB39_508
; %bb.505:
	global_load_b64 v[0:1], v[3:4], off
	s_mov_b32 s2, 0
	s_branch .LBB39_509
.LBB39_506:
	s_mov_b32 s2, -1
                                        ; implicit-def: $vgpr0_vgpr1
	s_branch .LBB39_515
.LBB39_507:
	s_mov_b32 s2, -1
                                        ; implicit-def: $vgpr0_vgpr1
	s_branch .LBB39_512
.LBB39_508:
	s_mov_b32 s2, -1
                                        ; implicit-def: $vgpr0_vgpr1
.LBB39_509:
	s_delay_alu instid0(SALU_CYCLE_1)
	s_and_not1_b32 vcc_lo, exec_lo, s2
	s_cbranch_vccnz .LBB39_511
; %bb.510:
	global_load_b32 v0, v[3:4], off
	s_waitcnt vmcnt(0)
	v_ashrrev_i32_e32 v1, 31, v0
.LBB39_511:
	s_mov_b32 s2, 0
.LBB39_512:
	s_delay_alu instid0(SALU_CYCLE_1)
	s_and_not1_b32 vcc_lo, exec_lo, s2
	s_cbranch_vccnz .LBB39_514
; %bb.513:
	global_load_u16 v0, v[3:4], off
	s_waitcnt vmcnt(0)
	v_bfe_i32 v0, v0, 0, 16
	s_delay_alu instid0(VALU_DEP_1)
	v_ashrrev_i32_e32 v1, 31, v0
.LBB39_514:
	s_mov_b32 s2, 0
.LBB39_515:
	s_delay_alu instid0(SALU_CYCLE_1)
	s_and_not1_b32 vcc_lo, exec_lo, s2
	s_cbranch_vccnz .LBB39_521
; %bb.516:
	v_cmp_lt_i16_e32 vcc_lo, 0, v8
	s_mov_b32 s2, 0
	s_cbranch_vccz .LBB39_518
; %bb.517:
	global_load_i8 v0, v[3:4], off
	s_waitcnt vmcnt(0)
	v_bfe_i32 v0, v0, 0, 16
	s_delay_alu instid0(VALU_DEP_1)
	v_ashrrev_i32_e32 v1, 31, v0
	s_branch .LBB39_519
.LBB39_518:
	s_mov_b32 s2, -1
                                        ; implicit-def: $vgpr0_vgpr1
.LBB39_519:
	s_delay_alu instid0(SALU_CYCLE_1)
	s_and_not1_b32 vcc_lo, exec_lo, s2
	s_cbranch_vccnz .LBB39_521
; %bb.520:
	global_load_u8 v0, v[3:4], off
	s_mov_b32 s2, 0
	s_waitcnt vmcnt(0)
	v_dual_mov_b32 v1, s2 :: v_dual_and_b32 v0, 0xffff, v0
.LBB39_521:
	s_branch .LBB39_283
.LBB39_522:
	s_mov_b32 s3, 0
	s_mov_b32 s2, s34
.LBB39_523:
                                        ; implicit-def: $vgpr9
.LBB39_524:
	s_and_not1_b32 s23, s34, exec_lo
	s_and_b32 s2, s2, exec_lo
	s_and_not1_b32 s37, s35, exec_lo
	s_and_b32 s22, s22, exec_lo
	s_or_b32 s38, s23, s2
	s_or_b32 s37, s37, s22
	s_or_not1_b32 s2, s3, exec_lo
.LBB39_525:
	s_or_b32 exec_lo, exec_lo, s39
	s_mov_b32 s3, 0
	s_mov_b32 s23, 0
	;; [unrolled: 1-line block ×3, first 2 shown]
                                        ; implicit-def: $vgpr3_vgpr4
                                        ; implicit-def: $vgpr2
                                        ; implicit-def: $vgpr0_vgpr1
	s_and_saveexec_b32 s39, s2
	s_cbranch_execz .LBB39_889
; %bb.526:
	s_mov_b32 s42, -1
	s_mov_b32 s22, s37
	s_mov_b32 s23, s38
	s_mov_b32 s40, exec_lo
	v_cmpx_gt_i32_e64 s30, v9
	s_cbranch_execz .LBB39_794
; %bb.527:
	s_and_not1_b32 vcc_lo, exec_lo, s27
	s_cbranch_vccnz .LBB39_532
; %bb.528:
	v_mov_b32_e32 v2, 0
	s_waitcnt vmcnt(0)
	v_mov_b32_e32 v0, 0
	s_and_not1_b32 vcc_lo, exec_lo, s33
	s_mov_b32 s41, 0
	s_cbranch_vccnz .LBB39_537
; %bb.529:
	v_mov_b32_e32 v2, 0
	s_add_i32 s43, s31, 1
	s_cmp_eq_u32 s25, 2
	s_mov_b32 s42, 0
	s_cbranch_scc1 .LBB39_533
; %bb.530:
	v_dual_mov_b32 v0, 0 :: v_dual_mov_b32 v1, v9
	v_mov_b32_e32 v2, 0
	s_and_b32 s42, s43, 28
	s_mov_b32 s44, 0
	s_mov_b64 s[2:3], s[20:21]
	s_mov_b64 s[22:23], s[16:17]
.LBB39_531:                             ; =>This Inner Loop Header: Depth=1
	s_clause 0x1
	s_load_b256 s[48:55], s[22:23], 0x4
	s_load_b128 s[64:67], s[22:23], 0x24
	s_load_b256 s[56:63], s[2:3], 0x0
	s_add_u32 s22, s22, 48
	s_addc_u32 s23, s23, 0
	s_add_i32 s44, s44, 4
	s_add_u32 s2, s2, 32
	s_addc_u32 s3, s3, 0
	s_cmp_eq_u32 s42, s44
	s_waitcnt lgkmcnt(0)
	v_mul_hi_u32 v3, s49, v1
	s_delay_alu instid0(VALU_DEP_1) | instskip(NEXT) | instid1(VALU_DEP_1)
	v_add_nc_u32_e32 v3, v1, v3
	v_lshrrev_b32_e32 v3, s50, v3
	s_delay_alu instid0(VALU_DEP_1) | instskip(SKIP_1) | instid1(VALU_DEP_2)
	v_mul_hi_u32 v4, s52, v3
	v_mul_lo_u32 v6, v3, s48
	v_add_nc_u32_e32 v4, v3, v4
	s_delay_alu instid0(VALU_DEP_2) | instskip(NEXT) | instid1(VALU_DEP_2)
	v_sub_nc_u32_e32 v1, v1, v6
	v_lshrrev_b32_e32 v4, s53, v4
	s_delay_alu instid0(VALU_DEP_2) | instskip(SKIP_1) | instid1(VALU_DEP_3)
	v_mul_lo_u32 v6, v1, s56
	v_mul_lo_u32 v11, v1, s57
	v_mul_hi_u32 v5, s55, v4
	s_delay_alu instid0(VALU_DEP_1) | instskip(NEXT) | instid1(VALU_DEP_1)
	v_add_nc_u32_e32 v5, v4, v5
	v_lshrrev_b32_e32 v5, s64, v5
	s_delay_alu instid0(VALU_DEP_1) | instskip(SKIP_1) | instid1(VALU_DEP_2)
	v_mul_hi_u32 v10, s66, v5
	v_mul_lo_u32 v12, v5, s54
	v_add_nc_u32_e32 v1, v5, v10
	v_mul_lo_u32 v10, v4, s51
	s_delay_alu instid0(VALU_DEP_3) | instskip(NEXT) | instid1(VALU_DEP_3)
	v_sub_nc_u32_e32 v4, v4, v12
	v_lshrrev_b32_e32 v1, s67, v1
	s_delay_alu instid0(VALU_DEP_2) | instskip(SKIP_2) | instid1(VALU_DEP_4)
	v_mul_lo_u32 v12, v4, s60
	v_mul_lo_u32 v4, v4, s61
	v_sub_nc_u32_e32 v3, v3, v10
	v_mul_lo_u32 v13, v1, s65
	s_delay_alu instid0(VALU_DEP_2) | instskip(SKIP_1) | instid1(VALU_DEP_3)
	v_mul_lo_u32 v10, v3, s58
	v_mul_lo_u32 v3, v3, s59
	v_sub_nc_u32_e32 v5, v5, v13
	s_delay_alu instid0(VALU_DEP_3) | instskip(NEXT) | instid1(VALU_DEP_2)
	v_add3_u32 v2, v6, v2, v10
	v_mul_lo_u32 v13, v5, s62
	v_mul_lo_u32 v5, v5, s63
	v_add3_u32 v0, v11, v0, v3
	s_delay_alu instid0(VALU_DEP_3) | instskip(NEXT) | instid1(VALU_DEP_2)
	v_add3_u32 v2, v12, v2, v13
	v_add3_u32 v0, v4, v0, v5
	s_cbranch_scc0 .LBB39_531
	s_branch .LBB39_534
.LBB39_532:
	s_mov_b32 s41, -1
                                        ; implicit-def: $vgpr2
                                        ; implicit-def: $vgpr0
	s_branch .LBB39_537
.LBB39_533:
	v_dual_mov_b32 v1, v9 :: v_dual_mov_b32 v0, 0
.LBB39_534:
	s_and_b32 s43, s43, 3
	s_delay_alu instid0(SALU_CYCLE_1)
	s_cmp_eq_u32 s43, 0
	s_cbranch_scc1 .LBB39_537
; %bb.535:
	s_lshl_b32 s2, s42, 3
	s_mul_i32 s22, s42, 12
	s_add_u32 s2, s2, s16
	s_addc_u32 s3, s17, 0
	s_add_u32 s2, s2, 0xc4
	s_addc_u32 s3, s3, 0
	;; [unrolled: 2-line block ×3, first 2 shown]
	.p2align	6
.LBB39_536:                             ; =>This Inner Loop Header: Depth=1
	s_clause 0x1
	s_load_b64 s[44:45], s[22:23], 0x4
	s_load_b32 s42, s[22:23], 0xc
	s_load_b64 s[46:47], s[2:3], 0x0
	s_add_u32 s22, s22, 12
	s_addc_u32 s23, s23, 0
	s_add_u32 s2, s2, 8
	s_addc_u32 s3, s3, 0
	s_add_i32 s43, s43, -1
	s_delay_alu instid0(SALU_CYCLE_1) | instskip(SKIP_2) | instid1(VALU_DEP_1)
	s_cmp_lg_u32 s43, 0
	s_waitcnt lgkmcnt(0)
	v_mul_hi_u32 v3, s45, v1
	v_add_nc_u32_e32 v3, v1, v3
	s_delay_alu instid0(VALU_DEP_1) | instskip(NEXT) | instid1(VALU_DEP_1)
	v_lshrrev_b32_e32 v6, s42, v3
	v_mul_lo_u32 v3, v6, s44
	s_delay_alu instid0(VALU_DEP_1) | instskip(NEXT) | instid1(VALU_DEP_1)
	v_sub_nc_u32_e32 v1, v1, v3
	v_mad_u64_u32 v[3:4], null, v1, s46, v[2:3]
	v_mad_u64_u32 v[4:5], null, v1, s47, v[0:1]
	s_delay_alu instid0(VALU_DEP_2) | instskip(NEXT) | instid1(VALU_DEP_2)
	v_dual_mov_b32 v1, v6 :: v_dual_mov_b32 v2, v3
	v_mov_b32_e32 v0, v4
	s_cbranch_scc1 .LBB39_536
.LBB39_537:
	s_and_not1_b32 vcc_lo, exec_lo, s41
	s_cbranch_vccnz .LBB39_540
; %bb.538:
	s_waitcnt vmcnt(0) lgkmcnt(0)
	v_mul_hi_u32 v0, s13, v9
	s_and_not1_b32 vcc_lo, exec_lo, s29
	s_delay_alu instid0(VALU_DEP_1) | instskip(NEXT) | instid1(VALU_DEP_1)
	v_add_nc_u32_e32 v0, v9, v0
	v_lshrrev_b32_e32 v1, s14, v0
	s_delay_alu instid0(VALU_DEP_1) | instskip(NEXT) | instid1(VALU_DEP_1)
	v_mul_lo_u32 v0, v1, s12
	v_sub_nc_u32_e32 v0, v9, v0
	s_delay_alu instid0(VALU_DEP_1)
	v_mul_lo_u32 v2, v0, s8
	v_mul_lo_u32 v0, v0, s9
	s_cbranch_vccnz .LBB39_540
; %bb.539:
	v_mul_hi_u32 v3, s18, v1
	s_delay_alu instid0(VALU_DEP_1) | instskip(NEXT) | instid1(VALU_DEP_1)
	v_add_nc_u32_e32 v3, v1, v3
	v_lshrrev_b32_e32 v3, s19, v3
	s_delay_alu instid0(VALU_DEP_1) | instskip(NEXT) | instid1(VALU_DEP_1)
	v_mul_lo_u32 v3, v3, s15
	v_sub_nc_u32_e32 v5, v1, v3
	s_delay_alu instid0(VALU_DEP_1) | instskip(SKIP_1) | instid1(VALU_DEP_2)
	v_mad_u64_u32 v[3:4], null, v5, s10, v[2:3]
	v_mad_u64_u32 v[1:2], null, v5, s11, v[0:1]
	v_mov_b32_e32 v2, v3
	s_delay_alu instid0(VALU_DEP_2)
	v_mov_b32_e32 v0, v1
.LBB39_540:
	v_cmp_gt_i16_e32 vcc_lo, 11, v8
	s_waitcnt vmcnt(0) lgkmcnt(0)
	s_delay_alu instid0(VALU_DEP_2) | instskip(NEXT) | instid1(VALU_DEP_1)
	v_add_co_u32 v3, s2, s6, v0
	v_add_co_ci_u32_e64 v4, null, s7, 0, s2
	s_mov_b32 s2, 0
	s_cbranch_vccnz .LBB39_547
; %bb.541:
	v_cmp_lt_i16_e32 vcc_lo, 25, v8
	s_cbranch_vccz .LBB39_548
; %bb.542:
	v_cmp_lt_i16_e32 vcc_lo, 28, v8
	s_cbranch_vccz .LBB39_549
	;; [unrolled: 3-line block ×4, first 2 shown]
; %bb.545:
	v_cmp_eq_u16_e32 vcc_lo, 46, v8
	s_mov_b32 s3, 0
	s_cbranch_vccz .LBB39_556
; %bb.546:
	global_load_b32 v0, v[3:4], off
	s_mov_b32 s2, -1
	s_mov_b32 s22, 0
	s_waitcnt vmcnt(0)
	v_lshlrev_b32_e32 v0, 16, v0
	s_delay_alu instid0(VALU_DEP_1) | instskip(NEXT) | instid1(VALU_DEP_1)
	v_trunc_f32_e32 v0, v0
	v_mul_f32_e64 v1, 0x2f800000, |v0|
	v_ashrrev_i32_e32 v6, 31, v0
	s_delay_alu instid0(VALU_DEP_2) | instskip(NEXT) | instid1(VALU_DEP_1)
	v_floor_f32_e32 v1, v1
	v_fma_f32 v5, 0xcf800000, v1, |v0|
	v_cvt_u32_f32_e32 v1, v1
	s_delay_alu instid0(VALU_DEP_2) | instskip(NEXT) | instid1(VALU_DEP_2)
	v_cvt_u32_f32_e32 v0, v5
	v_xor_b32_e32 v1, v1, v6
	s_delay_alu instid0(VALU_DEP_2) | instskip(NEXT) | instid1(VALU_DEP_1)
	v_xor_b32_e32 v0, v0, v6
	v_sub_co_u32 v0, vcc_lo, v0, v6
	s_delay_alu instid0(VALU_DEP_3)
	v_sub_co_ci_u32_e32 v1, vcc_lo, v1, v6, vcc_lo
	s_branch .LBB39_558
.LBB39_547:
	s_mov_b32 s3, -1
	s_mov_b32 s22, s37
                                        ; implicit-def: $vgpr0_vgpr1
	s_branch .LBB39_619
.LBB39_548:
	s_mov_b32 s3, -1
	s_mov_b32 s22, s37
                                        ; implicit-def: $vgpr0_vgpr1
	s_branch .LBB39_587
.LBB39_549:
	s_mov_b32 s3, -1
	s_mov_b32 s22, s37
                                        ; implicit-def: $vgpr0_vgpr1
	s_branch .LBB39_568
.LBB39_550:
	s_mov_b32 s3, -1
	s_mov_b32 s22, s37
                                        ; implicit-def: $vgpr0_vgpr1
	s_branch .LBB39_563
.LBB39_551:
	s_or_saveexec_b32 s37, s37
                                        ; implicit-def: $sgpr38
	s_delay_alu instid0(SALU_CYCLE_1)
	s_xor_b32 exec_lo, exec_lo, s37
	s_cbranch_execz .LBB39_366
.LBB39_552:
	v_add_f32_e64 v11, 0x46000000, |v2|
	s_and_not1_b32 s23, s23, exec_lo
	s_mov_b32 s38, 0
	s_delay_alu instid0(VALU_DEP_1) | instskip(NEXT) | instid1(VALU_DEP_1)
	v_and_b32_e32 v11, 0xff, v11
	v_cmp_ne_u32_e32 vcc_lo, 0, v11
	s_and_b32 s40, vcc_lo, exec_lo
	s_delay_alu instid0(SALU_CYCLE_1)
	s_or_b32 s23, s23, s40
	s_or_b32 exec_lo, exec_lo, s37
	v_mov_b32_e32 v12, s38
	s_and_saveexec_b32 s37, s23
	s_cbranch_execnz .LBB39_367
	s_branch .LBB39_368
.LBB39_553:
	s_mov_b32 s3, -1
	s_mov_b32 s22, s37
	s_branch .LBB39_557
.LBB39_554:
	s_or_saveexec_b32 s37, s37
                                        ; implicit-def: $sgpr38
	s_delay_alu instid0(SALU_CYCLE_1)
	s_xor_b32 exec_lo, exec_lo, s37
	s_cbranch_execz .LBB39_379
.LBB39_555:
	v_add_f32_e64 v11, 0x42800000, |v2|
	s_and_not1_b32 s23, s23, exec_lo
	s_mov_b32 s38, 0
	s_delay_alu instid0(VALU_DEP_1) | instskip(NEXT) | instid1(VALU_DEP_1)
	v_and_b32_e32 v11, 0xff, v11
	v_cmp_ne_u32_e32 vcc_lo, 0, v11
	s_and_b32 s40, vcc_lo, exec_lo
	s_delay_alu instid0(SALU_CYCLE_1)
	s_or_b32 s23, s23, s40
	s_or_b32 exec_lo, exec_lo, s37
	v_mov_b32_e32 v12, s38
	s_and_saveexec_b32 s37, s23
	s_cbranch_execnz .LBB39_380
	s_branch .LBB39_381
.LBB39_556:
	s_mov_b32 s22, -1
.LBB39_557:
                                        ; implicit-def: $vgpr0_vgpr1
.LBB39_558:
	s_and_b32 vcc_lo, exec_lo, s3
	s_cbranch_vccz .LBB39_562
; %bb.559:
	v_cmp_eq_u16_e32 vcc_lo, 44, v8
	s_cbranch_vccz .LBB39_561
; %bb.560:
	global_load_u8 v0, v[3:4], off
	s_mov_b32 s22, 0
	s_mov_b32 s2, -1
	s_waitcnt vmcnt(0)
	v_lshlrev_b32_e32 v1, 23, v0
	s_delay_alu instid0(VALU_DEP_1) | instskip(NEXT) | instid1(VALU_DEP_1)
	v_trunc_f32_e32 v1, v1
	v_mul_f32_e64 v5, 0x2f800000, |v1|
	s_delay_alu instid0(VALU_DEP_1) | instskip(NEXT) | instid1(VALU_DEP_1)
	v_floor_f32_e32 v5, v5
	v_fma_f32 v6, 0xcf800000, v5, |v1|
	v_ashrrev_i32_e32 v1, 31, v1
	v_cvt_u32_f32_e32 v5, v5
	s_delay_alu instid0(VALU_DEP_3) | instskip(NEXT) | instid1(VALU_DEP_2)
	v_cvt_u32_f32_e32 v6, v6
	v_xor_b32_e32 v5, v5, v1
	s_delay_alu instid0(VALU_DEP_2) | instskip(NEXT) | instid1(VALU_DEP_1)
	v_xor_b32_e32 v6, v6, v1
	v_sub_co_u32 v6, vcc_lo, v6, v1
	s_delay_alu instid0(VALU_DEP_3) | instskip(SKIP_1) | instid1(VALU_DEP_2)
	v_sub_co_ci_u32_e32 v1, vcc_lo, v5, v1, vcc_lo
	v_cmp_ne_u32_e32 vcc_lo, 0, v0
	v_dual_cndmask_b32 v0, 0, v6 :: v_dual_cndmask_b32 v1, 0, v1
	s_branch .LBB39_562
.LBB39_561:
	s_mov_b32 s22, -1
                                        ; implicit-def: $vgpr0_vgpr1
.LBB39_562:
	s_mov_b32 s3, 0
.LBB39_563:
	s_delay_alu instid0(SALU_CYCLE_1)
	s_and_b32 vcc_lo, exec_lo, s3
	s_cbranch_vccz .LBB39_567
; %bb.564:
	v_cmp_eq_u16_e32 vcc_lo, 29, v8
	s_cbranch_vccz .LBB39_566
; %bb.565:
	global_load_b64 v[0:1], v[3:4], off
	s_mov_b32 s2, -1
	s_mov_b32 s22, 0
	s_branch .LBB39_567
.LBB39_566:
	s_mov_b32 s22, -1
                                        ; implicit-def: $vgpr0_vgpr1
.LBB39_567:
	s_mov_b32 s3, 0
.LBB39_568:
	s_delay_alu instid0(SALU_CYCLE_1)
	s_and_b32 vcc_lo, exec_lo, s3
	s_cbranch_vccz .LBB39_586
; %bb.569:
	v_cmp_gt_i16_e32 vcc_lo, 27, v8
	s_cbranch_vccnz .LBB39_572
; %bb.570:
	v_cmp_lt_i16_e32 vcc_lo, 27, v8
	s_cbranch_vccz .LBB39_573
; %bb.571:
	global_load_b32 v0, v[3:4], off
	s_waitcnt vmcnt(1)
	v_mov_b32_e32 v1, 0
	s_mov_b32 s2, 0
	s_branch .LBB39_574
.LBB39_572:
	s_mov_b32 s2, -1
                                        ; implicit-def: $vgpr0_vgpr1
	s_branch .LBB39_577
.LBB39_573:
	s_mov_b32 s2, -1
                                        ; implicit-def: $vgpr0_vgpr1
.LBB39_574:
	s_delay_alu instid0(SALU_CYCLE_1)
	s_and_not1_b32 vcc_lo, exec_lo, s2
	s_cbranch_vccnz .LBB39_576
; %bb.575:
	global_load_u16 v0, v[3:4], off
	s_mov_b32 s2, 0
	s_waitcnt vmcnt(0)
	v_dual_mov_b32 v1, s2 :: v_dual_and_b32 v0, 0xffff, v0
.LBB39_576:
	s_mov_b32 s2, 0
.LBB39_577:
	s_delay_alu instid0(SALU_CYCLE_1)
	s_and_not1_b32 vcc_lo, exec_lo, s2
	s_cbranch_vccnz .LBB39_585
; %bb.578:
	global_load_u8 v5, v[3:4], off
	s_mov_b32 s23, 0
	s_mov_b32 s41, exec_lo
                                        ; implicit-def: $sgpr2_sgpr3
	s_waitcnt vmcnt(0)
	v_cmpx_lt_i16_e32 0x7f, v5
	s_xor_b32 s41, exec_lo, s41
; %bb.579:
	v_cmp_ne_u16_e32 vcc_lo, 0x80, v5
	s_mov_b64 s[2:3], 0
	s_and_b32 s23, vcc_lo, exec_lo
; %bb.580:
	s_or_saveexec_b32 s41, s41
	v_dual_mov_b32 v0, s2 :: v_dual_mov_b32 v1, s3
	s_xor_b32 exec_lo, exec_lo, s41
; %bb.581:
	v_cmp_ne_u16_e32 vcc_lo, 0, v5
	v_mov_b32_e32 v0, 0
	v_mov_b32_e32 v1, 0
	s_and_not1_b32 s2, s23, exec_lo
	s_and_b32 s3, vcc_lo, exec_lo
	s_delay_alu instid0(SALU_CYCLE_1)
	s_or_b32 s23, s2, s3
; %bb.582:
	s_or_b32 exec_lo, exec_lo, s41
	s_and_saveexec_b32 s2, s23
	s_cbranch_execz .LBB39_584
; %bb.583:
	v_and_b32_e32 v0, 0xffff, v5
	v_lshlrev_b32_e32 v5, 24, v5
	s_delay_alu instid0(VALU_DEP_2) | instskip(NEXT) | instid1(VALU_DEP_2)
	v_and_b32_e32 v1, 7, v0
	v_and_b32_e32 v5, 0x80000000, v5
	s_delay_alu instid0(VALU_DEP_2) | instskip(NEXT) | instid1(VALU_DEP_1)
	v_clz_i32_u32_e32 v6, v1
	v_min_u32_e32 v6, 32, v6
	s_delay_alu instid0(VALU_DEP_1) | instskip(SKIP_1) | instid1(VALU_DEP_2)
	v_subrev_nc_u32_e32 v10, 28, v6
	v_sub_nc_u32_e32 v6, 29, v6
	v_lshlrev_b32_e32 v10, v10, v0
	v_bfe_u32 v0, v0, 3, 4
	s_delay_alu instid0(VALU_DEP_2) | instskip(NEXT) | instid1(VALU_DEP_2)
	v_and_b32_e32 v10, 7, v10
	v_cmp_eq_u32_e32 vcc_lo, 0, v0
	v_cndmask_b32_e32 v0, v0, v6, vcc_lo
	s_delay_alu instid0(VALU_DEP_3) | instskip(NEXT) | instid1(VALU_DEP_2)
	v_cndmask_b32_e32 v1, v1, v10, vcc_lo
	v_lshl_add_u32 v0, v0, 23, 0x3b800000
	s_delay_alu instid0(VALU_DEP_2) | instskip(NEXT) | instid1(VALU_DEP_1)
	v_lshlrev_b32_e32 v1, 20, v1
	v_or3_b32 v0, v5, v0, v1
	s_delay_alu instid0(VALU_DEP_1) | instskip(NEXT) | instid1(VALU_DEP_1)
	v_trunc_f32_e32 v0, v0
	v_mul_f32_e64 v1, 0x2f800000, |v0|
	v_ashrrev_i32_e32 v6, 31, v0
	s_delay_alu instid0(VALU_DEP_2) | instskip(NEXT) | instid1(VALU_DEP_1)
	v_floor_f32_e32 v1, v1
	v_fma_f32 v5, 0xcf800000, v1, |v0|
	v_cvt_u32_f32_e32 v1, v1
	s_delay_alu instid0(VALU_DEP_2) | instskip(NEXT) | instid1(VALU_DEP_2)
	v_cvt_u32_f32_e32 v0, v5
	v_xor_b32_e32 v1, v1, v6
	s_delay_alu instid0(VALU_DEP_2) | instskip(NEXT) | instid1(VALU_DEP_1)
	v_xor_b32_e32 v0, v0, v6
	v_sub_co_u32 v0, vcc_lo, v0, v6
	s_delay_alu instid0(VALU_DEP_3)
	v_sub_co_ci_u32_e32 v1, vcc_lo, v1, v6, vcc_lo
.LBB39_584:
	s_or_b32 exec_lo, exec_lo, s2
.LBB39_585:
	s_mov_b32 s2, -1
.LBB39_586:
	s_mov_b32 s3, 0
.LBB39_587:
	s_delay_alu instid0(SALU_CYCLE_1)
	s_and_b32 vcc_lo, exec_lo, s3
	s_cbranch_vccz .LBB39_618
; %bb.588:
	v_cmp_lt_i16_e32 vcc_lo, 22, v8
	s_cbranch_vccz .LBB39_598
; %bb.589:
	v_cmp_gt_i16_e32 vcc_lo, 24, v8
	s_cbranch_vccnz .LBB39_599
; %bb.590:
	v_cmp_lt_i16_e32 vcc_lo, 24, v8
	s_cbranch_vccz .LBB39_600
; %bb.591:
	global_load_u8 v5, v[3:4], off
	s_mov_b32 s23, 0
	s_mov_b32 s41, exec_lo
                                        ; implicit-def: $sgpr2_sgpr3
	s_waitcnt vmcnt(0)
	v_cmpx_lt_i16_e32 0x7f, v5
	s_xor_b32 s41, exec_lo, s41
; %bb.592:
	v_cmp_ne_u16_e32 vcc_lo, 0x80, v5
	s_mov_b64 s[2:3], 0
	s_and_b32 s23, vcc_lo, exec_lo
; %bb.593:
	s_or_saveexec_b32 s41, s41
	v_dual_mov_b32 v0, s2 :: v_dual_mov_b32 v1, s3
	s_xor_b32 exec_lo, exec_lo, s41
; %bb.594:
	v_cmp_ne_u16_e32 vcc_lo, 0, v5
	v_mov_b32_e32 v0, 0
	v_mov_b32_e32 v1, 0
	s_and_not1_b32 s2, s23, exec_lo
	s_and_b32 s3, vcc_lo, exec_lo
	s_delay_alu instid0(SALU_CYCLE_1)
	s_or_b32 s23, s2, s3
; %bb.595:
	s_or_b32 exec_lo, exec_lo, s41
	s_and_saveexec_b32 s2, s23
	s_cbranch_execz .LBB39_597
; %bb.596:
	v_and_b32_e32 v0, 0xffff, v5
	v_lshlrev_b32_e32 v5, 24, v5
	s_delay_alu instid0(VALU_DEP_2) | instskip(NEXT) | instid1(VALU_DEP_2)
	v_and_b32_e32 v1, 3, v0
	v_and_b32_e32 v5, 0x80000000, v5
	s_delay_alu instid0(VALU_DEP_2) | instskip(NEXT) | instid1(VALU_DEP_1)
	v_clz_i32_u32_e32 v6, v1
	v_min_u32_e32 v6, 32, v6
	s_delay_alu instid0(VALU_DEP_1) | instskip(SKIP_1) | instid1(VALU_DEP_2)
	v_subrev_nc_u32_e32 v10, 29, v6
	v_sub_nc_u32_e32 v6, 30, v6
	v_lshlrev_b32_e32 v10, v10, v0
	v_bfe_u32 v0, v0, 2, 5
	s_delay_alu instid0(VALU_DEP_2) | instskip(NEXT) | instid1(VALU_DEP_2)
	v_and_b32_e32 v10, 3, v10
	v_cmp_eq_u32_e32 vcc_lo, 0, v0
	v_cndmask_b32_e32 v0, v0, v6, vcc_lo
	s_delay_alu instid0(VALU_DEP_3) | instskip(NEXT) | instid1(VALU_DEP_2)
	v_cndmask_b32_e32 v1, v1, v10, vcc_lo
	v_lshl_add_u32 v0, v0, 23, 0x37800000
	s_delay_alu instid0(VALU_DEP_2) | instskip(NEXT) | instid1(VALU_DEP_1)
	v_lshlrev_b32_e32 v1, 21, v1
	v_or3_b32 v0, v5, v0, v1
	s_delay_alu instid0(VALU_DEP_1) | instskip(NEXT) | instid1(VALU_DEP_1)
	v_trunc_f32_e32 v0, v0
	v_mul_f32_e64 v1, 0x2f800000, |v0|
	v_ashrrev_i32_e32 v6, 31, v0
	s_delay_alu instid0(VALU_DEP_2) | instskip(NEXT) | instid1(VALU_DEP_1)
	v_floor_f32_e32 v1, v1
	v_fma_f32 v5, 0xcf800000, v1, |v0|
	v_cvt_u32_f32_e32 v1, v1
	s_delay_alu instid0(VALU_DEP_2) | instskip(NEXT) | instid1(VALU_DEP_2)
	v_cvt_u32_f32_e32 v0, v5
	v_xor_b32_e32 v1, v1, v6
	s_delay_alu instid0(VALU_DEP_2) | instskip(NEXT) | instid1(VALU_DEP_1)
	v_xor_b32_e32 v0, v0, v6
	v_sub_co_u32 v0, vcc_lo, v0, v6
	s_delay_alu instid0(VALU_DEP_3)
	v_sub_co_ci_u32_e32 v1, vcc_lo, v1, v6, vcc_lo
.LBB39_597:
	s_or_b32 exec_lo, exec_lo, s2
	s_mov_b32 s2, 0
	s_branch .LBB39_601
.LBB39_598:
	s_mov_b32 s3, -1
                                        ; implicit-def: $vgpr0_vgpr1
	s_branch .LBB39_607
.LBB39_599:
	s_mov_b32 s2, -1
                                        ; implicit-def: $vgpr0_vgpr1
	s_branch .LBB39_604
.LBB39_600:
	s_mov_b32 s2, -1
                                        ; implicit-def: $vgpr0_vgpr1
.LBB39_601:
	s_delay_alu instid0(SALU_CYCLE_1)
	s_and_b32 vcc_lo, exec_lo, s2
	s_cbranch_vccz .LBB39_603
; %bb.602:
	global_load_u8 v0, v[3:4], off
	s_waitcnt vmcnt(0)
	v_lshlrev_b32_e32 v0, 24, v0
	s_delay_alu instid0(VALU_DEP_1) | instskip(NEXT) | instid1(VALU_DEP_1)
	v_and_b32_e32 v1, 0x7f000000, v0
	v_clz_i32_u32_e32 v5, v1
	v_add_nc_u32_e32 v10, 0x1000000, v1
	v_cmp_ne_u32_e32 vcc_lo, 0, v1
	s_delay_alu instid0(VALU_DEP_3) | instskip(NEXT) | instid1(VALU_DEP_1)
	v_min_u32_e32 v5, 32, v5
	v_sub_nc_u32_e64 v5, v5, 4 clamp
	s_delay_alu instid0(VALU_DEP_1) | instskip(SKIP_1) | instid1(VALU_DEP_2)
	v_lshlrev_b32_e32 v6, v5, v1
	v_lshlrev_b32_e32 v5, 23, v5
	v_lshrrev_b32_e32 v6, 4, v6
	s_delay_alu instid0(VALU_DEP_1) | instskip(SKIP_1) | instid1(VALU_DEP_2)
	v_sub_nc_u32_e32 v5, v6, v5
	v_ashrrev_i32_e32 v6, 8, v10
	v_add_nc_u32_e32 v5, 0x3c000000, v5
	s_delay_alu instid0(VALU_DEP_1) | instskip(NEXT) | instid1(VALU_DEP_1)
	v_and_or_b32 v5, 0x7f800000, v6, v5
	v_cndmask_b32_e32 v1, 0, v5, vcc_lo
	s_delay_alu instid0(VALU_DEP_1) | instskip(NEXT) | instid1(VALU_DEP_1)
	v_and_or_b32 v0, 0x80000000, v0, v1
	v_trunc_f32_e32 v0, v0
	s_delay_alu instid0(VALU_DEP_1) | instskip(SKIP_1) | instid1(VALU_DEP_2)
	v_mul_f32_e64 v1, 0x2f800000, |v0|
	v_ashrrev_i32_e32 v6, 31, v0
	v_floor_f32_e32 v1, v1
	s_delay_alu instid0(VALU_DEP_1) | instskip(SKIP_1) | instid1(VALU_DEP_2)
	v_fma_f32 v5, 0xcf800000, v1, |v0|
	v_cvt_u32_f32_e32 v1, v1
	v_cvt_u32_f32_e32 v0, v5
	s_delay_alu instid0(VALU_DEP_2) | instskip(NEXT) | instid1(VALU_DEP_2)
	v_xor_b32_e32 v1, v1, v6
	v_xor_b32_e32 v0, v0, v6
	s_delay_alu instid0(VALU_DEP_1) | instskip(NEXT) | instid1(VALU_DEP_3)
	v_sub_co_u32 v0, vcc_lo, v0, v6
	v_sub_co_ci_u32_e32 v1, vcc_lo, v1, v6, vcc_lo
.LBB39_603:
	s_mov_b32 s2, 0
.LBB39_604:
	s_delay_alu instid0(SALU_CYCLE_1)
	s_and_not1_b32 vcc_lo, exec_lo, s2
	s_cbranch_vccnz .LBB39_606
; %bb.605:
	global_load_u8 v0, v[3:4], off
	s_waitcnt vmcnt(0)
	v_lshlrev_b32_e32 v1, 25, v0
	v_lshlrev_b16 v0, 8, v0
	s_delay_alu instid0(VALU_DEP_1) | instskip(SKIP_1) | instid1(VALU_DEP_2)
	v_and_or_b32 v6, 0x7f00, v0, 0.5
	v_bfe_i32 v0, v0, 0, 16
	v_add_f32_e32 v6, -0.5, v6
	v_lshrrev_b32_e32 v5, 4, v1
	v_cmp_gt_u32_e32 vcc_lo, 0x8000000, v1
	s_delay_alu instid0(VALU_DEP_2) | instskip(NEXT) | instid1(VALU_DEP_1)
	v_or_b32_e32 v5, 0x70000000, v5
	v_mul_f32_e32 v5, 0x7800000, v5
	s_delay_alu instid0(VALU_DEP_1) | instskip(NEXT) | instid1(VALU_DEP_1)
	v_cndmask_b32_e32 v1, v5, v6, vcc_lo
	v_and_or_b32 v0, 0x80000000, v0, v1
	s_delay_alu instid0(VALU_DEP_1) | instskip(NEXT) | instid1(VALU_DEP_1)
	v_trunc_f32_e32 v0, v0
	v_mul_f32_e64 v1, 0x2f800000, |v0|
	v_ashrrev_i32_e32 v6, 31, v0
	s_delay_alu instid0(VALU_DEP_2) | instskip(NEXT) | instid1(VALU_DEP_1)
	v_floor_f32_e32 v1, v1
	v_fma_f32 v5, 0xcf800000, v1, |v0|
	v_cvt_u32_f32_e32 v1, v1
	s_delay_alu instid0(VALU_DEP_2) | instskip(NEXT) | instid1(VALU_DEP_2)
	v_cvt_u32_f32_e32 v0, v5
	v_xor_b32_e32 v1, v1, v6
	s_delay_alu instid0(VALU_DEP_2) | instskip(NEXT) | instid1(VALU_DEP_1)
	v_xor_b32_e32 v0, v0, v6
	v_sub_co_u32 v0, vcc_lo, v0, v6
	s_delay_alu instid0(VALU_DEP_3)
	v_sub_co_ci_u32_e32 v1, vcc_lo, v1, v6, vcc_lo
.LBB39_606:
	s_mov_b32 s3, 0
	s_mov_b32 s2, -1
.LBB39_607:
	s_and_not1_b32 vcc_lo, exec_lo, s3
	s_cbranch_vccnz .LBB39_618
; %bb.608:
	v_cmp_lt_i16_e32 vcc_lo, 14, v8
	s_cbranch_vccz .LBB39_611
; %bb.609:
	v_cmp_eq_u16_e32 vcc_lo, 15, v8
	s_cbranch_vccz .LBB39_612
; %bb.610:
	global_load_u16 v0, v[3:4], off
	s_mov_b32 s2, -1
	s_mov_b32 s22, 0
	s_waitcnt vmcnt(0)
	v_lshlrev_b32_e32 v0, 16, v0
	s_delay_alu instid0(VALU_DEP_1) | instskip(NEXT) | instid1(VALU_DEP_1)
	v_trunc_f32_e32 v0, v0
	v_mul_f32_e64 v1, 0x2f800000, |v0|
	v_ashrrev_i32_e32 v6, 31, v0
	s_delay_alu instid0(VALU_DEP_2) | instskip(NEXT) | instid1(VALU_DEP_1)
	v_floor_f32_e32 v1, v1
	v_fma_f32 v5, 0xcf800000, v1, |v0|
	v_cvt_u32_f32_e32 v1, v1
	s_delay_alu instid0(VALU_DEP_2) | instskip(NEXT) | instid1(VALU_DEP_2)
	v_cvt_u32_f32_e32 v0, v5
	v_xor_b32_e32 v1, v1, v6
	s_delay_alu instid0(VALU_DEP_2) | instskip(NEXT) | instid1(VALU_DEP_1)
	v_xor_b32_e32 v0, v0, v6
	v_sub_co_u32 v0, vcc_lo, v0, v6
	s_delay_alu instid0(VALU_DEP_3)
	v_sub_co_ci_u32_e32 v1, vcc_lo, v1, v6, vcc_lo
	s_branch .LBB39_613
.LBB39_611:
	s_mov_b32 s3, -1
                                        ; implicit-def: $vgpr0_vgpr1
	s_branch .LBB39_614
.LBB39_612:
	s_mov_b32 s22, -1
                                        ; implicit-def: $vgpr0_vgpr1
.LBB39_613:
	s_mov_b32 s3, 0
.LBB39_614:
	s_delay_alu instid0(SALU_CYCLE_1)
	s_and_b32 vcc_lo, exec_lo, s3
	s_cbranch_vccz .LBB39_618
; %bb.615:
	v_cmp_eq_u16_e32 vcc_lo, 11, v8
	s_cbranch_vccz .LBB39_617
; %bb.616:
	global_load_u8 v0, v[3:4], off
	s_mov_b32 s22, 0
	s_mov_b32 s2, -1
	s_waitcnt vmcnt(1)
	v_mov_b32_e32 v1, s22
	s_waitcnt vmcnt(0)
	v_cmp_ne_u16_e32 vcc_lo, 0, v0
	v_cndmask_b32_e64 v0, 0, 1, vcc_lo
	s_branch .LBB39_618
.LBB39_617:
	s_mov_b32 s22, -1
                                        ; implicit-def: $vgpr0_vgpr1
.LBB39_618:
	s_mov_b32 s3, 0
.LBB39_619:
	s_delay_alu instid0(SALU_CYCLE_1)
	s_and_b32 vcc_lo, exec_lo, s3
	s_cbranch_vccz .LBB39_668
; %bb.620:
	v_cmp_gt_i16_e32 vcc_lo, 5, v8
	s_cbranch_vccnz .LBB39_625
; %bb.621:
	v_cmp_gt_i16_e32 vcc_lo, 8, v8
	s_cbranch_vccnz .LBB39_626
	;; [unrolled: 3-line block ×3, first 2 shown]
; %bb.623:
	v_cmp_lt_i16_e32 vcc_lo, 9, v8
	s_cbranch_vccz .LBB39_628
; %bb.624:
	global_load_b64 v[0:1], v[3:4], off
	s_mov_b32 s2, 0
	s_waitcnt vmcnt(0)
	v_trunc_f64_e32 v[0:1], v[0:1]
	s_delay_alu instid0(VALU_DEP_1) | instskip(NEXT) | instid1(VALU_DEP_1)
	v_ldexp_f64 v[5:6], v[0:1], 0xffffffe0
	v_floor_f64_e32 v[5:6], v[5:6]
	s_delay_alu instid0(VALU_DEP_1) | instskip(SKIP_1) | instid1(VALU_DEP_2)
	v_fma_f64 v[10:11], 0xc1f00000, v[5:6], v[0:1]
	v_cvt_i32_f64_e32 v1, v[5:6]
	v_cvt_u32_f64_e32 v0, v[10:11]
	s_branch .LBB39_629
.LBB39_625:
	s_mov_b32 s2, -1
                                        ; implicit-def: $vgpr0_vgpr1
	s_branch .LBB39_647
.LBB39_626:
	s_mov_b32 s2, -1
                                        ; implicit-def: $vgpr0_vgpr1
	s_branch .LBB39_635
.LBB39_627:
	s_mov_b32 s2, -1
                                        ; implicit-def: $vgpr0_vgpr1
	s_branch .LBB39_632
.LBB39_628:
	s_mov_b32 s2, -1
                                        ; implicit-def: $vgpr0_vgpr1
.LBB39_629:
	s_delay_alu instid0(SALU_CYCLE_1)
	s_and_not1_b32 vcc_lo, exec_lo, s2
	s_cbranch_vccnz .LBB39_631
; %bb.630:
	global_load_b32 v0, v[3:4], off
	s_waitcnt vmcnt(0)
	v_trunc_f32_e32 v0, v0
	s_delay_alu instid0(VALU_DEP_1) | instskip(SKIP_1) | instid1(VALU_DEP_2)
	v_mul_f32_e64 v1, 0x2f800000, |v0|
	v_ashrrev_i32_e32 v6, 31, v0
	v_floor_f32_e32 v1, v1
	s_delay_alu instid0(VALU_DEP_1) | instskip(SKIP_1) | instid1(VALU_DEP_2)
	v_fma_f32 v5, 0xcf800000, v1, |v0|
	v_cvt_u32_f32_e32 v1, v1
	v_cvt_u32_f32_e32 v0, v5
	s_delay_alu instid0(VALU_DEP_2) | instskip(NEXT) | instid1(VALU_DEP_2)
	v_xor_b32_e32 v1, v1, v6
	v_xor_b32_e32 v0, v0, v6
	s_delay_alu instid0(VALU_DEP_1) | instskip(NEXT) | instid1(VALU_DEP_3)
	v_sub_co_u32 v0, vcc_lo, v0, v6
	v_sub_co_ci_u32_e32 v1, vcc_lo, v1, v6, vcc_lo
.LBB39_631:
	s_mov_b32 s2, 0
.LBB39_632:
	s_delay_alu instid0(SALU_CYCLE_1)
	s_and_not1_b32 vcc_lo, exec_lo, s2
	s_cbranch_vccnz .LBB39_634
; %bb.633:
	global_load_b32 v0, v[3:4], off
	s_waitcnt vmcnt(0)
	v_cvt_f32_f16_e32 v0, v0
	s_delay_alu instid0(VALU_DEP_1) | instskip(NEXT) | instid1(VALU_DEP_1)
	v_cvt_i32_f32_e32 v0, v0
	v_ashrrev_i32_e32 v1, 31, v0
.LBB39_634:
	s_mov_b32 s2, 0
.LBB39_635:
	s_delay_alu instid0(SALU_CYCLE_1)
	s_and_not1_b32 vcc_lo, exec_lo, s2
	s_cbranch_vccnz .LBB39_646
; %bb.636:
	v_cmp_gt_i16_e32 vcc_lo, 6, v8
	s_cbranch_vccnz .LBB39_639
; %bb.637:
	v_cmp_lt_i16_e32 vcc_lo, 6, v8
	s_cbranch_vccz .LBB39_640
; %bb.638:
	global_load_b64 v[0:1], v[3:4], off
	s_mov_b32 s2, 0
	s_waitcnt vmcnt(0)
	v_trunc_f64_e32 v[0:1], v[0:1]
	s_delay_alu instid0(VALU_DEP_1) | instskip(NEXT) | instid1(VALU_DEP_1)
	v_ldexp_f64 v[5:6], v[0:1], 0xffffffe0
	v_floor_f64_e32 v[5:6], v[5:6]
	s_delay_alu instid0(VALU_DEP_1) | instskip(SKIP_1) | instid1(VALU_DEP_2)
	v_fma_f64 v[10:11], 0xc1f00000, v[5:6], v[0:1]
	v_cvt_i32_f64_e32 v1, v[5:6]
	v_cvt_u32_f64_e32 v0, v[10:11]
	s_branch .LBB39_641
.LBB39_639:
	s_mov_b32 s2, -1
                                        ; implicit-def: $vgpr0_vgpr1
	s_branch .LBB39_644
.LBB39_640:
	s_mov_b32 s2, -1
                                        ; implicit-def: $vgpr0_vgpr1
.LBB39_641:
	s_delay_alu instid0(SALU_CYCLE_1)
	s_and_not1_b32 vcc_lo, exec_lo, s2
	s_cbranch_vccnz .LBB39_643
; %bb.642:
	global_load_b32 v0, v[3:4], off
	s_waitcnt vmcnt(0)
	v_trunc_f32_e32 v0, v0
	s_delay_alu instid0(VALU_DEP_1) | instskip(SKIP_1) | instid1(VALU_DEP_2)
	v_mul_f32_e64 v1, 0x2f800000, |v0|
	v_ashrrev_i32_e32 v6, 31, v0
	v_floor_f32_e32 v1, v1
	s_delay_alu instid0(VALU_DEP_1) | instskip(SKIP_1) | instid1(VALU_DEP_2)
	v_fma_f32 v5, 0xcf800000, v1, |v0|
	v_cvt_u32_f32_e32 v1, v1
	v_cvt_u32_f32_e32 v0, v5
	s_delay_alu instid0(VALU_DEP_2) | instskip(NEXT) | instid1(VALU_DEP_2)
	v_xor_b32_e32 v1, v1, v6
	v_xor_b32_e32 v0, v0, v6
	s_delay_alu instid0(VALU_DEP_1) | instskip(NEXT) | instid1(VALU_DEP_3)
	v_sub_co_u32 v0, vcc_lo, v0, v6
	v_sub_co_ci_u32_e32 v1, vcc_lo, v1, v6, vcc_lo
.LBB39_643:
	s_mov_b32 s2, 0
.LBB39_644:
	s_delay_alu instid0(SALU_CYCLE_1)
	s_and_not1_b32 vcc_lo, exec_lo, s2
	s_cbranch_vccnz .LBB39_646
; %bb.645:
	global_load_u16 v0, v[3:4], off
	s_waitcnt vmcnt(0)
	v_cvt_f32_f16_e32 v0, v0
	s_delay_alu instid0(VALU_DEP_1) | instskip(NEXT) | instid1(VALU_DEP_1)
	v_cvt_i32_f32_e32 v0, v0
	v_ashrrev_i32_e32 v1, 31, v0
.LBB39_646:
	s_mov_b32 s2, 0
.LBB39_647:
	s_delay_alu instid0(SALU_CYCLE_1)
	s_and_not1_b32 vcc_lo, exec_lo, s2
	s_cbranch_vccnz .LBB39_667
; %bb.648:
	v_cmp_gt_i16_e32 vcc_lo, 2, v8
	s_cbranch_vccnz .LBB39_652
; %bb.649:
	v_cmp_gt_i16_e32 vcc_lo, 3, v8
	s_cbranch_vccnz .LBB39_653
; %bb.650:
	v_cmp_lt_i16_e32 vcc_lo, 3, v8
	s_cbranch_vccz .LBB39_654
; %bb.651:
	global_load_b64 v[0:1], v[3:4], off
	s_mov_b32 s2, 0
	s_branch .LBB39_655
.LBB39_652:
	s_mov_b32 s2, -1
                                        ; implicit-def: $vgpr0_vgpr1
	s_branch .LBB39_661
.LBB39_653:
	s_mov_b32 s2, -1
                                        ; implicit-def: $vgpr0_vgpr1
	s_branch .LBB39_658
.LBB39_654:
	s_mov_b32 s2, -1
                                        ; implicit-def: $vgpr0_vgpr1
.LBB39_655:
	s_delay_alu instid0(SALU_CYCLE_1)
	s_and_not1_b32 vcc_lo, exec_lo, s2
	s_cbranch_vccnz .LBB39_657
; %bb.656:
	global_load_b32 v0, v[3:4], off
	s_waitcnt vmcnt(0)
	v_ashrrev_i32_e32 v1, 31, v0
.LBB39_657:
	s_mov_b32 s2, 0
.LBB39_658:
	s_delay_alu instid0(SALU_CYCLE_1)
	s_and_not1_b32 vcc_lo, exec_lo, s2
	s_cbranch_vccnz .LBB39_660
; %bb.659:
	global_load_u16 v0, v[3:4], off
	s_waitcnt vmcnt(0)
	v_bfe_i32 v0, v0, 0, 16
	s_delay_alu instid0(VALU_DEP_1)
	v_ashrrev_i32_e32 v1, 31, v0
.LBB39_660:
	s_mov_b32 s2, 0
.LBB39_661:
	s_delay_alu instid0(SALU_CYCLE_1)
	s_and_not1_b32 vcc_lo, exec_lo, s2
	s_cbranch_vccnz .LBB39_667
; %bb.662:
	v_cmp_lt_i16_e32 vcc_lo, 0, v8
	s_mov_b32 s2, 0
	s_cbranch_vccz .LBB39_664
; %bb.663:
	global_load_i8 v0, v[3:4], off
	s_waitcnt vmcnt(0)
	v_bfe_i32 v0, v0, 0, 16
	s_delay_alu instid0(VALU_DEP_1)
	v_ashrrev_i32_e32 v1, 31, v0
	s_branch .LBB39_665
.LBB39_664:
	s_mov_b32 s2, -1
                                        ; implicit-def: $vgpr0_vgpr1
.LBB39_665:
	s_delay_alu instid0(SALU_CYCLE_1)
	s_and_not1_b32 vcc_lo, exec_lo, s2
	s_cbranch_vccnz .LBB39_667
; %bb.666:
	global_load_u8 v0, v[3:4], off
	s_mov_b32 s2, 0
	s_waitcnt vmcnt(0)
	v_dual_mov_b32 v1, s2 :: v_dual_and_b32 v0, 0xffff, v0
.LBB39_667:
	s_mov_b32 s2, -1
.LBB39_668:
	s_delay_alu instid0(SALU_CYCLE_1)
	s_and_not1_b32 vcc_lo, exec_lo, s2
	s_cbranch_vccnz .LBB39_676
; %bb.669:
	v_and_b32_e32 v10, 0xff, v7
	v_add_co_u32 v5, s2, s4, v2
	s_waitcnt vmcnt(0)
	s_delay_alu instid0(VALU_DEP_3) | instskip(NEXT) | instid1(VALU_DEP_4)
	v_not_b32_e32 v4, v1
	v_not_b32_e32 v3, v0
	v_cmp_gt_i16_e32 vcc_lo, 11, v10
	v_add_co_ci_u32_e64 v6, null, s5, 0, s2
	s_mov_b32 s3, 0
	s_mov_b32 s23, -1
	s_mov_b32 s2, s38
	s_cbranch_vccnz .LBB39_677
; %bb.670:
	v_cmp_lt_i16_e32 vcc_lo, 25, v10
	s_cbranch_vccz .LBB39_718
; %bb.671:
	v_cmp_lt_i16_e32 vcc_lo, 28, v10
	s_cbranch_vccz .LBB39_719
	;; [unrolled: 3-line block ×4, first 2 shown]
; %bb.674:
	v_cmp_eq_u16_e32 vcc_lo, 46, v10
	s_mov_b32 s23, 0
	s_mov_b32 s2, -1
	s_cbranch_vccz .LBB39_722
; %bb.675:
	v_xor_b32_e32 v2, v3, v4
	v_cls_i32_e32 v11, v4
	s_mov_b32 s3, -1
	s_mov_b32 s2, 0
	s_delay_alu instid0(VALU_DEP_2) | instskip(NEXT) | instid1(VALU_DEP_2)
	v_ashrrev_i32_e32 v2, 31, v2
	v_add_nc_u32_e32 v11, -1, v11
	s_delay_alu instid0(VALU_DEP_2) | instskip(NEXT) | instid1(VALU_DEP_1)
	v_add_nc_u32_e32 v2, 32, v2
	v_min_u32_e32 v2, v11, v2
	s_delay_alu instid0(VALU_DEP_1) | instskip(SKIP_1) | instid1(VALU_DEP_2)
	v_lshlrev_b64 v[11:12], v2, v[3:4]
	v_sub_nc_u32_e32 v2, 32, v2
	v_min_u32_e32 v11, 1, v11
	s_delay_alu instid0(VALU_DEP_1) | instskip(NEXT) | instid1(VALU_DEP_1)
	v_or_b32_e32 v11, v12, v11
	v_cvt_f32_i32_e32 v11, v11
	s_delay_alu instid0(VALU_DEP_1) | instskip(NEXT) | instid1(VALU_DEP_1)
	v_ldexp_f32 v2, v11, v2
	v_bfe_u32 v11, v2, 16, 1
	s_delay_alu instid0(VALU_DEP_1) | instskip(NEXT) | instid1(VALU_DEP_1)
	v_add3_u32 v2, v2, v11, 0x7fff
	v_lshrrev_b32_e32 v2, 16, v2
	global_store_b32 v[5:6], v2, off
	s_branch .LBB39_722
.LBB39_676:
	s_mov_b32 s3, 0
	s_mov_b32 s2, s38
	s_branch .LBB39_717
.LBB39_677:
	s_and_b32 vcc_lo, exec_lo, s23
	s_cbranch_vccz .LBB39_791
; %bb.678:
	v_cmp_gt_i16_e32 vcc_lo, 5, v10
	s_mov_b32 s3, -1
	s_cbranch_vccnz .LBB39_699
; %bb.679:
	v_cmp_gt_i16_e32 vcc_lo, 8, v10
	s_cbranch_vccnz .LBB39_689
; %bb.680:
	v_cmp_gt_i16_e32 vcc_lo, 9, v10
	s_cbranch_vccnz .LBB39_686
; %bb.681:
	v_cmp_lt_i16_e32 vcc_lo, 9, v10
	s_cbranch_vccz .LBB39_683
; %bb.682:
	v_cvt_f64_i32_e32 v[0:1], v4
	v_cvt_f64_u32_e32 v[11:12], v3
	v_mov_b32_e32 v13, 0
	s_mov_b32 s3, 0
	s_delay_alu instid0(VALU_DEP_1) | instskip(NEXT) | instid1(VALU_DEP_4)
	v_mov_b32_e32 v14, v13
	v_ldexp_f64 v[0:1], v[0:1], 32
	s_delay_alu instid0(VALU_DEP_1)
	v_add_f64 v[11:12], v[0:1], v[11:12]
	global_store_b128 v[5:6], v[11:14], off
.LBB39_683:
	s_and_not1_b32 vcc_lo, exec_lo, s3
	s_cbranch_vccnz .LBB39_685
; %bb.684:
	v_xor_b32_e32 v0, v3, v4
	v_cls_i32_e32 v1, v4
	s_delay_alu instid0(VALU_DEP_2) | instskip(NEXT) | instid1(VALU_DEP_2)
	v_ashrrev_i32_e32 v0, 31, v0
	v_add_nc_u32_e32 v1, -1, v1
	s_delay_alu instid0(VALU_DEP_2) | instskip(NEXT) | instid1(VALU_DEP_1)
	v_add_nc_u32_e32 v0, 32, v0
	v_min_u32_e32 v2, v1, v0
	s_delay_alu instid0(VALU_DEP_1) | instskip(NEXT) | instid1(VALU_DEP_1)
	v_lshlrev_b64 v[0:1], v2, v[3:4]
	v_min_u32_e32 v0, 1, v0
	s_delay_alu instid0(VALU_DEP_1) | instskip(SKIP_1) | instid1(VALU_DEP_2)
	v_or_b32_e32 v0, v1, v0
	v_sub_nc_u32_e32 v1, 32, v2
	v_cvt_f32_i32_e32 v0, v0
	s_delay_alu instid0(VALU_DEP_1)
	v_ldexp_f32 v0, v0, v1
	v_mov_b32_e32 v1, 0
	global_store_b64 v[5:6], v[0:1], off
.LBB39_685:
	s_mov_b32 s3, 0
.LBB39_686:
	s_delay_alu instid0(SALU_CYCLE_1)
	s_and_not1_b32 vcc_lo, exec_lo, s3
	s_cbranch_vccnz .LBB39_688
; %bb.687:
	v_xor_b32_e32 v0, v3, v4
	v_cls_i32_e32 v1, v4
	s_delay_alu instid0(VALU_DEP_2) | instskip(NEXT) | instid1(VALU_DEP_2)
	v_ashrrev_i32_e32 v0, 31, v0
	v_add_nc_u32_e32 v1, -1, v1
	s_delay_alu instid0(VALU_DEP_2) | instskip(NEXT) | instid1(VALU_DEP_1)
	v_add_nc_u32_e32 v0, 32, v0
	v_min_u32_e32 v2, v1, v0
	s_delay_alu instid0(VALU_DEP_1) | instskip(NEXT) | instid1(VALU_DEP_1)
	v_lshlrev_b64 v[0:1], v2, v[3:4]
	v_min_u32_e32 v0, 1, v0
	s_delay_alu instid0(VALU_DEP_1) | instskip(SKIP_1) | instid1(VALU_DEP_2)
	v_or_b32_e32 v0, v1, v0
	v_sub_nc_u32_e32 v1, 32, v2
	v_cvt_f32_i32_e32 v0, v0
	s_delay_alu instid0(VALU_DEP_1) | instskip(NEXT) | instid1(VALU_DEP_1)
	v_ldexp_f32 v0, v0, v1
	v_cvt_f16_f32_e32 v0, v0
	s_delay_alu instid0(VALU_DEP_1)
	v_and_b32_e32 v0, 0xffff, v0
	global_store_b32 v[5:6], v0, off
.LBB39_688:
	s_mov_b32 s3, 0
.LBB39_689:
	s_delay_alu instid0(SALU_CYCLE_1)
	s_and_not1_b32 vcc_lo, exec_lo, s3
	s_cbranch_vccnz .LBB39_698
; %bb.690:
	v_cmp_gt_i16_e32 vcc_lo, 6, v10
	s_mov_b32 s3, -1
	s_cbranch_vccnz .LBB39_696
; %bb.691:
	v_cmp_lt_i16_e32 vcc_lo, 6, v10
	s_cbranch_vccz .LBB39_693
; %bb.692:
	v_cvt_f64_i32_e32 v[0:1], v4
	v_cvt_f64_u32_e32 v[11:12], v3
	s_mov_b32 s3, 0
	s_delay_alu instid0(VALU_DEP_2) | instskip(NEXT) | instid1(VALU_DEP_1)
	v_ldexp_f64 v[0:1], v[0:1], 32
	v_add_f64 v[0:1], v[0:1], v[11:12]
	global_store_b64 v[5:6], v[0:1], off
.LBB39_693:
	s_and_not1_b32 vcc_lo, exec_lo, s3
	s_cbranch_vccnz .LBB39_695
; %bb.694:
	v_xor_b32_e32 v0, v3, v4
	v_cls_i32_e32 v1, v4
	s_delay_alu instid0(VALU_DEP_2) | instskip(NEXT) | instid1(VALU_DEP_2)
	v_ashrrev_i32_e32 v0, 31, v0
	v_add_nc_u32_e32 v1, -1, v1
	s_delay_alu instid0(VALU_DEP_2) | instskip(NEXT) | instid1(VALU_DEP_1)
	v_add_nc_u32_e32 v0, 32, v0
	v_min_u32_e32 v2, v1, v0
	s_delay_alu instid0(VALU_DEP_1) | instskip(NEXT) | instid1(VALU_DEP_1)
	v_lshlrev_b64 v[0:1], v2, v[3:4]
	v_min_u32_e32 v0, 1, v0
	s_delay_alu instid0(VALU_DEP_1) | instskip(SKIP_1) | instid1(VALU_DEP_2)
	v_or_b32_e32 v0, v1, v0
	v_sub_nc_u32_e32 v1, 32, v2
	v_cvt_f32_i32_e32 v0, v0
	s_delay_alu instid0(VALU_DEP_1)
	v_ldexp_f32 v0, v0, v1
	global_store_b32 v[5:6], v0, off
.LBB39_695:
	s_mov_b32 s3, 0
.LBB39_696:
	s_delay_alu instid0(SALU_CYCLE_1)
	s_and_not1_b32 vcc_lo, exec_lo, s3
	s_cbranch_vccnz .LBB39_698
; %bb.697:
	v_xor_b32_e32 v0, v3, v4
	v_cls_i32_e32 v1, v4
	s_delay_alu instid0(VALU_DEP_2) | instskip(NEXT) | instid1(VALU_DEP_2)
	v_ashrrev_i32_e32 v0, 31, v0
	v_add_nc_u32_e32 v1, -1, v1
	s_delay_alu instid0(VALU_DEP_2) | instskip(NEXT) | instid1(VALU_DEP_1)
	v_add_nc_u32_e32 v0, 32, v0
	v_min_u32_e32 v2, v1, v0
	s_delay_alu instid0(VALU_DEP_1) | instskip(NEXT) | instid1(VALU_DEP_1)
	v_lshlrev_b64 v[0:1], v2, v[3:4]
	v_min_u32_e32 v0, 1, v0
	s_delay_alu instid0(VALU_DEP_1) | instskip(SKIP_1) | instid1(VALU_DEP_2)
	v_or_b32_e32 v0, v1, v0
	v_sub_nc_u32_e32 v1, 32, v2
	v_cvt_f32_i32_e32 v0, v0
	s_delay_alu instid0(VALU_DEP_1) | instskip(NEXT) | instid1(VALU_DEP_1)
	v_ldexp_f32 v0, v0, v1
	v_cvt_f16_f32_e32 v0, v0
	global_store_b16 v[5:6], v0, off
.LBB39_698:
	s_mov_b32 s3, 0
.LBB39_699:
	s_delay_alu instid0(SALU_CYCLE_1)
	s_and_not1_b32 vcc_lo, exec_lo, s3
	s_cbranch_vccnz .LBB39_715
; %bb.700:
	v_cmp_gt_i16_e32 vcc_lo, 2, v10
	s_mov_b32 s3, -1
	s_cbranch_vccnz .LBB39_710
; %bb.701:
	v_cmp_gt_i16_e32 vcc_lo, 3, v10
	s_cbranch_vccnz .LBB39_707
; %bb.702:
	v_cmp_lt_i16_e32 vcc_lo, 3, v10
	s_cbranch_vccz .LBB39_704
; %bb.703:
	s_mov_b32 s3, 0
	global_store_b64 v[5:6], v[3:4], off
.LBB39_704:
	s_and_not1_b32 vcc_lo, exec_lo, s3
	s_cbranch_vccnz .LBB39_706
; %bb.705:
	global_store_b32 v[5:6], v3, off
.LBB39_706:
	s_mov_b32 s3, 0
.LBB39_707:
	s_delay_alu instid0(SALU_CYCLE_1)
	s_and_not1_b32 vcc_lo, exec_lo, s3
	s_cbranch_vccnz .LBB39_709
; %bb.708:
	global_store_b16 v[5:6], v3, off
.LBB39_709:
	s_mov_b32 s3, 0
.LBB39_710:
	s_delay_alu instid0(SALU_CYCLE_1)
	s_and_not1_b32 vcc_lo, exec_lo, s3
	s_cbranch_vccnz .LBB39_715
; %bb.711:
	v_cmp_lt_i16_e32 vcc_lo, 0, v10
	s_mov_b32 s3, -1
	s_cbranch_vccz .LBB39_713
; %bb.712:
	s_mov_b32 s3, 0
	global_store_b8 v[5:6], v3, off
.LBB39_713:
	s_and_not1_b32 vcc_lo, exec_lo, s3
	s_cbranch_vccnz .LBB39_715
; %bb.714:
	global_store_b8 v[5:6], v3, off
.LBB39_715:
	s_branch .LBB39_792
.LBB39_716:
	s_mov_b32 s3, 0
.LBB39_717:
                                        ; implicit-def: $vgpr9
	s_branch .LBB39_793
.LBB39_718:
	s_mov_b32 s2, s38
	s_branch .LBB39_749
.LBB39_719:
	s_mov_b32 s2, s38
	s_branch .LBB39_732
.LBB39_720:
	s_mov_b32 s2, s38
	s_branch .LBB39_728
.LBB39_721:
	s_mov_b32 s2, s38
.LBB39_722:
	s_and_b32 vcc_lo, exec_lo, s23
	s_cbranch_vccz .LBB39_727
; %bb.723:
	v_cmp_eq_u16_e32 vcc_lo, 44, v10
	s_mov_b32 s2, -1
	s_cbranch_vccz .LBB39_727
; %bb.724:
	v_xor_b32_e32 v2, v3, v4
	v_cls_i32_e32 v11, v4
	s_mov_b32 s3, -1
	s_mov_b32 s23, exec_lo
	s_delay_alu instid0(VALU_DEP_2) | instskip(NEXT) | instid1(VALU_DEP_2)
	v_ashrrev_i32_e32 v2, 31, v2
	v_add_nc_u32_e32 v11, -1, v11
	s_delay_alu instid0(VALU_DEP_2) | instskip(NEXT) | instid1(VALU_DEP_1)
	v_add_nc_u32_e32 v2, 32, v2
	v_min_u32_e32 v2, v11, v2
	s_delay_alu instid0(VALU_DEP_1) | instskip(SKIP_1) | instid1(VALU_DEP_2)
	v_lshlrev_b64 v[11:12], v2, v[3:4]
	v_sub_nc_u32_e32 v2, 32, v2
	v_min_u32_e32 v11, 1, v11
	s_delay_alu instid0(VALU_DEP_1) | instskip(NEXT) | instid1(VALU_DEP_1)
	v_or_b32_e32 v11, v12, v11
	v_cvt_f32_i32_e32 v11, v11
	s_delay_alu instid0(VALU_DEP_1) | instskip(SKIP_1) | instid1(VALU_DEP_2)
	v_ldexp_f32 v2, v11, v2
	v_mov_b32_e32 v11, 0xff
	v_bfe_u32 v12, v2, 23, 8
	s_delay_alu instid0(VALU_DEP_1)
	v_cmpx_ne_u32_e32 0xff, v12
; %bb.725:
	v_and_b32_e32 v11, 0x400000, v2
	v_and_or_b32 v12, 0x3fffff, v2, v12
	v_lshrrev_b32_e32 v2, 23, v2
	s_delay_alu instid0(VALU_DEP_3) | instskip(NEXT) | instid1(VALU_DEP_3)
	v_cmp_ne_u32_e32 vcc_lo, 0, v11
	v_cmp_ne_u32_e64 s2, 0, v12
	s_delay_alu instid0(VALU_DEP_1) | instskip(NEXT) | instid1(SALU_CYCLE_1)
	s_and_b32 s2, vcc_lo, s2
	v_cndmask_b32_e64 v11, 0, 1, s2
	s_delay_alu instid0(VALU_DEP_1)
	v_add_nc_u32_e32 v11, v2, v11
; %bb.726:
	s_or_b32 exec_lo, exec_lo, s23
	s_mov_b32 s2, 0
	global_store_b8 v[5:6], v11, off
.LBB39_727:
	s_mov_b32 s23, 0
.LBB39_728:
	s_delay_alu instid0(SALU_CYCLE_1)
	s_and_b32 vcc_lo, exec_lo, s23
	s_cbranch_vccz .LBB39_731
; %bb.729:
	v_cmp_eq_u16_e32 vcc_lo, 29, v10
	s_mov_b32 s2, -1
	s_cbranch_vccz .LBB39_731
; %bb.730:
	s_mov_b32 s3, -1
	s_mov_b32 s2, 0
	global_store_b64 v[5:6], v[3:4], off
.LBB39_731:
	s_mov_b32 s23, 0
.LBB39_732:
	s_delay_alu instid0(SALU_CYCLE_1)
	s_and_b32 vcc_lo, exec_lo, s23
	s_cbranch_vccz .LBB39_748
; %bb.733:
	v_cmp_gt_i16_e32 vcc_lo, 27, v10
	s_mov_b32 s3, -1
	s_cbranch_vccnz .LBB39_739
; %bb.734:
	v_cmp_lt_i16_e32 vcc_lo, 27, v10
	s_cbranch_vccz .LBB39_736
; %bb.735:
	s_mov_b32 s3, 0
	global_store_b32 v[5:6], v3, off
.LBB39_736:
	s_and_not1_b32 vcc_lo, exec_lo, s3
	s_cbranch_vccnz .LBB39_738
; %bb.737:
	global_store_b16 v[5:6], v3, off
.LBB39_738:
	s_mov_b32 s3, 0
.LBB39_739:
	s_delay_alu instid0(SALU_CYCLE_1)
	s_and_not1_b32 vcc_lo, exec_lo, s3
	s_cbranch_vccnz .LBB39_747
; %bb.740:
	v_xor_b32_e32 v2, v3, v4
	v_cls_i32_e32 v11, v4
	s_mov_b32 s3, exec_lo
	s_delay_alu instid0(VALU_DEP_2) | instskip(NEXT) | instid1(VALU_DEP_2)
	v_ashrrev_i32_e32 v2, 31, v2
	v_add_nc_u32_e32 v11, -1, v11
	s_delay_alu instid0(VALU_DEP_2) | instskip(NEXT) | instid1(VALU_DEP_1)
	v_add_nc_u32_e32 v2, 32, v2
	v_min_u32_e32 v2, v11, v2
	s_delay_alu instid0(VALU_DEP_1) | instskip(SKIP_1) | instid1(VALU_DEP_2)
	v_lshlrev_b64 v[11:12], v2, v[3:4]
	v_sub_nc_u32_e32 v2, 32, v2
	v_min_u32_e32 v11, 1, v11
	s_delay_alu instid0(VALU_DEP_1) | instskip(SKIP_1) | instid1(VALU_DEP_2)
	v_or_b32_e32 v11, v12, v11
	v_mov_b32_e32 v12, 0x80
	v_cvt_f32_i32_e32 v11, v11
	s_delay_alu instid0(VALU_DEP_1) | instskip(NEXT) | instid1(VALU_DEP_1)
	v_ldexp_f32 v2, v11, v2
	v_and_b32_e32 v11, 0x7fffffff, v2
	s_delay_alu instid0(VALU_DEP_1)
	v_cmpx_gt_u32_e32 0x43800000, v11
	s_cbranch_execz .LBB39_746
; %bb.741:
	v_cmp_lt_u32_e32 vcc_lo, 0x3bffffff, v11
	s_mov_b32 s23, 0
                                        ; implicit-def: $vgpr11
	s_and_saveexec_b32 s41, vcc_lo
	s_delay_alu instid0(SALU_CYCLE_1)
	s_xor_b32 s41, exec_lo, s41
	s_cbranch_execz .LBB39_820
; %bb.742:
	v_bfe_u32 v11, v2, 20, 1
	s_mov_b32 s23, exec_lo
	s_delay_alu instid0(VALU_DEP_1) | instskip(NEXT) | instid1(VALU_DEP_1)
	v_add3_u32 v11, v2, v11, 0x487ffff
	v_lshrrev_b32_e32 v11, 20, v11
	s_or_saveexec_b32 s41, s41
                                        ; implicit-def: $sgpr42
	s_delay_alu instid0(SALU_CYCLE_1)
	s_xor_b32 exec_lo, exec_lo, s41
	s_cbranch_execnz .LBB39_821
.LBB39_743:
	s_or_b32 exec_lo, exec_lo, s41
	v_mov_b32_e32 v12, s42
	s_and_saveexec_b32 s41, s23
.LBB39_744:
	v_lshrrev_b32_e32 v2, 24, v2
	s_delay_alu instid0(VALU_DEP_1)
	v_and_or_b32 v12, 0x80, v2, v11
.LBB39_745:
	s_or_b32 exec_lo, exec_lo, s41
.LBB39_746:
	s_delay_alu instid0(SALU_CYCLE_1)
	s_or_b32 exec_lo, exec_lo, s3
	global_store_b8 v[5:6], v12, off
.LBB39_747:
	s_mov_b32 s3, -1
.LBB39_748:
	s_mov_b32 s23, 0
.LBB39_749:
	s_delay_alu instid0(SALU_CYCLE_1)
	s_and_b32 vcc_lo, exec_lo, s23
	s_cbranch_vccz .LBB39_790
; %bb.750:
	v_cmp_lt_i16_e32 vcc_lo, 22, v10
	s_mov_b32 s23, -1
	s_cbranch_vccz .LBB39_782
; %bb.751:
	v_cmp_gt_i16_e32 vcc_lo, 24, v10
	s_mov_b32 s3, -1
	s_cbranch_vccnz .LBB39_771
; %bb.752:
	v_cmp_lt_i16_e32 vcc_lo, 24, v10
	s_cbranch_vccz .LBB39_760
; %bb.753:
	v_xor_b32_e32 v2, v3, v4
	v_cls_i32_e32 v11, v4
	s_mov_b32 s3, exec_lo
	s_delay_alu instid0(VALU_DEP_2) | instskip(NEXT) | instid1(VALU_DEP_2)
	v_ashrrev_i32_e32 v2, 31, v2
	v_add_nc_u32_e32 v11, -1, v11
	s_delay_alu instid0(VALU_DEP_2) | instskip(NEXT) | instid1(VALU_DEP_1)
	v_add_nc_u32_e32 v2, 32, v2
	v_min_u32_e32 v2, v11, v2
	s_delay_alu instid0(VALU_DEP_1) | instskip(SKIP_1) | instid1(VALU_DEP_2)
	v_lshlrev_b64 v[11:12], v2, v[3:4]
	v_sub_nc_u32_e32 v2, 32, v2
	v_min_u32_e32 v11, 1, v11
	s_delay_alu instid0(VALU_DEP_1) | instskip(SKIP_1) | instid1(VALU_DEP_2)
	v_or_b32_e32 v11, v12, v11
	v_mov_b32_e32 v12, 0x80
	v_cvt_f32_i32_e32 v11, v11
	s_delay_alu instid0(VALU_DEP_1) | instskip(NEXT) | instid1(VALU_DEP_1)
	v_ldexp_f32 v2, v11, v2
	v_and_b32_e32 v11, 0x7fffffff, v2
	s_delay_alu instid0(VALU_DEP_1)
	v_cmpx_gt_u32_e32 0x47800000, v11
	s_cbranch_execz .LBB39_759
; %bb.754:
	v_cmp_lt_u32_e32 vcc_lo, 0x37ffffff, v11
	s_mov_b32 s23, 0
                                        ; implicit-def: $vgpr11
	s_and_saveexec_b32 s41, vcc_lo
	s_delay_alu instid0(SALU_CYCLE_1)
	s_xor_b32 s41, exec_lo, s41
	s_cbranch_execz .LBB39_823
; %bb.755:
	v_bfe_u32 v11, v2, 21, 1
	s_mov_b32 s23, exec_lo
	s_delay_alu instid0(VALU_DEP_1) | instskip(NEXT) | instid1(VALU_DEP_1)
	v_add3_u32 v11, v2, v11, 0x88fffff
	v_lshrrev_b32_e32 v11, 21, v11
	s_or_saveexec_b32 s41, s41
                                        ; implicit-def: $sgpr42
	s_delay_alu instid0(SALU_CYCLE_1)
	s_xor_b32 exec_lo, exec_lo, s41
	s_cbranch_execnz .LBB39_824
.LBB39_756:
	s_or_b32 exec_lo, exec_lo, s41
	v_mov_b32_e32 v12, s42
	s_and_saveexec_b32 s41, s23
.LBB39_757:
	v_lshrrev_b32_e32 v2, 24, v2
	s_delay_alu instid0(VALU_DEP_1)
	v_and_or_b32 v12, 0x80, v2, v11
.LBB39_758:
	s_or_b32 exec_lo, exec_lo, s41
.LBB39_759:
	s_delay_alu instid0(SALU_CYCLE_1)
	s_or_b32 exec_lo, exec_lo, s3
	s_mov_b32 s3, 0
	global_store_b8 v[5:6], v12, off
.LBB39_760:
	s_and_b32 vcc_lo, exec_lo, s3
	s_cbranch_vccz .LBB39_770
; %bb.761:
	v_xor_b32_e32 v2, v3, v4
	v_cls_i32_e32 v11, v4
	s_mov_b32 s3, exec_lo
	s_delay_alu instid0(VALU_DEP_2) | instskip(NEXT) | instid1(VALU_DEP_2)
	v_ashrrev_i32_e32 v2, 31, v2
	v_add_nc_u32_e32 v11, -1, v11
	s_delay_alu instid0(VALU_DEP_2) | instskip(NEXT) | instid1(VALU_DEP_1)
	v_add_nc_u32_e32 v2, 32, v2
	v_min_u32_e32 v2, v11, v2
	s_delay_alu instid0(VALU_DEP_1) | instskip(SKIP_1) | instid1(VALU_DEP_2)
	v_lshlrev_b64 v[11:12], v2, v[3:4]
	v_sub_nc_u32_e32 v2, 32, v2
	v_min_u32_e32 v11, 1, v11
	s_delay_alu instid0(VALU_DEP_1) | instskip(NEXT) | instid1(VALU_DEP_1)
	v_or_b32_e32 v11, v12, v11
	v_cvt_f32_i32_e32 v11, v11
	s_delay_alu instid0(VALU_DEP_1) | instskip(NEXT) | instid1(VALU_DEP_1)
	v_ldexp_f32 v2, v11, v2
                                        ; implicit-def: $vgpr11
	v_and_b32_e32 v12, 0x7fffffff, v2
	s_delay_alu instid0(VALU_DEP_1)
	v_cmpx_gt_u32_e32 0x43f00000, v12
	s_xor_b32 s3, exec_lo, s3
	s_cbranch_execz .LBB39_767
; %bb.762:
	s_mov_b32 s23, exec_lo
                                        ; implicit-def: $vgpr11
	v_cmpx_lt_u32_e32 0x3c7fffff, v12
	s_xor_b32 s23, exec_lo, s23
; %bb.763:
	v_bfe_u32 v11, v2, 20, 1
	s_delay_alu instid0(VALU_DEP_1) | instskip(NEXT) | instid1(VALU_DEP_1)
	v_add3_u32 v11, v2, v11, 0x407ffff
	v_and_b32_e32 v12, 0xff00000, v11
	v_lshrrev_b32_e32 v11, 20, v11
	s_delay_alu instid0(VALU_DEP_2) | instskip(NEXT) | instid1(VALU_DEP_2)
	v_cmp_ne_u32_e32 vcc_lo, 0x7f00000, v12
	v_cndmask_b32_e32 v11, 0x7e, v11, vcc_lo
; %bb.764:
	s_and_not1_saveexec_b32 s23, s23
; %bb.765:
	v_add_f32_e64 v11, 0x46800000, |v2|
; %bb.766:
	s_or_b32 exec_lo, exec_lo, s23
                                        ; implicit-def: $vgpr12
.LBB39_767:
	s_and_not1_saveexec_b32 s3, s3
; %bb.768:
	v_mov_b32_e32 v11, 0x7f
	v_cmp_lt_u32_e32 vcc_lo, 0x7f800000, v12
	s_delay_alu instid0(VALU_DEP_2)
	v_cndmask_b32_e32 v11, 0x7e, v11, vcc_lo
; %bb.769:
	s_or_b32 exec_lo, exec_lo, s3
	v_lshrrev_b32_e32 v2, 24, v2
	s_delay_alu instid0(VALU_DEP_1)
	v_and_or_b32 v2, 0x80, v2, v11
	global_store_b8 v[5:6], v2, off
.LBB39_770:
	s_mov_b32 s3, 0
.LBB39_771:
	s_delay_alu instid0(SALU_CYCLE_1)
	s_and_not1_b32 vcc_lo, exec_lo, s3
	s_cbranch_vccnz .LBB39_781
; %bb.772:
	v_xor_b32_e32 v2, v3, v4
	v_cls_i32_e32 v11, v4
	s_mov_b32 s3, exec_lo
	s_delay_alu instid0(VALU_DEP_2) | instskip(NEXT) | instid1(VALU_DEP_2)
	v_ashrrev_i32_e32 v2, 31, v2
	v_add_nc_u32_e32 v11, -1, v11
	s_delay_alu instid0(VALU_DEP_2) | instskip(NEXT) | instid1(VALU_DEP_1)
	v_add_nc_u32_e32 v2, 32, v2
	v_min_u32_e32 v2, v11, v2
	s_delay_alu instid0(VALU_DEP_1) | instskip(SKIP_1) | instid1(VALU_DEP_2)
	v_lshlrev_b64 v[11:12], v2, v[3:4]
	v_sub_nc_u32_e32 v2, 32, v2
	v_min_u32_e32 v11, 1, v11
	s_delay_alu instid0(VALU_DEP_1) | instskip(NEXT) | instid1(VALU_DEP_1)
	v_or_b32_e32 v11, v12, v11
	v_cvt_f32_i32_e32 v11, v11
	s_delay_alu instid0(VALU_DEP_1) | instskip(NEXT) | instid1(VALU_DEP_1)
	v_ldexp_f32 v2, v11, v2
                                        ; implicit-def: $vgpr11
	v_and_b32_e32 v12, 0x7fffffff, v2
	s_delay_alu instid0(VALU_DEP_1)
	v_cmpx_gt_u32_e32 0x47800000, v12
	s_xor_b32 s3, exec_lo, s3
	s_cbranch_execz .LBB39_778
; %bb.773:
	s_mov_b32 s23, exec_lo
                                        ; implicit-def: $vgpr11
	v_cmpx_lt_u32_e32 0x387fffff, v12
	s_xor_b32 s23, exec_lo, s23
; %bb.774:
	v_bfe_u32 v11, v2, 21, 1
	s_delay_alu instid0(VALU_DEP_1) | instskip(NEXT) | instid1(VALU_DEP_1)
	v_add3_u32 v11, v2, v11, 0x80fffff
	v_lshrrev_b32_e32 v11, 21, v11
; %bb.775:
	s_and_not1_saveexec_b32 s23, s23
; %bb.776:
	v_add_f32_e64 v11, 0x43000000, |v2|
; %bb.777:
	s_or_b32 exec_lo, exec_lo, s23
                                        ; implicit-def: $vgpr12
.LBB39_778:
	s_and_not1_saveexec_b32 s3, s3
; %bb.779:
	v_mov_b32_e32 v11, 0x7f
	v_cmp_lt_u32_e32 vcc_lo, 0x7f800000, v12
	s_delay_alu instid0(VALU_DEP_2)
	v_cndmask_b32_e32 v11, 0x7c, v11, vcc_lo
; %bb.780:
	s_or_b32 exec_lo, exec_lo, s3
	v_lshrrev_b32_e32 v2, 24, v2
	s_delay_alu instid0(VALU_DEP_1)
	v_and_or_b32 v2, 0x80, v2, v11
	global_store_b8 v[5:6], v2, off
.LBB39_781:
	s_mov_b32 s23, 0
	s_mov_b32 s3, -1
.LBB39_782:
	s_and_not1_b32 vcc_lo, exec_lo, s23
	s_cbranch_vccnz .LBB39_790
; %bb.783:
	v_cmp_lt_i16_e32 vcc_lo, 14, v10
	s_mov_b32 s23, -1
	s_cbranch_vccz .LBB39_787
; %bb.784:
	v_cmp_eq_u16_e32 vcc_lo, 15, v10
	s_mov_b32 s2, -1
	s_cbranch_vccz .LBB39_786
; %bb.785:
	v_xor_b32_e32 v2, v3, v4
	v_cls_i32_e32 v11, v4
	s_mov_b32 s3, -1
	s_mov_b32 s2, 0
	s_delay_alu instid0(VALU_DEP_2) | instskip(NEXT) | instid1(VALU_DEP_2)
	v_ashrrev_i32_e32 v2, 31, v2
	v_add_nc_u32_e32 v11, -1, v11
	s_delay_alu instid0(VALU_DEP_2) | instskip(NEXT) | instid1(VALU_DEP_1)
	v_add_nc_u32_e32 v2, 32, v2
	v_min_u32_e32 v2, v11, v2
	s_delay_alu instid0(VALU_DEP_1) | instskip(SKIP_1) | instid1(VALU_DEP_2)
	v_lshlrev_b64 v[11:12], v2, v[3:4]
	v_sub_nc_u32_e32 v2, 32, v2
	v_min_u32_e32 v11, 1, v11
	s_delay_alu instid0(VALU_DEP_1) | instskip(NEXT) | instid1(VALU_DEP_1)
	v_or_b32_e32 v11, v12, v11
	v_cvt_f32_i32_e32 v11, v11
	s_delay_alu instid0(VALU_DEP_1) | instskip(NEXT) | instid1(VALU_DEP_1)
	v_ldexp_f32 v2, v11, v2
	v_bfe_u32 v11, v2, 16, 1
	s_delay_alu instid0(VALU_DEP_1)
	v_add3_u32 v2, v2, v11, 0x7fff
	global_store_d16_hi_b16 v[5:6], v2, off
.LBB39_786:
	s_mov_b32 s23, 0
.LBB39_787:
	s_delay_alu instid0(SALU_CYCLE_1)
	s_and_b32 vcc_lo, exec_lo, s23
	s_cbranch_vccz .LBB39_790
; %bb.788:
	v_cmp_eq_u16_e32 vcc_lo, 11, v10
	s_mov_b32 s2, -1
	s_cbranch_vccz .LBB39_790
; %bb.789:
	v_cmp_ne_u64_e32 vcc_lo, -1, v[0:1]
	s_mov_b32 s3, -1
	s_mov_b32 s2, 0
	v_cndmask_b32_e64 v0, 0, 1, vcc_lo
	global_store_b8 v[5:6], v0, off
.LBB39_790:
.LBB39_791:
	s_and_not1_b32 vcc_lo, exec_lo, s3
	s_cbranch_vccnz .LBB39_716
.LBB39_792:
	v_add_nc_u32_e32 v9, 0x80, v9
	s_mov_b32 s3, -1
.LBB39_793:
	s_and_not1_b32 s23, s38, exec_lo
	s_and_b32 s2, s2, exec_lo
	s_and_not1_b32 s41, s37, exec_lo
	s_and_b32 s22, s22, exec_lo
	s_or_b32 s23, s23, s2
	s_or_b32 s22, s41, s22
	s_or_not1_b32 s42, s3, exec_lo
.LBB39_794:
	s_or_b32 exec_lo, exec_lo, s40
	s_mov_b32 s2, 0
	s_mov_b32 s3, 0
	;; [unrolled: 1-line block ×3, first 2 shown]
                                        ; implicit-def: $vgpr3_vgpr4
                                        ; implicit-def: $vgpr2
                                        ; implicit-def: $vgpr0_vgpr1
	s_and_saveexec_b32 s40, s42
	s_cbranch_execz .LBB39_888
; %bb.795:
	v_cmp_gt_i32_e32 vcc_lo, s30, v9
	s_mov_b32 s42, s22
                                        ; implicit-def: $vgpr3_vgpr4
                                        ; implicit-def: $vgpr2
                                        ; implicit-def: $vgpr0_vgpr1
	s_and_saveexec_b32 s30, vcc_lo
	s_cbranch_execz .LBB39_887
; %bb.796:
	s_and_not1_b32 vcc_lo, exec_lo, s27
	s_cbranch_vccnz .LBB39_801
; %bb.797:
	v_mov_b32_e32 v2, 0
	s_waitcnt vmcnt(0)
	v_mov_b32_e32 v0, 0
	s_and_not1_b32 vcc_lo, exec_lo, s33
	s_mov_b32 s33, 0
	s_cbranch_vccnz .LBB39_806
; %bb.798:
	v_mov_b32_e32 v2, 0
	s_add_i32 s41, s31, 1
	s_cmp_eq_u32 s25, 2
	s_mov_b32 s31, 0
	s_cbranch_scc1 .LBB39_802
; %bb.799:
	v_dual_mov_b32 v0, 0 :: v_dual_mov_b32 v1, v9
	v_mov_b32_e32 v2, 0
	s_and_b32 s31, s41, 28
	s_mov_b32 s42, 0
	s_mov_b64 s[2:3], s[16:17]
.LBB39_800:                             ; =>This Inner Loop Header: Depth=1
	s_clause 0x1
	s_load_b256 s[44:51], s[2:3], 0x4
	s_load_b128 s[60:63], s[2:3], 0x24
	s_load_b256 s[52:59], s[20:21], 0x0
	s_add_u32 s2, s2, 48
	s_addc_u32 s3, s3, 0
	s_add_i32 s42, s42, 4
	s_add_u32 s20, s20, 32
	s_addc_u32 s21, s21, 0
	s_cmp_eq_u32 s31, s42
	s_waitcnt lgkmcnt(0)
	v_mul_hi_u32 v3, s45, v1
	s_delay_alu instid0(VALU_DEP_1) | instskip(NEXT) | instid1(VALU_DEP_1)
	v_add_nc_u32_e32 v3, v1, v3
	v_lshrrev_b32_e32 v3, s46, v3
	s_delay_alu instid0(VALU_DEP_1) | instskip(SKIP_1) | instid1(VALU_DEP_2)
	v_mul_hi_u32 v4, s48, v3
	v_mul_lo_u32 v6, v3, s44
	v_add_nc_u32_e32 v4, v3, v4
	s_delay_alu instid0(VALU_DEP_2) | instskip(NEXT) | instid1(VALU_DEP_2)
	v_sub_nc_u32_e32 v1, v1, v6
	v_lshrrev_b32_e32 v4, s49, v4
	s_delay_alu instid0(VALU_DEP_2) | instskip(SKIP_1) | instid1(VALU_DEP_3)
	v_mul_lo_u32 v6, v1, s52
	v_mul_lo_u32 v11, v1, s53
	v_mul_hi_u32 v5, s51, v4
	s_delay_alu instid0(VALU_DEP_1) | instskip(NEXT) | instid1(VALU_DEP_1)
	v_add_nc_u32_e32 v5, v4, v5
	v_lshrrev_b32_e32 v5, s60, v5
	s_delay_alu instid0(VALU_DEP_1) | instskip(SKIP_1) | instid1(VALU_DEP_2)
	v_mul_hi_u32 v10, s62, v5
	v_mul_lo_u32 v12, v5, s50
	v_add_nc_u32_e32 v1, v5, v10
	v_mul_lo_u32 v10, v4, s47
	s_delay_alu instid0(VALU_DEP_3) | instskip(NEXT) | instid1(VALU_DEP_3)
	v_sub_nc_u32_e32 v4, v4, v12
	v_lshrrev_b32_e32 v1, s63, v1
	s_delay_alu instid0(VALU_DEP_2) | instskip(SKIP_2) | instid1(VALU_DEP_4)
	v_mul_lo_u32 v12, v4, s56
	v_mul_lo_u32 v4, v4, s57
	v_sub_nc_u32_e32 v3, v3, v10
	v_mul_lo_u32 v13, v1, s61
	s_delay_alu instid0(VALU_DEP_2) | instskip(SKIP_1) | instid1(VALU_DEP_3)
	v_mul_lo_u32 v10, v3, s54
	v_mul_lo_u32 v3, v3, s55
	v_sub_nc_u32_e32 v5, v5, v13
	s_delay_alu instid0(VALU_DEP_3) | instskip(NEXT) | instid1(VALU_DEP_2)
	v_add3_u32 v2, v6, v2, v10
	v_mul_lo_u32 v13, v5, s58
	v_mul_lo_u32 v5, v5, s59
	v_add3_u32 v0, v11, v0, v3
	s_delay_alu instid0(VALU_DEP_3) | instskip(NEXT) | instid1(VALU_DEP_2)
	v_add3_u32 v2, v12, v2, v13
	v_add3_u32 v0, v4, v0, v5
	s_cbranch_scc0 .LBB39_800
	s_branch .LBB39_803
.LBB39_801:
	s_mov_b32 s33, -1
                                        ; implicit-def: $vgpr2
                                        ; implicit-def: $vgpr0
	s_branch .LBB39_806
.LBB39_802:
	v_dual_mov_b32 v1, v9 :: v_dual_mov_b32 v0, 0
.LBB39_803:
	s_and_b32 s41, s41, 3
	s_delay_alu instid0(SALU_CYCLE_1)
	s_cmp_eq_u32 s41, 0
	s_cbranch_scc1 .LBB39_806
; %bb.804:
	s_lshl_b32 s2, s31, 3
	s_mul_i32 s20, s31, 12
	s_add_u32 s2, s2, s16
	s_addc_u32 s3, s17, 0
	s_add_u32 s2, s2, 0xc4
	s_addc_u32 s3, s3, 0
	;; [unrolled: 2-line block ×3, first 2 shown]
.LBB39_805:                             ; =>This Inner Loop Header: Depth=1
	s_clause 0x1
	s_load_b64 s[42:43], s[20:21], 0x4
	s_load_b32 s31, s[20:21], 0xc
	s_load_b64 s[44:45], s[2:3], 0x0
	s_add_u32 s20, s20, 12
	s_addc_u32 s21, s21, 0
	s_add_u32 s2, s2, 8
	s_addc_u32 s3, s3, 0
	s_add_i32 s41, s41, -1
	s_delay_alu instid0(SALU_CYCLE_1) | instskip(SKIP_2) | instid1(VALU_DEP_1)
	s_cmp_lg_u32 s41, 0
	s_waitcnt lgkmcnt(0)
	v_mul_hi_u32 v3, s43, v1
	v_add_nc_u32_e32 v3, v1, v3
	s_delay_alu instid0(VALU_DEP_1) | instskip(NEXT) | instid1(VALU_DEP_1)
	v_lshrrev_b32_e32 v6, s31, v3
	v_mul_lo_u32 v3, v6, s42
	s_delay_alu instid0(VALU_DEP_1) | instskip(NEXT) | instid1(VALU_DEP_1)
	v_sub_nc_u32_e32 v1, v1, v3
	v_mad_u64_u32 v[3:4], null, v1, s44, v[2:3]
	v_mad_u64_u32 v[4:5], null, v1, s45, v[0:1]
	s_delay_alu instid0(VALU_DEP_2) | instskip(NEXT) | instid1(VALU_DEP_2)
	v_dual_mov_b32 v1, v6 :: v_dual_mov_b32 v2, v3
	v_mov_b32_e32 v0, v4
	s_cbranch_scc1 .LBB39_805
.LBB39_806:
	s_and_not1_b32 vcc_lo, exec_lo, s33
	s_cbranch_vccnz .LBB39_809
; %bb.807:
	s_waitcnt vmcnt(0) lgkmcnt(0)
	v_mul_hi_u32 v0, s13, v9
	s_and_not1_b32 vcc_lo, exec_lo, s29
	s_delay_alu instid0(VALU_DEP_1) | instskip(NEXT) | instid1(VALU_DEP_1)
	v_add_nc_u32_e32 v0, v9, v0
	v_lshrrev_b32_e32 v1, s14, v0
	s_delay_alu instid0(VALU_DEP_1) | instskip(NEXT) | instid1(VALU_DEP_1)
	v_mul_lo_u32 v0, v1, s12
	v_sub_nc_u32_e32 v0, v9, v0
	s_delay_alu instid0(VALU_DEP_1)
	v_mul_lo_u32 v2, v0, s8
	v_mul_lo_u32 v0, v0, s9
	s_cbranch_vccnz .LBB39_809
; %bb.808:
	v_mul_hi_u32 v3, s18, v1
	s_delay_alu instid0(VALU_DEP_1) | instskip(NEXT) | instid1(VALU_DEP_1)
	v_add_nc_u32_e32 v3, v1, v3
	v_lshrrev_b32_e32 v3, s19, v3
	s_delay_alu instid0(VALU_DEP_1) | instskip(NEXT) | instid1(VALU_DEP_1)
	v_mul_lo_u32 v3, v3, s15
	v_sub_nc_u32_e32 v5, v1, v3
	s_delay_alu instid0(VALU_DEP_1) | instskip(SKIP_1) | instid1(VALU_DEP_2)
	v_mad_u64_u32 v[3:4], null, v5, s10, v[2:3]
	v_mad_u64_u32 v[1:2], null, v5, s11, v[0:1]
	v_mov_b32_e32 v2, v3
	s_delay_alu instid0(VALU_DEP_2)
	v_mov_b32_e32 v0, v1
.LBB39_809:
	v_cmp_gt_i16_e32 vcc_lo, 11, v8
	s_waitcnt vmcnt(0) lgkmcnt(0)
	s_delay_alu instid0(VALU_DEP_2) | instskip(NEXT) | instid1(VALU_DEP_1)
	v_add_co_u32 v3, s2, s6, v0
	v_add_co_ci_u32_e64 v4, null, s7, 0, s2
	s_mov_b32 s2, 0
	s_cbranch_vccnz .LBB39_816
; %bb.810:
	v_cmp_lt_i16_e32 vcc_lo, 25, v8
	s_mov_b32 s7, 0
	s_cbranch_vccz .LBB39_817
; %bb.811:
	v_cmp_lt_i16_e32 vcc_lo, 28, v8
	s_cbranch_vccz .LBB39_818
; %bb.812:
	v_cmp_lt_i16_e32 vcc_lo, 43, v8
	;; [unrolled: 3-line block ×3, first 2 shown]
	s_cbranch_vccz .LBB39_822
; %bb.814:
	v_cmp_eq_u16_e32 vcc_lo, 46, v8
	s_mov_b32 s3, 0
	s_cbranch_vccz .LBB39_825
; %bb.815:
	global_load_b32 v0, v[3:4], off
	s_mov_b32 s6, 0
	s_mov_b32 s2, -1
	s_waitcnt vmcnt(0)
	v_lshlrev_b32_e32 v0, 16, v0
	s_delay_alu instid0(VALU_DEP_1) | instskip(NEXT) | instid1(VALU_DEP_1)
	v_trunc_f32_e32 v0, v0
	v_mul_f32_e64 v1, 0x2f800000, |v0|
	v_ashrrev_i32_e32 v6, 31, v0
	s_delay_alu instid0(VALU_DEP_2) | instskip(NEXT) | instid1(VALU_DEP_1)
	v_floor_f32_e32 v1, v1
	v_fma_f32 v5, 0xcf800000, v1, |v0|
	v_cvt_u32_f32_e32 v1, v1
	s_delay_alu instid0(VALU_DEP_2) | instskip(NEXT) | instid1(VALU_DEP_2)
	v_cvt_u32_f32_e32 v0, v5
	v_xor_b32_e32 v1, v1, v6
	s_delay_alu instid0(VALU_DEP_2) | instskip(NEXT) | instid1(VALU_DEP_1)
	v_xor_b32_e32 v0, v0, v6
	v_sub_co_u32 v0, vcc_lo, v0, v6
	s_delay_alu instid0(VALU_DEP_3)
	v_sub_co_ci_u32_e32 v1, vcc_lo, v1, v6, vcc_lo
	s_branch .LBB39_827
.LBB39_816:
	s_mov_b32 s3, -1
	s_mov_b32 s7, 0
	s_mov_b32 s6, s22
                                        ; implicit-def: $vgpr0_vgpr1
	s_branch .LBB39_886
.LBB39_817:
	s_mov_b32 s3, -1
	s_mov_b32 s6, s22
                                        ; implicit-def: $vgpr0_vgpr1
	s_branch .LBB39_856
.LBB39_818:
	s_mov_b32 s3, -1
	s_mov_b32 s6, s22
                                        ; implicit-def: $vgpr0_vgpr1
	s_branch .LBB39_837
.LBB39_819:
	s_mov_b32 s3, -1
	s_mov_b32 s6, s22
                                        ; implicit-def: $vgpr0_vgpr1
	s_branch .LBB39_832
.LBB39_820:
	s_or_saveexec_b32 s41, s41
                                        ; implicit-def: $sgpr42
	s_delay_alu instid0(SALU_CYCLE_1)
	s_xor_b32 exec_lo, exec_lo, s41
	s_cbranch_execz .LBB39_743
.LBB39_821:
	v_add_f32_e64 v11, 0x46000000, |v2|
	s_and_not1_b32 s23, s23, exec_lo
	s_mov_b32 s42, 0
	s_delay_alu instid0(VALU_DEP_1) | instskip(NEXT) | instid1(VALU_DEP_1)
	v_and_b32_e32 v11, 0xff, v11
	v_cmp_ne_u32_e32 vcc_lo, 0, v11
	s_and_b32 s43, vcc_lo, exec_lo
	s_delay_alu instid0(SALU_CYCLE_1)
	s_or_b32 s23, s23, s43
	s_or_b32 exec_lo, exec_lo, s41
	v_mov_b32_e32 v12, s42
	s_and_saveexec_b32 s41, s23
	s_cbranch_execnz .LBB39_744
	s_branch .LBB39_745
.LBB39_822:
	s_mov_b32 s3, -1
	s_mov_b32 s6, s22
	s_branch .LBB39_826
.LBB39_823:
	s_or_saveexec_b32 s41, s41
                                        ; implicit-def: $sgpr42
	s_delay_alu instid0(SALU_CYCLE_1)
	s_xor_b32 exec_lo, exec_lo, s41
	s_cbranch_execz .LBB39_756
.LBB39_824:
	v_add_f32_e64 v11, 0x42800000, |v2|
	s_and_not1_b32 s23, s23, exec_lo
	s_mov_b32 s42, 0
	s_delay_alu instid0(VALU_DEP_1) | instskip(NEXT) | instid1(VALU_DEP_1)
	v_and_b32_e32 v11, 0xff, v11
	v_cmp_ne_u32_e32 vcc_lo, 0, v11
	s_and_b32 s43, vcc_lo, exec_lo
	s_delay_alu instid0(SALU_CYCLE_1)
	s_or_b32 s23, s23, s43
	s_or_b32 exec_lo, exec_lo, s41
	v_mov_b32_e32 v12, s42
	s_and_saveexec_b32 s41, s23
	s_cbranch_execnz .LBB39_757
	s_branch .LBB39_758
.LBB39_825:
	s_mov_b32 s6, -1
.LBB39_826:
                                        ; implicit-def: $vgpr0_vgpr1
.LBB39_827:
	s_and_b32 vcc_lo, exec_lo, s3
	s_cbranch_vccz .LBB39_831
; %bb.828:
	v_cmp_eq_u16_e32 vcc_lo, 44, v8
	s_cbranch_vccz .LBB39_830
; %bb.829:
	global_load_u8 v0, v[3:4], off
	s_mov_b32 s6, 0
	s_mov_b32 s2, -1
	s_waitcnt vmcnt(0)
	v_lshlrev_b32_e32 v1, 23, v0
	s_delay_alu instid0(VALU_DEP_1) | instskip(NEXT) | instid1(VALU_DEP_1)
	v_trunc_f32_e32 v1, v1
	v_mul_f32_e64 v5, 0x2f800000, |v1|
	s_delay_alu instid0(VALU_DEP_1) | instskip(NEXT) | instid1(VALU_DEP_1)
	v_floor_f32_e32 v5, v5
	v_fma_f32 v6, 0xcf800000, v5, |v1|
	v_ashrrev_i32_e32 v1, 31, v1
	v_cvt_u32_f32_e32 v5, v5
	s_delay_alu instid0(VALU_DEP_3) | instskip(NEXT) | instid1(VALU_DEP_2)
	v_cvt_u32_f32_e32 v6, v6
	v_xor_b32_e32 v5, v5, v1
	s_delay_alu instid0(VALU_DEP_2) | instskip(NEXT) | instid1(VALU_DEP_1)
	v_xor_b32_e32 v6, v6, v1
	v_sub_co_u32 v6, vcc_lo, v6, v1
	s_delay_alu instid0(VALU_DEP_3) | instskip(SKIP_1) | instid1(VALU_DEP_2)
	v_sub_co_ci_u32_e32 v1, vcc_lo, v5, v1, vcc_lo
	v_cmp_ne_u32_e32 vcc_lo, 0, v0
	v_dual_cndmask_b32 v0, 0, v6 :: v_dual_cndmask_b32 v1, 0, v1
	s_branch .LBB39_831
.LBB39_830:
	s_mov_b32 s6, -1
                                        ; implicit-def: $vgpr0_vgpr1
.LBB39_831:
	s_mov_b32 s3, 0
.LBB39_832:
	s_delay_alu instid0(SALU_CYCLE_1)
	s_and_b32 vcc_lo, exec_lo, s3
	s_cbranch_vccz .LBB39_836
; %bb.833:
	v_cmp_eq_u16_e32 vcc_lo, 29, v8
	s_cbranch_vccz .LBB39_835
; %bb.834:
	global_load_b64 v[0:1], v[3:4], off
	s_mov_b32 s6, 0
	s_mov_b32 s2, -1
	s_branch .LBB39_836
.LBB39_835:
	s_mov_b32 s6, -1
                                        ; implicit-def: $vgpr0_vgpr1
.LBB39_836:
	s_mov_b32 s3, 0
.LBB39_837:
	s_delay_alu instid0(SALU_CYCLE_1)
	s_and_b32 vcc_lo, exec_lo, s3
	s_cbranch_vccz .LBB39_855
; %bb.838:
	v_cmp_gt_i16_e32 vcc_lo, 27, v8
	s_cbranch_vccnz .LBB39_841
; %bb.839:
	v_cmp_lt_i16_e32 vcc_lo, 27, v8
	s_cbranch_vccz .LBB39_842
; %bb.840:
	global_load_b32 v0, v[3:4], off
	s_waitcnt vmcnt(1)
	v_mov_b32_e32 v1, 0
	s_mov_b32 s2, 0
	s_branch .LBB39_843
.LBB39_841:
	s_mov_b32 s2, -1
                                        ; implicit-def: $vgpr0_vgpr1
	s_branch .LBB39_846
.LBB39_842:
	s_mov_b32 s2, -1
                                        ; implicit-def: $vgpr0_vgpr1
.LBB39_843:
	s_delay_alu instid0(SALU_CYCLE_1)
	s_and_not1_b32 vcc_lo, exec_lo, s2
	s_cbranch_vccnz .LBB39_845
; %bb.844:
	global_load_u16 v0, v[3:4], off
	s_mov_b32 s2, 0
	s_waitcnt vmcnt(0)
	v_dual_mov_b32 v1, s2 :: v_dual_and_b32 v0, 0xffff, v0
.LBB39_845:
	s_mov_b32 s2, 0
.LBB39_846:
	s_delay_alu instid0(SALU_CYCLE_1)
	s_and_not1_b32 vcc_lo, exec_lo, s2
	s_cbranch_vccnz .LBB39_854
; %bb.847:
	global_load_u8 v5, v[3:4], off
	s_mov_b32 s8, 0
	s_mov_b32 s9, exec_lo
                                        ; implicit-def: $sgpr2_sgpr3
	s_waitcnt vmcnt(0)
	v_cmpx_lt_i16_e32 0x7f, v5
	s_xor_b32 s9, exec_lo, s9
; %bb.848:
	v_cmp_ne_u16_e32 vcc_lo, 0x80, v5
	s_mov_b64 s[2:3], 0
	s_and_b32 s8, vcc_lo, exec_lo
; %bb.849:
	s_or_saveexec_b32 s9, s9
	v_dual_mov_b32 v0, s2 :: v_dual_mov_b32 v1, s3
	s_xor_b32 exec_lo, exec_lo, s9
; %bb.850:
	v_cmp_ne_u16_e32 vcc_lo, 0, v5
	v_mov_b32_e32 v0, 0
	v_mov_b32_e32 v1, 0
	s_and_not1_b32 s2, s8, exec_lo
	s_and_b32 s3, vcc_lo, exec_lo
	s_delay_alu instid0(SALU_CYCLE_1)
	s_or_b32 s8, s2, s3
; %bb.851:
	s_or_b32 exec_lo, exec_lo, s9
	s_and_saveexec_b32 s2, s8
	s_cbranch_execz .LBB39_853
; %bb.852:
	v_and_b32_e32 v0, 0xffff, v5
	v_lshlrev_b32_e32 v5, 24, v5
	s_delay_alu instid0(VALU_DEP_2) | instskip(NEXT) | instid1(VALU_DEP_2)
	v_and_b32_e32 v1, 7, v0
	v_and_b32_e32 v5, 0x80000000, v5
	s_delay_alu instid0(VALU_DEP_2) | instskip(NEXT) | instid1(VALU_DEP_1)
	v_clz_i32_u32_e32 v6, v1
	v_min_u32_e32 v6, 32, v6
	s_delay_alu instid0(VALU_DEP_1) | instskip(SKIP_1) | instid1(VALU_DEP_2)
	v_subrev_nc_u32_e32 v9, 28, v6
	v_sub_nc_u32_e32 v6, 29, v6
	v_lshlrev_b32_e32 v9, v9, v0
	v_bfe_u32 v0, v0, 3, 4
	s_delay_alu instid0(VALU_DEP_2) | instskip(NEXT) | instid1(VALU_DEP_2)
	v_and_b32_e32 v9, 7, v9
	v_cmp_eq_u32_e32 vcc_lo, 0, v0
	s_delay_alu instid0(VALU_DEP_2) | instskip(NEXT) | instid1(VALU_DEP_1)
	v_dual_cndmask_b32 v0, v0, v6 :: v_dual_cndmask_b32 v1, v1, v9
	v_lshl_add_u32 v0, v0, 23, 0x3b800000
	s_delay_alu instid0(VALU_DEP_2) | instskip(NEXT) | instid1(VALU_DEP_1)
	v_lshlrev_b32_e32 v1, 20, v1
	v_or3_b32 v0, v5, v0, v1
	s_delay_alu instid0(VALU_DEP_1) | instskip(NEXT) | instid1(VALU_DEP_1)
	v_trunc_f32_e32 v0, v0
	v_mul_f32_e64 v1, 0x2f800000, |v0|
	v_ashrrev_i32_e32 v6, 31, v0
	s_delay_alu instid0(VALU_DEP_2) | instskip(NEXT) | instid1(VALU_DEP_1)
	v_floor_f32_e32 v1, v1
	v_fma_f32 v5, 0xcf800000, v1, |v0|
	v_cvt_u32_f32_e32 v1, v1
	s_delay_alu instid0(VALU_DEP_2) | instskip(NEXT) | instid1(VALU_DEP_2)
	v_cvt_u32_f32_e32 v0, v5
	v_xor_b32_e32 v1, v1, v6
	s_delay_alu instid0(VALU_DEP_2) | instskip(NEXT) | instid1(VALU_DEP_1)
	v_xor_b32_e32 v0, v0, v6
	v_sub_co_u32 v0, vcc_lo, v0, v6
	s_delay_alu instid0(VALU_DEP_3)
	v_sub_co_ci_u32_e32 v1, vcc_lo, v1, v6, vcc_lo
.LBB39_853:
	s_or_b32 exec_lo, exec_lo, s2
.LBB39_854:
	s_mov_b32 s2, -1
.LBB39_855:
	s_mov_b32 s3, 0
.LBB39_856:
	s_delay_alu instid0(SALU_CYCLE_1)
	s_and_b32 vcc_lo, exec_lo, s3
	s_cbranch_vccz .LBB39_885
; %bb.857:
	v_cmp_lt_i16_e32 vcc_lo, 22, v8
	s_cbranch_vccz .LBB39_867
; %bb.858:
	v_cmp_gt_i16_e32 vcc_lo, 24, v8
	s_cbranch_vccnz .LBB39_868
; %bb.859:
	v_cmp_lt_i16_e32 vcc_lo, 24, v8
	s_cbranch_vccz .LBB39_869
; %bb.860:
	global_load_u8 v5, v[3:4], off
	s_mov_b32 s8, exec_lo
                                        ; implicit-def: $sgpr2_sgpr3
	s_waitcnt vmcnt(0)
	v_cmpx_lt_i16_e32 0x7f, v5
	s_xor_b32 s8, exec_lo, s8
; %bb.861:
	v_cmp_ne_u16_e32 vcc_lo, 0x80, v5
	s_mov_b64 s[2:3], 0
	s_and_b32 s7, vcc_lo, exec_lo
; %bb.862:
	s_or_saveexec_b32 s8, s8
	v_dual_mov_b32 v0, s2 :: v_dual_mov_b32 v1, s3
	s_xor_b32 exec_lo, exec_lo, s8
; %bb.863:
	v_cmp_ne_u16_e32 vcc_lo, 0, v5
	v_mov_b32_e32 v0, 0
	v_mov_b32_e32 v1, 0
	s_and_not1_b32 s2, s7, exec_lo
	s_and_b32 s3, vcc_lo, exec_lo
	s_delay_alu instid0(SALU_CYCLE_1)
	s_or_b32 s7, s2, s3
; %bb.864:
	s_or_b32 exec_lo, exec_lo, s8
	s_and_saveexec_b32 s2, s7
	s_cbranch_execz .LBB39_866
; %bb.865:
	v_and_b32_e32 v0, 0xffff, v5
	v_lshlrev_b32_e32 v5, 24, v5
	s_delay_alu instid0(VALU_DEP_2) | instskip(NEXT) | instid1(VALU_DEP_2)
	v_and_b32_e32 v1, 3, v0
	v_and_b32_e32 v5, 0x80000000, v5
	s_delay_alu instid0(VALU_DEP_2) | instskip(NEXT) | instid1(VALU_DEP_1)
	v_clz_i32_u32_e32 v6, v1
	v_min_u32_e32 v6, 32, v6
	s_delay_alu instid0(VALU_DEP_1) | instskip(SKIP_1) | instid1(VALU_DEP_2)
	v_subrev_nc_u32_e32 v9, 29, v6
	v_sub_nc_u32_e32 v6, 30, v6
	v_lshlrev_b32_e32 v9, v9, v0
	v_bfe_u32 v0, v0, 2, 5
	s_delay_alu instid0(VALU_DEP_2) | instskip(NEXT) | instid1(VALU_DEP_2)
	v_and_b32_e32 v9, 3, v9
	v_cmp_eq_u32_e32 vcc_lo, 0, v0
	s_delay_alu instid0(VALU_DEP_2) | instskip(NEXT) | instid1(VALU_DEP_1)
	v_dual_cndmask_b32 v0, v0, v6 :: v_dual_cndmask_b32 v1, v1, v9
	v_lshl_add_u32 v0, v0, 23, 0x37800000
	s_delay_alu instid0(VALU_DEP_2) | instskip(NEXT) | instid1(VALU_DEP_1)
	v_lshlrev_b32_e32 v1, 21, v1
	v_or3_b32 v0, v5, v0, v1
	s_delay_alu instid0(VALU_DEP_1) | instskip(NEXT) | instid1(VALU_DEP_1)
	v_trunc_f32_e32 v0, v0
	v_mul_f32_e64 v1, 0x2f800000, |v0|
	v_ashrrev_i32_e32 v6, 31, v0
	s_delay_alu instid0(VALU_DEP_2) | instskip(NEXT) | instid1(VALU_DEP_1)
	v_floor_f32_e32 v1, v1
	v_fma_f32 v5, 0xcf800000, v1, |v0|
	v_cvt_u32_f32_e32 v1, v1
	s_delay_alu instid0(VALU_DEP_2) | instskip(NEXT) | instid1(VALU_DEP_2)
	v_cvt_u32_f32_e32 v0, v5
	v_xor_b32_e32 v1, v1, v6
	s_delay_alu instid0(VALU_DEP_2) | instskip(NEXT) | instid1(VALU_DEP_1)
	v_xor_b32_e32 v0, v0, v6
	v_sub_co_u32 v0, vcc_lo, v0, v6
	s_delay_alu instid0(VALU_DEP_3)
	v_sub_co_ci_u32_e32 v1, vcc_lo, v1, v6, vcc_lo
.LBB39_866:
	s_or_b32 exec_lo, exec_lo, s2
	s_mov_b32 s2, 0
	s_branch .LBB39_870
.LBB39_867:
	s_mov_b32 s3, -1
                                        ; implicit-def: $vgpr0_vgpr1
	s_branch .LBB39_876
.LBB39_868:
	s_mov_b32 s2, -1
                                        ; implicit-def: $vgpr0_vgpr1
	s_branch .LBB39_873
.LBB39_869:
	s_mov_b32 s2, -1
                                        ; implicit-def: $vgpr0_vgpr1
.LBB39_870:
	s_delay_alu instid0(SALU_CYCLE_1)
	s_and_b32 vcc_lo, exec_lo, s2
	s_cbranch_vccz .LBB39_872
; %bb.871:
	global_load_u8 v0, v[3:4], off
	s_waitcnt vmcnt(0)
	v_lshlrev_b32_e32 v0, 24, v0
	s_delay_alu instid0(VALU_DEP_1) | instskip(NEXT) | instid1(VALU_DEP_1)
	v_and_b32_e32 v1, 0x7f000000, v0
	v_clz_i32_u32_e32 v5, v1
	v_add_nc_u32_e32 v9, 0x1000000, v1
	v_cmp_ne_u32_e32 vcc_lo, 0, v1
	s_delay_alu instid0(VALU_DEP_3) | instskip(NEXT) | instid1(VALU_DEP_1)
	v_min_u32_e32 v5, 32, v5
	v_sub_nc_u32_e64 v5, v5, 4 clamp
	s_delay_alu instid0(VALU_DEP_1) | instskip(SKIP_1) | instid1(VALU_DEP_2)
	v_lshlrev_b32_e32 v6, v5, v1
	v_lshlrev_b32_e32 v5, 23, v5
	v_lshrrev_b32_e32 v6, 4, v6
	s_delay_alu instid0(VALU_DEP_1) | instskip(SKIP_1) | instid1(VALU_DEP_2)
	v_sub_nc_u32_e32 v5, v6, v5
	v_ashrrev_i32_e32 v6, 8, v9
	v_add_nc_u32_e32 v5, 0x3c000000, v5
	s_delay_alu instid0(VALU_DEP_1) | instskip(NEXT) | instid1(VALU_DEP_1)
	v_and_or_b32 v5, 0x7f800000, v6, v5
	v_cndmask_b32_e32 v1, 0, v5, vcc_lo
	s_delay_alu instid0(VALU_DEP_1) | instskip(NEXT) | instid1(VALU_DEP_1)
	v_and_or_b32 v0, 0x80000000, v0, v1
	v_trunc_f32_e32 v0, v0
	s_delay_alu instid0(VALU_DEP_1) | instskip(SKIP_1) | instid1(VALU_DEP_2)
	v_mul_f32_e64 v1, 0x2f800000, |v0|
	v_ashrrev_i32_e32 v6, 31, v0
	v_floor_f32_e32 v1, v1
	s_delay_alu instid0(VALU_DEP_1) | instskip(SKIP_1) | instid1(VALU_DEP_2)
	v_fma_f32 v5, 0xcf800000, v1, |v0|
	v_cvt_u32_f32_e32 v1, v1
	v_cvt_u32_f32_e32 v0, v5
	s_delay_alu instid0(VALU_DEP_2) | instskip(NEXT) | instid1(VALU_DEP_2)
	v_xor_b32_e32 v1, v1, v6
	v_xor_b32_e32 v0, v0, v6
	s_delay_alu instid0(VALU_DEP_1) | instskip(NEXT) | instid1(VALU_DEP_3)
	v_sub_co_u32 v0, vcc_lo, v0, v6
	v_sub_co_ci_u32_e32 v1, vcc_lo, v1, v6, vcc_lo
.LBB39_872:
	s_mov_b32 s2, 0
.LBB39_873:
	s_delay_alu instid0(SALU_CYCLE_1)
	s_and_not1_b32 vcc_lo, exec_lo, s2
	s_cbranch_vccnz .LBB39_875
; %bb.874:
	global_load_u8 v0, v[3:4], off
	s_waitcnt vmcnt(0)
	v_lshlrev_b32_e32 v1, 25, v0
	v_lshlrev_b16 v0, 8, v0
	s_delay_alu instid0(VALU_DEP_1) | instskip(SKIP_1) | instid1(VALU_DEP_2)
	v_and_or_b32 v6, 0x7f00, v0, 0.5
	v_bfe_i32 v0, v0, 0, 16
	v_add_f32_e32 v6, -0.5, v6
	v_lshrrev_b32_e32 v5, 4, v1
	v_cmp_gt_u32_e32 vcc_lo, 0x8000000, v1
	s_delay_alu instid0(VALU_DEP_2) | instskip(NEXT) | instid1(VALU_DEP_1)
	v_or_b32_e32 v5, 0x70000000, v5
	v_mul_f32_e32 v5, 0x7800000, v5
	s_delay_alu instid0(VALU_DEP_1) | instskip(NEXT) | instid1(VALU_DEP_1)
	v_cndmask_b32_e32 v1, v5, v6, vcc_lo
	v_and_or_b32 v0, 0x80000000, v0, v1
	s_delay_alu instid0(VALU_DEP_1) | instskip(NEXT) | instid1(VALU_DEP_1)
	v_trunc_f32_e32 v0, v0
	v_mul_f32_e64 v1, 0x2f800000, |v0|
	v_ashrrev_i32_e32 v6, 31, v0
	s_delay_alu instid0(VALU_DEP_2) | instskip(NEXT) | instid1(VALU_DEP_1)
	v_floor_f32_e32 v1, v1
	v_fma_f32 v5, 0xcf800000, v1, |v0|
	v_cvt_u32_f32_e32 v1, v1
	s_delay_alu instid0(VALU_DEP_2) | instskip(NEXT) | instid1(VALU_DEP_2)
	v_cvt_u32_f32_e32 v0, v5
	v_xor_b32_e32 v1, v1, v6
	s_delay_alu instid0(VALU_DEP_2) | instskip(NEXT) | instid1(VALU_DEP_1)
	v_xor_b32_e32 v0, v0, v6
	v_sub_co_u32 v0, vcc_lo, v0, v6
	s_delay_alu instid0(VALU_DEP_3)
	v_sub_co_ci_u32_e32 v1, vcc_lo, v1, v6, vcc_lo
.LBB39_875:
	s_mov_b32 s3, 0
	s_mov_b32 s2, -1
.LBB39_876:
	s_and_not1_b32 vcc_lo, exec_lo, s3
	s_mov_b32 s7, 0
	s_cbranch_vccnz .LBB39_885
; %bb.877:
	v_cmp_lt_i16_e32 vcc_lo, 14, v8
	s_cbranch_vccz .LBB39_880
; %bb.878:
	v_cmp_eq_u16_e32 vcc_lo, 15, v8
	s_cbranch_vccz .LBB39_881
; %bb.879:
	global_load_u16 v0, v[3:4], off
	s_mov_b32 s6, 0
	s_mov_b32 s2, -1
	s_waitcnt vmcnt(0)
	v_lshlrev_b32_e32 v0, 16, v0
	s_delay_alu instid0(VALU_DEP_1) | instskip(NEXT) | instid1(VALU_DEP_1)
	v_trunc_f32_e32 v0, v0
	v_mul_f32_e64 v1, 0x2f800000, |v0|
	v_ashrrev_i32_e32 v6, 31, v0
	s_delay_alu instid0(VALU_DEP_2) | instskip(NEXT) | instid1(VALU_DEP_1)
	v_floor_f32_e32 v1, v1
	v_fma_f32 v5, 0xcf800000, v1, |v0|
	v_cvt_u32_f32_e32 v1, v1
	s_delay_alu instid0(VALU_DEP_2) | instskip(NEXT) | instid1(VALU_DEP_2)
	v_cvt_u32_f32_e32 v0, v5
	v_xor_b32_e32 v1, v1, v6
	s_delay_alu instid0(VALU_DEP_2) | instskip(NEXT) | instid1(VALU_DEP_1)
	v_xor_b32_e32 v0, v0, v6
	v_sub_co_u32 v0, vcc_lo, v0, v6
	s_delay_alu instid0(VALU_DEP_3)
	v_sub_co_ci_u32_e32 v1, vcc_lo, v1, v6, vcc_lo
	s_branch .LBB39_882
.LBB39_880:
	s_mov_b32 s3, -1
                                        ; implicit-def: $vgpr0_vgpr1
	s_branch .LBB39_883
.LBB39_881:
	s_mov_b32 s6, -1
                                        ; implicit-def: $vgpr0_vgpr1
.LBB39_882:
	s_mov_b32 s3, 0
.LBB39_883:
	s_delay_alu instid0(SALU_CYCLE_1)
	s_and_b32 vcc_lo, exec_lo, s3
	s_cbranch_vccz .LBB39_885
; %bb.884:
	v_cmp_ne_u16_e32 vcc_lo, 11, v8
	s_and_not1_b32 s3, s6, exec_lo
	s_mov_b32 s7, -1
                                        ; implicit-def: $vgpr0_vgpr1
	s_and_b32 s6, vcc_lo, exec_lo
	s_delay_alu instid0(SALU_CYCLE_1)
	s_or_b32 s6, s3, s6
.LBB39_885:
	s_mov_b32 s3, 0
.LBB39_886:
	s_and_not1_b32 s8, s22, exec_lo
	s_and_b32 s6, s6, exec_lo
	s_and_b32 s41, s2, exec_lo
	;; [unrolled: 1-line block ×4, first 2 shown]
	s_or_b32 s42, s8, s6
.LBB39_887:
	s_or_b32 exec_lo, exec_lo, s30
	s_waitcnt lgkmcnt(0)
	s_and_not1_b32 s6, s22, exec_lo
	s_and_b32 s7, s42, exec_lo
	s_and_b32 s41, s41, exec_lo
	;; [unrolled: 1-line block ×4, first 2 shown]
	s_or_b32 s22, s6, s7
.LBB39_888:
	s_or_b32 exec_lo, exec_lo, s40
	s_waitcnt lgkmcnt(0)
	s_and_not1_b32 s6, s38, exec_lo
	s_and_b32 s7, s23, exec_lo
	s_and_b32 s40, s41, exec_lo
	s_or_b32 s38, s6, s7
	s_and_not1_b32 s6, s37, exec_lo
	s_and_b32 s7, s22, exec_lo
	s_and_b32 s23, s3, exec_lo
	;; [unrolled: 1-line block ×3, first 2 shown]
	s_or_b32 s37, s6, s7
.LBB39_889:
	s_or_b32 exec_lo, exec_lo, s39
	s_delay_alu instid0(SALU_CYCLE_1)
	s_and_not1_b32 s2, s34, exec_lo
	s_waitcnt lgkmcnt(0)
	s_and_b32 s6, s38, exec_lo
	s_and_b32 s7, s37, exec_lo
	s_or_b32 s34, s2, s6
	s_and_not1_b32 s6, s35, exec_lo
	s_and_b32 s2, s40, exec_lo
	s_and_b32 s22, s23, exec_lo
	;; [unrolled: 1-line block ×3, first 2 shown]
	s_or_b32 s35, s6, s7
.LBB39_890:
	s_or_b32 exec_lo, exec_lo, s36
	s_mov_b32 s3, 0
	s_waitcnt lgkmcnt(0)
	s_and_saveexec_b32 s6, s35
	s_cbranch_execnz .LBB39_902
; %bb.891:
	s_or_b32 exec_lo, exec_lo, s6
	s_and_saveexec_b32 s6, s37
	s_delay_alu instid0(SALU_CYCLE_1)
	s_xor_b32 s6, exec_lo, s6
	s_cbranch_execz .LBB39_893
.LBB39_892:
	global_load_u8 v0, v[3:4], off
	s_mov_b32 s7, 0
	s_or_b32 s2, s2, exec_lo
	s_waitcnt vmcnt(1)
	v_mov_b32_e32 v1, s7
	s_waitcnt vmcnt(0)
	v_cmp_ne_u16_e32 vcc_lo, 0, v0
	v_cndmask_b32_e64 v0, 0, 1, vcc_lo
.LBB39_893:
	s_or_b32 exec_lo, exec_lo, s6
	s_and_saveexec_b32 s6, s22
	s_cbranch_execz .LBB39_941
; %bb.894:
	v_cmp_gt_i16_e32 vcc_lo, 5, v8
	s_cbranch_vccnz .LBB39_899
; %bb.895:
	v_cmp_gt_i16_e32 vcc_lo, 8, v8
	s_cbranch_vccnz .LBB39_900
	;; [unrolled: 3-line block ×3, first 2 shown]
; %bb.897:
	v_cmp_lt_i16_e32 vcc_lo, 9, v8
	s_cbranch_vccz .LBB39_904
; %bb.898:
	global_load_b64 v[0:1], v[3:4], off
	s_mov_b32 s7, 0
	s_waitcnt vmcnt(0)
	v_trunc_f64_e32 v[0:1], v[0:1]
	s_delay_alu instid0(VALU_DEP_1) | instskip(NEXT) | instid1(VALU_DEP_1)
	v_ldexp_f64 v[5:6], v[0:1], 0xffffffe0
	v_floor_f64_e32 v[5:6], v[5:6]
	s_delay_alu instid0(VALU_DEP_1) | instskip(SKIP_1) | instid1(VALU_DEP_2)
	v_fma_f64 v[9:10], 0xc1f00000, v[5:6], v[0:1]
	v_cvt_i32_f64_e32 v1, v[5:6]
	v_cvt_u32_f64_e32 v0, v[9:10]
	s_branch .LBB39_905
.LBB39_899:
                                        ; implicit-def: $vgpr0_vgpr1
	s_branch .LBB39_922
.LBB39_900:
                                        ; implicit-def: $vgpr0_vgpr1
	s_branch .LBB39_911
.LBB39_901:
	s_mov_b32 s7, -1
                                        ; implicit-def: $vgpr0_vgpr1
	s_branch .LBB39_908
.LBB39_902:
	s_cbranch_execnz .LBB39_1172
; %bb.903:
	s_mov_b32 s3, exec_lo
	s_and_not1_b32 s37, s37, exec_lo
                                        ; implicit-def: $vgpr0_vgpr1
	s_or_b32 exec_lo, exec_lo, s6
	s_and_saveexec_b32 s6, s37
	s_delay_alu instid0(SALU_CYCLE_1)
	s_xor_b32 s6, exec_lo, s6
	s_cbranch_execnz .LBB39_892
	s_branch .LBB39_893
.LBB39_904:
	s_mov_b32 s7, -1
                                        ; implicit-def: $vgpr0_vgpr1
.LBB39_905:
	s_delay_alu instid0(SALU_CYCLE_1)
	s_and_not1_b32 vcc_lo, exec_lo, s7
	s_cbranch_vccnz .LBB39_907
; %bb.906:
	global_load_b32 v0, v[3:4], off
	s_waitcnt vmcnt(0)
	v_trunc_f32_e32 v0, v0
	s_delay_alu instid0(VALU_DEP_1) | instskip(SKIP_1) | instid1(VALU_DEP_2)
	v_mul_f32_e64 v1, 0x2f800000, |v0|
	v_ashrrev_i32_e32 v6, 31, v0
	v_floor_f32_e32 v1, v1
	s_delay_alu instid0(VALU_DEP_1) | instskip(SKIP_1) | instid1(VALU_DEP_2)
	v_fma_f32 v5, 0xcf800000, v1, |v0|
	v_cvt_u32_f32_e32 v1, v1
	v_cvt_u32_f32_e32 v0, v5
	s_delay_alu instid0(VALU_DEP_2) | instskip(NEXT) | instid1(VALU_DEP_2)
	v_xor_b32_e32 v1, v1, v6
	v_xor_b32_e32 v0, v0, v6
	s_delay_alu instid0(VALU_DEP_1) | instskip(NEXT) | instid1(VALU_DEP_3)
	v_sub_co_u32 v0, vcc_lo, v0, v6
	v_sub_co_ci_u32_e32 v1, vcc_lo, v1, v6, vcc_lo
.LBB39_907:
	s_mov_b32 s7, 0
.LBB39_908:
	s_delay_alu instid0(SALU_CYCLE_1)
	s_and_not1_b32 vcc_lo, exec_lo, s7
	s_cbranch_vccnz .LBB39_910
; %bb.909:
	global_load_b32 v0, v[3:4], off
	s_waitcnt vmcnt(0)
	v_cvt_f32_f16_e32 v0, v0
	s_delay_alu instid0(VALU_DEP_1) | instskip(NEXT) | instid1(VALU_DEP_1)
	v_cvt_i32_f32_e32 v0, v0
	v_ashrrev_i32_e32 v1, 31, v0
.LBB39_910:
	s_cbranch_execnz .LBB39_921
.LBB39_911:
	v_cmp_gt_i16_e32 vcc_lo, 6, v8
	s_cbranch_vccnz .LBB39_914
; %bb.912:
	v_cmp_lt_i16_e32 vcc_lo, 6, v8
	s_cbranch_vccz .LBB39_915
; %bb.913:
	global_load_b64 v[0:1], v[3:4], off
	s_mov_b32 s7, 0
	s_waitcnt vmcnt(0)
	v_trunc_f64_e32 v[0:1], v[0:1]
	s_delay_alu instid0(VALU_DEP_1) | instskip(NEXT) | instid1(VALU_DEP_1)
	v_ldexp_f64 v[5:6], v[0:1], 0xffffffe0
	v_floor_f64_e32 v[5:6], v[5:6]
	s_delay_alu instid0(VALU_DEP_1) | instskip(SKIP_1) | instid1(VALU_DEP_2)
	v_fma_f64 v[9:10], 0xc1f00000, v[5:6], v[0:1]
	v_cvt_i32_f64_e32 v1, v[5:6]
	v_cvt_u32_f64_e32 v0, v[9:10]
	s_branch .LBB39_916
.LBB39_914:
	s_mov_b32 s7, -1
                                        ; implicit-def: $vgpr0_vgpr1
	s_branch .LBB39_919
.LBB39_915:
	s_mov_b32 s7, -1
                                        ; implicit-def: $vgpr0_vgpr1
.LBB39_916:
	s_delay_alu instid0(SALU_CYCLE_1)
	s_and_not1_b32 vcc_lo, exec_lo, s7
	s_cbranch_vccnz .LBB39_918
; %bb.917:
	global_load_b32 v0, v[3:4], off
	s_waitcnt vmcnt(0)
	v_trunc_f32_e32 v0, v0
	s_delay_alu instid0(VALU_DEP_1) | instskip(SKIP_1) | instid1(VALU_DEP_2)
	v_mul_f32_e64 v1, 0x2f800000, |v0|
	v_ashrrev_i32_e32 v6, 31, v0
	v_floor_f32_e32 v1, v1
	s_delay_alu instid0(VALU_DEP_1) | instskip(SKIP_1) | instid1(VALU_DEP_2)
	v_fma_f32 v5, 0xcf800000, v1, |v0|
	v_cvt_u32_f32_e32 v1, v1
	v_cvt_u32_f32_e32 v0, v5
	s_delay_alu instid0(VALU_DEP_2) | instskip(NEXT) | instid1(VALU_DEP_2)
	v_xor_b32_e32 v1, v1, v6
	v_xor_b32_e32 v0, v0, v6
	s_delay_alu instid0(VALU_DEP_1) | instskip(NEXT) | instid1(VALU_DEP_3)
	v_sub_co_u32 v0, vcc_lo, v0, v6
	v_sub_co_ci_u32_e32 v1, vcc_lo, v1, v6, vcc_lo
.LBB39_918:
	s_mov_b32 s7, 0
.LBB39_919:
	s_delay_alu instid0(SALU_CYCLE_1)
	s_and_not1_b32 vcc_lo, exec_lo, s7
	s_cbranch_vccnz .LBB39_921
; %bb.920:
	global_load_u16 v0, v[3:4], off
	s_waitcnt vmcnt(0)
	v_cvt_f32_f16_e32 v0, v0
	s_delay_alu instid0(VALU_DEP_1) | instskip(NEXT) | instid1(VALU_DEP_1)
	v_cvt_i32_f32_e32 v0, v0
	v_ashrrev_i32_e32 v1, 31, v0
.LBB39_921:
	s_cbranch_execnz .LBB39_940
.LBB39_922:
	v_cmp_gt_i16_e32 vcc_lo, 2, v8
	s_cbranch_vccnz .LBB39_926
; %bb.923:
	v_cmp_gt_i16_e32 vcc_lo, 3, v8
	s_cbranch_vccnz .LBB39_927
; %bb.924:
	v_cmp_lt_i16_e32 vcc_lo, 3, v8
	s_cbranch_vccz .LBB39_928
; %bb.925:
	global_load_b64 v[0:1], v[3:4], off
	s_mov_b32 s7, 0
	s_branch .LBB39_929
.LBB39_926:
                                        ; implicit-def: $vgpr0_vgpr1
	s_branch .LBB39_935
.LBB39_927:
	s_mov_b32 s7, -1
                                        ; implicit-def: $vgpr0_vgpr1
	s_branch .LBB39_932
.LBB39_928:
	s_mov_b32 s7, -1
                                        ; implicit-def: $vgpr0_vgpr1
.LBB39_929:
	s_delay_alu instid0(SALU_CYCLE_1)
	s_and_not1_b32 vcc_lo, exec_lo, s7
	s_cbranch_vccnz .LBB39_931
; %bb.930:
	global_load_b32 v0, v[3:4], off
	s_waitcnt vmcnt(0)
	v_ashrrev_i32_e32 v1, 31, v0
.LBB39_931:
	s_mov_b32 s7, 0
.LBB39_932:
	s_delay_alu instid0(SALU_CYCLE_1)
	s_and_not1_b32 vcc_lo, exec_lo, s7
	s_cbranch_vccnz .LBB39_934
; %bb.933:
	global_load_u16 v0, v[3:4], off
	s_waitcnt vmcnt(0)
	v_bfe_i32 v0, v0, 0, 16
	s_delay_alu instid0(VALU_DEP_1)
	v_ashrrev_i32_e32 v1, 31, v0
.LBB39_934:
	s_cbranch_execnz .LBB39_940
.LBB39_935:
	v_cmp_lt_i16_e32 vcc_lo, 0, v8
	s_mov_b32 s7, 0
	s_cbranch_vccz .LBB39_937
; %bb.936:
	global_load_i8 v0, v[3:4], off
	s_waitcnt vmcnt(0)
	v_bfe_i32 v0, v0, 0, 16
	s_delay_alu instid0(VALU_DEP_1)
	v_ashrrev_i32_e32 v1, 31, v0
	s_branch .LBB39_938
.LBB39_937:
	s_mov_b32 s7, -1
                                        ; implicit-def: $vgpr0_vgpr1
.LBB39_938:
	s_delay_alu instid0(SALU_CYCLE_1)
	s_and_not1_b32 vcc_lo, exec_lo, s7
	s_cbranch_vccnz .LBB39_940
; %bb.939:
	global_load_u8 v0, v[3:4], off
	s_mov_b32 s7, 0
	s_waitcnt vmcnt(0)
	v_dual_mov_b32 v1, s7 :: v_dual_and_b32 v0, 0xffff, v0
.LBB39_940:
	s_or_b32 s2, s2, exec_lo
.LBB39_941:
	s_or_b32 exec_lo, exec_lo, s6
	s_mov_b32 s8, 0
	s_mov_b32 s7, 0
                                        ; implicit-def: $vgpr8
                                        ; implicit-def: $vgpr5_vgpr6
                                        ; implicit-def: $vgpr3_vgpr4
	s_and_saveexec_b32 s6, s2
	s_cbranch_execz .LBB39_1018
; %bb.942:
	v_and_b32_e32 v8, 0xff, v7
	v_add_co_u32 v5, s2, s4, v2
	s_waitcnt vmcnt(0)
	s_delay_alu instid0(VALU_DEP_3) | instskip(NEXT) | instid1(VALU_DEP_4)
	v_not_b32_e32 v4, v1
	v_not_b32_e32 v3, v0
	v_cmp_gt_i16_e32 vcc_lo, 11, v8
	v_add_co_ci_u32_e64 v6, null, s5, 0, s2
	s_mov_b32 s4, -1
	s_mov_b32 s2, s34
	s_cbranch_vccnz .LBB39_1017
; %bb.943:
	v_cmp_lt_i16_e32 vcc_lo, 25, v8
	s_mov_b32 s2, s34
	s_cbranch_vccz .LBB39_976
; %bb.944:
	v_cmp_lt_i16_e32 vcc_lo, 28, v8
	s_mov_b32 s2, s34
	s_cbranch_vccz .LBB39_960
	;; [unrolled: 4-line block ×4, first 2 shown]
; %bb.947:
	v_cmp_eq_u16_e32 vcc_lo, 46, v8
	s_mov_b32 s2, -1
	s_cbranch_vccz .LBB39_949
; %bb.948:
	v_xor_b32_e32 v2, v3, v4
	v_cls_i32_e32 v7, v4
	s_mov_b32 s2, 0
	s_delay_alu instid0(VALU_DEP_2) | instskip(NEXT) | instid1(VALU_DEP_2)
	v_ashrrev_i32_e32 v2, 31, v2
	v_add_nc_u32_e32 v7, -1, v7
	s_delay_alu instid0(VALU_DEP_2) | instskip(NEXT) | instid1(VALU_DEP_1)
	v_add_nc_u32_e32 v2, 32, v2
	v_min_u32_e32 v2, v7, v2
	s_delay_alu instid0(VALU_DEP_1) | instskip(SKIP_1) | instid1(VALU_DEP_2)
	v_lshlrev_b64 v[9:10], v2, v[3:4]
	v_sub_nc_u32_e32 v2, 32, v2
	v_min_u32_e32 v7, 1, v9
	s_delay_alu instid0(VALU_DEP_1) | instskip(NEXT) | instid1(VALU_DEP_1)
	v_or_b32_e32 v7, v10, v7
	v_cvt_f32_i32_e32 v7, v7
	s_delay_alu instid0(VALU_DEP_1) | instskip(NEXT) | instid1(VALU_DEP_1)
	v_ldexp_f32 v2, v7, v2
	v_bfe_u32 v7, v2, 16, 1
	s_delay_alu instid0(VALU_DEP_1) | instskip(NEXT) | instid1(VALU_DEP_1)
	v_add3_u32 v2, v2, v7, 0x7fff
	v_lshrrev_b32_e32 v2, 16, v2
	global_store_b32 v[5:6], v2, off
.LBB39_949:
	s_mov_b32 s4, 0
.LBB39_950:
	s_delay_alu instid0(SALU_CYCLE_1)
	s_and_b32 vcc_lo, exec_lo, s4
	s_cbranch_vccz .LBB39_955
; %bb.951:
	v_cmp_eq_u16_e32 vcc_lo, 44, v8
	s_mov_b32 s2, -1
	s_cbranch_vccz .LBB39_955
; %bb.952:
	v_xor_b32_e32 v2, v3, v4
	v_cls_i32_e32 v7, v4
	s_mov_b32 s4, exec_lo
	s_delay_alu instid0(VALU_DEP_2) | instskip(NEXT) | instid1(VALU_DEP_2)
	v_ashrrev_i32_e32 v2, 31, v2
	v_add_nc_u32_e32 v7, -1, v7
	s_delay_alu instid0(VALU_DEP_2) | instskip(NEXT) | instid1(VALU_DEP_1)
	v_add_nc_u32_e32 v2, 32, v2
	v_min_u32_e32 v2, v7, v2
	s_delay_alu instid0(VALU_DEP_1) | instskip(SKIP_1) | instid1(VALU_DEP_2)
	v_lshlrev_b64 v[9:10], v2, v[3:4]
	v_sub_nc_u32_e32 v2, 32, v2
	v_min_u32_e32 v7, 1, v9
	s_delay_alu instid0(VALU_DEP_1) | instskip(NEXT) | instid1(VALU_DEP_1)
	v_or_b32_e32 v7, v10, v7
	v_cvt_f32_i32_e32 v7, v7
	s_delay_alu instid0(VALU_DEP_1) | instskip(SKIP_1) | instid1(VALU_DEP_2)
	v_ldexp_f32 v2, v7, v2
	v_mov_b32_e32 v7, 0xff
	v_bfe_u32 v9, v2, 23, 8
	s_delay_alu instid0(VALU_DEP_1)
	v_cmpx_ne_u32_e32 0xff, v9
; %bb.953:
	v_and_b32_e32 v7, 0x400000, v2
	v_and_or_b32 v9, 0x3fffff, v2, v9
	v_lshrrev_b32_e32 v2, 23, v2
	s_delay_alu instid0(VALU_DEP_3) | instskip(NEXT) | instid1(VALU_DEP_3)
	v_cmp_ne_u32_e32 vcc_lo, 0, v7
	v_cmp_ne_u32_e64 s2, 0, v9
	s_delay_alu instid0(VALU_DEP_1) | instskip(NEXT) | instid1(SALU_CYCLE_1)
	s_and_b32 s2, vcc_lo, s2
	v_cndmask_b32_e64 v7, 0, 1, s2
	s_delay_alu instid0(VALU_DEP_1)
	v_add_nc_u32_e32 v7, v2, v7
; %bb.954:
	s_or_b32 exec_lo, exec_lo, s4
	s_mov_b32 s2, 0
	global_store_b8 v[5:6], v7, off
.LBB39_955:
	s_mov_b32 s4, 0
.LBB39_956:
	s_delay_alu instid0(SALU_CYCLE_1)
	s_and_b32 vcc_lo, exec_lo, s4
	s_cbranch_vccz .LBB39_959
; %bb.957:
	v_cmp_eq_u16_e32 vcc_lo, 29, v8
	s_mov_b32 s2, -1
	s_cbranch_vccz .LBB39_959
; %bb.958:
	s_mov_b32 s2, 0
	global_store_b64 v[5:6], v[3:4], off
.LBB39_959:
	s_mov_b32 s4, 0
.LBB39_960:
	s_delay_alu instid0(SALU_CYCLE_1)
	s_and_b32 vcc_lo, exec_lo, s4
	s_cbranch_vccz .LBB39_975
; %bb.961:
	v_cmp_gt_i16_e32 vcc_lo, 27, v8
	s_mov_b32 s4, -1
	s_cbranch_vccnz .LBB39_967
; %bb.962:
	v_cmp_lt_i16_e32 vcc_lo, 27, v8
	s_cbranch_vccz .LBB39_964
; %bb.963:
	s_mov_b32 s4, 0
	global_store_b32 v[5:6], v3, off
.LBB39_964:
	s_and_not1_b32 vcc_lo, exec_lo, s4
	s_cbranch_vccnz .LBB39_966
; %bb.965:
	global_store_b16 v[5:6], v3, off
.LBB39_966:
	s_mov_b32 s4, 0
.LBB39_967:
	s_delay_alu instid0(SALU_CYCLE_1)
	s_and_not1_b32 vcc_lo, exec_lo, s4
	s_cbranch_vccnz .LBB39_975
; %bb.968:
	v_xor_b32_e32 v2, v3, v4
	v_cls_i32_e32 v7, v4
	s_mov_b32 s4, exec_lo
	s_delay_alu instid0(VALU_DEP_2) | instskip(NEXT) | instid1(VALU_DEP_2)
	v_ashrrev_i32_e32 v2, 31, v2
	v_add_nc_u32_e32 v7, -1, v7
	s_delay_alu instid0(VALU_DEP_2) | instskip(NEXT) | instid1(VALU_DEP_1)
	v_add_nc_u32_e32 v2, 32, v2
	v_min_u32_e32 v2, v7, v2
	s_delay_alu instid0(VALU_DEP_1) | instskip(SKIP_1) | instid1(VALU_DEP_2)
	v_lshlrev_b64 v[9:10], v2, v[3:4]
	v_sub_nc_u32_e32 v2, 32, v2
	v_min_u32_e32 v7, 1, v9
	v_mov_b32_e32 v9, 0x80
	s_delay_alu instid0(VALU_DEP_2) | instskip(NEXT) | instid1(VALU_DEP_1)
	v_or_b32_e32 v7, v10, v7
	v_cvt_f32_i32_e32 v7, v7
	s_delay_alu instid0(VALU_DEP_1) | instskip(NEXT) | instid1(VALU_DEP_1)
	v_ldexp_f32 v2, v7, v2
	v_and_b32_e32 v7, 0x7fffffff, v2
	s_delay_alu instid0(VALU_DEP_1)
	v_cmpx_gt_u32_e32 0x43800000, v7
	s_cbranch_execz .LBB39_974
; %bb.969:
	v_cmp_lt_u32_e32 vcc_lo, 0x3bffffff, v7
	s_mov_b32 s5, 0
                                        ; implicit-def: $vgpr7
	s_and_saveexec_b32 s7, vcc_lo
	s_delay_alu instid0(SALU_CYCLE_1)
	s_xor_b32 s7, exec_lo, s7
	s_cbranch_execz .LBB39_1258
; %bb.970:
	v_bfe_u32 v7, v2, 20, 1
	s_mov_b32 s5, exec_lo
	s_delay_alu instid0(VALU_DEP_1) | instskip(NEXT) | instid1(VALU_DEP_1)
	v_add3_u32 v7, v2, v7, 0x487ffff
	v_lshrrev_b32_e32 v7, 20, v7
	s_or_saveexec_b32 s7, s7
                                        ; implicit-def: $sgpr8
	s_delay_alu instid0(SALU_CYCLE_1)
	s_xor_b32 exec_lo, exec_lo, s7
	s_cbranch_execnz .LBB39_1259
.LBB39_971:
	s_or_b32 exec_lo, exec_lo, s7
	v_mov_b32_e32 v9, s8
	s_and_saveexec_b32 s7, s5
.LBB39_972:
	v_lshrrev_b32_e32 v2, 24, v2
	s_delay_alu instid0(VALU_DEP_1)
	v_and_or_b32 v9, 0x80, v2, v7
.LBB39_973:
	s_or_b32 exec_lo, exec_lo, s7
.LBB39_974:
	s_delay_alu instid0(SALU_CYCLE_1)
	s_or_b32 exec_lo, exec_lo, s4
	global_store_b8 v[5:6], v9, off
.LBB39_975:
	s_mov_b32 s4, 0
.LBB39_976:
	s_delay_alu instid0(SALU_CYCLE_1)
	s_and_b32 vcc_lo, exec_lo, s4
	s_mov_b32 s4, 0
	s_cbranch_vccz .LBB39_1016
; %bb.977:
	v_cmp_lt_i16_e32 vcc_lo, 22, v8
	s_mov_b32 s5, -1
	s_cbranch_vccz .LBB39_1009
; %bb.978:
	v_cmp_gt_i16_e32 vcc_lo, 24, v8
	s_cbranch_vccnz .LBB39_998
; %bb.979:
	v_cmp_lt_i16_e32 vcc_lo, 24, v8
	s_cbranch_vccz .LBB39_987
; %bb.980:
	v_xor_b32_e32 v2, v3, v4
	v_cls_i32_e32 v7, v4
	s_mov_b32 s5, exec_lo
	s_delay_alu instid0(VALU_DEP_2) | instskip(NEXT) | instid1(VALU_DEP_2)
	v_ashrrev_i32_e32 v2, 31, v2
	v_add_nc_u32_e32 v7, -1, v7
	s_delay_alu instid0(VALU_DEP_2) | instskip(NEXT) | instid1(VALU_DEP_1)
	v_add_nc_u32_e32 v2, 32, v2
	v_min_u32_e32 v2, v7, v2
	s_delay_alu instid0(VALU_DEP_1) | instskip(SKIP_1) | instid1(VALU_DEP_2)
	v_lshlrev_b64 v[9:10], v2, v[3:4]
	v_sub_nc_u32_e32 v2, 32, v2
	v_min_u32_e32 v7, 1, v9
	v_mov_b32_e32 v9, 0x80
	s_delay_alu instid0(VALU_DEP_2) | instskip(NEXT) | instid1(VALU_DEP_1)
	v_or_b32_e32 v7, v10, v7
	v_cvt_f32_i32_e32 v7, v7
	s_delay_alu instid0(VALU_DEP_1) | instskip(NEXT) | instid1(VALU_DEP_1)
	v_ldexp_f32 v2, v7, v2
	v_and_b32_e32 v7, 0x7fffffff, v2
	s_delay_alu instid0(VALU_DEP_1)
	v_cmpx_gt_u32_e32 0x47800000, v7
	s_cbranch_execz .LBB39_986
; %bb.981:
	v_cmp_lt_u32_e32 vcc_lo, 0x37ffffff, v7
	s_mov_b32 s7, 0
                                        ; implicit-def: $vgpr7
	s_and_saveexec_b32 s8, vcc_lo
	s_delay_alu instid0(SALU_CYCLE_1)
	s_xor_b32 s8, exec_lo, s8
	s_cbranch_execz .LBB39_1302
; %bb.982:
	v_bfe_u32 v7, v2, 21, 1
	s_mov_b32 s7, exec_lo
	s_delay_alu instid0(VALU_DEP_1) | instskip(NEXT) | instid1(VALU_DEP_1)
	v_add3_u32 v7, v2, v7, 0x88fffff
	v_lshrrev_b32_e32 v7, 21, v7
	s_or_saveexec_b32 s8, s8
                                        ; implicit-def: $sgpr9
	s_delay_alu instid0(SALU_CYCLE_1)
	s_xor_b32 exec_lo, exec_lo, s8
	s_cbranch_execnz .LBB39_1303
.LBB39_983:
	s_or_b32 exec_lo, exec_lo, s8
	v_mov_b32_e32 v9, s9
	s_and_saveexec_b32 s8, s7
.LBB39_984:
	v_lshrrev_b32_e32 v2, 24, v2
	s_delay_alu instid0(VALU_DEP_1)
	v_and_or_b32 v9, 0x80, v2, v7
.LBB39_985:
	s_or_b32 exec_lo, exec_lo, s8
.LBB39_986:
	s_delay_alu instid0(SALU_CYCLE_1)
	s_or_b32 exec_lo, exec_lo, s5
	s_mov_b32 s5, 0
	global_store_b8 v[5:6], v9, off
.LBB39_987:
	s_and_b32 vcc_lo, exec_lo, s5
	s_cbranch_vccz .LBB39_997
; %bb.988:
	v_xor_b32_e32 v2, v3, v4
	v_cls_i32_e32 v7, v4
	s_mov_b32 s5, exec_lo
	s_delay_alu instid0(VALU_DEP_2) | instskip(NEXT) | instid1(VALU_DEP_2)
	v_ashrrev_i32_e32 v2, 31, v2
	v_add_nc_u32_e32 v7, -1, v7
	s_delay_alu instid0(VALU_DEP_2) | instskip(NEXT) | instid1(VALU_DEP_1)
	v_add_nc_u32_e32 v2, 32, v2
	v_min_u32_e32 v2, v7, v2
	s_delay_alu instid0(VALU_DEP_1) | instskip(SKIP_1) | instid1(VALU_DEP_2)
	v_lshlrev_b64 v[9:10], v2, v[3:4]
	v_sub_nc_u32_e32 v2, 32, v2
	v_min_u32_e32 v7, 1, v9
	s_delay_alu instid0(VALU_DEP_1) | instskip(NEXT) | instid1(VALU_DEP_1)
	v_or_b32_e32 v7, v10, v7
	v_cvt_f32_i32_e32 v7, v7
	s_delay_alu instid0(VALU_DEP_1) | instskip(NEXT) | instid1(VALU_DEP_1)
	v_ldexp_f32 v2, v7, v2
                                        ; implicit-def: $vgpr7
	v_and_b32_e32 v9, 0x7fffffff, v2
	s_delay_alu instid0(VALU_DEP_1)
	v_cmpx_gt_u32_e32 0x43f00000, v9
	s_xor_b32 s5, exec_lo, s5
	s_cbranch_execz .LBB39_994
; %bb.989:
	s_mov_b32 s7, exec_lo
                                        ; implicit-def: $vgpr7
	v_cmpx_lt_u32_e32 0x3c7fffff, v9
	s_xor_b32 s7, exec_lo, s7
; %bb.990:
	v_bfe_u32 v7, v2, 20, 1
	s_delay_alu instid0(VALU_DEP_1) | instskip(NEXT) | instid1(VALU_DEP_1)
	v_add3_u32 v7, v2, v7, 0x407ffff
	v_and_b32_e32 v9, 0xff00000, v7
	v_lshrrev_b32_e32 v7, 20, v7
	s_delay_alu instid0(VALU_DEP_2) | instskip(NEXT) | instid1(VALU_DEP_2)
	v_cmp_ne_u32_e32 vcc_lo, 0x7f00000, v9
	v_cndmask_b32_e32 v7, 0x7e, v7, vcc_lo
; %bb.991:
	s_and_not1_saveexec_b32 s7, s7
; %bb.992:
	v_add_f32_e64 v7, 0x46800000, |v2|
; %bb.993:
	s_or_b32 exec_lo, exec_lo, s7
                                        ; implicit-def: $vgpr9
.LBB39_994:
	s_and_not1_saveexec_b32 s5, s5
; %bb.995:
	v_mov_b32_e32 v7, 0x7f
	v_cmp_lt_u32_e32 vcc_lo, 0x7f800000, v9
	s_delay_alu instid0(VALU_DEP_2)
	v_cndmask_b32_e32 v7, 0x7e, v7, vcc_lo
; %bb.996:
	s_or_b32 exec_lo, exec_lo, s5
	v_lshrrev_b32_e32 v2, 24, v2
	s_delay_alu instid0(VALU_DEP_1)
	v_and_or_b32 v2, 0x80, v2, v7
	global_store_b8 v[5:6], v2, off
.LBB39_997:
	s_mov_b32 s5, 0
.LBB39_998:
	s_delay_alu instid0(SALU_CYCLE_1)
	s_and_not1_b32 vcc_lo, exec_lo, s5
	s_cbranch_vccnz .LBB39_1008
; %bb.999:
	v_xor_b32_e32 v2, v3, v4
	v_cls_i32_e32 v7, v4
	s_mov_b32 s5, exec_lo
	s_delay_alu instid0(VALU_DEP_2) | instskip(NEXT) | instid1(VALU_DEP_2)
	v_ashrrev_i32_e32 v2, 31, v2
	v_add_nc_u32_e32 v7, -1, v7
	s_delay_alu instid0(VALU_DEP_2) | instskip(NEXT) | instid1(VALU_DEP_1)
	v_add_nc_u32_e32 v2, 32, v2
	v_min_u32_e32 v2, v7, v2
	s_delay_alu instid0(VALU_DEP_1) | instskip(SKIP_1) | instid1(VALU_DEP_2)
	v_lshlrev_b64 v[9:10], v2, v[3:4]
	v_sub_nc_u32_e32 v2, 32, v2
	v_min_u32_e32 v7, 1, v9
	s_delay_alu instid0(VALU_DEP_1) | instskip(NEXT) | instid1(VALU_DEP_1)
	v_or_b32_e32 v7, v10, v7
	v_cvt_f32_i32_e32 v7, v7
	s_delay_alu instid0(VALU_DEP_1) | instskip(NEXT) | instid1(VALU_DEP_1)
	v_ldexp_f32 v2, v7, v2
                                        ; implicit-def: $vgpr7
	v_and_b32_e32 v9, 0x7fffffff, v2
	s_delay_alu instid0(VALU_DEP_1)
	v_cmpx_gt_u32_e32 0x47800000, v9
	s_xor_b32 s5, exec_lo, s5
	s_cbranch_execz .LBB39_1005
; %bb.1000:
	s_mov_b32 s7, exec_lo
                                        ; implicit-def: $vgpr7
	v_cmpx_lt_u32_e32 0x387fffff, v9
	s_xor_b32 s7, exec_lo, s7
; %bb.1001:
	v_bfe_u32 v7, v2, 21, 1
	s_delay_alu instid0(VALU_DEP_1) | instskip(NEXT) | instid1(VALU_DEP_1)
	v_add3_u32 v7, v2, v7, 0x80fffff
	v_lshrrev_b32_e32 v7, 21, v7
; %bb.1002:
	s_and_not1_saveexec_b32 s7, s7
; %bb.1003:
	v_add_f32_e64 v7, 0x43000000, |v2|
; %bb.1004:
	s_or_b32 exec_lo, exec_lo, s7
                                        ; implicit-def: $vgpr9
.LBB39_1005:
	s_and_not1_saveexec_b32 s5, s5
; %bb.1006:
	v_mov_b32_e32 v7, 0x7f
	v_cmp_lt_u32_e32 vcc_lo, 0x7f800000, v9
	s_delay_alu instid0(VALU_DEP_2)
	v_cndmask_b32_e32 v7, 0x7c, v7, vcc_lo
; %bb.1007:
	s_or_b32 exec_lo, exec_lo, s5
	v_lshrrev_b32_e32 v2, 24, v2
	s_delay_alu instid0(VALU_DEP_1)
	v_and_or_b32 v2, 0x80, v2, v7
	global_store_b8 v[5:6], v2, off
.LBB39_1008:
	s_mov_b32 s5, 0
.LBB39_1009:
	s_delay_alu instid0(SALU_CYCLE_1)
	s_and_not1_b32 vcc_lo, exec_lo, s5
	s_mov_b32 s8, 0
	s_cbranch_vccnz .LBB39_1017
; %bb.1010:
	v_cmp_lt_i16_e32 vcc_lo, 14, v8
	s_mov_b32 s5, -1
	s_cbranch_vccz .LBB39_1014
; %bb.1011:
	v_cmp_eq_u16_e32 vcc_lo, 15, v8
	s_mov_b32 s2, -1
	s_cbranch_vccz .LBB39_1013
; %bb.1012:
	v_xor_b32_e32 v2, v3, v4
	v_cls_i32_e32 v7, v4
	s_mov_b32 s2, 0
	s_delay_alu instid0(VALU_DEP_2) | instskip(NEXT) | instid1(VALU_DEP_2)
	v_ashrrev_i32_e32 v2, 31, v2
	v_add_nc_u32_e32 v7, -1, v7
	s_delay_alu instid0(VALU_DEP_2) | instskip(NEXT) | instid1(VALU_DEP_1)
	v_add_nc_u32_e32 v2, 32, v2
	v_min_u32_e32 v2, v7, v2
	s_delay_alu instid0(VALU_DEP_1) | instskip(SKIP_1) | instid1(VALU_DEP_2)
	v_lshlrev_b64 v[9:10], v2, v[3:4]
	v_sub_nc_u32_e32 v2, 32, v2
	v_min_u32_e32 v7, 1, v9
	s_delay_alu instid0(VALU_DEP_1) | instskip(NEXT) | instid1(VALU_DEP_1)
	v_or_b32_e32 v7, v10, v7
	v_cvt_f32_i32_e32 v7, v7
	s_delay_alu instid0(VALU_DEP_1) | instskip(NEXT) | instid1(VALU_DEP_1)
	v_ldexp_f32 v2, v7, v2
	v_bfe_u32 v7, v2, 16, 1
	s_delay_alu instid0(VALU_DEP_1)
	v_add3_u32 v2, v2, v7, 0x7fff
	global_store_d16_hi_b16 v[5:6], v2, off
.LBB39_1013:
	s_mov_b32 s5, 0
.LBB39_1014:
	s_delay_alu instid0(SALU_CYCLE_1)
	s_and_b32 vcc_lo, exec_lo, s5
	s_cbranch_vccz .LBB39_1017
; %bb.1015:
	v_cmp_ne_u16_e32 vcc_lo, 11, v8
	s_and_not1_b32 s2, s2, exec_lo
	s_mov_b32 s8, -1
	s_and_b32 s5, vcc_lo, exec_lo
	s_delay_alu instid0(SALU_CYCLE_1)
	s_or_b32 s2, s2, s5
	s_branch .LBB39_1017
.LBB39_1016:
	s_mov_b32 s8, 0
.LBB39_1017:
	s_and_b32 s7, s4, exec_lo
	s_and_not1_b32 s4, s34, exec_lo
	s_and_b32 s2, s2, exec_lo
	s_and_b32 s8, s8, exec_lo
	s_or_b32 s34, s4, s2
.LBB39_1018:
	s_or_b32 exec_lo, exec_lo, s6
	s_and_saveexec_b32 s2, s34
	s_cbranch_execnz .LBB39_1132
; %bb.1019:
	s_or_b32 exec_lo, exec_lo, s2
	s_and_saveexec_b32 s2, s8
	s_delay_alu instid0(SALU_CYCLE_1)
	s_xor_b32 s2, exec_lo, s2
	s_cbranch_execz .LBB39_1021
.LBB39_1020:
	s_waitcnt vmcnt(0)
	s_delay_alu instid0(VALU_DEP_1)
	v_cmp_ne_u64_e32 vcc_lo, -1, v[0:1]
	v_cndmask_b32_e64 v0, 0, 1, vcc_lo
	global_store_b8 v[5:6], v0, off
.LBB39_1021:
	s_or_b32 exec_lo, exec_lo, s2
	s_and_saveexec_b32 s2, s7
	s_delay_alu instid0(SALU_CYCLE_1)
	s_xor_b32 s2, exec_lo, s2
	s_cbranch_execz .LBB39_1059
; %bb.1022:
	v_cmp_gt_i16_e32 vcc_lo, 5, v8
	s_mov_b32 s4, -1
	s_cbranch_vccnz .LBB39_1043
; %bb.1023:
	v_cmp_gt_i16_e32 vcc_lo, 8, v8
	s_cbranch_vccnz .LBB39_1033
; %bb.1024:
	v_cmp_gt_i16_e32 vcc_lo, 9, v8
	s_cbranch_vccnz .LBB39_1030
; %bb.1025:
	v_cmp_lt_i16_e32 vcc_lo, 9, v8
	s_cbranch_vccz .LBB39_1027
; %bb.1026:
	s_waitcnt vmcnt(0)
	v_cvt_f64_i32_e32 v[0:1], v4
	v_cvt_f64_u32_e32 v[9:10], v3
	v_mov_b32_e32 v11, 0
	s_mov_b32 s4, 0
	s_delay_alu instid0(VALU_DEP_1) | instskip(NEXT) | instid1(VALU_DEP_4)
	v_mov_b32_e32 v12, v11
	v_ldexp_f64 v[0:1], v[0:1], 32
	s_delay_alu instid0(VALU_DEP_1)
	v_add_f64 v[9:10], v[0:1], v[9:10]
	global_store_b128 v[5:6], v[9:12], off
.LBB39_1027:
	s_and_not1_b32 vcc_lo, exec_lo, s4
	s_cbranch_vccnz .LBB39_1029
; %bb.1028:
	s_waitcnt vmcnt(0)
	v_xor_b32_e32 v0, v3, v4
	v_cls_i32_e32 v1, v4
	s_delay_alu instid0(VALU_DEP_2) | instskip(NEXT) | instid1(VALU_DEP_2)
	v_ashrrev_i32_e32 v0, 31, v0
	v_add_nc_u32_e32 v1, -1, v1
	s_delay_alu instid0(VALU_DEP_2) | instskip(NEXT) | instid1(VALU_DEP_1)
	v_add_nc_u32_e32 v0, 32, v0
	v_min_u32_e32 v2, v1, v0
	s_delay_alu instid0(VALU_DEP_1) | instskip(NEXT) | instid1(VALU_DEP_1)
	v_lshlrev_b64 v[0:1], v2, v[3:4]
	v_min_u32_e32 v0, 1, v0
	s_delay_alu instid0(VALU_DEP_1) | instskip(SKIP_1) | instid1(VALU_DEP_2)
	v_or_b32_e32 v0, v1, v0
	v_sub_nc_u32_e32 v1, 32, v2
	v_cvt_f32_i32_e32 v0, v0
	s_delay_alu instid0(VALU_DEP_1)
	v_ldexp_f32 v0, v0, v1
	v_mov_b32_e32 v1, 0
	global_store_b64 v[5:6], v[0:1], off
.LBB39_1029:
	s_mov_b32 s4, 0
.LBB39_1030:
	s_delay_alu instid0(SALU_CYCLE_1)
	s_and_not1_b32 vcc_lo, exec_lo, s4
	s_cbranch_vccnz .LBB39_1032
; %bb.1031:
	s_waitcnt vmcnt(0)
	v_xor_b32_e32 v0, v3, v4
	v_cls_i32_e32 v1, v4
	s_delay_alu instid0(VALU_DEP_2) | instskip(NEXT) | instid1(VALU_DEP_2)
	v_ashrrev_i32_e32 v0, 31, v0
	v_add_nc_u32_e32 v1, -1, v1
	s_delay_alu instid0(VALU_DEP_2) | instskip(NEXT) | instid1(VALU_DEP_1)
	v_add_nc_u32_e32 v0, 32, v0
	v_min_u32_e32 v2, v1, v0
	s_delay_alu instid0(VALU_DEP_1) | instskip(NEXT) | instid1(VALU_DEP_1)
	v_lshlrev_b64 v[0:1], v2, v[3:4]
	v_min_u32_e32 v0, 1, v0
	s_delay_alu instid0(VALU_DEP_1) | instskip(SKIP_1) | instid1(VALU_DEP_2)
	v_or_b32_e32 v0, v1, v0
	v_sub_nc_u32_e32 v1, 32, v2
	v_cvt_f32_i32_e32 v0, v0
	s_delay_alu instid0(VALU_DEP_1) | instskip(NEXT) | instid1(VALU_DEP_1)
	v_ldexp_f32 v0, v0, v1
	v_cvt_f16_f32_e32 v0, v0
	s_delay_alu instid0(VALU_DEP_1)
	v_and_b32_e32 v0, 0xffff, v0
	global_store_b32 v[5:6], v0, off
.LBB39_1032:
	s_mov_b32 s4, 0
.LBB39_1033:
	s_delay_alu instid0(SALU_CYCLE_1)
	s_and_not1_b32 vcc_lo, exec_lo, s4
	s_cbranch_vccnz .LBB39_1042
; %bb.1034:
	v_cmp_gt_i16_e32 vcc_lo, 6, v8
	s_mov_b32 s4, -1
	s_cbranch_vccnz .LBB39_1040
; %bb.1035:
	v_cmp_lt_i16_e32 vcc_lo, 6, v8
	s_cbranch_vccz .LBB39_1037
; %bb.1036:
	s_waitcnt vmcnt(0)
	v_cvt_f64_i32_e32 v[0:1], v4
	v_cvt_f64_u32_e32 v[9:10], v3
	s_mov_b32 s4, 0
	s_delay_alu instid0(VALU_DEP_2) | instskip(NEXT) | instid1(VALU_DEP_1)
	v_ldexp_f64 v[0:1], v[0:1], 32
	v_add_f64 v[0:1], v[0:1], v[9:10]
	global_store_b64 v[5:6], v[0:1], off
.LBB39_1037:
	s_and_not1_b32 vcc_lo, exec_lo, s4
	s_cbranch_vccnz .LBB39_1039
; %bb.1038:
	s_waitcnt vmcnt(0)
	v_xor_b32_e32 v0, v3, v4
	v_cls_i32_e32 v1, v4
	s_delay_alu instid0(VALU_DEP_2) | instskip(NEXT) | instid1(VALU_DEP_2)
	v_ashrrev_i32_e32 v0, 31, v0
	v_add_nc_u32_e32 v1, -1, v1
	s_delay_alu instid0(VALU_DEP_2) | instskip(NEXT) | instid1(VALU_DEP_1)
	v_add_nc_u32_e32 v0, 32, v0
	v_min_u32_e32 v2, v1, v0
	s_delay_alu instid0(VALU_DEP_1) | instskip(NEXT) | instid1(VALU_DEP_1)
	v_lshlrev_b64 v[0:1], v2, v[3:4]
	v_min_u32_e32 v0, 1, v0
	s_delay_alu instid0(VALU_DEP_1) | instskip(SKIP_1) | instid1(VALU_DEP_2)
	v_or_b32_e32 v0, v1, v0
	v_sub_nc_u32_e32 v1, 32, v2
	v_cvt_f32_i32_e32 v0, v0
	s_delay_alu instid0(VALU_DEP_1)
	v_ldexp_f32 v0, v0, v1
	global_store_b32 v[5:6], v0, off
.LBB39_1039:
	s_mov_b32 s4, 0
.LBB39_1040:
	s_delay_alu instid0(SALU_CYCLE_1)
	s_and_not1_b32 vcc_lo, exec_lo, s4
	s_cbranch_vccnz .LBB39_1042
; %bb.1041:
	s_waitcnt vmcnt(0)
	v_xor_b32_e32 v0, v3, v4
	v_cls_i32_e32 v1, v4
	s_delay_alu instid0(VALU_DEP_2) | instskip(NEXT) | instid1(VALU_DEP_2)
	v_ashrrev_i32_e32 v0, 31, v0
	v_add_nc_u32_e32 v1, -1, v1
	s_delay_alu instid0(VALU_DEP_2) | instskip(NEXT) | instid1(VALU_DEP_1)
	v_add_nc_u32_e32 v0, 32, v0
	v_min_u32_e32 v2, v1, v0
	s_delay_alu instid0(VALU_DEP_1) | instskip(NEXT) | instid1(VALU_DEP_1)
	v_lshlrev_b64 v[0:1], v2, v[3:4]
	v_min_u32_e32 v0, 1, v0
	s_delay_alu instid0(VALU_DEP_1) | instskip(SKIP_1) | instid1(VALU_DEP_2)
	v_or_b32_e32 v0, v1, v0
	v_sub_nc_u32_e32 v1, 32, v2
	v_cvt_f32_i32_e32 v0, v0
	s_delay_alu instid0(VALU_DEP_1) | instskip(NEXT) | instid1(VALU_DEP_1)
	v_ldexp_f32 v0, v0, v1
	v_cvt_f16_f32_e32 v0, v0
	global_store_b16 v[5:6], v0, off
.LBB39_1042:
	s_mov_b32 s4, 0
.LBB39_1043:
	s_delay_alu instid0(SALU_CYCLE_1)
	s_and_not1_b32 vcc_lo, exec_lo, s4
	s_cbranch_vccnz .LBB39_1059
; %bb.1044:
	v_cmp_gt_i16_e32 vcc_lo, 2, v8
	s_mov_b32 s4, -1
	s_cbranch_vccnz .LBB39_1054
; %bb.1045:
	v_cmp_gt_i16_e32 vcc_lo, 3, v8
	s_cbranch_vccnz .LBB39_1051
; %bb.1046:
	v_cmp_lt_i16_e32 vcc_lo, 3, v8
	s_cbranch_vccz .LBB39_1048
; %bb.1047:
	s_mov_b32 s4, 0
	global_store_b64 v[5:6], v[3:4], off
.LBB39_1048:
	s_and_not1_b32 vcc_lo, exec_lo, s4
	s_cbranch_vccnz .LBB39_1050
; %bb.1049:
	global_store_b32 v[5:6], v3, off
.LBB39_1050:
	s_mov_b32 s4, 0
.LBB39_1051:
	s_delay_alu instid0(SALU_CYCLE_1)
	s_and_not1_b32 vcc_lo, exec_lo, s4
	s_cbranch_vccnz .LBB39_1053
; %bb.1052:
	global_store_b16 v[5:6], v3, off
.LBB39_1053:
	s_mov_b32 s4, 0
.LBB39_1054:
	s_delay_alu instid0(SALU_CYCLE_1)
	s_and_not1_b32 vcc_lo, exec_lo, s4
	s_cbranch_vccnz .LBB39_1059
; %bb.1055:
	v_cmp_lt_i16_e32 vcc_lo, 0, v8
	s_mov_b32 s4, -1
	s_cbranch_vccz .LBB39_1057
; %bb.1056:
	s_mov_b32 s4, 0
	global_store_b8 v[5:6], v3, off
.LBB39_1057:
	s_and_not1_b32 vcc_lo, exec_lo, s4
	s_cbranch_vccnz .LBB39_1059
; %bb.1058:
	global_store_b8 v[5:6], v3, off
.LBB39_1059:
	s_or_b32 exec_lo, exec_lo, s2
	s_delay_alu instid0(SALU_CYCLE_1)
	s_and_b32 s8, s3, exec_lo
                                        ; implicit-def: $vgpr7
                                        ; implicit-def: $vgpr9
.LBB39_1060:
	s_or_saveexec_b32 s9, s28
	s_mov_b32 s3, 0
                                        ; implicit-def: $vgpr0_vgpr1
                                        ; implicit-def: $vgpr16
                                        ; implicit-def: $vgpr2_vgpr3
                                        ; implicit-def: $vgpr4_vgpr5
	s_xor_b32 exec_lo, exec_lo, s9
	s_cbranch_execz .LBB39_1432
; %bb.1061:
	s_waitcnt vmcnt(0)
	v_cndmask_b32_e64 v0, 0, 1, s27
	s_and_not1_b32 vcc_lo, exec_lo, s27
	s_cbranch_vccnz .LBB39_1067
; %bb.1062:
	v_dual_mov_b32 v3, 0 :: v_dual_mov_b32 v6, 0
	s_cmp_lg_u32 s24, 0
	s_mov_b32 s6, 0
	s_cbranch_scc0 .LBB39_1071
; %bb.1063:
	s_min_u32 s7, s25, 15
	v_mov_b32_e32 v3, 0
	s_add_i32 s7, s7, 1
	s_cmp_eq_u32 s25, 2
	s_mov_b32 s10, 0
	s_cbranch_scc1 .LBB39_1068
; %bb.1064:
	v_dual_mov_b32 v6, 0 :: v_dual_mov_b32 v3, 0
	v_mov_b32_e32 v1, v9
	s_add_u32 s2, s16, 0xc4
	s_addc_u32 s3, s17, 0
	s_and_b32 s10, s7, 28
	s_mov_b32 s11, 0
	s_mov_b64 s[4:5], s[16:17]
.LBB39_1065:                            ; =>This Inner Loop Header: Depth=1
	s_clause 0x1
	s_load_b256 s[36:43], s[4:5], 0x4
	s_load_b128 s[12:15], s[4:5], 0x24
	s_load_b256 s[44:51], s[2:3], 0x0
	s_add_u32 s4, s4, 48
	s_addc_u32 s5, s5, 0
	s_add_i32 s11, s11, 4
	s_add_u32 s2, s2, 32
	s_addc_u32 s3, s3, 0
	s_cmp_lg_u32 s10, s11
	s_waitcnt lgkmcnt(0)
	v_mul_hi_u32 v2, s37, v1
	s_delay_alu instid0(VALU_DEP_1) | instskip(NEXT) | instid1(VALU_DEP_1)
	v_add_nc_u32_e32 v2, v1, v2
	v_lshrrev_b32_e32 v2, s38, v2
	s_delay_alu instid0(VALU_DEP_1) | instskip(SKIP_1) | instid1(VALU_DEP_2)
	v_mul_hi_u32 v4, s40, v2
	v_mul_lo_u32 v8, v2, s36
	v_add_nc_u32_e32 v4, v2, v4
	s_delay_alu instid0(VALU_DEP_2) | instskip(NEXT) | instid1(VALU_DEP_2)
	v_sub_nc_u32_e32 v1, v1, v8
	v_lshrrev_b32_e32 v4, s41, v4
	s_delay_alu instid0(VALU_DEP_2) | instskip(SKIP_1) | instid1(VALU_DEP_3)
	v_mul_lo_u32 v8, v1, s44
	v_mul_lo_u32 v11, v1, s45
	v_mul_hi_u32 v5, s43, v4
	s_delay_alu instid0(VALU_DEP_1) | instskip(NEXT) | instid1(VALU_DEP_1)
	v_add_nc_u32_e32 v5, v4, v5
	v_lshrrev_b32_e32 v5, s12, v5
	s_delay_alu instid0(VALU_DEP_1) | instskip(SKIP_1) | instid1(VALU_DEP_2)
	v_mul_hi_u32 v10, s14, v5
	v_mul_lo_u32 v12, v5, s42
	v_add_nc_u32_e32 v1, v5, v10
	v_mul_lo_u32 v10, v4, s39
	s_delay_alu instid0(VALU_DEP_3) | instskip(NEXT) | instid1(VALU_DEP_3)
	v_sub_nc_u32_e32 v4, v4, v12
	v_lshrrev_b32_e32 v1, s15, v1
	s_delay_alu instid0(VALU_DEP_2) | instskip(SKIP_2) | instid1(VALU_DEP_4)
	v_mul_lo_u32 v12, v4, s48
	v_mul_lo_u32 v4, v4, s49
	v_sub_nc_u32_e32 v2, v2, v10
	v_mul_lo_u32 v13, v1, s13
	s_delay_alu instid0(VALU_DEP_2) | instskip(SKIP_1) | instid1(VALU_DEP_3)
	v_mul_lo_u32 v10, v2, s46
	v_mul_lo_u32 v2, v2, s47
	v_sub_nc_u32_e32 v5, v5, v13
	s_delay_alu instid0(VALU_DEP_3) | instskip(NEXT) | instid1(VALU_DEP_2)
	v_add3_u32 v3, v8, v3, v10
	v_mul_lo_u32 v13, v5, s50
	v_mul_lo_u32 v5, v5, s51
	v_add3_u32 v2, v11, v6, v2
	s_delay_alu instid0(VALU_DEP_3) | instskip(NEXT) | instid1(VALU_DEP_2)
	v_add3_u32 v3, v12, v3, v13
	v_add3_u32 v6, v4, v2, v5
	s_cbranch_scc1 .LBB39_1065
; %bb.1066:
	s_and_b32 s7, s7, 3
	s_delay_alu instid0(SALU_CYCLE_1)
	s_cmp_eq_u32 s7, 0
	s_cbranch_scc0 .LBB39_1069
	s_branch .LBB39_1071
.LBB39_1067:
	s_mov_b32 s6, -1
                                        ; implicit-def: $vgpr3
                                        ; implicit-def: $vgpr6
	s_branch .LBB39_1071
.LBB39_1068:
	v_dual_mov_b32 v1, v9 :: v_dual_mov_b32 v6, 0
	s_and_b32 s7, s7, 3
	s_delay_alu instid0(SALU_CYCLE_1)
	s_cmp_eq_u32 s7, 0
	s_cbranch_scc1 .LBB39_1071
.LBB39_1069:
	s_lshl_b32 s2, s10, 3
	s_mul_i32 s4, s10, 12
	s_add_u32 s2, s2, s16
	s_addc_u32 s3, 0, s17
	s_add_u32 s2, s2, 0xc4
	s_addc_u32 s3, s3, 0
	s_add_u32 s4, s16, s4
	s_addc_u32 s5, 0, s17
	.p2align	6
.LBB39_1070:                            ; =>This Inner Loop Header: Depth=1
	s_clause 0x1
	s_load_b64 s[10:11], s[4:5], 0x4
	s_load_b32 s14, s[4:5], 0xc
	s_load_b64 s[12:13], s[2:3], 0x0
	s_add_u32 s4, s4, 12
	s_addc_u32 s5, s5, 0
	s_add_u32 s2, s2, 8
	s_addc_u32 s3, s3, 0
	s_add_i32 s7, s7, -1
	s_delay_alu instid0(SALU_CYCLE_1) | instskip(SKIP_2) | instid1(VALU_DEP_1)
	s_cmp_lg_u32 s7, 0
	s_waitcnt lgkmcnt(0)
	v_mul_hi_u32 v2, s11, v1
	v_add_nc_u32_e32 v2, v1, v2
	s_delay_alu instid0(VALU_DEP_1) | instskip(NEXT) | instid1(VALU_DEP_1)
	v_lshrrev_b32_e32 v8, s14, v2
	v_mul_lo_u32 v2, v8, s10
	s_delay_alu instid0(VALU_DEP_1) | instskip(NEXT) | instid1(VALU_DEP_1)
	v_sub_nc_u32_e32 v1, v1, v2
	v_mad_u64_u32 v[4:5], null, v1, s12, v[3:4]
	v_mad_u64_u32 v[2:3], null, v1, s13, v[6:7]
	v_mov_b32_e32 v1, v8
	s_delay_alu instid0(VALU_DEP_2)
	v_dual_mov_b32 v3, v4 :: v_dual_mov_b32 v6, v2
	s_cbranch_scc1 .LBB39_1070
.LBB39_1071:
	s_and_not1_b32 vcc_lo, exec_lo, s6
	s_cbranch_vccnz .LBB39_1074
; %bb.1072:
	s_clause 0x1
	s_load_b128 s[4:7], s[16:17], 0x4
	s_load_b64 s[2:3], s[16:17], 0xc4
	s_cmp_lt_u32 s24, 2
	s_waitcnt lgkmcnt(0)
	v_mul_hi_u32 v1, s5, v9
	s_delay_alu instid0(VALU_DEP_1) | instskip(NEXT) | instid1(VALU_DEP_1)
	v_add_nc_u32_e32 v1, v9, v1
	v_lshrrev_b32_e32 v1, s6, v1
	s_delay_alu instid0(VALU_DEP_1) | instskip(NEXT) | instid1(VALU_DEP_1)
	v_mul_lo_u32 v2, v1, s4
	v_sub_nc_u32_e32 v2, v9, v2
	s_delay_alu instid0(VALU_DEP_1)
	v_mul_lo_u32 v3, v2, s2
	v_mul_lo_u32 v6, v2, s3
	s_cbranch_scc1 .LBB39_1074
; %bb.1073:
	s_clause 0x1
	s_load_b128 s[4:7], s[16:17], 0x10
	s_load_b64 s[2:3], s[16:17], 0xcc
	s_waitcnt lgkmcnt(0)
	v_mul_hi_u32 v2, s5, v1
	s_delay_alu instid0(VALU_DEP_1) | instskip(NEXT) | instid1(VALU_DEP_1)
	v_add_nc_u32_e32 v2, v1, v2
	v_lshrrev_b32_e32 v2, s6, v2
	s_delay_alu instid0(VALU_DEP_1) | instskip(NEXT) | instid1(VALU_DEP_1)
	v_mul_lo_u32 v2, v2, s4
	v_sub_nc_u32_e32 v4, v1, v2
	s_delay_alu instid0(VALU_DEP_1) | instskip(SKIP_1) | instid1(VALU_DEP_1)
	v_mad_u64_u32 v[1:2], null, v4, s2, v[3:4]
	v_mad_u64_u32 v[2:3], null, v4, s3, v[6:7]
	v_dual_mov_b32 v3, v1 :: v_dual_mov_b32 v6, v2
.LBB39_1074:
	v_cmp_ne_u32_e32 vcc_lo, 1, v0
	v_add_nc_u32_e32 v1, 0x80, v9
	s_cbranch_vccnz .LBB39_1080
; %bb.1075:
	v_mov_b32_e32 v2, 0
	v_mov_b32_e32 v8, 0
	s_cmp_lg_u32 s24, 0
	s_mov_b32 s6, 0
	s_cbranch_scc0 .LBB39_1084
; %bb.1076:
	s_min_u32 s7, s25, 15
	v_mov_b32_e32 v2, 0
	s_add_i32 s7, s7, 1
	s_cmp_eq_u32 s25, 2
	s_mov_b32 s10, 0
	s_cbranch_scc1 .LBB39_1081
; %bb.1077:
	v_mov_b32_e32 v8, 0
	v_mov_b32_e32 v2, 0
	;; [unrolled: 1-line block ×3, first 2 shown]
	s_add_u32 s2, s16, 0xc4
	s_addc_u32 s3, s17, 0
	s_and_b32 s10, s7, 28
	s_mov_b32 s11, 0
	s_mov_b64 s[4:5], s[16:17]
.LBB39_1078:                            ; =>This Inner Loop Header: Depth=1
	s_clause 0x1
	s_load_b256 s[36:43], s[4:5], 0x4
	s_load_b128 s[12:15], s[4:5], 0x24
	s_load_b256 s[44:51], s[2:3], 0x0
	s_add_u32 s4, s4, 48
	s_addc_u32 s5, s5, 0
	s_add_i32 s11, s11, 4
	s_add_u32 s2, s2, 32
	s_addc_u32 s3, s3, 0
	s_cmp_lg_u32 s10, s11
	s_waitcnt lgkmcnt(0)
	v_mul_hi_u32 v5, s37, v4
	s_delay_alu instid0(VALU_DEP_1) | instskip(NEXT) | instid1(VALU_DEP_1)
	v_add_nc_u32_e32 v5, v4, v5
	v_lshrrev_b32_e32 v5, s38, v5
	s_delay_alu instid0(VALU_DEP_1) | instskip(SKIP_1) | instid1(VALU_DEP_2)
	v_mul_hi_u32 v10, s40, v5
	v_mul_lo_u32 v12, v5, s36
	v_add_nc_u32_e32 v10, v5, v10
	s_delay_alu instid0(VALU_DEP_2) | instskip(NEXT) | instid1(VALU_DEP_2)
	v_sub_nc_u32_e32 v4, v4, v12
	v_lshrrev_b32_e32 v10, s41, v10
	s_delay_alu instid0(VALU_DEP_2) | instskip(SKIP_1) | instid1(VALU_DEP_3)
	v_mul_lo_u32 v12, v4, s44
	v_mul_lo_u32 v14, v4, s45
	v_mul_hi_u32 v11, s43, v10
	s_delay_alu instid0(VALU_DEP_1) | instskip(NEXT) | instid1(VALU_DEP_1)
	v_add_nc_u32_e32 v11, v10, v11
	v_lshrrev_b32_e32 v11, s12, v11
	s_delay_alu instid0(VALU_DEP_1) | instskip(SKIP_1) | instid1(VALU_DEP_2)
	v_mul_hi_u32 v13, s14, v11
	v_mul_lo_u32 v15, v11, s42
	v_add_nc_u32_e32 v4, v11, v13
	v_mul_lo_u32 v13, v10, s39
	s_delay_alu instid0(VALU_DEP_3) | instskip(NEXT) | instid1(VALU_DEP_3)
	v_sub_nc_u32_e32 v10, v10, v15
	v_lshrrev_b32_e32 v4, s15, v4
	s_delay_alu instid0(VALU_DEP_2) | instskip(SKIP_2) | instid1(VALU_DEP_4)
	v_mul_lo_u32 v15, v10, s48
	v_mul_lo_u32 v10, v10, s49
	v_sub_nc_u32_e32 v5, v5, v13
	v_mul_lo_u32 v16, v4, s13
	s_delay_alu instid0(VALU_DEP_2) | instskip(SKIP_1) | instid1(VALU_DEP_3)
	v_mul_lo_u32 v13, v5, s46
	v_mul_lo_u32 v5, v5, s47
	v_sub_nc_u32_e32 v11, v11, v16
	s_delay_alu instid0(VALU_DEP_3) | instskip(NEXT) | instid1(VALU_DEP_2)
	v_add3_u32 v2, v12, v2, v13
	v_mul_lo_u32 v16, v11, s50
	v_mul_lo_u32 v11, v11, s51
	v_add3_u32 v5, v14, v8, v5
	s_delay_alu instid0(VALU_DEP_3) | instskip(NEXT) | instid1(VALU_DEP_2)
	v_add3_u32 v2, v15, v2, v16
	v_add3_u32 v8, v10, v5, v11
	s_cbranch_scc1 .LBB39_1078
; %bb.1079:
	s_and_b32 s7, s7, 3
	s_delay_alu instid0(SALU_CYCLE_1)
	s_cmp_eq_u32 s7, 0
	s_cbranch_scc0 .LBB39_1082
	s_branch .LBB39_1084
.LBB39_1080:
	s_mov_b32 s6, -1
                                        ; implicit-def: $vgpr2
                                        ; implicit-def: $vgpr8
	s_branch .LBB39_1084
.LBB39_1081:
	v_mov_b32_e32 v4, v1
	v_mov_b32_e32 v8, 0
	s_and_b32 s7, s7, 3
	s_delay_alu instid0(SALU_CYCLE_1)
	s_cmp_eq_u32 s7, 0
	s_cbranch_scc1 .LBB39_1084
.LBB39_1082:
	s_lshl_b32 s2, s10, 3
	s_mul_i32 s4, s10, 12
	s_add_u32 s2, s2, s16
	s_addc_u32 s3, 0, s17
	s_add_u32 s2, s2, 0xc4
	s_addc_u32 s3, s3, 0
	;; [unrolled: 2-line block ×3, first 2 shown]
	.p2align	6
.LBB39_1083:                            ; =>This Inner Loop Header: Depth=1
	s_clause 0x1
	s_load_b64 s[10:11], s[4:5], 0x4
	s_load_b32 s14, s[4:5], 0xc
	s_load_b64 s[12:13], s[2:3], 0x0
	s_add_u32 s4, s4, 12
	s_addc_u32 s5, s5, 0
	s_add_u32 s2, s2, 8
	s_addc_u32 s3, s3, 0
	s_add_i32 s7, s7, -1
	s_delay_alu instid0(SALU_CYCLE_1) | instskip(SKIP_2) | instid1(VALU_DEP_1)
	s_cmp_lg_u32 s7, 0
	s_waitcnt lgkmcnt(0)
	v_mul_hi_u32 v5, s11, v4
	v_add_nc_u32_e32 v5, v4, v5
	s_delay_alu instid0(VALU_DEP_1) | instskip(NEXT) | instid1(VALU_DEP_1)
	v_lshrrev_b32_e32 v5, s14, v5
	v_mul_lo_u32 v10, v5, s10
	s_delay_alu instid0(VALU_DEP_1) | instskip(NEXT) | instid1(VALU_DEP_1)
	v_sub_nc_u32_e32 v4, v4, v10
	v_mad_u64_u32 v[10:11], null, v4, s12, v[2:3]
	v_mad_u64_u32 v[11:12], null, v4, s13, v[8:9]
	v_mov_b32_e32 v4, v5
	s_delay_alu instid0(VALU_DEP_3) | instskip(NEXT) | instid1(VALU_DEP_3)
	v_mov_b32_e32 v2, v10
	v_mov_b32_e32 v8, v11
	s_cbranch_scc1 .LBB39_1083
.LBB39_1084:
	s_and_not1_b32 vcc_lo, exec_lo, s6
	s_cbranch_vccnz .LBB39_1087
; %bb.1085:
	s_clause 0x1
	s_load_b128 s[4:7], s[16:17], 0x4
	s_load_b64 s[2:3], s[16:17], 0xc4
	s_cmp_lt_u32 s24, 2
	s_waitcnt lgkmcnt(0)
	v_mul_hi_u32 v2, s5, v1
	s_delay_alu instid0(VALU_DEP_1) | instskip(NEXT) | instid1(VALU_DEP_1)
	v_add_nc_u32_e32 v2, v1, v2
	v_lshrrev_b32_e32 v4, s6, v2
	s_delay_alu instid0(VALU_DEP_1) | instskip(NEXT) | instid1(VALU_DEP_1)
	v_mul_lo_u32 v2, v4, s4
	v_sub_nc_u32_e32 v1, v1, v2
	s_delay_alu instid0(VALU_DEP_1)
	v_mul_lo_u32 v2, v1, s2
	v_mul_lo_u32 v8, v1, s3
	s_cbranch_scc1 .LBB39_1087
; %bb.1086:
	s_clause 0x1
	s_load_b128 s[4:7], s[16:17], 0x10
	s_load_b64 s[2:3], s[16:17], 0xcc
	s_waitcnt lgkmcnt(0)
	v_mul_hi_u32 v1, s5, v4
	s_delay_alu instid0(VALU_DEP_1) | instskip(NEXT) | instid1(VALU_DEP_1)
	v_add_nc_u32_e32 v1, v4, v1
	v_lshrrev_b32_e32 v1, s6, v1
	s_delay_alu instid0(VALU_DEP_1) | instskip(NEXT) | instid1(VALU_DEP_1)
	v_mul_lo_u32 v1, v1, s4
	v_sub_nc_u32_e32 v10, v4, v1
	s_delay_alu instid0(VALU_DEP_1) | instskip(SKIP_1) | instid1(VALU_DEP_2)
	v_mad_u64_u32 v[4:5], null, v10, s2, v[2:3]
	v_mad_u64_u32 v[1:2], null, v10, s3, v[8:9]
	v_mov_b32_e32 v2, v4
	s_delay_alu instid0(VALU_DEP_2)
	v_mov_b32_e32 v8, v1
.LBB39_1087:
	v_cmp_ne_u32_e32 vcc_lo, 1, v0
	v_add_nc_u32_e32 v4, 0x100, v9
	s_cbranch_vccnz .LBB39_1093
; %bb.1088:
	v_mov_b32_e32 v1, 0
	v_mov_b32_e32 v5, 0
	s_cmp_lg_u32 s24, 0
	s_mov_b32 s6, 0
	s_cbranch_scc0 .LBB39_1097
; %bb.1089:
	s_min_u32 s7, s25, 15
	v_mov_b32_e32 v1, 0
	s_add_i32 s7, s7, 1
	s_cmp_eq_u32 s25, 2
	s_mov_b32 s10, 0
	s_cbranch_scc1 .LBB39_1094
; %bb.1090:
	v_mov_b32_e32 v5, 0
	v_mov_b32_e32 v1, 0
	;; [unrolled: 1-line block ×3, first 2 shown]
	s_add_u32 s2, s16, 0xc4
	s_addc_u32 s3, s17, 0
	s_and_b32 s10, s7, 28
	s_mov_b32 s11, 0
	s_mov_b64 s[4:5], s[16:17]
.LBB39_1091:                            ; =>This Inner Loop Header: Depth=1
	s_clause 0x1
	s_load_b256 s[36:43], s[4:5], 0x4
	s_load_b128 s[12:15], s[4:5], 0x24
	s_load_b256 s[44:51], s[2:3], 0x0
	s_add_u32 s4, s4, 48
	s_addc_u32 s5, s5, 0
	s_add_i32 s11, s11, 4
	s_add_u32 s2, s2, 32
	s_addc_u32 s3, s3, 0
	s_cmp_lg_u32 s10, s11
	s_waitcnt lgkmcnt(0)
	v_mul_hi_u32 v10, s37, v9
	s_delay_alu instid0(VALU_DEP_1) | instskip(NEXT) | instid1(VALU_DEP_1)
	v_add_nc_u32_e32 v10, v9, v10
	v_lshrrev_b32_e32 v10, s38, v10
	s_delay_alu instid0(VALU_DEP_1) | instskip(SKIP_1) | instid1(VALU_DEP_2)
	v_mul_hi_u32 v11, s40, v10
	v_mul_lo_u32 v13, v10, s36
	v_add_nc_u32_e32 v11, v10, v11
	s_delay_alu instid0(VALU_DEP_2) | instskip(NEXT) | instid1(VALU_DEP_2)
	v_sub_nc_u32_e32 v9, v9, v13
	v_lshrrev_b32_e32 v11, s41, v11
	s_delay_alu instid0(VALU_DEP_2) | instskip(SKIP_1) | instid1(VALU_DEP_3)
	v_mul_lo_u32 v13, v9, s44
	v_mul_lo_u32 v15, v9, s45
	v_mul_hi_u32 v12, s43, v11
	s_delay_alu instid0(VALU_DEP_1) | instskip(NEXT) | instid1(VALU_DEP_1)
	v_add_nc_u32_e32 v12, v11, v12
	v_lshrrev_b32_e32 v12, s12, v12
	s_delay_alu instid0(VALU_DEP_1) | instskip(SKIP_1) | instid1(VALU_DEP_2)
	v_mul_hi_u32 v14, s14, v12
	v_mul_lo_u32 v16, v12, s42
	v_add_nc_u32_e32 v9, v12, v14
	v_mul_lo_u32 v14, v11, s39
	s_delay_alu instid0(VALU_DEP_3) | instskip(NEXT) | instid1(VALU_DEP_3)
	v_sub_nc_u32_e32 v11, v11, v16
	v_lshrrev_b32_e32 v9, s15, v9
	s_delay_alu instid0(VALU_DEP_2) | instskip(SKIP_2) | instid1(VALU_DEP_4)
	v_mul_lo_u32 v16, v11, s48
	v_mul_lo_u32 v11, v11, s49
	v_sub_nc_u32_e32 v10, v10, v14
	v_mul_lo_u32 v17, v9, s13
	s_delay_alu instid0(VALU_DEP_2) | instskip(SKIP_1) | instid1(VALU_DEP_3)
	v_mul_lo_u32 v14, v10, s46
	v_mul_lo_u32 v10, v10, s47
	v_sub_nc_u32_e32 v12, v12, v17
	s_delay_alu instid0(VALU_DEP_3) | instskip(NEXT) | instid1(VALU_DEP_2)
	v_add3_u32 v1, v13, v1, v14
	v_mul_lo_u32 v17, v12, s50
	v_mul_lo_u32 v12, v12, s51
	v_add3_u32 v5, v15, v5, v10
	s_delay_alu instid0(VALU_DEP_3) | instskip(NEXT) | instid1(VALU_DEP_2)
	v_add3_u32 v1, v16, v1, v17
	v_add3_u32 v5, v11, v5, v12
	s_cbranch_scc1 .LBB39_1091
; %bb.1092:
	s_and_b32 s7, s7, 3
	s_delay_alu instid0(SALU_CYCLE_1)
	s_cmp_eq_u32 s7, 0
	s_cbranch_scc0 .LBB39_1095
	s_branch .LBB39_1097
.LBB39_1093:
	s_mov_b32 s6, -1
                                        ; implicit-def: $vgpr1
                                        ; implicit-def: $vgpr5
	s_branch .LBB39_1097
.LBB39_1094:
	v_mov_b32_e32 v9, v4
	v_mov_b32_e32 v5, 0
	s_and_b32 s7, s7, 3
	s_delay_alu instid0(SALU_CYCLE_1)
	s_cmp_eq_u32 s7, 0
	s_cbranch_scc1 .LBB39_1097
.LBB39_1095:
	s_lshl_b32 s2, s10, 3
	s_mul_i32 s4, s10, 12
	s_add_u32 s2, s2, s16
	s_addc_u32 s3, 0, s17
	s_add_u32 s2, s2, 0xc4
	s_addc_u32 s3, s3, 0
	;; [unrolled: 2-line block ×3, first 2 shown]
	.p2align	6
.LBB39_1096:                            ; =>This Inner Loop Header: Depth=1
	s_clause 0x1
	s_load_b64 s[10:11], s[4:5], 0x4
	s_load_b32 s14, s[4:5], 0xc
	s_load_b64 s[12:13], s[2:3], 0x0
	s_add_u32 s4, s4, 12
	s_addc_u32 s5, s5, 0
	s_add_u32 s2, s2, 8
	s_addc_u32 s3, s3, 0
	s_add_i32 s7, s7, -1
	s_delay_alu instid0(SALU_CYCLE_1) | instskip(SKIP_2) | instid1(VALU_DEP_1)
	s_cmp_lg_u32 s7, 0
	s_waitcnt lgkmcnt(0)
	v_mul_hi_u32 v10, s11, v9
	v_add_nc_u32_e32 v10, v9, v10
	s_delay_alu instid0(VALU_DEP_1) | instskip(NEXT) | instid1(VALU_DEP_1)
	v_lshrrev_b32_e32 v13, s14, v10
	v_mul_lo_u32 v10, v13, s10
	s_delay_alu instid0(VALU_DEP_1) | instskip(NEXT) | instid1(VALU_DEP_1)
	v_sub_nc_u32_e32 v9, v9, v10
	v_mad_u64_u32 v[10:11], null, v9, s12, v[1:2]
	v_mad_u64_u32 v[11:12], null, v9, s13, v[5:6]
	v_mov_b32_e32 v9, v13
	s_delay_alu instid0(VALU_DEP_3) | instskip(NEXT) | instid1(VALU_DEP_3)
	v_mov_b32_e32 v1, v10
	v_mov_b32_e32 v5, v11
	s_cbranch_scc1 .LBB39_1096
.LBB39_1097:
	s_and_not1_b32 vcc_lo, exec_lo, s6
	s_cbranch_vccnz .LBB39_1100
; %bb.1098:
	s_clause 0x1
	s_load_b128 s[4:7], s[16:17], 0x4
	s_load_b64 s[2:3], s[16:17], 0xc4
	s_cmp_lt_u32 s24, 2
	s_waitcnt lgkmcnt(0)
	v_mul_hi_u32 v1, s5, v4
	s_delay_alu instid0(VALU_DEP_1) | instskip(NEXT) | instid1(VALU_DEP_1)
	v_add_nc_u32_e32 v1, v4, v1
	v_lshrrev_b32_e32 v9, s6, v1
	s_delay_alu instid0(VALU_DEP_1) | instskip(NEXT) | instid1(VALU_DEP_1)
	v_mul_lo_u32 v1, v9, s4
	v_sub_nc_u32_e32 v4, v4, v1
	s_delay_alu instid0(VALU_DEP_1)
	v_mul_lo_u32 v1, v4, s2
	v_mul_lo_u32 v5, v4, s3
	s_cbranch_scc1 .LBB39_1100
; %bb.1099:
	s_clause 0x1
	s_load_b128 s[4:7], s[16:17], 0x10
	s_load_b64 s[2:3], s[16:17], 0xcc
	s_waitcnt lgkmcnt(0)
	v_mul_hi_u32 v4, s5, v9
	s_delay_alu instid0(VALU_DEP_1) | instskip(NEXT) | instid1(VALU_DEP_1)
	v_add_nc_u32_e32 v4, v9, v4
	v_lshrrev_b32_e32 v4, s6, v4
	s_delay_alu instid0(VALU_DEP_1) | instskip(NEXT) | instid1(VALU_DEP_1)
	v_mul_lo_u32 v4, v4, s4
	v_sub_nc_u32_e32 v4, v9, v4
	s_delay_alu instid0(VALU_DEP_1) | instskip(SKIP_1) | instid1(VALU_DEP_2)
	v_mad_u64_u32 v[9:10], null, v4, s2, v[1:2]
	v_mad_u64_u32 v[10:11], null, v4, s3, v[5:6]
	v_mov_b32_e32 v1, v9
	s_delay_alu instid0(VALU_DEP_2)
	v_mov_b32_e32 v5, v10
.LBB39_1100:
	v_cmp_ne_u32_e32 vcc_lo, 1, v0
	s_cbranch_vccnz .LBB39_1106
; %bb.1101:
	v_mov_b32_e32 v0, 0
	v_mov_b32_e32 v4, 0
	s_cmp_lg_u32 s24, 0
	s_mov_b32 s6, 0
	s_cbranch_scc0 .LBB39_1110
; %bb.1102:
	s_min_u32 s7, s25, 15
	v_mov_b32_e32 v0, 0
	s_add_i32 s7, s7, 1
	s_cmp_eq_u32 s25, 2
	s_mov_b32 s10, 0
	s_cbranch_scc1 .LBB39_1107
; %bb.1103:
	v_dual_mov_b32 v4, 0 :: v_dual_mov_b32 v9, v7
	v_mov_b32_e32 v0, 0
	s_add_u32 s2, s16, 0xc4
	s_addc_u32 s3, s17, 0
	s_and_b32 s10, s7, 28
	s_mov_b32 s11, 0
	s_mov_b64 s[4:5], s[16:17]
.LBB39_1104:                            ; =>This Inner Loop Header: Depth=1
	s_clause 0x1
	s_load_b256 s[36:43], s[4:5], 0x4
	s_load_b128 s[12:15], s[4:5], 0x24
	s_load_b256 s[44:51], s[2:3], 0x0
	s_add_u32 s4, s4, 48
	s_addc_u32 s5, s5, 0
	s_add_i32 s11, s11, 4
	s_add_u32 s2, s2, 32
	s_addc_u32 s3, s3, 0
	s_cmp_lg_u32 s10, s11
	s_waitcnt lgkmcnt(0)
	v_mul_hi_u32 v10, s37, v9
	s_delay_alu instid0(VALU_DEP_1) | instskip(NEXT) | instid1(VALU_DEP_1)
	v_add_nc_u32_e32 v10, v9, v10
	v_lshrrev_b32_e32 v10, s38, v10
	s_delay_alu instid0(VALU_DEP_1) | instskip(SKIP_1) | instid1(VALU_DEP_2)
	v_mul_hi_u32 v11, s40, v10
	v_mul_lo_u32 v13, v10, s36
	v_add_nc_u32_e32 v11, v10, v11
	s_delay_alu instid0(VALU_DEP_2) | instskip(NEXT) | instid1(VALU_DEP_2)
	v_sub_nc_u32_e32 v9, v9, v13
	v_lshrrev_b32_e32 v11, s41, v11
	s_delay_alu instid0(VALU_DEP_2) | instskip(SKIP_1) | instid1(VALU_DEP_3)
	v_mul_lo_u32 v13, v9, s44
	v_mul_lo_u32 v15, v9, s45
	v_mul_hi_u32 v12, s43, v11
	s_delay_alu instid0(VALU_DEP_1) | instskip(NEXT) | instid1(VALU_DEP_1)
	v_add_nc_u32_e32 v12, v11, v12
	v_lshrrev_b32_e32 v12, s12, v12
	s_delay_alu instid0(VALU_DEP_1) | instskip(SKIP_1) | instid1(VALU_DEP_2)
	v_mul_hi_u32 v14, s14, v12
	v_mul_lo_u32 v16, v12, s42
	v_add_nc_u32_e32 v9, v12, v14
	v_mul_lo_u32 v14, v11, s39
	s_delay_alu instid0(VALU_DEP_3) | instskip(NEXT) | instid1(VALU_DEP_3)
	v_sub_nc_u32_e32 v11, v11, v16
	v_lshrrev_b32_e32 v9, s15, v9
	s_delay_alu instid0(VALU_DEP_2) | instskip(SKIP_2) | instid1(VALU_DEP_4)
	v_mul_lo_u32 v16, v11, s48
	v_mul_lo_u32 v11, v11, s49
	v_sub_nc_u32_e32 v10, v10, v14
	v_mul_lo_u32 v17, v9, s13
	s_delay_alu instid0(VALU_DEP_2) | instskip(SKIP_1) | instid1(VALU_DEP_3)
	v_mul_lo_u32 v14, v10, s46
	v_mul_lo_u32 v10, v10, s47
	v_sub_nc_u32_e32 v12, v12, v17
	s_delay_alu instid0(VALU_DEP_3) | instskip(NEXT) | instid1(VALU_DEP_2)
	v_add3_u32 v0, v13, v0, v14
	v_mul_lo_u32 v17, v12, s50
	v_mul_lo_u32 v12, v12, s51
	v_add3_u32 v4, v15, v4, v10
	s_delay_alu instid0(VALU_DEP_3) | instskip(NEXT) | instid1(VALU_DEP_2)
	v_add3_u32 v0, v16, v0, v17
	v_add3_u32 v4, v11, v4, v12
	s_cbranch_scc1 .LBB39_1104
; %bb.1105:
	s_and_b32 s7, s7, 3
	s_delay_alu instid0(SALU_CYCLE_1)
	s_cmp_eq_u32 s7, 0
	s_cbranch_scc0 .LBB39_1108
	s_branch .LBB39_1110
.LBB39_1106:
	s_mov_b32 s6, -1
                                        ; implicit-def: $vgpr0
                                        ; implicit-def: $vgpr4
	s_branch .LBB39_1110
.LBB39_1107:
	v_dual_mov_b32 v9, v7 :: v_dual_mov_b32 v4, 0
	s_and_b32 s7, s7, 3
	s_delay_alu instid0(SALU_CYCLE_1)
	s_cmp_eq_u32 s7, 0
	s_cbranch_scc1 .LBB39_1110
.LBB39_1108:
	s_lshl_b32 s2, s10, 3
	s_mul_i32 s4, s10, 12
	s_add_u32 s2, s2, s16
	s_addc_u32 s3, 0, s17
	s_add_u32 s2, s2, 0xc4
	s_addc_u32 s3, s3, 0
	;; [unrolled: 2-line block ×3, first 2 shown]
	.p2align	6
.LBB39_1109:                            ; =>This Inner Loop Header: Depth=1
	s_clause 0x1
	s_load_b64 s[10:11], s[4:5], 0x4
	s_load_b32 s14, s[4:5], 0xc
	s_load_b64 s[12:13], s[2:3], 0x0
	s_add_u32 s4, s4, 12
	s_addc_u32 s5, s5, 0
	s_add_u32 s2, s2, 8
	s_addc_u32 s3, s3, 0
	s_add_i32 s7, s7, -1
	s_delay_alu instid0(SALU_CYCLE_1) | instskip(SKIP_2) | instid1(VALU_DEP_1)
	s_cmp_lg_u32 s7, 0
	s_waitcnt lgkmcnt(0)
	v_mul_hi_u32 v10, s11, v9
	v_add_nc_u32_e32 v10, v9, v10
	s_delay_alu instid0(VALU_DEP_1) | instskip(NEXT) | instid1(VALU_DEP_1)
	v_lshrrev_b32_e32 v13, s14, v10
	v_mul_lo_u32 v10, v13, s10
	s_delay_alu instid0(VALU_DEP_1) | instskip(NEXT) | instid1(VALU_DEP_1)
	v_sub_nc_u32_e32 v9, v9, v10
	v_mad_u64_u32 v[10:11], null, v9, s12, v[0:1]
	v_mad_u64_u32 v[11:12], null, v9, s13, v[4:5]
	s_delay_alu instid0(VALU_DEP_2) | instskip(NEXT) | instid1(VALU_DEP_2)
	v_dual_mov_b32 v9, v13 :: v_dual_mov_b32 v0, v10
	v_mov_b32_e32 v4, v11
	s_cbranch_scc1 .LBB39_1109
.LBB39_1110:
	s_and_not1_b32 vcc_lo, exec_lo, s6
	s_cbranch_vccnz .LBB39_1113
; %bb.1111:
	s_clause 0x1
	s_load_b128 s[4:7], s[16:17], 0x4
	s_load_b64 s[2:3], s[16:17], 0xc4
	s_cmp_lt_u32 s24, 2
	s_waitcnt lgkmcnt(0)
	v_mul_hi_u32 v0, s5, v7
	s_delay_alu instid0(VALU_DEP_1) | instskip(NEXT) | instid1(VALU_DEP_1)
	v_add_nc_u32_e32 v0, v7, v0
	v_lshrrev_b32_e32 v9, s6, v0
	s_delay_alu instid0(VALU_DEP_1) | instskip(NEXT) | instid1(VALU_DEP_1)
	v_mul_lo_u32 v0, v9, s4
	v_sub_nc_u32_e32 v4, v7, v0
	s_delay_alu instid0(VALU_DEP_1)
	v_mul_lo_u32 v0, v4, s2
	v_mul_lo_u32 v4, v4, s3
	s_cbranch_scc1 .LBB39_1113
; %bb.1112:
	s_clause 0x1
	s_load_b128 s[4:7], s[16:17], 0x10
	s_load_b64 s[2:3], s[16:17], 0xcc
	s_waitcnt lgkmcnt(0)
	v_mul_hi_u32 v7, s5, v9
	s_delay_alu instid0(VALU_DEP_1) | instskip(NEXT) | instid1(VALU_DEP_1)
	v_add_nc_u32_e32 v7, v9, v7
	v_lshrrev_b32_e32 v7, s6, v7
	s_delay_alu instid0(VALU_DEP_1) | instskip(NEXT) | instid1(VALU_DEP_1)
	v_mul_lo_u32 v7, v7, s4
	v_sub_nc_u32_e32 v7, v9, v7
	s_delay_alu instid0(VALU_DEP_1) | instskip(SKIP_1) | instid1(VALU_DEP_2)
	v_mad_u64_u32 v[9:10], null, v7, s2, v[0:1]
	v_mad_u64_u32 v[10:11], null, v7, s3, v[4:5]
	v_mov_b32_e32 v0, v9
	s_delay_alu instid0(VALU_DEP_2)
	v_mov_b32_e32 v4, v10
.LBB39_1113:
	s_clause 0x1
	s_load_b32 s3, s[0:1], 0x160
	s_load_b128 s[4:7], s[16:17], 0x148
	s_waitcnt lgkmcnt(0)
	s_lshr_b32 s0, s3, 16
	s_delay_alu instid0(SALU_CYCLE_1) | instskip(SKIP_1) | instid1(VALU_DEP_1)
	v_and_b32_e64 v14, 0xff, s0
	v_add_co_u32 v9, s0, s6, v6
	v_add_co_ci_u32_e64 v10, null, s7, 0, s0
	s_delay_alu instid0(VALU_DEP_3)
	v_cmp_gt_i16_e32 vcc_lo, 11, v14
	s_mov_b32 s0, 0
	s_cbranch_vccnz .LBB39_1120
; %bb.1114:
	v_cmp_lt_i16_e32 vcc_lo, 25, v14
	s_mov_b32 s10, 0
	s_cbranch_vccz .LBB39_1126
; %bb.1115:
	v_cmp_lt_i16_e32 vcc_lo, 28, v14
	s_cbranch_vccz .LBB39_1128
; %bb.1116:
	v_cmp_lt_i16_e32 vcc_lo, 43, v14
	;; [unrolled: 3-line block ×3, first 2 shown]
	s_cbranch_vccz .LBB39_1134
; %bb.1118:
	v_cmp_eq_u16_e32 vcc_lo, 46, v14
	s_mov_b32 s1, 0
	s_cbranch_vccz .LBB39_1176
; %bb.1119:
	global_load_b32 v6, v[9:10], off
	s_mov_b32 s2, 0
	s_mov_b32 s0, -1
	s_waitcnt vmcnt(0)
	v_lshlrev_b32_e32 v6, 16, v6
	s_delay_alu instid0(VALU_DEP_1) | instskip(NEXT) | instid1(VALU_DEP_1)
	v_trunc_f32_e32 v6, v6
	v_mul_f32_e64 v7, 0x2f800000, |v6|
	v_ashrrev_i32_e32 v12, 31, v6
	s_delay_alu instid0(VALU_DEP_2) | instskip(NEXT) | instid1(VALU_DEP_1)
	v_floor_f32_e32 v7, v7
	v_fma_f32 v11, 0xcf800000, v7, |v6|
	v_cvt_u32_f32_e32 v7, v7
	s_delay_alu instid0(VALU_DEP_2) | instskip(NEXT) | instid1(VALU_DEP_2)
	v_cvt_u32_f32_e32 v6, v11
	v_xor_b32_e32 v7, v7, v12
	s_delay_alu instid0(VALU_DEP_2) | instskip(NEXT) | instid1(VALU_DEP_1)
	v_xor_b32_e32 v6, v6, v12
	v_sub_co_u32 v6, vcc_lo, v6, v12
	s_delay_alu instid0(VALU_DEP_3)
	v_sub_co_ci_u32_e32 v7, vcc_lo, v7, v12, vcc_lo
	s_branch .LBB39_1178
.LBB39_1120:
	s_mov_b32 s2, s8
                                        ; implicit-def: $vgpr6_vgpr7
	s_cbranch_execz .LBB39_1236
; %bb.1121:
	v_cmp_gt_i16_e32 vcc_lo, 5, v14
	s_cbranch_vccnz .LBB39_1127
; %bb.1122:
	v_cmp_gt_i16_e32 vcc_lo, 8, v14
	s_cbranch_vccnz .LBB39_1129
	;; [unrolled: 3-line block ×3, first 2 shown]
; %bb.1124:
	v_cmp_lt_i16_e32 vcc_lo, 9, v14
	s_cbranch_vccz .LBB39_1135
; %bb.1125:
	global_load_b64 v[6:7], v[9:10], off
	s_mov_b32 s0, 0
	s_waitcnt vmcnt(0)
	v_trunc_f64_e32 v[6:7], v[6:7]
	s_delay_alu instid0(VALU_DEP_1) | instskip(NEXT) | instid1(VALU_DEP_1)
	v_ldexp_f64 v[11:12], v[6:7], 0xffffffe0
	v_floor_f64_e32 v[11:12], v[11:12]
	s_delay_alu instid0(VALU_DEP_1) | instskip(SKIP_1) | instid1(VALU_DEP_2)
	v_fma_f64 v[15:16], 0xc1f00000, v[11:12], v[6:7]
	v_cvt_i32_f64_e32 v7, v[11:12]
	v_cvt_u32_f64_e32 v6, v[15:16]
	s_branch .LBB39_1136
.LBB39_1126:
	s_mov_b32 s2, 0
                                        ; implicit-def: $vgpr6_vgpr7
	s_cbranch_execnz .LBB39_1205
	s_branch .LBB39_1232
.LBB39_1127:
                                        ; implicit-def: $vgpr6_vgpr7
	s_branch .LBB39_1153
.LBB39_1128:
	s_mov_b32 s2, 0
                                        ; implicit-def: $vgpr6_vgpr7
	s_cbranch_execz .LBB39_1204
	s_branch .LBB39_1187
.LBB39_1129:
                                        ; implicit-def: $vgpr6_vgpr7
	s_branch .LBB39_1142
.LBB39_1130:
	s_mov_b32 s2, 0
                                        ; implicit-def: $vgpr6_vgpr7
	s_cbranch_execnz .LBB39_1183
	s_branch .LBB39_1186
.LBB39_1131:
	s_mov_b32 s0, -1
                                        ; implicit-def: $vgpr6_vgpr7
	s_branch .LBB39_1139
.LBB39_1132:
	s_cbranch_execnz .LBB39_1174
; %bb.1133:
	s_or_b32 s3, s3, exec_lo
	s_and_not1_b32 s8, s8, exec_lo
	s_or_b32 exec_lo, exec_lo, s2
	s_and_saveexec_b32 s2, s8
	s_delay_alu instid0(SALU_CYCLE_1)
	s_xor_b32 s2, exec_lo, s2
	s_cbranch_execnz .LBB39_1020
	s_branch .LBB39_1021
.LBB39_1134:
	s_mov_b32 s1, -1
	s_mov_b32 s2, 0
	s_branch .LBB39_1177
.LBB39_1135:
	s_mov_b32 s0, -1
                                        ; implicit-def: $vgpr6_vgpr7
.LBB39_1136:
	s_delay_alu instid0(SALU_CYCLE_1)
	s_and_not1_b32 vcc_lo, exec_lo, s0
	s_cbranch_vccnz .LBB39_1138
; %bb.1137:
	global_load_b32 v6, v[9:10], off
	s_waitcnt vmcnt(0)
	v_trunc_f32_e32 v6, v6
	s_delay_alu instid0(VALU_DEP_1) | instskip(SKIP_1) | instid1(VALU_DEP_2)
	v_mul_f32_e64 v7, 0x2f800000, |v6|
	v_ashrrev_i32_e32 v12, 31, v6
	v_floor_f32_e32 v7, v7
	s_delay_alu instid0(VALU_DEP_1) | instskip(SKIP_1) | instid1(VALU_DEP_2)
	v_fma_f32 v11, 0xcf800000, v7, |v6|
	v_cvt_u32_f32_e32 v7, v7
	v_cvt_u32_f32_e32 v6, v11
	s_delay_alu instid0(VALU_DEP_2) | instskip(NEXT) | instid1(VALU_DEP_2)
	v_xor_b32_e32 v7, v7, v12
	v_xor_b32_e32 v6, v6, v12
	s_delay_alu instid0(VALU_DEP_1) | instskip(NEXT) | instid1(VALU_DEP_3)
	v_sub_co_u32 v6, vcc_lo, v6, v12
	v_sub_co_ci_u32_e32 v7, vcc_lo, v7, v12, vcc_lo
.LBB39_1138:
	s_mov_b32 s0, 0
.LBB39_1139:
	s_delay_alu instid0(SALU_CYCLE_1)
	s_and_not1_b32 vcc_lo, exec_lo, s0
	s_cbranch_vccnz .LBB39_1141
; %bb.1140:
	global_load_b32 v6, v[9:10], off
	s_waitcnt vmcnt(0)
	v_cvt_f32_f16_e32 v6, v6
	s_delay_alu instid0(VALU_DEP_1) | instskip(NEXT) | instid1(VALU_DEP_1)
	v_cvt_i32_f32_e32 v6, v6
	v_ashrrev_i32_e32 v7, 31, v6
.LBB39_1141:
	s_cbranch_execnz .LBB39_1152
.LBB39_1142:
	v_cmp_gt_i16_e32 vcc_lo, 6, v14
	s_cbranch_vccnz .LBB39_1145
; %bb.1143:
	v_cmp_lt_i16_e32 vcc_lo, 6, v14
	s_cbranch_vccz .LBB39_1146
; %bb.1144:
	global_load_b64 v[6:7], v[9:10], off
	s_mov_b32 s0, 0
	s_waitcnt vmcnt(0)
	v_trunc_f64_e32 v[6:7], v[6:7]
	s_delay_alu instid0(VALU_DEP_1) | instskip(NEXT) | instid1(VALU_DEP_1)
	v_ldexp_f64 v[11:12], v[6:7], 0xffffffe0
	v_floor_f64_e32 v[11:12], v[11:12]
	s_delay_alu instid0(VALU_DEP_1) | instskip(SKIP_1) | instid1(VALU_DEP_2)
	v_fma_f64 v[15:16], 0xc1f00000, v[11:12], v[6:7]
	v_cvt_i32_f64_e32 v7, v[11:12]
	v_cvt_u32_f64_e32 v6, v[15:16]
	s_branch .LBB39_1147
.LBB39_1145:
	s_mov_b32 s0, -1
                                        ; implicit-def: $vgpr6_vgpr7
	s_branch .LBB39_1150
.LBB39_1146:
	s_mov_b32 s0, -1
                                        ; implicit-def: $vgpr6_vgpr7
.LBB39_1147:
	s_delay_alu instid0(SALU_CYCLE_1)
	s_and_not1_b32 vcc_lo, exec_lo, s0
	s_cbranch_vccnz .LBB39_1149
; %bb.1148:
	global_load_b32 v6, v[9:10], off
	s_waitcnt vmcnt(0)
	v_trunc_f32_e32 v6, v6
	s_delay_alu instid0(VALU_DEP_1) | instskip(SKIP_1) | instid1(VALU_DEP_2)
	v_mul_f32_e64 v7, 0x2f800000, |v6|
	v_ashrrev_i32_e32 v12, 31, v6
	v_floor_f32_e32 v7, v7
	s_delay_alu instid0(VALU_DEP_1) | instskip(SKIP_1) | instid1(VALU_DEP_2)
	v_fma_f32 v11, 0xcf800000, v7, |v6|
	v_cvt_u32_f32_e32 v7, v7
	v_cvt_u32_f32_e32 v6, v11
	s_delay_alu instid0(VALU_DEP_2) | instskip(NEXT) | instid1(VALU_DEP_2)
	v_xor_b32_e32 v7, v7, v12
	v_xor_b32_e32 v6, v6, v12
	s_delay_alu instid0(VALU_DEP_1) | instskip(NEXT) | instid1(VALU_DEP_3)
	v_sub_co_u32 v6, vcc_lo, v6, v12
	v_sub_co_ci_u32_e32 v7, vcc_lo, v7, v12, vcc_lo
.LBB39_1149:
	s_mov_b32 s0, 0
.LBB39_1150:
	s_delay_alu instid0(SALU_CYCLE_1)
	s_and_not1_b32 vcc_lo, exec_lo, s0
	s_cbranch_vccnz .LBB39_1152
; %bb.1151:
	global_load_u16 v6, v[9:10], off
	s_waitcnt vmcnt(0)
	v_cvt_f32_f16_e32 v6, v6
	s_delay_alu instid0(VALU_DEP_1) | instskip(NEXT) | instid1(VALU_DEP_1)
	v_cvt_i32_f32_e32 v6, v6
	v_ashrrev_i32_e32 v7, 31, v6
.LBB39_1152:
	s_cbranch_execnz .LBB39_1171
.LBB39_1153:
	v_cmp_gt_i16_e32 vcc_lo, 2, v14
	s_cbranch_vccnz .LBB39_1157
; %bb.1154:
	v_cmp_gt_i16_e32 vcc_lo, 3, v14
	s_cbranch_vccnz .LBB39_1158
; %bb.1155:
	v_cmp_lt_i16_e32 vcc_lo, 3, v14
	s_cbranch_vccz .LBB39_1159
; %bb.1156:
	global_load_b64 v[6:7], v[9:10], off
	s_mov_b32 s0, 0
	s_branch .LBB39_1160
.LBB39_1157:
                                        ; implicit-def: $vgpr6_vgpr7
	s_branch .LBB39_1166
.LBB39_1158:
	s_mov_b32 s0, -1
                                        ; implicit-def: $vgpr6_vgpr7
	s_branch .LBB39_1163
.LBB39_1159:
	s_mov_b32 s0, -1
                                        ; implicit-def: $vgpr6_vgpr7
.LBB39_1160:
	s_delay_alu instid0(SALU_CYCLE_1)
	s_and_not1_b32 vcc_lo, exec_lo, s0
	s_cbranch_vccnz .LBB39_1162
; %bb.1161:
	global_load_b32 v6, v[9:10], off
	s_waitcnt vmcnt(0)
	v_ashrrev_i32_e32 v7, 31, v6
.LBB39_1162:
	s_mov_b32 s0, 0
.LBB39_1163:
	s_delay_alu instid0(SALU_CYCLE_1)
	s_and_not1_b32 vcc_lo, exec_lo, s0
	s_cbranch_vccnz .LBB39_1165
; %bb.1164:
	global_load_u16 v6, v[9:10], off
	s_waitcnt vmcnt(0)
	v_bfe_i32 v6, v6, 0, 16
	s_delay_alu instid0(VALU_DEP_1)
	v_ashrrev_i32_e32 v7, 31, v6
.LBB39_1165:
	s_cbranch_execnz .LBB39_1171
.LBB39_1166:
	v_cmp_lt_i16_e32 vcc_lo, 0, v14
	s_mov_b32 s0, 0
	s_cbranch_vccz .LBB39_1168
; %bb.1167:
	global_load_i8 v6, v[9:10], off
	s_waitcnt vmcnt(0)
	v_bfe_i32 v6, v6, 0, 16
	s_delay_alu instid0(VALU_DEP_1)
	v_ashrrev_i32_e32 v7, 31, v6
	s_branch .LBB39_1169
.LBB39_1168:
	s_mov_b32 s0, -1
                                        ; implicit-def: $vgpr6_vgpr7
.LBB39_1169:
	s_delay_alu instid0(SALU_CYCLE_1)
	s_and_not1_b32 vcc_lo, exec_lo, s0
	s_cbranch_vccnz .LBB39_1171
; %bb.1170:
	global_load_u8 v6, v[9:10], off
	s_mov_b32 s0, 0
	s_waitcnt vmcnt(0)
	v_dual_mov_b32 v7, s0 :: v_dual_and_b32 v6, 0xffff, v6
.LBB39_1171:
	s_branch .LBB39_1237
.LBB39_1172:
	s_trap 2
	s_sendmsg_rtn_b32 s0, sendmsg(MSG_RTN_GET_DOORBELL)
	s_mov_b32 ttmp2, m0
	s_waitcnt lgkmcnt(0)
	s_and_b32 s0, s0, 0x3ff
	s_delay_alu instid0(SALU_CYCLE_1) | instskip(NEXT) | instid1(SALU_CYCLE_1)
	s_bitset1_b32 s0, 10
	s_mov_b32 m0, s0
	s_sendmsg sendmsg(MSG_INTERRUPT)
	s_mov_b32 m0, ttmp2
.LBB39_1173:                            ; =>This Inner Loop Header: Depth=1
	s_sethalt 5
	s_branch .LBB39_1173
.LBB39_1174:
	s_trap 2
	s_sendmsg_rtn_b32 s0, sendmsg(MSG_RTN_GET_DOORBELL)
	s_mov_b32 ttmp2, m0
	s_waitcnt lgkmcnt(0)
	s_and_b32 s0, s0, 0x3ff
	s_delay_alu instid0(SALU_CYCLE_1) | instskip(NEXT) | instid1(SALU_CYCLE_1)
	s_bitset1_b32 s0, 10
	s_mov_b32 m0, s0
	s_sendmsg sendmsg(MSG_INTERRUPT)
	s_mov_b32 m0, ttmp2
.LBB39_1175:                            ; =>This Inner Loop Header: Depth=1
	s_sethalt 5
	s_branch .LBB39_1175
.LBB39_1176:
	s_mov_b32 s2, -1
.LBB39_1177:
                                        ; implicit-def: $vgpr6_vgpr7
.LBB39_1178:
	s_and_b32 vcc_lo, exec_lo, s1
	s_cbranch_vccz .LBB39_1181
; %bb.1179:
	v_cmp_eq_u16_e32 vcc_lo, 44, v14
	s_cbranch_vccz .LBB39_1182
; %bb.1180:
	global_load_u8 v6, v[9:10], off
	s_mov_b32 s2, 0
	s_mov_b32 s0, -1
	s_waitcnt vmcnt(0)
	v_lshlrev_b32_e32 v7, 23, v6
	s_delay_alu instid0(VALU_DEP_1) | instskip(NEXT) | instid1(VALU_DEP_1)
	v_trunc_f32_e32 v7, v7
	v_mul_f32_e64 v11, 0x2f800000, |v7|
	s_delay_alu instid0(VALU_DEP_1) | instskip(NEXT) | instid1(VALU_DEP_1)
	v_floor_f32_e32 v11, v11
	v_fma_f32 v12, 0xcf800000, v11, |v7|
	v_ashrrev_i32_e32 v7, 31, v7
	v_cvt_u32_f32_e32 v11, v11
	s_delay_alu instid0(VALU_DEP_3) | instskip(NEXT) | instid1(VALU_DEP_2)
	v_cvt_u32_f32_e32 v12, v12
	v_xor_b32_e32 v11, v11, v7
	s_delay_alu instid0(VALU_DEP_2) | instskip(NEXT) | instid1(VALU_DEP_1)
	v_xor_b32_e32 v12, v12, v7
	v_sub_co_u32 v12, vcc_lo, v12, v7
	s_delay_alu instid0(VALU_DEP_3) | instskip(SKIP_1) | instid1(VALU_DEP_2)
	v_sub_co_ci_u32_e32 v7, vcc_lo, v11, v7, vcc_lo
	v_cmp_ne_u32_e32 vcc_lo, 0, v6
	v_dual_cndmask_b32 v6, 0, v12 :: v_dual_cndmask_b32 v7, 0, v7
.LBB39_1181:
	s_branch .LBB39_1186
.LBB39_1182:
	s_mov_b32 s2, -1
                                        ; implicit-def: $vgpr6_vgpr7
	s_branch .LBB39_1186
.LBB39_1183:
	v_cmp_eq_u16_e32 vcc_lo, 29, v14
	s_cbranch_vccz .LBB39_1185
; %bb.1184:
	global_load_b64 v[6:7], v[9:10], off
	s_mov_b32 s2, 0
	s_mov_b32 s0, -1
	s_branch .LBB39_1186
.LBB39_1185:
	s_mov_b32 s2, -1
                                        ; implicit-def: $vgpr6_vgpr7
.LBB39_1186:
	s_branch .LBB39_1204
.LBB39_1187:
	v_cmp_gt_i16_e32 vcc_lo, 27, v14
	s_cbranch_vccnz .LBB39_1190
; %bb.1188:
	v_cmp_lt_i16_e32 vcc_lo, 27, v14
	s_cbranch_vccz .LBB39_1191
; %bb.1189:
	global_load_b32 v6, v[9:10], off
	s_waitcnt vmcnt(1)
	v_mov_b32_e32 v7, 0
	s_mov_b32 s0, 0
	s_branch .LBB39_1192
.LBB39_1190:
	s_mov_b32 s0, -1
                                        ; implicit-def: $vgpr6_vgpr7
	s_branch .LBB39_1195
.LBB39_1191:
	s_mov_b32 s0, -1
                                        ; implicit-def: $vgpr6_vgpr7
.LBB39_1192:
	s_delay_alu instid0(SALU_CYCLE_1)
	s_and_not1_b32 vcc_lo, exec_lo, s0
	s_cbranch_vccnz .LBB39_1194
; %bb.1193:
	global_load_u16 v6, v[9:10], off
	s_mov_b32 s0, 0
	s_waitcnt vmcnt(0)
	v_dual_mov_b32 v7, s0 :: v_dual_and_b32 v6, 0xffff, v6
.LBB39_1194:
	s_mov_b32 s0, 0
.LBB39_1195:
	s_delay_alu instid0(SALU_CYCLE_1)
	s_and_not1_b32 vcc_lo, exec_lo, s0
	s_cbranch_vccnz .LBB39_1203
; %bb.1196:
	global_load_u8 v11, v[9:10], off
	s_mov_b32 s11, 0
	s_mov_b32 s12, exec_lo
                                        ; implicit-def: $sgpr0_sgpr1
	s_waitcnt vmcnt(0)
	v_cmpx_lt_i16_e32 0x7f, v11
	s_xor_b32 s12, exec_lo, s12
; %bb.1197:
	v_cmp_ne_u16_e32 vcc_lo, 0x80, v11
	s_mov_b64 s[0:1], 0
	s_and_b32 s11, vcc_lo, exec_lo
; %bb.1198:
	s_or_saveexec_b32 s12, s12
	v_dual_mov_b32 v7, s1 :: v_dual_mov_b32 v6, s0
	s_xor_b32 exec_lo, exec_lo, s12
; %bb.1199:
	v_cmp_ne_u16_e32 vcc_lo, 0, v11
	v_mov_b32_e32 v6, 0
	v_mov_b32_e32 v7, 0
	s_and_not1_b32 s0, s11, exec_lo
	s_and_b32 s1, vcc_lo, exec_lo
	s_delay_alu instid0(SALU_CYCLE_1)
	s_or_b32 s11, s0, s1
; %bb.1200:
	s_or_b32 exec_lo, exec_lo, s12
	s_and_saveexec_b32 s0, s11
	s_cbranch_execz .LBB39_1202
; %bb.1201:
	v_and_b32_e32 v6, 0xffff, v11
	v_lshlrev_b32_e32 v11, 24, v11
	s_delay_alu instid0(VALU_DEP_2) | instskip(NEXT) | instid1(VALU_DEP_2)
	v_and_b32_e32 v7, 7, v6
	v_and_b32_e32 v11, 0x80000000, v11
	s_delay_alu instid0(VALU_DEP_2) | instskip(NEXT) | instid1(VALU_DEP_1)
	v_clz_i32_u32_e32 v12, v7
	v_min_u32_e32 v12, 32, v12
	s_delay_alu instid0(VALU_DEP_1) | instskip(SKIP_1) | instid1(VALU_DEP_2)
	v_subrev_nc_u32_e32 v13, 28, v12
	v_sub_nc_u32_e32 v12, 29, v12
	v_lshlrev_b32_e32 v13, v13, v6
	v_bfe_u32 v6, v6, 3, 4
	s_delay_alu instid0(VALU_DEP_2) | instskip(NEXT) | instid1(VALU_DEP_2)
	v_and_b32_e32 v13, 7, v13
	v_cmp_eq_u32_e32 vcc_lo, 0, v6
	s_delay_alu instid0(VALU_DEP_2) | instskip(NEXT) | instid1(VALU_DEP_1)
	v_dual_cndmask_b32 v6, v6, v12 :: v_dual_cndmask_b32 v7, v7, v13
	v_lshl_add_u32 v6, v6, 23, 0x3b800000
	s_delay_alu instid0(VALU_DEP_2) | instskip(NEXT) | instid1(VALU_DEP_1)
	v_lshlrev_b32_e32 v7, 20, v7
	v_or3_b32 v6, v11, v6, v7
	s_delay_alu instid0(VALU_DEP_1) | instskip(NEXT) | instid1(VALU_DEP_1)
	v_trunc_f32_e32 v6, v6
	v_mul_f32_e64 v7, 0x2f800000, |v6|
	v_ashrrev_i32_e32 v12, 31, v6
	s_delay_alu instid0(VALU_DEP_2) | instskip(NEXT) | instid1(VALU_DEP_1)
	v_floor_f32_e32 v7, v7
	v_fma_f32 v11, 0xcf800000, v7, |v6|
	v_cvt_u32_f32_e32 v7, v7
	s_delay_alu instid0(VALU_DEP_2) | instskip(NEXT) | instid1(VALU_DEP_2)
	v_cvt_u32_f32_e32 v6, v11
	v_xor_b32_e32 v7, v7, v12
	s_delay_alu instid0(VALU_DEP_2) | instskip(NEXT) | instid1(VALU_DEP_1)
	v_xor_b32_e32 v6, v6, v12
	v_sub_co_u32 v6, vcc_lo, v6, v12
	s_delay_alu instid0(VALU_DEP_3)
	v_sub_co_ci_u32_e32 v7, vcc_lo, v7, v12, vcc_lo
.LBB39_1202:
	s_or_b32 exec_lo, exec_lo, s0
.LBB39_1203:
	s_mov_b32 s0, -1
.LBB39_1204:
	s_branch .LBB39_1232
.LBB39_1205:
	v_cmp_lt_i16_e32 vcc_lo, 22, v14
	s_cbranch_vccz .LBB39_1215
; %bb.1206:
	v_cmp_gt_i16_e32 vcc_lo, 24, v14
	s_cbranch_vccnz .LBB39_1216
; %bb.1207:
	v_cmp_lt_i16_e32 vcc_lo, 24, v14
	s_cbranch_vccz .LBB39_1217
; %bb.1208:
	global_load_u8 v11, v[9:10], off
	s_mov_b32 s11, exec_lo
                                        ; implicit-def: $sgpr0_sgpr1
	s_waitcnt vmcnt(0)
	v_cmpx_lt_i16_e32 0x7f, v11
	s_xor_b32 s11, exec_lo, s11
; %bb.1209:
	v_cmp_ne_u16_e32 vcc_lo, 0x80, v11
	s_mov_b64 s[0:1], 0
	s_and_b32 s10, vcc_lo, exec_lo
; %bb.1210:
	s_or_saveexec_b32 s11, s11
	v_dual_mov_b32 v7, s1 :: v_dual_mov_b32 v6, s0
	s_xor_b32 exec_lo, exec_lo, s11
; %bb.1211:
	v_cmp_ne_u16_e32 vcc_lo, 0, v11
	v_mov_b32_e32 v6, 0
	v_mov_b32_e32 v7, 0
	s_and_not1_b32 s0, s10, exec_lo
	s_and_b32 s1, vcc_lo, exec_lo
	s_delay_alu instid0(SALU_CYCLE_1)
	s_or_b32 s10, s0, s1
; %bb.1212:
	s_or_b32 exec_lo, exec_lo, s11
	s_and_saveexec_b32 s0, s10
	s_cbranch_execz .LBB39_1214
; %bb.1213:
	v_and_b32_e32 v6, 0xffff, v11
	v_lshlrev_b32_e32 v11, 24, v11
	s_delay_alu instid0(VALU_DEP_2) | instskip(NEXT) | instid1(VALU_DEP_2)
	v_and_b32_e32 v7, 3, v6
	v_and_b32_e32 v11, 0x80000000, v11
	s_delay_alu instid0(VALU_DEP_2) | instskip(NEXT) | instid1(VALU_DEP_1)
	v_clz_i32_u32_e32 v12, v7
	v_min_u32_e32 v12, 32, v12
	s_delay_alu instid0(VALU_DEP_1) | instskip(SKIP_1) | instid1(VALU_DEP_2)
	v_subrev_nc_u32_e32 v13, 29, v12
	v_sub_nc_u32_e32 v12, 30, v12
	v_lshlrev_b32_e32 v13, v13, v6
	v_bfe_u32 v6, v6, 2, 5
	s_delay_alu instid0(VALU_DEP_2) | instskip(NEXT) | instid1(VALU_DEP_2)
	v_and_b32_e32 v13, 3, v13
	v_cmp_eq_u32_e32 vcc_lo, 0, v6
	s_delay_alu instid0(VALU_DEP_2) | instskip(NEXT) | instid1(VALU_DEP_1)
	v_dual_cndmask_b32 v6, v6, v12 :: v_dual_cndmask_b32 v7, v7, v13
	v_lshl_add_u32 v6, v6, 23, 0x37800000
	s_delay_alu instid0(VALU_DEP_2) | instskip(NEXT) | instid1(VALU_DEP_1)
	v_lshlrev_b32_e32 v7, 21, v7
	v_or3_b32 v6, v11, v6, v7
	s_delay_alu instid0(VALU_DEP_1) | instskip(NEXT) | instid1(VALU_DEP_1)
	v_trunc_f32_e32 v6, v6
	v_mul_f32_e64 v7, 0x2f800000, |v6|
	v_ashrrev_i32_e32 v12, 31, v6
	s_delay_alu instid0(VALU_DEP_2) | instskip(NEXT) | instid1(VALU_DEP_1)
	v_floor_f32_e32 v7, v7
	v_fma_f32 v11, 0xcf800000, v7, |v6|
	v_cvt_u32_f32_e32 v7, v7
	s_delay_alu instid0(VALU_DEP_2) | instskip(NEXT) | instid1(VALU_DEP_2)
	v_cvt_u32_f32_e32 v6, v11
	v_xor_b32_e32 v7, v7, v12
	s_delay_alu instid0(VALU_DEP_2) | instskip(NEXT) | instid1(VALU_DEP_1)
	v_xor_b32_e32 v6, v6, v12
	v_sub_co_u32 v6, vcc_lo, v6, v12
	s_delay_alu instid0(VALU_DEP_3)
	v_sub_co_ci_u32_e32 v7, vcc_lo, v7, v12, vcc_lo
.LBB39_1214:
	s_or_b32 exec_lo, exec_lo, s0
	s_mov_b32 s0, 0
	s_branch .LBB39_1218
.LBB39_1215:
                                        ; implicit-def: $vgpr6_vgpr7
	s_mov_b32 s10, 0
	s_branch .LBB39_1224
.LBB39_1216:
	s_mov_b32 s0, -1
                                        ; implicit-def: $vgpr6_vgpr7
	s_branch .LBB39_1221
.LBB39_1217:
	s_mov_b32 s0, -1
                                        ; implicit-def: $vgpr6_vgpr7
.LBB39_1218:
	s_delay_alu instid0(SALU_CYCLE_1)
	s_and_b32 vcc_lo, exec_lo, s0
	s_cbranch_vccz .LBB39_1220
; %bb.1219:
	global_load_u8 v6, v[9:10], off
	s_waitcnt vmcnt(0)
	v_lshlrev_b32_e32 v6, 24, v6
	s_delay_alu instid0(VALU_DEP_1) | instskip(NEXT) | instid1(VALU_DEP_1)
	v_and_b32_e32 v7, 0x7f000000, v6
	v_clz_i32_u32_e32 v11, v7
	v_add_nc_u32_e32 v13, 0x1000000, v7
	v_cmp_ne_u32_e32 vcc_lo, 0, v7
	s_delay_alu instid0(VALU_DEP_3) | instskip(NEXT) | instid1(VALU_DEP_1)
	v_min_u32_e32 v11, 32, v11
	v_sub_nc_u32_e64 v11, v11, 4 clamp
	s_delay_alu instid0(VALU_DEP_1) | instskip(SKIP_1) | instid1(VALU_DEP_2)
	v_lshlrev_b32_e32 v12, v11, v7
	v_lshlrev_b32_e32 v11, 23, v11
	v_lshrrev_b32_e32 v12, 4, v12
	s_delay_alu instid0(VALU_DEP_1) | instskip(SKIP_1) | instid1(VALU_DEP_2)
	v_sub_nc_u32_e32 v11, v12, v11
	v_ashrrev_i32_e32 v12, 8, v13
	v_add_nc_u32_e32 v11, 0x3c000000, v11
	s_delay_alu instid0(VALU_DEP_1) | instskip(NEXT) | instid1(VALU_DEP_1)
	v_and_or_b32 v11, 0x7f800000, v12, v11
	v_cndmask_b32_e32 v7, 0, v11, vcc_lo
	s_delay_alu instid0(VALU_DEP_1) | instskip(NEXT) | instid1(VALU_DEP_1)
	v_and_or_b32 v6, 0x80000000, v6, v7
	v_trunc_f32_e32 v6, v6
	s_delay_alu instid0(VALU_DEP_1) | instskip(SKIP_1) | instid1(VALU_DEP_2)
	v_mul_f32_e64 v7, 0x2f800000, |v6|
	v_ashrrev_i32_e32 v12, 31, v6
	v_floor_f32_e32 v7, v7
	s_delay_alu instid0(VALU_DEP_1) | instskip(SKIP_1) | instid1(VALU_DEP_2)
	v_fma_f32 v11, 0xcf800000, v7, |v6|
	v_cvt_u32_f32_e32 v7, v7
	v_cvt_u32_f32_e32 v6, v11
	s_delay_alu instid0(VALU_DEP_2) | instskip(NEXT) | instid1(VALU_DEP_2)
	v_xor_b32_e32 v7, v7, v12
	v_xor_b32_e32 v6, v6, v12
	s_delay_alu instid0(VALU_DEP_1) | instskip(NEXT) | instid1(VALU_DEP_3)
	v_sub_co_u32 v6, vcc_lo, v6, v12
	v_sub_co_ci_u32_e32 v7, vcc_lo, v7, v12, vcc_lo
.LBB39_1220:
	s_mov_b32 s0, 0
.LBB39_1221:
	s_delay_alu instid0(SALU_CYCLE_1)
	s_and_not1_b32 vcc_lo, exec_lo, s0
	s_cbranch_vccnz .LBB39_1223
; %bb.1222:
	global_load_u8 v6, v[9:10], off
	s_waitcnt vmcnt(0)
	v_lshlrev_b32_e32 v7, 25, v6
	v_lshlrev_b16 v6, 8, v6
	s_delay_alu instid0(VALU_DEP_1) | instskip(SKIP_1) | instid1(VALU_DEP_2)
	v_and_or_b32 v12, 0x7f00, v6, 0.5
	v_bfe_i32 v6, v6, 0, 16
	v_add_f32_e32 v12, -0.5, v12
	v_lshrrev_b32_e32 v11, 4, v7
	v_cmp_gt_u32_e32 vcc_lo, 0x8000000, v7
	s_delay_alu instid0(VALU_DEP_2) | instskip(NEXT) | instid1(VALU_DEP_1)
	v_or_b32_e32 v11, 0x70000000, v11
	v_mul_f32_e32 v11, 0x7800000, v11
	s_delay_alu instid0(VALU_DEP_1) | instskip(NEXT) | instid1(VALU_DEP_1)
	v_cndmask_b32_e32 v7, v11, v12, vcc_lo
	v_and_or_b32 v6, 0x80000000, v6, v7
	s_delay_alu instid0(VALU_DEP_1) | instskip(NEXT) | instid1(VALU_DEP_1)
	v_trunc_f32_e32 v6, v6
	v_mul_f32_e64 v7, 0x2f800000, |v6|
	v_ashrrev_i32_e32 v12, 31, v6
	s_delay_alu instid0(VALU_DEP_2) | instskip(NEXT) | instid1(VALU_DEP_1)
	v_floor_f32_e32 v7, v7
	v_fma_f32 v11, 0xcf800000, v7, |v6|
	v_cvt_u32_f32_e32 v7, v7
	s_delay_alu instid0(VALU_DEP_2) | instskip(NEXT) | instid1(VALU_DEP_2)
	v_cvt_u32_f32_e32 v6, v11
	v_xor_b32_e32 v7, v7, v12
	s_delay_alu instid0(VALU_DEP_2) | instskip(NEXT) | instid1(VALU_DEP_1)
	v_xor_b32_e32 v6, v6, v12
	v_sub_co_u32 v6, vcc_lo, v6, v12
	s_delay_alu instid0(VALU_DEP_3)
	v_sub_co_ci_u32_e32 v7, vcc_lo, v7, v12, vcc_lo
.LBB39_1223:
	s_mov_b32 s0, -1
	s_mov_b32 s10, 0
	s_cbranch_execnz .LBB39_1232
.LBB39_1224:
	v_cmp_lt_i16_e32 vcc_lo, 14, v14
	s_cbranch_vccz .LBB39_1227
; %bb.1225:
	v_cmp_eq_u16_e32 vcc_lo, 15, v14
	s_cbranch_vccz .LBB39_1228
; %bb.1226:
	global_load_u16 v6, v[9:10], off
	s_mov_b32 s2, 0
	s_mov_b32 s0, -1
	s_waitcnt vmcnt(0)
	v_lshlrev_b32_e32 v6, 16, v6
	s_delay_alu instid0(VALU_DEP_1) | instskip(NEXT) | instid1(VALU_DEP_1)
	v_trunc_f32_e32 v6, v6
	v_mul_f32_e64 v7, 0x2f800000, |v6|
	v_ashrrev_i32_e32 v12, 31, v6
	s_delay_alu instid0(VALU_DEP_2) | instskip(NEXT) | instid1(VALU_DEP_1)
	v_floor_f32_e32 v7, v7
	v_fma_f32 v11, 0xcf800000, v7, |v6|
	v_cvt_u32_f32_e32 v7, v7
	s_delay_alu instid0(VALU_DEP_2) | instskip(NEXT) | instid1(VALU_DEP_2)
	v_cvt_u32_f32_e32 v6, v11
	v_xor_b32_e32 v7, v7, v12
	s_delay_alu instid0(VALU_DEP_2) | instskip(NEXT) | instid1(VALU_DEP_1)
	v_xor_b32_e32 v6, v6, v12
	v_sub_co_u32 v6, vcc_lo, v6, v12
	s_delay_alu instid0(VALU_DEP_3)
	v_sub_co_ci_u32_e32 v7, vcc_lo, v7, v12, vcc_lo
	s_branch .LBB39_1229
.LBB39_1227:
	s_mov_b32 s1, -1
                                        ; implicit-def: $vgpr6_vgpr7
	s_branch .LBB39_1230
.LBB39_1228:
	s_mov_b32 s2, -1
                                        ; implicit-def: $vgpr6_vgpr7
.LBB39_1229:
	s_mov_b32 s1, 0
.LBB39_1230:
	s_delay_alu instid0(SALU_CYCLE_1)
	s_and_b32 vcc_lo, exec_lo, s1
	s_cbranch_vccz .LBB39_1232
; %bb.1231:
	v_cmp_ne_u16_e64 s2, 11, v14
	s_mov_b32 s10, -1
                                        ; implicit-def: $vgpr6_vgpr7
.LBB39_1232:
	s_delay_alu instid0(VALU_DEP_1)
	s_and_b32 vcc_lo, exec_lo, s2
	s_mov_b32 s2, s8
	s_cbranch_vccnz .LBB39_1256
; %bb.1233:
	s_and_not1_b32 vcc_lo, exec_lo, s10
	s_cbranch_vccnz .LBB39_1235
.LBB39_1234:
	global_load_u8 v6, v[9:10], off
	s_mov_b32 s0, 0
	s_waitcnt vmcnt(1)
	v_mov_b32_e32 v7, s0
	s_mov_b32 s0, -1
	s_waitcnt vmcnt(0)
	v_cmp_ne_u16_e32 vcc_lo, 0, v6
	v_cndmask_b32_e64 v6, 0, 1, vcc_lo
.LBB39_1235:
.LBB39_1236:
	s_and_not1_b32 vcc_lo, exec_lo, s0
	s_cbranch_vccnz .LBB39_1430
.LBB39_1237:
	v_cmp_gt_i16_e32 vcc_lo, 11, v14
	v_add_co_u32 v10, s0, s6, v8
	s_delay_alu instid0(VALU_DEP_1)
	v_add_co_ci_u32_e64 v11, null, s7, 0, s0
	s_mov_b32 s0, 0
	s_cbranch_vccnz .LBB39_1244
; %bb.1238:
	v_cmp_lt_i16_e32 vcc_lo, 25, v14
	s_mov_b32 s11, 0
	s_cbranch_vccz .LBB39_1250
; %bb.1239:
	v_cmp_lt_i16_e32 vcc_lo, 28, v14
	s_cbranch_vccz .LBB39_1252
; %bb.1240:
	v_cmp_lt_i16_e32 vcc_lo, 43, v14
	;; [unrolled: 3-line block ×3, first 2 shown]
	s_cbranch_vccz .LBB39_1260
; %bb.1242:
	v_cmp_eq_u16_e32 vcc_lo, 46, v14
	s_mov_b32 s1, 0
	s_cbranch_vccz .LBB39_1304
; %bb.1243:
	global_load_b32 v8, v[10:11], off
	s_mov_b32 s10, 0
	s_mov_b32 s0, -1
	s_waitcnt vmcnt(0)
	v_lshlrev_b32_e32 v8, 16, v8
	s_delay_alu instid0(VALU_DEP_1) | instskip(NEXT) | instid1(VALU_DEP_1)
	v_trunc_f32_e32 v8, v8
	v_mul_f32_e64 v9, 0x2f800000, |v8|
	v_ashrrev_i32_e32 v13, 31, v8
	s_delay_alu instid0(VALU_DEP_2) | instskip(NEXT) | instid1(VALU_DEP_1)
	v_floor_f32_e32 v9, v9
	v_fma_f32 v12, 0xcf800000, v9, |v8|
	v_cvt_u32_f32_e32 v9, v9
	s_delay_alu instid0(VALU_DEP_2) | instskip(NEXT) | instid1(VALU_DEP_2)
	v_cvt_u32_f32_e32 v8, v12
	v_xor_b32_e32 v9, v9, v13
	s_delay_alu instid0(VALU_DEP_2) | instskip(NEXT) | instid1(VALU_DEP_1)
	v_xor_b32_e32 v8, v8, v13
	v_sub_co_u32 v8, vcc_lo, v8, v13
	s_delay_alu instid0(VALU_DEP_3)
	v_sub_co_ci_u32_e32 v9, vcc_lo, v9, v13, vcc_lo
	s_branch .LBB39_1306
.LBB39_1244:
                                        ; implicit-def: $vgpr8_vgpr9
	s_cbranch_execz .LBB39_1367
; %bb.1245:
	v_cmp_gt_i16_e32 vcc_lo, 5, v14
	s_cbranch_vccnz .LBB39_1251
; %bb.1246:
	v_cmp_gt_i16_e32 vcc_lo, 8, v14
	s_cbranch_vccnz .LBB39_1253
	;; [unrolled: 3-line block ×3, first 2 shown]
; %bb.1248:
	v_cmp_lt_i16_e32 vcc_lo, 9, v14
	s_cbranch_vccz .LBB39_1261
; %bb.1249:
	global_load_b64 v[8:9], v[10:11], off
	s_mov_b32 s0, 0
	s_waitcnt vmcnt(0)
	v_trunc_f64_e32 v[8:9], v[8:9]
	s_delay_alu instid0(VALU_DEP_1) | instskip(NEXT) | instid1(VALU_DEP_1)
	v_ldexp_f64 v[12:13], v[8:9], 0xffffffe0
	v_floor_f64_e32 v[12:13], v[12:13]
	s_delay_alu instid0(VALU_DEP_1) | instskip(SKIP_1) | instid1(VALU_DEP_2)
	v_fma_f64 v[15:16], 0xc1f00000, v[12:13], v[8:9]
	v_cvt_i32_f64_e32 v9, v[12:13]
	v_cvt_u32_f64_e32 v8, v[15:16]
	s_branch .LBB39_1262
.LBB39_1250:
	s_mov_b32 s10, 0
                                        ; implicit-def: $vgpr8_vgpr9
	s_cbranch_execnz .LBB39_1335
	s_branch .LBB39_1363
.LBB39_1251:
                                        ; implicit-def: $vgpr8_vgpr9
	s_branch .LBB39_1280
.LBB39_1252:
	s_mov_b32 s1, -1
	s_mov_b32 s10, 0
                                        ; implicit-def: $vgpr8_vgpr9
	s_branch .LBB39_1316
.LBB39_1253:
	s_mov_b32 s0, -1
                                        ; implicit-def: $vgpr8_vgpr9
	s_branch .LBB39_1268
.LBB39_1254:
	s_mov_b32 s1, -1
	s_mov_b32 s10, 0
                                        ; implicit-def: $vgpr8_vgpr9
	s_branch .LBB39_1311
.LBB39_1255:
	s_mov_b32 s0, -1
                                        ; implicit-def: $vgpr8_vgpr9
	s_branch .LBB39_1265
.LBB39_1256:
	s_cbranch_execnz .LBB39_1300
; %bb.1257:
	s_or_b32 s2, s8, exec_lo
                                        ; implicit-def: $vgpr6_vgpr7
	s_cbranch_execz .LBB39_1234
	s_branch .LBB39_1235
.LBB39_1258:
	s_or_saveexec_b32 s7, s7
                                        ; implicit-def: $sgpr8
	s_delay_alu instid0(SALU_CYCLE_1)
	s_xor_b32 exec_lo, exec_lo, s7
	s_cbranch_execz .LBB39_971
.LBB39_1259:
	v_add_f32_e64 v7, 0x46000000, |v2|
	s_and_not1_b32 s5, s5, exec_lo
	s_mov_b32 s8, 0
	s_delay_alu instid0(VALU_DEP_1) | instskip(NEXT) | instid1(VALU_DEP_1)
	v_and_b32_e32 v7, 0xff, v7
	v_cmp_ne_u32_e32 vcc_lo, 0, v7
	s_and_b32 s9, vcc_lo, exec_lo
	s_delay_alu instid0(SALU_CYCLE_1)
	s_or_b32 s5, s5, s9
	s_or_b32 exec_lo, exec_lo, s7
	v_mov_b32_e32 v9, s8
	s_and_saveexec_b32 s7, s5
	s_cbranch_execnz .LBB39_972
	s_branch .LBB39_973
.LBB39_1260:
	s_mov_b32 s1, -1
	s_mov_b32 s10, 0
	s_branch .LBB39_1305
.LBB39_1261:
	s_mov_b32 s0, -1
                                        ; implicit-def: $vgpr8_vgpr9
.LBB39_1262:
	s_delay_alu instid0(SALU_CYCLE_1)
	s_and_not1_b32 vcc_lo, exec_lo, s0
	s_cbranch_vccnz .LBB39_1264
; %bb.1263:
	global_load_b32 v8, v[10:11], off
	s_waitcnt vmcnt(0)
	v_trunc_f32_e32 v8, v8
	s_delay_alu instid0(VALU_DEP_1) | instskip(SKIP_1) | instid1(VALU_DEP_2)
	v_mul_f32_e64 v9, 0x2f800000, |v8|
	v_ashrrev_i32_e32 v13, 31, v8
	v_floor_f32_e32 v9, v9
	s_delay_alu instid0(VALU_DEP_1) | instskip(SKIP_1) | instid1(VALU_DEP_2)
	v_fma_f32 v12, 0xcf800000, v9, |v8|
	v_cvt_u32_f32_e32 v9, v9
	v_cvt_u32_f32_e32 v8, v12
	s_delay_alu instid0(VALU_DEP_2) | instskip(NEXT) | instid1(VALU_DEP_2)
	v_xor_b32_e32 v9, v9, v13
	v_xor_b32_e32 v8, v8, v13
	s_delay_alu instid0(VALU_DEP_1) | instskip(NEXT) | instid1(VALU_DEP_3)
	v_sub_co_u32 v8, vcc_lo, v8, v13
	v_sub_co_ci_u32_e32 v9, vcc_lo, v9, v13, vcc_lo
.LBB39_1264:
	s_mov_b32 s0, 0
.LBB39_1265:
	s_delay_alu instid0(SALU_CYCLE_1)
	s_and_not1_b32 vcc_lo, exec_lo, s0
	s_cbranch_vccnz .LBB39_1267
; %bb.1266:
	global_load_b32 v8, v[10:11], off
	s_waitcnt vmcnt(0)
	v_cvt_f32_f16_e32 v8, v8
	s_delay_alu instid0(VALU_DEP_1) | instskip(NEXT) | instid1(VALU_DEP_1)
	v_cvt_i32_f32_e32 v8, v8
	v_ashrrev_i32_e32 v9, 31, v8
.LBB39_1267:
	s_mov_b32 s0, 0
.LBB39_1268:
	s_delay_alu instid0(SALU_CYCLE_1)
	s_and_not1_b32 vcc_lo, exec_lo, s0
	s_cbranch_vccnz .LBB39_1279
; %bb.1269:
	v_cmp_gt_i16_e32 vcc_lo, 6, v14
	s_cbranch_vccnz .LBB39_1272
; %bb.1270:
	v_cmp_lt_i16_e32 vcc_lo, 6, v14
	s_cbranch_vccz .LBB39_1273
; %bb.1271:
	global_load_b64 v[8:9], v[10:11], off
	s_mov_b32 s0, 0
	s_waitcnt vmcnt(0)
	v_trunc_f64_e32 v[8:9], v[8:9]
	s_delay_alu instid0(VALU_DEP_1) | instskip(NEXT) | instid1(VALU_DEP_1)
	v_ldexp_f64 v[12:13], v[8:9], 0xffffffe0
	v_floor_f64_e32 v[12:13], v[12:13]
	s_delay_alu instid0(VALU_DEP_1) | instskip(SKIP_1) | instid1(VALU_DEP_2)
	v_fma_f64 v[15:16], 0xc1f00000, v[12:13], v[8:9]
	v_cvt_i32_f64_e32 v9, v[12:13]
	v_cvt_u32_f64_e32 v8, v[15:16]
	s_branch .LBB39_1274
.LBB39_1272:
	s_mov_b32 s0, -1
                                        ; implicit-def: $vgpr8_vgpr9
	s_branch .LBB39_1277
.LBB39_1273:
	s_mov_b32 s0, -1
                                        ; implicit-def: $vgpr8_vgpr9
.LBB39_1274:
	s_delay_alu instid0(SALU_CYCLE_1)
	s_and_not1_b32 vcc_lo, exec_lo, s0
	s_cbranch_vccnz .LBB39_1276
; %bb.1275:
	global_load_b32 v8, v[10:11], off
	s_waitcnt vmcnt(0)
	v_trunc_f32_e32 v8, v8
	s_delay_alu instid0(VALU_DEP_1) | instskip(SKIP_1) | instid1(VALU_DEP_2)
	v_mul_f32_e64 v9, 0x2f800000, |v8|
	v_ashrrev_i32_e32 v13, 31, v8
	v_floor_f32_e32 v9, v9
	s_delay_alu instid0(VALU_DEP_1) | instskip(SKIP_1) | instid1(VALU_DEP_2)
	v_fma_f32 v12, 0xcf800000, v9, |v8|
	v_cvt_u32_f32_e32 v9, v9
	v_cvt_u32_f32_e32 v8, v12
	s_delay_alu instid0(VALU_DEP_2) | instskip(NEXT) | instid1(VALU_DEP_2)
	v_xor_b32_e32 v9, v9, v13
	v_xor_b32_e32 v8, v8, v13
	s_delay_alu instid0(VALU_DEP_1) | instskip(NEXT) | instid1(VALU_DEP_3)
	v_sub_co_u32 v8, vcc_lo, v8, v13
	v_sub_co_ci_u32_e32 v9, vcc_lo, v9, v13, vcc_lo
.LBB39_1276:
	s_mov_b32 s0, 0
.LBB39_1277:
	s_delay_alu instid0(SALU_CYCLE_1)
	s_and_not1_b32 vcc_lo, exec_lo, s0
	s_cbranch_vccnz .LBB39_1279
; %bb.1278:
	global_load_u16 v8, v[10:11], off
	s_waitcnt vmcnt(0)
	v_cvt_f32_f16_e32 v8, v8
	s_delay_alu instid0(VALU_DEP_1) | instskip(NEXT) | instid1(VALU_DEP_1)
	v_cvt_i32_f32_e32 v8, v8
	v_ashrrev_i32_e32 v9, 31, v8
.LBB39_1279:
	s_cbranch_execnz .LBB39_1299
.LBB39_1280:
	v_cmp_gt_i16_e32 vcc_lo, 2, v14
	s_cbranch_vccnz .LBB39_1284
; %bb.1281:
	v_cmp_gt_i16_e32 vcc_lo, 3, v14
	s_cbranch_vccnz .LBB39_1285
; %bb.1282:
	v_cmp_lt_i16_e32 vcc_lo, 3, v14
	s_cbranch_vccz .LBB39_1286
; %bb.1283:
	global_load_b64 v[8:9], v[10:11], off
	s_mov_b32 s0, 0
	s_branch .LBB39_1287
.LBB39_1284:
	s_mov_b32 s0, -1
                                        ; implicit-def: $vgpr8_vgpr9
	s_branch .LBB39_1293
.LBB39_1285:
	s_mov_b32 s0, -1
                                        ; implicit-def: $vgpr8_vgpr9
	s_branch .LBB39_1290
.LBB39_1286:
	s_mov_b32 s0, -1
                                        ; implicit-def: $vgpr8_vgpr9
.LBB39_1287:
	s_delay_alu instid0(SALU_CYCLE_1)
	s_and_not1_b32 vcc_lo, exec_lo, s0
	s_cbranch_vccnz .LBB39_1289
; %bb.1288:
	global_load_b32 v8, v[10:11], off
	s_waitcnt vmcnt(0)
	v_ashrrev_i32_e32 v9, 31, v8
.LBB39_1289:
	s_mov_b32 s0, 0
.LBB39_1290:
	s_delay_alu instid0(SALU_CYCLE_1)
	s_and_not1_b32 vcc_lo, exec_lo, s0
	s_cbranch_vccnz .LBB39_1292
; %bb.1291:
	global_load_u16 v8, v[10:11], off
	s_waitcnt vmcnt(0)
	v_bfe_i32 v8, v8, 0, 16
	s_delay_alu instid0(VALU_DEP_1)
	v_ashrrev_i32_e32 v9, 31, v8
.LBB39_1292:
	s_mov_b32 s0, 0
.LBB39_1293:
	s_delay_alu instid0(SALU_CYCLE_1)
	s_and_not1_b32 vcc_lo, exec_lo, s0
	s_cbranch_vccnz .LBB39_1299
; %bb.1294:
	v_cmp_lt_i16_e32 vcc_lo, 0, v14
	s_mov_b32 s0, 0
	s_cbranch_vccz .LBB39_1296
; %bb.1295:
	global_load_i8 v8, v[10:11], off
	s_waitcnt vmcnt(0)
	v_bfe_i32 v8, v8, 0, 16
	s_delay_alu instid0(VALU_DEP_1)
	v_ashrrev_i32_e32 v9, 31, v8
	s_branch .LBB39_1297
.LBB39_1296:
	s_mov_b32 s0, -1
                                        ; implicit-def: $vgpr8_vgpr9
.LBB39_1297:
	s_delay_alu instid0(SALU_CYCLE_1)
	s_and_not1_b32 vcc_lo, exec_lo, s0
	s_cbranch_vccnz .LBB39_1299
; %bb.1298:
	global_load_u8 v8, v[10:11], off
	s_mov_b32 s0, 0
	s_waitcnt vmcnt(0)
	v_dual_mov_b32 v9, s0 :: v_dual_and_b32 v8, 0xffff, v8
.LBB39_1299:
	s_branch .LBB39_1368
.LBB39_1300:
	s_trap 2
	s_sendmsg_rtn_b32 s0, sendmsg(MSG_RTN_GET_DOORBELL)
	s_mov_b32 ttmp2, m0
	s_waitcnt lgkmcnt(0)
	s_and_b32 s0, s0, 0x3ff
	s_delay_alu instid0(SALU_CYCLE_1) | instskip(NEXT) | instid1(SALU_CYCLE_1)
	s_bitset1_b32 s0, 10
	s_mov_b32 m0, s0
	s_sendmsg sendmsg(MSG_INTERRUPT)
	s_mov_b32 m0, ttmp2
.LBB39_1301:                            ; =>This Inner Loop Header: Depth=1
	s_sethalt 5
	s_branch .LBB39_1301
.LBB39_1302:
	s_or_saveexec_b32 s8, s8
                                        ; implicit-def: $sgpr9
	s_delay_alu instid0(SALU_CYCLE_1)
	s_xor_b32 exec_lo, exec_lo, s8
	s_cbranch_execz .LBB39_983
.LBB39_1303:
	v_add_f32_e64 v7, 0x42800000, |v2|
	s_and_not1_b32 s7, s7, exec_lo
	s_mov_b32 s9, 0
	s_delay_alu instid0(VALU_DEP_1) | instskip(NEXT) | instid1(VALU_DEP_1)
	v_and_b32_e32 v7, 0xff, v7
	v_cmp_ne_u32_e32 vcc_lo, 0, v7
	s_and_b32 s10, vcc_lo, exec_lo
	s_delay_alu instid0(SALU_CYCLE_1)
	s_or_b32 s7, s7, s10
	s_or_b32 exec_lo, exec_lo, s8
	v_mov_b32_e32 v9, s9
	s_and_saveexec_b32 s8, s7
	s_cbranch_execnz .LBB39_984
	s_branch .LBB39_985
.LBB39_1304:
	s_mov_b32 s10, -1
.LBB39_1305:
                                        ; implicit-def: $vgpr8_vgpr9
.LBB39_1306:
	s_and_b32 vcc_lo, exec_lo, s1
	s_cbranch_vccz .LBB39_1310
; %bb.1307:
	v_cmp_eq_u16_e32 vcc_lo, 44, v14
	s_cbranch_vccz .LBB39_1309
; %bb.1308:
	global_load_u8 v8, v[10:11], off
	s_mov_b32 s10, 0
	s_mov_b32 s0, -1
	s_waitcnt vmcnt(0)
	v_lshlrev_b32_e32 v9, 23, v8
	s_delay_alu instid0(VALU_DEP_1) | instskip(NEXT) | instid1(VALU_DEP_1)
	v_trunc_f32_e32 v9, v9
	v_mul_f32_e64 v12, 0x2f800000, |v9|
	s_delay_alu instid0(VALU_DEP_1) | instskip(NEXT) | instid1(VALU_DEP_1)
	v_floor_f32_e32 v12, v12
	v_fma_f32 v13, 0xcf800000, v12, |v9|
	v_ashrrev_i32_e32 v9, 31, v9
	v_cvt_u32_f32_e32 v12, v12
	s_delay_alu instid0(VALU_DEP_3) | instskip(NEXT) | instid1(VALU_DEP_2)
	v_cvt_u32_f32_e32 v13, v13
	v_xor_b32_e32 v12, v12, v9
	s_delay_alu instid0(VALU_DEP_2) | instskip(NEXT) | instid1(VALU_DEP_1)
	v_xor_b32_e32 v13, v13, v9
	v_sub_co_u32 v13, vcc_lo, v13, v9
	s_delay_alu instid0(VALU_DEP_3) | instskip(SKIP_1) | instid1(VALU_DEP_3)
	v_sub_co_ci_u32_e32 v9, vcc_lo, v12, v9, vcc_lo
	v_cmp_ne_u32_e32 vcc_lo, 0, v8
	v_cndmask_b32_e32 v8, 0, v13, vcc_lo
	s_delay_alu instid0(VALU_DEP_3)
	v_cndmask_b32_e32 v9, 0, v9, vcc_lo
	s_branch .LBB39_1310
.LBB39_1309:
	s_mov_b32 s10, -1
                                        ; implicit-def: $vgpr8_vgpr9
.LBB39_1310:
	s_mov_b32 s1, 0
.LBB39_1311:
	s_delay_alu instid0(SALU_CYCLE_1)
	s_and_b32 vcc_lo, exec_lo, s1
	s_cbranch_vccz .LBB39_1315
; %bb.1312:
	v_cmp_eq_u16_e32 vcc_lo, 29, v14
	s_cbranch_vccz .LBB39_1314
; %bb.1313:
	global_load_b64 v[8:9], v[10:11], off
	s_mov_b32 s10, 0
	s_mov_b32 s0, -1
	s_branch .LBB39_1315
.LBB39_1314:
	s_mov_b32 s10, -1
                                        ; implicit-def: $vgpr8_vgpr9
.LBB39_1315:
	s_mov_b32 s1, 0
.LBB39_1316:
	s_delay_alu instid0(SALU_CYCLE_1)
	s_and_b32 vcc_lo, exec_lo, s1
	s_cbranch_vccz .LBB39_1334
; %bb.1317:
	v_cmp_gt_i16_e32 vcc_lo, 27, v14
	s_cbranch_vccnz .LBB39_1320
; %bb.1318:
	v_cmp_lt_i16_e32 vcc_lo, 27, v14
	s_cbranch_vccz .LBB39_1321
; %bb.1319:
	global_load_b32 v8, v[10:11], off
	s_waitcnt vmcnt(1)
	v_mov_b32_e32 v9, 0
	s_mov_b32 s0, 0
	s_branch .LBB39_1322
.LBB39_1320:
	s_mov_b32 s0, -1
                                        ; implicit-def: $vgpr8_vgpr9
	s_branch .LBB39_1325
.LBB39_1321:
	s_mov_b32 s0, -1
                                        ; implicit-def: $vgpr8_vgpr9
.LBB39_1322:
	s_delay_alu instid0(SALU_CYCLE_1)
	s_and_not1_b32 vcc_lo, exec_lo, s0
	s_cbranch_vccnz .LBB39_1324
; %bb.1323:
	global_load_u16 v8, v[10:11], off
	s_mov_b32 s0, 0
	s_waitcnt vmcnt(0)
	v_dual_mov_b32 v9, s0 :: v_dual_and_b32 v8, 0xffff, v8
.LBB39_1324:
	s_mov_b32 s0, 0
.LBB39_1325:
	s_delay_alu instid0(SALU_CYCLE_1)
	s_and_not1_b32 vcc_lo, exec_lo, s0
	s_cbranch_vccnz .LBB39_1333
; %bb.1326:
	global_load_u8 v12, v[10:11], off
	s_mov_b32 s12, 0
	s_mov_b32 s13, exec_lo
                                        ; implicit-def: $sgpr0_sgpr1
	s_waitcnt vmcnt(0)
	v_cmpx_lt_i16_e32 0x7f, v12
	s_xor_b32 s13, exec_lo, s13
; %bb.1327:
	v_cmp_ne_u16_e32 vcc_lo, 0x80, v12
	s_mov_b64 s[0:1], 0
	s_and_b32 s12, vcc_lo, exec_lo
; %bb.1328:
	s_or_saveexec_b32 s13, s13
	v_dual_mov_b32 v9, s1 :: v_dual_mov_b32 v8, s0
	s_xor_b32 exec_lo, exec_lo, s13
; %bb.1329:
	v_cmp_ne_u16_e32 vcc_lo, 0, v12
	v_mov_b32_e32 v8, 0
	v_mov_b32_e32 v9, 0
	s_and_not1_b32 s0, s12, exec_lo
	s_and_b32 s1, vcc_lo, exec_lo
	s_delay_alu instid0(SALU_CYCLE_1)
	s_or_b32 s12, s0, s1
; %bb.1330:
	s_or_b32 exec_lo, exec_lo, s13
	s_and_saveexec_b32 s0, s12
	s_cbranch_execz .LBB39_1332
; %bb.1331:
	v_and_b32_e32 v8, 0xffff, v12
	v_lshlrev_b32_e32 v12, 24, v12
	s_delay_alu instid0(VALU_DEP_2) | instskip(NEXT) | instid1(VALU_DEP_2)
	v_and_b32_e32 v9, 7, v8
	v_and_b32_e32 v12, 0x80000000, v12
	s_delay_alu instid0(VALU_DEP_2) | instskip(NEXT) | instid1(VALU_DEP_1)
	v_clz_i32_u32_e32 v13, v9
	v_min_u32_e32 v13, 32, v13
	s_delay_alu instid0(VALU_DEP_1) | instskip(SKIP_1) | instid1(VALU_DEP_2)
	v_subrev_nc_u32_e32 v15, 28, v13
	v_sub_nc_u32_e32 v13, 29, v13
	v_lshlrev_b32_e32 v15, v15, v8
	v_bfe_u32 v8, v8, 3, 4
	s_delay_alu instid0(VALU_DEP_2) | instskip(NEXT) | instid1(VALU_DEP_2)
	v_and_b32_e32 v15, 7, v15
	v_cmp_eq_u32_e32 vcc_lo, 0, v8
	s_delay_alu instid0(VALU_DEP_2) | instskip(NEXT) | instid1(VALU_DEP_1)
	v_dual_cndmask_b32 v8, v8, v13 :: v_dual_cndmask_b32 v9, v9, v15
	v_lshl_add_u32 v8, v8, 23, 0x3b800000
	s_delay_alu instid0(VALU_DEP_2) | instskip(NEXT) | instid1(VALU_DEP_1)
	v_lshlrev_b32_e32 v9, 20, v9
	v_or3_b32 v8, v12, v8, v9
	s_delay_alu instid0(VALU_DEP_1) | instskip(NEXT) | instid1(VALU_DEP_1)
	v_trunc_f32_e32 v8, v8
	v_mul_f32_e64 v9, 0x2f800000, |v8|
	v_ashrrev_i32_e32 v13, 31, v8
	s_delay_alu instid0(VALU_DEP_2) | instskip(NEXT) | instid1(VALU_DEP_1)
	v_floor_f32_e32 v9, v9
	v_fma_f32 v12, 0xcf800000, v9, |v8|
	v_cvt_u32_f32_e32 v9, v9
	s_delay_alu instid0(VALU_DEP_2) | instskip(NEXT) | instid1(VALU_DEP_2)
	v_cvt_u32_f32_e32 v8, v12
	v_xor_b32_e32 v9, v9, v13
	s_delay_alu instid0(VALU_DEP_2) | instskip(NEXT) | instid1(VALU_DEP_1)
	v_xor_b32_e32 v8, v8, v13
	v_sub_co_u32 v8, vcc_lo, v8, v13
	s_delay_alu instid0(VALU_DEP_3)
	v_sub_co_ci_u32_e32 v9, vcc_lo, v9, v13, vcc_lo
.LBB39_1332:
	s_or_b32 exec_lo, exec_lo, s0
.LBB39_1333:
	s_mov_b32 s0, -1
.LBB39_1334:
	s_branch .LBB39_1363
.LBB39_1335:
	v_cmp_lt_i16_e32 vcc_lo, 22, v14
	s_cbranch_vccz .LBB39_1345
; %bb.1336:
	v_cmp_gt_i16_e32 vcc_lo, 24, v14
	s_cbranch_vccnz .LBB39_1346
; %bb.1337:
	v_cmp_lt_i16_e32 vcc_lo, 24, v14
	s_cbranch_vccz .LBB39_1347
; %bb.1338:
	global_load_u8 v12, v[10:11], off
	s_mov_b32 s12, exec_lo
                                        ; implicit-def: $sgpr0_sgpr1
	s_waitcnt vmcnt(0)
	v_cmpx_lt_i16_e32 0x7f, v12
	s_xor_b32 s12, exec_lo, s12
; %bb.1339:
	v_cmp_ne_u16_e32 vcc_lo, 0x80, v12
	s_mov_b64 s[0:1], 0
	s_and_b32 s11, vcc_lo, exec_lo
; %bb.1340:
	s_or_saveexec_b32 s12, s12
	v_dual_mov_b32 v9, s1 :: v_dual_mov_b32 v8, s0
	s_xor_b32 exec_lo, exec_lo, s12
; %bb.1341:
	v_cmp_ne_u16_e32 vcc_lo, 0, v12
	v_mov_b32_e32 v8, 0
	v_mov_b32_e32 v9, 0
	s_and_not1_b32 s0, s11, exec_lo
	s_and_b32 s1, vcc_lo, exec_lo
	s_delay_alu instid0(SALU_CYCLE_1)
	s_or_b32 s11, s0, s1
; %bb.1342:
	s_or_b32 exec_lo, exec_lo, s12
	s_and_saveexec_b32 s0, s11
	s_cbranch_execz .LBB39_1344
; %bb.1343:
	v_and_b32_e32 v8, 0xffff, v12
	v_lshlrev_b32_e32 v12, 24, v12
	s_delay_alu instid0(VALU_DEP_2) | instskip(NEXT) | instid1(VALU_DEP_2)
	v_and_b32_e32 v9, 3, v8
	v_and_b32_e32 v12, 0x80000000, v12
	s_delay_alu instid0(VALU_DEP_2) | instskip(NEXT) | instid1(VALU_DEP_1)
	v_clz_i32_u32_e32 v13, v9
	v_min_u32_e32 v13, 32, v13
	s_delay_alu instid0(VALU_DEP_1) | instskip(SKIP_1) | instid1(VALU_DEP_2)
	v_subrev_nc_u32_e32 v15, 29, v13
	v_sub_nc_u32_e32 v13, 30, v13
	v_lshlrev_b32_e32 v15, v15, v8
	v_bfe_u32 v8, v8, 2, 5
	s_delay_alu instid0(VALU_DEP_2) | instskip(NEXT) | instid1(VALU_DEP_2)
	v_and_b32_e32 v15, 3, v15
	v_cmp_eq_u32_e32 vcc_lo, 0, v8
	s_delay_alu instid0(VALU_DEP_2) | instskip(NEXT) | instid1(VALU_DEP_1)
	v_dual_cndmask_b32 v8, v8, v13 :: v_dual_cndmask_b32 v9, v9, v15
	v_lshl_add_u32 v8, v8, 23, 0x37800000
	s_delay_alu instid0(VALU_DEP_2) | instskip(NEXT) | instid1(VALU_DEP_1)
	v_lshlrev_b32_e32 v9, 21, v9
	v_or3_b32 v8, v12, v8, v9
	s_delay_alu instid0(VALU_DEP_1) | instskip(NEXT) | instid1(VALU_DEP_1)
	v_trunc_f32_e32 v8, v8
	v_mul_f32_e64 v9, 0x2f800000, |v8|
	v_ashrrev_i32_e32 v13, 31, v8
	s_delay_alu instid0(VALU_DEP_2) | instskip(NEXT) | instid1(VALU_DEP_1)
	v_floor_f32_e32 v9, v9
	v_fma_f32 v12, 0xcf800000, v9, |v8|
	v_cvt_u32_f32_e32 v9, v9
	s_delay_alu instid0(VALU_DEP_2) | instskip(NEXT) | instid1(VALU_DEP_2)
	v_cvt_u32_f32_e32 v8, v12
	v_xor_b32_e32 v9, v9, v13
	s_delay_alu instid0(VALU_DEP_2) | instskip(NEXT) | instid1(VALU_DEP_1)
	v_xor_b32_e32 v8, v8, v13
	v_sub_co_u32 v8, vcc_lo, v8, v13
	s_delay_alu instid0(VALU_DEP_3)
	v_sub_co_ci_u32_e32 v9, vcc_lo, v9, v13, vcc_lo
.LBB39_1344:
	s_or_b32 exec_lo, exec_lo, s0
	s_mov_b32 s0, 0
	s_branch .LBB39_1348
.LBB39_1345:
	s_mov_b32 s1, -1
                                        ; implicit-def: $vgpr8_vgpr9
	s_branch .LBB39_1354
.LBB39_1346:
	s_mov_b32 s0, -1
                                        ; implicit-def: $vgpr8_vgpr9
	s_branch .LBB39_1351
.LBB39_1347:
	s_mov_b32 s0, -1
                                        ; implicit-def: $vgpr8_vgpr9
.LBB39_1348:
	s_delay_alu instid0(SALU_CYCLE_1)
	s_and_b32 vcc_lo, exec_lo, s0
	s_cbranch_vccz .LBB39_1350
; %bb.1349:
	global_load_u8 v8, v[10:11], off
	s_waitcnt vmcnt(0)
	v_lshlrev_b32_e32 v8, 24, v8
	s_delay_alu instid0(VALU_DEP_1) | instskip(NEXT) | instid1(VALU_DEP_1)
	v_and_b32_e32 v9, 0x7f000000, v8
	v_clz_i32_u32_e32 v12, v9
	v_add_nc_u32_e32 v15, 0x1000000, v9
	v_cmp_ne_u32_e32 vcc_lo, 0, v9
	s_delay_alu instid0(VALU_DEP_3) | instskip(NEXT) | instid1(VALU_DEP_1)
	v_min_u32_e32 v12, 32, v12
	v_sub_nc_u32_e64 v12, v12, 4 clamp
	s_delay_alu instid0(VALU_DEP_1) | instskip(SKIP_1) | instid1(VALU_DEP_2)
	v_lshlrev_b32_e32 v13, v12, v9
	v_lshlrev_b32_e32 v12, 23, v12
	v_lshrrev_b32_e32 v13, 4, v13
	s_delay_alu instid0(VALU_DEP_1) | instskip(SKIP_1) | instid1(VALU_DEP_2)
	v_sub_nc_u32_e32 v12, v13, v12
	v_ashrrev_i32_e32 v13, 8, v15
	v_add_nc_u32_e32 v12, 0x3c000000, v12
	s_delay_alu instid0(VALU_DEP_1) | instskip(NEXT) | instid1(VALU_DEP_1)
	v_and_or_b32 v12, 0x7f800000, v13, v12
	v_cndmask_b32_e32 v9, 0, v12, vcc_lo
	s_delay_alu instid0(VALU_DEP_1) | instskip(NEXT) | instid1(VALU_DEP_1)
	v_and_or_b32 v8, 0x80000000, v8, v9
	v_trunc_f32_e32 v8, v8
	s_delay_alu instid0(VALU_DEP_1) | instskip(SKIP_1) | instid1(VALU_DEP_2)
	v_mul_f32_e64 v9, 0x2f800000, |v8|
	v_ashrrev_i32_e32 v13, 31, v8
	v_floor_f32_e32 v9, v9
	s_delay_alu instid0(VALU_DEP_1) | instskip(SKIP_1) | instid1(VALU_DEP_2)
	v_fma_f32 v12, 0xcf800000, v9, |v8|
	v_cvt_u32_f32_e32 v9, v9
	v_cvt_u32_f32_e32 v8, v12
	s_delay_alu instid0(VALU_DEP_2) | instskip(NEXT) | instid1(VALU_DEP_2)
	v_xor_b32_e32 v9, v9, v13
	v_xor_b32_e32 v8, v8, v13
	s_delay_alu instid0(VALU_DEP_1) | instskip(NEXT) | instid1(VALU_DEP_3)
	v_sub_co_u32 v8, vcc_lo, v8, v13
	v_sub_co_ci_u32_e32 v9, vcc_lo, v9, v13, vcc_lo
.LBB39_1350:
	s_mov_b32 s0, 0
.LBB39_1351:
	s_delay_alu instid0(SALU_CYCLE_1)
	s_and_not1_b32 vcc_lo, exec_lo, s0
	s_cbranch_vccnz .LBB39_1353
; %bb.1352:
	global_load_u8 v8, v[10:11], off
	s_waitcnt vmcnt(0)
	v_lshlrev_b32_e32 v9, 25, v8
	v_lshlrev_b16 v8, 8, v8
	s_delay_alu instid0(VALU_DEP_2) | instskip(NEXT) | instid1(VALU_DEP_2)
	v_lshrrev_b32_e32 v12, 4, v9
	v_and_or_b32 v13, 0x7f00, v8, 0.5
	v_cmp_gt_u32_e32 vcc_lo, 0x8000000, v9
	v_bfe_i32 v8, v8, 0, 16
	s_delay_alu instid0(VALU_DEP_4) | instskip(NEXT) | instid1(VALU_DEP_1)
	v_or_b32_e32 v12, 0x70000000, v12
	v_dual_add_f32 v13, -0.5, v13 :: v_dual_mul_f32 v12, 0x7800000, v12
	s_delay_alu instid0(VALU_DEP_1) | instskip(NEXT) | instid1(VALU_DEP_1)
	v_cndmask_b32_e32 v9, v12, v13, vcc_lo
	v_and_or_b32 v8, 0x80000000, v8, v9
	s_delay_alu instid0(VALU_DEP_1) | instskip(NEXT) | instid1(VALU_DEP_1)
	v_trunc_f32_e32 v8, v8
	v_mul_f32_e64 v9, 0x2f800000, |v8|
	v_ashrrev_i32_e32 v13, 31, v8
	s_delay_alu instid0(VALU_DEP_2) | instskip(NEXT) | instid1(VALU_DEP_1)
	v_floor_f32_e32 v9, v9
	v_fma_f32 v12, 0xcf800000, v9, |v8|
	v_cvt_u32_f32_e32 v9, v9
	s_delay_alu instid0(VALU_DEP_2) | instskip(NEXT) | instid1(VALU_DEP_2)
	v_cvt_u32_f32_e32 v8, v12
	v_xor_b32_e32 v9, v9, v13
	s_delay_alu instid0(VALU_DEP_2) | instskip(NEXT) | instid1(VALU_DEP_1)
	v_xor_b32_e32 v8, v8, v13
	v_sub_co_u32 v8, vcc_lo, v8, v13
	s_delay_alu instid0(VALU_DEP_3)
	v_sub_co_ci_u32_e32 v9, vcc_lo, v9, v13, vcc_lo
.LBB39_1353:
	s_mov_b32 s1, 0
	s_mov_b32 s0, -1
.LBB39_1354:
	s_and_not1_b32 vcc_lo, exec_lo, s1
	s_mov_b32 s11, 0
	s_cbranch_vccnz .LBB39_1363
; %bb.1355:
	v_cmp_lt_i16_e32 vcc_lo, 14, v14
	s_cbranch_vccz .LBB39_1358
; %bb.1356:
	v_cmp_eq_u16_e32 vcc_lo, 15, v14
	s_cbranch_vccz .LBB39_1359
; %bb.1357:
	global_load_u16 v8, v[10:11], off
	s_mov_b32 s10, 0
	s_mov_b32 s0, -1
	s_waitcnt vmcnt(0)
	v_lshlrev_b32_e32 v8, 16, v8
	s_delay_alu instid0(VALU_DEP_1) | instskip(NEXT) | instid1(VALU_DEP_1)
	v_trunc_f32_e32 v8, v8
	v_mul_f32_e64 v9, 0x2f800000, |v8|
	v_ashrrev_i32_e32 v13, 31, v8
	s_delay_alu instid0(VALU_DEP_2) | instskip(NEXT) | instid1(VALU_DEP_1)
	v_floor_f32_e32 v9, v9
	v_fma_f32 v12, 0xcf800000, v9, |v8|
	v_cvt_u32_f32_e32 v9, v9
	s_delay_alu instid0(VALU_DEP_2) | instskip(NEXT) | instid1(VALU_DEP_2)
	v_cvt_u32_f32_e32 v8, v12
	v_xor_b32_e32 v9, v9, v13
	s_delay_alu instid0(VALU_DEP_2) | instskip(NEXT) | instid1(VALU_DEP_1)
	v_xor_b32_e32 v8, v8, v13
	v_sub_co_u32 v8, vcc_lo, v8, v13
	s_delay_alu instid0(VALU_DEP_3)
	v_sub_co_ci_u32_e32 v9, vcc_lo, v9, v13, vcc_lo
	s_branch .LBB39_1360
.LBB39_1358:
	s_mov_b32 s1, -1
                                        ; implicit-def: $vgpr8_vgpr9
	s_branch .LBB39_1361
.LBB39_1359:
	s_mov_b32 s10, -1
                                        ; implicit-def: $vgpr8_vgpr9
.LBB39_1360:
	s_mov_b32 s1, 0
.LBB39_1361:
	s_delay_alu instid0(SALU_CYCLE_1)
	s_and_b32 vcc_lo, exec_lo, s1
	s_cbranch_vccz .LBB39_1363
; %bb.1362:
	v_cmp_ne_u16_e64 s10, 11, v14
	s_mov_b32 s11, -1
                                        ; implicit-def: $vgpr8_vgpr9
.LBB39_1363:
	s_delay_alu instid0(VALU_DEP_1)
	s_and_b32 vcc_lo, exec_lo, s10
	s_cbranch_vccnz .LBB39_1387
; %bb.1364:
	s_and_not1_b32 vcc_lo, exec_lo, s11
	s_cbranch_vccnz .LBB39_1366
.LBB39_1365:
	global_load_u8 v8, v[10:11], off
	s_mov_b32 s0, 0
	s_waitcnt vmcnt(1)
	v_mov_b32_e32 v9, s0
	s_mov_b32 s0, -1
	s_waitcnt vmcnt(0)
	v_cmp_ne_u16_e32 vcc_lo, 0, v8
	v_cndmask_b32_e64 v8, 0, 1, vcc_lo
.LBB39_1366:
.LBB39_1367:
	s_and_not1_b32 vcc_lo, exec_lo, s0
	s_cbranch_vccnz .LBB39_1430
.LBB39_1368:
	v_cmp_gt_i16_e32 vcc_lo, 11, v14
	v_add_co_u32 v12, s0, s6, v5
	s_delay_alu instid0(VALU_DEP_1)
	v_add_co_ci_u32_e64 v13, null, s7, 0, s0
	s_mov_b32 s0, 0
	s_cbranch_vccnz .LBB39_1375
; %bb.1369:
	v_cmp_lt_i16_e32 vcc_lo, 25, v14
	s_mov_b32 s11, 0
	s_cbranch_vccz .LBB39_1381
; %bb.1370:
	v_cmp_lt_i16_e32 vcc_lo, 28, v14
	s_cbranch_vccz .LBB39_1383
; %bb.1371:
	v_cmp_lt_i16_e32 vcc_lo, 43, v14
	;; [unrolled: 3-line block ×3, first 2 shown]
	s_cbranch_vccz .LBB39_1389
; %bb.1373:
	v_cmp_eq_u16_e32 vcc_lo, 46, v14
	s_mov_b32 s1, 0
	s_cbranch_vccz .LBB39_1477
; %bb.1374:
	global_load_b32 v5, v[12:13], off
	s_mov_b32 s10, 0
	s_mov_b32 s0, -1
	s_waitcnt vmcnt(0)
	v_lshlrev_b32_e32 v5, 16, v5
	s_delay_alu instid0(VALU_DEP_1) | instskip(NEXT) | instid1(VALU_DEP_1)
	v_trunc_f32_e32 v5, v5
	v_mul_f32_e64 v10, 0x2f800000, |v5|
	s_delay_alu instid0(VALU_DEP_1) | instskip(NEXT) | instid1(VALU_DEP_1)
	v_floor_f32_e32 v10, v10
	v_fma_f32 v11, 0xcf800000, v10, |v5|
	v_ashrrev_i32_e32 v5, 31, v5
	v_cvt_u32_f32_e32 v10, v10
	s_delay_alu instid0(VALU_DEP_3) | instskip(NEXT) | instid1(VALU_DEP_2)
	v_cvt_u32_f32_e32 v11, v11
	v_xor_b32_e32 v15, v10, v5
	s_delay_alu instid0(VALU_DEP_2) | instskip(NEXT) | instid1(VALU_DEP_1)
	v_xor_b32_e32 v11, v11, v5
	v_sub_co_u32 v10, vcc_lo, v11, v5
	s_delay_alu instid0(VALU_DEP_3)
	v_sub_co_ci_u32_e32 v11, vcc_lo, v15, v5, vcc_lo
	s_branch .LBB39_1479
.LBB39_1375:
                                        ; implicit-def: $vgpr10_vgpr11
	s_cbranch_execz .LBB39_1541
; %bb.1376:
	v_cmp_gt_i16_e32 vcc_lo, 5, v14
	s_cbranch_vccnz .LBB39_1382
; %bb.1377:
	v_cmp_gt_i16_e32 vcc_lo, 8, v14
	s_cbranch_vccnz .LBB39_1384
	;; [unrolled: 3-line block ×3, first 2 shown]
; %bb.1379:
	v_cmp_lt_i16_e32 vcc_lo, 9, v14
	s_cbranch_vccz .LBB39_1390
; %bb.1380:
	global_load_b64 v[10:11], v[12:13], off
	s_mov_b32 s0, 0
	s_waitcnt vmcnt(0)
	v_trunc_f64_e32 v[10:11], v[10:11]
	s_delay_alu instid0(VALU_DEP_1) | instskip(NEXT) | instid1(VALU_DEP_1)
	v_ldexp_f64 v[15:16], v[10:11], 0xffffffe0
	v_floor_f64_e32 v[15:16], v[15:16]
	s_delay_alu instid0(VALU_DEP_1) | instskip(SKIP_1) | instid1(VALU_DEP_2)
	v_fma_f64 v[17:18], 0xc1f00000, v[15:16], v[10:11]
	v_cvt_i32_f64_e32 v11, v[15:16]
	v_cvt_u32_f64_e32 v10, v[17:18]
	s_branch .LBB39_1391
.LBB39_1381:
	s_mov_b32 s1, -1
	s_mov_b32 s10, 0
                                        ; implicit-def: $vgpr10_vgpr11
	s_branch .LBB39_1508
.LBB39_1382:
	s_mov_b32 s0, -1
                                        ; implicit-def: $vgpr10_vgpr11
	s_branch .LBB39_1409
.LBB39_1383:
	s_mov_b32 s1, -1
	s_mov_b32 s10, 0
                                        ; implicit-def: $vgpr10_vgpr11
	s_branch .LBB39_1489
.LBB39_1384:
	s_mov_b32 s0, -1
                                        ; implicit-def: $vgpr10_vgpr11
	s_branch .LBB39_1397
.LBB39_1385:
	s_mov_b32 s1, -1
	s_mov_b32 s10, 0
                                        ; implicit-def: $vgpr10_vgpr11
	s_branch .LBB39_1484
.LBB39_1386:
	s_mov_b32 s0, -1
                                        ; implicit-def: $vgpr10_vgpr11
	s_branch .LBB39_1394
.LBB39_1387:
	s_cbranch_execnz .LBB39_1475
; %bb.1388:
	s_or_b32 s2, s2, exec_lo
                                        ; implicit-def: $vgpr8_vgpr9
	s_cbranch_execz .LBB39_1365
	s_branch .LBB39_1366
.LBB39_1389:
	s_mov_b32 s1, -1
	s_mov_b32 s10, 0
	s_branch .LBB39_1478
.LBB39_1390:
	s_mov_b32 s0, -1
                                        ; implicit-def: $vgpr10_vgpr11
.LBB39_1391:
	s_delay_alu instid0(SALU_CYCLE_1)
	s_and_not1_b32 vcc_lo, exec_lo, s0
	s_cbranch_vccnz .LBB39_1393
; %bb.1392:
	global_load_b32 v5, v[12:13], off
	s_waitcnt vmcnt(0)
	v_trunc_f32_e32 v5, v5
	s_delay_alu instid0(VALU_DEP_1) | instskip(NEXT) | instid1(VALU_DEP_1)
	v_mul_f32_e64 v10, 0x2f800000, |v5|
	v_floor_f32_e32 v10, v10
	s_delay_alu instid0(VALU_DEP_1) | instskip(SKIP_2) | instid1(VALU_DEP_3)
	v_fma_f32 v11, 0xcf800000, v10, |v5|
	v_ashrrev_i32_e32 v5, 31, v5
	v_cvt_u32_f32_e32 v10, v10
	v_cvt_u32_f32_e32 v11, v11
	s_delay_alu instid0(VALU_DEP_2) | instskip(NEXT) | instid1(VALU_DEP_2)
	v_xor_b32_e32 v15, v10, v5
	v_xor_b32_e32 v11, v11, v5
	s_delay_alu instid0(VALU_DEP_1) | instskip(NEXT) | instid1(VALU_DEP_3)
	v_sub_co_u32 v10, vcc_lo, v11, v5
	v_sub_co_ci_u32_e32 v11, vcc_lo, v15, v5, vcc_lo
.LBB39_1393:
	s_mov_b32 s0, 0
.LBB39_1394:
	s_delay_alu instid0(SALU_CYCLE_1)
	s_and_not1_b32 vcc_lo, exec_lo, s0
	s_cbranch_vccnz .LBB39_1396
; %bb.1395:
	global_load_b32 v5, v[12:13], off
	s_waitcnt vmcnt(0)
	v_cvt_f32_f16_e32 v5, v5
	s_delay_alu instid0(VALU_DEP_1) | instskip(NEXT) | instid1(VALU_DEP_1)
	v_cvt_i32_f32_e32 v10, v5
	v_ashrrev_i32_e32 v11, 31, v10
.LBB39_1396:
	s_mov_b32 s0, 0
.LBB39_1397:
	s_delay_alu instid0(SALU_CYCLE_1)
	s_and_not1_b32 vcc_lo, exec_lo, s0
	s_cbranch_vccnz .LBB39_1408
; %bb.1398:
	v_cmp_gt_i16_e32 vcc_lo, 6, v14
	s_cbranch_vccnz .LBB39_1401
; %bb.1399:
	v_cmp_lt_i16_e32 vcc_lo, 6, v14
	s_cbranch_vccz .LBB39_1402
; %bb.1400:
	global_load_b64 v[10:11], v[12:13], off
	s_mov_b32 s0, 0
	s_waitcnt vmcnt(0)
	v_trunc_f64_e32 v[10:11], v[10:11]
	s_delay_alu instid0(VALU_DEP_1) | instskip(NEXT) | instid1(VALU_DEP_1)
	v_ldexp_f64 v[15:16], v[10:11], 0xffffffe0
	v_floor_f64_e32 v[15:16], v[15:16]
	s_delay_alu instid0(VALU_DEP_1) | instskip(SKIP_1) | instid1(VALU_DEP_2)
	v_fma_f64 v[17:18], 0xc1f00000, v[15:16], v[10:11]
	v_cvt_i32_f64_e32 v11, v[15:16]
	v_cvt_u32_f64_e32 v10, v[17:18]
	s_branch .LBB39_1403
.LBB39_1401:
	s_mov_b32 s0, -1
                                        ; implicit-def: $vgpr10_vgpr11
	s_branch .LBB39_1406
.LBB39_1402:
	s_mov_b32 s0, -1
                                        ; implicit-def: $vgpr10_vgpr11
.LBB39_1403:
	s_delay_alu instid0(SALU_CYCLE_1)
	s_and_not1_b32 vcc_lo, exec_lo, s0
	s_cbranch_vccnz .LBB39_1405
; %bb.1404:
	global_load_b32 v5, v[12:13], off
	s_waitcnt vmcnt(0)
	v_trunc_f32_e32 v5, v5
	s_delay_alu instid0(VALU_DEP_1) | instskip(NEXT) | instid1(VALU_DEP_1)
	v_mul_f32_e64 v10, 0x2f800000, |v5|
	v_floor_f32_e32 v10, v10
	s_delay_alu instid0(VALU_DEP_1) | instskip(SKIP_2) | instid1(VALU_DEP_3)
	v_fma_f32 v11, 0xcf800000, v10, |v5|
	v_ashrrev_i32_e32 v5, 31, v5
	v_cvt_u32_f32_e32 v10, v10
	v_cvt_u32_f32_e32 v11, v11
	s_delay_alu instid0(VALU_DEP_2) | instskip(NEXT) | instid1(VALU_DEP_2)
	v_xor_b32_e32 v15, v10, v5
	v_xor_b32_e32 v11, v11, v5
	s_delay_alu instid0(VALU_DEP_1) | instskip(NEXT) | instid1(VALU_DEP_3)
	v_sub_co_u32 v10, vcc_lo, v11, v5
	v_sub_co_ci_u32_e32 v11, vcc_lo, v15, v5, vcc_lo
.LBB39_1405:
	s_mov_b32 s0, 0
.LBB39_1406:
	s_delay_alu instid0(SALU_CYCLE_1)
	s_and_not1_b32 vcc_lo, exec_lo, s0
	s_cbranch_vccnz .LBB39_1408
; %bb.1407:
	global_load_u16 v5, v[12:13], off
	s_waitcnt vmcnt(0)
	v_cvt_f32_f16_e32 v5, v5
	s_delay_alu instid0(VALU_DEP_1) | instskip(NEXT) | instid1(VALU_DEP_1)
	v_cvt_i32_f32_e32 v10, v5
	v_ashrrev_i32_e32 v11, 31, v10
.LBB39_1408:
	s_mov_b32 s0, 0
.LBB39_1409:
	s_delay_alu instid0(SALU_CYCLE_1)
	s_and_not1_b32 vcc_lo, exec_lo, s0
	s_cbranch_vccnz .LBB39_1429
; %bb.1410:
	v_cmp_gt_i16_e32 vcc_lo, 2, v14
	s_cbranch_vccnz .LBB39_1414
; %bb.1411:
	v_cmp_gt_i16_e32 vcc_lo, 3, v14
	s_cbranch_vccnz .LBB39_1415
; %bb.1412:
	v_cmp_lt_i16_e32 vcc_lo, 3, v14
	s_cbranch_vccz .LBB39_1416
; %bb.1413:
	global_load_b64 v[10:11], v[12:13], off
	s_mov_b32 s0, 0
	s_branch .LBB39_1417
.LBB39_1414:
	s_mov_b32 s0, -1
                                        ; implicit-def: $vgpr10_vgpr11
	s_branch .LBB39_1423
.LBB39_1415:
	s_mov_b32 s0, -1
                                        ; implicit-def: $vgpr10_vgpr11
	s_branch .LBB39_1420
.LBB39_1416:
	s_mov_b32 s0, -1
                                        ; implicit-def: $vgpr10_vgpr11
.LBB39_1417:
	s_delay_alu instid0(SALU_CYCLE_1)
	s_and_not1_b32 vcc_lo, exec_lo, s0
	s_cbranch_vccnz .LBB39_1419
; %bb.1418:
	global_load_b32 v10, v[12:13], off
	s_waitcnt vmcnt(0)
	v_ashrrev_i32_e32 v11, 31, v10
.LBB39_1419:
	s_mov_b32 s0, 0
.LBB39_1420:
	s_delay_alu instid0(SALU_CYCLE_1)
	s_and_not1_b32 vcc_lo, exec_lo, s0
	s_cbranch_vccnz .LBB39_1422
; %bb.1421:
	global_load_u16 v5, v[12:13], off
	s_waitcnt vmcnt(0)
	v_bfe_i32 v10, v5, 0, 16
	s_delay_alu instid0(VALU_DEP_1)
	v_ashrrev_i32_e32 v11, 31, v10
.LBB39_1422:
	s_mov_b32 s0, 0
.LBB39_1423:
	s_delay_alu instid0(SALU_CYCLE_1)
	s_and_not1_b32 vcc_lo, exec_lo, s0
	s_cbranch_vccnz .LBB39_1429
; %bb.1424:
	v_cmp_lt_i16_e32 vcc_lo, 0, v14
	s_mov_b32 s0, 0
	s_cbranch_vccz .LBB39_1426
; %bb.1425:
	global_load_i8 v5, v[12:13], off
	s_waitcnt vmcnt(0)
	v_bfe_i32 v10, v5, 0, 16
	s_delay_alu instid0(VALU_DEP_1)
	v_ashrrev_i32_e32 v11, 31, v10
	s_branch .LBB39_1427
.LBB39_1426:
	s_mov_b32 s0, -1
                                        ; implicit-def: $vgpr10_vgpr11
.LBB39_1427:
	s_delay_alu instid0(SALU_CYCLE_1)
	s_and_not1_b32 vcc_lo, exec_lo, s0
	s_cbranch_vccnz .LBB39_1429
; %bb.1428:
	global_load_u8 v5, v[12:13], off
	s_mov_b32 s0, 0
	s_waitcnt vmcnt(0)
	v_dual_mov_b32 v11, s0 :: v_dual_and_b32 v10, 0xffff, v5
.LBB39_1429:
	s_branch .LBB39_1542
.LBB39_1430:
	s_mov_b32 s0, 0
	s_mov_b32 s1, 0
                                        ; implicit-def: $vgpr0_vgpr1
                                        ; implicit-def: $vgpr16
                                        ; implicit-def: $vgpr2_vgpr3
                                        ; implicit-def: $vgpr4_vgpr5
.LBB39_1431:
	s_and_b32 s3, s0, exec_lo
	s_and_not1_b32 s0, s8, exec_lo
	s_and_b32 s2, s2, exec_lo
	s_and_b32 s26, s1, exec_lo
	s_or_b32 s8, s0, s2
.LBB39_1432:
	s_or_b32 exec_lo, exec_lo, s9
	s_and_saveexec_b32 s0, s8
	s_cbranch_execz .LBB39_1435
; %bb.1433:
	; divergent unreachable
	s_or_b32 exec_lo, exec_lo, s0
	s_and_saveexec_b32 s0, s26
	s_delay_alu instid0(SALU_CYCLE_1)
	s_xor_b32 s0, exec_lo, s0
	s_cbranch_execnz .LBB39_1436
.LBB39_1434:
	s_or_b32 exec_lo, exec_lo, s0
	s_and_saveexec_b32 s0, s3
	s_cbranch_execnz .LBB39_1437
	s_branch .LBB39_1474
.LBB39_1435:
	s_or_b32 exec_lo, exec_lo, s0
	s_and_saveexec_b32 s0, s26
	s_delay_alu instid0(SALU_CYCLE_1)
	s_xor_b32 s0, exec_lo, s0
	s_cbranch_execz .LBB39_1434
.LBB39_1436:
	s_waitcnt vmcnt(0)
	s_delay_alu instid0(VALU_DEP_1)
	v_cmp_ne_u64_e32 vcc_lo, -1, v[4:5]
	v_cndmask_b32_e64 v4, 0, 1, vcc_lo
	global_store_b8 v[0:1], v4, off
	s_or_b32 exec_lo, exec_lo, s0
	s_and_saveexec_b32 s0, s3
	s_cbranch_execz .LBB39_1474
.LBB39_1437:
	v_cmp_gt_i16_e32 vcc_lo, 5, v16
	s_mov_b32 s0, -1
	s_cbranch_vccnz .LBB39_1458
; %bb.1438:
	v_cmp_gt_i16_e32 vcc_lo, 8, v16
	s_cbranch_vccnz .LBB39_1448
; %bb.1439:
	v_cmp_gt_i16_e32 vcc_lo, 9, v16
	s_cbranch_vccnz .LBB39_1445
; %bb.1440:
	v_cmp_lt_i16_e32 vcc_lo, 9, v16
	s_cbranch_vccz .LBB39_1442
; %bb.1441:
	s_waitcnt vmcnt(0)
	v_cvt_f64_i32_e32 v[4:5], v3
	v_cvt_f64_u32_e32 v[6:7], v2
	s_mov_b32 s0, 0
	s_delay_alu instid0(VALU_DEP_2) | instskip(NEXT) | instid1(VALU_DEP_1)
	v_ldexp_f64 v[4:5], v[4:5], 32
	v_add_f64 v[4:5], v[4:5], v[6:7]
	v_mov_b32_e32 v6, 0
	s_delay_alu instid0(VALU_DEP_1)
	v_mov_b32_e32 v7, v6
	global_store_b128 v[0:1], v[4:7], off
.LBB39_1442:
	s_and_not1_b32 vcc_lo, exec_lo, s0
	s_cbranch_vccnz .LBB39_1444
; %bb.1443:
	s_waitcnt vmcnt(0)
	v_xor_b32_e32 v4, v2, v3
	v_cls_i32_e32 v5, v3
	s_delay_alu instid0(VALU_DEP_2) | instskip(NEXT) | instid1(VALU_DEP_2)
	v_ashrrev_i32_e32 v4, 31, v4
	v_add_nc_u32_e32 v5, -1, v5
	s_delay_alu instid0(VALU_DEP_2) | instskip(NEXT) | instid1(VALU_DEP_1)
	v_add_nc_u32_e32 v4, 32, v4
	v_min_u32_e32 v6, v5, v4
	s_delay_alu instid0(VALU_DEP_1) | instskip(NEXT) | instid1(VALU_DEP_1)
	v_lshlrev_b64 v[4:5], v6, v[2:3]
	v_min_u32_e32 v4, 1, v4
	s_delay_alu instid0(VALU_DEP_1) | instskip(SKIP_1) | instid1(VALU_DEP_2)
	v_or_b32_e32 v4, v5, v4
	v_sub_nc_u32_e32 v5, 32, v6
	v_cvt_f32_i32_e32 v4, v4
	s_delay_alu instid0(VALU_DEP_1)
	v_ldexp_f32 v4, v4, v5
	v_mov_b32_e32 v5, 0
	global_store_b64 v[0:1], v[4:5], off
.LBB39_1444:
	s_mov_b32 s0, 0
.LBB39_1445:
	s_delay_alu instid0(SALU_CYCLE_1)
	s_and_not1_b32 vcc_lo, exec_lo, s0
	s_cbranch_vccnz .LBB39_1447
; %bb.1446:
	s_waitcnt vmcnt(0)
	v_xor_b32_e32 v4, v2, v3
	v_cls_i32_e32 v5, v3
	s_delay_alu instid0(VALU_DEP_2) | instskip(NEXT) | instid1(VALU_DEP_2)
	v_ashrrev_i32_e32 v4, 31, v4
	v_add_nc_u32_e32 v5, -1, v5
	s_delay_alu instid0(VALU_DEP_2) | instskip(NEXT) | instid1(VALU_DEP_1)
	v_add_nc_u32_e32 v4, 32, v4
	v_min_u32_e32 v6, v5, v4
	s_delay_alu instid0(VALU_DEP_1) | instskip(NEXT) | instid1(VALU_DEP_1)
	v_lshlrev_b64 v[4:5], v6, v[2:3]
	v_min_u32_e32 v4, 1, v4
	s_delay_alu instid0(VALU_DEP_1) | instskip(SKIP_1) | instid1(VALU_DEP_2)
	v_or_b32_e32 v4, v5, v4
	v_sub_nc_u32_e32 v5, 32, v6
	v_cvt_f32_i32_e32 v4, v4
	s_delay_alu instid0(VALU_DEP_1) | instskip(NEXT) | instid1(VALU_DEP_1)
	v_ldexp_f32 v4, v4, v5
	v_cvt_f16_f32_e32 v4, v4
	s_delay_alu instid0(VALU_DEP_1)
	v_and_b32_e32 v4, 0xffff, v4
	global_store_b32 v[0:1], v4, off
.LBB39_1447:
	s_mov_b32 s0, 0
.LBB39_1448:
	s_delay_alu instid0(SALU_CYCLE_1)
	s_and_not1_b32 vcc_lo, exec_lo, s0
	s_cbranch_vccnz .LBB39_1457
; %bb.1449:
	v_cmp_gt_i16_e32 vcc_lo, 6, v16
	s_mov_b32 s0, -1
	s_cbranch_vccnz .LBB39_1455
; %bb.1450:
	v_cmp_lt_i16_e32 vcc_lo, 6, v16
	s_cbranch_vccz .LBB39_1452
; %bb.1451:
	s_waitcnt vmcnt(0)
	v_cvt_f64_i32_e32 v[4:5], v3
	v_cvt_f64_u32_e32 v[6:7], v2
	s_mov_b32 s0, 0
	s_delay_alu instid0(VALU_DEP_2) | instskip(NEXT) | instid1(VALU_DEP_1)
	v_ldexp_f64 v[4:5], v[4:5], 32
	v_add_f64 v[4:5], v[4:5], v[6:7]
	global_store_b64 v[0:1], v[4:5], off
.LBB39_1452:
	s_and_not1_b32 vcc_lo, exec_lo, s0
	s_cbranch_vccnz .LBB39_1454
; %bb.1453:
	s_waitcnt vmcnt(0)
	v_xor_b32_e32 v4, v2, v3
	v_cls_i32_e32 v5, v3
	s_delay_alu instid0(VALU_DEP_2) | instskip(NEXT) | instid1(VALU_DEP_2)
	v_ashrrev_i32_e32 v4, 31, v4
	v_add_nc_u32_e32 v5, -1, v5
	s_delay_alu instid0(VALU_DEP_2) | instskip(NEXT) | instid1(VALU_DEP_1)
	v_add_nc_u32_e32 v4, 32, v4
	v_min_u32_e32 v6, v5, v4
	s_delay_alu instid0(VALU_DEP_1) | instskip(NEXT) | instid1(VALU_DEP_1)
	v_lshlrev_b64 v[4:5], v6, v[2:3]
	v_min_u32_e32 v4, 1, v4
	s_delay_alu instid0(VALU_DEP_1) | instskip(SKIP_1) | instid1(VALU_DEP_2)
	v_or_b32_e32 v4, v5, v4
	v_sub_nc_u32_e32 v5, 32, v6
	v_cvt_f32_i32_e32 v4, v4
	s_delay_alu instid0(VALU_DEP_1)
	v_ldexp_f32 v4, v4, v5
	global_store_b32 v[0:1], v4, off
.LBB39_1454:
	s_mov_b32 s0, 0
.LBB39_1455:
	s_delay_alu instid0(SALU_CYCLE_1)
	s_and_not1_b32 vcc_lo, exec_lo, s0
	s_cbranch_vccnz .LBB39_1457
; %bb.1456:
	s_waitcnt vmcnt(0)
	v_xor_b32_e32 v4, v2, v3
	v_cls_i32_e32 v5, v3
	s_delay_alu instid0(VALU_DEP_2) | instskip(NEXT) | instid1(VALU_DEP_2)
	v_ashrrev_i32_e32 v4, 31, v4
	v_add_nc_u32_e32 v5, -1, v5
	s_delay_alu instid0(VALU_DEP_2) | instskip(NEXT) | instid1(VALU_DEP_1)
	v_add_nc_u32_e32 v4, 32, v4
	v_min_u32_e32 v6, v5, v4
	s_delay_alu instid0(VALU_DEP_1) | instskip(NEXT) | instid1(VALU_DEP_1)
	v_lshlrev_b64 v[4:5], v6, v[2:3]
	v_min_u32_e32 v4, 1, v4
	s_delay_alu instid0(VALU_DEP_1) | instskip(SKIP_1) | instid1(VALU_DEP_2)
	v_or_b32_e32 v4, v5, v4
	v_sub_nc_u32_e32 v5, 32, v6
	v_cvt_f32_i32_e32 v4, v4
	s_delay_alu instid0(VALU_DEP_1) | instskip(NEXT) | instid1(VALU_DEP_1)
	v_ldexp_f32 v4, v4, v5
	v_cvt_f16_f32_e32 v4, v4
	global_store_b16 v[0:1], v4, off
.LBB39_1457:
	s_mov_b32 s0, 0
.LBB39_1458:
	s_delay_alu instid0(SALU_CYCLE_1)
	s_and_not1_b32 vcc_lo, exec_lo, s0
	s_cbranch_vccnz .LBB39_1474
; %bb.1459:
	v_cmp_gt_i16_e32 vcc_lo, 2, v16
	s_mov_b32 s0, -1
	s_cbranch_vccnz .LBB39_1469
; %bb.1460:
	v_cmp_gt_i16_e32 vcc_lo, 3, v16
	s_cbranch_vccnz .LBB39_1466
; %bb.1461:
	v_cmp_lt_i16_e32 vcc_lo, 3, v16
	s_cbranch_vccz .LBB39_1463
; %bb.1462:
	s_mov_b32 s0, 0
	s_waitcnt vmcnt(0)
	global_store_b64 v[0:1], v[2:3], off
.LBB39_1463:
	s_and_not1_b32 vcc_lo, exec_lo, s0
	s_cbranch_vccnz .LBB39_1465
; %bb.1464:
	s_waitcnt vmcnt(0)
	global_store_b32 v[0:1], v2, off
.LBB39_1465:
	s_mov_b32 s0, 0
.LBB39_1466:
	s_delay_alu instid0(SALU_CYCLE_1)
	s_and_not1_b32 vcc_lo, exec_lo, s0
	s_cbranch_vccnz .LBB39_1468
; %bb.1467:
	s_waitcnt vmcnt(0)
	global_store_b16 v[0:1], v2, off
.LBB39_1468:
	s_mov_b32 s0, 0
.LBB39_1469:
	s_delay_alu instid0(SALU_CYCLE_1)
	s_and_not1_b32 vcc_lo, exec_lo, s0
	s_cbranch_vccnz .LBB39_1474
; %bb.1470:
	v_cmp_lt_i16_e32 vcc_lo, 0, v16
	s_mov_b32 s0, -1
	s_cbranch_vccz .LBB39_1472
; %bb.1471:
	s_mov_b32 s0, 0
	s_waitcnt vmcnt(0)
	global_store_b8 v[0:1], v2, off
.LBB39_1472:
	s_and_not1_b32 vcc_lo, exec_lo, s0
	s_cbranch_vccnz .LBB39_1474
; %bb.1473:
	s_waitcnt vmcnt(0)
	global_store_b8 v[0:1], v2, off
	s_nop 0
	s_sendmsg sendmsg(MSG_DEALLOC_VGPRS)
	s_endpgm
.LBB39_1474:
	s_nop 0
	s_sendmsg sendmsg(MSG_DEALLOC_VGPRS)
	s_endpgm
.LBB39_1475:
	s_trap 2
	s_sendmsg_rtn_b32 s0, sendmsg(MSG_RTN_GET_DOORBELL)
	s_mov_b32 ttmp2, m0
	s_waitcnt lgkmcnt(0)
	s_and_b32 s0, s0, 0x3ff
	s_delay_alu instid0(SALU_CYCLE_1) | instskip(NEXT) | instid1(SALU_CYCLE_1)
	s_bitset1_b32 s0, 10
	s_mov_b32 m0, s0
	s_sendmsg sendmsg(MSG_INTERRUPT)
	s_mov_b32 m0, ttmp2
.LBB39_1476:                            ; =>This Inner Loop Header: Depth=1
	s_sethalt 5
	s_branch .LBB39_1476
.LBB39_1477:
	s_mov_b32 s10, -1
.LBB39_1478:
                                        ; implicit-def: $vgpr10_vgpr11
.LBB39_1479:
	s_and_b32 vcc_lo, exec_lo, s1
	s_cbranch_vccz .LBB39_1483
; %bb.1480:
	v_cmp_eq_u16_e32 vcc_lo, 44, v14
	s_cbranch_vccz .LBB39_1482
; %bb.1481:
	global_load_u8 v5, v[12:13], off
	s_mov_b32 s10, 0
	s_mov_b32 s0, -1
	s_waitcnt vmcnt(0)
	v_lshlrev_b32_e32 v10, 23, v5
	s_delay_alu instid0(VALU_DEP_1) | instskip(NEXT) | instid1(VALU_DEP_1)
	v_trunc_f32_e32 v10, v10
	v_mul_f32_e64 v11, 0x2f800000, |v10|
	s_delay_alu instid0(VALU_DEP_1) | instskip(NEXT) | instid1(VALU_DEP_1)
	v_floor_f32_e32 v11, v11
	v_fma_f32 v15, 0xcf800000, v11, |v10|
	v_ashrrev_i32_e32 v10, 31, v10
	v_cvt_u32_f32_e32 v11, v11
	s_delay_alu instid0(VALU_DEP_3) | instskip(NEXT) | instid1(VALU_DEP_2)
	v_cvt_u32_f32_e32 v15, v15
	v_xor_b32_e32 v11, v11, v10
	s_delay_alu instid0(VALU_DEP_2) | instskip(NEXT) | instid1(VALU_DEP_1)
	v_xor_b32_e32 v15, v15, v10
	v_sub_co_u32 v15, vcc_lo, v15, v10
	s_delay_alu instid0(VALU_DEP_3) | instskip(SKIP_1) | instid1(VALU_DEP_2)
	v_sub_co_ci_u32_e32 v10, vcc_lo, v11, v10, vcc_lo
	v_cmp_ne_u32_e32 vcc_lo, 0, v5
	v_dual_cndmask_b32 v11, 0, v10 :: v_dual_cndmask_b32 v10, 0, v15
	s_branch .LBB39_1483
.LBB39_1482:
	s_mov_b32 s10, -1
                                        ; implicit-def: $vgpr10_vgpr11
.LBB39_1483:
	s_mov_b32 s1, 0
.LBB39_1484:
	s_delay_alu instid0(SALU_CYCLE_1)
	s_and_b32 vcc_lo, exec_lo, s1
	s_cbranch_vccz .LBB39_1488
; %bb.1485:
	v_cmp_eq_u16_e32 vcc_lo, 29, v14
	s_cbranch_vccz .LBB39_1487
; %bb.1486:
	global_load_b64 v[10:11], v[12:13], off
	s_mov_b32 s10, 0
	s_mov_b32 s0, -1
	s_branch .LBB39_1488
.LBB39_1487:
	s_mov_b32 s10, -1
                                        ; implicit-def: $vgpr10_vgpr11
.LBB39_1488:
	s_mov_b32 s1, 0
.LBB39_1489:
	s_delay_alu instid0(SALU_CYCLE_1)
	s_and_b32 vcc_lo, exec_lo, s1
	s_cbranch_vccz .LBB39_1507
; %bb.1490:
	v_cmp_gt_i16_e32 vcc_lo, 27, v14
	s_cbranch_vccnz .LBB39_1493
; %bb.1491:
	v_cmp_lt_i16_e32 vcc_lo, 27, v14
	s_cbranch_vccz .LBB39_1494
; %bb.1492:
	global_load_b32 v10, v[12:13], off
	s_waitcnt vmcnt(1)
	v_mov_b32_e32 v11, 0
	s_mov_b32 s0, 0
	s_branch .LBB39_1495
.LBB39_1493:
	s_mov_b32 s0, -1
                                        ; implicit-def: $vgpr10_vgpr11
	s_branch .LBB39_1498
.LBB39_1494:
	s_mov_b32 s0, -1
                                        ; implicit-def: $vgpr10_vgpr11
.LBB39_1495:
	s_delay_alu instid0(SALU_CYCLE_1)
	s_and_not1_b32 vcc_lo, exec_lo, s0
	s_cbranch_vccnz .LBB39_1497
; %bb.1496:
	global_load_u16 v5, v[12:13], off
	s_mov_b32 s0, 0
	s_waitcnt vmcnt(0)
	v_dual_mov_b32 v11, s0 :: v_dual_and_b32 v10, 0xffff, v5
.LBB39_1497:
	s_mov_b32 s0, 0
.LBB39_1498:
	s_delay_alu instid0(SALU_CYCLE_1)
	s_and_not1_b32 vcc_lo, exec_lo, s0
	s_cbranch_vccnz .LBB39_1506
; %bb.1499:
	global_load_u8 v5, v[12:13], off
	s_mov_b32 s12, 0
	s_mov_b32 s13, exec_lo
                                        ; implicit-def: $sgpr0_sgpr1
	s_waitcnt vmcnt(0)
	v_cmpx_lt_i16_e32 0x7f, v5
	s_xor_b32 s13, exec_lo, s13
; %bb.1500:
	v_cmp_ne_u16_e32 vcc_lo, 0x80, v5
	s_mov_b64 s[0:1], 0
	s_and_b32 s12, vcc_lo, exec_lo
; %bb.1501:
	s_or_saveexec_b32 s13, s13
	v_dual_mov_b32 v11, s1 :: v_dual_mov_b32 v10, s0
	s_xor_b32 exec_lo, exec_lo, s13
; %bb.1502:
	v_cmp_ne_u16_e32 vcc_lo, 0, v5
	v_mov_b32_e32 v10, 0
	v_mov_b32_e32 v11, 0
	s_and_not1_b32 s0, s12, exec_lo
	s_and_b32 s1, vcc_lo, exec_lo
	s_delay_alu instid0(SALU_CYCLE_1)
	s_or_b32 s12, s0, s1
; %bb.1503:
	s_or_b32 exec_lo, exec_lo, s13
	s_and_saveexec_b32 s0, s12
	s_cbranch_execz .LBB39_1505
; %bb.1504:
	v_and_b32_e32 v10, 0xffff, v5
	v_lshlrev_b32_e32 v5, 24, v5
	s_delay_alu instid0(VALU_DEP_2) | instskip(NEXT) | instid1(VALU_DEP_2)
	v_and_b32_e32 v11, 7, v10
	v_and_b32_e32 v5, 0x80000000, v5
	s_delay_alu instid0(VALU_DEP_2) | instskip(NEXT) | instid1(VALU_DEP_1)
	v_clz_i32_u32_e32 v15, v11
	v_min_u32_e32 v15, 32, v15
	s_delay_alu instid0(VALU_DEP_1) | instskip(SKIP_1) | instid1(VALU_DEP_2)
	v_subrev_nc_u32_e32 v16, 28, v15
	v_sub_nc_u32_e32 v15, 29, v15
	v_lshlrev_b32_e32 v16, v16, v10
	v_bfe_u32 v10, v10, 3, 4
	s_delay_alu instid0(VALU_DEP_2) | instskip(NEXT) | instid1(VALU_DEP_2)
	v_and_b32_e32 v16, 7, v16
	v_cmp_eq_u32_e32 vcc_lo, 0, v10
	s_delay_alu instid0(VALU_DEP_2) | instskip(NEXT) | instid1(VALU_DEP_1)
	v_dual_cndmask_b32 v10, v10, v15 :: v_dual_cndmask_b32 v11, v11, v16
	v_lshl_add_u32 v10, v10, 23, 0x3b800000
	s_delay_alu instid0(VALU_DEP_2) | instskip(NEXT) | instid1(VALU_DEP_1)
	v_lshlrev_b32_e32 v11, 20, v11
	v_or3_b32 v5, v5, v10, v11
	s_delay_alu instid0(VALU_DEP_1) | instskip(NEXT) | instid1(VALU_DEP_1)
	v_trunc_f32_e32 v5, v5
	v_mul_f32_e64 v10, 0x2f800000, |v5|
	s_delay_alu instid0(VALU_DEP_1) | instskip(NEXT) | instid1(VALU_DEP_1)
	v_floor_f32_e32 v10, v10
	v_fma_f32 v11, 0xcf800000, v10, |v5|
	v_ashrrev_i32_e32 v5, 31, v5
	v_cvt_u32_f32_e32 v10, v10
	s_delay_alu instid0(VALU_DEP_3) | instskip(NEXT) | instid1(VALU_DEP_2)
	v_cvt_u32_f32_e32 v11, v11
	v_xor_b32_e32 v15, v10, v5
	s_delay_alu instid0(VALU_DEP_2) | instskip(NEXT) | instid1(VALU_DEP_1)
	v_xor_b32_e32 v11, v11, v5
	v_sub_co_u32 v10, vcc_lo, v11, v5
	s_delay_alu instid0(VALU_DEP_3)
	v_sub_co_ci_u32_e32 v11, vcc_lo, v15, v5, vcc_lo
.LBB39_1505:
	s_or_b32 exec_lo, exec_lo, s0
.LBB39_1506:
	s_mov_b32 s0, -1
.LBB39_1507:
	s_mov_b32 s1, 0
.LBB39_1508:
	s_delay_alu instid0(SALU_CYCLE_1)
	s_and_b32 vcc_lo, exec_lo, s1
	s_cbranch_vccz .LBB39_1537
; %bb.1509:
	v_cmp_lt_i16_e32 vcc_lo, 22, v14
	s_cbranch_vccz .LBB39_1519
; %bb.1510:
	v_cmp_gt_i16_e32 vcc_lo, 24, v14
	s_cbranch_vccnz .LBB39_1520
; %bb.1511:
	v_cmp_lt_i16_e32 vcc_lo, 24, v14
	s_cbranch_vccz .LBB39_1521
; %bb.1512:
	global_load_u8 v5, v[12:13], off
	s_mov_b32 s12, exec_lo
                                        ; implicit-def: $sgpr0_sgpr1
	s_waitcnt vmcnt(0)
	v_cmpx_lt_i16_e32 0x7f, v5
	s_xor_b32 s12, exec_lo, s12
; %bb.1513:
	v_cmp_ne_u16_e32 vcc_lo, 0x80, v5
	s_mov_b64 s[0:1], 0
	s_and_b32 s11, vcc_lo, exec_lo
; %bb.1514:
	s_or_saveexec_b32 s12, s12
	v_dual_mov_b32 v11, s1 :: v_dual_mov_b32 v10, s0
	s_xor_b32 exec_lo, exec_lo, s12
; %bb.1515:
	v_cmp_ne_u16_e32 vcc_lo, 0, v5
	v_mov_b32_e32 v10, 0
	v_mov_b32_e32 v11, 0
	s_and_not1_b32 s0, s11, exec_lo
	s_and_b32 s1, vcc_lo, exec_lo
	s_delay_alu instid0(SALU_CYCLE_1)
	s_or_b32 s11, s0, s1
; %bb.1516:
	s_or_b32 exec_lo, exec_lo, s12
	s_and_saveexec_b32 s0, s11
	s_cbranch_execz .LBB39_1518
; %bb.1517:
	v_and_b32_e32 v10, 0xffff, v5
	v_lshlrev_b32_e32 v5, 24, v5
	s_delay_alu instid0(VALU_DEP_2) | instskip(NEXT) | instid1(VALU_DEP_2)
	v_and_b32_e32 v11, 3, v10
	v_and_b32_e32 v5, 0x80000000, v5
	s_delay_alu instid0(VALU_DEP_2) | instskip(NEXT) | instid1(VALU_DEP_1)
	v_clz_i32_u32_e32 v15, v11
	v_min_u32_e32 v15, 32, v15
	s_delay_alu instid0(VALU_DEP_1) | instskip(SKIP_1) | instid1(VALU_DEP_2)
	v_subrev_nc_u32_e32 v16, 29, v15
	v_sub_nc_u32_e32 v15, 30, v15
	v_lshlrev_b32_e32 v16, v16, v10
	v_bfe_u32 v10, v10, 2, 5
	s_delay_alu instid0(VALU_DEP_2) | instskip(NEXT) | instid1(VALU_DEP_2)
	v_and_b32_e32 v16, 3, v16
	v_cmp_eq_u32_e32 vcc_lo, 0, v10
	s_delay_alu instid0(VALU_DEP_2) | instskip(NEXT) | instid1(VALU_DEP_1)
	v_dual_cndmask_b32 v10, v10, v15 :: v_dual_cndmask_b32 v11, v11, v16
	v_lshl_add_u32 v10, v10, 23, 0x37800000
	s_delay_alu instid0(VALU_DEP_2) | instskip(NEXT) | instid1(VALU_DEP_1)
	v_lshlrev_b32_e32 v11, 21, v11
	v_or3_b32 v5, v5, v10, v11
	s_delay_alu instid0(VALU_DEP_1) | instskip(NEXT) | instid1(VALU_DEP_1)
	v_trunc_f32_e32 v5, v5
	v_mul_f32_e64 v10, 0x2f800000, |v5|
	s_delay_alu instid0(VALU_DEP_1) | instskip(NEXT) | instid1(VALU_DEP_1)
	v_floor_f32_e32 v10, v10
	v_fma_f32 v11, 0xcf800000, v10, |v5|
	v_ashrrev_i32_e32 v5, 31, v5
	v_cvt_u32_f32_e32 v10, v10
	s_delay_alu instid0(VALU_DEP_3) | instskip(NEXT) | instid1(VALU_DEP_2)
	v_cvt_u32_f32_e32 v11, v11
	v_xor_b32_e32 v15, v10, v5
	s_delay_alu instid0(VALU_DEP_2) | instskip(NEXT) | instid1(VALU_DEP_1)
	v_xor_b32_e32 v11, v11, v5
	v_sub_co_u32 v10, vcc_lo, v11, v5
	s_delay_alu instid0(VALU_DEP_3)
	v_sub_co_ci_u32_e32 v11, vcc_lo, v15, v5, vcc_lo
.LBB39_1518:
	s_or_b32 exec_lo, exec_lo, s0
	s_mov_b32 s0, 0
	s_branch .LBB39_1522
.LBB39_1519:
	s_mov_b32 s1, -1
                                        ; implicit-def: $vgpr10_vgpr11
	s_branch .LBB39_1528
.LBB39_1520:
	s_mov_b32 s0, -1
                                        ; implicit-def: $vgpr10_vgpr11
	s_branch .LBB39_1525
.LBB39_1521:
	s_mov_b32 s0, -1
                                        ; implicit-def: $vgpr10_vgpr11
.LBB39_1522:
	s_delay_alu instid0(SALU_CYCLE_1)
	s_and_b32 vcc_lo, exec_lo, s0
	s_cbranch_vccz .LBB39_1524
; %bb.1523:
	global_load_u8 v5, v[12:13], off
	s_waitcnt vmcnt(0)
	v_lshlrev_b32_e32 v5, 24, v5
	s_delay_alu instid0(VALU_DEP_1) | instskip(NEXT) | instid1(VALU_DEP_1)
	v_and_b32_e32 v10, 0x7f000000, v5
	v_clz_i32_u32_e32 v11, v10
	v_add_nc_u32_e32 v16, 0x1000000, v10
	v_cmp_ne_u32_e32 vcc_lo, 0, v10
	s_delay_alu instid0(VALU_DEP_3) | instskip(NEXT) | instid1(VALU_DEP_1)
	v_min_u32_e32 v11, 32, v11
	v_sub_nc_u32_e64 v11, v11, 4 clamp
	s_delay_alu instid0(VALU_DEP_1) | instskip(SKIP_1) | instid1(VALU_DEP_2)
	v_lshlrev_b32_e32 v15, v11, v10
	v_lshlrev_b32_e32 v11, 23, v11
	v_lshrrev_b32_e32 v15, 4, v15
	s_delay_alu instid0(VALU_DEP_1) | instskip(SKIP_1) | instid1(VALU_DEP_2)
	v_sub_nc_u32_e32 v11, v15, v11
	v_ashrrev_i32_e32 v15, 8, v16
	v_add_nc_u32_e32 v11, 0x3c000000, v11
	s_delay_alu instid0(VALU_DEP_1) | instskip(NEXT) | instid1(VALU_DEP_1)
	v_and_or_b32 v11, 0x7f800000, v15, v11
	v_cndmask_b32_e32 v10, 0, v11, vcc_lo
	s_delay_alu instid0(VALU_DEP_1) | instskip(NEXT) | instid1(VALU_DEP_1)
	v_and_or_b32 v5, 0x80000000, v5, v10
	v_trunc_f32_e32 v5, v5
	s_delay_alu instid0(VALU_DEP_1) | instskip(NEXT) | instid1(VALU_DEP_1)
	v_mul_f32_e64 v10, 0x2f800000, |v5|
	v_floor_f32_e32 v10, v10
	s_delay_alu instid0(VALU_DEP_1) | instskip(SKIP_2) | instid1(VALU_DEP_3)
	v_fma_f32 v11, 0xcf800000, v10, |v5|
	v_ashrrev_i32_e32 v5, 31, v5
	v_cvt_u32_f32_e32 v10, v10
	v_cvt_u32_f32_e32 v11, v11
	s_delay_alu instid0(VALU_DEP_2) | instskip(NEXT) | instid1(VALU_DEP_2)
	v_xor_b32_e32 v15, v10, v5
	v_xor_b32_e32 v11, v11, v5
	s_delay_alu instid0(VALU_DEP_1) | instskip(NEXT) | instid1(VALU_DEP_3)
	v_sub_co_u32 v10, vcc_lo, v11, v5
	v_sub_co_ci_u32_e32 v11, vcc_lo, v15, v5, vcc_lo
.LBB39_1524:
	s_mov_b32 s0, 0
.LBB39_1525:
	s_delay_alu instid0(SALU_CYCLE_1)
	s_and_not1_b32 vcc_lo, exec_lo, s0
	s_cbranch_vccnz .LBB39_1527
; %bb.1526:
	global_load_u8 v5, v[12:13], off
	s_waitcnt vmcnt(0)
	v_lshlrev_b32_e32 v10, 25, v5
	v_lshlrev_b16 v5, 8, v5
	s_delay_alu instid0(VALU_DEP_1) | instskip(SKIP_1) | instid1(VALU_DEP_2)
	v_and_or_b32 v15, 0x7f00, v5, 0.5
	v_bfe_i32 v5, v5, 0, 16
	v_add_f32_e32 v15, -0.5, v15
	v_lshrrev_b32_e32 v11, 4, v10
	v_cmp_gt_u32_e32 vcc_lo, 0x8000000, v10
	s_delay_alu instid0(VALU_DEP_2) | instskip(NEXT) | instid1(VALU_DEP_1)
	v_or_b32_e32 v11, 0x70000000, v11
	v_mul_f32_e32 v11, 0x7800000, v11
	s_delay_alu instid0(VALU_DEP_1) | instskip(NEXT) | instid1(VALU_DEP_1)
	v_cndmask_b32_e32 v10, v11, v15, vcc_lo
	v_and_or_b32 v5, 0x80000000, v5, v10
	s_delay_alu instid0(VALU_DEP_1) | instskip(NEXT) | instid1(VALU_DEP_1)
	v_trunc_f32_e32 v5, v5
	v_mul_f32_e64 v10, 0x2f800000, |v5|
	s_delay_alu instid0(VALU_DEP_1) | instskip(NEXT) | instid1(VALU_DEP_1)
	v_floor_f32_e32 v10, v10
	v_fma_f32 v11, 0xcf800000, v10, |v5|
	v_ashrrev_i32_e32 v5, 31, v5
	v_cvt_u32_f32_e32 v10, v10
	s_delay_alu instid0(VALU_DEP_3) | instskip(NEXT) | instid1(VALU_DEP_2)
	v_cvt_u32_f32_e32 v11, v11
	v_xor_b32_e32 v15, v10, v5
	s_delay_alu instid0(VALU_DEP_2) | instskip(NEXT) | instid1(VALU_DEP_1)
	v_xor_b32_e32 v11, v11, v5
	v_sub_co_u32 v10, vcc_lo, v11, v5
	s_delay_alu instid0(VALU_DEP_3)
	v_sub_co_ci_u32_e32 v11, vcc_lo, v15, v5, vcc_lo
.LBB39_1527:
	s_mov_b32 s1, 0
	s_mov_b32 s0, -1
.LBB39_1528:
	s_and_not1_b32 vcc_lo, exec_lo, s1
	s_mov_b32 s11, 0
	s_cbranch_vccnz .LBB39_1537
; %bb.1529:
	v_cmp_lt_i16_e32 vcc_lo, 14, v14
	s_cbranch_vccz .LBB39_1532
; %bb.1530:
	v_cmp_eq_u16_e32 vcc_lo, 15, v14
	s_cbranch_vccz .LBB39_1533
; %bb.1531:
	global_load_u16 v5, v[12:13], off
	s_mov_b32 s10, 0
	s_mov_b32 s0, -1
	s_waitcnt vmcnt(0)
	v_lshlrev_b32_e32 v5, 16, v5
	s_delay_alu instid0(VALU_DEP_1) | instskip(NEXT) | instid1(VALU_DEP_1)
	v_trunc_f32_e32 v5, v5
	v_mul_f32_e64 v10, 0x2f800000, |v5|
	s_delay_alu instid0(VALU_DEP_1) | instskip(NEXT) | instid1(VALU_DEP_1)
	v_floor_f32_e32 v10, v10
	v_fma_f32 v11, 0xcf800000, v10, |v5|
	v_ashrrev_i32_e32 v5, 31, v5
	v_cvt_u32_f32_e32 v10, v10
	s_delay_alu instid0(VALU_DEP_3) | instskip(NEXT) | instid1(VALU_DEP_2)
	v_cvt_u32_f32_e32 v11, v11
	v_xor_b32_e32 v15, v10, v5
	s_delay_alu instid0(VALU_DEP_2) | instskip(NEXT) | instid1(VALU_DEP_1)
	v_xor_b32_e32 v11, v11, v5
	v_sub_co_u32 v10, vcc_lo, v11, v5
	s_delay_alu instid0(VALU_DEP_3)
	v_sub_co_ci_u32_e32 v11, vcc_lo, v15, v5, vcc_lo
	s_branch .LBB39_1534
.LBB39_1532:
	s_mov_b32 s1, -1
                                        ; implicit-def: $vgpr10_vgpr11
	s_branch .LBB39_1535
.LBB39_1533:
	s_mov_b32 s10, -1
                                        ; implicit-def: $vgpr10_vgpr11
.LBB39_1534:
	s_mov_b32 s1, 0
.LBB39_1535:
	s_delay_alu instid0(SALU_CYCLE_1)
	s_and_b32 vcc_lo, exec_lo, s1
	s_cbranch_vccz .LBB39_1537
; %bb.1536:
	v_cmp_ne_u16_e64 s10, 11, v14
	s_mov_b32 s11, -1
                                        ; implicit-def: $vgpr10_vgpr11
.LBB39_1537:
	s_delay_alu instid0(VALU_DEP_1)
	s_and_b32 vcc_lo, exec_lo, s10
	s_cbranch_vccnz .LBB39_1553
; %bb.1538:
	s_and_not1_b32 vcc_lo, exec_lo, s11
	s_cbranch_vccnz .LBB39_1540
.LBB39_1539:
	global_load_u8 v5, v[12:13], off
	s_mov_b32 s0, 0
	s_waitcnt vmcnt(1)
	v_mov_b32_e32 v11, s0
	s_mov_b32 s0, -1
	s_waitcnt vmcnt(0)
	v_cmp_ne_u16_e32 vcc_lo, 0, v5
	v_cndmask_b32_e64 v10, 0, 1, vcc_lo
.LBB39_1540:
.LBB39_1541:
	s_and_not1_b32 vcc_lo, exec_lo, s0
	s_cbranch_vccnz .LBB39_1430
.LBB39_1542:
	v_cmp_gt_i16_e32 vcc_lo, 11, v14
	v_add_co_u32 v12, s0, s6, v4
	s_delay_alu instid0(VALU_DEP_1)
	v_add_co_ci_u32_e64 v13, null, s7, 0, s0
	s_mov_b32 s0, 0
	s_cbranch_vccnz .LBB39_1549
; %bb.1543:
	v_cmp_lt_i16_e32 vcc_lo, 25, v14
	s_mov_b32 s7, 0
	s_cbranch_vccz .LBB39_1550
; %bb.1544:
	v_cmp_lt_i16_e32 vcc_lo, 28, v14
	s_cbranch_vccz .LBB39_1551
; %bb.1545:
	v_cmp_lt_i16_e32 vcc_lo, 43, v14
	;; [unrolled: 3-line block ×3, first 2 shown]
	s_cbranch_vccz .LBB39_1555
; %bb.1547:
	v_cmp_eq_u16_e32 vcc_lo, 46, v14
	s_mov_b32 s1, 0
	s_cbranch_vccz .LBB39_1558
; %bb.1548:
	global_load_b32 v4, v[12:13], off
	s_mov_b32 s6, 0
	s_mov_b32 s0, -1
	s_waitcnt vmcnt(0)
	v_lshlrev_b32_e32 v4, 16, v4
	s_delay_alu instid0(VALU_DEP_1) | instskip(NEXT) | instid1(VALU_DEP_1)
	v_trunc_f32_e32 v4, v4
	v_mul_f32_e64 v5, 0x2f800000, |v4|
	v_ashrrev_i32_e32 v16, 31, v4
	s_delay_alu instid0(VALU_DEP_2) | instskip(NEXT) | instid1(VALU_DEP_1)
	v_floor_f32_e32 v5, v5
	v_fma_f32 v15, 0xcf800000, v5, |v4|
	v_cvt_u32_f32_e32 v5, v5
	s_delay_alu instid0(VALU_DEP_2) | instskip(NEXT) | instid1(VALU_DEP_2)
	v_cvt_u32_f32_e32 v4, v15
	v_xor_b32_e32 v5, v5, v16
	s_delay_alu instid0(VALU_DEP_2) | instskip(NEXT) | instid1(VALU_DEP_1)
	v_xor_b32_e32 v4, v4, v16
	v_sub_co_u32 v4, vcc_lo, v4, v16
	s_delay_alu instid0(VALU_DEP_3)
	v_sub_co_ci_u32_e32 v5, vcc_lo, v5, v16, vcc_lo
	s_branch .LBB39_1560
.LBB39_1549:
	s_mov_b32 s1, -1
                                        ; implicit-def: $vgpr4_vgpr5
	s_branch .LBB39_1622
.LBB39_1550:
	s_mov_b32 s1, -1
	s_mov_b32 s6, 0
                                        ; implicit-def: $vgpr4_vgpr5
	s_branch .LBB39_1589
.LBB39_1551:
	s_mov_b32 s1, -1
	s_mov_b32 s6, 0
                                        ; implicit-def: $vgpr4_vgpr5
	s_branch .LBB39_1570
.LBB39_1552:
	s_mov_b32 s1, -1
	s_mov_b32 s6, 0
                                        ; implicit-def: $vgpr4_vgpr5
	s_branch .LBB39_1565
.LBB39_1553:
	s_cbranch_execnz .LBB39_1556
; %bb.1554:
	s_or_b32 s2, s2, exec_lo
                                        ; implicit-def: $vgpr10_vgpr11
	s_cbranch_execz .LBB39_1539
	s_branch .LBB39_1540
.LBB39_1555:
	s_mov_b32 s1, -1
	s_mov_b32 s6, 0
	s_branch .LBB39_1559
.LBB39_1556:
	s_trap 2
	s_sendmsg_rtn_b32 s0, sendmsg(MSG_RTN_GET_DOORBELL)
	s_mov_b32 ttmp2, m0
	s_waitcnt lgkmcnt(0)
	s_and_b32 s0, s0, 0x3ff
	s_delay_alu instid0(SALU_CYCLE_1) | instskip(NEXT) | instid1(SALU_CYCLE_1)
	s_bitset1_b32 s0, 10
	s_mov_b32 m0, s0
	s_sendmsg sendmsg(MSG_INTERRUPT)
	s_mov_b32 m0, ttmp2
.LBB39_1557:                            ; =>This Inner Loop Header: Depth=1
	s_sethalt 5
	s_branch .LBB39_1557
.LBB39_1558:
	s_mov_b32 s6, -1
.LBB39_1559:
                                        ; implicit-def: $vgpr4_vgpr5
.LBB39_1560:
	s_and_b32 vcc_lo, exec_lo, s1
	s_cbranch_vccz .LBB39_1564
; %bb.1561:
	v_cmp_eq_u16_e32 vcc_lo, 44, v14
	s_cbranch_vccz .LBB39_1563
; %bb.1562:
	global_load_u8 v4, v[12:13], off
	s_mov_b32 s6, 0
	s_mov_b32 s0, -1
	s_waitcnt vmcnt(0)
	v_lshlrev_b32_e32 v5, 23, v4
	s_delay_alu instid0(VALU_DEP_1) | instskip(NEXT) | instid1(VALU_DEP_1)
	v_trunc_f32_e32 v5, v5
	v_mul_f32_e64 v15, 0x2f800000, |v5|
	s_delay_alu instid0(VALU_DEP_1) | instskip(NEXT) | instid1(VALU_DEP_1)
	v_floor_f32_e32 v15, v15
	v_fma_f32 v16, 0xcf800000, v15, |v5|
	v_ashrrev_i32_e32 v5, 31, v5
	v_cvt_u32_f32_e32 v15, v15
	s_delay_alu instid0(VALU_DEP_3) | instskip(NEXT) | instid1(VALU_DEP_2)
	v_cvt_u32_f32_e32 v16, v16
	v_xor_b32_e32 v15, v15, v5
	s_delay_alu instid0(VALU_DEP_2) | instskip(NEXT) | instid1(VALU_DEP_1)
	v_xor_b32_e32 v16, v16, v5
	v_sub_co_u32 v16, vcc_lo, v16, v5
	s_delay_alu instid0(VALU_DEP_3) | instskip(SKIP_1) | instid1(VALU_DEP_2)
	v_sub_co_ci_u32_e32 v5, vcc_lo, v15, v5, vcc_lo
	v_cmp_ne_u32_e32 vcc_lo, 0, v4
	v_dual_cndmask_b32 v5, 0, v5 :: v_dual_cndmask_b32 v4, 0, v16
	s_branch .LBB39_1564
.LBB39_1563:
	s_mov_b32 s6, -1
                                        ; implicit-def: $vgpr4_vgpr5
.LBB39_1564:
	s_mov_b32 s1, 0
.LBB39_1565:
	s_delay_alu instid0(SALU_CYCLE_1)
	s_and_b32 vcc_lo, exec_lo, s1
	s_cbranch_vccz .LBB39_1569
; %bb.1566:
	v_cmp_eq_u16_e32 vcc_lo, 29, v14
	s_cbranch_vccz .LBB39_1568
; %bb.1567:
	global_load_b64 v[4:5], v[12:13], off
	s_mov_b32 s6, 0
	s_mov_b32 s0, -1
	s_branch .LBB39_1569
.LBB39_1568:
	s_mov_b32 s6, -1
                                        ; implicit-def: $vgpr4_vgpr5
.LBB39_1569:
	s_mov_b32 s1, 0
.LBB39_1570:
	s_delay_alu instid0(SALU_CYCLE_1)
	s_and_b32 vcc_lo, exec_lo, s1
	s_cbranch_vccz .LBB39_1588
; %bb.1571:
	v_cmp_gt_i16_e32 vcc_lo, 27, v14
	s_cbranch_vccnz .LBB39_1574
; %bb.1572:
	v_cmp_lt_i16_e32 vcc_lo, 27, v14
	s_cbranch_vccz .LBB39_1575
; %bb.1573:
	global_load_b32 v4, v[12:13], off
	s_waitcnt vmcnt(1)
	v_mov_b32_e32 v5, 0
	s_mov_b32 s0, 0
	s_branch .LBB39_1576
.LBB39_1574:
	s_mov_b32 s0, -1
                                        ; implicit-def: $vgpr4_vgpr5
	s_branch .LBB39_1579
.LBB39_1575:
	s_mov_b32 s0, -1
                                        ; implicit-def: $vgpr4_vgpr5
.LBB39_1576:
	s_delay_alu instid0(SALU_CYCLE_1)
	s_and_not1_b32 vcc_lo, exec_lo, s0
	s_cbranch_vccnz .LBB39_1578
; %bb.1577:
	global_load_u16 v4, v[12:13], off
	s_mov_b32 s0, 0
	s_waitcnt vmcnt(0)
	v_dual_mov_b32 v5, s0 :: v_dual_and_b32 v4, 0xffff, v4
.LBB39_1578:
	s_mov_b32 s0, 0
.LBB39_1579:
	s_delay_alu instid0(SALU_CYCLE_1)
	s_and_not1_b32 vcc_lo, exec_lo, s0
	s_cbranch_vccnz .LBB39_1587
; %bb.1580:
	global_load_u8 v15, v[12:13], off
	s_mov_b32 s10, 0
	s_mov_b32 s11, exec_lo
                                        ; implicit-def: $sgpr0_sgpr1
	s_waitcnt vmcnt(0)
	v_cmpx_lt_i16_e32 0x7f, v15
	s_xor_b32 s11, exec_lo, s11
; %bb.1581:
	v_cmp_ne_u16_e32 vcc_lo, 0x80, v15
	s_mov_b64 s[0:1], 0
	s_and_b32 s10, vcc_lo, exec_lo
; %bb.1582:
	s_or_saveexec_b32 s11, s11
	v_dual_mov_b32 v5, s1 :: v_dual_mov_b32 v4, s0
	s_xor_b32 exec_lo, exec_lo, s11
; %bb.1583:
	v_cmp_ne_u16_e32 vcc_lo, 0, v15
	v_mov_b32_e32 v4, 0
	v_mov_b32_e32 v5, 0
	s_and_not1_b32 s0, s10, exec_lo
	s_and_b32 s1, vcc_lo, exec_lo
	s_delay_alu instid0(SALU_CYCLE_1)
	s_or_b32 s10, s0, s1
; %bb.1584:
	s_or_b32 exec_lo, exec_lo, s11
	s_and_saveexec_b32 s0, s10
	s_cbranch_execz .LBB39_1586
; %bb.1585:
	v_and_b32_e32 v4, 0xffff, v15
	v_lshlrev_b32_e32 v15, 24, v15
	s_delay_alu instid0(VALU_DEP_2) | instskip(NEXT) | instid1(VALU_DEP_2)
	v_and_b32_e32 v5, 7, v4
	v_and_b32_e32 v15, 0x80000000, v15
	s_delay_alu instid0(VALU_DEP_2) | instskip(NEXT) | instid1(VALU_DEP_1)
	v_clz_i32_u32_e32 v16, v5
	v_min_u32_e32 v16, 32, v16
	s_delay_alu instid0(VALU_DEP_1) | instskip(SKIP_1) | instid1(VALU_DEP_2)
	v_subrev_nc_u32_e32 v17, 28, v16
	v_sub_nc_u32_e32 v16, 29, v16
	v_lshlrev_b32_e32 v17, v17, v4
	v_bfe_u32 v4, v4, 3, 4
	s_delay_alu instid0(VALU_DEP_1) | instskip(NEXT) | instid1(VALU_DEP_3)
	v_cmp_eq_u32_e32 vcc_lo, 0, v4
	v_dual_cndmask_b32 v4, v4, v16 :: v_dual_and_b32 v17, 7, v17
	s_delay_alu instid0(VALU_DEP_1) | instskip(NEXT) | instid1(VALU_DEP_2)
	v_cndmask_b32_e32 v5, v5, v17, vcc_lo
	v_lshl_add_u32 v4, v4, 23, 0x3b800000
	s_delay_alu instid0(VALU_DEP_2) | instskip(NEXT) | instid1(VALU_DEP_1)
	v_lshlrev_b32_e32 v5, 20, v5
	v_or3_b32 v4, v15, v4, v5
	s_delay_alu instid0(VALU_DEP_1) | instskip(NEXT) | instid1(VALU_DEP_1)
	v_trunc_f32_e32 v4, v4
	v_mul_f32_e64 v5, 0x2f800000, |v4|
	v_ashrrev_i32_e32 v16, 31, v4
	s_delay_alu instid0(VALU_DEP_2) | instskip(NEXT) | instid1(VALU_DEP_1)
	v_floor_f32_e32 v5, v5
	v_fma_f32 v15, 0xcf800000, v5, |v4|
	v_cvt_u32_f32_e32 v5, v5
	s_delay_alu instid0(VALU_DEP_2) | instskip(NEXT) | instid1(VALU_DEP_2)
	v_cvt_u32_f32_e32 v4, v15
	v_xor_b32_e32 v5, v5, v16
	s_delay_alu instid0(VALU_DEP_2) | instskip(NEXT) | instid1(VALU_DEP_1)
	v_xor_b32_e32 v4, v4, v16
	v_sub_co_u32 v4, vcc_lo, v4, v16
	s_delay_alu instid0(VALU_DEP_3)
	v_sub_co_ci_u32_e32 v5, vcc_lo, v5, v16, vcc_lo
.LBB39_1586:
	s_or_b32 exec_lo, exec_lo, s0
.LBB39_1587:
	s_mov_b32 s0, -1
.LBB39_1588:
	s_mov_b32 s1, 0
.LBB39_1589:
	s_delay_alu instid0(SALU_CYCLE_1)
	s_and_b32 vcc_lo, exec_lo, s1
	s_cbranch_vccz .LBB39_1618
; %bb.1590:
	v_cmp_lt_i16_e32 vcc_lo, 22, v14
	s_cbranch_vccz .LBB39_1600
; %bb.1591:
	v_cmp_gt_i16_e32 vcc_lo, 24, v14
	s_cbranch_vccnz .LBB39_1601
; %bb.1592:
	v_cmp_lt_i16_e32 vcc_lo, 24, v14
	s_cbranch_vccz .LBB39_1602
; %bb.1593:
	global_load_u8 v15, v[12:13], off
	s_mov_b32 s10, exec_lo
                                        ; implicit-def: $sgpr0_sgpr1
	s_waitcnt vmcnt(0)
	v_cmpx_lt_i16_e32 0x7f, v15
	s_xor_b32 s10, exec_lo, s10
; %bb.1594:
	v_cmp_ne_u16_e32 vcc_lo, 0x80, v15
	s_mov_b64 s[0:1], 0
	s_and_b32 s7, vcc_lo, exec_lo
; %bb.1595:
	s_or_saveexec_b32 s10, s10
	v_dual_mov_b32 v5, s1 :: v_dual_mov_b32 v4, s0
	s_xor_b32 exec_lo, exec_lo, s10
; %bb.1596:
	v_cmp_ne_u16_e32 vcc_lo, 0, v15
	v_mov_b32_e32 v4, 0
	v_mov_b32_e32 v5, 0
	s_and_not1_b32 s0, s7, exec_lo
	s_and_b32 s1, vcc_lo, exec_lo
	s_delay_alu instid0(SALU_CYCLE_1)
	s_or_b32 s7, s0, s1
; %bb.1597:
	s_or_b32 exec_lo, exec_lo, s10
	s_and_saveexec_b32 s0, s7
	s_cbranch_execz .LBB39_1599
; %bb.1598:
	v_and_b32_e32 v4, 0xffff, v15
	v_lshlrev_b32_e32 v15, 24, v15
	s_delay_alu instid0(VALU_DEP_2) | instskip(NEXT) | instid1(VALU_DEP_2)
	v_and_b32_e32 v5, 3, v4
	v_and_b32_e32 v15, 0x80000000, v15
	s_delay_alu instid0(VALU_DEP_2) | instskip(NEXT) | instid1(VALU_DEP_1)
	v_clz_i32_u32_e32 v16, v5
	v_min_u32_e32 v16, 32, v16
	s_delay_alu instid0(VALU_DEP_1) | instskip(SKIP_1) | instid1(VALU_DEP_2)
	v_subrev_nc_u32_e32 v17, 29, v16
	v_sub_nc_u32_e32 v16, 30, v16
	v_lshlrev_b32_e32 v17, v17, v4
	v_bfe_u32 v4, v4, 2, 5
	s_delay_alu instid0(VALU_DEP_1) | instskip(NEXT) | instid1(VALU_DEP_3)
	v_cmp_eq_u32_e32 vcc_lo, 0, v4
	v_dual_cndmask_b32 v4, v4, v16 :: v_dual_and_b32 v17, 3, v17
	s_delay_alu instid0(VALU_DEP_1) | instskip(NEXT) | instid1(VALU_DEP_2)
	v_cndmask_b32_e32 v5, v5, v17, vcc_lo
	v_lshl_add_u32 v4, v4, 23, 0x37800000
	s_delay_alu instid0(VALU_DEP_2) | instskip(NEXT) | instid1(VALU_DEP_1)
	v_lshlrev_b32_e32 v5, 21, v5
	v_or3_b32 v4, v15, v4, v5
	s_delay_alu instid0(VALU_DEP_1) | instskip(NEXT) | instid1(VALU_DEP_1)
	v_trunc_f32_e32 v4, v4
	v_mul_f32_e64 v5, 0x2f800000, |v4|
	v_ashrrev_i32_e32 v16, 31, v4
	s_delay_alu instid0(VALU_DEP_2) | instskip(NEXT) | instid1(VALU_DEP_1)
	v_floor_f32_e32 v5, v5
	v_fma_f32 v15, 0xcf800000, v5, |v4|
	v_cvt_u32_f32_e32 v5, v5
	s_delay_alu instid0(VALU_DEP_2) | instskip(NEXT) | instid1(VALU_DEP_2)
	v_cvt_u32_f32_e32 v4, v15
	v_xor_b32_e32 v5, v5, v16
	s_delay_alu instid0(VALU_DEP_2) | instskip(NEXT) | instid1(VALU_DEP_1)
	v_xor_b32_e32 v4, v4, v16
	v_sub_co_u32 v4, vcc_lo, v4, v16
	s_delay_alu instid0(VALU_DEP_3)
	v_sub_co_ci_u32_e32 v5, vcc_lo, v5, v16, vcc_lo
.LBB39_1599:
	s_or_b32 exec_lo, exec_lo, s0
	s_mov_b32 s0, 0
	s_branch .LBB39_1603
.LBB39_1600:
	s_mov_b32 s1, -1
                                        ; implicit-def: $vgpr4_vgpr5
	s_branch .LBB39_1609
.LBB39_1601:
	s_mov_b32 s0, -1
                                        ; implicit-def: $vgpr4_vgpr5
	s_branch .LBB39_1606
.LBB39_1602:
	s_mov_b32 s0, -1
                                        ; implicit-def: $vgpr4_vgpr5
.LBB39_1603:
	s_delay_alu instid0(SALU_CYCLE_1)
	s_and_b32 vcc_lo, exec_lo, s0
	s_cbranch_vccz .LBB39_1605
; %bb.1604:
	global_load_u8 v4, v[12:13], off
	s_waitcnt vmcnt(0)
	v_lshlrev_b32_e32 v4, 24, v4
	s_delay_alu instid0(VALU_DEP_1) | instskip(NEXT) | instid1(VALU_DEP_1)
	v_and_b32_e32 v5, 0x7f000000, v4
	v_clz_i32_u32_e32 v15, v5
	v_add_nc_u32_e32 v17, 0x1000000, v5
	v_cmp_ne_u32_e32 vcc_lo, 0, v5
	s_delay_alu instid0(VALU_DEP_3) | instskip(NEXT) | instid1(VALU_DEP_1)
	v_min_u32_e32 v15, 32, v15
	v_sub_nc_u32_e64 v15, v15, 4 clamp
	s_delay_alu instid0(VALU_DEP_1) | instskip(SKIP_1) | instid1(VALU_DEP_2)
	v_lshlrev_b32_e32 v16, v15, v5
	v_lshlrev_b32_e32 v15, 23, v15
	v_lshrrev_b32_e32 v16, 4, v16
	s_delay_alu instid0(VALU_DEP_1) | instskip(SKIP_1) | instid1(VALU_DEP_2)
	v_sub_nc_u32_e32 v15, v16, v15
	v_ashrrev_i32_e32 v16, 8, v17
	v_add_nc_u32_e32 v15, 0x3c000000, v15
	s_delay_alu instid0(VALU_DEP_1) | instskip(NEXT) | instid1(VALU_DEP_1)
	v_and_or_b32 v15, 0x7f800000, v16, v15
	v_cndmask_b32_e32 v5, 0, v15, vcc_lo
	s_delay_alu instid0(VALU_DEP_1) | instskip(NEXT) | instid1(VALU_DEP_1)
	v_and_or_b32 v4, 0x80000000, v4, v5
	v_trunc_f32_e32 v4, v4
	s_delay_alu instid0(VALU_DEP_1) | instskip(SKIP_1) | instid1(VALU_DEP_2)
	v_mul_f32_e64 v5, 0x2f800000, |v4|
	v_ashrrev_i32_e32 v16, 31, v4
	v_floor_f32_e32 v5, v5
	s_delay_alu instid0(VALU_DEP_1) | instskip(SKIP_1) | instid1(VALU_DEP_2)
	v_fma_f32 v15, 0xcf800000, v5, |v4|
	v_cvt_u32_f32_e32 v5, v5
	v_cvt_u32_f32_e32 v4, v15
	s_delay_alu instid0(VALU_DEP_2) | instskip(NEXT) | instid1(VALU_DEP_2)
	v_xor_b32_e32 v5, v5, v16
	v_xor_b32_e32 v4, v4, v16
	s_delay_alu instid0(VALU_DEP_1) | instskip(NEXT) | instid1(VALU_DEP_3)
	v_sub_co_u32 v4, vcc_lo, v4, v16
	v_sub_co_ci_u32_e32 v5, vcc_lo, v5, v16, vcc_lo
.LBB39_1605:
	s_mov_b32 s0, 0
.LBB39_1606:
	s_delay_alu instid0(SALU_CYCLE_1)
	s_and_not1_b32 vcc_lo, exec_lo, s0
	s_cbranch_vccnz .LBB39_1608
; %bb.1607:
	global_load_u8 v4, v[12:13], off
	s_waitcnt vmcnt(0)
	v_lshlrev_b32_e32 v5, 25, v4
	v_lshlrev_b16 v4, 8, v4
	s_delay_alu instid0(VALU_DEP_2) | instskip(NEXT) | instid1(VALU_DEP_2)
	v_lshrrev_b32_e32 v15, 4, v5
	v_and_or_b32 v16, 0x7f00, v4, 0.5
	v_cmp_gt_u32_e32 vcc_lo, 0x8000000, v5
	v_bfe_i32 v4, v4, 0, 16
	s_delay_alu instid0(VALU_DEP_4) | instskip(NEXT) | instid1(VALU_DEP_1)
	v_or_b32_e32 v15, 0x70000000, v15
	v_dual_add_f32 v16, -0.5, v16 :: v_dual_mul_f32 v15, 0x7800000, v15
	s_delay_alu instid0(VALU_DEP_1) | instskip(NEXT) | instid1(VALU_DEP_1)
	v_cndmask_b32_e32 v5, v15, v16, vcc_lo
	v_and_or_b32 v4, 0x80000000, v4, v5
	s_delay_alu instid0(VALU_DEP_1) | instskip(NEXT) | instid1(VALU_DEP_1)
	v_trunc_f32_e32 v4, v4
	v_mul_f32_e64 v5, 0x2f800000, |v4|
	v_ashrrev_i32_e32 v16, 31, v4
	s_delay_alu instid0(VALU_DEP_2) | instskip(NEXT) | instid1(VALU_DEP_1)
	v_floor_f32_e32 v5, v5
	v_fma_f32 v15, 0xcf800000, v5, |v4|
	v_cvt_u32_f32_e32 v5, v5
	s_delay_alu instid0(VALU_DEP_2) | instskip(NEXT) | instid1(VALU_DEP_2)
	v_cvt_u32_f32_e32 v4, v15
	v_xor_b32_e32 v5, v5, v16
	s_delay_alu instid0(VALU_DEP_2) | instskip(NEXT) | instid1(VALU_DEP_1)
	v_xor_b32_e32 v4, v4, v16
	v_sub_co_u32 v4, vcc_lo, v4, v16
	s_delay_alu instid0(VALU_DEP_3)
	v_sub_co_ci_u32_e32 v5, vcc_lo, v5, v16, vcc_lo
.LBB39_1608:
	s_mov_b32 s1, 0
	s_mov_b32 s0, -1
.LBB39_1609:
	s_and_not1_b32 vcc_lo, exec_lo, s1
	s_mov_b32 s7, 0
	s_cbranch_vccnz .LBB39_1618
; %bb.1610:
	v_cmp_lt_i16_e32 vcc_lo, 14, v14
	s_cbranch_vccz .LBB39_1613
; %bb.1611:
	v_cmp_eq_u16_e32 vcc_lo, 15, v14
	s_cbranch_vccz .LBB39_1614
; %bb.1612:
	global_load_u16 v4, v[12:13], off
	s_mov_b32 s6, 0
	s_mov_b32 s0, -1
	s_waitcnt vmcnt(0)
	v_lshlrev_b32_e32 v4, 16, v4
	s_delay_alu instid0(VALU_DEP_1) | instskip(NEXT) | instid1(VALU_DEP_1)
	v_trunc_f32_e32 v4, v4
	v_mul_f32_e64 v5, 0x2f800000, |v4|
	v_ashrrev_i32_e32 v16, 31, v4
	s_delay_alu instid0(VALU_DEP_2) | instskip(NEXT) | instid1(VALU_DEP_1)
	v_floor_f32_e32 v5, v5
	v_fma_f32 v15, 0xcf800000, v5, |v4|
	v_cvt_u32_f32_e32 v5, v5
	s_delay_alu instid0(VALU_DEP_2) | instskip(NEXT) | instid1(VALU_DEP_2)
	v_cvt_u32_f32_e32 v4, v15
	v_xor_b32_e32 v5, v5, v16
	s_delay_alu instid0(VALU_DEP_2) | instskip(NEXT) | instid1(VALU_DEP_1)
	v_xor_b32_e32 v4, v4, v16
	v_sub_co_u32 v4, vcc_lo, v4, v16
	s_delay_alu instid0(VALU_DEP_3)
	v_sub_co_ci_u32_e32 v5, vcc_lo, v5, v16, vcc_lo
	s_branch .LBB39_1615
.LBB39_1613:
	s_mov_b32 s1, -1
                                        ; implicit-def: $vgpr4_vgpr5
	s_branch .LBB39_1616
.LBB39_1614:
	s_mov_b32 s6, -1
                                        ; implicit-def: $vgpr4_vgpr5
.LBB39_1615:
	s_mov_b32 s1, 0
.LBB39_1616:
	s_delay_alu instid0(SALU_CYCLE_1)
	s_and_b32 vcc_lo, exec_lo, s1
	s_cbranch_vccz .LBB39_1618
; %bb.1617:
	v_cmp_ne_u16_e64 s6, 11, v14
	s_mov_b32 s7, -1
                                        ; implicit-def: $vgpr4_vgpr5
.LBB39_1618:
	s_delay_alu instid0(VALU_DEP_1)
	s_and_b32 vcc_lo, exec_lo, s6
	s_cbranch_vccnz .LBB39_2103
; %bb.1619:
	s_and_not1_b32 vcc_lo, exec_lo, s7
	s_cbranch_vccnz .LBB39_1621
.LBB39_1620:
	global_load_u8 v4, v[12:13], off
	s_mov_b32 s0, 0
	s_waitcnt vmcnt(1)
	v_mov_b32_e32 v5, s0
	s_mov_b32 s0, -1
	s_waitcnt vmcnt(0)
	v_cmp_ne_u16_e32 vcc_lo, 0, v4
	v_cndmask_b32_e64 v4, 0, 1, vcc_lo
.LBB39_1621:
	s_mov_b32 s1, 0
.LBB39_1622:
	s_delay_alu instid0(SALU_CYCLE_1)
	s_and_b32 vcc_lo, exec_lo, s1
	s_cbranch_vccz .LBB39_1671
; %bb.1623:
	v_cmp_gt_i16_e32 vcc_lo, 5, v14
	s_cbranch_vccnz .LBB39_1628
; %bb.1624:
	v_cmp_gt_i16_e32 vcc_lo, 8, v14
	s_cbranch_vccnz .LBB39_1629
	;; [unrolled: 3-line block ×3, first 2 shown]
; %bb.1626:
	v_cmp_lt_i16_e32 vcc_lo, 9, v14
	s_cbranch_vccz .LBB39_1631
; %bb.1627:
	global_load_b64 v[4:5], v[12:13], off
	s_mov_b32 s0, 0
	s_waitcnt vmcnt(0)
	v_trunc_f64_e32 v[4:5], v[4:5]
	s_delay_alu instid0(VALU_DEP_1) | instskip(NEXT) | instid1(VALU_DEP_1)
	v_ldexp_f64 v[15:16], v[4:5], 0xffffffe0
	v_floor_f64_e32 v[15:16], v[15:16]
	s_delay_alu instid0(VALU_DEP_1) | instskip(SKIP_1) | instid1(VALU_DEP_2)
	v_fma_f64 v[17:18], 0xc1f00000, v[15:16], v[4:5]
	v_cvt_i32_f64_e32 v5, v[15:16]
	v_cvt_u32_f64_e32 v4, v[17:18]
	s_branch .LBB39_1632
.LBB39_1628:
	s_mov_b32 s0, -1
                                        ; implicit-def: $vgpr4_vgpr5
	s_branch .LBB39_1650
.LBB39_1629:
	s_mov_b32 s0, -1
                                        ; implicit-def: $vgpr4_vgpr5
	s_branch .LBB39_1638
.LBB39_1630:
	s_mov_b32 s0, -1
                                        ; implicit-def: $vgpr4_vgpr5
	s_branch .LBB39_1635
.LBB39_1631:
	s_mov_b32 s0, -1
                                        ; implicit-def: $vgpr4_vgpr5
.LBB39_1632:
	s_delay_alu instid0(SALU_CYCLE_1)
	s_and_not1_b32 vcc_lo, exec_lo, s0
	s_cbranch_vccnz .LBB39_1634
; %bb.1633:
	global_load_b32 v4, v[12:13], off
	s_waitcnt vmcnt(0)
	v_trunc_f32_e32 v4, v4
	s_delay_alu instid0(VALU_DEP_1) | instskip(SKIP_1) | instid1(VALU_DEP_2)
	v_mul_f32_e64 v5, 0x2f800000, |v4|
	v_ashrrev_i32_e32 v16, 31, v4
	v_floor_f32_e32 v5, v5
	s_delay_alu instid0(VALU_DEP_1) | instskip(SKIP_1) | instid1(VALU_DEP_2)
	v_fma_f32 v15, 0xcf800000, v5, |v4|
	v_cvt_u32_f32_e32 v5, v5
	v_cvt_u32_f32_e32 v4, v15
	s_delay_alu instid0(VALU_DEP_2) | instskip(NEXT) | instid1(VALU_DEP_2)
	v_xor_b32_e32 v5, v5, v16
	v_xor_b32_e32 v4, v4, v16
	s_delay_alu instid0(VALU_DEP_1) | instskip(NEXT) | instid1(VALU_DEP_3)
	v_sub_co_u32 v4, vcc_lo, v4, v16
	v_sub_co_ci_u32_e32 v5, vcc_lo, v5, v16, vcc_lo
.LBB39_1634:
	s_mov_b32 s0, 0
.LBB39_1635:
	s_delay_alu instid0(SALU_CYCLE_1)
	s_and_not1_b32 vcc_lo, exec_lo, s0
	s_cbranch_vccnz .LBB39_1637
; %bb.1636:
	global_load_b32 v4, v[12:13], off
	s_waitcnt vmcnt(0)
	v_cvt_f32_f16_e32 v4, v4
	s_delay_alu instid0(VALU_DEP_1) | instskip(NEXT) | instid1(VALU_DEP_1)
	v_cvt_i32_f32_e32 v4, v4
	v_ashrrev_i32_e32 v5, 31, v4
.LBB39_1637:
	s_mov_b32 s0, 0
.LBB39_1638:
	s_delay_alu instid0(SALU_CYCLE_1)
	s_and_not1_b32 vcc_lo, exec_lo, s0
	s_cbranch_vccnz .LBB39_1649
; %bb.1639:
	v_cmp_gt_i16_e32 vcc_lo, 6, v14
	s_cbranch_vccnz .LBB39_1642
; %bb.1640:
	v_cmp_lt_i16_e32 vcc_lo, 6, v14
	s_cbranch_vccz .LBB39_1643
; %bb.1641:
	global_load_b64 v[4:5], v[12:13], off
	s_mov_b32 s0, 0
	s_waitcnt vmcnt(0)
	v_trunc_f64_e32 v[4:5], v[4:5]
	s_delay_alu instid0(VALU_DEP_1) | instskip(NEXT) | instid1(VALU_DEP_1)
	v_ldexp_f64 v[15:16], v[4:5], 0xffffffe0
	v_floor_f64_e32 v[15:16], v[15:16]
	s_delay_alu instid0(VALU_DEP_1) | instskip(SKIP_1) | instid1(VALU_DEP_2)
	v_fma_f64 v[17:18], 0xc1f00000, v[15:16], v[4:5]
	v_cvt_i32_f64_e32 v5, v[15:16]
	v_cvt_u32_f64_e32 v4, v[17:18]
	s_branch .LBB39_1644
.LBB39_1642:
	s_mov_b32 s0, -1
                                        ; implicit-def: $vgpr4_vgpr5
	s_branch .LBB39_1647
.LBB39_1643:
	s_mov_b32 s0, -1
                                        ; implicit-def: $vgpr4_vgpr5
.LBB39_1644:
	s_delay_alu instid0(SALU_CYCLE_1)
	s_and_not1_b32 vcc_lo, exec_lo, s0
	s_cbranch_vccnz .LBB39_1646
; %bb.1645:
	global_load_b32 v4, v[12:13], off
	s_waitcnt vmcnt(0)
	v_trunc_f32_e32 v4, v4
	s_delay_alu instid0(VALU_DEP_1) | instskip(SKIP_1) | instid1(VALU_DEP_2)
	v_mul_f32_e64 v5, 0x2f800000, |v4|
	v_ashrrev_i32_e32 v16, 31, v4
	v_floor_f32_e32 v5, v5
	s_delay_alu instid0(VALU_DEP_1) | instskip(SKIP_1) | instid1(VALU_DEP_2)
	v_fma_f32 v15, 0xcf800000, v5, |v4|
	v_cvt_u32_f32_e32 v5, v5
	v_cvt_u32_f32_e32 v4, v15
	s_delay_alu instid0(VALU_DEP_2) | instskip(NEXT) | instid1(VALU_DEP_2)
	v_xor_b32_e32 v5, v5, v16
	v_xor_b32_e32 v4, v4, v16
	s_delay_alu instid0(VALU_DEP_1) | instskip(NEXT) | instid1(VALU_DEP_3)
	v_sub_co_u32 v4, vcc_lo, v4, v16
	v_sub_co_ci_u32_e32 v5, vcc_lo, v5, v16, vcc_lo
.LBB39_1646:
	s_mov_b32 s0, 0
.LBB39_1647:
	s_delay_alu instid0(SALU_CYCLE_1)
	s_and_not1_b32 vcc_lo, exec_lo, s0
	s_cbranch_vccnz .LBB39_1649
; %bb.1648:
	global_load_u16 v4, v[12:13], off
	s_waitcnt vmcnt(0)
	v_cvt_f32_f16_e32 v4, v4
	s_delay_alu instid0(VALU_DEP_1) | instskip(NEXT) | instid1(VALU_DEP_1)
	v_cvt_i32_f32_e32 v4, v4
	v_ashrrev_i32_e32 v5, 31, v4
.LBB39_1649:
	s_mov_b32 s0, 0
.LBB39_1650:
	s_delay_alu instid0(SALU_CYCLE_1)
	s_and_not1_b32 vcc_lo, exec_lo, s0
	s_cbranch_vccnz .LBB39_1670
; %bb.1651:
	v_cmp_gt_i16_e32 vcc_lo, 2, v14
	s_cbranch_vccnz .LBB39_1655
; %bb.1652:
	v_cmp_gt_i16_e32 vcc_lo, 3, v14
	s_cbranch_vccnz .LBB39_1656
; %bb.1653:
	v_cmp_lt_i16_e32 vcc_lo, 3, v14
	s_cbranch_vccz .LBB39_1657
; %bb.1654:
	global_load_b64 v[4:5], v[12:13], off
	s_mov_b32 s0, 0
	s_branch .LBB39_1658
.LBB39_1655:
	s_mov_b32 s0, -1
                                        ; implicit-def: $vgpr4_vgpr5
	s_branch .LBB39_1664
.LBB39_1656:
	s_mov_b32 s0, -1
                                        ; implicit-def: $vgpr4_vgpr5
	s_branch .LBB39_1661
.LBB39_1657:
	s_mov_b32 s0, -1
                                        ; implicit-def: $vgpr4_vgpr5
.LBB39_1658:
	s_delay_alu instid0(SALU_CYCLE_1)
	s_and_not1_b32 vcc_lo, exec_lo, s0
	s_cbranch_vccnz .LBB39_1660
; %bb.1659:
	global_load_b32 v4, v[12:13], off
	s_waitcnt vmcnt(0)
	v_ashrrev_i32_e32 v5, 31, v4
.LBB39_1660:
	s_mov_b32 s0, 0
.LBB39_1661:
	s_delay_alu instid0(SALU_CYCLE_1)
	s_and_not1_b32 vcc_lo, exec_lo, s0
	s_cbranch_vccnz .LBB39_1663
; %bb.1662:
	global_load_u16 v4, v[12:13], off
	s_waitcnt vmcnt(0)
	v_bfe_i32 v4, v4, 0, 16
	s_delay_alu instid0(VALU_DEP_1)
	v_ashrrev_i32_e32 v5, 31, v4
.LBB39_1663:
	s_mov_b32 s0, 0
.LBB39_1664:
	s_delay_alu instid0(SALU_CYCLE_1)
	s_and_not1_b32 vcc_lo, exec_lo, s0
	s_cbranch_vccnz .LBB39_1670
; %bb.1665:
	v_cmp_lt_i16_e32 vcc_lo, 0, v14
	s_mov_b32 s0, 0
	s_cbranch_vccz .LBB39_1667
; %bb.1666:
	global_load_i8 v4, v[12:13], off
	s_waitcnt vmcnt(0)
	v_bfe_i32 v4, v4, 0, 16
	s_delay_alu instid0(VALU_DEP_1)
	v_ashrrev_i32_e32 v5, 31, v4
	s_branch .LBB39_1668
.LBB39_1667:
	s_mov_b32 s0, -1
                                        ; implicit-def: $vgpr4_vgpr5
.LBB39_1668:
	s_delay_alu instid0(SALU_CYCLE_1)
	s_and_not1_b32 vcc_lo, exec_lo, s0
	s_cbranch_vccnz .LBB39_1670
; %bb.1669:
	global_load_u8 v4, v[12:13], off
	s_mov_b32 s0, 0
	s_waitcnt vmcnt(0)
	v_dual_mov_b32 v5, s0 :: v_dual_and_b32 v4, 0xffff, v4
.LBB39_1670:
	s_mov_b32 s0, -1
.LBB39_1671:
	s_delay_alu instid0(SALU_CYCLE_1)
	s_and_not1_b32 vcc_lo, exec_lo, s0
	s_cbranch_vccnz .LBB39_2102
; %bb.1672:
	s_lshr_b32 s0, s3, 8
	s_waitcnt vmcnt(0)
	v_not_b32_e32 v13, v7
	v_and_b32_e64 v16, 0xff, s0
	v_add_co_u32 v14, s0, s4, v3
	v_not_b32_e32 v12, v6
	v_add_co_ci_u32_e64 v15, null, s5, 0, s0
	s_delay_alu instid0(VALU_DEP_4)
	v_cmp_gt_i16_e32 vcc_lo, 11, v16
	s_mov_b32 s3, 0
	s_mov_b32 s0, -1
	s_cbranch_vccnz .LBB39_1750
; %bb.1673:
	v_cmp_lt_i16_e32 vcc_lo, 25, v16
	s_mov_b32 s6, -1
	s_mov_b32 s1, 0
	s_mov_b32 s0, 0
	s_cbranch_vccz .LBB39_1706
; %bb.1674:
	v_cmp_lt_i16_e32 vcc_lo, 28, v16
	s_cbranch_vccz .LBB39_1689
; %bb.1675:
	v_cmp_lt_i16_e32 vcc_lo, 43, v16
	;; [unrolled: 3-line block ×3, first 2 shown]
	s_cbranch_vccz .LBB39_1679
; %bb.1677:
	v_cmp_eq_u16_e32 vcc_lo, 46, v16
	s_mov_b32 s0, -1
	s_mov_b32 s6, 0
	s_cbranch_vccz .LBB39_1679
; %bb.1678:
	v_xor_b32_e32 v3, v12, v13
	v_cls_i32_e32 v17, v13
	s_mov_b32 s3, -1
	s_mov_b32 s0, 0
	s_delay_alu instid0(VALU_DEP_2) | instskip(NEXT) | instid1(VALU_DEP_2)
	v_ashrrev_i32_e32 v3, 31, v3
	v_add_nc_u32_e32 v17, -1, v17
	s_delay_alu instid0(VALU_DEP_2) | instskip(NEXT) | instid1(VALU_DEP_1)
	v_add_nc_u32_e32 v3, 32, v3
	v_min_u32_e32 v3, v17, v3
	s_delay_alu instid0(VALU_DEP_1) | instskip(SKIP_1) | instid1(VALU_DEP_2)
	v_lshlrev_b64 v[17:18], v3, v[12:13]
	v_sub_nc_u32_e32 v3, 32, v3
	v_min_u32_e32 v17, 1, v17
	s_delay_alu instid0(VALU_DEP_1) | instskip(NEXT) | instid1(VALU_DEP_1)
	v_or_b32_e32 v17, v18, v17
	v_cvt_f32_i32_e32 v17, v17
	s_delay_alu instid0(VALU_DEP_1) | instskip(NEXT) | instid1(VALU_DEP_1)
	v_ldexp_f32 v3, v17, v3
	v_bfe_u32 v17, v3, 16, 1
	s_delay_alu instid0(VALU_DEP_1) | instskip(NEXT) | instid1(VALU_DEP_1)
	v_add3_u32 v3, v3, v17, 0x7fff
	v_lshrrev_b32_e32 v3, 16, v3
	global_store_b32 v[14:15], v3, off
.LBB39_1679:
	s_and_b32 vcc_lo, exec_lo, s6
	s_cbranch_vccz .LBB39_1684
; %bb.1680:
	v_cmp_eq_u16_e32 vcc_lo, 44, v16
	s_mov_b32 s0, -1
	s_cbranch_vccz .LBB39_1684
; %bb.1681:
	v_xor_b32_e32 v3, v12, v13
	v_cls_i32_e32 v17, v13
	s_mov_b32 s3, -1
	s_mov_b32 s6, exec_lo
	s_delay_alu instid0(VALU_DEP_2) | instskip(NEXT) | instid1(VALU_DEP_2)
	v_ashrrev_i32_e32 v3, 31, v3
	v_add_nc_u32_e32 v17, -1, v17
	s_delay_alu instid0(VALU_DEP_2) | instskip(NEXT) | instid1(VALU_DEP_1)
	v_add_nc_u32_e32 v3, 32, v3
	v_min_u32_e32 v3, v17, v3
	s_delay_alu instid0(VALU_DEP_1) | instskip(SKIP_1) | instid1(VALU_DEP_2)
	v_lshlrev_b64 v[17:18], v3, v[12:13]
	v_sub_nc_u32_e32 v3, 32, v3
	v_min_u32_e32 v17, 1, v17
	s_delay_alu instid0(VALU_DEP_1) | instskip(NEXT) | instid1(VALU_DEP_1)
	v_or_b32_e32 v17, v18, v17
	v_cvt_f32_i32_e32 v17, v17
	s_delay_alu instid0(VALU_DEP_1) | instskip(SKIP_1) | instid1(VALU_DEP_2)
	v_ldexp_f32 v3, v17, v3
	v_mov_b32_e32 v17, 0xff
	v_bfe_u32 v18, v3, 23, 8
	s_delay_alu instid0(VALU_DEP_1)
	v_cmpx_ne_u32_e32 0xff, v18
; %bb.1682:
	v_and_b32_e32 v17, 0x400000, v3
	v_and_or_b32 v18, 0x3fffff, v3, v18
	v_lshrrev_b32_e32 v3, 23, v3
	s_delay_alu instid0(VALU_DEP_3) | instskip(NEXT) | instid1(VALU_DEP_3)
	v_cmp_ne_u32_e32 vcc_lo, 0, v17
	v_cmp_ne_u32_e64 s0, 0, v18
	s_delay_alu instid0(VALU_DEP_1) | instskip(NEXT) | instid1(SALU_CYCLE_1)
	s_and_b32 s0, vcc_lo, s0
	v_cndmask_b32_e64 v17, 0, 1, s0
	s_delay_alu instid0(VALU_DEP_1)
	v_add_nc_u32_e32 v17, v3, v17
; %bb.1683:
	s_or_b32 exec_lo, exec_lo, s6
	s_mov_b32 s0, 0
	global_store_b8 v[14:15], v17, off
.LBB39_1684:
	s_mov_b32 s6, 0
.LBB39_1685:
	s_delay_alu instid0(SALU_CYCLE_1)
	s_and_b32 vcc_lo, exec_lo, s6
	s_cbranch_vccz .LBB39_1688
; %bb.1686:
	v_cmp_eq_u16_e32 vcc_lo, 29, v16
	s_mov_b32 s0, -1
	s_cbranch_vccz .LBB39_1688
; %bb.1687:
	s_mov_b32 s0, 0
	s_mov_b32 s3, -1
	global_store_b64 v[14:15], v[12:13], off
.LBB39_1688:
	s_mov_b32 s6, 0
.LBB39_1689:
	s_delay_alu instid0(SALU_CYCLE_1)
	s_and_b32 vcc_lo, exec_lo, s6
	s_cbranch_vccz .LBB39_1705
; %bb.1690:
	v_cmp_gt_i16_e32 vcc_lo, 27, v16
	s_mov_b32 s3, -1
	s_cbranch_vccnz .LBB39_1696
; %bb.1691:
	v_cmp_lt_i16_e32 vcc_lo, 27, v16
	s_cbranch_vccz .LBB39_1693
; %bb.1692:
	s_mov_b32 s3, 0
	global_store_b32 v[14:15], v12, off
.LBB39_1693:
	s_and_not1_b32 vcc_lo, exec_lo, s3
	s_cbranch_vccnz .LBB39_1695
; %bb.1694:
	global_store_b16 v[14:15], v12, off
.LBB39_1695:
	s_mov_b32 s3, 0
.LBB39_1696:
	s_delay_alu instid0(SALU_CYCLE_1)
	s_and_not1_b32 vcc_lo, exec_lo, s3
	s_cbranch_vccnz .LBB39_1704
; %bb.1697:
	v_xor_b32_e32 v3, v12, v13
	v_cls_i32_e32 v17, v13
	s_mov_b32 s3, exec_lo
	s_delay_alu instid0(VALU_DEP_2) | instskip(NEXT) | instid1(VALU_DEP_2)
	v_ashrrev_i32_e32 v3, 31, v3
	v_add_nc_u32_e32 v17, -1, v17
	s_delay_alu instid0(VALU_DEP_2) | instskip(NEXT) | instid1(VALU_DEP_1)
	v_add_nc_u32_e32 v3, 32, v3
	v_min_u32_e32 v3, v17, v3
	s_delay_alu instid0(VALU_DEP_1) | instskip(SKIP_1) | instid1(VALU_DEP_2)
	v_lshlrev_b64 v[17:18], v3, v[12:13]
	v_sub_nc_u32_e32 v3, 32, v3
	v_min_u32_e32 v17, 1, v17
	s_delay_alu instid0(VALU_DEP_1) | instskip(SKIP_1) | instid1(VALU_DEP_2)
	v_or_b32_e32 v17, v18, v17
	v_mov_b32_e32 v18, 0x80
	v_cvt_f32_i32_e32 v17, v17
	s_delay_alu instid0(VALU_DEP_1) | instskip(NEXT) | instid1(VALU_DEP_1)
	v_ldexp_f32 v3, v17, v3
	v_and_b32_e32 v17, 0x7fffffff, v3
	s_delay_alu instid0(VALU_DEP_1)
	v_cmpx_gt_u32_e32 0x43800000, v17
	s_cbranch_execz .LBB39_1703
; %bb.1698:
	v_cmp_lt_u32_e32 vcc_lo, 0x3bffffff, v17
	s_mov_b32 s6, 0
                                        ; implicit-def: $vgpr17
	s_and_saveexec_b32 s7, vcc_lo
	s_delay_alu instid0(SALU_CYCLE_1)
	s_xor_b32 s7, exec_lo, s7
	s_cbranch_execz .LBB39_2105
; %bb.1699:
	v_bfe_u32 v17, v3, 20, 1
	s_mov_b32 s6, exec_lo
	s_delay_alu instid0(VALU_DEP_1) | instskip(NEXT) | instid1(VALU_DEP_1)
	v_add3_u32 v17, v3, v17, 0x487ffff
	v_lshrrev_b32_e32 v17, 20, v17
	s_or_saveexec_b32 s7, s7
                                        ; implicit-def: $sgpr10
	s_delay_alu instid0(SALU_CYCLE_1)
	s_xor_b32 exec_lo, exec_lo, s7
	s_cbranch_execnz .LBB39_2106
.LBB39_1700:
	s_or_b32 exec_lo, exec_lo, s7
	v_mov_b32_e32 v18, s10
	s_and_saveexec_b32 s7, s6
.LBB39_1701:
	v_lshrrev_b32_e32 v3, 24, v3
	s_delay_alu instid0(VALU_DEP_1)
	v_and_or_b32 v18, 0x80, v3, v17
.LBB39_1702:
	s_or_b32 exec_lo, exec_lo, s7
.LBB39_1703:
	s_delay_alu instid0(SALU_CYCLE_1)
	s_or_b32 exec_lo, exec_lo, s3
	global_store_b8 v[14:15], v18, off
.LBB39_1704:
	s_mov_b32 s3, -1
.LBB39_1705:
	s_mov_b32 s6, 0
.LBB39_1706:
	s_delay_alu instid0(SALU_CYCLE_1)
	s_and_b32 vcc_lo, exec_lo, s6
	s_cbranch_vccz .LBB39_1746
; %bb.1707:
	v_cmp_lt_i16_e32 vcc_lo, 22, v16
	s_mov_b32 s1, -1
	s_cbranch_vccz .LBB39_1739
; %bb.1708:
	v_cmp_gt_i16_e32 vcc_lo, 24, v16
	s_cbranch_vccnz .LBB39_1728
; %bb.1709:
	v_cmp_lt_i16_e32 vcc_lo, 24, v16
	s_cbranch_vccz .LBB39_1717
; %bb.1710:
	v_xor_b32_e32 v3, v12, v13
	v_cls_i32_e32 v17, v13
	s_mov_b32 s1, exec_lo
	s_delay_alu instid0(VALU_DEP_2) | instskip(NEXT) | instid1(VALU_DEP_2)
	v_ashrrev_i32_e32 v3, 31, v3
	v_add_nc_u32_e32 v17, -1, v17
	s_delay_alu instid0(VALU_DEP_2) | instskip(NEXT) | instid1(VALU_DEP_1)
	v_add_nc_u32_e32 v3, 32, v3
	v_min_u32_e32 v3, v17, v3
	s_delay_alu instid0(VALU_DEP_1) | instskip(SKIP_1) | instid1(VALU_DEP_2)
	v_lshlrev_b64 v[17:18], v3, v[12:13]
	v_sub_nc_u32_e32 v3, 32, v3
	v_min_u32_e32 v17, 1, v17
	s_delay_alu instid0(VALU_DEP_1) | instskip(SKIP_1) | instid1(VALU_DEP_2)
	v_or_b32_e32 v17, v18, v17
	v_mov_b32_e32 v18, 0x80
	v_cvt_f32_i32_e32 v17, v17
	s_delay_alu instid0(VALU_DEP_1) | instskip(NEXT) | instid1(VALU_DEP_1)
	v_ldexp_f32 v3, v17, v3
	v_and_b32_e32 v17, 0x7fffffff, v3
	s_delay_alu instid0(VALU_DEP_1)
	v_cmpx_gt_u32_e32 0x47800000, v17
	s_cbranch_execz .LBB39_1716
; %bb.1711:
	v_cmp_lt_u32_e32 vcc_lo, 0x37ffffff, v17
	s_mov_b32 s3, 0
                                        ; implicit-def: $vgpr17
	s_and_saveexec_b32 s6, vcc_lo
	s_delay_alu instid0(SALU_CYCLE_1)
	s_xor_b32 s6, exec_lo, s6
	s_cbranch_execz .LBB39_2111
; %bb.1712:
	v_bfe_u32 v17, v3, 21, 1
	s_mov_b32 s3, exec_lo
	s_delay_alu instid0(VALU_DEP_1) | instskip(NEXT) | instid1(VALU_DEP_1)
	v_add3_u32 v17, v3, v17, 0x88fffff
	v_lshrrev_b32_e32 v17, 21, v17
	s_or_saveexec_b32 s6, s6
                                        ; implicit-def: $sgpr7
	s_delay_alu instid0(SALU_CYCLE_1)
	s_xor_b32 exec_lo, exec_lo, s6
	s_cbranch_execnz .LBB39_2112
.LBB39_1713:
	s_or_b32 exec_lo, exec_lo, s6
	v_mov_b32_e32 v18, s7
	s_and_saveexec_b32 s6, s3
.LBB39_1714:
	v_lshrrev_b32_e32 v3, 24, v3
	s_delay_alu instid0(VALU_DEP_1)
	v_and_or_b32 v18, 0x80, v3, v17
.LBB39_1715:
	s_or_b32 exec_lo, exec_lo, s6
.LBB39_1716:
	s_delay_alu instid0(SALU_CYCLE_1)
	s_or_b32 exec_lo, exec_lo, s1
	s_mov_b32 s1, 0
	global_store_b8 v[14:15], v18, off
.LBB39_1717:
	s_and_b32 vcc_lo, exec_lo, s1
	s_cbranch_vccz .LBB39_1727
; %bb.1718:
	v_xor_b32_e32 v3, v12, v13
	v_cls_i32_e32 v17, v13
	s_mov_b32 s1, exec_lo
	s_delay_alu instid0(VALU_DEP_2) | instskip(NEXT) | instid1(VALU_DEP_2)
	v_ashrrev_i32_e32 v3, 31, v3
	v_add_nc_u32_e32 v17, -1, v17
	s_delay_alu instid0(VALU_DEP_2) | instskip(NEXT) | instid1(VALU_DEP_1)
	v_add_nc_u32_e32 v3, 32, v3
	v_min_u32_e32 v3, v17, v3
	s_delay_alu instid0(VALU_DEP_1) | instskip(SKIP_1) | instid1(VALU_DEP_2)
	v_lshlrev_b64 v[17:18], v3, v[12:13]
	v_sub_nc_u32_e32 v3, 32, v3
	v_min_u32_e32 v17, 1, v17
	s_delay_alu instid0(VALU_DEP_1) | instskip(NEXT) | instid1(VALU_DEP_1)
	v_or_b32_e32 v17, v18, v17
	v_cvt_f32_i32_e32 v17, v17
	s_delay_alu instid0(VALU_DEP_1) | instskip(NEXT) | instid1(VALU_DEP_1)
	v_ldexp_f32 v3, v17, v3
                                        ; implicit-def: $vgpr17
	v_and_b32_e32 v18, 0x7fffffff, v3
	s_delay_alu instid0(VALU_DEP_1)
	v_cmpx_gt_u32_e32 0x43f00000, v18
	s_xor_b32 s1, exec_lo, s1
	s_cbranch_execz .LBB39_1724
; %bb.1719:
	s_mov_b32 s3, exec_lo
                                        ; implicit-def: $vgpr17
	v_cmpx_lt_u32_e32 0x3c7fffff, v18
	s_xor_b32 s3, exec_lo, s3
; %bb.1720:
	v_bfe_u32 v17, v3, 20, 1
	s_delay_alu instid0(VALU_DEP_1) | instskip(NEXT) | instid1(VALU_DEP_1)
	v_add3_u32 v17, v3, v17, 0x407ffff
	v_and_b32_e32 v18, 0xff00000, v17
	v_lshrrev_b32_e32 v17, 20, v17
	s_delay_alu instid0(VALU_DEP_2) | instskip(NEXT) | instid1(VALU_DEP_2)
	v_cmp_ne_u32_e32 vcc_lo, 0x7f00000, v18
	v_cndmask_b32_e32 v17, 0x7e, v17, vcc_lo
; %bb.1721:
	s_and_not1_saveexec_b32 s3, s3
; %bb.1722:
	v_add_f32_e64 v17, 0x46800000, |v3|
; %bb.1723:
	s_or_b32 exec_lo, exec_lo, s3
                                        ; implicit-def: $vgpr18
.LBB39_1724:
	s_and_not1_saveexec_b32 s1, s1
; %bb.1725:
	v_mov_b32_e32 v17, 0x7f
	v_cmp_lt_u32_e32 vcc_lo, 0x7f800000, v18
	s_delay_alu instid0(VALU_DEP_2)
	v_cndmask_b32_e32 v17, 0x7e, v17, vcc_lo
; %bb.1726:
	s_or_b32 exec_lo, exec_lo, s1
	v_lshrrev_b32_e32 v3, 24, v3
	s_delay_alu instid0(VALU_DEP_1)
	v_and_or_b32 v3, 0x80, v3, v17
	global_store_b8 v[14:15], v3, off
.LBB39_1727:
	s_mov_b32 s1, 0
.LBB39_1728:
	s_delay_alu instid0(SALU_CYCLE_1)
	s_and_not1_b32 vcc_lo, exec_lo, s1
	s_cbranch_vccnz .LBB39_1738
; %bb.1729:
	v_xor_b32_e32 v3, v12, v13
	v_cls_i32_e32 v17, v13
	s_mov_b32 s1, exec_lo
	s_delay_alu instid0(VALU_DEP_2) | instskip(NEXT) | instid1(VALU_DEP_2)
	v_ashrrev_i32_e32 v3, 31, v3
	v_add_nc_u32_e32 v17, -1, v17
	s_delay_alu instid0(VALU_DEP_2) | instskip(NEXT) | instid1(VALU_DEP_1)
	v_add_nc_u32_e32 v3, 32, v3
	v_min_u32_e32 v3, v17, v3
	s_delay_alu instid0(VALU_DEP_1) | instskip(SKIP_1) | instid1(VALU_DEP_2)
	v_lshlrev_b64 v[17:18], v3, v[12:13]
	v_sub_nc_u32_e32 v3, 32, v3
	v_min_u32_e32 v17, 1, v17
	s_delay_alu instid0(VALU_DEP_1) | instskip(NEXT) | instid1(VALU_DEP_1)
	v_or_b32_e32 v17, v18, v17
	v_cvt_f32_i32_e32 v17, v17
	s_delay_alu instid0(VALU_DEP_1) | instskip(NEXT) | instid1(VALU_DEP_1)
	v_ldexp_f32 v3, v17, v3
                                        ; implicit-def: $vgpr17
	v_and_b32_e32 v18, 0x7fffffff, v3
	s_delay_alu instid0(VALU_DEP_1)
	v_cmpx_gt_u32_e32 0x47800000, v18
	s_xor_b32 s1, exec_lo, s1
	s_cbranch_execz .LBB39_1735
; %bb.1730:
	s_mov_b32 s3, exec_lo
                                        ; implicit-def: $vgpr17
	v_cmpx_lt_u32_e32 0x387fffff, v18
	s_xor_b32 s3, exec_lo, s3
; %bb.1731:
	v_bfe_u32 v17, v3, 21, 1
	s_delay_alu instid0(VALU_DEP_1) | instskip(NEXT) | instid1(VALU_DEP_1)
	v_add3_u32 v17, v3, v17, 0x80fffff
	v_lshrrev_b32_e32 v17, 21, v17
; %bb.1732:
	s_and_not1_saveexec_b32 s3, s3
; %bb.1733:
	v_add_f32_e64 v17, 0x43000000, |v3|
; %bb.1734:
	s_or_b32 exec_lo, exec_lo, s3
                                        ; implicit-def: $vgpr18
.LBB39_1735:
	s_and_not1_saveexec_b32 s1, s1
; %bb.1736:
	v_mov_b32_e32 v17, 0x7f
	v_cmp_lt_u32_e32 vcc_lo, 0x7f800000, v18
	s_delay_alu instid0(VALU_DEP_2)
	v_cndmask_b32_e32 v17, 0x7c, v17, vcc_lo
; %bb.1737:
	s_or_b32 exec_lo, exec_lo, s1
	v_lshrrev_b32_e32 v3, 24, v3
	s_delay_alu instid0(VALU_DEP_1)
	v_and_or_b32 v3, 0x80, v3, v17
	global_store_b8 v[14:15], v3, off
.LBB39_1738:
	s_mov_b32 s1, 0
	s_mov_b32 s3, -1
.LBB39_1739:
	s_and_not1_b32 vcc_lo, exec_lo, s1
	s_mov_b32 s1, 0
	s_cbranch_vccnz .LBB39_1746
; %bb.1740:
	v_cmp_lt_i16_e32 vcc_lo, 14, v16
	s_mov_b32 s1, -1
	s_cbranch_vccz .LBB39_1744
; %bb.1741:
	v_cmp_eq_u16_e32 vcc_lo, 15, v16
	s_mov_b32 s0, -1
	s_cbranch_vccz .LBB39_1743
; %bb.1742:
	v_xor_b32_e32 v3, v12, v13
	v_cls_i32_e32 v17, v13
	s_mov_b32 s3, -1
	s_mov_b32 s0, 0
	s_delay_alu instid0(VALU_DEP_2) | instskip(NEXT) | instid1(VALU_DEP_2)
	v_ashrrev_i32_e32 v3, 31, v3
	v_add_nc_u32_e32 v17, -1, v17
	s_delay_alu instid0(VALU_DEP_2) | instskip(NEXT) | instid1(VALU_DEP_1)
	v_add_nc_u32_e32 v3, 32, v3
	v_min_u32_e32 v3, v17, v3
	s_delay_alu instid0(VALU_DEP_1) | instskip(SKIP_1) | instid1(VALU_DEP_2)
	v_lshlrev_b64 v[17:18], v3, v[12:13]
	v_sub_nc_u32_e32 v3, 32, v3
	v_min_u32_e32 v17, 1, v17
	s_delay_alu instid0(VALU_DEP_1) | instskip(NEXT) | instid1(VALU_DEP_1)
	v_or_b32_e32 v17, v18, v17
	v_cvt_f32_i32_e32 v17, v17
	s_delay_alu instid0(VALU_DEP_1) | instskip(NEXT) | instid1(VALU_DEP_1)
	v_ldexp_f32 v3, v17, v3
	v_bfe_u32 v17, v3, 16, 1
	s_delay_alu instid0(VALU_DEP_1)
	v_add3_u32 v3, v3, v17, 0x7fff
	global_store_d16_hi_b16 v[14:15], v3, off
.LBB39_1743:
	s_mov_b32 s1, 0
.LBB39_1744:
	s_delay_alu instid0(SALU_CYCLE_1)
	s_and_b32 vcc_lo, exec_lo, s1
	s_mov_b32 s1, 0
	s_cbranch_vccz .LBB39_1746
; %bb.1745:
	v_cmp_ne_u16_e64 s0, 11, v16
	s_mov_b32 s1, -1
.LBB39_1746:
	s_delay_alu instid0(VALU_DEP_1)
	s_and_b32 vcc_lo, exec_lo, s0
	s_cbranch_vccnz .LBB39_2109
; %bb.1747:
	s_and_not1_b32 vcc_lo, exec_lo, s1
	s_cbranch_vccnz .LBB39_1749
.LBB39_1748:
	v_cmp_ne_u64_e32 vcc_lo, -1, v[6:7]
	s_mov_b32 s3, -1
	v_cndmask_b32_e64 v3, 0, 1, vcc_lo
	global_store_b8 v[14:15], v3, off
.LBB39_1749:
	s_mov_b32 s0, 0
.LBB39_1750:
	s_delay_alu instid0(SALU_CYCLE_1)
	s_and_b32 vcc_lo, exec_lo, s0
	s_cbranch_vccz .LBB39_1789
; %bb.1751:
	v_cmp_gt_i16_e32 vcc_lo, 5, v16
	s_mov_b32 s0, -1
	s_cbranch_vccnz .LBB39_1772
; %bb.1752:
	v_cmp_gt_i16_e32 vcc_lo, 8, v16
	s_cbranch_vccnz .LBB39_1762
; %bb.1753:
	v_cmp_gt_i16_e32 vcc_lo, 9, v16
	s_cbranch_vccnz .LBB39_1759
; %bb.1754:
	v_cmp_lt_i16_e32 vcc_lo, 9, v16
	s_cbranch_vccz .LBB39_1756
; %bb.1755:
	v_cvt_f64_i32_e32 v[6:7], v13
	v_cvt_f64_u32_e32 v[17:18], v12
	v_mov_b32_e32 v19, 0
	s_mov_b32 s0, 0
	s_delay_alu instid0(VALU_DEP_1) | instskip(NEXT) | instid1(VALU_DEP_4)
	v_mov_b32_e32 v20, v19
	v_ldexp_f64 v[6:7], v[6:7], 32
	s_delay_alu instid0(VALU_DEP_1)
	v_add_f64 v[17:18], v[6:7], v[17:18]
	global_store_b128 v[14:15], v[17:20], off
.LBB39_1756:
	s_and_not1_b32 vcc_lo, exec_lo, s0
	s_cbranch_vccnz .LBB39_1758
; %bb.1757:
	v_xor_b32_e32 v3, v12, v13
	v_cls_i32_e32 v6, v13
	s_delay_alu instid0(VALU_DEP_2) | instskip(NEXT) | instid1(VALU_DEP_2)
	v_ashrrev_i32_e32 v3, 31, v3
	v_add_nc_u32_e32 v6, -1, v6
	s_delay_alu instid0(VALU_DEP_2) | instskip(NEXT) | instid1(VALU_DEP_1)
	v_add_nc_u32_e32 v3, 32, v3
	v_min_u32_e32 v3, v6, v3
	s_delay_alu instid0(VALU_DEP_1) | instskip(SKIP_1) | instid1(VALU_DEP_2)
	v_lshlrev_b64 v[6:7], v3, v[12:13]
	v_sub_nc_u32_e32 v3, 32, v3
	v_min_u32_e32 v6, 1, v6
	s_delay_alu instid0(VALU_DEP_1) | instskip(SKIP_1) | instid1(VALU_DEP_2)
	v_or_b32_e32 v6, v7, v6
	v_mov_b32_e32 v7, 0
	v_cvt_f32_i32_e32 v6, v6
	s_delay_alu instid0(VALU_DEP_1)
	v_ldexp_f32 v6, v6, v3
	global_store_b64 v[14:15], v[6:7], off
.LBB39_1758:
	s_mov_b32 s0, 0
.LBB39_1759:
	s_delay_alu instid0(SALU_CYCLE_1)
	s_and_not1_b32 vcc_lo, exec_lo, s0
	s_cbranch_vccnz .LBB39_1761
; %bb.1760:
	v_xor_b32_e32 v3, v12, v13
	v_cls_i32_e32 v6, v13
	s_delay_alu instid0(VALU_DEP_2) | instskip(NEXT) | instid1(VALU_DEP_2)
	v_ashrrev_i32_e32 v3, 31, v3
	v_add_nc_u32_e32 v6, -1, v6
	s_delay_alu instid0(VALU_DEP_2) | instskip(NEXT) | instid1(VALU_DEP_1)
	v_add_nc_u32_e32 v3, 32, v3
	v_min_u32_e32 v3, v6, v3
	s_delay_alu instid0(VALU_DEP_1) | instskip(SKIP_1) | instid1(VALU_DEP_2)
	v_lshlrev_b64 v[6:7], v3, v[12:13]
	v_sub_nc_u32_e32 v3, 32, v3
	v_min_u32_e32 v6, 1, v6
	s_delay_alu instid0(VALU_DEP_1) | instskip(NEXT) | instid1(VALU_DEP_1)
	v_or_b32_e32 v6, v7, v6
	v_cvt_f32_i32_e32 v6, v6
	s_delay_alu instid0(VALU_DEP_1) | instskip(NEXT) | instid1(VALU_DEP_1)
	v_ldexp_f32 v3, v6, v3
	v_cvt_f16_f32_e32 v3, v3
	s_delay_alu instid0(VALU_DEP_1)
	v_and_b32_e32 v3, 0xffff, v3
	global_store_b32 v[14:15], v3, off
.LBB39_1761:
	s_mov_b32 s0, 0
.LBB39_1762:
	s_delay_alu instid0(SALU_CYCLE_1)
	s_and_not1_b32 vcc_lo, exec_lo, s0
	s_cbranch_vccnz .LBB39_1771
; %bb.1763:
	v_cmp_gt_i16_e32 vcc_lo, 6, v16
	s_mov_b32 s0, -1
	s_cbranch_vccnz .LBB39_1769
; %bb.1764:
	v_cmp_lt_i16_e32 vcc_lo, 6, v16
	s_cbranch_vccz .LBB39_1766
; %bb.1765:
	v_cvt_f64_i32_e32 v[6:7], v13
	v_cvt_f64_u32_e32 v[17:18], v12
	s_mov_b32 s0, 0
	s_delay_alu instid0(VALU_DEP_2) | instskip(NEXT) | instid1(VALU_DEP_1)
	v_ldexp_f64 v[6:7], v[6:7], 32
	v_add_f64 v[6:7], v[6:7], v[17:18]
	global_store_b64 v[14:15], v[6:7], off
.LBB39_1766:
	s_and_not1_b32 vcc_lo, exec_lo, s0
	s_cbranch_vccnz .LBB39_1768
; %bb.1767:
	v_xor_b32_e32 v3, v12, v13
	v_cls_i32_e32 v6, v13
	s_delay_alu instid0(VALU_DEP_2) | instskip(NEXT) | instid1(VALU_DEP_2)
	v_ashrrev_i32_e32 v3, 31, v3
	v_add_nc_u32_e32 v6, -1, v6
	s_delay_alu instid0(VALU_DEP_2) | instskip(NEXT) | instid1(VALU_DEP_1)
	v_add_nc_u32_e32 v3, 32, v3
	v_min_u32_e32 v3, v6, v3
	s_delay_alu instid0(VALU_DEP_1) | instskip(SKIP_1) | instid1(VALU_DEP_2)
	v_lshlrev_b64 v[6:7], v3, v[12:13]
	v_sub_nc_u32_e32 v3, 32, v3
	v_min_u32_e32 v6, 1, v6
	s_delay_alu instid0(VALU_DEP_1) | instskip(NEXT) | instid1(VALU_DEP_1)
	v_or_b32_e32 v6, v7, v6
	v_cvt_f32_i32_e32 v6, v6
	s_delay_alu instid0(VALU_DEP_1)
	v_ldexp_f32 v3, v6, v3
	global_store_b32 v[14:15], v3, off
.LBB39_1768:
	s_mov_b32 s0, 0
.LBB39_1769:
	s_delay_alu instid0(SALU_CYCLE_1)
	s_and_not1_b32 vcc_lo, exec_lo, s0
	s_cbranch_vccnz .LBB39_1771
; %bb.1770:
	v_xor_b32_e32 v3, v12, v13
	v_cls_i32_e32 v6, v13
	s_delay_alu instid0(VALU_DEP_2) | instskip(NEXT) | instid1(VALU_DEP_2)
	v_ashrrev_i32_e32 v3, 31, v3
	v_add_nc_u32_e32 v6, -1, v6
	s_delay_alu instid0(VALU_DEP_2) | instskip(NEXT) | instid1(VALU_DEP_1)
	v_add_nc_u32_e32 v3, 32, v3
	v_min_u32_e32 v3, v6, v3
	s_delay_alu instid0(VALU_DEP_1) | instskip(SKIP_1) | instid1(VALU_DEP_2)
	v_lshlrev_b64 v[6:7], v3, v[12:13]
	v_sub_nc_u32_e32 v3, 32, v3
	v_min_u32_e32 v6, 1, v6
	s_delay_alu instid0(VALU_DEP_1) | instskip(NEXT) | instid1(VALU_DEP_1)
	v_or_b32_e32 v6, v7, v6
	v_cvt_f32_i32_e32 v6, v6
	s_delay_alu instid0(VALU_DEP_1) | instskip(NEXT) | instid1(VALU_DEP_1)
	v_ldexp_f32 v3, v6, v3
	v_cvt_f16_f32_e32 v3, v3
	global_store_b16 v[14:15], v3, off
.LBB39_1771:
	s_mov_b32 s0, 0
.LBB39_1772:
	s_delay_alu instid0(SALU_CYCLE_1)
	s_and_not1_b32 vcc_lo, exec_lo, s0
	s_cbranch_vccnz .LBB39_1788
; %bb.1773:
	v_cmp_gt_i16_e32 vcc_lo, 2, v16
	s_mov_b32 s0, -1
	s_cbranch_vccnz .LBB39_1783
; %bb.1774:
	v_cmp_gt_i16_e32 vcc_lo, 3, v16
	s_cbranch_vccnz .LBB39_1780
; %bb.1775:
	v_cmp_lt_i16_e32 vcc_lo, 3, v16
	s_cbranch_vccz .LBB39_1777
; %bb.1776:
	s_mov_b32 s0, 0
	global_store_b64 v[14:15], v[12:13], off
.LBB39_1777:
	s_and_not1_b32 vcc_lo, exec_lo, s0
	s_cbranch_vccnz .LBB39_1779
; %bb.1778:
	global_store_b32 v[14:15], v12, off
.LBB39_1779:
	s_mov_b32 s0, 0
.LBB39_1780:
	s_delay_alu instid0(SALU_CYCLE_1)
	s_and_not1_b32 vcc_lo, exec_lo, s0
	s_cbranch_vccnz .LBB39_1782
; %bb.1781:
	global_store_b16 v[14:15], v12, off
.LBB39_1782:
	s_mov_b32 s0, 0
.LBB39_1783:
	s_delay_alu instid0(SALU_CYCLE_1)
	s_and_not1_b32 vcc_lo, exec_lo, s0
	s_cbranch_vccnz .LBB39_1788
; %bb.1784:
	v_cmp_lt_i16_e32 vcc_lo, 0, v16
	s_mov_b32 s0, -1
	s_cbranch_vccz .LBB39_1786
; %bb.1785:
	s_mov_b32 s0, 0
	global_store_b8 v[14:15], v12, off
.LBB39_1786:
	s_and_not1_b32 vcc_lo, exec_lo, s0
	s_cbranch_vccnz .LBB39_1788
; %bb.1787:
	global_store_b8 v[14:15], v12, off
.LBB39_1788:
	s_mov_b32 s3, -1
.LBB39_1789:
	s_delay_alu instid0(SALU_CYCLE_1)
	s_and_not1_b32 vcc_lo, exec_lo, s3
	s_cbranch_vccnz .LBB39_2102
; %bb.1790:
	v_cmp_gt_i16_e32 vcc_lo, 11, v16
	v_add_co_u32 v2, s0, s4, v2
	v_not_b32_e32 v7, v9
	v_not_b32_e32 v6, v8
	v_add_co_ci_u32_e64 v3, null, s5, 0, s0
	s_mov_b32 s3, 0
	s_mov_b32 s0, -1
	s_cbranch_vccnz .LBB39_1868
; %bb.1791:
	v_cmp_lt_i16_e32 vcc_lo, 25, v16
	s_mov_b32 s6, -1
	s_mov_b32 s1, 0
	s_mov_b32 s0, 0
	s_cbranch_vccz .LBB39_1824
; %bb.1792:
	v_cmp_lt_i16_e32 vcc_lo, 28, v16
	s_cbranch_vccz .LBB39_1807
; %bb.1793:
	v_cmp_lt_i16_e32 vcc_lo, 43, v16
	;; [unrolled: 3-line block ×3, first 2 shown]
	s_cbranch_vccz .LBB39_1797
; %bb.1795:
	v_cmp_eq_u16_e32 vcc_lo, 46, v16
	s_mov_b32 s0, -1
	s_mov_b32 s6, 0
	s_cbranch_vccz .LBB39_1797
; %bb.1796:
	v_xor_b32_e32 v12, v6, v7
	v_cls_i32_e32 v13, v7
	s_mov_b32 s3, -1
	s_mov_b32 s0, 0
	s_delay_alu instid0(VALU_DEP_2) | instskip(NEXT) | instid1(VALU_DEP_2)
	v_ashrrev_i32_e32 v12, 31, v12
	v_add_nc_u32_e32 v13, -1, v13
	s_delay_alu instid0(VALU_DEP_2) | instskip(NEXT) | instid1(VALU_DEP_1)
	v_add_nc_u32_e32 v12, 32, v12
	v_min_u32_e32 v14, v13, v12
	s_delay_alu instid0(VALU_DEP_1) | instskip(NEXT) | instid1(VALU_DEP_1)
	v_lshlrev_b64 v[12:13], v14, v[6:7]
	v_min_u32_e32 v12, 1, v12
	s_delay_alu instid0(VALU_DEP_1) | instskip(SKIP_1) | instid1(VALU_DEP_2)
	v_or_b32_e32 v12, v13, v12
	v_sub_nc_u32_e32 v13, 32, v14
	v_cvt_f32_i32_e32 v12, v12
	s_delay_alu instid0(VALU_DEP_1) | instskip(NEXT) | instid1(VALU_DEP_1)
	v_ldexp_f32 v12, v12, v13
	v_bfe_u32 v13, v12, 16, 1
	s_delay_alu instid0(VALU_DEP_1) | instskip(NEXT) | instid1(VALU_DEP_1)
	v_add3_u32 v12, v12, v13, 0x7fff
	v_lshrrev_b32_e32 v12, 16, v12
	global_store_b32 v[2:3], v12, off
.LBB39_1797:
	s_and_b32 vcc_lo, exec_lo, s6
	s_cbranch_vccz .LBB39_1802
; %bb.1798:
	v_cmp_eq_u16_e32 vcc_lo, 44, v16
	s_mov_b32 s0, -1
	s_cbranch_vccz .LBB39_1802
; %bb.1799:
	v_xor_b32_e32 v12, v6, v7
	v_cls_i32_e32 v13, v7
	s_mov_b32 s3, -1
	s_mov_b32 s6, exec_lo
	s_delay_alu instid0(VALU_DEP_2) | instskip(NEXT) | instid1(VALU_DEP_2)
	v_ashrrev_i32_e32 v12, 31, v12
	v_add_nc_u32_e32 v13, -1, v13
	s_delay_alu instid0(VALU_DEP_2) | instskip(NEXT) | instid1(VALU_DEP_1)
	v_add_nc_u32_e32 v12, 32, v12
	v_min_u32_e32 v14, v13, v12
	s_delay_alu instid0(VALU_DEP_1) | instskip(NEXT) | instid1(VALU_DEP_1)
	v_lshlrev_b64 v[12:13], v14, v[6:7]
	v_min_u32_e32 v12, 1, v12
	s_delay_alu instid0(VALU_DEP_1) | instskip(SKIP_1) | instid1(VALU_DEP_2)
	v_or_b32_e32 v12, v13, v12
	v_sub_nc_u32_e32 v13, 32, v14
	v_cvt_f32_i32_e32 v12, v12
	s_delay_alu instid0(VALU_DEP_1) | instskip(SKIP_1) | instid1(VALU_DEP_2)
	v_ldexp_f32 v12, v12, v13
	v_mov_b32_e32 v13, 0xff
	v_bfe_u32 v14, v12, 23, 8
	s_delay_alu instid0(VALU_DEP_1)
	v_cmpx_ne_u32_e32 0xff, v14
; %bb.1800:
	v_and_b32_e32 v13, 0x400000, v12
	v_and_or_b32 v14, 0x3fffff, v12, v14
	v_lshrrev_b32_e32 v12, 23, v12
	s_delay_alu instid0(VALU_DEP_3) | instskip(NEXT) | instid1(VALU_DEP_3)
	v_cmp_ne_u32_e32 vcc_lo, 0, v13
	v_cmp_ne_u32_e64 s0, 0, v14
	s_delay_alu instid0(VALU_DEP_1) | instskip(NEXT) | instid1(SALU_CYCLE_1)
	s_and_b32 s0, vcc_lo, s0
	v_cndmask_b32_e64 v13, 0, 1, s0
	s_delay_alu instid0(VALU_DEP_1)
	v_add_nc_u32_e32 v13, v12, v13
; %bb.1801:
	s_or_b32 exec_lo, exec_lo, s6
	s_mov_b32 s0, 0
	global_store_b8 v[2:3], v13, off
.LBB39_1802:
	s_mov_b32 s6, 0
.LBB39_1803:
	s_delay_alu instid0(SALU_CYCLE_1)
	s_and_b32 vcc_lo, exec_lo, s6
	s_cbranch_vccz .LBB39_1806
; %bb.1804:
	v_cmp_eq_u16_e32 vcc_lo, 29, v16
	s_mov_b32 s0, -1
	s_cbranch_vccz .LBB39_1806
; %bb.1805:
	s_mov_b32 s0, 0
	s_mov_b32 s3, -1
	global_store_b64 v[2:3], v[6:7], off
.LBB39_1806:
	s_mov_b32 s6, 0
.LBB39_1807:
	s_delay_alu instid0(SALU_CYCLE_1)
	s_and_b32 vcc_lo, exec_lo, s6
	s_cbranch_vccz .LBB39_1823
; %bb.1808:
	v_cmp_gt_i16_e32 vcc_lo, 27, v16
	s_mov_b32 s3, -1
	s_cbranch_vccnz .LBB39_1814
; %bb.1809:
	v_cmp_lt_i16_e32 vcc_lo, 27, v16
	s_cbranch_vccz .LBB39_1811
; %bb.1810:
	s_mov_b32 s3, 0
	global_store_b32 v[2:3], v6, off
.LBB39_1811:
	s_and_not1_b32 vcc_lo, exec_lo, s3
	s_cbranch_vccnz .LBB39_1813
; %bb.1812:
	global_store_b16 v[2:3], v6, off
.LBB39_1813:
	s_mov_b32 s3, 0
.LBB39_1814:
	s_delay_alu instid0(SALU_CYCLE_1)
	s_and_not1_b32 vcc_lo, exec_lo, s3
	s_cbranch_vccnz .LBB39_1822
; %bb.1815:
	v_xor_b32_e32 v12, v6, v7
	v_cls_i32_e32 v13, v7
	s_mov_b32 s3, exec_lo
	s_delay_alu instid0(VALU_DEP_2) | instskip(NEXT) | instid1(VALU_DEP_2)
	v_ashrrev_i32_e32 v12, 31, v12
	v_add_nc_u32_e32 v13, -1, v13
	s_delay_alu instid0(VALU_DEP_2) | instskip(NEXT) | instid1(VALU_DEP_1)
	v_add_nc_u32_e32 v12, 32, v12
	v_min_u32_e32 v14, v13, v12
	s_delay_alu instid0(VALU_DEP_1) | instskip(NEXT) | instid1(VALU_DEP_1)
	v_lshlrev_b64 v[12:13], v14, v[6:7]
	v_min_u32_e32 v12, 1, v12
	s_delay_alu instid0(VALU_DEP_1) | instskip(SKIP_2) | instid1(VALU_DEP_3)
	v_or_b32_e32 v12, v13, v12
	v_sub_nc_u32_e32 v13, 32, v14
	v_mov_b32_e32 v14, 0x80
	v_cvt_f32_i32_e32 v12, v12
	s_delay_alu instid0(VALU_DEP_1) | instskip(NEXT) | instid1(VALU_DEP_1)
	v_ldexp_f32 v12, v12, v13
	v_and_b32_e32 v13, 0x7fffffff, v12
	s_delay_alu instid0(VALU_DEP_1)
	v_cmpx_gt_u32_e32 0x43800000, v13
	s_cbranch_execz .LBB39_1821
; %bb.1816:
	v_cmp_lt_u32_e32 vcc_lo, 0x3bffffff, v13
	s_mov_b32 s6, 0
                                        ; implicit-def: $vgpr13
	s_and_saveexec_b32 s7, vcc_lo
	s_delay_alu instid0(SALU_CYCLE_1)
	s_xor_b32 s7, exec_lo, s7
	s_cbranch_execz .LBB39_2113
; %bb.1817:
	v_bfe_u32 v13, v12, 20, 1
	s_mov_b32 s6, exec_lo
	s_delay_alu instid0(VALU_DEP_1) | instskip(NEXT) | instid1(VALU_DEP_1)
	v_add3_u32 v13, v12, v13, 0x487ffff
	v_lshrrev_b32_e32 v13, 20, v13
	s_or_saveexec_b32 s7, s7
                                        ; implicit-def: $sgpr10
	s_delay_alu instid0(SALU_CYCLE_1)
	s_xor_b32 exec_lo, exec_lo, s7
	s_cbranch_execnz .LBB39_2114
.LBB39_1818:
	s_or_b32 exec_lo, exec_lo, s7
	v_mov_b32_e32 v14, s10
	s_and_saveexec_b32 s7, s6
.LBB39_1819:
	v_lshrrev_b32_e32 v12, 24, v12
	s_delay_alu instid0(VALU_DEP_1)
	v_and_or_b32 v14, 0x80, v12, v13
.LBB39_1820:
	s_or_b32 exec_lo, exec_lo, s7
.LBB39_1821:
	s_delay_alu instid0(SALU_CYCLE_1)
	s_or_b32 exec_lo, exec_lo, s3
	global_store_b8 v[2:3], v14, off
.LBB39_1822:
	s_mov_b32 s3, -1
.LBB39_1823:
	s_mov_b32 s6, 0
.LBB39_1824:
	s_delay_alu instid0(SALU_CYCLE_1)
	s_and_b32 vcc_lo, exec_lo, s6
	s_cbranch_vccz .LBB39_1864
; %bb.1825:
	v_cmp_lt_i16_e32 vcc_lo, 22, v16
	s_mov_b32 s1, -1
	s_cbranch_vccz .LBB39_1857
; %bb.1826:
	v_cmp_gt_i16_e32 vcc_lo, 24, v16
	s_cbranch_vccnz .LBB39_1846
; %bb.1827:
	v_cmp_lt_i16_e32 vcc_lo, 24, v16
	s_cbranch_vccz .LBB39_1835
; %bb.1828:
	v_xor_b32_e32 v12, v6, v7
	v_cls_i32_e32 v13, v7
	s_mov_b32 s1, exec_lo
	s_delay_alu instid0(VALU_DEP_2) | instskip(NEXT) | instid1(VALU_DEP_2)
	v_ashrrev_i32_e32 v12, 31, v12
	v_add_nc_u32_e32 v13, -1, v13
	s_delay_alu instid0(VALU_DEP_2) | instskip(NEXT) | instid1(VALU_DEP_1)
	v_add_nc_u32_e32 v12, 32, v12
	v_min_u32_e32 v14, v13, v12
	s_delay_alu instid0(VALU_DEP_1) | instskip(NEXT) | instid1(VALU_DEP_1)
	v_lshlrev_b64 v[12:13], v14, v[6:7]
	v_min_u32_e32 v12, 1, v12
	s_delay_alu instid0(VALU_DEP_1) | instskip(SKIP_2) | instid1(VALU_DEP_3)
	v_or_b32_e32 v12, v13, v12
	v_sub_nc_u32_e32 v13, 32, v14
	v_mov_b32_e32 v14, 0x80
	v_cvt_f32_i32_e32 v12, v12
	s_delay_alu instid0(VALU_DEP_1) | instskip(NEXT) | instid1(VALU_DEP_1)
	v_ldexp_f32 v12, v12, v13
	v_and_b32_e32 v13, 0x7fffffff, v12
	s_delay_alu instid0(VALU_DEP_1)
	v_cmpx_gt_u32_e32 0x47800000, v13
	s_cbranch_execz .LBB39_1834
; %bb.1829:
	v_cmp_lt_u32_e32 vcc_lo, 0x37ffffff, v13
	s_mov_b32 s3, 0
                                        ; implicit-def: $vgpr13
	s_and_saveexec_b32 s6, vcc_lo
	s_delay_alu instid0(SALU_CYCLE_1)
	s_xor_b32 s6, exec_lo, s6
	s_cbranch_execz .LBB39_2119
; %bb.1830:
	v_bfe_u32 v13, v12, 21, 1
	s_mov_b32 s3, exec_lo
	s_delay_alu instid0(VALU_DEP_1) | instskip(NEXT) | instid1(VALU_DEP_1)
	v_add3_u32 v13, v12, v13, 0x88fffff
	v_lshrrev_b32_e32 v13, 21, v13
	s_or_saveexec_b32 s6, s6
                                        ; implicit-def: $sgpr7
	s_delay_alu instid0(SALU_CYCLE_1)
	s_xor_b32 exec_lo, exec_lo, s6
	s_cbranch_execnz .LBB39_2120
.LBB39_1831:
	s_or_b32 exec_lo, exec_lo, s6
	v_mov_b32_e32 v14, s7
	s_and_saveexec_b32 s6, s3
.LBB39_1832:
	v_lshrrev_b32_e32 v12, 24, v12
	s_delay_alu instid0(VALU_DEP_1)
	v_and_or_b32 v14, 0x80, v12, v13
.LBB39_1833:
	s_or_b32 exec_lo, exec_lo, s6
.LBB39_1834:
	s_delay_alu instid0(SALU_CYCLE_1)
	s_or_b32 exec_lo, exec_lo, s1
	s_mov_b32 s1, 0
	global_store_b8 v[2:3], v14, off
.LBB39_1835:
	s_and_b32 vcc_lo, exec_lo, s1
	s_cbranch_vccz .LBB39_1845
; %bb.1836:
	v_xor_b32_e32 v12, v6, v7
	v_cls_i32_e32 v13, v7
	s_mov_b32 s1, exec_lo
	s_delay_alu instid0(VALU_DEP_2) | instskip(NEXT) | instid1(VALU_DEP_2)
	v_ashrrev_i32_e32 v12, 31, v12
	v_add_nc_u32_e32 v13, -1, v13
	s_delay_alu instid0(VALU_DEP_2) | instskip(NEXT) | instid1(VALU_DEP_1)
	v_add_nc_u32_e32 v12, 32, v12
	v_min_u32_e32 v14, v13, v12
	s_delay_alu instid0(VALU_DEP_1) | instskip(NEXT) | instid1(VALU_DEP_1)
	v_lshlrev_b64 v[12:13], v14, v[6:7]
	v_min_u32_e32 v12, 1, v12
	s_delay_alu instid0(VALU_DEP_1) | instskip(SKIP_1) | instid1(VALU_DEP_2)
	v_or_b32_e32 v12, v13, v12
	v_sub_nc_u32_e32 v13, 32, v14
	v_cvt_f32_i32_e32 v12, v12
	s_delay_alu instid0(VALU_DEP_1) | instskip(NEXT) | instid1(VALU_DEP_1)
	v_ldexp_f32 v12, v12, v13
                                        ; implicit-def: $vgpr13
	v_and_b32_e32 v14, 0x7fffffff, v12
	s_delay_alu instid0(VALU_DEP_1)
	v_cmpx_gt_u32_e32 0x43f00000, v14
	s_xor_b32 s1, exec_lo, s1
	s_cbranch_execz .LBB39_1842
; %bb.1837:
	s_mov_b32 s3, exec_lo
                                        ; implicit-def: $vgpr13
	v_cmpx_lt_u32_e32 0x3c7fffff, v14
	s_xor_b32 s3, exec_lo, s3
; %bb.1838:
	v_bfe_u32 v13, v12, 20, 1
	s_delay_alu instid0(VALU_DEP_1) | instskip(NEXT) | instid1(VALU_DEP_1)
	v_add3_u32 v13, v12, v13, 0x407ffff
	v_and_b32_e32 v14, 0xff00000, v13
	v_lshrrev_b32_e32 v13, 20, v13
	s_delay_alu instid0(VALU_DEP_2) | instskip(NEXT) | instid1(VALU_DEP_2)
	v_cmp_ne_u32_e32 vcc_lo, 0x7f00000, v14
	v_cndmask_b32_e32 v13, 0x7e, v13, vcc_lo
; %bb.1839:
	s_and_not1_saveexec_b32 s3, s3
; %bb.1840:
	v_add_f32_e64 v13, 0x46800000, |v12|
; %bb.1841:
	s_or_b32 exec_lo, exec_lo, s3
                                        ; implicit-def: $vgpr14
.LBB39_1842:
	s_and_not1_saveexec_b32 s1, s1
; %bb.1843:
	v_mov_b32_e32 v13, 0x7f
	v_cmp_lt_u32_e32 vcc_lo, 0x7f800000, v14
	s_delay_alu instid0(VALU_DEP_2)
	v_cndmask_b32_e32 v13, 0x7e, v13, vcc_lo
; %bb.1844:
	s_or_b32 exec_lo, exec_lo, s1
	v_lshrrev_b32_e32 v12, 24, v12
	s_delay_alu instid0(VALU_DEP_1)
	v_and_or_b32 v12, 0x80, v12, v13
	global_store_b8 v[2:3], v12, off
.LBB39_1845:
	s_mov_b32 s1, 0
.LBB39_1846:
	s_delay_alu instid0(SALU_CYCLE_1)
	s_and_not1_b32 vcc_lo, exec_lo, s1
	s_cbranch_vccnz .LBB39_1856
; %bb.1847:
	v_xor_b32_e32 v12, v6, v7
	v_cls_i32_e32 v13, v7
	s_mov_b32 s1, exec_lo
	s_delay_alu instid0(VALU_DEP_2) | instskip(NEXT) | instid1(VALU_DEP_2)
	v_ashrrev_i32_e32 v12, 31, v12
	v_add_nc_u32_e32 v13, -1, v13
	s_delay_alu instid0(VALU_DEP_2) | instskip(NEXT) | instid1(VALU_DEP_1)
	v_add_nc_u32_e32 v12, 32, v12
	v_min_u32_e32 v14, v13, v12
	s_delay_alu instid0(VALU_DEP_1) | instskip(NEXT) | instid1(VALU_DEP_1)
	v_lshlrev_b64 v[12:13], v14, v[6:7]
	v_min_u32_e32 v12, 1, v12
	s_delay_alu instid0(VALU_DEP_1) | instskip(SKIP_1) | instid1(VALU_DEP_2)
	v_or_b32_e32 v12, v13, v12
	v_sub_nc_u32_e32 v13, 32, v14
	v_cvt_f32_i32_e32 v12, v12
	s_delay_alu instid0(VALU_DEP_1) | instskip(NEXT) | instid1(VALU_DEP_1)
	v_ldexp_f32 v12, v12, v13
                                        ; implicit-def: $vgpr13
	v_and_b32_e32 v14, 0x7fffffff, v12
	s_delay_alu instid0(VALU_DEP_1)
	v_cmpx_gt_u32_e32 0x47800000, v14
	s_xor_b32 s1, exec_lo, s1
	s_cbranch_execz .LBB39_1853
; %bb.1848:
	s_mov_b32 s3, exec_lo
                                        ; implicit-def: $vgpr13
	v_cmpx_lt_u32_e32 0x387fffff, v14
	s_xor_b32 s3, exec_lo, s3
; %bb.1849:
	v_bfe_u32 v13, v12, 21, 1
	s_delay_alu instid0(VALU_DEP_1) | instskip(NEXT) | instid1(VALU_DEP_1)
	v_add3_u32 v13, v12, v13, 0x80fffff
	v_lshrrev_b32_e32 v13, 21, v13
; %bb.1850:
	s_and_not1_saveexec_b32 s3, s3
; %bb.1851:
	v_add_f32_e64 v13, 0x43000000, |v12|
; %bb.1852:
	s_or_b32 exec_lo, exec_lo, s3
                                        ; implicit-def: $vgpr14
.LBB39_1853:
	s_and_not1_saveexec_b32 s1, s1
; %bb.1854:
	v_mov_b32_e32 v13, 0x7f
	v_cmp_lt_u32_e32 vcc_lo, 0x7f800000, v14
	s_delay_alu instid0(VALU_DEP_2)
	v_cndmask_b32_e32 v13, 0x7c, v13, vcc_lo
; %bb.1855:
	s_or_b32 exec_lo, exec_lo, s1
	v_lshrrev_b32_e32 v12, 24, v12
	s_delay_alu instid0(VALU_DEP_1)
	v_and_or_b32 v12, 0x80, v12, v13
	global_store_b8 v[2:3], v12, off
.LBB39_1856:
	s_mov_b32 s1, 0
	s_mov_b32 s3, -1
.LBB39_1857:
	s_and_not1_b32 vcc_lo, exec_lo, s1
	s_mov_b32 s1, 0
	s_cbranch_vccnz .LBB39_1864
; %bb.1858:
	v_cmp_lt_i16_e32 vcc_lo, 14, v16
	s_mov_b32 s1, -1
	s_cbranch_vccz .LBB39_1862
; %bb.1859:
	v_cmp_eq_u16_e32 vcc_lo, 15, v16
	s_mov_b32 s0, -1
	s_cbranch_vccz .LBB39_1861
; %bb.1860:
	v_xor_b32_e32 v12, v6, v7
	v_cls_i32_e32 v13, v7
	s_mov_b32 s3, -1
	s_mov_b32 s0, 0
	s_delay_alu instid0(VALU_DEP_2) | instskip(NEXT) | instid1(VALU_DEP_2)
	v_ashrrev_i32_e32 v12, 31, v12
	v_add_nc_u32_e32 v13, -1, v13
	s_delay_alu instid0(VALU_DEP_2) | instskip(NEXT) | instid1(VALU_DEP_1)
	v_add_nc_u32_e32 v12, 32, v12
	v_min_u32_e32 v14, v13, v12
	s_delay_alu instid0(VALU_DEP_1) | instskip(NEXT) | instid1(VALU_DEP_1)
	v_lshlrev_b64 v[12:13], v14, v[6:7]
	v_min_u32_e32 v12, 1, v12
	s_delay_alu instid0(VALU_DEP_1) | instskip(SKIP_1) | instid1(VALU_DEP_2)
	v_or_b32_e32 v12, v13, v12
	v_sub_nc_u32_e32 v13, 32, v14
	v_cvt_f32_i32_e32 v12, v12
	s_delay_alu instid0(VALU_DEP_1) | instskip(NEXT) | instid1(VALU_DEP_1)
	v_ldexp_f32 v12, v12, v13
	v_bfe_u32 v13, v12, 16, 1
	s_delay_alu instid0(VALU_DEP_1)
	v_add3_u32 v12, v12, v13, 0x7fff
	global_store_d16_hi_b16 v[2:3], v12, off
.LBB39_1861:
	s_mov_b32 s1, 0
.LBB39_1862:
	s_delay_alu instid0(SALU_CYCLE_1)
	s_and_b32 vcc_lo, exec_lo, s1
	s_mov_b32 s1, 0
	s_cbranch_vccz .LBB39_1864
; %bb.1863:
	v_cmp_ne_u16_e64 s0, 11, v16
	s_mov_b32 s1, -1
.LBB39_1864:
	s_delay_alu instid0(VALU_DEP_1)
	s_and_b32 vcc_lo, exec_lo, s0
	s_cbranch_vccnz .LBB39_2117
; %bb.1865:
	s_and_not1_b32 vcc_lo, exec_lo, s1
	s_cbranch_vccnz .LBB39_1867
.LBB39_1866:
	v_cmp_ne_u64_e32 vcc_lo, -1, v[8:9]
	s_mov_b32 s3, -1
	v_cndmask_b32_e64 v8, 0, 1, vcc_lo
	global_store_b8 v[2:3], v8, off
.LBB39_1867:
	s_mov_b32 s0, 0
.LBB39_1868:
	s_delay_alu instid0(SALU_CYCLE_1)
	s_and_b32 vcc_lo, exec_lo, s0
	s_cbranch_vccz .LBB39_1907
; %bb.1869:
	v_cmp_gt_i16_e32 vcc_lo, 5, v16
	s_mov_b32 s0, -1
	s_cbranch_vccnz .LBB39_1890
; %bb.1870:
	v_cmp_gt_i16_e32 vcc_lo, 8, v16
	s_cbranch_vccnz .LBB39_1880
; %bb.1871:
	v_cmp_gt_i16_e32 vcc_lo, 9, v16
	s_cbranch_vccnz .LBB39_1877
; %bb.1872:
	v_cmp_lt_i16_e32 vcc_lo, 9, v16
	s_cbranch_vccz .LBB39_1874
; %bb.1873:
	v_cvt_f64_i32_e32 v[8:9], v7
	v_cvt_f64_u32_e32 v[12:13], v6
	v_mov_b32_e32 v14, 0
	s_mov_b32 s0, 0
	s_delay_alu instid0(VALU_DEP_1) | instskip(NEXT) | instid1(VALU_DEP_4)
	v_mov_b32_e32 v15, v14
	v_ldexp_f64 v[8:9], v[8:9], 32
	s_delay_alu instid0(VALU_DEP_1)
	v_add_f64 v[12:13], v[8:9], v[12:13]
	global_store_b128 v[2:3], v[12:15], off
.LBB39_1874:
	s_and_not1_b32 vcc_lo, exec_lo, s0
	s_cbranch_vccnz .LBB39_1876
; %bb.1875:
	v_xor_b32_e32 v8, v6, v7
	v_cls_i32_e32 v9, v7
	s_delay_alu instid0(VALU_DEP_2) | instskip(NEXT) | instid1(VALU_DEP_2)
	v_ashrrev_i32_e32 v8, 31, v8
	v_add_nc_u32_e32 v9, -1, v9
	s_delay_alu instid0(VALU_DEP_2) | instskip(NEXT) | instid1(VALU_DEP_1)
	v_add_nc_u32_e32 v8, 32, v8
	v_min_u32_e32 v12, v9, v8
	s_delay_alu instid0(VALU_DEP_1) | instskip(NEXT) | instid1(VALU_DEP_1)
	v_lshlrev_b64 v[8:9], v12, v[6:7]
	v_min_u32_e32 v8, 1, v8
	s_delay_alu instid0(VALU_DEP_1) | instskip(SKIP_1) | instid1(VALU_DEP_2)
	v_or_b32_e32 v8, v9, v8
	v_sub_nc_u32_e32 v9, 32, v12
	v_cvt_f32_i32_e32 v8, v8
	s_delay_alu instid0(VALU_DEP_1)
	v_ldexp_f32 v8, v8, v9
	v_mov_b32_e32 v9, 0
	global_store_b64 v[2:3], v[8:9], off
.LBB39_1876:
	s_mov_b32 s0, 0
.LBB39_1877:
	s_delay_alu instid0(SALU_CYCLE_1)
	s_and_not1_b32 vcc_lo, exec_lo, s0
	s_cbranch_vccnz .LBB39_1879
; %bb.1878:
	v_xor_b32_e32 v8, v6, v7
	v_cls_i32_e32 v9, v7
	s_delay_alu instid0(VALU_DEP_2) | instskip(NEXT) | instid1(VALU_DEP_2)
	v_ashrrev_i32_e32 v8, 31, v8
	v_add_nc_u32_e32 v9, -1, v9
	s_delay_alu instid0(VALU_DEP_2) | instskip(NEXT) | instid1(VALU_DEP_1)
	v_add_nc_u32_e32 v8, 32, v8
	v_min_u32_e32 v12, v9, v8
	s_delay_alu instid0(VALU_DEP_1) | instskip(NEXT) | instid1(VALU_DEP_1)
	v_lshlrev_b64 v[8:9], v12, v[6:7]
	v_min_u32_e32 v8, 1, v8
	s_delay_alu instid0(VALU_DEP_1) | instskip(SKIP_1) | instid1(VALU_DEP_2)
	v_or_b32_e32 v8, v9, v8
	v_sub_nc_u32_e32 v9, 32, v12
	v_cvt_f32_i32_e32 v8, v8
	s_delay_alu instid0(VALU_DEP_1) | instskip(NEXT) | instid1(VALU_DEP_1)
	v_ldexp_f32 v8, v8, v9
	v_cvt_f16_f32_e32 v8, v8
	s_delay_alu instid0(VALU_DEP_1)
	v_and_b32_e32 v8, 0xffff, v8
	global_store_b32 v[2:3], v8, off
.LBB39_1879:
	s_mov_b32 s0, 0
.LBB39_1880:
	s_delay_alu instid0(SALU_CYCLE_1)
	s_and_not1_b32 vcc_lo, exec_lo, s0
	s_cbranch_vccnz .LBB39_1889
; %bb.1881:
	v_cmp_gt_i16_e32 vcc_lo, 6, v16
	s_mov_b32 s0, -1
	s_cbranch_vccnz .LBB39_1887
; %bb.1882:
	v_cmp_lt_i16_e32 vcc_lo, 6, v16
	s_cbranch_vccz .LBB39_1884
; %bb.1883:
	v_cvt_f64_i32_e32 v[8:9], v7
	v_cvt_f64_u32_e32 v[12:13], v6
	s_mov_b32 s0, 0
	s_delay_alu instid0(VALU_DEP_2) | instskip(NEXT) | instid1(VALU_DEP_1)
	v_ldexp_f64 v[8:9], v[8:9], 32
	v_add_f64 v[8:9], v[8:9], v[12:13]
	global_store_b64 v[2:3], v[8:9], off
.LBB39_1884:
	s_and_not1_b32 vcc_lo, exec_lo, s0
	s_cbranch_vccnz .LBB39_1886
; %bb.1885:
	v_xor_b32_e32 v8, v6, v7
	v_cls_i32_e32 v9, v7
	s_delay_alu instid0(VALU_DEP_2) | instskip(NEXT) | instid1(VALU_DEP_2)
	v_ashrrev_i32_e32 v8, 31, v8
	v_add_nc_u32_e32 v9, -1, v9
	s_delay_alu instid0(VALU_DEP_2) | instskip(NEXT) | instid1(VALU_DEP_1)
	v_add_nc_u32_e32 v8, 32, v8
	v_min_u32_e32 v12, v9, v8
	s_delay_alu instid0(VALU_DEP_1) | instskip(NEXT) | instid1(VALU_DEP_1)
	v_lshlrev_b64 v[8:9], v12, v[6:7]
	v_min_u32_e32 v8, 1, v8
	s_delay_alu instid0(VALU_DEP_1) | instskip(SKIP_1) | instid1(VALU_DEP_2)
	v_or_b32_e32 v8, v9, v8
	v_sub_nc_u32_e32 v9, 32, v12
	v_cvt_f32_i32_e32 v8, v8
	s_delay_alu instid0(VALU_DEP_1)
	v_ldexp_f32 v8, v8, v9
	global_store_b32 v[2:3], v8, off
.LBB39_1886:
	s_mov_b32 s0, 0
.LBB39_1887:
	s_delay_alu instid0(SALU_CYCLE_1)
	s_and_not1_b32 vcc_lo, exec_lo, s0
	s_cbranch_vccnz .LBB39_1889
; %bb.1888:
	v_xor_b32_e32 v8, v6, v7
	v_cls_i32_e32 v9, v7
	s_delay_alu instid0(VALU_DEP_2) | instskip(NEXT) | instid1(VALU_DEP_2)
	v_ashrrev_i32_e32 v8, 31, v8
	v_add_nc_u32_e32 v9, -1, v9
	s_delay_alu instid0(VALU_DEP_2) | instskip(NEXT) | instid1(VALU_DEP_1)
	v_add_nc_u32_e32 v8, 32, v8
	v_min_u32_e32 v12, v9, v8
	s_delay_alu instid0(VALU_DEP_1) | instskip(NEXT) | instid1(VALU_DEP_1)
	v_lshlrev_b64 v[8:9], v12, v[6:7]
	v_min_u32_e32 v8, 1, v8
	s_delay_alu instid0(VALU_DEP_1) | instskip(SKIP_1) | instid1(VALU_DEP_2)
	v_or_b32_e32 v8, v9, v8
	v_sub_nc_u32_e32 v9, 32, v12
	v_cvt_f32_i32_e32 v8, v8
	s_delay_alu instid0(VALU_DEP_1) | instskip(NEXT) | instid1(VALU_DEP_1)
	v_ldexp_f32 v8, v8, v9
	v_cvt_f16_f32_e32 v8, v8
	global_store_b16 v[2:3], v8, off
.LBB39_1889:
	s_mov_b32 s0, 0
.LBB39_1890:
	s_delay_alu instid0(SALU_CYCLE_1)
	s_and_not1_b32 vcc_lo, exec_lo, s0
	s_cbranch_vccnz .LBB39_1906
; %bb.1891:
	v_cmp_gt_i16_e32 vcc_lo, 2, v16
	s_mov_b32 s0, -1
	s_cbranch_vccnz .LBB39_1901
; %bb.1892:
	v_cmp_gt_i16_e32 vcc_lo, 3, v16
	s_cbranch_vccnz .LBB39_1898
; %bb.1893:
	v_cmp_lt_i16_e32 vcc_lo, 3, v16
	s_cbranch_vccz .LBB39_1895
; %bb.1894:
	s_mov_b32 s0, 0
	global_store_b64 v[2:3], v[6:7], off
.LBB39_1895:
	s_and_not1_b32 vcc_lo, exec_lo, s0
	s_cbranch_vccnz .LBB39_1897
; %bb.1896:
	global_store_b32 v[2:3], v6, off
.LBB39_1897:
	s_mov_b32 s0, 0
.LBB39_1898:
	s_delay_alu instid0(SALU_CYCLE_1)
	s_and_not1_b32 vcc_lo, exec_lo, s0
	s_cbranch_vccnz .LBB39_1900
; %bb.1899:
	global_store_b16 v[2:3], v6, off
.LBB39_1900:
	s_mov_b32 s0, 0
.LBB39_1901:
	s_delay_alu instid0(SALU_CYCLE_1)
	s_and_not1_b32 vcc_lo, exec_lo, s0
	s_cbranch_vccnz .LBB39_1906
; %bb.1902:
	v_cmp_lt_i16_e32 vcc_lo, 0, v16
	s_mov_b32 s0, -1
	s_cbranch_vccz .LBB39_1904
; %bb.1903:
	s_mov_b32 s0, 0
	global_store_b8 v[2:3], v6, off
.LBB39_1904:
	s_and_not1_b32 vcc_lo, exec_lo, s0
	s_cbranch_vccnz .LBB39_1906
; %bb.1905:
	global_store_b8 v[2:3], v6, off
.LBB39_1906:
	s_mov_b32 s3, -1
.LBB39_1907:
	s_delay_alu instid0(SALU_CYCLE_1)
	s_and_not1_b32 vcc_lo, exec_lo, s3
	s_cbranch_vccnz .LBB39_2102
; %bb.1908:
	v_cmp_gt_i16_e32 vcc_lo, 11, v16
	v_add_co_u32 v6, s0, s4, v1
	v_not_b32_e32 v3, v11
	v_not_b32_e32 v2, v10
	v_add_co_ci_u32_e64 v7, null, s5, 0, s0
	s_mov_b32 s3, 0
	s_mov_b32 s0, -1
	s_cbranch_vccnz .LBB39_1986
; %bb.1909:
	v_cmp_lt_i16_e32 vcc_lo, 25, v16
	s_mov_b32 s6, -1
	s_mov_b32 s1, 0
	s_mov_b32 s0, 0
	s_cbranch_vccz .LBB39_1942
; %bb.1910:
	v_cmp_lt_i16_e32 vcc_lo, 28, v16
	s_cbranch_vccz .LBB39_1925
; %bb.1911:
	v_cmp_lt_i16_e32 vcc_lo, 43, v16
	;; [unrolled: 3-line block ×3, first 2 shown]
	s_cbranch_vccz .LBB39_1915
; %bb.1913:
	v_cmp_eq_u16_e32 vcc_lo, 46, v16
	s_mov_b32 s0, -1
	s_mov_b32 s6, 0
	s_cbranch_vccz .LBB39_1915
; %bb.1914:
	v_xor_b32_e32 v1, v2, v3
	v_cls_i32_e32 v8, v3
	s_mov_b32 s3, -1
	s_mov_b32 s0, 0
	s_delay_alu instid0(VALU_DEP_2) | instskip(NEXT) | instid1(VALU_DEP_2)
	v_ashrrev_i32_e32 v1, 31, v1
	v_add_nc_u32_e32 v8, -1, v8
	s_delay_alu instid0(VALU_DEP_2) | instskip(NEXT) | instid1(VALU_DEP_1)
	v_add_nc_u32_e32 v1, 32, v1
	v_min_u32_e32 v1, v8, v1
	s_delay_alu instid0(VALU_DEP_1) | instskip(SKIP_1) | instid1(VALU_DEP_2)
	v_lshlrev_b64 v[8:9], v1, v[2:3]
	v_sub_nc_u32_e32 v1, 32, v1
	v_min_u32_e32 v8, 1, v8
	s_delay_alu instid0(VALU_DEP_1) | instskip(NEXT) | instid1(VALU_DEP_1)
	v_or_b32_e32 v8, v9, v8
	v_cvt_f32_i32_e32 v8, v8
	s_delay_alu instid0(VALU_DEP_1) | instskip(NEXT) | instid1(VALU_DEP_1)
	v_ldexp_f32 v1, v8, v1
	v_bfe_u32 v8, v1, 16, 1
	s_delay_alu instid0(VALU_DEP_1) | instskip(NEXT) | instid1(VALU_DEP_1)
	v_add3_u32 v1, v1, v8, 0x7fff
	v_lshrrev_b32_e32 v1, 16, v1
	global_store_b32 v[6:7], v1, off
.LBB39_1915:
	s_and_b32 vcc_lo, exec_lo, s6
	s_cbranch_vccz .LBB39_1920
; %bb.1916:
	v_cmp_eq_u16_e32 vcc_lo, 44, v16
	s_mov_b32 s0, -1
	s_cbranch_vccz .LBB39_1920
; %bb.1917:
	v_xor_b32_e32 v1, v2, v3
	v_cls_i32_e32 v8, v3
	s_mov_b32 s3, -1
	s_mov_b32 s6, exec_lo
	s_delay_alu instid0(VALU_DEP_2) | instskip(NEXT) | instid1(VALU_DEP_2)
	v_ashrrev_i32_e32 v1, 31, v1
	v_add_nc_u32_e32 v8, -1, v8
	s_delay_alu instid0(VALU_DEP_2) | instskip(NEXT) | instid1(VALU_DEP_1)
	v_add_nc_u32_e32 v1, 32, v1
	v_min_u32_e32 v1, v8, v1
	s_delay_alu instid0(VALU_DEP_1) | instskip(SKIP_1) | instid1(VALU_DEP_2)
	v_lshlrev_b64 v[8:9], v1, v[2:3]
	v_sub_nc_u32_e32 v1, 32, v1
	v_min_u32_e32 v8, 1, v8
	s_delay_alu instid0(VALU_DEP_1) | instskip(NEXT) | instid1(VALU_DEP_1)
	v_or_b32_e32 v8, v9, v8
	v_cvt_f32_i32_e32 v8, v8
	s_delay_alu instid0(VALU_DEP_1) | instskip(SKIP_1) | instid1(VALU_DEP_2)
	v_ldexp_f32 v1, v8, v1
	v_mov_b32_e32 v8, 0xff
	v_bfe_u32 v9, v1, 23, 8
	s_delay_alu instid0(VALU_DEP_1)
	v_cmpx_ne_u32_e32 0xff, v9
; %bb.1918:
	v_and_b32_e32 v8, 0x400000, v1
	v_and_or_b32 v9, 0x3fffff, v1, v9
	v_lshrrev_b32_e32 v1, 23, v1
	s_delay_alu instid0(VALU_DEP_3) | instskip(NEXT) | instid1(VALU_DEP_3)
	v_cmp_ne_u32_e32 vcc_lo, 0, v8
	v_cmp_ne_u32_e64 s0, 0, v9
	s_delay_alu instid0(VALU_DEP_1) | instskip(NEXT) | instid1(SALU_CYCLE_1)
	s_and_b32 s0, vcc_lo, s0
	v_cndmask_b32_e64 v8, 0, 1, s0
	s_delay_alu instid0(VALU_DEP_1)
	v_add_nc_u32_e32 v8, v1, v8
; %bb.1919:
	s_or_b32 exec_lo, exec_lo, s6
	s_mov_b32 s0, 0
	global_store_b8 v[6:7], v8, off
.LBB39_1920:
	s_mov_b32 s6, 0
.LBB39_1921:
	s_delay_alu instid0(SALU_CYCLE_1)
	s_and_b32 vcc_lo, exec_lo, s6
	s_cbranch_vccz .LBB39_1924
; %bb.1922:
	v_cmp_eq_u16_e32 vcc_lo, 29, v16
	s_mov_b32 s0, -1
	s_cbranch_vccz .LBB39_1924
; %bb.1923:
	s_mov_b32 s0, 0
	s_mov_b32 s3, -1
	global_store_b64 v[6:7], v[2:3], off
.LBB39_1924:
	s_mov_b32 s6, 0
.LBB39_1925:
	s_delay_alu instid0(SALU_CYCLE_1)
	s_and_b32 vcc_lo, exec_lo, s6
	s_cbranch_vccz .LBB39_1941
; %bb.1926:
	v_cmp_gt_i16_e32 vcc_lo, 27, v16
	s_mov_b32 s3, -1
	s_cbranch_vccnz .LBB39_1932
; %bb.1927:
	v_cmp_lt_i16_e32 vcc_lo, 27, v16
	s_cbranch_vccz .LBB39_1929
; %bb.1928:
	s_mov_b32 s3, 0
	global_store_b32 v[6:7], v2, off
.LBB39_1929:
	s_and_not1_b32 vcc_lo, exec_lo, s3
	s_cbranch_vccnz .LBB39_1931
; %bb.1930:
	global_store_b16 v[6:7], v2, off
.LBB39_1931:
	s_mov_b32 s3, 0
.LBB39_1932:
	s_delay_alu instid0(SALU_CYCLE_1)
	s_and_not1_b32 vcc_lo, exec_lo, s3
	s_cbranch_vccnz .LBB39_1940
; %bb.1933:
	v_xor_b32_e32 v1, v2, v3
	v_cls_i32_e32 v8, v3
	s_mov_b32 s3, exec_lo
	s_delay_alu instid0(VALU_DEP_2) | instskip(NEXT) | instid1(VALU_DEP_2)
	v_ashrrev_i32_e32 v1, 31, v1
	v_add_nc_u32_e32 v8, -1, v8
	s_delay_alu instid0(VALU_DEP_2) | instskip(NEXT) | instid1(VALU_DEP_1)
	v_add_nc_u32_e32 v1, 32, v1
	v_min_u32_e32 v1, v8, v1
	s_delay_alu instid0(VALU_DEP_1) | instskip(SKIP_1) | instid1(VALU_DEP_2)
	v_lshlrev_b64 v[8:9], v1, v[2:3]
	v_sub_nc_u32_e32 v1, 32, v1
	v_min_u32_e32 v8, 1, v8
	s_delay_alu instid0(VALU_DEP_1) | instskip(SKIP_1) | instid1(VALU_DEP_2)
	v_or_b32_e32 v8, v9, v8
	v_mov_b32_e32 v9, 0x80
	v_cvt_f32_i32_e32 v8, v8
	s_delay_alu instid0(VALU_DEP_1) | instskip(NEXT) | instid1(VALU_DEP_1)
	v_ldexp_f32 v1, v8, v1
	v_and_b32_e32 v8, 0x7fffffff, v1
	s_delay_alu instid0(VALU_DEP_1)
	v_cmpx_gt_u32_e32 0x43800000, v8
	s_cbranch_execz .LBB39_1939
; %bb.1934:
	v_cmp_lt_u32_e32 vcc_lo, 0x3bffffff, v8
	s_mov_b32 s6, 0
                                        ; implicit-def: $vgpr8
	s_and_saveexec_b32 s7, vcc_lo
	s_delay_alu instid0(SALU_CYCLE_1)
	s_xor_b32 s7, exec_lo, s7
	s_cbranch_execz .LBB39_2121
; %bb.1935:
	v_bfe_u32 v8, v1, 20, 1
	s_mov_b32 s6, exec_lo
	s_delay_alu instid0(VALU_DEP_1) | instskip(NEXT) | instid1(VALU_DEP_1)
	v_add3_u32 v8, v1, v8, 0x487ffff
	v_lshrrev_b32_e32 v8, 20, v8
	s_or_saveexec_b32 s7, s7
                                        ; implicit-def: $sgpr10
	s_delay_alu instid0(SALU_CYCLE_1)
	s_xor_b32 exec_lo, exec_lo, s7
	s_cbranch_execnz .LBB39_2122
.LBB39_1936:
	s_or_b32 exec_lo, exec_lo, s7
	v_mov_b32_e32 v9, s10
	s_and_saveexec_b32 s7, s6
.LBB39_1937:
	v_lshrrev_b32_e32 v1, 24, v1
	s_delay_alu instid0(VALU_DEP_1)
	v_and_or_b32 v9, 0x80, v1, v8
.LBB39_1938:
	s_or_b32 exec_lo, exec_lo, s7
.LBB39_1939:
	s_delay_alu instid0(SALU_CYCLE_1)
	s_or_b32 exec_lo, exec_lo, s3
	global_store_b8 v[6:7], v9, off
.LBB39_1940:
	s_mov_b32 s3, -1
.LBB39_1941:
	s_mov_b32 s6, 0
.LBB39_1942:
	s_delay_alu instid0(SALU_CYCLE_1)
	s_and_b32 vcc_lo, exec_lo, s6
	s_cbranch_vccz .LBB39_1982
; %bb.1943:
	v_cmp_lt_i16_e32 vcc_lo, 22, v16
	s_mov_b32 s1, -1
	s_cbranch_vccz .LBB39_1975
; %bb.1944:
	v_cmp_gt_i16_e32 vcc_lo, 24, v16
	s_cbranch_vccnz .LBB39_1964
; %bb.1945:
	v_cmp_lt_i16_e32 vcc_lo, 24, v16
	s_cbranch_vccz .LBB39_1953
; %bb.1946:
	v_xor_b32_e32 v1, v2, v3
	v_cls_i32_e32 v8, v3
	s_mov_b32 s1, exec_lo
	s_delay_alu instid0(VALU_DEP_2) | instskip(NEXT) | instid1(VALU_DEP_2)
	v_ashrrev_i32_e32 v1, 31, v1
	v_add_nc_u32_e32 v8, -1, v8
	s_delay_alu instid0(VALU_DEP_2) | instskip(NEXT) | instid1(VALU_DEP_1)
	v_add_nc_u32_e32 v1, 32, v1
	v_min_u32_e32 v1, v8, v1
	s_delay_alu instid0(VALU_DEP_1) | instskip(SKIP_1) | instid1(VALU_DEP_2)
	v_lshlrev_b64 v[8:9], v1, v[2:3]
	v_sub_nc_u32_e32 v1, 32, v1
	v_min_u32_e32 v8, 1, v8
	s_delay_alu instid0(VALU_DEP_1) | instskip(SKIP_1) | instid1(VALU_DEP_2)
	v_or_b32_e32 v8, v9, v8
	v_mov_b32_e32 v9, 0x80
	v_cvt_f32_i32_e32 v8, v8
	s_delay_alu instid0(VALU_DEP_1) | instskip(NEXT) | instid1(VALU_DEP_1)
	v_ldexp_f32 v1, v8, v1
	v_and_b32_e32 v8, 0x7fffffff, v1
	s_delay_alu instid0(VALU_DEP_1)
	v_cmpx_gt_u32_e32 0x47800000, v8
	s_cbranch_execz .LBB39_1952
; %bb.1947:
	v_cmp_lt_u32_e32 vcc_lo, 0x37ffffff, v8
	s_mov_b32 s3, 0
                                        ; implicit-def: $vgpr8
	s_and_saveexec_b32 s6, vcc_lo
	s_delay_alu instid0(SALU_CYCLE_1)
	s_xor_b32 s6, exec_lo, s6
	s_cbranch_execz .LBB39_2127
; %bb.1948:
	v_bfe_u32 v8, v1, 21, 1
	s_mov_b32 s3, exec_lo
	s_delay_alu instid0(VALU_DEP_1) | instskip(NEXT) | instid1(VALU_DEP_1)
	v_add3_u32 v8, v1, v8, 0x88fffff
	v_lshrrev_b32_e32 v8, 21, v8
	s_or_saveexec_b32 s6, s6
                                        ; implicit-def: $sgpr7
	s_delay_alu instid0(SALU_CYCLE_1)
	s_xor_b32 exec_lo, exec_lo, s6
	s_cbranch_execnz .LBB39_2128
.LBB39_1949:
	s_or_b32 exec_lo, exec_lo, s6
	v_mov_b32_e32 v9, s7
	s_and_saveexec_b32 s6, s3
.LBB39_1950:
	v_lshrrev_b32_e32 v1, 24, v1
	s_delay_alu instid0(VALU_DEP_1)
	v_and_or_b32 v9, 0x80, v1, v8
.LBB39_1951:
	s_or_b32 exec_lo, exec_lo, s6
.LBB39_1952:
	s_delay_alu instid0(SALU_CYCLE_1)
	s_or_b32 exec_lo, exec_lo, s1
	s_mov_b32 s1, 0
	global_store_b8 v[6:7], v9, off
.LBB39_1953:
	s_and_b32 vcc_lo, exec_lo, s1
	s_cbranch_vccz .LBB39_1963
; %bb.1954:
	v_xor_b32_e32 v1, v2, v3
	v_cls_i32_e32 v8, v3
	s_mov_b32 s1, exec_lo
	s_delay_alu instid0(VALU_DEP_2) | instskip(NEXT) | instid1(VALU_DEP_2)
	v_ashrrev_i32_e32 v1, 31, v1
	v_add_nc_u32_e32 v8, -1, v8
	s_delay_alu instid0(VALU_DEP_2) | instskip(NEXT) | instid1(VALU_DEP_1)
	v_add_nc_u32_e32 v1, 32, v1
	v_min_u32_e32 v1, v8, v1
	s_delay_alu instid0(VALU_DEP_1) | instskip(SKIP_1) | instid1(VALU_DEP_2)
	v_lshlrev_b64 v[8:9], v1, v[2:3]
	v_sub_nc_u32_e32 v1, 32, v1
	v_min_u32_e32 v8, 1, v8
	s_delay_alu instid0(VALU_DEP_1) | instskip(NEXT) | instid1(VALU_DEP_1)
	v_or_b32_e32 v8, v9, v8
	v_cvt_f32_i32_e32 v8, v8
	s_delay_alu instid0(VALU_DEP_1) | instskip(NEXT) | instid1(VALU_DEP_1)
	v_ldexp_f32 v1, v8, v1
                                        ; implicit-def: $vgpr8
	v_and_b32_e32 v9, 0x7fffffff, v1
	s_delay_alu instid0(VALU_DEP_1)
	v_cmpx_gt_u32_e32 0x43f00000, v9
	s_xor_b32 s1, exec_lo, s1
	s_cbranch_execz .LBB39_1960
; %bb.1955:
	s_mov_b32 s3, exec_lo
                                        ; implicit-def: $vgpr8
	v_cmpx_lt_u32_e32 0x3c7fffff, v9
	s_xor_b32 s3, exec_lo, s3
; %bb.1956:
	v_bfe_u32 v8, v1, 20, 1
	s_delay_alu instid0(VALU_DEP_1) | instskip(NEXT) | instid1(VALU_DEP_1)
	v_add3_u32 v8, v1, v8, 0x407ffff
	v_and_b32_e32 v9, 0xff00000, v8
	v_lshrrev_b32_e32 v8, 20, v8
	s_delay_alu instid0(VALU_DEP_2) | instskip(NEXT) | instid1(VALU_DEP_2)
	v_cmp_ne_u32_e32 vcc_lo, 0x7f00000, v9
	v_cndmask_b32_e32 v8, 0x7e, v8, vcc_lo
; %bb.1957:
	s_and_not1_saveexec_b32 s3, s3
; %bb.1958:
	v_add_f32_e64 v8, 0x46800000, |v1|
; %bb.1959:
	s_or_b32 exec_lo, exec_lo, s3
                                        ; implicit-def: $vgpr9
.LBB39_1960:
	s_and_not1_saveexec_b32 s1, s1
; %bb.1961:
	v_mov_b32_e32 v8, 0x7f
	v_cmp_lt_u32_e32 vcc_lo, 0x7f800000, v9
	s_delay_alu instid0(VALU_DEP_2)
	v_cndmask_b32_e32 v8, 0x7e, v8, vcc_lo
; %bb.1962:
	s_or_b32 exec_lo, exec_lo, s1
	v_lshrrev_b32_e32 v1, 24, v1
	s_delay_alu instid0(VALU_DEP_1)
	v_and_or_b32 v1, 0x80, v1, v8
	global_store_b8 v[6:7], v1, off
.LBB39_1963:
	s_mov_b32 s1, 0
.LBB39_1964:
	s_delay_alu instid0(SALU_CYCLE_1)
	s_and_not1_b32 vcc_lo, exec_lo, s1
	s_cbranch_vccnz .LBB39_1974
; %bb.1965:
	v_xor_b32_e32 v1, v2, v3
	v_cls_i32_e32 v8, v3
	s_mov_b32 s1, exec_lo
	s_delay_alu instid0(VALU_DEP_2) | instskip(NEXT) | instid1(VALU_DEP_2)
	v_ashrrev_i32_e32 v1, 31, v1
	v_add_nc_u32_e32 v8, -1, v8
	s_delay_alu instid0(VALU_DEP_2) | instskip(NEXT) | instid1(VALU_DEP_1)
	v_add_nc_u32_e32 v1, 32, v1
	v_min_u32_e32 v1, v8, v1
	s_delay_alu instid0(VALU_DEP_1) | instskip(SKIP_1) | instid1(VALU_DEP_2)
	v_lshlrev_b64 v[8:9], v1, v[2:3]
	v_sub_nc_u32_e32 v1, 32, v1
	v_min_u32_e32 v8, 1, v8
	s_delay_alu instid0(VALU_DEP_1) | instskip(NEXT) | instid1(VALU_DEP_1)
	v_or_b32_e32 v8, v9, v8
	v_cvt_f32_i32_e32 v8, v8
	s_delay_alu instid0(VALU_DEP_1) | instskip(NEXT) | instid1(VALU_DEP_1)
	v_ldexp_f32 v1, v8, v1
                                        ; implicit-def: $vgpr8
	v_and_b32_e32 v9, 0x7fffffff, v1
	s_delay_alu instid0(VALU_DEP_1)
	v_cmpx_gt_u32_e32 0x47800000, v9
	s_xor_b32 s1, exec_lo, s1
	s_cbranch_execz .LBB39_1971
; %bb.1966:
	s_mov_b32 s3, exec_lo
                                        ; implicit-def: $vgpr8
	v_cmpx_lt_u32_e32 0x387fffff, v9
	s_xor_b32 s3, exec_lo, s3
; %bb.1967:
	v_bfe_u32 v8, v1, 21, 1
	s_delay_alu instid0(VALU_DEP_1) | instskip(NEXT) | instid1(VALU_DEP_1)
	v_add3_u32 v8, v1, v8, 0x80fffff
	v_lshrrev_b32_e32 v8, 21, v8
; %bb.1968:
	s_and_not1_saveexec_b32 s3, s3
; %bb.1969:
	v_add_f32_e64 v8, 0x43000000, |v1|
; %bb.1970:
	s_or_b32 exec_lo, exec_lo, s3
                                        ; implicit-def: $vgpr9
.LBB39_1971:
	s_and_not1_saveexec_b32 s1, s1
; %bb.1972:
	v_mov_b32_e32 v8, 0x7f
	v_cmp_lt_u32_e32 vcc_lo, 0x7f800000, v9
	s_delay_alu instid0(VALU_DEP_2)
	v_cndmask_b32_e32 v8, 0x7c, v8, vcc_lo
; %bb.1973:
	s_or_b32 exec_lo, exec_lo, s1
	v_lshrrev_b32_e32 v1, 24, v1
	s_delay_alu instid0(VALU_DEP_1)
	v_and_or_b32 v1, 0x80, v1, v8
	global_store_b8 v[6:7], v1, off
.LBB39_1974:
	s_mov_b32 s1, 0
	s_mov_b32 s3, -1
.LBB39_1975:
	s_and_not1_b32 vcc_lo, exec_lo, s1
	s_mov_b32 s1, 0
	s_cbranch_vccnz .LBB39_1982
; %bb.1976:
	v_cmp_lt_i16_e32 vcc_lo, 14, v16
	s_mov_b32 s1, -1
	s_cbranch_vccz .LBB39_1980
; %bb.1977:
	v_cmp_eq_u16_e32 vcc_lo, 15, v16
	s_mov_b32 s0, -1
	s_cbranch_vccz .LBB39_1979
; %bb.1978:
	v_xor_b32_e32 v1, v2, v3
	v_cls_i32_e32 v8, v3
	s_mov_b32 s3, -1
	s_mov_b32 s0, 0
	s_delay_alu instid0(VALU_DEP_2) | instskip(NEXT) | instid1(VALU_DEP_2)
	v_ashrrev_i32_e32 v1, 31, v1
	v_add_nc_u32_e32 v8, -1, v8
	s_delay_alu instid0(VALU_DEP_2) | instskip(NEXT) | instid1(VALU_DEP_1)
	v_add_nc_u32_e32 v1, 32, v1
	v_min_u32_e32 v1, v8, v1
	s_delay_alu instid0(VALU_DEP_1) | instskip(SKIP_1) | instid1(VALU_DEP_2)
	v_lshlrev_b64 v[8:9], v1, v[2:3]
	v_sub_nc_u32_e32 v1, 32, v1
	v_min_u32_e32 v8, 1, v8
	s_delay_alu instid0(VALU_DEP_1) | instskip(NEXT) | instid1(VALU_DEP_1)
	v_or_b32_e32 v8, v9, v8
	v_cvt_f32_i32_e32 v8, v8
	s_delay_alu instid0(VALU_DEP_1) | instskip(NEXT) | instid1(VALU_DEP_1)
	v_ldexp_f32 v1, v8, v1
	v_bfe_u32 v8, v1, 16, 1
	s_delay_alu instid0(VALU_DEP_1)
	v_add3_u32 v1, v1, v8, 0x7fff
	global_store_d16_hi_b16 v[6:7], v1, off
.LBB39_1979:
	s_mov_b32 s1, 0
.LBB39_1980:
	s_delay_alu instid0(SALU_CYCLE_1)
	s_and_b32 vcc_lo, exec_lo, s1
	s_mov_b32 s1, 0
	s_cbranch_vccz .LBB39_1982
; %bb.1981:
	v_cmp_ne_u16_e64 s0, 11, v16
	s_mov_b32 s1, -1
.LBB39_1982:
	s_delay_alu instid0(VALU_DEP_1)
	s_and_b32 vcc_lo, exec_lo, s0
	s_cbranch_vccnz .LBB39_2125
; %bb.1983:
	s_and_not1_b32 vcc_lo, exec_lo, s1
	s_cbranch_vccnz .LBB39_1985
.LBB39_1984:
	v_cmp_ne_u64_e32 vcc_lo, -1, v[10:11]
	s_mov_b32 s3, -1
	v_cndmask_b32_e64 v1, 0, 1, vcc_lo
	global_store_b8 v[6:7], v1, off
.LBB39_1985:
	s_mov_b32 s0, 0
.LBB39_1986:
	s_delay_alu instid0(SALU_CYCLE_1)
	s_and_b32 vcc_lo, exec_lo, s0
	s_cbranch_vccz .LBB39_2025
; %bb.1987:
	v_cmp_gt_i16_e32 vcc_lo, 5, v16
	s_mov_b32 s0, -1
	s_cbranch_vccnz .LBB39_2008
; %bb.1988:
	v_cmp_gt_i16_e32 vcc_lo, 8, v16
	s_cbranch_vccnz .LBB39_1998
; %bb.1989:
	v_cmp_gt_i16_e32 vcc_lo, 9, v16
	s_cbranch_vccnz .LBB39_1995
; %bb.1990:
	v_cmp_lt_i16_e32 vcc_lo, 9, v16
	s_cbranch_vccz .LBB39_1992
; %bb.1991:
	v_cvt_f64_i32_e32 v[8:9], v3
	v_cvt_f64_u32_e32 v[10:11], v2
	s_mov_b32 s0, 0
	s_delay_alu instid0(VALU_DEP_2) | instskip(NEXT) | instid1(VALU_DEP_1)
	v_ldexp_f64 v[8:9], v[8:9], 32
	v_add_f64 v[8:9], v[8:9], v[10:11]
	v_mov_b32_e32 v10, 0
	s_delay_alu instid0(VALU_DEP_1)
	v_mov_b32_e32 v11, v10
	global_store_b128 v[6:7], v[8:11], off
.LBB39_1992:
	s_and_not1_b32 vcc_lo, exec_lo, s0
	s_cbranch_vccnz .LBB39_1994
; %bb.1993:
	v_xor_b32_e32 v1, v2, v3
	v_cls_i32_e32 v8, v3
	s_delay_alu instid0(VALU_DEP_2) | instskip(NEXT) | instid1(VALU_DEP_2)
	v_ashrrev_i32_e32 v1, 31, v1
	v_add_nc_u32_e32 v8, -1, v8
	s_delay_alu instid0(VALU_DEP_2) | instskip(NEXT) | instid1(VALU_DEP_1)
	v_add_nc_u32_e32 v1, 32, v1
	v_min_u32_e32 v1, v8, v1
	s_delay_alu instid0(VALU_DEP_1) | instskip(SKIP_1) | instid1(VALU_DEP_2)
	v_lshlrev_b64 v[8:9], v1, v[2:3]
	v_sub_nc_u32_e32 v1, 32, v1
	v_min_u32_e32 v8, 1, v8
	s_delay_alu instid0(VALU_DEP_1) | instskip(SKIP_1) | instid1(VALU_DEP_2)
	v_or_b32_e32 v8, v9, v8
	v_mov_b32_e32 v9, 0
	v_cvt_f32_i32_e32 v8, v8
	s_delay_alu instid0(VALU_DEP_1)
	v_ldexp_f32 v8, v8, v1
	global_store_b64 v[6:7], v[8:9], off
.LBB39_1994:
	s_mov_b32 s0, 0
.LBB39_1995:
	s_delay_alu instid0(SALU_CYCLE_1)
	s_and_not1_b32 vcc_lo, exec_lo, s0
	s_cbranch_vccnz .LBB39_1997
; %bb.1996:
	v_xor_b32_e32 v1, v2, v3
	v_cls_i32_e32 v8, v3
	s_delay_alu instid0(VALU_DEP_2) | instskip(NEXT) | instid1(VALU_DEP_2)
	v_ashrrev_i32_e32 v1, 31, v1
	v_add_nc_u32_e32 v8, -1, v8
	s_delay_alu instid0(VALU_DEP_2) | instskip(NEXT) | instid1(VALU_DEP_1)
	v_add_nc_u32_e32 v1, 32, v1
	v_min_u32_e32 v1, v8, v1
	s_delay_alu instid0(VALU_DEP_1) | instskip(SKIP_1) | instid1(VALU_DEP_2)
	v_lshlrev_b64 v[8:9], v1, v[2:3]
	v_sub_nc_u32_e32 v1, 32, v1
	v_min_u32_e32 v8, 1, v8
	s_delay_alu instid0(VALU_DEP_1) | instskip(NEXT) | instid1(VALU_DEP_1)
	v_or_b32_e32 v8, v9, v8
	v_cvt_f32_i32_e32 v8, v8
	s_delay_alu instid0(VALU_DEP_1) | instskip(NEXT) | instid1(VALU_DEP_1)
	v_ldexp_f32 v1, v8, v1
	v_cvt_f16_f32_e32 v1, v1
	s_delay_alu instid0(VALU_DEP_1)
	v_and_b32_e32 v1, 0xffff, v1
	global_store_b32 v[6:7], v1, off
.LBB39_1997:
	s_mov_b32 s0, 0
.LBB39_1998:
	s_delay_alu instid0(SALU_CYCLE_1)
	s_and_not1_b32 vcc_lo, exec_lo, s0
	s_cbranch_vccnz .LBB39_2007
; %bb.1999:
	v_cmp_gt_i16_e32 vcc_lo, 6, v16
	s_mov_b32 s0, -1
	s_cbranch_vccnz .LBB39_2005
; %bb.2000:
	v_cmp_lt_i16_e32 vcc_lo, 6, v16
	s_cbranch_vccz .LBB39_2002
; %bb.2001:
	v_cvt_f64_i32_e32 v[8:9], v3
	v_cvt_f64_u32_e32 v[10:11], v2
	s_mov_b32 s0, 0
	s_delay_alu instid0(VALU_DEP_2) | instskip(NEXT) | instid1(VALU_DEP_1)
	v_ldexp_f64 v[8:9], v[8:9], 32
	v_add_f64 v[8:9], v[8:9], v[10:11]
	global_store_b64 v[6:7], v[8:9], off
.LBB39_2002:
	s_and_not1_b32 vcc_lo, exec_lo, s0
	s_cbranch_vccnz .LBB39_2004
; %bb.2003:
	v_xor_b32_e32 v1, v2, v3
	v_cls_i32_e32 v8, v3
	s_delay_alu instid0(VALU_DEP_2) | instskip(NEXT) | instid1(VALU_DEP_2)
	v_ashrrev_i32_e32 v1, 31, v1
	v_add_nc_u32_e32 v8, -1, v8
	s_delay_alu instid0(VALU_DEP_2) | instskip(NEXT) | instid1(VALU_DEP_1)
	v_add_nc_u32_e32 v1, 32, v1
	v_min_u32_e32 v1, v8, v1
	s_delay_alu instid0(VALU_DEP_1) | instskip(SKIP_1) | instid1(VALU_DEP_2)
	v_lshlrev_b64 v[8:9], v1, v[2:3]
	v_sub_nc_u32_e32 v1, 32, v1
	v_min_u32_e32 v8, 1, v8
	s_delay_alu instid0(VALU_DEP_1) | instskip(NEXT) | instid1(VALU_DEP_1)
	v_or_b32_e32 v8, v9, v8
	v_cvt_f32_i32_e32 v8, v8
	s_delay_alu instid0(VALU_DEP_1)
	v_ldexp_f32 v1, v8, v1
	global_store_b32 v[6:7], v1, off
.LBB39_2004:
	s_mov_b32 s0, 0
.LBB39_2005:
	s_delay_alu instid0(SALU_CYCLE_1)
	s_and_not1_b32 vcc_lo, exec_lo, s0
	s_cbranch_vccnz .LBB39_2007
; %bb.2006:
	v_xor_b32_e32 v1, v2, v3
	v_cls_i32_e32 v8, v3
	s_delay_alu instid0(VALU_DEP_2) | instskip(NEXT) | instid1(VALU_DEP_2)
	v_ashrrev_i32_e32 v1, 31, v1
	v_add_nc_u32_e32 v8, -1, v8
	s_delay_alu instid0(VALU_DEP_2) | instskip(NEXT) | instid1(VALU_DEP_1)
	v_add_nc_u32_e32 v1, 32, v1
	v_min_u32_e32 v1, v8, v1
	s_delay_alu instid0(VALU_DEP_1) | instskip(SKIP_1) | instid1(VALU_DEP_2)
	v_lshlrev_b64 v[8:9], v1, v[2:3]
	v_sub_nc_u32_e32 v1, 32, v1
	v_min_u32_e32 v8, 1, v8
	s_delay_alu instid0(VALU_DEP_1) | instskip(NEXT) | instid1(VALU_DEP_1)
	v_or_b32_e32 v8, v9, v8
	v_cvt_f32_i32_e32 v8, v8
	s_delay_alu instid0(VALU_DEP_1) | instskip(NEXT) | instid1(VALU_DEP_1)
	v_ldexp_f32 v1, v8, v1
	v_cvt_f16_f32_e32 v1, v1
	global_store_b16 v[6:7], v1, off
.LBB39_2007:
	s_mov_b32 s0, 0
.LBB39_2008:
	s_delay_alu instid0(SALU_CYCLE_1)
	s_and_not1_b32 vcc_lo, exec_lo, s0
	s_cbranch_vccnz .LBB39_2024
; %bb.2009:
	v_cmp_gt_i16_e32 vcc_lo, 2, v16
	s_mov_b32 s0, -1
	s_cbranch_vccnz .LBB39_2019
; %bb.2010:
	v_cmp_gt_i16_e32 vcc_lo, 3, v16
	s_cbranch_vccnz .LBB39_2016
; %bb.2011:
	v_cmp_lt_i16_e32 vcc_lo, 3, v16
	s_cbranch_vccz .LBB39_2013
; %bb.2012:
	s_mov_b32 s0, 0
	global_store_b64 v[6:7], v[2:3], off
.LBB39_2013:
	s_and_not1_b32 vcc_lo, exec_lo, s0
	s_cbranch_vccnz .LBB39_2015
; %bb.2014:
	global_store_b32 v[6:7], v2, off
.LBB39_2015:
	s_mov_b32 s0, 0
.LBB39_2016:
	s_delay_alu instid0(SALU_CYCLE_1)
	s_and_not1_b32 vcc_lo, exec_lo, s0
	s_cbranch_vccnz .LBB39_2018
; %bb.2017:
	global_store_b16 v[6:7], v2, off
.LBB39_2018:
	s_mov_b32 s0, 0
.LBB39_2019:
	s_delay_alu instid0(SALU_CYCLE_1)
	s_and_not1_b32 vcc_lo, exec_lo, s0
	s_cbranch_vccnz .LBB39_2024
; %bb.2020:
	v_cmp_lt_i16_e32 vcc_lo, 0, v16
	s_mov_b32 s0, -1
	s_cbranch_vccz .LBB39_2022
; %bb.2021:
	s_mov_b32 s0, 0
	global_store_b8 v[6:7], v2, off
.LBB39_2022:
	s_and_not1_b32 vcc_lo, exec_lo, s0
	s_cbranch_vccnz .LBB39_2024
; %bb.2023:
	global_store_b8 v[6:7], v2, off
.LBB39_2024:
	s_mov_b32 s3, -1
.LBB39_2025:
	s_delay_alu instid0(SALU_CYCLE_1)
	s_and_not1_b32 vcc_lo, exec_lo, s3
	s_cbranch_vccnz .LBB39_2102
; %bb.2026:
	v_cmp_gt_i16_e32 vcc_lo, 11, v16
	v_add_co_u32 v0, s0, s4, v0
	v_not_b32_e32 v3, v5
	v_not_b32_e32 v2, v4
	v_add_co_ci_u32_e64 v1, null, s5, 0, s0
	s_mov_b32 s1, 0
	s_mov_b32 s0, -1
	s_cbranch_vccnz .LBB39_1431
; %bb.2027:
	v_cmp_lt_i16_e32 vcc_lo, 25, v16
	s_mov_b32 s3, -1
	s_mov_b32 s0, 0
	s_cbranch_vccz .LBB39_2060
; %bb.2028:
	v_cmp_lt_i16_e32 vcc_lo, 28, v16
	s_cbranch_vccz .LBB39_2044
; %bb.2029:
	v_cmp_lt_i16_e32 vcc_lo, 43, v16
	;; [unrolled: 3-line block ×3, first 2 shown]
	s_cbranch_vccz .LBB39_2034
; %bb.2031:
	v_cmp_eq_u16_e32 vcc_lo, 46, v16
	s_mov_b32 s0, -1
	s_cbranch_vccz .LBB39_2033
; %bb.2032:
	v_xor_b32_e32 v6, v2, v3
	v_cls_i32_e32 v7, v3
	s_mov_b32 s0, 0
	s_delay_alu instid0(VALU_DEP_2) | instskip(NEXT) | instid1(VALU_DEP_2)
	v_ashrrev_i32_e32 v6, 31, v6
	v_add_nc_u32_e32 v7, -1, v7
	s_delay_alu instid0(VALU_DEP_2) | instskip(NEXT) | instid1(VALU_DEP_1)
	v_add_nc_u32_e32 v6, 32, v6
	v_min_u32_e32 v8, v7, v6
	s_delay_alu instid0(VALU_DEP_1) | instskip(NEXT) | instid1(VALU_DEP_1)
	v_lshlrev_b64 v[6:7], v8, v[2:3]
	v_min_u32_e32 v6, 1, v6
	s_delay_alu instid0(VALU_DEP_1) | instskip(SKIP_1) | instid1(VALU_DEP_2)
	v_or_b32_e32 v6, v7, v6
	v_sub_nc_u32_e32 v7, 32, v8
	v_cvt_f32_i32_e32 v6, v6
	s_delay_alu instid0(VALU_DEP_1) | instskip(NEXT) | instid1(VALU_DEP_1)
	v_ldexp_f32 v6, v6, v7
	v_bfe_u32 v7, v6, 16, 1
	s_delay_alu instid0(VALU_DEP_1) | instskip(NEXT) | instid1(VALU_DEP_1)
	v_add3_u32 v6, v6, v7, 0x7fff
	v_lshrrev_b32_e32 v6, 16, v6
	global_store_b32 v[0:1], v6, off
.LBB39_2033:
	s_mov_b32 s3, 0
.LBB39_2034:
	s_delay_alu instid0(SALU_CYCLE_1)
	s_and_b32 vcc_lo, exec_lo, s3
	s_cbranch_vccz .LBB39_2039
; %bb.2035:
	v_cmp_eq_u16_e32 vcc_lo, 44, v16
	s_mov_b32 s0, -1
	s_cbranch_vccz .LBB39_2039
; %bb.2036:
	v_xor_b32_e32 v6, v2, v3
	v_cls_i32_e32 v7, v3
	s_mov_b32 s3, exec_lo
	s_delay_alu instid0(VALU_DEP_2) | instskip(NEXT) | instid1(VALU_DEP_2)
	v_ashrrev_i32_e32 v6, 31, v6
	v_add_nc_u32_e32 v7, -1, v7
	s_delay_alu instid0(VALU_DEP_2) | instskip(NEXT) | instid1(VALU_DEP_1)
	v_add_nc_u32_e32 v6, 32, v6
	v_min_u32_e32 v8, v7, v6
	s_delay_alu instid0(VALU_DEP_1) | instskip(NEXT) | instid1(VALU_DEP_1)
	v_lshlrev_b64 v[6:7], v8, v[2:3]
	v_min_u32_e32 v6, 1, v6
	s_delay_alu instid0(VALU_DEP_1) | instskip(SKIP_1) | instid1(VALU_DEP_2)
	v_or_b32_e32 v6, v7, v6
	v_sub_nc_u32_e32 v7, 32, v8
	v_cvt_f32_i32_e32 v6, v6
	s_delay_alu instid0(VALU_DEP_1) | instskip(SKIP_1) | instid1(VALU_DEP_2)
	v_ldexp_f32 v6, v6, v7
	v_mov_b32_e32 v7, 0xff
	v_bfe_u32 v8, v6, 23, 8
	s_delay_alu instid0(VALU_DEP_1)
	v_cmpx_ne_u32_e32 0xff, v8
; %bb.2037:
	v_and_b32_e32 v7, 0x400000, v6
	v_and_or_b32 v8, 0x3fffff, v6, v8
	v_lshrrev_b32_e32 v6, 23, v6
	s_delay_alu instid0(VALU_DEP_3) | instskip(NEXT) | instid1(VALU_DEP_3)
	v_cmp_ne_u32_e32 vcc_lo, 0, v7
	v_cmp_ne_u32_e64 s0, 0, v8
	s_delay_alu instid0(VALU_DEP_1) | instskip(NEXT) | instid1(SALU_CYCLE_1)
	s_and_b32 s0, vcc_lo, s0
	v_cndmask_b32_e64 v7, 0, 1, s0
	s_delay_alu instid0(VALU_DEP_1)
	v_add_nc_u32_e32 v7, v6, v7
; %bb.2038:
	s_or_b32 exec_lo, exec_lo, s3
	s_mov_b32 s0, 0
	global_store_b8 v[0:1], v7, off
.LBB39_2039:
	s_mov_b32 s3, 0
.LBB39_2040:
	s_delay_alu instid0(SALU_CYCLE_1)
	s_and_b32 vcc_lo, exec_lo, s3
	s_cbranch_vccz .LBB39_2043
; %bb.2041:
	v_cmp_eq_u16_e32 vcc_lo, 29, v16
	s_mov_b32 s0, -1
	s_cbranch_vccz .LBB39_2043
; %bb.2042:
	s_mov_b32 s0, 0
	global_store_b64 v[0:1], v[2:3], off
.LBB39_2043:
	s_mov_b32 s3, 0
.LBB39_2044:
	s_delay_alu instid0(SALU_CYCLE_1)
	s_and_b32 vcc_lo, exec_lo, s3
	s_cbranch_vccz .LBB39_2059
; %bb.2045:
	v_cmp_gt_i16_e32 vcc_lo, 27, v16
	s_mov_b32 s3, -1
	s_cbranch_vccnz .LBB39_2051
; %bb.2046:
	v_cmp_lt_i16_e32 vcc_lo, 27, v16
	s_cbranch_vccz .LBB39_2048
; %bb.2047:
	s_mov_b32 s3, 0
	global_store_b32 v[0:1], v2, off
.LBB39_2048:
	s_and_not1_b32 vcc_lo, exec_lo, s3
	s_cbranch_vccnz .LBB39_2050
; %bb.2049:
	global_store_b16 v[0:1], v2, off
.LBB39_2050:
	s_mov_b32 s3, 0
.LBB39_2051:
	s_delay_alu instid0(SALU_CYCLE_1)
	s_and_not1_b32 vcc_lo, exec_lo, s3
	s_cbranch_vccnz .LBB39_2059
; %bb.2052:
	v_xor_b32_e32 v6, v2, v3
	v_cls_i32_e32 v7, v3
	s_mov_b32 s3, exec_lo
	s_delay_alu instid0(VALU_DEP_2) | instskip(NEXT) | instid1(VALU_DEP_2)
	v_ashrrev_i32_e32 v6, 31, v6
	v_add_nc_u32_e32 v7, -1, v7
	s_delay_alu instid0(VALU_DEP_2) | instskip(NEXT) | instid1(VALU_DEP_1)
	v_add_nc_u32_e32 v6, 32, v6
	v_min_u32_e32 v8, v7, v6
	s_delay_alu instid0(VALU_DEP_1) | instskip(NEXT) | instid1(VALU_DEP_1)
	v_lshlrev_b64 v[6:7], v8, v[2:3]
	v_min_u32_e32 v6, 1, v6
	s_delay_alu instid0(VALU_DEP_1) | instskip(SKIP_2) | instid1(VALU_DEP_3)
	v_or_b32_e32 v6, v7, v6
	v_sub_nc_u32_e32 v7, 32, v8
	v_mov_b32_e32 v8, 0x80
	v_cvt_f32_i32_e32 v6, v6
	s_delay_alu instid0(VALU_DEP_1) | instskip(NEXT) | instid1(VALU_DEP_1)
	v_ldexp_f32 v6, v6, v7
	v_and_b32_e32 v7, 0x7fffffff, v6
	s_delay_alu instid0(VALU_DEP_1)
	v_cmpx_gt_u32_e32 0x43800000, v7
	s_cbranch_execz .LBB39_2058
; %bb.2053:
	v_cmp_lt_u32_e32 vcc_lo, 0x3bffffff, v7
	s_mov_b32 s4, 0
                                        ; implicit-def: $vgpr7
	s_and_saveexec_b32 s5, vcc_lo
	s_delay_alu instid0(SALU_CYCLE_1)
	s_xor_b32 s5, exec_lo, s5
	s_cbranch_execz .LBB39_2129
; %bb.2054:
	v_bfe_u32 v7, v6, 20, 1
	s_mov_b32 s4, exec_lo
	s_delay_alu instid0(VALU_DEP_1) | instskip(NEXT) | instid1(VALU_DEP_1)
	v_add3_u32 v7, v6, v7, 0x487ffff
	v_lshrrev_b32_e32 v7, 20, v7
	s_or_saveexec_b32 s5, s5
                                        ; implicit-def: $sgpr6
	s_delay_alu instid0(SALU_CYCLE_1)
	s_xor_b32 exec_lo, exec_lo, s5
	s_cbranch_execnz .LBB39_2130
.LBB39_2055:
	s_or_b32 exec_lo, exec_lo, s5
	v_mov_b32_e32 v8, s6
	s_and_saveexec_b32 s5, s4
.LBB39_2056:
	v_lshrrev_b32_e32 v6, 24, v6
	s_delay_alu instid0(VALU_DEP_1)
	v_and_or_b32 v8, 0x80, v6, v7
.LBB39_2057:
	s_or_b32 exec_lo, exec_lo, s5
.LBB39_2058:
	s_delay_alu instid0(SALU_CYCLE_1)
	s_or_b32 exec_lo, exec_lo, s3
	global_store_b8 v[0:1], v8, off
.LBB39_2059:
	s_mov_b32 s3, 0
.LBB39_2060:
	s_delay_alu instid0(SALU_CYCLE_1)
	s_and_b32 vcc_lo, exec_lo, s3
	s_cbranch_vccz .LBB39_2100
; %bb.2061:
	v_cmp_lt_i16_e32 vcc_lo, 22, v16
	s_mov_b32 s1, -1
	s_cbranch_vccz .LBB39_2093
; %bb.2062:
	v_cmp_gt_i16_e32 vcc_lo, 24, v16
	s_cbranch_vccnz .LBB39_2082
; %bb.2063:
	v_cmp_lt_i16_e32 vcc_lo, 24, v16
	s_cbranch_vccz .LBB39_2071
; %bb.2064:
	v_xor_b32_e32 v6, v2, v3
	v_cls_i32_e32 v7, v3
	s_mov_b32 s1, exec_lo
	s_delay_alu instid0(VALU_DEP_2) | instskip(NEXT) | instid1(VALU_DEP_2)
	v_ashrrev_i32_e32 v6, 31, v6
	v_add_nc_u32_e32 v7, -1, v7
	s_delay_alu instid0(VALU_DEP_2) | instskip(NEXT) | instid1(VALU_DEP_1)
	v_add_nc_u32_e32 v6, 32, v6
	v_min_u32_e32 v8, v7, v6
	s_delay_alu instid0(VALU_DEP_1) | instskip(NEXT) | instid1(VALU_DEP_1)
	v_lshlrev_b64 v[6:7], v8, v[2:3]
	v_min_u32_e32 v6, 1, v6
	s_delay_alu instid0(VALU_DEP_1) | instskip(SKIP_2) | instid1(VALU_DEP_3)
	v_or_b32_e32 v6, v7, v6
	v_sub_nc_u32_e32 v7, 32, v8
	v_mov_b32_e32 v8, 0x80
	v_cvt_f32_i32_e32 v6, v6
	s_delay_alu instid0(VALU_DEP_1) | instskip(NEXT) | instid1(VALU_DEP_1)
	v_ldexp_f32 v6, v6, v7
	v_and_b32_e32 v7, 0x7fffffff, v6
	s_delay_alu instid0(VALU_DEP_1)
	v_cmpx_gt_u32_e32 0x47800000, v7
	s_cbranch_execz .LBB39_2070
; %bb.2065:
	v_cmp_lt_u32_e32 vcc_lo, 0x37ffffff, v7
	s_mov_b32 s3, 0
                                        ; implicit-def: $vgpr7
	s_and_saveexec_b32 s4, vcc_lo
	s_delay_alu instid0(SALU_CYCLE_1)
	s_xor_b32 s4, exec_lo, s4
	s_cbranch_execz .LBB39_2135
; %bb.2066:
	v_bfe_u32 v7, v6, 21, 1
	s_mov_b32 s3, exec_lo
	s_delay_alu instid0(VALU_DEP_1) | instskip(NEXT) | instid1(VALU_DEP_1)
	v_add3_u32 v7, v6, v7, 0x88fffff
	v_lshrrev_b32_e32 v7, 21, v7
	s_or_saveexec_b32 s4, s4
                                        ; implicit-def: $sgpr5
	s_delay_alu instid0(SALU_CYCLE_1)
	s_xor_b32 exec_lo, exec_lo, s4
	s_cbranch_execnz .LBB39_2136
.LBB39_2067:
	s_or_b32 exec_lo, exec_lo, s4
	v_mov_b32_e32 v8, s5
	s_and_saveexec_b32 s4, s3
.LBB39_2068:
	v_lshrrev_b32_e32 v6, 24, v6
	s_delay_alu instid0(VALU_DEP_1)
	v_and_or_b32 v8, 0x80, v6, v7
.LBB39_2069:
	s_or_b32 exec_lo, exec_lo, s4
.LBB39_2070:
	s_delay_alu instid0(SALU_CYCLE_1)
	s_or_b32 exec_lo, exec_lo, s1
	s_mov_b32 s1, 0
	global_store_b8 v[0:1], v8, off
.LBB39_2071:
	s_and_b32 vcc_lo, exec_lo, s1
	s_cbranch_vccz .LBB39_2081
; %bb.2072:
	v_xor_b32_e32 v6, v2, v3
	v_cls_i32_e32 v7, v3
	s_mov_b32 s1, exec_lo
	s_delay_alu instid0(VALU_DEP_2) | instskip(NEXT) | instid1(VALU_DEP_2)
	v_ashrrev_i32_e32 v6, 31, v6
	v_add_nc_u32_e32 v7, -1, v7
	s_delay_alu instid0(VALU_DEP_2) | instskip(NEXT) | instid1(VALU_DEP_1)
	v_add_nc_u32_e32 v6, 32, v6
	v_min_u32_e32 v8, v7, v6
	s_delay_alu instid0(VALU_DEP_1) | instskip(NEXT) | instid1(VALU_DEP_1)
	v_lshlrev_b64 v[6:7], v8, v[2:3]
	v_min_u32_e32 v6, 1, v6
	s_delay_alu instid0(VALU_DEP_1) | instskip(SKIP_1) | instid1(VALU_DEP_2)
	v_or_b32_e32 v6, v7, v6
	v_sub_nc_u32_e32 v7, 32, v8
	v_cvt_f32_i32_e32 v6, v6
	s_delay_alu instid0(VALU_DEP_1) | instskip(NEXT) | instid1(VALU_DEP_1)
	v_ldexp_f32 v6, v6, v7
                                        ; implicit-def: $vgpr7
	v_and_b32_e32 v8, 0x7fffffff, v6
	s_delay_alu instid0(VALU_DEP_1)
	v_cmpx_gt_u32_e32 0x43f00000, v8
	s_xor_b32 s1, exec_lo, s1
	s_cbranch_execz .LBB39_2078
; %bb.2073:
	s_mov_b32 s3, exec_lo
                                        ; implicit-def: $vgpr7
	v_cmpx_lt_u32_e32 0x3c7fffff, v8
	s_xor_b32 s3, exec_lo, s3
; %bb.2074:
	v_bfe_u32 v7, v6, 20, 1
	s_delay_alu instid0(VALU_DEP_1) | instskip(NEXT) | instid1(VALU_DEP_1)
	v_add3_u32 v7, v6, v7, 0x407ffff
	v_and_b32_e32 v8, 0xff00000, v7
	v_lshrrev_b32_e32 v7, 20, v7
	s_delay_alu instid0(VALU_DEP_2) | instskip(NEXT) | instid1(VALU_DEP_2)
	v_cmp_ne_u32_e32 vcc_lo, 0x7f00000, v8
	v_cndmask_b32_e32 v7, 0x7e, v7, vcc_lo
; %bb.2075:
	s_and_not1_saveexec_b32 s3, s3
; %bb.2076:
	v_add_f32_e64 v7, 0x46800000, |v6|
; %bb.2077:
	s_or_b32 exec_lo, exec_lo, s3
                                        ; implicit-def: $vgpr8
.LBB39_2078:
	s_and_not1_saveexec_b32 s1, s1
; %bb.2079:
	v_mov_b32_e32 v7, 0x7f
	v_cmp_lt_u32_e32 vcc_lo, 0x7f800000, v8
	s_delay_alu instid0(VALU_DEP_2)
	v_cndmask_b32_e32 v7, 0x7e, v7, vcc_lo
; %bb.2080:
	s_or_b32 exec_lo, exec_lo, s1
	v_lshrrev_b32_e32 v6, 24, v6
	s_delay_alu instid0(VALU_DEP_1)
	v_and_or_b32 v6, 0x80, v6, v7
	global_store_b8 v[0:1], v6, off
.LBB39_2081:
	s_mov_b32 s1, 0
.LBB39_2082:
	s_delay_alu instid0(SALU_CYCLE_1)
	s_and_not1_b32 vcc_lo, exec_lo, s1
	s_cbranch_vccnz .LBB39_2092
; %bb.2083:
	v_xor_b32_e32 v6, v2, v3
	v_cls_i32_e32 v7, v3
	s_mov_b32 s1, exec_lo
	s_delay_alu instid0(VALU_DEP_2) | instskip(NEXT) | instid1(VALU_DEP_2)
	v_ashrrev_i32_e32 v6, 31, v6
	v_add_nc_u32_e32 v7, -1, v7
	s_delay_alu instid0(VALU_DEP_2) | instskip(NEXT) | instid1(VALU_DEP_1)
	v_add_nc_u32_e32 v6, 32, v6
	v_min_u32_e32 v8, v7, v6
	s_delay_alu instid0(VALU_DEP_1) | instskip(NEXT) | instid1(VALU_DEP_1)
	v_lshlrev_b64 v[6:7], v8, v[2:3]
	v_min_u32_e32 v6, 1, v6
	s_delay_alu instid0(VALU_DEP_1) | instskip(SKIP_1) | instid1(VALU_DEP_2)
	v_or_b32_e32 v6, v7, v6
	v_sub_nc_u32_e32 v7, 32, v8
	v_cvt_f32_i32_e32 v6, v6
	s_delay_alu instid0(VALU_DEP_1) | instskip(NEXT) | instid1(VALU_DEP_1)
	v_ldexp_f32 v6, v6, v7
                                        ; implicit-def: $vgpr7
	v_and_b32_e32 v8, 0x7fffffff, v6
	s_delay_alu instid0(VALU_DEP_1)
	v_cmpx_gt_u32_e32 0x47800000, v8
	s_xor_b32 s1, exec_lo, s1
	s_cbranch_execz .LBB39_2089
; %bb.2084:
	s_mov_b32 s3, exec_lo
                                        ; implicit-def: $vgpr7
	v_cmpx_lt_u32_e32 0x387fffff, v8
	s_xor_b32 s3, exec_lo, s3
; %bb.2085:
	v_bfe_u32 v7, v6, 21, 1
	s_delay_alu instid0(VALU_DEP_1) | instskip(NEXT) | instid1(VALU_DEP_1)
	v_add3_u32 v7, v6, v7, 0x80fffff
	v_lshrrev_b32_e32 v7, 21, v7
; %bb.2086:
	s_and_not1_saveexec_b32 s3, s3
; %bb.2087:
	v_add_f32_e64 v7, 0x43000000, |v6|
; %bb.2088:
	s_or_b32 exec_lo, exec_lo, s3
                                        ; implicit-def: $vgpr8
.LBB39_2089:
	s_and_not1_saveexec_b32 s1, s1
; %bb.2090:
	v_mov_b32_e32 v7, 0x7f
	v_cmp_lt_u32_e32 vcc_lo, 0x7f800000, v8
	s_delay_alu instid0(VALU_DEP_2)
	v_cndmask_b32_e32 v7, 0x7c, v7, vcc_lo
; %bb.2091:
	s_or_b32 exec_lo, exec_lo, s1
	v_lshrrev_b32_e32 v6, 24, v6
	s_delay_alu instid0(VALU_DEP_1)
	v_and_or_b32 v6, 0x80, v6, v7
	global_store_b8 v[0:1], v6, off
.LBB39_2092:
	s_mov_b32 s1, 0
.LBB39_2093:
	s_delay_alu instid0(SALU_CYCLE_1)
	s_and_not1_b32 vcc_lo, exec_lo, s1
	s_mov_b32 s1, 0
	s_cbranch_vccnz .LBB39_2100
; %bb.2094:
	v_cmp_lt_i16_e32 vcc_lo, 14, v16
	s_mov_b32 s1, -1
	s_cbranch_vccz .LBB39_2098
; %bb.2095:
	v_cmp_eq_u16_e32 vcc_lo, 15, v16
	s_mov_b32 s0, -1
	s_cbranch_vccz .LBB39_2097
; %bb.2096:
	v_xor_b32_e32 v6, v2, v3
	v_cls_i32_e32 v7, v3
	s_mov_b32 s0, 0
	s_delay_alu instid0(VALU_DEP_2) | instskip(NEXT) | instid1(VALU_DEP_2)
	v_ashrrev_i32_e32 v6, 31, v6
	v_add_nc_u32_e32 v7, -1, v7
	s_delay_alu instid0(VALU_DEP_2) | instskip(NEXT) | instid1(VALU_DEP_1)
	v_add_nc_u32_e32 v6, 32, v6
	v_min_u32_e32 v8, v7, v6
	s_delay_alu instid0(VALU_DEP_1) | instskip(NEXT) | instid1(VALU_DEP_1)
	v_lshlrev_b64 v[6:7], v8, v[2:3]
	v_min_u32_e32 v6, 1, v6
	s_delay_alu instid0(VALU_DEP_1) | instskip(SKIP_1) | instid1(VALU_DEP_2)
	v_or_b32_e32 v6, v7, v6
	v_sub_nc_u32_e32 v7, 32, v8
	v_cvt_f32_i32_e32 v6, v6
	s_delay_alu instid0(VALU_DEP_1) | instskip(NEXT) | instid1(VALU_DEP_1)
	v_ldexp_f32 v6, v6, v7
	v_bfe_u32 v7, v6, 16, 1
	s_delay_alu instid0(VALU_DEP_1)
	v_add3_u32 v6, v6, v7, 0x7fff
	global_store_d16_hi_b16 v[0:1], v6, off
.LBB39_2097:
	s_mov_b32 s1, 0
.LBB39_2098:
	s_delay_alu instid0(SALU_CYCLE_1)
	s_and_b32 vcc_lo, exec_lo, s1
	s_mov_b32 s1, 0
	s_cbranch_vccz .LBB39_2100
; %bb.2099:
	v_cmp_ne_u16_e64 s0, 11, v16
	s_mov_b32 s1, -1
.LBB39_2100:
	s_delay_alu instid0(VALU_DEP_1)
	s_and_b32 vcc_lo, exec_lo, s0
	s_cbranch_vccnz .LBB39_2133
.LBB39_2101:
	s_mov_b32 s0, 0
	s_branch .LBB39_1431
.LBB39_2102:
	s_mov_b32 s0, 0
	s_mov_b32 s1, 0
                                        ; implicit-def: $vgpr0_vgpr1
                                        ; implicit-def: $vgpr16
                                        ; implicit-def: $vgpr2_vgpr3
	s_branch .LBB39_1431
.LBB39_2103:
	s_cbranch_execnz .LBB39_2107
; %bb.2104:
	s_or_b32 s2, s2, exec_lo
                                        ; implicit-def: $vgpr4_vgpr5
	s_cbranch_execz .LBB39_1620
	s_branch .LBB39_1621
.LBB39_2105:
	s_or_saveexec_b32 s7, s7
                                        ; implicit-def: $sgpr10
	s_delay_alu instid0(SALU_CYCLE_1)
	s_xor_b32 exec_lo, exec_lo, s7
	s_cbranch_execz .LBB39_1700
.LBB39_2106:
	v_add_f32_e64 v17, 0x46000000, |v3|
	s_and_not1_b32 s6, s6, exec_lo
	s_mov_b32 s10, 0
	s_delay_alu instid0(VALU_DEP_1) | instskip(NEXT) | instid1(VALU_DEP_1)
	v_and_b32_e32 v17, 0xff, v17
	v_cmp_ne_u32_e32 vcc_lo, 0, v17
	s_and_b32 s11, vcc_lo, exec_lo
	s_delay_alu instid0(SALU_CYCLE_1)
	s_or_b32 s6, s6, s11
	s_or_b32 exec_lo, exec_lo, s7
	v_mov_b32_e32 v18, s10
	s_and_saveexec_b32 s7, s6
	s_cbranch_execnz .LBB39_1701
	s_branch .LBB39_1702
.LBB39_2107:
	s_trap 2
	s_sendmsg_rtn_b32 s0, sendmsg(MSG_RTN_GET_DOORBELL)
	s_mov_b32 ttmp2, m0
	s_waitcnt lgkmcnt(0)
	s_and_b32 s0, s0, 0x3ff
	s_delay_alu instid0(SALU_CYCLE_1) | instskip(NEXT) | instid1(SALU_CYCLE_1)
	s_bitset1_b32 s0, 10
	s_mov_b32 m0, s0
	s_sendmsg sendmsg(MSG_INTERRUPT)
	s_mov_b32 m0, ttmp2
.LBB39_2108:                            ; =>This Inner Loop Header: Depth=1
	s_sethalt 5
	s_branch .LBB39_2108
.LBB39_2109:
	s_cbranch_execnz .LBB39_2115
; %bb.2110:
	s_or_b32 s2, s2, exec_lo
	s_cbranch_execz .LBB39_1748
	s_branch .LBB39_1749
.LBB39_2111:
	s_or_saveexec_b32 s6, s6
                                        ; implicit-def: $sgpr7
	s_delay_alu instid0(SALU_CYCLE_1)
	s_xor_b32 exec_lo, exec_lo, s6
	s_cbranch_execz .LBB39_1713
.LBB39_2112:
	v_add_f32_e64 v17, 0x42800000, |v3|
	s_and_not1_b32 s3, s3, exec_lo
	s_mov_b32 s7, 0
	s_delay_alu instid0(VALU_DEP_1) | instskip(NEXT) | instid1(VALU_DEP_1)
	v_and_b32_e32 v17, 0xff, v17
	v_cmp_ne_u32_e32 vcc_lo, 0, v17
	s_and_b32 s10, vcc_lo, exec_lo
	s_delay_alu instid0(SALU_CYCLE_1)
	s_or_b32 s3, s3, s10
	s_or_b32 exec_lo, exec_lo, s6
	v_mov_b32_e32 v18, s7
	s_and_saveexec_b32 s6, s3
	s_cbranch_execnz .LBB39_1714
	s_branch .LBB39_1715
.LBB39_2113:
	s_or_saveexec_b32 s7, s7
                                        ; implicit-def: $sgpr10
	s_delay_alu instid0(SALU_CYCLE_1)
	s_xor_b32 exec_lo, exec_lo, s7
	s_cbranch_execz .LBB39_1818
.LBB39_2114:
	v_add_f32_e64 v13, 0x46000000, |v12|
	s_and_not1_b32 s6, s6, exec_lo
	s_mov_b32 s10, 0
	s_delay_alu instid0(VALU_DEP_1) | instskip(NEXT) | instid1(VALU_DEP_1)
	v_and_b32_e32 v13, 0xff, v13
	v_cmp_ne_u32_e32 vcc_lo, 0, v13
	s_and_b32 s11, vcc_lo, exec_lo
	s_delay_alu instid0(SALU_CYCLE_1)
	s_or_b32 s6, s6, s11
	s_or_b32 exec_lo, exec_lo, s7
	v_mov_b32_e32 v14, s10
	s_and_saveexec_b32 s7, s6
	s_cbranch_execnz .LBB39_1819
	s_branch .LBB39_1820
.LBB39_2115:
	s_trap 2
	s_sendmsg_rtn_b32 s0, sendmsg(MSG_RTN_GET_DOORBELL)
	s_mov_b32 ttmp2, m0
	s_waitcnt lgkmcnt(0)
	s_and_b32 s0, s0, 0x3ff
	s_delay_alu instid0(SALU_CYCLE_1) | instskip(NEXT) | instid1(SALU_CYCLE_1)
	s_bitset1_b32 s0, 10
	s_mov_b32 m0, s0
	s_sendmsg sendmsg(MSG_INTERRUPT)
	s_mov_b32 m0, ttmp2
.LBB39_2116:                            ; =>This Inner Loop Header: Depth=1
	s_sethalt 5
	s_branch .LBB39_2116
.LBB39_2117:
	s_cbranch_execnz .LBB39_2123
; %bb.2118:
	s_or_b32 s2, s2, exec_lo
	s_cbranch_execz .LBB39_1866
	s_branch .LBB39_1867
.LBB39_2119:
	s_or_saveexec_b32 s6, s6
                                        ; implicit-def: $sgpr7
	s_delay_alu instid0(SALU_CYCLE_1)
	s_xor_b32 exec_lo, exec_lo, s6
	s_cbranch_execz .LBB39_1831
.LBB39_2120:
	v_add_f32_e64 v13, 0x42800000, |v12|
	s_and_not1_b32 s3, s3, exec_lo
	s_mov_b32 s7, 0
	s_delay_alu instid0(VALU_DEP_1) | instskip(NEXT) | instid1(VALU_DEP_1)
	v_and_b32_e32 v13, 0xff, v13
	v_cmp_ne_u32_e32 vcc_lo, 0, v13
	s_and_b32 s10, vcc_lo, exec_lo
	s_delay_alu instid0(SALU_CYCLE_1)
	s_or_b32 s3, s3, s10
	s_or_b32 exec_lo, exec_lo, s6
	v_mov_b32_e32 v14, s7
	s_and_saveexec_b32 s6, s3
	s_cbranch_execnz .LBB39_1832
	s_branch .LBB39_1833
.LBB39_2121:
	s_or_saveexec_b32 s7, s7
                                        ; implicit-def: $sgpr10
	s_delay_alu instid0(SALU_CYCLE_1)
	s_xor_b32 exec_lo, exec_lo, s7
	s_cbranch_execz .LBB39_1936
.LBB39_2122:
	v_add_f32_e64 v8, 0x46000000, |v1|
	s_and_not1_b32 s6, s6, exec_lo
	s_mov_b32 s10, 0
	s_delay_alu instid0(VALU_DEP_1) | instskip(NEXT) | instid1(VALU_DEP_1)
	v_and_b32_e32 v8, 0xff, v8
	v_cmp_ne_u32_e32 vcc_lo, 0, v8
	s_and_b32 s11, vcc_lo, exec_lo
	s_delay_alu instid0(SALU_CYCLE_1)
	s_or_b32 s6, s6, s11
	s_or_b32 exec_lo, exec_lo, s7
	v_mov_b32_e32 v9, s10
	s_and_saveexec_b32 s7, s6
	s_cbranch_execnz .LBB39_1937
	s_branch .LBB39_1938
.LBB39_2123:
	s_trap 2
	s_sendmsg_rtn_b32 s0, sendmsg(MSG_RTN_GET_DOORBELL)
	s_mov_b32 ttmp2, m0
	s_waitcnt lgkmcnt(0)
	s_and_b32 s0, s0, 0x3ff
	s_delay_alu instid0(SALU_CYCLE_1) | instskip(NEXT) | instid1(SALU_CYCLE_1)
	s_bitset1_b32 s0, 10
	s_mov_b32 m0, s0
	s_sendmsg sendmsg(MSG_INTERRUPT)
	s_mov_b32 m0, ttmp2
.LBB39_2124:                            ; =>This Inner Loop Header: Depth=1
	s_sethalt 5
	s_branch .LBB39_2124
.LBB39_2125:
	s_cbranch_execnz .LBB39_2131
; %bb.2126:
	s_or_b32 s2, s2, exec_lo
	s_cbranch_execz .LBB39_1984
	s_branch .LBB39_1985
.LBB39_2127:
	s_or_saveexec_b32 s6, s6
                                        ; implicit-def: $sgpr7
	s_delay_alu instid0(SALU_CYCLE_1)
	s_xor_b32 exec_lo, exec_lo, s6
	s_cbranch_execz .LBB39_1949
.LBB39_2128:
	v_add_f32_e64 v8, 0x42800000, |v1|
	s_and_not1_b32 s3, s3, exec_lo
	s_mov_b32 s7, 0
	s_delay_alu instid0(VALU_DEP_1) | instskip(NEXT) | instid1(VALU_DEP_1)
	v_and_b32_e32 v8, 0xff, v8
	v_cmp_ne_u32_e32 vcc_lo, 0, v8
	s_and_b32 s10, vcc_lo, exec_lo
	s_delay_alu instid0(SALU_CYCLE_1)
	s_or_b32 s3, s3, s10
	s_or_b32 exec_lo, exec_lo, s6
	v_mov_b32_e32 v9, s7
	s_and_saveexec_b32 s6, s3
	s_cbranch_execnz .LBB39_1950
	s_branch .LBB39_1951
.LBB39_2129:
	s_or_saveexec_b32 s5, s5
                                        ; implicit-def: $sgpr6
	s_delay_alu instid0(SALU_CYCLE_1)
	s_xor_b32 exec_lo, exec_lo, s5
	s_cbranch_execz .LBB39_2055
.LBB39_2130:
	v_add_f32_e64 v7, 0x46000000, |v6|
	s_and_not1_b32 s4, s4, exec_lo
	s_mov_b32 s6, 0
	s_delay_alu instid0(VALU_DEP_1) | instskip(NEXT) | instid1(VALU_DEP_1)
	v_and_b32_e32 v7, 0xff, v7
	v_cmp_ne_u32_e32 vcc_lo, 0, v7
	s_and_b32 s7, vcc_lo, exec_lo
	s_delay_alu instid0(SALU_CYCLE_1)
	s_or_b32 s4, s4, s7
	s_or_b32 exec_lo, exec_lo, s5
	v_mov_b32_e32 v8, s6
	s_and_saveexec_b32 s5, s4
	s_cbranch_execnz .LBB39_2056
	s_branch .LBB39_2057
.LBB39_2131:
	s_trap 2
	s_sendmsg_rtn_b32 s0, sendmsg(MSG_RTN_GET_DOORBELL)
	s_mov_b32 ttmp2, m0
	s_waitcnt lgkmcnt(0)
	s_and_b32 s0, s0, 0x3ff
	s_delay_alu instid0(SALU_CYCLE_1) | instskip(NEXT) | instid1(SALU_CYCLE_1)
	s_bitset1_b32 s0, 10
	s_mov_b32 m0, s0
	s_sendmsg sendmsg(MSG_INTERRUPT)
	s_mov_b32 m0, ttmp2
.LBB39_2132:                            ; =>This Inner Loop Header: Depth=1
	s_sethalt 5
	s_branch .LBB39_2132
.LBB39_2133:
	s_cbranch_execnz .LBB39_2137
; %bb.2134:
	s_mov_b32 s1, 0
	s_or_b32 s2, s2, exec_lo
	s_branch .LBB39_2101
.LBB39_2135:
	s_or_saveexec_b32 s4, s4
                                        ; implicit-def: $sgpr5
	s_delay_alu instid0(SALU_CYCLE_1)
	s_xor_b32 exec_lo, exec_lo, s4
	s_cbranch_execz .LBB39_2067
.LBB39_2136:
	v_add_f32_e64 v7, 0x42800000, |v6|
	s_and_not1_b32 s3, s3, exec_lo
	s_mov_b32 s5, 0
	s_delay_alu instid0(VALU_DEP_1) | instskip(NEXT) | instid1(VALU_DEP_1)
	v_and_b32_e32 v7, 0xff, v7
	v_cmp_ne_u32_e32 vcc_lo, 0, v7
	s_and_b32 s6, vcc_lo, exec_lo
	s_delay_alu instid0(SALU_CYCLE_1)
	s_or_b32 s3, s3, s6
	s_or_b32 exec_lo, exec_lo, s4
	v_mov_b32_e32 v8, s5
	s_and_saveexec_b32 s4, s3
	s_cbranch_execnz .LBB39_2068
	s_branch .LBB39_2069
.LBB39_2137:
	s_trap 2
	s_sendmsg_rtn_b32 s0, sendmsg(MSG_RTN_GET_DOORBELL)
	s_mov_b32 ttmp2, m0
	s_waitcnt lgkmcnt(0)
	s_and_b32 s0, s0, 0x3ff
	s_delay_alu instid0(SALU_CYCLE_1) | instskip(NEXT) | instid1(SALU_CYCLE_1)
	s_bitset1_b32 s0, 10
	s_mov_b32 m0, s0
	s_sendmsg sendmsg(MSG_INTERRUPT)
	s_mov_b32 m0, ttmp2
.LBB39_2138:                            ; =>This Inner Loop Header: Depth=1
	s_sethalt 5
	s_branch .LBB39_2138
	.section	.rodata,"a",@progbits
	.p2align	6, 0x0
	.amdhsa_kernel _ZN2at6native32elementwise_kernel_manual_unrollILi128ELi4EZNS0_15gpu_kernel_implIZZZNS0_23bitwise_not_kernel_cudaERNS_18TensorIteratorBaseEENKUlvE_clEvENKUlvE2_clEvEUllE_EEvS4_RKT_EUlibE0_EEviT1_
		.amdhsa_group_segment_fixed_size 0
		.amdhsa_private_segment_fixed_size 0
		.amdhsa_kernarg_size 360
		.amdhsa_user_sgpr_count 15
		.amdhsa_user_sgpr_dispatch_ptr 0
		.amdhsa_user_sgpr_queue_ptr 0
		.amdhsa_user_sgpr_kernarg_segment_ptr 1
		.amdhsa_user_sgpr_dispatch_id 0
		.amdhsa_user_sgpr_private_segment_size 0
		.amdhsa_wavefront_size32 1
		.amdhsa_uses_dynamic_stack 0
		.amdhsa_enable_private_segment 0
		.amdhsa_system_sgpr_workgroup_id_x 1
		.amdhsa_system_sgpr_workgroup_id_y 0
		.amdhsa_system_sgpr_workgroup_id_z 0
		.amdhsa_system_sgpr_workgroup_info 0
		.amdhsa_system_vgpr_workitem_id 0
		.amdhsa_next_free_vgpr 21
		.amdhsa_next_free_sgpr 68
		.amdhsa_reserve_vcc 1
		.amdhsa_float_round_mode_32 0
		.amdhsa_float_round_mode_16_64 0
		.amdhsa_float_denorm_mode_32 3
		.amdhsa_float_denorm_mode_16_64 3
		.amdhsa_dx10_clamp 1
		.amdhsa_ieee_mode 1
		.amdhsa_fp16_overflow 0
		.amdhsa_workgroup_processor_mode 1
		.amdhsa_memory_ordered 1
		.amdhsa_forward_progress 0
		.amdhsa_shared_vgpr_count 0
		.amdhsa_exception_fp_ieee_invalid_op 0
		.amdhsa_exception_fp_denorm_src 0
		.amdhsa_exception_fp_ieee_div_zero 0
		.amdhsa_exception_fp_ieee_overflow 0
		.amdhsa_exception_fp_ieee_underflow 0
		.amdhsa_exception_fp_ieee_inexact 0
		.amdhsa_exception_int_div_zero 0
	.end_amdhsa_kernel
	.section	.text._ZN2at6native32elementwise_kernel_manual_unrollILi128ELi4EZNS0_15gpu_kernel_implIZZZNS0_23bitwise_not_kernel_cudaERNS_18TensorIteratorBaseEENKUlvE_clEvENKUlvE2_clEvEUllE_EEvS4_RKT_EUlibE0_EEviT1_,"axG",@progbits,_ZN2at6native32elementwise_kernel_manual_unrollILi128ELi4EZNS0_15gpu_kernel_implIZZZNS0_23bitwise_not_kernel_cudaERNS_18TensorIteratorBaseEENKUlvE_clEvENKUlvE2_clEvEUllE_EEvS4_RKT_EUlibE0_EEviT1_,comdat
.Lfunc_end39:
	.size	_ZN2at6native32elementwise_kernel_manual_unrollILi128ELi4EZNS0_15gpu_kernel_implIZZZNS0_23bitwise_not_kernel_cudaERNS_18TensorIteratorBaseEENKUlvE_clEvENKUlvE2_clEvEUllE_EEvS4_RKT_EUlibE0_EEviT1_, .Lfunc_end39-_ZN2at6native32elementwise_kernel_manual_unrollILi128ELi4EZNS0_15gpu_kernel_implIZZZNS0_23bitwise_not_kernel_cudaERNS_18TensorIteratorBaseEENKUlvE_clEvENKUlvE2_clEvEUllE_EEvS4_RKT_EUlibE0_EEviT1_
                                        ; -- End function
	.section	.AMDGPU.csdata,"",@progbits
; Kernel info:
; codeLenInByte = 51756
; NumSgprs: 70
; NumVgprs: 21
; ScratchSize: 0
; MemoryBound: 1
; FloatMode: 240
; IeeeMode: 1
; LDSByteSize: 0 bytes/workgroup (compile time only)
; SGPRBlocks: 8
; VGPRBlocks: 2
; NumSGPRsForWavesPerEU: 70
; NumVGPRsForWavesPerEU: 21
; Occupancy: 16
; WaveLimiterHint : 1
; COMPUTE_PGM_RSRC2:SCRATCH_EN: 0
; COMPUTE_PGM_RSRC2:USER_SGPR: 15
; COMPUTE_PGM_RSRC2:TRAP_HANDLER: 0
; COMPUTE_PGM_RSRC2:TGID_X_EN: 1
; COMPUTE_PGM_RSRC2:TGID_Y_EN: 0
; COMPUTE_PGM_RSRC2:TGID_Z_EN: 0
; COMPUTE_PGM_RSRC2:TIDIG_COMP_CNT: 0
	.section	.text._ZN2at6native29vectorized_elementwise_kernelILi16EZZZNS0_23bitwise_not_kernel_cudaERNS_18TensorIteratorBaseEENKUlvE_clEvENKUlvE3_clEvEUlsE_St5arrayIPcLm2EEEEviT0_T1_,"axG",@progbits,_ZN2at6native29vectorized_elementwise_kernelILi16EZZZNS0_23bitwise_not_kernel_cudaERNS_18TensorIteratorBaseEENKUlvE_clEvENKUlvE3_clEvEUlsE_St5arrayIPcLm2EEEEviT0_T1_,comdat
	.globl	_ZN2at6native29vectorized_elementwise_kernelILi16EZZZNS0_23bitwise_not_kernel_cudaERNS_18TensorIteratorBaseEENKUlvE_clEvENKUlvE3_clEvEUlsE_St5arrayIPcLm2EEEEviT0_T1_ ; -- Begin function _ZN2at6native29vectorized_elementwise_kernelILi16EZZZNS0_23bitwise_not_kernel_cudaERNS_18TensorIteratorBaseEENKUlvE_clEvENKUlvE3_clEvEUlsE_St5arrayIPcLm2EEEEviT0_T1_
	.p2align	8
	.type	_ZN2at6native29vectorized_elementwise_kernelILi16EZZZNS0_23bitwise_not_kernel_cudaERNS_18TensorIteratorBaseEENKUlvE_clEvENKUlvE3_clEvEUlsE_St5arrayIPcLm2EEEEviT0_T1_,@function
_ZN2at6native29vectorized_elementwise_kernelILi16EZZZNS0_23bitwise_not_kernel_cudaERNS_18TensorIteratorBaseEENKUlvE_clEvENKUlvE3_clEvEUlsE_St5arrayIPcLm2EEEEviT0_T1_: ; @_ZN2at6native29vectorized_elementwise_kernelILi16EZZZNS0_23bitwise_not_kernel_cudaERNS_18TensorIteratorBaseEENKUlvE_clEvENKUlvE3_clEvEUlsE_St5arrayIPcLm2EEEEviT0_T1_
; %bb.0:
	s_clause 0x1
	s_load_b32 s3, s[0:1], 0x0
	s_load_b128 s[4:7], s[0:1], 0x8
	s_lshl_b32 s2, s15, 11
	s_mov_b32 s0, -1
	s_waitcnt lgkmcnt(0)
	s_sub_i32 s1, s3, s2
	s_delay_alu instid0(SALU_CYCLE_1)
	s_cmpk_gt_i32 s1, 0x7ff
	s_cbranch_scc0 .LBB40_2
; %bb.1:
	s_ashr_i32 s3, s2, 31
	v_lshlrev_b32_e32 v5, 4, v0
	s_lshl_b64 s[8:9], s[2:3], 1
	s_mov_b32 s0, 0
	s_add_u32 s10, s6, s8
	s_addc_u32 s11, s7, s9
	s_add_u32 s8, s4, s8
	global_load_b128 v[1:4], v5, s[10:11]
	s_addc_u32 s9, s5, s9
	s_waitcnt vmcnt(0)
	v_xor_b32_e32 v1, -1, v1
	v_xor_b32_e32 v2, -1, v2
	;; [unrolled: 1-line block ×4, first 2 shown]
	global_store_b128 v5, v[1:4], s[8:9]
.LBB40_2:
	s_and_not1_b32 vcc_lo, exec_lo, s0
	s_cbranch_vccnz .LBB40_28
; %bb.3:
	v_cmp_gt_i32_e32 vcc_lo, s1, v0
	v_dual_mov_b32 v4, -1 :: v_dual_mov_b32 v5, v0
	v_or_b32_e32 v1, s2, v0
	v_or_b32_e32 v3, 0x100, v0
	v_mov_b32_e32 v2, -1
	s_and_saveexec_b32 s3, vcc_lo
	s_cbranch_execz .LBB40_5
; %bb.4:
	v_mov_b32_e32 v2, 0
	s_delay_alu instid0(VALU_DEP_1) | instskip(NEXT) | instid1(VALU_DEP_1)
	v_lshlrev_b64 v[5:6], 1, v[1:2]
	v_add_co_u32 v5, s0, s6, v5
	s_delay_alu instid0(VALU_DEP_1)
	v_add_co_ci_u32_e64 v6, s0, s7, v6, s0
	global_load_u16 v2, v[5:6], off
	v_or_b32_e32 v5, 0x100, v0
	s_waitcnt vmcnt(0)
	v_xor_b32_e32 v2, -1, v2
.LBB40_5:
	s_or_b32 exec_lo, exec_lo, s3
	s_delay_alu instid0(SALU_CYCLE_1)
	s_mov_b32 s3, exec_lo
	v_cmpx_gt_i32_e64 s1, v5
	s_cbranch_execz .LBB40_7
; %bb.6:
	v_dual_mov_b32 v7, 0 :: v_dual_add_nc_u32 v6, s2, v5
	v_add_nc_u32_e32 v5, 0x100, v5
	s_delay_alu instid0(VALU_DEP_2) | instskip(NEXT) | instid1(VALU_DEP_1)
	v_lshlrev_b64 v[6:7], 1, v[6:7]
	v_add_co_u32 v6, s0, s6, v6
	s_delay_alu instid0(VALU_DEP_1)
	v_add_co_ci_u32_e64 v7, s0, s7, v7, s0
	global_load_u16 v4, v[6:7], off
	s_waitcnt vmcnt(0)
	v_xor_b32_e32 v4, -1, v4
.LBB40_7:
	s_or_b32 exec_lo, exec_lo, s3
	v_dual_mov_b32 v6, -1 :: v_dual_mov_b32 v7, -1
	s_mov_b32 s3, exec_lo
	v_cmpx_gt_i32_e64 s1, v5
	s_cbranch_execz .LBB40_9
; %bb.8:
	v_dual_mov_b32 v8, 0 :: v_dual_add_nc_u32 v7, s2, v5
	v_add_nc_u32_e32 v5, 0x100, v5
	s_delay_alu instid0(VALU_DEP_2) | instskip(NEXT) | instid1(VALU_DEP_1)
	v_lshlrev_b64 v[7:8], 1, v[7:8]
	v_add_co_u32 v7, s0, s6, v7
	s_delay_alu instid0(VALU_DEP_1)
	v_add_co_ci_u32_e64 v8, s0, s7, v8, s0
	global_load_u16 v7, v[7:8], off
	s_waitcnt vmcnt(0)
	v_xor_b32_e32 v7, -1, v7
.LBB40_9:
	s_or_b32 exec_lo, exec_lo, s3
	s_delay_alu instid0(SALU_CYCLE_1)
	s_mov_b32 s3, exec_lo
	v_cmpx_gt_i32_e64 s1, v5
	s_cbranch_execz .LBB40_11
; %bb.10:
	v_dual_mov_b32 v9, 0 :: v_dual_add_nc_u32 v8, s2, v5
	v_add_nc_u32_e32 v5, 0x100, v5
	s_delay_alu instid0(VALU_DEP_2) | instskip(NEXT) | instid1(VALU_DEP_1)
	v_lshlrev_b64 v[8:9], 1, v[8:9]
	v_add_co_u32 v8, s0, s6, v8
	s_delay_alu instid0(VALU_DEP_1)
	v_add_co_ci_u32_e64 v9, s0, s7, v9, s0
	global_load_u16 v6, v[8:9], off
	s_waitcnt vmcnt(0)
	v_xor_b32_e32 v6, -1, v6
.LBB40_11:
	s_or_b32 exec_lo, exec_lo, s3
	v_dual_mov_b32 v9, -1 :: v_dual_mov_b32 v8, -1
	s_mov_b32 s3, exec_lo
	v_cmpx_gt_i32_e64 s1, v5
	s_cbranch_execz .LBB40_13
; %bb.12:
	v_dual_mov_b32 v11, 0 :: v_dual_add_nc_u32 v10, s2, v5
	v_add_nc_u32_e32 v5, 0x100, v5
	s_delay_alu instid0(VALU_DEP_2) | instskip(NEXT) | instid1(VALU_DEP_1)
	v_lshlrev_b64 v[10:11], 1, v[10:11]
	v_add_co_u32 v10, s0, s6, v10
	s_delay_alu instid0(VALU_DEP_1)
	v_add_co_ci_u32_e64 v11, s0, s7, v11, s0
	global_load_u16 v8, v[10:11], off
	s_waitcnt vmcnt(0)
	v_xor_b32_e32 v8, -1, v8
.LBB40_13:
	;; [unrolled: 34-line block ×3, first 2 shown]
	s_or_b32 exec_lo, exec_lo, s3
	s_delay_alu instid0(SALU_CYCLE_1)
	s_mov_b32 s3, exec_lo
	v_cmpx_gt_i32_e64 s1, v5
	s_cbranch_execz .LBB40_19
; %bb.18:
	v_dual_mov_b32 v13, 0 :: v_dual_add_nc_u32 v12, s2, v5
	s_delay_alu instid0(VALU_DEP_1) | instskip(NEXT) | instid1(VALU_DEP_1)
	v_lshlrev_b64 v[12:13], 1, v[12:13]
	v_add_co_u32 v12, s0, s6, v12
	s_delay_alu instid0(VALU_DEP_1)
	v_add_co_ci_u32_e64 v13, s0, s7, v13, s0
	global_load_u16 v5, v[12:13], off
	s_waitcnt vmcnt(0)
	v_xor_b32_e32 v10, -1, v5
.LBB40_19:
	s_or_b32 exec_lo, exec_lo, s3
	v_perm_b32 v4, v4, v2, 0x5040100
	v_or_b32_e32 v12, 0x300, v0
	v_cmp_gt_i32_e64 s0, s1, v3
	v_and_b32_e32 v5, 0xffff, v7
	v_perm_b32 v6, v6, v7, 0x5040100
	v_or_b32_e32 v13, 0x700, v0
	v_perm_b32 v10, v10, v11, 0x5040100
	v_cndmask_b32_e64 v7, v2, v4, s0
	v_or_b32_e32 v2, 0x500, v0
	v_cmp_gt_i32_e64 s0, s1, v12
	v_perm_b32 v4, v9, v8, 0x5040100
	v_and_b32_e32 v9, 0xffff, v11
	s_delay_alu instid0(VALU_DEP_3) | instskip(SKIP_1) | instid1(VALU_DEP_1)
	v_cndmask_b32_e64 v6, v5, v6, s0
	v_cmp_gt_i32_e64 s0, s1, v2
	v_cndmask_b32_e64 v5, v8, v4, s0
	v_cmp_gt_i32_e64 s0, s1, v13
	s_delay_alu instid0(VALU_DEP_1)
	v_cndmask_b32_e64 v4, v9, v10, s0
	s_and_saveexec_b32 s0, vcc_lo
	s_cbranch_execnz .LBB40_29
; %bb.20:
	s_or_b32 exec_lo, exec_lo, s0
	s_delay_alu instid0(SALU_CYCLE_1)
	s_mov_b32 s0, exec_lo
	v_cmpx_gt_i32_e64 s1, v0
	s_cbranch_execnz .LBB40_30
.LBB40_21:
	s_or_b32 exec_lo, exec_lo, s0
	s_delay_alu instid0(SALU_CYCLE_1)
	s_mov_b32 s0, exec_lo
	v_cmpx_gt_i32_e64 s1, v0
	s_cbranch_execnz .LBB40_31
.LBB40_22:
	s_or_b32 exec_lo, exec_lo, s0
	s_delay_alu instid0(SALU_CYCLE_1)
	s_mov_b32 s0, exec_lo
	v_cmpx_gt_i32_e64 s1, v0
	s_cbranch_execnz .LBB40_32
.LBB40_23:
	s_or_b32 exec_lo, exec_lo, s0
	s_delay_alu instid0(SALU_CYCLE_1)
	s_mov_b32 s0, exec_lo
	v_cmpx_gt_i32_e64 s1, v0
	s_cbranch_execnz .LBB40_33
.LBB40_24:
	s_or_b32 exec_lo, exec_lo, s0
	s_delay_alu instid0(SALU_CYCLE_1)
	s_mov_b32 s0, exec_lo
	v_cmpx_gt_i32_e64 s1, v0
	s_cbranch_execnz .LBB40_34
.LBB40_25:
	s_or_b32 exec_lo, exec_lo, s0
	s_delay_alu instid0(SALU_CYCLE_1)
	s_mov_b32 s0, exec_lo
	v_cmpx_gt_i32_e64 s1, v0
	s_cbranch_execnz .LBB40_35
.LBB40_26:
	s_or_b32 exec_lo, exec_lo, s0
	s_delay_alu instid0(SALU_CYCLE_1)
	s_mov_b32 s0, exec_lo
	v_cmpx_gt_i32_e64 s1, v0
	s_cbranch_execz .LBB40_28
.LBB40_27:
	v_dual_mov_b32 v1, 0 :: v_dual_add_nc_u32 v0, s2, v0
	s_delay_alu instid0(VALU_DEP_1) | instskip(NEXT) | instid1(VALU_DEP_1)
	v_lshlrev_b64 v[0:1], 1, v[0:1]
	v_add_co_u32 v0, vcc_lo, s4, v0
	s_delay_alu instid0(VALU_DEP_2)
	v_add_co_ci_u32_e32 v1, vcc_lo, s5, v1, vcc_lo
	global_store_d16_hi_b16 v[0:1], v4, off
.LBB40_28:
	s_nop 0
	s_sendmsg sendmsg(MSG_DEALLOC_VGPRS)
	s_endpgm
.LBB40_29:
	v_mov_b32_e32 v2, 0
	s_delay_alu instid0(VALU_DEP_1) | instskip(NEXT) | instid1(VALU_DEP_1)
	v_lshlrev_b64 v[0:1], 1, v[1:2]
	v_add_co_u32 v8, vcc_lo, s4, v0
	s_delay_alu instid0(VALU_DEP_2) | instskip(SKIP_3) | instid1(SALU_CYCLE_1)
	v_add_co_ci_u32_e32 v9, vcc_lo, s5, v1, vcc_lo
	v_mov_b32_e32 v0, v3
	global_store_b16 v[8:9], v7, off
	s_or_b32 exec_lo, exec_lo, s0
	s_mov_b32 s0, exec_lo
	v_cmpx_gt_i32_e64 s1, v0
	s_cbranch_execz .LBB40_21
.LBB40_30:
	v_dual_mov_b32 v2, 0 :: v_dual_add_nc_u32 v1, s2, v0
	v_add_nc_u32_e32 v0, 0x100, v0
	s_delay_alu instid0(VALU_DEP_2) | instskip(NEXT) | instid1(VALU_DEP_1)
	v_lshlrev_b64 v[1:2], 1, v[1:2]
	v_add_co_u32 v1, vcc_lo, s4, v1
	s_delay_alu instid0(VALU_DEP_2) | instskip(SKIP_2) | instid1(SALU_CYCLE_1)
	v_add_co_ci_u32_e32 v2, vcc_lo, s5, v2, vcc_lo
	global_store_d16_hi_b16 v[1:2], v7, off
	s_or_b32 exec_lo, exec_lo, s0
	s_mov_b32 s0, exec_lo
	v_cmpx_gt_i32_e64 s1, v0
	s_cbranch_execz .LBB40_22
.LBB40_31:
	v_dual_mov_b32 v2, 0 :: v_dual_add_nc_u32 v1, s2, v0
	v_add_nc_u32_e32 v0, 0x100, v0
	s_delay_alu instid0(VALU_DEP_2) | instskip(NEXT) | instid1(VALU_DEP_1)
	v_lshlrev_b64 v[1:2], 1, v[1:2]
	v_add_co_u32 v1, vcc_lo, s4, v1
	s_delay_alu instid0(VALU_DEP_2) | instskip(SKIP_2) | instid1(SALU_CYCLE_1)
	v_add_co_ci_u32_e32 v2, vcc_lo, s5, v2, vcc_lo
	global_store_b16 v[1:2], v6, off
	s_or_b32 exec_lo, exec_lo, s0
	s_mov_b32 s0, exec_lo
	v_cmpx_gt_i32_e64 s1, v0
	s_cbranch_execz .LBB40_23
.LBB40_32:
	v_dual_mov_b32 v2, 0 :: v_dual_add_nc_u32 v1, s2, v0
	v_add_nc_u32_e32 v0, 0x100, v0
	s_delay_alu instid0(VALU_DEP_2) | instskip(NEXT) | instid1(VALU_DEP_1)
	v_lshlrev_b64 v[1:2], 1, v[1:2]
	v_add_co_u32 v1, vcc_lo, s4, v1
	s_delay_alu instid0(VALU_DEP_2) | instskip(SKIP_2) | instid1(SALU_CYCLE_1)
	v_add_co_ci_u32_e32 v2, vcc_lo, s5, v2, vcc_lo
	global_store_d16_hi_b16 v[1:2], v6, off
	s_or_b32 exec_lo, exec_lo, s0
	s_mov_b32 s0, exec_lo
	v_cmpx_gt_i32_e64 s1, v0
	s_cbranch_execz .LBB40_24
.LBB40_33:
	v_dual_mov_b32 v2, 0 :: v_dual_add_nc_u32 v1, s2, v0
	v_add_nc_u32_e32 v0, 0x100, v0
	s_delay_alu instid0(VALU_DEP_2) | instskip(NEXT) | instid1(VALU_DEP_1)
	v_lshlrev_b64 v[1:2], 1, v[1:2]
	v_add_co_u32 v1, vcc_lo, s4, v1
	s_delay_alu instid0(VALU_DEP_2) | instskip(SKIP_2) | instid1(SALU_CYCLE_1)
	v_add_co_ci_u32_e32 v2, vcc_lo, s5, v2, vcc_lo
	global_store_b16 v[1:2], v5, off
	s_or_b32 exec_lo, exec_lo, s0
	s_mov_b32 s0, exec_lo
	v_cmpx_gt_i32_e64 s1, v0
	s_cbranch_execz .LBB40_25
.LBB40_34:
	v_dual_mov_b32 v2, 0 :: v_dual_add_nc_u32 v1, s2, v0
	v_add_nc_u32_e32 v0, 0x100, v0
	s_delay_alu instid0(VALU_DEP_2) | instskip(NEXT) | instid1(VALU_DEP_1)
	v_lshlrev_b64 v[1:2], 1, v[1:2]
	v_add_co_u32 v1, vcc_lo, s4, v1
	s_delay_alu instid0(VALU_DEP_2) | instskip(SKIP_2) | instid1(SALU_CYCLE_1)
	v_add_co_ci_u32_e32 v2, vcc_lo, s5, v2, vcc_lo
	global_store_d16_hi_b16 v[1:2], v5, off
	s_or_b32 exec_lo, exec_lo, s0
	s_mov_b32 s0, exec_lo
	v_cmpx_gt_i32_e64 s1, v0
	s_cbranch_execz .LBB40_26
.LBB40_35:
	v_dual_mov_b32 v2, 0 :: v_dual_add_nc_u32 v1, s2, v0
	v_add_nc_u32_e32 v0, 0x100, v0
	s_delay_alu instid0(VALU_DEP_2) | instskip(NEXT) | instid1(VALU_DEP_1)
	v_lshlrev_b64 v[1:2], 1, v[1:2]
	v_add_co_u32 v1, vcc_lo, s4, v1
	s_delay_alu instid0(VALU_DEP_2) | instskip(SKIP_2) | instid1(SALU_CYCLE_1)
	v_add_co_ci_u32_e32 v2, vcc_lo, s5, v2, vcc_lo
	global_store_b16 v[1:2], v4, off
	s_or_b32 exec_lo, exec_lo, s0
	s_mov_b32 s0, exec_lo
	v_cmpx_gt_i32_e64 s1, v0
	s_cbranch_execnz .LBB40_27
	s_branch .LBB40_28
	.section	.rodata,"a",@progbits
	.p2align	6, 0x0
	.amdhsa_kernel _ZN2at6native29vectorized_elementwise_kernelILi16EZZZNS0_23bitwise_not_kernel_cudaERNS_18TensorIteratorBaseEENKUlvE_clEvENKUlvE3_clEvEUlsE_St5arrayIPcLm2EEEEviT0_T1_
		.amdhsa_group_segment_fixed_size 0
		.amdhsa_private_segment_fixed_size 0
		.amdhsa_kernarg_size 24
		.amdhsa_user_sgpr_count 15
		.amdhsa_user_sgpr_dispatch_ptr 0
		.amdhsa_user_sgpr_queue_ptr 0
		.amdhsa_user_sgpr_kernarg_segment_ptr 1
		.amdhsa_user_sgpr_dispatch_id 0
		.amdhsa_user_sgpr_private_segment_size 0
		.amdhsa_wavefront_size32 1
		.amdhsa_uses_dynamic_stack 0
		.amdhsa_enable_private_segment 0
		.amdhsa_system_sgpr_workgroup_id_x 1
		.amdhsa_system_sgpr_workgroup_id_y 0
		.amdhsa_system_sgpr_workgroup_id_z 0
		.amdhsa_system_sgpr_workgroup_info 0
		.amdhsa_system_vgpr_workitem_id 0
		.amdhsa_next_free_vgpr 14
		.amdhsa_next_free_sgpr 16
		.amdhsa_reserve_vcc 1
		.amdhsa_float_round_mode_32 0
		.amdhsa_float_round_mode_16_64 0
		.amdhsa_float_denorm_mode_32 3
		.amdhsa_float_denorm_mode_16_64 3
		.amdhsa_dx10_clamp 1
		.amdhsa_ieee_mode 1
		.amdhsa_fp16_overflow 0
		.amdhsa_workgroup_processor_mode 1
		.amdhsa_memory_ordered 1
		.amdhsa_forward_progress 0
		.amdhsa_shared_vgpr_count 0
		.amdhsa_exception_fp_ieee_invalid_op 0
		.amdhsa_exception_fp_denorm_src 0
		.amdhsa_exception_fp_ieee_div_zero 0
		.amdhsa_exception_fp_ieee_overflow 0
		.amdhsa_exception_fp_ieee_underflow 0
		.amdhsa_exception_fp_ieee_inexact 0
		.amdhsa_exception_int_div_zero 0
	.end_amdhsa_kernel
	.section	.text._ZN2at6native29vectorized_elementwise_kernelILi16EZZZNS0_23bitwise_not_kernel_cudaERNS_18TensorIteratorBaseEENKUlvE_clEvENKUlvE3_clEvEUlsE_St5arrayIPcLm2EEEEviT0_T1_,"axG",@progbits,_ZN2at6native29vectorized_elementwise_kernelILi16EZZZNS0_23bitwise_not_kernel_cudaERNS_18TensorIteratorBaseEENKUlvE_clEvENKUlvE3_clEvEUlsE_St5arrayIPcLm2EEEEviT0_T1_,comdat
.Lfunc_end40:
	.size	_ZN2at6native29vectorized_elementwise_kernelILi16EZZZNS0_23bitwise_not_kernel_cudaERNS_18TensorIteratorBaseEENKUlvE_clEvENKUlvE3_clEvEUlsE_St5arrayIPcLm2EEEEviT0_T1_, .Lfunc_end40-_ZN2at6native29vectorized_elementwise_kernelILi16EZZZNS0_23bitwise_not_kernel_cudaERNS_18TensorIteratorBaseEENKUlvE_clEvENKUlvE3_clEvEUlsE_St5arrayIPcLm2EEEEviT0_T1_
                                        ; -- End function
	.section	.AMDGPU.csdata,"",@progbits
; Kernel info:
; codeLenInByte = 1736
; NumSgprs: 18
; NumVgprs: 14
; ScratchSize: 0
; MemoryBound: 0
; FloatMode: 240
; IeeeMode: 1
; LDSByteSize: 0 bytes/workgroup (compile time only)
; SGPRBlocks: 2
; VGPRBlocks: 1
; NumSGPRsForWavesPerEU: 18
; NumVGPRsForWavesPerEU: 14
; Occupancy: 16
; WaveLimiterHint : 0
; COMPUTE_PGM_RSRC2:SCRATCH_EN: 0
; COMPUTE_PGM_RSRC2:USER_SGPR: 15
; COMPUTE_PGM_RSRC2:TRAP_HANDLER: 0
; COMPUTE_PGM_RSRC2:TGID_X_EN: 1
; COMPUTE_PGM_RSRC2:TGID_Y_EN: 0
; COMPUTE_PGM_RSRC2:TGID_Z_EN: 0
; COMPUTE_PGM_RSRC2:TIDIG_COMP_CNT: 0
	.section	.text._ZN2at6native29vectorized_elementwise_kernelILi8EZZZNS0_23bitwise_not_kernel_cudaERNS_18TensorIteratorBaseEENKUlvE_clEvENKUlvE3_clEvEUlsE_St5arrayIPcLm2EEEEviT0_T1_,"axG",@progbits,_ZN2at6native29vectorized_elementwise_kernelILi8EZZZNS0_23bitwise_not_kernel_cudaERNS_18TensorIteratorBaseEENKUlvE_clEvENKUlvE3_clEvEUlsE_St5arrayIPcLm2EEEEviT0_T1_,comdat
	.globl	_ZN2at6native29vectorized_elementwise_kernelILi8EZZZNS0_23bitwise_not_kernel_cudaERNS_18TensorIteratorBaseEENKUlvE_clEvENKUlvE3_clEvEUlsE_St5arrayIPcLm2EEEEviT0_T1_ ; -- Begin function _ZN2at6native29vectorized_elementwise_kernelILi8EZZZNS0_23bitwise_not_kernel_cudaERNS_18TensorIteratorBaseEENKUlvE_clEvENKUlvE3_clEvEUlsE_St5arrayIPcLm2EEEEviT0_T1_
	.p2align	8
	.type	_ZN2at6native29vectorized_elementwise_kernelILi8EZZZNS0_23bitwise_not_kernel_cudaERNS_18TensorIteratorBaseEENKUlvE_clEvENKUlvE3_clEvEUlsE_St5arrayIPcLm2EEEEviT0_T1_,@function
_ZN2at6native29vectorized_elementwise_kernelILi8EZZZNS0_23bitwise_not_kernel_cudaERNS_18TensorIteratorBaseEENKUlvE_clEvENKUlvE3_clEvEUlsE_St5arrayIPcLm2EEEEviT0_T1_: ; @_ZN2at6native29vectorized_elementwise_kernelILi8EZZZNS0_23bitwise_not_kernel_cudaERNS_18TensorIteratorBaseEENKUlvE_clEvENKUlvE3_clEvEUlsE_St5arrayIPcLm2EEEEviT0_T1_
; %bb.0:
	s_clause 0x1
	s_load_b32 s3, s[0:1], 0x0
	s_load_b128 s[4:7], s[0:1], 0x8
	s_lshl_b32 s2, s15, 11
	s_mov_b32 s0, -1
	s_waitcnt lgkmcnt(0)
	s_sub_i32 s1, s3, s2
	s_delay_alu instid0(SALU_CYCLE_1)
	s_cmpk_gt_i32 s1, 0x7ff
	s_cbranch_scc0 .LBB41_2
; %bb.1:
	s_ashr_i32 s3, s2, 31
	v_lshlrev_b32_e32 v5, 4, v0
	s_lshl_b64 s[8:9], s[2:3], 1
	s_mov_b32 s0, 0
	s_add_u32 s10, s6, s8
	s_addc_u32 s11, s7, s9
	s_add_u32 s8, s4, s8
	global_load_b128 v[1:4], v5, s[10:11]
	s_addc_u32 s9, s5, s9
	s_waitcnt vmcnt(0)
	v_xor_b32_e32 v1, -1, v1
	v_xor_b32_e32 v2, -1, v2
	;; [unrolled: 1-line block ×4, first 2 shown]
	global_store_b128 v5, v[1:4], s[8:9]
.LBB41_2:
	s_and_not1_b32 vcc_lo, exec_lo, s0
	s_cbranch_vccnz .LBB41_28
; %bb.3:
	v_cmp_gt_i32_e32 vcc_lo, s1, v0
	v_dual_mov_b32 v4, -1 :: v_dual_mov_b32 v5, v0
	v_or_b32_e32 v1, s2, v0
	v_or_b32_e32 v3, 0x100, v0
	v_mov_b32_e32 v2, -1
	s_and_saveexec_b32 s3, vcc_lo
	s_cbranch_execz .LBB41_5
; %bb.4:
	v_mov_b32_e32 v2, 0
	s_delay_alu instid0(VALU_DEP_1) | instskip(NEXT) | instid1(VALU_DEP_1)
	v_lshlrev_b64 v[5:6], 1, v[1:2]
	v_add_co_u32 v5, s0, s6, v5
	s_delay_alu instid0(VALU_DEP_1)
	v_add_co_ci_u32_e64 v6, s0, s7, v6, s0
	global_load_u16 v2, v[5:6], off
	v_or_b32_e32 v5, 0x100, v0
	s_waitcnt vmcnt(0)
	v_xor_b32_e32 v2, -1, v2
.LBB41_5:
	s_or_b32 exec_lo, exec_lo, s3
	s_delay_alu instid0(SALU_CYCLE_1)
	s_mov_b32 s3, exec_lo
	v_cmpx_gt_i32_e64 s1, v5
	s_cbranch_execz .LBB41_7
; %bb.6:
	v_dual_mov_b32 v7, 0 :: v_dual_add_nc_u32 v6, s2, v5
	v_add_nc_u32_e32 v5, 0x100, v5
	s_delay_alu instid0(VALU_DEP_2) | instskip(NEXT) | instid1(VALU_DEP_1)
	v_lshlrev_b64 v[6:7], 1, v[6:7]
	v_add_co_u32 v6, s0, s6, v6
	s_delay_alu instid0(VALU_DEP_1)
	v_add_co_ci_u32_e64 v7, s0, s7, v7, s0
	global_load_u16 v4, v[6:7], off
	s_waitcnt vmcnt(0)
	v_xor_b32_e32 v4, -1, v4
.LBB41_7:
	s_or_b32 exec_lo, exec_lo, s3
	v_dual_mov_b32 v6, -1 :: v_dual_mov_b32 v7, -1
	s_mov_b32 s3, exec_lo
	v_cmpx_gt_i32_e64 s1, v5
	s_cbranch_execz .LBB41_9
; %bb.8:
	v_dual_mov_b32 v8, 0 :: v_dual_add_nc_u32 v7, s2, v5
	v_add_nc_u32_e32 v5, 0x100, v5
	s_delay_alu instid0(VALU_DEP_2) | instskip(NEXT) | instid1(VALU_DEP_1)
	v_lshlrev_b64 v[7:8], 1, v[7:8]
	v_add_co_u32 v7, s0, s6, v7
	s_delay_alu instid0(VALU_DEP_1)
	v_add_co_ci_u32_e64 v8, s0, s7, v8, s0
	global_load_u16 v7, v[7:8], off
	s_waitcnt vmcnt(0)
	v_xor_b32_e32 v7, -1, v7
.LBB41_9:
	s_or_b32 exec_lo, exec_lo, s3
	s_delay_alu instid0(SALU_CYCLE_1)
	s_mov_b32 s3, exec_lo
	v_cmpx_gt_i32_e64 s1, v5
	s_cbranch_execz .LBB41_11
; %bb.10:
	v_dual_mov_b32 v9, 0 :: v_dual_add_nc_u32 v8, s2, v5
	v_add_nc_u32_e32 v5, 0x100, v5
	s_delay_alu instid0(VALU_DEP_2) | instskip(NEXT) | instid1(VALU_DEP_1)
	v_lshlrev_b64 v[8:9], 1, v[8:9]
	v_add_co_u32 v8, s0, s6, v8
	s_delay_alu instid0(VALU_DEP_1)
	v_add_co_ci_u32_e64 v9, s0, s7, v9, s0
	global_load_u16 v6, v[8:9], off
	s_waitcnt vmcnt(0)
	v_xor_b32_e32 v6, -1, v6
.LBB41_11:
	s_or_b32 exec_lo, exec_lo, s3
	v_dual_mov_b32 v9, -1 :: v_dual_mov_b32 v8, -1
	s_mov_b32 s3, exec_lo
	v_cmpx_gt_i32_e64 s1, v5
	s_cbranch_execz .LBB41_13
; %bb.12:
	v_dual_mov_b32 v11, 0 :: v_dual_add_nc_u32 v10, s2, v5
	v_add_nc_u32_e32 v5, 0x100, v5
	s_delay_alu instid0(VALU_DEP_2) | instskip(NEXT) | instid1(VALU_DEP_1)
	v_lshlrev_b64 v[10:11], 1, v[10:11]
	v_add_co_u32 v10, s0, s6, v10
	s_delay_alu instid0(VALU_DEP_1)
	v_add_co_ci_u32_e64 v11, s0, s7, v11, s0
	global_load_u16 v8, v[10:11], off
	s_waitcnt vmcnt(0)
	v_xor_b32_e32 v8, -1, v8
.LBB41_13:
	;; [unrolled: 34-line block ×3, first 2 shown]
	s_or_b32 exec_lo, exec_lo, s3
	s_delay_alu instid0(SALU_CYCLE_1)
	s_mov_b32 s3, exec_lo
	v_cmpx_gt_i32_e64 s1, v5
	s_cbranch_execz .LBB41_19
; %bb.18:
	v_dual_mov_b32 v13, 0 :: v_dual_add_nc_u32 v12, s2, v5
	s_delay_alu instid0(VALU_DEP_1) | instskip(NEXT) | instid1(VALU_DEP_1)
	v_lshlrev_b64 v[12:13], 1, v[12:13]
	v_add_co_u32 v12, s0, s6, v12
	s_delay_alu instid0(VALU_DEP_1)
	v_add_co_ci_u32_e64 v13, s0, s7, v13, s0
	global_load_u16 v5, v[12:13], off
	s_waitcnt vmcnt(0)
	v_xor_b32_e32 v10, -1, v5
.LBB41_19:
	s_or_b32 exec_lo, exec_lo, s3
	v_perm_b32 v4, v4, v2, 0x5040100
	v_or_b32_e32 v12, 0x300, v0
	v_cmp_gt_i32_e64 s0, s1, v3
	v_and_b32_e32 v5, 0xffff, v7
	v_perm_b32 v6, v6, v7, 0x5040100
	v_or_b32_e32 v13, 0x700, v0
	v_perm_b32 v10, v10, v11, 0x5040100
	v_cndmask_b32_e64 v7, v2, v4, s0
	v_or_b32_e32 v2, 0x500, v0
	v_cmp_gt_i32_e64 s0, s1, v12
	v_perm_b32 v4, v9, v8, 0x5040100
	v_and_b32_e32 v9, 0xffff, v11
	s_delay_alu instid0(VALU_DEP_3) | instskip(SKIP_1) | instid1(VALU_DEP_1)
	v_cndmask_b32_e64 v6, v5, v6, s0
	v_cmp_gt_i32_e64 s0, s1, v2
	v_cndmask_b32_e64 v5, v8, v4, s0
	v_cmp_gt_i32_e64 s0, s1, v13
	s_delay_alu instid0(VALU_DEP_1)
	v_cndmask_b32_e64 v4, v9, v10, s0
	s_and_saveexec_b32 s0, vcc_lo
	s_cbranch_execnz .LBB41_29
; %bb.20:
	s_or_b32 exec_lo, exec_lo, s0
	s_delay_alu instid0(SALU_CYCLE_1)
	s_mov_b32 s0, exec_lo
	v_cmpx_gt_i32_e64 s1, v0
	s_cbranch_execnz .LBB41_30
.LBB41_21:
	s_or_b32 exec_lo, exec_lo, s0
	s_delay_alu instid0(SALU_CYCLE_1)
	s_mov_b32 s0, exec_lo
	v_cmpx_gt_i32_e64 s1, v0
	s_cbranch_execnz .LBB41_31
.LBB41_22:
	s_or_b32 exec_lo, exec_lo, s0
	s_delay_alu instid0(SALU_CYCLE_1)
	s_mov_b32 s0, exec_lo
	v_cmpx_gt_i32_e64 s1, v0
	s_cbranch_execnz .LBB41_32
.LBB41_23:
	s_or_b32 exec_lo, exec_lo, s0
	s_delay_alu instid0(SALU_CYCLE_1)
	s_mov_b32 s0, exec_lo
	v_cmpx_gt_i32_e64 s1, v0
	s_cbranch_execnz .LBB41_33
.LBB41_24:
	s_or_b32 exec_lo, exec_lo, s0
	s_delay_alu instid0(SALU_CYCLE_1)
	s_mov_b32 s0, exec_lo
	v_cmpx_gt_i32_e64 s1, v0
	s_cbranch_execnz .LBB41_34
.LBB41_25:
	s_or_b32 exec_lo, exec_lo, s0
	s_delay_alu instid0(SALU_CYCLE_1)
	s_mov_b32 s0, exec_lo
	v_cmpx_gt_i32_e64 s1, v0
	s_cbranch_execnz .LBB41_35
.LBB41_26:
	s_or_b32 exec_lo, exec_lo, s0
	s_delay_alu instid0(SALU_CYCLE_1)
	s_mov_b32 s0, exec_lo
	v_cmpx_gt_i32_e64 s1, v0
	s_cbranch_execz .LBB41_28
.LBB41_27:
	v_dual_mov_b32 v1, 0 :: v_dual_add_nc_u32 v0, s2, v0
	s_delay_alu instid0(VALU_DEP_1) | instskip(NEXT) | instid1(VALU_DEP_1)
	v_lshlrev_b64 v[0:1], 1, v[0:1]
	v_add_co_u32 v0, vcc_lo, s4, v0
	s_delay_alu instid0(VALU_DEP_2)
	v_add_co_ci_u32_e32 v1, vcc_lo, s5, v1, vcc_lo
	global_store_d16_hi_b16 v[0:1], v4, off
.LBB41_28:
	s_nop 0
	s_sendmsg sendmsg(MSG_DEALLOC_VGPRS)
	s_endpgm
.LBB41_29:
	v_mov_b32_e32 v2, 0
	s_delay_alu instid0(VALU_DEP_1) | instskip(NEXT) | instid1(VALU_DEP_1)
	v_lshlrev_b64 v[0:1], 1, v[1:2]
	v_add_co_u32 v8, vcc_lo, s4, v0
	s_delay_alu instid0(VALU_DEP_2) | instskip(SKIP_3) | instid1(SALU_CYCLE_1)
	v_add_co_ci_u32_e32 v9, vcc_lo, s5, v1, vcc_lo
	v_mov_b32_e32 v0, v3
	global_store_b16 v[8:9], v7, off
	s_or_b32 exec_lo, exec_lo, s0
	s_mov_b32 s0, exec_lo
	v_cmpx_gt_i32_e64 s1, v0
	s_cbranch_execz .LBB41_21
.LBB41_30:
	v_dual_mov_b32 v2, 0 :: v_dual_add_nc_u32 v1, s2, v0
	v_add_nc_u32_e32 v0, 0x100, v0
	s_delay_alu instid0(VALU_DEP_2) | instskip(NEXT) | instid1(VALU_DEP_1)
	v_lshlrev_b64 v[1:2], 1, v[1:2]
	v_add_co_u32 v1, vcc_lo, s4, v1
	s_delay_alu instid0(VALU_DEP_2) | instskip(SKIP_2) | instid1(SALU_CYCLE_1)
	v_add_co_ci_u32_e32 v2, vcc_lo, s5, v2, vcc_lo
	global_store_d16_hi_b16 v[1:2], v7, off
	s_or_b32 exec_lo, exec_lo, s0
	s_mov_b32 s0, exec_lo
	v_cmpx_gt_i32_e64 s1, v0
	s_cbranch_execz .LBB41_22
.LBB41_31:
	v_dual_mov_b32 v2, 0 :: v_dual_add_nc_u32 v1, s2, v0
	v_add_nc_u32_e32 v0, 0x100, v0
	s_delay_alu instid0(VALU_DEP_2) | instskip(NEXT) | instid1(VALU_DEP_1)
	v_lshlrev_b64 v[1:2], 1, v[1:2]
	v_add_co_u32 v1, vcc_lo, s4, v1
	s_delay_alu instid0(VALU_DEP_2) | instskip(SKIP_2) | instid1(SALU_CYCLE_1)
	v_add_co_ci_u32_e32 v2, vcc_lo, s5, v2, vcc_lo
	global_store_b16 v[1:2], v6, off
	s_or_b32 exec_lo, exec_lo, s0
	s_mov_b32 s0, exec_lo
	v_cmpx_gt_i32_e64 s1, v0
	s_cbranch_execz .LBB41_23
.LBB41_32:
	v_dual_mov_b32 v2, 0 :: v_dual_add_nc_u32 v1, s2, v0
	v_add_nc_u32_e32 v0, 0x100, v0
	s_delay_alu instid0(VALU_DEP_2) | instskip(NEXT) | instid1(VALU_DEP_1)
	v_lshlrev_b64 v[1:2], 1, v[1:2]
	v_add_co_u32 v1, vcc_lo, s4, v1
	s_delay_alu instid0(VALU_DEP_2) | instskip(SKIP_2) | instid1(SALU_CYCLE_1)
	v_add_co_ci_u32_e32 v2, vcc_lo, s5, v2, vcc_lo
	global_store_d16_hi_b16 v[1:2], v6, off
	s_or_b32 exec_lo, exec_lo, s0
	s_mov_b32 s0, exec_lo
	v_cmpx_gt_i32_e64 s1, v0
	s_cbranch_execz .LBB41_24
.LBB41_33:
	v_dual_mov_b32 v2, 0 :: v_dual_add_nc_u32 v1, s2, v0
	v_add_nc_u32_e32 v0, 0x100, v0
	s_delay_alu instid0(VALU_DEP_2) | instskip(NEXT) | instid1(VALU_DEP_1)
	v_lshlrev_b64 v[1:2], 1, v[1:2]
	v_add_co_u32 v1, vcc_lo, s4, v1
	s_delay_alu instid0(VALU_DEP_2) | instskip(SKIP_2) | instid1(SALU_CYCLE_1)
	v_add_co_ci_u32_e32 v2, vcc_lo, s5, v2, vcc_lo
	global_store_b16 v[1:2], v5, off
	s_or_b32 exec_lo, exec_lo, s0
	s_mov_b32 s0, exec_lo
	v_cmpx_gt_i32_e64 s1, v0
	s_cbranch_execz .LBB41_25
.LBB41_34:
	v_dual_mov_b32 v2, 0 :: v_dual_add_nc_u32 v1, s2, v0
	v_add_nc_u32_e32 v0, 0x100, v0
	s_delay_alu instid0(VALU_DEP_2) | instskip(NEXT) | instid1(VALU_DEP_1)
	v_lshlrev_b64 v[1:2], 1, v[1:2]
	v_add_co_u32 v1, vcc_lo, s4, v1
	s_delay_alu instid0(VALU_DEP_2) | instskip(SKIP_2) | instid1(SALU_CYCLE_1)
	v_add_co_ci_u32_e32 v2, vcc_lo, s5, v2, vcc_lo
	global_store_d16_hi_b16 v[1:2], v5, off
	s_or_b32 exec_lo, exec_lo, s0
	s_mov_b32 s0, exec_lo
	v_cmpx_gt_i32_e64 s1, v0
	s_cbranch_execz .LBB41_26
.LBB41_35:
	v_dual_mov_b32 v2, 0 :: v_dual_add_nc_u32 v1, s2, v0
	v_add_nc_u32_e32 v0, 0x100, v0
	s_delay_alu instid0(VALU_DEP_2) | instskip(NEXT) | instid1(VALU_DEP_1)
	v_lshlrev_b64 v[1:2], 1, v[1:2]
	v_add_co_u32 v1, vcc_lo, s4, v1
	s_delay_alu instid0(VALU_DEP_2) | instskip(SKIP_2) | instid1(SALU_CYCLE_1)
	v_add_co_ci_u32_e32 v2, vcc_lo, s5, v2, vcc_lo
	global_store_b16 v[1:2], v4, off
	s_or_b32 exec_lo, exec_lo, s0
	s_mov_b32 s0, exec_lo
	v_cmpx_gt_i32_e64 s1, v0
	s_cbranch_execnz .LBB41_27
	s_branch .LBB41_28
	.section	.rodata,"a",@progbits
	.p2align	6, 0x0
	.amdhsa_kernel _ZN2at6native29vectorized_elementwise_kernelILi8EZZZNS0_23bitwise_not_kernel_cudaERNS_18TensorIteratorBaseEENKUlvE_clEvENKUlvE3_clEvEUlsE_St5arrayIPcLm2EEEEviT0_T1_
		.amdhsa_group_segment_fixed_size 0
		.amdhsa_private_segment_fixed_size 0
		.amdhsa_kernarg_size 24
		.amdhsa_user_sgpr_count 15
		.amdhsa_user_sgpr_dispatch_ptr 0
		.amdhsa_user_sgpr_queue_ptr 0
		.amdhsa_user_sgpr_kernarg_segment_ptr 1
		.amdhsa_user_sgpr_dispatch_id 0
		.amdhsa_user_sgpr_private_segment_size 0
		.amdhsa_wavefront_size32 1
		.amdhsa_uses_dynamic_stack 0
		.amdhsa_enable_private_segment 0
		.amdhsa_system_sgpr_workgroup_id_x 1
		.amdhsa_system_sgpr_workgroup_id_y 0
		.amdhsa_system_sgpr_workgroup_id_z 0
		.amdhsa_system_sgpr_workgroup_info 0
		.amdhsa_system_vgpr_workitem_id 0
		.amdhsa_next_free_vgpr 14
		.amdhsa_next_free_sgpr 16
		.amdhsa_reserve_vcc 1
		.amdhsa_float_round_mode_32 0
		.amdhsa_float_round_mode_16_64 0
		.amdhsa_float_denorm_mode_32 3
		.amdhsa_float_denorm_mode_16_64 3
		.amdhsa_dx10_clamp 1
		.amdhsa_ieee_mode 1
		.amdhsa_fp16_overflow 0
		.amdhsa_workgroup_processor_mode 1
		.amdhsa_memory_ordered 1
		.amdhsa_forward_progress 0
		.amdhsa_shared_vgpr_count 0
		.amdhsa_exception_fp_ieee_invalid_op 0
		.amdhsa_exception_fp_denorm_src 0
		.amdhsa_exception_fp_ieee_div_zero 0
		.amdhsa_exception_fp_ieee_overflow 0
		.amdhsa_exception_fp_ieee_underflow 0
		.amdhsa_exception_fp_ieee_inexact 0
		.amdhsa_exception_int_div_zero 0
	.end_amdhsa_kernel
	.section	.text._ZN2at6native29vectorized_elementwise_kernelILi8EZZZNS0_23bitwise_not_kernel_cudaERNS_18TensorIteratorBaseEENKUlvE_clEvENKUlvE3_clEvEUlsE_St5arrayIPcLm2EEEEviT0_T1_,"axG",@progbits,_ZN2at6native29vectorized_elementwise_kernelILi8EZZZNS0_23bitwise_not_kernel_cudaERNS_18TensorIteratorBaseEENKUlvE_clEvENKUlvE3_clEvEUlsE_St5arrayIPcLm2EEEEviT0_T1_,comdat
.Lfunc_end41:
	.size	_ZN2at6native29vectorized_elementwise_kernelILi8EZZZNS0_23bitwise_not_kernel_cudaERNS_18TensorIteratorBaseEENKUlvE_clEvENKUlvE3_clEvEUlsE_St5arrayIPcLm2EEEEviT0_T1_, .Lfunc_end41-_ZN2at6native29vectorized_elementwise_kernelILi8EZZZNS0_23bitwise_not_kernel_cudaERNS_18TensorIteratorBaseEENKUlvE_clEvENKUlvE3_clEvEUlsE_St5arrayIPcLm2EEEEviT0_T1_
                                        ; -- End function
	.section	.AMDGPU.csdata,"",@progbits
; Kernel info:
; codeLenInByte = 1736
; NumSgprs: 18
; NumVgprs: 14
; ScratchSize: 0
; MemoryBound: 0
; FloatMode: 240
; IeeeMode: 1
; LDSByteSize: 0 bytes/workgroup (compile time only)
; SGPRBlocks: 2
; VGPRBlocks: 1
; NumSGPRsForWavesPerEU: 18
; NumVGPRsForWavesPerEU: 14
; Occupancy: 16
; WaveLimiterHint : 0
; COMPUTE_PGM_RSRC2:SCRATCH_EN: 0
; COMPUTE_PGM_RSRC2:USER_SGPR: 15
; COMPUTE_PGM_RSRC2:TRAP_HANDLER: 0
; COMPUTE_PGM_RSRC2:TGID_X_EN: 1
; COMPUTE_PGM_RSRC2:TGID_Y_EN: 0
; COMPUTE_PGM_RSRC2:TGID_Z_EN: 0
; COMPUTE_PGM_RSRC2:TIDIG_COMP_CNT: 0
	.section	.text._ZN2at6native29vectorized_elementwise_kernelILi4EZZZNS0_23bitwise_not_kernel_cudaERNS_18TensorIteratorBaseEENKUlvE_clEvENKUlvE3_clEvEUlsE_St5arrayIPcLm2EEEEviT0_T1_,"axG",@progbits,_ZN2at6native29vectorized_elementwise_kernelILi4EZZZNS0_23bitwise_not_kernel_cudaERNS_18TensorIteratorBaseEENKUlvE_clEvENKUlvE3_clEvEUlsE_St5arrayIPcLm2EEEEviT0_T1_,comdat
	.globl	_ZN2at6native29vectorized_elementwise_kernelILi4EZZZNS0_23bitwise_not_kernel_cudaERNS_18TensorIteratorBaseEENKUlvE_clEvENKUlvE3_clEvEUlsE_St5arrayIPcLm2EEEEviT0_T1_ ; -- Begin function _ZN2at6native29vectorized_elementwise_kernelILi4EZZZNS0_23bitwise_not_kernel_cudaERNS_18TensorIteratorBaseEENKUlvE_clEvENKUlvE3_clEvEUlsE_St5arrayIPcLm2EEEEviT0_T1_
	.p2align	8
	.type	_ZN2at6native29vectorized_elementwise_kernelILi4EZZZNS0_23bitwise_not_kernel_cudaERNS_18TensorIteratorBaseEENKUlvE_clEvENKUlvE3_clEvEUlsE_St5arrayIPcLm2EEEEviT0_T1_,@function
_ZN2at6native29vectorized_elementwise_kernelILi4EZZZNS0_23bitwise_not_kernel_cudaERNS_18TensorIteratorBaseEENKUlvE_clEvENKUlvE3_clEvEUlsE_St5arrayIPcLm2EEEEviT0_T1_: ; @_ZN2at6native29vectorized_elementwise_kernelILi4EZZZNS0_23bitwise_not_kernel_cudaERNS_18TensorIteratorBaseEENKUlvE_clEvENKUlvE3_clEvEUlsE_St5arrayIPcLm2EEEEviT0_T1_
; %bb.0:
	s_clause 0x1
	s_load_b32 s3, s[0:1], 0x0
	s_load_b128 s[4:7], s[0:1], 0x8
	s_lshl_b32 s2, s15, 11
	s_mov_b32 s0, -1
	s_waitcnt lgkmcnt(0)
	s_sub_i32 s1, s3, s2
	s_delay_alu instid0(SALU_CYCLE_1)
	s_cmpk_gt_i32 s1, 0x7ff
	s_cbranch_scc0 .LBB42_2
; %bb.1:
	s_ashr_i32 s3, s2, 31
	v_lshlrev_b32_e32 v5, 3, v0
	s_lshl_b64 s[8:9], s[2:3], 1
	s_mov_b32 s0, 0
	s_add_u32 s10, s6, s8
	s_addc_u32 s11, s7, s9
	s_add_u32 s8, s4, s8
	s_clause 0x1
	global_load_b64 v[1:2], v5, s[10:11]
	global_load_b64 v[3:4], v5, s[10:11] offset:2048
	s_addc_u32 s9, s5, s9
	s_waitcnt vmcnt(1)
	v_not_b32_e32 v2, v2
	s_waitcnt vmcnt(0)
	v_not_b32_e32 v4, v4
	v_not_b32_e32 v1, v1
	;; [unrolled: 1-line block ×3, first 2 shown]
	v_and_b32_e32 v6, 0xffff0000, v2
	v_and_b32_e32 v2, 0xffff, v2
	;; [unrolled: 1-line block ×4, first 2 shown]
	s_delay_alu instid0(VALU_DEP_3) | instskip(NEXT) | instid1(VALU_DEP_2)
	v_or_b32_e32 v2, v2, v6
	v_or_b32_e32 v4, v4, v7
	s_clause 0x1
	global_store_b64 v5, v[1:2], s[8:9]
	global_store_b64 v5, v[3:4], s[8:9] offset:2048
.LBB42_2:
	s_and_not1_b32 vcc_lo, exec_lo, s0
	s_cbranch_vccnz .LBB42_28
; %bb.3:
	v_cmp_gt_i32_e32 vcc_lo, s1, v0
	v_dual_mov_b32 v4, -1 :: v_dual_mov_b32 v5, v0
	v_or_b32_e32 v1, s2, v0
	v_or_b32_e32 v3, 0x100, v0
	v_mov_b32_e32 v2, -1
	s_and_saveexec_b32 s3, vcc_lo
	s_cbranch_execz .LBB42_5
; %bb.4:
	v_mov_b32_e32 v2, 0
	s_delay_alu instid0(VALU_DEP_1) | instskip(NEXT) | instid1(VALU_DEP_1)
	v_lshlrev_b64 v[5:6], 1, v[1:2]
	v_add_co_u32 v5, s0, s6, v5
	s_delay_alu instid0(VALU_DEP_1)
	v_add_co_ci_u32_e64 v6, s0, s7, v6, s0
	global_load_u16 v2, v[5:6], off
	v_or_b32_e32 v5, 0x100, v0
	s_waitcnt vmcnt(0)
	v_xor_b32_e32 v2, -1, v2
.LBB42_5:
	s_or_b32 exec_lo, exec_lo, s3
	s_delay_alu instid0(SALU_CYCLE_1)
	s_mov_b32 s3, exec_lo
	v_cmpx_gt_i32_e64 s1, v5
	s_cbranch_execz .LBB42_7
; %bb.6:
	v_dual_mov_b32 v7, 0 :: v_dual_add_nc_u32 v6, s2, v5
	v_add_nc_u32_e32 v5, 0x100, v5
	s_delay_alu instid0(VALU_DEP_2) | instskip(NEXT) | instid1(VALU_DEP_1)
	v_lshlrev_b64 v[6:7], 1, v[6:7]
	v_add_co_u32 v6, s0, s6, v6
	s_delay_alu instid0(VALU_DEP_1)
	v_add_co_ci_u32_e64 v7, s0, s7, v7, s0
	global_load_u16 v4, v[6:7], off
	s_waitcnt vmcnt(0)
	v_xor_b32_e32 v4, -1, v4
.LBB42_7:
	s_or_b32 exec_lo, exec_lo, s3
	v_dual_mov_b32 v6, -1 :: v_dual_mov_b32 v7, -1
	s_mov_b32 s3, exec_lo
	v_cmpx_gt_i32_e64 s1, v5
	s_cbranch_execz .LBB42_9
; %bb.8:
	v_dual_mov_b32 v8, 0 :: v_dual_add_nc_u32 v7, s2, v5
	v_add_nc_u32_e32 v5, 0x100, v5
	s_delay_alu instid0(VALU_DEP_2) | instskip(NEXT) | instid1(VALU_DEP_1)
	v_lshlrev_b64 v[7:8], 1, v[7:8]
	v_add_co_u32 v7, s0, s6, v7
	s_delay_alu instid0(VALU_DEP_1)
	v_add_co_ci_u32_e64 v8, s0, s7, v8, s0
	global_load_u16 v7, v[7:8], off
	s_waitcnt vmcnt(0)
	v_xor_b32_e32 v7, -1, v7
.LBB42_9:
	s_or_b32 exec_lo, exec_lo, s3
	s_delay_alu instid0(SALU_CYCLE_1)
	s_mov_b32 s3, exec_lo
	v_cmpx_gt_i32_e64 s1, v5
	s_cbranch_execz .LBB42_11
; %bb.10:
	v_dual_mov_b32 v9, 0 :: v_dual_add_nc_u32 v8, s2, v5
	v_add_nc_u32_e32 v5, 0x100, v5
	s_delay_alu instid0(VALU_DEP_2) | instskip(NEXT) | instid1(VALU_DEP_1)
	v_lshlrev_b64 v[8:9], 1, v[8:9]
	v_add_co_u32 v8, s0, s6, v8
	s_delay_alu instid0(VALU_DEP_1)
	v_add_co_ci_u32_e64 v9, s0, s7, v9, s0
	global_load_u16 v6, v[8:9], off
	s_waitcnt vmcnt(0)
	v_xor_b32_e32 v6, -1, v6
.LBB42_11:
	s_or_b32 exec_lo, exec_lo, s3
	v_dual_mov_b32 v9, -1 :: v_dual_mov_b32 v8, -1
	s_mov_b32 s3, exec_lo
	v_cmpx_gt_i32_e64 s1, v5
	s_cbranch_execz .LBB42_13
; %bb.12:
	v_dual_mov_b32 v11, 0 :: v_dual_add_nc_u32 v10, s2, v5
	v_add_nc_u32_e32 v5, 0x100, v5
	s_delay_alu instid0(VALU_DEP_2) | instskip(NEXT) | instid1(VALU_DEP_1)
	v_lshlrev_b64 v[10:11], 1, v[10:11]
	v_add_co_u32 v10, s0, s6, v10
	s_delay_alu instid0(VALU_DEP_1)
	v_add_co_ci_u32_e64 v11, s0, s7, v11, s0
	global_load_u16 v8, v[10:11], off
	s_waitcnt vmcnt(0)
	v_xor_b32_e32 v8, -1, v8
.LBB42_13:
	;; [unrolled: 34-line block ×3, first 2 shown]
	s_or_b32 exec_lo, exec_lo, s3
	s_delay_alu instid0(SALU_CYCLE_1)
	s_mov_b32 s3, exec_lo
	v_cmpx_gt_i32_e64 s1, v5
	s_cbranch_execz .LBB42_19
; %bb.18:
	v_dual_mov_b32 v13, 0 :: v_dual_add_nc_u32 v12, s2, v5
	s_delay_alu instid0(VALU_DEP_1) | instskip(NEXT) | instid1(VALU_DEP_1)
	v_lshlrev_b64 v[12:13], 1, v[12:13]
	v_add_co_u32 v12, s0, s6, v12
	s_delay_alu instid0(VALU_DEP_1)
	v_add_co_ci_u32_e64 v13, s0, s7, v13, s0
	global_load_u16 v5, v[12:13], off
	s_waitcnt vmcnt(0)
	v_xor_b32_e32 v10, -1, v5
.LBB42_19:
	s_or_b32 exec_lo, exec_lo, s3
	v_perm_b32 v4, v4, v2, 0x5040100
	v_or_b32_e32 v12, 0x300, v0
	v_cmp_gt_i32_e64 s0, s1, v3
	v_and_b32_e32 v5, 0xffff, v7
	v_perm_b32 v6, v6, v7, 0x5040100
	v_or_b32_e32 v13, 0x700, v0
	v_perm_b32 v10, v10, v11, 0x5040100
	v_cndmask_b32_e64 v7, v2, v4, s0
	v_or_b32_e32 v2, 0x500, v0
	v_cmp_gt_i32_e64 s0, s1, v12
	v_perm_b32 v4, v9, v8, 0x5040100
	v_and_b32_e32 v9, 0xffff, v11
	s_delay_alu instid0(VALU_DEP_3) | instskip(SKIP_1) | instid1(VALU_DEP_1)
	v_cndmask_b32_e64 v6, v5, v6, s0
	v_cmp_gt_i32_e64 s0, s1, v2
	v_cndmask_b32_e64 v5, v8, v4, s0
	v_cmp_gt_i32_e64 s0, s1, v13
	s_delay_alu instid0(VALU_DEP_1)
	v_cndmask_b32_e64 v4, v9, v10, s0
	s_and_saveexec_b32 s0, vcc_lo
	s_cbranch_execnz .LBB42_29
; %bb.20:
	s_or_b32 exec_lo, exec_lo, s0
	s_delay_alu instid0(SALU_CYCLE_1)
	s_mov_b32 s0, exec_lo
	v_cmpx_gt_i32_e64 s1, v0
	s_cbranch_execnz .LBB42_30
.LBB42_21:
	s_or_b32 exec_lo, exec_lo, s0
	s_delay_alu instid0(SALU_CYCLE_1)
	s_mov_b32 s0, exec_lo
	v_cmpx_gt_i32_e64 s1, v0
	s_cbranch_execnz .LBB42_31
.LBB42_22:
	s_or_b32 exec_lo, exec_lo, s0
	s_delay_alu instid0(SALU_CYCLE_1)
	s_mov_b32 s0, exec_lo
	v_cmpx_gt_i32_e64 s1, v0
	s_cbranch_execnz .LBB42_32
.LBB42_23:
	s_or_b32 exec_lo, exec_lo, s0
	s_delay_alu instid0(SALU_CYCLE_1)
	s_mov_b32 s0, exec_lo
	v_cmpx_gt_i32_e64 s1, v0
	s_cbranch_execnz .LBB42_33
.LBB42_24:
	s_or_b32 exec_lo, exec_lo, s0
	s_delay_alu instid0(SALU_CYCLE_1)
	s_mov_b32 s0, exec_lo
	v_cmpx_gt_i32_e64 s1, v0
	s_cbranch_execnz .LBB42_34
.LBB42_25:
	s_or_b32 exec_lo, exec_lo, s0
	s_delay_alu instid0(SALU_CYCLE_1)
	s_mov_b32 s0, exec_lo
	v_cmpx_gt_i32_e64 s1, v0
	s_cbranch_execnz .LBB42_35
.LBB42_26:
	s_or_b32 exec_lo, exec_lo, s0
	s_delay_alu instid0(SALU_CYCLE_1)
	s_mov_b32 s0, exec_lo
	v_cmpx_gt_i32_e64 s1, v0
	s_cbranch_execz .LBB42_28
.LBB42_27:
	v_dual_mov_b32 v1, 0 :: v_dual_add_nc_u32 v0, s2, v0
	s_delay_alu instid0(VALU_DEP_1) | instskip(NEXT) | instid1(VALU_DEP_1)
	v_lshlrev_b64 v[0:1], 1, v[0:1]
	v_add_co_u32 v0, vcc_lo, s4, v0
	s_delay_alu instid0(VALU_DEP_2)
	v_add_co_ci_u32_e32 v1, vcc_lo, s5, v1, vcc_lo
	global_store_d16_hi_b16 v[0:1], v4, off
.LBB42_28:
	s_nop 0
	s_sendmsg sendmsg(MSG_DEALLOC_VGPRS)
	s_endpgm
.LBB42_29:
	v_mov_b32_e32 v2, 0
	s_delay_alu instid0(VALU_DEP_1) | instskip(NEXT) | instid1(VALU_DEP_1)
	v_lshlrev_b64 v[0:1], 1, v[1:2]
	v_add_co_u32 v8, vcc_lo, s4, v0
	s_delay_alu instid0(VALU_DEP_2) | instskip(SKIP_3) | instid1(SALU_CYCLE_1)
	v_add_co_ci_u32_e32 v9, vcc_lo, s5, v1, vcc_lo
	v_mov_b32_e32 v0, v3
	global_store_b16 v[8:9], v7, off
	s_or_b32 exec_lo, exec_lo, s0
	s_mov_b32 s0, exec_lo
	v_cmpx_gt_i32_e64 s1, v0
	s_cbranch_execz .LBB42_21
.LBB42_30:
	v_dual_mov_b32 v2, 0 :: v_dual_add_nc_u32 v1, s2, v0
	v_add_nc_u32_e32 v0, 0x100, v0
	s_delay_alu instid0(VALU_DEP_2) | instskip(NEXT) | instid1(VALU_DEP_1)
	v_lshlrev_b64 v[1:2], 1, v[1:2]
	v_add_co_u32 v1, vcc_lo, s4, v1
	s_delay_alu instid0(VALU_DEP_2) | instskip(SKIP_2) | instid1(SALU_CYCLE_1)
	v_add_co_ci_u32_e32 v2, vcc_lo, s5, v2, vcc_lo
	global_store_d16_hi_b16 v[1:2], v7, off
	s_or_b32 exec_lo, exec_lo, s0
	s_mov_b32 s0, exec_lo
	v_cmpx_gt_i32_e64 s1, v0
	s_cbranch_execz .LBB42_22
.LBB42_31:
	v_dual_mov_b32 v2, 0 :: v_dual_add_nc_u32 v1, s2, v0
	v_add_nc_u32_e32 v0, 0x100, v0
	s_delay_alu instid0(VALU_DEP_2) | instskip(NEXT) | instid1(VALU_DEP_1)
	v_lshlrev_b64 v[1:2], 1, v[1:2]
	v_add_co_u32 v1, vcc_lo, s4, v1
	s_delay_alu instid0(VALU_DEP_2) | instskip(SKIP_2) | instid1(SALU_CYCLE_1)
	v_add_co_ci_u32_e32 v2, vcc_lo, s5, v2, vcc_lo
	global_store_b16 v[1:2], v6, off
	s_or_b32 exec_lo, exec_lo, s0
	s_mov_b32 s0, exec_lo
	v_cmpx_gt_i32_e64 s1, v0
	s_cbranch_execz .LBB42_23
.LBB42_32:
	v_dual_mov_b32 v2, 0 :: v_dual_add_nc_u32 v1, s2, v0
	v_add_nc_u32_e32 v0, 0x100, v0
	s_delay_alu instid0(VALU_DEP_2) | instskip(NEXT) | instid1(VALU_DEP_1)
	v_lshlrev_b64 v[1:2], 1, v[1:2]
	v_add_co_u32 v1, vcc_lo, s4, v1
	s_delay_alu instid0(VALU_DEP_2) | instskip(SKIP_2) | instid1(SALU_CYCLE_1)
	v_add_co_ci_u32_e32 v2, vcc_lo, s5, v2, vcc_lo
	global_store_d16_hi_b16 v[1:2], v6, off
	s_or_b32 exec_lo, exec_lo, s0
	s_mov_b32 s0, exec_lo
	v_cmpx_gt_i32_e64 s1, v0
	s_cbranch_execz .LBB42_24
.LBB42_33:
	v_dual_mov_b32 v2, 0 :: v_dual_add_nc_u32 v1, s2, v0
	v_add_nc_u32_e32 v0, 0x100, v0
	s_delay_alu instid0(VALU_DEP_2) | instskip(NEXT) | instid1(VALU_DEP_1)
	v_lshlrev_b64 v[1:2], 1, v[1:2]
	v_add_co_u32 v1, vcc_lo, s4, v1
	s_delay_alu instid0(VALU_DEP_2) | instskip(SKIP_2) | instid1(SALU_CYCLE_1)
	v_add_co_ci_u32_e32 v2, vcc_lo, s5, v2, vcc_lo
	global_store_b16 v[1:2], v5, off
	s_or_b32 exec_lo, exec_lo, s0
	s_mov_b32 s0, exec_lo
	v_cmpx_gt_i32_e64 s1, v0
	s_cbranch_execz .LBB42_25
.LBB42_34:
	v_dual_mov_b32 v2, 0 :: v_dual_add_nc_u32 v1, s2, v0
	v_add_nc_u32_e32 v0, 0x100, v0
	s_delay_alu instid0(VALU_DEP_2) | instskip(NEXT) | instid1(VALU_DEP_1)
	v_lshlrev_b64 v[1:2], 1, v[1:2]
	v_add_co_u32 v1, vcc_lo, s4, v1
	s_delay_alu instid0(VALU_DEP_2) | instskip(SKIP_2) | instid1(SALU_CYCLE_1)
	v_add_co_ci_u32_e32 v2, vcc_lo, s5, v2, vcc_lo
	global_store_d16_hi_b16 v[1:2], v5, off
	s_or_b32 exec_lo, exec_lo, s0
	s_mov_b32 s0, exec_lo
	v_cmpx_gt_i32_e64 s1, v0
	s_cbranch_execz .LBB42_26
.LBB42_35:
	v_dual_mov_b32 v2, 0 :: v_dual_add_nc_u32 v1, s2, v0
	v_add_nc_u32_e32 v0, 0x100, v0
	s_delay_alu instid0(VALU_DEP_2) | instskip(NEXT) | instid1(VALU_DEP_1)
	v_lshlrev_b64 v[1:2], 1, v[1:2]
	v_add_co_u32 v1, vcc_lo, s4, v1
	s_delay_alu instid0(VALU_DEP_2) | instskip(SKIP_2) | instid1(SALU_CYCLE_1)
	v_add_co_ci_u32_e32 v2, vcc_lo, s5, v2, vcc_lo
	global_store_b16 v[1:2], v4, off
	s_or_b32 exec_lo, exec_lo, s0
	s_mov_b32 s0, exec_lo
	v_cmpx_gt_i32_e64 s1, v0
	s_cbranch_execnz .LBB42_27
	s_branch .LBB42_28
	.section	.rodata,"a",@progbits
	.p2align	6, 0x0
	.amdhsa_kernel _ZN2at6native29vectorized_elementwise_kernelILi4EZZZNS0_23bitwise_not_kernel_cudaERNS_18TensorIteratorBaseEENKUlvE_clEvENKUlvE3_clEvEUlsE_St5arrayIPcLm2EEEEviT0_T1_
		.amdhsa_group_segment_fixed_size 0
		.amdhsa_private_segment_fixed_size 0
		.amdhsa_kernarg_size 24
		.amdhsa_user_sgpr_count 15
		.amdhsa_user_sgpr_dispatch_ptr 0
		.amdhsa_user_sgpr_queue_ptr 0
		.amdhsa_user_sgpr_kernarg_segment_ptr 1
		.amdhsa_user_sgpr_dispatch_id 0
		.amdhsa_user_sgpr_private_segment_size 0
		.amdhsa_wavefront_size32 1
		.amdhsa_uses_dynamic_stack 0
		.amdhsa_enable_private_segment 0
		.amdhsa_system_sgpr_workgroup_id_x 1
		.amdhsa_system_sgpr_workgroup_id_y 0
		.amdhsa_system_sgpr_workgroup_id_z 0
		.amdhsa_system_sgpr_workgroup_info 0
		.amdhsa_system_vgpr_workitem_id 0
		.amdhsa_next_free_vgpr 14
		.amdhsa_next_free_sgpr 16
		.amdhsa_reserve_vcc 1
		.amdhsa_float_round_mode_32 0
		.amdhsa_float_round_mode_16_64 0
		.amdhsa_float_denorm_mode_32 3
		.amdhsa_float_denorm_mode_16_64 3
		.amdhsa_dx10_clamp 1
		.amdhsa_ieee_mode 1
		.amdhsa_fp16_overflow 0
		.amdhsa_workgroup_processor_mode 1
		.amdhsa_memory_ordered 1
		.amdhsa_forward_progress 0
		.amdhsa_shared_vgpr_count 0
		.amdhsa_exception_fp_ieee_invalid_op 0
		.amdhsa_exception_fp_denorm_src 0
		.amdhsa_exception_fp_ieee_div_zero 0
		.amdhsa_exception_fp_ieee_overflow 0
		.amdhsa_exception_fp_ieee_underflow 0
		.amdhsa_exception_fp_ieee_inexact 0
		.amdhsa_exception_int_div_zero 0
	.end_amdhsa_kernel
	.section	.text._ZN2at6native29vectorized_elementwise_kernelILi4EZZZNS0_23bitwise_not_kernel_cudaERNS_18TensorIteratorBaseEENKUlvE_clEvENKUlvE3_clEvEUlsE_St5arrayIPcLm2EEEEviT0_T1_,"axG",@progbits,_ZN2at6native29vectorized_elementwise_kernelILi4EZZZNS0_23bitwise_not_kernel_cudaERNS_18TensorIteratorBaseEENKUlvE_clEvENKUlvE3_clEvEUlsE_St5arrayIPcLm2EEEEviT0_T1_,comdat
.Lfunc_end42:
	.size	_ZN2at6native29vectorized_elementwise_kernelILi4EZZZNS0_23bitwise_not_kernel_cudaERNS_18TensorIteratorBaseEENKUlvE_clEvENKUlvE3_clEvEUlsE_St5arrayIPcLm2EEEEviT0_T1_, .Lfunc_end42-_ZN2at6native29vectorized_elementwise_kernelILi4EZZZNS0_23bitwise_not_kernel_cudaERNS_18TensorIteratorBaseEENKUlvE_clEvENKUlvE3_clEvEUlsE_St5arrayIPcLm2EEEEviT0_T1_
                                        ; -- End function
	.section	.AMDGPU.csdata,"",@progbits
; Kernel info:
; codeLenInByte = 1808
; NumSgprs: 18
; NumVgprs: 14
; ScratchSize: 0
; MemoryBound: 0
; FloatMode: 240
; IeeeMode: 1
; LDSByteSize: 0 bytes/workgroup (compile time only)
; SGPRBlocks: 2
; VGPRBlocks: 1
; NumSGPRsForWavesPerEU: 18
; NumVGPRsForWavesPerEU: 14
; Occupancy: 16
; WaveLimiterHint : 1
; COMPUTE_PGM_RSRC2:SCRATCH_EN: 0
; COMPUTE_PGM_RSRC2:USER_SGPR: 15
; COMPUTE_PGM_RSRC2:TRAP_HANDLER: 0
; COMPUTE_PGM_RSRC2:TGID_X_EN: 1
; COMPUTE_PGM_RSRC2:TGID_Y_EN: 0
; COMPUTE_PGM_RSRC2:TGID_Z_EN: 0
; COMPUTE_PGM_RSRC2:TIDIG_COMP_CNT: 0
	.section	.text._ZN2at6native29vectorized_elementwise_kernelILi2EZZZNS0_23bitwise_not_kernel_cudaERNS_18TensorIteratorBaseEENKUlvE_clEvENKUlvE3_clEvEUlsE_St5arrayIPcLm2EEEEviT0_T1_,"axG",@progbits,_ZN2at6native29vectorized_elementwise_kernelILi2EZZZNS0_23bitwise_not_kernel_cudaERNS_18TensorIteratorBaseEENKUlvE_clEvENKUlvE3_clEvEUlsE_St5arrayIPcLm2EEEEviT0_T1_,comdat
	.globl	_ZN2at6native29vectorized_elementwise_kernelILi2EZZZNS0_23bitwise_not_kernel_cudaERNS_18TensorIteratorBaseEENKUlvE_clEvENKUlvE3_clEvEUlsE_St5arrayIPcLm2EEEEviT0_T1_ ; -- Begin function _ZN2at6native29vectorized_elementwise_kernelILi2EZZZNS0_23bitwise_not_kernel_cudaERNS_18TensorIteratorBaseEENKUlvE_clEvENKUlvE3_clEvEUlsE_St5arrayIPcLm2EEEEviT0_T1_
	.p2align	8
	.type	_ZN2at6native29vectorized_elementwise_kernelILi2EZZZNS0_23bitwise_not_kernel_cudaERNS_18TensorIteratorBaseEENKUlvE_clEvENKUlvE3_clEvEUlsE_St5arrayIPcLm2EEEEviT0_T1_,@function
_ZN2at6native29vectorized_elementwise_kernelILi2EZZZNS0_23bitwise_not_kernel_cudaERNS_18TensorIteratorBaseEENKUlvE_clEvENKUlvE3_clEvEUlsE_St5arrayIPcLm2EEEEviT0_T1_: ; @_ZN2at6native29vectorized_elementwise_kernelILi2EZZZNS0_23bitwise_not_kernel_cudaERNS_18TensorIteratorBaseEENKUlvE_clEvENKUlvE3_clEvEUlsE_St5arrayIPcLm2EEEEviT0_T1_
; %bb.0:
	s_clause 0x1
	s_load_b32 s3, s[0:1], 0x0
	s_load_b128 s[4:7], s[0:1], 0x8
	s_lshl_b32 s2, s15, 11
	s_mov_b32 s0, -1
	s_waitcnt lgkmcnt(0)
	s_sub_i32 s1, s3, s2
	s_delay_alu instid0(SALU_CYCLE_1)
	s_cmpk_gt_i32 s1, 0x7ff
	s_cbranch_scc0 .LBB43_2
; %bb.1:
	s_ashr_i32 s3, s2, 31
	v_lshlrev_b32_e32 v1, 2, v0
	s_lshl_b64 s[8:9], s[2:3], 1
	s_mov_b32 s0, 0
	s_add_u32 s10, s6, s8
	s_addc_u32 s11, s7, s9
	s_add_u32 s8, s4, s8
	s_clause 0x3
	global_load_b32 v2, v1, s[10:11]
	global_load_b32 v3, v1, s[10:11] offset:1024
	global_load_b32 v4, v1, s[10:11] offset:2048
	;; [unrolled: 1-line block ×3, first 2 shown]
	s_addc_u32 s9, s5, s9
	s_waitcnt vmcnt(3)
	v_not_b32_e32 v2, v2
	s_waitcnt vmcnt(2)
	v_not_b32_e32 v3, v3
	;; [unrolled: 2-line block ×4, first 2 shown]
	s_clause 0x3
	global_store_b32 v1, v2, s[8:9]
	global_store_b32 v1, v3, s[8:9] offset:1024
	global_store_b32 v1, v4, s[8:9] offset:2048
	;; [unrolled: 1-line block ×3, first 2 shown]
.LBB43_2:
	s_and_not1_b32 vcc_lo, exec_lo, s0
	s_cbranch_vccnz .LBB43_28
; %bb.3:
	v_cmp_gt_i32_e32 vcc_lo, s1, v0
	v_dual_mov_b32 v4, -1 :: v_dual_mov_b32 v5, v0
	v_or_b32_e32 v1, s2, v0
	v_or_b32_e32 v3, 0x100, v0
	v_mov_b32_e32 v2, -1
	s_and_saveexec_b32 s3, vcc_lo
	s_cbranch_execz .LBB43_5
; %bb.4:
	v_mov_b32_e32 v2, 0
	s_delay_alu instid0(VALU_DEP_1) | instskip(NEXT) | instid1(VALU_DEP_1)
	v_lshlrev_b64 v[5:6], 1, v[1:2]
	v_add_co_u32 v5, s0, s6, v5
	s_delay_alu instid0(VALU_DEP_1)
	v_add_co_ci_u32_e64 v6, s0, s7, v6, s0
	global_load_u16 v2, v[5:6], off
	v_or_b32_e32 v5, 0x100, v0
	s_waitcnt vmcnt(0)
	v_xor_b32_e32 v2, -1, v2
.LBB43_5:
	s_or_b32 exec_lo, exec_lo, s3
	s_delay_alu instid0(SALU_CYCLE_1)
	s_mov_b32 s3, exec_lo
	v_cmpx_gt_i32_e64 s1, v5
	s_cbranch_execz .LBB43_7
; %bb.6:
	v_dual_mov_b32 v7, 0 :: v_dual_add_nc_u32 v6, s2, v5
	v_add_nc_u32_e32 v5, 0x100, v5
	s_delay_alu instid0(VALU_DEP_2) | instskip(NEXT) | instid1(VALU_DEP_1)
	v_lshlrev_b64 v[6:7], 1, v[6:7]
	v_add_co_u32 v6, s0, s6, v6
	s_delay_alu instid0(VALU_DEP_1)
	v_add_co_ci_u32_e64 v7, s0, s7, v7, s0
	global_load_u16 v4, v[6:7], off
	s_waitcnt vmcnt(0)
	v_xor_b32_e32 v4, -1, v4
.LBB43_7:
	s_or_b32 exec_lo, exec_lo, s3
	v_dual_mov_b32 v6, -1 :: v_dual_mov_b32 v7, -1
	s_mov_b32 s3, exec_lo
	v_cmpx_gt_i32_e64 s1, v5
	s_cbranch_execz .LBB43_9
; %bb.8:
	v_dual_mov_b32 v8, 0 :: v_dual_add_nc_u32 v7, s2, v5
	v_add_nc_u32_e32 v5, 0x100, v5
	s_delay_alu instid0(VALU_DEP_2) | instskip(NEXT) | instid1(VALU_DEP_1)
	v_lshlrev_b64 v[7:8], 1, v[7:8]
	v_add_co_u32 v7, s0, s6, v7
	s_delay_alu instid0(VALU_DEP_1)
	v_add_co_ci_u32_e64 v8, s0, s7, v8, s0
	global_load_u16 v7, v[7:8], off
	s_waitcnt vmcnt(0)
	v_xor_b32_e32 v7, -1, v7
.LBB43_9:
	s_or_b32 exec_lo, exec_lo, s3
	s_delay_alu instid0(SALU_CYCLE_1)
	s_mov_b32 s3, exec_lo
	v_cmpx_gt_i32_e64 s1, v5
	s_cbranch_execz .LBB43_11
; %bb.10:
	v_dual_mov_b32 v9, 0 :: v_dual_add_nc_u32 v8, s2, v5
	v_add_nc_u32_e32 v5, 0x100, v5
	s_delay_alu instid0(VALU_DEP_2) | instskip(NEXT) | instid1(VALU_DEP_1)
	v_lshlrev_b64 v[8:9], 1, v[8:9]
	v_add_co_u32 v8, s0, s6, v8
	s_delay_alu instid0(VALU_DEP_1)
	v_add_co_ci_u32_e64 v9, s0, s7, v9, s0
	global_load_u16 v6, v[8:9], off
	s_waitcnt vmcnt(0)
	v_xor_b32_e32 v6, -1, v6
.LBB43_11:
	s_or_b32 exec_lo, exec_lo, s3
	v_dual_mov_b32 v9, -1 :: v_dual_mov_b32 v8, -1
	s_mov_b32 s3, exec_lo
	v_cmpx_gt_i32_e64 s1, v5
	s_cbranch_execz .LBB43_13
; %bb.12:
	v_dual_mov_b32 v11, 0 :: v_dual_add_nc_u32 v10, s2, v5
	v_add_nc_u32_e32 v5, 0x100, v5
	s_delay_alu instid0(VALU_DEP_2) | instskip(NEXT) | instid1(VALU_DEP_1)
	v_lshlrev_b64 v[10:11], 1, v[10:11]
	v_add_co_u32 v10, s0, s6, v10
	s_delay_alu instid0(VALU_DEP_1)
	v_add_co_ci_u32_e64 v11, s0, s7, v11, s0
	global_load_u16 v8, v[10:11], off
	s_waitcnt vmcnt(0)
	v_xor_b32_e32 v8, -1, v8
.LBB43_13:
	;; [unrolled: 34-line block ×3, first 2 shown]
	s_or_b32 exec_lo, exec_lo, s3
	s_delay_alu instid0(SALU_CYCLE_1)
	s_mov_b32 s3, exec_lo
	v_cmpx_gt_i32_e64 s1, v5
	s_cbranch_execz .LBB43_19
; %bb.18:
	v_dual_mov_b32 v13, 0 :: v_dual_add_nc_u32 v12, s2, v5
	s_delay_alu instid0(VALU_DEP_1) | instskip(NEXT) | instid1(VALU_DEP_1)
	v_lshlrev_b64 v[12:13], 1, v[12:13]
	v_add_co_u32 v12, s0, s6, v12
	s_delay_alu instid0(VALU_DEP_1)
	v_add_co_ci_u32_e64 v13, s0, s7, v13, s0
	global_load_u16 v5, v[12:13], off
	s_waitcnt vmcnt(0)
	v_xor_b32_e32 v10, -1, v5
.LBB43_19:
	s_or_b32 exec_lo, exec_lo, s3
	v_perm_b32 v4, v4, v2, 0x5040100
	v_or_b32_e32 v12, 0x300, v0
	v_cmp_gt_i32_e64 s0, s1, v3
	v_and_b32_e32 v5, 0xffff, v7
	v_perm_b32 v6, v6, v7, 0x5040100
	v_or_b32_e32 v13, 0x700, v0
	v_perm_b32 v10, v10, v11, 0x5040100
	v_cndmask_b32_e64 v7, v2, v4, s0
	v_or_b32_e32 v2, 0x500, v0
	v_cmp_gt_i32_e64 s0, s1, v12
	v_perm_b32 v4, v9, v8, 0x5040100
	v_and_b32_e32 v9, 0xffff, v11
	s_delay_alu instid0(VALU_DEP_3) | instskip(SKIP_1) | instid1(VALU_DEP_1)
	v_cndmask_b32_e64 v6, v5, v6, s0
	v_cmp_gt_i32_e64 s0, s1, v2
	v_cndmask_b32_e64 v5, v8, v4, s0
	v_cmp_gt_i32_e64 s0, s1, v13
	s_delay_alu instid0(VALU_DEP_1)
	v_cndmask_b32_e64 v4, v9, v10, s0
	s_and_saveexec_b32 s0, vcc_lo
	s_cbranch_execnz .LBB43_29
; %bb.20:
	s_or_b32 exec_lo, exec_lo, s0
	s_delay_alu instid0(SALU_CYCLE_1)
	s_mov_b32 s0, exec_lo
	v_cmpx_gt_i32_e64 s1, v0
	s_cbranch_execnz .LBB43_30
.LBB43_21:
	s_or_b32 exec_lo, exec_lo, s0
	s_delay_alu instid0(SALU_CYCLE_1)
	s_mov_b32 s0, exec_lo
	v_cmpx_gt_i32_e64 s1, v0
	s_cbranch_execnz .LBB43_31
.LBB43_22:
	s_or_b32 exec_lo, exec_lo, s0
	s_delay_alu instid0(SALU_CYCLE_1)
	s_mov_b32 s0, exec_lo
	v_cmpx_gt_i32_e64 s1, v0
	s_cbranch_execnz .LBB43_32
.LBB43_23:
	s_or_b32 exec_lo, exec_lo, s0
	s_delay_alu instid0(SALU_CYCLE_1)
	s_mov_b32 s0, exec_lo
	v_cmpx_gt_i32_e64 s1, v0
	s_cbranch_execnz .LBB43_33
.LBB43_24:
	s_or_b32 exec_lo, exec_lo, s0
	s_delay_alu instid0(SALU_CYCLE_1)
	s_mov_b32 s0, exec_lo
	v_cmpx_gt_i32_e64 s1, v0
	s_cbranch_execnz .LBB43_34
.LBB43_25:
	s_or_b32 exec_lo, exec_lo, s0
	s_delay_alu instid0(SALU_CYCLE_1)
	s_mov_b32 s0, exec_lo
	v_cmpx_gt_i32_e64 s1, v0
	s_cbranch_execnz .LBB43_35
.LBB43_26:
	s_or_b32 exec_lo, exec_lo, s0
	s_delay_alu instid0(SALU_CYCLE_1)
	s_mov_b32 s0, exec_lo
	v_cmpx_gt_i32_e64 s1, v0
	s_cbranch_execz .LBB43_28
.LBB43_27:
	v_dual_mov_b32 v1, 0 :: v_dual_add_nc_u32 v0, s2, v0
	s_delay_alu instid0(VALU_DEP_1) | instskip(NEXT) | instid1(VALU_DEP_1)
	v_lshlrev_b64 v[0:1], 1, v[0:1]
	v_add_co_u32 v0, vcc_lo, s4, v0
	s_delay_alu instid0(VALU_DEP_2)
	v_add_co_ci_u32_e32 v1, vcc_lo, s5, v1, vcc_lo
	global_store_d16_hi_b16 v[0:1], v4, off
.LBB43_28:
	s_nop 0
	s_sendmsg sendmsg(MSG_DEALLOC_VGPRS)
	s_endpgm
.LBB43_29:
	v_mov_b32_e32 v2, 0
	s_delay_alu instid0(VALU_DEP_1) | instskip(NEXT) | instid1(VALU_DEP_1)
	v_lshlrev_b64 v[0:1], 1, v[1:2]
	v_add_co_u32 v8, vcc_lo, s4, v0
	s_delay_alu instid0(VALU_DEP_2) | instskip(SKIP_3) | instid1(SALU_CYCLE_1)
	v_add_co_ci_u32_e32 v9, vcc_lo, s5, v1, vcc_lo
	v_mov_b32_e32 v0, v3
	global_store_b16 v[8:9], v7, off
	s_or_b32 exec_lo, exec_lo, s0
	s_mov_b32 s0, exec_lo
	v_cmpx_gt_i32_e64 s1, v0
	s_cbranch_execz .LBB43_21
.LBB43_30:
	v_dual_mov_b32 v2, 0 :: v_dual_add_nc_u32 v1, s2, v0
	v_add_nc_u32_e32 v0, 0x100, v0
	s_delay_alu instid0(VALU_DEP_2) | instskip(NEXT) | instid1(VALU_DEP_1)
	v_lshlrev_b64 v[1:2], 1, v[1:2]
	v_add_co_u32 v1, vcc_lo, s4, v1
	s_delay_alu instid0(VALU_DEP_2) | instskip(SKIP_2) | instid1(SALU_CYCLE_1)
	v_add_co_ci_u32_e32 v2, vcc_lo, s5, v2, vcc_lo
	global_store_d16_hi_b16 v[1:2], v7, off
	s_or_b32 exec_lo, exec_lo, s0
	s_mov_b32 s0, exec_lo
	v_cmpx_gt_i32_e64 s1, v0
	s_cbranch_execz .LBB43_22
.LBB43_31:
	v_dual_mov_b32 v2, 0 :: v_dual_add_nc_u32 v1, s2, v0
	v_add_nc_u32_e32 v0, 0x100, v0
	s_delay_alu instid0(VALU_DEP_2) | instskip(NEXT) | instid1(VALU_DEP_1)
	v_lshlrev_b64 v[1:2], 1, v[1:2]
	v_add_co_u32 v1, vcc_lo, s4, v1
	s_delay_alu instid0(VALU_DEP_2) | instskip(SKIP_2) | instid1(SALU_CYCLE_1)
	v_add_co_ci_u32_e32 v2, vcc_lo, s5, v2, vcc_lo
	global_store_b16 v[1:2], v6, off
	s_or_b32 exec_lo, exec_lo, s0
	s_mov_b32 s0, exec_lo
	v_cmpx_gt_i32_e64 s1, v0
	s_cbranch_execz .LBB43_23
.LBB43_32:
	v_dual_mov_b32 v2, 0 :: v_dual_add_nc_u32 v1, s2, v0
	v_add_nc_u32_e32 v0, 0x100, v0
	s_delay_alu instid0(VALU_DEP_2) | instskip(NEXT) | instid1(VALU_DEP_1)
	v_lshlrev_b64 v[1:2], 1, v[1:2]
	v_add_co_u32 v1, vcc_lo, s4, v1
	s_delay_alu instid0(VALU_DEP_2) | instskip(SKIP_2) | instid1(SALU_CYCLE_1)
	v_add_co_ci_u32_e32 v2, vcc_lo, s5, v2, vcc_lo
	global_store_d16_hi_b16 v[1:2], v6, off
	s_or_b32 exec_lo, exec_lo, s0
	s_mov_b32 s0, exec_lo
	v_cmpx_gt_i32_e64 s1, v0
	s_cbranch_execz .LBB43_24
.LBB43_33:
	v_dual_mov_b32 v2, 0 :: v_dual_add_nc_u32 v1, s2, v0
	v_add_nc_u32_e32 v0, 0x100, v0
	s_delay_alu instid0(VALU_DEP_2) | instskip(NEXT) | instid1(VALU_DEP_1)
	v_lshlrev_b64 v[1:2], 1, v[1:2]
	v_add_co_u32 v1, vcc_lo, s4, v1
	s_delay_alu instid0(VALU_DEP_2) | instskip(SKIP_2) | instid1(SALU_CYCLE_1)
	v_add_co_ci_u32_e32 v2, vcc_lo, s5, v2, vcc_lo
	global_store_b16 v[1:2], v5, off
	s_or_b32 exec_lo, exec_lo, s0
	s_mov_b32 s0, exec_lo
	v_cmpx_gt_i32_e64 s1, v0
	s_cbranch_execz .LBB43_25
.LBB43_34:
	v_dual_mov_b32 v2, 0 :: v_dual_add_nc_u32 v1, s2, v0
	v_add_nc_u32_e32 v0, 0x100, v0
	s_delay_alu instid0(VALU_DEP_2) | instskip(NEXT) | instid1(VALU_DEP_1)
	v_lshlrev_b64 v[1:2], 1, v[1:2]
	v_add_co_u32 v1, vcc_lo, s4, v1
	s_delay_alu instid0(VALU_DEP_2) | instskip(SKIP_2) | instid1(SALU_CYCLE_1)
	v_add_co_ci_u32_e32 v2, vcc_lo, s5, v2, vcc_lo
	global_store_d16_hi_b16 v[1:2], v5, off
	s_or_b32 exec_lo, exec_lo, s0
	s_mov_b32 s0, exec_lo
	v_cmpx_gt_i32_e64 s1, v0
	s_cbranch_execz .LBB43_26
.LBB43_35:
	v_dual_mov_b32 v2, 0 :: v_dual_add_nc_u32 v1, s2, v0
	v_add_nc_u32_e32 v0, 0x100, v0
	s_delay_alu instid0(VALU_DEP_2) | instskip(NEXT) | instid1(VALU_DEP_1)
	v_lshlrev_b64 v[1:2], 1, v[1:2]
	v_add_co_u32 v1, vcc_lo, s4, v1
	s_delay_alu instid0(VALU_DEP_2) | instskip(SKIP_2) | instid1(SALU_CYCLE_1)
	v_add_co_ci_u32_e32 v2, vcc_lo, s5, v2, vcc_lo
	global_store_b16 v[1:2], v4, off
	s_or_b32 exec_lo, exec_lo, s0
	s_mov_b32 s0, exec_lo
	v_cmpx_gt_i32_e64 s1, v0
	s_cbranch_execnz .LBB43_27
	s_branch .LBB43_28
	.section	.rodata,"a",@progbits
	.p2align	6, 0x0
	.amdhsa_kernel _ZN2at6native29vectorized_elementwise_kernelILi2EZZZNS0_23bitwise_not_kernel_cudaERNS_18TensorIteratorBaseEENKUlvE_clEvENKUlvE3_clEvEUlsE_St5arrayIPcLm2EEEEviT0_T1_
		.amdhsa_group_segment_fixed_size 0
		.amdhsa_private_segment_fixed_size 0
		.amdhsa_kernarg_size 24
		.amdhsa_user_sgpr_count 15
		.amdhsa_user_sgpr_dispatch_ptr 0
		.amdhsa_user_sgpr_queue_ptr 0
		.amdhsa_user_sgpr_kernarg_segment_ptr 1
		.amdhsa_user_sgpr_dispatch_id 0
		.amdhsa_user_sgpr_private_segment_size 0
		.amdhsa_wavefront_size32 1
		.amdhsa_uses_dynamic_stack 0
		.amdhsa_enable_private_segment 0
		.amdhsa_system_sgpr_workgroup_id_x 1
		.amdhsa_system_sgpr_workgroup_id_y 0
		.amdhsa_system_sgpr_workgroup_id_z 0
		.amdhsa_system_sgpr_workgroup_info 0
		.amdhsa_system_vgpr_workitem_id 0
		.amdhsa_next_free_vgpr 14
		.amdhsa_next_free_sgpr 16
		.amdhsa_reserve_vcc 1
		.amdhsa_float_round_mode_32 0
		.amdhsa_float_round_mode_16_64 0
		.amdhsa_float_denorm_mode_32 3
		.amdhsa_float_denorm_mode_16_64 3
		.amdhsa_dx10_clamp 1
		.amdhsa_ieee_mode 1
		.amdhsa_fp16_overflow 0
		.amdhsa_workgroup_processor_mode 1
		.amdhsa_memory_ordered 1
		.amdhsa_forward_progress 0
		.amdhsa_shared_vgpr_count 0
		.amdhsa_exception_fp_ieee_invalid_op 0
		.amdhsa_exception_fp_denorm_src 0
		.amdhsa_exception_fp_ieee_div_zero 0
		.amdhsa_exception_fp_ieee_overflow 0
		.amdhsa_exception_fp_ieee_underflow 0
		.amdhsa_exception_fp_ieee_inexact 0
		.amdhsa_exception_int_div_zero 0
	.end_amdhsa_kernel
	.section	.text._ZN2at6native29vectorized_elementwise_kernelILi2EZZZNS0_23bitwise_not_kernel_cudaERNS_18TensorIteratorBaseEENKUlvE_clEvENKUlvE3_clEvEUlsE_St5arrayIPcLm2EEEEviT0_T1_,"axG",@progbits,_ZN2at6native29vectorized_elementwise_kernelILi2EZZZNS0_23bitwise_not_kernel_cudaERNS_18TensorIteratorBaseEENKUlvE_clEvENKUlvE3_clEvEUlsE_St5arrayIPcLm2EEEEviT0_T1_,comdat
.Lfunc_end43:
	.size	_ZN2at6native29vectorized_elementwise_kernelILi2EZZZNS0_23bitwise_not_kernel_cudaERNS_18TensorIteratorBaseEENKUlvE_clEvENKUlvE3_clEvEUlsE_St5arrayIPcLm2EEEEviT0_T1_, .Lfunc_end43-_ZN2at6native29vectorized_elementwise_kernelILi2EZZZNS0_23bitwise_not_kernel_cudaERNS_18TensorIteratorBaseEENKUlvE_clEvENKUlvE3_clEvEUlsE_St5arrayIPcLm2EEEEviT0_T1_
                                        ; -- End function
	.section	.AMDGPU.csdata,"",@progbits
; Kernel info:
; codeLenInByte = 1804
; NumSgprs: 18
; NumVgprs: 14
; ScratchSize: 0
; MemoryBound: 0
; FloatMode: 240
; IeeeMode: 1
; LDSByteSize: 0 bytes/workgroup (compile time only)
; SGPRBlocks: 2
; VGPRBlocks: 1
; NumSGPRsForWavesPerEU: 18
; NumVGPRsForWavesPerEU: 14
; Occupancy: 16
; WaveLimiterHint : 1
; COMPUTE_PGM_RSRC2:SCRATCH_EN: 0
; COMPUTE_PGM_RSRC2:USER_SGPR: 15
; COMPUTE_PGM_RSRC2:TRAP_HANDLER: 0
; COMPUTE_PGM_RSRC2:TGID_X_EN: 1
; COMPUTE_PGM_RSRC2:TGID_Y_EN: 0
; COMPUTE_PGM_RSRC2:TGID_Z_EN: 0
; COMPUTE_PGM_RSRC2:TIDIG_COMP_CNT: 0
	.section	.text._ZN2at6native27unrolled_elementwise_kernelIZZZNS0_23bitwise_not_kernel_cudaERNS_18TensorIteratorBaseEENKUlvE_clEvENKUlvE3_clEvEUlsE_St5arrayIPcLm2EELi4E23TrivialOffsetCalculatorILi1EjESB_NS0_6memory15LoadWithoutCastENSC_16StoreWithoutCastEEEviT_T0_T2_T3_T4_T5_,"axG",@progbits,_ZN2at6native27unrolled_elementwise_kernelIZZZNS0_23bitwise_not_kernel_cudaERNS_18TensorIteratorBaseEENKUlvE_clEvENKUlvE3_clEvEUlsE_St5arrayIPcLm2EELi4E23TrivialOffsetCalculatorILi1EjESB_NS0_6memory15LoadWithoutCastENSC_16StoreWithoutCastEEEviT_T0_T2_T3_T4_T5_,comdat
	.globl	_ZN2at6native27unrolled_elementwise_kernelIZZZNS0_23bitwise_not_kernel_cudaERNS_18TensorIteratorBaseEENKUlvE_clEvENKUlvE3_clEvEUlsE_St5arrayIPcLm2EELi4E23TrivialOffsetCalculatorILi1EjESB_NS0_6memory15LoadWithoutCastENSC_16StoreWithoutCastEEEviT_T0_T2_T3_T4_T5_ ; -- Begin function _ZN2at6native27unrolled_elementwise_kernelIZZZNS0_23bitwise_not_kernel_cudaERNS_18TensorIteratorBaseEENKUlvE_clEvENKUlvE3_clEvEUlsE_St5arrayIPcLm2EELi4E23TrivialOffsetCalculatorILi1EjESB_NS0_6memory15LoadWithoutCastENSC_16StoreWithoutCastEEEviT_T0_T2_T3_T4_T5_
	.p2align	8
	.type	_ZN2at6native27unrolled_elementwise_kernelIZZZNS0_23bitwise_not_kernel_cudaERNS_18TensorIteratorBaseEENKUlvE_clEvENKUlvE3_clEvEUlsE_St5arrayIPcLm2EELi4E23TrivialOffsetCalculatorILi1EjESB_NS0_6memory15LoadWithoutCastENSC_16StoreWithoutCastEEEviT_T0_T2_T3_T4_T5_,@function
_ZN2at6native27unrolled_elementwise_kernelIZZZNS0_23bitwise_not_kernel_cudaERNS_18TensorIteratorBaseEENKUlvE_clEvENKUlvE3_clEvEUlsE_St5arrayIPcLm2EELi4E23TrivialOffsetCalculatorILi1EjESB_NS0_6memory15LoadWithoutCastENSC_16StoreWithoutCastEEEviT_T0_T2_T3_T4_T5_: ; @_ZN2at6native27unrolled_elementwise_kernelIZZZNS0_23bitwise_not_kernel_cudaERNS_18TensorIteratorBaseEENKUlvE_clEvENKUlvE3_clEvEUlsE_St5arrayIPcLm2EELi4E23TrivialOffsetCalculatorILi1EjESB_NS0_6memory15LoadWithoutCastENSC_16StoreWithoutCastEEEviT_T0_T2_T3_T4_T5_
; %bb.0:
	s_clause 0x1
	s_load_b32 s2, s[0:1], 0x0
	s_load_b128 s[4:7], s[0:1], 0x8
	s_lshl_b32 s1, s15, 10
	v_dual_mov_b32 v4, -1 :: v_dual_mov_b32 v5, v0
	v_mov_b32_e32 v2, -1
	v_or_b32_e32 v1, s1, v0
	v_or_b32_e32 v3, 0x100, v0
	s_waitcnt lgkmcnt(0)
	s_sub_i32 s2, s2, s1
	s_delay_alu instid0(SALU_CYCLE_1)
	v_cmp_gt_i32_e32 vcc_lo, s2, v0
	s_and_saveexec_b32 s3, vcc_lo
	s_cbranch_execz .LBB44_2
; %bb.1:
	v_mov_b32_e32 v2, 0
	s_delay_alu instid0(VALU_DEP_1) | instskip(NEXT) | instid1(VALU_DEP_1)
	v_lshlrev_b64 v[5:6], 1, v[1:2]
	v_add_co_u32 v5, s0, s6, v5
	s_delay_alu instid0(VALU_DEP_1)
	v_add_co_ci_u32_e64 v6, s0, s7, v6, s0
	global_load_u16 v2, v[5:6], off
	v_or_b32_e32 v5, 0x100, v0
	s_waitcnt vmcnt(0)
	v_xor_b32_e32 v2, -1, v2
.LBB44_2:
	s_or_b32 exec_lo, exec_lo, s3
	s_delay_alu instid0(SALU_CYCLE_1)
	s_mov_b32 s3, exec_lo
	v_cmpx_gt_i32_e64 s2, v5
	s_cbranch_execz .LBB44_4
; %bb.3:
	v_dual_mov_b32 v7, 0 :: v_dual_add_nc_u32 v6, s1, v5
	v_add_nc_u32_e32 v5, 0x100, v5
	s_delay_alu instid0(VALU_DEP_2) | instskip(NEXT) | instid1(VALU_DEP_1)
	v_lshlrev_b64 v[6:7], 1, v[6:7]
	v_add_co_u32 v6, s0, s6, v6
	s_delay_alu instid0(VALU_DEP_1)
	v_add_co_ci_u32_e64 v7, s0, s7, v7, s0
	global_load_u16 v4, v[6:7], off
	s_waitcnt vmcnt(0)
	v_xor_b32_e32 v4, -1, v4
.LBB44_4:
	s_or_b32 exec_lo, exec_lo, s3
	v_dual_mov_b32 v6, -1 :: v_dual_mov_b32 v7, -1
	s_mov_b32 s3, exec_lo
	v_cmpx_gt_i32_e64 s2, v5
	s_cbranch_execz .LBB44_6
; %bb.5:
	v_dual_mov_b32 v8, 0 :: v_dual_add_nc_u32 v7, s1, v5
	v_add_nc_u32_e32 v5, 0x100, v5
	s_delay_alu instid0(VALU_DEP_2) | instskip(NEXT) | instid1(VALU_DEP_1)
	v_lshlrev_b64 v[7:8], 1, v[7:8]
	v_add_co_u32 v7, s0, s6, v7
	s_delay_alu instid0(VALU_DEP_1)
	v_add_co_ci_u32_e64 v8, s0, s7, v8, s0
	global_load_u16 v7, v[7:8], off
	s_waitcnt vmcnt(0)
	v_xor_b32_e32 v7, -1, v7
.LBB44_6:
	s_or_b32 exec_lo, exec_lo, s3
	s_delay_alu instid0(SALU_CYCLE_1)
	s_mov_b32 s3, exec_lo
	v_cmpx_gt_i32_e64 s2, v5
	s_cbranch_execz .LBB44_8
; %bb.7:
	v_dual_mov_b32 v6, 0 :: v_dual_add_nc_u32 v5, s1, v5
	s_delay_alu instid0(VALU_DEP_1) | instskip(NEXT) | instid1(VALU_DEP_1)
	v_lshlrev_b64 v[5:6], 1, v[5:6]
	v_add_co_u32 v5, s0, s6, v5
	s_delay_alu instid0(VALU_DEP_1)
	v_add_co_ci_u32_e64 v6, s0, s7, v6, s0
	global_load_u16 v5, v[5:6], off
	s_waitcnt vmcnt(0)
	v_xor_b32_e32 v6, -1, v5
.LBB44_8:
	s_or_b32 exec_lo, exec_lo, s3
	v_perm_b32 v4, v4, v2, 0x5040100
	v_or_b32_e32 v9, 0x300, v0
	v_cmp_gt_i32_e64 s0, s2, v3
	v_and_b32_e32 v8, 0xffff, v7
	v_perm_b32 v6, v6, v7, 0x5040100
	s_delay_alu instid0(VALU_DEP_3) | instskip(SKIP_1) | instid1(VALU_DEP_1)
	v_cndmask_b32_e64 v5, v2, v4, s0
	v_cmp_gt_i32_e64 s0, s2, v9
	v_cndmask_b32_e64 v4, v8, v6, s0
	s_and_saveexec_b32 s0, vcc_lo
	s_cbranch_execnz .LBB44_13
; %bb.9:
	s_or_b32 exec_lo, exec_lo, s0
	s_delay_alu instid0(SALU_CYCLE_1)
	s_mov_b32 s0, exec_lo
	v_cmpx_gt_i32_e64 s2, v0
	s_cbranch_execnz .LBB44_14
.LBB44_10:
	s_or_b32 exec_lo, exec_lo, s0
	s_delay_alu instid0(SALU_CYCLE_1)
	s_mov_b32 s0, exec_lo
	v_cmpx_gt_i32_e64 s2, v0
	s_cbranch_execnz .LBB44_15
.LBB44_11:
	s_or_b32 exec_lo, exec_lo, s0
	s_delay_alu instid0(SALU_CYCLE_1)
	s_mov_b32 s0, exec_lo
	v_cmpx_gt_i32_e64 s2, v0
	s_cbranch_execnz .LBB44_16
.LBB44_12:
	s_nop 0
	s_sendmsg sendmsg(MSG_DEALLOC_VGPRS)
	s_endpgm
.LBB44_13:
	v_mov_b32_e32 v2, 0
	s_delay_alu instid0(VALU_DEP_1) | instskip(NEXT) | instid1(VALU_DEP_1)
	v_lshlrev_b64 v[0:1], 1, v[1:2]
	v_add_co_u32 v6, vcc_lo, s4, v0
	s_delay_alu instid0(VALU_DEP_2) | instskip(SKIP_3) | instid1(SALU_CYCLE_1)
	v_add_co_ci_u32_e32 v7, vcc_lo, s5, v1, vcc_lo
	v_mov_b32_e32 v0, v3
	global_store_b16 v[6:7], v5, off
	s_or_b32 exec_lo, exec_lo, s0
	s_mov_b32 s0, exec_lo
	v_cmpx_gt_i32_e64 s2, v0
	s_cbranch_execz .LBB44_10
.LBB44_14:
	v_dual_mov_b32 v2, 0 :: v_dual_add_nc_u32 v1, s1, v0
	v_add_nc_u32_e32 v0, 0x100, v0
	s_delay_alu instid0(VALU_DEP_2) | instskip(NEXT) | instid1(VALU_DEP_1)
	v_lshlrev_b64 v[1:2], 1, v[1:2]
	v_add_co_u32 v1, vcc_lo, s4, v1
	s_delay_alu instid0(VALU_DEP_2) | instskip(SKIP_2) | instid1(SALU_CYCLE_1)
	v_add_co_ci_u32_e32 v2, vcc_lo, s5, v2, vcc_lo
	global_store_d16_hi_b16 v[1:2], v5, off
	s_or_b32 exec_lo, exec_lo, s0
	s_mov_b32 s0, exec_lo
	v_cmpx_gt_i32_e64 s2, v0
	s_cbranch_execz .LBB44_11
.LBB44_15:
	v_dual_mov_b32 v2, 0 :: v_dual_add_nc_u32 v1, s1, v0
	v_add_nc_u32_e32 v0, 0x100, v0
	s_delay_alu instid0(VALU_DEP_2) | instskip(NEXT) | instid1(VALU_DEP_1)
	v_lshlrev_b64 v[1:2], 1, v[1:2]
	v_add_co_u32 v1, vcc_lo, s4, v1
	s_delay_alu instid0(VALU_DEP_2) | instskip(SKIP_2) | instid1(SALU_CYCLE_1)
	v_add_co_ci_u32_e32 v2, vcc_lo, s5, v2, vcc_lo
	global_store_b16 v[1:2], v4, off
	s_or_b32 exec_lo, exec_lo, s0
	s_mov_b32 s0, exec_lo
	v_cmpx_gt_i32_e64 s2, v0
	s_cbranch_execz .LBB44_12
.LBB44_16:
	v_dual_mov_b32 v1, 0 :: v_dual_add_nc_u32 v0, s1, v0
	s_delay_alu instid0(VALU_DEP_1) | instskip(NEXT) | instid1(VALU_DEP_1)
	v_lshlrev_b64 v[0:1], 1, v[0:1]
	v_add_co_u32 v0, vcc_lo, s4, v0
	s_delay_alu instid0(VALU_DEP_2)
	v_add_co_ci_u32_e32 v1, vcc_lo, s5, v1, vcc_lo
	global_store_d16_hi_b16 v[0:1], v4, off
	s_nop 0
	s_sendmsg sendmsg(MSG_DEALLOC_VGPRS)
	s_endpgm
	.section	.rodata,"a",@progbits
	.p2align	6, 0x0
	.amdhsa_kernel _ZN2at6native27unrolled_elementwise_kernelIZZZNS0_23bitwise_not_kernel_cudaERNS_18TensorIteratorBaseEENKUlvE_clEvENKUlvE3_clEvEUlsE_St5arrayIPcLm2EELi4E23TrivialOffsetCalculatorILi1EjESB_NS0_6memory15LoadWithoutCastENSC_16StoreWithoutCastEEEviT_T0_T2_T3_T4_T5_
		.amdhsa_group_segment_fixed_size 0
		.amdhsa_private_segment_fixed_size 0
		.amdhsa_kernarg_size 28
		.amdhsa_user_sgpr_count 15
		.amdhsa_user_sgpr_dispatch_ptr 0
		.amdhsa_user_sgpr_queue_ptr 0
		.amdhsa_user_sgpr_kernarg_segment_ptr 1
		.amdhsa_user_sgpr_dispatch_id 0
		.amdhsa_user_sgpr_private_segment_size 0
		.amdhsa_wavefront_size32 1
		.amdhsa_uses_dynamic_stack 0
		.amdhsa_enable_private_segment 0
		.amdhsa_system_sgpr_workgroup_id_x 1
		.amdhsa_system_sgpr_workgroup_id_y 0
		.amdhsa_system_sgpr_workgroup_id_z 0
		.amdhsa_system_sgpr_workgroup_info 0
		.amdhsa_system_vgpr_workitem_id 0
		.amdhsa_next_free_vgpr 10
		.amdhsa_next_free_sgpr 16
		.amdhsa_reserve_vcc 1
		.amdhsa_float_round_mode_32 0
		.amdhsa_float_round_mode_16_64 0
		.amdhsa_float_denorm_mode_32 3
		.amdhsa_float_denorm_mode_16_64 3
		.amdhsa_dx10_clamp 1
		.amdhsa_ieee_mode 1
		.amdhsa_fp16_overflow 0
		.amdhsa_workgroup_processor_mode 1
		.amdhsa_memory_ordered 1
		.amdhsa_forward_progress 0
		.amdhsa_shared_vgpr_count 0
		.amdhsa_exception_fp_ieee_invalid_op 0
		.amdhsa_exception_fp_denorm_src 0
		.amdhsa_exception_fp_ieee_div_zero 0
		.amdhsa_exception_fp_ieee_overflow 0
		.amdhsa_exception_fp_ieee_underflow 0
		.amdhsa_exception_fp_ieee_inexact 0
		.amdhsa_exception_int_div_zero 0
	.end_amdhsa_kernel
	.section	.text._ZN2at6native27unrolled_elementwise_kernelIZZZNS0_23bitwise_not_kernel_cudaERNS_18TensorIteratorBaseEENKUlvE_clEvENKUlvE3_clEvEUlsE_St5arrayIPcLm2EELi4E23TrivialOffsetCalculatorILi1EjESB_NS0_6memory15LoadWithoutCastENSC_16StoreWithoutCastEEEviT_T0_T2_T3_T4_T5_,"axG",@progbits,_ZN2at6native27unrolled_elementwise_kernelIZZZNS0_23bitwise_not_kernel_cudaERNS_18TensorIteratorBaseEENKUlvE_clEvENKUlvE3_clEvEUlsE_St5arrayIPcLm2EELi4E23TrivialOffsetCalculatorILi1EjESB_NS0_6memory15LoadWithoutCastENSC_16StoreWithoutCastEEEviT_T0_T2_T3_T4_T5_,comdat
.Lfunc_end44:
	.size	_ZN2at6native27unrolled_elementwise_kernelIZZZNS0_23bitwise_not_kernel_cudaERNS_18TensorIteratorBaseEENKUlvE_clEvENKUlvE3_clEvEUlsE_St5arrayIPcLm2EELi4E23TrivialOffsetCalculatorILi1EjESB_NS0_6memory15LoadWithoutCastENSC_16StoreWithoutCastEEEviT_T0_T2_T3_T4_T5_, .Lfunc_end44-_ZN2at6native27unrolled_elementwise_kernelIZZZNS0_23bitwise_not_kernel_cudaERNS_18TensorIteratorBaseEENKUlvE_clEvENKUlvE3_clEvEUlsE_St5arrayIPcLm2EELi4E23TrivialOffsetCalculatorILi1EjESB_NS0_6memory15LoadWithoutCastENSC_16StoreWithoutCastEEEviT_T0_T2_T3_T4_T5_
                                        ; -- End function
	.section	.AMDGPU.csdata,"",@progbits
; Kernel info:
; codeLenInByte = 828
; NumSgprs: 18
; NumVgprs: 10
; ScratchSize: 0
; MemoryBound: 0
; FloatMode: 240
; IeeeMode: 1
; LDSByteSize: 0 bytes/workgroup (compile time only)
; SGPRBlocks: 2
; VGPRBlocks: 1
; NumSGPRsForWavesPerEU: 18
; NumVGPRsForWavesPerEU: 10
; Occupancy: 16
; WaveLimiterHint : 0
; COMPUTE_PGM_RSRC2:SCRATCH_EN: 0
; COMPUTE_PGM_RSRC2:USER_SGPR: 15
; COMPUTE_PGM_RSRC2:TRAP_HANDLER: 0
; COMPUTE_PGM_RSRC2:TGID_X_EN: 1
; COMPUTE_PGM_RSRC2:TGID_Y_EN: 0
; COMPUTE_PGM_RSRC2:TGID_Z_EN: 0
; COMPUTE_PGM_RSRC2:TIDIG_COMP_CNT: 0
	.section	.text._ZN2at6native32elementwise_kernel_manual_unrollILi128ELi8EZNS0_22gpu_kernel_impl_nocastIZZZNS0_23bitwise_not_kernel_cudaERNS_18TensorIteratorBaseEENKUlvE_clEvENKUlvE3_clEvEUlsE_EEvS4_RKT_EUlibE_EEviT1_,"axG",@progbits,_ZN2at6native32elementwise_kernel_manual_unrollILi128ELi8EZNS0_22gpu_kernel_impl_nocastIZZZNS0_23bitwise_not_kernel_cudaERNS_18TensorIteratorBaseEENKUlvE_clEvENKUlvE3_clEvEUlsE_EEvS4_RKT_EUlibE_EEviT1_,comdat
	.globl	_ZN2at6native32elementwise_kernel_manual_unrollILi128ELi8EZNS0_22gpu_kernel_impl_nocastIZZZNS0_23bitwise_not_kernel_cudaERNS_18TensorIteratorBaseEENKUlvE_clEvENKUlvE3_clEvEUlsE_EEvS4_RKT_EUlibE_EEviT1_ ; -- Begin function _ZN2at6native32elementwise_kernel_manual_unrollILi128ELi8EZNS0_22gpu_kernel_impl_nocastIZZZNS0_23bitwise_not_kernel_cudaERNS_18TensorIteratorBaseEENKUlvE_clEvENKUlvE3_clEvEUlsE_EEvS4_RKT_EUlibE_EEviT1_
	.p2align	8
	.type	_ZN2at6native32elementwise_kernel_manual_unrollILi128ELi8EZNS0_22gpu_kernel_impl_nocastIZZZNS0_23bitwise_not_kernel_cudaERNS_18TensorIteratorBaseEENKUlvE_clEvENKUlvE3_clEvEUlsE_EEvS4_RKT_EUlibE_EEviT1_,@function
_ZN2at6native32elementwise_kernel_manual_unrollILi128ELi8EZNS0_22gpu_kernel_impl_nocastIZZZNS0_23bitwise_not_kernel_cudaERNS_18TensorIteratorBaseEENKUlvE_clEvENKUlvE3_clEvEUlsE_EEvS4_RKT_EUlibE_EEviT1_: ; @_ZN2at6native32elementwise_kernel_manual_unrollILi128ELi8EZNS0_22gpu_kernel_impl_nocastIZZZNS0_23bitwise_not_kernel_cudaERNS_18TensorIteratorBaseEENKUlvE_clEvENKUlvE3_clEvEUlsE_EEvS4_RKT_EUlibE_EEviT1_
; %bb.0:
	s_clause 0x1
	s_load_b32 s22, s[0:1], 0x8
	s_load_b32 s27, s[0:1], 0x0
	v_lshl_or_b32 v12, s15, 10, v0
	s_or_b32 s0, s0, 8
	s_mov_b32 s2, exec_lo
	s_delay_alu instid0(VALU_DEP_1) | instskip(SKIP_2) | instid1(SALU_CYCLE_1)
	v_or_b32_e32 v16, 0x380, v12
	s_waitcnt lgkmcnt(0)
	s_add_i32 s23, s22, -1
	s_cmp_gt_u32 s23, 1
	s_cselect_b32 s24, -1, 0
	v_cmpx_le_i32_e64 s27, v16
	s_xor_b32 s25, exec_lo, s2
	s_cbranch_execz .LBB45_7
; %bb.1:
	s_clause 0x3
	s_load_b128 s[12:15], s[0:1], 0x4
	s_load_b64 s[2:3], s[0:1], 0x14
	s_load_b128 s[8:11], s[0:1], 0xc4
	s_load_b128 s[4:7], s[0:1], 0x148
	s_cmp_lg_u32 s22, 0
	s_mov_b32 s30, exec_lo
	s_cselect_b32 s29, -1, 0
	s_add_u32 s16, s0, 0xc4
	s_addc_u32 s17, s1, 0
	s_min_u32 s28, s23, 15
	s_cmp_gt_u32 s22, 1
	s_cselect_b32 s26, -1, 0
	v_cmpx_gt_i32_e64 s27, v12
	s_cbranch_execz .LBB45_14
; %bb.2:
	s_and_not1_b32 vcc_lo, exec_lo, s24
	s_cbranch_vccnz .LBB45_21
; %bb.3:
	v_dual_mov_b32 v0, 0 :: v_dual_mov_b32 v1, 0
	s_and_not1_b32 vcc_lo, exec_lo, s29
	s_mov_b32 s31, 0
	s_cbranch_vccnz .LBB45_125
; %bb.4:
	v_mov_b32_e32 v0, 0
	s_add_i32 s34, s28, 1
	s_cmp_eq_u32 s23, 2
	s_mov_b32 s33, 0
	s_cbranch_scc1 .LBB45_121
; %bb.5:
	v_dual_mov_b32 v1, 0 :: v_dual_mov_b32 v0, 0
	v_mov_b32_e32 v2, v12
	s_and_b32 s33, s34, 28
	s_mov_b32 s35, 0
	s_mov_b64 s[18:19], s[16:17]
	s_mov_b64 s[20:21], s[0:1]
.LBB45_6:                               ; =>This Inner Loop Header: Depth=1
	s_clause 0x1
	s_load_b256 s[36:43], s[20:21], 0x4
	s_load_b128 s[52:55], s[20:21], 0x24
	s_load_b256 s[44:51], s[18:19], 0x0
	s_add_u32 s20, s20, 48
	s_addc_u32 s21, s21, 0
	s_add_i32 s35, s35, 4
	s_add_u32 s18, s18, 32
	s_addc_u32 s19, s19, 0
	s_cmp_lg_u32 s33, s35
	s_waitcnt lgkmcnt(0)
	v_mul_hi_u32 v3, s37, v2
	s_delay_alu instid0(VALU_DEP_1) | instskip(NEXT) | instid1(VALU_DEP_1)
	v_add_nc_u32_e32 v3, v2, v3
	v_lshrrev_b32_e32 v3, s38, v3
	s_delay_alu instid0(VALU_DEP_1) | instskip(SKIP_1) | instid1(VALU_DEP_2)
	v_mul_hi_u32 v4, s40, v3
	v_mul_lo_u32 v6, v3, s36
	v_add_nc_u32_e32 v4, v3, v4
	s_delay_alu instid0(VALU_DEP_2) | instskip(NEXT) | instid1(VALU_DEP_2)
	v_sub_nc_u32_e32 v2, v2, v6
	v_lshrrev_b32_e32 v4, s41, v4
	s_delay_alu instid0(VALU_DEP_2) | instskip(SKIP_1) | instid1(VALU_DEP_3)
	v_mul_lo_u32 v6, v2, s44
	v_mul_lo_u32 v8, v2, s45
	v_mul_hi_u32 v5, s43, v4
	s_delay_alu instid0(VALU_DEP_1) | instskip(NEXT) | instid1(VALU_DEP_1)
	v_add_nc_u32_e32 v5, v4, v5
	v_lshrrev_b32_e32 v5, s52, v5
	s_delay_alu instid0(VALU_DEP_1) | instskip(SKIP_1) | instid1(VALU_DEP_2)
	v_mul_hi_u32 v7, s54, v5
	v_mul_lo_u32 v9, v5, s42
	v_add_nc_u32_e32 v2, v5, v7
	v_mul_lo_u32 v7, v4, s39
	s_delay_alu instid0(VALU_DEP_3) | instskip(NEXT) | instid1(VALU_DEP_3)
	v_sub_nc_u32_e32 v4, v4, v9
	v_lshrrev_b32_e32 v2, s55, v2
	s_delay_alu instid0(VALU_DEP_2) | instskip(SKIP_2) | instid1(VALU_DEP_4)
	v_mul_lo_u32 v9, v4, s48
	v_mul_lo_u32 v4, v4, s49
	v_sub_nc_u32_e32 v3, v3, v7
	v_mul_lo_u32 v10, v2, s53
	s_delay_alu instid0(VALU_DEP_2) | instskip(SKIP_1) | instid1(VALU_DEP_3)
	v_mul_lo_u32 v7, v3, s46
	v_mul_lo_u32 v3, v3, s47
	v_sub_nc_u32_e32 v5, v5, v10
	s_delay_alu instid0(VALU_DEP_3) | instskip(NEXT) | instid1(VALU_DEP_2)
	v_add3_u32 v0, v6, v0, v7
	v_mul_lo_u32 v10, v5, s50
	v_mul_lo_u32 v5, v5, s51
	v_add3_u32 v1, v8, v1, v3
	s_delay_alu instid0(VALU_DEP_3) | instskip(NEXT) | instid1(VALU_DEP_2)
	v_add3_u32 v0, v9, v0, v10
	v_add3_u32 v1, v4, v1, v5
	s_cbranch_scc1 .LBB45_6
	s_branch .LBB45_122
.LBB45_7:
	s_and_not1_saveexec_b32 s2, s25
	s_cbranch_execz .LBB45_206
.LBB45_8:
	v_cndmask_b32_e64 v14, 0, 1, s24
	s_and_not1_b32 vcc_lo, exec_lo, s24
	s_cbranch_vccnz .LBB45_20
; %bb.9:
	v_dual_mov_b32 v0, 0 :: v_dual_mov_b32 v1, 0
	s_cmp_lg_u32 s22, 0
	s_mov_b32 s6, 0
	s_cbranch_scc0 .LBB45_26
; %bb.10:
	s_min_u32 s7, s23, 15
	v_mov_b32_e32 v0, 0
	s_add_i32 s7, s7, 1
	s_cmp_eq_u32 s23, 2
	s_mov_b32 s8, 0
	s_cbranch_scc1 .LBB45_23
; %bb.11:
	v_dual_mov_b32 v1, 0 :: v_dual_mov_b32 v0, 0
	v_mov_b32_e32 v2, v12
	s_add_u32 s2, s0, 0xc4
	s_addc_u32 s3, s1, 0
	s_and_b32 s8, s7, 28
	s_mov_b32 s9, 0
	s_mov_b64 s[4:5], s[0:1]
.LBB45_12:                              ; =>This Inner Loop Header: Depth=1
	s_clause 0x1
	s_load_b256 s[12:19], s[4:5], 0x4
	s_load_b128 s[36:39], s[4:5], 0x24
	s_load_b256 s[24:31], s[2:3], 0x0
	s_add_u32 s4, s4, 48
	s_addc_u32 s5, s5, 0
	s_add_i32 s9, s9, 4
	s_add_u32 s2, s2, 32
	s_addc_u32 s3, s3, 0
	s_cmp_lg_u32 s8, s9
	s_waitcnt lgkmcnt(0)
	v_mul_hi_u32 v3, s13, v2
	s_delay_alu instid0(VALU_DEP_1) | instskip(NEXT) | instid1(VALU_DEP_1)
	v_add_nc_u32_e32 v3, v2, v3
	v_lshrrev_b32_e32 v3, s14, v3
	s_delay_alu instid0(VALU_DEP_1) | instskip(SKIP_1) | instid1(VALU_DEP_2)
	v_mul_hi_u32 v4, s16, v3
	v_mul_lo_u32 v6, v3, s12
	v_add_nc_u32_e32 v4, v3, v4
	s_delay_alu instid0(VALU_DEP_2) | instskip(NEXT) | instid1(VALU_DEP_2)
	v_sub_nc_u32_e32 v2, v2, v6
	v_lshrrev_b32_e32 v4, s17, v4
	s_delay_alu instid0(VALU_DEP_2) | instskip(SKIP_1) | instid1(VALU_DEP_3)
	v_mul_lo_u32 v6, v2, s24
	v_mul_lo_u32 v8, v2, s25
	v_mul_hi_u32 v5, s19, v4
	s_delay_alu instid0(VALU_DEP_1) | instskip(NEXT) | instid1(VALU_DEP_1)
	v_add_nc_u32_e32 v5, v4, v5
	v_lshrrev_b32_e32 v5, s36, v5
	s_delay_alu instid0(VALU_DEP_1) | instskip(SKIP_1) | instid1(VALU_DEP_2)
	v_mul_hi_u32 v7, s38, v5
	v_mul_lo_u32 v9, v5, s18
	v_add_nc_u32_e32 v2, v5, v7
	v_mul_lo_u32 v7, v4, s15
	s_delay_alu instid0(VALU_DEP_3) | instskip(NEXT) | instid1(VALU_DEP_3)
	v_sub_nc_u32_e32 v4, v4, v9
	v_lshrrev_b32_e32 v2, s39, v2
	s_delay_alu instid0(VALU_DEP_2) | instskip(SKIP_2) | instid1(VALU_DEP_4)
	v_mul_lo_u32 v9, v4, s28
	v_mul_lo_u32 v4, v4, s29
	v_sub_nc_u32_e32 v3, v3, v7
	v_mul_lo_u32 v10, v2, s37
	s_delay_alu instid0(VALU_DEP_2) | instskip(SKIP_1) | instid1(VALU_DEP_3)
	v_mul_lo_u32 v7, v3, s26
	v_mul_lo_u32 v3, v3, s27
	v_sub_nc_u32_e32 v5, v5, v10
	s_delay_alu instid0(VALU_DEP_3) | instskip(NEXT) | instid1(VALU_DEP_2)
	v_add3_u32 v0, v6, v0, v7
	v_mul_lo_u32 v10, v5, s30
	v_mul_lo_u32 v5, v5, s31
	v_add3_u32 v1, v8, v1, v3
	s_delay_alu instid0(VALU_DEP_3) | instskip(NEXT) | instid1(VALU_DEP_2)
	v_add3_u32 v0, v9, v0, v10
	v_add3_u32 v1, v4, v1, v5
	s_cbranch_scc1 .LBB45_12
; %bb.13:
	s_and_b32 s7, s7, 3
	s_delay_alu instid0(SALU_CYCLE_1)
	s_cmp_eq_u32 s7, 0
	s_cbranch_scc0 .LBB45_24
	s_branch .LBB45_26
.LBB45_14:
	s_or_b32 exec_lo, exec_lo, s30
	s_delay_alu instid0(SALU_CYCLE_1)
	s_mov_b32 s30, exec_lo
	v_cmpx_gt_i32_e64 s27, v12
	s_cbranch_execz .LBB45_129
.LBB45_15:
	s_and_not1_b32 vcc_lo, exec_lo, s24
	s_cbranch_vccnz .LBB45_22
; %bb.16:
	v_dual_mov_b32 v0, 0 :: v_dual_mov_b32 v1, 0
	s_and_not1_b32 vcc_lo, exec_lo, s29
	s_mov_b32 s31, 0
	s_cbranch_vccnz .LBB45_140
; %bb.17:
	v_mov_b32_e32 v0, 0
	s_add_i32 s34, s28, 1
	s_cmp_eq_u32 s23, 2
	s_mov_b32 s33, 0
	s_cbranch_scc1 .LBB45_136
; %bb.18:
	v_dual_mov_b32 v1, 0 :: v_dual_mov_b32 v0, 0
	v_mov_b32_e32 v2, v12
	s_and_b32 s33, s34, 28
	s_mov_b32 s35, 0
	s_mov_b64 s[18:19], s[16:17]
	s_mov_b64 s[20:21], s[0:1]
.LBB45_19:                              ; =>This Inner Loop Header: Depth=1
	s_clause 0x1
	s_load_b256 s[36:43], s[20:21], 0x4
	s_load_b128 s[52:55], s[20:21], 0x24
	s_load_b256 s[44:51], s[18:19], 0x0
	s_add_u32 s20, s20, 48
	s_addc_u32 s21, s21, 0
	s_add_i32 s35, s35, 4
	s_add_u32 s18, s18, 32
	s_addc_u32 s19, s19, 0
	s_cmp_eq_u32 s33, s35
	s_waitcnt lgkmcnt(0)
	v_mul_hi_u32 v3, s37, v2
	s_delay_alu instid0(VALU_DEP_1) | instskip(NEXT) | instid1(VALU_DEP_1)
	v_add_nc_u32_e32 v3, v2, v3
	v_lshrrev_b32_e32 v3, s38, v3
	s_delay_alu instid0(VALU_DEP_1) | instskip(SKIP_1) | instid1(VALU_DEP_2)
	v_mul_hi_u32 v4, s40, v3
	v_mul_lo_u32 v6, v3, s36
	v_add_nc_u32_e32 v4, v3, v4
	s_delay_alu instid0(VALU_DEP_2) | instskip(NEXT) | instid1(VALU_DEP_2)
	v_sub_nc_u32_e32 v2, v2, v6
	v_lshrrev_b32_e32 v4, s41, v4
	s_delay_alu instid0(VALU_DEP_2) | instskip(SKIP_1) | instid1(VALU_DEP_3)
	v_mul_lo_u32 v6, v2, s44
	v_mul_lo_u32 v8, v2, s45
	v_mul_hi_u32 v5, s43, v4
	s_delay_alu instid0(VALU_DEP_1) | instskip(NEXT) | instid1(VALU_DEP_1)
	v_add_nc_u32_e32 v5, v4, v5
	v_lshrrev_b32_e32 v5, s52, v5
	s_delay_alu instid0(VALU_DEP_1) | instskip(SKIP_1) | instid1(VALU_DEP_2)
	v_mul_hi_u32 v7, s54, v5
	v_mul_lo_u32 v9, v5, s42
	v_add_nc_u32_e32 v2, v5, v7
	v_mul_lo_u32 v7, v4, s39
	s_delay_alu instid0(VALU_DEP_3) | instskip(NEXT) | instid1(VALU_DEP_3)
	v_sub_nc_u32_e32 v4, v4, v9
	v_lshrrev_b32_e32 v2, s55, v2
	s_delay_alu instid0(VALU_DEP_2) | instskip(SKIP_2) | instid1(VALU_DEP_4)
	v_mul_lo_u32 v9, v4, s48
	v_mul_lo_u32 v4, v4, s49
	v_sub_nc_u32_e32 v3, v3, v7
	v_mul_lo_u32 v10, v2, s53
	s_delay_alu instid0(VALU_DEP_2) | instskip(SKIP_1) | instid1(VALU_DEP_3)
	v_mul_lo_u32 v7, v3, s46
	v_mul_lo_u32 v3, v3, s47
	v_sub_nc_u32_e32 v5, v5, v10
	s_delay_alu instid0(VALU_DEP_3) | instskip(NEXT) | instid1(VALU_DEP_2)
	v_add3_u32 v0, v6, v0, v7
	v_mul_lo_u32 v10, v5, s50
	v_mul_lo_u32 v5, v5, s51
	v_add3_u32 v1, v8, v1, v3
	s_delay_alu instid0(VALU_DEP_3) | instskip(NEXT) | instid1(VALU_DEP_2)
	v_add3_u32 v0, v9, v0, v10
	v_add3_u32 v1, v4, v1, v5
	s_cbranch_scc0 .LBB45_19
	s_branch .LBB45_137
.LBB45_20:
	s_mov_b32 s6, -1
                                        ; implicit-def: $vgpr0
                                        ; implicit-def: $vgpr1
	s_branch .LBB45_26
.LBB45_21:
	s_mov_b32 s31, -1
                                        ; implicit-def: $vgpr0
                                        ; implicit-def: $vgpr1
	s_branch .LBB45_125
.LBB45_22:
	s_mov_b32 s31, -1
                                        ; implicit-def: $vgpr0
                                        ; implicit-def: $vgpr1
	s_branch .LBB45_140
.LBB45_23:
	v_dual_mov_b32 v2, v12 :: v_dual_mov_b32 v1, 0
	s_and_b32 s7, s7, 3
	s_delay_alu instid0(SALU_CYCLE_1)
	s_cmp_eq_u32 s7, 0
	s_cbranch_scc1 .LBB45_26
.LBB45_24:
	s_lshl_b32 s2, s8, 3
	s_mul_i32 s4, s8, 12
	s_add_u32 s2, s2, s0
	s_addc_u32 s3, 0, s1
	s_add_u32 s2, s2, 0xc4
	s_addc_u32 s3, s3, 0
	;; [unrolled: 2-line block ×3, first 2 shown]
	.p2align	6
.LBB45_25:                              ; =>This Inner Loop Header: Depth=1
	s_clause 0x1
	s_load_b64 s[8:9], s[4:5], 0x4
	s_load_b32 s12, s[4:5], 0xc
	s_load_b64 s[10:11], s[2:3], 0x0
	s_add_u32 s4, s4, 12
	s_addc_u32 s5, s5, 0
	s_add_u32 s2, s2, 8
	s_addc_u32 s3, s3, 0
	s_add_i32 s7, s7, -1
	s_delay_alu instid0(SALU_CYCLE_1) | instskip(SKIP_2) | instid1(VALU_DEP_1)
	s_cmp_lg_u32 s7, 0
	s_waitcnt lgkmcnt(0)
	v_mul_hi_u32 v3, s9, v2
	v_add_nc_u32_e32 v3, v2, v3
	s_delay_alu instid0(VALU_DEP_1) | instskip(NEXT) | instid1(VALU_DEP_1)
	v_lshrrev_b32_e32 v6, s12, v3
	v_mul_lo_u32 v3, v6, s8
	s_delay_alu instid0(VALU_DEP_1) | instskip(NEXT) | instid1(VALU_DEP_1)
	v_sub_nc_u32_e32 v2, v2, v3
	v_mad_u64_u32 v[3:4], null, v2, s10, v[0:1]
	v_mad_u64_u32 v[4:5], null, v2, s11, v[1:2]
	v_mov_b32_e32 v2, v6
	s_delay_alu instid0(VALU_DEP_2)
	v_dual_mov_b32 v0, v3 :: v_dual_mov_b32 v1, v4
	s_cbranch_scc1 .LBB45_25
.LBB45_26:
	s_and_not1_b32 vcc_lo, exec_lo, s6
	s_cbranch_vccnz .LBB45_29
; %bb.27:
	s_clause 0x1
	s_load_b128 s[4:7], s[0:1], 0x4
	s_load_b64 s[2:3], s[0:1], 0xc4
	s_cmp_lt_u32 s22, 2
	s_waitcnt lgkmcnt(0)
	v_mul_hi_u32 v0, s5, v12
	s_delay_alu instid0(VALU_DEP_1) | instskip(NEXT) | instid1(VALU_DEP_1)
	v_add_nc_u32_e32 v0, v12, v0
	v_lshrrev_b32_e32 v2, s6, v0
	s_delay_alu instid0(VALU_DEP_1) | instskip(NEXT) | instid1(VALU_DEP_1)
	v_mul_lo_u32 v0, v2, s4
	v_sub_nc_u32_e32 v1, v12, v0
	s_delay_alu instid0(VALU_DEP_1)
	v_mul_lo_u32 v0, v1, s2
	v_mul_lo_u32 v1, v1, s3
	s_cbranch_scc1 .LBB45_29
; %bb.28:
	s_clause 0x1
	s_load_b128 s[4:7], s[0:1], 0x10
	s_load_b64 s[2:3], s[0:1], 0xcc
	s_waitcnt lgkmcnt(0)
	v_mul_hi_u32 v3, s5, v2
	s_delay_alu instid0(VALU_DEP_1) | instskip(NEXT) | instid1(VALU_DEP_1)
	v_add_nc_u32_e32 v3, v2, v3
	v_lshrrev_b32_e32 v3, s6, v3
	s_delay_alu instid0(VALU_DEP_1) | instskip(NEXT) | instid1(VALU_DEP_1)
	v_mul_lo_u32 v3, v3, s4
	v_sub_nc_u32_e32 v5, v2, v3
	s_delay_alu instid0(VALU_DEP_1) | instskip(NEXT) | instid1(VALU_DEP_1)
	v_mad_u64_u32 v[2:3], null, v5, s2, v[0:1]
	v_mad_u64_u32 v[3:4], null, v5, s3, v[1:2]
	s_delay_alu instid0(VALU_DEP_1)
	v_dual_mov_b32 v0, v2 :: v_dual_mov_b32 v1, v3
.LBB45_29:
	v_cmp_ne_u32_e32 vcc_lo, 1, v14
	v_add_nc_u32_e32 v4, 0x80, v12
	s_cbranch_vccnz .LBB45_35
; %bb.30:
	v_dual_mov_b32 v2, 0 :: v_dual_mov_b32 v3, 0
	s_cmp_lg_u32 s22, 0
	s_mov_b32 s6, 0
	s_cbranch_scc0 .LBB45_39
; %bb.31:
	s_min_u32 s7, s23, 15
	v_mov_b32_e32 v2, 0
	s_add_i32 s7, s7, 1
	s_cmp_eq_u32 s23, 2
	s_mov_b32 s8, 0
	s_cbranch_scc1 .LBB45_36
; %bb.32:
	v_dual_mov_b32 v3, 0 :: v_dual_mov_b32 v2, 0
	v_mov_b32_e32 v5, v4
	s_add_u32 s2, s0, 0xc4
	s_addc_u32 s3, s1, 0
	s_and_b32 s8, s7, 28
	s_mov_b32 s9, 0
	s_mov_b64 s[4:5], s[0:1]
.LBB45_33:                              ; =>This Inner Loop Header: Depth=1
	s_clause 0x1
	s_load_b256 s[12:19], s[4:5], 0x4
	s_load_b128 s[36:39], s[4:5], 0x24
	s_load_b256 s[24:31], s[2:3], 0x0
	s_add_u32 s4, s4, 48
	s_addc_u32 s5, s5, 0
	s_add_i32 s9, s9, 4
	s_add_u32 s2, s2, 32
	s_addc_u32 s3, s3, 0
	s_cmp_lg_u32 s8, s9
	s_waitcnt lgkmcnt(0)
	v_mul_hi_u32 v6, s13, v5
	s_delay_alu instid0(VALU_DEP_1) | instskip(NEXT) | instid1(VALU_DEP_1)
	v_add_nc_u32_e32 v6, v5, v6
	v_lshrrev_b32_e32 v6, s14, v6
	s_delay_alu instid0(VALU_DEP_1) | instskip(SKIP_1) | instid1(VALU_DEP_2)
	v_mul_hi_u32 v7, s16, v6
	v_mul_lo_u32 v9, v6, s12
	v_add_nc_u32_e32 v7, v6, v7
	s_delay_alu instid0(VALU_DEP_2) | instskip(NEXT) | instid1(VALU_DEP_2)
	v_sub_nc_u32_e32 v5, v5, v9
	v_lshrrev_b32_e32 v7, s17, v7
	s_delay_alu instid0(VALU_DEP_2) | instskip(SKIP_1) | instid1(VALU_DEP_3)
	v_mul_lo_u32 v9, v5, s24
	v_mul_lo_u32 v11, v5, s25
	v_mul_hi_u32 v8, s19, v7
	s_delay_alu instid0(VALU_DEP_1) | instskip(NEXT) | instid1(VALU_DEP_1)
	v_add_nc_u32_e32 v8, v7, v8
	v_lshrrev_b32_e32 v8, s36, v8
	s_delay_alu instid0(VALU_DEP_1) | instskip(SKIP_1) | instid1(VALU_DEP_2)
	v_mul_hi_u32 v10, s38, v8
	v_mul_lo_u32 v13, v8, s18
	v_add_nc_u32_e32 v5, v8, v10
	v_mul_lo_u32 v10, v7, s15
	s_delay_alu instid0(VALU_DEP_3) | instskip(NEXT) | instid1(VALU_DEP_3)
	v_sub_nc_u32_e32 v7, v7, v13
	v_lshrrev_b32_e32 v5, s39, v5
	s_delay_alu instid0(VALU_DEP_2) | instskip(SKIP_2) | instid1(VALU_DEP_4)
	v_mul_lo_u32 v13, v7, s28
	v_mul_lo_u32 v7, v7, s29
	v_sub_nc_u32_e32 v6, v6, v10
	v_mul_lo_u32 v15, v5, s37
	s_delay_alu instid0(VALU_DEP_2) | instskip(SKIP_1) | instid1(VALU_DEP_3)
	v_mul_lo_u32 v10, v6, s26
	v_mul_lo_u32 v6, v6, s27
	v_sub_nc_u32_e32 v8, v8, v15
	s_delay_alu instid0(VALU_DEP_3) | instskip(NEXT) | instid1(VALU_DEP_2)
	v_add3_u32 v2, v9, v2, v10
	v_mul_lo_u32 v15, v8, s30
	v_mul_lo_u32 v8, v8, s31
	v_add3_u32 v3, v11, v3, v6
	s_delay_alu instid0(VALU_DEP_3) | instskip(NEXT) | instid1(VALU_DEP_2)
	v_add3_u32 v2, v13, v2, v15
	v_add3_u32 v3, v7, v3, v8
	s_cbranch_scc1 .LBB45_33
; %bb.34:
	s_and_b32 s7, s7, 3
	s_delay_alu instid0(SALU_CYCLE_1)
	s_cmp_eq_u32 s7, 0
	s_cbranch_scc0 .LBB45_37
	s_branch .LBB45_39
.LBB45_35:
	s_mov_b32 s6, -1
                                        ; implicit-def: $vgpr2
                                        ; implicit-def: $vgpr3
	s_branch .LBB45_39
.LBB45_36:
	v_mov_b32_e32 v5, v4
	v_mov_b32_e32 v3, 0
	s_and_b32 s7, s7, 3
	s_delay_alu instid0(SALU_CYCLE_1)
	s_cmp_eq_u32 s7, 0
	s_cbranch_scc1 .LBB45_39
.LBB45_37:
	s_lshl_b32 s2, s8, 3
	s_mul_i32 s4, s8, 12
	s_add_u32 s2, s2, s0
	s_addc_u32 s3, 0, s1
	s_add_u32 s2, s2, 0xc4
	s_addc_u32 s3, s3, 0
	;; [unrolled: 2-line block ×3, first 2 shown]
	.p2align	6
.LBB45_38:                              ; =>This Inner Loop Header: Depth=1
	s_clause 0x1
	s_load_b64 s[8:9], s[4:5], 0x4
	s_load_b32 s12, s[4:5], 0xc
	s_load_b64 s[10:11], s[2:3], 0x0
	s_add_u32 s4, s4, 12
	s_addc_u32 s5, s5, 0
	s_add_u32 s2, s2, 8
	s_addc_u32 s3, s3, 0
	s_add_i32 s7, s7, -1
	s_delay_alu instid0(SALU_CYCLE_1) | instskip(SKIP_2) | instid1(VALU_DEP_1)
	s_cmp_lg_u32 s7, 0
	s_waitcnt lgkmcnt(0)
	v_mul_hi_u32 v6, s9, v5
	v_add_nc_u32_e32 v6, v5, v6
	s_delay_alu instid0(VALU_DEP_1) | instskip(NEXT) | instid1(VALU_DEP_1)
	v_lshrrev_b32_e32 v9, s12, v6
	v_mul_lo_u32 v6, v9, s8
	s_delay_alu instid0(VALU_DEP_1) | instskip(NEXT) | instid1(VALU_DEP_1)
	v_sub_nc_u32_e32 v5, v5, v6
	v_mad_u64_u32 v[6:7], null, v5, s10, v[2:3]
	v_mad_u64_u32 v[7:8], null, v5, s11, v[3:4]
	s_delay_alu instid0(VALU_DEP_2) | instskip(NEXT) | instid1(VALU_DEP_2)
	v_dual_mov_b32 v5, v9 :: v_dual_mov_b32 v2, v6
	v_mov_b32_e32 v3, v7
	s_cbranch_scc1 .LBB45_38
.LBB45_39:
	s_and_not1_b32 vcc_lo, exec_lo, s6
	s_cbranch_vccnz .LBB45_42
; %bb.40:
	s_clause 0x1
	s_load_b128 s[4:7], s[0:1], 0x4
	s_load_b64 s[2:3], s[0:1], 0xc4
	s_cmp_lt_u32 s22, 2
	s_waitcnt lgkmcnt(0)
	v_mul_hi_u32 v2, s5, v4
	s_delay_alu instid0(VALU_DEP_1) | instskip(NEXT) | instid1(VALU_DEP_1)
	v_add_nc_u32_e32 v2, v4, v2
	v_lshrrev_b32_e32 v5, s6, v2
	s_delay_alu instid0(VALU_DEP_1) | instskip(NEXT) | instid1(VALU_DEP_1)
	v_mul_lo_u32 v2, v5, s4
	v_sub_nc_u32_e32 v3, v4, v2
	s_delay_alu instid0(VALU_DEP_1)
	v_mul_lo_u32 v2, v3, s2
	v_mul_lo_u32 v3, v3, s3
	s_cbranch_scc1 .LBB45_42
; %bb.41:
	s_clause 0x1
	s_load_b128 s[4:7], s[0:1], 0x10
	s_load_b64 s[2:3], s[0:1], 0xcc
	s_waitcnt lgkmcnt(0)
	v_mul_hi_u32 v4, s5, v5
	s_delay_alu instid0(VALU_DEP_1) | instskip(NEXT) | instid1(VALU_DEP_1)
	v_add_nc_u32_e32 v4, v5, v4
	v_lshrrev_b32_e32 v4, s6, v4
	s_delay_alu instid0(VALU_DEP_1) | instskip(NEXT) | instid1(VALU_DEP_1)
	v_mul_lo_u32 v4, v4, s4
	v_sub_nc_u32_e32 v7, v5, v4
	s_delay_alu instid0(VALU_DEP_1) | instskip(NEXT) | instid1(VALU_DEP_1)
	v_mad_u64_u32 v[4:5], null, v7, s2, v[2:3]
	v_mad_u64_u32 v[5:6], null, v7, s3, v[3:4]
	s_delay_alu instid0(VALU_DEP_1)
	v_dual_mov_b32 v2, v4 :: v_dual_mov_b32 v3, v5
.LBB45_42:
	v_cmp_ne_u32_e32 vcc_lo, 1, v14
	v_add_nc_u32_e32 v6, 0x100, v12
	s_cbranch_vccnz .LBB45_48
; %bb.43:
	v_dual_mov_b32 v4, 0 :: v_dual_mov_b32 v5, 0
	s_cmp_lg_u32 s22, 0
	s_mov_b32 s6, 0
	s_cbranch_scc0 .LBB45_52
; %bb.44:
	s_min_u32 s7, s23, 15
	v_mov_b32_e32 v4, 0
	s_add_i32 s7, s7, 1
	s_cmp_eq_u32 s23, 2
	s_mov_b32 s8, 0
	s_cbranch_scc1 .LBB45_49
; %bb.45:
	v_dual_mov_b32 v5, 0 :: v_dual_mov_b32 v4, 0
	v_mov_b32_e32 v7, v6
	s_add_u32 s2, s0, 0xc4
	s_addc_u32 s3, s1, 0
	s_and_b32 s8, s7, 28
	s_mov_b32 s9, 0
	s_mov_b64 s[4:5], s[0:1]
.LBB45_46:                              ; =>This Inner Loop Header: Depth=1
	s_clause 0x1
	s_load_b256 s[12:19], s[4:5], 0x4
	s_load_b128 s[36:39], s[4:5], 0x24
	s_load_b256 s[24:31], s[2:3], 0x0
	s_add_u32 s4, s4, 48
	s_addc_u32 s5, s5, 0
	s_add_i32 s9, s9, 4
	s_add_u32 s2, s2, 32
	s_addc_u32 s3, s3, 0
	s_cmp_lg_u32 s8, s9
	s_waitcnt lgkmcnt(0)
	v_mul_hi_u32 v8, s13, v7
	s_delay_alu instid0(VALU_DEP_1) | instskip(NEXT) | instid1(VALU_DEP_1)
	v_add_nc_u32_e32 v8, v7, v8
	v_lshrrev_b32_e32 v8, s14, v8
	s_delay_alu instid0(VALU_DEP_1) | instskip(SKIP_1) | instid1(VALU_DEP_2)
	v_mul_hi_u32 v9, s16, v8
	v_mul_lo_u32 v11, v8, s12
	v_add_nc_u32_e32 v9, v8, v9
	s_delay_alu instid0(VALU_DEP_2) | instskip(NEXT) | instid1(VALU_DEP_2)
	v_sub_nc_u32_e32 v7, v7, v11
	v_lshrrev_b32_e32 v9, s17, v9
	s_delay_alu instid0(VALU_DEP_2) | instskip(SKIP_1) | instid1(VALU_DEP_3)
	v_mul_lo_u32 v11, v7, s24
	v_mul_lo_u32 v15, v7, s25
	v_mul_hi_u32 v10, s19, v9
	s_delay_alu instid0(VALU_DEP_1) | instskip(NEXT) | instid1(VALU_DEP_1)
	v_add_nc_u32_e32 v10, v9, v10
	v_lshrrev_b32_e32 v10, s36, v10
	s_delay_alu instid0(VALU_DEP_1) | instskip(SKIP_1) | instid1(VALU_DEP_2)
	v_mul_hi_u32 v13, s38, v10
	v_mul_lo_u32 v17, v10, s18
	v_add_nc_u32_e32 v7, v10, v13
	v_mul_lo_u32 v13, v9, s15
	s_delay_alu instid0(VALU_DEP_3) | instskip(NEXT) | instid1(VALU_DEP_3)
	v_sub_nc_u32_e32 v9, v9, v17
	v_lshrrev_b32_e32 v7, s39, v7
	s_delay_alu instid0(VALU_DEP_2) | instskip(SKIP_2) | instid1(VALU_DEP_4)
	v_mul_lo_u32 v17, v9, s28
	v_mul_lo_u32 v9, v9, s29
	v_sub_nc_u32_e32 v8, v8, v13
	v_mul_lo_u32 v18, v7, s37
	s_delay_alu instid0(VALU_DEP_2) | instskip(SKIP_1) | instid1(VALU_DEP_3)
	v_mul_lo_u32 v13, v8, s26
	v_mul_lo_u32 v8, v8, s27
	v_sub_nc_u32_e32 v10, v10, v18
	s_delay_alu instid0(VALU_DEP_3) | instskip(NEXT) | instid1(VALU_DEP_2)
	v_add3_u32 v4, v11, v4, v13
	v_mul_lo_u32 v18, v10, s30
	v_mul_lo_u32 v10, v10, s31
	v_add3_u32 v5, v15, v5, v8
	s_delay_alu instid0(VALU_DEP_3) | instskip(NEXT) | instid1(VALU_DEP_2)
	v_add3_u32 v4, v17, v4, v18
	v_add3_u32 v5, v9, v5, v10
	s_cbranch_scc1 .LBB45_46
; %bb.47:
	s_and_b32 s7, s7, 3
	s_delay_alu instid0(SALU_CYCLE_1)
	s_cmp_eq_u32 s7, 0
	s_cbranch_scc0 .LBB45_50
	s_branch .LBB45_52
.LBB45_48:
	s_mov_b32 s6, -1
                                        ; implicit-def: $vgpr4
                                        ; implicit-def: $vgpr5
	s_branch .LBB45_52
.LBB45_49:
	v_mov_b32_e32 v7, v6
	v_mov_b32_e32 v5, 0
	s_and_b32 s7, s7, 3
	s_delay_alu instid0(SALU_CYCLE_1)
	s_cmp_eq_u32 s7, 0
	s_cbranch_scc1 .LBB45_52
.LBB45_50:
	s_lshl_b32 s2, s8, 3
	s_mul_i32 s4, s8, 12
	s_add_u32 s2, s2, s0
	s_addc_u32 s3, 0, s1
	s_add_u32 s2, s2, 0xc4
	s_addc_u32 s3, s3, 0
	;; [unrolled: 2-line block ×3, first 2 shown]
	.p2align	6
.LBB45_51:                              ; =>This Inner Loop Header: Depth=1
	s_clause 0x1
	s_load_b64 s[8:9], s[4:5], 0x4
	s_load_b32 s12, s[4:5], 0xc
	s_load_b64 s[10:11], s[2:3], 0x0
	s_add_u32 s4, s4, 12
	s_addc_u32 s5, s5, 0
	s_add_u32 s2, s2, 8
	s_addc_u32 s3, s3, 0
	s_add_i32 s7, s7, -1
	s_delay_alu instid0(SALU_CYCLE_1) | instskip(SKIP_2) | instid1(VALU_DEP_1)
	s_cmp_lg_u32 s7, 0
	s_waitcnt lgkmcnt(0)
	v_mul_hi_u32 v8, s9, v7
	v_add_nc_u32_e32 v8, v7, v8
	s_delay_alu instid0(VALU_DEP_1) | instskip(NEXT) | instid1(VALU_DEP_1)
	v_lshrrev_b32_e32 v11, s12, v8
	v_mul_lo_u32 v8, v11, s8
	s_delay_alu instid0(VALU_DEP_1) | instskip(NEXT) | instid1(VALU_DEP_1)
	v_sub_nc_u32_e32 v7, v7, v8
	v_mad_u64_u32 v[8:9], null, v7, s10, v[4:5]
	v_mad_u64_u32 v[9:10], null, v7, s11, v[5:6]
	s_delay_alu instid0(VALU_DEP_2) | instskip(NEXT) | instid1(VALU_DEP_2)
	v_dual_mov_b32 v7, v11 :: v_dual_mov_b32 v4, v8
	v_mov_b32_e32 v5, v9
	s_cbranch_scc1 .LBB45_51
.LBB45_52:
	s_and_not1_b32 vcc_lo, exec_lo, s6
	s_cbranch_vccnz .LBB45_55
; %bb.53:
	s_clause 0x1
	s_load_b128 s[4:7], s[0:1], 0x4
	s_load_b64 s[2:3], s[0:1], 0xc4
	s_cmp_lt_u32 s22, 2
	s_waitcnt lgkmcnt(0)
	v_mul_hi_u32 v4, s5, v6
	s_delay_alu instid0(VALU_DEP_1) | instskip(NEXT) | instid1(VALU_DEP_1)
	v_add_nc_u32_e32 v4, v6, v4
	v_lshrrev_b32_e32 v7, s6, v4
	s_delay_alu instid0(VALU_DEP_1) | instskip(NEXT) | instid1(VALU_DEP_1)
	v_mul_lo_u32 v4, v7, s4
	v_sub_nc_u32_e32 v5, v6, v4
	s_delay_alu instid0(VALU_DEP_1)
	v_mul_lo_u32 v4, v5, s2
	v_mul_lo_u32 v5, v5, s3
	s_cbranch_scc1 .LBB45_55
; %bb.54:
	s_clause 0x1
	s_load_b128 s[4:7], s[0:1], 0x10
	s_load_b64 s[2:3], s[0:1], 0xcc
	s_waitcnt lgkmcnt(0)
	v_mul_hi_u32 v6, s5, v7
	s_delay_alu instid0(VALU_DEP_1) | instskip(NEXT) | instid1(VALU_DEP_1)
	v_add_nc_u32_e32 v6, v7, v6
	v_lshrrev_b32_e32 v6, s6, v6
	s_delay_alu instid0(VALU_DEP_1) | instskip(NEXT) | instid1(VALU_DEP_1)
	v_mul_lo_u32 v6, v6, s4
	v_sub_nc_u32_e32 v9, v7, v6
	s_delay_alu instid0(VALU_DEP_1) | instskip(NEXT) | instid1(VALU_DEP_1)
	v_mad_u64_u32 v[6:7], null, v9, s2, v[4:5]
	v_mad_u64_u32 v[7:8], null, v9, s3, v[5:6]
	s_delay_alu instid0(VALU_DEP_1)
	v_dual_mov_b32 v4, v6 :: v_dual_mov_b32 v5, v7
.LBB45_55:
	v_cmp_ne_u32_e32 vcc_lo, 1, v14
	v_add_nc_u32_e32 v8, 0x180, v12
	s_cbranch_vccnz .LBB45_61
; %bb.56:
	v_dual_mov_b32 v6, 0 :: v_dual_mov_b32 v7, 0
	s_cmp_lg_u32 s22, 0
	s_mov_b32 s6, 0
	s_cbranch_scc0 .LBB45_65
; %bb.57:
	s_min_u32 s7, s23, 15
	v_mov_b32_e32 v6, 0
	s_add_i32 s7, s7, 1
	s_cmp_eq_u32 s23, 2
	s_mov_b32 s8, 0
	s_cbranch_scc1 .LBB45_62
; %bb.58:
	v_dual_mov_b32 v7, 0 :: v_dual_mov_b32 v6, 0
	v_mov_b32_e32 v9, v8
	s_add_u32 s2, s0, 0xc4
	s_addc_u32 s3, s1, 0
	s_and_b32 s8, s7, 28
	s_mov_b32 s9, 0
	s_mov_b64 s[4:5], s[0:1]
.LBB45_59:                              ; =>This Inner Loop Header: Depth=1
	s_clause 0x1
	s_load_b256 s[12:19], s[4:5], 0x4
	s_load_b128 s[36:39], s[4:5], 0x24
	s_load_b256 s[24:31], s[2:3], 0x0
	s_add_u32 s4, s4, 48
	s_addc_u32 s5, s5, 0
	s_add_i32 s9, s9, 4
	s_add_u32 s2, s2, 32
	s_addc_u32 s3, s3, 0
	s_cmp_lg_u32 s8, s9
	s_waitcnt lgkmcnt(0)
	v_mul_hi_u32 v10, s13, v9
	s_delay_alu instid0(VALU_DEP_1) | instskip(NEXT) | instid1(VALU_DEP_1)
	v_add_nc_u32_e32 v10, v9, v10
	v_lshrrev_b32_e32 v10, s14, v10
	s_delay_alu instid0(VALU_DEP_1) | instskip(SKIP_1) | instid1(VALU_DEP_2)
	v_mul_hi_u32 v11, s16, v10
	v_mul_lo_u32 v15, v10, s12
	v_add_nc_u32_e32 v11, v10, v11
	s_delay_alu instid0(VALU_DEP_2) | instskip(NEXT) | instid1(VALU_DEP_2)
	v_sub_nc_u32_e32 v9, v9, v15
	v_lshrrev_b32_e32 v11, s17, v11
	s_delay_alu instid0(VALU_DEP_2) | instskip(SKIP_1) | instid1(VALU_DEP_3)
	v_mul_lo_u32 v15, v9, s24
	v_mul_lo_u32 v18, v9, s25
	v_mul_hi_u32 v13, s19, v11
	s_delay_alu instid0(VALU_DEP_1) | instskip(NEXT) | instid1(VALU_DEP_1)
	v_add_nc_u32_e32 v13, v11, v13
	v_lshrrev_b32_e32 v13, s36, v13
	s_delay_alu instid0(VALU_DEP_1) | instskip(SKIP_1) | instid1(VALU_DEP_2)
	v_mul_hi_u32 v17, s38, v13
	v_mul_lo_u32 v19, v13, s18
	v_add_nc_u32_e32 v9, v13, v17
	v_mul_lo_u32 v17, v11, s15
	s_delay_alu instid0(VALU_DEP_3) | instskip(NEXT) | instid1(VALU_DEP_3)
	v_sub_nc_u32_e32 v11, v11, v19
	v_lshrrev_b32_e32 v9, s39, v9
	s_delay_alu instid0(VALU_DEP_2) | instskip(SKIP_2) | instid1(VALU_DEP_4)
	v_mul_lo_u32 v19, v11, s28
	v_mul_lo_u32 v11, v11, s29
	v_sub_nc_u32_e32 v10, v10, v17
	v_mul_lo_u32 v20, v9, s37
	s_delay_alu instid0(VALU_DEP_2) | instskip(SKIP_1) | instid1(VALU_DEP_3)
	v_mul_lo_u32 v17, v10, s26
	v_mul_lo_u32 v10, v10, s27
	v_sub_nc_u32_e32 v13, v13, v20
	s_delay_alu instid0(VALU_DEP_3) | instskip(NEXT) | instid1(VALU_DEP_2)
	v_add3_u32 v6, v15, v6, v17
	v_mul_lo_u32 v20, v13, s30
	v_mul_lo_u32 v13, v13, s31
	v_add3_u32 v7, v18, v7, v10
	s_delay_alu instid0(VALU_DEP_3) | instskip(NEXT) | instid1(VALU_DEP_2)
	v_add3_u32 v6, v19, v6, v20
	v_add3_u32 v7, v11, v7, v13
	s_cbranch_scc1 .LBB45_59
; %bb.60:
	s_and_b32 s7, s7, 3
	s_delay_alu instid0(SALU_CYCLE_1)
	s_cmp_eq_u32 s7, 0
	s_cbranch_scc0 .LBB45_63
	s_branch .LBB45_65
.LBB45_61:
	s_mov_b32 s6, -1
                                        ; implicit-def: $vgpr6
                                        ; implicit-def: $vgpr7
	s_branch .LBB45_65
.LBB45_62:
	v_mov_b32_e32 v9, v8
	v_mov_b32_e32 v7, 0
	s_and_b32 s7, s7, 3
	s_delay_alu instid0(SALU_CYCLE_1)
	s_cmp_eq_u32 s7, 0
	s_cbranch_scc1 .LBB45_65
.LBB45_63:
	s_lshl_b32 s2, s8, 3
	s_mul_i32 s4, s8, 12
	s_add_u32 s2, s2, s0
	s_addc_u32 s3, 0, s1
	s_add_u32 s2, s2, 0xc4
	s_addc_u32 s3, s3, 0
	;; [unrolled: 2-line block ×3, first 2 shown]
	.p2align	6
.LBB45_64:                              ; =>This Inner Loop Header: Depth=1
	s_clause 0x1
	s_load_b64 s[8:9], s[4:5], 0x4
	s_load_b32 s12, s[4:5], 0xc
	s_load_b64 s[10:11], s[2:3], 0x0
	s_add_u32 s4, s4, 12
	s_addc_u32 s5, s5, 0
	s_add_u32 s2, s2, 8
	s_addc_u32 s3, s3, 0
	s_add_i32 s7, s7, -1
	s_delay_alu instid0(SALU_CYCLE_1) | instskip(SKIP_2) | instid1(VALU_DEP_1)
	s_cmp_lg_u32 s7, 0
	s_waitcnt lgkmcnt(0)
	v_mul_hi_u32 v10, s9, v9
	v_add_nc_u32_e32 v10, v9, v10
	s_delay_alu instid0(VALU_DEP_1) | instskip(NEXT) | instid1(VALU_DEP_1)
	v_lshrrev_b32_e32 v13, s12, v10
	v_mul_lo_u32 v10, v13, s8
	s_delay_alu instid0(VALU_DEP_1) | instskip(NEXT) | instid1(VALU_DEP_1)
	v_sub_nc_u32_e32 v9, v9, v10
	v_mad_u64_u32 v[10:11], null, v9, s10, v[6:7]
	v_mad_u64_u32 v[17:18], null, v9, s11, v[7:8]
	s_delay_alu instid0(VALU_DEP_2) | instskip(NEXT) | instid1(VALU_DEP_2)
	v_dual_mov_b32 v9, v13 :: v_dual_mov_b32 v6, v10
	v_mov_b32_e32 v7, v17
	s_cbranch_scc1 .LBB45_64
.LBB45_65:
	s_and_not1_b32 vcc_lo, exec_lo, s6
	s_cbranch_vccnz .LBB45_68
; %bb.66:
	s_clause 0x1
	s_load_b128 s[4:7], s[0:1], 0x4
	s_load_b64 s[2:3], s[0:1], 0xc4
	s_cmp_lt_u32 s22, 2
	s_waitcnt lgkmcnt(0)
	v_mul_hi_u32 v6, s5, v8
	s_delay_alu instid0(VALU_DEP_1) | instskip(NEXT) | instid1(VALU_DEP_1)
	v_add_nc_u32_e32 v6, v8, v6
	v_lshrrev_b32_e32 v9, s6, v6
	s_delay_alu instid0(VALU_DEP_1) | instskip(NEXT) | instid1(VALU_DEP_1)
	v_mul_lo_u32 v6, v9, s4
	v_sub_nc_u32_e32 v7, v8, v6
	s_delay_alu instid0(VALU_DEP_1)
	v_mul_lo_u32 v6, v7, s2
	v_mul_lo_u32 v7, v7, s3
	s_cbranch_scc1 .LBB45_68
; %bb.67:
	s_clause 0x1
	s_load_b128 s[4:7], s[0:1], 0x10
	s_load_b64 s[2:3], s[0:1], 0xcc
	s_waitcnt lgkmcnt(0)
	v_mul_hi_u32 v8, s5, v9
	s_delay_alu instid0(VALU_DEP_1) | instskip(NEXT) | instid1(VALU_DEP_1)
	v_add_nc_u32_e32 v8, v9, v8
	v_lshrrev_b32_e32 v8, s6, v8
	s_delay_alu instid0(VALU_DEP_1) | instskip(NEXT) | instid1(VALU_DEP_1)
	v_mul_lo_u32 v8, v8, s4
	v_sub_nc_u32_e32 v11, v9, v8
	s_delay_alu instid0(VALU_DEP_1) | instskip(NEXT) | instid1(VALU_DEP_1)
	v_mad_u64_u32 v[8:9], null, v11, s2, v[6:7]
	v_mad_u64_u32 v[9:10], null, v11, s3, v[7:8]
	s_delay_alu instid0(VALU_DEP_1)
	v_dual_mov_b32 v6, v8 :: v_dual_mov_b32 v7, v9
.LBB45_68:
	v_cmp_ne_u32_e32 vcc_lo, 1, v14
	v_add_nc_u32_e32 v10, 0x200, v12
	s_cbranch_vccnz .LBB45_74
; %bb.69:
	v_dual_mov_b32 v8, 0 :: v_dual_mov_b32 v9, 0
	s_cmp_lg_u32 s22, 0
	s_mov_b32 s6, 0
	s_cbranch_scc0 .LBB45_78
; %bb.70:
	s_min_u32 s7, s23, 15
	v_mov_b32_e32 v8, 0
	s_add_i32 s7, s7, 1
	s_cmp_eq_u32 s23, 2
	s_mov_b32 s8, 0
	s_cbranch_scc1 .LBB45_75
; %bb.71:
	v_dual_mov_b32 v9, 0 :: v_dual_mov_b32 v8, 0
	v_mov_b32_e32 v11, v10
	s_add_u32 s2, s0, 0xc4
	s_addc_u32 s3, s1, 0
	s_and_b32 s8, s7, 28
	s_mov_b32 s9, 0
	s_mov_b64 s[4:5], s[0:1]
.LBB45_72:                              ; =>This Inner Loop Header: Depth=1
	s_clause 0x1
	s_load_b256 s[12:19], s[4:5], 0x4
	s_load_b128 s[36:39], s[4:5], 0x24
	s_load_b256 s[24:31], s[2:3], 0x0
	s_add_u32 s4, s4, 48
	s_addc_u32 s5, s5, 0
	s_add_i32 s9, s9, 4
	s_add_u32 s2, s2, 32
	s_addc_u32 s3, s3, 0
	s_cmp_lg_u32 s8, s9
	s_waitcnt lgkmcnt(0)
	v_mul_hi_u32 v13, s13, v11
	s_delay_alu instid0(VALU_DEP_1) | instskip(NEXT) | instid1(VALU_DEP_1)
	v_add_nc_u32_e32 v13, v11, v13
	v_lshrrev_b32_e32 v13, s14, v13
	s_delay_alu instid0(VALU_DEP_1) | instskip(SKIP_1) | instid1(VALU_DEP_2)
	v_mul_hi_u32 v15, s16, v13
	v_mul_lo_u32 v18, v13, s12
	v_add_nc_u32_e32 v15, v13, v15
	s_delay_alu instid0(VALU_DEP_2) | instskip(NEXT) | instid1(VALU_DEP_2)
	v_sub_nc_u32_e32 v11, v11, v18
	v_lshrrev_b32_e32 v15, s17, v15
	s_delay_alu instid0(VALU_DEP_2) | instskip(SKIP_1) | instid1(VALU_DEP_3)
	v_mul_lo_u32 v18, v11, s24
	v_mul_lo_u32 v20, v11, s25
	v_mul_hi_u32 v17, s19, v15
	s_delay_alu instid0(VALU_DEP_1) | instskip(NEXT) | instid1(VALU_DEP_1)
	v_add_nc_u32_e32 v17, v15, v17
	v_lshrrev_b32_e32 v17, s36, v17
	s_delay_alu instid0(VALU_DEP_1) | instskip(SKIP_1) | instid1(VALU_DEP_2)
	v_mul_hi_u32 v19, s38, v17
	v_mul_lo_u32 v21, v17, s18
	v_add_nc_u32_e32 v11, v17, v19
	v_mul_lo_u32 v19, v15, s15
	s_delay_alu instid0(VALU_DEP_3) | instskip(NEXT) | instid1(VALU_DEP_3)
	v_sub_nc_u32_e32 v15, v15, v21
	v_lshrrev_b32_e32 v11, s39, v11
	s_delay_alu instid0(VALU_DEP_2) | instskip(SKIP_2) | instid1(VALU_DEP_4)
	v_mul_lo_u32 v21, v15, s28
	v_mul_lo_u32 v15, v15, s29
	v_sub_nc_u32_e32 v13, v13, v19
	v_mul_lo_u32 v22, v11, s37
	s_delay_alu instid0(VALU_DEP_2) | instskip(SKIP_1) | instid1(VALU_DEP_3)
	v_mul_lo_u32 v19, v13, s26
	v_mul_lo_u32 v13, v13, s27
	v_sub_nc_u32_e32 v17, v17, v22
	s_delay_alu instid0(VALU_DEP_3) | instskip(NEXT) | instid1(VALU_DEP_2)
	v_add3_u32 v8, v18, v8, v19
	v_mul_lo_u32 v22, v17, s30
	v_mul_lo_u32 v17, v17, s31
	v_add3_u32 v9, v20, v9, v13
	s_delay_alu instid0(VALU_DEP_3) | instskip(NEXT) | instid1(VALU_DEP_2)
	v_add3_u32 v8, v21, v8, v22
	v_add3_u32 v9, v15, v9, v17
	s_cbranch_scc1 .LBB45_72
; %bb.73:
	s_and_b32 s7, s7, 3
	s_delay_alu instid0(SALU_CYCLE_1)
	s_cmp_eq_u32 s7, 0
	s_cbranch_scc0 .LBB45_76
	s_branch .LBB45_78
.LBB45_74:
	s_mov_b32 s6, -1
                                        ; implicit-def: $vgpr8
                                        ; implicit-def: $vgpr9
	s_branch .LBB45_78
.LBB45_75:
	v_mov_b32_e32 v11, v10
	v_mov_b32_e32 v9, 0
	s_and_b32 s7, s7, 3
	s_delay_alu instid0(SALU_CYCLE_1)
	s_cmp_eq_u32 s7, 0
	s_cbranch_scc1 .LBB45_78
.LBB45_76:
	s_lshl_b32 s2, s8, 3
	s_mul_i32 s4, s8, 12
	s_add_u32 s2, s2, s0
	s_addc_u32 s3, 0, s1
	s_add_u32 s2, s2, 0xc4
	s_addc_u32 s3, s3, 0
	;; [unrolled: 2-line block ×3, first 2 shown]
	.p2align	6
.LBB45_77:                              ; =>This Inner Loop Header: Depth=1
	s_clause 0x1
	s_load_b64 s[8:9], s[4:5], 0x4
	s_load_b32 s12, s[4:5], 0xc
	s_load_b64 s[10:11], s[2:3], 0x0
	s_add_u32 s4, s4, 12
	s_addc_u32 s5, s5, 0
	s_add_u32 s2, s2, 8
	s_addc_u32 s3, s3, 0
	s_add_i32 s7, s7, -1
	s_delay_alu instid0(SALU_CYCLE_1) | instskip(SKIP_2) | instid1(VALU_DEP_1)
	s_cmp_lg_u32 s7, 0
	s_waitcnt lgkmcnt(0)
	v_mul_hi_u32 v13, s9, v11
	v_add_nc_u32_e32 v13, v11, v13
	s_delay_alu instid0(VALU_DEP_1) | instskip(NEXT) | instid1(VALU_DEP_1)
	v_lshrrev_b32_e32 v13, s12, v13
	v_mul_lo_u32 v15, v13, s8
	s_delay_alu instid0(VALU_DEP_1) | instskip(NEXT) | instid1(VALU_DEP_1)
	v_sub_nc_u32_e32 v11, v11, v15
	v_mad_u64_u32 v[17:18], null, v11, s10, v[8:9]
	v_mad_u64_u32 v[18:19], null, v11, s11, v[9:10]
	v_mov_b32_e32 v11, v13
	s_delay_alu instid0(VALU_DEP_2)
	v_dual_mov_b32 v8, v17 :: v_dual_mov_b32 v9, v18
	s_cbranch_scc1 .LBB45_77
.LBB45_78:
	s_and_not1_b32 vcc_lo, exec_lo, s6
	s_cbranch_vccnz .LBB45_81
; %bb.79:
	s_clause 0x1
	s_load_b128 s[4:7], s[0:1], 0x4
	s_load_b64 s[2:3], s[0:1], 0xc4
	s_cmp_lt_u32 s22, 2
	s_waitcnt lgkmcnt(0)
	v_mul_hi_u32 v8, s5, v10
	s_delay_alu instid0(VALU_DEP_1) | instskip(NEXT) | instid1(VALU_DEP_1)
	v_add_nc_u32_e32 v8, v10, v8
	v_lshrrev_b32_e32 v11, s6, v8
	s_delay_alu instid0(VALU_DEP_1) | instskip(NEXT) | instid1(VALU_DEP_1)
	v_mul_lo_u32 v8, v11, s4
	v_sub_nc_u32_e32 v9, v10, v8
	s_delay_alu instid0(VALU_DEP_1)
	v_mul_lo_u32 v8, v9, s2
	v_mul_lo_u32 v9, v9, s3
	s_cbranch_scc1 .LBB45_81
; %bb.80:
	s_clause 0x1
	s_load_b128 s[4:7], s[0:1], 0x10
	s_load_b64 s[2:3], s[0:1], 0xcc
	s_waitcnt lgkmcnt(0)
	v_mul_hi_u32 v10, s5, v11
	s_delay_alu instid0(VALU_DEP_1) | instskip(NEXT) | instid1(VALU_DEP_1)
	v_add_nc_u32_e32 v10, v11, v10
	v_lshrrev_b32_e32 v10, s6, v10
	s_delay_alu instid0(VALU_DEP_1) | instskip(NEXT) | instid1(VALU_DEP_1)
	v_mul_lo_u32 v10, v10, s4
	v_sub_nc_u32_e32 v13, v11, v10
	s_delay_alu instid0(VALU_DEP_1) | instskip(NEXT) | instid1(VALU_DEP_1)
	v_mad_u64_u32 v[10:11], null, v13, s2, v[8:9]
	v_mad_u64_u32 v[17:18], null, v13, s3, v[9:10]
	s_delay_alu instid0(VALU_DEP_1)
	v_dual_mov_b32 v8, v10 :: v_dual_mov_b32 v9, v17
.LBB45_81:
	v_cmp_ne_u32_e32 vcc_lo, 1, v14
	v_add_nc_u32_e32 v13, 0x280, v12
	s_cbranch_vccnz .LBB45_87
; %bb.82:
	v_dual_mov_b32 v10, 0 :: v_dual_mov_b32 v11, 0
	s_cmp_lg_u32 s22, 0
	s_mov_b32 s6, 0
	s_cbranch_scc0 .LBB45_91
; %bb.83:
	s_min_u32 s7, s23, 15
	v_mov_b32_e32 v10, 0
	s_add_i32 s7, s7, 1
	s_cmp_eq_u32 s23, 2
	s_mov_b32 s8, 0
	s_cbranch_scc1 .LBB45_88
; %bb.84:
	v_dual_mov_b32 v11, 0 :: v_dual_mov_b32 v10, 0
	v_mov_b32_e32 v15, v13
	s_add_u32 s2, s0, 0xc4
	s_addc_u32 s3, s1, 0
	s_and_b32 s8, s7, 28
	s_mov_b32 s9, 0
	s_mov_b64 s[4:5], s[0:1]
.LBB45_85:                              ; =>This Inner Loop Header: Depth=1
	s_clause 0x1
	s_load_b256 s[12:19], s[4:5], 0x4
	s_load_b128 s[36:39], s[4:5], 0x24
	s_load_b256 s[24:31], s[2:3], 0x0
	s_add_u32 s4, s4, 48
	s_addc_u32 s5, s5, 0
	s_add_i32 s9, s9, 4
	s_add_u32 s2, s2, 32
	s_addc_u32 s3, s3, 0
	s_cmp_lg_u32 s8, s9
	s_waitcnt lgkmcnt(0)
	v_mul_hi_u32 v17, s13, v15
	s_delay_alu instid0(VALU_DEP_1) | instskip(NEXT) | instid1(VALU_DEP_1)
	v_add_nc_u32_e32 v17, v15, v17
	v_lshrrev_b32_e32 v17, s14, v17
	s_delay_alu instid0(VALU_DEP_1) | instskip(SKIP_1) | instid1(VALU_DEP_2)
	v_mul_hi_u32 v18, s16, v17
	v_mul_lo_u32 v20, v17, s12
	v_add_nc_u32_e32 v18, v17, v18
	s_delay_alu instid0(VALU_DEP_2) | instskip(NEXT) | instid1(VALU_DEP_2)
	v_sub_nc_u32_e32 v15, v15, v20
	v_lshrrev_b32_e32 v18, s17, v18
	s_delay_alu instid0(VALU_DEP_2) | instskip(SKIP_1) | instid1(VALU_DEP_3)
	v_mul_lo_u32 v20, v15, s24
	v_mul_lo_u32 v22, v15, s25
	v_mul_hi_u32 v19, s19, v18
	s_delay_alu instid0(VALU_DEP_1) | instskip(NEXT) | instid1(VALU_DEP_1)
	v_add_nc_u32_e32 v19, v18, v19
	v_lshrrev_b32_e32 v19, s36, v19
	s_delay_alu instid0(VALU_DEP_1) | instskip(SKIP_1) | instid1(VALU_DEP_2)
	v_mul_hi_u32 v21, s38, v19
	v_mul_lo_u32 v23, v19, s18
	v_add_nc_u32_e32 v15, v19, v21
	v_mul_lo_u32 v21, v18, s15
	s_delay_alu instid0(VALU_DEP_3) | instskip(NEXT) | instid1(VALU_DEP_3)
	v_sub_nc_u32_e32 v18, v18, v23
	v_lshrrev_b32_e32 v15, s39, v15
	s_delay_alu instid0(VALU_DEP_2) | instskip(SKIP_2) | instid1(VALU_DEP_4)
	v_mul_lo_u32 v23, v18, s28
	v_mul_lo_u32 v18, v18, s29
	v_sub_nc_u32_e32 v17, v17, v21
	v_mul_lo_u32 v24, v15, s37
	s_delay_alu instid0(VALU_DEP_2) | instskip(SKIP_1) | instid1(VALU_DEP_3)
	v_mul_lo_u32 v21, v17, s26
	v_mul_lo_u32 v17, v17, s27
	v_sub_nc_u32_e32 v19, v19, v24
	s_delay_alu instid0(VALU_DEP_3) | instskip(NEXT) | instid1(VALU_DEP_2)
	v_add3_u32 v10, v20, v10, v21
	v_mul_lo_u32 v24, v19, s30
	v_mul_lo_u32 v19, v19, s31
	v_add3_u32 v11, v22, v11, v17
	s_delay_alu instid0(VALU_DEP_3) | instskip(NEXT) | instid1(VALU_DEP_2)
	v_add3_u32 v10, v23, v10, v24
	v_add3_u32 v11, v18, v11, v19
	s_cbranch_scc1 .LBB45_85
; %bb.86:
	s_and_b32 s7, s7, 3
	s_delay_alu instid0(SALU_CYCLE_1)
	s_cmp_eq_u32 s7, 0
	s_cbranch_scc0 .LBB45_89
	s_branch .LBB45_91
.LBB45_87:
	s_mov_b32 s6, -1
                                        ; implicit-def: $vgpr10
                                        ; implicit-def: $vgpr11
	s_branch .LBB45_91
.LBB45_88:
	v_mov_b32_e32 v15, v13
	v_mov_b32_e32 v11, 0
	s_and_b32 s7, s7, 3
	s_delay_alu instid0(SALU_CYCLE_1)
	s_cmp_eq_u32 s7, 0
	s_cbranch_scc1 .LBB45_91
.LBB45_89:
	s_lshl_b32 s2, s8, 3
	s_mul_i32 s4, s8, 12
	s_add_u32 s2, s2, s0
	s_addc_u32 s3, 0, s1
	s_add_u32 s2, s2, 0xc4
	s_addc_u32 s3, s3, 0
	;; [unrolled: 2-line block ×3, first 2 shown]
	.p2align	6
.LBB45_90:                              ; =>This Inner Loop Header: Depth=1
	s_clause 0x1
	s_load_b64 s[8:9], s[4:5], 0x4
	s_load_b32 s12, s[4:5], 0xc
	s_load_b64 s[10:11], s[2:3], 0x0
	s_add_u32 s4, s4, 12
	s_addc_u32 s5, s5, 0
	s_add_u32 s2, s2, 8
	s_addc_u32 s3, s3, 0
	s_add_i32 s7, s7, -1
	s_delay_alu instid0(SALU_CYCLE_1) | instskip(SKIP_2) | instid1(VALU_DEP_1)
	s_cmp_lg_u32 s7, 0
	s_waitcnt lgkmcnt(0)
	v_mul_hi_u32 v17, s9, v15
	v_add_nc_u32_e32 v17, v15, v17
	s_delay_alu instid0(VALU_DEP_1) | instskip(NEXT) | instid1(VALU_DEP_1)
	v_lshrrev_b32_e32 v20, s12, v17
	v_mul_lo_u32 v17, v20, s8
	s_delay_alu instid0(VALU_DEP_1) | instskip(NEXT) | instid1(VALU_DEP_1)
	v_sub_nc_u32_e32 v15, v15, v17
	v_mad_u64_u32 v[17:18], null, v15, s10, v[10:11]
	v_mad_u64_u32 v[18:19], null, v15, s11, v[11:12]
	s_delay_alu instid0(VALU_DEP_2) | instskip(NEXT) | instid1(VALU_DEP_2)
	v_dual_mov_b32 v15, v20 :: v_dual_mov_b32 v10, v17
	v_mov_b32_e32 v11, v18
	s_cbranch_scc1 .LBB45_90
.LBB45_91:
	s_and_not1_b32 vcc_lo, exec_lo, s6
	s_cbranch_vccnz .LBB45_94
; %bb.92:
	s_clause 0x1
	s_load_b128 s[4:7], s[0:1], 0x4
	s_load_b64 s[2:3], s[0:1], 0xc4
	s_cmp_lt_u32 s22, 2
	s_waitcnt lgkmcnt(0)
	v_mul_hi_u32 v10, s5, v13
	s_delay_alu instid0(VALU_DEP_1) | instskip(NEXT) | instid1(VALU_DEP_1)
	v_add_nc_u32_e32 v10, v13, v10
	v_lshrrev_b32_e32 v15, s6, v10
	s_delay_alu instid0(VALU_DEP_1) | instskip(NEXT) | instid1(VALU_DEP_1)
	v_mul_lo_u32 v10, v15, s4
	v_sub_nc_u32_e32 v11, v13, v10
	s_delay_alu instid0(VALU_DEP_1)
	v_mul_lo_u32 v10, v11, s2
	v_mul_lo_u32 v11, v11, s3
	s_cbranch_scc1 .LBB45_94
; %bb.93:
	s_clause 0x1
	s_load_b128 s[4:7], s[0:1], 0x10
	s_load_b64 s[2:3], s[0:1], 0xcc
	s_waitcnt lgkmcnt(0)
	v_mul_hi_u32 v13, s5, v15
	s_delay_alu instid0(VALU_DEP_1) | instskip(NEXT) | instid1(VALU_DEP_1)
	v_add_nc_u32_e32 v13, v15, v13
	v_lshrrev_b32_e32 v13, s6, v13
	s_delay_alu instid0(VALU_DEP_1) | instskip(NEXT) | instid1(VALU_DEP_1)
	v_mul_lo_u32 v13, v13, s4
	v_sub_nc_u32_e32 v13, v15, v13
	s_delay_alu instid0(VALU_DEP_1) | instskip(SKIP_1) | instid1(VALU_DEP_1)
	v_mad_u64_u32 v[17:18], null, v13, s2, v[10:11]
	v_mad_u64_u32 v[18:19], null, v13, s3, v[11:12]
	v_dual_mov_b32 v10, v17 :: v_dual_mov_b32 v11, v18
.LBB45_94:
	v_cmp_ne_u32_e32 vcc_lo, 1, v14
	v_add_nc_u32_e32 v15, 0x300, v12
	s_cbranch_vccnz .LBB45_100
; %bb.95:
	v_dual_mov_b32 v12, 0 :: v_dual_mov_b32 v13, 0
	s_cmp_lg_u32 s22, 0
	s_mov_b32 s6, 0
	s_cbranch_scc0 .LBB45_104
; %bb.96:
	s_min_u32 s7, s23, 15
	v_mov_b32_e32 v12, 0
	s_add_i32 s7, s7, 1
	s_cmp_eq_u32 s23, 2
	s_mov_b32 s8, 0
	s_cbranch_scc1 .LBB45_101
; %bb.97:
	v_dual_mov_b32 v13, 0 :: v_dual_mov_b32 v12, 0
	v_mov_b32_e32 v17, v15
	s_add_u32 s2, s0, 0xc4
	s_addc_u32 s3, s1, 0
	s_and_b32 s8, s7, 28
	s_mov_b32 s9, 0
	s_mov_b64 s[4:5], s[0:1]
.LBB45_98:                              ; =>This Inner Loop Header: Depth=1
	s_clause 0x1
	s_load_b256 s[12:19], s[4:5], 0x4
	s_load_b128 s[36:39], s[4:5], 0x24
	s_load_b256 s[24:31], s[2:3], 0x0
	s_add_u32 s4, s4, 48
	s_addc_u32 s5, s5, 0
	s_add_i32 s9, s9, 4
	s_add_u32 s2, s2, 32
	s_addc_u32 s3, s3, 0
	s_cmp_lg_u32 s8, s9
	s_waitcnt lgkmcnt(0)
	v_mul_hi_u32 v18, s13, v17
	s_delay_alu instid0(VALU_DEP_1) | instskip(NEXT) | instid1(VALU_DEP_1)
	v_add_nc_u32_e32 v18, v17, v18
	v_lshrrev_b32_e32 v18, s14, v18
	s_delay_alu instid0(VALU_DEP_1) | instskip(SKIP_1) | instid1(VALU_DEP_2)
	v_mul_hi_u32 v19, s16, v18
	v_mul_lo_u32 v21, v18, s12
	v_add_nc_u32_e32 v19, v18, v19
	s_delay_alu instid0(VALU_DEP_2) | instskip(NEXT) | instid1(VALU_DEP_2)
	v_sub_nc_u32_e32 v17, v17, v21
	v_lshrrev_b32_e32 v19, s17, v19
	s_delay_alu instid0(VALU_DEP_2) | instskip(SKIP_1) | instid1(VALU_DEP_3)
	v_mul_lo_u32 v21, v17, s24
	v_mul_lo_u32 v23, v17, s25
	v_mul_hi_u32 v20, s19, v19
	s_delay_alu instid0(VALU_DEP_1) | instskip(NEXT) | instid1(VALU_DEP_1)
	v_add_nc_u32_e32 v20, v19, v20
	v_lshrrev_b32_e32 v20, s36, v20
	s_delay_alu instid0(VALU_DEP_1) | instskip(SKIP_1) | instid1(VALU_DEP_2)
	v_mul_hi_u32 v22, s38, v20
	v_mul_lo_u32 v24, v20, s18
	v_add_nc_u32_e32 v17, v20, v22
	v_mul_lo_u32 v22, v19, s15
	s_delay_alu instid0(VALU_DEP_3) | instskip(NEXT) | instid1(VALU_DEP_3)
	v_sub_nc_u32_e32 v19, v19, v24
	v_lshrrev_b32_e32 v17, s39, v17
	s_delay_alu instid0(VALU_DEP_2) | instskip(SKIP_2) | instid1(VALU_DEP_4)
	v_mul_lo_u32 v24, v19, s28
	v_mul_lo_u32 v19, v19, s29
	v_sub_nc_u32_e32 v18, v18, v22
	v_mul_lo_u32 v25, v17, s37
	s_delay_alu instid0(VALU_DEP_2) | instskip(SKIP_1) | instid1(VALU_DEP_3)
	v_mul_lo_u32 v22, v18, s26
	v_mul_lo_u32 v18, v18, s27
	v_sub_nc_u32_e32 v20, v20, v25
	s_delay_alu instid0(VALU_DEP_3) | instskip(NEXT) | instid1(VALU_DEP_2)
	v_add3_u32 v12, v21, v12, v22
	v_mul_lo_u32 v25, v20, s30
	v_mul_lo_u32 v20, v20, s31
	v_add3_u32 v13, v23, v13, v18
	s_delay_alu instid0(VALU_DEP_3) | instskip(NEXT) | instid1(VALU_DEP_2)
	v_add3_u32 v12, v24, v12, v25
	v_add3_u32 v13, v19, v13, v20
	s_cbranch_scc1 .LBB45_98
; %bb.99:
	s_and_b32 s7, s7, 3
	s_delay_alu instid0(SALU_CYCLE_1)
	s_cmp_eq_u32 s7, 0
	s_cbranch_scc0 .LBB45_102
	s_branch .LBB45_104
.LBB45_100:
	s_mov_b32 s6, -1
                                        ; implicit-def: $vgpr12
                                        ; implicit-def: $vgpr13
	s_branch .LBB45_104
.LBB45_101:
	v_mov_b32_e32 v17, v15
	v_mov_b32_e32 v13, 0
	s_and_b32 s7, s7, 3
	s_delay_alu instid0(SALU_CYCLE_1)
	s_cmp_eq_u32 s7, 0
	s_cbranch_scc1 .LBB45_104
.LBB45_102:
	s_lshl_b32 s2, s8, 3
	s_mul_i32 s4, s8, 12
	s_add_u32 s2, s2, s0
	s_addc_u32 s3, 0, s1
	s_add_u32 s2, s2, 0xc4
	s_addc_u32 s3, s3, 0
	s_add_u32 s4, s0, s4
	s_addc_u32 s5, 0, s1
	.p2align	6
.LBB45_103:                             ; =>This Inner Loop Header: Depth=1
	s_clause 0x1
	s_load_b64 s[8:9], s[4:5], 0x4
	s_load_b32 s12, s[4:5], 0xc
	s_load_b64 s[10:11], s[2:3], 0x0
	s_add_u32 s4, s4, 12
	s_addc_u32 s5, s5, 0
	s_add_u32 s2, s2, 8
	s_addc_u32 s3, s3, 0
	s_add_i32 s7, s7, -1
	s_delay_alu instid0(SALU_CYCLE_1) | instskip(SKIP_2) | instid1(VALU_DEP_1)
	s_cmp_lg_u32 s7, 0
	s_waitcnt lgkmcnt(0)
	v_mul_hi_u32 v18, s9, v17
	v_add_nc_u32_e32 v18, v17, v18
	s_delay_alu instid0(VALU_DEP_1) | instskip(NEXT) | instid1(VALU_DEP_1)
	v_lshrrev_b32_e32 v21, s12, v18
	v_mul_lo_u32 v18, v21, s8
	s_delay_alu instid0(VALU_DEP_1) | instskip(NEXT) | instid1(VALU_DEP_1)
	v_sub_nc_u32_e32 v17, v17, v18
	v_mad_u64_u32 v[18:19], null, v17, s10, v[12:13]
	v_mad_u64_u32 v[19:20], null, v17, s11, v[13:14]
	s_delay_alu instid0(VALU_DEP_2) | instskip(NEXT) | instid1(VALU_DEP_2)
	v_dual_mov_b32 v17, v21 :: v_dual_mov_b32 v12, v18
	v_mov_b32_e32 v13, v19
	s_cbranch_scc1 .LBB45_103
.LBB45_104:
	s_and_not1_b32 vcc_lo, exec_lo, s6
	s_cbranch_vccnz .LBB45_107
; %bb.105:
	s_clause 0x1
	s_load_b128 s[4:7], s[0:1], 0x4
	s_load_b64 s[2:3], s[0:1], 0xc4
	s_cmp_lt_u32 s22, 2
	s_waitcnt lgkmcnt(0)
	v_mul_hi_u32 v12, s5, v15
	s_delay_alu instid0(VALU_DEP_1) | instskip(NEXT) | instid1(VALU_DEP_1)
	v_add_nc_u32_e32 v12, v15, v12
	v_lshrrev_b32_e32 v17, s6, v12
	s_delay_alu instid0(VALU_DEP_1) | instskip(NEXT) | instid1(VALU_DEP_1)
	v_mul_lo_u32 v12, v17, s4
	v_sub_nc_u32_e32 v13, v15, v12
	s_delay_alu instid0(VALU_DEP_1)
	v_mul_lo_u32 v12, v13, s2
	v_mul_lo_u32 v13, v13, s3
	s_cbranch_scc1 .LBB45_107
; %bb.106:
	s_clause 0x1
	s_load_b128 s[4:7], s[0:1], 0x10
	s_load_b64 s[2:3], s[0:1], 0xcc
	s_waitcnt lgkmcnt(0)
	v_mul_hi_u32 v15, s5, v17
	s_delay_alu instid0(VALU_DEP_1) | instskip(NEXT) | instid1(VALU_DEP_1)
	v_add_nc_u32_e32 v15, v17, v15
	v_lshrrev_b32_e32 v15, s6, v15
	s_delay_alu instid0(VALU_DEP_1) | instskip(NEXT) | instid1(VALU_DEP_1)
	v_mul_lo_u32 v15, v15, s4
	v_sub_nc_u32_e32 v15, v17, v15
	s_delay_alu instid0(VALU_DEP_1) | instskip(SKIP_1) | instid1(VALU_DEP_1)
	v_mad_u64_u32 v[17:18], null, v15, s2, v[12:13]
	v_mad_u64_u32 v[18:19], null, v15, s3, v[13:14]
	v_dual_mov_b32 v12, v17 :: v_dual_mov_b32 v13, v18
.LBB45_107:
	v_cmp_ne_u32_e32 vcc_lo, 1, v14
	s_cbranch_vccnz .LBB45_113
; %bb.108:
	v_dual_mov_b32 v14, 0 :: v_dual_mov_b32 v15, 0
	s_cmp_lg_u32 s22, 0
	s_mov_b32 s6, 0
	s_cbranch_scc0 .LBB45_117
; %bb.109:
	s_min_u32 s7, s23, 15
	v_mov_b32_e32 v14, 0
	s_add_i32 s7, s7, 1
	s_cmp_eq_u32 s23, 2
	s_mov_b32 s8, 0
	s_cbranch_scc1 .LBB45_114
; %bb.110:
	v_dual_mov_b32 v15, 0 :: v_dual_mov_b32 v14, 0
	v_mov_b32_e32 v17, v16
	s_add_u32 s2, s0, 0xc4
	s_addc_u32 s3, s1, 0
	s_and_b32 s8, s7, 28
	s_mov_b32 s9, 0
	s_mov_b64 s[4:5], s[0:1]
.LBB45_111:                             ; =>This Inner Loop Header: Depth=1
	s_clause 0x1
	s_load_b256 s[12:19], s[4:5], 0x4
	s_load_b128 s[36:39], s[4:5], 0x24
	s_load_b256 s[24:31], s[2:3], 0x0
	s_add_u32 s4, s4, 48
	s_addc_u32 s5, s5, 0
	s_add_i32 s9, s9, 4
	s_add_u32 s2, s2, 32
	s_addc_u32 s3, s3, 0
	s_cmp_lg_u32 s8, s9
	s_waitcnt lgkmcnt(0)
	v_mul_hi_u32 v18, s13, v17
	s_delay_alu instid0(VALU_DEP_1) | instskip(NEXT) | instid1(VALU_DEP_1)
	v_add_nc_u32_e32 v18, v17, v18
	v_lshrrev_b32_e32 v18, s14, v18
	s_delay_alu instid0(VALU_DEP_1) | instskip(SKIP_1) | instid1(VALU_DEP_2)
	v_mul_hi_u32 v19, s16, v18
	v_mul_lo_u32 v21, v18, s12
	v_add_nc_u32_e32 v19, v18, v19
	s_delay_alu instid0(VALU_DEP_2) | instskip(NEXT) | instid1(VALU_DEP_2)
	v_sub_nc_u32_e32 v17, v17, v21
	v_lshrrev_b32_e32 v19, s17, v19
	s_delay_alu instid0(VALU_DEP_2) | instskip(SKIP_1) | instid1(VALU_DEP_3)
	v_mul_lo_u32 v21, v17, s24
	v_mul_lo_u32 v23, v17, s25
	v_mul_hi_u32 v20, s19, v19
	s_delay_alu instid0(VALU_DEP_1) | instskip(NEXT) | instid1(VALU_DEP_1)
	v_add_nc_u32_e32 v20, v19, v20
	v_lshrrev_b32_e32 v20, s36, v20
	s_delay_alu instid0(VALU_DEP_1) | instskip(SKIP_1) | instid1(VALU_DEP_2)
	v_mul_hi_u32 v22, s38, v20
	v_mul_lo_u32 v24, v20, s18
	v_add_nc_u32_e32 v17, v20, v22
	v_mul_lo_u32 v22, v19, s15
	s_delay_alu instid0(VALU_DEP_3) | instskip(NEXT) | instid1(VALU_DEP_3)
	v_sub_nc_u32_e32 v19, v19, v24
	v_lshrrev_b32_e32 v17, s39, v17
	s_delay_alu instid0(VALU_DEP_2) | instskip(SKIP_2) | instid1(VALU_DEP_4)
	v_mul_lo_u32 v24, v19, s28
	v_mul_lo_u32 v19, v19, s29
	v_sub_nc_u32_e32 v18, v18, v22
	v_mul_lo_u32 v25, v17, s37
	s_delay_alu instid0(VALU_DEP_2) | instskip(SKIP_1) | instid1(VALU_DEP_3)
	v_mul_lo_u32 v22, v18, s26
	v_mul_lo_u32 v18, v18, s27
	v_sub_nc_u32_e32 v20, v20, v25
	s_delay_alu instid0(VALU_DEP_3) | instskip(NEXT) | instid1(VALU_DEP_2)
	v_add3_u32 v14, v21, v14, v22
	v_mul_lo_u32 v25, v20, s30
	v_mul_lo_u32 v20, v20, s31
	v_add3_u32 v15, v23, v15, v18
	s_delay_alu instid0(VALU_DEP_3) | instskip(NEXT) | instid1(VALU_DEP_2)
	v_add3_u32 v14, v24, v14, v25
	v_add3_u32 v15, v19, v15, v20
	s_cbranch_scc1 .LBB45_111
; %bb.112:
	s_and_b32 s7, s7, 3
	s_delay_alu instid0(SALU_CYCLE_1)
	s_cmp_eq_u32 s7, 0
	s_cbranch_scc0 .LBB45_115
	s_branch .LBB45_117
.LBB45_113:
	s_mov_b32 s6, -1
                                        ; implicit-def: $vgpr14
                                        ; implicit-def: $vgpr15
	s_branch .LBB45_117
.LBB45_114:
	v_mov_b32_e32 v17, v16
	v_mov_b32_e32 v15, 0
	s_and_b32 s7, s7, 3
	s_delay_alu instid0(SALU_CYCLE_1)
	s_cmp_eq_u32 s7, 0
	s_cbranch_scc1 .LBB45_117
.LBB45_115:
	s_lshl_b32 s2, s8, 3
	s_mul_i32 s4, s8, 12
	s_add_u32 s2, s2, s0
	s_addc_u32 s3, 0, s1
	s_add_u32 s2, s2, 0xc4
	s_addc_u32 s3, s3, 0
	;; [unrolled: 2-line block ×3, first 2 shown]
	.p2align	6
.LBB45_116:                             ; =>This Inner Loop Header: Depth=1
	s_clause 0x1
	s_load_b64 s[8:9], s[4:5], 0x4
	s_load_b32 s12, s[4:5], 0xc
	s_load_b64 s[10:11], s[2:3], 0x0
	s_add_u32 s4, s4, 12
	s_addc_u32 s5, s5, 0
	s_add_u32 s2, s2, 8
	s_addc_u32 s3, s3, 0
	s_add_i32 s7, s7, -1
	s_delay_alu instid0(SALU_CYCLE_1) | instskip(SKIP_2) | instid1(VALU_DEP_1)
	s_cmp_lg_u32 s7, 0
	s_waitcnt lgkmcnt(0)
	v_mul_hi_u32 v18, s9, v17
	v_add_nc_u32_e32 v18, v17, v18
	s_delay_alu instid0(VALU_DEP_1) | instskip(NEXT) | instid1(VALU_DEP_1)
	v_lshrrev_b32_e32 v21, s12, v18
	v_mul_lo_u32 v18, v21, s8
	s_delay_alu instid0(VALU_DEP_1) | instskip(NEXT) | instid1(VALU_DEP_1)
	v_sub_nc_u32_e32 v17, v17, v18
	v_mad_u64_u32 v[18:19], null, v17, s10, v[14:15]
	v_mad_u64_u32 v[19:20], null, v17, s11, v[15:16]
	s_delay_alu instid0(VALU_DEP_2) | instskip(NEXT) | instid1(VALU_DEP_2)
	v_dual_mov_b32 v17, v21 :: v_dual_mov_b32 v14, v18
	v_mov_b32_e32 v15, v19
	s_cbranch_scc1 .LBB45_116
.LBB45_117:
	s_and_not1_b32 vcc_lo, exec_lo, s6
	s_cbranch_vccnz .LBB45_120
; %bb.118:
	s_clause 0x1
	s_load_b128 s[4:7], s[0:1], 0x4
	s_load_b64 s[2:3], s[0:1], 0xc4
	s_cmp_lt_u32 s22, 2
	s_waitcnt lgkmcnt(0)
	v_mul_hi_u32 v14, s5, v16
	s_delay_alu instid0(VALU_DEP_1) | instskip(NEXT) | instid1(VALU_DEP_1)
	v_add_nc_u32_e32 v14, v16, v14
	v_lshrrev_b32_e32 v17, s6, v14
	s_delay_alu instid0(VALU_DEP_1) | instskip(NEXT) | instid1(VALU_DEP_1)
	v_mul_lo_u32 v14, v17, s4
	v_sub_nc_u32_e32 v15, v16, v14
	s_delay_alu instid0(VALU_DEP_1)
	v_mul_lo_u32 v14, v15, s2
	v_mul_lo_u32 v15, v15, s3
	s_cbranch_scc1 .LBB45_120
; %bb.119:
	s_clause 0x1
	s_load_b128 s[4:7], s[0:1], 0x10
	s_load_b64 s[2:3], s[0:1], 0xcc
	s_waitcnt lgkmcnt(0)
	v_mul_hi_u32 v16, s5, v17
	s_delay_alu instid0(VALU_DEP_1) | instskip(NEXT) | instid1(VALU_DEP_1)
	v_add_nc_u32_e32 v16, v17, v16
	v_lshrrev_b32_e32 v16, s6, v16
	s_delay_alu instid0(VALU_DEP_1) | instskip(NEXT) | instid1(VALU_DEP_1)
	v_mul_lo_u32 v16, v16, s4
	v_sub_nc_u32_e32 v19, v17, v16
	s_delay_alu instid0(VALU_DEP_1) | instskip(NEXT) | instid1(VALU_DEP_1)
	v_mad_u64_u32 v[16:17], null, v19, s2, v[14:15]
	v_mad_u64_u32 v[17:18], null, v19, s3, v[15:16]
	s_delay_alu instid0(VALU_DEP_1)
	v_dual_mov_b32 v14, v16 :: v_dual_mov_b32 v15, v17
.LBB45_120:
	s_load_b128 s[0:3], s[0:1], 0x148
	s_waitcnt lgkmcnt(0)
	s_clause 0x7
	global_load_u16 v1, v1, s[2:3]
	global_load_u16 v3, v3, s[2:3]
	;; [unrolled: 1-line block ×8, first 2 shown]
	s_waitcnt vmcnt(7)
	v_xor_b32_e32 v1, -1, v1
	s_waitcnt vmcnt(6)
	v_xor_b32_e32 v3, -1, v3
	;; [unrolled: 2-line block ×8, first 2 shown]
	s_clause 0x7
	global_store_b16 v0, v1, s[0:1]
	global_store_b16 v2, v3, s[0:1]
	;; [unrolled: 1-line block ×8, first 2 shown]
	s_nop 0
	s_sendmsg sendmsg(MSG_DEALLOC_VGPRS)
	s_endpgm
.LBB45_121:
	v_dual_mov_b32 v2, v12 :: v_dual_mov_b32 v1, 0
.LBB45_122:
	s_and_b32 s34, s34, 3
	s_delay_alu instid0(SALU_CYCLE_1)
	s_cmp_eq_u32 s34, 0
	s_cbranch_scc1 .LBB45_125
; %bb.123:
	s_lshl_b32 s18, s33, 3
	s_mul_i32 s20, s33, 12
	s_add_u32 s18, s18, s0
	s_addc_u32 s19, s1, 0
	s_add_u32 s18, s18, 0xc4
	s_addc_u32 s19, s19, 0
	;; [unrolled: 2-line block ×3, first 2 shown]
	.p2align	6
.LBB45_124:                             ; =>This Inner Loop Header: Depth=1
	s_clause 0x1
	s_load_b64 s[36:37], s[20:21], 0x4
	s_load_b32 s33, s[20:21], 0xc
	s_load_b64 s[38:39], s[18:19], 0x0
	s_add_u32 s20, s20, 12
	s_addc_u32 s21, s21, 0
	s_add_u32 s18, s18, 8
	s_addc_u32 s19, s19, 0
	s_add_i32 s34, s34, -1
	s_delay_alu instid0(SALU_CYCLE_1) | instskip(SKIP_2) | instid1(VALU_DEP_1)
	s_cmp_lg_u32 s34, 0
	s_waitcnt lgkmcnt(0)
	v_mul_hi_u32 v3, s37, v2
	v_add_nc_u32_e32 v3, v2, v3
	s_delay_alu instid0(VALU_DEP_1) | instskip(NEXT) | instid1(VALU_DEP_1)
	v_lshrrev_b32_e32 v6, s33, v3
	v_mul_lo_u32 v3, v6, s36
	s_delay_alu instid0(VALU_DEP_1) | instskip(NEXT) | instid1(VALU_DEP_1)
	v_sub_nc_u32_e32 v2, v2, v3
	v_mad_u64_u32 v[3:4], null, v2, s38, v[0:1]
	v_mad_u64_u32 v[4:5], null, v2, s39, v[1:2]
	v_mov_b32_e32 v2, v6
	s_delay_alu instid0(VALU_DEP_2)
	v_dual_mov_b32 v0, v3 :: v_dual_mov_b32 v1, v4
	s_cbranch_scc1 .LBB45_124
.LBB45_125:
	s_and_not1_b32 vcc_lo, exec_lo, s31
	s_cbranch_vccnz .LBB45_128
; %bb.126:
	s_waitcnt lgkmcnt(0)
	v_mul_hi_u32 v0, s13, v12
	s_and_not1_b32 vcc_lo, exec_lo, s26
	s_delay_alu instid0(VALU_DEP_1) | instskip(NEXT) | instid1(VALU_DEP_1)
	v_add_nc_u32_e32 v0, v12, v0
	v_lshrrev_b32_e32 v2, s14, v0
	s_delay_alu instid0(VALU_DEP_1) | instskip(NEXT) | instid1(VALU_DEP_1)
	v_mul_lo_u32 v0, v2, s12
	v_sub_nc_u32_e32 v1, v12, v0
	s_delay_alu instid0(VALU_DEP_1)
	v_mul_lo_u32 v0, v1, s8
	v_mul_lo_u32 v1, v1, s9
	s_cbranch_vccnz .LBB45_128
; %bb.127:
	v_mul_hi_u32 v3, s2, v2
	s_delay_alu instid0(VALU_DEP_1) | instskip(NEXT) | instid1(VALU_DEP_1)
	v_add_nc_u32_e32 v3, v2, v3
	v_lshrrev_b32_e32 v3, s3, v3
	s_delay_alu instid0(VALU_DEP_1) | instskip(NEXT) | instid1(VALU_DEP_1)
	v_mul_lo_u32 v3, v3, s15
	v_sub_nc_u32_e32 v5, v2, v3
	s_delay_alu instid0(VALU_DEP_1) | instskip(NEXT) | instid1(VALU_DEP_1)
	v_mad_u64_u32 v[2:3], null, v5, s10, v[0:1]
	v_mad_u64_u32 v[3:4], null, v5, s11, v[1:2]
	s_delay_alu instid0(VALU_DEP_1)
	v_dual_mov_b32 v0, v2 :: v_dual_mov_b32 v1, v3
.LBB45_128:
	s_waitcnt lgkmcnt(0)
	global_load_u16 v1, v1, s[6:7]
	v_add_nc_u32_e32 v12, 0x80, v12
	s_waitcnt vmcnt(0)
	v_xor_b32_e32 v1, -1, v1
	global_store_b16 v0, v1, s[4:5]
	s_or_b32 exec_lo, exec_lo, s30
	s_delay_alu instid0(SALU_CYCLE_1)
	s_mov_b32 s30, exec_lo
	v_cmpx_gt_i32_e64 s27, v12
	s_cbranch_execnz .LBB45_15
.LBB45_129:
	s_or_b32 exec_lo, exec_lo, s30
	s_delay_alu instid0(SALU_CYCLE_1)
	s_mov_b32 s30, exec_lo
	v_cmpx_gt_i32_e64 s27, v12
	s_cbranch_execz .LBB45_144
.LBB45_130:
	s_and_not1_b32 vcc_lo, exec_lo, s24
	s_cbranch_vccnz .LBB45_135
; %bb.131:
	v_dual_mov_b32 v0, 0 :: v_dual_mov_b32 v1, 0
	s_and_not1_b32 vcc_lo, exec_lo, s29
	s_mov_b32 s31, 0
	s_cbranch_vccnz .LBB45_155
; %bb.132:
	v_mov_b32_e32 v0, 0
	s_add_i32 s34, s28, 1
	s_cmp_eq_u32 s23, 2
	s_mov_b32 s33, 0
	s_cbranch_scc1 .LBB45_151
; %bb.133:
	v_dual_mov_b32 v1, 0 :: v_dual_mov_b32 v0, 0
	v_mov_b32_e32 v2, v12
	s_and_b32 s33, s34, 28
	s_mov_b32 s35, 0
	s_mov_b64 s[18:19], s[16:17]
	s_mov_b64 s[20:21], s[0:1]
.LBB45_134:                             ; =>This Inner Loop Header: Depth=1
	s_clause 0x1
	s_load_b256 s[36:43], s[20:21], 0x4
	s_load_b128 s[52:55], s[20:21], 0x24
	s_load_b256 s[44:51], s[18:19], 0x0
	s_add_u32 s20, s20, 48
	s_addc_u32 s21, s21, 0
	s_add_i32 s35, s35, 4
	s_add_u32 s18, s18, 32
	s_addc_u32 s19, s19, 0
	s_cmp_eq_u32 s33, s35
	s_waitcnt lgkmcnt(0)
	v_mul_hi_u32 v3, s37, v2
	s_delay_alu instid0(VALU_DEP_1) | instskip(NEXT) | instid1(VALU_DEP_1)
	v_add_nc_u32_e32 v3, v2, v3
	v_lshrrev_b32_e32 v3, s38, v3
	s_delay_alu instid0(VALU_DEP_1) | instskip(SKIP_1) | instid1(VALU_DEP_2)
	v_mul_hi_u32 v4, s40, v3
	v_mul_lo_u32 v6, v3, s36
	v_add_nc_u32_e32 v4, v3, v4
	s_delay_alu instid0(VALU_DEP_2) | instskip(NEXT) | instid1(VALU_DEP_2)
	v_sub_nc_u32_e32 v2, v2, v6
	v_lshrrev_b32_e32 v4, s41, v4
	s_delay_alu instid0(VALU_DEP_2) | instskip(SKIP_1) | instid1(VALU_DEP_3)
	v_mul_lo_u32 v6, v2, s44
	v_mul_lo_u32 v8, v2, s45
	v_mul_hi_u32 v5, s43, v4
	s_delay_alu instid0(VALU_DEP_1) | instskip(NEXT) | instid1(VALU_DEP_1)
	v_add_nc_u32_e32 v5, v4, v5
	v_lshrrev_b32_e32 v5, s52, v5
	s_delay_alu instid0(VALU_DEP_1) | instskip(SKIP_1) | instid1(VALU_DEP_2)
	v_mul_hi_u32 v7, s54, v5
	v_mul_lo_u32 v9, v5, s42
	v_add_nc_u32_e32 v2, v5, v7
	v_mul_lo_u32 v7, v4, s39
	s_delay_alu instid0(VALU_DEP_3) | instskip(NEXT) | instid1(VALU_DEP_3)
	v_sub_nc_u32_e32 v4, v4, v9
	v_lshrrev_b32_e32 v2, s55, v2
	s_delay_alu instid0(VALU_DEP_2) | instskip(SKIP_2) | instid1(VALU_DEP_4)
	v_mul_lo_u32 v9, v4, s48
	v_mul_lo_u32 v4, v4, s49
	v_sub_nc_u32_e32 v3, v3, v7
	v_mul_lo_u32 v10, v2, s53
	s_delay_alu instid0(VALU_DEP_2) | instskip(SKIP_1) | instid1(VALU_DEP_3)
	v_mul_lo_u32 v7, v3, s46
	v_mul_lo_u32 v3, v3, s47
	v_sub_nc_u32_e32 v5, v5, v10
	s_delay_alu instid0(VALU_DEP_3) | instskip(NEXT) | instid1(VALU_DEP_2)
	v_add3_u32 v0, v6, v0, v7
	v_mul_lo_u32 v10, v5, s50
	v_mul_lo_u32 v5, v5, s51
	v_add3_u32 v1, v8, v1, v3
	s_delay_alu instid0(VALU_DEP_3) | instskip(NEXT) | instid1(VALU_DEP_2)
	v_add3_u32 v0, v9, v0, v10
	v_add3_u32 v1, v4, v1, v5
	s_cbranch_scc0 .LBB45_134
	s_branch .LBB45_152
.LBB45_135:
	s_mov_b32 s31, -1
                                        ; implicit-def: $vgpr0
                                        ; implicit-def: $vgpr1
	s_branch .LBB45_155
.LBB45_136:
	v_dual_mov_b32 v2, v12 :: v_dual_mov_b32 v1, 0
.LBB45_137:
	s_and_b32 s34, s34, 3
	s_delay_alu instid0(SALU_CYCLE_1)
	s_cmp_eq_u32 s34, 0
	s_cbranch_scc1 .LBB45_140
; %bb.138:
	s_lshl_b32 s18, s33, 3
	s_mul_i32 s20, s33, 12
	s_add_u32 s18, s18, s0
	s_addc_u32 s19, s1, 0
	s_add_u32 s18, s18, 0xc4
	s_addc_u32 s19, s19, 0
	;; [unrolled: 2-line block ×3, first 2 shown]
	.p2align	6
.LBB45_139:                             ; =>This Inner Loop Header: Depth=1
	s_clause 0x1
	s_load_b64 s[36:37], s[20:21], 0x4
	s_load_b32 s33, s[20:21], 0xc
	s_load_b64 s[38:39], s[18:19], 0x0
	s_add_u32 s20, s20, 12
	s_addc_u32 s21, s21, 0
	s_add_u32 s18, s18, 8
	s_addc_u32 s19, s19, 0
	s_add_i32 s34, s34, -1
	s_delay_alu instid0(SALU_CYCLE_1) | instskip(SKIP_2) | instid1(VALU_DEP_1)
	s_cmp_lg_u32 s34, 0
	s_waitcnt lgkmcnt(0)
	v_mul_hi_u32 v3, s37, v2
	v_add_nc_u32_e32 v3, v2, v3
	s_delay_alu instid0(VALU_DEP_1) | instskip(NEXT) | instid1(VALU_DEP_1)
	v_lshrrev_b32_e32 v6, s33, v3
	v_mul_lo_u32 v3, v6, s36
	s_delay_alu instid0(VALU_DEP_1) | instskip(NEXT) | instid1(VALU_DEP_1)
	v_sub_nc_u32_e32 v2, v2, v3
	v_mad_u64_u32 v[3:4], null, v2, s38, v[0:1]
	v_mad_u64_u32 v[4:5], null, v2, s39, v[1:2]
	v_mov_b32_e32 v2, v6
	s_delay_alu instid0(VALU_DEP_2)
	v_dual_mov_b32 v0, v3 :: v_dual_mov_b32 v1, v4
	s_cbranch_scc1 .LBB45_139
.LBB45_140:
	s_and_not1_b32 vcc_lo, exec_lo, s31
	s_cbranch_vccnz .LBB45_143
; %bb.141:
	s_waitcnt lgkmcnt(0)
	v_mul_hi_u32 v0, s13, v12
	s_and_not1_b32 vcc_lo, exec_lo, s26
	s_delay_alu instid0(VALU_DEP_1) | instskip(NEXT) | instid1(VALU_DEP_1)
	v_add_nc_u32_e32 v0, v12, v0
	v_lshrrev_b32_e32 v2, s14, v0
	s_delay_alu instid0(VALU_DEP_1) | instskip(NEXT) | instid1(VALU_DEP_1)
	v_mul_lo_u32 v0, v2, s12
	v_sub_nc_u32_e32 v1, v12, v0
	s_delay_alu instid0(VALU_DEP_1)
	v_mul_lo_u32 v0, v1, s8
	v_mul_lo_u32 v1, v1, s9
	s_cbranch_vccnz .LBB45_143
; %bb.142:
	v_mul_hi_u32 v3, s2, v2
	s_delay_alu instid0(VALU_DEP_1) | instskip(NEXT) | instid1(VALU_DEP_1)
	v_add_nc_u32_e32 v3, v2, v3
	v_lshrrev_b32_e32 v3, s3, v3
	s_delay_alu instid0(VALU_DEP_1) | instskip(NEXT) | instid1(VALU_DEP_1)
	v_mul_lo_u32 v3, v3, s15
	v_sub_nc_u32_e32 v5, v2, v3
	s_delay_alu instid0(VALU_DEP_1) | instskip(NEXT) | instid1(VALU_DEP_1)
	v_mad_u64_u32 v[2:3], null, v5, s10, v[0:1]
	v_mad_u64_u32 v[3:4], null, v5, s11, v[1:2]
	s_delay_alu instid0(VALU_DEP_1)
	v_dual_mov_b32 v0, v2 :: v_dual_mov_b32 v1, v3
.LBB45_143:
	s_waitcnt lgkmcnt(0)
	global_load_u16 v1, v1, s[6:7]
	v_add_nc_u32_e32 v12, 0x80, v12
	s_waitcnt vmcnt(0)
	v_xor_b32_e32 v1, -1, v1
	global_store_b16 v0, v1, s[4:5]
	s_or_b32 exec_lo, exec_lo, s30
	s_delay_alu instid0(SALU_CYCLE_1)
	s_mov_b32 s30, exec_lo
	v_cmpx_gt_i32_e64 s27, v12
	s_cbranch_execnz .LBB45_130
.LBB45_144:
	s_or_b32 exec_lo, exec_lo, s30
	s_delay_alu instid0(SALU_CYCLE_1)
	s_mov_b32 s30, exec_lo
	v_cmpx_gt_i32_e64 s27, v12
	s_cbranch_execz .LBB45_159
.LBB45_145:
	s_and_not1_b32 vcc_lo, exec_lo, s24
	s_cbranch_vccnz .LBB45_150
; %bb.146:
	v_dual_mov_b32 v0, 0 :: v_dual_mov_b32 v1, 0
	s_and_not1_b32 vcc_lo, exec_lo, s29
	s_mov_b32 s31, 0
	s_cbranch_vccnz .LBB45_170
; %bb.147:
	v_mov_b32_e32 v0, 0
	s_add_i32 s34, s28, 1
	s_cmp_eq_u32 s23, 2
	s_mov_b32 s33, 0
	s_cbranch_scc1 .LBB45_166
; %bb.148:
	v_dual_mov_b32 v1, 0 :: v_dual_mov_b32 v0, 0
	v_mov_b32_e32 v2, v12
	s_and_b32 s33, s34, 28
	s_mov_b32 s35, 0
	s_mov_b64 s[18:19], s[16:17]
	s_mov_b64 s[20:21], s[0:1]
.LBB45_149:                             ; =>This Inner Loop Header: Depth=1
	s_clause 0x1
	s_load_b256 s[36:43], s[20:21], 0x4
	s_load_b128 s[52:55], s[20:21], 0x24
	s_load_b256 s[44:51], s[18:19], 0x0
	s_add_u32 s20, s20, 48
	s_addc_u32 s21, s21, 0
	s_add_i32 s35, s35, 4
	s_add_u32 s18, s18, 32
	s_addc_u32 s19, s19, 0
	s_cmp_eq_u32 s33, s35
	s_waitcnt lgkmcnt(0)
	v_mul_hi_u32 v3, s37, v2
	s_delay_alu instid0(VALU_DEP_1) | instskip(NEXT) | instid1(VALU_DEP_1)
	v_add_nc_u32_e32 v3, v2, v3
	v_lshrrev_b32_e32 v3, s38, v3
	s_delay_alu instid0(VALU_DEP_1) | instskip(SKIP_1) | instid1(VALU_DEP_2)
	v_mul_hi_u32 v4, s40, v3
	v_mul_lo_u32 v6, v3, s36
	v_add_nc_u32_e32 v4, v3, v4
	s_delay_alu instid0(VALU_DEP_2) | instskip(NEXT) | instid1(VALU_DEP_2)
	v_sub_nc_u32_e32 v2, v2, v6
	v_lshrrev_b32_e32 v4, s41, v4
	s_delay_alu instid0(VALU_DEP_2) | instskip(SKIP_1) | instid1(VALU_DEP_3)
	v_mul_lo_u32 v6, v2, s44
	v_mul_lo_u32 v8, v2, s45
	v_mul_hi_u32 v5, s43, v4
	s_delay_alu instid0(VALU_DEP_1) | instskip(NEXT) | instid1(VALU_DEP_1)
	v_add_nc_u32_e32 v5, v4, v5
	v_lshrrev_b32_e32 v5, s52, v5
	s_delay_alu instid0(VALU_DEP_1) | instskip(SKIP_1) | instid1(VALU_DEP_2)
	v_mul_hi_u32 v7, s54, v5
	v_mul_lo_u32 v9, v5, s42
	v_add_nc_u32_e32 v2, v5, v7
	v_mul_lo_u32 v7, v4, s39
	s_delay_alu instid0(VALU_DEP_3) | instskip(NEXT) | instid1(VALU_DEP_3)
	v_sub_nc_u32_e32 v4, v4, v9
	v_lshrrev_b32_e32 v2, s55, v2
	s_delay_alu instid0(VALU_DEP_2) | instskip(SKIP_2) | instid1(VALU_DEP_4)
	v_mul_lo_u32 v9, v4, s48
	v_mul_lo_u32 v4, v4, s49
	v_sub_nc_u32_e32 v3, v3, v7
	v_mul_lo_u32 v10, v2, s53
	s_delay_alu instid0(VALU_DEP_2) | instskip(SKIP_1) | instid1(VALU_DEP_3)
	v_mul_lo_u32 v7, v3, s46
	v_mul_lo_u32 v3, v3, s47
	v_sub_nc_u32_e32 v5, v5, v10
	s_delay_alu instid0(VALU_DEP_3) | instskip(NEXT) | instid1(VALU_DEP_2)
	v_add3_u32 v0, v6, v0, v7
	v_mul_lo_u32 v10, v5, s50
	v_mul_lo_u32 v5, v5, s51
	v_add3_u32 v1, v8, v1, v3
	s_delay_alu instid0(VALU_DEP_3) | instskip(NEXT) | instid1(VALU_DEP_2)
	v_add3_u32 v0, v9, v0, v10
	v_add3_u32 v1, v4, v1, v5
	s_cbranch_scc0 .LBB45_149
	s_branch .LBB45_167
.LBB45_150:
	s_mov_b32 s31, -1
                                        ; implicit-def: $vgpr0
                                        ; implicit-def: $vgpr1
	s_branch .LBB45_170
.LBB45_151:
	v_dual_mov_b32 v2, v12 :: v_dual_mov_b32 v1, 0
.LBB45_152:
	s_and_b32 s34, s34, 3
	s_delay_alu instid0(SALU_CYCLE_1)
	s_cmp_eq_u32 s34, 0
	s_cbranch_scc1 .LBB45_155
; %bb.153:
	s_lshl_b32 s18, s33, 3
	s_mul_i32 s20, s33, 12
	s_add_u32 s18, s18, s0
	s_addc_u32 s19, s1, 0
	s_add_u32 s18, s18, 0xc4
	s_addc_u32 s19, s19, 0
	;; [unrolled: 2-line block ×3, first 2 shown]
	.p2align	6
.LBB45_154:                             ; =>This Inner Loop Header: Depth=1
	s_clause 0x1
	s_load_b64 s[36:37], s[20:21], 0x4
	s_load_b32 s33, s[20:21], 0xc
	s_load_b64 s[38:39], s[18:19], 0x0
	s_add_u32 s20, s20, 12
	s_addc_u32 s21, s21, 0
	s_add_u32 s18, s18, 8
	s_addc_u32 s19, s19, 0
	s_add_i32 s34, s34, -1
	s_delay_alu instid0(SALU_CYCLE_1) | instskip(SKIP_2) | instid1(VALU_DEP_1)
	s_cmp_lg_u32 s34, 0
	s_waitcnt lgkmcnt(0)
	v_mul_hi_u32 v3, s37, v2
	v_add_nc_u32_e32 v3, v2, v3
	s_delay_alu instid0(VALU_DEP_1) | instskip(NEXT) | instid1(VALU_DEP_1)
	v_lshrrev_b32_e32 v6, s33, v3
	v_mul_lo_u32 v3, v6, s36
	s_delay_alu instid0(VALU_DEP_1) | instskip(NEXT) | instid1(VALU_DEP_1)
	v_sub_nc_u32_e32 v2, v2, v3
	v_mad_u64_u32 v[3:4], null, v2, s38, v[0:1]
	v_mad_u64_u32 v[4:5], null, v2, s39, v[1:2]
	v_mov_b32_e32 v2, v6
	s_delay_alu instid0(VALU_DEP_2)
	v_dual_mov_b32 v0, v3 :: v_dual_mov_b32 v1, v4
	s_cbranch_scc1 .LBB45_154
.LBB45_155:
	s_and_not1_b32 vcc_lo, exec_lo, s31
	s_cbranch_vccnz .LBB45_158
; %bb.156:
	s_waitcnt lgkmcnt(0)
	v_mul_hi_u32 v0, s13, v12
	s_and_not1_b32 vcc_lo, exec_lo, s26
	s_delay_alu instid0(VALU_DEP_1) | instskip(NEXT) | instid1(VALU_DEP_1)
	v_add_nc_u32_e32 v0, v12, v0
	v_lshrrev_b32_e32 v2, s14, v0
	s_delay_alu instid0(VALU_DEP_1) | instskip(NEXT) | instid1(VALU_DEP_1)
	v_mul_lo_u32 v0, v2, s12
	v_sub_nc_u32_e32 v1, v12, v0
	s_delay_alu instid0(VALU_DEP_1)
	v_mul_lo_u32 v0, v1, s8
	v_mul_lo_u32 v1, v1, s9
	s_cbranch_vccnz .LBB45_158
; %bb.157:
	v_mul_hi_u32 v3, s2, v2
	s_delay_alu instid0(VALU_DEP_1) | instskip(NEXT) | instid1(VALU_DEP_1)
	v_add_nc_u32_e32 v3, v2, v3
	v_lshrrev_b32_e32 v3, s3, v3
	s_delay_alu instid0(VALU_DEP_1) | instskip(NEXT) | instid1(VALU_DEP_1)
	v_mul_lo_u32 v3, v3, s15
	v_sub_nc_u32_e32 v5, v2, v3
	s_delay_alu instid0(VALU_DEP_1) | instskip(NEXT) | instid1(VALU_DEP_1)
	v_mad_u64_u32 v[2:3], null, v5, s10, v[0:1]
	v_mad_u64_u32 v[3:4], null, v5, s11, v[1:2]
	s_delay_alu instid0(VALU_DEP_1)
	v_dual_mov_b32 v0, v2 :: v_dual_mov_b32 v1, v3
.LBB45_158:
	s_waitcnt lgkmcnt(0)
	global_load_u16 v1, v1, s[6:7]
	v_add_nc_u32_e32 v12, 0x80, v12
	s_waitcnt vmcnt(0)
	v_xor_b32_e32 v1, -1, v1
	global_store_b16 v0, v1, s[4:5]
	s_or_b32 exec_lo, exec_lo, s30
	s_delay_alu instid0(SALU_CYCLE_1)
	s_mov_b32 s30, exec_lo
	v_cmpx_gt_i32_e64 s27, v12
	s_cbranch_execnz .LBB45_145
.LBB45_159:
	s_or_b32 exec_lo, exec_lo, s30
	s_delay_alu instid0(SALU_CYCLE_1)
	s_mov_b32 s30, exec_lo
	v_cmpx_gt_i32_e64 s27, v12
	s_cbranch_execz .LBB45_174
.LBB45_160:
	s_and_not1_b32 vcc_lo, exec_lo, s24
	s_cbranch_vccnz .LBB45_165
; %bb.161:
	v_dual_mov_b32 v0, 0 :: v_dual_mov_b32 v1, 0
	s_and_not1_b32 vcc_lo, exec_lo, s29
	s_mov_b32 s31, 0
	s_cbranch_vccnz .LBB45_185
; %bb.162:
	v_mov_b32_e32 v0, 0
	s_add_i32 s34, s28, 1
	s_cmp_eq_u32 s23, 2
	s_mov_b32 s33, 0
	s_cbranch_scc1 .LBB45_181
; %bb.163:
	v_dual_mov_b32 v1, 0 :: v_dual_mov_b32 v0, 0
	v_mov_b32_e32 v2, v12
	s_and_b32 s33, s34, 28
	s_mov_b32 s35, 0
	s_mov_b64 s[18:19], s[16:17]
	s_mov_b64 s[20:21], s[0:1]
.LBB45_164:                             ; =>This Inner Loop Header: Depth=1
	s_clause 0x1
	s_load_b256 s[36:43], s[20:21], 0x4
	s_load_b128 s[52:55], s[20:21], 0x24
	s_load_b256 s[44:51], s[18:19], 0x0
	s_add_u32 s20, s20, 48
	s_addc_u32 s21, s21, 0
	s_add_i32 s35, s35, 4
	s_add_u32 s18, s18, 32
	s_addc_u32 s19, s19, 0
	s_cmp_eq_u32 s33, s35
	s_waitcnt lgkmcnt(0)
	v_mul_hi_u32 v3, s37, v2
	s_delay_alu instid0(VALU_DEP_1) | instskip(NEXT) | instid1(VALU_DEP_1)
	v_add_nc_u32_e32 v3, v2, v3
	v_lshrrev_b32_e32 v3, s38, v3
	s_delay_alu instid0(VALU_DEP_1) | instskip(SKIP_1) | instid1(VALU_DEP_2)
	v_mul_hi_u32 v4, s40, v3
	v_mul_lo_u32 v6, v3, s36
	v_add_nc_u32_e32 v4, v3, v4
	s_delay_alu instid0(VALU_DEP_2) | instskip(NEXT) | instid1(VALU_DEP_2)
	v_sub_nc_u32_e32 v2, v2, v6
	v_lshrrev_b32_e32 v4, s41, v4
	s_delay_alu instid0(VALU_DEP_2) | instskip(SKIP_1) | instid1(VALU_DEP_3)
	v_mul_lo_u32 v6, v2, s44
	v_mul_lo_u32 v8, v2, s45
	v_mul_hi_u32 v5, s43, v4
	s_delay_alu instid0(VALU_DEP_1) | instskip(NEXT) | instid1(VALU_DEP_1)
	v_add_nc_u32_e32 v5, v4, v5
	v_lshrrev_b32_e32 v5, s52, v5
	s_delay_alu instid0(VALU_DEP_1) | instskip(SKIP_1) | instid1(VALU_DEP_2)
	v_mul_hi_u32 v7, s54, v5
	v_mul_lo_u32 v9, v5, s42
	v_add_nc_u32_e32 v2, v5, v7
	v_mul_lo_u32 v7, v4, s39
	s_delay_alu instid0(VALU_DEP_3) | instskip(NEXT) | instid1(VALU_DEP_3)
	v_sub_nc_u32_e32 v4, v4, v9
	v_lshrrev_b32_e32 v2, s55, v2
	s_delay_alu instid0(VALU_DEP_2) | instskip(SKIP_2) | instid1(VALU_DEP_4)
	v_mul_lo_u32 v9, v4, s48
	v_mul_lo_u32 v4, v4, s49
	v_sub_nc_u32_e32 v3, v3, v7
	v_mul_lo_u32 v10, v2, s53
	s_delay_alu instid0(VALU_DEP_2) | instskip(SKIP_1) | instid1(VALU_DEP_3)
	v_mul_lo_u32 v7, v3, s46
	v_mul_lo_u32 v3, v3, s47
	v_sub_nc_u32_e32 v5, v5, v10
	s_delay_alu instid0(VALU_DEP_3) | instskip(NEXT) | instid1(VALU_DEP_2)
	v_add3_u32 v0, v6, v0, v7
	v_mul_lo_u32 v10, v5, s50
	v_mul_lo_u32 v5, v5, s51
	v_add3_u32 v1, v8, v1, v3
	s_delay_alu instid0(VALU_DEP_3) | instskip(NEXT) | instid1(VALU_DEP_2)
	v_add3_u32 v0, v9, v0, v10
	v_add3_u32 v1, v4, v1, v5
	s_cbranch_scc0 .LBB45_164
	s_branch .LBB45_182
.LBB45_165:
	s_mov_b32 s31, -1
                                        ; implicit-def: $vgpr0
                                        ; implicit-def: $vgpr1
	s_branch .LBB45_185
.LBB45_166:
	v_dual_mov_b32 v2, v12 :: v_dual_mov_b32 v1, 0
.LBB45_167:
	s_and_b32 s34, s34, 3
	s_delay_alu instid0(SALU_CYCLE_1)
	s_cmp_eq_u32 s34, 0
	s_cbranch_scc1 .LBB45_170
; %bb.168:
	s_lshl_b32 s18, s33, 3
	s_mul_i32 s20, s33, 12
	s_add_u32 s18, s18, s0
	s_addc_u32 s19, s1, 0
	s_add_u32 s18, s18, 0xc4
	s_addc_u32 s19, s19, 0
	s_add_u32 s20, s0, s20
	s_addc_u32 s21, s1, 0
	.p2align	6
.LBB45_169:                             ; =>This Inner Loop Header: Depth=1
	s_clause 0x1
	s_load_b64 s[36:37], s[20:21], 0x4
	s_load_b32 s33, s[20:21], 0xc
	s_load_b64 s[38:39], s[18:19], 0x0
	s_add_u32 s20, s20, 12
	s_addc_u32 s21, s21, 0
	s_add_u32 s18, s18, 8
	s_addc_u32 s19, s19, 0
	s_add_i32 s34, s34, -1
	s_delay_alu instid0(SALU_CYCLE_1) | instskip(SKIP_2) | instid1(VALU_DEP_1)
	s_cmp_lg_u32 s34, 0
	s_waitcnt lgkmcnt(0)
	v_mul_hi_u32 v3, s37, v2
	v_add_nc_u32_e32 v3, v2, v3
	s_delay_alu instid0(VALU_DEP_1) | instskip(NEXT) | instid1(VALU_DEP_1)
	v_lshrrev_b32_e32 v6, s33, v3
	v_mul_lo_u32 v3, v6, s36
	s_delay_alu instid0(VALU_DEP_1) | instskip(NEXT) | instid1(VALU_DEP_1)
	v_sub_nc_u32_e32 v2, v2, v3
	v_mad_u64_u32 v[3:4], null, v2, s38, v[0:1]
	v_mad_u64_u32 v[4:5], null, v2, s39, v[1:2]
	v_mov_b32_e32 v2, v6
	s_delay_alu instid0(VALU_DEP_2)
	v_dual_mov_b32 v0, v3 :: v_dual_mov_b32 v1, v4
	s_cbranch_scc1 .LBB45_169
.LBB45_170:
	s_and_not1_b32 vcc_lo, exec_lo, s31
	s_cbranch_vccnz .LBB45_173
; %bb.171:
	s_waitcnt lgkmcnt(0)
	v_mul_hi_u32 v0, s13, v12
	s_and_not1_b32 vcc_lo, exec_lo, s26
	s_delay_alu instid0(VALU_DEP_1) | instskip(NEXT) | instid1(VALU_DEP_1)
	v_add_nc_u32_e32 v0, v12, v0
	v_lshrrev_b32_e32 v2, s14, v0
	s_delay_alu instid0(VALU_DEP_1) | instskip(NEXT) | instid1(VALU_DEP_1)
	v_mul_lo_u32 v0, v2, s12
	v_sub_nc_u32_e32 v1, v12, v0
	s_delay_alu instid0(VALU_DEP_1)
	v_mul_lo_u32 v0, v1, s8
	v_mul_lo_u32 v1, v1, s9
	s_cbranch_vccnz .LBB45_173
; %bb.172:
	v_mul_hi_u32 v3, s2, v2
	s_delay_alu instid0(VALU_DEP_1) | instskip(NEXT) | instid1(VALU_DEP_1)
	v_add_nc_u32_e32 v3, v2, v3
	v_lshrrev_b32_e32 v3, s3, v3
	s_delay_alu instid0(VALU_DEP_1) | instskip(NEXT) | instid1(VALU_DEP_1)
	v_mul_lo_u32 v3, v3, s15
	v_sub_nc_u32_e32 v5, v2, v3
	s_delay_alu instid0(VALU_DEP_1) | instskip(NEXT) | instid1(VALU_DEP_1)
	v_mad_u64_u32 v[2:3], null, v5, s10, v[0:1]
	v_mad_u64_u32 v[3:4], null, v5, s11, v[1:2]
	s_delay_alu instid0(VALU_DEP_1)
	v_dual_mov_b32 v0, v2 :: v_dual_mov_b32 v1, v3
.LBB45_173:
	s_waitcnt lgkmcnt(0)
	global_load_u16 v1, v1, s[6:7]
	v_add_nc_u32_e32 v12, 0x80, v12
	s_waitcnt vmcnt(0)
	v_xor_b32_e32 v1, -1, v1
	global_store_b16 v0, v1, s[4:5]
	s_or_b32 exec_lo, exec_lo, s30
	s_delay_alu instid0(SALU_CYCLE_1)
	s_mov_b32 s30, exec_lo
	v_cmpx_gt_i32_e64 s27, v12
	s_cbranch_execnz .LBB45_160
.LBB45_174:
	s_or_b32 exec_lo, exec_lo, s30
	s_delay_alu instid0(SALU_CYCLE_1)
	s_mov_b32 s30, exec_lo
	v_cmpx_gt_i32_e64 s27, v12
	s_cbranch_execz .LBB45_189
.LBB45_175:
	s_and_not1_b32 vcc_lo, exec_lo, s24
	s_cbranch_vccnz .LBB45_180
; %bb.176:
	v_dual_mov_b32 v0, 0 :: v_dual_mov_b32 v1, 0
	s_and_not1_b32 vcc_lo, exec_lo, s29
	s_mov_b32 s31, 0
	s_cbranch_vccnz .LBB45_200
; %bb.177:
	v_mov_b32_e32 v0, 0
	s_add_i32 s34, s28, 1
	s_cmp_eq_u32 s23, 2
	s_mov_b32 s33, 0
	s_cbranch_scc1 .LBB45_196
; %bb.178:
	v_dual_mov_b32 v1, 0 :: v_dual_mov_b32 v0, 0
	v_mov_b32_e32 v2, v12
	s_and_b32 s33, s34, 28
	s_mov_b32 s35, 0
	s_mov_b64 s[18:19], s[16:17]
	s_mov_b64 s[20:21], s[0:1]
.LBB45_179:                             ; =>This Inner Loop Header: Depth=1
	s_clause 0x1
	s_load_b256 s[36:43], s[20:21], 0x4
	s_load_b128 s[52:55], s[20:21], 0x24
	s_load_b256 s[44:51], s[18:19], 0x0
	s_add_u32 s20, s20, 48
	s_addc_u32 s21, s21, 0
	s_add_i32 s35, s35, 4
	s_add_u32 s18, s18, 32
	s_addc_u32 s19, s19, 0
	s_cmp_eq_u32 s33, s35
	s_waitcnt lgkmcnt(0)
	v_mul_hi_u32 v3, s37, v2
	s_delay_alu instid0(VALU_DEP_1) | instskip(NEXT) | instid1(VALU_DEP_1)
	v_add_nc_u32_e32 v3, v2, v3
	v_lshrrev_b32_e32 v3, s38, v3
	s_delay_alu instid0(VALU_DEP_1) | instskip(SKIP_1) | instid1(VALU_DEP_2)
	v_mul_hi_u32 v4, s40, v3
	v_mul_lo_u32 v6, v3, s36
	v_add_nc_u32_e32 v4, v3, v4
	s_delay_alu instid0(VALU_DEP_2) | instskip(NEXT) | instid1(VALU_DEP_2)
	v_sub_nc_u32_e32 v2, v2, v6
	v_lshrrev_b32_e32 v4, s41, v4
	s_delay_alu instid0(VALU_DEP_2) | instskip(SKIP_1) | instid1(VALU_DEP_3)
	v_mul_lo_u32 v6, v2, s44
	v_mul_lo_u32 v8, v2, s45
	v_mul_hi_u32 v5, s43, v4
	s_delay_alu instid0(VALU_DEP_1) | instskip(NEXT) | instid1(VALU_DEP_1)
	v_add_nc_u32_e32 v5, v4, v5
	v_lshrrev_b32_e32 v5, s52, v5
	s_delay_alu instid0(VALU_DEP_1) | instskip(SKIP_1) | instid1(VALU_DEP_2)
	v_mul_hi_u32 v7, s54, v5
	v_mul_lo_u32 v9, v5, s42
	v_add_nc_u32_e32 v2, v5, v7
	v_mul_lo_u32 v7, v4, s39
	s_delay_alu instid0(VALU_DEP_3) | instskip(NEXT) | instid1(VALU_DEP_3)
	v_sub_nc_u32_e32 v4, v4, v9
	v_lshrrev_b32_e32 v2, s55, v2
	s_delay_alu instid0(VALU_DEP_2) | instskip(SKIP_2) | instid1(VALU_DEP_4)
	v_mul_lo_u32 v9, v4, s48
	v_mul_lo_u32 v4, v4, s49
	v_sub_nc_u32_e32 v3, v3, v7
	v_mul_lo_u32 v10, v2, s53
	s_delay_alu instid0(VALU_DEP_2) | instskip(SKIP_1) | instid1(VALU_DEP_3)
	v_mul_lo_u32 v7, v3, s46
	v_mul_lo_u32 v3, v3, s47
	v_sub_nc_u32_e32 v5, v5, v10
	s_delay_alu instid0(VALU_DEP_3) | instskip(NEXT) | instid1(VALU_DEP_2)
	v_add3_u32 v0, v6, v0, v7
	v_mul_lo_u32 v10, v5, s50
	v_mul_lo_u32 v5, v5, s51
	v_add3_u32 v1, v8, v1, v3
	s_delay_alu instid0(VALU_DEP_3) | instskip(NEXT) | instid1(VALU_DEP_2)
	v_add3_u32 v0, v9, v0, v10
	v_add3_u32 v1, v4, v1, v5
	s_cbranch_scc0 .LBB45_179
	s_branch .LBB45_197
.LBB45_180:
	s_mov_b32 s31, -1
                                        ; implicit-def: $vgpr0
                                        ; implicit-def: $vgpr1
	s_branch .LBB45_200
.LBB45_181:
	v_dual_mov_b32 v2, v12 :: v_dual_mov_b32 v1, 0
.LBB45_182:
	s_and_b32 s34, s34, 3
	s_delay_alu instid0(SALU_CYCLE_1)
	s_cmp_eq_u32 s34, 0
	s_cbranch_scc1 .LBB45_185
; %bb.183:
	s_lshl_b32 s18, s33, 3
	s_mul_i32 s20, s33, 12
	s_add_u32 s18, s18, s0
	s_addc_u32 s19, s1, 0
	s_add_u32 s18, s18, 0xc4
	s_addc_u32 s19, s19, 0
	;; [unrolled: 2-line block ×3, first 2 shown]
	.p2align	6
.LBB45_184:                             ; =>This Inner Loop Header: Depth=1
	s_clause 0x1
	s_load_b64 s[36:37], s[20:21], 0x4
	s_load_b32 s33, s[20:21], 0xc
	s_load_b64 s[38:39], s[18:19], 0x0
	s_add_u32 s20, s20, 12
	s_addc_u32 s21, s21, 0
	s_add_u32 s18, s18, 8
	s_addc_u32 s19, s19, 0
	s_add_i32 s34, s34, -1
	s_delay_alu instid0(SALU_CYCLE_1) | instskip(SKIP_2) | instid1(VALU_DEP_1)
	s_cmp_lg_u32 s34, 0
	s_waitcnt lgkmcnt(0)
	v_mul_hi_u32 v3, s37, v2
	v_add_nc_u32_e32 v3, v2, v3
	s_delay_alu instid0(VALU_DEP_1) | instskip(NEXT) | instid1(VALU_DEP_1)
	v_lshrrev_b32_e32 v6, s33, v3
	v_mul_lo_u32 v3, v6, s36
	s_delay_alu instid0(VALU_DEP_1) | instskip(NEXT) | instid1(VALU_DEP_1)
	v_sub_nc_u32_e32 v2, v2, v3
	v_mad_u64_u32 v[3:4], null, v2, s38, v[0:1]
	v_mad_u64_u32 v[4:5], null, v2, s39, v[1:2]
	v_mov_b32_e32 v2, v6
	s_delay_alu instid0(VALU_DEP_2)
	v_dual_mov_b32 v0, v3 :: v_dual_mov_b32 v1, v4
	s_cbranch_scc1 .LBB45_184
.LBB45_185:
	s_and_not1_b32 vcc_lo, exec_lo, s31
	s_cbranch_vccnz .LBB45_188
; %bb.186:
	s_waitcnt lgkmcnt(0)
	v_mul_hi_u32 v0, s13, v12
	s_and_not1_b32 vcc_lo, exec_lo, s26
	s_delay_alu instid0(VALU_DEP_1) | instskip(NEXT) | instid1(VALU_DEP_1)
	v_add_nc_u32_e32 v0, v12, v0
	v_lshrrev_b32_e32 v2, s14, v0
	s_delay_alu instid0(VALU_DEP_1) | instskip(NEXT) | instid1(VALU_DEP_1)
	v_mul_lo_u32 v0, v2, s12
	v_sub_nc_u32_e32 v1, v12, v0
	s_delay_alu instid0(VALU_DEP_1)
	v_mul_lo_u32 v0, v1, s8
	v_mul_lo_u32 v1, v1, s9
	s_cbranch_vccnz .LBB45_188
; %bb.187:
	v_mul_hi_u32 v3, s2, v2
	s_delay_alu instid0(VALU_DEP_1) | instskip(NEXT) | instid1(VALU_DEP_1)
	v_add_nc_u32_e32 v3, v2, v3
	v_lshrrev_b32_e32 v3, s3, v3
	s_delay_alu instid0(VALU_DEP_1) | instskip(NEXT) | instid1(VALU_DEP_1)
	v_mul_lo_u32 v3, v3, s15
	v_sub_nc_u32_e32 v5, v2, v3
	s_delay_alu instid0(VALU_DEP_1) | instskip(NEXT) | instid1(VALU_DEP_1)
	v_mad_u64_u32 v[2:3], null, v5, s10, v[0:1]
	v_mad_u64_u32 v[3:4], null, v5, s11, v[1:2]
	s_delay_alu instid0(VALU_DEP_1)
	v_dual_mov_b32 v0, v2 :: v_dual_mov_b32 v1, v3
.LBB45_188:
	s_waitcnt lgkmcnt(0)
	global_load_u16 v1, v1, s[6:7]
	v_add_nc_u32_e32 v12, 0x80, v12
	s_waitcnt vmcnt(0)
	v_xor_b32_e32 v1, -1, v1
	global_store_b16 v0, v1, s[4:5]
	s_or_b32 exec_lo, exec_lo, s30
	s_delay_alu instid0(SALU_CYCLE_1)
	s_mov_b32 s30, exec_lo
	v_cmpx_gt_i32_e64 s27, v12
	s_cbranch_execnz .LBB45_175
.LBB45_189:
	s_or_b32 exec_lo, exec_lo, s30
	s_delay_alu instid0(SALU_CYCLE_1)
	s_mov_b32 s30, exec_lo
	v_cmpx_gt_i32_e64 s27, v12
	s_cbranch_execz .LBB45_204
.LBB45_190:
	s_and_not1_b32 vcc_lo, exec_lo, s24
	s_cbranch_vccnz .LBB45_195
; %bb.191:
	v_dual_mov_b32 v0, 0 :: v_dual_mov_b32 v1, 0
	s_and_not1_b32 vcc_lo, exec_lo, s29
	s_mov_b32 s31, 0
	s_cbranch_vccnz .LBB45_211
; %bb.192:
	v_mov_b32_e32 v0, 0
	s_add_i32 s34, s28, 1
	s_cmp_eq_u32 s23, 2
	s_mov_b32 s33, 0
	s_cbranch_scc1 .LBB45_207
; %bb.193:
	v_dual_mov_b32 v1, 0 :: v_dual_mov_b32 v0, 0
	v_mov_b32_e32 v2, v12
	s_and_b32 s33, s34, 28
	s_mov_b32 s35, 0
	s_mov_b64 s[18:19], s[16:17]
	s_mov_b64 s[20:21], s[0:1]
.LBB45_194:                             ; =>This Inner Loop Header: Depth=1
	s_clause 0x1
	s_load_b256 s[36:43], s[20:21], 0x4
	s_load_b128 s[52:55], s[20:21], 0x24
	s_load_b256 s[44:51], s[18:19], 0x0
	s_add_u32 s20, s20, 48
	s_addc_u32 s21, s21, 0
	s_add_i32 s35, s35, 4
	s_add_u32 s18, s18, 32
	s_addc_u32 s19, s19, 0
	s_cmp_eq_u32 s33, s35
	s_waitcnt lgkmcnt(0)
	v_mul_hi_u32 v3, s37, v2
	s_delay_alu instid0(VALU_DEP_1) | instskip(NEXT) | instid1(VALU_DEP_1)
	v_add_nc_u32_e32 v3, v2, v3
	v_lshrrev_b32_e32 v3, s38, v3
	s_delay_alu instid0(VALU_DEP_1) | instskip(SKIP_1) | instid1(VALU_DEP_2)
	v_mul_hi_u32 v4, s40, v3
	v_mul_lo_u32 v6, v3, s36
	v_add_nc_u32_e32 v4, v3, v4
	s_delay_alu instid0(VALU_DEP_2) | instskip(NEXT) | instid1(VALU_DEP_2)
	v_sub_nc_u32_e32 v2, v2, v6
	v_lshrrev_b32_e32 v4, s41, v4
	s_delay_alu instid0(VALU_DEP_2) | instskip(SKIP_1) | instid1(VALU_DEP_3)
	v_mul_lo_u32 v6, v2, s44
	v_mul_lo_u32 v8, v2, s45
	v_mul_hi_u32 v5, s43, v4
	s_delay_alu instid0(VALU_DEP_1) | instskip(NEXT) | instid1(VALU_DEP_1)
	v_add_nc_u32_e32 v5, v4, v5
	v_lshrrev_b32_e32 v5, s52, v5
	s_delay_alu instid0(VALU_DEP_1) | instskip(SKIP_1) | instid1(VALU_DEP_2)
	v_mul_hi_u32 v7, s54, v5
	v_mul_lo_u32 v9, v5, s42
	v_add_nc_u32_e32 v2, v5, v7
	v_mul_lo_u32 v7, v4, s39
	s_delay_alu instid0(VALU_DEP_3) | instskip(NEXT) | instid1(VALU_DEP_3)
	v_sub_nc_u32_e32 v4, v4, v9
	v_lshrrev_b32_e32 v2, s55, v2
	s_delay_alu instid0(VALU_DEP_2) | instskip(SKIP_2) | instid1(VALU_DEP_4)
	v_mul_lo_u32 v9, v4, s48
	v_mul_lo_u32 v4, v4, s49
	v_sub_nc_u32_e32 v3, v3, v7
	v_mul_lo_u32 v10, v2, s53
	s_delay_alu instid0(VALU_DEP_2) | instskip(SKIP_1) | instid1(VALU_DEP_3)
	v_mul_lo_u32 v7, v3, s46
	v_mul_lo_u32 v3, v3, s47
	v_sub_nc_u32_e32 v5, v5, v10
	s_delay_alu instid0(VALU_DEP_3) | instskip(NEXT) | instid1(VALU_DEP_2)
	v_add3_u32 v0, v6, v0, v7
	v_mul_lo_u32 v10, v5, s50
	v_mul_lo_u32 v5, v5, s51
	v_add3_u32 v1, v8, v1, v3
	s_delay_alu instid0(VALU_DEP_3) | instskip(NEXT) | instid1(VALU_DEP_2)
	v_add3_u32 v0, v9, v0, v10
	v_add3_u32 v1, v4, v1, v5
	s_cbranch_scc0 .LBB45_194
	s_branch .LBB45_208
.LBB45_195:
	s_mov_b32 s31, -1
                                        ; implicit-def: $vgpr0
                                        ; implicit-def: $vgpr1
	s_branch .LBB45_211
.LBB45_196:
	v_dual_mov_b32 v2, v12 :: v_dual_mov_b32 v1, 0
.LBB45_197:
	s_and_b32 s34, s34, 3
	s_delay_alu instid0(SALU_CYCLE_1)
	s_cmp_eq_u32 s34, 0
	s_cbranch_scc1 .LBB45_200
; %bb.198:
	s_lshl_b32 s18, s33, 3
	s_mul_i32 s20, s33, 12
	s_add_u32 s18, s18, s0
	s_addc_u32 s19, s1, 0
	s_add_u32 s18, s18, 0xc4
	s_addc_u32 s19, s19, 0
	;; [unrolled: 2-line block ×3, first 2 shown]
	.p2align	6
.LBB45_199:                             ; =>This Inner Loop Header: Depth=1
	s_clause 0x1
	s_load_b64 s[36:37], s[20:21], 0x4
	s_load_b32 s33, s[20:21], 0xc
	s_load_b64 s[38:39], s[18:19], 0x0
	s_add_u32 s20, s20, 12
	s_addc_u32 s21, s21, 0
	s_add_u32 s18, s18, 8
	s_addc_u32 s19, s19, 0
	s_add_i32 s34, s34, -1
	s_delay_alu instid0(SALU_CYCLE_1) | instskip(SKIP_2) | instid1(VALU_DEP_1)
	s_cmp_lg_u32 s34, 0
	s_waitcnt lgkmcnt(0)
	v_mul_hi_u32 v3, s37, v2
	v_add_nc_u32_e32 v3, v2, v3
	s_delay_alu instid0(VALU_DEP_1) | instskip(NEXT) | instid1(VALU_DEP_1)
	v_lshrrev_b32_e32 v6, s33, v3
	v_mul_lo_u32 v3, v6, s36
	s_delay_alu instid0(VALU_DEP_1) | instskip(NEXT) | instid1(VALU_DEP_1)
	v_sub_nc_u32_e32 v2, v2, v3
	v_mad_u64_u32 v[3:4], null, v2, s38, v[0:1]
	v_mad_u64_u32 v[4:5], null, v2, s39, v[1:2]
	v_mov_b32_e32 v2, v6
	s_delay_alu instid0(VALU_DEP_2)
	v_dual_mov_b32 v0, v3 :: v_dual_mov_b32 v1, v4
	s_cbranch_scc1 .LBB45_199
.LBB45_200:
	s_and_not1_b32 vcc_lo, exec_lo, s31
	s_cbranch_vccnz .LBB45_203
; %bb.201:
	s_waitcnt lgkmcnt(0)
	v_mul_hi_u32 v0, s13, v12
	s_and_not1_b32 vcc_lo, exec_lo, s26
	s_delay_alu instid0(VALU_DEP_1) | instskip(NEXT) | instid1(VALU_DEP_1)
	v_add_nc_u32_e32 v0, v12, v0
	v_lshrrev_b32_e32 v2, s14, v0
	s_delay_alu instid0(VALU_DEP_1) | instskip(NEXT) | instid1(VALU_DEP_1)
	v_mul_lo_u32 v0, v2, s12
	v_sub_nc_u32_e32 v1, v12, v0
	s_delay_alu instid0(VALU_DEP_1)
	v_mul_lo_u32 v0, v1, s8
	v_mul_lo_u32 v1, v1, s9
	s_cbranch_vccnz .LBB45_203
; %bb.202:
	v_mul_hi_u32 v3, s2, v2
	s_delay_alu instid0(VALU_DEP_1) | instskip(NEXT) | instid1(VALU_DEP_1)
	v_add_nc_u32_e32 v3, v2, v3
	v_lshrrev_b32_e32 v3, s3, v3
	s_delay_alu instid0(VALU_DEP_1) | instskip(NEXT) | instid1(VALU_DEP_1)
	v_mul_lo_u32 v3, v3, s15
	v_sub_nc_u32_e32 v5, v2, v3
	s_delay_alu instid0(VALU_DEP_1) | instskip(NEXT) | instid1(VALU_DEP_1)
	v_mad_u64_u32 v[2:3], null, v5, s10, v[0:1]
	v_mad_u64_u32 v[3:4], null, v5, s11, v[1:2]
	s_delay_alu instid0(VALU_DEP_1)
	v_dual_mov_b32 v0, v2 :: v_dual_mov_b32 v1, v3
.LBB45_203:
	s_waitcnt lgkmcnt(0)
	global_load_u16 v1, v1, s[6:7]
	v_add_nc_u32_e32 v12, 0x80, v12
	s_waitcnt vmcnt(0)
	v_xor_b32_e32 v1, -1, v1
	global_store_b16 v0, v1, s[4:5]
	s_or_b32 exec_lo, exec_lo, s30
	s_delay_alu instid0(SALU_CYCLE_1)
	s_mov_b32 s30, exec_lo
	v_cmpx_gt_i32_e64 s27, v12
	s_cbranch_execnz .LBB45_190
.LBB45_204:
	s_or_b32 exec_lo, exec_lo, s30
	s_delay_alu instid0(SALU_CYCLE_1)
	s_mov_b32 s20, exec_lo
	v_cmpx_gt_i32_e64 s27, v12
	s_cbranch_execnz .LBB45_215
.LBB45_205:
	s_or_b32 exec_lo, exec_lo, s20
                                        ; implicit-def: $vgpr16
                                        ; implicit-def: $vgpr12
	s_waitcnt lgkmcnt(0)
	s_and_not1_saveexec_b32 s2, s25
	s_cbranch_execnz .LBB45_8
.LBB45_206:
	s_nop 0
	s_sendmsg sendmsg(MSG_DEALLOC_VGPRS)
	s_endpgm
.LBB45_207:
	v_dual_mov_b32 v2, v12 :: v_dual_mov_b32 v1, 0
.LBB45_208:
	s_and_b32 s34, s34, 3
	s_delay_alu instid0(SALU_CYCLE_1)
	s_cmp_eq_u32 s34, 0
	s_cbranch_scc1 .LBB45_211
; %bb.209:
	s_lshl_b32 s18, s33, 3
	s_mul_i32 s20, s33, 12
	s_add_u32 s18, s18, s0
	s_addc_u32 s19, s1, 0
	s_add_u32 s18, s18, 0xc4
	s_addc_u32 s19, s19, 0
	;; [unrolled: 2-line block ×3, first 2 shown]
	.p2align	6
.LBB45_210:                             ; =>This Inner Loop Header: Depth=1
	s_clause 0x1
	s_load_b64 s[36:37], s[20:21], 0x4
	s_load_b32 s33, s[20:21], 0xc
	s_load_b64 s[38:39], s[18:19], 0x0
	s_add_u32 s20, s20, 12
	s_addc_u32 s21, s21, 0
	s_add_u32 s18, s18, 8
	s_addc_u32 s19, s19, 0
	s_add_i32 s34, s34, -1
	s_delay_alu instid0(SALU_CYCLE_1) | instskip(SKIP_2) | instid1(VALU_DEP_1)
	s_cmp_lg_u32 s34, 0
	s_waitcnt lgkmcnt(0)
	v_mul_hi_u32 v3, s37, v2
	v_add_nc_u32_e32 v3, v2, v3
	s_delay_alu instid0(VALU_DEP_1) | instskip(NEXT) | instid1(VALU_DEP_1)
	v_lshrrev_b32_e32 v6, s33, v3
	v_mul_lo_u32 v3, v6, s36
	s_delay_alu instid0(VALU_DEP_1) | instskip(NEXT) | instid1(VALU_DEP_1)
	v_sub_nc_u32_e32 v2, v2, v3
	v_mad_u64_u32 v[3:4], null, v2, s38, v[0:1]
	v_mad_u64_u32 v[4:5], null, v2, s39, v[1:2]
	v_mov_b32_e32 v2, v6
	s_delay_alu instid0(VALU_DEP_2)
	v_dual_mov_b32 v0, v3 :: v_dual_mov_b32 v1, v4
	s_cbranch_scc1 .LBB45_210
.LBB45_211:
	s_and_not1_b32 vcc_lo, exec_lo, s31
	s_cbranch_vccnz .LBB45_214
; %bb.212:
	s_waitcnt lgkmcnt(0)
	v_mul_hi_u32 v0, s13, v12
	s_and_not1_b32 vcc_lo, exec_lo, s26
	s_delay_alu instid0(VALU_DEP_1) | instskip(NEXT) | instid1(VALU_DEP_1)
	v_add_nc_u32_e32 v0, v12, v0
	v_lshrrev_b32_e32 v2, s14, v0
	s_delay_alu instid0(VALU_DEP_1) | instskip(NEXT) | instid1(VALU_DEP_1)
	v_mul_lo_u32 v0, v2, s12
	v_sub_nc_u32_e32 v1, v12, v0
	s_delay_alu instid0(VALU_DEP_1)
	v_mul_lo_u32 v0, v1, s8
	v_mul_lo_u32 v1, v1, s9
	s_cbranch_vccnz .LBB45_214
; %bb.213:
	v_mul_hi_u32 v3, s2, v2
	s_delay_alu instid0(VALU_DEP_1) | instskip(NEXT) | instid1(VALU_DEP_1)
	v_add_nc_u32_e32 v3, v2, v3
	v_lshrrev_b32_e32 v3, s3, v3
	s_delay_alu instid0(VALU_DEP_1) | instskip(NEXT) | instid1(VALU_DEP_1)
	v_mul_lo_u32 v3, v3, s15
	v_sub_nc_u32_e32 v5, v2, v3
	s_delay_alu instid0(VALU_DEP_1) | instskip(NEXT) | instid1(VALU_DEP_1)
	v_mad_u64_u32 v[2:3], null, v5, s10, v[0:1]
	v_mad_u64_u32 v[3:4], null, v5, s11, v[1:2]
	s_delay_alu instid0(VALU_DEP_1)
	v_dual_mov_b32 v0, v2 :: v_dual_mov_b32 v1, v3
.LBB45_214:
	s_waitcnt lgkmcnt(0)
	global_load_u16 v1, v1, s[6:7]
	v_add_nc_u32_e32 v12, 0x80, v12
	s_waitcnt vmcnt(0)
	v_xor_b32_e32 v1, -1, v1
	global_store_b16 v0, v1, s[4:5]
	s_or_b32 exec_lo, exec_lo, s30
	s_delay_alu instid0(SALU_CYCLE_1)
	s_mov_b32 s20, exec_lo
	v_cmpx_gt_i32_e64 s27, v12
	s_cbranch_execz .LBB45_205
.LBB45_215:
	s_and_not1_b32 vcc_lo, exec_lo, s24
	s_cbranch_vccnz .LBB45_220
; %bb.216:
	v_dual_mov_b32 v0, 0 :: v_dual_mov_b32 v1, 0
	s_and_not1_b32 vcc_lo, exec_lo, s29
	s_mov_b32 s21, 0
	s_cbranch_vccnz .LBB45_225
; %bb.217:
	v_mov_b32_e32 v0, 0
	s_add_i32 s28, s28, 1
	s_cmp_eq_u32 s23, 2
	s_mov_b32 s27, 0
	s_cbranch_scc1 .LBB45_221
; %bb.218:
	v_dual_mov_b32 v1, 0 :: v_dual_mov_b32 v0, 0
	v_mov_b32_e32 v2, v12
	s_and_b32 s27, s28, 28
	s_mov_b32 s29, 0
	s_mov_b64 s[18:19], s[0:1]
.LBB45_219:                             ; =>This Inner Loop Header: Depth=1
	s_clause 0x1
	s_load_b256 s[36:43], s[18:19], 0x4
	s_load_b128 s[52:55], s[18:19], 0x24
	s_load_b256 s[44:51], s[16:17], 0x0
	s_add_u32 s18, s18, 48
	s_addc_u32 s19, s19, 0
	s_add_i32 s29, s29, 4
	s_add_u32 s16, s16, 32
	s_addc_u32 s17, s17, 0
	s_cmp_eq_u32 s27, s29
	s_waitcnt lgkmcnt(0)
	v_mul_hi_u32 v3, s37, v2
	s_delay_alu instid0(VALU_DEP_1) | instskip(NEXT) | instid1(VALU_DEP_1)
	v_add_nc_u32_e32 v3, v2, v3
	v_lshrrev_b32_e32 v3, s38, v3
	s_delay_alu instid0(VALU_DEP_1) | instskip(SKIP_1) | instid1(VALU_DEP_2)
	v_mul_hi_u32 v4, s40, v3
	v_mul_lo_u32 v6, v3, s36
	v_add_nc_u32_e32 v4, v3, v4
	s_delay_alu instid0(VALU_DEP_2) | instskip(NEXT) | instid1(VALU_DEP_2)
	v_sub_nc_u32_e32 v2, v2, v6
	v_lshrrev_b32_e32 v4, s41, v4
	s_delay_alu instid0(VALU_DEP_2) | instskip(SKIP_1) | instid1(VALU_DEP_3)
	v_mul_lo_u32 v6, v2, s44
	v_mul_lo_u32 v8, v2, s45
	v_mul_hi_u32 v5, s43, v4
	s_delay_alu instid0(VALU_DEP_1) | instskip(NEXT) | instid1(VALU_DEP_1)
	v_add_nc_u32_e32 v5, v4, v5
	v_lshrrev_b32_e32 v5, s52, v5
	s_delay_alu instid0(VALU_DEP_1) | instskip(SKIP_1) | instid1(VALU_DEP_2)
	v_mul_hi_u32 v7, s54, v5
	v_mul_lo_u32 v9, v5, s42
	v_add_nc_u32_e32 v2, v5, v7
	v_mul_lo_u32 v7, v4, s39
	s_delay_alu instid0(VALU_DEP_3) | instskip(NEXT) | instid1(VALU_DEP_3)
	v_sub_nc_u32_e32 v4, v4, v9
	v_lshrrev_b32_e32 v2, s55, v2
	s_delay_alu instid0(VALU_DEP_2) | instskip(SKIP_2) | instid1(VALU_DEP_4)
	v_mul_lo_u32 v9, v4, s48
	v_mul_lo_u32 v4, v4, s49
	v_sub_nc_u32_e32 v3, v3, v7
	v_mul_lo_u32 v10, v2, s53
	s_delay_alu instid0(VALU_DEP_2) | instskip(SKIP_1) | instid1(VALU_DEP_3)
	v_mul_lo_u32 v7, v3, s46
	v_mul_lo_u32 v3, v3, s47
	v_sub_nc_u32_e32 v5, v5, v10
	s_delay_alu instid0(VALU_DEP_3) | instskip(NEXT) | instid1(VALU_DEP_2)
	v_add3_u32 v0, v6, v0, v7
	v_mul_lo_u32 v10, v5, s50
	v_mul_lo_u32 v5, v5, s51
	v_add3_u32 v1, v8, v1, v3
	s_delay_alu instid0(VALU_DEP_3) | instskip(NEXT) | instid1(VALU_DEP_2)
	v_add3_u32 v0, v9, v0, v10
	v_add3_u32 v1, v4, v1, v5
	s_cbranch_scc0 .LBB45_219
	s_branch .LBB45_222
.LBB45_220:
	s_mov_b32 s21, -1
                                        ; implicit-def: $vgpr0
                                        ; implicit-def: $vgpr1
	s_branch .LBB45_225
.LBB45_221:
	v_dual_mov_b32 v2, v12 :: v_dual_mov_b32 v1, 0
.LBB45_222:
	s_and_b32 s28, s28, 3
	s_delay_alu instid0(SALU_CYCLE_1)
	s_cmp_eq_u32 s28, 0
	s_cbranch_scc1 .LBB45_225
; %bb.223:
	s_lshl_b32 s16, s27, 3
	s_mul_i32 s18, s27, 12
	s_add_u32 s16, s16, s0
	s_addc_u32 s17, s1, 0
	s_add_u32 s16, s16, 0xc4
	s_addc_u32 s17, s17, 0
	;; [unrolled: 2-line block ×3, first 2 shown]
	.p2align	6
.LBB45_224:                             ; =>This Inner Loop Header: Depth=1
	s_clause 0x1
	s_load_b64 s[30:31], s[18:19], 0x4
	s_load_b32 s27, s[18:19], 0xc
	s_load_b64 s[34:35], s[16:17], 0x0
	s_add_u32 s18, s18, 12
	s_addc_u32 s19, s19, 0
	s_add_u32 s16, s16, 8
	s_addc_u32 s17, s17, 0
	s_add_i32 s28, s28, -1
	s_delay_alu instid0(SALU_CYCLE_1) | instskip(SKIP_2) | instid1(VALU_DEP_1)
	s_cmp_lg_u32 s28, 0
	s_waitcnt lgkmcnt(0)
	v_mul_hi_u32 v3, s31, v2
	v_add_nc_u32_e32 v3, v2, v3
	s_delay_alu instid0(VALU_DEP_1) | instskip(NEXT) | instid1(VALU_DEP_1)
	v_lshrrev_b32_e32 v6, s27, v3
	v_mul_lo_u32 v3, v6, s30
	s_delay_alu instid0(VALU_DEP_1) | instskip(NEXT) | instid1(VALU_DEP_1)
	v_sub_nc_u32_e32 v2, v2, v3
	v_mad_u64_u32 v[3:4], null, v2, s34, v[0:1]
	v_mad_u64_u32 v[4:5], null, v2, s35, v[1:2]
	v_mov_b32_e32 v2, v6
	s_delay_alu instid0(VALU_DEP_2)
	v_dual_mov_b32 v0, v3 :: v_dual_mov_b32 v1, v4
	s_cbranch_scc1 .LBB45_224
.LBB45_225:
	s_and_not1_b32 vcc_lo, exec_lo, s21
	s_cbranch_vccnz .LBB45_228
; %bb.226:
	s_waitcnt lgkmcnt(0)
	v_mul_hi_u32 v0, s13, v12
	s_and_not1_b32 vcc_lo, exec_lo, s26
	s_delay_alu instid0(VALU_DEP_1) | instskip(NEXT) | instid1(VALU_DEP_1)
	v_add_nc_u32_e32 v0, v12, v0
	v_lshrrev_b32_e32 v2, s14, v0
	s_delay_alu instid0(VALU_DEP_1) | instskip(NEXT) | instid1(VALU_DEP_1)
	v_mul_lo_u32 v0, v2, s12
	v_sub_nc_u32_e32 v1, v12, v0
	s_delay_alu instid0(VALU_DEP_1)
	v_mul_lo_u32 v0, v1, s8
	v_mul_lo_u32 v1, v1, s9
	s_cbranch_vccnz .LBB45_228
; %bb.227:
	v_mul_hi_u32 v3, s2, v2
	s_delay_alu instid0(VALU_DEP_1) | instskip(NEXT) | instid1(VALU_DEP_1)
	v_add_nc_u32_e32 v3, v2, v3
	v_lshrrev_b32_e32 v3, s3, v3
	s_delay_alu instid0(VALU_DEP_1) | instskip(NEXT) | instid1(VALU_DEP_1)
	v_mul_lo_u32 v3, v3, s15
	v_sub_nc_u32_e32 v5, v2, v3
	s_delay_alu instid0(VALU_DEP_1) | instskip(NEXT) | instid1(VALU_DEP_1)
	v_mad_u64_u32 v[2:3], null, v5, s10, v[0:1]
	v_mad_u64_u32 v[3:4], null, v5, s11, v[1:2]
	s_delay_alu instid0(VALU_DEP_1)
	v_dual_mov_b32 v0, v2 :: v_dual_mov_b32 v1, v3
.LBB45_228:
	s_waitcnt lgkmcnt(0)
	global_load_u16 v1, v1, s[6:7]
	s_waitcnt vmcnt(0)
	v_xor_b32_e32 v1, -1, v1
	global_store_b16 v0, v1, s[4:5]
	s_or_b32 exec_lo, exec_lo, s20
                                        ; implicit-def: $vgpr16
                                        ; implicit-def: $vgpr12
	s_and_not1_saveexec_b32 s2, s25
	s_cbranch_execz .LBB45_206
	s_branch .LBB45_8
	.section	.rodata,"a",@progbits
	.p2align	6, 0x0
	.amdhsa_kernel _ZN2at6native32elementwise_kernel_manual_unrollILi128ELi8EZNS0_22gpu_kernel_impl_nocastIZZZNS0_23bitwise_not_kernel_cudaERNS_18TensorIteratorBaseEENKUlvE_clEvENKUlvE3_clEvEUlsE_EEvS4_RKT_EUlibE_EEviT1_
		.amdhsa_group_segment_fixed_size 0
		.amdhsa_private_segment_fixed_size 0
		.amdhsa_kernarg_size 360
		.amdhsa_user_sgpr_count 15
		.amdhsa_user_sgpr_dispatch_ptr 0
		.amdhsa_user_sgpr_queue_ptr 0
		.amdhsa_user_sgpr_kernarg_segment_ptr 1
		.amdhsa_user_sgpr_dispatch_id 0
		.amdhsa_user_sgpr_private_segment_size 0
		.amdhsa_wavefront_size32 1
		.amdhsa_uses_dynamic_stack 0
		.amdhsa_enable_private_segment 0
		.amdhsa_system_sgpr_workgroup_id_x 1
		.amdhsa_system_sgpr_workgroup_id_y 0
		.amdhsa_system_sgpr_workgroup_id_z 0
		.amdhsa_system_sgpr_workgroup_info 0
		.amdhsa_system_vgpr_workitem_id 0
		.amdhsa_next_free_vgpr 26
		.amdhsa_next_free_sgpr 56
		.amdhsa_reserve_vcc 1
		.amdhsa_float_round_mode_32 0
		.amdhsa_float_round_mode_16_64 0
		.amdhsa_float_denorm_mode_32 3
		.amdhsa_float_denorm_mode_16_64 3
		.amdhsa_dx10_clamp 1
		.amdhsa_ieee_mode 1
		.amdhsa_fp16_overflow 0
		.amdhsa_workgroup_processor_mode 1
		.amdhsa_memory_ordered 1
		.amdhsa_forward_progress 0
		.amdhsa_shared_vgpr_count 0
		.amdhsa_exception_fp_ieee_invalid_op 0
		.amdhsa_exception_fp_denorm_src 0
		.amdhsa_exception_fp_ieee_div_zero 0
		.amdhsa_exception_fp_ieee_overflow 0
		.amdhsa_exception_fp_ieee_underflow 0
		.amdhsa_exception_fp_ieee_inexact 0
		.amdhsa_exception_int_div_zero 0
	.end_amdhsa_kernel
	.section	.text._ZN2at6native32elementwise_kernel_manual_unrollILi128ELi8EZNS0_22gpu_kernel_impl_nocastIZZZNS0_23bitwise_not_kernel_cudaERNS_18TensorIteratorBaseEENKUlvE_clEvENKUlvE3_clEvEUlsE_EEvS4_RKT_EUlibE_EEviT1_,"axG",@progbits,_ZN2at6native32elementwise_kernel_manual_unrollILi128ELi8EZNS0_22gpu_kernel_impl_nocastIZZZNS0_23bitwise_not_kernel_cudaERNS_18TensorIteratorBaseEENKUlvE_clEvENKUlvE3_clEvEUlsE_EEvS4_RKT_EUlibE_EEviT1_,comdat
.Lfunc_end45:
	.size	_ZN2at6native32elementwise_kernel_manual_unrollILi128ELi8EZNS0_22gpu_kernel_impl_nocastIZZZNS0_23bitwise_not_kernel_cudaERNS_18TensorIteratorBaseEENKUlvE_clEvENKUlvE3_clEvEUlsE_EEvS4_RKT_EUlibE_EEviT1_, .Lfunc_end45-_ZN2at6native32elementwise_kernel_manual_unrollILi128ELi8EZNS0_22gpu_kernel_impl_nocastIZZZNS0_23bitwise_not_kernel_cudaERNS_18TensorIteratorBaseEENKUlvE_clEvENKUlvE3_clEvEUlsE_EEvS4_RKT_EUlibE_EEviT1_
                                        ; -- End function
	.section	.AMDGPU.csdata,"",@progbits
; Kernel info:
; codeLenInByte = 13452
; NumSgprs: 58
; NumVgprs: 26
; ScratchSize: 0
; MemoryBound: 0
; FloatMode: 240
; IeeeMode: 1
; LDSByteSize: 0 bytes/workgroup (compile time only)
; SGPRBlocks: 7
; VGPRBlocks: 3
; NumSGPRsForWavesPerEU: 58
; NumVGPRsForWavesPerEU: 26
; Occupancy: 16
; WaveLimiterHint : 1
; COMPUTE_PGM_RSRC2:SCRATCH_EN: 0
; COMPUTE_PGM_RSRC2:USER_SGPR: 15
; COMPUTE_PGM_RSRC2:TRAP_HANDLER: 0
; COMPUTE_PGM_RSRC2:TGID_X_EN: 1
; COMPUTE_PGM_RSRC2:TGID_Y_EN: 0
; COMPUTE_PGM_RSRC2:TGID_Z_EN: 0
; COMPUTE_PGM_RSRC2:TIDIG_COMP_CNT: 0
	.section	.text._ZN2at6native32elementwise_kernel_manual_unrollILi128ELi4EZNS0_15gpu_kernel_implIZZZNS0_23bitwise_not_kernel_cudaERNS_18TensorIteratorBaseEENKUlvE_clEvENKUlvE3_clEvEUlsE_EEvS4_RKT_EUlibE_EEviT1_,"axG",@progbits,_ZN2at6native32elementwise_kernel_manual_unrollILi128ELi4EZNS0_15gpu_kernel_implIZZZNS0_23bitwise_not_kernel_cudaERNS_18TensorIteratorBaseEENKUlvE_clEvENKUlvE3_clEvEUlsE_EEvS4_RKT_EUlibE_EEviT1_,comdat
	.globl	_ZN2at6native32elementwise_kernel_manual_unrollILi128ELi4EZNS0_15gpu_kernel_implIZZZNS0_23bitwise_not_kernel_cudaERNS_18TensorIteratorBaseEENKUlvE_clEvENKUlvE3_clEvEUlsE_EEvS4_RKT_EUlibE_EEviT1_ ; -- Begin function _ZN2at6native32elementwise_kernel_manual_unrollILi128ELi4EZNS0_15gpu_kernel_implIZZZNS0_23bitwise_not_kernel_cudaERNS_18TensorIteratorBaseEENKUlvE_clEvENKUlvE3_clEvEUlsE_EEvS4_RKT_EUlibE_EEviT1_
	.p2align	8
	.type	_ZN2at6native32elementwise_kernel_manual_unrollILi128ELi4EZNS0_15gpu_kernel_implIZZZNS0_23bitwise_not_kernel_cudaERNS_18TensorIteratorBaseEENKUlvE_clEvENKUlvE3_clEvEUlsE_EEvS4_RKT_EUlibE_EEviT1_,@function
_ZN2at6native32elementwise_kernel_manual_unrollILi128ELi4EZNS0_15gpu_kernel_implIZZZNS0_23bitwise_not_kernel_cudaERNS_18TensorIteratorBaseEENKUlvE_clEvENKUlvE3_clEvEUlsE_EEvS4_RKT_EUlibE_EEviT1_: ; @_ZN2at6native32elementwise_kernel_manual_unrollILi128ELi4EZNS0_15gpu_kernel_implIZZZNS0_23bitwise_not_kernel_cudaERNS_18TensorIteratorBaseEENKUlvE_clEvENKUlvE3_clEvEUlsE_EEvS4_RKT_EUlibE_EEviT1_
; %bb.0:
	v_mov_b32_e32 v1, 0
	s_clause 0x2
	s_load_b32 s10, s[0:1], 0x0
	s_load_b64 s[2:3], s[0:1], 0x18
	s_load_b128 s[4:7], s[0:1], 0x8
	v_lshl_or_b32 v10, s15, 9, v0
	s_mov_b32 s9, 0
	global_load_u16 v9, v1, s[0:1] offset:33
	s_mov_b32 s1, 0
	v_or_b32_e32 v0, 0x180, v10
	s_mov_b32 s0, exec_lo
	s_waitcnt vmcnt(0)
	v_lshrrev_b16 v11, 8, v9
	s_waitcnt lgkmcnt(0)
	v_cmpx_le_i32_e64 s10, v0
	s_xor_b32 s8, exec_lo, s0
	s_cbranch_execz .LBB46_1008
; %bb.1:
	s_mov_b32 s15, -1
	s_mov_b32 s13, 0
	s_mov_b32 s11, 0
	s_mov_b32 s12, exec_lo
	v_cmpx_gt_i32_e64 s10, v10
	s_cbranch_execz .LBB46_246
; %bb.2:
	v_mul_lo_u32 v0, v10, s3
	v_cmp_gt_i16_e32 vcc_lo, 11, v11
	s_delay_alu instid0(VALU_DEP_2) | instskip(SKIP_1) | instid1(VALU_DEP_1)
	v_ashrrev_i32_e32 v1, 31, v0
	v_add_co_u32 v2, s0, s6, v0
	v_add_co_ci_u32_e64 v3, s0, s7, v1, s0
	s_cbranch_vccnz .LBB46_9
; %bb.3:
	v_cmp_lt_i16_e32 vcc_lo, 25, v11
	s_cbranch_vccz .LBB46_128
; %bb.4:
	v_cmp_lt_i16_e32 vcc_lo, 28, v11
	s_cbranch_vccz .LBB46_129
	;; [unrolled: 3-line block ×4, first 2 shown]
; %bb.7:
	v_cmp_eq_u16_e32 vcc_lo, 46, v11
	s_cbranch_vccz .LBB46_132
; %bb.8:
	global_load_b32 v0, v[2:3], off
	s_mov_b32 s0, -1
	s_waitcnt vmcnt(0)
	v_lshlrev_b32_e32 v0, 16, v0
	s_delay_alu instid0(VALU_DEP_1)
	v_cvt_i32_f32_e32 v0, v0
	s_branch .LBB46_134
.LBB46_9:
	s_mov_b32 s0, 0
                                        ; implicit-def: $vgpr0
	s_cbranch_execnz .LBB46_196
.LBB46_10:
	s_and_not1_b32 vcc_lo, exec_lo, s0
	s_cbranch_vccnz .LBB46_243
.LBB46_11:
	s_waitcnt vmcnt(0)
	v_mul_lo_u32 v1, v10, s2
	v_and_b32_e32 v4, 0xff, v9
	s_delay_alu instid0(VALU_DEP_3) | instskip(SKIP_2) | instid1(VALU_DEP_2)
	v_xor_b32_e32 v3, -1, v0
	s_mov_b32 s14, -1
	s_mov_b32 s9, 0
	v_cmp_gt_i16_e32 vcc_lo, 11, v4
	s_delay_alu instid0(VALU_DEP_4) | instskip(SKIP_1) | instid1(VALU_DEP_1)
	v_ashrrev_i32_e32 v2, 31, v1
	v_add_co_u32 v1, s0, s4, v1
	v_add_co_ci_u32_e64 v2, s0, s5, v2, s0
	s_mov_b32 s0, 0
	s_cbranch_vccnz .LBB46_88
; %bb.12:
	v_cmp_lt_i16_e32 vcc_lo, 25, v4
	s_cbranch_vccz .LBB46_45
; %bb.13:
	v_cmp_lt_i16_e32 vcc_lo, 28, v4
	s_cbranch_vccz .LBB46_28
	;; [unrolled: 3-line block ×4, first 2 shown]
; %bb.16:
	v_cmp_eq_u16_e32 vcc_lo, 46, v4
	s_mov_b32 s14, 0
	s_mov_b32 s9, -1
	s_cbranch_vccz .LBB46_18
; %bb.17:
	v_bfe_i32 v5, v3, 0, 16
	s_mov_b32 s0, -1
	s_mov_b32 s9, 0
	s_delay_alu instid0(VALU_DEP_1) | instskip(NEXT) | instid1(VALU_DEP_1)
	v_cvt_f32_i32_e32 v5, v5
	v_bfe_u32 v6, v5, 16, 1
	s_delay_alu instid0(VALU_DEP_1) | instskip(NEXT) | instid1(VALU_DEP_1)
	v_add3_u32 v5, v5, v6, 0x7fff
	v_lshrrev_b32_e32 v5, 16, v5
	global_store_b32 v[1:2], v5, off
.LBB46_18:
	s_and_b32 vcc_lo, exec_lo, s14
	s_cbranch_vccz .LBB46_23
; %bb.19:
	v_cmp_eq_u16_e32 vcc_lo, 44, v4
	s_mov_b32 s9, -1
	s_cbranch_vccz .LBB46_23
; %bb.20:
	v_bfe_i32 v5, v3, 0, 16
	v_mov_b32_e32 v6, 0xff
	s_mov_b32 s9, exec_lo
	s_delay_alu instid0(VALU_DEP_2) | instskip(NEXT) | instid1(VALU_DEP_1)
	v_cvt_f32_i32_e32 v5, v5
	v_bfe_u32 v7, v5, 23, 8
	s_delay_alu instid0(VALU_DEP_1)
	v_cmpx_ne_u32_e32 0xff, v7
; %bb.21:
	v_and_b32_e32 v6, 0x400000, v5
	v_and_or_b32 v7, 0x3fffff, v5, v7
	v_lshrrev_b32_e32 v5, 23, v5
	s_delay_alu instid0(VALU_DEP_3) | instskip(NEXT) | instid1(VALU_DEP_3)
	v_cmp_ne_u32_e32 vcc_lo, 0, v6
	v_cmp_ne_u32_e64 s0, 0, v7
	s_delay_alu instid0(VALU_DEP_1) | instskip(NEXT) | instid1(SALU_CYCLE_1)
	s_and_b32 s0, vcc_lo, s0
	v_cndmask_b32_e64 v6, 0, 1, s0
	s_delay_alu instid0(VALU_DEP_1)
	v_add_nc_u32_e32 v6, v5, v6
; %bb.22:
	s_or_b32 exec_lo, exec_lo, s9
	s_mov_b32 s0, -1
	s_mov_b32 s9, 0
	global_store_b8 v[1:2], v6, off
.LBB46_23:
	s_mov_b32 s14, 0
.LBB46_24:
	s_delay_alu instid0(SALU_CYCLE_1)
	s_and_b32 vcc_lo, exec_lo, s14
	s_cbranch_vccz .LBB46_27
; %bb.25:
	v_cmp_eq_u16_e32 vcc_lo, 29, v4
	s_mov_b32 s9, -1
	s_cbranch_vccz .LBB46_27
; %bb.26:
	v_bfe_i32 v5, v3, 0, 16
	s_mov_b32 s9, 0
	s_mov_b32 s0, -1
	s_delay_alu instid0(VALU_DEP_1)
	v_ashrrev_i32_e32 v6, 31, v5
	global_store_b64 v[1:2], v[5:6], off
.LBB46_27:
	s_mov_b32 s14, 0
.LBB46_28:
	s_delay_alu instid0(SALU_CYCLE_1)
	s_and_b32 vcc_lo, exec_lo, s14
	s_cbranch_vccz .LBB46_44
; %bb.29:
	v_cmp_gt_i16_e32 vcc_lo, 27, v4
	s_mov_b32 s0, -1
	s_cbranch_vccnz .LBB46_35
; %bb.30:
	v_cmp_lt_i16_e32 vcc_lo, 27, v4
	s_cbranch_vccz .LBB46_32
; %bb.31:
	v_bfe_i32 v5, v3, 0, 16
	s_mov_b32 s0, 0
	global_store_b32 v[1:2], v5, off
.LBB46_32:
	s_and_not1_b32 vcc_lo, exec_lo, s0
	s_cbranch_vccnz .LBB46_34
; %bb.33:
	global_store_b16 v[1:2], v3, off
.LBB46_34:
	s_mov_b32 s0, 0
.LBB46_35:
	s_delay_alu instid0(SALU_CYCLE_1)
	s_and_not1_b32 vcc_lo, exec_lo, s0
	s_cbranch_vccnz .LBB46_43
; %bb.36:
	v_bfe_i32 v5, v3, 0, 16
	v_mov_b32_e32 v7, 0x80
	s_mov_b32 s0, exec_lo
	s_delay_alu instid0(VALU_DEP_2) | instskip(NEXT) | instid1(VALU_DEP_1)
	v_cvt_f32_i32_e32 v5, v5
	v_and_b32_e32 v6, 0x7fffffff, v5
	s_delay_alu instid0(VALU_DEP_1)
	v_cmpx_gt_u32_e32 0x43800000, v6
	s_cbranch_execz .LBB46_42
; %bb.37:
	v_cmp_lt_u32_e32 vcc_lo, 0x3bffffff, v6
	s_mov_b32 s14, 0
                                        ; implicit-def: $vgpr6
	s_and_saveexec_b32 s15, vcc_lo
	s_delay_alu instid0(SALU_CYCLE_1)
	s_xor_b32 s15, exec_lo, s15
	s_cbranch_execz .LBB46_137
; %bb.38:
	v_bfe_u32 v6, v5, 20, 1
	s_mov_b32 s14, exec_lo
	s_delay_alu instid0(VALU_DEP_1) | instskip(NEXT) | instid1(VALU_DEP_1)
	v_add3_u32 v6, v5, v6, 0x487ffff
	v_lshrrev_b32_e32 v6, 20, v6
	s_or_saveexec_b32 s15, s15
                                        ; implicit-def: $sgpr16
	s_delay_alu instid0(SALU_CYCLE_1)
	s_xor_b32 exec_lo, exec_lo, s15
	s_cbranch_execnz .LBB46_138
.LBB46_39:
	s_or_b32 exec_lo, exec_lo, s15
	v_mov_b32_e32 v7, s16
	s_and_saveexec_b32 s15, s14
.LBB46_40:
	v_lshrrev_b32_e32 v5, 24, v5
	s_delay_alu instid0(VALU_DEP_1)
	v_and_or_b32 v7, 0x80, v5, v6
.LBB46_41:
	s_or_b32 exec_lo, exec_lo, s15
.LBB46_42:
	s_delay_alu instid0(SALU_CYCLE_1)
	s_or_b32 exec_lo, exec_lo, s0
	global_store_b8 v[1:2], v7, off
.LBB46_43:
	s_mov_b32 s0, -1
.LBB46_44:
	s_mov_b32 s14, 0
.LBB46_45:
	s_delay_alu instid0(SALU_CYCLE_1)
	s_and_b32 vcc_lo, exec_lo, s14
	s_cbranch_vccz .LBB46_86
; %bb.46:
	v_cmp_lt_i16_e32 vcc_lo, 22, v4
	s_mov_b32 s14, -1
	s_cbranch_vccz .LBB46_78
; %bb.47:
	v_cmp_gt_i16_e32 vcc_lo, 24, v4
	s_mov_b32 s0, -1
	s_cbranch_vccnz .LBB46_67
; %bb.48:
	v_cmp_lt_i16_e32 vcc_lo, 24, v4
	s_cbranch_vccz .LBB46_56
; %bb.49:
	v_bfe_i32 v5, v3, 0, 16
	v_mov_b32_e32 v7, 0x80
	s_mov_b32 s0, exec_lo
	s_delay_alu instid0(VALU_DEP_2) | instskip(NEXT) | instid1(VALU_DEP_1)
	v_cvt_f32_i32_e32 v5, v5
	v_and_b32_e32 v6, 0x7fffffff, v5
	s_delay_alu instid0(VALU_DEP_1)
	v_cmpx_gt_u32_e32 0x47800000, v6
	s_cbranch_execz .LBB46_55
; %bb.50:
	v_cmp_lt_u32_e32 vcc_lo, 0x37ffffff, v6
	s_mov_b32 s14, 0
                                        ; implicit-def: $vgpr6
	s_and_saveexec_b32 s15, vcc_lo
	s_delay_alu instid0(SALU_CYCLE_1)
	s_xor_b32 s15, exec_lo, s15
	s_cbranch_execz .LBB46_311
; %bb.51:
	v_bfe_u32 v6, v5, 21, 1
	s_mov_b32 s14, exec_lo
	s_delay_alu instid0(VALU_DEP_1) | instskip(NEXT) | instid1(VALU_DEP_1)
	v_add3_u32 v6, v5, v6, 0x88fffff
	v_lshrrev_b32_e32 v6, 21, v6
	s_or_saveexec_b32 s15, s15
                                        ; implicit-def: $sgpr16
	s_delay_alu instid0(SALU_CYCLE_1)
	s_xor_b32 exec_lo, exec_lo, s15
	s_cbranch_execnz .LBB46_312
.LBB46_52:
	s_or_b32 exec_lo, exec_lo, s15
	v_mov_b32_e32 v7, s16
	s_and_saveexec_b32 s15, s14
.LBB46_53:
	v_lshrrev_b32_e32 v5, 24, v5
	s_delay_alu instid0(VALU_DEP_1)
	v_and_or_b32 v7, 0x80, v5, v6
.LBB46_54:
	s_or_b32 exec_lo, exec_lo, s15
.LBB46_55:
	s_delay_alu instid0(SALU_CYCLE_1)
	s_or_b32 exec_lo, exec_lo, s0
	s_mov_b32 s0, 0
	global_store_b8 v[1:2], v7, off
.LBB46_56:
	s_and_b32 vcc_lo, exec_lo, s0
	s_cbranch_vccz .LBB46_66
; %bb.57:
	v_bfe_i32 v5, v3, 0, 16
	s_mov_b32 s0, exec_lo
                                        ; implicit-def: $vgpr6
	s_delay_alu instid0(VALU_DEP_1) | instskip(NEXT) | instid1(VALU_DEP_1)
	v_cvt_f32_i32_e32 v5, v5
	v_and_b32_e32 v7, 0x7fffffff, v5
	s_delay_alu instid0(VALU_DEP_1)
	v_cmpx_gt_u32_e32 0x43f00000, v7
	s_xor_b32 s0, exec_lo, s0
	s_cbranch_execz .LBB46_63
; %bb.58:
	s_mov_b32 s14, exec_lo
                                        ; implicit-def: $vgpr6
	v_cmpx_lt_u32_e32 0x3c7fffff, v7
	s_xor_b32 s14, exec_lo, s14
; %bb.59:
	v_bfe_u32 v6, v5, 20, 1
	s_delay_alu instid0(VALU_DEP_1) | instskip(NEXT) | instid1(VALU_DEP_1)
	v_add3_u32 v6, v5, v6, 0x407ffff
	v_and_b32_e32 v7, 0xff00000, v6
	v_lshrrev_b32_e32 v6, 20, v6
	s_delay_alu instid0(VALU_DEP_2) | instskip(NEXT) | instid1(VALU_DEP_2)
	v_cmp_ne_u32_e32 vcc_lo, 0x7f00000, v7
	v_cndmask_b32_e32 v6, 0x7e, v6, vcc_lo
; %bb.60:
	s_and_not1_saveexec_b32 s14, s14
; %bb.61:
	v_add_f32_e64 v6, 0x46800000, |v5|
; %bb.62:
	s_or_b32 exec_lo, exec_lo, s14
                                        ; implicit-def: $vgpr7
.LBB46_63:
	s_and_not1_saveexec_b32 s0, s0
; %bb.64:
	v_mov_b32_e32 v6, 0x7f
	v_cmp_lt_u32_e32 vcc_lo, 0x7f800000, v7
	s_delay_alu instid0(VALU_DEP_2)
	v_cndmask_b32_e32 v6, 0x7e, v6, vcc_lo
; %bb.65:
	s_or_b32 exec_lo, exec_lo, s0
	v_lshrrev_b32_e32 v5, 24, v5
	s_delay_alu instid0(VALU_DEP_1)
	v_and_or_b32 v5, 0x80, v5, v6
	global_store_b8 v[1:2], v5, off
.LBB46_66:
	s_mov_b32 s0, 0
.LBB46_67:
	s_delay_alu instid0(SALU_CYCLE_1)
	s_and_not1_b32 vcc_lo, exec_lo, s0
	s_cbranch_vccnz .LBB46_77
; %bb.68:
	v_bfe_i32 v5, v3, 0, 16
	s_mov_b32 s0, exec_lo
                                        ; implicit-def: $vgpr6
	s_delay_alu instid0(VALU_DEP_1) | instskip(NEXT) | instid1(VALU_DEP_1)
	v_cvt_f32_i32_e32 v5, v5
	v_and_b32_e32 v7, 0x7fffffff, v5
	s_delay_alu instid0(VALU_DEP_1)
	v_cmpx_gt_u32_e32 0x47800000, v7
	s_xor_b32 s0, exec_lo, s0
	s_cbranch_execz .LBB46_74
; %bb.69:
	s_mov_b32 s14, exec_lo
                                        ; implicit-def: $vgpr6
	v_cmpx_lt_u32_e32 0x387fffff, v7
	s_xor_b32 s14, exec_lo, s14
; %bb.70:
	v_bfe_u32 v6, v5, 21, 1
	s_delay_alu instid0(VALU_DEP_1) | instskip(NEXT) | instid1(VALU_DEP_1)
	v_add3_u32 v6, v5, v6, 0x80fffff
	v_lshrrev_b32_e32 v6, 21, v6
; %bb.71:
	s_and_not1_saveexec_b32 s14, s14
; %bb.72:
	v_add_f32_e64 v6, 0x43000000, |v5|
; %bb.73:
	s_or_b32 exec_lo, exec_lo, s14
                                        ; implicit-def: $vgpr7
.LBB46_74:
	s_and_not1_saveexec_b32 s0, s0
; %bb.75:
	v_mov_b32_e32 v6, 0x7f
	v_cmp_lt_u32_e32 vcc_lo, 0x7f800000, v7
	s_delay_alu instid0(VALU_DEP_2)
	v_cndmask_b32_e32 v6, 0x7c, v6, vcc_lo
; %bb.76:
	s_or_b32 exec_lo, exec_lo, s0
	v_lshrrev_b32_e32 v5, 24, v5
	s_delay_alu instid0(VALU_DEP_1)
	v_and_or_b32 v5, 0x80, v5, v6
	global_store_b8 v[1:2], v5, off
.LBB46_77:
	s_mov_b32 s14, 0
	s_mov_b32 s0, -1
.LBB46_78:
	s_and_not1_b32 vcc_lo, exec_lo, s14
	s_cbranch_vccnz .LBB46_86
; %bb.79:
	v_cmp_lt_i16_e32 vcc_lo, 14, v4
	s_mov_b32 s14, -1
	s_cbranch_vccz .LBB46_83
; %bb.80:
	v_cmp_eq_u16_e32 vcc_lo, 15, v4
	s_mov_b32 s9, -1
	s_cbranch_vccz .LBB46_82
; %bb.81:
	v_bfe_i32 v5, v3, 0, 16
	s_mov_b32 s0, -1
	s_mov_b32 s9, 0
	s_delay_alu instid0(VALU_DEP_1) | instskip(NEXT) | instid1(VALU_DEP_1)
	v_cvt_f32_i32_e32 v5, v5
	v_bfe_u32 v6, v5, 16, 1
	s_delay_alu instid0(VALU_DEP_1)
	v_add3_u32 v5, v5, v6, 0x7fff
	global_store_d16_hi_b16 v[1:2], v5, off
.LBB46_82:
	s_mov_b32 s14, 0
.LBB46_83:
	s_delay_alu instid0(SALU_CYCLE_1)
	s_and_b32 vcc_lo, exec_lo, s14
	s_cbranch_vccz .LBB46_86
; %bb.84:
	v_cmp_eq_u16_e32 vcc_lo, 11, v4
	s_mov_b32 s9, -1
	s_cbranch_vccz .LBB46_86
; %bb.85:
	v_cmp_ne_u16_e32 vcc_lo, -1, v0
	s_mov_b32 s0, -1
	s_mov_b32 s9, 0
	v_cndmask_b32_e64 v0, 0, 1, vcc_lo
	global_store_b8 v[1:2], v0, off
.LBB46_86:
.LBB46_87:
	s_and_not1_b32 vcc_lo, exec_lo, s0
	s_cbranch_vccnz .LBB46_244
	s_branch .LBB46_127
.LBB46_88:
	s_and_b32 vcc_lo, exec_lo, s14
	s_cbranch_vccz .LBB46_87
; %bb.89:
	v_cmp_gt_i16_e32 vcc_lo, 5, v4
	s_mov_b32 s0, -1
	s_cbranch_vccnz .LBB46_110
; %bb.90:
	v_cmp_gt_i16_e32 vcc_lo, 8, v4
	s_cbranch_vccnz .LBB46_100
; %bb.91:
	v_cmp_gt_i16_e32 vcc_lo, 9, v4
	s_cbranch_vccnz .LBB46_97
; %bb.92:
	v_cmp_lt_i16_e32 vcc_lo, 9, v4
	s_cbranch_vccz .LBB46_94
; %bb.93:
	v_bfe_i32 v0, v3, 0, 16
	v_mov_b32_e32 v7, 0
	s_mov_b32 s0, 0
	s_delay_alu instid0(VALU_DEP_2) | instskip(NEXT) | instid1(VALU_DEP_2)
	v_cvt_f64_i32_e32 v[5:6], v0
	v_mov_b32_e32 v8, v7
	global_store_b128 v[1:2], v[5:8], off
.LBB46_94:
	s_and_not1_b32 vcc_lo, exec_lo, s0
	s_cbranch_vccnz .LBB46_96
; %bb.95:
	v_bfe_i32 v0, v3, 0, 16
	v_mov_b32_e32 v6, 0
	s_delay_alu instid0(VALU_DEP_2)
	v_cvt_f32_i32_e32 v5, v0
	global_store_b64 v[1:2], v[5:6], off
.LBB46_96:
	s_mov_b32 s0, 0
.LBB46_97:
	s_delay_alu instid0(SALU_CYCLE_1)
	s_and_not1_b32 vcc_lo, exec_lo, s0
	s_cbranch_vccnz .LBB46_99
; %bb.98:
	v_cvt_f16_i16_e32 v0, v3
	s_delay_alu instid0(VALU_DEP_1)
	v_and_b32_e32 v0, 0xffff, v0
	global_store_b32 v[1:2], v0, off
.LBB46_99:
	s_mov_b32 s0, 0
.LBB46_100:
	s_delay_alu instid0(SALU_CYCLE_1)
	s_and_not1_b32 vcc_lo, exec_lo, s0
	s_cbranch_vccnz .LBB46_109
; %bb.101:
	v_cmp_gt_i16_e32 vcc_lo, 6, v4
	s_mov_b32 s0, -1
	s_cbranch_vccnz .LBB46_107
; %bb.102:
	v_cmp_lt_i16_e32 vcc_lo, 6, v4
	s_cbranch_vccz .LBB46_104
; %bb.103:
	v_bfe_i32 v0, v3, 0, 16
	s_mov_b32 s0, 0
	s_delay_alu instid0(VALU_DEP_1)
	v_cvt_f64_i32_e32 v[5:6], v0
	global_store_b64 v[1:2], v[5:6], off
.LBB46_104:
	s_and_not1_b32 vcc_lo, exec_lo, s0
	s_cbranch_vccnz .LBB46_106
; %bb.105:
	v_bfe_i32 v0, v3, 0, 16
	s_delay_alu instid0(VALU_DEP_1)
	v_cvt_f32_i32_e32 v0, v0
	global_store_b32 v[1:2], v0, off
.LBB46_106:
	s_mov_b32 s0, 0
.LBB46_107:
	s_delay_alu instid0(SALU_CYCLE_1)
	s_and_not1_b32 vcc_lo, exec_lo, s0
	s_cbranch_vccnz .LBB46_109
; %bb.108:
	v_cvt_f16_i16_e32 v0, v3
	global_store_b16 v[1:2], v0, off
.LBB46_109:
	s_mov_b32 s0, 0
.LBB46_110:
	s_delay_alu instid0(SALU_CYCLE_1)
	s_and_not1_b32 vcc_lo, exec_lo, s0
	s_cbranch_vccnz .LBB46_126
; %bb.111:
	v_cmp_gt_i16_e32 vcc_lo, 2, v4
	s_mov_b32 s0, -1
	s_cbranch_vccnz .LBB46_121
; %bb.112:
	v_cmp_gt_i16_e32 vcc_lo, 3, v4
	s_cbranch_vccnz .LBB46_118
; %bb.113:
	v_cmp_lt_i16_e32 vcc_lo, 3, v4
	s_cbranch_vccz .LBB46_115
; %bb.114:
	v_bfe_i32 v5, v3, 0, 16
	s_mov_b32 s0, 0
	s_delay_alu instid0(VALU_DEP_1)
	v_ashrrev_i32_e32 v6, 31, v5
	global_store_b64 v[1:2], v[5:6], off
.LBB46_115:
	s_and_not1_b32 vcc_lo, exec_lo, s0
	s_cbranch_vccnz .LBB46_117
; %bb.116:
	v_bfe_i32 v0, v3, 0, 16
	global_store_b32 v[1:2], v0, off
.LBB46_117:
	s_mov_b32 s0, 0
.LBB46_118:
	s_delay_alu instid0(SALU_CYCLE_1)
	s_and_not1_b32 vcc_lo, exec_lo, s0
	s_cbranch_vccnz .LBB46_120
; %bb.119:
	global_store_b16 v[1:2], v3, off
.LBB46_120:
	s_mov_b32 s0, 0
.LBB46_121:
	s_delay_alu instid0(SALU_CYCLE_1)
	s_and_not1_b32 vcc_lo, exec_lo, s0
	s_cbranch_vccnz .LBB46_126
; %bb.122:
	v_cmp_lt_i16_e32 vcc_lo, 0, v4
	s_mov_b32 s0, -1
	s_cbranch_vccz .LBB46_124
; %bb.123:
	s_mov_b32 s0, 0
	global_store_b8 v[1:2], v3, off
.LBB46_124:
	s_and_not1_b32 vcc_lo, exec_lo, s0
	s_cbranch_vccnz .LBB46_126
; %bb.125:
	global_store_b8 v[1:2], v3, off
.LBB46_126:
.LBB46_127:
	v_add_nc_u32_e32 v10, 0x80, v10
	s_mov_b32 s0, -1
	s_branch .LBB46_245
.LBB46_128:
	s_mov_b32 s0, 0
                                        ; implicit-def: $vgpr0
	s_cbranch_execnz .LBB46_163
	s_branch .LBB46_195
.LBB46_129:
	s_mov_b32 s9, -1
	s_mov_b32 s0, 0
                                        ; implicit-def: $vgpr0
	s_branch .LBB46_146
.LBB46_130:
	s_mov_b32 s9, -1
	s_mov_b32 s0, 0
                                        ; implicit-def: $vgpr0
	s_branch .LBB46_141
.LBB46_131:
	s_mov_b32 s9, -1
	s_branch .LBB46_133
.LBB46_132:
	s_mov_b32 s11, -1
.LBB46_133:
	s_mov_b32 s0, 0
                                        ; implicit-def: $vgpr0
.LBB46_134:
	s_and_b32 vcc_lo, exec_lo, s9
	s_cbranch_vccz .LBB46_140
; %bb.135:
	v_cmp_eq_u16_e32 vcc_lo, 44, v11
	s_cbranch_vccz .LBB46_139
; %bb.136:
	global_load_u8 v0, v[2:3], off
	s_mov_b32 s11, 0
	s_mov_b32 s0, -1
	s_waitcnt vmcnt(0)
	v_lshlrev_b32_e32 v1, 23, v0
	v_cmp_ne_u32_e32 vcc_lo, 0, v0
	s_delay_alu instid0(VALU_DEP_2) | instskip(NEXT) | instid1(VALU_DEP_1)
	v_cvt_i32_f32_e32 v1, v1
	v_cndmask_b32_e32 v0, 0, v1, vcc_lo
	s_branch .LBB46_140
.LBB46_137:
	s_or_saveexec_b32 s15, s15
                                        ; implicit-def: $sgpr16
	s_delay_alu instid0(SALU_CYCLE_1)
	s_xor_b32 exec_lo, exec_lo, s15
	s_cbranch_execz .LBB46_39
.LBB46_138:
	v_add_f32_e64 v6, 0x46000000, |v5|
	s_and_not1_b32 s14, s14, exec_lo
	s_mov_b32 s16, 0
	s_delay_alu instid0(VALU_DEP_1) | instskip(NEXT) | instid1(VALU_DEP_1)
	v_and_b32_e32 v6, 0xff, v6
	v_cmp_ne_u32_e32 vcc_lo, 0, v6
	s_and_b32 s17, vcc_lo, exec_lo
	s_delay_alu instid0(SALU_CYCLE_1)
	s_or_b32 s14, s14, s17
	s_or_b32 exec_lo, exec_lo, s15
	v_mov_b32_e32 v7, s16
	s_and_saveexec_b32 s15, s14
	s_cbranch_execnz .LBB46_40
	s_branch .LBB46_41
.LBB46_139:
	s_mov_b32 s11, -1
                                        ; implicit-def: $vgpr0
.LBB46_140:
	s_mov_b32 s9, 0
.LBB46_141:
	s_delay_alu instid0(SALU_CYCLE_1)
	s_and_b32 vcc_lo, exec_lo, s9
	s_cbranch_vccz .LBB46_145
; %bb.142:
	v_cmp_eq_u16_e32 vcc_lo, 29, v11
	s_cbranch_vccz .LBB46_144
; %bb.143:
	global_load_b64 v[0:1], v[2:3], off
	s_mov_b32 s0, -1
	s_mov_b32 s11, 0
	s_branch .LBB46_145
.LBB46_144:
	s_mov_b32 s11, -1
                                        ; implicit-def: $vgpr0
.LBB46_145:
	s_mov_b32 s9, 0
.LBB46_146:
	s_delay_alu instid0(SALU_CYCLE_1)
	s_and_b32 vcc_lo, exec_lo, s9
	s_cbranch_vccz .LBB46_162
; %bb.147:
	v_cmp_gt_i16_e32 vcc_lo, 27, v11
	s_cbranch_vccnz .LBB46_150
; %bb.148:
	v_cmp_lt_i16_e32 vcc_lo, 27, v11
	s_cbranch_vccz .LBB46_151
; %bb.149:
	global_load_b32 v0, v[2:3], off
	s_mov_b32 s0, 0
	s_branch .LBB46_152
.LBB46_150:
	s_mov_b32 s0, -1
                                        ; implicit-def: $vgpr0
	s_branch .LBB46_155
.LBB46_151:
	s_mov_b32 s0, -1
                                        ; implicit-def: $vgpr0
.LBB46_152:
	s_delay_alu instid0(SALU_CYCLE_1)
	s_and_not1_b32 vcc_lo, exec_lo, s0
	s_cbranch_vccnz .LBB46_154
; %bb.153:
	global_load_u16 v0, v[2:3], off
.LBB46_154:
	s_mov_b32 s0, 0
.LBB46_155:
	s_delay_alu instid0(SALU_CYCLE_1)
	s_and_not1_b32 vcc_lo, exec_lo, s0
	s_cbranch_vccnz .LBB46_161
; %bb.156:
	global_load_u8 v1, v[2:3], off
	s_mov_b32 s0, 0
	s_mov_b32 s9, exec_lo
                                        ; implicit-def: $sgpr14
	s_waitcnt vmcnt(0)
	v_cmpx_lt_i16_e32 0x7f, v1
	s_xor_b32 s9, exec_lo, s9
	s_cbranch_execz .LBB46_172
; %bb.157:
	v_cmp_ne_u16_e32 vcc_lo, 0x80, v1
	s_mov_b32 s14, 0
	s_and_b32 s0, vcc_lo, exec_lo
	s_or_saveexec_b32 s9, s9
	v_mov_b32_e32 v0, s14
	s_xor_b32 exec_lo, exec_lo, s9
	s_cbranch_execnz .LBB46_173
.LBB46_158:
	s_or_b32 exec_lo, exec_lo, s9
	s_and_saveexec_b32 s9, s0
	s_cbranch_execz .LBB46_160
.LBB46_159:
	v_and_b32_e32 v0, 0xffff, v1
	s_delay_alu instid0(VALU_DEP_1) | instskip(NEXT) | instid1(VALU_DEP_1)
	v_and_b32_e32 v4, 7, v0
	v_clz_i32_u32_e32 v5, v4
	s_delay_alu instid0(VALU_DEP_1) | instskip(NEXT) | instid1(VALU_DEP_1)
	v_min_u32_e32 v5, 32, v5
	v_subrev_nc_u32_e32 v6, 28, v5
	v_sub_nc_u32_e32 v5, 29, v5
	s_delay_alu instid0(VALU_DEP_2) | instskip(SKIP_1) | instid1(VALU_DEP_2)
	v_lshlrev_b32_e32 v6, v6, v0
	v_bfe_u32 v0, v0, 3, 4
	v_and_b32_e32 v6, 7, v6
	s_delay_alu instid0(VALU_DEP_2) | instskip(NEXT) | instid1(VALU_DEP_2)
	v_cmp_eq_u32_e32 vcc_lo, 0, v0
	v_dual_cndmask_b32 v4, v4, v6 :: v_dual_lshlrev_b32 v1, 24, v1
	v_cndmask_b32_e32 v0, v0, v5, vcc_lo
	s_delay_alu instid0(VALU_DEP_2) | instskip(NEXT) | instid1(VALU_DEP_3)
	v_and_b32_e32 v1, 0x80000000, v1
	v_lshlrev_b32_e32 v4, 20, v4
	s_delay_alu instid0(VALU_DEP_3) | instskip(NEXT) | instid1(VALU_DEP_1)
	v_lshl_add_u32 v0, v0, 23, 0x3b800000
	v_or3_b32 v0, v1, v0, v4
	s_delay_alu instid0(VALU_DEP_1)
	v_cvt_i32_f32_e32 v0, v0
.LBB46_160:
	s_or_b32 exec_lo, exec_lo, s9
.LBB46_161:
	s_mov_b32 s0, -1
.LBB46_162:
	s_branch .LBB46_195
.LBB46_163:
	v_cmp_lt_i16_e32 vcc_lo, 22, v11
	s_cbranch_vccz .LBB46_171
; %bb.164:
	v_cmp_gt_i16_e32 vcc_lo, 24, v11
	s_cbranch_vccnz .LBB46_174
; %bb.165:
	v_cmp_lt_i16_e32 vcc_lo, 24, v11
	s_cbranch_vccz .LBB46_175
; %bb.166:
	global_load_u8 v1, v[2:3], off
	s_mov_b32 s0, 0
	s_mov_b32 s9, exec_lo
                                        ; implicit-def: $sgpr14
	s_waitcnt vmcnt(0)
	v_cmpx_lt_i16_e32 0x7f, v1
	s_xor_b32 s9, exec_lo, s9
	s_cbranch_execz .LBB46_187
; %bb.167:
	v_cmp_ne_u16_e32 vcc_lo, 0x80, v1
	s_mov_b32 s14, 0
	s_and_b32 s0, vcc_lo, exec_lo
	s_or_saveexec_b32 s9, s9
	v_mov_b32_e32 v0, s14
	s_xor_b32 exec_lo, exec_lo, s9
	s_cbranch_execnz .LBB46_188
.LBB46_168:
	s_or_b32 exec_lo, exec_lo, s9
	s_and_saveexec_b32 s9, s0
	s_cbranch_execz .LBB46_170
.LBB46_169:
	v_and_b32_e32 v0, 0xffff, v1
	s_delay_alu instid0(VALU_DEP_1) | instskip(NEXT) | instid1(VALU_DEP_1)
	v_and_b32_e32 v4, 3, v0
	v_clz_i32_u32_e32 v5, v4
	s_delay_alu instid0(VALU_DEP_1) | instskip(NEXT) | instid1(VALU_DEP_1)
	v_min_u32_e32 v5, 32, v5
	v_subrev_nc_u32_e32 v6, 29, v5
	v_sub_nc_u32_e32 v5, 30, v5
	s_delay_alu instid0(VALU_DEP_2) | instskip(SKIP_1) | instid1(VALU_DEP_2)
	v_lshlrev_b32_e32 v6, v6, v0
	v_bfe_u32 v0, v0, 2, 5
	v_and_b32_e32 v6, 3, v6
	s_delay_alu instid0(VALU_DEP_2) | instskip(NEXT) | instid1(VALU_DEP_2)
	v_cmp_eq_u32_e32 vcc_lo, 0, v0
	v_dual_cndmask_b32 v4, v4, v6 :: v_dual_lshlrev_b32 v1, 24, v1
	v_cndmask_b32_e32 v0, v0, v5, vcc_lo
	s_delay_alu instid0(VALU_DEP_2) | instskip(NEXT) | instid1(VALU_DEP_3)
	v_and_b32_e32 v1, 0x80000000, v1
	v_lshlrev_b32_e32 v4, 21, v4
	s_delay_alu instid0(VALU_DEP_3) | instskip(NEXT) | instid1(VALU_DEP_1)
	v_lshl_add_u32 v0, v0, 23, 0x37800000
	v_or3_b32 v0, v1, v0, v4
	s_delay_alu instid0(VALU_DEP_1)
	v_cvt_i32_f32_e32 v0, v0
.LBB46_170:
	s_or_b32 exec_lo, exec_lo, s9
	s_mov_b32 s0, 0
	s_branch .LBB46_176
.LBB46_171:
	s_mov_b32 s9, -1
                                        ; implicit-def: $vgpr0
	s_branch .LBB46_182
.LBB46_172:
	s_or_saveexec_b32 s9, s9
	v_mov_b32_e32 v0, s14
	s_xor_b32 exec_lo, exec_lo, s9
	s_cbranch_execz .LBB46_158
.LBB46_173:
	v_cmp_ne_u16_e32 vcc_lo, 0, v1
	v_mov_b32_e32 v0, 0
	s_and_not1_b32 s0, s0, exec_lo
	s_and_b32 s14, vcc_lo, exec_lo
	s_delay_alu instid0(SALU_CYCLE_1)
	s_or_b32 s0, s0, s14
	s_or_b32 exec_lo, exec_lo, s9
	s_and_saveexec_b32 s9, s0
	s_cbranch_execnz .LBB46_159
	s_branch .LBB46_160
.LBB46_174:
	s_mov_b32 s0, -1
                                        ; implicit-def: $vgpr0
	s_branch .LBB46_179
.LBB46_175:
	s_mov_b32 s0, -1
                                        ; implicit-def: $vgpr0
.LBB46_176:
	s_delay_alu instid0(SALU_CYCLE_1)
	s_and_b32 vcc_lo, exec_lo, s0
	s_cbranch_vccz .LBB46_178
; %bb.177:
	global_load_u8 v0, v[2:3], off
	s_waitcnt vmcnt(0)
	v_lshlrev_b32_e32 v0, 24, v0
	s_delay_alu instid0(VALU_DEP_1) | instskip(NEXT) | instid1(VALU_DEP_1)
	v_and_b32_e32 v1, 0x7f000000, v0
	v_clz_i32_u32_e32 v4, v1
	v_cmp_ne_u32_e32 vcc_lo, 0, v1
	v_add_nc_u32_e32 v6, 0x1000000, v1
	s_delay_alu instid0(VALU_DEP_3) | instskip(NEXT) | instid1(VALU_DEP_1)
	v_min_u32_e32 v4, 32, v4
	v_sub_nc_u32_e64 v4, v4, 4 clamp
	s_delay_alu instid0(VALU_DEP_1) | instskip(SKIP_1) | instid1(VALU_DEP_2)
	v_lshlrev_b32_e32 v5, v4, v1
	v_lshlrev_b32_e32 v4, 23, v4
	v_lshrrev_b32_e32 v5, 4, v5
	s_delay_alu instid0(VALU_DEP_1) | instskip(SKIP_1) | instid1(VALU_DEP_2)
	v_sub_nc_u32_e32 v4, v5, v4
	v_ashrrev_i32_e32 v5, 8, v6
	v_add_nc_u32_e32 v4, 0x3c000000, v4
	s_delay_alu instid0(VALU_DEP_1) | instskip(NEXT) | instid1(VALU_DEP_1)
	v_and_or_b32 v4, 0x7f800000, v5, v4
	v_cndmask_b32_e32 v1, 0, v4, vcc_lo
	s_delay_alu instid0(VALU_DEP_1) | instskip(NEXT) | instid1(VALU_DEP_1)
	v_and_or_b32 v0, 0x80000000, v0, v1
	v_cvt_i32_f32_e32 v0, v0
.LBB46_178:
	s_mov_b32 s0, 0
.LBB46_179:
	s_delay_alu instid0(SALU_CYCLE_1)
	s_and_not1_b32 vcc_lo, exec_lo, s0
	s_cbranch_vccnz .LBB46_181
; %bb.180:
	global_load_u8 v0, v[2:3], off
	s_waitcnt vmcnt(0)
	v_lshlrev_b32_e32 v1, 25, v0
	v_lshlrev_b16 v0, 8, v0
	s_delay_alu instid0(VALU_DEP_2) | instskip(NEXT) | instid1(VALU_DEP_2)
	v_lshrrev_b32_e32 v4, 4, v1
	v_and_or_b32 v5, 0x7f00, v0, 0.5
	v_cmp_gt_u32_e32 vcc_lo, 0x8000000, v1
	v_bfe_i32 v0, v0, 0, 16
	s_delay_alu instid0(VALU_DEP_4) | instskip(NEXT) | instid1(VALU_DEP_1)
	v_or_b32_e32 v4, 0x70000000, v4
	v_dual_add_f32 v5, -0.5, v5 :: v_dual_mul_f32 v4, 0x7800000, v4
	s_delay_alu instid0(VALU_DEP_1) | instskip(NEXT) | instid1(VALU_DEP_1)
	v_cndmask_b32_e32 v1, v4, v5, vcc_lo
	v_and_or_b32 v0, 0x80000000, v0, v1
	s_delay_alu instid0(VALU_DEP_1)
	v_cvt_i32_f32_e32 v0, v0
.LBB46_181:
	s_mov_b32 s9, 0
	s_mov_b32 s0, -1
.LBB46_182:
	s_and_not1_b32 vcc_lo, exec_lo, s9
	s_cbranch_vccnz .LBB46_195
; %bb.183:
	v_cmp_lt_i16_e32 vcc_lo, 14, v11
	s_cbranch_vccz .LBB46_186
; %bb.184:
	v_cmp_eq_u16_e32 vcc_lo, 15, v11
	s_cbranch_vccz .LBB46_189
; %bb.185:
	global_load_u16 v0, v[2:3], off
	s_mov_b32 s0, -1
	s_mov_b32 s11, 0
	s_waitcnt vmcnt(0)
	v_lshlrev_b32_e32 v0, 16, v0
	s_delay_alu instid0(VALU_DEP_1)
	v_cvt_i32_f32_e32 v0, v0
	s_branch .LBB46_190
.LBB46_186:
	s_mov_b32 s9, -1
                                        ; implicit-def: $vgpr0
	s_branch .LBB46_191
.LBB46_187:
	s_or_saveexec_b32 s9, s9
	v_mov_b32_e32 v0, s14
	s_xor_b32 exec_lo, exec_lo, s9
	s_cbranch_execz .LBB46_168
.LBB46_188:
	v_cmp_ne_u16_e32 vcc_lo, 0, v1
	v_mov_b32_e32 v0, 0
	s_and_not1_b32 s0, s0, exec_lo
	s_and_b32 s14, vcc_lo, exec_lo
	s_delay_alu instid0(SALU_CYCLE_1)
	s_or_b32 s0, s0, s14
	s_or_b32 exec_lo, exec_lo, s9
	s_and_saveexec_b32 s9, s0
	s_cbranch_execnz .LBB46_169
	s_branch .LBB46_170
.LBB46_189:
	s_mov_b32 s11, -1
                                        ; implicit-def: $vgpr0
.LBB46_190:
	s_mov_b32 s9, 0
.LBB46_191:
	s_delay_alu instid0(SALU_CYCLE_1)
	s_and_b32 vcc_lo, exec_lo, s9
	s_cbranch_vccz .LBB46_195
; %bb.192:
	v_cmp_eq_u16_e32 vcc_lo, 11, v11
	s_cbranch_vccz .LBB46_194
; %bb.193:
	global_load_u8 v0, v[2:3], off
	s_mov_b32 s11, 0
	s_mov_b32 s0, -1
	s_waitcnt vmcnt(0)
	v_cmp_ne_u16_e32 vcc_lo, 0, v0
	v_cndmask_b32_e64 v0, 0, 1, vcc_lo
	s_branch .LBB46_195
.LBB46_194:
	s_mov_b32 s11, -1
                                        ; implicit-def: $vgpr0
.LBB46_195:
	s_branch .LBB46_10
.LBB46_196:
	v_cmp_gt_i16_e32 vcc_lo, 5, v11
	s_cbranch_vccnz .LBB46_201
; %bb.197:
	v_cmp_gt_i16_e32 vcc_lo, 8, v11
	s_cbranch_vccnz .LBB46_202
; %bb.198:
	v_cmp_gt_i16_e32 vcc_lo, 9, v11
	s_cbranch_vccnz .LBB46_203
; %bb.199:
	v_cmp_lt_i16_e32 vcc_lo, 9, v11
	s_cbranch_vccz .LBB46_204
; %bb.200:
	global_load_b64 v[0:1], v[2:3], off
	s_mov_b32 s0, 0
	s_waitcnt vmcnt(0)
	v_cvt_i32_f64_e32 v0, v[0:1]
	s_branch .LBB46_205
.LBB46_201:
                                        ; implicit-def: $vgpr0
	s_branch .LBB46_223
.LBB46_202:
	s_mov_b32 s0, -1
                                        ; implicit-def: $vgpr0
	s_branch .LBB46_211
.LBB46_203:
	s_mov_b32 s0, -1
                                        ; implicit-def: $vgpr0
	s_branch .LBB46_208
.LBB46_204:
	s_mov_b32 s0, -1
                                        ; implicit-def: $vgpr0
.LBB46_205:
	s_delay_alu instid0(SALU_CYCLE_1)
	s_and_not1_b32 vcc_lo, exec_lo, s0
	s_cbranch_vccnz .LBB46_207
; %bb.206:
	global_load_b32 v0, v[2:3], off
	s_waitcnt vmcnt(0)
	v_cvt_i32_f32_e32 v0, v0
.LBB46_207:
	s_mov_b32 s0, 0
.LBB46_208:
	s_delay_alu instid0(SALU_CYCLE_1)
	s_and_not1_b32 vcc_lo, exec_lo, s0
	s_cbranch_vccnz .LBB46_210
; %bb.209:
	global_load_b32 v0, v[2:3], off
	s_waitcnt vmcnt(0)
	v_cvt_i16_f16_e32 v0, v0
.LBB46_210:
	s_mov_b32 s0, 0
.LBB46_211:
	s_delay_alu instid0(SALU_CYCLE_1)
	s_and_not1_b32 vcc_lo, exec_lo, s0
	s_cbranch_vccnz .LBB46_222
; %bb.212:
	v_cmp_gt_i16_e32 vcc_lo, 6, v11
	s_cbranch_vccnz .LBB46_215
; %bb.213:
	v_cmp_lt_i16_e32 vcc_lo, 6, v11
	s_cbranch_vccz .LBB46_216
; %bb.214:
	global_load_b64 v[0:1], v[2:3], off
	s_mov_b32 s0, 0
	s_waitcnt vmcnt(0)
	v_cvt_i32_f64_e32 v0, v[0:1]
	s_branch .LBB46_217
.LBB46_215:
	s_mov_b32 s0, -1
                                        ; implicit-def: $vgpr0
	s_branch .LBB46_220
.LBB46_216:
	s_mov_b32 s0, -1
                                        ; implicit-def: $vgpr0
.LBB46_217:
	s_delay_alu instid0(SALU_CYCLE_1)
	s_and_not1_b32 vcc_lo, exec_lo, s0
	s_cbranch_vccnz .LBB46_219
; %bb.218:
	global_load_b32 v0, v[2:3], off
	s_waitcnt vmcnt(0)
	v_cvt_i32_f32_e32 v0, v0
.LBB46_219:
	s_mov_b32 s0, 0
.LBB46_220:
	s_delay_alu instid0(SALU_CYCLE_1)
	s_and_not1_b32 vcc_lo, exec_lo, s0
	s_cbranch_vccnz .LBB46_222
; %bb.221:
	global_load_u16 v0, v[2:3], off
	s_waitcnt vmcnt(0)
	v_cvt_i16_f16_e32 v0, v0
.LBB46_222:
	s_cbranch_execnz .LBB46_242
.LBB46_223:
	v_cmp_gt_i16_e32 vcc_lo, 2, v11
	s_cbranch_vccnz .LBB46_227
; %bb.224:
	v_cmp_gt_i16_e32 vcc_lo, 3, v11
	s_cbranch_vccnz .LBB46_228
; %bb.225:
	v_cmp_lt_i16_e32 vcc_lo, 3, v11
	s_cbranch_vccz .LBB46_229
; %bb.226:
	global_load_b64 v[0:1], v[2:3], off
	s_mov_b32 s0, 0
	s_branch .LBB46_230
.LBB46_227:
	s_mov_b32 s0, -1
                                        ; implicit-def: $vgpr0
	s_branch .LBB46_236
.LBB46_228:
	s_mov_b32 s0, -1
                                        ; implicit-def: $vgpr0
	s_branch .LBB46_233
.LBB46_229:
	s_mov_b32 s0, -1
                                        ; implicit-def: $vgpr0
.LBB46_230:
	s_delay_alu instid0(SALU_CYCLE_1)
	s_and_not1_b32 vcc_lo, exec_lo, s0
	s_cbranch_vccnz .LBB46_232
; %bb.231:
	global_load_b32 v0, v[2:3], off
.LBB46_232:
	s_mov_b32 s0, 0
.LBB46_233:
	s_delay_alu instid0(SALU_CYCLE_1)
	s_and_not1_b32 vcc_lo, exec_lo, s0
	s_cbranch_vccnz .LBB46_235
; %bb.234:
	global_load_u16 v0, v[2:3], off
.LBB46_235:
	s_mov_b32 s0, 0
.LBB46_236:
	s_delay_alu instid0(SALU_CYCLE_1)
	s_and_not1_b32 vcc_lo, exec_lo, s0
	s_cbranch_vccnz .LBB46_242
; %bb.237:
	v_cmp_lt_i16_e32 vcc_lo, 0, v11
	s_mov_b32 s0, 0
	s_cbranch_vccz .LBB46_239
; %bb.238:
	global_load_i8 v0, v[2:3], off
	s_branch .LBB46_240
.LBB46_239:
	s_mov_b32 s0, -1
                                        ; implicit-def: $vgpr0
.LBB46_240:
	s_delay_alu instid0(SALU_CYCLE_1)
	s_and_not1_b32 vcc_lo, exec_lo, s0
	s_cbranch_vccnz .LBB46_242
; %bb.241:
	global_load_u8 v0, v[2:3], off
.LBB46_242:
	s_branch .LBB46_11
.LBB46_243:
	s_mov_b32 s9, 0
.LBB46_244:
	s_mov_b32 s0, 0
                                        ; implicit-def: $vgpr10
.LBB46_245:
	s_and_b32 s9, s9, exec_lo
	s_and_b32 s11, s11, exec_lo
	s_or_not1_b32 s15, s0, exec_lo
.LBB46_246:
	s_or_b32 exec_lo, exec_lo, s12
	s_mov_b32 s14, 0
	s_mov_b32 s0, 0
                                        ; implicit-def: $vgpr2_vgpr3
                                        ; implicit-def: $vgpr0
	s_and_saveexec_b32 s12, s15
	s_cbranch_execz .LBB46_838
; %bb.247:
	s_mov_b32 s17, -1
	s_mov_b32 s13, s11
	s_mov_b32 s14, s9
	s_mov_b32 s15, exec_lo
	v_cmpx_gt_i32_e64 s10, v10
	s_cbranch_execz .LBB46_499
; %bb.248:
	s_waitcnt vmcnt(0)
	v_mul_lo_u32 v0, v10, s3
	v_cmp_gt_i16_e32 vcc_lo, 11, v11
	s_delay_alu instid0(VALU_DEP_2) | instskip(SKIP_1) | instid1(VALU_DEP_1)
	v_ashrrev_i32_e32 v1, 31, v0
	v_add_co_u32 v2, s0, s6, v0
	v_add_co_ci_u32_e64 v3, s0, s7, v1, s0
	s_cbranch_vccnz .LBB46_255
; %bb.249:
	v_cmp_lt_i16_e32 vcc_lo, 25, v11
	s_cbranch_vccz .LBB46_304
; %bb.250:
	v_cmp_lt_i16_e32 vcc_lo, 28, v11
	s_cbranch_vccz .LBB46_305
	;; [unrolled: 3-line block ×4, first 2 shown]
; %bb.253:
	v_cmp_eq_u16_e32 vcc_lo, 46, v11
	s_mov_b32 s14, 0
	s_cbranch_vccz .LBB46_313
; %bb.254:
	global_load_b32 v0, v[2:3], off
	s_mov_b32 s0, -1
	s_mov_b32 s13, 0
	s_waitcnt vmcnt(0)
	v_lshlrev_b32_e32 v0, 16, v0
	s_delay_alu instid0(VALU_DEP_1)
	v_cvt_i32_f32_e32 v0, v0
	s_branch .LBB46_315
.LBB46_255:
	s_mov_b32 s0, 0
	s_mov_b32 s13, s11
                                        ; implicit-def: $vgpr0
	s_cbranch_execnz .LBB46_448
.LBB46_256:
	s_and_not1_b32 vcc_lo, exec_lo, s0
	s_cbranch_vccnz .LBB46_496
.LBB46_257:
	s_waitcnt vmcnt(0)
	v_mul_lo_u32 v1, v10, s2
	v_and_b32_e32 v4, 0xff, v9
	s_delay_alu instid0(VALU_DEP_3) | instskip(SKIP_2) | instid1(VALU_DEP_2)
	v_xor_b32_e32 v3, -1, v0
	s_mov_b32 s16, -1
	s_mov_b32 s14, 0
	v_cmp_gt_i16_e32 vcc_lo, 11, v4
	s_delay_alu instid0(VALU_DEP_4) | instskip(SKIP_1) | instid1(VALU_DEP_1)
	v_ashrrev_i32_e32 v2, 31, v1
	v_add_co_u32 v1, s0, s4, v1
	v_add_co_ci_u32_e64 v2, s0, s5, v2, s0
	s_mov_b32 s0, s9
	s_cbranch_vccnz .LBB46_264
; %bb.258:
	v_cmp_lt_i16_e32 vcc_lo, 25, v4
	s_cbranch_vccz .LBB46_306
; %bb.259:
	v_cmp_lt_i16_e32 vcc_lo, 28, v4
	s_cbranch_vccz .LBB46_308
	;; [unrolled: 3-line block ×4, first 2 shown]
; %bb.262:
	v_cmp_eq_u16_e32 vcc_lo, 46, v4
	s_mov_b32 s16, 0
	s_mov_b32 s0, -1
	s_cbranch_vccz .LBB46_319
; %bb.263:
	v_bfe_i32 v5, v3, 0, 16
	s_mov_b32 s14, -1
	s_mov_b32 s0, 0
	s_delay_alu instid0(VALU_DEP_1) | instskip(NEXT) | instid1(VALU_DEP_1)
	v_cvt_f32_i32_e32 v5, v5
	v_bfe_u32 v6, v5, 16, 1
	s_delay_alu instid0(VALU_DEP_1) | instskip(NEXT) | instid1(VALU_DEP_1)
	v_add3_u32 v5, v5, v6, 0x7fff
	v_lshrrev_b32_e32 v5, 16, v5
	global_store_b32 v[1:2], v5, off
	s_branch .LBB46_319
.LBB46_264:
	s_and_b32 vcc_lo, exec_lo, s16
	s_cbranch_vccz .LBB46_388
; %bb.265:
	v_cmp_gt_i16_e32 vcc_lo, 5, v4
	s_mov_b32 s14, -1
	s_cbranch_vccnz .LBB46_286
; %bb.266:
	v_cmp_gt_i16_e32 vcc_lo, 8, v4
	s_cbranch_vccnz .LBB46_276
; %bb.267:
	v_cmp_gt_i16_e32 vcc_lo, 9, v4
	s_cbranch_vccnz .LBB46_273
; %bb.268:
	v_cmp_lt_i16_e32 vcc_lo, 9, v4
	s_cbranch_vccz .LBB46_270
; %bb.269:
	v_bfe_i32 v0, v3, 0, 16
	v_mov_b32_e32 v7, 0
	s_mov_b32 s14, 0
	s_delay_alu instid0(VALU_DEP_2) | instskip(NEXT) | instid1(VALU_DEP_2)
	v_cvt_f64_i32_e32 v[5:6], v0
	v_mov_b32_e32 v8, v7
	global_store_b128 v[1:2], v[5:8], off
.LBB46_270:
	s_and_not1_b32 vcc_lo, exec_lo, s14
	s_cbranch_vccnz .LBB46_272
; %bb.271:
	v_bfe_i32 v0, v3, 0, 16
	v_mov_b32_e32 v6, 0
	s_delay_alu instid0(VALU_DEP_2)
	v_cvt_f32_i32_e32 v5, v0
	global_store_b64 v[1:2], v[5:6], off
.LBB46_272:
	s_mov_b32 s14, 0
.LBB46_273:
	s_delay_alu instid0(SALU_CYCLE_1)
	s_and_not1_b32 vcc_lo, exec_lo, s14
	s_cbranch_vccnz .LBB46_275
; %bb.274:
	v_cvt_f16_i16_e32 v0, v3
	s_delay_alu instid0(VALU_DEP_1)
	v_and_b32_e32 v0, 0xffff, v0
	global_store_b32 v[1:2], v0, off
.LBB46_275:
	s_mov_b32 s14, 0
.LBB46_276:
	s_delay_alu instid0(SALU_CYCLE_1)
	s_and_not1_b32 vcc_lo, exec_lo, s14
	s_cbranch_vccnz .LBB46_285
; %bb.277:
	v_cmp_gt_i16_e32 vcc_lo, 6, v4
	s_mov_b32 s14, -1
	s_cbranch_vccnz .LBB46_283
; %bb.278:
	v_cmp_lt_i16_e32 vcc_lo, 6, v4
	s_cbranch_vccz .LBB46_280
; %bb.279:
	v_bfe_i32 v0, v3, 0, 16
	s_mov_b32 s14, 0
	s_delay_alu instid0(VALU_DEP_1)
	v_cvt_f64_i32_e32 v[5:6], v0
	global_store_b64 v[1:2], v[5:6], off
.LBB46_280:
	s_and_not1_b32 vcc_lo, exec_lo, s14
	s_cbranch_vccnz .LBB46_282
; %bb.281:
	v_bfe_i32 v0, v3, 0, 16
	s_delay_alu instid0(VALU_DEP_1)
	v_cvt_f32_i32_e32 v0, v0
	global_store_b32 v[1:2], v0, off
.LBB46_282:
	s_mov_b32 s14, 0
.LBB46_283:
	s_delay_alu instid0(SALU_CYCLE_1)
	s_and_not1_b32 vcc_lo, exec_lo, s14
	s_cbranch_vccnz .LBB46_285
; %bb.284:
	v_cvt_f16_i16_e32 v0, v3
	global_store_b16 v[1:2], v0, off
.LBB46_285:
	s_mov_b32 s14, 0
.LBB46_286:
	s_delay_alu instid0(SALU_CYCLE_1)
	s_and_not1_b32 vcc_lo, exec_lo, s14
	s_cbranch_vccnz .LBB46_302
; %bb.287:
	v_cmp_gt_i16_e32 vcc_lo, 2, v4
	s_mov_b32 s14, -1
	s_cbranch_vccnz .LBB46_297
; %bb.288:
	v_cmp_gt_i16_e32 vcc_lo, 3, v4
	s_cbranch_vccnz .LBB46_294
; %bb.289:
	v_cmp_lt_i16_e32 vcc_lo, 3, v4
	s_cbranch_vccz .LBB46_291
; %bb.290:
	v_bfe_i32 v5, v3, 0, 16
	s_mov_b32 s14, 0
	s_delay_alu instid0(VALU_DEP_1)
	v_ashrrev_i32_e32 v6, 31, v5
	global_store_b64 v[1:2], v[5:6], off
.LBB46_291:
	s_and_not1_b32 vcc_lo, exec_lo, s14
	s_cbranch_vccnz .LBB46_293
; %bb.292:
	v_bfe_i32 v0, v3, 0, 16
	global_store_b32 v[1:2], v0, off
.LBB46_293:
	s_mov_b32 s14, 0
.LBB46_294:
	s_delay_alu instid0(SALU_CYCLE_1)
	s_and_not1_b32 vcc_lo, exec_lo, s14
	s_cbranch_vccnz .LBB46_296
; %bb.295:
	global_store_b16 v[1:2], v3, off
.LBB46_296:
	s_mov_b32 s14, 0
.LBB46_297:
	s_delay_alu instid0(SALU_CYCLE_1)
	s_and_not1_b32 vcc_lo, exec_lo, s14
	s_cbranch_vccnz .LBB46_302
; %bb.298:
	v_cmp_lt_i16_e32 vcc_lo, 0, v4
	s_mov_b32 s14, -1
	s_cbranch_vccz .LBB46_300
; %bb.299:
	s_mov_b32 s14, 0
	global_store_b8 v[1:2], v3, off
.LBB46_300:
	s_and_not1_b32 vcc_lo, exec_lo, s14
	s_cbranch_vccnz .LBB46_302
; %bb.301:
	global_store_b8 v[1:2], v3, off
.LBB46_302:
	s_branch .LBB46_389
.LBB46_303:
	s_mov_b32 s16, 0
	s_branch .LBB46_497
.LBB46_304:
	s_mov_b32 s14, -1
	s_mov_b32 s0, 0
	s_mov_b32 s13, s11
                                        ; implicit-def: $vgpr0
	s_branch .LBB46_414
.LBB46_305:
	s_mov_b32 s14, -1
	s_mov_b32 s0, 0
	s_mov_b32 s13, s11
                                        ; implicit-def: $vgpr0
	s_branch .LBB46_397
.LBB46_306:
	s_mov_b32 s0, s9
	s_branch .LBB46_346
.LBB46_307:
	s_mov_b32 s14, -1
	s_mov_b32 s0, 0
	s_mov_b32 s13, s11
                                        ; implicit-def: $vgpr0
	s_branch .LBB46_392
.LBB46_308:
	s_mov_b32 s0, s9
	s_branch .LBB46_329
.LBB46_309:
	s_mov_b32 s14, -1
	s_mov_b32 s0, 0
	s_mov_b32 s13, s11
	s_branch .LBB46_314
.LBB46_310:
	s_mov_b32 s0, s9
	s_branch .LBB46_325
.LBB46_311:
	s_or_saveexec_b32 s15, s15
                                        ; implicit-def: $sgpr16
	s_delay_alu instid0(SALU_CYCLE_1)
	s_xor_b32 exec_lo, exec_lo, s15
	s_cbranch_execz .LBB46_52
.LBB46_312:
	v_add_f32_e64 v6, 0x42800000, |v5|
	s_and_not1_b32 s14, s14, exec_lo
	s_mov_b32 s16, 0
	s_delay_alu instid0(VALU_DEP_1) | instskip(NEXT) | instid1(VALU_DEP_1)
	v_and_b32_e32 v6, 0xff, v6
	v_cmp_ne_u32_e32 vcc_lo, 0, v6
	s_and_b32 s17, vcc_lo, exec_lo
	s_delay_alu instid0(SALU_CYCLE_1)
	s_or_b32 s14, s14, s17
	s_or_b32 exec_lo, exec_lo, s15
	v_mov_b32_e32 v7, s16
	s_and_saveexec_b32 s15, s14
	s_cbranch_execnz .LBB46_53
	s_branch .LBB46_54
.LBB46_313:
	s_mov_b32 s13, -1
	s_mov_b32 s0, 0
.LBB46_314:
                                        ; implicit-def: $vgpr0
.LBB46_315:
	s_and_b32 vcc_lo, exec_lo, s14
	s_cbranch_vccz .LBB46_391
; %bb.316:
	v_cmp_eq_u16_e32 vcc_lo, 44, v11
	s_cbranch_vccz .LBB46_390
; %bb.317:
	global_load_u8 v0, v[2:3], off
	s_mov_b32 s13, 0
	s_mov_b32 s0, -1
	s_waitcnt vmcnt(0)
	v_lshlrev_b32_e32 v1, 23, v0
	v_cmp_ne_u32_e32 vcc_lo, 0, v0
	s_delay_alu instid0(VALU_DEP_2) | instskip(NEXT) | instid1(VALU_DEP_1)
	v_cvt_i32_f32_e32 v1, v1
	v_cndmask_b32_e32 v0, 0, v1, vcc_lo
	s_branch .LBB46_391
.LBB46_318:
	s_mov_b32 s0, s9
.LBB46_319:
	s_and_b32 vcc_lo, exec_lo, s16
	s_cbranch_vccz .LBB46_324
; %bb.320:
	v_cmp_eq_u16_e32 vcc_lo, 44, v4
	s_mov_b32 s0, -1
	s_cbranch_vccz .LBB46_324
; %bb.321:
	v_bfe_i32 v5, v3, 0, 16
	v_mov_b32_e32 v6, 0xff
	s_mov_b32 s14, exec_lo
	s_delay_alu instid0(VALU_DEP_2) | instskip(NEXT) | instid1(VALU_DEP_1)
	v_cvt_f32_i32_e32 v5, v5
	v_bfe_u32 v7, v5, 23, 8
	s_delay_alu instid0(VALU_DEP_1)
	v_cmpx_ne_u32_e32 0xff, v7
; %bb.322:
	v_and_b32_e32 v6, 0x400000, v5
	v_and_or_b32 v7, 0x3fffff, v5, v7
	v_lshrrev_b32_e32 v5, 23, v5
	s_delay_alu instid0(VALU_DEP_3) | instskip(NEXT) | instid1(VALU_DEP_3)
	v_cmp_ne_u32_e32 vcc_lo, 0, v6
	v_cmp_ne_u32_e64 s0, 0, v7
	s_delay_alu instid0(VALU_DEP_1) | instskip(NEXT) | instid1(SALU_CYCLE_1)
	s_and_b32 s0, vcc_lo, s0
	v_cndmask_b32_e64 v6, 0, 1, s0
	s_delay_alu instid0(VALU_DEP_1)
	v_add_nc_u32_e32 v6, v5, v6
; %bb.323:
	s_or_b32 exec_lo, exec_lo, s14
	s_mov_b32 s14, -1
	s_mov_b32 s0, 0
	global_store_b8 v[1:2], v6, off
.LBB46_324:
	s_mov_b32 s16, 0
.LBB46_325:
	s_delay_alu instid0(SALU_CYCLE_1)
	s_and_b32 vcc_lo, exec_lo, s16
	s_cbranch_vccz .LBB46_328
; %bb.326:
	v_cmp_eq_u16_e32 vcc_lo, 29, v4
	s_mov_b32 s0, -1
	s_cbranch_vccz .LBB46_328
; %bb.327:
	v_bfe_i32 v5, v3, 0, 16
	s_mov_b32 s0, 0
	s_mov_b32 s14, -1
	s_mov_b32 s16, 0
	s_delay_alu instid0(VALU_DEP_1)
	v_ashrrev_i32_e32 v6, 31, v5
	global_store_b64 v[1:2], v[5:6], off
	s_branch .LBB46_329
.LBB46_328:
	s_mov_b32 s16, 0
.LBB46_329:
	s_delay_alu instid0(SALU_CYCLE_1)
	s_and_b32 vcc_lo, exec_lo, s16
	s_cbranch_vccz .LBB46_345
; %bb.330:
	v_cmp_gt_i16_e32 vcc_lo, 27, v4
	s_mov_b32 s14, -1
	s_cbranch_vccnz .LBB46_336
; %bb.331:
	v_cmp_lt_i16_e32 vcc_lo, 27, v4
	s_cbranch_vccz .LBB46_333
; %bb.332:
	v_bfe_i32 v5, v3, 0, 16
	s_mov_b32 s14, 0
	global_store_b32 v[1:2], v5, off
.LBB46_333:
	s_and_not1_b32 vcc_lo, exec_lo, s14
	s_cbranch_vccnz .LBB46_335
; %bb.334:
	global_store_b16 v[1:2], v3, off
.LBB46_335:
	s_mov_b32 s14, 0
.LBB46_336:
	s_delay_alu instid0(SALU_CYCLE_1)
	s_and_not1_b32 vcc_lo, exec_lo, s14
	s_cbranch_vccnz .LBB46_344
; %bb.337:
	v_bfe_i32 v5, v3, 0, 16
	v_mov_b32_e32 v7, 0x80
	s_mov_b32 s14, exec_lo
	s_delay_alu instid0(VALU_DEP_2) | instskip(NEXT) | instid1(VALU_DEP_1)
	v_cvt_f32_i32_e32 v5, v5
	v_and_b32_e32 v6, 0x7fffffff, v5
	s_delay_alu instid0(VALU_DEP_1)
	v_cmpx_gt_u32_e32 0x43800000, v6
	s_cbranch_execz .LBB46_343
; %bb.338:
	v_cmp_lt_u32_e32 vcc_lo, 0x3bffffff, v6
	s_mov_b32 s16, 0
                                        ; implicit-def: $vgpr6
	s_and_saveexec_b32 s17, vcc_lo
	s_delay_alu instid0(SALU_CYCLE_1)
	s_xor_b32 s17, exec_lo, s17
	s_cbranch_execz .LBB46_512
; %bb.339:
	v_bfe_u32 v6, v5, 20, 1
	s_mov_b32 s16, exec_lo
	s_delay_alu instid0(VALU_DEP_1) | instskip(NEXT) | instid1(VALU_DEP_1)
	v_add3_u32 v6, v5, v6, 0x487ffff
	v_lshrrev_b32_e32 v6, 20, v6
	s_or_saveexec_b32 s17, s17
                                        ; implicit-def: $sgpr18
	s_delay_alu instid0(SALU_CYCLE_1)
	s_xor_b32 exec_lo, exec_lo, s17
	s_cbranch_execnz .LBB46_513
.LBB46_340:
	s_or_b32 exec_lo, exec_lo, s17
	v_mov_b32_e32 v7, s18
	s_and_saveexec_b32 s17, s16
.LBB46_341:
	v_lshrrev_b32_e32 v5, 24, v5
	s_delay_alu instid0(VALU_DEP_1)
	v_and_or_b32 v7, 0x80, v5, v6
.LBB46_342:
	s_or_b32 exec_lo, exec_lo, s17
.LBB46_343:
	s_delay_alu instid0(SALU_CYCLE_1)
	s_or_b32 exec_lo, exec_lo, s14
	global_store_b8 v[1:2], v7, off
.LBB46_344:
	s_mov_b32 s14, -1
.LBB46_345:
	s_mov_b32 s16, 0
.LBB46_346:
	s_delay_alu instid0(SALU_CYCLE_1)
	s_and_b32 vcc_lo, exec_lo, s16
	s_cbranch_vccz .LBB46_387
; %bb.347:
	v_cmp_lt_i16_e32 vcc_lo, 22, v4
	s_mov_b32 s16, -1
	s_cbranch_vccz .LBB46_379
; %bb.348:
	v_cmp_gt_i16_e32 vcc_lo, 24, v4
	s_mov_b32 s14, -1
	s_cbranch_vccnz .LBB46_368
; %bb.349:
	v_cmp_lt_i16_e32 vcc_lo, 24, v4
	s_cbranch_vccz .LBB46_357
; %bb.350:
	v_bfe_i32 v5, v3, 0, 16
	v_mov_b32_e32 v7, 0x80
	s_mov_b32 s14, exec_lo
	s_delay_alu instid0(VALU_DEP_2) | instskip(NEXT) | instid1(VALU_DEP_1)
	v_cvt_f32_i32_e32 v5, v5
	v_and_b32_e32 v6, 0x7fffffff, v5
	s_delay_alu instid0(VALU_DEP_1)
	v_cmpx_gt_u32_e32 0x47800000, v6
	s_cbranch_execz .LBB46_356
; %bb.351:
	v_cmp_lt_u32_e32 vcc_lo, 0x37ffffff, v6
	s_mov_b32 s16, 0
                                        ; implicit-def: $vgpr6
	s_and_saveexec_b32 s17, vcc_lo
	s_delay_alu instid0(SALU_CYCLE_1)
	s_xor_b32 s17, exec_lo, s17
	s_cbranch_execz .LBB46_515
; %bb.352:
	v_bfe_u32 v6, v5, 21, 1
	s_mov_b32 s16, exec_lo
	s_delay_alu instid0(VALU_DEP_1) | instskip(NEXT) | instid1(VALU_DEP_1)
	v_add3_u32 v6, v5, v6, 0x88fffff
	v_lshrrev_b32_e32 v6, 21, v6
	s_or_saveexec_b32 s17, s17
                                        ; implicit-def: $sgpr18
	s_delay_alu instid0(SALU_CYCLE_1)
	s_xor_b32 exec_lo, exec_lo, s17
	s_cbranch_execnz .LBB46_516
.LBB46_353:
	s_or_b32 exec_lo, exec_lo, s17
	v_mov_b32_e32 v7, s18
	s_and_saveexec_b32 s17, s16
.LBB46_354:
	v_lshrrev_b32_e32 v5, 24, v5
	s_delay_alu instid0(VALU_DEP_1)
	v_and_or_b32 v7, 0x80, v5, v6
.LBB46_355:
	s_or_b32 exec_lo, exec_lo, s17
.LBB46_356:
	s_delay_alu instid0(SALU_CYCLE_1)
	s_or_b32 exec_lo, exec_lo, s14
	s_mov_b32 s14, 0
	global_store_b8 v[1:2], v7, off
.LBB46_357:
	s_and_b32 vcc_lo, exec_lo, s14
	s_cbranch_vccz .LBB46_367
; %bb.358:
	v_bfe_i32 v5, v3, 0, 16
	s_mov_b32 s14, exec_lo
                                        ; implicit-def: $vgpr6
	s_delay_alu instid0(VALU_DEP_1) | instskip(NEXT) | instid1(VALU_DEP_1)
	v_cvt_f32_i32_e32 v5, v5
	v_and_b32_e32 v7, 0x7fffffff, v5
	s_delay_alu instid0(VALU_DEP_1)
	v_cmpx_gt_u32_e32 0x43f00000, v7
	s_xor_b32 s14, exec_lo, s14
	s_cbranch_execz .LBB46_364
; %bb.359:
	s_mov_b32 s16, exec_lo
                                        ; implicit-def: $vgpr6
	v_cmpx_lt_u32_e32 0x3c7fffff, v7
	s_xor_b32 s16, exec_lo, s16
; %bb.360:
	v_bfe_u32 v6, v5, 20, 1
	s_delay_alu instid0(VALU_DEP_1) | instskip(NEXT) | instid1(VALU_DEP_1)
	v_add3_u32 v6, v5, v6, 0x407ffff
	v_and_b32_e32 v7, 0xff00000, v6
	v_lshrrev_b32_e32 v6, 20, v6
	s_delay_alu instid0(VALU_DEP_2) | instskip(NEXT) | instid1(VALU_DEP_2)
	v_cmp_ne_u32_e32 vcc_lo, 0x7f00000, v7
	v_cndmask_b32_e32 v6, 0x7e, v6, vcc_lo
; %bb.361:
	s_and_not1_saveexec_b32 s16, s16
; %bb.362:
	v_add_f32_e64 v6, 0x46800000, |v5|
; %bb.363:
	s_or_b32 exec_lo, exec_lo, s16
                                        ; implicit-def: $vgpr7
.LBB46_364:
	s_and_not1_saveexec_b32 s14, s14
; %bb.365:
	v_mov_b32_e32 v6, 0x7f
	v_cmp_lt_u32_e32 vcc_lo, 0x7f800000, v7
	s_delay_alu instid0(VALU_DEP_2)
	v_cndmask_b32_e32 v6, 0x7e, v6, vcc_lo
; %bb.366:
	s_or_b32 exec_lo, exec_lo, s14
	v_lshrrev_b32_e32 v5, 24, v5
	s_delay_alu instid0(VALU_DEP_1)
	v_and_or_b32 v5, 0x80, v5, v6
	global_store_b8 v[1:2], v5, off
.LBB46_367:
	s_mov_b32 s14, 0
.LBB46_368:
	s_delay_alu instid0(SALU_CYCLE_1)
	s_and_not1_b32 vcc_lo, exec_lo, s14
	s_cbranch_vccnz .LBB46_378
; %bb.369:
	v_bfe_i32 v5, v3, 0, 16
	s_mov_b32 s14, exec_lo
                                        ; implicit-def: $vgpr6
	s_delay_alu instid0(VALU_DEP_1) | instskip(NEXT) | instid1(VALU_DEP_1)
	v_cvt_f32_i32_e32 v5, v5
	v_and_b32_e32 v7, 0x7fffffff, v5
	s_delay_alu instid0(VALU_DEP_1)
	v_cmpx_gt_u32_e32 0x47800000, v7
	s_xor_b32 s14, exec_lo, s14
	s_cbranch_execz .LBB46_375
; %bb.370:
	s_mov_b32 s16, exec_lo
                                        ; implicit-def: $vgpr6
	v_cmpx_lt_u32_e32 0x387fffff, v7
	s_xor_b32 s16, exec_lo, s16
; %bb.371:
	v_bfe_u32 v6, v5, 21, 1
	s_delay_alu instid0(VALU_DEP_1) | instskip(NEXT) | instid1(VALU_DEP_1)
	v_add3_u32 v6, v5, v6, 0x80fffff
	v_lshrrev_b32_e32 v6, 21, v6
; %bb.372:
	s_and_not1_saveexec_b32 s16, s16
; %bb.373:
	v_add_f32_e64 v6, 0x43000000, |v5|
; %bb.374:
	s_or_b32 exec_lo, exec_lo, s16
                                        ; implicit-def: $vgpr7
.LBB46_375:
	s_and_not1_saveexec_b32 s14, s14
; %bb.376:
	v_mov_b32_e32 v6, 0x7f
	v_cmp_lt_u32_e32 vcc_lo, 0x7f800000, v7
	s_delay_alu instid0(VALU_DEP_2)
	v_cndmask_b32_e32 v6, 0x7c, v6, vcc_lo
; %bb.377:
	s_or_b32 exec_lo, exec_lo, s14
	v_lshrrev_b32_e32 v5, 24, v5
	s_delay_alu instid0(VALU_DEP_1)
	v_and_or_b32 v5, 0x80, v5, v6
	global_store_b8 v[1:2], v5, off
.LBB46_378:
	s_mov_b32 s16, 0
	s_mov_b32 s14, -1
.LBB46_379:
	s_and_not1_b32 vcc_lo, exec_lo, s16
	s_cbranch_vccnz .LBB46_387
; %bb.380:
	v_cmp_lt_i16_e32 vcc_lo, 14, v4
	s_mov_b32 s16, -1
	s_cbranch_vccz .LBB46_384
; %bb.381:
	v_cmp_eq_u16_e32 vcc_lo, 15, v4
	s_mov_b32 s0, -1
	s_cbranch_vccz .LBB46_383
; %bb.382:
	v_bfe_i32 v5, v3, 0, 16
	s_mov_b32 s14, -1
	s_mov_b32 s0, 0
	s_delay_alu instid0(VALU_DEP_1) | instskip(NEXT) | instid1(VALU_DEP_1)
	v_cvt_f32_i32_e32 v5, v5
	v_bfe_u32 v6, v5, 16, 1
	s_delay_alu instid0(VALU_DEP_1)
	v_add3_u32 v5, v5, v6, 0x7fff
	global_store_d16_hi_b16 v[1:2], v5, off
.LBB46_383:
	s_mov_b32 s16, 0
.LBB46_384:
	s_delay_alu instid0(SALU_CYCLE_1)
	s_and_b32 vcc_lo, exec_lo, s16
	s_cbranch_vccz .LBB46_387
; %bb.385:
	v_cmp_eq_u16_e32 vcc_lo, 11, v4
	s_mov_b32 s0, -1
	s_cbranch_vccz .LBB46_387
; %bb.386:
	v_cmp_ne_u16_e32 vcc_lo, -1, v0
	s_mov_b32 s14, -1
	s_mov_b32 s0, 0
	v_cndmask_b32_e64 v0, 0, 1, vcc_lo
	global_store_b8 v[1:2], v0, off
.LBB46_387:
.LBB46_388:
	s_and_not1_b32 vcc_lo, exec_lo, s14
	s_cbranch_vccnz .LBB46_303
.LBB46_389:
	v_add_nc_u32_e32 v10, 0x80, v10
	s_mov_b32 s16, -1
	s_branch .LBB46_498
.LBB46_390:
	s_mov_b32 s13, -1
                                        ; implicit-def: $vgpr0
.LBB46_391:
	s_mov_b32 s14, 0
.LBB46_392:
	s_delay_alu instid0(SALU_CYCLE_1)
	s_and_b32 vcc_lo, exec_lo, s14
	s_cbranch_vccz .LBB46_396
; %bb.393:
	v_cmp_eq_u16_e32 vcc_lo, 29, v11
	s_cbranch_vccz .LBB46_395
; %bb.394:
	global_load_b64 v[0:1], v[2:3], off
	s_mov_b32 s0, -1
	s_mov_b32 s13, 0
	s_branch .LBB46_396
.LBB46_395:
	s_mov_b32 s13, -1
                                        ; implicit-def: $vgpr0
.LBB46_396:
	s_mov_b32 s14, 0
.LBB46_397:
	s_delay_alu instid0(SALU_CYCLE_1)
	s_and_b32 vcc_lo, exec_lo, s14
	s_cbranch_vccz .LBB46_413
; %bb.398:
	v_cmp_gt_i16_e32 vcc_lo, 27, v11
	s_cbranch_vccnz .LBB46_401
; %bb.399:
	v_cmp_lt_i16_e32 vcc_lo, 27, v11
	s_cbranch_vccz .LBB46_402
; %bb.400:
	global_load_b32 v0, v[2:3], off
	s_mov_b32 s0, 0
	s_branch .LBB46_403
.LBB46_401:
	s_mov_b32 s0, -1
                                        ; implicit-def: $vgpr0
	s_branch .LBB46_406
.LBB46_402:
	s_mov_b32 s0, -1
                                        ; implicit-def: $vgpr0
.LBB46_403:
	s_delay_alu instid0(SALU_CYCLE_1)
	s_and_not1_b32 vcc_lo, exec_lo, s0
	s_cbranch_vccnz .LBB46_405
; %bb.404:
	global_load_u16 v0, v[2:3], off
.LBB46_405:
	s_mov_b32 s0, 0
.LBB46_406:
	s_delay_alu instid0(SALU_CYCLE_1)
	s_and_not1_b32 vcc_lo, exec_lo, s0
	s_cbranch_vccnz .LBB46_412
; %bb.407:
	global_load_u8 v1, v[2:3], off
	s_mov_b32 s0, 0
	s_mov_b32 s14, exec_lo
                                        ; implicit-def: $sgpr16
	s_waitcnt vmcnt(0)
	v_cmpx_lt_i16_e32 0x7f, v1
	s_xor_b32 s14, exec_lo, s14
	s_cbranch_execz .LBB46_424
; %bb.408:
	v_cmp_ne_u16_e32 vcc_lo, 0x80, v1
	s_mov_b32 s16, 0
	s_and_b32 s0, vcc_lo, exec_lo
	s_or_saveexec_b32 s14, s14
	v_mov_b32_e32 v0, s16
	s_xor_b32 exec_lo, exec_lo, s14
	s_cbranch_execnz .LBB46_425
.LBB46_409:
	s_or_b32 exec_lo, exec_lo, s14
	s_and_saveexec_b32 s14, s0
	s_cbranch_execz .LBB46_411
.LBB46_410:
	v_and_b32_e32 v0, 0xffff, v1
	s_delay_alu instid0(VALU_DEP_1) | instskip(NEXT) | instid1(VALU_DEP_1)
	v_and_b32_e32 v4, 7, v0
	v_clz_i32_u32_e32 v5, v4
	s_delay_alu instid0(VALU_DEP_1) | instskip(NEXT) | instid1(VALU_DEP_1)
	v_min_u32_e32 v5, 32, v5
	v_subrev_nc_u32_e32 v6, 28, v5
	v_sub_nc_u32_e32 v5, 29, v5
	s_delay_alu instid0(VALU_DEP_2) | instskip(SKIP_1) | instid1(VALU_DEP_2)
	v_lshlrev_b32_e32 v6, v6, v0
	v_bfe_u32 v0, v0, 3, 4
	v_and_b32_e32 v6, 7, v6
	s_delay_alu instid0(VALU_DEP_2) | instskip(NEXT) | instid1(VALU_DEP_2)
	v_cmp_eq_u32_e32 vcc_lo, 0, v0
	v_dual_cndmask_b32 v4, v4, v6 :: v_dual_lshlrev_b32 v1, 24, v1
	v_cndmask_b32_e32 v0, v0, v5, vcc_lo
	s_delay_alu instid0(VALU_DEP_2) | instskip(NEXT) | instid1(VALU_DEP_3)
	v_and_b32_e32 v1, 0x80000000, v1
	v_lshlrev_b32_e32 v4, 20, v4
	s_delay_alu instid0(VALU_DEP_3) | instskip(NEXT) | instid1(VALU_DEP_1)
	v_lshl_add_u32 v0, v0, 23, 0x3b800000
	v_or3_b32 v0, v1, v0, v4
	s_delay_alu instid0(VALU_DEP_1)
	v_cvt_i32_f32_e32 v0, v0
.LBB46_411:
	s_or_b32 exec_lo, exec_lo, s14
.LBB46_412:
	s_mov_b32 s0, -1
.LBB46_413:
	s_mov_b32 s14, 0
.LBB46_414:
	s_delay_alu instid0(SALU_CYCLE_1)
	s_and_b32 vcc_lo, exec_lo, s14
	s_cbranch_vccz .LBB46_447
; %bb.415:
	v_cmp_lt_i16_e32 vcc_lo, 22, v11
	s_cbranch_vccz .LBB46_423
; %bb.416:
	v_cmp_gt_i16_e32 vcc_lo, 24, v11
	s_cbranch_vccnz .LBB46_426
; %bb.417:
	v_cmp_lt_i16_e32 vcc_lo, 24, v11
	s_cbranch_vccz .LBB46_427
; %bb.418:
	global_load_u8 v1, v[2:3], off
	s_mov_b32 s0, 0
	s_mov_b32 s14, exec_lo
                                        ; implicit-def: $sgpr16
	s_waitcnt vmcnt(0)
	v_cmpx_lt_i16_e32 0x7f, v1
	s_xor_b32 s14, exec_lo, s14
	s_cbranch_execz .LBB46_439
; %bb.419:
	v_cmp_ne_u16_e32 vcc_lo, 0x80, v1
	s_mov_b32 s16, 0
	s_and_b32 s0, vcc_lo, exec_lo
	s_or_saveexec_b32 s14, s14
	v_mov_b32_e32 v0, s16
	s_xor_b32 exec_lo, exec_lo, s14
	s_cbranch_execnz .LBB46_440
.LBB46_420:
	s_or_b32 exec_lo, exec_lo, s14
	s_and_saveexec_b32 s14, s0
	s_cbranch_execz .LBB46_422
.LBB46_421:
	v_and_b32_e32 v0, 0xffff, v1
	s_delay_alu instid0(VALU_DEP_1) | instskip(NEXT) | instid1(VALU_DEP_1)
	v_and_b32_e32 v4, 3, v0
	v_clz_i32_u32_e32 v5, v4
	s_delay_alu instid0(VALU_DEP_1) | instskip(NEXT) | instid1(VALU_DEP_1)
	v_min_u32_e32 v5, 32, v5
	v_subrev_nc_u32_e32 v6, 29, v5
	v_sub_nc_u32_e32 v5, 30, v5
	s_delay_alu instid0(VALU_DEP_2) | instskip(SKIP_1) | instid1(VALU_DEP_2)
	v_lshlrev_b32_e32 v6, v6, v0
	v_bfe_u32 v0, v0, 2, 5
	v_and_b32_e32 v6, 3, v6
	s_delay_alu instid0(VALU_DEP_2) | instskip(NEXT) | instid1(VALU_DEP_2)
	v_cmp_eq_u32_e32 vcc_lo, 0, v0
	v_dual_cndmask_b32 v4, v4, v6 :: v_dual_lshlrev_b32 v1, 24, v1
	v_cndmask_b32_e32 v0, v0, v5, vcc_lo
	s_delay_alu instid0(VALU_DEP_2) | instskip(NEXT) | instid1(VALU_DEP_3)
	v_and_b32_e32 v1, 0x80000000, v1
	v_lshlrev_b32_e32 v4, 21, v4
	s_delay_alu instid0(VALU_DEP_3) | instskip(NEXT) | instid1(VALU_DEP_1)
	v_lshl_add_u32 v0, v0, 23, 0x37800000
	v_or3_b32 v0, v1, v0, v4
	s_delay_alu instid0(VALU_DEP_1)
	v_cvt_i32_f32_e32 v0, v0
.LBB46_422:
	s_or_b32 exec_lo, exec_lo, s14
	s_mov_b32 s0, 0
	s_branch .LBB46_428
.LBB46_423:
	s_mov_b32 s14, -1
                                        ; implicit-def: $vgpr0
	s_branch .LBB46_434
.LBB46_424:
	s_or_saveexec_b32 s14, s14
	v_mov_b32_e32 v0, s16
	s_xor_b32 exec_lo, exec_lo, s14
	s_cbranch_execz .LBB46_409
.LBB46_425:
	v_cmp_ne_u16_e32 vcc_lo, 0, v1
	v_mov_b32_e32 v0, 0
	s_and_not1_b32 s0, s0, exec_lo
	s_and_b32 s16, vcc_lo, exec_lo
	s_delay_alu instid0(SALU_CYCLE_1)
	s_or_b32 s0, s0, s16
	s_or_b32 exec_lo, exec_lo, s14
	s_and_saveexec_b32 s14, s0
	s_cbranch_execnz .LBB46_410
	s_branch .LBB46_411
.LBB46_426:
	s_mov_b32 s0, -1
                                        ; implicit-def: $vgpr0
	s_branch .LBB46_431
.LBB46_427:
	s_mov_b32 s0, -1
                                        ; implicit-def: $vgpr0
.LBB46_428:
	s_delay_alu instid0(SALU_CYCLE_1)
	s_and_b32 vcc_lo, exec_lo, s0
	s_cbranch_vccz .LBB46_430
; %bb.429:
	global_load_u8 v0, v[2:3], off
	s_waitcnt vmcnt(0)
	v_lshlrev_b32_e32 v0, 24, v0
	s_delay_alu instid0(VALU_DEP_1) | instskip(NEXT) | instid1(VALU_DEP_1)
	v_and_b32_e32 v1, 0x7f000000, v0
	v_clz_i32_u32_e32 v4, v1
	v_cmp_ne_u32_e32 vcc_lo, 0, v1
	v_add_nc_u32_e32 v6, 0x1000000, v1
	s_delay_alu instid0(VALU_DEP_3) | instskip(NEXT) | instid1(VALU_DEP_1)
	v_min_u32_e32 v4, 32, v4
	v_sub_nc_u32_e64 v4, v4, 4 clamp
	s_delay_alu instid0(VALU_DEP_1) | instskip(SKIP_1) | instid1(VALU_DEP_2)
	v_lshlrev_b32_e32 v5, v4, v1
	v_lshlrev_b32_e32 v4, 23, v4
	v_lshrrev_b32_e32 v5, 4, v5
	s_delay_alu instid0(VALU_DEP_1) | instskip(SKIP_1) | instid1(VALU_DEP_2)
	v_sub_nc_u32_e32 v4, v5, v4
	v_ashrrev_i32_e32 v5, 8, v6
	v_add_nc_u32_e32 v4, 0x3c000000, v4
	s_delay_alu instid0(VALU_DEP_1) | instskip(NEXT) | instid1(VALU_DEP_1)
	v_and_or_b32 v4, 0x7f800000, v5, v4
	v_cndmask_b32_e32 v1, 0, v4, vcc_lo
	s_delay_alu instid0(VALU_DEP_1) | instskip(NEXT) | instid1(VALU_DEP_1)
	v_and_or_b32 v0, 0x80000000, v0, v1
	v_cvt_i32_f32_e32 v0, v0
.LBB46_430:
	s_mov_b32 s0, 0
.LBB46_431:
	s_delay_alu instid0(SALU_CYCLE_1)
	s_and_not1_b32 vcc_lo, exec_lo, s0
	s_cbranch_vccnz .LBB46_433
; %bb.432:
	global_load_u8 v0, v[2:3], off
	s_waitcnt vmcnt(0)
	v_lshlrev_b32_e32 v1, 25, v0
	v_lshlrev_b16 v0, 8, v0
	s_delay_alu instid0(VALU_DEP_2) | instskip(NEXT) | instid1(VALU_DEP_2)
	v_lshrrev_b32_e32 v4, 4, v1
	v_and_or_b32 v5, 0x7f00, v0, 0.5
	v_cmp_gt_u32_e32 vcc_lo, 0x8000000, v1
	v_bfe_i32 v0, v0, 0, 16
	s_delay_alu instid0(VALU_DEP_4) | instskip(NEXT) | instid1(VALU_DEP_1)
	v_or_b32_e32 v4, 0x70000000, v4
	v_dual_add_f32 v5, -0.5, v5 :: v_dual_mul_f32 v4, 0x7800000, v4
	s_delay_alu instid0(VALU_DEP_1) | instskip(NEXT) | instid1(VALU_DEP_1)
	v_cndmask_b32_e32 v1, v4, v5, vcc_lo
	v_and_or_b32 v0, 0x80000000, v0, v1
	s_delay_alu instid0(VALU_DEP_1)
	v_cvt_i32_f32_e32 v0, v0
.LBB46_433:
	s_mov_b32 s14, 0
	s_mov_b32 s0, -1
.LBB46_434:
	s_and_not1_b32 vcc_lo, exec_lo, s14
	s_cbranch_vccnz .LBB46_447
; %bb.435:
	v_cmp_lt_i16_e32 vcc_lo, 14, v11
	s_cbranch_vccz .LBB46_438
; %bb.436:
	v_cmp_eq_u16_e32 vcc_lo, 15, v11
	s_cbranch_vccz .LBB46_441
; %bb.437:
	global_load_u16 v0, v[2:3], off
	s_mov_b32 s0, -1
	s_mov_b32 s13, 0
	s_waitcnt vmcnt(0)
	v_lshlrev_b32_e32 v0, 16, v0
	s_delay_alu instid0(VALU_DEP_1)
	v_cvt_i32_f32_e32 v0, v0
	s_branch .LBB46_442
.LBB46_438:
	s_mov_b32 s14, -1
                                        ; implicit-def: $vgpr0
	s_branch .LBB46_443
.LBB46_439:
	s_or_saveexec_b32 s14, s14
	v_mov_b32_e32 v0, s16
	s_xor_b32 exec_lo, exec_lo, s14
	s_cbranch_execz .LBB46_420
.LBB46_440:
	v_cmp_ne_u16_e32 vcc_lo, 0, v1
	v_mov_b32_e32 v0, 0
	s_and_not1_b32 s0, s0, exec_lo
	s_and_b32 s16, vcc_lo, exec_lo
	s_delay_alu instid0(SALU_CYCLE_1)
	s_or_b32 s0, s0, s16
	s_or_b32 exec_lo, exec_lo, s14
	s_and_saveexec_b32 s14, s0
	s_cbranch_execnz .LBB46_421
	s_branch .LBB46_422
.LBB46_441:
	s_mov_b32 s13, -1
                                        ; implicit-def: $vgpr0
.LBB46_442:
	s_mov_b32 s14, 0
.LBB46_443:
	s_delay_alu instid0(SALU_CYCLE_1)
	s_and_b32 vcc_lo, exec_lo, s14
	s_cbranch_vccz .LBB46_447
; %bb.444:
	v_cmp_eq_u16_e32 vcc_lo, 11, v11
	s_cbranch_vccz .LBB46_446
; %bb.445:
	global_load_u8 v0, v[2:3], off
	s_mov_b32 s13, 0
	s_mov_b32 s0, -1
	s_waitcnt vmcnt(0)
	v_cmp_ne_u16_e32 vcc_lo, 0, v0
	v_cndmask_b32_e64 v0, 0, 1, vcc_lo
	s_branch .LBB46_447
.LBB46_446:
	s_mov_b32 s13, -1
                                        ; implicit-def: $vgpr0
.LBB46_447:
	s_branch .LBB46_256
.LBB46_448:
	v_cmp_gt_i16_e32 vcc_lo, 5, v11
	s_cbranch_vccnz .LBB46_453
; %bb.449:
	v_cmp_gt_i16_e32 vcc_lo, 8, v11
	s_cbranch_vccnz .LBB46_454
; %bb.450:
	;; [unrolled: 3-line block ×3, first 2 shown]
	v_cmp_lt_i16_e32 vcc_lo, 9, v11
	s_cbranch_vccz .LBB46_456
; %bb.452:
	global_load_b64 v[0:1], v[2:3], off
	s_mov_b32 s0, 0
	s_waitcnt vmcnt(0)
	v_cvt_i32_f64_e32 v0, v[0:1]
	s_branch .LBB46_457
.LBB46_453:
	s_mov_b32 s0, -1
                                        ; implicit-def: $vgpr0
	s_branch .LBB46_475
.LBB46_454:
	s_mov_b32 s0, -1
                                        ; implicit-def: $vgpr0
	s_branch .LBB46_463
.LBB46_455:
	s_mov_b32 s0, -1
                                        ; implicit-def: $vgpr0
	s_branch .LBB46_460
.LBB46_456:
	s_mov_b32 s0, -1
                                        ; implicit-def: $vgpr0
.LBB46_457:
	s_delay_alu instid0(SALU_CYCLE_1)
	s_and_not1_b32 vcc_lo, exec_lo, s0
	s_cbranch_vccnz .LBB46_459
; %bb.458:
	global_load_b32 v0, v[2:3], off
	s_waitcnt vmcnt(0)
	v_cvt_i32_f32_e32 v0, v0
.LBB46_459:
	s_mov_b32 s0, 0
.LBB46_460:
	s_delay_alu instid0(SALU_CYCLE_1)
	s_and_not1_b32 vcc_lo, exec_lo, s0
	s_cbranch_vccnz .LBB46_462
; %bb.461:
	global_load_b32 v0, v[2:3], off
	s_waitcnt vmcnt(0)
	v_cvt_i16_f16_e32 v0, v0
.LBB46_462:
	s_mov_b32 s0, 0
.LBB46_463:
	s_delay_alu instid0(SALU_CYCLE_1)
	s_and_not1_b32 vcc_lo, exec_lo, s0
	s_cbranch_vccnz .LBB46_474
; %bb.464:
	v_cmp_gt_i16_e32 vcc_lo, 6, v11
	s_cbranch_vccnz .LBB46_467
; %bb.465:
	v_cmp_lt_i16_e32 vcc_lo, 6, v11
	s_cbranch_vccz .LBB46_468
; %bb.466:
	global_load_b64 v[0:1], v[2:3], off
	s_mov_b32 s0, 0
	s_waitcnt vmcnt(0)
	v_cvt_i32_f64_e32 v0, v[0:1]
	s_branch .LBB46_469
.LBB46_467:
	s_mov_b32 s0, -1
                                        ; implicit-def: $vgpr0
	s_branch .LBB46_472
.LBB46_468:
	s_mov_b32 s0, -1
                                        ; implicit-def: $vgpr0
.LBB46_469:
	s_delay_alu instid0(SALU_CYCLE_1)
	s_and_not1_b32 vcc_lo, exec_lo, s0
	s_cbranch_vccnz .LBB46_471
; %bb.470:
	global_load_b32 v0, v[2:3], off
	s_waitcnt vmcnt(0)
	v_cvt_i32_f32_e32 v0, v0
.LBB46_471:
	s_mov_b32 s0, 0
.LBB46_472:
	s_delay_alu instid0(SALU_CYCLE_1)
	s_and_not1_b32 vcc_lo, exec_lo, s0
	s_cbranch_vccnz .LBB46_474
; %bb.473:
	global_load_u16 v0, v[2:3], off
	s_waitcnt vmcnt(0)
	v_cvt_i16_f16_e32 v0, v0
.LBB46_474:
	s_mov_b32 s0, 0
.LBB46_475:
	s_delay_alu instid0(SALU_CYCLE_1)
	s_and_not1_b32 vcc_lo, exec_lo, s0
	s_cbranch_vccnz .LBB46_495
; %bb.476:
	v_cmp_gt_i16_e32 vcc_lo, 2, v11
	s_cbranch_vccnz .LBB46_480
; %bb.477:
	v_cmp_gt_i16_e32 vcc_lo, 3, v11
	s_cbranch_vccnz .LBB46_481
; %bb.478:
	v_cmp_lt_i16_e32 vcc_lo, 3, v11
	s_cbranch_vccz .LBB46_482
; %bb.479:
	global_load_b64 v[0:1], v[2:3], off
	s_mov_b32 s0, 0
	s_branch .LBB46_483
.LBB46_480:
	s_mov_b32 s0, -1
                                        ; implicit-def: $vgpr0
	s_branch .LBB46_489
.LBB46_481:
	s_mov_b32 s0, -1
                                        ; implicit-def: $vgpr0
	s_branch .LBB46_486
.LBB46_482:
	s_mov_b32 s0, -1
                                        ; implicit-def: $vgpr0
.LBB46_483:
	s_delay_alu instid0(SALU_CYCLE_1)
	s_and_not1_b32 vcc_lo, exec_lo, s0
	s_cbranch_vccnz .LBB46_485
; %bb.484:
	global_load_b32 v0, v[2:3], off
.LBB46_485:
	s_mov_b32 s0, 0
.LBB46_486:
	s_delay_alu instid0(SALU_CYCLE_1)
	s_and_not1_b32 vcc_lo, exec_lo, s0
	s_cbranch_vccnz .LBB46_488
; %bb.487:
	global_load_u16 v0, v[2:3], off
.LBB46_488:
	s_mov_b32 s0, 0
.LBB46_489:
	s_delay_alu instid0(SALU_CYCLE_1)
	s_and_not1_b32 vcc_lo, exec_lo, s0
	s_cbranch_vccnz .LBB46_495
; %bb.490:
	v_cmp_lt_i16_e32 vcc_lo, 0, v11
	s_mov_b32 s0, 0
	s_cbranch_vccz .LBB46_492
; %bb.491:
	global_load_i8 v0, v[2:3], off
	s_branch .LBB46_493
.LBB46_492:
	s_mov_b32 s0, -1
                                        ; implicit-def: $vgpr0
.LBB46_493:
	s_delay_alu instid0(SALU_CYCLE_1)
	s_and_not1_b32 vcc_lo, exec_lo, s0
	s_cbranch_vccnz .LBB46_495
; %bb.494:
	global_load_u8 v0, v[2:3], off
.LBB46_495:
	s_branch .LBB46_257
.LBB46_496:
	s_mov_b32 s16, 0
	s_mov_b32 s0, s9
.LBB46_497:
                                        ; implicit-def: $vgpr10
.LBB46_498:
	s_and_not1_b32 s14, s9, exec_lo
	s_and_b32 s0, s0, exec_lo
	s_and_not1_b32 s17, s11, exec_lo
	s_and_b32 s13, s13, exec_lo
	s_or_b32 s14, s14, s0
	s_or_b32 s13, s17, s13
	s_or_not1_b32 s17, s16, exec_lo
.LBB46_499:
	s_or_b32 exec_lo, exec_lo, s15
	s_mov_b32 s16, 0
	s_mov_b32 s18, 0
	;; [unrolled: 1-line block ×3, first 2 shown]
                                        ; implicit-def: $vgpr2_vgpr3
                                        ; implicit-def: $vgpr0
	s_and_saveexec_b32 s15, s17
	s_cbranch_execz .LBB46_837
; %bb.500:
	s_mov_b32 s0, -1
	s_mov_b32 s17, s13
	s_mov_b32 s18, s14
	s_mov_b32 s16, exec_lo
	v_cmpx_gt_i32_e64 s10, v10
	s_cbranch_execz .LBB46_755
; %bb.501:
	s_waitcnt vmcnt(0)
	v_mul_lo_u32 v0, v10, s3
	v_cmp_gt_i16_e32 vcc_lo, 11, v11
	s_delay_alu instid0(VALU_DEP_2) | instskip(SKIP_1) | instid1(VALU_DEP_1)
	v_ashrrev_i32_e32 v1, 31, v0
	v_add_co_u32 v2, s0, s6, v0
	v_add_co_ci_u32_e64 v3, s0, s7, v1, s0
	s_cbranch_vccnz .LBB46_508
; %bb.502:
	v_cmp_lt_i16_e32 vcc_lo, 25, v11
	s_cbranch_vccz .LBB46_509
; %bb.503:
	v_cmp_lt_i16_e32 vcc_lo, 28, v11
	s_cbranch_vccz .LBB46_510
	;; [unrolled: 3-line block ×4, first 2 shown]
; %bb.506:
	v_cmp_eq_u16_e32 vcc_lo, 46, v11
	s_mov_b32 s18, 0
	s_cbranch_vccz .LBB46_517
; %bb.507:
	global_load_b32 v0, v[2:3], off
	s_mov_b32 s0, -1
	s_mov_b32 s17, 0
	s_waitcnt vmcnt(0)
	v_lshlrev_b32_e32 v0, 16, v0
	s_delay_alu instid0(VALU_DEP_1)
	v_cvt_i32_f32_e32 v0, v0
	s_branch .LBB46_519
.LBB46_508:
	s_mov_b32 s18, -1
	s_mov_b32 s0, 0
	s_mov_b32 s17, s13
                                        ; implicit-def: $vgpr0
	s_branch .LBB46_580
.LBB46_509:
	s_mov_b32 s18, -1
	s_mov_b32 s0, 0
	s_mov_b32 s17, s13
                                        ; implicit-def: $vgpr0
	s_branch .LBB46_546
.LBB46_510:
	s_mov_b32 s18, -1
	s_mov_b32 s0, 0
	s_mov_b32 s17, s13
                                        ; implicit-def: $vgpr0
	s_branch .LBB46_529
.LBB46_511:
	s_mov_b32 s18, -1
	s_mov_b32 s0, 0
	s_mov_b32 s17, s13
                                        ; implicit-def: $vgpr0
	s_branch .LBB46_524
.LBB46_512:
	s_or_saveexec_b32 s17, s17
                                        ; implicit-def: $sgpr18
	s_delay_alu instid0(SALU_CYCLE_1)
	s_xor_b32 exec_lo, exec_lo, s17
	s_cbranch_execz .LBB46_340
.LBB46_513:
	v_add_f32_e64 v6, 0x46000000, |v5|
	s_and_not1_b32 s16, s16, exec_lo
	s_mov_b32 s18, 0
	s_delay_alu instid0(VALU_DEP_1) | instskip(NEXT) | instid1(VALU_DEP_1)
	v_and_b32_e32 v6, 0xff, v6
	v_cmp_ne_u32_e32 vcc_lo, 0, v6
	s_and_b32 s19, vcc_lo, exec_lo
	s_delay_alu instid0(SALU_CYCLE_1)
	s_or_b32 s16, s16, s19
	s_or_b32 exec_lo, exec_lo, s17
	v_mov_b32_e32 v7, s18
	s_and_saveexec_b32 s17, s16
	s_cbranch_execnz .LBB46_341
	s_branch .LBB46_342
.LBB46_514:
	s_mov_b32 s18, -1
	s_mov_b32 s0, 0
	s_mov_b32 s17, s13
	s_branch .LBB46_518
.LBB46_515:
	s_or_saveexec_b32 s17, s17
                                        ; implicit-def: $sgpr18
	s_delay_alu instid0(SALU_CYCLE_1)
	s_xor_b32 exec_lo, exec_lo, s17
	s_cbranch_execz .LBB46_353
.LBB46_516:
	v_add_f32_e64 v6, 0x42800000, |v5|
	s_and_not1_b32 s16, s16, exec_lo
	s_mov_b32 s18, 0
	s_delay_alu instid0(VALU_DEP_1) | instskip(NEXT) | instid1(VALU_DEP_1)
	v_and_b32_e32 v6, 0xff, v6
	v_cmp_ne_u32_e32 vcc_lo, 0, v6
	s_and_b32 s19, vcc_lo, exec_lo
	s_delay_alu instid0(SALU_CYCLE_1)
	s_or_b32 s16, s16, s19
	s_or_b32 exec_lo, exec_lo, s17
	v_mov_b32_e32 v7, s18
	s_and_saveexec_b32 s17, s16
	s_cbranch_execnz .LBB46_354
	s_branch .LBB46_355
.LBB46_517:
	s_mov_b32 s17, -1
	s_mov_b32 s0, 0
.LBB46_518:
                                        ; implicit-def: $vgpr0
.LBB46_519:
	s_and_b32 vcc_lo, exec_lo, s18
	s_cbranch_vccz .LBB46_523
; %bb.520:
	v_cmp_eq_u16_e32 vcc_lo, 44, v11
	s_cbranch_vccz .LBB46_522
; %bb.521:
	global_load_u8 v0, v[2:3], off
	s_mov_b32 s17, 0
	s_mov_b32 s0, -1
	s_waitcnt vmcnt(0)
	v_lshlrev_b32_e32 v1, 23, v0
	v_cmp_ne_u32_e32 vcc_lo, 0, v0
	s_delay_alu instid0(VALU_DEP_2) | instskip(NEXT) | instid1(VALU_DEP_1)
	v_cvt_i32_f32_e32 v1, v1
	v_cndmask_b32_e32 v0, 0, v1, vcc_lo
	s_branch .LBB46_523
.LBB46_522:
	s_mov_b32 s17, -1
                                        ; implicit-def: $vgpr0
.LBB46_523:
	s_mov_b32 s18, 0
.LBB46_524:
	s_delay_alu instid0(SALU_CYCLE_1)
	s_and_b32 vcc_lo, exec_lo, s18
	s_cbranch_vccz .LBB46_528
; %bb.525:
	v_cmp_eq_u16_e32 vcc_lo, 29, v11
	s_cbranch_vccz .LBB46_527
; %bb.526:
	global_load_b64 v[0:1], v[2:3], off
	s_mov_b32 s0, -1
	s_mov_b32 s17, 0
	s_branch .LBB46_528
.LBB46_527:
	s_mov_b32 s17, -1
                                        ; implicit-def: $vgpr0
.LBB46_528:
	s_mov_b32 s18, 0
.LBB46_529:
	s_delay_alu instid0(SALU_CYCLE_1)
	s_and_b32 vcc_lo, exec_lo, s18
	s_cbranch_vccz .LBB46_545
; %bb.530:
	v_cmp_gt_i16_e32 vcc_lo, 27, v11
	s_cbranch_vccnz .LBB46_533
; %bb.531:
	v_cmp_lt_i16_e32 vcc_lo, 27, v11
	s_cbranch_vccz .LBB46_534
; %bb.532:
	global_load_b32 v0, v[2:3], off
	s_mov_b32 s0, 0
	s_branch .LBB46_535
.LBB46_533:
	s_mov_b32 s0, -1
                                        ; implicit-def: $vgpr0
	s_branch .LBB46_538
.LBB46_534:
	s_mov_b32 s0, -1
                                        ; implicit-def: $vgpr0
.LBB46_535:
	s_delay_alu instid0(SALU_CYCLE_1)
	s_and_not1_b32 vcc_lo, exec_lo, s0
	s_cbranch_vccnz .LBB46_537
; %bb.536:
	global_load_u16 v0, v[2:3], off
.LBB46_537:
	s_mov_b32 s0, 0
.LBB46_538:
	s_delay_alu instid0(SALU_CYCLE_1)
	s_and_not1_b32 vcc_lo, exec_lo, s0
	s_cbranch_vccnz .LBB46_544
; %bb.539:
	global_load_u8 v1, v[2:3], off
	s_mov_b32 s0, 0
	s_mov_b32 s18, exec_lo
                                        ; implicit-def: $sgpr19
	s_waitcnt vmcnt(0)
	v_cmpx_lt_i16_e32 0x7f, v1
	s_xor_b32 s18, exec_lo, s18
	s_cbranch_execz .LBB46_556
; %bb.540:
	v_cmp_ne_u16_e32 vcc_lo, 0x80, v1
	s_mov_b32 s19, 0
	s_and_b32 s0, vcc_lo, exec_lo
	s_or_saveexec_b32 s18, s18
	v_mov_b32_e32 v0, s19
	s_xor_b32 exec_lo, exec_lo, s18
	s_cbranch_execnz .LBB46_557
.LBB46_541:
	s_or_b32 exec_lo, exec_lo, s18
	s_and_saveexec_b32 s18, s0
	s_cbranch_execz .LBB46_543
.LBB46_542:
	v_and_b32_e32 v0, 0xffff, v1
	s_delay_alu instid0(VALU_DEP_1) | instskip(NEXT) | instid1(VALU_DEP_1)
	v_and_b32_e32 v4, 7, v0
	v_clz_i32_u32_e32 v5, v4
	s_delay_alu instid0(VALU_DEP_1) | instskip(NEXT) | instid1(VALU_DEP_1)
	v_min_u32_e32 v5, 32, v5
	v_subrev_nc_u32_e32 v6, 28, v5
	v_sub_nc_u32_e32 v5, 29, v5
	s_delay_alu instid0(VALU_DEP_2) | instskip(SKIP_1) | instid1(VALU_DEP_2)
	v_lshlrev_b32_e32 v6, v6, v0
	v_bfe_u32 v0, v0, 3, 4
	v_and_b32_e32 v6, 7, v6
	s_delay_alu instid0(VALU_DEP_2) | instskip(NEXT) | instid1(VALU_DEP_2)
	v_cmp_eq_u32_e32 vcc_lo, 0, v0
	v_dual_cndmask_b32 v4, v4, v6 :: v_dual_lshlrev_b32 v1, 24, v1
	v_cndmask_b32_e32 v0, v0, v5, vcc_lo
	s_delay_alu instid0(VALU_DEP_2) | instskip(NEXT) | instid1(VALU_DEP_3)
	v_and_b32_e32 v1, 0x80000000, v1
	v_lshlrev_b32_e32 v4, 20, v4
	s_delay_alu instid0(VALU_DEP_3) | instskip(NEXT) | instid1(VALU_DEP_1)
	v_lshl_add_u32 v0, v0, 23, 0x3b800000
	v_or3_b32 v0, v1, v0, v4
	s_delay_alu instid0(VALU_DEP_1)
	v_cvt_i32_f32_e32 v0, v0
.LBB46_543:
	s_or_b32 exec_lo, exec_lo, s18
.LBB46_544:
	s_mov_b32 s0, -1
.LBB46_545:
	s_mov_b32 s18, 0
.LBB46_546:
	s_delay_alu instid0(SALU_CYCLE_1)
	s_and_b32 vcc_lo, exec_lo, s18
	s_cbranch_vccz .LBB46_579
; %bb.547:
	v_cmp_lt_i16_e32 vcc_lo, 22, v11
	s_cbranch_vccz .LBB46_555
; %bb.548:
	v_cmp_gt_i16_e32 vcc_lo, 24, v11
	s_cbranch_vccnz .LBB46_558
; %bb.549:
	v_cmp_lt_i16_e32 vcc_lo, 24, v11
	s_cbranch_vccz .LBB46_559
; %bb.550:
	global_load_u8 v1, v[2:3], off
	s_mov_b32 s0, 0
	s_mov_b32 s18, exec_lo
                                        ; implicit-def: $sgpr19
	s_waitcnt vmcnt(0)
	v_cmpx_lt_i16_e32 0x7f, v1
	s_xor_b32 s18, exec_lo, s18
	s_cbranch_execz .LBB46_571
; %bb.551:
	v_cmp_ne_u16_e32 vcc_lo, 0x80, v1
	s_mov_b32 s19, 0
	s_and_b32 s0, vcc_lo, exec_lo
	s_or_saveexec_b32 s18, s18
	v_mov_b32_e32 v0, s19
	s_xor_b32 exec_lo, exec_lo, s18
	s_cbranch_execnz .LBB46_572
.LBB46_552:
	s_or_b32 exec_lo, exec_lo, s18
	s_and_saveexec_b32 s18, s0
	s_cbranch_execz .LBB46_554
.LBB46_553:
	v_and_b32_e32 v0, 0xffff, v1
	s_delay_alu instid0(VALU_DEP_1) | instskip(NEXT) | instid1(VALU_DEP_1)
	v_and_b32_e32 v4, 3, v0
	v_clz_i32_u32_e32 v5, v4
	s_delay_alu instid0(VALU_DEP_1) | instskip(NEXT) | instid1(VALU_DEP_1)
	v_min_u32_e32 v5, 32, v5
	v_subrev_nc_u32_e32 v6, 29, v5
	v_sub_nc_u32_e32 v5, 30, v5
	s_delay_alu instid0(VALU_DEP_2) | instskip(SKIP_1) | instid1(VALU_DEP_2)
	v_lshlrev_b32_e32 v6, v6, v0
	v_bfe_u32 v0, v0, 2, 5
	v_and_b32_e32 v6, 3, v6
	s_delay_alu instid0(VALU_DEP_2) | instskip(NEXT) | instid1(VALU_DEP_2)
	v_cmp_eq_u32_e32 vcc_lo, 0, v0
	v_dual_cndmask_b32 v4, v4, v6 :: v_dual_lshlrev_b32 v1, 24, v1
	v_cndmask_b32_e32 v0, v0, v5, vcc_lo
	s_delay_alu instid0(VALU_DEP_2) | instskip(NEXT) | instid1(VALU_DEP_3)
	v_and_b32_e32 v1, 0x80000000, v1
	v_lshlrev_b32_e32 v4, 21, v4
	s_delay_alu instid0(VALU_DEP_3) | instskip(NEXT) | instid1(VALU_DEP_1)
	v_lshl_add_u32 v0, v0, 23, 0x37800000
	v_or3_b32 v0, v1, v0, v4
	s_delay_alu instid0(VALU_DEP_1)
	v_cvt_i32_f32_e32 v0, v0
.LBB46_554:
	s_or_b32 exec_lo, exec_lo, s18
	s_mov_b32 s0, 0
	s_branch .LBB46_560
.LBB46_555:
	s_mov_b32 s18, -1
                                        ; implicit-def: $vgpr0
	s_branch .LBB46_566
.LBB46_556:
	s_or_saveexec_b32 s18, s18
	v_mov_b32_e32 v0, s19
	s_xor_b32 exec_lo, exec_lo, s18
	s_cbranch_execz .LBB46_541
.LBB46_557:
	v_cmp_ne_u16_e32 vcc_lo, 0, v1
	v_mov_b32_e32 v0, 0
	s_and_not1_b32 s0, s0, exec_lo
	s_and_b32 s19, vcc_lo, exec_lo
	s_delay_alu instid0(SALU_CYCLE_1)
	s_or_b32 s0, s0, s19
	s_or_b32 exec_lo, exec_lo, s18
	s_and_saveexec_b32 s18, s0
	s_cbranch_execnz .LBB46_542
	s_branch .LBB46_543
.LBB46_558:
	s_mov_b32 s0, -1
                                        ; implicit-def: $vgpr0
	s_branch .LBB46_563
.LBB46_559:
	s_mov_b32 s0, -1
                                        ; implicit-def: $vgpr0
.LBB46_560:
	s_delay_alu instid0(SALU_CYCLE_1)
	s_and_b32 vcc_lo, exec_lo, s0
	s_cbranch_vccz .LBB46_562
; %bb.561:
	global_load_u8 v0, v[2:3], off
	s_waitcnt vmcnt(0)
	v_lshlrev_b32_e32 v0, 24, v0
	s_delay_alu instid0(VALU_DEP_1) | instskip(NEXT) | instid1(VALU_DEP_1)
	v_and_b32_e32 v1, 0x7f000000, v0
	v_clz_i32_u32_e32 v4, v1
	v_cmp_ne_u32_e32 vcc_lo, 0, v1
	v_add_nc_u32_e32 v6, 0x1000000, v1
	s_delay_alu instid0(VALU_DEP_3) | instskip(NEXT) | instid1(VALU_DEP_1)
	v_min_u32_e32 v4, 32, v4
	v_sub_nc_u32_e64 v4, v4, 4 clamp
	s_delay_alu instid0(VALU_DEP_1) | instskip(SKIP_1) | instid1(VALU_DEP_2)
	v_lshlrev_b32_e32 v5, v4, v1
	v_lshlrev_b32_e32 v4, 23, v4
	v_lshrrev_b32_e32 v5, 4, v5
	s_delay_alu instid0(VALU_DEP_1) | instskip(SKIP_1) | instid1(VALU_DEP_2)
	v_sub_nc_u32_e32 v4, v5, v4
	v_ashrrev_i32_e32 v5, 8, v6
	v_add_nc_u32_e32 v4, 0x3c000000, v4
	s_delay_alu instid0(VALU_DEP_1) | instskip(NEXT) | instid1(VALU_DEP_1)
	v_and_or_b32 v4, 0x7f800000, v5, v4
	v_cndmask_b32_e32 v1, 0, v4, vcc_lo
	s_delay_alu instid0(VALU_DEP_1) | instskip(NEXT) | instid1(VALU_DEP_1)
	v_and_or_b32 v0, 0x80000000, v0, v1
	v_cvt_i32_f32_e32 v0, v0
.LBB46_562:
	s_mov_b32 s0, 0
.LBB46_563:
	s_delay_alu instid0(SALU_CYCLE_1)
	s_and_not1_b32 vcc_lo, exec_lo, s0
	s_cbranch_vccnz .LBB46_565
; %bb.564:
	global_load_u8 v0, v[2:3], off
	s_waitcnt vmcnt(0)
	v_lshlrev_b32_e32 v1, 25, v0
	v_lshlrev_b16 v0, 8, v0
	s_delay_alu instid0(VALU_DEP_2) | instskip(NEXT) | instid1(VALU_DEP_2)
	v_lshrrev_b32_e32 v4, 4, v1
	v_and_or_b32 v5, 0x7f00, v0, 0.5
	v_cmp_gt_u32_e32 vcc_lo, 0x8000000, v1
	v_bfe_i32 v0, v0, 0, 16
	s_delay_alu instid0(VALU_DEP_4) | instskip(NEXT) | instid1(VALU_DEP_1)
	v_or_b32_e32 v4, 0x70000000, v4
	v_dual_add_f32 v5, -0.5, v5 :: v_dual_mul_f32 v4, 0x7800000, v4
	s_delay_alu instid0(VALU_DEP_1) | instskip(NEXT) | instid1(VALU_DEP_1)
	v_cndmask_b32_e32 v1, v4, v5, vcc_lo
	v_and_or_b32 v0, 0x80000000, v0, v1
	s_delay_alu instid0(VALU_DEP_1)
	v_cvt_i32_f32_e32 v0, v0
.LBB46_565:
	s_mov_b32 s18, 0
	s_mov_b32 s0, -1
.LBB46_566:
	s_and_not1_b32 vcc_lo, exec_lo, s18
	s_cbranch_vccnz .LBB46_579
; %bb.567:
	v_cmp_lt_i16_e32 vcc_lo, 14, v11
	s_cbranch_vccz .LBB46_570
; %bb.568:
	v_cmp_eq_u16_e32 vcc_lo, 15, v11
	s_cbranch_vccz .LBB46_573
; %bb.569:
	global_load_u16 v0, v[2:3], off
	s_mov_b32 s0, -1
	s_mov_b32 s17, 0
	s_waitcnt vmcnt(0)
	v_lshlrev_b32_e32 v0, 16, v0
	s_delay_alu instid0(VALU_DEP_1)
	v_cvt_i32_f32_e32 v0, v0
	s_branch .LBB46_574
.LBB46_570:
	s_mov_b32 s18, -1
                                        ; implicit-def: $vgpr0
	s_branch .LBB46_575
.LBB46_571:
	s_or_saveexec_b32 s18, s18
	v_mov_b32_e32 v0, s19
	s_xor_b32 exec_lo, exec_lo, s18
	s_cbranch_execz .LBB46_552
.LBB46_572:
	v_cmp_ne_u16_e32 vcc_lo, 0, v1
	v_mov_b32_e32 v0, 0
	s_and_not1_b32 s0, s0, exec_lo
	s_and_b32 s19, vcc_lo, exec_lo
	s_delay_alu instid0(SALU_CYCLE_1)
	s_or_b32 s0, s0, s19
	s_or_b32 exec_lo, exec_lo, s18
	s_and_saveexec_b32 s18, s0
	s_cbranch_execnz .LBB46_553
	s_branch .LBB46_554
.LBB46_573:
	s_mov_b32 s17, -1
                                        ; implicit-def: $vgpr0
.LBB46_574:
	s_mov_b32 s18, 0
.LBB46_575:
	s_delay_alu instid0(SALU_CYCLE_1)
	s_and_b32 vcc_lo, exec_lo, s18
	s_cbranch_vccz .LBB46_579
; %bb.576:
	v_cmp_eq_u16_e32 vcc_lo, 11, v11
	s_cbranch_vccz .LBB46_578
; %bb.577:
	global_load_u8 v0, v[2:3], off
	s_mov_b32 s17, 0
	s_mov_b32 s0, -1
	s_waitcnt vmcnt(0)
	v_cmp_ne_u16_e32 vcc_lo, 0, v0
	v_cndmask_b32_e64 v0, 0, 1, vcc_lo
	s_branch .LBB46_579
.LBB46_578:
	s_mov_b32 s17, -1
                                        ; implicit-def: $vgpr0
.LBB46_579:
	s_mov_b32 s18, 0
.LBB46_580:
	s_delay_alu instid0(SALU_CYCLE_1)
	s_and_b32 vcc_lo, exec_lo, s18
	s_cbranch_vccz .LBB46_629
; %bb.581:
	v_cmp_gt_i16_e32 vcc_lo, 5, v11
	s_cbranch_vccnz .LBB46_586
; %bb.582:
	v_cmp_gt_i16_e32 vcc_lo, 8, v11
	s_cbranch_vccnz .LBB46_587
	;; [unrolled: 3-line block ×3, first 2 shown]
; %bb.584:
	v_cmp_lt_i16_e32 vcc_lo, 9, v11
	s_cbranch_vccz .LBB46_589
; %bb.585:
	global_load_b64 v[0:1], v[2:3], off
	s_mov_b32 s0, 0
	s_waitcnt vmcnt(0)
	v_cvt_i32_f64_e32 v0, v[0:1]
	s_branch .LBB46_590
.LBB46_586:
	s_mov_b32 s0, -1
                                        ; implicit-def: $vgpr0
	s_branch .LBB46_608
.LBB46_587:
	s_mov_b32 s0, -1
                                        ; implicit-def: $vgpr0
	s_branch .LBB46_596
.LBB46_588:
	s_mov_b32 s0, -1
                                        ; implicit-def: $vgpr0
	s_branch .LBB46_593
.LBB46_589:
	s_mov_b32 s0, -1
                                        ; implicit-def: $vgpr0
.LBB46_590:
	s_delay_alu instid0(SALU_CYCLE_1)
	s_and_not1_b32 vcc_lo, exec_lo, s0
	s_cbranch_vccnz .LBB46_592
; %bb.591:
	global_load_b32 v0, v[2:3], off
	s_waitcnt vmcnt(0)
	v_cvt_i32_f32_e32 v0, v0
.LBB46_592:
	s_mov_b32 s0, 0
.LBB46_593:
	s_delay_alu instid0(SALU_CYCLE_1)
	s_and_not1_b32 vcc_lo, exec_lo, s0
	s_cbranch_vccnz .LBB46_595
; %bb.594:
	global_load_b32 v0, v[2:3], off
	s_waitcnt vmcnt(0)
	v_cvt_i16_f16_e32 v0, v0
.LBB46_595:
	s_mov_b32 s0, 0
.LBB46_596:
	s_delay_alu instid0(SALU_CYCLE_1)
	s_and_not1_b32 vcc_lo, exec_lo, s0
	s_cbranch_vccnz .LBB46_607
; %bb.597:
	v_cmp_gt_i16_e32 vcc_lo, 6, v11
	s_cbranch_vccnz .LBB46_600
; %bb.598:
	v_cmp_lt_i16_e32 vcc_lo, 6, v11
	s_cbranch_vccz .LBB46_601
; %bb.599:
	global_load_b64 v[0:1], v[2:3], off
	s_mov_b32 s0, 0
	s_waitcnt vmcnt(0)
	v_cvt_i32_f64_e32 v0, v[0:1]
	s_branch .LBB46_602
.LBB46_600:
	s_mov_b32 s0, -1
                                        ; implicit-def: $vgpr0
	s_branch .LBB46_605
.LBB46_601:
	s_mov_b32 s0, -1
                                        ; implicit-def: $vgpr0
.LBB46_602:
	s_delay_alu instid0(SALU_CYCLE_1)
	s_and_not1_b32 vcc_lo, exec_lo, s0
	s_cbranch_vccnz .LBB46_604
; %bb.603:
	global_load_b32 v0, v[2:3], off
	s_waitcnt vmcnt(0)
	v_cvt_i32_f32_e32 v0, v0
.LBB46_604:
	s_mov_b32 s0, 0
.LBB46_605:
	s_delay_alu instid0(SALU_CYCLE_1)
	s_and_not1_b32 vcc_lo, exec_lo, s0
	s_cbranch_vccnz .LBB46_607
; %bb.606:
	global_load_u16 v0, v[2:3], off
	s_waitcnt vmcnt(0)
	v_cvt_i16_f16_e32 v0, v0
.LBB46_607:
	s_mov_b32 s0, 0
.LBB46_608:
	s_delay_alu instid0(SALU_CYCLE_1)
	s_and_not1_b32 vcc_lo, exec_lo, s0
	s_cbranch_vccnz .LBB46_628
; %bb.609:
	v_cmp_gt_i16_e32 vcc_lo, 2, v11
	s_cbranch_vccnz .LBB46_613
; %bb.610:
	v_cmp_gt_i16_e32 vcc_lo, 3, v11
	s_cbranch_vccnz .LBB46_614
; %bb.611:
	v_cmp_lt_i16_e32 vcc_lo, 3, v11
	s_cbranch_vccz .LBB46_615
; %bb.612:
	global_load_b64 v[0:1], v[2:3], off
	s_mov_b32 s0, 0
	s_branch .LBB46_616
.LBB46_613:
	s_mov_b32 s0, -1
                                        ; implicit-def: $vgpr0
	s_branch .LBB46_622
.LBB46_614:
	s_mov_b32 s0, -1
                                        ; implicit-def: $vgpr0
	s_branch .LBB46_619
.LBB46_615:
	s_mov_b32 s0, -1
                                        ; implicit-def: $vgpr0
.LBB46_616:
	s_delay_alu instid0(SALU_CYCLE_1)
	s_and_not1_b32 vcc_lo, exec_lo, s0
	s_cbranch_vccnz .LBB46_618
; %bb.617:
	global_load_b32 v0, v[2:3], off
.LBB46_618:
	s_mov_b32 s0, 0
.LBB46_619:
	s_delay_alu instid0(SALU_CYCLE_1)
	s_and_not1_b32 vcc_lo, exec_lo, s0
	s_cbranch_vccnz .LBB46_621
; %bb.620:
	global_load_u16 v0, v[2:3], off
.LBB46_621:
	s_mov_b32 s0, 0
.LBB46_622:
	s_delay_alu instid0(SALU_CYCLE_1)
	s_and_not1_b32 vcc_lo, exec_lo, s0
	s_cbranch_vccnz .LBB46_628
; %bb.623:
	v_cmp_lt_i16_e32 vcc_lo, 0, v11
	s_mov_b32 s0, 0
	s_cbranch_vccz .LBB46_625
; %bb.624:
	global_load_i8 v0, v[2:3], off
	s_branch .LBB46_626
.LBB46_625:
	s_mov_b32 s0, -1
                                        ; implicit-def: $vgpr0
.LBB46_626:
	s_delay_alu instid0(SALU_CYCLE_1)
	s_and_not1_b32 vcc_lo, exec_lo, s0
	s_cbranch_vccnz .LBB46_628
; %bb.627:
	global_load_u8 v0, v[2:3], off
.LBB46_628:
	s_mov_b32 s0, -1
.LBB46_629:
	s_delay_alu instid0(SALU_CYCLE_1)
	s_and_not1_b32 vcc_lo, exec_lo, s0
	s_cbranch_vccnz .LBB46_637
; %bb.630:
	s_waitcnt vmcnt(0)
	v_mul_lo_u32 v1, v10, s2
	v_and_b32_e32 v4, 0xff, v9
	s_delay_alu instid0(VALU_DEP_3) | instskip(SKIP_2) | instid1(VALU_DEP_2)
	v_xor_b32_e32 v3, -1, v0
	s_mov_b32 s19, -1
	s_mov_b32 s18, 0
	v_cmp_gt_i16_e32 vcc_lo, 11, v4
	s_delay_alu instid0(VALU_DEP_4) | instskip(SKIP_1) | instid1(VALU_DEP_1)
	v_ashrrev_i32_e32 v2, 31, v1
	v_add_co_u32 v1, s0, s4, v1
	v_add_co_ci_u32_e64 v2, s0, s5, v2, s0
	s_mov_b32 s0, s14
	s_cbranch_vccnz .LBB46_638
; %bb.631:
	v_cmp_lt_i16_e32 vcc_lo, 25, v4
	s_cbranch_vccz .LBB46_679
; %bb.632:
	v_cmp_lt_i16_e32 vcc_lo, 28, v4
	s_cbranch_vccz .LBB46_680
	;; [unrolled: 3-line block ×4, first 2 shown]
; %bb.635:
	v_cmp_eq_u16_e32 vcc_lo, 46, v4
	s_mov_b32 s19, 0
	s_mov_b32 s0, -1
	s_cbranch_vccz .LBB46_683
; %bb.636:
	v_bfe_i32 v5, v3, 0, 16
	s_mov_b32 s18, -1
	s_mov_b32 s0, 0
	s_delay_alu instid0(VALU_DEP_1) | instskip(NEXT) | instid1(VALU_DEP_1)
	v_cvt_f32_i32_e32 v5, v5
	v_bfe_u32 v6, v5, 16, 1
	s_delay_alu instid0(VALU_DEP_1) | instskip(NEXT) | instid1(VALU_DEP_1)
	v_add3_u32 v5, v5, v6, 0x7fff
	v_lshrrev_b32_e32 v5, 16, v5
	global_store_b32 v[1:2], v5, off
	s_branch .LBB46_683
.LBB46_637:
	s_mov_b32 s19, 0
	s_mov_b32 s0, s14
	s_branch .LBB46_678
.LBB46_638:
	s_and_b32 vcc_lo, exec_lo, s19
	s_cbranch_vccz .LBB46_752
; %bb.639:
	v_cmp_gt_i16_e32 vcc_lo, 5, v4
	s_mov_b32 s18, -1
	s_cbranch_vccnz .LBB46_660
; %bb.640:
	v_cmp_gt_i16_e32 vcc_lo, 8, v4
	s_cbranch_vccnz .LBB46_650
; %bb.641:
	v_cmp_gt_i16_e32 vcc_lo, 9, v4
	s_cbranch_vccnz .LBB46_647
; %bb.642:
	v_cmp_lt_i16_e32 vcc_lo, 9, v4
	s_cbranch_vccz .LBB46_644
; %bb.643:
	v_bfe_i32 v0, v3, 0, 16
	v_mov_b32_e32 v7, 0
	s_mov_b32 s18, 0
	s_delay_alu instid0(VALU_DEP_2) | instskip(NEXT) | instid1(VALU_DEP_2)
	v_cvt_f64_i32_e32 v[5:6], v0
	v_mov_b32_e32 v8, v7
	global_store_b128 v[1:2], v[5:8], off
.LBB46_644:
	s_and_not1_b32 vcc_lo, exec_lo, s18
	s_cbranch_vccnz .LBB46_646
; %bb.645:
	v_bfe_i32 v0, v3, 0, 16
	v_mov_b32_e32 v6, 0
	s_delay_alu instid0(VALU_DEP_2)
	v_cvt_f32_i32_e32 v5, v0
	global_store_b64 v[1:2], v[5:6], off
.LBB46_646:
	s_mov_b32 s18, 0
.LBB46_647:
	s_delay_alu instid0(SALU_CYCLE_1)
	s_and_not1_b32 vcc_lo, exec_lo, s18
	s_cbranch_vccnz .LBB46_649
; %bb.648:
	v_cvt_f16_i16_e32 v0, v3
	s_delay_alu instid0(VALU_DEP_1)
	v_and_b32_e32 v0, 0xffff, v0
	global_store_b32 v[1:2], v0, off
.LBB46_649:
	s_mov_b32 s18, 0
.LBB46_650:
	s_delay_alu instid0(SALU_CYCLE_1)
	s_and_not1_b32 vcc_lo, exec_lo, s18
	s_cbranch_vccnz .LBB46_659
; %bb.651:
	v_cmp_gt_i16_e32 vcc_lo, 6, v4
	s_mov_b32 s18, -1
	s_cbranch_vccnz .LBB46_657
; %bb.652:
	v_cmp_lt_i16_e32 vcc_lo, 6, v4
	s_cbranch_vccz .LBB46_654
; %bb.653:
	v_bfe_i32 v0, v3, 0, 16
	s_mov_b32 s18, 0
	s_delay_alu instid0(VALU_DEP_1)
	v_cvt_f64_i32_e32 v[5:6], v0
	global_store_b64 v[1:2], v[5:6], off
.LBB46_654:
	s_and_not1_b32 vcc_lo, exec_lo, s18
	s_cbranch_vccnz .LBB46_656
; %bb.655:
	v_bfe_i32 v0, v3, 0, 16
	s_delay_alu instid0(VALU_DEP_1)
	v_cvt_f32_i32_e32 v0, v0
	global_store_b32 v[1:2], v0, off
.LBB46_656:
	s_mov_b32 s18, 0
.LBB46_657:
	s_delay_alu instid0(SALU_CYCLE_1)
	s_and_not1_b32 vcc_lo, exec_lo, s18
	s_cbranch_vccnz .LBB46_659
; %bb.658:
	v_cvt_f16_i16_e32 v0, v3
	global_store_b16 v[1:2], v0, off
.LBB46_659:
	s_mov_b32 s18, 0
.LBB46_660:
	s_delay_alu instid0(SALU_CYCLE_1)
	s_and_not1_b32 vcc_lo, exec_lo, s18
	s_cbranch_vccnz .LBB46_676
; %bb.661:
	v_cmp_gt_i16_e32 vcc_lo, 2, v4
	s_mov_b32 s18, -1
	s_cbranch_vccnz .LBB46_671
; %bb.662:
	v_cmp_gt_i16_e32 vcc_lo, 3, v4
	s_cbranch_vccnz .LBB46_668
; %bb.663:
	v_cmp_lt_i16_e32 vcc_lo, 3, v4
	s_cbranch_vccz .LBB46_665
; %bb.664:
	v_bfe_i32 v5, v3, 0, 16
	s_mov_b32 s18, 0
	s_delay_alu instid0(VALU_DEP_1)
	v_ashrrev_i32_e32 v6, 31, v5
	global_store_b64 v[1:2], v[5:6], off
.LBB46_665:
	s_and_not1_b32 vcc_lo, exec_lo, s18
	s_cbranch_vccnz .LBB46_667
; %bb.666:
	v_bfe_i32 v0, v3, 0, 16
	global_store_b32 v[1:2], v0, off
.LBB46_667:
	s_mov_b32 s18, 0
.LBB46_668:
	s_delay_alu instid0(SALU_CYCLE_1)
	s_and_not1_b32 vcc_lo, exec_lo, s18
	s_cbranch_vccnz .LBB46_670
; %bb.669:
	global_store_b16 v[1:2], v3, off
.LBB46_670:
	s_mov_b32 s18, 0
.LBB46_671:
	s_delay_alu instid0(SALU_CYCLE_1)
	s_and_not1_b32 vcc_lo, exec_lo, s18
	s_cbranch_vccnz .LBB46_676
; %bb.672:
	v_cmp_lt_i16_e32 vcc_lo, 0, v4
	s_mov_b32 s18, -1
	s_cbranch_vccz .LBB46_674
; %bb.673:
	s_mov_b32 s18, 0
	global_store_b8 v[1:2], v3, off
.LBB46_674:
	s_and_not1_b32 vcc_lo, exec_lo, s18
	s_cbranch_vccnz .LBB46_676
; %bb.675:
	global_store_b8 v[1:2], v3, off
.LBB46_676:
	s_branch .LBB46_753
.LBB46_677:
	s_mov_b32 s19, 0
.LBB46_678:
                                        ; implicit-def: $vgpr10
	s_branch .LBB46_754
.LBB46_679:
	s_mov_b32 s0, s14
	s_branch .LBB46_710
.LBB46_680:
	s_mov_b32 s0, s14
	s_branch .LBB46_693
.LBB46_681:
	s_mov_b32 s0, s14
	s_branch .LBB46_689
.LBB46_682:
	s_mov_b32 s0, s14
.LBB46_683:
	s_and_b32 vcc_lo, exec_lo, s19
	s_cbranch_vccz .LBB46_688
; %bb.684:
	v_cmp_eq_u16_e32 vcc_lo, 44, v4
	s_mov_b32 s0, -1
	s_cbranch_vccz .LBB46_688
; %bb.685:
	v_bfe_i32 v5, v3, 0, 16
	v_mov_b32_e32 v6, 0xff
	s_mov_b32 s18, exec_lo
	s_delay_alu instid0(VALU_DEP_2) | instskip(NEXT) | instid1(VALU_DEP_1)
	v_cvt_f32_i32_e32 v5, v5
	v_bfe_u32 v7, v5, 23, 8
	s_delay_alu instid0(VALU_DEP_1)
	v_cmpx_ne_u32_e32 0xff, v7
; %bb.686:
	v_and_b32_e32 v6, 0x400000, v5
	v_and_or_b32 v7, 0x3fffff, v5, v7
	v_lshrrev_b32_e32 v5, 23, v5
	s_delay_alu instid0(VALU_DEP_3) | instskip(NEXT) | instid1(VALU_DEP_3)
	v_cmp_ne_u32_e32 vcc_lo, 0, v6
	v_cmp_ne_u32_e64 s0, 0, v7
	s_delay_alu instid0(VALU_DEP_1) | instskip(NEXT) | instid1(SALU_CYCLE_1)
	s_and_b32 s0, vcc_lo, s0
	v_cndmask_b32_e64 v6, 0, 1, s0
	s_delay_alu instid0(VALU_DEP_1)
	v_add_nc_u32_e32 v6, v5, v6
; %bb.687:
	s_or_b32 exec_lo, exec_lo, s18
	s_mov_b32 s18, -1
	s_mov_b32 s0, 0
	global_store_b8 v[1:2], v6, off
.LBB46_688:
	s_mov_b32 s19, 0
.LBB46_689:
	s_delay_alu instid0(SALU_CYCLE_1)
	s_and_b32 vcc_lo, exec_lo, s19
	s_cbranch_vccz .LBB46_692
; %bb.690:
	v_cmp_eq_u16_e32 vcc_lo, 29, v4
	s_mov_b32 s0, -1
	s_cbranch_vccz .LBB46_692
; %bb.691:
	v_bfe_i32 v5, v3, 0, 16
	s_mov_b32 s0, 0
	s_mov_b32 s18, -1
	s_mov_b32 s19, 0
	s_delay_alu instid0(VALU_DEP_1)
	v_ashrrev_i32_e32 v6, 31, v5
	global_store_b64 v[1:2], v[5:6], off
	s_branch .LBB46_693
.LBB46_692:
	s_mov_b32 s19, 0
.LBB46_693:
	s_delay_alu instid0(SALU_CYCLE_1)
	s_and_b32 vcc_lo, exec_lo, s19
	s_cbranch_vccz .LBB46_709
; %bb.694:
	v_cmp_gt_i16_e32 vcc_lo, 27, v4
	s_mov_b32 s18, -1
	s_cbranch_vccnz .LBB46_700
; %bb.695:
	v_cmp_lt_i16_e32 vcc_lo, 27, v4
	s_cbranch_vccz .LBB46_697
; %bb.696:
	v_bfe_i32 v5, v3, 0, 16
	s_mov_b32 s18, 0
	global_store_b32 v[1:2], v5, off
.LBB46_697:
	s_and_not1_b32 vcc_lo, exec_lo, s18
	s_cbranch_vccnz .LBB46_699
; %bb.698:
	global_store_b16 v[1:2], v3, off
.LBB46_699:
	s_mov_b32 s18, 0
.LBB46_700:
	s_delay_alu instid0(SALU_CYCLE_1)
	s_and_not1_b32 vcc_lo, exec_lo, s18
	s_cbranch_vccnz .LBB46_708
; %bb.701:
	v_bfe_i32 v5, v3, 0, 16
	v_mov_b32_e32 v7, 0x80
	s_mov_b32 s18, exec_lo
	s_delay_alu instid0(VALU_DEP_2) | instskip(NEXT) | instid1(VALU_DEP_1)
	v_cvt_f32_i32_e32 v5, v5
	v_and_b32_e32 v6, 0x7fffffff, v5
	s_delay_alu instid0(VALU_DEP_1)
	v_cmpx_gt_u32_e32 0x43800000, v6
	s_cbranch_execz .LBB46_707
; %bb.702:
	v_cmp_lt_u32_e32 vcc_lo, 0x3bffffff, v6
	s_mov_b32 s19, 0
                                        ; implicit-def: $vgpr6
	s_and_saveexec_b32 s20, vcc_lo
	s_delay_alu instid0(SALU_CYCLE_1)
	s_xor_b32 s20, exec_lo, s20
	s_cbranch_execz .LBB46_768
; %bb.703:
	v_bfe_u32 v6, v5, 20, 1
	s_mov_b32 s19, exec_lo
	s_delay_alu instid0(VALU_DEP_1) | instskip(NEXT) | instid1(VALU_DEP_1)
	v_add3_u32 v6, v5, v6, 0x487ffff
	v_lshrrev_b32_e32 v6, 20, v6
	s_or_saveexec_b32 s20, s20
                                        ; implicit-def: $sgpr21
	s_delay_alu instid0(SALU_CYCLE_1)
	s_xor_b32 exec_lo, exec_lo, s20
	s_cbranch_execnz .LBB46_769
.LBB46_704:
	s_or_b32 exec_lo, exec_lo, s20
	v_mov_b32_e32 v7, s21
	s_and_saveexec_b32 s20, s19
.LBB46_705:
	v_lshrrev_b32_e32 v5, 24, v5
	s_delay_alu instid0(VALU_DEP_1)
	v_and_or_b32 v7, 0x80, v5, v6
.LBB46_706:
	s_or_b32 exec_lo, exec_lo, s20
.LBB46_707:
	s_delay_alu instid0(SALU_CYCLE_1)
	s_or_b32 exec_lo, exec_lo, s18
	global_store_b8 v[1:2], v7, off
.LBB46_708:
	s_mov_b32 s18, -1
.LBB46_709:
	s_mov_b32 s19, 0
.LBB46_710:
	s_delay_alu instid0(SALU_CYCLE_1)
	s_and_b32 vcc_lo, exec_lo, s19
	s_cbranch_vccz .LBB46_751
; %bb.711:
	v_cmp_lt_i16_e32 vcc_lo, 22, v4
	s_mov_b32 s19, -1
	s_cbranch_vccz .LBB46_743
; %bb.712:
	v_cmp_gt_i16_e32 vcc_lo, 24, v4
	s_mov_b32 s18, -1
	s_cbranch_vccnz .LBB46_732
; %bb.713:
	v_cmp_lt_i16_e32 vcc_lo, 24, v4
	s_cbranch_vccz .LBB46_721
; %bb.714:
	v_bfe_i32 v5, v3, 0, 16
	v_mov_b32_e32 v7, 0x80
	s_mov_b32 s18, exec_lo
	s_delay_alu instid0(VALU_DEP_2) | instskip(NEXT) | instid1(VALU_DEP_1)
	v_cvt_f32_i32_e32 v5, v5
	v_and_b32_e32 v6, 0x7fffffff, v5
	s_delay_alu instid0(VALU_DEP_1)
	v_cmpx_gt_u32_e32 0x47800000, v6
	s_cbranch_execz .LBB46_720
; %bb.715:
	v_cmp_lt_u32_e32 vcc_lo, 0x37ffffff, v6
	s_mov_b32 s19, 0
                                        ; implicit-def: $vgpr6
	s_and_saveexec_b32 s20, vcc_lo
	s_delay_alu instid0(SALU_CYCLE_1)
	s_xor_b32 s20, exec_lo, s20
	s_cbranch_execz .LBB46_771
; %bb.716:
	v_bfe_u32 v6, v5, 21, 1
	s_mov_b32 s19, exec_lo
	s_delay_alu instid0(VALU_DEP_1) | instskip(NEXT) | instid1(VALU_DEP_1)
	v_add3_u32 v6, v5, v6, 0x88fffff
	v_lshrrev_b32_e32 v6, 21, v6
	s_or_saveexec_b32 s20, s20
                                        ; implicit-def: $sgpr21
	s_delay_alu instid0(SALU_CYCLE_1)
	s_xor_b32 exec_lo, exec_lo, s20
	s_cbranch_execnz .LBB46_772
.LBB46_717:
	s_or_b32 exec_lo, exec_lo, s20
	v_mov_b32_e32 v7, s21
	s_and_saveexec_b32 s20, s19
.LBB46_718:
	v_lshrrev_b32_e32 v5, 24, v5
	s_delay_alu instid0(VALU_DEP_1)
	v_and_or_b32 v7, 0x80, v5, v6
.LBB46_719:
	s_or_b32 exec_lo, exec_lo, s20
.LBB46_720:
	s_delay_alu instid0(SALU_CYCLE_1)
	s_or_b32 exec_lo, exec_lo, s18
	s_mov_b32 s18, 0
	global_store_b8 v[1:2], v7, off
.LBB46_721:
	s_and_b32 vcc_lo, exec_lo, s18
	s_cbranch_vccz .LBB46_731
; %bb.722:
	v_bfe_i32 v5, v3, 0, 16
	s_mov_b32 s18, exec_lo
                                        ; implicit-def: $vgpr6
	s_delay_alu instid0(VALU_DEP_1) | instskip(NEXT) | instid1(VALU_DEP_1)
	v_cvt_f32_i32_e32 v5, v5
	v_and_b32_e32 v7, 0x7fffffff, v5
	s_delay_alu instid0(VALU_DEP_1)
	v_cmpx_gt_u32_e32 0x43f00000, v7
	s_xor_b32 s18, exec_lo, s18
	s_cbranch_execz .LBB46_728
; %bb.723:
	s_mov_b32 s19, exec_lo
                                        ; implicit-def: $vgpr6
	v_cmpx_lt_u32_e32 0x3c7fffff, v7
	s_xor_b32 s19, exec_lo, s19
; %bb.724:
	v_bfe_u32 v6, v5, 20, 1
	s_delay_alu instid0(VALU_DEP_1) | instskip(NEXT) | instid1(VALU_DEP_1)
	v_add3_u32 v6, v5, v6, 0x407ffff
	v_and_b32_e32 v7, 0xff00000, v6
	v_lshrrev_b32_e32 v6, 20, v6
	s_delay_alu instid0(VALU_DEP_2) | instskip(NEXT) | instid1(VALU_DEP_2)
	v_cmp_ne_u32_e32 vcc_lo, 0x7f00000, v7
	v_cndmask_b32_e32 v6, 0x7e, v6, vcc_lo
; %bb.725:
	s_and_not1_saveexec_b32 s19, s19
; %bb.726:
	v_add_f32_e64 v6, 0x46800000, |v5|
; %bb.727:
	s_or_b32 exec_lo, exec_lo, s19
                                        ; implicit-def: $vgpr7
.LBB46_728:
	s_and_not1_saveexec_b32 s18, s18
; %bb.729:
	v_mov_b32_e32 v6, 0x7f
	v_cmp_lt_u32_e32 vcc_lo, 0x7f800000, v7
	s_delay_alu instid0(VALU_DEP_2)
	v_cndmask_b32_e32 v6, 0x7e, v6, vcc_lo
; %bb.730:
	s_or_b32 exec_lo, exec_lo, s18
	v_lshrrev_b32_e32 v5, 24, v5
	s_delay_alu instid0(VALU_DEP_1)
	v_and_or_b32 v5, 0x80, v5, v6
	global_store_b8 v[1:2], v5, off
.LBB46_731:
	s_mov_b32 s18, 0
.LBB46_732:
	s_delay_alu instid0(SALU_CYCLE_1)
	s_and_not1_b32 vcc_lo, exec_lo, s18
	s_cbranch_vccnz .LBB46_742
; %bb.733:
	v_bfe_i32 v5, v3, 0, 16
	s_mov_b32 s18, exec_lo
                                        ; implicit-def: $vgpr6
	s_delay_alu instid0(VALU_DEP_1) | instskip(NEXT) | instid1(VALU_DEP_1)
	v_cvt_f32_i32_e32 v5, v5
	v_and_b32_e32 v7, 0x7fffffff, v5
	s_delay_alu instid0(VALU_DEP_1)
	v_cmpx_gt_u32_e32 0x47800000, v7
	s_xor_b32 s18, exec_lo, s18
	s_cbranch_execz .LBB46_739
; %bb.734:
	s_mov_b32 s19, exec_lo
                                        ; implicit-def: $vgpr6
	v_cmpx_lt_u32_e32 0x387fffff, v7
	s_xor_b32 s19, exec_lo, s19
; %bb.735:
	v_bfe_u32 v6, v5, 21, 1
	s_delay_alu instid0(VALU_DEP_1) | instskip(NEXT) | instid1(VALU_DEP_1)
	v_add3_u32 v6, v5, v6, 0x80fffff
	v_lshrrev_b32_e32 v6, 21, v6
; %bb.736:
	s_and_not1_saveexec_b32 s19, s19
; %bb.737:
	v_add_f32_e64 v6, 0x43000000, |v5|
; %bb.738:
	s_or_b32 exec_lo, exec_lo, s19
                                        ; implicit-def: $vgpr7
.LBB46_739:
	s_and_not1_saveexec_b32 s18, s18
; %bb.740:
	v_mov_b32_e32 v6, 0x7f
	v_cmp_lt_u32_e32 vcc_lo, 0x7f800000, v7
	s_delay_alu instid0(VALU_DEP_2)
	v_cndmask_b32_e32 v6, 0x7c, v6, vcc_lo
; %bb.741:
	s_or_b32 exec_lo, exec_lo, s18
	v_lshrrev_b32_e32 v5, 24, v5
	s_delay_alu instid0(VALU_DEP_1)
	v_and_or_b32 v5, 0x80, v5, v6
	global_store_b8 v[1:2], v5, off
.LBB46_742:
	s_mov_b32 s19, 0
	s_mov_b32 s18, -1
.LBB46_743:
	s_and_not1_b32 vcc_lo, exec_lo, s19
	s_cbranch_vccnz .LBB46_751
; %bb.744:
	v_cmp_lt_i16_e32 vcc_lo, 14, v4
	s_mov_b32 s19, -1
	s_cbranch_vccz .LBB46_748
; %bb.745:
	v_cmp_eq_u16_e32 vcc_lo, 15, v4
	s_mov_b32 s0, -1
	s_cbranch_vccz .LBB46_747
; %bb.746:
	v_bfe_i32 v5, v3, 0, 16
	s_mov_b32 s18, -1
	s_mov_b32 s0, 0
	s_delay_alu instid0(VALU_DEP_1) | instskip(NEXT) | instid1(VALU_DEP_1)
	v_cvt_f32_i32_e32 v5, v5
	v_bfe_u32 v6, v5, 16, 1
	s_delay_alu instid0(VALU_DEP_1)
	v_add3_u32 v5, v5, v6, 0x7fff
	global_store_d16_hi_b16 v[1:2], v5, off
.LBB46_747:
	s_mov_b32 s19, 0
.LBB46_748:
	s_delay_alu instid0(SALU_CYCLE_1)
	s_and_b32 vcc_lo, exec_lo, s19
	s_cbranch_vccz .LBB46_751
; %bb.749:
	v_cmp_eq_u16_e32 vcc_lo, 11, v4
	s_mov_b32 s0, -1
	s_cbranch_vccz .LBB46_751
; %bb.750:
	v_cmp_ne_u16_e32 vcc_lo, -1, v0
	s_mov_b32 s18, -1
	s_mov_b32 s0, 0
	v_cndmask_b32_e64 v0, 0, 1, vcc_lo
	global_store_b8 v[1:2], v0, off
.LBB46_751:
.LBB46_752:
	s_and_not1_b32 vcc_lo, exec_lo, s18
	s_cbranch_vccnz .LBB46_677
.LBB46_753:
	v_add_nc_u32_e32 v10, 0x80, v10
	s_mov_b32 s19, -1
.LBB46_754:
	s_and_not1_b32 s18, s14, exec_lo
	s_and_b32 s0, s0, exec_lo
	s_and_not1_b32 s20, s13, exec_lo
	s_and_b32 s17, s17, exec_lo
	s_or_b32 s18, s18, s0
	s_or_b32 s17, s20, s17
	s_or_not1_b32 s0, s19, exec_lo
.LBB46_755:
	s_or_b32 exec_lo, exec_lo, s16
	s_mov_b32 s19, 0
	s_mov_b32 s20, 0
	;; [unrolled: 1-line block ×3, first 2 shown]
                                        ; implicit-def: $vgpr2_vgpr3
                                        ; implicit-def: $vgpr0
	s_and_saveexec_b32 s16, s0
	s_cbranch_execz .LBB46_836
; %bb.756:
	v_cmp_gt_i32_e32 vcc_lo, s10, v10
	s_mov_b32 s0, 0
	s_mov_b32 s19, s17
                                        ; implicit-def: $vgpr2_vgpr3
                                        ; implicit-def: $vgpr0
	s_and_saveexec_b32 s10, vcc_lo
	s_cbranch_execz .LBB46_835
; %bb.757:
	s_waitcnt vmcnt(0)
	v_mul_lo_u32 v0, v10, s3
	v_cmp_gt_i16_e32 vcc_lo, 11, v11
	s_delay_alu instid0(VALU_DEP_2) | instskip(SKIP_1) | instid1(VALU_DEP_1)
	v_ashrrev_i32_e32 v1, 31, v0
	v_add_co_u32 v2, s0, s6, v0
	v_add_co_ci_u32_e64 v3, s0, s7, v1, s0
	s_cbranch_vccnz .LBB46_764
; %bb.758:
	v_cmp_lt_i16_e32 vcc_lo, 25, v11
	s_mov_b32 s19, 0
	s_cbranch_vccz .LBB46_765
; %bb.759:
	v_cmp_lt_i16_e32 vcc_lo, 28, v11
	s_cbranch_vccz .LBB46_766
; %bb.760:
	v_cmp_lt_i16_e32 vcc_lo, 43, v11
	;; [unrolled: 3-line block ×3, first 2 shown]
	s_cbranch_vccz .LBB46_770
; %bb.762:
	v_cmp_eq_u16_e32 vcc_lo, 46, v11
	s_cbranch_vccz .LBB46_773
; %bb.763:
	global_load_b32 v0, v[2:3], off
	s_mov_b32 s0, 0
	s_mov_b32 s20, -1
	s_waitcnt vmcnt(0)
	v_lshlrev_b32_e32 v0, 16, v0
	s_delay_alu instid0(VALU_DEP_1)
	v_cvt_i32_f32_e32 v0, v0
	s_branch .LBB46_775
.LBB46_764:
	s_mov_b32 s22, -1
	s_mov_b32 s19, 0
	s_mov_b32 s0, s17
                                        ; implicit-def: $vgpr0
	s_branch .LBB46_834
.LBB46_765:
	s_mov_b32 s21, -1
	s_mov_b32 s0, s17
                                        ; implicit-def: $vgpr0
	s_branch .LBB46_802
.LBB46_766:
	s_mov_b32 s21, -1
	s_mov_b32 s0, s17
                                        ; implicit-def: $vgpr0
	s_branch .LBB46_785
.LBB46_767:
	s_mov_b32 s21, -1
	s_mov_b32 s0, s17
                                        ; implicit-def: $vgpr0
	s_branch .LBB46_780
.LBB46_768:
	s_or_saveexec_b32 s20, s20
                                        ; implicit-def: $sgpr21
	s_delay_alu instid0(SALU_CYCLE_1)
	s_xor_b32 exec_lo, exec_lo, s20
	s_cbranch_execz .LBB46_704
.LBB46_769:
	v_add_f32_e64 v6, 0x46000000, |v5|
	s_and_not1_b32 s19, s19, exec_lo
	s_mov_b32 s21, 0
	s_delay_alu instid0(VALU_DEP_1) | instskip(NEXT) | instid1(VALU_DEP_1)
	v_and_b32_e32 v6, 0xff, v6
	v_cmp_ne_u32_e32 vcc_lo, 0, v6
	s_and_b32 s22, vcc_lo, exec_lo
	s_delay_alu instid0(SALU_CYCLE_1)
	s_or_b32 s19, s19, s22
	s_or_b32 exec_lo, exec_lo, s20
	v_mov_b32_e32 v7, s21
	s_and_saveexec_b32 s20, s19
	s_cbranch_execnz .LBB46_705
	s_branch .LBB46_706
.LBB46_770:
	s_mov_b32 s21, -1
	s_mov_b32 s0, s17
	s_branch .LBB46_774
.LBB46_771:
	s_or_saveexec_b32 s20, s20
                                        ; implicit-def: $sgpr21
	s_delay_alu instid0(SALU_CYCLE_1)
	s_xor_b32 exec_lo, exec_lo, s20
	s_cbranch_execz .LBB46_717
.LBB46_772:
	v_add_f32_e64 v6, 0x42800000, |v5|
	s_and_not1_b32 s19, s19, exec_lo
	s_mov_b32 s21, 0
	s_delay_alu instid0(VALU_DEP_1) | instskip(NEXT) | instid1(VALU_DEP_1)
	v_and_b32_e32 v6, 0xff, v6
	v_cmp_ne_u32_e32 vcc_lo, 0, v6
	s_and_b32 s22, vcc_lo, exec_lo
	s_delay_alu instid0(SALU_CYCLE_1)
	s_or_b32 s19, s19, s22
	s_or_b32 exec_lo, exec_lo, s20
	v_mov_b32_e32 v7, s21
	s_and_saveexec_b32 s20, s19
	s_cbranch_execnz .LBB46_718
	s_branch .LBB46_719
.LBB46_773:
	s_mov_b32 s0, -1
.LBB46_774:
                                        ; implicit-def: $vgpr0
.LBB46_775:
	s_and_b32 vcc_lo, exec_lo, s21
	s_cbranch_vccz .LBB46_779
; %bb.776:
	v_cmp_eq_u16_e32 vcc_lo, 44, v11
	s_cbranch_vccz .LBB46_778
; %bb.777:
	global_load_u8 v0, v[2:3], off
	s_mov_b32 s0, 0
	s_mov_b32 s20, -1
	s_waitcnt vmcnt(0)
	v_lshlrev_b32_e32 v1, 23, v0
	v_cmp_ne_u32_e32 vcc_lo, 0, v0
	s_delay_alu instid0(VALU_DEP_2) | instskip(NEXT) | instid1(VALU_DEP_1)
	v_cvt_i32_f32_e32 v1, v1
	v_cndmask_b32_e32 v0, 0, v1, vcc_lo
	s_branch .LBB46_779
.LBB46_778:
	s_mov_b32 s0, -1
                                        ; implicit-def: $vgpr0
.LBB46_779:
	s_mov_b32 s21, 0
.LBB46_780:
	s_delay_alu instid0(SALU_CYCLE_1)
	s_and_b32 vcc_lo, exec_lo, s21
	s_cbranch_vccz .LBB46_784
; %bb.781:
	v_cmp_eq_u16_e32 vcc_lo, 29, v11
	s_cbranch_vccz .LBB46_783
; %bb.782:
	global_load_b64 v[0:1], v[2:3], off
	s_mov_b32 s0, 0
	s_mov_b32 s20, -1
	s_branch .LBB46_784
.LBB46_783:
	s_mov_b32 s0, -1
                                        ; implicit-def: $vgpr0
.LBB46_784:
	s_mov_b32 s21, 0
.LBB46_785:
	s_delay_alu instid0(SALU_CYCLE_1)
	s_and_b32 vcc_lo, exec_lo, s21
	s_cbranch_vccz .LBB46_801
; %bb.786:
	v_cmp_gt_i16_e32 vcc_lo, 27, v11
	s_cbranch_vccnz .LBB46_789
; %bb.787:
	v_cmp_lt_i16_e32 vcc_lo, 27, v11
	s_cbranch_vccz .LBB46_790
; %bb.788:
	global_load_b32 v0, v[2:3], off
	s_mov_b32 s20, 0
	s_branch .LBB46_791
.LBB46_789:
	s_mov_b32 s20, -1
                                        ; implicit-def: $vgpr0
	s_branch .LBB46_794
.LBB46_790:
	s_mov_b32 s20, -1
                                        ; implicit-def: $vgpr0
.LBB46_791:
	s_delay_alu instid0(SALU_CYCLE_1)
	s_and_not1_b32 vcc_lo, exec_lo, s20
	s_cbranch_vccnz .LBB46_793
; %bb.792:
	global_load_u16 v0, v[2:3], off
.LBB46_793:
	s_mov_b32 s20, 0
.LBB46_794:
	s_delay_alu instid0(SALU_CYCLE_1)
	s_and_not1_b32 vcc_lo, exec_lo, s20
	s_cbranch_vccnz .LBB46_800
; %bb.795:
	global_load_u8 v1, v[2:3], off
	s_mov_b32 s20, 0
	s_mov_b32 s21, exec_lo
                                        ; implicit-def: $sgpr22
	s_waitcnt vmcnt(0)
	v_cmpx_lt_i16_e32 0x7f, v1
	s_xor_b32 s21, exec_lo, s21
	s_cbranch_execz .LBB46_812
; %bb.796:
	v_cmp_ne_u16_e32 vcc_lo, 0x80, v1
	s_mov_b32 s22, 0
	s_and_b32 s20, vcc_lo, exec_lo
	s_or_saveexec_b32 s21, s21
	v_mov_b32_e32 v0, s22
	s_xor_b32 exec_lo, exec_lo, s21
	s_cbranch_execnz .LBB46_813
.LBB46_797:
	s_or_b32 exec_lo, exec_lo, s21
	s_and_saveexec_b32 s21, s20
	s_cbranch_execz .LBB46_799
.LBB46_798:
	v_and_b32_e32 v0, 0xffff, v1
	s_delay_alu instid0(VALU_DEP_1) | instskip(NEXT) | instid1(VALU_DEP_1)
	v_and_b32_e32 v4, 7, v0
	v_clz_i32_u32_e32 v5, v4
	s_delay_alu instid0(VALU_DEP_1) | instskip(NEXT) | instid1(VALU_DEP_1)
	v_min_u32_e32 v5, 32, v5
	v_subrev_nc_u32_e32 v6, 28, v5
	v_sub_nc_u32_e32 v5, 29, v5
	s_delay_alu instid0(VALU_DEP_2) | instskip(SKIP_1) | instid1(VALU_DEP_2)
	v_lshlrev_b32_e32 v6, v6, v0
	v_bfe_u32 v0, v0, 3, 4
	v_and_b32_e32 v6, 7, v6
	s_delay_alu instid0(VALU_DEP_2) | instskip(NEXT) | instid1(VALU_DEP_2)
	v_cmp_eq_u32_e32 vcc_lo, 0, v0
	v_dual_cndmask_b32 v4, v4, v6 :: v_dual_lshlrev_b32 v1, 24, v1
	v_cndmask_b32_e32 v0, v0, v5, vcc_lo
	s_delay_alu instid0(VALU_DEP_2) | instskip(NEXT) | instid1(VALU_DEP_3)
	v_and_b32_e32 v1, 0x80000000, v1
	v_lshlrev_b32_e32 v4, 20, v4
	s_delay_alu instid0(VALU_DEP_3) | instskip(NEXT) | instid1(VALU_DEP_1)
	v_lshl_add_u32 v0, v0, 23, 0x3b800000
	v_or3_b32 v0, v1, v0, v4
	s_delay_alu instid0(VALU_DEP_1)
	v_cvt_i32_f32_e32 v0, v0
.LBB46_799:
	s_or_b32 exec_lo, exec_lo, s21
.LBB46_800:
	s_mov_b32 s20, -1
.LBB46_801:
	s_mov_b32 s21, 0
.LBB46_802:
	s_delay_alu instid0(SALU_CYCLE_1)
	s_and_b32 vcc_lo, exec_lo, s21
	s_cbranch_vccz .LBB46_833
; %bb.803:
	v_cmp_lt_i16_e32 vcc_lo, 22, v11
	s_cbranch_vccz .LBB46_811
; %bb.804:
	v_cmp_gt_i16_e32 vcc_lo, 24, v11
	s_cbranch_vccnz .LBB46_814
; %bb.805:
	v_cmp_lt_i16_e32 vcc_lo, 24, v11
	s_cbranch_vccz .LBB46_815
; %bb.806:
	global_load_u8 v1, v[2:3], off
	s_mov_b32 s20, exec_lo
                                        ; implicit-def: $sgpr21
	s_waitcnt vmcnt(0)
	v_cmpx_lt_i16_e32 0x7f, v1
	s_xor_b32 s20, exec_lo, s20
	s_cbranch_execz .LBB46_827
; %bb.807:
	v_cmp_ne_u16_e32 vcc_lo, 0x80, v1
	s_mov_b32 s21, 0
	s_and_b32 s19, vcc_lo, exec_lo
	s_or_saveexec_b32 s20, s20
	v_mov_b32_e32 v0, s21
	s_xor_b32 exec_lo, exec_lo, s20
	s_cbranch_execnz .LBB46_828
.LBB46_808:
	s_or_b32 exec_lo, exec_lo, s20
	s_and_saveexec_b32 s20, s19
	s_cbranch_execz .LBB46_810
.LBB46_809:
	v_and_b32_e32 v0, 0xffff, v1
	s_delay_alu instid0(VALU_DEP_1) | instskip(NEXT) | instid1(VALU_DEP_1)
	v_and_b32_e32 v4, 3, v0
	v_clz_i32_u32_e32 v5, v4
	s_delay_alu instid0(VALU_DEP_1) | instskip(NEXT) | instid1(VALU_DEP_1)
	v_min_u32_e32 v5, 32, v5
	v_subrev_nc_u32_e32 v6, 29, v5
	v_sub_nc_u32_e32 v5, 30, v5
	s_delay_alu instid0(VALU_DEP_2) | instskip(SKIP_1) | instid1(VALU_DEP_2)
	v_lshlrev_b32_e32 v6, v6, v0
	v_bfe_u32 v0, v0, 2, 5
	v_and_b32_e32 v6, 3, v6
	s_delay_alu instid0(VALU_DEP_2) | instskip(NEXT) | instid1(VALU_DEP_2)
	v_cmp_eq_u32_e32 vcc_lo, 0, v0
	v_dual_cndmask_b32 v4, v4, v6 :: v_dual_lshlrev_b32 v1, 24, v1
	v_cndmask_b32_e32 v0, v0, v5, vcc_lo
	s_delay_alu instid0(VALU_DEP_2) | instskip(NEXT) | instid1(VALU_DEP_3)
	v_and_b32_e32 v1, 0x80000000, v1
	v_lshlrev_b32_e32 v4, 21, v4
	s_delay_alu instid0(VALU_DEP_3) | instskip(NEXT) | instid1(VALU_DEP_1)
	v_lshl_add_u32 v0, v0, 23, 0x37800000
	v_or3_b32 v0, v1, v0, v4
	s_delay_alu instid0(VALU_DEP_1)
	v_cvt_i32_f32_e32 v0, v0
.LBB46_810:
	s_or_b32 exec_lo, exec_lo, s20
	s_mov_b32 s19, 0
	s_branch .LBB46_816
.LBB46_811:
	s_mov_b32 s19, -1
                                        ; implicit-def: $vgpr0
	s_branch .LBB46_822
.LBB46_812:
	s_or_saveexec_b32 s21, s21
	v_mov_b32_e32 v0, s22
	s_xor_b32 exec_lo, exec_lo, s21
	s_cbranch_execz .LBB46_797
.LBB46_813:
	v_cmp_ne_u16_e32 vcc_lo, 0, v1
	v_mov_b32_e32 v0, 0
	s_and_not1_b32 s20, s20, exec_lo
	s_and_b32 s22, vcc_lo, exec_lo
	s_delay_alu instid0(SALU_CYCLE_1)
	s_or_b32 s20, s20, s22
	s_or_b32 exec_lo, exec_lo, s21
	s_and_saveexec_b32 s21, s20
	s_cbranch_execnz .LBB46_798
	s_branch .LBB46_799
.LBB46_814:
	s_mov_b32 s19, -1
                                        ; implicit-def: $vgpr0
	s_branch .LBB46_819
.LBB46_815:
	s_mov_b32 s19, -1
                                        ; implicit-def: $vgpr0
.LBB46_816:
	s_delay_alu instid0(SALU_CYCLE_1)
	s_and_b32 vcc_lo, exec_lo, s19
	s_cbranch_vccz .LBB46_818
; %bb.817:
	global_load_u8 v0, v[2:3], off
	s_waitcnt vmcnt(0)
	v_lshlrev_b32_e32 v0, 24, v0
	s_delay_alu instid0(VALU_DEP_1) | instskip(NEXT) | instid1(VALU_DEP_1)
	v_and_b32_e32 v1, 0x7f000000, v0
	v_clz_i32_u32_e32 v4, v1
	v_cmp_ne_u32_e32 vcc_lo, 0, v1
	v_add_nc_u32_e32 v6, 0x1000000, v1
	s_delay_alu instid0(VALU_DEP_3) | instskip(NEXT) | instid1(VALU_DEP_1)
	v_min_u32_e32 v4, 32, v4
	v_sub_nc_u32_e64 v4, v4, 4 clamp
	s_delay_alu instid0(VALU_DEP_1) | instskip(SKIP_1) | instid1(VALU_DEP_2)
	v_lshlrev_b32_e32 v5, v4, v1
	v_lshlrev_b32_e32 v4, 23, v4
	v_lshrrev_b32_e32 v5, 4, v5
	s_delay_alu instid0(VALU_DEP_1) | instskip(SKIP_1) | instid1(VALU_DEP_2)
	v_sub_nc_u32_e32 v4, v5, v4
	v_ashrrev_i32_e32 v5, 8, v6
	v_add_nc_u32_e32 v4, 0x3c000000, v4
	s_delay_alu instid0(VALU_DEP_1) | instskip(NEXT) | instid1(VALU_DEP_1)
	v_and_or_b32 v4, 0x7f800000, v5, v4
	v_cndmask_b32_e32 v1, 0, v4, vcc_lo
	s_delay_alu instid0(VALU_DEP_1) | instskip(NEXT) | instid1(VALU_DEP_1)
	v_and_or_b32 v0, 0x80000000, v0, v1
	v_cvt_i32_f32_e32 v0, v0
.LBB46_818:
	s_mov_b32 s19, 0
.LBB46_819:
	s_delay_alu instid0(SALU_CYCLE_1)
	s_and_not1_b32 vcc_lo, exec_lo, s19
	s_cbranch_vccnz .LBB46_821
; %bb.820:
	global_load_u8 v0, v[2:3], off
	s_waitcnt vmcnt(0)
	v_lshlrev_b32_e32 v1, 25, v0
	v_lshlrev_b16 v0, 8, v0
	s_delay_alu instid0(VALU_DEP_2) | instskip(NEXT) | instid1(VALU_DEP_2)
	v_lshrrev_b32_e32 v4, 4, v1
	v_and_or_b32 v5, 0x7f00, v0, 0.5
	v_cmp_gt_u32_e32 vcc_lo, 0x8000000, v1
	v_bfe_i32 v0, v0, 0, 16
	s_delay_alu instid0(VALU_DEP_4) | instskip(NEXT) | instid1(VALU_DEP_1)
	v_or_b32_e32 v4, 0x70000000, v4
	v_dual_add_f32 v5, -0.5, v5 :: v_dual_mul_f32 v4, 0x7800000, v4
	s_delay_alu instid0(VALU_DEP_1) | instskip(NEXT) | instid1(VALU_DEP_1)
	v_cndmask_b32_e32 v1, v4, v5, vcc_lo
	v_and_or_b32 v0, 0x80000000, v0, v1
	s_delay_alu instid0(VALU_DEP_1)
	v_cvt_i32_f32_e32 v0, v0
.LBB46_821:
	s_mov_b32 s19, 0
	s_mov_b32 s20, -1
.LBB46_822:
	s_and_not1_b32 vcc_lo, exec_lo, s19
	s_mov_b32 s19, 0
	s_cbranch_vccnz .LBB46_833
; %bb.823:
	v_cmp_lt_i16_e32 vcc_lo, 14, v11
	s_cbranch_vccz .LBB46_826
; %bb.824:
	v_cmp_eq_u16_e32 vcc_lo, 15, v11
	s_cbranch_vccz .LBB46_829
; %bb.825:
	global_load_u16 v0, v[2:3], off
	s_mov_b32 s0, 0
	s_mov_b32 s20, -1
	s_waitcnt vmcnt(0)
	v_lshlrev_b32_e32 v0, 16, v0
	s_delay_alu instid0(VALU_DEP_1)
	v_cvt_i32_f32_e32 v0, v0
	s_branch .LBB46_831
.LBB46_826:
	s_mov_b32 s19, -1
	s_branch .LBB46_830
.LBB46_827:
	s_or_saveexec_b32 s20, s20
	v_mov_b32_e32 v0, s21
	s_xor_b32 exec_lo, exec_lo, s20
	s_cbranch_execz .LBB46_808
.LBB46_828:
	v_cmp_ne_u16_e32 vcc_lo, 0, v1
	v_mov_b32_e32 v0, 0
	s_and_not1_b32 s19, s19, exec_lo
	s_and_b32 s21, vcc_lo, exec_lo
	s_delay_alu instid0(SALU_CYCLE_1)
	s_or_b32 s19, s19, s21
	s_or_b32 exec_lo, exec_lo, s20
	s_and_saveexec_b32 s20, s19
	s_cbranch_execnz .LBB46_809
	s_branch .LBB46_810
.LBB46_829:
	s_mov_b32 s0, -1
.LBB46_830:
                                        ; implicit-def: $vgpr0
.LBB46_831:
	s_and_b32 vcc_lo, exec_lo, s19
	s_mov_b32 s19, 0
	s_cbranch_vccz .LBB46_833
; %bb.832:
	v_cmp_ne_u16_e32 vcc_lo, 11, v11
	s_and_not1_b32 s0, s0, exec_lo
	s_mov_b32 s19, -1
                                        ; implicit-def: $vgpr0
	s_and_b32 s21, vcc_lo, exec_lo
	s_delay_alu instid0(SALU_CYCLE_1)
	s_or_b32 s0, s0, s21
.LBB46_833:
	s_mov_b32 s22, 0
.LBB46_834:
	s_and_b32 s21, s20, exec_lo
	s_and_b32 s20, s22, exec_lo
	s_and_not1_b32 s22, s17, exec_lo
	s_and_b32 s23, s0, exec_lo
	s_and_b32 s0, s19, exec_lo
	s_or_b32 s19, s22, s23
.LBB46_835:
	s_or_b32 exec_lo, exec_lo, s10
	s_delay_alu instid0(SALU_CYCLE_1)
	s_and_not1_b32 s10, s17, exec_lo
	s_and_b32 s17, s19, exec_lo
	s_and_b32 s21, s21, exec_lo
	;; [unrolled: 1-line block ×4, first 2 shown]
	s_or_b32 s17, s10, s17
.LBB46_836:
	s_or_b32 exec_lo, exec_lo, s16
	s_delay_alu instid0(SALU_CYCLE_1)
	s_and_not1_b32 s0, s14, exec_lo
	s_and_b32 s10, s18, exec_lo
	s_and_b32 s18, s20, exec_lo
	s_or_b32 s14, s0, s10
	s_and_not1_b32 s10, s13, exec_lo
	s_and_b32 s13, s17, exec_lo
	s_and_b32 s0, s21, exec_lo
	;; [unrolled: 1-line block ×3, first 2 shown]
	s_or_b32 s13, s10, s13
.LBB46_837:
	s_or_b32 exec_lo, exec_lo, s15
	s_delay_alu instid0(SALU_CYCLE_1)
	s_and_not1_b32 s9, s9, exec_lo
	s_and_b32 s10, s14, exec_lo
	s_and_b32 s0, s0, exec_lo
	s_or_b32 s9, s9, s10
	s_and_not1_b32 s10, s11, exec_lo
	s_and_b32 s11, s13, exec_lo
	s_and_b32 s14, s18, exec_lo
	;; [unrolled: 1-line block ×3, first 2 shown]
	s_or_b32 s11, s10, s11
.LBB46_838:
	s_or_b32 exec_lo, exec_lo, s12
	s_mov_b32 s10, 0
	s_and_saveexec_b32 s12, s11
	s_cbranch_execnz .LBB46_850
; %bb.839:
	s_or_b32 exec_lo, exec_lo, s12
	s_and_saveexec_b32 s11, s13
	s_delay_alu instid0(SALU_CYCLE_1)
	s_xor_b32 s11, exec_lo, s11
	s_cbranch_execz .LBB46_841
.LBB46_840:
	global_load_u8 v0, v[2:3], off
	s_or_b32 s0, s0, exec_lo
	s_waitcnt vmcnt(0)
	v_cmp_ne_u16_e32 vcc_lo, 0, v0
	v_cndmask_b32_e64 v0, 0, 1, vcc_lo
.LBB46_841:
	s_or_b32 exec_lo, exec_lo, s11
	s_and_saveexec_b32 s11, s14
	s_cbranch_execz .LBB46_889
; %bb.842:
	v_cmp_gt_i16_e32 vcc_lo, 5, v11
	s_cbranch_vccnz .LBB46_847
; %bb.843:
	v_cmp_gt_i16_e32 vcc_lo, 8, v11
	s_cbranch_vccnz .LBB46_848
	;; [unrolled: 3-line block ×3, first 2 shown]
; %bb.845:
	v_cmp_lt_i16_e32 vcc_lo, 9, v11
	s_cbranch_vccz .LBB46_852
; %bb.846:
	global_load_b64 v[0:1], v[2:3], off
	s_mov_b32 s12, 0
	s_waitcnt vmcnt(0)
	v_cvt_i32_f64_e32 v0, v[0:1]
	s_branch .LBB46_853
.LBB46_847:
                                        ; implicit-def: $vgpr0
	s_branch .LBB46_870
.LBB46_848:
                                        ; implicit-def: $vgpr0
	s_branch .LBB46_859
.LBB46_849:
	s_mov_b32 s12, -1
                                        ; implicit-def: $vgpr0
	s_branch .LBB46_856
.LBB46_850:
	s_cbranch_execnz .LBB46_1068
; %bb.851:
	s_mov_b32 s10, exec_lo
	s_and_not1_b32 s13, s13, exec_lo
                                        ; implicit-def: $vgpr0
	s_or_b32 exec_lo, exec_lo, s12
	s_and_saveexec_b32 s11, s13
	s_delay_alu instid0(SALU_CYCLE_1)
	s_xor_b32 s11, exec_lo, s11
	s_cbranch_execnz .LBB46_840
	s_branch .LBB46_841
.LBB46_852:
	s_mov_b32 s12, -1
                                        ; implicit-def: $vgpr0
.LBB46_853:
	s_delay_alu instid0(SALU_CYCLE_1)
	s_and_not1_b32 vcc_lo, exec_lo, s12
	s_cbranch_vccnz .LBB46_855
; %bb.854:
	global_load_b32 v0, v[2:3], off
	s_waitcnt vmcnt(0)
	v_cvt_i32_f32_e32 v0, v0
.LBB46_855:
	s_mov_b32 s12, 0
.LBB46_856:
	s_delay_alu instid0(SALU_CYCLE_1)
	s_and_not1_b32 vcc_lo, exec_lo, s12
	s_cbranch_vccnz .LBB46_858
; %bb.857:
	global_load_b32 v0, v[2:3], off
	s_waitcnt vmcnt(0)
	v_cvt_i16_f16_e32 v0, v0
.LBB46_858:
	s_cbranch_execnz .LBB46_869
.LBB46_859:
	v_cmp_gt_i16_e32 vcc_lo, 6, v11
	s_cbranch_vccnz .LBB46_862
; %bb.860:
	v_cmp_lt_i16_e32 vcc_lo, 6, v11
	s_cbranch_vccz .LBB46_863
; %bb.861:
	global_load_b64 v[0:1], v[2:3], off
	s_mov_b32 s12, 0
	s_waitcnt vmcnt(0)
	v_cvt_i32_f64_e32 v0, v[0:1]
	s_branch .LBB46_864
.LBB46_862:
	s_mov_b32 s12, -1
                                        ; implicit-def: $vgpr0
	s_branch .LBB46_867
.LBB46_863:
	s_mov_b32 s12, -1
                                        ; implicit-def: $vgpr0
.LBB46_864:
	s_delay_alu instid0(SALU_CYCLE_1)
	s_and_not1_b32 vcc_lo, exec_lo, s12
	s_cbranch_vccnz .LBB46_866
; %bb.865:
	global_load_b32 v0, v[2:3], off
	s_waitcnt vmcnt(0)
	v_cvt_i32_f32_e32 v0, v0
.LBB46_866:
	s_mov_b32 s12, 0
.LBB46_867:
	s_delay_alu instid0(SALU_CYCLE_1)
	s_and_not1_b32 vcc_lo, exec_lo, s12
	s_cbranch_vccnz .LBB46_869
; %bb.868:
	global_load_u16 v0, v[2:3], off
	s_waitcnt vmcnt(0)
	v_cvt_i16_f16_e32 v0, v0
.LBB46_869:
	s_cbranch_execnz .LBB46_888
.LBB46_870:
	v_cmp_gt_i16_e32 vcc_lo, 2, v11
	s_cbranch_vccnz .LBB46_874
; %bb.871:
	v_cmp_gt_i16_e32 vcc_lo, 3, v11
	s_cbranch_vccnz .LBB46_875
; %bb.872:
	v_cmp_lt_i16_e32 vcc_lo, 3, v11
	s_cbranch_vccz .LBB46_876
; %bb.873:
	global_load_b64 v[0:1], v[2:3], off
	s_mov_b32 s12, 0
	s_branch .LBB46_877
.LBB46_874:
                                        ; implicit-def: $vgpr0
	s_branch .LBB46_883
.LBB46_875:
	s_mov_b32 s12, -1
                                        ; implicit-def: $vgpr0
	s_branch .LBB46_880
.LBB46_876:
	s_mov_b32 s12, -1
                                        ; implicit-def: $vgpr0
.LBB46_877:
	s_delay_alu instid0(SALU_CYCLE_1)
	s_and_not1_b32 vcc_lo, exec_lo, s12
	s_cbranch_vccnz .LBB46_879
; %bb.878:
	global_load_b32 v0, v[2:3], off
.LBB46_879:
	s_mov_b32 s12, 0
.LBB46_880:
	s_delay_alu instid0(SALU_CYCLE_1)
	s_and_not1_b32 vcc_lo, exec_lo, s12
	s_cbranch_vccnz .LBB46_882
; %bb.881:
	global_load_u16 v0, v[2:3], off
.LBB46_882:
	s_cbranch_execnz .LBB46_888
.LBB46_883:
	v_cmp_lt_i16_e32 vcc_lo, 0, v11
	s_mov_b32 s12, 0
	s_cbranch_vccz .LBB46_885
; %bb.884:
	global_load_i8 v0, v[2:3], off
	s_branch .LBB46_886
.LBB46_885:
	s_mov_b32 s12, -1
                                        ; implicit-def: $vgpr0
.LBB46_886:
	s_delay_alu instid0(SALU_CYCLE_1)
	s_and_not1_b32 vcc_lo, exec_lo, s12
	s_cbranch_vccnz .LBB46_888
; %bb.887:
	global_load_u8 v0, v[2:3], off
.LBB46_888:
	s_or_b32 s0, s0, exec_lo
.LBB46_889:
	s_or_b32 exec_lo, exec_lo, s11
	s_mov_b32 s13, 0
	s_mov_b32 s12, 0
                                        ; implicit-def: $vgpr4
                                        ; implicit-def: $vgpr1_vgpr2
                                        ; implicit-def: $vgpr3
	s_and_saveexec_b32 s11, s0
	s_cbranch_execz .LBB46_966
; %bb.890:
	s_waitcnt vmcnt(0)
	v_mul_lo_u32 v1, v10, s2
	v_and_b32_e32 v4, 0xff, v9
	s_delay_alu instid0(VALU_DEP_3) | instskip(SKIP_1) | instid1(VALU_DEP_2)
	v_xor_b32_e32 v3, -1, v0
	s_mov_b32 s12, -1
	v_cmp_gt_i16_e32 vcc_lo, 11, v4
	s_delay_alu instid0(VALU_DEP_4) | instskip(SKIP_1) | instid1(VALU_DEP_1)
	v_ashrrev_i32_e32 v2, 31, v1
	v_add_co_u32 v1, s0, s4, v1
	v_add_co_ci_u32_e64 v2, s0, s5, v2, s0
	s_mov_b32 s0, s9
	s_cbranch_vccnz .LBB46_965
; %bb.891:
	v_cmp_lt_i16_e32 vcc_lo, 25, v4
	s_mov_b32 s0, s9
	s_cbranch_vccz .LBB46_924
; %bb.892:
	v_cmp_lt_i16_e32 vcc_lo, 28, v4
	s_mov_b32 s0, s9
	s_cbranch_vccz .LBB46_908
	;; [unrolled: 4-line block ×4, first 2 shown]
; %bb.895:
	v_cmp_eq_u16_e32 vcc_lo, 46, v4
	s_mov_b32 s0, -1
	s_cbranch_vccz .LBB46_897
; %bb.896:
	v_bfe_i32 v5, v3, 0, 16
	s_mov_b32 s0, 0
	s_delay_alu instid0(VALU_DEP_1) | instskip(NEXT) | instid1(VALU_DEP_1)
	v_cvt_f32_i32_e32 v5, v5
	v_bfe_u32 v6, v5, 16, 1
	s_delay_alu instid0(VALU_DEP_1) | instskip(NEXT) | instid1(VALU_DEP_1)
	v_add3_u32 v5, v5, v6, 0x7fff
	v_lshrrev_b32_e32 v5, 16, v5
	global_store_b32 v[1:2], v5, off
.LBB46_897:
	s_mov_b32 s12, 0
.LBB46_898:
	s_delay_alu instid0(SALU_CYCLE_1)
	s_and_b32 vcc_lo, exec_lo, s12
	s_cbranch_vccz .LBB46_903
; %bb.899:
	v_cmp_eq_u16_e32 vcc_lo, 44, v4
	s_mov_b32 s0, -1
	s_cbranch_vccz .LBB46_903
; %bb.900:
	v_bfe_i32 v5, v3, 0, 16
	v_mov_b32_e32 v6, 0xff
	s_mov_b32 s12, exec_lo
	s_delay_alu instid0(VALU_DEP_2) | instskip(NEXT) | instid1(VALU_DEP_1)
	v_cvt_f32_i32_e32 v5, v5
	v_bfe_u32 v7, v5, 23, 8
	s_delay_alu instid0(VALU_DEP_1)
	v_cmpx_ne_u32_e32 0xff, v7
; %bb.901:
	v_and_b32_e32 v6, 0x400000, v5
	v_and_or_b32 v7, 0x3fffff, v5, v7
	v_lshrrev_b32_e32 v5, 23, v5
	s_delay_alu instid0(VALU_DEP_3) | instskip(NEXT) | instid1(VALU_DEP_3)
	v_cmp_ne_u32_e32 vcc_lo, 0, v6
	v_cmp_ne_u32_e64 s0, 0, v7
	s_delay_alu instid0(VALU_DEP_1) | instskip(NEXT) | instid1(SALU_CYCLE_1)
	s_and_b32 s0, vcc_lo, s0
	v_cndmask_b32_e64 v6, 0, 1, s0
	s_delay_alu instid0(VALU_DEP_1)
	v_add_nc_u32_e32 v6, v5, v6
; %bb.902:
	s_or_b32 exec_lo, exec_lo, s12
	s_mov_b32 s0, 0
	global_store_b8 v[1:2], v6, off
.LBB46_903:
	s_mov_b32 s12, 0
.LBB46_904:
	s_delay_alu instid0(SALU_CYCLE_1)
	s_and_b32 vcc_lo, exec_lo, s12
	s_cbranch_vccz .LBB46_907
; %bb.905:
	v_cmp_eq_u16_e32 vcc_lo, 29, v4
	s_mov_b32 s0, -1
	s_cbranch_vccz .LBB46_907
; %bb.906:
	v_bfe_i32 v5, v3, 0, 16
	s_mov_b32 s0, 0
	s_delay_alu instid0(VALU_DEP_1)
	v_ashrrev_i32_e32 v6, 31, v5
	global_store_b64 v[1:2], v[5:6], off
.LBB46_907:
	s_mov_b32 s12, 0
.LBB46_908:
	s_delay_alu instid0(SALU_CYCLE_1)
	s_and_b32 vcc_lo, exec_lo, s12
	s_cbranch_vccz .LBB46_923
; %bb.909:
	v_cmp_gt_i16_e32 vcc_lo, 27, v4
	s_mov_b32 s12, -1
	s_cbranch_vccnz .LBB46_915
; %bb.910:
	v_cmp_lt_i16_e32 vcc_lo, 27, v4
	s_cbranch_vccz .LBB46_912
; %bb.911:
	v_bfe_i32 v5, v3, 0, 16
	s_mov_b32 s12, 0
	global_store_b32 v[1:2], v5, off
.LBB46_912:
	s_and_not1_b32 vcc_lo, exec_lo, s12
	s_cbranch_vccnz .LBB46_914
; %bb.913:
	global_store_b16 v[1:2], v3, off
.LBB46_914:
	s_mov_b32 s12, 0
.LBB46_915:
	s_delay_alu instid0(SALU_CYCLE_1)
	s_and_not1_b32 vcc_lo, exec_lo, s12
	s_cbranch_vccnz .LBB46_923
; %bb.916:
	v_bfe_i32 v5, v3, 0, 16
	v_mov_b32_e32 v7, 0x80
	s_mov_b32 s12, exec_lo
	s_delay_alu instid0(VALU_DEP_2) | instskip(NEXT) | instid1(VALU_DEP_1)
	v_cvt_f32_i32_e32 v5, v5
	v_and_b32_e32 v6, 0x7fffffff, v5
	s_delay_alu instid0(VALU_DEP_1)
	v_cmpx_gt_u32_e32 0x43800000, v6
	s_cbranch_execz .LBB46_922
; %bb.917:
	v_cmp_lt_u32_e32 vcc_lo, 0x3bffffff, v6
                                        ; implicit-def: $vgpr6
	s_and_saveexec_b32 s14, vcc_lo
	s_delay_alu instid0(SALU_CYCLE_1)
	s_xor_b32 s14, exec_lo, s14
	s_cbranch_execz .LBB46_1154
; %bb.918:
	v_bfe_u32 v6, v5, 20, 1
	s_mov_b32 s13, exec_lo
	s_delay_alu instid0(VALU_DEP_1) | instskip(NEXT) | instid1(VALU_DEP_1)
	v_add3_u32 v6, v5, v6, 0x487ffff
	v_lshrrev_b32_e32 v6, 20, v6
	s_or_saveexec_b32 s14, s14
                                        ; implicit-def: $sgpr15
	s_delay_alu instid0(SALU_CYCLE_1)
	s_xor_b32 exec_lo, exec_lo, s14
	s_cbranch_execnz .LBB46_1155
.LBB46_919:
	s_or_b32 exec_lo, exec_lo, s14
	v_mov_b32_e32 v7, s15
	s_and_saveexec_b32 s14, s13
.LBB46_920:
	v_lshrrev_b32_e32 v5, 24, v5
	s_delay_alu instid0(VALU_DEP_1)
	v_and_or_b32 v7, 0x80, v5, v6
.LBB46_921:
	s_or_b32 exec_lo, exec_lo, s14
.LBB46_922:
	s_delay_alu instid0(SALU_CYCLE_1)
	s_or_b32 exec_lo, exec_lo, s12
	global_store_b8 v[1:2], v7, off
.LBB46_923:
	s_mov_b32 s12, 0
.LBB46_924:
	s_delay_alu instid0(SALU_CYCLE_1)
	s_and_b32 vcc_lo, exec_lo, s12
	s_mov_b32 s12, 0
	s_cbranch_vccz .LBB46_964
; %bb.925:
	v_cmp_lt_i16_e32 vcc_lo, 22, v4
	s_mov_b32 s13, -1
	s_cbranch_vccz .LBB46_957
; %bb.926:
	v_cmp_gt_i16_e32 vcc_lo, 24, v4
	s_cbranch_vccnz .LBB46_946
; %bb.927:
	v_cmp_lt_i16_e32 vcc_lo, 24, v4
	s_cbranch_vccz .LBB46_935
; %bb.928:
	v_bfe_i32 v5, v3, 0, 16
	v_mov_b32_e32 v7, 0x80
	s_mov_b32 s13, exec_lo
	s_delay_alu instid0(VALU_DEP_2) | instskip(NEXT) | instid1(VALU_DEP_1)
	v_cvt_f32_i32_e32 v5, v5
	v_and_b32_e32 v6, 0x7fffffff, v5
	s_delay_alu instid0(VALU_DEP_1)
	v_cmpx_gt_u32_e32 0x47800000, v6
	s_cbranch_execz .LBB46_934
; %bb.929:
	v_cmp_lt_u32_e32 vcc_lo, 0x37ffffff, v6
	s_mov_b32 s14, 0
                                        ; implicit-def: $vgpr6
	s_and_saveexec_b32 s15, vcc_lo
	s_delay_alu instid0(SALU_CYCLE_1)
	s_xor_b32 s15, exec_lo, s15
	s_cbranch_execz .LBB46_1198
; %bb.930:
	v_bfe_u32 v6, v5, 21, 1
	s_mov_b32 s14, exec_lo
	s_delay_alu instid0(VALU_DEP_1) | instskip(NEXT) | instid1(VALU_DEP_1)
	v_add3_u32 v6, v5, v6, 0x88fffff
	v_lshrrev_b32_e32 v6, 21, v6
	s_or_saveexec_b32 s15, s15
                                        ; implicit-def: $sgpr16
	s_delay_alu instid0(SALU_CYCLE_1)
	s_xor_b32 exec_lo, exec_lo, s15
	s_cbranch_execnz .LBB46_1199
.LBB46_931:
	s_or_b32 exec_lo, exec_lo, s15
	v_mov_b32_e32 v7, s16
	s_and_saveexec_b32 s15, s14
.LBB46_932:
	v_lshrrev_b32_e32 v5, 24, v5
	s_delay_alu instid0(VALU_DEP_1)
	v_and_or_b32 v7, 0x80, v5, v6
.LBB46_933:
	s_or_b32 exec_lo, exec_lo, s15
.LBB46_934:
	s_delay_alu instid0(SALU_CYCLE_1)
	s_or_b32 exec_lo, exec_lo, s13
	s_mov_b32 s13, 0
	global_store_b8 v[1:2], v7, off
.LBB46_935:
	s_and_b32 vcc_lo, exec_lo, s13
	s_cbranch_vccz .LBB46_945
; %bb.936:
	v_bfe_i32 v5, v3, 0, 16
	s_mov_b32 s13, exec_lo
                                        ; implicit-def: $vgpr6
	s_delay_alu instid0(VALU_DEP_1) | instskip(NEXT) | instid1(VALU_DEP_1)
	v_cvt_f32_i32_e32 v5, v5
	v_and_b32_e32 v7, 0x7fffffff, v5
	s_delay_alu instid0(VALU_DEP_1)
	v_cmpx_gt_u32_e32 0x43f00000, v7
	s_xor_b32 s13, exec_lo, s13
	s_cbranch_execz .LBB46_942
; %bb.937:
	s_mov_b32 s14, exec_lo
                                        ; implicit-def: $vgpr6
	v_cmpx_lt_u32_e32 0x3c7fffff, v7
	s_xor_b32 s14, exec_lo, s14
; %bb.938:
	v_bfe_u32 v6, v5, 20, 1
	s_delay_alu instid0(VALU_DEP_1) | instskip(NEXT) | instid1(VALU_DEP_1)
	v_add3_u32 v6, v5, v6, 0x407ffff
	v_and_b32_e32 v7, 0xff00000, v6
	v_lshrrev_b32_e32 v6, 20, v6
	s_delay_alu instid0(VALU_DEP_2) | instskip(NEXT) | instid1(VALU_DEP_2)
	v_cmp_ne_u32_e32 vcc_lo, 0x7f00000, v7
	v_cndmask_b32_e32 v6, 0x7e, v6, vcc_lo
; %bb.939:
	s_and_not1_saveexec_b32 s14, s14
; %bb.940:
	v_add_f32_e64 v6, 0x46800000, |v5|
; %bb.941:
	s_or_b32 exec_lo, exec_lo, s14
                                        ; implicit-def: $vgpr7
.LBB46_942:
	s_and_not1_saveexec_b32 s13, s13
; %bb.943:
	v_mov_b32_e32 v6, 0x7f
	v_cmp_lt_u32_e32 vcc_lo, 0x7f800000, v7
	s_delay_alu instid0(VALU_DEP_2)
	v_cndmask_b32_e32 v6, 0x7e, v6, vcc_lo
; %bb.944:
	s_or_b32 exec_lo, exec_lo, s13
	v_lshrrev_b32_e32 v5, 24, v5
	s_delay_alu instid0(VALU_DEP_1)
	v_and_or_b32 v5, 0x80, v5, v6
	global_store_b8 v[1:2], v5, off
.LBB46_945:
	s_mov_b32 s13, 0
.LBB46_946:
	s_delay_alu instid0(SALU_CYCLE_1)
	s_and_not1_b32 vcc_lo, exec_lo, s13
	s_cbranch_vccnz .LBB46_956
; %bb.947:
	v_bfe_i32 v5, v3, 0, 16
	s_mov_b32 s13, exec_lo
                                        ; implicit-def: $vgpr6
	s_delay_alu instid0(VALU_DEP_1) | instskip(NEXT) | instid1(VALU_DEP_1)
	v_cvt_f32_i32_e32 v5, v5
	v_and_b32_e32 v7, 0x7fffffff, v5
	s_delay_alu instid0(VALU_DEP_1)
	v_cmpx_gt_u32_e32 0x47800000, v7
	s_xor_b32 s13, exec_lo, s13
	s_cbranch_execz .LBB46_953
; %bb.948:
	s_mov_b32 s14, exec_lo
                                        ; implicit-def: $vgpr6
	v_cmpx_lt_u32_e32 0x387fffff, v7
	s_xor_b32 s14, exec_lo, s14
; %bb.949:
	v_bfe_u32 v6, v5, 21, 1
	s_delay_alu instid0(VALU_DEP_1) | instskip(NEXT) | instid1(VALU_DEP_1)
	v_add3_u32 v6, v5, v6, 0x80fffff
	v_lshrrev_b32_e32 v6, 21, v6
; %bb.950:
	s_and_not1_saveexec_b32 s14, s14
; %bb.951:
	v_add_f32_e64 v6, 0x43000000, |v5|
; %bb.952:
	s_or_b32 exec_lo, exec_lo, s14
                                        ; implicit-def: $vgpr7
.LBB46_953:
	s_and_not1_saveexec_b32 s13, s13
; %bb.954:
	v_mov_b32_e32 v6, 0x7f
	v_cmp_lt_u32_e32 vcc_lo, 0x7f800000, v7
	s_delay_alu instid0(VALU_DEP_2)
	v_cndmask_b32_e32 v6, 0x7c, v6, vcc_lo
; %bb.955:
	s_or_b32 exec_lo, exec_lo, s13
	v_lshrrev_b32_e32 v5, 24, v5
	s_delay_alu instid0(VALU_DEP_1)
	v_and_or_b32 v5, 0x80, v5, v6
	global_store_b8 v[1:2], v5, off
.LBB46_956:
	s_mov_b32 s13, 0
.LBB46_957:
	s_delay_alu instid0(SALU_CYCLE_1)
	s_and_not1_b32 vcc_lo, exec_lo, s13
	s_mov_b32 s13, 0
	s_cbranch_vccnz .LBB46_965
; %bb.958:
	v_cmp_lt_i16_e32 vcc_lo, 14, v4
	s_mov_b32 s13, -1
	s_cbranch_vccz .LBB46_962
; %bb.959:
	v_cmp_eq_u16_e32 vcc_lo, 15, v4
	s_mov_b32 s0, -1
	s_cbranch_vccz .LBB46_961
; %bb.960:
	v_bfe_i32 v5, v3, 0, 16
	s_mov_b32 s0, 0
	s_delay_alu instid0(VALU_DEP_1) | instskip(NEXT) | instid1(VALU_DEP_1)
	v_cvt_f32_i32_e32 v5, v5
	v_bfe_u32 v6, v5, 16, 1
	s_delay_alu instid0(VALU_DEP_1)
	v_add3_u32 v5, v5, v6, 0x7fff
	global_store_d16_hi_b16 v[1:2], v5, off
.LBB46_961:
	s_mov_b32 s13, 0
.LBB46_962:
	s_delay_alu instid0(SALU_CYCLE_1)
	s_and_b32 vcc_lo, exec_lo, s13
	s_mov_b32 s13, 0
	s_cbranch_vccz .LBB46_965
; %bb.963:
	v_cmp_ne_u16_e32 vcc_lo, 11, v4
	s_and_not1_b32 s0, s0, exec_lo
	s_mov_b32 s13, -1
	s_and_b32 s14, vcc_lo, exec_lo
	s_delay_alu instid0(SALU_CYCLE_1)
	s_or_b32 s0, s0, s14
	s_branch .LBB46_965
.LBB46_964:
	s_mov_b32 s13, 0
.LBB46_965:
	s_and_not1_b32 s9, s9, exec_lo
	s_and_b32 s0, s0, exec_lo
	s_and_b32 s12, s12, exec_lo
	;; [unrolled: 1-line block ×3, first 2 shown]
	s_or_b32 s9, s9, s0
.LBB46_966:
	s_or_b32 exec_lo, exec_lo, s11
	s_and_saveexec_b32 s0, s9
	s_cbranch_execnz .LBB46_1028
; %bb.967:
	s_or_b32 exec_lo, exec_lo, s0
	s_and_saveexec_b32 s0, s13
	s_delay_alu instid0(SALU_CYCLE_1)
	s_xor_b32 s0, exec_lo, s0
	s_cbranch_execz .LBB46_969
.LBB46_968:
	s_waitcnt vmcnt(0)
	s_delay_alu instid0(VALU_DEP_1)
	v_cmp_ne_u16_e32 vcc_lo, -1, v0
	v_cndmask_b32_e64 v0, 0, 1, vcc_lo
	global_store_b8 v[1:2], v0, off
.LBB46_969:
	s_or_b32 exec_lo, exec_lo, s0
	s_and_saveexec_b32 s0, s12
	s_delay_alu instid0(SALU_CYCLE_1)
	s_xor_b32 s0, exec_lo, s0
	s_cbranch_execz .LBB46_1007
; %bb.970:
	v_cmp_gt_i16_e32 vcc_lo, 5, v4
	s_mov_b32 s9, -1
	s_cbranch_vccnz .LBB46_991
; %bb.971:
	v_cmp_gt_i16_e32 vcc_lo, 8, v4
	s_cbranch_vccnz .LBB46_981
; %bb.972:
	v_cmp_gt_i16_e32 vcc_lo, 9, v4
	s_cbranch_vccnz .LBB46_978
; %bb.973:
	v_cmp_lt_i16_e32 vcc_lo, 9, v4
	s_cbranch_vccz .LBB46_975
; %bb.974:
	s_waitcnt vmcnt(0)
	v_bfe_i32 v0, v3, 0, 16
	v_mov_b32_e32 v7, 0
	s_mov_b32 s9, 0
	s_delay_alu instid0(VALU_DEP_2) | instskip(NEXT) | instid1(VALU_DEP_2)
	v_cvt_f64_i32_e32 v[5:6], v0
	v_mov_b32_e32 v8, v7
	global_store_b128 v[1:2], v[5:8], off
.LBB46_975:
	s_and_not1_b32 vcc_lo, exec_lo, s9
	s_cbranch_vccnz .LBB46_977
; %bb.976:
	s_waitcnt vmcnt(0)
	v_bfe_i32 v0, v3, 0, 16
	v_mov_b32_e32 v6, 0
	s_delay_alu instid0(VALU_DEP_2)
	v_cvt_f32_i32_e32 v5, v0
	global_store_b64 v[1:2], v[5:6], off
.LBB46_977:
	s_mov_b32 s9, 0
.LBB46_978:
	s_delay_alu instid0(SALU_CYCLE_1)
	s_and_not1_b32 vcc_lo, exec_lo, s9
	s_cbranch_vccnz .LBB46_980
; %bb.979:
	s_waitcnt vmcnt(0)
	v_cvt_f16_i16_e32 v0, v3
	s_delay_alu instid0(VALU_DEP_1)
	v_and_b32_e32 v0, 0xffff, v0
	global_store_b32 v[1:2], v0, off
.LBB46_980:
	s_mov_b32 s9, 0
.LBB46_981:
	s_delay_alu instid0(SALU_CYCLE_1)
	s_and_not1_b32 vcc_lo, exec_lo, s9
	s_cbranch_vccnz .LBB46_990
; %bb.982:
	v_cmp_gt_i16_e32 vcc_lo, 6, v4
	s_mov_b32 s9, -1
	s_cbranch_vccnz .LBB46_988
; %bb.983:
	v_cmp_lt_i16_e32 vcc_lo, 6, v4
	s_cbranch_vccz .LBB46_985
; %bb.984:
	s_waitcnt vmcnt(0)
	v_bfe_i32 v0, v3, 0, 16
	s_mov_b32 s9, 0
	s_delay_alu instid0(VALU_DEP_1)
	v_cvt_f64_i32_e32 v[5:6], v0
	global_store_b64 v[1:2], v[5:6], off
.LBB46_985:
	s_and_not1_b32 vcc_lo, exec_lo, s9
	s_cbranch_vccnz .LBB46_987
; %bb.986:
	s_waitcnt vmcnt(0)
	v_bfe_i32 v0, v3, 0, 16
	s_delay_alu instid0(VALU_DEP_1)
	v_cvt_f32_i32_e32 v0, v0
	global_store_b32 v[1:2], v0, off
.LBB46_987:
	s_mov_b32 s9, 0
.LBB46_988:
	s_delay_alu instid0(SALU_CYCLE_1)
	s_and_not1_b32 vcc_lo, exec_lo, s9
	s_cbranch_vccnz .LBB46_990
; %bb.989:
	s_waitcnt vmcnt(0)
	v_cvt_f16_i16_e32 v0, v3
	global_store_b16 v[1:2], v0, off
.LBB46_990:
	s_mov_b32 s9, 0
.LBB46_991:
	s_delay_alu instid0(SALU_CYCLE_1)
	s_and_not1_b32 vcc_lo, exec_lo, s9
	s_cbranch_vccnz .LBB46_1007
; %bb.992:
	v_cmp_gt_i16_e32 vcc_lo, 2, v4
	s_mov_b32 s9, -1
	s_cbranch_vccnz .LBB46_1002
; %bb.993:
	v_cmp_gt_i16_e32 vcc_lo, 3, v4
	s_cbranch_vccnz .LBB46_999
; %bb.994:
	v_cmp_lt_i16_e32 vcc_lo, 3, v4
	s_cbranch_vccz .LBB46_996
; %bb.995:
	v_bfe_i32 v5, v3, 0, 16
	s_mov_b32 s9, 0
	s_delay_alu instid0(VALU_DEP_1)
	v_ashrrev_i32_e32 v6, 31, v5
	s_waitcnt vmcnt(0)
	global_store_b64 v[1:2], v[5:6], off
.LBB46_996:
	s_and_not1_b32 vcc_lo, exec_lo, s9
	s_cbranch_vccnz .LBB46_998
; %bb.997:
	s_waitcnt vmcnt(0)
	v_bfe_i32 v0, v3, 0, 16
	global_store_b32 v[1:2], v0, off
.LBB46_998:
	s_mov_b32 s9, 0
.LBB46_999:
	s_delay_alu instid0(SALU_CYCLE_1)
	s_and_not1_b32 vcc_lo, exec_lo, s9
	s_cbranch_vccnz .LBB46_1001
; %bb.1000:
	s_waitcnt vmcnt(0)
	global_store_b16 v[1:2], v3, off
.LBB46_1001:
	s_mov_b32 s9, 0
.LBB46_1002:
	s_delay_alu instid0(SALU_CYCLE_1)
	s_and_not1_b32 vcc_lo, exec_lo, s9
	s_cbranch_vccnz .LBB46_1007
; %bb.1003:
	v_cmp_lt_i16_e32 vcc_lo, 0, v4
	s_mov_b32 s9, -1
	s_cbranch_vccz .LBB46_1005
; %bb.1004:
	s_mov_b32 s9, 0
	s_waitcnt vmcnt(0)
	global_store_b8 v[1:2], v3, off
.LBB46_1005:
	s_and_not1_b32 vcc_lo, exec_lo, s9
	s_cbranch_vccnz .LBB46_1007
; %bb.1006:
	s_waitcnt vmcnt(0)
	global_store_b8 v[1:2], v3, off
.LBB46_1007:
	s_or_b32 exec_lo, exec_lo, s0
	s_delay_alu instid0(SALU_CYCLE_1)
	s_and_b32 s9, s10, exec_lo
                                        ; implicit-def: $vgpr10
                                        ; implicit-def: $vgpr11
                                        ; implicit-def: $vgpr9
.LBB46_1008:
	s_or_saveexec_b32 s8, s8
	s_mov_b32 s0, 0
                                        ; implicit-def: $vgpr12
                                        ; implicit-def: $vgpr1_vgpr2
                                        ; implicit-def: $vgpr3
                                        ; implicit-def: $vgpr0
	s_xor_b32 exec_lo, exec_lo, s8
	s_cbranch_execz .LBB46_1328
; %bb.1009:
	v_mul_lo_u32 v2, s3, v10
	v_cmp_gt_i16_e32 vcc_lo, 11, v11
	s_and_b32 vcc_lo, exec_lo, vcc_lo
	s_waitcnt vmcnt(0)
	s_delay_alu instid0(VALU_DEP_2) | instskip(SKIP_1) | instid1(VALU_DEP_1)
	v_ashrrev_i32_e32 v1, 31, v2
	v_add_co_u32 v0, s0, s6, v2
	v_add_co_ci_u32_e64 v1, s0, s7, v1, s0
	s_cbranch_vccnz .LBB46_1016
; %bb.1010:
	v_cmp_lt_i16_e32 vcc_lo, 25, v11
	s_mov_b32 s10, 0
	s_cbranch_vccz .LBB46_1022
; %bb.1011:
	v_cmp_lt_i16_e32 vcc_lo, 28, v11
	s_cbranch_vccz .LBB46_1024
; %bb.1012:
	v_cmp_lt_i16_e32 vcc_lo, 43, v11
	s_cbranch_vccz .LBB46_1026
; %bb.1013:
	v_cmp_lt_i16_e32 vcc_lo, 45, v11
	s_cbranch_vccz .LBB46_1030
; %bb.1014:
	v_cmp_eq_u16_e32 vcc_lo, 46, v11
	s_cbranch_vccz .LBB46_1072
; %bb.1015:
	global_load_b32 v3, v[0:1], off
	s_mov_b32 s0, 0
	s_mov_b32 s11, -1
	s_waitcnt vmcnt(0)
	v_lshlrev_b32_e32 v3, 16, v3
	s_delay_alu instid0(VALU_DEP_1)
	v_cvt_i32_f32_e32 v6, v3
	s_branch .LBB46_1074
.LBB46_1016:
	s_mov_b32 s11, 0
	s_mov_b32 s1, s9
                                        ; implicit-def: $vgpr6
	s_cbranch_execz .LBB46_1132
; %bb.1017:
	v_cmp_gt_i16_e32 vcc_lo, 5, v11
	s_cbranch_vccnz .LBB46_1023
; %bb.1018:
	v_cmp_gt_i16_e32 vcc_lo, 8, v11
	s_cbranch_vccnz .LBB46_1025
	;; [unrolled: 3-line block ×3, first 2 shown]
; %bb.1020:
	v_cmp_lt_i16_e32 vcc_lo, 9, v11
	s_cbranch_vccz .LBB46_1031
; %bb.1021:
	global_load_b64 v[3:4], v[0:1], off
	s_mov_b32 s0, 0
	s_waitcnt vmcnt(0)
	v_cvt_i32_f64_e32 v6, v[3:4]
	s_branch .LBB46_1032
.LBB46_1022:
	s_mov_b32 s11, 0
	s_mov_b32 s0, 0
                                        ; implicit-def: $vgpr6
	s_cbranch_execnz .LBB46_1099
	s_branch .LBB46_1128
.LBB46_1023:
                                        ; implicit-def: $vgpr6
	s_branch .LBB46_1049
.LBB46_1024:
	s_mov_b32 s11, 0
	s_mov_b32 s0, 0
                                        ; implicit-def: $vgpr6
	s_cbranch_execz .LBB46_1098
	s_branch .LBB46_1083
.LBB46_1025:
                                        ; implicit-def: $vgpr6
	s_branch .LBB46_1038
.LBB46_1026:
	s_mov_b32 s11, 0
	s_mov_b32 s0, 0
                                        ; implicit-def: $vgpr6
	s_cbranch_execnz .LBB46_1079
	s_branch .LBB46_1082
.LBB46_1027:
	s_mov_b32 s0, -1
                                        ; implicit-def: $vgpr6
	s_branch .LBB46_1035
.LBB46_1028:
	s_cbranch_execnz .LBB46_1070
; %bb.1029:
	s_or_b32 s10, s10, exec_lo
	s_and_not1_b32 s13, s13, exec_lo
	s_or_b32 exec_lo, exec_lo, s0
	s_and_saveexec_b32 s0, s13
	s_delay_alu instid0(SALU_CYCLE_1)
	s_xor_b32 s0, exec_lo, s0
	s_cbranch_execnz .LBB46_968
	s_branch .LBB46_969
.LBB46_1030:
	s_mov_b32 s1, -1
	s_mov_b32 s11, 0
	s_mov_b32 s0, 0
	s_branch .LBB46_1073
.LBB46_1031:
	s_mov_b32 s0, -1
                                        ; implicit-def: $vgpr6
.LBB46_1032:
	s_delay_alu instid0(SALU_CYCLE_1)
	s_and_not1_b32 vcc_lo, exec_lo, s0
	s_cbranch_vccnz .LBB46_1034
; %bb.1033:
	global_load_b32 v3, v[0:1], off
	s_waitcnt vmcnt(0)
	v_cvt_i32_f32_e32 v6, v3
.LBB46_1034:
	s_mov_b32 s0, 0
.LBB46_1035:
	s_delay_alu instid0(SALU_CYCLE_1)
	s_and_not1_b32 vcc_lo, exec_lo, s0
	s_cbranch_vccnz .LBB46_1037
; %bb.1036:
	global_load_b32 v3, v[0:1], off
	s_waitcnt vmcnt(0)
	v_cvt_i16_f16_e32 v6, v3
.LBB46_1037:
	s_cbranch_execnz .LBB46_1048
.LBB46_1038:
	v_cmp_gt_i16_e32 vcc_lo, 6, v11
	s_cbranch_vccnz .LBB46_1041
; %bb.1039:
	v_cmp_lt_i16_e32 vcc_lo, 6, v11
	s_cbranch_vccz .LBB46_1042
; %bb.1040:
	global_load_b64 v[3:4], v[0:1], off
	s_mov_b32 s0, 0
	s_waitcnt vmcnt(0)
	v_cvt_i32_f64_e32 v6, v[3:4]
	s_branch .LBB46_1043
.LBB46_1041:
	s_mov_b32 s0, -1
                                        ; implicit-def: $vgpr6
	s_branch .LBB46_1046
.LBB46_1042:
	s_mov_b32 s0, -1
                                        ; implicit-def: $vgpr6
.LBB46_1043:
	s_delay_alu instid0(SALU_CYCLE_1)
	s_and_not1_b32 vcc_lo, exec_lo, s0
	s_cbranch_vccnz .LBB46_1045
; %bb.1044:
	global_load_b32 v3, v[0:1], off
	s_waitcnt vmcnt(0)
	v_cvt_i32_f32_e32 v6, v3
.LBB46_1045:
	s_mov_b32 s0, 0
.LBB46_1046:
	s_delay_alu instid0(SALU_CYCLE_1)
	s_and_not1_b32 vcc_lo, exec_lo, s0
	s_cbranch_vccnz .LBB46_1048
; %bb.1047:
	global_load_u16 v3, v[0:1], off
	s_waitcnt vmcnt(0)
	v_cvt_i16_f16_e32 v6, v3
.LBB46_1048:
	s_cbranch_execnz .LBB46_1067
.LBB46_1049:
	v_cmp_gt_i16_e32 vcc_lo, 2, v11
	s_cbranch_vccnz .LBB46_1053
; %bb.1050:
	v_cmp_gt_i16_e32 vcc_lo, 3, v11
	s_cbranch_vccnz .LBB46_1054
; %bb.1051:
	v_cmp_lt_i16_e32 vcc_lo, 3, v11
	s_cbranch_vccz .LBB46_1055
; %bb.1052:
	global_load_b64 v[6:7], v[0:1], off
	s_mov_b32 s0, 0
	s_branch .LBB46_1056
.LBB46_1053:
                                        ; implicit-def: $vgpr6
	s_branch .LBB46_1062
.LBB46_1054:
	s_mov_b32 s0, -1
                                        ; implicit-def: $vgpr6
	s_branch .LBB46_1059
.LBB46_1055:
	s_mov_b32 s0, -1
                                        ; implicit-def: $vgpr6
.LBB46_1056:
	s_delay_alu instid0(SALU_CYCLE_1)
	s_and_not1_b32 vcc_lo, exec_lo, s0
	s_cbranch_vccnz .LBB46_1058
; %bb.1057:
	global_load_b32 v6, v[0:1], off
.LBB46_1058:
	s_mov_b32 s0, 0
.LBB46_1059:
	s_delay_alu instid0(SALU_CYCLE_1)
	s_and_not1_b32 vcc_lo, exec_lo, s0
	s_cbranch_vccnz .LBB46_1061
; %bb.1060:
	global_load_u16 v6, v[0:1], off
.LBB46_1061:
	s_cbranch_execnz .LBB46_1067
.LBB46_1062:
	v_cmp_lt_i16_e32 vcc_lo, 0, v11
	s_mov_b32 s0, 0
	s_cbranch_vccz .LBB46_1064
; %bb.1063:
	global_load_i8 v6, v[0:1], off
	s_branch .LBB46_1065
.LBB46_1064:
	s_mov_b32 s0, -1
                                        ; implicit-def: $vgpr6
.LBB46_1065:
	s_delay_alu instid0(SALU_CYCLE_1)
	s_and_not1_b32 vcc_lo, exec_lo, s0
	s_cbranch_vccnz .LBB46_1067
; %bb.1066:
	global_load_u8 v6, v[0:1], off
.LBB46_1067:
	s_branch .LBB46_1133
.LBB46_1068:
	s_trap 2
	s_sendmsg_rtn_b32 s0, sendmsg(MSG_RTN_GET_DOORBELL)
	s_mov_b32 ttmp2, m0
	s_waitcnt lgkmcnt(0)
	s_and_b32 s0, s0, 0x3ff
	s_delay_alu instid0(SALU_CYCLE_1) | instskip(NEXT) | instid1(SALU_CYCLE_1)
	s_bitset1_b32 s0, 10
	s_mov_b32 m0, s0
	s_sendmsg sendmsg(MSG_INTERRUPT)
	s_mov_b32 m0, ttmp2
.LBB46_1069:                            ; =>This Inner Loop Header: Depth=1
	s_sethalt 5
	s_branch .LBB46_1069
.LBB46_1070:
	s_trap 2
	s_sendmsg_rtn_b32 s0, sendmsg(MSG_RTN_GET_DOORBELL)
	s_mov_b32 ttmp2, m0
	s_waitcnt lgkmcnt(0)
	s_and_b32 s0, s0, 0x3ff
	s_delay_alu instid0(SALU_CYCLE_1) | instskip(NEXT) | instid1(SALU_CYCLE_1)
	s_bitset1_b32 s0, 10
	s_mov_b32 m0, s0
	s_sendmsg sendmsg(MSG_INTERRUPT)
	s_mov_b32 m0, ttmp2
.LBB46_1071:                            ; =>This Inner Loop Header: Depth=1
	s_sethalt 5
	s_branch .LBB46_1071
.LBB46_1072:
	s_mov_b32 s0, -1
	s_mov_b32 s11, 0
.LBB46_1073:
                                        ; implicit-def: $vgpr6
.LBB46_1074:
	s_and_b32 vcc_lo, exec_lo, s1
	s_cbranch_vccz .LBB46_1077
; %bb.1075:
	v_cmp_eq_u16_e32 vcc_lo, 44, v11
	s_cbranch_vccz .LBB46_1078
; %bb.1076:
	global_load_u8 v3, v[0:1], off
	s_mov_b32 s0, 0
	s_mov_b32 s11, -1
	s_waitcnt vmcnt(0)
	v_lshlrev_b32_e32 v4, 23, v3
	v_cmp_ne_u32_e32 vcc_lo, 0, v3
	s_delay_alu instid0(VALU_DEP_2) | instskip(NEXT) | instid1(VALU_DEP_1)
	v_cvt_i32_f32_e32 v4, v4
	v_cndmask_b32_e32 v6, 0, v4, vcc_lo
.LBB46_1077:
	s_branch .LBB46_1082
.LBB46_1078:
	s_mov_b32 s0, -1
                                        ; implicit-def: $vgpr6
	s_branch .LBB46_1082
.LBB46_1079:
	v_cmp_eq_u16_e32 vcc_lo, 29, v11
	s_cbranch_vccz .LBB46_1081
; %bb.1080:
	global_load_b64 v[6:7], v[0:1], off
	s_mov_b32 s0, 0
	s_mov_b32 s11, -1
	s_branch .LBB46_1082
.LBB46_1081:
	s_mov_b32 s0, -1
                                        ; implicit-def: $vgpr6
.LBB46_1082:
	s_branch .LBB46_1098
.LBB46_1083:
	v_cmp_gt_i16_e32 vcc_lo, 27, v11
	s_cbranch_vccnz .LBB46_1086
; %bb.1084:
	v_cmp_lt_i16_e32 vcc_lo, 27, v11
	s_cbranch_vccz .LBB46_1087
; %bb.1085:
	global_load_b32 v6, v[0:1], off
	s_mov_b32 s1, 0
	s_branch .LBB46_1088
.LBB46_1086:
	s_mov_b32 s1, -1
                                        ; implicit-def: $vgpr6
	s_branch .LBB46_1091
.LBB46_1087:
	s_mov_b32 s1, -1
                                        ; implicit-def: $vgpr6
.LBB46_1088:
	s_delay_alu instid0(SALU_CYCLE_1)
	s_and_not1_b32 vcc_lo, exec_lo, s1
	s_cbranch_vccnz .LBB46_1090
; %bb.1089:
	global_load_u16 v6, v[0:1], off
.LBB46_1090:
	s_mov_b32 s1, 0
.LBB46_1091:
	s_delay_alu instid0(SALU_CYCLE_1)
	s_and_not1_b32 vcc_lo, exec_lo, s1
	s_cbranch_vccnz .LBB46_1097
; %bb.1092:
	global_load_u8 v3, v[0:1], off
	s_mov_b32 s1, 0
	s_mov_b32 s11, exec_lo
                                        ; implicit-def: $sgpr12
	s_waitcnt vmcnt(0)
	v_cmpx_lt_i16_e32 0x7f, v3
	s_xor_b32 s11, exec_lo, s11
	s_cbranch_execz .LBB46_1108
; %bb.1093:
	v_cmp_ne_u16_e32 vcc_lo, 0x80, v3
	s_mov_b32 s12, 0
	s_and_b32 s1, vcc_lo, exec_lo
	s_or_saveexec_b32 s11, s11
	v_mov_b32_e32 v6, s12
	s_xor_b32 exec_lo, exec_lo, s11
	s_cbranch_execnz .LBB46_1109
.LBB46_1094:
	s_or_b32 exec_lo, exec_lo, s11
	s_and_saveexec_b32 s11, s1
	s_cbranch_execz .LBB46_1096
.LBB46_1095:
	v_and_b32_e32 v4, 0xffff, v3
	v_lshlrev_b32_e32 v3, 24, v3
	s_delay_alu instid0(VALU_DEP_2) | instskip(NEXT) | instid1(VALU_DEP_2)
	v_and_b32_e32 v5, 7, v4
	v_and_b32_e32 v3, 0x80000000, v3
	s_delay_alu instid0(VALU_DEP_2) | instskip(NEXT) | instid1(VALU_DEP_1)
	v_clz_i32_u32_e32 v6, v5
	v_min_u32_e32 v6, 32, v6
	s_delay_alu instid0(VALU_DEP_1) | instskip(SKIP_1) | instid1(VALU_DEP_2)
	v_subrev_nc_u32_e32 v7, 28, v6
	v_sub_nc_u32_e32 v6, 29, v6
	v_lshlrev_b32_e32 v7, v7, v4
	v_bfe_u32 v4, v4, 3, 4
	s_delay_alu instid0(VALU_DEP_2) | instskip(NEXT) | instid1(VALU_DEP_2)
	v_and_b32_e32 v7, 7, v7
	v_cmp_eq_u32_e32 vcc_lo, 0, v4
	s_delay_alu instid0(VALU_DEP_2) | instskip(NEXT) | instid1(VALU_DEP_1)
	v_dual_cndmask_b32 v4, v4, v6 :: v_dual_cndmask_b32 v5, v5, v7
	v_lshl_add_u32 v4, v4, 23, 0x3b800000
	s_delay_alu instid0(VALU_DEP_2) | instskip(NEXT) | instid1(VALU_DEP_1)
	v_lshlrev_b32_e32 v5, 20, v5
	v_or3_b32 v3, v3, v4, v5
	s_delay_alu instid0(VALU_DEP_1)
	v_cvt_i32_f32_e32 v6, v3
.LBB46_1096:
	s_or_b32 exec_lo, exec_lo, s11
.LBB46_1097:
	s_mov_b32 s11, -1
.LBB46_1098:
	s_branch .LBB46_1128
.LBB46_1099:
	v_cmp_lt_i16_e32 vcc_lo, 22, v11
	s_cbranch_vccz .LBB46_1107
; %bb.1100:
	v_cmp_gt_i16_e32 vcc_lo, 24, v11
	s_cbranch_vccnz .LBB46_1110
; %bb.1101:
	v_cmp_lt_i16_e32 vcc_lo, 24, v11
	s_cbranch_vccz .LBB46_1111
; %bb.1102:
	global_load_u8 v3, v[0:1], off
	s_mov_b32 s1, 0
	s_mov_b32 s10, exec_lo
                                        ; implicit-def: $sgpr11
	s_waitcnt vmcnt(0)
	v_cmpx_lt_i16_e32 0x7f, v3
	s_xor_b32 s10, exec_lo, s10
	s_cbranch_execz .LBB46_1122
; %bb.1103:
	v_cmp_ne_u16_e32 vcc_lo, 0x80, v3
	s_mov_b32 s11, 0
	s_and_b32 s1, vcc_lo, exec_lo
	s_or_saveexec_b32 s10, s10
	v_mov_b32_e32 v6, s11
	s_xor_b32 exec_lo, exec_lo, s10
	s_cbranch_execnz .LBB46_1123
.LBB46_1104:
	s_or_b32 exec_lo, exec_lo, s10
	s_and_saveexec_b32 s10, s1
	s_cbranch_execz .LBB46_1106
.LBB46_1105:
	v_and_b32_e32 v4, 0xffff, v3
	v_lshlrev_b32_e32 v3, 24, v3
	s_delay_alu instid0(VALU_DEP_2) | instskip(NEXT) | instid1(VALU_DEP_2)
	v_and_b32_e32 v5, 3, v4
	v_and_b32_e32 v3, 0x80000000, v3
	s_delay_alu instid0(VALU_DEP_2) | instskip(NEXT) | instid1(VALU_DEP_1)
	v_clz_i32_u32_e32 v6, v5
	v_min_u32_e32 v6, 32, v6
	s_delay_alu instid0(VALU_DEP_1) | instskip(SKIP_1) | instid1(VALU_DEP_2)
	v_subrev_nc_u32_e32 v7, 29, v6
	v_sub_nc_u32_e32 v6, 30, v6
	v_lshlrev_b32_e32 v7, v7, v4
	v_bfe_u32 v4, v4, 2, 5
	s_delay_alu instid0(VALU_DEP_2) | instskip(NEXT) | instid1(VALU_DEP_2)
	v_and_b32_e32 v7, 3, v7
	v_cmp_eq_u32_e32 vcc_lo, 0, v4
	s_delay_alu instid0(VALU_DEP_2) | instskip(NEXT) | instid1(VALU_DEP_1)
	v_dual_cndmask_b32 v4, v4, v6 :: v_dual_cndmask_b32 v5, v5, v7
	v_lshl_add_u32 v4, v4, 23, 0x37800000
	s_delay_alu instid0(VALU_DEP_2) | instskip(NEXT) | instid1(VALU_DEP_1)
	v_lshlrev_b32_e32 v5, 21, v5
	v_or3_b32 v3, v3, v4, v5
	s_delay_alu instid0(VALU_DEP_1)
	v_cvt_i32_f32_e32 v6, v3
.LBB46_1106:
	s_or_b32 exec_lo, exec_lo, s10
	s_mov_b32 s1, 0
	s_branch .LBB46_1112
.LBB46_1107:
                                        ; implicit-def: $vgpr6
	s_mov_b32 s10, 0
	s_branch .LBB46_1118
.LBB46_1108:
	s_or_saveexec_b32 s11, s11
	v_mov_b32_e32 v6, s12
	s_xor_b32 exec_lo, exec_lo, s11
	s_cbranch_execz .LBB46_1094
.LBB46_1109:
	v_cmp_ne_u16_e32 vcc_lo, 0, v3
	v_mov_b32_e32 v6, 0
	s_and_not1_b32 s1, s1, exec_lo
	s_and_b32 s12, vcc_lo, exec_lo
	s_delay_alu instid0(SALU_CYCLE_1)
	s_or_b32 s1, s1, s12
	s_or_b32 exec_lo, exec_lo, s11
	s_and_saveexec_b32 s11, s1
	s_cbranch_execnz .LBB46_1095
	s_branch .LBB46_1096
.LBB46_1110:
	s_mov_b32 s1, -1
                                        ; implicit-def: $vgpr6
	s_branch .LBB46_1115
.LBB46_1111:
	s_mov_b32 s1, -1
                                        ; implicit-def: $vgpr6
.LBB46_1112:
	s_delay_alu instid0(SALU_CYCLE_1)
	s_and_b32 vcc_lo, exec_lo, s1
	s_cbranch_vccz .LBB46_1114
; %bb.1113:
	global_load_u8 v3, v[0:1], off
	s_waitcnt vmcnt(0)
	v_lshlrev_b32_e32 v3, 24, v3
	s_delay_alu instid0(VALU_DEP_1) | instskip(NEXT) | instid1(VALU_DEP_1)
	v_and_b32_e32 v4, 0x7f000000, v3
	v_clz_i32_u32_e32 v5, v4
	v_add_nc_u32_e32 v7, 0x1000000, v4
	v_cmp_ne_u32_e32 vcc_lo, 0, v4
	s_delay_alu instid0(VALU_DEP_3) | instskip(NEXT) | instid1(VALU_DEP_1)
	v_min_u32_e32 v5, 32, v5
	v_sub_nc_u32_e64 v5, v5, 4 clamp
	s_delay_alu instid0(VALU_DEP_1) | instskip(SKIP_1) | instid1(VALU_DEP_2)
	v_lshlrev_b32_e32 v6, v5, v4
	v_lshlrev_b32_e32 v5, 23, v5
	v_lshrrev_b32_e32 v6, 4, v6
	s_delay_alu instid0(VALU_DEP_1) | instskip(SKIP_1) | instid1(VALU_DEP_2)
	v_sub_nc_u32_e32 v5, v6, v5
	v_ashrrev_i32_e32 v6, 8, v7
	v_add_nc_u32_e32 v5, 0x3c000000, v5
	s_delay_alu instid0(VALU_DEP_1) | instskip(NEXT) | instid1(VALU_DEP_1)
	v_and_or_b32 v5, 0x7f800000, v6, v5
	v_cndmask_b32_e32 v4, 0, v5, vcc_lo
	s_delay_alu instid0(VALU_DEP_1) | instskip(NEXT) | instid1(VALU_DEP_1)
	v_and_or_b32 v3, 0x80000000, v3, v4
	v_cvt_i32_f32_e32 v6, v3
.LBB46_1114:
	s_mov_b32 s1, 0
.LBB46_1115:
	s_delay_alu instid0(SALU_CYCLE_1)
	s_and_not1_b32 vcc_lo, exec_lo, s1
	s_cbranch_vccnz .LBB46_1117
; %bb.1116:
	global_load_u8 v3, v[0:1], off
	s_waitcnt vmcnt(0)
	v_lshlrev_b32_e32 v4, 25, v3
	v_lshlrev_b16 v3, 8, v3
	s_delay_alu instid0(VALU_DEP_2) | instskip(NEXT) | instid1(VALU_DEP_2)
	v_lshrrev_b32_e32 v5, 4, v4
	v_and_or_b32 v6, 0x7f00, v3, 0.5
	v_bfe_i32 v3, v3, 0, 16
	s_delay_alu instid0(VALU_DEP_3) | instskip(NEXT) | instid1(VALU_DEP_1)
	v_or_b32_e32 v5, 0x70000000, v5
	v_dual_add_f32 v6, -0.5, v6 :: v_dual_mul_f32 v5, 0x7800000, v5
	v_cmp_gt_u32_e32 vcc_lo, 0x8000000, v4
	s_delay_alu instid0(VALU_DEP_2) | instskip(NEXT) | instid1(VALU_DEP_1)
	v_cndmask_b32_e32 v4, v5, v6, vcc_lo
	v_and_or_b32 v3, 0x80000000, v3, v4
	s_delay_alu instid0(VALU_DEP_1)
	v_cvt_i32_f32_e32 v6, v3
.LBB46_1117:
	s_mov_b32 s11, -1
	s_mov_b32 s10, 0
	s_cbranch_execnz .LBB46_1128
.LBB46_1118:
	v_cmp_lt_i16_e32 vcc_lo, 14, v11
	s_cbranch_vccz .LBB46_1121
; %bb.1119:
	v_cmp_eq_u16_e32 vcc_lo, 15, v11
	s_cbranch_vccz .LBB46_1124
; %bb.1120:
	global_load_u16 v3, v[0:1], off
	s_mov_b32 s0, 0
	s_mov_b32 s11, -1
	s_waitcnt vmcnt(0)
	v_lshlrev_b32_e32 v3, 16, v3
	s_delay_alu instid0(VALU_DEP_1)
	v_cvt_i32_f32_e32 v6, v3
	s_branch .LBB46_1125
.LBB46_1121:
	s_mov_b32 s1, -1
                                        ; implicit-def: $vgpr6
	s_branch .LBB46_1126
.LBB46_1122:
	s_or_saveexec_b32 s10, s10
	v_mov_b32_e32 v6, s11
	s_xor_b32 exec_lo, exec_lo, s10
	s_cbranch_execz .LBB46_1104
.LBB46_1123:
	v_cmp_ne_u16_e32 vcc_lo, 0, v3
	v_mov_b32_e32 v6, 0
	s_and_not1_b32 s1, s1, exec_lo
	s_and_b32 s11, vcc_lo, exec_lo
	s_delay_alu instid0(SALU_CYCLE_1)
	s_or_b32 s1, s1, s11
	s_or_b32 exec_lo, exec_lo, s10
	s_and_saveexec_b32 s10, s1
	s_cbranch_execnz .LBB46_1105
	s_branch .LBB46_1106
.LBB46_1124:
	s_mov_b32 s0, -1
                                        ; implicit-def: $vgpr6
.LBB46_1125:
	s_mov_b32 s1, 0
.LBB46_1126:
	s_delay_alu instid0(SALU_CYCLE_1)
	s_and_b32 vcc_lo, exec_lo, s1
	s_cbranch_vccz .LBB46_1128
; %bb.1127:
	v_cmp_ne_u16_e64 s0, 11, v11
	s_mov_b32 s10, -1
                                        ; implicit-def: $vgpr6
.LBB46_1128:
	s_delay_alu instid0(VALU_DEP_1)
	s_and_b32 vcc_lo, exec_lo, s0
	s_mov_b32 s1, s9
	s_cbranch_vccnz .LBB46_1152
; %bb.1129:
	s_and_not1_b32 vcc_lo, exec_lo, s10
	s_cbranch_vccnz .LBB46_1131
.LBB46_1130:
	global_load_u8 v3, v[0:1], off
	s_mov_b32 s11, -1
	s_waitcnt vmcnt(0)
	v_cmp_ne_u16_e32 vcc_lo, 0, v3
	v_cndmask_b32_e64 v6, 0, 1, vcc_lo
.LBB46_1131:
.LBB46_1132:
	s_and_not1_b32 vcc_lo, exec_lo, s11
	s_cbranch_vccnz .LBB46_1326
.LBB46_1133:
	s_lshl_b32 s3, s3, 7
	v_cmp_gt_i16_e32 vcc_lo, 11, v11
	v_add_nc_u32_e32 v2, s3, v2
	s_delay_alu instid0(VALU_DEP_1) | instskip(SKIP_1) | instid1(VALU_DEP_1)
	v_ashrrev_i32_e32 v1, 31, v2
	v_add_co_u32 v0, s0, s6, v2
	v_add_co_ci_u32_e64 v1, s0, s7, v1, s0
	s_cbranch_vccnz .LBB46_1140
; %bb.1134:
	v_cmp_lt_i16_e32 vcc_lo, 25, v11
	s_mov_b32 s10, 0
	s_cbranch_vccz .LBB46_1146
; %bb.1135:
	v_cmp_lt_i16_e32 vcc_lo, 28, v11
	s_cbranch_vccz .LBB46_1148
; %bb.1136:
	v_cmp_lt_i16_e32 vcc_lo, 43, v11
	;; [unrolled: 3-line block ×3, first 2 shown]
	s_cbranch_vccz .LBB46_1156
; %bb.1138:
	v_cmp_eq_u16_e32 vcc_lo, 46, v11
	s_mov_b32 s12, 0
	s_cbranch_vccz .LBB46_1200
; %bb.1139:
	global_load_b32 v3, v[0:1], off
	s_mov_b32 s0, 0
	s_mov_b32 s11, -1
	s_waitcnt vmcnt(0)
	v_lshlrev_b32_e32 v3, 16, v3
	s_delay_alu instid0(VALU_DEP_1)
	v_cvt_i32_f32_e32 v4, v3
	s_branch .LBB46_1202
.LBB46_1140:
	s_mov_b32 s11, 0
                                        ; implicit-def: $vgpr4
	s_cbranch_execz .LBB46_1263
; %bb.1141:
	v_cmp_gt_i16_e32 vcc_lo, 5, v11
	s_cbranch_vccnz .LBB46_1147
; %bb.1142:
	v_cmp_gt_i16_e32 vcc_lo, 8, v11
	s_cbranch_vccnz .LBB46_1149
	;; [unrolled: 3-line block ×3, first 2 shown]
; %bb.1144:
	v_cmp_lt_i16_e32 vcc_lo, 9, v11
	s_cbranch_vccz .LBB46_1157
; %bb.1145:
	global_load_b64 v[3:4], v[0:1], off
	s_mov_b32 s0, 0
	s_waitcnt vmcnt(0)
	v_cvt_i32_f64_e32 v4, v[3:4]
	s_branch .LBB46_1158
.LBB46_1146:
	s_mov_b32 s11, 0
	s_mov_b32 s0, 0
                                        ; implicit-def: $vgpr4
	s_cbranch_execnz .LBB46_1229
	s_branch .LBB46_1259
.LBB46_1147:
                                        ; implicit-def: $vgpr4
	s_branch .LBB46_1176
.LBB46_1148:
	s_mov_b32 s12, -1
	s_mov_b32 s11, 0
	s_mov_b32 s0, 0
                                        ; implicit-def: $vgpr4
	s_branch .LBB46_1212
.LBB46_1149:
	s_mov_b32 s0, -1
                                        ; implicit-def: $vgpr4
	s_branch .LBB46_1164
.LBB46_1150:
	s_mov_b32 s12, -1
	s_mov_b32 s11, 0
	s_mov_b32 s0, 0
                                        ; implicit-def: $vgpr4
	s_branch .LBB46_1207
.LBB46_1151:
	s_mov_b32 s0, -1
                                        ; implicit-def: $vgpr4
	s_branch .LBB46_1161
.LBB46_1152:
	s_cbranch_execnz .LBB46_1196
; %bb.1153:
	s_or_b32 s1, s9, exec_lo
                                        ; implicit-def: $vgpr6
	s_cbranch_execz .LBB46_1130
	s_branch .LBB46_1131
.LBB46_1154:
	s_or_saveexec_b32 s14, s14
                                        ; implicit-def: $sgpr15
	s_delay_alu instid0(SALU_CYCLE_1)
	s_xor_b32 exec_lo, exec_lo, s14
	s_cbranch_execz .LBB46_919
.LBB46_1155:
	v_add_f32_e64 v6, 0x46000000, |v5|
	s_and_not1_b32 s13, s13, exec_lo
	s_mov_b32 s15, 0
	s_delay_alu instid0(VALU_DEP_1) | instskip(NEXT) | instid1(VALU_DEP_1)
	v_and_b32_e32 v6, 0xff, v6
	v_cmp_ne_u32_e32 vcc_lo, 0, v6
	s_and_b32 s16, vcc_lo, exec_lo
	s_delay_alu instid0(SALU_CYCLE_1)
	s_or_b32 s13, s13, s16
	s_or_b32 exec_lo, exec_lo, s14
	v_mov_b32_e32 v7, s15
	s_and_saveexec_b32 s14, s13
	s_cbranch_execnz .LBB46_920
	s_branch .LBB46_921
.LBB46_1156:
	s_mov_b32 s12, -1
	s_mov_b32 s11, 0
	s_mov_b32 s0, 0
	s_branch .LBB46_1201
.LBB46_1157:
	s_mov_b32 s0, -1
                                        ; implicit-def: $vgpr4
.LBB46_1158:
	s_delay_alu instid0(SALU_CYCLE_1)
	s_and_not1_b32 vcc_lo, exec_lo, s0
	s_cbranch_vccnz .LBB46_1160
; %bb.1159:
	global_load_b32 v3, v[0:1], off
	s_waitcnt vmcnt(0)
	v_cvt_i32_f32_e32 v4, v3
.LBB46_1160:
	s_mov_b32 s0, 0
.LBB46_1161:
	s_delay_alu instid0(SALU_CYCLE_1)
	s_and_not1_b32 vcc_lo, exec_lo, s0
	s_cbranch_vccnz .LBB46_1163
; %bb.1162:
	global_load_b32 v3, v[0:1], off
	s_waitcnt vmcnt(0)
	v_cvt_i16_f16_e32 v4, v3
.LBB46_1163:
	s_mov_b32 s0, 0
.LBB46_1164:
	s_delay_alu instid0(SALU_CYCLE_1)
	s_and_not1_b32 vcc_lo, exec_lo, s0
	s_cbranch_vccnz .LBB46_1175
; %bb.1165:
	v_cmp_gt_i16_e32 vcc_lo, 6, v11
	s_cbranch_vccnz .LBB46_1168
; %bb.1166:
	v_cmp_lt_i16_e32 vcc_lo, 6, v11
	s_cbranch_vccz .LBB46_1169
; %bb.1167:
	global_load_b64 v[3:4], v[0:1], off
	s_mov_b32 s0, 0
	s_waitcnt vmcnt(0)
	v_cvt_i32_f64_e32 v4, v[3:4]
	s_branch .LBB46_1170
.LBB46_1168:
	s_mov_b32 s0, -1
                                        ; implicit-def: $vgpr4
	s_branch .LBB46_1173
.LBB46_1169:
	s_mov_b32 s0, -1
                                        ; implicit-def: $vgpr4
.LBB46_1170:
	s_delay_alu instid0(SALU_CYCLE_1)
	s_and_not1_b32 vcc_lo, exec_lo, s0
	s_cbranch_vccnz .LBB46_1172
; %bb.1171:
	global_load_b32 v3, v[0:1], off
	s_waitcnt vmcnt(0)
	v_cvt_i32_f32_e32 v4, v3
.LBB46_1172:
	s_mov_b32 s0, 0
.LBB46_1173:
	s_delay_alu instid0(SALU_CYCLE_1)
	s_and_not1_b32 vcc_lo, exec_lo, s0
	s_cbranch_vccnz .LBB46_1175
; %bb.1174:
	global_load_u16 v3, v[0:1], off
	s_waitcnt vmcnt(0)
	v_cvt_i16_f16_e32 v4, v3
.LBB46_1175:
	s_cbranch_execnz .LBB46_1195
.LBB46_1176:
	v_cmp_gt_i16_e32 vcc_lo, 2, v11
	s_cbranch_vccnz .LBB46_1180
; %bb.1177:
	v_cmp_gt_i16_e32 vcc_lo, 3, v11
	s_cbranch_vccnz .LBB46_1181
; %bb.1178:
	v_cmp_lt_i16_e32 vcc_lo, 3, v11
	s_cbranch_vccz .LBB46_1182
; %bb.1179:
	global_load_b64 v[4:5], v[0:1], off
	s_mov_b32 s0, 0
	s_branch .LBB46_1183
.LBB46_1180:
	s_mov_b32 s0, -1
                                        ; implicit-def: $vgpr4
	s_branch .LBB46_1189
.LBB46_1181:
	s_mov_b32 s0, -1
                                        ; implicit-def: $vgpr4
	s_branch .LBB46_1186
.LBB46_1182:
	s_mov_b32 s0, -1
                                        ; implicit-def: $vgpr4
.LBB46_1183:
	s_delay_alu instid0(SALU_CYCLE_1)
	s_and_not1_b32 vcc_lo, exec_lo, s0
	s_cbranch_vccnz .LBB46_1185
; %bb.1184:
	global_load_b32 v4, v[0:1], off
.LBB46_1185:
	s_mov_b32 s0, 0
.LBB46_1186:
	s_delay_alu instid0(SALU_CYCLE_1)
	s_and_not1_b32 vcc_lo, exec_lo, s0
	s_cbranch_vccnz .LBB46_1188
; %bb.1187:
	global_load_u16 v4, v[0:1], off
.LBB46_1188:
	s_mov_b32 s0, 0
.LBB46_1189:
	s_delay_alu instid0(SALU_CYCLE_1)
	s_and_not1_b32 vcc_lo, exec_lo, s0
	s_cbranch_vccnz .LBB46_1195
; %bb.1190:
	v_cmp_lt_i16_e32 vcc_lo, 0, v11
	s_mov_b32 s0, 0
	s_cbranch_vccz .LBB46_1192
; %bb.1191:
	global_load_i8 v4, v[0:1], off
	s_branch .LBB46_1193
.LBB46_1192:
	s_mov_b32 s0, -1
                                        ; implicit-def: $vgpr4
.LBB46_1193:
	s_delay_alu instid0(SALU_CYCLE_1)
	s_and_not1_b32 vcc_lo, exec_lo, s0
	s_cbranch_vccnz .LBB46_1195
; %bb.1194:
	global_load_u8 v4, v[0:1], off
.LBB46_1195:
	s_branch .LBB46_1264
.LBB46_1196:
	s_trap 2
	s_sendmsg_rtn_b32 s0, sendmsg(MSG_RTN_GET_DOORBELL)
	s_mov_b32 ttmp2, m0
	s_waitcnt lgkmcnt(0)
	s_and_b32 s0, s0, 0x3ff
	s_delay_alu instid0(SALU_CYCLE_1) | instskip(NEXT) | instid1(SALU_CYCLE_1)
	s_bitset1_b32 s0, 10
	s_mov_b32 m0, s0
	s_sendmsg sendmsg(MSG_INTERRUPT)
	s_mov_b32 m0, ttmp2
.LBB46_1197:                            ; =>This Inner Loop Header: Depth=1
	s_sethalt 5
	s_branch .LBB46_1197
.LBB46_1198:
	s_or_saveexec_b32 s15, s15
                                        ; implicit-def: $sgpr16
	s_delay_alu instid0(SALU_CYCLE_1)
	s_xor_b32 exec_lo, exec_lo, s15
	s_cbranch_execz .LBB46_931
.LBB46_1199:
	v_add_f32_e64 v6, 0x42800000, |v5|
	s_and_not1_b32 s14, s14, exec_lo
	s_mov_b32 s16, 0
	s_delay_alu instid0(VALU_DEP_1) | instskip(NEXT) | instid1(VALU_DEP_1)
	v_and_b32_e32 v6, 0xff, v6
	v_cmp_ne_u32_e32 vcc_lo, 0, v6
	s_and_b32 s17, vcc_lo, exec_lo
	s_delay_alu instid0(SALU_CYCLE_1)
	s_or_b32 s14, s14, s17
	s_or_b32 exec_lo, exec_lo, s15
	v_mov_b32_e32 v7, s16
	s_and_saveexec_b32 s15, s14
	s_cbranch_execnz .LBB46_932
	s_branch .LBB46_933
.LBB46_1200:
	s_mov_b32 s0, -1
	s_mov_b32 s11, 0
.LBB46_1201:
                                        ; implicit-def: $vgpr4
.LBB46_1202:
	s_and_b32 vcc_lo, exec_lo, s12
	s_cbranch_vccz .LBB46_1206
; %bb.1203:
	v_cmp_eq_u16_e32 vcc_lo, 44, v11
	s_cbranch_vccz .LBB46_1205
; %bb.1204:
	global_load_u8 v3, v[0:1], off
	s_mov_b32 s0, 0
	s_mov_b32 s11, -1
	s_waitcnt vmcnt(0)
	v_lshlrev_b32_e32 v4, 23, v3
	v_cmp_ne_u32_e32 vcc_lo, 0, v3
	s_delay_alu instid0(VALU_DEP_2) | instskip(NEXT) | instid1(VALU_DEP_1)
	v_cvt_i32_f32_e32 v4, v4
	v_cndmask_b32_e32 v4, 0, v4, vcc_lo
	s_branch .LBB46_1206
.LBB46_1205:
	s_mov_b32 s0, -1
                                        ; implicit-def: $vgpr4
.LBB46_1206:
	s_mov_b32 s12, 0
.LBB46_1207:
	s_delay_alu instid0(SALU_CYCLE_1)
	s_and_b32 vcc_lo, exec_lo, s12
	s_cbranch_vccz .LBB46_1211
; %bb.1208:
	v_cmp_eq_u16_e32 vcc_lo, 29, v11
	s_cbranch_vccz .LBB46_1210
; %bb.1209:
	global_load_b64 v[4:5], v[0:1], off
	s_mov_b32 s0, 0
	s_mov_b32 s11, -1
	s_branch .LBB46_1211
.LBB46_1210:
	s_mov_b32 s0, -1
                                        ; implicit-def: $vgpr4
.LBB46_1211:
	s_mov_b32 s12, 0
.LBB46_1212:
	s_delay_alu instid0(SALU_CYCLE_1)
	s_and_b32 vcc_lo, exec_lo, s12
	s_cbranch_vccz .LBB46_1228
; %bb.1213:
	v_cmp_gt_i16_e32 vcc_lo, 27, v11
	s_cbranch_vccnz .LBB46_1216
; %bb.1214:
	v_cmp_lt_i16_e32 vcc_lo, 27, v11
	s_cbranch_vccz .LBB46_1217
; %bb.1215:
	global_load_b32 v4, v[0:1], off
	s_mov_b32 s11, 0
	s_branch .LBB46_1218
.LBB46_1216:
	s_mov_b32 s11, -1
                                        ; implicit-def: $vgpr4
	s_branch .LBB46_1221
.LBB46_1217:
	s_mov_b32 s11, -1
                                        ; implicit-def: $vgpr4
.LBB46_1218:
	s_delay_alu instid0(SALU_CYCLE_1)
	s_and_not1_b32 vcc_lo, exec_lo, s11
	s_cbranch_vccnz .LBB46_1220
; %bb.1219:
	global_load_u16 v4, v[0:1], off
.LBB46_1220:
	s_mov_b32 s11, 0
.LBB46_1221:
	s_delay_alu instid0(SALU_CYCLE_1)
	s_and_not1_b32 vcc_lo, exec_lo, s11
	s_cbranch_vccnz .LBB46_1227
; %bb.1222:
	global_load_u8 v3, v[0:1], off
	s_mov_b32 s11, 0
	s_mov_b32 s12, exec_lo
                                        ; implicit-def: $sgpr13
	s_waitcnt vmcnt(0)
	v_cmpx_lt_i16_e32 0x7f, v3
	s_xor_b32 s12, exec_lo, s12
	s_cbranch_execz .LBB46_1238
; %bb.1223:
	v_cmp_ne_u16_e32 vcc_lo, 0x80, v3
	s_mov_b32 s13, 0
	s_and_b32 s11, vcc_lo, exec_lo
	s_or_saveexec_b32 s12, s12
	v_mov_b32_e32 v4, s13
	s_xor_b32 exec_lo, exec_lo, s12
	s_cbranch_execnz .LBB46_1239
.LBB46_1224:
	s_or_b32 exec_lo, exec_lo, s12
	s_and_saveexec_b32 s12, s11
	s_cbranch_execz .LBB46_1226
.LBB46_1225:
	v_and_b32_e32 v4, 0xffff, v3
	v_lshlrev_b32_e32 v3, 24, v3
	s_delay_alu instid0(VALU_DEP_2) | instskip(NEXT) | instid1(VALU_DEP_2)
	v_and_b32_e32 v5, 7, v4
	v_and_b32_e32 v3, 0x80000000, v3
	s_delay_alu instid0(VALU_DEP_2) | instskip(NEXT) | instid1(VALU_DEP_1)
	v_clz_i32_u32_e32 v7, v5
	v_min_u32_e32 v7, 32, v7
	s_delay_alu instid0(VALU_DEP_1) | instskip(SKIP_1) | instid1(VALU_DEP_2)
	v_subrev_nc_u32_e32 v8, 28, v7
	v_sub_nc_u32_e32 v7, 29, v7
	v_lshlrev_b32_e32 v8, v8, v4
	v_bfe_u32 v4, v4, 3, 4
	s_delay_alu instid0(VALU_DEP_2) | instskip(NEXT) | instid1(VALU_DEP_2)
	v_and_b32_e32 v8, 7, v8
	v_cmp_eq_u32_e32 vcc_lo, 0, v4
	s_delay_alu instid0(VALU_DEP_2) | instskip(NEXT) | instid1(VALU_DEP_1)
	v_dual_cndmask_b32 v4, v4, v7 :: v_dual_cndmask_b32 v5, v5, v8
	v_lshl_add_u32 v4, v4, 23, 0x3b800000
	s_delay_alu instid0(VALU_DEP_2) | instskip(NEXT) | instid1(VALU_DEP_1)
	v_lshlrev_b32_e32 v5, 20, v5
	v_or3_b32 v3, v3, v4, v5
	s_delay_alu instid0(VALU_DEP_1)
	v_cvt_i32_f32_e32 v4, v3
.LBB46_1226:
	s_or_b32 exec_lo, exec_lo, s12
.LBB46_1227:
	s_mov_b32 s11, -1
.LBB46_1228:
	s_branch .LBB46_1259
.LBB46_1229:
	v_cmp_lt_i16_e32 vcc_lo, 22, v11
	s_cbranch_vccz .LBB46_1237
; %bb.1230:
	v_cmp_gt_i16_e32 vcc_lo, 24, v11
	s_cbranch_vccnz .LBB46_1240
; %bb.1231:
	v_cmp_lt_i16_e32 vcc_lo, 24, v11
	s_cbranch_vccz .LBB46_1241
; %bb.1232:
	global_load_u8 v3, v[0:1], off
	s_mov_b32 s11, exec_lo
                                        ; implicit-def: $sgpr12
	s_waitcnt vmcnt(0)
	v_cmpx_lt_i16_e32 0x7f, v3
	s_xor_b32 s11, exec_lo, s11
	s_cbranch_execz .LBB46_1253
; %bb.1233:
	v_cmp_ne_u16_e32 vcc_lo, 0x80, v3
	s_mov_b32 s12, 0
	s_and_b32 s10, vcc_lo, exec_lo
	s_or_saveexec_b32 s11, s11
	v_mov_b32_e32 v4, s12
	s_xor_b32 exec_lo, exec_lo, s11
	s_cbranch_execnz .LBB46_1254
.LBB46_1234:
	s_or_b32 exec_lo, exec_lo, s11
	s_and_saveexec_b32 s11, s10
	s_cbranch_execz .LBB46_1236
.LBB46_1235:
	v_and_b32_e32 v4, 0xffff, v3
	v_lshlrev_b32_e32 v3, 24, v3
	s_delay_alu instid0(VALU_DEP_2) | instskip(NEXT) | instid1(VALU_DEP_2)
	v_and_b32_e32 v5, 3, v4
	v_and_b32_e32 v3, 0x80000000, v3
	s_delay_alu instid0(VALU_DEP_2) | instskip(NEXT) | instid1(VALU_DEP_1)
	v_clz_i32_u32_e32 v7, v5
	v_min_u32_e32 v7, 32, v7
	s_delay_alu instid0(VALU_DEP_1) | instskip(SKIP_1) | instid1(VALU_DEP_2)
	v_subrev_nc_u32_e32 v8, 29, v7
	v_sub_nc_u32_e32 v7, 30, v7
	v_lshlrev_b32_e32 v8, v8, v4
	v_bfe_u32 v4, v4, 2, 5
	s_delay_alu instid0(VALU_DEP_2) | instskip(NEXT) | instid1(VALU_DEP_2)
	v_and_b32_e32 v8, 3, v8
	v_cmp_eq_u32_e32 vcc_lo, 0, v4
	s_delay_alu instid0(VALU_DEP_2) | instskip(NEXT) | instid1(VALU_DEP_1)
	v_dual_cndmask_b32 v4, v4, v7 :: v_dual_cndmask_b32 v5, v5, v8
	v_lshl_add_u32 v4, v4, 23, 0x37800000
	s_delay_alu instid0(VALU_DEP_2) | instskip(NEXT) | instid1(VALU_DEP_1)
	v_lshlrev_b32_e32 v5, 21, v5
	v_or3_b32 v3, v3, v4, v5
	s_delay_alu instid0(VALU_DEP_1)
	v_cvt_i32_f32_e32 v4, v3
.LBB46_1236:
	s_or_b32 exec_lo, exec_lo, s11
	s_mov_b32 s10, 0
	s_branch .LBB46_1242
.LBB46_1237:
	s_mov_b32 s10, -1
                                        ; implicit-def: $vgpr4
	s_branch .LBB46_1248
.LBB46_1238:
	s_or_saveexec_b32 s12, s12
	v_mov_b32_e32 v4, s13
	s_xor_b32 exec_lo, exec_lo, s12
	s_cbranch_execz .LBB46_1224
.LBB46_1239:
	v_cmp_ne_u16_e32 vcc_lo, 0, v3
	v_mov_b32_e32 v4, 0
	s_and_not1_b32 s11, s11, exec_lo
	s_and_b32 s13, vcc_lo, exec_lo
	s_delay_alu instid0(SALU_CYCLE_1)
	s_or_b32 s11, s11, s13
	s_or_b32 exec_lo, exec_lo, s12
	s_and_saveexec_b32 s12, s11
	s_cbranch_execnz .LBB46_1225
	s_branch .LBB46_1226
.LBB46_1240:
	s_mov_b32 s10, -1
                                        ; implicit-def: $vgpr4
	s_branch .LBB46_1245
.LBB46_1241:
	s_mov_b32 s10, -1
                                        ; implicit-def: $vgpr4
.LBB46_1242:
	s_delay_alu instid0(SALU_CYCLE_1)
	s_and_b32 vcc_lo, exec_lo, s10
	s_cbranch_vccz .LBB46_1244
; %bb.1243:
	global_load_u8 v3, v[0:1], off
	s_waitcnt vmcnt(0)
	v_lshlrev_b32_e32 v3, 24, v3
	s_delay_alu instid0(VALU_DEP_1) | instskip(NEXT) | instid1(VALU_DEP_1)
	v_and_b32_e32 v4, 0x7f000000, v3
	v_clz_i32_u32_e32 v5, v4
	v_add_nc_u32_e32 v8, 0x1000000, v4
	v_cmp_ne_u32_e32 vcc_lo, 0, v4
	s_delay_alu instid0(VALU_DEP_3) | instskip(NEXT) | instid1(VALU_DEP_1)
	v_min_u32_e32 v5, 32, v5
	v_sub_nc_u32_e64 v5, v5, 4 clamp
	s_delay_alu instid0(VALU_DEP_1) | instskip(SKIP_1) | instid1(VALU_DEP_2)
	v_lshlrev_b32_e32 v7, v5, v4
	v_lshlrev_b32_e32 v5, 23, v5
	v_lshrrev_b32_e32 v7, 4, v7
	s_delay_alu instid0(VALU_DEP_1) | instskip(SKIP_1) | instid1(VALU_DEP_2)
	v_sub_nc_u32_e32 v5, v7, v5
	v_ashrrev_i32_e32 v7, 8, v8
	v_add_nc_u32_e32 v5, 0x3c000000, v5
	s_delay_alu instid0(VALU_DEP_1) | instskip(NEXT) | instid1(VALU_DEP_1)
	v_and_or_b32 v5, 0x7f800000, v7, v5
	v_cndmask_b32_e32 v4, 0, v5, vcc_lo
	s_delay_alu instid0(VALU_DEP_1) | instskip(NEXT) | instid1(VALU_DEP_1)
	v_and_or_b32 v3, 0x80000000, v3, v4
	v_cvt_i32_f32_e32 v4, v3
.LBB46_1244:
	s_mov_b32 s10, 0
.LBB46_1245:
	s_delay_alu instid0(SALU_CYCLE_1)
	s_and_not1_b32 vcc_lo, exec_lo, s10
	s_cbranch_vccnz .LBB46_1247
; %bb.1246:
	global_load_u8 v3, v[0:1], off
	s_waitcnt vmcnt(0)
	v_lshlrev_b32_e32 v4, 25, v3
	v_lshlrev_b16 v3, 8, v3
	s_delay_alu instid0(VALU_DEP_2) | instskip(NEXT) | instid1(VALU_DEP_2)
	v_lshrrev_b32_e32 v5, 4, v4
	v_and_or_b32 v7, 0x7f00, v3, 0.5
	v_bfe_i32 v3, v3, 0, 16
	s_delay_alu instid0(VALU_DEP_3) | instskip(NEXT) | instid1(VALU_DEP_3)
	v_or_b32_e32 v5, 0x70000000, v5
	v_add_f32_e32 v7, -0.5, v7
	s_delay_alu instid0(VALU_DEP_2) | instskip(SKIP_1) | instid1(VALU_DEP_2)
	v_mul_f32_e32 v5, 0x7800000, v5
	v_cmp_gt_u32_e32 vcc_lo, 0x8000000, v4
	v_cndmask_b32_e32 v4, v5, v7, vcc_lo
	s_delay_alu instid0(VALU_DEP_1) | instskip(NEXT) | instid1(VALU_DEP_1)
	v_and_or_b32 v3, 0x80000000, v3, v4
	v_cvt_i32_f32_e32 v4, v3
.LBB46_1247:
	s_mov_b32 s10, 0
	s_mov_b32 s11, -1
.LBB46_1248:
	s_and_not1_b32 vcc_lo, exec_lo, s10
	s_mov_b32 s10, 0
	s_cbranch_vccnz .LBB46_1259
; %bb.1249:
	v_cmp_lt_i16_e32 vcc_lo, 14, v11
	s_cbranch_vccz .LBB46_1252
; %bb.1250:
	v_cmp_eq_u16_e32 vcc_lo, 15, v11
	s_cbranch_vccz .LBB46_1255
; %bb.1251:
	global_load_u16 v3, v[0:1], off
	s_mov_b32 s0, 0
	s_mov_b32 s11, -1
	s_waitcnt vmcnt(0)
	v_lshlrev_b32_e32 v3, 16, v3
	s_delay_alu instid0(VALU_DEP_1)
	v_cvt_i32_f32_e32 v4, v3
	s_branch .LBB46_1257
.LBB46_1252:
	s_mov_b32 s10, -1
	s_branch .LBB46_1256
.LBB46_1253:
	s_or_saveexec_b32 s11, s11
	v_mov_b32_e32 v4, s12
	s_xor_b32 exec_lo, exec_lo, s11
	s_cbranch_execz .LBB46_1234
.LBB46_1254:
	v_cmp_ne_u16_e32 vcc_lo, 0, v3
	v_mov_b32_e32 v4, 0
	s_and_not1_b32 s10, s10, exec_lo
	s_and_b32 s12, vcc_lo, exec_lo
	s_delay_alu instid0(SALU_CYCLE_1)
	s_or_b32 s10, s10, s12
	s_or_b32 exec_lo, exec_lo, s11
	s_and_saveexec_b32 s11, s10
	s_cbranch_execnz .LBB46_1235
	s_branch .LBB46_1236
.LBB46_1255:
	s_mov_b32 s0, -1
.LBB46_1256:
                                        ; implicit-def: $vgpr4
.LBB46_1257:
	s_and_b32 vcc_lo, exec_lo, s10
	s_mov_b32 s10, 0
	s_cbranch_vccz .LBB46_1259
; %bb.1258:
	v_cmp_ne_u16_e64 s0, 11, v11
	s_mov_b32 s10, -1
                                        ; implicit-def: $vgpr4
.LBB46_1259:
	s_delay_alu instid0(VALU_DEP_1)
	s_and_b32 vcc_lo, exec_lo, s0
	s_cbranch_vccnz .LBB46_1283
; %bb.1260:
	s_and_not1_b32 vcc_lo, exec_lo, s10
	s_cbranch_vccnz .LBB46_1262
.LBB46_1261:
	global_load_u8 v3, v[0:1], off
	s_mov_b32 s11, -1
	s_waitcnt vmcnt(0)
	v_cmp_ne_u16_e32 vcc_lo, 0, v3
	v_cndmask_b32_e64 v4, 0, 1, vcc_lo
.LBB46_1262:
.LBB46_1263:
	s_and_not1_b32 vcc_lo, exec_lo, s11
	s_cbranch_vccnz .LBB46_1326
.LBB46_1264:
	s_waitcnt vmcnt(0)
	v_add_nc_u32_e32 v5, s3, v2
	v_cmp_gt_i16_e32 vcc_lo, 11, v11
	s_delay_alu instid0(VALU_DEP_2) | instskip(SKIP_1) | instid1(VALU_DEP_1)
	v_ashrrev_i32_e32 v1, 31, v5
	v_add_co_u32 v0, s0, s6, v5
	v_add_co_ci_u32_e64 v1, s0, s7, v1, s0
	s_cbranch_vccnz .LBB46_1271
; %bb.1265:
	v_cmp_lt_i16_e32 vcc_lo, 25, v11
	s_mov_b32 s10, 0
	s_cbranch_vccz .LBB46_1277
; %bb.1266:
	v_cmp_lt_i16_e32 vcc_lo, 28, v11
	s_cbranch_vccz .LBB46_1279
; %bb.1267:
	v_cmp_lt_i16_e32 vcc_lo, 43, v11
	;; [unrolled: 3-line block ×3, first 2 shown]
	s_cbranch_vccz .LBB46_1285
; %bb.1269:
	v_cmp_eq_u16_e32 vcc_lo, 46, v11
	s_mov_b32 s12, 0
	s_cbranch_vccz .LBB46_1373
; %bb.1270:
	global_load_b32 v2, v[0:1], off
	s_mov_b32 s0, 0
	s_mov_b32 s11, -1
	s_waitcnt vmcnt(0)
	v_lshlrev_b32_e32 v2, 16, v2
	s_delay_alu instid0(VALU_DEP_1)
	v_cvt_i32_f32_e32 v2, v2
	s_branch .LBB46_1375
.LBB46_1271:
	s_mov_b32 s11, 0
                                        ; implicit-def: $vgpr2
	s_cbranch_execz .LBB46_1437
; %bb.1272:
	v_cmp_gt_i16_e32 vcc_lo, 5, v11
	s_cbranch_vccnz .LBB46_1278
; %bb.1273:
	v_cmp_gt_i16_e32 vcc_lo, 8, v11
	s_cbranch_vccnz .LBB46_1280
	;; [unrolled: 3-line block ×3, first 2 shown]
; %bb.1275:
	v_cmp_lt_i16_e32 vcc_lo, 9, v11
	s_cbranch_vccz .LBB46_1286
; %bb.1276:
	global_load_b64 v[2:3], v[0:1], off
	s_mov_b32 s0, 0
	s_waitcnt vmcnt(0)
	v_cvt_i32_f64_e32 v2, v[2:3]
	s_branch .LBB46_1287
.LBB46_1277:
	s_mov_b32 s12, -1
	s_mov_b32 s11, 0
	s_mov_b32 s0, 0
                                        ; implicit-def: $vgpr2
	s_branch .LBB46_1402
.LBB46_1278:
	s_mov_b32 s0, -1
                                        ; implicit-def: $vgpr2
	s_branch .LBB46_1305
.LBB46_1279:
	s_mov_b32 s12, -1
	s_mov_b32 s11, 0
	s_mov_b32 s0, 0
                                        ; implicit-def: $vgpr2
	s_branch .LBB46_1385
.LBB46_1280:
	s_mov_b32 s0, -1
                                        ; implicit-def: $vgpr2
	s_branch .LBB46_1293
.LBB46_1281:
	s_mov_b32 s12, -1
	s_mov_b32 s11, 0
	s_mov_b32 s0, 0
                                        ; implicit-def: $vgpr2
	s_branch .LBB46_1380
.LBB46_1282:
	s_mov_b32 s0, -1
                                        ; implicit-def: $vgpr2
	s_branch .LBB46_1290
.LBB46_1283:
	s_cbranch_execnz .LBB46_1371
; %bb.1284:
	s_or_b32 s1, s1, exec_lo
                                        ; implicit-def: $vgpr4
	s_cbranch_execz .LBB46_1261
	s_branch .LBB46_1262
.LBB46_1285:
	s_mov_b32 s12, -1
	s_mov_b32 s11, 0
	s_mov_b32 s0, 0
	s_branch .LBB46_1374
.LBB46_1286:
	s_mov_b32 s0, -1
                                        ; implicit-def: $vgpr2
.LBB46_1287:
	s_delay_alu instid0(SALU_CYCLE_1)
	s_and_not1_b32 vcc_lo, exec_lo, s0
	s_cbranch_vccnz .LBB46_1289
; %bb.1288:
	global_load_b32 v2, v[0:1], off
	s_waitcnt vmcnt(0)
	v_cvt_i32_f32_e32 v2, v2
.LBB46_1289:
	s_mov_b32 s0, 0
.LBB46_1290:
	s_delay_alu instid0(SALU_CYCLE_1)
	s_and_not1_b32 vcc_lo, exec_lo, s0
	s_cbranch_vccnz .LBB46_1292
; %bb.1291:
	global_load_b32 v2, v[0:1], off
	s_waitcnt vmcnt(0)
	v_cvt_i16_f16_e32 v2, v2
.LBB46_1292:
	s_mov_b32 s0, 0
.LBB46_1293:
	s_delay_alu instid0(SALU_CYCLE_1)
	s_and_not1_b32 vcc_lo, exec_lo, s0
	s_cbranch_vccnz .LBB46_1304
; %bb.1294:
	v_cmp_gt_i16_e32 vcc_lo, 6, v11
	s_cbranch_vccnz .LBB46_1297
; %bb.1295:
	v_cmp_lt_i16_e32 vcc_lo, 6, v11
	s_cbranch_vccz .LBB46_1298
; %bb.1296:
	global_load_b64 v[2:3], v[0:1], off
	s_mov_b32 s0, 0
	s_waitcnt vmcnt(0)
	v_cvt_i32_f64_e32 v2, v[2:3]
	s_branch .LBB46_1299
.LBB46_1297:
	s_mov_b32 s0, -1
                                        ; implicit-def: $vgpr2
	s_branch .LBB46_1302
.LBB46_1298:
	s_mov_b32 s0, -1
                                        ; implicit-def: $vgpr2
.LBB46_1299:
	s_delay_alu instid0(SALU_CYCLE_1)
	s_and_not1_b32 vcc_lo, exec_lo, s0
	s_cbranch_vccnz .LBB46_1301
; %bb.1300:
	global_load_b32 v2, v[0:1], off
	s_waitcnt vmcnt(0)
	v_cvt_i32_f32_e32 v2, v2
.LBB46_1301:
	s_mov_b32 s0, 0
.LBB46_1302:
	s_delay_alu instid0(SALU_CYCLE_1)
	s_and_not1_b32 vcc_lo, exec_lo, s0
	s_cbranch_vccnz .LBB46_1304
; %bb.1303:
	global_load_u16 v2, v[0:1], off
	s_waitcnt vmcnt(0)
	v_cvt_i16_f16_e32 v2, v2
.LBB46_1304:
	s_mov_b32 s0, 0
.LBB46_1305:
	s_delay_alu instid0(SALU_CYCLE_1)
	s_and_not1_b32 vcc_lo, exec_lo, s0
	s_cbranch_vccnz .LBB46_1325
; %bb.1306:
	v_cmp_gt_i16_e32 vcc_lo, 2, v11
	s_cbranch_vccnz .LBB46_1310
; %bb.1307:
	v_cmp_gt_i16_e32 vcc_lo, 3, v11
	s_cbranch_vccnz .LBB46_1311
; %bb.1308:
	v_cmp_lt_i16_e32 vcc_lo, 3, v11
	s_cbranch_vccz .LBB46_1312
; %bb.1309:
	global_load_b64 v[2:3], v[0:1], off
	s_mov_b32 s0, 0
	s_branch .LBB46_1313
.LBB46_1310:
	s_mov_b32 s0, -1
                                        ; implicit-def: $vgpr2
	s_branch .LBB46_1319
.LBB46_1311:
	s_mov_b32 s0, -1
                                        ; implicit-def: $vgpr2
	s_branch .LBB46_1316
.LBB46_1312:
	s_mov_b32 s0, -1
                                        ; implicit-def: $vgpr2
.LBB46_1313:
	s_delay_alu instid0(SALU_CYCLE_1)
	s_and_not1_b32 vcc_lo, exec_lo, s0
	s_cbranch_vccnz .LBB46_1315
; %bb.1314:
	global_load_b32 v2, v[0:1], off
.LBB46_1315:
	s_mov_b32 s0, 0
.LBB46_1316:
	s_delay_alu instid0(SALU_CYCLE_1)
	s_and_not1_b32 vcc_lo, exec_lo, s0
	s_cbranch_vccnz .LBB46_1318
; %bb.1317:
	global_load_u16 v2, v[0:1], off
.LBB46_1318:
	s_mov_b32 s0, 0
.LBB46_1319:
	s_delay_alu instid0(SALU_CYCLE_1)
	s_and_not1_b32 vcc_lo, exec_lo, s0
	s_cbranch_vccnz .LBB46_1325
; %bb.1320:
	v_cmp_lt_i16_e32 vcc_lo, 0, v11
	s_mov_b32 s0, 0
	s_cbranch_vccz .LBB46_1322
; %bb.1321:
	global_load_i8 v2, v[0:1], off
	s_branch .LBB46_1323
.LBB46_1322:
	s_mov_b32 s0, -1
                                        ; implicit-def: $vgpr2
.LBB46_1323:
	s_delay_alu instid0(SALU_CYCLE_1)
	s_and_not1_b32 vcc_lo, exec_lo, s0
	s_cbranch_vccnz .LBB46_1325
; %bb.1324:
	global_load_u8 v2, v[0:1], off
.LBB46_1325:
	s_branch .LBB46_1438
.LBB46_1326:
	s_mov_b32 s3, 0
	s_mov_b32 s2, 0
                                        ; implicit-def: $vgpr12
                                        ; implicit-def: $vgpr1_vgpr2
                                        ; implicit-def: $vgpr3
                                        ; implicit-def: $vgpr0
.LBB46_1327:
	s_and_b32 s0, s3, exec_lo
	s_and_not1_b32 s3, s9, exec_lo
	s_and_b32 s4, s1, exec_lo
	s_and_b32 s1, s2, exec_lo
	s_or_b32 s9, s3, s4
.LBB46_1328:
	s_or_b32 exec_lo, exec_lo, s8
	s_and_saveexec_b32 s2, s9
	s_cbranch_execz .LBB46_1331
; %bb.1329:
	; divergent unreachable
	s_or_b32 exec_lo, exec_lo, s2
	s_and_saveexec_b32 s2, s1
	s_delay_alu instid0(SALU_CYCLE_1)
	s_xor_b32 s1, exec_lo, s2
	s_cbranch_execnz .LBB46_1332
.LBB46_1330:
	s_or_b32 exec_lo, exec_lo, s1
	s_and_saveexec_b32 s1, s0
	s_cbranch_execnz .LBB46_1333
	s_branch .LBB46_1370
.LBB46_1331:
	s_or_b32 exec_lo, exec_lo, s2
	s_and_saveexec_b32 s2, s1
	s_delay_alu instid0(SALU_CYCLE_1)
	s_xor_b32 s1, exec_lo, s2
	s_cbranch_execz .LBB46_1330
.LBB46_1332:
	s_waitcnt vmcnt(0)
	s_delay_alu instid0(VALU_DEP_1)
	v_cmp_ne_u16_e32 vcc_lo, -1, v0
	v_cndmask_b32_e64 v0, 0, 1, vcc_lo
	global_store_b8 v[1:2], v0, off
	s_or_b32 exec_lo, exec_lo, s1
	s_and_saveexec_b32 s1, s0
	s_cbranch_execz .LBB46_1370
.LBB46_1333:
	v_cmp_gt_i16_e32 vcc_lo, 5, v12
	s_mov_b32 s0, -1
	s_cbranch_vccnz .LBB46_1354
; %bb.1334:
	v_cmp_gt_i16_e32 vcc_lo, 8, v12
	s_cbranch_vccnz .LBB46_1344
; %bb.1335:
	v_cmp_gt_i16_e32 vcc_lo, 9, v12
	s_cbranch_vccnz .LBB46_1341
; %bb.1336:
	v_cmp_lt_i16_e32 vcc_lo, 9, v12
	s_cbranch_vccz .LBB46_1338
; %bb.1337:
	s_waitcnt vmcnt(0)
	v_bfe_i32 v0, v3, 0, 16
	v_mov_b32_e32 v6, 0
	s_mov_b32 s0, 0
	s_delay_alu instid0(VALU_DEP_2) | instskip(NEXT) | instid1(VALU_DEP_2)
	v_cvt_f64_i32_e32 v[4:5], v0
	v_mov_b32_e32 v7, v6
	global_store_b128 v[1:2], v[4:7], off
.LBB46_1338:
	s_and_not1_b32 vcc_lo, exec_lo, s0
	s_cbranch_vccnz .LBB46_1340
; %bb.1339:
	s_waitcnt vmcnt(0)
	v_bfe_i32 v0, v3, 0, 16
	v_mov_b32_e32 v5, 0
	s_delay_alu instid0(VALU_DEP_2)
	v_cvt_f32_i32_e32 v4, v0
	global_store_b64 v[1:2], v[4:5], off
.LBB46_1340:
	s_mov_b32 s0, 0
.LBB46_1341:
	s_delay_alu instid0(SALU_CYCLE_1)
	s_and_not1_b32 vcc_lo, exec_lo, s0
	s_cbranch_vccnz .LBB46_1343
; %bb.1342:
	s_waitcnt vmcnt(0)
	v_cvt_f16_i16_e32 v0, v3
	s_delay_alu instid0(VALU_DEP_1)
	v_and_b32_e32 v0, 0xffff, v0
	global_store_b32 v[1:2], v0, off
.LBB46_1343:
	s_mov_b32 s0, 0
.LBB46_1344:
	s_delay_alu instid0(SALU_CYCLE_1)
	s_and_not1_b32 vcc_lo, exec_lo, s0
	s_cbranch_vccnz .LBB46_1353
; %bb.1345:
	v_cmp_gt_i16_e32 vcc_lo, 6, v12
	s_mov_b32 s0, -1
	s_cbranch_vccnz .LBB46_1351
; %bb.1346:
	v_cmp_lt_i16_e32 vcc_lo, 6, v12
	s_cbranch_vccz .LBB46_1348
; %bb.1347:
	s_waitcnt vmcnt(0)
	v_bfe_i32 v0, v3, 0, 16
	s_mov_b32 s0, 0
	s_delay_alu instid0(VALU_DEP_1)
	v_cvt_f64_i32_e32 v[4:5], v0
	global_store_b64 v[1:2], v[4:5], off
.LBB46_1348:
	s_and_not1_b32 vcc_lo, exec_lo, s0
	s_cbranch_vccnz .LBB46_1350
; %bb.1349:
	s_waitcnt vmcnt(0)
	v_bfe_i32 v0, v3, 0, 16
	s_delay_alu instid0(VALU_DEP_1)
	v_cvt_f32_i32_e32 v0, v0
	global_store_b32 v[1:2], v0, off
.LBB46_1350:
	s_mov_b32 s0, 0
.LBB46_1351:
	s_delay_alu instid0(SALU_CYCLE_1)
	s_and_not1_b32 vcc_lo, exec_lo, s0
	s_cbranch_vccnz .LBB46_1353
; %bb.1352:
	s_waitcnt vmcnt(0)
	v_cvt_f16_i16_e32 v0, v3
	global_store_b16 v[1:2], v0, off
.LBB46_1353:
	s_mov_b32 s0, 0
.LBB46_1354:
	s_delay_alu instid0(SALU_CYCLE_1)
	s_and_not1_b32 vcc_lo, exec_lo, s0
	s_cbranch_vccnz .LBB46_1370
; %bb.1355:
	v_cmp_gt_i16_e32 vcc_lo, 2, v12
	s_mov_b32 s0, -1
	s_cbranch_vccnz .LBB46_1365
; %bb.1356:
	v_cmp_gt_i16_e32 vcc_lo, 3, v12
	s_cbranch_vccnz .LBB46_1362
; %bb.1357:
	v_cmp_lt_i16_e32 vcc_lo, 3, v12
	s_cbranch_vccz .LBB46_1359
; %bb.1358:
	s_waitcnt vmcnt(0)
	v_bfe_i32 v4, v3, 0, 16
	s_mov_b32 s0, 0
	s_delay_alu instid0(VALU_DEP_1)
	v_ashrrev_i32_e32 v5, 31, v4
	global_store_b64 v[1:2], v[4:5], off
.LBB46_1359:
	s_and_not1_b32 vcc_lo, exec_lo, s0
	s_cbranch_vccnz .LBB46_1361
; %bb.1360:
	s_waitcnt vmcnt(0)
	v_bfe_i32 v0, v3, 0, 16
	global_store_b32 v[1:2], v0, off
.LBB46_1361:
	s_mov_b32 s0, 0
.LBB46_1362:
	s_delay_alu instid0(SALU_CYCLE_1)
	s_and_not1_b32 vcc_lo, exec_lo, s0
	s_cbranch_vccnz .LBB46_1364
; %bb.1363:
	s_waitcnt vmcnt(0)
	global_store_b16 v[1:2], v3, off
.LBB46_1364:
	s_mov_b32 s0, 0
.LBB46_1365:
	s_delay_alu instid0(SALU_CYCLE_1)
	s_and_not1_b32 vcc_lo, exec_lo, s0
	s_cbranch_vccnz .LBB46_1370
; %bb.1366:
	v_cmp_lt_i16_e32 vcc_lo, 0, v12
	s_mov_b32 s0, -1
	s_cbranch_vccz .LBB46_1368
; %bb.1367:
	s_mov_b32 s0, 0
	s_waitcnt vmcnt(0)
	global_store_b8 v[1:2], v3, off
.LBB46_1368:
	s_and_not1_b32 vcc_lo, exec_lo, s0
	s_cbranch_vccnz .LBB46_1370
; %bb.1369:
	s_waitcnt vmcnt(0)
	global_store_b8 v[1:2], v3, off
	s_nop 0
	s_sendmsg sendmsg(MSG_DEALLOC_VGPRS)
	s_endpgm
.LBB46_1370:
	s_nop 0
	s_sendmsg sendmsg(MSG_DEALLOC_VGPRS)
	s_endpgm
.LBB46_1371:
	s_trap 2
	s_sendmsg_rtn_b32 s0, sendmsg(MSG_RTN_GET_DOORBELL)
	s_mov_b32 ttmp2, m0
	s_waitcnt lgkmcnt(0)
	s_and_b32 s0, s0, 0x3ff
	s_delay_alu instid0(SALU_CYCLE_1) | instskip(NEXT) | instid1(SALU_CYCLE_1)
	s_bitset1_b32 s0, 10
	s_mov_b32 m0, s0
	s_sendmsg sendmsg(MSG_INTERRUPT)
	s_mov_b32 m0, ttmp2
.LBB46_1372:                            ; =>This Inner Loop Header: Depth=1
	s_sethalt 5
	s_branch .LBB46_1372
.LBB46_1373:
	s_mov_b32 s0, -1
	s_mov_b32 s11, 0
.LBB46_1374:
                                        ; implicit-def: $vgpr2
.LBB46_1375:
	s_and_b32 vcc_lo, exec_lo, s12
	s_cbranch_vccz .LBB46_1379
; %bb.1376:
	v_cmp_eq_u16_e32 vcc_lo, 44, v11
	s_cbranch_vccz .LBB46_1378
; %bb.1377:
	global_load_u8 v2, v[0:1], off
	s_mov_b32 s0, 0
	s_mov_b32 s11, -1
	s_waitcnt vmcnt(0)
	v_lshlrev_b32_e32 v3, 23, v2
	v_cmp_ne_u32_e32 vcc_lo, 0, v2
	s_delay_alu instid0(VALU_DEP_2) | instskip(NEXT) | instid1(VALU_DEP_1)
	v_cvt_i32_f32_e32 v3, v3
	v_cndmask_b32_e32 v2, 0, v3, vcc_lo
	s_branch .LBB46_1379
.LBB46_1378:
	s_mov_b32 s0, -1
                                        ; implicit-def: $vgpr2
.LBB46_1379:
	s_mov_b32 s12, 0
.LBB46_1380:
	s_delay_alu instid0(SALU_CYCLE_1)
	s_and_b32 vcc_lo, exec_lo, s12
	s_cbranch_vccz .LBB46_1384
; %bb.1381:
	v_cmp_eq_u16_e32 vcc_lo, 29, v11
	s_cbranch_vccz .LBB46_1383
; %bb.1382:
	global_load_b64 v[2:3], v[0:1], off
	s_mov_b32 s0, 0
	s_mov_b32 s11, -1
	s_branch .LBB46_1384
.LBB46_1383:
	s_mov_b32 s0, -1
                                        ; implicit-def: $vgpr2
.LBB46_1384:
	s_mov_b32 s12, 0
.LBB46_1385:
	s_delay_alu instid0(SALU_CYCLE_1)
	s_and_b32 vcc_lo, exec_lo, s12
	s_cbranch_vccz .LBB46_1401
; %bb.1386:
	v_cmp_gt_i16_e32 vcc_lo, 27, v11
	s_cbranch_vccnz .LBB46_1389
; %bb.1387:
	v_cmp_lt_i16_e32 vcc_lo, 27, v11
	s_cbranch_vccz .LBB46_1390
; %bb.1388:
	global_load_b32 v2, v[0:1], off
	s_mov_b32 s11, 0
	s_branch .LBB46_1391
.LBB46_1389:
	s_mov_b32 s11, -1
                                        ; implicit-def: $vgpr2
	s_branch .LBB46_1394
.LBB46_1390:
	s_mov_b32 s11, -1
                                        ; implicit-def: $vgpr2
.LBB46_1391:
	s_delay_alu instid0(SALU_CYCLE_1)
	s_and_not1_b32 vcc_lo, exec_lo, s11
	s_cbranch_vccnz .LBB46_1393
; %bb.1392:
	global_load_u16 v2, v[0:1], off
.LBB46_1393:
	s_mov_b32 s11, 0
.LBB46_1394:
	s_delay_alu instid0(SALU_CYCLE_1)
	s_and_not1_b32 vcc_lo, exec_lo, s11
	s_cbranch_vccnz .LBB46_1400
; %bb.1395:
	global_load_u8 v3, v[0:1], off
	s_mov_b32 s11, 0
	s_mov_b32 s12, exec_lo
                                        ; implicit-def: $sgpr13
	s_waitcnt vmcnt(0)
	v_cmpx_lt_i16_e32 0x7f, v3
	s_xor_b32 s12, exec_lo, s12
	s_cbranch_execz .LBB46_1412
; %bb.1396:
	v_cmp_ne_u16_e32 vcc_lo, 0x80, v3
	s_mov_b32 s13, 0
	s_and_b32 s11, vcc_lo, exec_lo
	s_or_saveexec_b32 s12, s12
	v_mov_b32_e32 v2, s13
	s_xor_b32 exec_lo, exec_lo, s12
	s_cbranch_execnz .LBB46_1413
.LBB46_1397:
	s_or_b32 exec_lo, exec_lo, s12
	s_and_saveexec_b32 s12, s11
	s_cbranch_execz .LBB46_1399
.LBB46_1398:
	v_and_b32_e32 v2, 0xffff, v3
	v_lshlrev_b32_e32 v3, 24, v3
	s_delay_alu instid0(VALU_DEP_2) | instskip(NEXT) | instid1(VALU_DEP_2)
	v_and_b32_e32 v7, 7, v2
	v_and_b32_e32 v3, 0x80000000, v3
	s_delay_alu instid0(VALU_DEP_2) | instskip(NEXT) | instid1(VALU_DEP_1)
	v_clz_i32_u32_e32 v8, v7
	v_min_u32_e32 v8, 32, v8
	s_delay_alu instid0(VALU_DEP_1) | instskip(SKIP_1) | instid1(VALU_DEP_2)
	v_subrev_nc_u32_e32 v12, 28, v8
	v_sub_nc_u32_e32 v8, 29, v8
	v_lshlrev_b32_e32 v12, v12, v2
	v_bfe_u32 v2, v2, 3, 4
	s_delay_alu instid0(VALU_DEP_2) | instskip(NEXT) | instid1(VALU_DEP_2)
	v_and_b32_e32 v12, 7, v12
	v_cmp_eq_u32_e32 vcc_lo, 0, v2
	v_cndmask_b32_e32 v2, v2, v8, vcc_lo
	s_delay_alu instid0(VALU_DEP_3) | instskip(NEXT) | instid1(VALU_DEP_2)
	v_cndmask_b32_e32 v7, v7, v12, vcc_lo
	v_lshl_add_u32 v2, v2, 23, 0x3b800000
	s_delay_alu instid0(VALU_DEP_2) | instskip(NEXT) | instid1(VALU_DEP_1)
	v_lshlrev_b32_e32 v7, 20, v7
	v_or3_b32 v2, v3, v2, v7
	s_delay_alu instid0(VALU_DEP_1)
	v_cvt_i32_f32_e32 v2, v2
.LBB46_1399:
	s_or_b32 exec_lo, exec_lo, s12
.LBB46_1400:
	s_mov_b32 s11, -1
.LBB46_1401:
	s_mov_b32 s12, 0
.LBB46_1402:
	s_delay_alu instid0(SALU_CYCLE_1)
	s_and_b32 vcc_lo, exec_lo, s12
	s_cbranch_vccz .LBB46_1433
; %bb.1403:
	v_cmp_lt_i16_e32 vcc_lo, 22, v11
	s_cbranch_vccz .LBB46_1411
; %bb.1404:
	v_cmp_gt_i16_e32 vcc_lo, 24, v11
	s_cbranch_vccnz .LBB46_1414
; %bb.1405:
	v_cmp_lt_i16_e32 vcc_lo, 24, v11
	s_cbranch_vccz .LBB46_1415
; %bb.1406:
	global_load_u8 v3, v[0:1], off
	s_mov_b32 s11, exec_lo
                                        ; implicit-def: $sgpr12
	s_waitcnt vmcnt(0)
	v_cmpx_lt_i16_e32 0x7f, v3
	s_xor_b32 s11, exec_lo, s11
	s_cbranch_execz .LBB46_1427
; %bb.1407:
	v_cmp_ne_u16_e32 vcc_lo, 0x80, v3
	s_mov_b32 s12, 0
	s_and_b32 s10, vcc_lo, exec_lo
	s_or_saveexec_b32 s11, s11
	v_mov_b32_e32 v2, s12
	s_xor_b32 exec_lo, exec_lo, s11
	s_cbranch_execnz .LBB46_1428
.LBB46_1408:
	s_or_b32 exec_lo, exec_lo, s11
	s_and_saveexec_b32 s11, s10
	s_cbranch_execz .LBB46_1410
.LBB46_1409:
	v_and_b32_e32 v2, 0xffff, v3
	v_lshlrev_b32_e32 v3, 24, v3
	s_delay_alu instid0(VALU_DEP_2) | instskip(NEXT) | instid1(VALU_DEP_2)
	v_and_b32_e32 v7, 3, v2
	v_and_b32_e32 v3, 0x80000000, v3
	s_delay_alu instid0(VALU_DEP_2) | instskip(NEXT) | instid1(VALU_DEP_1)
	v_clz_i32_u32_e32 v8, v7
	v_min_u32_e32 v8, 32, v8
	s_delay_alu instid0(VALU_DEP_1) | instskip(SKIP_1) | instid1(VALU_DEP_2)
	v_subrev_nc_u32_e32 v12, 29, v8
	v_sub_nc_u32_e32 v8, 30, v8
	v_lshlrev_b32_e32 v12, v12, v2
	v_bfe_u32 v2, v2, 2, 5
	s_delay_alu instid0(VALU_DEP_2) | instskip(NEXT) | instid1(VALU_DEP_2)
	v_and_b32_e32 v12, 3, v12
	v_cmp_eq_u32_e32 vcc_lo, 0, v2
	v_cndmask_b32_e32 v2, v2, v8, vcc_lo
	s_delay_alu instid0(VALU_DEP_3) | instskip(NEXT) | instid1(VALU_DEP_2)
	v_cndmask_b32_e32 v7, v7, v12, vcc_lo
	v_lshl_add_u32 v2, v2, 23, 0x37800000
	s_delay_alu instid0(VALU_DEP_2) | instskip(NEXT) | instid1(VALU_DEP_1)
	v_lshlrev_b32_e32 v7, 21, v7
	v_or3_b32 v2, v3, v2, v7
	s_delay_alu instid0(VALU_DEP_1)
	v_cvt_i32_f32_e32 v2, v2
.LBB46_1410:
	s_or_b32 exec_lo, exec_lo, s11
	s_mov_b32 s10, 0
	s_branch .LBB46_1416
.LBB46_1411:
	s_mov_b32 s10, -1
                                        ; implicit-def: $vgpr2
	s_branch .LBB46_1422
.LBB46_1412:
	s_or_saveexec_b32 s12, s12
	v_mov_b32_e32 v2, s13
	s_xor_b32 exec_lo, exec_lo, s12
	s_cbranch_execz .LBB46_1397
.LBB46_1413:
	v_cmp_ne_u16_e32 vcc_lo, 0, v3
	v_mov_b32_e32 v2, 0
	s_and_not1_b32 s11, s11, exec_lo
	s_and_b32 s13, vcc_lo, exec_lo
	s_delay_alu instid0(SALU_CYCLE_1)
	s_or_b32 s11, s11, s13
	s_or_b32 exec_lo, exec_lo, s12
	s_and_saveexec_b32 s12, s11
	s_cbranch_execnz .LBB46_1398
	s_branch .LBB46_1399
.LBB46_1414:
	s_mov_b32 s10, -1
                                        ; implicit-def: $vgpr2
	s_branch .LBB46_1419
.LBB46_1415:
	s_mov_b32 s10, -1
                                        ; implicit-def: $vgpr2
.LBB46_1416:
	s_delay_alu instid0(SALU_CYCLE_1)
	s_and_b32 vcc_lo, exec_lo, s10
	s_cbranch_vccz .LBB46_1418
; %bb.1417:
	global_load_u8 v2, v[0:1], off
	s_waitcnt vmcnt(0)
	v_lshlrev_b32_e32 v2, 24, v2
	s_delay_alu instid0(VALU_DEP_1) | instskip(NEXT) | instid1(VALU_DEP_1)
	v_and_b32_e32 v3, 0x7f000000, v2
	v_clz_i32_u32_e32 v7, v3
	v_add_nc_u32_e32 v12, 0x1000000, v3
	v_cmp_ne_u32_e32 vcc_lo, 0, v3
	s_delay_alu instid0(VALU_DEP_3) | instskip(NEXT) | instid1(VALU_DEP_1)
	v_min_u32_e32 v7, 32, v7
	v_sub_nc_u32_e64 v7, v7, 4 clamp
	s_delay_alu instid0(VALU_DEP_1) | instskip(SKIP_1) | instid1(VALU_DEP_2)
	v_lshlrev_b32_e32 v8, v7, v3
	v_lshlrev_b32_e32 v7, 23, v7
	v_lshrrev_b32_e32 v8, 4, v8
	s_delay_alu instid0(VALU_DEP_1) | instskip(SKIP_1) | instid1(VALU_DEP_2)
	v_sub_nc_u32_e32 v7, v8, v7
	v_ashrrev_i32_e32 v8, 8, v12
	v_add_nc_u32_e32 v7, 0x3c000000, v7
	s_delay_alu instid0(VALU_DEP_1) | instskip(NEXT) | instid1(VALU_DEP_1)
	v_and_or_b32 v7, 0x7f800000, v8, v7
	v_cndmask_b32_e32 v3, 0, v7, vcc_lo
	s_delay_alu instid0(VALU_DEP_1) | instskip(NEXT) | instid1(VALU_DEP_1)
	v_and_or_b32 v2, 0x80000000, v2, v3
	v_cvt_i32_f32_e32 v2, v2
.LBB46_1418:
	s_mov_b32 s10, 0
.LBB46_1419:
	s_delay_alu instid0(SALU_CYCLE_1)
	s_and_not1_b32 vcc_lo, exec_lo, s10
	s_cbranch_vccnz .LBB46_1421
; %bb.1420:
	global_load_u8 v2, v[0:1], off
	s_waitcnt vmcnt(0)
	v_lshlrev_b32_e32 v3, 25, v2
	v_lshlrev_b16 v2, 8, v2
	s_delay_alu instid0(VALU_DEP_1) | instskip(SKIP_1) | instid1(VALU_DEP_2)
	v_and_or_b32 v8, 0x7f00, v2, 0.5
	v_bfe_i32 v2, v2, 0, 16
	v_add_f32_e32 v8, -0.5, v8
	v_lshrrev_b32_e32 v7, 4, v3
	v_cmp_gt_u32_e32 vcc_lo, 0x8000000, v3
	s_delay_alu instid0(VALU_DEP_2) | instskip(NEXT) | instid1(VALU_DEP_1)
	v_or_b32_e32 v7, 0x70000000, v7
	v_mul_f32_e32 v7, 0x7800000, v7
	s_delay_alu instid0(VALU_DEP_1) | instskip(NEXT) | instid1(VALU_DEP_1)
	v_cndmask_b32_e32 v3, v7, v8, vcc_lo
	v_and_or_b32 v2, 0x80000000, v2, v3
	s_delay_alu instid0(VALU_DEP_1)
	v_cvt_i32_f32_e32 v2, v2
.LBB46_1421:
	s_mov_b32 s10, 0
	s_mov_b32 s11, -1
.LBB46_1422:
	s_and_not1_b32 vcc_lo, exec_lo, s10
	s_mov_b32 s10, 0
	s_cbranch_vccnz .LBB46_1433
; %bb.1423:
	v_cmp_lt_i16_e32 vcc_lo, 14, v11
	s_cbranch_vccz .LBB46_1426
; %bb.1424:
	v_cmp_eq_u16_e32 vcc_lo, 15, v11
	s_cbranch_vccz .LBB46_1429
; %bb.1425:
	global_load_u16 v2, v[0:1], off
	s_mov_b32 s0, 0
	s_mov_b32 s11, -1
	s_waitcnt vmcnt(0)
	v_lshlrev_b32_e32 v2, 16, v2
	s_delay_alu instid0(VALU_DEP_1)
	v_cvt_i32_f32_e32 v2, v2
	s_branch .LBB46_1431
.LBB46_1426:
	s_mov_b32 s10, -1
	s_branch .LBB46_1430
.LBB46_1427:
	s_or_saveexec_b32 s11, s11
	v_mov_b32_e32 v2, s12
	s_xor_b32 exec_lo, exec_lo, s11
	s_cbranch_execz .LBB46_1408
.LBB46_1428:
	v_cmp_ne_u16_e32 vcc_lo, 0, v3
	v_mov_b32_e32 v2, 0
	s_and_not1_b32 s10, s10, exec_lo
	s_and_b32 s12, vcc_lo, exec_lo
	s_delay_alu instid0(SALU_CYCLE_1)
	s_or_b32 s10, s10, s12
	s_or_b32 exec_lo, exec_lo, s11
	s_and_saveexec_b32 s11, s10
	s_cbranch_execnz .LBB46_1409
	s_branch .LBB46_1410
.LBB46_1429:
	s_mov_b32 s0, -1
.LBB46_1430:
                                        ; implicit-def: $vgpr2
.LBB46_1431:
	s_and_b32 vcc_lo, exec_lo, s10
	s_mov_b32 s10, 0
	s_cbranch_vccz .LBB46_1433
; %bb.1432:
	v_cmp_ne_u16_e64 s0, 11, v11
	s_mov_b32 s10, -1
                                        ; implicit-def: $vgpr2
.LBB46_1433:
	s_delay_alu instid0(VALU_DEP_1)
	s_and_b32 vcc_lo, exec_lo, s0
	s_cbranch_vccnz .LBB46_1449
; %bb.1434:
	s_and_not1_b32 vcc_lo, exec_lo, s10
	s_cbranch_vccnz .LBB46_1436
.LBB46_1435:
	global_load_u8 v2, v[0:1], off
	s_mov_b32 s11, -1
	s_waitcnt vmcnt(0)
	v_cmp_ne_u16_e32 vcc_lo, 0, v2
	v_cndmask_b32_e64 v2, 0, 1, vcc_lo
.LBB46_1436:
.LBB46_1437:
	s_and_not1_b32 vcc_lo, exec_lo, s11
	s_cbranch_vccnz .LBB46_1326
.LBB46_1438:
	v_add_nc_u32_e32 v0, s3, v5
	v_cmp_gt_i16_e32 vcc_lo, 11, v11
	s_delay_alu instid0(VALU_DEP_2) | instskip(SKIP_1) | instid1(VALU_DEP_1)
	v_ashrrev_i32_e32 v1, 31, v0
	v_add_co_u32 v7, s0, s6, v0
	v_add_co_ci_u32_e64 v8, s0, s7, v1, s0
	s_cbranch_vccnz .LBB46_1445
; %bb.1439:
	v_cmp_lt_i16_e32 vcc_lo, 25, v11
	s_mov_b32 s3, 0
	s_cbranch_vccz .LBB46_1446
; %bb.1440:
	v_cmp_lt_i16_e32 vcc_lo, 28, v11
	s_cbranch_vccz .LBB46_1447
; %bb.1441:
	v_cmp_lt_i16_e32 vcc_lo, 43, v11
	;; [unrolled: 3-line block ×3, first 2 shown]
	s_cbranch_vccz .LBB46_1451
; %bb.1443:
	v_cmp_eq_u16_e32 vcc_lo, 46, v11
	s_mov_b32 s7, 0
	s_cbranch_vccz .LBB46_1454
; %bb.1444:
	global_load_b32 v0, v[7:8], off
	s_mov_b32 s0, 0
	s_mov_b32 s6, -1
	s_waitcnt vmcnt(0)
	v_lshlrev_b32_e32 v0, 16, v0
	s_delay_alu instid0(VALU_DEP_1)
	v_cvt_i32_f32_e32 v0, v0
	s_branch .LBB46_1456
.LBB46_1445:
	s_mov_b32 s0, -1
	s_mov_b32 s6, 0
                                        ; implicit-def: $vgpr0
	s_branch .LBB46_1518
.LBB46_1446:
	s_mov_b32 s7, -1
	s_mov_b32 s6, 0
	s_mov_b32 s0, 0
                                        ; implicit-def: $vgpr0
	s_branch .LBB46_1483
.LBB46_1447:
	s_mov_b32 s7, -1
	s_mov_b32 s6, 0
	s_mov_b32 s0, 0
                                        ; implicit-def: $vgpr0
	s_branch .LBB46_1466
.LBB46_1448:
	s_mov_b32 s7, -1
	s_mov_b32 s6, 0
	s_mov_b32 s0, 0
                                        ; implicit-def: $vgpr0
	s_branch .LBB46_1461
.LBB46_1449:
	s_cbranch_execnz .LBB46_1452
; %bb.1450:
	s_or_b32 s1, s1, exec_lo
                                        ; implicit-def: $vgpr2
	s_cbranch_execz .LBB46_1435
	s_branch .LBB46_1436
.LBB46_1451:
	s_mov_b32 s7, -1
	s_mov_b32 s6, 0
	s_mov_b32 s0, 0
	s_branch .LBB46_1455
.LBB46_1452:
	s_trap 2
	s_sendmsg_rtn_b32 s0, sendmsg(MSG_RTN_GET_DOORBELL)
	s_mov_b32 ttmp2, m0
	s_waitcnt lgkmcnt(0)
	s_and_b32 s0, s0, 0x3ff
	s_delay_alu instid0(SALU_CYCLE_1) | instskip(NEXT) | instid1(SALU_CYCLE_1)
	s_bitset1_b32 s0, 10
	s_mov_b32 m0, s0
	s_sendmsg sendmsg(MSG_INTERRUPT)
	s_mov_b32 m0, ttmp2
.LBB46_1453:                            ; =>This Inner Loop Header: Depth=1
	s_sethalt 5
	s_branch .LBB46_1453
.LBB46_1454:
	s_mov_b32 s0, -1
	s_mov_b32 s6, 0
.LBB46_1455:
                                        ; implicit-def: $vgpr0
.LBB46_1456:
	s_and_b32 vcc_lo, exec_lo, s7
	s_cbranch_vccz .LBB46_1460
; %bb.1457:
	v_cmp_eq_u16_e32 vcc_lo, 44, v11
	s_cbranch_vccz .LBB46_1459
; %bb.1458:
	global_load_u8 v0, v[7:8], off
	s_mov_b32 s0, 0
	s_mov_b32 s6, -1
	s_waitcnt vmcnt(0)
	v_lshlrev_b32_e32 v1, 23, v0
	v_cmp_ne_u32_e32 vcc_lo, 0, v0
	s_delay_alu instid0(VALU_DEP_2) | instskip(NEXT) | instid1(VALU_DEP_1)
	v_cvt_i32_f32_e32 v1, v1
	v_cndmask_b32_e32 v0, 0, v1, vcc_lo
	s_branch .LBB46_1460
.LBB46_1459:
	s_mov_b32 s0, -1
                                        ; implicit-def: $vgpr0
.LBB46_1460:
	s_mov_b32 s7, 0
.LBB46_1461:
	s_delay_alu instid0(SALU_CYCLE_1)
	s_and_b32 vcc_lo, exec_lo, s7
	s_cbranch_vccz .LBB46_1465
; %bb.1462:
	v_cmp_eq_u16_e32 vcc_lo, 29, v11
	s_cbranch_vccz .LBB46_1464
; %bb.1463:
	global_load_b64 v[0:1], v[7:8], off
	s_mov_b32 s0, 0
	s_mov_b32 s6, -1
	s_branch .LBB46_1465
.LBB46_1464:
	s_mov_b32 s0, -1
                                        ; implicit-def: $vgpr0
.LBB46_1465:
	s_mov_b32 s7, 0
.LBB46_1466:
	s_delay_alu instid0(SALU_CYCLE_1)
	s_and_b32 vcc_lo, exec_lo, s7
	s_cbranch_vccz .LBB46_1482
; %bb.1467:
	v_cmp_gt_i16_e32 vcc_lo, 27, v11
	s_cbranch_vccnz .LBB46_1470
; %bb.1468:
	v_cmp_lt_i16_e32 vcc_lo, 27, v11
	s_cbranch_vccz .LBB46_1471
; %bb.1469:
	global_load_b32 v0, v[7:8], off
	s_mov_b32 s6, 0
	s_branch .LBB46_1472
.LBB46_1470:
	s_mov_b32 s6, -1
                                        ; implicit-def: $vgpr0
	s_branch .LBB46_1475
.LBB46_1471:
	s_mov_b32 s6, -1
                                        ; implicit-def: $vgpr0
.LBB46_1472:
	s_delay_alu instid0(SALU_CYCLE_1)
	s_and_not1_b32 vcc_lo, exec_lo, s6
	s_cbranch_vccnz .LBB46_1474
; %bb.1473:
	global_load_u16 v0, v[7:8], off
.LBB46_1474:
	s_mov_b32 s6, 0
.LBB46_1475:
	s_delay_alu instid0(SALU_CYCLE_1)
	s_and_not1_b32 vcc_lo, exec_lo, s6
	s_cbranch_vccnz .LBB46_1481
; %bb.1476:
	global_load_u8 v1, v[7:8], off
	s_mov_b32 s6, 0
	s_mov_b32 s7, exec_lo
                                        ; implicit-def: $sgpr10
	s_waitcnt vmcnt(0)
	v_cmpx_lt_i16_e32 0x7f, v1
	s_xor_b32 s7, exec_lo, s7
	s_cbranch_execz .LBB46_1493
; %bb.1477:
	v_cmp_ne_u16_e32 vcc_lo, 0x80, v1
	s_mov_b32 s10, 0
	s_and_b32 s6, vcc_lo, exec_lo
	s_or_saveexec_b32 s7, s7
	v_mov_b32_e32 v0, s10
	s_xor_b32 exec_lo, exec_lo, s7
	s_cbranch_execnz .LBB46_1494
.LBB46_1478:
	s_or_b32 exec_lo, exec_lo, s7
	s_and_saveexec_b32 s7, s6
	s_cbranch_execz .LBB46_1480
.LBB46_1479:
	v_and_b32_e32 v0, 0xffff, v1
	v_lshlrev_b32_e32 v1, 24, v1
	s_delay_alu instid0(VALU_DEP_2) | instskip(NEXT) | instid1(VALU_DEP_2)
	v_and_b32_e32 v3, 7, v0
	v_and_b32_e32 v1, 0x80000000, v1
	s_delay_alu instid0(VALU_DEP_2) | instskip(NEXT) | instid1(VALU_DEP_1)
	v_clz_i32_u32_e32 v5, v3
	v_min_u32_e32 v5, 32, v5
	s_delay_alu instid0(VALU_DEP_1) | instskip(SKIP_1) | instid1(VALU_DEP_2)
	v_subrev_nc_u32_e32 v12, 28, v5
	v_sub_nc_u32_e32 v5, 29, v5
	v_lshlrev_b32_e32 v12, v12, v0
	v_bfe_u32 v0, v0, 3, 4
	s_delay_alu instid0(VALU_DEP_2) | instskip(NEXT) | instid1(VALU_DEP_2)
	v_and_b32_e32 v12, 7, v12
	v_cmp_eq_u32_e32 vcc_lo, 0, v0
	s_delay_alu instid0(VALU_DEP_2) | instskip(NEXT) | instid1(VALU_DEP_1)
	v_dual_cndmask_b32 v0, v0, v5 :: v_dual_cndmask_b32 v3, v3, v12
	v_lshl_add_u32 v0, v0, 23, 0x3b800000
	s_delay_alu instid0(VALU_DEP_2) | instskip(NEXT) | instid1(VALU_DEP_1)
	v_lshlrev_b32_e32 v3, 20, v3
	v_or3_b32 v0, v1, v0, v3
	s_delay_alu instid0(VALU_DEP_1)
	v_cvt_i32_f32_e32 v0, v0
.LBB46_1480:
	s_or_b32 exec_lo, exec_lo, s7
.LBB46_1481:
	s_mov_b32 s6, -1
.LBB46_1482:
	s_mov_b32 s7, 0
.LBB46_1483:
	s_delay_alu instid0(SALU_CYCLE_1)
	s_and_b32 vcc_lo, exec_lo, s7
	s_cbranch_vccz .LBB46_1514
; %bb.1484:
	v_cmp_lt_i16_e32 vcc_lo, 22, v11
	s_cbranch_vccz .LBB46_1492
; %bb.1485:
	v_cmp_gt_i16_e32 vcc_lo, 24, v11
	s_cbranch_vccnz .LBB46_1495
; %bb.1486:
	v_cmp_lt_i16_e32 vcc_lo, 24, v11
	s_cbranch_vccz .LBB46_1496
; %bb.1487:
	global_load_u8 v1, v[7:8], off
	s_mov_b32 s6, exec_lo
                                        ; implicit-def: $sgpr7
	s_waitcnt vmcnt(0)
	v_cmpx_lt_i16_e32 0x7f, v1
	s_xor_b32 s6, exec_lo, s6
	s_cbranch_execz .LBB46_1508
; %bb.1488:
	v_cmp_ne_u16_e32 vcc_lo, 0x80, v1
	s_mov_b32 s7, 0
	s_and_b32 s3, vcc_lo, exec_lo
	s_or_saveexec_b32 s6, s6
	v_mov_b32_e32 v0, s7
	s_xor_b32 exec_lo, exec_lo, s6
	s_cbranch_execnz .LBB46_1509
.LBB46_1489:
	s_or_b32 exec_lo, exec_lo, s6
	s_and_saveexec_b32 s6, s3
	s_cbranch_execz .LBB46_1491
.LBB46_1490:
	v_and_b32_e32 v0, 0xffff, v1
	v_lshlrev_b32_e32 v1, 24, v1
	s_delay_alu instid0(VALU_DEP_2) | instskip(NEXT) | instid1(VALU_DEP_2)
	v_and_b32_e32 v3, 3, v0
	v_and_b32_e32 v1, 0x80000000, v1
	s_delay_alu instid0(VALU_DEP_2) | instskip(NEXT) | instid1(VALU_DEP_1)
	v_clz_i32_u32_e32 v5, v3
	v_min_u32_e32 v5, 32, v5
	s_delay_alu instid0(VALU_DEP_1) | instskip(SKIP_1) | instid1(VALU_DEP_2)
	v_subrev_nc_u32_e32 v12, 29, v5
	v_sub_nc_u32_e32 v5, 30, v5
	v_lshlrev_b32_e32 v12, v12, v0
	v_bfe_u32 v0, v0, 2, 5
	s_delay_alu instid0(VALU_DEP_2) | instskip(NEXT) | instid1(VALU_DEP_2)
	v_and_b32_e32 v12, 3, v12
	v_cmp_eq_u32_e32 vcc_lo, 0, v0
	s_delay_alu instid0(VALU_DEP_2) | instskip(NEXT) | instid1(VALU_DEP_1)
	v_dual_cndmask_b32 v0, v0, v5 :: v_dual_cndmask_b32 v3, v3, v12
	v_lshl_add_u32 v0, v0, 23, 0x37800000
	s_delay_alu instid0(VALU_DEP_2) | instskip(NEXT) | instid1(VALU_DEP_1)
	v_lshlrev_b32_e32 v3, 21, v3
	v_or3_b32 v0, v1, v0, v3
	s_delay_alu instid0(VALU_DEP_1)
	v_cvt_i32_f32_e32 v0, v0
.LBB46_1491:
	s_or_b32 exec_lo, exec_lo, s6
	s_mov_b32 s3, 0
	s_branch .LBB46_1497
.LBB46_1492:
	s_mov_b32 s3, -1
                                        ; implicit-def: $vgpr0
	s_branch .LBB46_1503
.LBB46_1493:
	s_or_saveexec_b32 s7, s7
	v_mov_b32_e32 v0, s10
	s_xor_b32 exec_lo, exec_lo, s7
	s_cbranch_execz .LBB46_1478
.LBB46_1494:
	v_cmp_ne_u16_e32 vcc_lo, 0, v1
	v_mov_b32_e32 v0, 0
	s_and_not1_b32 s6, s6, exec_lo
	s_and_b32 s10, vcc_lo, exec_lo
	s_delay_alu instid0(SALU_CYCLE_1)
	s_or_b32 s6, s6, s10
	s_or_b32 exec_lo, exec_lo, s7
	s_and_saveexec_b32 s7, s6
	s_cbranch_execnz .LBB46_1479
	s_branch .LBB46_1480
.LBB46_1495:
	s_mov_b32 s3, -1
                                        ; implicit-def: $vgpr0
	s_branch .LBB46_1500
.LBB46_1496:
	s_mov_b32 s3, -1
                                        ; implicit-def: $vgpr0
.LBB46_1497:
	s_delay_alu instid0(SALU_CYCLE_1)
	s_and_b32 vcc_lo, exec_lo, s3
	s_cbranch_vccz .LBB46_1499
; %bb.1498:
	global_load_u8 v0, v[7:8], off
	s_waitcnt vmcnt(0)
	v_lshlrev_b32_e32 v0, 24, v0
	s_delay_alu instid0(VALU_DEP_1) | instskip(NEXT) | instid1(VALU_DEP_1)
	v_and_b32_e32 v1, 0x7f000000, v0
	v_clz_i32_u32_e32 v3, v1
	v_add_nc_u32_e32 v12, 0x1000000, v1
	v_cmp_ne_u32_e32 vcc_lo, 0, v1
	s_delay_alu instid0(VALU_DEP_3) | instskip(NEXT) | instid1(VALU_DEP_1)
	v_min_u32_e32 v3, 32, v3
	v_sub_nc_u32_e64 v3, v3, 4 clamp
	s_delay_alu instid0(VALU_DEP_1) | instskip(SKIP_1) | instid1(VALU_DEP_2)
	v_lshlrev_b32_e32 v5, v3, v1
	v_lshlrev_b32_e32 v3, 23, v3
	v_lshrrev_b32_e32 v5, 4, v5
	s_delay_alu instid0(VALU_DEP_1) | instskip(SKIP_1) | instid1(VALU_DEP_2)
	v_sub_nc_u32_e32 v3, v5, v3
	v_ashrrev_i32_e32 v5, 8, v12
	v_add_nc_u32_e32 v3, 0x3c000000, v3
	s_delay_alu instid0(VALU_DEP_1) | instskip(NEXT) | instid1(VALU_DEP_1)
	v_and_or_b32 v3, 0x7f800000, v5, v3
	v_cndmask_b32_e32 v1, 0, v3, vcc_lo
	s_delay_alu instid0(VALU_DEP_1) | instskip(NEXT) | instid1(VALU_DEP_1)
	v_and_or_b32 v0, 0x80000000, v0, v1
	v_cvt_i32_f32_e32 v0, v0
.LBB46_1499:
	s_mov_b32 s3, 0
.LBB46_1500:
	s_delay_alu instid0(SALU_CYCLE_1)
	s_and_not1_b32 vcc_lo, exec_lo, s3
	s_cbranch_vccnz .LBB46_1502
; %bb.1501:
	global_load_u8 v0, v[7:8], off
	s_waitcnt vmcnt(0)
	v_lshlrev_b32_e32 v1, 25, v0
	v_lshlrev_b16 v0, 8, v0
	s_delay_alu instid0(VALU_DEP_2) | instskip(NEXT) | instid1(VALU_DEP_2)
	v_lshrrev_b32_e32 v3, 4, v1
	v_and_or_b32 v5, 0x7f00, v0, 0.5
	v_cmp_gt_u32_e32 vcc_lo, 0x8000000, v1
	v_bfe_i32 v0, v0, 0, 16
	s_delay_alu instid0(VALU_DEP_4) | instskip(NEXT) | instid1(VALU_DEP_4)
	v_or_b32_e32 v3, 0x70000000, v3
	v_add_f32_e32 v5, -0.5, v5
	s_delay_alu instid0(VALU_DEP_2) | instskip(NEXT) | instid1(VALU_DEP_1)
	v_mul_f32_e32 v3, 0x7800000, v3
	v_cndmask_b32_e32 v1, v3, v5, vcc_lo
	s_delay_alu instid0(VALU_DEP_1) | instskip(NEXT) | instid1(VALU_DEP_1)
	v_and_or_b32 v0, 0x80000000, v0, v1
	v_cvt_i32_f32_e32 v0, v0
.LBB46_1502:
	s_mov_b32 s3, 0
	s_mov_b32 s6, -1
.LBB46_1503:
	s_and_not1_b32 vcc_lo, exec_lo, s3
	s_mov_b32 s3, 0
	s_cbranch_vccnz .LBB46_1514
; %bb.1504:
	v_cmp_lt_i16_e32 vcc_lo, 14, v11
	s_cbranch_vccz .LBB46_1507
; %bb.1505:
	v_cmp_eq_u16_e32 vcc_lo, 15, v11
	s_cbranch_vccz .LBB46_1510
; %bb.1506:
	global_load_u16 v0, v[7:8], off
	s_mov_b32 s0, 0
	s_mov_b32 s6, -1
	s_waitcnt vmcnt(0)
	v_lshlrev_b32_e32 v0, 16, v0
	s_delay_alu instid0(VALU_DEP_1)
	v_cvt_i32_f32_e32 v0, v0
	s_branch .LBB46_1512
.LBB46_1507:
	s_mov_b32 s3, -1
	s_branch .LBB46_1511
.LBB46_1508:
	s_or_saveexec_b32 s6, s6
	v_mov_b32_e32 v0, s7
	s_xor_b32 exec_lo, exec_lo, s6
	s_cbranch_execz .LBB46_1489
.LBB46_1509:
	v_cmp_ne_u16_e32 vcc_lo, 0, v1
	v_mov_b32_e32 v0, 0
	s_and_not1_b32 s3, s3, exec_lo
	s_and_b32 s7, vcc_lo, exec_lo
	s_delay_alu instid0(SALU_CYCLE_1)
	s_or_b32 s3, s3, s7
	s_or_b32 exec_lo, exec_lo, s6
	s_and_saveexec_b32 s6, s3
	s_cbranch_execnz .LBB46_1490
	s_branch .LBB46_1491
.LBB46_1510:
	s_mov_b32 s0, -1
.LBB46_1511:
                                        ; implicit-def: $vgpr0
.LBB46_1512:
	s_and_b32 vcc_lo, exec_lo, s3
	s_mov_b32 s3, 0
	s_cbranch_vccz .LBB46_1514
; %bb.1513:
	v_cmp_ne_u16_e64 s0, 11, v11
	s_mov_b32 s3, -1
                                        ; implicit-def: $vgpr0
.LBB46_1514:
	s_delay_alu instid0(VALU_DEP_1)
	s_and_b32 vcc_lo, exec_lo, s0
	s_cbranch_vccnz .LBB46_1999
; %bb.1515:
	s_and_not1_b32 vcc_lo, exec_lo, s3
	s_cbranch_vccnz .LBB46_1517
.LBB46_1516:
	global_load_u8 v0, v[7:8], off
	s_mov_b32 s6, -1
	s_waitcnt vmcnt(0)
	v_cmp_ne_u16_e32 vcc_lo, 0, v0
	v_cndmask_b32_e64 v0, 0, 1, vcc_lo
.LBB46_1517:
	s_mov_b32 s0, 0
.LBB46_1518:
	s_delay_alu instid0(SALU_CYCLE_1)
	s_and_b32 vcc_lo, exec_lo, s0
	s_cbranch_vccz .LBB46_1567
; %bb.1519:
	v_cmp_gt_i16_e32 vcc_lo, 5, v11
	s_cbranch_vccnz .LBB46_1524
; %bb.1520:
	v_cmp_gt_i16_e32 vcc_lo, 8, v11
	s_cbranch_vccnz .LBB46_1525
	;; [unrolled: 3-line block ×3, first 2 shown]
; %bb.1522:
	v_cmp_lt_i16_e32 vcc_lo, 9, v11
	s_cbranch_vccz .LBB46_1527
; %bb.1523:
	global_load_b64 v[0:1], v[7:8], off
	s_mov_b32 s0, 0
	s_waitcnt vmcnt(0)
	v_cvt_i32_f64_e32 v0, v[0:1]
	s_branch .LBB46_1528
.LBB46_1524:
	s_mov_b32 s0, -1
                                        ; implicit-def: $vgpr0
	s_branch .LBB46_1546
.LBB46_1525:
	s_mov_b32 s0, -1
                                        ; implicit-def: $vgpr0
	s_branch .LBB46_1534
.LBB46_1526:
	s_mov_b32 s0, -1
                                        ; implicit-def: $vgpr0
	s_branch .LBB46_1531
.LBB46_1527:
	s_mov_b32 s0, -1
                                        ; implicit-def: $vgpr0
.LBB46_1528:
	s_delay_alu instid0(SALU_CYCLE_1)
	s_and_not1_b32 vcc_lo, exec_lo, s0
	s_cbranch_vccnz .LBB46_1530
; %bb.1529:
	global_load_b32 v0, v[7:8], off
	s_waitcnt vmcnt(0)
	v_cvt_i32_f32_e32 v0, v0
.LBB46_1530:
	s_mov_b32 s0, 0
.LBB46_1531:
	s_delay_alu instid0(SALU_CYCLE_1)
	s_and_not1_b32 vcc_lo, exec_lo, s0
	s_cbranch_vccnz .LBB46_1533
; %bb.1532:
	global_load_b32 v0, v[7:8], off
	s_waitcnt vmcnt(0)
	v_cvt_i16_f16_e32 v0, v0
.LBB46_1533:
	s_mov_b32 s0, 0
.LBB46_1534:
	s_delay_alu instid0(SALU_CYCLE_1)
	s_and_not1_b32 vcc_lo, exec_lo, s0
	s_cbranch_vccnz .LBB46_1545
; %bb.1535:
	v_cmp_gt_i16_e32 vcc_lo, 6, v11
	s_cbranch_vccnz .LBB46_1538
; %bb.1536:
	v_cmp_lt_i16_e32 vcc_lo, 6, v11
	s_cbranch_vccz .LBB46_1539
; %bb.1537:
	global_load_b64 v[0:1], v[7:8], off
	s_mov_b32 s0, 0
	s_waitcnt vmcnt(0)
	v_cvt_i32_f64_e32 v0, v[0:1]
	s_branch .LBB46_1540
.LBB46_1538:
	s_mov_b32 s0, -1
                                        ; implicit-def: $vgpr0
	s_branch .LBB46_1543
.LBB46_1539:
	s_mov_b32 s0, -1
                                        ; implicit-def: $vgpr0
.LBB46_1540:
	s_delay_alu instid0(SALU_CYCLE_1)
	s_and_not1_b32 vcc_lo, exec_lo, s0
	s_cbranch_vccnz .LBB46_1542
; %bb.1541:
	global_load_b32 v0, v[7:8], off
	s_waitcnt vmcnt(0)
	v_cvt_i32_f32_e32 v0, v0
.LBB46_1542:
	s_mov_b32 s0, 0
.LBB46_1543:
	s_delay_alu instid0(SALU_CYCLE_1)
	s_and_not1_b32 vcc_lo, exec_lo, s0
	s_cbranch_vccnz .LBB46_1545
; %bb.1544:
	global_load_u16 v0, v[7:8], off
	s_waitcnt vmcnt(0)
	v_cvt_i16_f16_e32 v0, v0
.LBB46_1545:
	s_mov_b32 s0, 0
.LBB46_1546:
	s_delay_alu instid0(SALU_CYCLE_1)
	s_and_not1_b32 vcc_lo, exec_lo, s0
	s_cbranch_vccnz .LBB46_1566
; %bb.1547:
	v_cmp_gt_i16_e32 vcc_lo, 2, v11
	s_cbranch_vccnz .LBB46_1551
; %bb.1548:
	v_cmp_gt_i16_e32 vcc_lo, 3, v11
	s_cbranch_vccnz .LBB46_1552
; %bb.1549:
	v_cmp_lt_i16_e32 vcc_lo, 3, v11
	s_cbranch_vccz .LBB46_1553
; %bb.1550:
	global_load_b64 v[0:1], v[7:8], off
	s_mov_b32 s0, 0
	s_branch .LBB46_1554
.LBB46_1551:
	s_mov_b32 s0, -1
                                        ; implicit-def: $vgpr0
	s_branch .LBB46_1560
.LBB46_1552:
	s_mov_b32 s0, -1
                                        ; implicit-def: $vgpr0
	s_branch .LBB46_1557
.LBB46_1553:
	s_mov_b32 s0, -1
                                        ; implicit-def: $vgpr0
.LBB46_1554:
	s_delay_alu instid0(SALU_CYCLE_1)
	s_and_not1_b32 vcc_lo, exec_lo, s0
	s_cbranch_vccnz .LBB46_1556
; %bb.1555:
	global_load_b32 v0, v[7:8], off
.LBB46_1556:
	s_mov_b32 s0, 0
.LBB46_1557:
	s_delay_alu instid0(SALU_CYCLE_1)
	s_and_not1_b32 vcc_lo, exec_lo, s0
	s_cbranch_vccnz .LBB46_1559
; %bb.1558:
	global_load_u16 v0, v[7:8], off
.LBB46_1559:
	s_mov_b32 s0, 0
.LBB46_1560:
	s_delay_alu instid0(SALU_CYCLE_1)
	s_and_not1_b32 vcc_lo, exec_lo, s0
	s_cbranch_vccnz .LBB46_1566
; %bb.1561:
	v_cmp_lt_i16_e32 vcc_lo, 0, v11
	s_mov_b32 s0, 0
	s_cbranch_vccz .LBB46_1563
; %bb.1562:
	global_load_i8 v0, v[7:8], off
	s_branch .LBB46_1564
.LBB46_1563:
	s_mov_b32 s0, -1
                                        ; implicit-def: $vgpr0
.LBB46_1564:
	s_delay_alu instid0(SALU_CYCLE_1)
	s_and_not1_b32 vcc_lo, exec_lo, s0
	s_cbranch_vccnz .LBB46_1566
; %bb.1565:
	global_load_u8 v0, v[7:8], off
.LBB46_1566:
	s_mov_b32 s6, -1
.LBB46_1567:
	s_delay_alu instid0(SALU_CYCLE_1)
	s_and_not1_b32 vcc_lo, exec_lo, s6
	s_cbranch_vccnz .LBB46_1998
; %bb.1568:
	s_waitcnt vmcnt(0)
	v_mul_lo_u32 v1, s2, v10
	v_and_b32_e32 v12, 0xff, v9
	v_xor_b32_e32 v3, -1, v6
	s_mov_b32 s3, -1
	s_mov_b32 s6, 0
	s_delay_alu instid0(VALU_DEP_2) | instskip(NEXT) | instid1(VALU_DEP_4)
	v_cmp_gt_i16_e32 vcc_lo, 11, v12
	v_ashrrev_i32_e32 v5, 31, v1
	v_add_co_u32 v7, s0, s4, v1
	s_delay_alu instid0(VALU_DEP_1)
	v_add_co_ci_u32_e64 v8, s0, s5, v5, s0
	s_cbranch_vccnz .LBB46_1646
; %bb.1569:
	v_cmp_lt_i16_e32 vcc_lo, 25, v12
	s_mov_b32 s7, -1
	s_mov_b32 s3, 0
	s_mov_b32 s0, 0
	s_cbranch_vccz .LBB46_1602
; %bb.1570:
	v_cmp_lt_i16_e32 vcc_lo, 28, v12
	s_cbranch_vccz .LBB46_1585
; %bb.1571:
	v_cmp_lt_i16_e32 vcc_lo, 43, v12
	;; [unrolled: 3-line block ×3, first 2 shown]
	s_cbranch_vccz .LBB46_1575
; %bb.1573:
	v_cmp_eq_u16_e32 vcc_lo, 46, v12
	s_mov_b32 s0, -1
	s_mov_b32 s7, 0
	s_cbranch_vccz .LBB46_1575
; %bb.1574:
	v_bfe_i32 v5, v3, 0, 16
	s_mov_b32 s0, 0
	s_mov_b32 s6, -1
	s_delay_alu instid0(VALU_DEP_1) | instskip(NEXT) | instid1(VALU_DEP_1)
	v_cvt_f32_i32_e32 v5, v5
	v_bfe_u32 v9, v5, 16, 1
	s_delay_alu instid0(VALU_DEP_1) | instskip(NEXT) | instid1(VALU_DEP_1)
	v_add3_u32 v5, v5, v9, 0x7fff
	v_lshrrev_b32_e32 v5, 16, v5
	global_store_b32 v[7:8], v5, off
.LBB46_1575:
	s_and_b32 vcc_lo, exec_lo, s7
	s_cbranch_vccz .LBB46_1580
; %bb.1576:
	v_cmp_eq_u16_e32 vcc_lo, 44, v12
	s_mov_b32 s0, -1
	s_cbranch_vccz .LBB46_1580
; %bb.1577:
	v_bfe_i32 v5, v3, 0, 16
	v_mov_b32_e32 v9, 0xff
	s_mov_b32 s6, exec_lo
	s_delay_alu instid0(VALU_DEP_2) | instskip(NEXT) | instid1(VALU_DEP_1)
	v_cvt_f32_i32_e32 v5, v5
	v_bfe_u32 v10, v5, 23, 8
	s_delay_alu instid0(VALU_DEP_1)
	v_cmpx_ne_u32_e32 0xff, v10
; %bb.1578:
	v_and_b32_e32 v9, 0x400000, v5
	v_and_or_b32 v10, 0x3fffff, v5, v10
	v_lshrrev_b32_e32 v5, 23, v5
	s_delay_alu instid0(VALU_DEP_3) | instskip(NEXT) | instid1(VALU_DEP_3)
	v_cmp_ne_u32_e32 vcc_lo, 0, v9
	v_cmp_ne_u32_e64 s0, 0, v10
	s_delay_alu instid0(VALU_DEP_1) | instskip(NEXT) | instid1(SALU_CYCLE_1)
	s_and_b32 s0, vcc_lo, s0
	v_cndmask_b32_e64 v9, 0, 1, s0
	s_delay_alu instid0(VALU_DEP_1)
	v_add_nc_u32_e32 v9, v5, v9
; %bb.1579:
	s_or_b32 exec_lo, exec_lo, s6
	s_mov_b32 s0, 0
	s_mov_b32 s6, -1
	global_store_b8 v[7:8], v9, off
.LBB46_1580:
	s_mov_b32 s7, 0
.LBB46_1581:
	s_delay_alu instid0(SALU_CYCLE_1)
	s_and_b32 vcc_lo, exec_lo, s7
	s_cbranch_vccz .LBB46_1584
; %bb.1582:
	v_cmp_eq_u16_e32 vcc_lo, 29, v12
	s_mov_b32 s0, -1
	s_cbranch_vccz .LBB46_1584
; %bb.1583:
	v_bfe_i32 v9, v3, 0, 16
	s_mov_b32 s0, 0
	s_mov_b32 s6, -1
	s_delay_alu instid0(VALU_DEP_1)
	v_ashrrev_i32_e32 v10, 31, v9
	global_store_b64 v[7:8], v[9:10], off
.LBB46_1584:
	s_mov_b32 s7, 0
.LBB46_1585:
	s_delay_alu instid0(SALU_CYCLE_1)
	s_and_b32 vcc_lo, exec_lo, s7
	s_cbranch_vccz .LBB46_1601
; %bb.1586:
	v_cmp_gt_i16_e32 vcc_lo, 27, v12
	s_mov_b32 s6, -1
	s_cbranch_vccnz .LBB46_1592
; %bb.1587:
	v_cmp_lt_i16_e32 vcc_lo, 27, v12
	s_cbranch_vccz .LBB46_1589
; %bb.1588:
	v_bfe_i32 v5, v3, 0, 16
	s_mov_b32 s6, 0
	global_store_b32 v[7:8], v5, off
.LBB46_1589:
	s_and_not1_b32 vcc_lo, exec_lo, s6
	s_cbranch_vccnz .LBB46_1591
; %bb.1590:
	global_store_b16 v[7:8], v3, off
.LBB46_1591:
	s_mov_b32 s6, 0
.LBB46_1592:
	s_delay_alu instid0(SALU_CYCLE_1)
	s_and_not1_b32 vcc_lo, exec_lo, s6
	s_cbranch_vccnz .LBB46_1600
; %bb.1593:
	v_bfe_i32 v5, v3, 0, 16
	v_mov_b32_e32 v10, 0x80
	s_mov_b32 s6, exec_lo
	s_delay_alu instid0(VALU_DEP_2) | instskip(NEXT) | instid1(VALU_DEP_1)
	v_cvt_f32_i32_e32 v5, v5
	v_and_b32_e32 v9, 0x7fffffff, v5
	s_delay_alu instid0(VALU_DEP_1)
	v_cmpx_gt_u32_e32 0x43800000, v9
	s_cbranch_execz .LBB46_1599
; %bb.1594:
	v_cmp_lt_u32_e32 vcc_lo, 0x3bffffff, v9
	s_mov_b32 s7, 0
                                        ; implicit-def: $vgpr9
	s_and_saveexec_b32 s10, vcc_lo
	s_delay_alu instid0(SALU_CYCLE_1)
	s_xor_b32 s10, exec_lo, s10
	s_cbranch_execz .LBB46_2001
; %bb.1595:
	v_bfe_u32 v9, v5, 20, 1
	s_mov_b32 s7, exec_lo
	s_delay_alu instid0(VALU_DEP_1) | instskip(NEXT) | instid1(VALU_DEP_1)
	v_add3_u32 v9, v5, v9, 0x487ffff
	v_lshrrev_b32_e32 v9, 20, v9
	s_or_saveexec_b32 s10, s10
                                        ; implicit-def: $sgpr11
	s_delay_alu instid0(SALU_CYCLE_1)
	s_xor_b32 exec_lo, exec_lo, s10
	s_cbranch_execnz .LBB46_2002
.LBB46_1596:
	s_or_b32 exec_lo, exec_lo, s10
	v_mov_b32_e32 v10, s11
	s_and_saveexec_b32 s10, s7
.LBB46_1597:
	v_lshrrev_b32_e32 v5, 24, v5
	s_delay_alu instid0(VALU_DEP_1)
	v_and_or_b32 v10, 0x80, v5, v9
.LBB46_1598:
	s_or_b32 exec_lo, exec_lo, s10
.LBB46_1599:
	s_delay_alu instid0(SALU_CYCLE_1)
	s_or_b32 exec_lo, exec_lo, s6
	global_store_b8 v[7:8], v10, off
.LBB46_1600:
	s_mov_b32 s6, -1
.LBB46_1601:
	s_mov_b32 s7, 0
.LBB46_1602:
	s_delay_alu instid0(SALU_CYCLE_1)
	s_and_b32 vcc_lo, exec_lo, s7
	s_cbranch_vccz .LBB46_1642
; %bb.1603:
	v_cmp_lt_i16_e32 vcc_lo, 22, v12
	s_mov_b32 s3, -1
	s_cbranch_vccz .LBB46_1635
; %bb.1604:
	v_cmp_gt_i16_e32 vcc_lo, 24, v12
	s_cbranch_vccnz .LBB46_1624
; %bb.1605:
	v_cmp_lt_i16_e32 vcc_lo, 24, v12
	s_cbranch_vccz .LBB46_1613
; %bb.1606:
	v_bfe_i32 v5, v3, 0, 16
	v_mov_b32_e32 v10, 0x80
	s_mov_b32 s3, exec_lo
	s_delay_alu instid0(VALU_DEP_2) | instskip(NEXT) | instid1(VALU_DEP_1)
	v_cvt_f32_i32_e32 v5, v5
	v_and_b32_e32 v9, 0x7fffffff, v5
	s_delay_alu instid0(VALU_DEP_1)
	v_cmpx_gt_u32_e32 0x47800000, v9
	s_cbranch_execz .LBB46_1612
; %bb.1607:
	v_cmp_lt_u32_e32 vcc_lo, 0x37ffffff, v9
	s_mov_b32 s6, 0
                                        ; implicit-def: $vgpr9
	s_and_saveexec_b32 s7, vcc_lo
	s_delay_alu instid0(SALU_CYCLE_1)
	s_xor_b32 s7, exec_lo, s7
	s_cbranch_execz .LBB46_2007
; %bb.1608:
	v_bfe_u32 v9, v5, 21, 1
	s_mov_b32 s6, exec_lo
	s_delay_alu instid0(VALU_DEP_1) | instskip(NEXT) | instid1(VALU_DEP_1)
	v_add3_u32 v9, v5, v9, 0x88fffff
	v_lshrrev_b32_e32 v9, 21, v9
	s_or_saveexec_b32 s7, s7
                                        ; implicit-def: $sgpr10
	s_delay_alu instid0(SALU_CYCLE_1)
	s_xor_b32 exec_lo, exec_lo, s7
	s_cbranch_execnz .LBB46_2008
.LBB46_1609:
	s_or_b32 exec_lo, exec_lo, s7
	v_mov_b32_e32 v10, s10
	s_and_saveexec_b32 s7, s6
.LBB46_1610:
	v_lshrrev_b32_e32 v5, 24, v5
	s_delay_alu instid0(VALU_DEP_1)
	v_and_or_b32 v10, 0x80, v5, v9
.LBB46_1611:
	s_or_b32 exec_lo, exec_lo, s7
.LBB46_1612:
	s_delay_alu instid0(SALU_CYCLE_1)
	s_or_b32 exec_lo, exec_lo, s3
	s_mov_b32 s3, 0
	global_store_b8 v[7:8], v10, off
.LBB46_1613:
	s_and_b32 vcc_lo, exec_lo, s3
	s_cbranch_vccz .LBB46_1623
; %bb.1614:
	v_bfe_i32 v5, v3, 0, 16
	s_mov_b32 s3, exec_lo
                                        ; implicit-def: $vgpr9
	s_delay_alu instid0(VALU_DEP_1) | instskip(NEXT) | instid1(VALU_DEP_1)
	v_cvt_f32_i32_e32 v5, v5
	v_and_b32_e32 v10, 0x7fffffff, v5
	s_delay_alu instid0(VALU_DEP_1)
	v_cmpx_gt_u32_e32 0x43f00000, v10
	s_xor_b32 s3, exec_lo, s3
	s_cbranch_execz .LBB46_1620
; %bb.1615:
	s_mov_b32 s6, exec_lo
                                        ; implicit-def: $vgpr9
	v_cmpx_lt_u32_e32 0x3c7fffff, v10
	s_xor_b32 s6, exec_lo, s6
; %bb.1616:
	v_bfe_u32 v9, v5, 20, 1
	s_delay_alu instid0(VALU_DEP_1) | instskip(NEXT) | instid1(VALU_DEP_1)
	v_add3_u32 v9, v5, v9, 0x407ffff
	v_and_b32_e32 v10, 0xff00000, v9
	v_lshrrev_b32_e32 v9, 20, v9
	s_delay_alu instid0(VALU_DEP_2) | instskip(NEXT) | instid1(VALU_DEP_2)
	v_cmp_ne_u32_e32 vcc_lo, 0x7f00000, v10
	v_cndmask_b32_e32 v9, 0x7e, v9, vcc_lo
; %bb.1617:
	s_and_not1_saveexec_b32 s6, s6
; %bb.1618:
	v_add_f32_e64 v9, 0x46800000, |v5|
; %bb.1619:
	s_or_b32 exec_lo, exec_lo, s6
                                        ; implicit-def: $vgpr10
.LBB46_1620:
	s_and_not1_saveexec_b32 s3, s3
; %bb.1621:
	v_mov_b32_e32 v9, 0x7f
	v_cmp_lt_u32_e32 vcc_lo, 0x7f800000, v10
	s_delay_alu instid0(VALU_DEP_2)
	v_cndmask_b32_e32 v9, 0x7e, v9, vcc_lo
; %bb.1622:
	s_or_b32 exec_lo, exec_lo, s3
	v_lshrrev_b32_e32 v5, 24, v5
	s_delay_alu instid0(VALU_DEP_1)
	v_and_or_b32 v5, 0x80, v5, v9
	global_store_b8 v[7:8], v5, off
.LBB46_1623:
	s_mov_b32 s3, 0
.LBB46_1624:
	s_delay_alu instid0(SALU_CYCLE_1)
	s_and_not1_b32 vcc_lo, exec_lo, s3
	s_cbranch_vccnz .LBB46_1634
; %bb.1625:
	v_bfe_i32 v5, v3, 0, 16
	s_mov_b32 s3, exec_lo
                                        ; implicit-def: $vgpr9
	s_delay_alu instid0(VALU_DEP_1) | instskip(NEXT) | instid1(VALU_DEP_1)
	v_cvt_f32_i32_e32 v5, v5
	v_and_b32_e32 v10, 0x7fffffff, v5
	s_delay_alu instid0(VALU_DEP_1)
	v_cmpx_gt_u32_e32 0x47800000, v10
	s_xor_b32 s3, exec_lo, s3
	s_cbranch_execz .LBB46_1631
; %bb.1626:
	s_mov_b32 s6, exec_lo
                                        ; implicit-def: $vgpr9
	v_cmpx_lt_u32_e32 0x387fffff, v10
	s_xor_b32 s6, exec_lo, s6
; %bb.1627:
	v_bfe_u32 v9, v5, 21, 1
	s_delay_alu instid0(VALU_DEP_1) | instskip(NEXT) | instid1(VALU_DEP_1)
	v_add3_u32 v9, v5, v9, 0x80fffff
	v_lshrrev_b32_e32 v9, 21, v9
; %bb.1628:
	s_and_not1_saveexec_b32 s6, s6
; %bb.1629:
	v_add_f32_e64 v9, 0x43000000, |v5|
; %bb.1630:
	s_or_b32 exec_lo, exec_lo, s6
                                        ; implicit-def: $vgpr10
.LBB46_1631:
	s_and_not1_saveexec_b32 s3, s3
; %bb.1632:
	v_mov_b32_e32 v9, 0x7f
	v_cmp_lt_u32_e32 vcc_lo, 0x7f800000, v10
	s_delay_alu instid0(VALU_DEP_2)
	v_cndmask_b32_e32 v9, 0x7c, v9, vcc_lo
; %bb.1633:
	s_or_b32 exec_lo, exec_lo, s3
	v_lshrrev_b32_e32 v5, 24, v5
	s_delay_alu instid0(VALU_DEP_1)
	v_and_or_b32 v5, 0x80, v5, v9
	global_store_b8 v[7:8], v5, off
.LBB46_1634:
	s_mov_b32 s3, 0
	s_mov_b32 s6, -1
.LBB46_1635:
	s_and_not1_b32 vcc_lo, exec_lo, s3
	s_mov_b32 s3, 0
	s_cbranch_vccnz .LBB46_1642
; %bb.1636:
	v_cmp_lt_i16_e32 vcc_lo, 14, v12
	s_mov_b32 s3, -1
	s_cbranch_vccz .LBB46_1640
; %bb.1637:
	v_cmp_eq_u16_e32 vcc_lo, 15, v12
	s_mov_b32 s0, -1
	s_cbranch_vccz .LBB46_1639
; %bb.1638:
	v_bfe_i32 v5, v3, 0, 16
	s_mov_b32 s0, 0
	s_mov_b32 s6, -1
	s_delay_alu instid0(VALU_DEP_1) | instskip(NEXT) | instid1(VALU_DEP_1)
	v_cvt_f32_i32_e32 v5, v5
	v_bfe_u32 v9, v5, 16, 1
	s_delay_alu instid0(VALU_DEP_1)
	v_add3_u32 v5, v5, v9, 0x7fff
	global_store_d16_hi_b16 v[7:8], v5, off
.LBB46_1639:
	s_mov_b32 s3, 0
.LBB46_1640:
	s_delay_alu instid0(SALU_CYCLE_1)
	s_and_b32 vcc_lo, exec_lo, s3
	s_mov_b32 s3, 0
	s_cbranch_vccz .LBB46_1642
; %bb.1641:
	v_cmp_ne_u16_e64 s0, 11, v12
	s_mov_b32 s3, -1
.LBB46_1642:
	s_delay_alu instid0(VALU_DEP_1)
	s_and_b32 vcc_lo, exec_lo, s0
	s_cbranch_vccnz .LBB46_2005
; %bb.1643:
	s_and_not1_b32 vcc_lo, exec_lo, s3
	s_cbranch_vccnz .LBB46_1645
.LBB46_1644:
	v_cmp_ne_u16_e32 vcc_lo, -1, v6
	s_mov_b32 s6, -1
	v_cndmask_b32_e64 v5, 0, 1, vcc_lo
	global_store_b8 v[7:8], v5, off
.LBB46_1645:
	s_mov_b32 s3, 0
.LBB46_1646:
	s_delay_alu instid0(SALU_CYCLE_1)
	s_and_b32 vcc_lo, exec_lo, s3
	s_cbranch_vccz .LBB46_1685
; %bb.1647:
	v_cmp_gt_i16_e32 vcc_lo, 5, v12
	s_mov_b32 s0, -1
	s_cbranch_vccnz .LBB46_1668
; %bb.1648:
	v_cmp_gt_i16_e32 vcc_lo, 8, v12
	s_cbranch_vccnz .LBB46_1658
; %bb.1649:
	v_cmp_gt_i16_e32 vcc_lo, 9, v12
	s_cbranch_vccnz .LBB46_1655
; %bb.1650:
	v_cmp_lt_i16_e32 vcc_lo, 9, v12
	s_cbranch_vccz .LBB46_1652
; %bb.1651:
	v_bfe_i32 v5, v3, 0, 16
	v_mov_b32_e32 v15, 0
	s_mov_b32 s0, 0
	s_delay_alu instid0(VALU_DEP_2) | instskip(NEXT) | instid1(VALU_DEP_2)
	v_cvt_f64_i32_e32 v[13:14], v5
	v_mov_b32_e32 v16, v15
	global_store_b128 v[7:8], v[13:16], off
.LBB46_1652:
	s_and_not1_b32 vcc_lo, exec_lo, s0
	s_cbranch_vccnz .LBB46_1654
; %bb.1653:
	v_bfe_i32 v5, v3, 0, 16
	v_mov_b32_e32 v6, 0
	s_delay_alu instid0(VALU_DEP_2)
	v_cvt_f32_i32_e32 v5, v5
	global_store_b64 v[7:8], v[5:6], off
.LBB46_1654:
	s_mov_b32 s0, 0
.LBB46_1655:
	s_delay_alu instid0(SALU_CYCLE_1)
	s_and_not1_b32 vcc_lo, exec_lo, s0
	s_cbranch_vccnz .LBB46_1657
; %bb.1656:
	v_cvt_f16_i16_e32 v5, v3
	s_delay_alu instid0(VALU_DEP_1)
	v_and_b32_e32 v5, 0xffff, v5
	global_store_b32 v[7:8], v5, off
.LBB46_1657:
	s_mov_b32 s0, 0
.LBB46_1658:
	s_delay_alu instid0(SALU_CYCLE_1)
	s_and_not1_b32 vcc_lo, exec_lo, s0
	s_cbranch_vccnz .LBB46_1667
; %bb.1659:
	v_cmp_gt_i16_e32 vcc_lo, 6, v12
	s_mov_b32 s0, -1
	s_cbranch_vccnz .LBB46_1665
; %bb.1660:
	v_cmp_lt_i16_e32 vcc_lo, 6, v12
	s_cbranch_vccz .LBB46_1662
; %bb.1661:
	v_bfe_i32 v5, v3, 0, 16
	s_mov_b32 s0, 0
	s_delay_alu instid0(VALU_DEP_1)
	v_cvt_f64_i32_e32 v[5:6], v5
	global_store_b64 v[7:8], v[5:6], off
.LBB46_1662:
	s_and_not1_b32 vcc_lo, exec_lo, s0
	s_cbranch_vccnz .LBB46_1664
; %bb.1663:
	v_bfe_i32 v5, v3, 0, 16
	s_delay_alu instid0(VALU_DEP_1)
	v_cvt_f32_i32_e32 v5, v5
	global_store_b32 v[7:8], v5, off
.LBB46_1664:
	s_mov_b32 s0, 0
.LBB46_1665:
	s_delay_alu instid0(SALU_CYCLE_1)
	s_and_not1_b32 vcc_lo, exec_lo, s0
	s_cbranch_vccnz .LBB46_1667
; %bb.1666:
	v_cvt_f16_i16_e32 v5, v3
	global_store_b16 v[7:8], v5, off
.LBB46_1667:
	s_mov_b32 s0, 0
.LBB46_1668:
	s_delay_alu instid0(SALU_CYCLE_1)
	s_and_not1_b32 vcc_lo, exec_lo, s0
	s_cbranch_vccnz .LBB46_1684
; %bb.1669:
	v_cmp_gt_i16_e32 vcc_lo, 2, v12
	s_mov_b32 s0, -1
	s_cbranch_vccnz .LBB46_1679
; %bb.1670:
	v_cmp_gt_i16_e32 vcc_lo, 3, v12
	s_cbranch_vccnz .LBB46_1676
; %bb.1671:
	v_cmp_lt_i16_e32 vcc_lo, 3, v12
	s_cbranch_vccz .LBB46_1673
; %bb.1672:
	v_bfe_i32 v5, v3, 0, 16
	s_mov_b32 s0, 0
	s_delay_alu instid0(VALU_DEP_1)
	v_ashrrev_i32_e32 v6, 31, v5
	global_store_b64 v[7:8], v[5:6], off
.LBB46_1673:
	s_and_not1_b32 vcc_lo, exec_lo, s0
	s_cbranch_vccnz .LBB46_1675
; %bb.1674:
	v_bfe_i32 v5, v3, 0, 16
	global_store_b32 v[7:8], v5, off
.LBB46_1675:
	s_mov_b32 s0, 0
.LBB46_1676:
	s_delay_alu instid0(SALU_CYCLE_1)
	s_and_not1_b32 vcc_lo, exec_lo, s0
	s_cbranch_vccnz .LBB46_1678
; %bb.1677:
	global_store_b16 v[7:8], v3, off
.LBB46_1678:
	s_mov_b32 s0, 0
.LBB46_1679:
	s_delay_alu instid0(SALU_CYCLE_1)
	s_and_not1_b32 vcc_lo, exec_lo, s0
	s_cbranch_vccnz .LBB46_1684
; %bb.1680:
	v_cmp_lt_i16_e32 vcc_lo, 0, v12
	s_mov_b32 s0, -1
	s_cbranch_vccz .LBB46_1682
; %bb.1681:
	s_mov_b32 s0, 0
	global_store_b8 v[7:8], v3, off
.LBB46_1682:
	s_and_not1_b32 vcc_lo, exec_lo, s0
	s_cbranch_vccnz .LBB46_1684
; %bb.1683:
	global_store_b8 v[7:8], v3, off
.LBB46_1684:
	s_mov_b32 s6, -1
.LBB46_1685:
	s_delay_alu instid0(SALU_CYCLE_1)
	s_and_not1_b32 vcc_lo, exec_lo, s6
	s_cbranch_vccnz .LBB46_1998
; %bb.1686:
	s_lshl_b32 s2, s2, 7
	v_cmp_gt_i16_e32 vcc_lo, 11, v12
	v_add_nc_u32_e32 v1, s2, v1
	v_xor_b32_e32 v7, -1, v4
	s_mov_b32 s3, -1
	s_mov_b32 s6, 0
	s_delay_alu instid0(VALU_DEP_2) | instskip(SKIP_1) | instid1(VALU_DEP_1)
	v_ashrrev_i32_e32 v3, 31, v1
	v_add_co_u32 v5, s0, s4, v1
	v_add_co_ci_u32_e64 v6, s0, s5, v3, s0
	s_cbranch_vccnz .LBB46_1764
; %bb.1687:
	v_cmp_lt_i16_e32 vcc_lo, 25, v12
	s_mov_b32 s7, -1
	s_mov_b32 s3, 0
	s_mov_b32 s0, 0
	s_cbranch_vccz .LBB46_1720
; %bb.1688:
	v_cmp_lt_i16_e32 vcc_lo, 28, v12
	s_cbranch_vccz .LBB46_1703
; %bb.1689:
	v_cmp_lt_i16_e32 vcc_lo, 43, v12
	;; [unrolled: 3-line block ×3, first 2 shown]
	s_cbranch_vccz .LBB46_1693
; %bb.1691:
	v_cmp_eq_u16_e32 vcc_lo, 46, v12
	s_mov_b32 s0, -1
	s_mov_b32 s7, 0
	s_cbranch_vccz .LBB46_1693
; %bb.1692:
	v_bfe_i32 v3, v7, 0, 16
	s_mov_b32 s0, 0
	s_mov_b32 s6, -1
	s_delay_alu instid0(VALU_DEP_1) | instskip(NEXT) | instid1(VALU_DEP_1)
	v_cvt_f32_i32_e32 v3, v3
	v_bfe_u32 v8, v3, 16, 1
	s_delay_alu instid0(VALU_DEP_1) | instskip(NEXT) | instid1(VALU_DEP_1)
	v_add3_u32 v3, v3, v8, 0x7fff
	v_lshrrev_b32_e32 v3, 16, v3
	global_store_b32 v[5:6], v3, off
.LBB46_1693:
	s_and_b32 vcc_lo, exec_lo, s7
	s_cbranch_vccz .LBB46_1698
; %bb.1694:
	v_cmp_eq_u16_e32 vcc_lo, 44, v12
	s_mov_b32 s0, -1
	s_cbranch_vccz .LBB46_1698
; %bb.1695:
	v_bfe_i32 v3, v7, 0, 16
	v_mov_b32_e32 v8, 0xff
	s_mov_b32 s6, exec_lo
	s_delay_alu instid0(VALU_DEP_2) | instskip(NEXT) | instid1(VALU_DEP_1)
	v_cvt_f32_i32_e32 v3, v3
	v_bfe_u32 v9, v3, 23, 8
	s_delay_alu instid0(VALU_DEP_1)
	v_cmpx_ne_u32_e32 0xff, v9
; %bb.1696:
	v_and_b32_e32 v8, 0x400000, v3
	v_and_or_b32 v9, 0x3fffff, v3, v9
	v_lshrrev_b32_e32 v3, 23, v3
	s_delay_alu instid0(VALU_DEP_3) | instskip(NEXT) | instid1(VALU_DEP_3)
	v_cmp_ne_u32_e32 vcc_lo, 0, v8
	v_cmp_ne_u32_e64 s0, 0, v9
	s_delay_alu instid0(VALU_DEP_1) | instskip(NEXT) | instid1(SALU_CYCLE_1)
	s_and_b32 s0, vcc_lo, s0
	v_cndmask_b32_e64 v8, 0, 1, s0
	s_delay_alu instid0(VALU_DEP_1)
	v_add_nc_u32_e32 v8, v3, v8
; %bb.1697:
	s_or_b32 exec_lo, exec_lo, s6
	s_mov_b32 s0, 0
	s_mov_b32 s6, -1
	global_store_b8 v[5:6], v8, off
.LBB46_1698:
	s_mov_b32 s7, 0
.LBB46_1699:
	s_delay_alu instid0(SALU_CYCLE_1)
	s_and_b32 vcc_lo, exec_lo, s7
	s_cbranch_vccz .LBB46_1702
; %bb.1700:
	v_cmp_eq_u16_e32 vcc_lo, 29, v12
	s_mov_b32 s0, -1
	s_cbranch_vccz .LBB46_1702
; %bb.1701:
	v_bfe_i32 v8, v7, 0, 16
	s_mov_b32 s0, 0
	s_mov_b32 s6, -1
	s_delay_alu instid0(VALU_DEP_1)
	v_ashrrev_i32_e32 v9, 31, v8
	global_store_b64 v[5:6], v[8:9], off
.LBB46_1702:
	s_mov_b32 s7, 0
.LBB46_1703:
	s_delay_alu instid0(SALU_CYCLE_1)
	s_and_b32 vcc_lo, exec_lo, s7
	s_cbranch_vccz .LBB46_1719
; %bb.1704:
	v_cmp_gt_i16_e32 vcc_lo, 27, v12
	s_mov_b32 s6, -1
	s_cbranch_vccnz .LBB46_1710
; %bb.1705:
	v_cmp_lt_i16_e32 vcc_lo, 27, v12
	s_cbranch_vccz .LBB46_1707
; %bb.1706:
	v_bfe_i32 v3, v7, 0, 16
	s_mov_b32 s6, 0
	global_store_b32 v[5:6], v3, off
.LBB46_1707:
	s_and_not1_b32 vcc_lo, exec_lo, s6
	s_cbranch_vccnz .LBB46_1709
; %bb.1708:
	global_store_b16 v[5:6], v7, off
.LBB46_1709:
	s_mov_b32 s6, 0
.LBB46_1710:
	s_delay_alu instid0(SALU_CYCLE_1)
	s_and_not1_b32 vcc_lo, exec_lo, s6
	s_cbranch_vccnz .LBB46_1718
; %bb.1711:
	v_bfe_i32 v3, v7, 0, 16
	v_mov_b32_e32 v9, 0x80
	s_mov_b32 s6, exec_lo
	s_delay_alu instid0(VALU_DEP_2) | instskip(NEXT) | instid1(VALU_DEP_1)
	v_cvt_f32_i32_e32 v3, v3
	v_and_b32_e32 v8, 0x7fffffff, v3
	s_delay_alu instid0(VALU_DEP_1)
	v_cmpx_gt_u32_e32 0x43800000, v8
	s_cbranch_execz .LBB46_1717
; %bb.1712:
	v_cmp_lt_u32_e32 vcc_lo, 0x3bffffff, v8
	s_mov_b32 s7, 0
                                        ; implicit-def: $vgpr8
	s_and_saveexec_b32 s10, vcc_lo
	s_delay_alu instid0(SALU_CYCLE_1)
	s_xor_b32 s10, exec_lo, s10
	s_cbranch_execz .LBB46_2009
; %bb.1713:
	v_bfe_u32 v8, v3, 20, 1
	s_mov_b32 s7, exec_lo
	s_delay_alu instid0(VALU_DEP_1) | instskip(NEXT) | instid1(VALU_DEP_1)
	v_add3_u32 v8, v3, v8, 0x487ffff
	v_lshrrev_b32_e32 v8, 20, v8
	s_or_saveexec_b32 s10, s10
                                        ; implicit-def: $sgpr11
	s_delay_alu instid0(SALU_CYCLE_1)
	s_xor_b32 exec_lo, exec_lo, s10
	s_cbranch_execnz .LBB46_2010
.LBB46_1714:
	s_or_b32 exec_lo, exec_lo, s10
	v_mov_b32_e32 v9, s11
	s_and_saveexec_b32 s10, s7
.LBB46_1715:
	v_lshrrev_b32_e32 v3, 24, v3
	s_delay_alu instid0(VALU_DEP_1)
	v_and_or_b32 v9, 0x80, v3, v8
.LBB46_1716:
	s_or_b32 exec_lo, exec_lo, s10
.LBB46_1717:
	s_delay_alu instid0(SALU_CYCLE_1)
	s_or_b32 exec_lo, exec_lo, s6
	global_store_b8 v[5:6], v9, off
.LBB46_1718:
	s_mov_b32 s6, -1
.LBB46_1719:
	s_mov_b32 s7, 0
.LBB46_1720:
	s_delay_alu instid0(SALU_CYCLE_1)
	s_and_b32 vcc_lo, exec_lo, s7
	s_cbranch_vccz .LBB46_1760
; %bb.1721:
	v_cmp_lt_i16_e32 vcc_lo, 22, v12
	s_mov_b32 s3, -1
	s_cbranch_vccz .LBB46_1753
; %bb.1722:
	v_cmp_gt_i16_e32 vcc_lo, 24, v12
	s_cbranch_vccnz .LBB46_1742
; %bb.1723:
	v_cmp_lt_i16_e32 vcc_lo, 24, v12
	s_cbranch_vccz .LBB46_1731
; %bb.1724:
	v_bfe_i32 v3, v7, 0, 16
	v_mov_b32_e32 v9, 0x80
	s_mov_b32 s3, exec_lo
	s_delay_alu instid0(VALU_DEP_2) | instskip(NEXT) | instid1(VALU_DEP_1)
	v_cvt_f32_i32_e32 v3, v3
	v_and_b32_e32 v8, 0x7fffffff, v3
	s_delay_alu instid0(VALU_DEP_1)
	v_cmpx_gt_u32_e32 0x47800000, v8
	s_cbranch_execz .LBB46_1730
; %bb.1725:
	v_cmp_lt_u32_e32 vcc_lo, 0x37ffffff, v8
	s_mov_b32 s6, 0
                                        ; implicit-def: $vgpr8
	s_and_saveexec_b32 s7, vcc_lo
	s_delay_alu instid0(SALU_CYCLE_1)
	s_xor_b32 s7, exec_lo, s7
	s_cbranch_execz .LBB46_2015
; %bb.1726:
	v_bfe_u32 v8, v3, 21, 1
	s_mov_b32 s6, exec_lo
	s_delay_alu instid0(VALU_DEP_1) | instskip(NEXT) | instid1(VALU_DEP_1)
	v_add3_u32 v8, v3, v8, 0x88fffff
	v_lshrrev_b32_e32 v8, 21, v8
	s_or_saveexec_b32 s7, s7
                                        ; implicit-def: $sgpr10
	s_delay_alu instid0(SALU_CYCLE_1)
	s_xor_b32 exec_lo, exec_lo, s7
	s_cbranch_execnz .LBB46_2016
.LBB46_1727:
	s_or_b32 exec_lo, exec_lo, s7
	v_mov_b32_e32 v9, s10
	s_and_saveexec_b32 s7, s6
.LBB46_1728:
	v_lshrrev_b32_e32 v3, 24, v3
	s_delay_alu instid0(VALU_DEP_1)
	v_and_or_b32 v9, 0x80, v3, v8
.LBB46_1729:
	s_or_b32 exec_lo, exec_lo, s7
.LBB46_1730:
	s_delay_alu instid0(SALU_CYCLE_1)
	s_or_b32 exec_lo, exec_lo, s3
	s_mov_b32 s3, 0
	global_store_b8 v[5:6], v9, off
.LBB46_1731:
	s_and_b32 vcc_lo, exec_lo, s3
	s_cbranch_vccz .LBB46_1741
; %bb.1732:
	v_bfe_i32 v3, v7, 0, 16
	s_mov_b32 s3, exec_lo
                                        ; implicit-def: $vgpr8
	s_delay_alu instid0(VALU_DEP_1) | instskip(NEXT) | instid1(VALU_DEP_1)
	v_cvt_f32_i32_e32 v3, v3
	v_and_b32_e32 v9, 0x7fffffff, v3
	s_delay_alu instid0(VALU_DEP_1)
	v_cmpx_gt_u32_e32 0x43f00000, v9
	s_xor_b32 s3, exec_lo, s3
	s_cbranch_execz .LBB46_1738
; %bb.1733:
	s_mov_b32 s6, exec_lo
                                        ; implicit-def: $vgpr8
	v_cmpx_lt_u32_e32 0x3c7fffff, v9
	s_xor_b32 s6, exec_lo, s6
; %bb.1734:
	v_bfe_u32 v8, v3, 20, 1
	s_delay_alu instid0(VALU_DEP_1) | instskip(NEXT) | instid1(VALU_DEP_1)
	v_add3_u32 v8, v3, v8, 0x407ffff
	v_and_b32_e32 v9, 0xff00000, v8
	v_lshrrev_b32_e32 v8, 20, v8
	s_delay_alu instid0(VALU_DEP_2) | instskip(NEXT) | instid1(VALU_DEP_2)
	v_cmp_ne_u32_e32 vcc_lo, 0x7f00000, v9
	v_cndmask_b32_e32 v8, 0x7e, v8, vcc_lo
; %bb.1735:
	s_and_not1_saveexec_b32 s6, s6
; %bb.1736:
	v_add_f32_e64 v8, 0x46800000, |v3|
; %bb.1737:
	s_or_b32 exec_lo, exec_lo, s6
                                        ; implicit-def: $vgpr9
.LBB46_1738:
	s_and_not1_saveexec_b32 s3, s3
; %bb.1739:
	v_mov_b32_e32 v8, 0x7f
	v_cmp_lt_u32_e32 vcc_lo, 0x7f800000, v9
	s_delay_alu instid0(VALU_DEP_2)
	v_cndmask_b32_e32 v8, 0x7e, v8, vcc_lo
; %bb.1740:
	s_or_b32 exec_lo, exec_lo, s3
	v_lshrrev_b32_e32 v3, 24, v3
	s_delay_alu instid0(VALU_DEP_1)
	v_and_or_b32 v3, 0x80, v3, v8
	global_store_b8 v[5:6], v3, off
.LBB46_1741:
	s_mov_b32 s3, 0
.LBB46_1742:
	s_delay_alu instid0(SALU_CYCLE_1)
	s_and_not1_b32 vcc_lo, exec_lo, s3
	s_cbranch_vccnz .LBB46_1752
; %bb.1743:
	v_bfe_i32 v3, v7, 0, 16
	s_mov_b32 s3, exec_lo
                                        ; implicit-def: $vgpr8
	s_delay_alu instid0(VALU_DEP_1) | instskip(NEXT) | instid1(VALU_DEP_1)
	v_cvt_f32_i32_e32 v3, v3
	v_and_b32_e32 v9, 0x7fffffff, v3
	s_delay_alu instid0(VALU_DEP_1)
	v_cmpx_gt_u32_e32 0x47800000, v9
	s_xor_b32 s3, exec_lo, s3
	s_cbranch_execz .LBB46_1749
; %bb.1744:
	s_mov_b32 s6, exec_lo
                                        ; implicit-def: $vgpr8
	v_cmpx_lt_u32_e32 0x387fffff, v9
	s_xor_b32 s6, exec_lo, s6
; %bb.1745:
	v_bfe_u32 v8, v3, 21, 1
	s_delay_alu instid0(VALU_DEP_1) | instskip(NEXT) | instid1(VALU_DEP_1)
	v_add3_u32 v8, v3, v8, 0x80fffff
	v_lshrrev_b32_e32 v8, 21, v8
; %bb.1746:
	s_and_not1_saveexec_b32 s6, s6
; %bb.1747:
	v_add_f32_e64 v8, 0x43000000, |v3|
; %bb.1748:
	s_or_b32 exec_lo, exec_lo, s6
                                        ; implicit-def: $vgpr9
.LBB46_1749:
	s_and_not1_saveexec_b32 s3, s3
; %bb.1750:
	v_mov_b32_e32 v8, 0x7f
	v_cmp_lt_u32_e32 vcc_lo, 0x7f800000, v9
	s_delay_alu instid0(VALU_DEP_2)
	v_cndmask_b32_e32 v8, 0x7c, v8, vcc_lo
; %bb.1751:
	s_or_b32 exec_lo, exec_lo, s3
	v_lshrrev_b32_e32 v3, 24, v3
	s_delay_alu instid0(VALU_DEP_1)
	v_and_or_b32 v3, 0x80, v3, v8
	global_store_b8 v[5:6], v3, off
.LBB46_1752:
	s_mov_b32 s3, 0
	s_mov_b32 s6, -1
.LBB46_1753:
	s_and_not1_b32 vcc_lo, exec_lo, s3
	s_mov_b32 s3, 0
	s_cbranch_vccnz .LBB46_1760
; %bb.1754:
	v_cmp_lt_i16_e32 vcc_lo, 14, v12
	s_mov_b32 s3, -1
	s_cbranch_vccz .LBB46_1758
; %bb.1755:
	v_cmp_eq_u16_e32 vcc_lo, 15, v12
	s_mov_b32 s0, -1
	s_cbranch_vccz .LBB46_1757
; %bb.1756:
	v_bfe_i32 v3, v7, 0, 16
	s_mov_b32 s0, 0
	s_mov_b32 s6, -1
	s_delay_alu instid0(VALU_DEP_1) | instskip(NEXT) | instid1(VALU_DEP_1)
	v_cvt_f32_i32_e32 v3, v3
	v_bfe_u32 v8, v3, 16, 1
	s_delay_alu instid0(VALU_DEP_1)
	v_add3_u32 v3, v3, v8, 0x7fff
	global_store_d16_hi_b16 v[5:6], v3, off
.LBB46_1757:
	s_mov_b32 s3, 0
.LBB46_1758:
	s_delay_alu instid0(SALU_CYCLE_1)
	s_and_b32 vcc_lo, exec_lo, s3
	s_mov_b32 s3, 0
	s_cbranch_vccz .LBB46_1760
; %bb.1759:
	v_cmp_ne_u16_e64 s0, 11, v12
	s_mov_b32 s3, -1
.LBB46_1760:
	s_delay_alu instid0(VALU_DEP_1)
	s_and_b32 vcc_lo, exec_lo, s0
	s_cbranch_vccnz .LBB46_2013
; %bb.1761:
	s_and_not1_b32 vcc_lo, exec_lo, s3
	s_cbranch_vccnz .LBB46_1763
.LBB46_1762:
	v_cmp_ne_u16_e32 vcc_lo, -1, v4
	s_mov_b32 s6, -1
	v_cndmask_b32_e64 v3, 0, 1, vcc_lo
	global_store_b8 v[5:6], v3, off
.LBB46_1763:
	s_mov_b32 s3, 0
.LBB46_1764:
	s_delay_alu instid0(SALU_CYCLE_1)
	s_and_b32 vcc_lo, exec_lo, s3
	s_cbranch_vccz .LBB46_1803
; %bb.1765:
	v_cmp_gt_i16_e32 vcc_lo, 5, v12
	s_mov_b32 s0, -1
	s_cbranch_vccnz .LBB46_1786
; %bb.1766:
	v_cmp_gt_i16_e32 vcc_lo, 8, v12
	s_cbranch_vccnz .LBB46_1776
; %bb.1767:
	v_cmp_gt_i16_e32 vcc_lo, 9, v12
	s_cbranch_vccnz .LBB46_1773
; %bb.1768:
	v_cmp_lt_i16_e32 vcc_lo, 9, v12
	s_cbranch_vccz .LBB46_1770
; %bb.1769:
	v_bfe_i32 v3, v7, 0, 16
	v_mov_b32_e32 v10, 0
	s_mov_b32 s0, 0
	s_delay_alu instid0(VALU_DEP_2) | instskip(NEXT) | instid1(VALU_DEP_2)
	v_cvt_f64_i32_e32 v[8:9], v3
	v_mov_b32_e32 v11, v10
	global_store_b128 v[5:6], v[8:11], off
.LBB46_1770:
	s_and_not1_b32 vcc_lo, exec_lo, s0
	s_cbranch_vccnz .LBB46_1772
; %bb.1771:
	v_bfe_i32 v3, v7, 0, 16
	v_mov_b32_e32 v4, 0
	s_delay_alu instid0(VALU_DEP_2)
	v_cvt_f32_i32_e32 v3, v3
	global_store_b64 v[5:6], v[3:4], off
.LBB46_1772:
	s_mov_b32 s0, 0
.LBB46_1773:
	s_delay_alu instid0(SALU_CYCLE_1)
	s_and_not1_b32 vcc_lo, exec_lo, s0
	s_cbranch_vccnz .LBB46_1775
; %bb.1774:
	v_cvt_f16_i16_e32 v3, v7
	s_delay_alu instid0(VALU_DEP_1)
	v_and_b32_e32 v3, 0xffff, v3
	global_store_b32 v[5:6], v3, off
.LBB46_1775:
	s_mov_b32 s0, 0
.LBB46_1776:
	s_delay_alu instid0(SALU_CYCLE_1)
	s_and_not1_b32 vcc_lo, exec_lo, s0
	s_cbranch_vccnz .LBB46_1785
; %bb.1777:
	v_cmp_gt_i16_e32 vcc_lo, 6, v12
	s_mov_b32 s0, -1
	s_cbranch_vccnz .LBB46_1783
; %bb.1778:
	v_cmp_lt_i16_e32 vcc_lo, 6, v12
	s_cbranch_vccz .LBB46_1780
; %bb.1779:
	v_bfe_i32 v3, v7, 0, 16
	s_mov_b32 s0, 0
	s_delay_alu instid0(VALU_DEP_1)
	v_cvt_f64_i32_e32 v[3:4], v3
	global_store_b64 v[5:6], v[3:4], off
.LBB46_1780:
	s_and_not1_b32 vcc_lo, exec_lo, s0
	s_cbranch_vccnz .LBB46_1782
; %bb.1781:
	v_bfe_i32 v3, v7, 0, 16
	s_delay_alu instid0(VALU_DEP_1)
	v_cvt_f32_i32_e32 v3, v3
	global_store_b32 v[5:6], v3, off
.LBB46_1782:
	s_mov_b32 s0, 0
.LBB46_1783:
	s_delay_alu instid0(SALU_CYCLE_1)
	s_and_not1_b32 vcc_lo, exec_lo, s0
	s_cbranch_vccnz .LBB46_1785
; %bb.1784:
	v_cvt_f16_i16_e32 v3, v7
	global_store_b16 v[5:6], v3, off
.LBB46_1785:
	s_mov_b32 s0, 0
.LBB46_1786:
	s_delay_alu instid0(SALU_CYCLE_1)
	s_and_not1_b32 vcc_lo, exec_lo, s0
	s_cbranch_vccnz .LBB46_1802
; %bb.1787:
	v_cmp_gt_i16_e32 vcc_lo, 2, v12
	s_mov_b32 s0, -1
	s_cbranch_vccnz .LBB46_1797
; %bb.1788:
	v_cmp_gt_i16_e32 vcc_lo, 3, v12
	s_cbranch_vccnz .LBB46_1794
; %bb.1789:
	v_cmp_lt_i16_e32 vcc_lo, 3, v12
	v_bfe_i32 v3, v7, 0, 16
	s_cbranch_vccz .LBB46_1791
; %bb.1790:
	s_delay_alu instid0(VALU_DEP_1)
	v_ashrrev_i32_e32 v4, 31, v3
	s_mov_b32 s0, 0
	global_store_b64 v[5:6], v[3:4], off
.LBB46_1791:
	s_and_not1_b32 vcc_lo, exec_lo, s0
	s_cbranch_vccnz .LBB46_1793
; %bb.1792:
	global_store_b32 v[5:6], v3, off
.LBB46_1793:
	s_mov_b32 s0, 0
.LBB46_1794:
	s_delay_alu instid0(SALU_CYCLE_1)
	s_and_not1_b32 vcc_lo, exec_lo, s0
	s_cbranch_vccnz .LBB46_1796
; %bb.1795:
	global_store_b16 v[5:6], v7, off
.LBB46_1796:
	s_mov_b32 s0, 0
.LBB46_1797:
	s_delay_alu instid0(SALU_CYCLE_1)
	s_and_not1_b32 vcc_lo, exec_lo, s0
	s_cbranch_vccnz .LBB46_1802
; %bb.1798:
	v_cmp_lt_i16_e32 vcc_lo, 0, v12
	s_mov_b32 s0, -1
	s_cbranch_vccz .LBB46_1800
; %bb.1799:
	s_mov_b32 s0, 0
	global_store_b8 v[5:6], v7, off
.LBB46_1800:
	s_and_not1_b32 vcc_lo, exec_lo, s0
	s_cbranch_vccnz .LBB46_1802
; %bb.1801:
	global_store_b8 v[5:6], v7, off
.LBB46_1802:
	s_mov_b32 s6, -1
.LBB46_1803:
	s_delay_alu instid0(SALU_CYCLE_1)
	s_and_not1_b32 vcc_lo, exec_lo, s6
	s_cbranch_vccnz .LBB46_1998
; %bb.1804:
	v_add_nc_u32_e32 v5, s2, v1
	v_cmp_gt_i16_e32 vcc_lo, 11, v12
	v_xor_b32_e32 v6, -1, v2
	s_mov_b32 s3, -1
	s_mov_b32 s6, 0
	v_ashrrev_i32_e32 v1, 31, v5
	v_add_co_u32 v3, s0, s4, v5
	s_delay_alu instid0(VALU_DEP_1)
	v_add_co_ci_u32_e64 v4, s0, s5, v1, s0
	s_cbranch_vccnz .LBB46_1882
; %bb.1805:
	v_cmp_lt_i16_e32 vcc_lo, 25, v12
	s_mov_b32 s7, -1
	s_mov_b32 s3, 0
	s_mov_b32 s0, 0
	s_cbranch_vccz .LBB46_1838
; %bb.1806:
	v_cmp_lt_i16_e32 vcc_lo, 28, v12
	s_cbranch_vccz .LBB46_1821
; %bb.1807:
	v_cmp_lt_i16_e32 vcc_lo, 43, v12
	;; [unrolled: 3-line block ×3, first 2 shown]
	s_cbranch_vccz .LBB46_1811
; %bb.1809:
	v_cmp_eq_u16_e32 vcc_lo, 46, v12
	s_mov_b32 s0, -1
	s_mov_b32 s7, 0
	s_cbranch_vccz .LBB46_1811
; %bb.1810:
	v_bfe_i32 v1, v6, 0, 16
	s_mov_b32 s0, 0
	s_mov_b32 s6, -1
	s_delay_alu instid0(VALU_DEP_1) | instskip(NEXT) | instid1(VALU_DEP_1)
	v_cvt_f32_i32_e32 v1, v1
	v_bfe_u32 v7, v1, 16, 1
	s_delay_alu instid0(VALU_DEP_1) | instskip(NEXT) | instid1(VALU_DEP_1)
	v_add3_u32 v1, v1, v7, 0x7fff
	v_lshrrev_b32_e32 v1, 16, v1
	global_store_b32 v[3:4], v1, off
.LBB46_1811:
	s_and_b32 vcc_lo, exec_lo, s7
	s_cbranch_vccz .LBB46_1816
; %bb.1812:
	v_cmp_eq_u16_e32 vcc_lo, 44, v12
	s_mov_b32 s0, -1
	s_cbranch_vccz .LBB46_1816
; %bb.1813:
	v_bfe_i32 v1, v6, 0, 16
	v_mov_b32_e32 v7, 0xff
	s_mov_b32 s6, exec_lo
	s_delay_alu instid0(VALU_DEP_2) | instskip(NEXT) | instid1(VALU_DEP_1)
	v_cvt_f32_i32_e32 v1, v1
	v_bfe_u32 v8, v1, 23, 8
	s_delay_alu instid0(VALU_DEP_1)
	v_cmpx_ne_u32_e32 0xff, v8
; %bb.1814:
	v_and_b32_e32 v7, 0x400000, v1
	v_and_or_b32 v8, 0x3fffff, v1, v8
	v_lshrrev_b32_e32 v1, 23, v1
	s_delay_alu instid0(VALU_DEP_3) | instskip(NEXT) | instid1(VALU_DEP_3)
	v_cmp_ne_u32_e32 vcc_lo, 0, v7
	v_cmp_ne_u32_e64 s0, 0, v8
	s_delay_alu instid0(VALU_DEP_1) | instskip(NEXT) | instid1(SALU_CYCLE_1)
	s_and_b32 s0, vcc_lo, s0
	v_cndmask_b32_e64 v7, 0, 1, s0
	s_delay_alu instid0(VALU_DEP_1)
	v_add_nc_u32_e32 v7, v1, v7
; %bb.1815:
	s_or_b32 exec_lo, exec_lo, s6
	s_mov_b32 s0, 0
	s_mov_b32 s6, -1
	global_store_b8 v[3:4], v7, off
.LBB46_1816:
	s_mov_b32 s7, 0
.LBB46_1817:
	s_delay_alu instid0(SALU_CYCLE_1)
	s_and_b32 vcc_lo, exec_lo, s7
	s_cbranch_vccz .LBB46_1820
; %bb.1818:
	v_cmp_eq_u16_e32 vcc_lo, 29, v12
	s_mov_b32 s0, -1
	s_cbranch_vccz .LBB46_1820
; %bb.1819:
	v_bfe_i32 v7, v6, 0, 16
	s_mov_b32 s0, 0
	s_mov_b32 s6, -1
	s_delay_alu instid0(VALU_DEP_1)
	v_ashrrev_i32_e32 v8, 31, v7
	global_store_b64 v[3:4], v[7:8], off
.LBB46_1820:
	s_mov_b32 s7, 0
.LBB46_1821:
	s_delay_alu instid0(SALU_CYCLE_1)
	s_and_b32 vcc_lo, exec_lo, s7
	s_cbranch_vccz .LBB46_1837
; %bb.1822:
	v_cmp_gt_i16_e32 vcc_lo, 27, v12
	s_mov_b32 s6, -1
	s_cbranch_vccnz .LBB46_1828
; %bb.1823:
	v_cmp_lt_i16_e32 vcc_lo, 27, v12
	s_cbranch_vccz .LBB46_1825
; %bb.1824:
	v_bfe_i32 v1, v6, 0, 16
	s_mov_b32 s6, 0
	global_store_b32 v[3:4], v1, off
.LBB46_1825:
	s_and_not1_b32 vcc_lo, exec_lo, s6
	s_cbranch_vccnz .LBB46_1827
; %bb.1826:
	global_store_b16 v[3:4], v6, off
.LBB46_1827:
	s_mov_b32 s6, 0
.LBB46_1828:
	s_delay_alu instid0(SALU_CYCLE_1)
	s_and_not1_b32 vcc_lo, exec_lo, s6
	s_cbranch_vccnz .LBB46_1836
; %bb.1829:
	v_bfe_i32 v1, v6, 0, 16
	v_mov_b32_e32 v8, 0x80
	s_mov_b32 s6, exec_lo
	s_delay_alu instid0(VALU_DEP_2) | instskip(NEXT) | instid1(VALU_DEP_1)
	v_cvt_f32_i32_e32 v1, v1
	v_and_b32_e32 v7, 0x7fffffff, v1
	s_delay_alu instid0(VALU_DEP_1)
	v_cmpx_gt_u32_e32 0x43800000, v7
	s_cbranch_execz .LBB46_1835
; %bb.1830:
	v_cmp_lt_u32_e32 vcc_lo, 0x3bffffff, v7
	s_mov_b32 s7, 0
                                        ; implicit-def: $vgpr7
	s_and_saveexec_b32 s10, vcc_lo
	s_delay_alu instid0(SALU_CYCLE_1)
	s_xor_b32 s10, exec_lo, s10
	s_cbranch_execz .LBB46_2017
; %bb.1831:
	v_bfe_u32 v7, v1, 20, 1
	s_mov_b32 s7, exec_lo
	s_delay_alu instid0(VALU_DEP_1) | instskip(NEXT) | instid1(VALU_DEP_1)
	v_add3_u32 v7, v1, v7, 0x487ffff
	v_lshrrev_b32_e32 v7, 20, v7
	s_or_saveexec_b32 s10, s10
                                        ; implicit-def: $sgpr11
	s_delay_alu instid0(SALU_CYCLE_1)
	s_xor_b32 exec_lo, exec_lo, s10
	s_cbranch_execnz .LBB46_2018
.LBB46_1832:
	s_or_b32 exec_lo, exec_lo, s10
	v_mov_b32_e32 v8, s11
	s_and_saveexec_b32 s10, s7
.LBB46_1833:
	v_lshrrev_b32_e32 v1, 24, v1
	s_delay_alu instid0(VALU_DEP_1)
	v_and_or_b32 v8, 0x80, v1, v7
.LBB46_1834:
	s_or_b32 exec_lo, exec_lo, s10
.LBB46_1835:
	s_delay_alu instid0(SALU_CYCLE_1)
	s_or_b32 exec_lo, exec_lo, s6
	global_store_b8 v[3:4], v8, off
.LBB46_1836:
	s_mov_b32 s6, -1
.LBB46_1837:
	s_mov_b32 s7, 0
.LBB46_1838:
	s_delay_alu instid0(SALU_CYCLE_1)
	s_and_b32 vcc_lo, exec_lo, s7
	s_cbranch_vccz .LBB46_1878
; %bb.1839:
	v_cmp_lt_i16_e32 vcc_lo, 22, v12
	s_mov_b32 s3, -1
	s_cbranch_vccz .LBB46_1871
; %bb.1840:
	v_cmp_gt_i16_e32 vcc_lo, 24, v12
	s_cbranch_vccnz .LBB46_1860
; %bb.1841:
	v_cmp_lt_i16_e32 vcc_lo, 24, v12
	s_cbranch_vccz .LBB46_1849
; %bb.1842:
	v_bfe_i32 v1, v6, 0, 16
	v_mov_b32_e32 v8, 0x80
	s_mov_b32 s3, exec_lo
	s_delay_alu instid0(VALU_DEP_2) | instskip(NEXT) | instid1(VALU_DEP_1)
	v_cvt_f32_i32_e32 v1, v1
	v_and_b32_e32 v7, 0x7fffffff, v1
	s_delay_alu instid0(VALU_DEP_1)
	v_cmpx_gt_u32_e32 0x47800000, v7
	s_cbranch_execz .LBB46_1848
; %bb.1843:
	v_cmp_lt_u32_e32 vcc_lo, 0x37ffffff, v7
	s_mov_b32 s6, 0
                                        ; implicit-def: $vgpr7
	s_and_saveexec_b32 s7, vcc_lo
	s_delay_alu instid0(SALU_CYCLE_1)
	s_xor_b32 s7, exec_lo, s7
	s_cbranch_execz .LBB46_2023
; %bb.1844:
	v_bfe_u32 v7, v1, 21, 1
	s_mov_b32 s6, exec_lo
	s_delay_alu instid0(VALU_DEP_1) | instskip(NEXT) | instid1(VALU_DEP_1)
	v_add3_u32 v7, v1, v7, 0x88fffff
	v_lshrrev_b32_e32 v7, 21, v7
	s_or_saveexec_b32 s7, s7
                                        ; implicit-def: $sgpr10
	s_delay_alu instid0(SALU_CYCLE_1)
	s_xor_b32 exec_lo, exec_lo, s7
	s_cbranch_execnz .LBB46_2024
.LBB46_1845:
	s_or_b32 exec_lo, exec_lo, s7
	v_mov_b32_e32 v8, s10
	s_and_saveexec_b32 s7, s6
.LBB46_1846:
	v_lshrrev_b32_e32 v1, 24, v1
	s_delay_alu instid0(VALU_DEP_1)
	v_and_or_b32 v8, 0x80, v1, v7
.LBB46_1847:
	s_or_b32 exec_lo, exec_lo, s7
.LBB46_1848:
	s_delay_alu instid0(SALU_CYCLE_1)
	s_or_b32 exec_lo, exec_lo, s3
	s_mov_b32 s3, 0
	global_store_b8 v[3:4], v8, off
.LBB46_1849:
	s_and_b32 vcc_lo, exec_lo, s3
	s_cbranch_vccz .LBB46_1859
; %bb.1850:
	v_bfe_i32 v1, v6, 0, 16
	s_mov_b32 s3, exec_lo
                                        ; implicit-def: $vgpr7
	s_delay_alu instid0(VALU_DEP_1) | instskip(NEXT) | instid1(VALU_DEP_1)
	v_cvt_f32_i32_e32 v1, v1
	v_and_b32_e32 v8, 0x7fffffff, v1
	s_delay_alu instid0(VALU_DEP_1)
	v_cmpx_gt_u32_e32 0x43f00000, v8
	s_xor_b32 s3, exec_lo, s3
	s_cbranch_execz .LBB46_1856
; %bb.1851:
	s_mov_b32 s6, exec_lo
                                        ; implicit-def: $vgpr7
	v_cmpx_lt_u32_e32 0x3c7fffff, v8
	s_xor_b32 s6, exec_lo, s6
; %bb.1852:
	v_bfe_u32 v7, v1, 20, 1
	s_delay_alu instid0(VALU_DEP_1) | instskip(NEXT) | instid1(VALU_DEP_1)
	v_add3_u32 v7, v1, v7, 0x407ffff
	v_and_b32_e32 v8, 0xff00000, v7
	v_lshrrev_b32_e32 v7, 20, v7
	s_delay_alu instid0(VALU_DEP_2) | instskip(NEXT) | instid1(VALU_DEP_2)
	v_cmp_ne_u32_e32 vcc_lo, 0x7f00000, v8
	v_cndmask_b32_e32 v7, 0x7e, v7, vcc_lo
; %bb.1853:
	s_and_not1_saveexec_b32 s6, s6
; %bb.1854:
	v_add_f32_e64 v7, 0x46800000, |v1|
; %bb.1855:
	s_or_b32 exec_lo, exec_lo, s6
                                        ; implicit-def: $vgpr8
.LBB46_1856:
	s_and_not1_saveexec_b32 s3, s3
; %bb.1857:
	v_mov_b32_e32 v7, 0x7f
	v_cmp_lt_u32_e32 vcc_lo, 0x7f800000, v8
	s_delay_alu instid0(VALU_DEP_2)
	v_cndmask_b32_e32 v7, 0x7e, v7, vcc_lo
; %bb.1858:
	s_or_b32 exec_lo, exec_lo, s3
	v_lshrrev_b32_e32 v1, 24, v1
	s_delay_alu instid0(VALU_DEP_1)
	v_and_or_b32 v1, 0x80, v1, v7
	global_store_b8 v[3:4], v1, off
.LBB46_1859:
	s_mov_b32 s3, 0
.LBB46_1860:
	s_delay_alu instid0(SALU_CYCLE_1)
	s_and_not1_b32 vcc_lo, exec_lo, s3
	s_cbranch_vccnz .LBB46_1870
; %bb.1861:
	v_bfe_i32 v1, v6, 0, 16
	s_mov_b32 s3, exec_lo
                                        ; implicit-def: $vgpr7
	s_delay_alu instid0(VALU_DEP_1) | instskip(NEXT) | instid1(VALU_DEP_1)
	v_cvt_f32_i32_e32 v1, v1
	v_and_b32_e32 v8, 0x7fffffff, v1
	s_delay_alu instid0(VALU_DEP_1)
	v_cmpx_gt_u32_e32 0x47800000, v8
	s_xor_b32 s3, exec_lo, s3
	s_cbranch_execz .LBB46_1867
; %bb.1862:
	s_mov_b32 s6, exec_lo
                                        ; implicit-def: $vgpr7
	v_cmpx_lt_u32_e32 0x387fffff, v8
	s_xor_b32 s6, exec_lo, s6
; %bb.1863:
	v_bfe_u32 v7, v1, 21, 1
	s_delay_alu instid0(VALU_DEP_1) | instskip(NEXT) | instid1(VALU_DEP_1)
	v_add3_u32 v7, v1, v7, 0x80fffff
	v_lshrrev_b32_e32 v7, 21, v7
; %bb.1864:
	s_and_not1_saveexec_b32 s6, s6
; %bb.1865:
	v_add_f32_e64 v7, 0x43000000, |v1|
; %bb.1866:
	s_or_b32 exec_lo, exec_lo, s6
                                        ; implicit-def: $vgpr8
.LBB46_1867:
	s_and_not1_saveexec_b32 s3, s3
; %bb.1868:
	v_mov_b32_e32 v7, 0x7f
	v_cmp_lt_u32_e32 vcc_lo, 0x7f800000, v8
	s_delay_alu instid0(VALU_DEP_2)
	v_cndmask_b32_e32 v7, 0x7c, v7, vcc_lo
; %bb.1869:
	s_or_b32 exec_lo, exec_lo, s3
	v_lshrrev_b32_e32 v1, 24, v1
	s_delay_alu instid0(VALU_DEP_1)
	v_and_or_b32 v1, 0x80, v1, v7
	global_store_b8 v[3:4], v1, off
.LBB46_1870:
	s_mov_b32 s3, 0
	s_mov_b32 s6, -1
.LBB46_1871:
	s_and_not1_b32 vcc_lo, exec_lo, s3
	s_mov_b32 s3, 0
	s_cbranch_vccnz .LBB46_1878
; %bb.1872:
	v_cmp_lt_i16_e32 vcc_lo, 14, v12
	s_mov_b32 s3, -1
	s_cbranch_vccz .LBB46_1876
; %bb.1873:
	v_cmp_eq_u16_e32 vcc_lo, 15, v12
	s_mov_b32 s0, -1
	s_cbranch_vccz .LBB46_1875
; %bb.1874:
	v_bfe_i32 v1, v6, 0, 16
	s_mov_b32 s0, 0
	s_mov_b32 s6, -1
	s_delay_alu instid0(VALU_DEP_1) | instskip(NEXT) | instid1(VALU_DEP_1)
	v_cvt_f32_i32_e32 v1, v1
	v_bfe_u32 v7, v1, 16, 1
	s_delay_alu instid0(VALU_DEP_1)
	v_add3_u32 v1, v1, v7, 0x7fff
	global_store_d16_hi_b16 v[3:4], v1, off
.LBB46_1875:
	s_mov_b32 s3, 0
.LBB46_1876:
	s_delay_alu instid0(SALU_CYCLE_1)
	s_and_b32 vcc_lo, exec_lo, s3
	s_mov_b32 s3, 0
	s_cbranch_vccz .LBB46_1878
; %bb.1877:
	v_cmp_ne_u16_e64 s0, 11, v12
	s_mov_b32 s3, -1
.LBB46_1878:
	s_delay_alu instid0(VALU_DEP_1)
	s_and_b32 vcc_lo, exec_lo, s0
	s_cbranch_vccnz .LBB46_2021
; %bb.1879:
	s_and_not1_b32 vcc_lo, exec_lo, s3
	s_cbranch_vccnz .LBB46_1881
.LBB46_1880:
	v_cmp_ne_u16_e32 vcc_lo, -1, v2
	s_mov_b32 s6, -1
	v_cndmask_b32_e64 v1, 0, 1, vcc_lo
	global_store_b8 v[3:4], v1, off
.LBB46_1881:
	s_mov_b32 s3, 0
.LBB46_1882:
	s_delay_alu instid0(SALU_CYCLE_1)
	s_and_b32 vcc_lo, exec_lo, s3
	s_cbranch_vccz .LBB46_1921
; %bb.1883:
	v_cmp_gt_i16_e32 vcc_lo, 5, v12
	s_mov_b32 s0, -1
	s_cbranch_vccnz .LBB46_1904
; %bb.1884:
	v_cmp_gt_i16_e32 vcc_lo, 8, v12
	s_cbranch_vccnz .LBB46_1894
; %bb.1885:
	v_cmp_gt_i16_e32 vcc_lo, 9, v12
	s_cbranch_vccnz .LBB46_1891
; %bb.1886:
	v_cmp_lt_i16_e32 vcc_lo, 9, v12
	s_cbranch_vccz .LBB46_1888
; %bb.1887:
	v_bfe_i32 v1, v6, 0, 16
	v_mov_b32_e32 v9, 0
	s_mov_b32 s0, 0
	s_delay_alu instid0(VALU_DEP_2) | instskip(NEXT) | instid1(VALU_DEP_2)
	v_cvt_f64_i32_e32 v[7:8], v1
	v_mov_b32_e32 v10, v9
	global_store_b128 v[3:4], v[7:10], off
.LBB46_1888:
	s_and_not1_b32 vcc_lo, exec_lo, s0
	s_cbranch_vccnz .LBB46_1890
; %bb.1889:
	v_bfe_i32 v1, v6, 0, 16
	v_mov_b32_e32 v2, 0
	s_delay_alu instid0(VALU_DEP_2)
	v_cvt_f32_i32_e32 v1, v1
	global_store_b64 v[3:4], v[1:2], off
.LBB46_1890:
	s_mov_b32 s0, 0
.LBB46_1891:
	s_delay_alu instid0(SALU_CYCLE_1)
	s_and_not1_b32 vcc_lo, exec_lo, s0
	s_cbranch_vccnz .LBB46_1893
; %bb.1892:
	v_cvt_f16_i16_e32 v1, v6
	s_delay_alu instid0(VALU_DEP_1)
	v_and_b32_e32 v1, 0xffff, v1
	global_store_b32 v[3:4], v1, off
.LBB46_1893:
	s_mov_b32 s0, 0
.LBB46_1894:
	s_delay_alu instid0(SALU_CYCLE_1)
	s_and_not1_b32 vcc_lo, exec_lo, s0
	s_cbranch_vccnz .LBB46_1903
; %bb.1895:
	v_cmp_gt_i16_e32 vcc_lo, 6, v12
	s_mov_b32 s0, -1
	s_cbranch_vccnz .LBB46_1901
; %bb.1896:
	v_cmp_lt_i16_e32 vcc_lo, 6, v12
	s_cbranch_vccz .LBB46_1898
; %bb.1897:
	v_bfe_i32 v1, v6, 0, 16
	s_mov_b32 s0, 0
	s_delay_alu instid0(VALU_DEP_1)
	v_cvt_f64_i32_e32 v[1:2], v1
	global_store_b64 v[3:4], v[1:2], off
.LBB46_1898:
	s_and_not1_b32 vcc_lo, exec_lo, s0
	s_cbranch_vccnz .LBB46_1900
; %bb.1899:
	v_bfe_i32 v1, v6, 0, 16
	s_delay_alu instid0(VALU_DEP_1)
	v_cvt_f32_i32_e32 v1, v1
	global_store_b32 v[3:4], v1, off
.LBB46_1900:
	s_mov_b32 s0, 0
.LBB46_1901:
	s_delay_alu instid0(SALU_CYCLE_1)
	s_and_not1_b32 vcc_lo, exec_lo, s0
	s_cbranch_vccnz .LBB46_1903
; %bb.1902:
	v_cvt_f16_i16_e32 v1, v6
	global_store_b16 v[3:4], v1, off
.LBB46_1903:
	s_mov_b32 s0, 0
.LBB46_1904:
	s_delay_alu instid0(SALU_CYCLE_1)
	s_and_not1_b32 vcc_lo, exec_lo, s0
	s_cbranch_vccnz .LBB46_1920
; %bb.1905:
	v_cmp_gt_i16_e32 vcc_lo, 2, v12
	s_mov_b32 s0, -1
	s_cbranch_vccnz .LBB46_1915
; %bb.1906:
	v_cmp_gt_i16_e32 vcc_lo, 3, v12
	s_cbranch_vccnz .LBB46_1912
; %bb.1907:
	v_cmp_lt_i16_e32 vcc_lo, 3, v12
	v_bfe_i32 v1, v6, 0, 16
	s_cbranch_vccz .LBB46_1909
; %bb.1908:
	s_delay_alu instid0(VALU_DEP_1)
	v_ashrrev_i32_e32 v2, 31, v1
	s_mov_b32 s0, 0
	global_store_b64 v[3:4], v[1:2], off
.LBB46_1909:
	s_and_not1_b32 vcc_lo, exec_lo, s0
	s_cbranch_vccnz .LBB46_1911
; %bb.1910:
	global_store_b32 v[3:4], v1, off
.LBB46_1911:
	s_mov_b32 s0, 0
.LBB46_1912:
	s_delay_alu instid0(SALU_CYCLE_1)
	s_and_not1_b32 vcc_lo, exec_lo, s0
	s_cbranch_vccnz .LBB46_1914
; %bb.1913:
	global_store_b16 v[3:4], v6, off
.LBB46_1914:
	s_mov_b32 s0, 0
.LBB46_1915:
	s_delay_alu instid0(SALU_CYCLE_1)
	s_and_not1_b32 vcc_lo, exec_lo, s0
	s_cbranch_vccnz .LBB46_1920
; %bb.1916:
	v_cmp_lt_i16_e32 vcc_lo, 0, v12
	s_mov_b32 s0, -1
	s_cbranch_vccz .LBB46_1918
; %bb.1917:
	s_mov_b32 s0, 0
	global_store_b8 v[3:4], v6, off
.LBB46_1918:
	s_and_not1_b32 vcc_lo, exec_lo, s0
	s_cbranch_vccnz .LBB46_1920
; %bb.1919:
	global_store_b8 v[3:4], v6, off
.LBB46_1920:
	s_mov_b32 s6, -1
.LBB46_1921:
	s_delay_alu instid0(SALU_CYCLE_1)
	s_and_not1_b32 vcc_lo, exec_lo, s6
	s_cbranch_vccnz .LBB46_1998
; %bb.1922:
	v_add_nc_u32_e32 v1, s2, v5
	v_cmp_gt_i16_e32 vcc_lo, 11, v12
	v_xor_b32_e32 v3, -1, v0
	s_mov_b32 s3, -1
	s_mov_b32 s2, 0
	v_ashrrev_i32_e32 v2, 31, v1
	v_add_co_u32 v1, s0, s4, v1
	s_delay_alu instid0(VALU_DEP_1)
	v_add_co_ci_u32_e64 v2, s0, s5, v2, s0
	s_cbranch_vccnz .LBB46_1327
; %bb.1923:
	v_cmp_lt_i16_e32 vcc_lo, 25, v12
	s_mov_b32 s0, 0
	s_cbranch_vccz .LBB46_1956
; %bb.1924:
	v_cmp_lt_i16_e32 vcc_lo, 28, v12
	s_cbranch_vccz .LBB46_1940
; %bb.1925:
	v_cmp_lt_i16_e32 vcc_lo, 43, v12
	;; [unrolled: 3-line block ×3, first 2 shown]
	s_cbranch_vccz .LBB46_1930
; %bb.1927:
	v_cmp_eq_u16_e32 vcc_lo, 46, v12
	s_mov_b32 s0, -1
	s_cbranch_vccz .LBB46_1929
; %bb.1928:
	v_bfe_i32 v4, v3, 0, 16
	s_mov_b32 s0, 0
	s_delay_alu instid0(VALU_DEP_1) | instskip(NEXT) | instid1(VALU_DEP_1)
	v_cvt_f32_i32_e32 v4, v4
	v_bfe_u32 v5, v4, 16, 1
	s_delay_alu instid0(VALU_DEP_1) | instskip(NEXT) | instid1(VALU_DEP_1)
	v_add3_u32 v4, v4, v5, 0x7fff
	v_lshrrev_b32_e32 v4, 16, v4
	global_store_b32 v[1:2], v4, off
.LBB46_1929:
	s_mov_b32 s3, 0
.LBB46_1930:
	s_delay_alu instid0(SALU_CYCLE_1)
	s_and_b32 vcc_lo, exec_lo, s3
	s_cbranch_vccz .LBB46_1935
; %bb.1931:
	v_cmp_eq_u16_e32 vcc_lo, 44, v12
	s_mov_b32 s0, -1
	s_cbranch_vccz .LBB46_1935
; %bb.1932:
	v_bfe_i32 v4, v3, 0, 16
	v_mov_b32_e32 v5, 0xff
	s_mov_b32 s3, exec_lo
	s_delay_alu instid0(VALU_DEP_2) | instskip(NEXT) | instid1(VALU_DEP_1)
	v_cvt_f32_i32_e32 v4, v4
	v_bfe_u32 v6, v4, 23, 8
	s_delay_alu instid0(VALU_DEP_1)
	v_cmpx_ne_u32_e32 0xff, v6
; %bb.1933:
	v_and_b32_e32 v5, 0x400000, v4
	v_and_or_b32 v6, 0x3fffff, v4, v6
	v_lshrrev_b32_e32 v4, 23, v4
	s_delay_alu instid0(VALU_DEP_3) | instskip(NEXT) | instid1(VALU_DEP_3)
	v_cmp_ne_u32_e32 vcc_lo, 0, v5
	v_cmp_ne_u32_e64 s0, 0, v6
	s_delay_alu instid0(VALU_DEP_1) | instskip(NEXT) | instid1(SALU_CYCLE_1)
	s_and_b32 s0, vcc_lo, s0
	v_cndmask_b32_e64 v5, 0, 1, s0
	s_delay_alu instid0(VALU_DEP_1)
	v_add_nc_u32_e32 v5, v4, v5
; %bb.1934:
	s_or_b32 exec_lo, exec_lo, s3
	s_mov_b32 s0, 0
	global_store_b8 v[1:2], v5, off
.LBB46_1935:
	s_mov_b32 s3, 0
.LBB46_1936:
	s_delay_alu instid0(SALU_CYCLE_1)
	s_and_b32 vcc_lo, exec_lo, s3
	s_cbranch_vccz .LBB46_1939
; %bb.1937:
	v_cmp_eq_u16_e32 vcc_lo, 29, v12
	s_mov_b32 s0, -1
	s_cbranch_vccz .LBB46_1939
; %bb.1938:
	v_bfe_i32 v4, v3, 0, 16
	s_mov_b32 s0, 0
	s_delay_alu instid0(VALU_DEP_1)
	v_ashrrev_i32_e32 v5, 31, v4
	global_store_b64 v[1:2], v[4:5], off
.LBB46_1939:
	s_mov_b32 s3, 0
.LBB46_1940:
	s_delay_alu instid0(SALU_CYCLE_1)
	s_and_b32 vcc_lo, exec_lo, s3
	s_cbranch_vccz .LBB46_1955
; %bb.1941:
	v_cmp_gt_i16_e32 vcc_lo, 27, v12
	s_mov_b32 s3, -1
	s_cbranch_vccnz .LBB46_1947
; %bb.1942:
	v_cmp_lt_i16_e32 vcc_lo, 27, v12
	s_cbranch_vccz .LBB46_1944
; %bb.1943:
	v_bfe_i32 v4, v3, 0, 16
	s_mov_b32 s3, 0
	global_store_b32 v[1:2], v4, off
.LBB46_1944:
	s_and_not1_b32 vcc_lo, exec_lo, s3
	s_cbranch_vccnz .LBB46_1946
; %bb.1945:
	global_store_b16 v[1:2], v3, off
.LBB46_1946:
	s_mov_b32 s3, 0
.LBB46_1947:
	s_delay_alu instid0(SALU_CYCLE_1)
	s_and_not1_b32 vcc_lo, exec_lo, s3
	s_cbranch_vccnz .LBB46_1955
; %bb.1948:
	v_bfe_i32 v4, v3, 0, 16
	v_mov_b32_e32 v6, 0x80
	s_mov_b32 s3, exec_lo
	s_delay_alu instid0(VALU_DEP_2) | instskip(NEXT) | instid1(VALU_DEP_1)
	v_cvt_f32_i32_e32 v4, v4
	v_and_b32_e32 v5, 0x7fffffff, v4
	s_delay_alu instid0(VALU_DEP_1)
	v_cmpx_gt_u32_e32 0x43800000, v5
	s_cbranch_execz .LBB46_1954
; %bb.1949:
	v_cmp_lt_u32_e32 vcc_lo, 0x3bffffff, v5
	s_mov_b32 s4, 0
                                        ; implicit-def: $vgpr5
	s_and_saveexec_b32 s5, vcc_lo
	s_delay_alu instid0(SALU_CYCLE_1)
	s_xor_b32 s5, exec_lo, s5
	s_cbranch_execz .LBB46_2025
; %bb.1950:
	v_bfe_u32 v5, v4, 20, 1
	s_mov_b32 s4, exec_lo
	s_delay_alu instid0(VALU_DEP_1) | instskip(NEXT) | instid1(VALU_DEP_1)
	v_add3_u32 v5, v4, v5, 0x487ffff
	v_lshrrev_b32_e32 v5, 20, v5
	s_or_saveexec_b32 s5, s5
                                        ; implicit-def: $sgpr6
	s_delay_alu instid0(SALU_CYCLE_1)
	s_xor_b32 exec_lo, exec_lo, s5
	s_cbranch_execnz .LBB46_2026
.LBB46_1951:
	s_or_b32 exec_lo, exec_lo, s5
	v_mov_b32_e32 v6, s6
	s_and_saveexec_b32 s5, s4
.LBB46_1952:
	v_lshrrev_b32_e32 v4, 24, v4
	s_delay_alu instid0(VALU_DEP_1)
	v_and_or_b32 v6, 0x80, v4, v5
.LBB46_1953:
	s_or_b32 exec_lo, exec_lo, s5
.LBB46_1954:
	s_delay_alu instid0(SALU_CYCLE_1)
	s_or_b32 exec_lo, exec_lo, s3
	global_store_b8 v[1:2], v6, off
.LBB46_1955:
	s_mov_b32 s3, 0
.LBB46_1956:
	s_delay_alu instid0(SALU_CYCLE_1)
	s_and_b32 vcc_lo, exec_lo, s3
	s_cbranch_vccz .LBB46_1996
; %bb.1957:
	v_cmp_lt_i16_e32 vcc_lo, 22, v12
	s_mov_b32 s2, -1
	s_cbranch_vccz .LBB46_1989
; %bb.1958:
	v_cmp_gt_i16_e32 vcc_lo, 24, v12
	s_cbranch_vccnz .LBB46_1978
; %bb.1959:
	v_cmp_lt_i16_e32 vcc_lo, 24, v12
	s_cbranch_vccz .LBB46_1967
; %bb.1960:
	v_bfe_i32 v4, v3, 0, 16
	v_mov_b32_e32 v6, 0x80
	s_mov_b32 s2, exec_lo
	s_delay_alu instid0(VALU_DEP_2) | instskip(NEXT) | instid1(VALU_DEP_1)
	v_cvt_f32_i32_e32 v4, v4
	v_and_b32_e32 v5, 0x7fffffff, v4
	s_delay_alu instid0(VALU_DEP_1)
	v_cmpx_gt_u32_e32 0x47800000, v5
	s_cbranch_execz .LBB46_1966
; %bb.1961:
	v_cmp_lt_u32_e32 vcc_lo, 0x37ffffff, v5
	s_mov_b32 s3, 0
                                        ; implicit-def: $vgpr5
	s_and_saveexec_b32 s4, vcc_lo
	s_delay_alu instid0(SALU_CYCLE_1)
	s_xor_b32 s4, exec_lo, s4
	s_cbranch_execz .LBB46_2031
; %bb.1962:
	v_bfe_u32 v5, v4, 21, 1
	s_mov_b32 s3, exec_lo
	s_delay_alu instid0(VALU_DEP_1) | instskip(NEXT) | instid1(VALU_DEP_1)
	v_add3_u32 v5, v4, v5, 0x88fffff
	v_lshrrev_b32_e32 v5, 21, v5
	s_or_saveexec_b32 s4, s4
                                        ; implicit-def: $sgpr5
	s_delay_alu instid0(SALU_CYCLE_1)
	s_xor_b32 exec_lo, exec_lo, s4
	s_cbranch_execnz .LBB46_2032
.LBB46_1963:
	s_or_b32 exec_lo, exec_lo, s4
	v_mov_b32_e32 v6, s5
	s_and_saveexec_b32 s4, s3
.LBB46_1964:
	v_lshrrev_b32_e32 v4, 24, v4
	s_delay_alu instid0(VALU_DEP_1)
	v_and_or_b32 v6, 0x80, v4, v5
.LBB46_1965:
	s_or_b32 exec_lo, exec_lo, s4
.LBB46_1966:
	s_delay_alu instid0(SALU_CYCLE_1)
	s_or_b32 exec_lo, exec_lo, s2
	s_mov_b32 s2, 0
	global_store_b8 v[1:2], v6, off
.LBB46_1967:
	s_and_b32 vcc_lo, exec_lo, s2
	s_cbranch_vccz .LBB46_1977
; %bb.1968:
	v_bfe_i32 v4, v3, 0, 16
	s_mov_b32 s2, exec_lo
                                        ; implicit-def: $vgpr5
	s_delay_alu instid0(VALU_DEP_1) | instskip(NEXT) | instid1(VALU_DEP_1)
	v_cvt_f32_i32_e32 v4, v4
	v_and_b32_e32 v6, 0x7fffffff, v4
	s_delay_alu instid0(VALU_DEP_1)
	v_cmpx_gt_u32_e32 0x43f00000, v6
	s_xor_b32 s2, exec_lo, s2
	s_cbranch_execz .LBB46_1974
; %bb.1969:
	s_mov_b32 s3, exec_lo
                                        ; implicit-def: $vgpr5
	v_cmpx_lt_u32_e32 0x3c7fffff, v6
	s_xor_b32 s3, exec_lo, s3
; %bb.1970:
	v_bfe_u32 v5, v4, 20, 1
	s_delay_alu instid0(VALU_DEP_1) | instskip(NEXT) | instid1(VALU_DEP_1)
	v_add3_u32 v5, v4, v5, 0x407ffff
	v_and_b32_e32 v6, 0xff00000, v5
	v_lshrrev_b32_e32 v5, 20, v5
	s_delay_alu instid0(VALU_DEP_2) | instskip(NEXT) | instid1(VALU_DEP_2)
	v_cmp_ne_u32_e32 vcc_lo, 0x7f00000, v6
	v_cndmask_b32_e32 v5, 0x7e, v5, vcc_lo
; %bb.1971:
	s_and_not1_saveexec_b32 s3, s3
; %bb.1972:
	v_add_f32_e64 v5, 0x46800000, |v4|
; %bb.1973:
	s_or_b32 exec_lo, exec_lo, s3
                                        ; implicit-def: $vgpr6
.LBB46_1974:
	s_and_not1_saveexec_b32 s2, s2
; %bb.1975:
	v_mov_b32_e32 v5, 0x7f
	v_cmp_lt_u32_e32 vcc_lo, 0x7f800000, v6
	s_delay_alu instid0(VALU_DEP_2)
	v_cndmask_b32_e32 v5, 0x7e, v5, vcc_lo
; %bb.1976:
	s_or_b32 exec_lo, exec_lo, s2
	v_lshrrev_b32_e32 v4, 24, v4
	s_delay_alu instid0(VALU_DEP_1)
	v_and_or_b32 v4, 0x80, v4, v5
	global_store_b8 v[1:2], v4, off
.LBB46_1977:
	s_mov_b32 s2, 0
.LBB46_1978:
	s_delay_alu instid0(SALU_CYCLE_1)
	s_and_not1_b32 vcc_lo, exec_lo, s2
	s_cbranch_vccnz .LBB46_1988
; %bb.1979:
	v_bfe_i32 v4, v3, 0, 16
	s_mov_b32 s2, exec_lo
                                        ; implicit-def: $vgpr5
	s_delay_alu instid0(VALU_DEP_1) | instskip(NEXT) | instid1(VALU_DEP_1)
	v_cvt_f32_i32_e32 v4, v4
	v_and_b32_e32 v6, 0x7fffffff, v4
	s_delay_alu instid0(VALU_DEP_1)
	v_cmpx_gt_u32_e32 0x47800000, v6
	s_xor_b32 s2, exec_lo, s2
	s_cbranch_execz .LBB46_1985
; %bb.1980:
	s_mov_b32 s3, exec_lo
                                        ; implicit-def: $vgpr5
	v_cmpx_lt_u32_e32 0x387fffff, v6
	s_xor_b32 s3, exec_lo, s3
; %bb.1981:
	v_bfe_u32 v5, v4, 21, 1
	s_delay_alu instid0(VALU_DEP_1) | instskip(NEXT) | instid1(VALU_DEP_1)
	v_add3_u32 v5, v4, v5, 0x80fffff
	v_lshrrev_b32_e32 v5, 21, v5
; %bb.1982:
	s_and_not1_saveexec_b32 s3, s3
; %bb.1983:
	v_add_f32_e64 v5, 0x43000000, |v4|
; %bb.1984:
	s_or_b32 exec_lo, exec_lo, s3
                                        ; implicit-def: $vgpr6
.LBB46_1985:
	s_and_not1_saveexec_b32 s2, s2
; %bb.1986:
	v_mov_b32_e32 v5, 0x7f
	v_cmp_lt_u32_e32 vcc_lo, 0x7f800000, v6
	s_delay_alu instid0(VALU_DEP_2)
	v_cndmask_b32_e32 v5, 0x7c, v5, vcc_lo
; %bb.1987:
	s_or_b32 exec_lo, exec_lo, s2
	v_lshrrev_b32_e32 v4, 24, v4
	s_delay_alu instid0(VALU_DEP_1)
	v_and_or_b32 v4, 0x80, v4, v5
	global_store_b8 v[1:2], v4, off
.LBB46_1988:
	s_mov_b32 s2, 0
.LBB46_1989:
	s_delay_alu instid0(SALU_CYCLE_1)
	s_and_not1_b32 vcc_lo, exec_lo, s2
	s_mov_b32 s2, 0
	s_cbranch_vccnz .LBB46_1996
; %bb.1990:
	v_cmp_lt_i16_e32 vcc_lo, 14, v12
	s_mov_b32 s2, -1
	s_cbranch_vccz .LBB46_1994
; %bb.1991:
	v_cmp_eq_u16_e32 vcc_lo, 15, v12
	s_mov_b32 s0, -1
	s_cbranch_vccz .LBB46_1993
; %bb.1992:
	v_bfe_i32 v4, v3, 0, 16
	s_mov_b32 s0, 0
	s_delay_alu instid0(VALU_DEP_1) | instskip(NEXT) | instid1(VALU_DEP_1)
	v_cvt_f32_i32_e32 v4, v4
	v_bfe_u32 v5, v4, 16, 1
	s_delay_alu instid0(VALU_DEP_1)
	v_add3_u32 v4, v4, v5, 0x7fff
	global_store_d16_hi_b16 v[1:2], v4, off
.LBB46_1993:
	s_mov_b32 s2, 0
.LBB46_1994:
	s_delay_alu instid0(SALU_CYCLE_1)
	s_and_b32 vcc_lo, exec_lo, s2
	s_mov_b32 s2, 0
	s_cbranch_vccz .LBB46_1996
; %bb.1995:
	v_cmp_ne_u16_e64 s0, 11, v12
	s_mov_b32 s2, -1
.LBB46_1996:
	s_delay_alu instid0(VALU_DEP_1)
	s_and_b32 vcc_lo, exec_lo, s0
	s_cbranch_vccnz .LBB46_2029
.LBB46_1997:
	s_mov_b32 s3, 0
	s_branch .LBB46_1327
.LBB46_1998:
	s_mov_b32 s3, 0
	s_mov_b32 s2, 0
                                        ; implicit-def: $vgpr12
                                        ; implicit-def: $vgpr1_vgpr2
                                        ; implicit-def: $vgpr3
	s_branch .LBB46_1327
.LBB46_1999:
	s_cbranch_execnz .LBB46_2003
; %bb.2000:
	s_or_b32 s1, s1, exec_lo
                                        ; implicit-def: $vgpr0
	s_cbranch_execz .LBB46_1516
	s_branch .LBB46_1517
.LBB46_2001:
	s_or_saveexec_b32 s10, s10
                                        ; implicit-def: $sgpr11
	s_delay_alu instid0(SALU_CYCLE_1)
	s_xor_b32 exec_lo, exec_lo, s10
	s_cbranch_execz .LBB46_1596
.LBB46_2002:
	v_add_f32_e64 v9, 0x46000000, |v5|
	s_and_not1_b32 s7, s7, exec_lo
	s_mov_b32 s11, 0
	s_delay_alu instid0(VALU_DEP_1) | instskip(NEXT) | instid1(VALU_DEP_1)
	v_and_b32_e32 v9, 0xff, v9
	v_cmp_ne_u32_e32 vcc_lo, 0, v9
	s_and_b32 s12, vcc_lo, exec_lo
	s_delay_alu instid0(SALU_CYCLE_1)
	s_or_b32 s7, s7, s12
	s_or_b32 exec_lo, exec_lo, s10
	v_mov_b32_e32 v10, s11
	s_and_saveexec_b32 s10, s7
	s_cbranch_execnz .LBB46_1597
	s_branch .LBB46_1598
.LBB46_2003:
	s_trap 2
	s_sendmsg_rtn_b32 s0, sendmsg(MSG_RTN_GET_DOORBELL)
	s_mov_b32 ttmp2, m0
	s_waitcnt lgkmcnt(0)
	s_and_b32 s0, s0, 0x3ff
	s_delay_alu instid0(SALU_CYCLE_1) | instskip(NEXT) | instid1(SALU_CYCLE_1)
	s_bitset1_b32 s0, 10
	s_mov_b32 m0, s0
	s_sendmsg sendmsg(MSG_INTERRUPT)
	s_mov_b32 m0, ttmp2
.LBB46_2004:                            ; =>This Inner Loop Header: Depth=1
	s_sethalt 5
	s_branch .LBB46_2004
.LBB46_2005:
	s_cbranch_execnz .LBB46_2011
; %bb.2006:
	s_or_b32 s1, s1, exec_lo
	s_cbranch_execz .LBB46_1644
	s_branch .LBB46_1645
.LBB46_2007:
	s_or_saveexec_b32 s7, s7
                                        ; implicit-def: $sgpr10
	s_delay_alu instid0(SALU_CYCLE_1)
	s_xor_b32 exec_lo, exec_lo, s7
	s_cbranch_execz .LBB46_1609
.LBB46_2008:
	v_add_f32_e64 v9, 0x42800000, |v5|
	s_and_not1_b32 s6, s6, exec_lo
	s_mov_b32 s10, 0
	s_delay_alu instid0(VALU_DEP_1) | instskip(NEXT) | instid1(VALU_DEP_1)
	v_and_b32_e32 v9, 0xff, v9
	v_cmp_ne_u32_e32 vcc_lo, 0, v9
	s_and_b32 s11, vcc_lo, exec_lo
	s_delay_alu instid0(SALU_CYCLE_1)
	s_or_b32 s6, s6, s11
	s_or_b32 exec_lo, exec_lo, s7
	v_mov_b32_e32 v10, s10
	s_and_saveexec_b32 s7, s6
	s_cbranch_execnz .LBB46_1610
	s_branch .LBB46_1611
.LBB46_2009:
	s_or_saveexec_b32 s10, s10
                                        ; implicit-def: $sgpr11
	s_delay_alu instid0(SALU_CYCLE_1)
	s_xor_b32 exec_lo, exec_lo, s10
	s_cbranch_execz .LBB46_1714
.LBB46_2010:
	v_add_f32_e64 v8, 0x46000000, |v3|
	s_and_not1_b32 s7, s7, exec_lo
	s_mov_b32 s11, 0
	s_delay_alu instid0(VALU_DEP_1) | instskip(NEXT) | instid1(VALU_DEP_1)
	v_and_b32_e32 v8, 0xff, v8
	v_cmp_ne_u32_e32 vcc_lo, 0, v8
	s_and_b32 s12, vcc_lo, exec_lo
	s_delay_alu instid0(SALU_CYCLE_1)
	s_or_b32 s7, s7, s12
	s_or_b32 exec_lo, exec_lo, s10
	v_mov_b32_e32 v9, s11
	s_and_saveexec_b32 s10, s7
	s_cbranch_execnz .LBB46_1715
	s_branch .LBB46_1716
.LBB46_2011:
	s_trap 2
	s_sendmsg_rtn_b32 s0, sendmsg(MSG_RTN_GET_DOORBELL)
	s_mov_b32 ttmp2, m0
	s_waitcnt lgkmcnt(0)
	s_and_b32 s0, s0, 0x3ff
	s_delay_alu instid0(SALU_CYCLE_1) | instskip(NEXT) | instid1(SALU_CYCLE_1)
	s_bitset1_b32 s0, 10
	s_mov_b32 m0, s0
	s_sendmsg sendmsg(MSG_INTERRUPT)
	s_mov_b32 m0, ttmp2
.LBB46_2012:                            ; =>This Inner Loop Header: Depth=1
	s_sethalt 5
	s_branch .LBB46_2012
.LBB46_2013:
	s_cbranch_execnz .LBB46_2019
; %bb.2014:
	s_or_b32 s1, s1, exec_lo
	s_cbranch_execz .LBB46_1762
	s_branch .LBB46_1763
.LBB46_2015:
	s_or_saveexec_b32 s7, s7
                                        ; implicit-def: $sgpr10
	s_delay_alu instid0(SALU_CYCLE_1)
	s_xor_b32 exec_lo, exec_lo, s7
	s_cbranch_execz .LBB46_1727
.LBB46_2016:
	v_add_f32_e64 v8, 0x42800000, |v3|
	s_and_not1_b32 s6, s6, exec_lo
	s_mov_b32 s10, 0
	s_delay_alu instid0(VALU_DEP_1) | instskip(NEXT) | instid1(VALU_DEP_1)
	v_and_b32_e32 v8, 0xff, v8
	v_cmp_ne_u32_e32 vcc_lo, 0, v8
	s_and_b32 s11, vcc_lo, exec_lo
	s_delay_alu instid0(SALU_CYCLE_1)
	s_or_b32 s6, s6, s11
	s_or_b32 exec_lo, exec_lo, s7
	v_mov_b32_e32 v9, s10
	s_and_saveexec_b32 s7, s6
	s_cbranch_execnz .LBB46_1728
	s_branch .LBB46_1729
.LBB46_2017:
	s_or_saveexec_b32 s10, s10
                                        ; implicit-def: $sgpr11
	s_delay_alu instid0(SALU_CYCLE_1)
	s_xor_b32 exec_lo, exec_lo, s10
	s_cbranch_execz .LBB46_1832
.LBB46_2018:
	v_add_f32_e64 v7, 0x46000000, |v1|
	s_and_not1_b32 s7, s7, exec_lo
	s_mov_b32 s11, 0
	s_delay_alu instid0(VALU_DEP_1) | instskip(NEXT) | instid1(VALU_DEP_1)
	v_and_b32_e32 v7, 0xff, v7
	v_cmp_ne_u32_e32 vcc_lo, 0, v7
	s_and_b32 s12, vcc_lo, exec_lo
	s_delay_alu instid0(SALU_CYCLE_1)
	s_or_b32 s7, s7, s12
	s_or_b32 exec_lo, exec_lo, s10
	v_mov_b32_e32 v8, s11
	s_and_saveexec_b32 s10, s7
	s_cbranch_execnz .LBB46_1833
	s_branch .LBB46_1834
.LBB46_2019:
	s_trap 2
	s_sendmsg_rtn_b32 s0, sendmsg(MSG_RTN_GET_DOORBELL)
	s_mov_b32 ttmp2, m0
	s_waitcnt lgkmcnt(0)
	s_and_b32 s0, s0, 0x3ff
	s_delay_alu instid0(SALU_CYCLE_1) | instskip(NEXT) | instid1(SALU_CYCLE_1)
	s_bitset1_b32 s0, 10
	s_mov_b32 m0, s0
	s_sendmsg sendmsg(MSG_INTERRUPT)
	s_mov_b32 m0, ttmp2
.LBB46_2020:                            ; =>This Inner Loop Header: Depth=1
	s_sethalt 5
	s_branch .LBB46_2020
.LBB46_2021:
	s_cbranch_execnz .LBB46_2027
; %bb.2022:
	s_or_b32 s1, s1, exec_lo
	s_cbranch_execz .LBB46_1880
	s_branch .LBB46_1881
.LBB46_2023:
	s_or_saveexec_b32 s7, s7
                                        ; implicit-def: $sgpr10
	s_delay_alu instid0(SALU_CYCLE_1)
	s_xor_b32 exec_lo, exec_lo, s7
	s_cbranch_execz .LBB46_1845
.LBB46_2024:
	v_add_f32_e64 v7, 0x42800000, |v1|
	s_and_not1_b32 s6, s6, exec_lo
	s_mov_b32 s10, 0
	s_delay_alu instid0(VALU_DEP_1) | instskip(NEXT) | instid1(VALU_DEP_1)
	v_and_b32_e32 v7, 0xff, v7
	v_cmp_ne_u32_e32 vcc_lo, 0, v7
	s_and_b32 s11, vcc_lo, exec_lo
	s_delay_alu instid0(SALU_CYCLE_1)
	s_or_b32 s6, s6, s11
	s_or_b32 exec_lo, exec_lo, s7
	v_mov_b32_e32 v8, s10
	s_and_saveexec_b32 s7, s6
	s_cbranch_execnz .LBB46_1846
	s_branch .LBB46_1847
.LBB46_2025:
	s_or_saveexec_b32 s5, s5
                                        ; implicit-def: $sgpr6
	s_delay_alu instid0(SALU_CYCLE_1)
	s_xor_b32 exec_lo, exec_lo, s5
	s_cbranch_execz .LBB46_1951
.LBB46_2026:
	v_add_f32_e64 v5, 0x46000000, |v4|
	s_and_not1_b32 s4, s4, exec_lo
	s_mov_b32 s6, 0
	s_delay_alu instid0(VALU_DEP_1) | instskip(NEXT) | instid1(VALU_DEP_1)
	v_and_b32_e32 v5, 0xff, v5
	v_cmp_ne_u32_e32 vcc_lo, 0, v5
	s_and_b32 s7, vcc_lo, exec_lo
	s_delay_alu instid0(SALU_CYCLE_1)
	s_or_b32 s4, s4, s7
	s_or_b32 exec_lo, exec_lo, s5
	v_mov_b32_e32 v6, s6
	s_and_saveexec_b32 s5, s4
	s_cbranch_execnz .LBB46_1952
	s_branch .LBB46_1953
.LBB46_2027:
	s_trap 2
	s_sendmsg_rtn_b32 s0, sendmsg(MSG_RTN_GET_DOORBELL)
	s_mov_b32 ttmp2, m0
	s_waitcnt lgkmcnt(0)
	s_and_b32 s0, s0, 0x3ff
	s_delay_alu instid0(SALU_CYCLE_1) | instskip(NEXT) | instid1(SALU_CYCLE_1)
	s_bitset1_b32 s0, 10
	s_mov_b32 m0, s0
	s_sendmsg sendmsg(MSG_INTERRUPT)
	s_mov_b32 m0, ttmp2
.LBB46_2028:                            ; =>This Inner Loop Header: Depth=1
	s_sethalt 5
	s_branch .LBB46_2028
.LBB46_2029:
	s_cbranch_execnz .LBB46_2033
; %bb.2030:
	s_mov_b32 s2, 0
	s_or_b32 s1, s1, exec_lo
	s_branch .LBB46_1997
.LBB46_2031:
	s_or_saveexec_b32 s4, s4
                                        ; implicit-def: $sgpr5
	s_delay_alu instid0(SALU_CYCLE_1)
	s_xor_b32 exec_lo, exec_lo, s4
	s_cbranch_execz .LBB46_1963
.LBB46_2032:
	v_add_f32_e64 v5, 0x42800000, |v4|
	s_and_not1_b32 s3, s3, exec_lo
	s_mov_b32 s5, 0
	s_delay_alu instid0(VALU_DEP_1) | instskip(NEXT) | instid1(VALU_DEP_1)
	v_and_b32_e32 v5, 0xff, v5
	v_cmp_ne_u32_e32 vcc_lo, 0, v5
	s_and_b32 s6, vcc_lo, exec_lo
	s_delay_alu instid0(SALU_CYCLE_1)
	s_or_b32 s3, s3, s6
	s_or_b32 exec_lo, exec_lo, s4
	v_mov_b32_e32 v6, s5
	s_and_saveexec_b32 s4, s3
	s_cbranch_execnz .LBB46_1964
	s_branch .LBB46_1965
.LBB46_2033:
	s_trap 2
	s_sendmsg_rtn_b32 s0, sendmsg(MSG_RTN_GET_DOORBELL)
	s_mov_b32 ttmp2, m0
	s_waitcnt lgkmcnt(0)
	s_and_b32 s0, s0, 0x3ff
	s_delay_alu instid0(SALU_CYCLE_1) | instskip(NEXT) | instid1(SALU_CYCLE_1)
	s_bitset1_b32 s0, 10
	s_mov_b32 m0, s0
	s_sendmsg sendmsg(MSG_INTERRUPT)
	s_mov_b32 m0, ttmp2
.LBB46_2034:                            ; =>This Inner Loop Header: Depth=1
	s_sethalt 5
	s_branch .LBB46_2034
	.section	.rodata,"a",@progbits
	.p2align	6, 0x0
	.amdhsa_kernel _ZN2at6native32elementwise_kernel_manual_unrollILi128ELi4EZNS0_15gpu_kernel_implIZZZNS0_23bitwise_not_kernel_cudaERNS_18TensorIteratorBaseEENKUlvE_clEvENKUlvE3_clEvEUlsE_EEvS4_RKT_EUlibE_EEviT1_
		.amdhsa_group_segment_fixed_size 0
		.amdhsa_private_segment_fixed_size 0
		.amdhsa_kernarg_size 40
		.amdhsa_user_sgpr_count 15
		.amdhsa_user_sgpr_dispatch_ptr 0
		.amdhsa_user_sgpr_queue_ptr 0
		.amdhsa_user_sgpr_kernarg_segment_ptr 1
		.amdhsa_user_sgpr_dispatch_id 0
		.amdhsa_user_sgpr_private_segment_size 0
		.amdhsa_wavefront_size32 1
		.amdhsa_uses_dynamic_stack 0
		.amdhsa_enable_private_segment 0
		.amdhsa_system_sgpr_workgroup_id_x 1
		.amdhsa_system_sgpr_workgroup_id_y 0
		.amdhsa_system_sgpr_workgroup_id_z 0
		.amdhsa_system_sgpr_workgroup_info 0
		.amdhsa_system_vgpr_workitem_id 0
		.amdhsa_next_free_vgpr 17
		.amdhsa_next_free_sgpr 24
		.amdhsa_reserve_vcc 1
		.amdhsa_float_round_mode_32 0
		.amdhsa_float_round_mode_16_64 0
		.amdhsa_float_denorm_mode_32 3
		.amdhsa_float_denorm_mode_16_64 3
		.amdhsa_dx10_clamp 1
		.amdhsa_ieee_mode 1
		.amdhsa_fp16_overflow 0
		.amdhsa_workgroup_processor_mode 1
		.amdhsa_memory_ordered 1
		.amdhsa_forward_progress 0
		.amdhsa_shared_vgpr_count 0
		.amdhsa_exception_fp_ieee_invalid_op 0
		.amdhsa_exception_fp_denorm_src 0
		.amdhsa_exception_fp_ieee_div_zero 0
		.amdhsa_exception_fp_ieee_overflow 0
		.amdhsa_exception_fp_ieee_underflow 0
		.amdhsa_exception_fp_ieee_inexact 0
		.amdhsa_exception_int_div_zero 0
	.end_amdhsa_kernel
	.section	.text._ZN2at6native32elementwise_kernel_manual_unrollILi128ELi4EZNS0_15gpu_kernel_implIZZZNS0_23bitwise_not_kernel_cudaERNS_18TensorIteratorBaseEENKUlvE_clEvENKUlvE3_clEvEUlsE_EEvS4_RKT_EUlibE_EEviT1_,"axG",@progbits,_ZN2at6native32elementwise_kernel_manual_unrollILi128ELi4EZNS0_15gpu_kernel_implIZZZNS0_23bitwise_not_kernel_cudaERNS_18TensorIteratorBaseEENKUlvE_clEvENKUlvE3_clEvEUlsE_EEvS4_RKT_EUlibE_EEviT1_,comdat
.Lfunc_end46:
	.size	_ZN2at6native32elementwise_kernel_manual_unrollILi128ELi4EZNS0_15gpu_kernel_implIZZZNS0_23bitwise_not_kernel_cudaERNS_18TensorIteratorBaseEENKUlvE_clEvENKUlvE3_clEvEUlsE_EEvS4_RKT_EUlibE_EEviT1_, .Lfunc_end46-_ZN2at6native32elementwise_kernel_manual_unrollILi128ELi4EZNS0_15gpu_kernel_implIZZZNS0_23bitwise_not_kernel_cudaERNS_18TensorIteratorBaseEENKUlvE_clEvENKUlvE3_clEvEUlsE_EEvS4_RKT_EUlibE_EEviT1_
                                        ; -- End function
	.section	.AMDGPU.csdata,"",@progbits
; Kernel info:
; codeLenInByte = 33580
; NumSgprs: 26
; NumVgprs: 17
; ScratchSize: 0
; MemoryBound: 1
; FloatMode: 240
; IeeeMode: 1
; LDSByteSize: 0 bytes/workgroup (compile time only)
; SGPRBlocks: 3
; VGPRBlocks: 2
; NumSGPRsForWavesPerEU: 26
; NumVGPRsForWavesPerEU: 17
; Occupancy: 16
; WaveLimiterHint : 0
; COMPUTE_PGM_RSRC2:SCRATCH_EN: 0
; COMPUTE_PGM_RSRC2:USER_SGPR: 15
; COMPUTE_PGM_RSRC2:TRAP_HANDLER: 0
; COMPUTE_PGM_RSRC2:TGID_X_EN: 1
; COMPUTE_PGM_RSRC2:TGID_Y_EN: 0
; COMPUTE_PGM_RSRC2:TGID_Z_EN: 0
; COMPUTE_PGM_RSRC2:TIDIG_COMP_CNT: 0
	.section	.text._ZN2at6native32elementwise_kernel_manual_unrollILi128ELi4EZNS0_15gpu_kernel_implIZZZNS0_23bitwise_not_kernel_cudaERNS_18TensorIteratorBaseEENKUlvE_clEvENKUlvE3_clEvEUlsE_EEvS4_RKT_EUlibE0_EEviT1_,"axG",@progbits,_ZN2at6native32elementwise_kernel_manual_unrollILi128ELi4EZNS0_15gpu_kernel_implIZZZNS0_23bitwise_not_kernel_cudaERNS_18TensorIteratorBaseEENKUlvE_clEvENKUlvE3_clEvEUlsE_EEvS4_RKT_EUlibE0_EEviT1_,comdat
	.globl	_ZN2at6native32elementwise_kernel_manual_unrollILi128ELi4EZNS0_15gpu_kernel_implIZZZNS0_23bitwise_not_kernel_cudaERNS_18TensorIteratorBaseEENKUlvE_clEvENKUlvE3_clEvEUlsE_EEvS4_RKT_EUlibE0_EEviT1_ ; -- Begin function _ZN2at6native32elementwise_kernel_manual_unrollILi128ELi4EZNS0_15gpu_kernel_implIZZZNS0_23bitwise_not_kernel_cudaERNS_18TensorIteratorBaseEENKUlvE_clEvENKUlvE3_clEvEUlsE_EEvS4_RKT_EUlibE0_EEviT1_
	.p2align	8
	.type	_ZN2at6native32elementwise_kernel_manual_unrollILi128ELi4EZNS0_15gpu_kernel_implIZZZNS0_23bitwise_not_kernel_cudaERNS_18TensorIteratorBaseEENKUlvE_clEvENKUlvE3_clEvEUlsE_EEvS4_RKT_EUlibE0_EEviT1_,@function
_ZN2at6native32elementwise_kernel_manual_unrollILi128ELi4EZNS0_15gpu_kernel_implIZZZNS0_23bitwise_not_kernel_cudaERNS_18TensorIteratorBaseEENKUlvE_clEvENKUlvE3_clEvEUlsE_EEvS4_RKT_EUlibE0_EEviT1_: ; @_ZN2at6native32elementwise_kernel_manual_unrollILi128ELi4EZNS0_15gpu_kernel_implIZZZNS0_23bitwise_not_kernel_cudaERNS_18TensorIteratorBaseEENKUlvE_clEvENKUlvE3_clEvEUlsE_EEvS4_RKT_EUlibE0_EEviT1_
; %bb.0:
	s_clause 0x1
	s_load_b32 s24, s[0:1], 0x8
	s_load_b32 s30, s[0:1], 0x0
	v_lshl_or_b32 v8, s15, 9, v0
	s_or_b32 s16, s0, 8
	s_mov_b32 s3, -1
	s_mov_b32 s26, 0
	s_mov_b32 s17, s1
	v_or_b32_e32 v10, 0x180, v8
	s_mov_b32 s8, 0
	s_mov_b32 s2, exec_lo
	s_waitcnt lgkmcnt(0)
	s_add_i32 s25, s24, -1
	s_delay_alu instid0(SALU_CYCLE_1)
	s_cmp_gt_u32 s25, 1
	s_cselect_b32 s27, -1, 0
	v_cmpx_le_i32_e64 s30, v10
	s_xor_b32 s28, exec_lo, s2
	s_cbranch_execz .LBB47_1060
; %bb.1:
	v_mov_b32_e32 v0, 0
	s_clause 0x3
	s_load_b128 s[12:15], s[16:17], 0x4
	s_load_b64 s[18:19], s[16:17], 0x14
	s_load_b128 s[8:11], s[16:17], 0xc4
	s_load_b128 s[4:7], s[16:17], 0x148
	s_cmp_lg_u32 s24, 0
	s_mov_b32 s37, 0
	s_cselect_b32 s33, -1, 0
	global_load_u16 v5, v0, s[16:17] offset:345
	s_add_u32 s20, s16, 0xc4
	s_addc_u32 s21, s17, 0
	s_min_u32 s31, s25, 15
	s_cmp_gt_u32 s24, 1
	s_mov_b32 s35, 0
	s_cselect_b32 s29, -1, 0
	s_mov_b32 s34, 0
	s_mov_b32 s36, exec_lo
	s_waitcnt vmcnt(0)
	v_lshrrev_b16 v6, 8, v5
	v_cmpx_gt_i32_e64 s30, v8
	s_cbranch_execz .LBB47_259
; %bb.2:
	s_and_not1_b32 vcc_lo, exec_lo, s27
	s_cbranch_vccnz .LBB47_7
; %bb.3:
	v_mov_b32_e32 v2, 0
	v_mov_b32_e32 v0, 0
	s_and_not1_b32 vcc_lo, exec_lo, s33
	s_cbranch_vccnz .LBB47_12
; %bb.4:
	v_mov_b32_e32 v2, 0
	s_add_i32 s38, s31, 1
	s_cmp_eq_u32 s25, 2
	s_cbranch_scc1 .LBB47_8
; %bb.5:
	v_dual_mov_b32 v0, 0 :: v_dual_mov_b32 v1, v8
	v_mov_b32_e32 v2, 0
	s_and_b32 s35, s38, 28
	s_mov_b32 s39, 0
	s_mov_b64 s[2:3], s[20:21]
	s_mov_b64 s[22:23], s[16:17]
.LBB47_6:                               ; =>This Inner Loop Header: Depth=1
	s_clause 0x1
	s_load_b256 s[40:47], s[22:23], 0x4
	s_load_b128 s[56:59], s[22:23], 0x24
	s_load_b256 s[48:55], s[2:3], 0x0
	s_add_u32 s22, s22, 48
	s_addc_u32 s23, s23, 0
	s_add_i32 s39, s39, 4
	s_add_u32 s2, s2, 32
	s_addc_u32 s3, s3, 0
	s_cmp_lg_u32 s35, s39
	s_waitcnt lgkmcnt(0)
	v_mul_hi_u32 v3, s41, v1
	s_delay_alu instid0(VALU_DEP_1) | instskip(NEXT) | instid1(VALU_DEP_1)
	v_add_nc_u32_e32 v3, v1, v3
	v_lshrrev_b32_e32 v3, s42, v3
	s_delay_alu instid0(VALU_DEP_1) | instskip(SKIP_1) | instid1(VALU_DEP_2)
	v_mul_hi_u32 v4, s44, v3
	v_mul_lo_u32 v9, v3, s40
	v_add_nc_u32_e32 v4, v3, v4
	s_delay_alu instid0(VALU_DEP_2) | instskip(NEXT) | instid1(VALU_DEP_2)
	v_sub_nc_u32_e32 v1, v1, v9
	v_lshrrev_b32_e32 v4, s45, v4
	s_delay_alu instid0(VALU_DEP_2) | instskip(SKIP_1) | instid1(VALU_DEP_3)
	v_mul_lo_u32 v9, v1, s48
	v_mul_lo_u32 v11, v1, s49
	v_mul_hi_u32 v7, s47, v4
	s_delay_alu instid0(VALU_DEP_1) | instskip(NEXT) | instid1(VALU_DEP_1)
	v_add_nc_u32_e32 v7, v4, v7
	v_lshrrev_b32_e32 v7, s56, v7
	s_delay_alu instid0(VALU_DEP_1) | instskip(SKIP_1) | instid1(VALU_DEP_2)
	v_mul_hi_u32 v10, s58, v7
	v_mul_lo_u32 v12, v7, s46
	v_add_nc_u32_e32 v1, v7, v10
	v_mul_lo_u32 v10, v4, s43
	s_delay_alu instid0(VALU_DEP_3) | instskip(NEXT) | instid1(VALU_DEP_3)
	v_sub_nc_u32_e32 v4, v4, v12
	v_lshrrev_b32_e32 v1, s59, v1
	s_delay_alu instid0(VALU_DEP_2) | instskip(SKIP_2) | instid1(VALU_DEP_4)
	v_mul_lo_u32 v12, v4, s52
	v_mul_lo_u32 v4, v4, s53
	v_sub_nc_u32_e32 v3, v3, v10
	v_mul_lo_u32 v13, v1, s57
	s_delay_alu instid0(VALU_DEP_2) | instskip(SKIP_1) | instid1(VALU_DEP_3)
	v_mul_lo_u32 v10, v3, s50
	v_mul_lo_u32 v3, v3, s51
	v_sub_nc_u32_e32 v7, v7, v13
	s_delay_alu instid0(VALU_DEP_3) | instskip(NEXT) | instid1(VALU_DEP_2)
	v_add3_u32 v2, v9, v2, v10
	v_mul_lo_u32 v13, v7, s54
	v_mul_lo_u32 v7, v7, s55
	v_add3_u32 v0, v11, v0, v3
	s_delay_alu instid0(VALU_DEP_3) | instskip(NEXT) | instid1(VALU_DEP_2)
	v_add3_u32 v2, v12, v2, v13
	v_add3_u32 v0, v4, v0, v7
	s_cbranch_scc1 .LBB47_6
	s_branch .LBB47_9
.LBB47_7:
	s_mov_b32 s34, -1
                                        ; implicit-def: $vgpr2
                                        ; implicit-def: $vgpr0
	s_branch .LBB47_12
.LBB47_8:
	v_dual_mov_b32 v1, v8 :: v_dual_mov_b32 v0, 0
.LBB47_9:
	s_and_b32 s38, s38, 3
	s_delay_alu instid0(SALU_CYCLE_1)
	s_cmp_eq_u32 s38, 0
	s_cbranch_scc1 .LBB47_12
; %bb.10:
	s_lshl_b32 s2, s35, 3
	s_mul_i32 s22, s35, 12
	s_add_u32 s2, s2, s16
	s_addc_u32 s3, s17, 0
	s_add_u32 s2, s2, 0xc4
	s_addc_u32 s3, s3, 0
	;; [unrolled: 2-line block ×3, first 2 shown]
	.p2align	6
.LBB47_11:                              ; =>This Inner Loop Header: Depth=1
	s_clause 0x1
	s_load_b64 s[40:41], s[22:23], 0x4
	s_load_b32 s35, s[22:23], 0xc
	s_load_b64 s[42:43], s[2:3], 0x0
	s_add_u32 s22, s22, 12
	s_addc_u32 s23, s23, 0
	s_add_u32 s2, s2, 8
	s_addc_u32 s3, s3, 0
	s_add_i32 s38, s38, -1
	s_delay_alu instid0(SALU_CYCLE_1) | instskip(SKIP_2) | instid1(VALU_DEP_1)
	s_cmp_lg_u32 s38, 0
	s_waitcnt lgkmcnt(0)
	v_mul_hi_u32 v3, s41, v1
	v_add_nc_u32_e32 v3, v1, v3
	s_delay_alu instid0(VALU_DEP_1) | instskip(NEXT) | instid1(VALU_DEP_1)
	v_lshrrev_b32_e32 v7, s35, v3
	v_mul_lo_u32 v3, v7, s40
	s_delay_alu instid0(VALU_DEP_1) | instskip(NEXT) | instid1(VALU_DEP_1)
	v_sub_nc_u32_e32 v1, v1, v3
	v_mad_u64_u32 v[3:4], null, v1, s42, v[2:3]
	v_mad_u64_u32 v[9:10], null, v1, s43, v[0:1]
	v_mov_b32_e32 v1, v7
	s_delay_alu instid0(VALU_DEP_3) | instskip(NEXT) | instid1(VALU_DEP_3)
	v_mov_b32_e32 v2, v3
	v_mov_b32_e32 v0, v9
	s_cbranch_scc1 .LBB47_11
.LBB47_12:
	s_and_not1_b32 vcc_lo, exec_lo, s34
	s_cbranch_vccnz .LBB47_15
; %bb.13:
	s_waitcnt lgkmcnt(0)
	v_mul_hi_u32 v0, s13, v8
	s_and_not1_b32 vcc_lo, exec_lo, s29
	s_delay_alu instid0(VALU_DEP_1) | instskip(NEXT) | instid1(VALU_DEP_1)
	v_add_nc_u32_e32 v0, v8, v0
	v_lshrrev_b32_e32 v1, s14, v0
	s_delay_alu instid0(VALU_DEP_1) | instskip(NEXT) | instid1(VALU_DEP_1)
	v_mul_lo_u32 v0, v1, s12
	v_sub_nc_u32_e32 v0, v8, v0
	s_delay_alu instid0(VALU_DEP_1)
	v_mul_lo_u32 v2, v0, s8
	v_mul_lo_u32 v0, v0, s9
	s_cbranch_vccnz .LBB47_15
; %bb.14:
	v_mul_hi_u32 v3, s18, v1
	s_delay_alu instid0(VALU_DEP_1) | instskip(NEXT) | instid1(VALU_DEP_1)
	v_add_nc_u32_e32 v3, v1, v3
	v_lshrrev_b32_e32 v3, s19, v3
	s_delay_alu instid0(VALU_DEP_1) | instskip(NEXT) | instid1(VALU_DEP_1)
	v_mul_lo_u32 v3, v3, s15
	v_sub_nc_u32_e32 v7, v1, v3
	s_delay_alu instid0(VALU_DEP_1) | instskip(SKIP_1) | instid1(VALU_DEP_2)
	v_mad_u64_u32 v[3:4], null, v7, s10, v[2:3]
	v_mad_u64_u32 v[1:2], null, v7, s11, v[0:1]
	v_mov_b32_e32 v2, v3
	s_delay_alu instid0(VALU_DEP_2)
	v_mov_b32_e32 v0, v1
.LBB47_15:
	v_cmp_gt_i16_e32 vcc_lo, 11, v6
	s_waitcnt lgkmcnt(0)
	s_delay_alu instid0(VALU_DEP_2) | instskip(NEXT) | instid1(VALU_DEP_1)
	v_add_co_u32 v3, s2, s6, v0
	v_add_co_ci_u32_e64 v4, null, s7, 0, s2
	s_mov_b32 s3, 0
	s_cbranch_vccnz .LBB47_22
; %bb.16:
	v_cmp_lt_i16_e32 vcc_lo, 25, v6
	s_cbranch_vccz .LBB47_141
; %bb.17:
	v_cmp_lt_i16_e32 vcc_lo, 28, v6
	s_cbranch_vccz .LBB47_142
	;; [unrolled: 3-line block ×4, first 2 shown]
; %bb.20:
	v_cmp_eq_u16_e32 vcc_lo, 46, v6
	s_mov_b32 s22, 0
	s_cbranch_vccz .LBB47_145
; %bb.21:
	global_load_b32 v0, v[3:4], off
	s_mov_b32 s2, -1
	s_waitcnt vmcnt(0)
	v_lshlrev_b32_e32 v0, 16, v0
	s_delay_alu instid0(VALU_DEP_1)
	v_cvt_i32_f32_e32 v0, v0
	s_branch .LBB47_147
.LBB47_22:
	s_mov_b32 s2, 0
                                        ; implicit-def: $vgpr0
	s_cbranch_execnz .LBB47_209
.LBB47_23:
	s_and_not1_b32 vcc_lo, exec_lo, s2
	s_cbranch_vccnz .LBB47_256
.LBB47_24:
	v_and_b32_e32 v4, 0xff, v5
	s_waitcnt vmcnt(0)
	v_add_co_u32 v1, s22, s4, v2
	s_delay_alu instid0(VALU_DEP_3)
	v_xor_b32_e32 v3, -1, v0
	v_add_co_ci_u32_e64 v2, null, s5, 0, s22
	v_cmp_gt_i16_e32 vcc_lo, 11, v4
	s_mov_b32 s23, -1
	s_mov_b32 s2, 0
	s_mov_b32 s22, 0
	s_cbranch_vccnz .LBB47_101
; %bb.25:
	v_cmp_lt_i16_e32 vcc_lo, 25, v4
	s_cbranch_vccz .LBB47_58
; %bb.26:
	v_cmp_lt_i16_e32 vcc_lo, 28, v4
	s_cbranch_vccz .LBB47_41
	;; [unrolled: 3-line block ×4, first 2 shown]
; %bb.29:
	v_cmp_eq_u16_e32 vcc_lo, 46, v4
	s_mov_b32 s23, 0
	s_mov_b32 s2, -1
	s_cbranch_vccz .LBB47_31
; %bb.30:
	v_bfe_i32 v7, v3, 0, 16
	s_mov_b32 s22, -1
	s_mov_b32 s2, 0
	s_delay_alu instid0(VALU_DEP_1) | instskip(NEXT) | instid1(VALU_DEP_1)
	v_cvt_f32_i32_e32 v7, v7
	v_bfe_u32 v9, v7, 16, 1
	s_delay_alu instid0(VALU_DEP_1) | instskip(NEXT) | instid1(VALU_DEP_1)
	v_add3_u32 v7, v7, v9, 0x7fff
	v_lshrrev_b32_e32 v7, 16, v7
	global_store_b32 v[1:2], v7, off
.LBB47_31:
	s_and_b32 vcc_lo, exec_lo, s23
	s_cbranch_vccz .LBB47_36
; %bb.32:
	v_cmp_eq_u16_e32 vcc_lo, 44, v4
	s_mov_b32 s2, -1
	s_cbranch_vccz .LBB47_36
; %bb.33:
	v_bfe_i32 v7, v3, 0, 16
	v_mov_b32_e32 v9, 0xff
	s_mov_b32 s22, exec_lo
	s_delay_alu instid0(VALU_DEP_2) | instskip(NEXT) | instid1(VALU_DEP_1)
	v_cvt_f32_i32_e32 v7, v7
	v_bfe_u32 v10, v7, 23, 8
	s_delay_alu instid0(VALU_DEP_1)
	v_cmpx_ne_u32_e32 0xff, v10
; %bb.34:
	v_and_b32_e32 v9, 0x400000, v7
	v_and_or_b32 v10, 0x3fffff, v7, v10
	v_lshrrev_b32_e32 v7, 23, v7
	s_delay_alu instid0(VALU_DEP_3) | instskip(NEXT) | instid1(VALU_DEP_3)
	v_cmp_ne_u32_e32 vcc_lo, 0, v9
	v_cmp_ne_u32_e64 s2, 0, v10
	s_delay_alu instid0(VALU_DEP_1) | instskip(NEXT) | instid1(SALU_CYCLE_1)
	s_and_b32 s2, vcc_lo, s2
	v_cndmask_b32_e64 v9, 0, 1, s2
	s_delay_alu instid0(VALU_DEP_1)
	v_add_nc_u32_e32 v9, v7, v9
; %bb.35:
	s_or_b32 exec_lo, exec_lo, s22
	s_mov_b32 s22, -1
	s_mov_b32 s2, 0
	global_store_b8 v[1:2], v9, off
.LBB47_36:
	s_mov_b32 s23, 0
.LBB47_37:
	s_delay_alu instid0(SALU_CYCLE_1)
	s_and_b32 vcc_lo, exec_lo, s23
	s_cbranch_vccz .LBB47_40
; %bb.38:
	v_cmp_eq_u16_e32 vcc_lo, 29, v4
	s_mov_b32 s2, -1
	s_cbranch_vccz .LBB47_40
; %bb.39:
	v_bfe_i32 v9, v3, 0, 16
	s_mov_b32 s2, 0
	s_mov_b32 s22, -1
	s_delay_alu instid0(VALU_DEP_1)
	v_ashrrev_i32_e32 v10, 31, v9
	global_store_b64 v[1:2], v[9:10], off
.LBB47_40:
	s_mov_b32 s23, 0
.LBB47_41:
	s_delay_alu instid0(SALU_CYCLE_1)
	s_and_b32 vcc_lo, exec_lo, s23
	s_cbranch_vccz .LBB47_57
; %bb.42:
	v_cmp_gt_i16_e32 vcc_lo, 27, v4
	s_mov_b32 s22, -1
	s_cbranch_vccnz .LBB47_48
; %bb.43:
	v_cmp_lt_i16_e32 vcc_lo, 27, v4
	s_cbranch_vccz .LBB47_45
; %bb.44:
	v_bfe_i32 v7, v3, 0, 16
	s_mov_b32 s22, 0
	global_store_b32 v[1:2], v7, off
.LBB47_45:
	s_and_not1_b32 vcc_lo, exec_lo, s22
	s_cbranch_vccnz .LBB47_47
; %bb.46:
	global_store_b16 v[1:2], v3, off
.LBB47_47:
	s_mov_b32 s22, 0
.LBB47_48:
	s_delay_alu instid0(SALU_CYCLE_1)
	s_and_not1_b32 vcc_lo, exec_lo, s22
	s_cbranch_vccnz .LBB47_56
; %bb.49:
	v_bfe_i32 v7, v3, 0, 16
	v_mov_b32_e32 v10, 0x80
	s_mov_b32 s22, exec_lo
	s_delay_alu instid0(VALU_DEP_2) | instskip(NEXT) | instid1(VALU_DEP_1)
	v_cvt_f32_i32_e32 v7, v7
	v_and_b32_e32 v9, 0x7fffffff, v7
	s_delay_alu instid0(VALU_DEP_1)
	v_cmpx_gt_u32_e32 0x43800000, v9
	s_cbranch_execz .LBB47_55
; %bb.50:
	v_cmp_lt_u32_e32 vcc_lo, 0x3bffffff, v9
	s_mov_b32 s23, 0
                                        ; implicit-def: $vgpr9
	s_and_saveexec_b32 s34, vcc_lo
	s_delay_alu instid0(SALU_CYCLE_1)
	s_xor_b32 s34, exec_lo, s34
	s_cbranch_execz .LBB47_150
; %bb.51:
	v_bfe_u32 v9, v7, 20, 1
	s_mov_b32 s23, exec_lo
	s_delay_alu instid0(VALU_DEP_1) | instskip(NEXT) | instid1(VALU_DEP_1)
	v_add3_u32 v9, v7, v9, 0x487ffff
	v_lshrrev_b32_e32 v9, 20, v9
	s_or_saveexec_b32 s34, s34
                                        ; implicit-def: $sgpr35
	s_delay_alu instid0(SALU_CYCLE_1)
	s_xor_b32 exec_lo, exec_lo, s34
	s_cbranch_execnz .LBB47_151
.LBB47_52:
	s_or_b32 exec_lo, exec_lo, s34
	v_mov_b32_e32 v10, s35
	s_and_saveexec_b32 s34, s23
.LBB47_53:
	v_lshrrev_b32_e32 v7, 24, v7
	s_delay_alu instid0(VALU_DEP_1)
	v_and_or_b32 v10, 0x80, v7, v9
.LBB47_54:
	s_or_b32 exec_lo, exec_lo, s34
.LBB47_55:
	s_delay_alu instid0(SALU_CYCLE_1)
	s_or_b32 exec_lo, exec_lo, s22
	global_store_b8 v[1:2], v10, off
.LBB47_56:
	s_mov_b32 s22, -1
.LBB47_57:
	s_mov_b32 s23, 0
.LBB47_58:
	s_delay_alu instid0(SALU_CYCLE_1)
	s_and_b32 vcc_lo, exec_lo, s23
	s_cbranch_vccz .LBB47_99
; %bb.59:
	v_cmp_lt_i16_e32 vcc_lo, 22, v4
	s_mov_b32 s23, -1
	s_cbranch_vccz .LBB47_91
; %bb.60:
	v_cmp_gt_i16_e32 vcc_lo, 24, v4
	s_mov_b32 s22, -1
	s_cbranch_vccnz .LBB47_80
; %bb.61:
	v_cmp_lt_i16_e32 vcc_lo, 24, v4
	s_cbranch_vccz .LBB47_69
; %bb.62:
	v_bfe_i32 v7, v3, 0, 16
	v_mov_b32_e32 v10, 0x80
	s_mov_b32 s22, exec_lo
	s_delay_alu instid0(VALU_DEP_2) | instskip(NEXT) | instid1(VALU_DEP_1)
	v_cvt_f32_i32_e32 v7, v7
	v_and_b32_e32 v9, 0x7fffffff, v7
	s_delay_alu instid0(VALU_DEP_1)
	v_cmpx_gt_u32_e32 0x47800000, v9
	s_cbranch_execz .LBB47_68
; %bb.63:
	v_cmp_lt_u32_e32 vcc_lo, 0x37ffffff, v9
	s_mov_b32 s23, 0
                                        ; implicit-def: $vgpr9
	s_and_saveexec_b32 s34, vcc_lo
	s_delay_alu instid0(SALU_CYCLE_1)
	s_xor_b32 s34, exec_lo, s34
	s_cbranch_execz .LBB47_337
; %bb.64:
	v_bfe_u32 v9, v7, 21, 1
	s_mov_b32 s23, exec_lo
	s_delay_alu instid0(VALU_DEP_1) | instskip(NEXT) | instid1(VALU_DEP_1)
	v_add3_u32 v9, v7, v9, 0x88fffff
	v_lshrrev_b32_e32 v9, 21, v9
	s_or_saveexec_b32 s34, s34
                                        ; implicit-def: $sgpr35
	s_delay_alu instid0(SALU_CYCLE_1)
	s_xor_b32 exec_lo, exec_lo, s34
	s_cbranch_execnz .LBB47_338
.LBB47_65:
	s_or_b32 exec_lo, exec_lo, s34
	v_mov_b32_e32 v10, s35
	s_and_saveexec_b32 s34, s23
.LBB47_66:
	v_lshrrev_b32_e32 v7, 24, v7
	s_delay_alu instid0(VALU_DEP_1)
	v_and_or_b32 v10, 0x80, v7, v9
.LBB47_67:
	s_or_b32 exec_lo, exec_lo, s34
.LBB47_68:
	s_delay_alu instid0(SALU_CYCLE_1)
	s_or_b32 exec_lo, exec_lo, s22
	s_mov_b32 s22, 0
	global_store_b8 v[1:2], v10, off
.LBB47_69:
	s_and_b32 vcc_lo, exec_lo, s22
	s_cbranch_vccz .LBB47_79
; %bb.70:
	v_bfe_i32 v7, v3, 0, 16
	s_mov_b32 s22, exec_lo
                                        ; implicit-def: $vgpr9
	s_delay_alu instid0(VALU_DEP_1) | instskip(NEXT) | instid1(VALU_DEP_1)
	v_cvt_f32_i32_e32 v7, v7
	v_and_b32_e32 v10, 0x7fffffff, v7
	s_delay_alu instid0(VALU_DEP_1)
	v_cmpx_gt_u32_e32 0x43f00000, v10
	s_xor_b32 s22, exec_lo, s22
	s_cbranch_execz .LBB47_76
; %bb.71:
	s_mov_b32 s23, exec_lo
                                        ; implicit-def: $vgpr9
	v_cmpx_lt_u32_e32 0x3c7fffff, v10
	s_xor_b32 s23, exec_lo, s23
; %bb.72:
	v_bfe_u32 v9, v7, 20, 1
	s_delay_alu instid0(VALU_DEP_1) | instskip(NEXT) | instid1(VALU_DEP_1)
	v_add3_u32 v9, v7, v9, 0x407ffff
	v_and_b32_e32 v10, 0xff00000, v9
	v_lshrrev_b32_e32 v9, 20, v9
	s_delay_alu instid0(VALU_DEP_2) | instskip(NEXT) | instid1(VALU_DEP_2)
	v_cmp_ne_u32_e32 vcc_lo, 0x7f00000, v10
	v_cndmask_b32_e32 v9, 0x7e, v9, vcc_lo
; %bb.73:
	s_and_not1_saveexec_b32 s23, s23
; %bb.74:
	v_add_f32_e64 v9, 0x46800000, |v7|
; %bb.75:
	s_or_b32 exec_lo, exec_lo, s23
                                        ; implicit-def: $vgpr10
.LBB47_76:
	s_and_not1_saveexec_b32 s22, s22
; %bb.77:
	v_mov_b32_e32 v9, 0x7f
	v_cmp_lt_u32_e32 vcc_lo, 0x7f800000, v10
	s_delay_alu instid0(VALU_DEP_2)
	v_cndmask_b32_e32 v9, 0x7e, v9, vcc_lo
; %bb.78:
	s_or_b32 exec_lo, exec_lo, s22
	v_lshrrev_b32_e32 v7, 24, v7
	s_delay_alu instid0(VALU_DEP_1)
	v_and_or_b32 v7, 0x80, v7, v9
	global_store_b8 v[1:2], v7, off
.LBB47_79:
	s_mov_b32 s22, 0
.LBB47_80:
	s_delay_alu instid0(SALU_CYCLE_1)
	s_and_not1_b32 vcc_lo, exec_lo, s22
	s_cbranch_vccnz .LBB47_90
; %bb.81:
	v_bfe_i32 v7, v3, 0, 16
	s_mov_b32 s22, exec_lo
                                        ; implicit-def: $vgpr9
	s_delay_alu instid0(VALU_DEP_1) | instskip(NEXT) | instid1(VALU_DEP_1)
	v_cvt_f32_i32_e32 v7, v7
	v_and_b32_e32 v10, 0x7fffffff, v7
	s_delay_alu instid0(VALU_DEP_1)
	v_cmpx_gt_u32_e32 0x47800000, v10
	s_xor_b32 s22, exec_lo, s22
	s_cbranch_execz .LBB47_87
; %bb.82:
	s_mov_b32 s23, exec_lo
                                        ; implicit-def: $vgpr9
	v_cmpx_lt_u32_e32 0x387fffff, v10
	s_xor_b32 s23, exec_lo, s23
; %bb.83:
	v_bfe_u32 v9, v7, 21, 1
	s_delay_alu instid0(VALU_DEP_1) | instskip(NEXT) | instid1(VALU_DEP_1)
	v_add3_u32 v9, v7, v9, 0x80fffff
	v_lshrrev_b32_e32 v9, 21, v9
; %bb.84:
	s_and_not1_saveexec_b32 s23, s23
; %bb.85:
	v_add_f32_e64 v9, 0x43000000, |v7|
; %bb.86:
	s_or_b32 exec_lo, exec_lo, s23
                                        ; implicit-def: $vgpr10
.LBB47_87:
	s_and_not1_saveexec_b32 s22, s22
; %bb.88:
	v_mov_b32_e32 v9, 0x7f
	v_cmp_lt_u32_e32 vcc_lo, 0x7f800000, v10
	s_delay_alu instid0(VALU_DEP_2)
	v_cndmask_b32_e32 v9, 0x7c, v9, vcc_lo
; %bb.89:
	s_or_b32 exec_lo, exec_lo, s22
	v_lshrrev_b32_e32 v7, 24, v7
	s_delay_alu instid0(VALU_DEP_1)
	v_and_or_b32 v7, 0x80, v7, v9
	global_store_b8 v[1:2], v7, off
.LBB47_90:
	s_mov_b32 s23, 0
	s_mov_b32 s22, -1
.LBB47_91:
	s_and_not1_b32 vcc_lo, exec_lo, s23
	s_cbranch_vccnz .LBB47_99
; %bb.92:
	v_cmp_lt_i16_e32 vcc_lo, 14, v4
	s_mov_b32 s23, -1
	s_cbranch_vccz .LBB47_96
; %bb.93:
	v_cmp_eq_u16_e32 vcc_lo, 15, v4
	s_mov_b32 s2, -1
	s_cbranch_vccz .LBB47_95
; %bb.94:
	v_bfe_i32 v7, v3, 0, 16
	s_mov_b32 s22, -1
	s_mov_b32 s2, 0
	s_delay_alu instid0(VALU_DEP_1) | instskip(NEXT) | instid1(VALU_DEP_1)
	v_cvt_f32_i32_e32 v7, v7
	v_bfe_u32 v9, v7, 16, 1
	s_delay_alu instid0(VALU_DEP_1)
	v_add3_u32 v7, v7, v9, 0x7fff
	global_store_d16_hi_b16 v[1:2], v7, off
.LBB47_95:
	s_mov_b32 s23, 0
.LBB47_96:
	s_delay_alu instid0(SALU_CYCLE_1)
	s_and_b32 vcc_lo, exec_lo, s23
	s_cbranch_vccz .LBB47_99
; %bb.97:
	v_cmp_eq_u16_e32 vcc_lo, 11, v4
	s_mov_b32 s2, -1
	s_cbranch_vccz .LBB47_99
; %bb.98:
	v_cmp_ne_u16_e32 vcc_lo, -1, v0
	s_mov_b32 s22, -1
	s_mov_b32 s2, 0
	v_cndmask_b32_e64 v0, 0, 1, vcc_lo
	global_store_b8 v[1:2], v0, off
.LBB47_99:
.LBB47_100:
	s_and_not1_b32 vcc_lo, exec_lo, s22
	s_cbranch_vccz .LBB47_140
	s_branch .LBB47_257
.LBB47_101:
	s_and_b32 vcc_lo, exec_lo, s23
	s_cbranch_vccz .LBB47_100
; %bb.102:
	v_cmp_gt_i16_e32 vcc_lo, 5, v4
	s_mov_b32 s22, -1
	s_cbranch_vccnz .LBB47_123
; %bb.103:
	v_cmp_gt_i16_e32 vcc_lo, 8, v4
	s_cbranch_vccnz .LBB47_113
; %bb.104:
	v_cmp_gt_i16_e32 vcc_lo, 9, v4
	s_cbranch_vccnz .LBB47_110
; %bb.105:
	v_cmp_lt_i16_e32 vcc_lo, 9, v4
	s_cbranch_vccz .LBB47_107
; %bb.106:
	v_bfe_i32 v0, v3, 0, 16
	v_mov_b32_e32 v11, 0
	s_mov_b32 s22, 0
	s_delay_alu instid0(VALU_DEP_2) | instskip(NEXT) | instid1(VALU_DEP_2)
	v_cvt_f64_i32_e32 v[9:10], v0
	v_mov_b32_e32 v12, v11
	global_store_b128 v[1:2], v[9:12], off
.LBB47_107:
	s_and_not1_b32 vcc_lo, exec_lo, s22
	s_cbranch_vccnz .LBB47_109
; %bb.108:
	v_bfe_i32 v0, v3, 0, 16
	v_mov_b32_e32 v10, 0
	s_delay_alu instid0(VALU_DEP_2)
	v_cvt_f32_i32_e32 v9, v0
	global_store_b64 v[1:2], v[9:10], off
.LBB47_109:
	s_mov_b32 s22, 0
.LBB47_110:
	s_delay_alu instid0(SALU_CYCLE_1)
	s_and_not1_b32 vcc_lo, exec_lo, s22
	s_cbranch_vccnz .LBB47_112
; %bb.111:
	v_cvt_f16_i16_e32 v0, v3
	s_delay_alu instid0(VALU_DEP_1)
	v_and_b32_e32 v0, 0xffff, v0
	global_store_b32 v[1:2], v0, off
.LBB47_112:
	s_mov_b32 s22, 0
.LBB47_113:
	s_delay_alu instid0(SALU_CYCLE_1)
	s_and_not1_b32 vcc_lo, exec_lo, s22
	s_cbranch_vccnz .LBB47_122
; %bb.114:
	v_cmp_gt_i16_e32 vcc_lo, 6, v4
	s_mov_b32 s22, -1
	s_cbranch_vccnz .LBB47_120
; %bb.115:
	v_cmp_lt_i16_e32 vcc_lo, 6, v4
	s_cbranch_vccz .LBB47_117
; %bb.116:
	v_bfe_i32 v0, v3, 0, 16
	s_mov_b32 s22, 0
	s_delay_alu instid0(VALU_DEP_1)
	v_cvt_f64_i32_e32 v[9:10], v0
	global_store_b64 v[1:2], v[9:10], off
.LBB47_117:
	s_and_not1_b32 vcc_lo, exec_lo, s22
	s_cbranch_vccnz .LBB47_119
; %bb.118:
	v_bfe_i32 v0, v3, 0, 16
	s_delay_alu instid0(VALU_DEP_1)
	v_cvt_f32_i32_e32 v0, v0
	global_store_b32 v[1:2], v0, off
.LBB47_119:
	s_mov_b32 s22, 0
.LBB47_120:
	s_delay_alu instid0(SALU_CYCLE_1)
	s_and_not1_b32 vcc_lo, exec_lo, s22
	s_cbranch_vccnz .LBB47_122
; %bb.121:
	v_cvt_f16_i16_e32 v0, v3
	global_store_b16 v[1:2], v0, off
.LBB47_122:
	s_mov_b32 s22, 0
.LBB47_123:
	s_delay_alu instid0(SALU_CYCLE_1)
	s_and_not1_b32 vcc_lo, exec_lo, s22
	s_cbranch_vccnz .LBB47_139
; %bb.124:
	v_cmp_gt_i16_e32 vcc_lo, 2, v4
	s_mov_b32 s22, -1
	s_cbranch_vccnz .LBB47_134
; %bb.125:
	v_cmp_gt_i16_e32 vcc_lo, 3, v4
	s_cbranch_vccnz .LBB47_131
; %bb.126:
	v_cmp_lt_i16_e32 vcc_lo, 3, v4
	s_cbranch_vccz .LBB47_128
; %bb.127:
	v_bfe_i32 v9, v3, 0, 16
	s_mov_b32 s22, 0
	s_delay_alu instid0(VALU_DEP_1)
	v_ashrrev_i32_e32 v10, 31, v9
	global_store_b64 v[1:2], v[9:10], off
.LBB47_128:
	s_and_not1_b32 vcc_lo, exec_lo, s22
	s_cbranch_vccnz .LBB47_130
; %bb.129:
	v_bfe_i32 v0, v3, 0, 16
	global_store_b32 v[1:2], v0, off
.LBB47_130:
	s_mov_b32 s22, 0
.LBB47_131:
	s_delay_alu instid0(SALU_CYCLE_1)
	s_and_not1_b32 vcc_lo, exec_lo, s22
	s_cbranch_vccnz .LBB47_133
; %bb.132:
	global_store_b16 v[1:2], v3, off
.LBB47_133:
	s_mov_b32 s22, 0
.LBB47_134:
	s_delay_alu instid0(SALU_CYCLE_1)
	s_and_not1_b32 vcc_lo, exec_lo, s22
	s_cbranch_vccnz .LBB47_139
; %bb.135:
	v_cmp_lt_i16_e32 vcc_lo, 0, v4
	s_mov_b32 s22, -1
	s_cbranch_vccz .LBB47_137
; %bb.136:
	s_mov_b32 s22, 0
	global_store_b8 v[1:2], v3, off
.LBB47_137:
	s_and_not1_b32 vcc_lo, exec_lo, s22
	s_cbranch_vccnz .LBB47_139
; %bb.138:
	global_store_b8 v[1:2], v3, off
.LBB47_139:
.LBB47_140:
	v_add_nc_u32_e32 v8, 0x80, v8
	s_mov_b32 s22, -1
	s_branch .LBB47_258
.LBB47_141:
	s_mov_b32 s2, 0
                                        ; implicit-def: $vgpr0
	s_cbranch_execnz .LBB47_176
	s_branch .LBB47_208
.LBB47_142:
	s_mov_b32 s22, -1
	s_mov_b32 s2, 0
                                        ; implicit-def: $vgpr0
	s_branch .LBB47_159
.LBB47_143:
	s_mov_b32 s22, -1
	s_mov_b32 s2, 0
                                        ; implicit-def: $vgpr0
	s_branch .LBB47_154
.LBB47_144:
	s_mov_b32 s22, -1
	s_branch .LBB47_146
.LBB47_145:
	s_mov_b32 s3, -1
.LBB47_146:
	s_mov_b32 s2, 0
                                        ; implicit-def: $vgpr0
.LBB47_147:
	s_and_b32 vcc_lo, exec_lo, s22
	s_cbranch_vccz .LBB47_153
; %bb.148:
	v_cmp_eq_u16_e32 vcc_lo, 44, v6
	s_cbranch_vccz .LBB47_152
; %bb.149:
	global_load_u8 v0, v[3:4], off
	s_mov_b32 s3, 0
	s_mov_b32 s2, -1
	s_waitcnt vmcnt(0)
	v_lshlrev_b32_e32 v1, 23, v0
	v_cmp_ne_u32_e32 vcc_lo, 0, v0
	s_delay_alu instid0(VALU_DEP_2) | instskip(NEXT) | instid1(VALU_DEP_1)
	v_cvt_i32_f32_e32 v1, v1
	v_cndmask_b32_e32 v0, 0, v1, vcc_lo
	s_branch .LBB47_153
.LBB47_150:
	s_or_saveexec_b32 s34, s34
                                        ; implicit-def: $sgpr35
	s_delay_alu instid0(SALU_CYCLE_1)
	s_xor_b32 exec_lo, exec_lo, s34
	s_cbranch_execz .LBB47_52
.LBB47_151:
	v_add_f32_e64 v9, 0x46000000, |v7|
	s_and_not1_b32 s23, s23, exec_lo
	s_mov_b32 s35, 0
	s_delay_alu instid0(VALU_DEP_1) | instskip(NEXT) | instid1(VALU_DEP_1)
	v_and_b32_e32 v9, 0xff, v9
	v_cmp_ne_u32_e32 vcc_lo, 0, v9
	s_and_b32 s38, vcc_lo, exec_lo
	s_delay_alu instid0(SALU_CYCLE_1)
	s_or_b32 s23, s23, s38
	s_or_b32 exec_lo, exec_lo, s34
	v_mov_b32_e32 v10, s35
	s_and_saveexec_b32 s34, s23
	s_cbranch_execnz .LBB47_53
	s_branch .LBB47_54
.LBB47_152:
	s_mov_b32 s3, -1
                                        ; implicit-def: $vgpr0
.LBB47_153:
	s_mov_b32 s22, 0
.LBB47_154:
	s_delay_alu instid0(SALU_CYCLE_1)
	s_and_b32 vcc_lo, exec_lo, s22
	s_cbranch_vccz .LBB47_158
; %bb.155:
	v_cmp_eq_u16_e32 vcc_lo, 29, v6
	s_cbranch_vccz .LBB47_157
; %bb.156:
	global_load_b64 v[0:1], v[3:4], off
	s_mov_b32 s2, -1
	s_mov_b32 s3, 0
	s_branch .LBB47_158
.LBB47_157:
	s_mov_b32 s3, -1
                                        ; implicit-def: $vgpr0
.LBB47_158:
	s_mov_b32 s22, 0
.LBB47_159:
	s_delay_alu instid0(SALU_CYCLE_1)
	s_and_b32 vcc_lo, exec_lo, s22
	s_cbranch_vccz .LBB47_175
; %bb.160:
	v_cmp_gt_i16_e32 vcc_lo, 27, v6
	s_cbranch_vccnz .LBB47_163
; %bb.161:
	v_cmp_lt_i16_e32 vcc_lo, 27, v6
	s_cbranch_vccz .LBB47_164
; %bb.162:
	global_load_b32 v0, v[3:4], off
	s_mov_b32 s2, 0
	s_branch .LBB47_165
.LBB47_163:
	s_mov_b32 s2, -1
                                        ; implicit-def: $vgpr0
	s_branch .LBB47_168
.LBB47_164:
	s_mov_b32 s2, -1
                                        ; implicit-def: $vgpr0
.LBB47_165:
	s_delay_alu instid0(SALU_CYCLE_1)
	s_and_not1_b32 vcc_lo, exec_lo, s2
	s_cbranch_vccnz .LBB47_167
; %bb.166:
	global_load_u16 v0, v[3:4], off
.LBB47_167:
	s_mov_b32 s2, 0
.LBB47_168:
	s_delay_alu instid0(SALU_CYCLE_1)
	s_and_not1_b32 vcc_lo, exec_lo, s2
	s_cbranch_vccnz .LBB47_174
; %bb.169:
	global_load_u8 v1, v[3:4], off
	s_mov_b32 s2, 0
	s_mov_b32 s22, exec_lo
                                        ; implicit-def: $sgpr23
	s_waitcnt vmcnt(0)
	v_cmpx_lt_i16_e32 0x7f, v1
	s_xor_b32 s22, exec_lo, s22
	s_cbranch_execz .LBB47_185
; %bb.170:
	v_cmp_ne_u16_e32 vcc_lo, 0x80, v1
	s_mov_b32 s23, 0
	s_and_b32 s2, vcc_lo, exec_lo
	s_or_saveexec_b32 s22, s22
	v_mov_b32_e32 v0, s23
	s_xor_b32 exec_lo, exec_lo, s22
	s_cbranch_execnz .LBB47_186
.LBB47_171:
	s_or_b32 exec_lo, exec_lo, s22
	s_and_saveexec_b32 s22, s2
	s_cbranch_execz .LBB47_173
.LBB47_172:
	v_and_b32_e32 v0, 0xffff, v1
	v_lshlrev_b32_e32 v1, 24, v1
	s_delay_alu instid0(VALU_DEP_2) | instskip(NEXT) | instid1(VALU_DEP_2)
	v_and_b32_e32 v7, 7, v0
	v_and_b32_e32 v1, 0x80000000, v1
	s_delay_alu instid0(VALU_DEP_2) | instskip(NEXT) | instid1(VALU_DEP_1)
	v_clz_i32_u32_e32 v9, v7
	v_min_u32_e32 v9, 32, v9
	s_delay_alu instid0(VALU_DEP_1) | instskip(SKIP_1) | instid1(VALU_DEP_2)
	v_subrev_nc_u32_e32 v10, 28, v9
	v_sub_nc_u32_e32 v9, 29, v9
	v_lshlrev_b32_e32 v10, v10, v0
	v_bfe_u32 v0, v0, 3, 4
	s_delay_alu instid0(VALU_DEP_2) | instskip(NEXT) | instid1(VALU_DEP_2)
	v_and_b32_e32 v10, 7, v10
	v_cmp_eq_u32_e32 vcc_lo, 0, v0
	s_delay_alu instid0(VALU_DEP_2) | instskip(NEXT) | instid1(VALU_DEP_1)
	v_dual_cndmask_b32 v0, v0, v9 :: v_dual_cndmask_b32 v7, v7, v10
	v_lshl_add_u32 v0, v0, 23, 0x3b800000
	s_delay_alu instid0(VALU_DEP_2) | instskip(NEXT) | instid1(VALU_DEP_1)
	v_lshlrev_b32_e32 v7, 20, v7
	v_or3_b32 v0, v1, v0, v7
	s_delay_alu instid0(VALU_DEP_1)
	v_cvt_i32_f32_e32 v0, v0
.LBB47_173:
	s_or_b32 exec_lo, exec_lo, s22
.LBB47_174:
	s_mov_b32 s2, -1
.LBB47_175:
	s_branch .LBB47_208
.LBB47_176:
	v_cmp_lt_i16_e32 vcc_lo, 22, v6
	s_cbranch_vccz .LBB47_184
; %bb.177:
	v_cmp_gt_i16_e32 vcc_lo, 24, v6
	s_cbranch_vccnz .LBB47_187
; %bb.178:
	v_cmp_lt_i16_e32 vcc_lo, 24, v6
	s_cbranch_vccz .LBB47_188
; %bb.179:
	global_load_u8 v1, v[3:4], off
	s_mov_b32 s2, 0
	s_mov_b32 s22, exec_lo
                                        ; implicit-def: $sgpr23
	s_waitcnt vmcnt(0)
	v_cmpx_lt_i16_e32 0x7f, v1
	s_xor_b32 s22, exec_lo, s22
	s_cbranch_execz .LBB47_200
; %bb.180:
	v_cmp_ne_u16_e32 vcc_lo, 0x80, v1
	s_mov_b32 s23, 0
	s_and_b32 s2, vcc_lo, exec_lo
	s_or_saveexec_b32 s22, s22
	v_mov_b32_e32 v0, s23
	s_xor_b32 exec_lo, exec_lo, s22
	s_cbranch_execnz .LBB47_201
.LBB47_181:
	s_or_b32 exec_lo, exec_lo, s22
	s_and_saveexec_b32 s22, s2
	s_cbranch_execz .LBB47_183
.LBB47_182:
	v_and_b32_e32 v0, 0xffff, v1
	v_lshlrev_b32_e32 v1, 24, v1
	s_delay_alu instid0(VALU_DEP_2) | instskip(NEXT) | instid1(VALU_DEP_2)
	v_and_b32_e32 v7, 3, v0
	v_and_b32_e32 v1, 0x80000000, v1
	s_delay_alu instid0(VALU_DEP_2) | instskip(NEXT) | instid1(VALU_DEP_1)
	v_clz_i32_u32_e32 v9, v7
	v_min_u32_e32 v9, 32, v9
	s_delay_alu instid0(VALU_DEP_1) | instskip(SKIP_1) | instid1(VALU_DEP_2)
	v_subrev_nc_u32_e32 v10, 29, v9
	v_sub_nc_u32_e32 v9, 30, v9
	v_lshlrev_b32_e32 v10, v10, v0
	v_bfe_u32 v0, v0, 2, 5
	s_delay_alu instid0(VALU_DEP_2) | instskip(NEXT) | instid1(VALU_DEP_2)
	v_and_b32_e32 v10, 3, v10
	v_cmp_eq_u32_e32 vcc_lo, 0, v0
	s_delay_alu instid0(VALU_DEP_2) | instskip(NEXT) | instid1(VALU_DEP_1)
	v_dual_cndmask_b32 v0, v0, v9 :: v_dual_cndmask_b32 v7, v7, v10
	v_lshl_add_u32 v0, v0, 23, 0x37800000
	s_delay_alu instid0(VALU_DEP_2) | instskip(NEXT) | instid1(VALU_DEP_1)
	v_lshlrev_b32_e32 v7, 21, v7
	v_or3_b32 v0, v1, v0, v7
	s_delay_alu instid0(VALU_DEP_1)
	v_cvt_i32_f32_e32 v0, v0
.LBB47_183:
	s_or_b32 exec_lo, exec_lo, s22
	s_mov_b32 s2, 0
	s_branch .LBB47_189
.LBB47_184:
	s_mov_b32 s22, -1
                                        ; implicit-def: $vgpr0
	s_branch .LBB47_195
.LBB47_185:
	s_or_saveexec_b32 s22, s22
	v_mov_b32_e32 v0, s23
	s_xor_b32 exec_lo, exec_lo, s22
	s_cbranch_execz .LBB47_171
.LBB47_186:
	v_cmp_ne_u16_e32 vcc_lo, 0, v1
	v_mov_b32_e32 v0, 0
	s_and_not1_b32 s2, s2, exec_lo
	s_and_b32 s23, vcc_lo, exec_lo
	s_delay_alu instid0(SALU_CYCLE_1)
	s_or_b32 s2, s2, s23
	s_or_b32 exec_lo, exec_lo, s22
	s_and_saveexec_b32 s22, s2
	s_cbranch_execnz .LBB47_172
	s_branch .LBB47_173
.LBB47_187:
	s_mov_b32 s2, -1
                                        ; implicit-def: $vgpr0
	s_branch .LBB47_192
.LBB47_188:
	s_mov_b32 s2, -1
                                        ; implicit-def: $vgpr0
.LBB47_189:
	s_delay_alu instid0(SALU_CYCLE_1)
	s_and_b32 vcc_lo, exec_lo, s2
	s_cbranch_vccz .LBB47_191
; %bb.190:
	global_load_u8 v0, v[3:4], off
	s_waitcnt vmcnt(0)
	v_lshlrev_b32_e32 v0, 24, v0
	s_delay_alu instid0(VALU_DEP_1) | instskip(NEXT) | instid1(VALU_DEP_1)
	v_and_b32_e32 v1, 0x7f000000, v0
	v_clz_i32_u32_e32 v7, v1
	v_add_nc_u32_e32 v10, 0x1000000, v1
	v_cmp_ne_u32_e32 vcc_lo, 0, v1
	s_delay_alu instid0(VALU_DEP_3) | instskip(NEXT) | instid1(VALU_DEP_1)
	v_min_u32_e32 v7, 32, v7
	v_sub_nc_u32_e64 v7, v7, 4 clamp
	s_delay_alu instid0(VALU_DEP_1) | instskip(SKIP_1) | instid1(VALU_DEP_2)
	v_lshlrev_b32_e32 v9, v7, v1
	v_lshlrev_b32_e32 v7, 23, v7
	v_lshrrev_b32_e32 v9, 4, v9
	s_delay_alu instid0(VALU_DEP_1) | instskip(SKIP_1) | instid1(VALU_DEP_2)
	v_sub_nc_u32_e32 v7, v9, v7
	v_ashrrev_i32_e32 v9, 8, v10
	v_add_nc_u32_e32 v7, 0x3c000000, v7
	s_delay_alu instid0(VALU_DEP_1) | instskip(NEXT) | instid1(VALU_DEP_1)
	v_and_or_b32 v7, 0x7f800000, v9, v7
	v_cndmask_b32_e32 v1, 0, v7, vcc_lo
	s_delay_alu instid0(VALU_DEP_1) | instskip(NEXT) | instid1(VALU_DEP_1)
	v_and_or_b32 v0, 0x80000000, v0, v1
	v_cvt_i32_f32_e32 v0, v0
.LBB47_191:
	s_mov_b32 s2, 0
.LBB47_192:
	s_delay_alu instid0(SALU_CYCLE_1)
	s_and_not1_b32 vcc_lo, exec_lo, s2
	s_cbranch_vccnz .LBB47_194
; %bb.193:
	global_load_u8 v0, v[3:4], off
	s_waitcnt vmcnt(0)
	v_lshlrev_b32_e32 v1, 25, v0
	v_lshlrev_b16 v0, 8, v0
	s_delay_alu instid0(VALU_DEP_2) | instskip(NEXT) | instid1(VALU_DEP_2)
	v_lshrrev_b32_e32 v7, 4, v1
	v_and_or_b32 v9, 0x7f00, v0, 0.5
	v_cmp_gt_u32_e32 vcc_lo, 0x8000000, v1
	v_bfe_i32 v0, v0, 0, 16
	s_delay_alu instid0(VALU_DEP_4) | instskip(NEXT) | instid1(VALU_DEP_4)
	v_or_b32_e32 v7, 0x70000000, v7
	v_add_f32_e32 v9, -0.5, v9
	s_delay_alu instid0(VALU_DEP_2) | instskip(NEXT) | instid1(VALU_DEP_1)
	v_mul_f32_e32 v7, 0x7800000, v7
	v_cndmask_b32_e32 v1, v7, v9, vcc_lo
	s_delay_alu instid0(VALU_DEP_1) | instskip(NEXT) | instid1(VALU_DEP_1)
	v_and_or_b32 v0, 0x80000000, v0, v1
	v_cvt_i32_f32_e32 v0, v0
.LBB47_194:
	s_mov_b32 s22, 0
	s_mov_b32 s2, -1
.LBB47_195:
	s_and_not1_b32 vcc_lo, exec_lo, s22
	s_cbranch_vccnz .LBB47_208
; %bb.196:
	v_cmp_lt_i16_e32 vcc_lo, 14, v6
	s_cbranch_vccz .LBB47_199
; %bb.197:
	v_cmp_eq_u16_e32 vcc_lo, 15, v6
	s_cbranch_vccz .LBB47_202
; %bb.198:
	global_load_u16 v0, v[3:4], off
	s_mov_b32 s2, -1
	s_mov_b32 s3, 0
	s_waitcnt vmcnt(0)
	v_lshlrev_b32_e32 v0, 16, v0
	s_delay_alu instid0(VALU_DEP_1)
	v_cvt_i32_f32_e32 v0, v0
	s_branch .LBB47_203
.LBB47_199:
	s_mov_b32 s22, -1
                                        ; implicit-def: $vgpr0
	s_branch .LBB47_204
.LBB47_200:
	s_or_saveexec_b32 s22, s22
	v_mov_b32_e32 v0, s23
	s_xor_b32 exec_lo, exec_lo, s22
	s_cbranch_execz .LBB47_181
.LBB47_201:
	v_cmp_ne_u16_e32 vcc_lo, 0, v1
	v_mov_b32_e32 v0, 0
	s_and_not1_b32 s2, s2, exec_lo
	s_and_b32 s23, vcc_lo, exec_lo
	s_delay_alu instid0(SALU_CYCLE_1)
	s_or_b32 s2, s2, s23
	s_or_b32 exec_lo, exec_lo, s22
	s_and_saveexec_b32 s22, s2
	s_cbranch_execnz .LBB47_182
	s_branch .LBB47_183
.LBB47_202:
	s_mov_b32 s3, -1
                                        ; implicit-def: $vgpr0
.LBB47_203:
	s_mov_b32 s22, 0
.LBB47_204:
	s_delay_alu instid0(SALU_CYCLE_1)
	s_and_b32 vcc_lo, exec_lo, s22
	s_cbranch_vccz .LBB47_208
; %bb.205:
	v_cmp_eq_u16_e32 vcc_lo, 11, v6
	s_cbranch_vccz .LBB47_207
; %bb.206:
	global_load_u8 v0, v[3:4], off
	s_mov_b32 s3, 0
	s_mov_b32 s2, -1
	s_waitcnt vmcnt(0)
	v_cmp_ne_u16_e32 vcc_lo, 0, v0
	v_cndmask_b32_e64 v0, 0, 1, vcc_lo
	s_branch .LBB47_208
.LBB47_207:
	s_mov_b32 s3, -1
                                        ; implicit-def: $vgpr0
.LBB47_208:
	s_branch .LBB47_23
.LBB47_209:
	v_cmp_gt_i16_e32 vcc_lo, 5, v6
	s_cbranch_vccnz .LBB47_214
; %bb.210:
	v_cmp_gt_i16_e32 vcc_lo, 8, v6
	s_cbranch_vccnz .LBB47_215
; %bb.211:
	;; [unrolled: 3-line block ×3, first 2 shown]
	v_cmp_lt_i16_e32 vcc_lo, 9, v6
	s_cbranch_vccz .LBB47_217
; %bb.213:
	global_load_b64 v[0:1], v[3:4], off
	s_mov_b32 s2, 0
	s_waitcnt vmcnt(0)
	v_cvt_i32_f64_e32 v0, v[0:1]
	s_branch .LBB47_218
.LBB47_214:
                                        ; implicit-def: $vgpr0
	s_branch .LBB47_236
.LBB47_215:
	s_mov_b32 s2, -1
                                        ; implicit-def: $vgpr0
	s_branch .LBB47_224
.LBB47_216:
	s_mov_b32 s2, -1
                                        ; implicit-def: $vgpr0
	s_branch .LBB47_221
.LBB47_217:
	s_mov_b32 s2, -1
                                        ; implicit-def: $vgpr0
.LBB47_218:
	s_delay_alu instid0(SALU_CYCLE_1)
	s_and_not1_b32 vcc_lo, exec_lo, s2
	s_cbranch_vccnz .LBB47_220
; %bb.219:
	global_load_b32 v0, v[3:4], off
	s_waitcnt vmcnt(0)
	v_cvt_i32_f32_e32 v0, v0
.LBB47_220:
	s_mov_b32 s2, 0
.LBB47_221:
	s_delay_alu instid0(SALU_CYCLE_1)
	s_and_not1_b32 vcc_lo, exec_lo, s2
	s_cbranch_vccnz .LBB47_223
; %bb.222:
	global_load_b32 v0, v[3:4], off
	s_waitcnt vmcnt(0)
	v_cvt_i16_f16_e32 v0, v0
.LBB47_223:
	s_mov_b32 s2, 0
.LBB47_224:
	s_delay_alu instid0(SALU_CYCLE_1)
	s_and_not1_b32 vcc_lo, exec_lo, s2
	s_cbranch_vccnz .LBB47_235
; %bb.225:
	v_cmp_gt_i16_e32 vcc_lo, 6, v6
	s_cbranch_vccnz .LBB47_228
; %bb.226:
	v_cmp_lt_i16_e32 vcc_lo, 6, v6
	s_cbranch_vccz .LBB47_229
; %bb.227:
	global_load_b64 v[0:1], v[3:4], off
	s_mov_b32 s2, 0
	s_waitcnt vmcnt(0)
	v_cvt_i32_f64_e32 v0, v[0:1]
	s_branch .LBB47_230
.LBB47_228:
	s_mov_b32 s2, -1
                                        ; implicit-def: $vgpr0
	s_branch .LBB47_233
.LBB47_229:
	s_mov_b32 s2, -1
                                        ; implicit-def: $vgpr0
.LBB47_230:
	s_delay_alu instid0(SALU_CYCLE_1)
	s_and_not1_b32 vcc_lo, exec_lo, s2
	s_cbranch_vccnz .LBB47_232
; %bb.231:
	global_load_b32 v0, v[3:4], off
	s_waitcnt vmcnt(0)
	v_cvt_i32_f32_e32 v0, v0
.LBB47_232:
	s_mov_b32 s2, 0
.LBB47_233:
	s_delay_alu instid0(SALU_CYCLE_1)
	s_and_not1_b32 vcc_lo, exec_lo, s2
	s_cbranch_vccnz .LBB47_235
; %bb.234:
	global_load_u16 v0, v[3:4], off
	s_waitcnt vmcnt(0)
	v_cvt_i16_f16_e32 v0, v0
.LBB47_235:
	s_cbranch_execnz .LBB47_255
.LBB47_236:
	v_cmp_gt_i16_e32 vcc_lo, 2, v6
	s_cbranch_vccnz .LBB47_240
; %bb.237:
	v_cmp_gt_i16_e32 vcc_lo, 3, v6
	s_cbranch_vccnz .LBB47_241
; %bb.238:
	v_cmp_lt_i16_e32 vcc_lo, 3, v6
	s_cbranch_vccz .LBB47_242
; %bb.239:
	global_load_b64 v[0:1], v[3:4], off
	s_mov_b32 s2, 0
	s_branch .LBB47_243
.LBB47_240:
	s_mov_b32 s2, -1
                                        ; implicit-def: $vgpr0
	s_branch .LBB47_249
.LBB47_241:
	s_mov_b32 s2, -1
                                        ; implicit-def: $vgpr0
	s_branch .LBB47_246
.LBB47_242:
	s_mov_b32 s2, -1
                                        ; implicit-def: $vgpr0
.LBB47_243:
	s_delay_alu instid0(SALU_CYCLE_1)
	s_and_not1_b32 vcc_lo, exec_lo, s2
	s_cbranch_vccnz .LBB47_245
; %bb.244:
	global_load_b32 v0, v[3:4], off
.LBB47_245:
	s_mov_b32 s2, 0
.LBB47_246:
	s_delay_alu instid0(SALU_CYCLE_1)
	s_and_not1_b32 vcc_lo, exec_lo, s2
	s_cbranch_vccnz .LBB47_248
; %bb.247:
	global_load_u16 v0, v[3:4], off
.LBB47_248:
	s_mov_b32 s2, 0
.LBB47_249:
	s_delay_alu instid0(SALU_CYCLE_1)
	s_and_not1_b32 vcc_lo, exec_lo, s2
	s_cbranch_vccnz .LBB47_255
; %bb.250:
	v_cmp_lt_i16_e32 vcc_lo, 0, v6
	s_mov_b32 s2, 0
	s_cbranch_vccz .LBB47_252
; %bb.251:
	global_load_i8 v0, v[3:4], off
	s_branch .LBB47_253
.LBB47_252:
	s_mov_b32 s2, -1
                                        ; implicit-def: $vgpr0
.LBB47_253:
	s_delay_alu instid0(SALU_CYCLE_1)
	s_and_not1_b32 vcc_lo, exec_lo, s2
	s_cbranch_vccnz .LBB47_255
; %bb.254:
	global_load_u8 v0, v[3:4], off
.LBB47_255:
	s_branch .LBB47_24
.LBB47_256:
	s_mov_b32 s2, 0
.LBB47_257:
	s_mov_b32 s22, 0
                                        ; implicit-def: $vgpr8
.LBB47_258:
	s_and_b32 s34, s2, exec_lo
	s_and_b32 s35, s3, exec_lo
	s_or_not1_b32 s3, s22, exec_lo
.LBB47_259:
	s_or_b32 exec_lo, exec_lo, s36
	s_mov_b32 s22, 0
	s_mov_b32 s2, 0
                                        ; implicit-def: $vgpr3_vgpr4
                                        ; implicit-def: $vgpr2
                                        ; implicit-def: $vgpr0
	s_and_saveexec_b32 s36, s3
	s_cbranch_execz .LBB47_890
; %bb.260:
	s_mov_b32 s2, -1
	s_mov_b32 s37, s35
	s_mov_b32 s38, s34
	s_mov_b32 s39, exec_lo
	v_cmpx_gt_i32_e64 s30, v8
	s_cbranch_execz .LBB47_525
; %bb.261:
	s_and_not1_b32 vcc_lo, exec_lo, s27
	s_cbranch_vccnz .LBB47_266
; %bb.262:
	v_mov_b32_e32 v2, 0
	s_waitcnt vmcnt(0)
	v_mov_b32_e32 v0, 0
	s_and_not1_b32 vcc_lo, exec_lo, s33
	s_mov_b32 s37, 0
	s_cbranch_vccnz .LBB47_271
; %bb.263:
	v_mov_b32_e32 v2, 0
	s_add_i32 s40, s31, 1
	s_cmp_eq_u32 s25, 2
	s_mov_b32 s38, 0
	s_cbranch_scc1 .LBB47_267
; %bb.264:
	v_dual_mov_b32 v0, 0 :: v_dual_mov_b32 v1, v8
	v_mov_b32_e32 v2, 0
	s_and_b32 s38, s40, 28
	s_mov_b32 s41, 0
	s_mov_b64 s[2:3], s[20:21]
	s_mov_b64 s[22:23], s[16:17]
.LBB47_265:                             ; =>This Inner Loop Header: Depth=1
	s_clause 0x1
	s_load_b256 s[44:51], s[22:23], 0x4
	s_load_b128 s[60:63], s[22:23], 0x24
	s_load_b256 s[52:59], s[2:3], 0x0
	s_add_u32 s22, s22, 48
	s_addc_u32 s23, s23, 0
	s_add_i32 s41, s41, 4
	s_add_u32 s2, s2, 32
	s_addc_u32 s3, s3, 0
	s_cmp_eq_u32 s38, s41
	s_waitcnt lgkmcnt(0)
	v_mul_hi_u32 v3, s45, v1
	s_delay_alu instid0(VALU_DEP_1) | instskip(NEXT) | instid1(VALU_DEP_1)
	v_add_nc_u32_e32 v3, v1, v3
	v_lshrrev_b32_e32 v3, s46, v3
	s_delay_alu instid0(VALU_DEP_1) | instskip(SKIP_1) | instid1(VALU_DEP_2)
	v_mul_hi_u32 v4, s48, v3
	v_mul_lo_u32 v9, v3, s44
	v_add_nc_u32_e32 v4, v3, v4
	s_delay_alu instid0(VALU_DEP_2) | instskip(NEXT) | instid1(VALU_DEP_2)
	v_sub_nc_u32_e32 v1, v1, v9
	v_lshrrev_b32_e32 v4, s49, v4
	s_delay_alu instid0(VALU_DEP_2) | instskip(SKIP_1) | instid1(VALU_DEP_3)
	v_mul_lo_u32 v9, v1, s52
	v_mul_lo_u32 v11, v1, s53
	v_mul_hi_u32 v7, s51, v4
	s_delay_alu instid0(VALU_DEP_1) | instskip(NEXT) | instid1(VALU_DEP_1)
	v_add_nc_u32_e32 v7, v4, v7
	v_lshrrev_b32_e32 v7, s60, v7
	s_delay_alu instid0(VALU_DEP_1) | instskip(SKIP_1) | instid1(VALU_DEP_2)
	v_mul_hi_u32 v10, s62, v7
	v_mul_lo_u32 v12, v7, s50
	v_add_nc_u32_e32 v1, v7, v10
	v_mul_lo_u32 v10, v4, s47
	s_delay_alu instid0(VALU_DEP_3) | instskip(NEXT) | instid1(VALU_DEP_3)
	v_sub_nc_u32_e32 v4, v4, v12
	v_lshrrev_b32_e32 v1, s63, v1
	s_delay_alu instid0(VALU_DEP_2) | instskip(SKIP_2) | instid1(VALU_DEP_4)
	v_mul_lo_u32 v12, v4, s56
	v_mul_lo_u32 v4, v4, s57
	v_sub_nc_u32_e32 v3, v3, v10
	v_mul_lo_u32 v13, v1, s61
	s_delay_alu instid0(VALU_DEP_2) | instskip(SKIP_1) | instid1(VALU_DEP_3)
	v_mul_lo_u32 v10, v3, s54
	v_mul_lo_u32 v3, v3, s55
	v_sub_nc_u32_e32 v7, v7, v13
	s_delay_alu instid0(VALU_DEP_3) | instskip(NEXT) | instid1(VALU_DEP_2)
	v_add3_u32 v2, v9, v2, v10
	v_mul_lo_u32 v13, v7, s58
	v_mul_lo_u32 v7, v7, s59
	v_add3_u32 v0, v11, v0, v3
	s_delay_alu instid0(VALU_DEP_3) | instskip(NEXT) | instid1(VALU_DEP_2)
	v_add3_u32 v2, v12, v2, v13
	v_add3_u32 v0, v4, v0, v7
	s_cbranch_scc0 .LBB47_265
	s_branch .LBB47_268
.LBB47_266:
	s_mov_b32 s37, -1
                                        ; implicit-def: $vgpr2
                                        ; implicit-def: $vgpr0
	s_branch .LBB47_271
.LBB47_267:
	v_dual_mov_b32 v1, v8 :: v_dual_mov_b32 v0, 0
.LBB47_268:
	s_and_b32 s40, s40, 3
	s_delay_alu instid0(SALU_CYCLE_1)
	s_cmp_eq_u32 s40, 0
	s_cbranch_scc1 .LBB47_271
; %bb.269:
	s_lshl_b32 s2, s38, 3
	s_mul_i32 s22, s38, 12
	s_add_u32 s2, s2, s16
	s_addc_u32 s3, s17, 0
	s_add_u32 s2, s2, 0xc4
	s_addc_u32 s3, s3, 0
	;; [unrolled: 2-line block ×3, first 2 shown]
	.p2align	6
.LBB47_270:                             ; =>This Inner Loop Header: Depth=1
	s_clause 0x1
	s_load_b64 s[42:43], s[22:23], 0x4
	s_load_b32 s38, s[22:23], 0xc
	s_load_b64 s[44:45], s[2:3], 0x0
	s_add_u32 s22, s22, 12
	s_addc_u32 s23, s23, 0
	s_add_u32 s2, s2, 8
	s_addc_u32 s3, s3, 0
	s_add_i32 s40, s40, -1
	s_delay_alu instid0(SALU_CYCLE_1) | instskip(SKIP_2) | instid1(VALU_DEP_1)
	s_cmp_lg_u32 s40, 0
	s_waitcnt lgkmcnt(0)
	v_mul_hi_u32 v3, s43, v1
	v_add_nc_u32_e32 v3, v1, v3
	s_delay_alu instid0(VALU_DEP_1) | instskip(NEXT) | instid1(VALU_DEP_1)
	v_lshrrev_b32_e32 v7, s38, v3
	v_mul_lo_u32 v3, v7, s42
	s_delay_alu instid0(VALU_DEP_1) | instskip(NEXT) | instid1(VALU_DEP_1)
	v_sub_nc_u32_e32 v1, v1, v3
	v_mad_u64_u32 v[3:4], null, v1, s44, v[2:3]
	v_mad_u64_u32 v[9:10], null, v1, s45, v[0:1]
	v_mov_b32_e32 v1, v7
	s_delay_alu instid0(VALU_DEP_3) | instskip(NEXT) | instid1(VALU_DEP_3)
	v_mov_b32_e32 v2, v3
	v_mov_b32_e32 v0, v9
	s_cbranch_scc1 .LBB47_270
.LBB47_271:
	s_and_not1_b32 vcc_lo, exec_lo, s37
	s_cbranch_vccnz .LBB47_274
; %bb.272:
	s_waitcnt vmcnt(0) lgkmcnt(0)
	v_mul_hi_u32 v0, s13, v8
	s_and_not1_b32 vcc_lo, exec_lo, s29
	s_delay_alu instid0(VALU_DEP_1) | instskip(NEXT) | instid1(VALU_DEP_1)
	v_add_nc_u32_e32 v0, v8, v0
	v_lshrrev_b32_e32 v1, s14, v0
	s_delay_alu instid0(VALU_DEP_1) | instskip(NEXT) | instid1(VALU_DEP_1)
	v_mul_lo_u32 v0, v1, s12
	v_sub_nc_u32_e32 v0, v8, v0
	s_delay_alu instid0(VALU_DEP_1)
	v_mul_lo_u32 v2, v0, s8
	v_mul_lo_u32 v0, v0, s9
	s_cbranch_vccnz .LBB47_274
; %bb.273:
	v_mul_hi_u32 v3, s18, v1
	s_delay_alu instid0(VALU_DEP_1) | instskip(NEXT) | instid1(VALU_DEP_1)
	v_add_nc_u32_e32 v3, v1, v3
	v_lshrrev_b32_e32 v3, s19, v3
	s_delay_alu instid0(VALU_DEP_1) | instskip(NEXT) | instid1(VALU_DEP_1)
	v_mul_lo_u32 v3, v3, s15
	v_sub_nc_u32_e32 v7, v1, v3
	s_delay_alu instid0(VALU_DEP_1) | instskip(SKIP_1) | instid1(VALU_DEP_2)
	v_mad_u64_u32 v[3:4], null, v7, s10, v[2:3]
	v_mad_u64_u32 v[1:2], null, v7, s11, v[0:1]
	v_mov_b32_e32 v2, v3
	s_delay_alu instid0(VALU_DEP_2)
	v_mov_b32_e32 v0, v1
.LBB47_274:
	v_cmp_gt_i16_e32 vcc_lo, 11, v6
	s_waitcnt vmcnt(0) lgkmcnt(0)
	s_delay_alu instid0(VALU_DEP_2) | instskip(NEXT) | instid1(VALU_DEP_1)
	v_add_co_u32 v3, s2, s6, v0
	v_add_co_ci_u32_e64 v4, null, s7, 0, s2
	s_mov_b32 s2, 0
	s_cbranch_vccnz .LBB47_281
; %bb.275:
	v_cmp_lt_i16_e32 vcc_lo, 25, v6
	s_cbranch_vccz .LBB47_330
; %bb.276:
	v_cmp_lt_i16_e32 vcc_lo, 28, v6
	s_cbranch_vccz .LBB47_331
	;; [unrolled: 3-line block ×4, first 2 shown]
; %bb.279:
	v_cmp_eq_u16_e32 vcc_lo, 46, v6
	s_mov_b32 s22, 0
	s_cbranch_vccz .LBB47_339
; %bb.280:
	global_load_b32 v0, v[3:4], off
	s_mov_b32 s2, -1
	s_mov_b32 s3, 0
	s_waitcnt vmcnt(0)
	v_lshlrev_b32_e32 v0, 16, v0
	s_delay_alu instid0(VALU_DEP_1)
	v_cvt_i32_f32_e32 v0, v0
	s_branch .LBB47_341
.LBB47_281:
	s_mov_b32 s3, s35
                                        ; implicit-def: $vgpr0
	s_cbranch_execnz .LBB47_474
.LBB47_282:
	s_and_not1_b32 vcc_lo, exec_lo, s2
	s_cbranch_vccnz .LBB47_522
.LBB47_283:
	v_and_b32_e32 v4, 0xff, v5
	s_waitcnt vmcnt(0)
	v_add_co_u32 v1, s2, s4, v2
	s_delay_alu instid0(VALU_DEP_3)
	v_xor_b32_e32 v3, -1, v0
	v_add_co_ci_u32_e64 v2, null, s5, 0, s2
	v_cmp_gt_i16_e32 vcc_lo, 11, v4
	s_mov_b32 s23, -1
	s_mov_b32 s22, 0
	s_mov_b32 s2, s34
	s_cbranch_vccnz .LBB47_290
; %bb.284:
	v_cmp_lt_i16_e32 vcc_lo, 25, v4
	s_cbranch_vccz .LBB47_332
; %bb.285:
	v_cmp_lt_i16_e32 vcc_lo, 28, v4
	s_cbranch_vccz .LBB47_334
	;; [unrolled: 3-line block ×4, first 2 shown]
; %bb.288:
	v_cmp_eq_u16_e32 vcc_lo, 46, v4
	s_mov_b32 s23, 0
	s_mov_b32 s2, -1
	s_cbranch_vccz .LBB47_345
; %bb.289:
	v_bfe_i32 v7, v3, 0, 16
	s_mov_b32 s22, -1
	s_mov_b32 s2, 0
	s_delay_alu instid0(VALU_DEP_1) | instskip(NEXT) | instid1(VALU_DEP_1)
	v_cvt_f32_i32_e32 v7, v7
	v_bfe_u32 v9, v7, 16, 1
	s_delay_alu instid0(VALU_DEP_1) | instskip(NEXT) | instid1(VALU_DEP_1)
	v_add3_u32 v7, v7, v9, 0x7fff
	v_lshrrev_b32_e32 v7, 16, v7
	global_store_b32 v[1:2], v7, off
	s_branch .LBB47_345
.LBB47_290:
	s_and_b32 vcc_lo, exec_lo, s23
	s_cbranch_vccz .LBB47_414
; %bb.291:
	v_cmp_gt_i16_e32 vcc_lo, 5, v4
	s_mov_b32 s22, -1
	s_cbranch_vccnz .LBB47_312
; %bb.292:
	v_cmp_gt_i16_e32 vcc_lo, 8, v4
	s_cbranch_vccnz .LBB47_302
; %bb.293:
	v_cmp_gt_i16_e32 vcc_lo, 9, v4
	s_cbranch_vccnz .LBB47_299
; %bb.294:
	v_cmp_lt_i16_e32 vcc_lo, 9, v4
	s_cbranch_vccz .LBB47_296
; %bb.295:
	v_bfe_i32 v0, v3, 0, 16
	v_mov_b32_e32 v11, 0
	s_mov_b32 s22, 0
	s_delay_alu instid0(VALU_DEP_2) | instskip(NEXT) | instid1(VALU_DEP_2)
	v_cvt_f64_i32_e32 v[9:10], v0
	v_mov_b32_e32 v12, v11
	global_store_b128 v[1:2], v[9:12], off
.LBB47_296:
	s_and_not1_b32 vcc_lo, exec_lo, s22
	s_cbranch_vccnz .LBB47_298
; %bb.297:
	v_bfe_i32 v0, v3, 0, 16
	v_mov_b32_e32 v10, 0
	s_delay_alu instid0(VALU_DEP_2)
	v_cvt_f32_i32_e32 v9, v0
	global_store_b64 v[1:2], v[9:10], off
.LBB47_298:
	s_mov_b32 s22, 0
.LBB47_299:
	s_delay_alu instid0(SALU_CYCLE_1)
	s_and_not1_b32 vcc_lo, exec_lo, s22
	s_cbranch_vccnz .LBB47_301
; %bb.300:
	v_cvt_f16_i16_e32 v0, v3
	s_delay_alu instid0(VALU_DEP_1)
	v_and_b32_e32 v0, 0xffff, v0
	global_store_b32 v[1:2], v0, off
.LBB47_301:
	s_mov_b32 s22, 0
.LBB47_302:
	s_delay_alu instid0(SALU_CYCLE_1)
	s_and_not1_b32 vcc_lo, exec_lo, s22
	s_cbranch_vccnz .LBB47_311
; %bb.303:
	v_cmp_gt_i16_e32 vcc_lo, 6, v4
	s_mov_b32 s22, -1
	s_cbranch_vccnz .LBB47_309
; %bb.304:
	v_cmp_lt_i16_e32 vcc_lo, 6, v4
	s_cbranch_vccz .LBB47_306
; %bb.305:
	v_bfe_i32 v0, v3, 0, 16
	s_mov_b32 s22, 0
	s_delay_alu instid0(VALU_DEP_1)
	v_cvt_f64_i32_e32 v[9:10], v0
	global_store_b64 v[1:2], v[9:10], off
.LBB47_306:
	s_and_not1_b32 vcc_lo, exec_lo, s22
	s_cbranch_vccnz .LBB47_308
; %bb.307:
	v_bfe_i32 v0, v3, 0, 16
	s_delay_alu instid0(VALU_DEP_1)
	v_cvt_f32_i32_e32 v0, v0
	global_store_b32 v[1:2], v0, off
.LBB47_308:
	s_mov_b32 s22, 0
.LBB47_309:
	s_delay_alu instid0(SALU_CYCLE_1)
	s_and_not1_b32 vcc_lo, exec_lo, s22
	s_cbranch_vccnz .LBB47_311
; %bb.310:
	v_cvt_f16_i16_e32 v0, v3
	global_store_b16 v[1:2], v0, off
.LBB47_311:
	s_mov_b32 s22, 0
.LBB47_312:
	s_delay_alu instid0(SALU_CYCLE_1)
	s_and_not1_b32 vcc_lo, exec_lo, s22
	s_cbranch_vccnz .LBB47_328
; %bb.313:
	v_cmp_gt_i16_e32 vcc_lo, 2, v4
	s_mov_b32 s22, -1
	s_cbranch_vccnz .LBB47_323
; %bb.314:
	v_cmp_gt_i16_e32 vcc_lo, 3, v4
	s_cbranch_vccnz .LBB47_320
; %bb.315:
	v_cmp_lt_i16_e32 vcc_lo, 3, v4
	s_cbranch_vccz .LBB47_317
; %bb.316:
	v_bfe_i32 v9, v3, 0, 16
	s_mov_b32 s22, 0
	s_delay_alu instid0(VALU_DEP_1)
	v_ashrrev_i32_e32 v10, 31, v9
	global_store_b64 v[1:2], v[9:10], off
.LBB47_317:
	s_and_not1_b32 vcc_lo, exec_lo, s22
	s_cbranch_vccnz .LBB47_319
; %bb.318:
	v_bfe_i32 v0, v3, 0, 16
	global_store_b32 v[1:2], v0, off
.LBB47_319:
	s_mov_b32 s22, 0
.LBB47_320:
	s_delay_alu instid0(SALU_CYCLE_1)
	s_and_not1_b32 vcc_lo, exec_lo, s22
	s_cbranch_vccnz .LBB47_322
; %bb.321:
	global_store_b16 v[1:2], v3, off
.LBB47_322:
	s_mov_b32 s22, 0
.LBB47_323:
	s_delay_alu instid0(SALU_CYCLE_1)
	s_and_not1_b32 vcc_lo, exec_lo, s22
	s_cbranch_vccnz .LBB47_328
; %bb.324:
	v_cmp_lt_i16_e32 vcc_lo, 0, v4
	s_mov_b32 s22, -1
	s_cbranch_vccz .LBB47_326
; %bb.325:
	s_mov_b32 s22, 0
	global_store_b8 v[1:2], v3, off
.LBB47_326:
	s_and_not1_b32 vcc_lo, exec_lo, s22
	s_cbranch_vccnz .LBB47_328
; %bb.327:
	global_store_b8 v[1:2], v3, off
.LBB47_328:
	s_branch .LBB47_415
.LBB47_329:
	s_mov_b32 s22, 0
	s_branch .LBB47_523
.LBB47_330:
	s_mov_b32 s22, -1
	s_mov_b32 s3, s35
                                        ; implicit-def: $vgpr0
	s_branch .LBB47_440
.LBB47_331:
	s_mov_b32 s22, -1
	s_mov_b32 s3, s35
                                        ; implicit-def: $vgpr0
	s_branch .LBB47_423
.LBB47_332:
	s_mov_b32 s2, s34
	s_branch .LBB47_372
.LBB47_333:
	s_mov_b32 s22, -1
	s_mov_b32 s3, s35
                                        ; implicit-def: $vgpr0
	s_branch .LBB47_418
.LBB47_334:
	s_mov_b32 s2, s34
	s_branch .LBB47_355
.LBB47_335:
	s_mov_b32 s22, -1
	s_mov_b32 s3, s35
	s_branch .LBB47_340
.LBB47_336:
	s_mov_b32 s2, s34
	s_branch .LBB47_351
.LBB47_337:
	s_or_saveexec_b32 s34, s34
                                        ; implicit-def: $sgpr35
	s_delay_alu instid0(SALU_CYCLE_1)
	s_xor_b32 exec_lo, exec_lo, s34
	s_cbranch_execz .LBB47_65
.LBB47_338:
	v_add_f32_e64 v9, 0x42800000, |v7|
	s_and_not1_b32 s23, s23, exec_lo
	s_mov_b32 s35, 0
	s_delay_alu instid0(VALU_DEP_1) | instskip(NEXT) | instid1(VALU_DEP_1)
	v_and_b32_e32 v9, 0xff, v9
	v_cmp_ne_u32_e32 vcc_lo, 0, v9
	s_and_b32 s38, vcc_lo, exec_lo
	s_delay_alu instid0(SALU_CYCLE_1)
	s_or_b32 s23, s23, s38
	s_or_b32 exec_lo, exec_lo, s34
	v_mov_b32_e32 v10, s35
	s_and_saveexec_b32 s34, s23
	s_cbranch_execnz .LBB47_66
	s_branch .LBB47_67
.LBB47_339:
	s_mov_b32 s3, -1
.LBB47_340:
                                        ; implicit-def: $vgpr0
.LBB47_341:
	s_and_b32 vcc_lo, exec_lo, s22
	s_cbranch_vccz .LBB47_417
; %bb.342:
	v_cmp_eq_u16_e32 vcc_lo, 44, v6
	s_cbranch_vccz .LBB47_416
; %bb.343:
	global_load_u8 v0, v[3:4], off
	s_mov_b32 s3, 0
	s_mov_b32 s2, -1
	s_waitcnt vmcnt(0)
	v_lshlrev_b32_e32 v1, 23, v0
	v_cmp_ne_u32_e32 vcc_lo, 0, v0
	s_delay_alu instid0(VALU_DEP_2) | instskip(NEXT) | instid1(VALU_DEP_1)
	v_cvt_i32_f32_e32 v1, v1
	v_cndmask_b32_e32 v0, 0, v1, vcc_lo
	s_branch .LBB47_417
.LBB47_344:
	s_mov_b32 s2, s34
.LBB47_345:
	s_and_b32 vcc_lo, exec_lo, s23
	s_cbranch_vccz .LBB47_350
; %bb.346:
	v_cmp_eq_u16_e32 vcc_lo, 44, v4
	s_mov_b32 s2, -1
	s_cbranch_vccz .LBB47_350
; %bb.347:
	v_bfe_i32 v7, v3, 0, 16
	v_mov_b32_e32 v9, 0xff
	s_mov_b32 s22, exec_lo
	s_delay_alu instid0(VALU_DEP_2) | instskip(NEXT) | instid1(VALU_DEP_1)
	v_cvt_f32_i32_e32 v7, v7
	v_bfe_u32 v10, v7, 23, 8
	s_delay_alu instid0(VALU_DEP_1)
	v_cmpx_ne_u32_e32 0xff, v10
; %bb.348:
	v_and_b32_e32 v9, 0x400000, v7
	v_and_or_b32 v10, 0x3fffff, v7, v10
	v_lshrrev_b32_e32 v7, 23, v7
	s_delay_alu instid0(VALU_DEP_3) | instskip(NEXT) | instid1(VALU_DEP_3)
	v_cmp_ne_u32_e32 vcc_lo, 0, v9
	v_cmp_ne_u32_e64 s2, 0, v10
	s_delay_alu instid0(VALU_DEP_1) | instskip(NEXT) | instid1(SALU_CYCLE_1)
	s_and_b32 s2, vcc_lo, s2
	v_cndmask_b32_e64 v9, 0, 1, s2
	s_delay_alu instid0(VALU_DEP_1)
	v_add_nc_u32_e32 v9, v7, v9
; %bb.349:
	s_or_b32 exec_lo, exec_lo, s22
	s_mov_b32 s22, -1
	s_mov_b32 s2, 0
	global_store_b8 v[1:2], v9, off
.LBB47_350:
	s_mov_b32 s23, 0
.LBB47_351:
	s_delay_alu instid0(SALU_CYCLE_1)
	s_and_b32 vcc_lo, exec_lo, s23
	s_cbranch_vccz .LBB47_354
; %bb.352:
	v_cmp_eq_u16_e32 vcc_lo, 29, v4
	s_mov_b32 s2, -1
	s_cbranch_vccz .LBB47_354
; %bb.353:
	v_bfe_i32 v9, v3, 0, 16
	s_mov_b32 s2, 0
	s_mov_b32 s22, -1
	s_mov_b32 s23, 0
	s_delay_alu instid0(VALU_DEP_1)
	v_ashrrev_i32_e32 v10, 31, v9
	global_store_b64 v[1:2], v[9:10], off
	s_branch .LBB47_355
.LBB47_354:
	s_mov_b32 s23, 0
.LBB47_355:
	s_delay_alu instid0(SALU_CYCLE_1)
	s_and_b32 vcc_lo, exec_lo, s23
	s_cbranch_vccz .LBB47_371
; %bb.356:
	v_cmp_gt_i16_e32 vcc_lo, 27, v4
	s_mov_b32 s22, -1
	s_cbranch_vccnz .LBB47_362
; %bb.357:
	v_cmp_lt_i16_e32 vcc_lo, 27, v4
	s_cbranch_vccz .LBB47_359
; %bb.358:
	v_bfe_i32 v7, v3, 0, 16
	s_mov_b32 s22, 0
	global_store_b32 v[1:2], v7, off
.LBB47_359:
	s_and_not1_b32 vcc_lo, exec_lo, s22
	s_cbranch_vccnz .LBB47_361
; %bb.360:
	global_store_b16 v[1:2], v3, off
.LBB47_361:
	s_mov_b32 s22, 0
.LBB47_362:
	s_delay_alu instid0(SALU_CYCLE_1)
	s_and_not1_b32 vcc_lo, exec_lo, s22
	s_cbranch_vccnz .LBB47_370
; %bb.363:
	v_bfe_i32 v7, v3, 0, 16
	v_mov_b32_e32 v10, 0x80
	s_mov_b32 s22, exec_lo
	s_delay_alu instid0(VALU_DEP_2) | instskip(NEXT) | instid1(VALU_DEP_1)
	v_cvt_f32_i32_e32 v7, v7
	v_and_b32_e32 v9, 0x7fffffff, v7
	s_delay_alu instid0(VALU_DEP_1)
	v_cmpx_gt_u32_e32 0x43800000, v9
	s_cbranch_execz .LBB47_369
; %bb.364:
	v_cmp_lt_u32_e32 vcc_lo, 0x3bffffff, v9
	s_mov_b32 s23, 0
                                        ; implicit-def: $vgpr9
	s_and_saveexec_b32 s37, vcc_lo
	s_delay_alu instid0(SALU_CYCLE_1)
	s_xor_b32 s37, exec_lo, s37
	s_cbranch_execz .LBB47_551
; %bb.365:
	v_bfe_u32 v9, v7, 20, 1
	s_mov_b32 s23, exec_lo
	s_delay_alu instid0(VALU_DEP_1) | instskip(NEXT) | instid1(VALU_DEP_1)
	v_add3_u32 v9, v7, v9, 0x487ffff
	v_lshrrev_b32_e32 v9, 20, v9
	s_or_saveexec_b32 s37, s37
                                        ; implicit-def: $sgpr38
	s_delay_alu instid0(SALU_CYCLE_1)
	s_xor_b32 exec_lo, exec_lo, s37
	s_cbranch_execnz .LBB47_552
.LBB47_366:
	s_or_b32 exec_lo, exec_lo, s37
	v_mov_b32_e32 v10, s38
	s_and_saveexec_b32 s37, s23
.LBB47_367:
	v_lshrrev_b32_e32 v7, 24, v7
	s_delay_alu instid0(VALU_DEP_1)
	v_and_or_b32 v10, 0x80, v7, v9
.LBB47_368:
	s_or_b32 exec_lo, exec_lo, s37
.LBB47_369:
	s_delay_alu instid0(SALU_CYCLE_1)
	s_or_b32 exec_lo, exec_lo, s22
	global_store_b8 v[1:2], v10, off
.LBB47_370:
	s_mov_b32 s22, -1
.LBB47_371:
	s_mov_b32 s23, 0
.LBB47_372:
	s_delay_alu instid0(SALU_CYCLE_1)
	s_and_b32 vcc_lo, exec_lo, s23
	s_cbranch_vccz .LBB47_413
; %bb.373:
	v_cmp_lt_i16_e32 vcc_lo, 22, v4
	s_mov_b32 s23, -1
	s_cbranch_vccz .LBB47_405
; %bb.374:
	v_cmp_gt_i16_e32 vcc_lo, 24, v4
	s_mov_b32 s22, -1
	s_cbranch_vccnz .LBB47_394
; %bb.375:
	v_cmp_lt_i16_e32 vcc_lo, 24, v4
	s_cbranch_vccz .LBB47_383
; %bb.376:
	v_bfe_i32 v7, v3, 0, 16
	v_mov_b32_e32 v10, 0x80
	s_mov_b32 s22, exec_lo
	s_delay_alu instid0(VALU_DEP_2) | instskip(NEXT) | instid1(VALU_DEP_1)
	v_cvt_f32_i32_e32 v7, v7
	v_and_b32_e32 v9, 0x7fffffff, v7
	s_delay_alu instid0(VALU_DEP_1)
	v_cmpx_gt_u32_e32 0x47800000, v9
	s_cbranch_execz .LBB47_382
; %bb.377:
	v_cmp_lt_u32_e32 vcc_lo, 0x37ffffff, v9
	s_mov_b32 s23, 0
                                        ; implicit-def: $vgpr9
	s_and_saveexec_b32 s37, vcc_lo
	s_delay_alu instid0(SALU_CYCLE_1)
	s_xor_b32 s37, exec_lo, s37
	s_cbranch_execz .LBB47_554
; %bb.378:
	v_bfe_u32 v9, v7, 21, 1
	s_mov_b32 s23, exec_lo
	s_delay_alu instid0(VALU_DEP_1) | instskip(NEXT) | instid1(VALU_DEP_1)
	v_add3_u32 v9, v7, v9, 0x88fffff
	v_lshrrev_b32_e32 v9, 21, v9
	s_or_saveexec_b32 s37, s37
                                        ; implicit-def: $sgpr38
	s_delay_alu instid0(SALU_CYCLE_1)
	s_xor_b32 exec_lo, exec_lo, s37
	s_cbranch_execnz .LBB47_555
.LBB47_379:
	s_or_b32 exec_lo, exec_lo, s37
	v_mov_b32_e32 v10, s38
	s_and_saveexec_b32 s37, s23
.LBB47_380:
	v_lshrrev_b32_e32 v7, 24, v7
	s_delay_alu instid0(VALU_DEP_1)
	v_and_or_b32 v10, 0x80, v7, v9
.LBB47_381:
	s_or_b32 exec_lo, exec_lo, s37
.LBB47_382:
	s_delay_alu instid0(SALU_CYCLE_1)
	s_or_b32 exec_lo, exec_lo, s22
	s_mov_b32 s22, 0
	global_store_b8 v[1:2], v10, off
.LBB47_383:
	s_and_b32 vcc_lo, exec_lo, s22
	s_cbranch_vccz .LBB47_393
; %bb.384:
	v_bfe_i32 v7, v3, 0, 16
	s_mov_b32 s22, exec_lo
                                        ; implicit-def: $vgpr9
	s_delay_alu instid0(VALU_DEP_1) | instskip(NEXT) | instid1(VALU_DEP_1)
	v_cvt_f32_i32_e32 v7, v7
	v_and_b32_e32 v10, 0x7fffffff, v7
	s_delay_alu instid0(VALU_DEP_1)
	v_cmpx_gt_u32_e32 0x43f00000, v10
	s_xor_b32 s22, exec_lo, s22
	s_cbranch_execz .LBB47_390
; %bb.385:
	s_mov_b32 s23, exec_lo
                                        ; implicit-def: $vgpr9
	v_cmpx_lt_u32_e32 0x3c7fffff, v10
	s_xor_b32 s23, exec_lo, s23
; %bb.386:
	v_bfe_u32 v9, v7, 20, 1
	s_delay_alu instid0(VALU_DEP_1) | instskip(NEXT) | instid1(VALU_DEP_1)
	v_add3_u32 v9, v7, v9, 0x407ffff
	v_and_b32_e32 v10, 0xff00000, v9
	v_lshrrev_b32_e32 v9, 20, v9
	s_delay_alu instid0(VALU_DEP_2) | instskip(NEXT) | instid1(VALU_DEP_2)
	v_cmp_ne_u32_e32 vcc_lo, 0x7f00000, v10
	v_cndmask_b32_e32 v9, 0x7e, v9, vcc_lo
; %bb.387:
	s_and_not1_saveexec_b32 s23, s23
; %bb.388:
	v_add_f32_e64 v9, 0x46800000, |v7|
; %bb.389:
	s_or_b32 exec_lo, exec_lo, s23
                                        ; implicit-def: $vgpr10
.LBB47_390:
	s_and_not1_saveexec_b32 s22, s22
; %bb.391:
	v_mov_b32_e32 v9, 0x7f
	v_cmp_lt_u32_e32 vcc_lo, 0x7f800000, v10
	s_delay_alu instid0(VALU_DEP_2)
	v_cndmask_b32_e32 v9, 0x7e, v9, vcc_lo
; %bb.392:
	s_or_b32 exec_lo, exec_lo, s22
	v_lshrrev_b32_e32 v7, 24, v7
	s_delay_alu instid0(VALU_DEP_1)
	v_and_or_b32 v7, 0x80, v7, v9
	global_store_b8 v[1:2], v7, off
.LBB47_393:
	s_mov_b32 s22, 0
.LBB47_394:
	s_delay_alu instid0(SALU_CYCLE_1)
	s_and_not1_b32 vcc_lo, exec_lo, s22
	s_cbranch_vccnz .LBB47_404
; %bb.395:
	v_bfe_i32 v7, v3, 0, 16
	s_mov_b32 s22, exec_lo
                                        ; implicit-def: $vgpr9
	s_delay_alu instid0(VALU_DEP_1) | instskip(NEXT) | instid1(VALU_DEP_1)
	v_cvt_f32_i32_e32 v7, v7
	v_and_b32_e32 v10, 0x7fffffff, v7
	s_delay_alu instid0(VALU_DEP_1)
	v_cmpx_gt_u32_e32 0x47800000, v10
	s_xor_b32 s22, exec_lo, s22
	s_cbranch_execz .LBB47_401
; %bb.396:
	s_mov_b32 s23, exec_lo
                                        ; implicit-def: $vgpr9
	v_cmpx_lt_u32_e32 0x387fffff, v10
	s_xor_b32 s23, exec_lo, s23
; %bb.397:
	v_bfe_u32 v9, v7, 21, 1
	s_delay_alu instid0(VALU_DEP_1) | instskip(NEXT) | instid1(VALU_DEP_1)
	v_add3_u32 v9, v7, v9, 0x80fffff
	v_lshrrev_b32_e32 v9, 21, v9
; %bb.398:
	s_and_not1_saveexec_b32 s23, s23
; %bb.399:
	v_add_f32_e64 v9, 0x43000000, |v7|
; %bb.400:
	s_or_b32 exec_lo, exec_lo, s23
                                        ; implicit-def: $vgpr10
.LBB47_401:
	s_and_not1_saveexec_b32 s22, s22
; %bb.402:
	v_mov_b32_e32 v9, 0x7f
	v_cmp_lt_u32_e32 vcc_lo, 0x7f800000, v10
	s_delay_alu instid0(VALU_DEP_2)
	v_cndmask_b32_e32 v9, 0x7c, v9, vcc_lo
; %bb.403:
	s_or_b32 exec_lo, exec_lo, s22
	v_lshrrev_b32_e32 v7, 24, v7
	s_delay_alu instid0(VALU_DEP_1)
	v_and_or_b32 v7, 0x80, v7, v9
	global_store_b8 v[1:2], v7, off
.LBB47_404:
	s_mov_b32 s23, 0
	s_mov_b32 s22, -1
.LBB47_405:
	s_and_not1_b32 vcc_lo, exec_lo, s23
	s_cbranch_vccnz .LBB47_413
; %bb.406:
	v_cmp_lt_i16_e32 vcc_lo, 14, v4
	s_mov_b32 s23, -1
	s_cbranch_vccz .LBB47_410
; %bb.407:
	v_cmp_eq_u16_e32 vcc_lo, 15, v4
	s_mov_b32 s2, -1
	s_cbranch_vccz .LBB47_409
; %bb.408:
	v_bfe_i32 v7, v3, 0, 16
	s_mov_b32 s22, -1
	s_mov_b32 s2, 0
	s_delay_alu instid0(VALU_DEP_1) | instskip(NEXT) | instid1(VALU_DEP_1)
	v_cvt_f32_i32_e32 v7, v7
	v_bfe_u32 v9, v7, 16, 1
	s_delay_alu instid0(VALU_DEP_1)
	v_add3_u32 v7, v7, v9, 0x7fff
	global_store_d16_hi_b16 v[1:2], v7, off
.LBB47_409:
	s_mov_b32 s23, 0
.LBB47_410:
	s_delay_alu instid0(SALU_CYCLE_1)
	s_and_b32 vcc_lo, exec_lo, s23
	s_cbranch_vccz .LBB47_413
; %bb.411:
	v_cmp_eq_u16_e32 vcc_lo, 11, v4
	s_mov_b32 s2, -1
	s_cbranch_vccz .LBB47_413
; %bb.412:
	v_cmp_ne_u16_e32 vcc_lo, -1, v0
	s_mov_b32 s22, -1
	s_mov_b32 s2, 0
	v_cndmask_b32_e64 v0, 0, 1, vcc_lo
	global_store_b8 v[1:2], v0, off
.LBB47_413:
.LBB47_414:
	s_and_not1_b32 vcc_lo, exec_lo, s22
	s_cbranch_vccnz .LBB47_329
.LBB47_415:
	v_add_nc_u32_e32 v8, 0x80, v8
	s_mov_b32 s22, -1
	s_branch .LBB47_524
.LBB47_416:
	s_mov_b32 s3, -1
                                        ; implicit-def: $vgpr0
.LBB47_417:
	s_mov_b32 s22, 0
.LBB47_418:
	s_delay_alu instid0(SALU_CYCLE_1)
	s_and_b32 vcc_lo, exec_lo, s22
	s_cbranch_vccz .LBB47_422
; %bb.419:
	v_cmp_eq_u16_e32 vcc_lo, 29, v6
	s_cbranch_vccz .LBB47_421
; %bb.420:
	global_load_b64 v[0:1], v[3:4], off
	s_mov_b32 s2, -1
	s_mov_b32 s3, 0
	s_branch .LBB47_422
.LBB47_421:
	s_mov_b32 s3, -1
                                        ; implicit-def: $vgpr0
.LBB47_422:
	s_mov_b32 s22, 0
.LBB47_423:
	s_delay_alu instid0(SALU_CYCLE_1)
	s_and_b32 vcc_lo, exec_lo, s22
	s_cbranch_vccz .LBB47_439
; %bb.424:
	v_cmp_gt_i16_e32 vcc_lo, 27, v6
	s_cbranch_vccnz .LBB47_427
; %bb.425:
	v_cmp_lt_i16_e32 vcc_lo, 27, v6
	s_cbranch_vccz .LBB47_428
; %bb.426:
	global_load_b32 v0, v[3:4], off
	s_mov_b32 s2, 0
	s_branch .LBB47_429
.LBB47_427:
	s_mov_b32 s2, -1
                                        ; implicit-def: $vgpr0
	s_branch .LBB47_432
.LBB47_428:
	s_mov_b32 s2, -1
                                        ; implicit-def: $vgpr0
.LBB47_429:
	s_delay_alu instid0(SALU_CYCLE_1)
	s_and_not1_b32 vcc_lo, exec_lo, s2
	s_cbranch_vccnz .LBB47_431
; %bb.430:
	global_load_u16 v0, v[3:4], off
.LBB47_431:
	s_mov_b32 s2, 0
.LBB47_432:
	s_delay_alu instid0(SALU_CYCLE_1)
	s_and_not1_b32 vcc_lo, exec_lo, s2
	s_cbranch_vccnz .LBB47_438
; %bb.433:
	global_load_u8 v1, v[3:4], off
	s_mov_b32 s2, 0
	s_mov_b32 s22, exec_lo
                                        ; implicit-def: $sgpr23
	s_waitcnt vmcnt(0)
	v_cmpx_lt_i16_e32 0x7f, v1
	s_xor_b32 s22, exec_lo, s22
	s_cbranch_execz .LBB47_450
; %bb.434:
	v_cmp_ne_u16_e32 vcc_lo, 0x80, v1
	s_mov_b32 s23, 0
	s_and_b32 s2, vcc_lo, exec_lo
	s_or_saveexec_b32 s22, s22
	v_mov_b32_e32 v0, s23
	s_xor_b32 exec_lo, exec_lo, s22
	s_cbranch_execnz .LBB47_451
.LBB47_435:
	s_or_b32 exec_lo, exec_lo, s22
	s_and_saveexec_b32 s22, s2
	s_cbranch_execz .LBB47_437
.LBB47_436:
	v_and_b32_e32 v0, 0xffff, v1
	v_lshlrev_b32_e32 v1, 24, v1
	s_delay_alu instid0(VALU_DEP_2) | instskip(NEXT) | instid1(VALU_DEP_2)
	v_and_b32_e32 v7, 7, v0
	v_and_b32_e32 v1, 0x80000000, v1
	s_delay_alu instid0(VALU_DEP_2) | instskip(NEXT) | instid1(VALU_DEP_1)
	v_clz_i32_u32_e32 v9, v7
	v_min_u32_e32 v9, 32, v9
	s_delay_alu instid0(VALU_DEP_1) | instskip(SKIP_1) | instid1(VALU_DEP_2)
	v_subrev_nc_u32_e32 v10, 28, v9
	v_sub_nc_u32_e32 v9, 29, v9
	v_lshlrev_b32_e32 v10, v10, v0
	v_bfe_u32 v0, v0, 3, 4
	s_delay_alu instid0(VALU_DEP_2) | instskip(NEXT) | instid1(VALU_DEP_2)
	v_and_b32_e32 v10, 7, v10
	v_cmp_eq_u32_e32 vcc_lo, 0, v0
	s_delay_alu instid0(VALU_DEP_2) | instskip(NEXT) | instid1(VALU_DEP_1)
	v_dual_cndmask_b32 v0, v0, v9 :: v_dual_cndmask_b32 v7, v7, v10
	v_lshl_add_u32 v0, v0, 23, 0x3b800000
	s_delay_alu instid0(VALU_DEP_2) | instskip(NEXT) | instid1(VALU_DEP_1)
	v_lshlrev_b32_e32 v7, 20, v7
	v_or3_b32 v0, v1, v0, v7
	s_delay_alu instid0(VALU_DEP_1)
	v_cvt_i32_f32_e32 v0, v0
.LBB47_437:
	s_or_b32 exec_lo, exec_lo, s22
.LBB47_438:
	s_mov_b32 s2, -1
.LBB47_439:
	s_mov_b32 s22, 0
.LBB47_440:
	s_delay_alu instid0(SALU_CYCLE_1)
	s_and_b32 vcc_lo, exec_lo, s22
	s_cbranch_vccz .LBB47_473
; %bb.441:
	v_cmp_lt_i16_e32 vcc_lo, 22, v6
	s_cbranch_vccz .LBB47_449
; %bb.442:
	v_cmp_gt_i16_e32 vcc_lo, 24, v6
	s_cbranch_vccnz .LBB47_452
; %bb.443:
	v_cmp_lt_i16_e32 vcc_lo, 24, v6
	s_cbranch_vccz .LBB47_453
; %bb.444:
	global_load_u8 v1, v[3:4], off
	s_mov_b32 s2, 0
	s_mov_b32 s22, exec_lo
                                        ; implicit-def: $sgpr23
	s_waitcnt vmcnt(0)
	v_cmpx_lt_i16_e32 0x7f, v1
	s_xor_b32 s22, exec_lo, s22
	s_cbranch_execz .LBB47_465
; %bb.445:
	v_cmp_ne_u16_e32 vcc_lo, 0x80, v1
	s_mov_b32 s23, 0
	s_and_b32 s2, vcc_lo, exec_lo
	s_or_saveexec_b32 s22, s22
	v_mov_b32_e32 v0, s23
	s_xor_b32 exec_lo, exec_lo, s22
	s_cbranch_execnz .LBB47_466
.LBB47_446:
	s_or_b32 exec_lo, exec_lo, s22
	s_and_saveexec_b32 s22, s2
	s_cbranch_execz .LBB47_448
.LBB47_447:
	v_and_b32_e32 v0, 0xffff, v1
	v_lshlrev_b32_e32 v1, 24, v1
	s_delay_alu instid0(VALU_DEP_2) | instskip(NEXT) | instid1(VALU_DEP_2)
	v_and_b32_e32 v7, 3, v0
	v_and_b32_e32 v1, 0x80000000, v1
	s_delay_alu instid0(VALU_DEP_2) | instskip(NEXT) | instid1(VALU_DEP_1)
	v_clz_i32_u32_e32 v9, v7
	v_min_u32_e32 v9, 32, v9
	s_delay_alu instid0(VALU_DEP_1) | instskip(SKIP_1) | instid1(VALU_DEP_2)
	v_subrev_nc_u32_e32 v10, 29, v9
	v_sub_nc_u32_e32 v9, 30, v9
	v_lshlrev_b32_e32 v10, v10, v0
	v_bfe_u32 v0, v0, 2, 5
	s_delay_alu instid0(VALU_DEP_2) | instskip(NEXT) | instid1(VALU_DEP_2)
	v_and_b32_e32 v10, 3, v10
	v_cmp_eq_u32_e32 vcc_lo, 0, v0
	s_delay_alu instid0(VALU_DEP_2) | instskip(NEXT) | instid1(VALU_DEP_1)
	v_dual_cndmask_b32 v0, v0, v9 :: v_dual_cndmask_b32 v7, v7, v10
	v_lshl_add_u32 v0, v0, 23, 0x37800000
	s_delay_alu instid0(VALU_DEP_2) | instskip(NEXT) | instid1(VALU_DEP_1)
	v_lshlrev_b32_e32 v7, 21, v7
	v_or3_b32 v0, v1, v0, v7
	s_delay_alu instid0(VALU_DEP_1)
	v_cvt_i32_f32_e32 v0, v0
.LBB47_448:
	s_or_b32 exec_lo, exec_lo, s22
	s_mov_b32 s2, 0
	s_branch .LBB47_454
.LBB47_449:
	s_mov_b32 s22, -1
                                        ; implicit-def: $vgpr0
	s_branch .LBB47_460
.LBB47_450:
	s_or_saveexec_b32 s22, s22
	v_mov_b32_e32 v0, s23
	s_xor_b32 exec_lo, exec_lo, s22
	s_cbranch_execz .LBB47_435
.LBB47_451:
	v_cmp_ne_u16_e32 vcc_lo, 0, v1
	v_mov_b32_e32 v0, 0
	s_and_not1_b32 s2, s2, exec_lo
	s_and_b32 s23, vcc_lo, exec_lo
	s_delay_alu instid0(SALU_CYCLE_1)
	s_or_b32 s2, s2, s23
	s_or_b32 exec_lo, exec_lo, s22
	s_and_saveexec_b32 s22, s2
	s_cbranch_execnz .LBB47_436
	s_branch .LBB47_437
.LBB47_452:
	s_mov_b32 s2, -1
                                        ; implicit-def: $vgpr0
	s_branch .LBB47_457
.LBB47_453:
	s_mov_b32 s2, -1
                                        ; implicit-def: $vgpr0
.LBB47_454:
	s_delay_alu instid0(SALU_CYCLE_1)
	s_and_b32 vcc_lo, exec_lo, s2
	s_cbranch_vccz .LBB47_456
; %bb.455:
	global_load_u8 v0, v[3:4], off
	s_waitcnt vmcnt(0)
	v_lshlrev_b32_e32 v0, 24, v0
	s_delay_alu instid0(VALU_DEP_1) | instskip(NEXT) | instid1(VALU_DEP_1)
	v_and_b32_e32 v1, 0x7f000000, v0
	v_clz_i32_u32_e32 v7, v1
	v_add_nc_u32_e32 v10, 0x1000000, v1
	v_cmp_ne_u32_e32 vcc_lo, 0, v1
	s_delay_alu instid0(VALU_DEP_3) | instskip(NEXT) | instid1(VALU_DEP_1)
	v_min_u32_e32 v7, 32, v7
	v_sub_nc_u32_e64 v7, v7, 4 clamp
	s_delay_alu instid0(VALU_DEP_1) | instskip(SKIP_1) | instid1(VALU_DEP_2)
	v_lshlrev_b32_e32 v9, v7, v1
	v_lshlrev_b32_e32 v7, 23, v7
	v_lshrrev_b32_e32 v9, 4, v9
	s_delay_alu instid0(VALU_DEP_1) | instskip(SKIP_1) | instid1(VALU_DEP_2)
	v_sub_nc_u32_e32 v7, v9, v7
	v_ashrrev_i32_e32 v9, 8, v10
	v_add_nc_u32_e32 v7, 0x3c000000, v7
	s_delay_alu instid0(VALU_DEP_1) | instskip(NEXT) | instid1(VALU_DEP_1)
	v_and_or_b32 v7, 0x7f800000, v9, v7
	v_cndmask_b32_e32 v1, 0, v7, vcc_lo
	s_delay_alu instid0(VALU_DEP_1) | instskip(NEXT) | instid1(VALU_DEP_1)
	v_and_or_b32 v0, 0x80000000, v0, v1
	v_cvt_i32_f32_e32 v0, v0
.LBB47_456:
	s_mov_b32 s2, 0
.LBB47_457:
	s_delay_alu instid0(SALU_CYCLE_1)
	s_and_not1_b32 vcc_lo, exec_lo, s2
	s_cbranch_vccnz .LBB47_459
; %bb.458:
	global_load_u8 v0, v[3:4], off
	s_waitcnt vmcnt(0)
	v_lshlrev_b32_e32 v1, 25, v0
	v_lshlrev_b16 v0, 8, v0
	s_delay_alu instid0(VALU_DEP_2) | instskip(NEXT) | instid1(VALU_DEP_2)
	v_lshrrev_b32_e32 v7, 4, v1
	v_and_or_b32 v9, 0x7f00, v0, 0.5
	v_cmp_gt_u32_e32 vcc_lo, 0x8000000, v1
	v_bfe_i32 v0, v0, 0, 16
	s_delay_alu instid0(VALU_DEP_4) | instskip(NEXT) | instid1(VALU_DEP_4)
	v_or_b32_e32 v7, 0x70000000, v7
	v_add_f32_e32 v9, -0.5, v9
	s_delay_alu instid0(VALU_DEP_2) | instskip(NEXT) | instid1(VALU_DEP_1)
	v_mul_f32_e32 v7, 0x7800000, v7
	v_cndmask_b32_e32 v1, v7, v9, vcc_lo
	s_delay_alu instid0(VALU_DEP_1) | instskip(NEXT) | instid1(VALU_DEP_1)
	v_and_or_b32 v0, 0x80000000, v0, v1
	v_cvt_i32_f32_e32 v0, v0
.LBB47_459:
	s_mov_b32 s22, 0
	s_mov_b32 s2, -1
.LBB47_460:
	s_and_not1_b32 vcc_lo, exec_lo, s22
	s_cbranch_vccnz .LBB47_473
; %bb.461:
	v_cmp_lt_i16_e32 vcc_lo, 14, v6
	s_cbranch_vccz .LBB47_464
; %bb.462:
	v_cmp_eq_u16_e32 vcc_lo, 15, v6
	s_cbranch_vccz .LBB47_467
; %bb.463:
	global_load_u16 v0, v[3:4], off
	s_mov_b32 s2, -1
	s_mov_b32 s3, 0
	s_waitcnt vmcnt(0)
	v_lshlrev_b32_e32 v0, 16, v0
	s_delay_alu instid0(VALU_DEP_1)
	v_cvt_i32_f32_e32 v0, v0
	s_branch .LBB47_468
.LBB47_464:
	s_mov_b32 s22, -1
                                        ; implicit-def: $vgpr0
	s_branch .LBB47_469
.LBB47_465:
	s_or_saveexec_b32 s22, s22
	v_mov_b32_e32 v0, s23
	s_xor_b32 exec_lo, exec_lo, s22
	s_cbranch_execz .LBB47_446
.LBB47_466:
	v_cmp_ne_u16_e32 vcc_lo, 0, v1
	v_mov_b32_e32 v0, 0
	s_and_not1_b32 s2, s2, exec_lo
	s_and_b32 s23, vcc_lo, exec_lo
	s_delay_alu instid0(SALU_CYCLE_1)
	s_or_b32 s2, s2, s23
	s_or_b32 exec_lo, exec_lo, s22
	s_and_saveexec_b32 s22, s2
	s_cbranch_execnz .LBB47_447
	s_branch .LBB47_448
.LBB47_467:
	s_mov_b32 s3, -1
                                        ; implicit-def: $vgpr0
.LBB47_468:
	s_mov_b32 s22, 0
.LBB47_469:
	s_delay_alu instid0(SALU_CYCLE_1)
	s_and_b32 vcc_lo, exec_lo, s22
	s_cbranch_vccz .LBB47_473
; %bb.470:
	v_cmp_eq_u16_e32 vcc_lo, 11, v6
	s_cbranch_vccz .LBB47_472
; %bb.471:
	global_load_u8 v0, v[3:4], off
	s_mov_b32 s3, 0
	s_mov_b32 s2, -1
	s_waitcnt vmcnt(0)
	v_cmp_ne_u16_e32 vcc_lo, 0, v0
	v_cndmask_b32_e64 v0, 0, 1, vcc_lo
	s_branch .LBB47_473
.LBB47_472:
	s_mov_b32 s3, -1
                                        ; implicit-def: $vgpr0
.LBB47_473:
	s_branch .LBB47_282
.LBB47_474:
	v_cmp_gt_i16_e32 vcc_lo, 5, v6
	s_cbranch_vccnz .LBB47_479
; %bb.475:
	v_cmp_gt_i16_e32 vcc_lo, 8, v6
	s_cbranch_vccnz .LBB47_480
; %bb.476:
	;; [unrolled: 3-line block ×3, first 2 shown]
	v_cmp_lt_i16_e32 vcc_lo, 9, v6
	s_cbranch_vccz .LBB47_482
; %bb.478:
	global_load_b64 v[0:1], v[3:4], off
	s_mov_b32 s2, 0
	s_waitcnt vmcnt(0)
	v_cvt_i32_f64_e32 v0, v[0:1]
	s_branch .LBB47_483
.LBB47_479:
	s_mov_b32 s2, -1
                                        ; implicit-def: $vgpr0
	s_branch .LBB47_501
.LBB47_480:
	s_mov_b32 s2, -1
                                        ; implicit-def: $vgpr0
	s_branch .LBB47_489
.LBB47_481:
	s_mov_b32 s2, -1
                                        ; implicit-def: $vgpr0
	s_branch .LBB47_486
.LBB47_482:
	s_mov_b32 s2, -1
                                        ; implicit-def: $vgpr0
.LBB47_483:
	s_delay_alu instid0(SALU_CYCLE_1)
	s_and_not1_b32 vcc_lo, exec_lo, s2
	s_cbranch_vccnz .LBB47_485
; %bb.484:
	global_load_b32 v0, v[3:4], off
	s_waitcnt vmcnt(0)
	v_cvt_i32_f32_e32 v0, v0
.LBB47_485:
	s_mov_b32 s2, 0
.LBB47_486:
	s_delay_alu instid0(SALU_CYCLE_1)
	s_and_not1_b32 vcc_lo, exec_lo, s2
	s_cbranch_vccnz .LBB47_488
; %bb.487:
	global_load_b32 v0, v[3:4], off
	s_waitcnt vmcnt(0)
	v_cvt_i16_f16_e32 v0, v0
.LBB47_488:
	s_mov_b32 s2, 0
.LBB47_489:
	s_delay_alu instid0(SALU_CYCLE_1)
	s_and_not1_b32 vcc_lo, exec_lo, s2
	s_cbranch_vccnz .LBB47_500
; %bb.490:
	v_cmp_gt_i16_e32 vcc_lo, 6, v6
	s_cbranch_vccnz .LBB47_493
; %bb.491:
	v_cmp_lt_i16_e32 vcc_lo, 6, v6
	s_cbranch_vccz .LBB47_494
; %bb.492:
	global_load_b64 v[0:1], v[3:4], off
	s_mov_b32 s2, 0
	s_waitcnt vmcnt(0)
	v_cvt_i32_f64_e32 v0, v[0:1]
	s_branch .LBB47_495
.LBB47_493:
	s_mov_b32 s2, -1
                                        ; implicit-def: $vgpr0
	s_branch .LBB47_498
.LBB47_494:
	s_mov_b32 s2, -1
                                        ; implicit-def: $vgpr0
.LBB47_495:
	s_delay_alu instid0(SALU_CYCLE_1)
	s_and_not1_b32 vcc_lo, exec_lo, s2
	s_cbranch_vccnz .LBB47_497
; %bb.496:
	global_load_b32 v0, v[3:4], off
	s_waitcnt vmcnt(0)
	v_cvt_i32_f32_e32 v0, v0
.LBB47_497:
	s_mov_b32 s2, 0
.LBB47_498:
	s_delay_alu instid0(SALU_CYCLE_1)
	s_and_not1_b32 vcc_lo, exec_lo, s2
	s_cbranch_vccnz .LBB47_500
; %bb.499:
	global_load_u16 v0, v[3:4], off
	s_waitcnt vmcnt(0)
	v_cvt_i16_f16_e32 v0, v0
.LBB47_500:
	s_mov_b32 s2, 0
.LBB47_501:
	s_delay_alu instid0(SALU_CYCLE_1)
	s_and_not1_b32 vcc_lo, exec_lo, s2
	s_cbranch_vccnz .LBB47_521
; %bb.502:
	v_cmp_gt_i16_e32 vcc_lo, 2, v6
	s_cbranch_vccnz .LBB47_506
; %bb.503:
	v_cmp_gt_i16_e32 vcc_lo, 3, v6
	s_cbranch_vccnz .LBB47_507
; %bb.504:
	v_cmp_lt_i16_e32 vcc_lo, 3, v6
	s_cbranch_vccz .LBB47_508
; %bb.505:
	global_load_b64 v[0:1], v[3:4], off
	s_mov_b32 s2, 0
	s_branch .LBB47_509
.LBB47_506:
	s_mov_b32 s2, -1
                                        ; implicit-def: $vgpr0
	s_branch .LBB47_515
.LBB47_507:
	s_mov_b32 s2, -1
                                        ; implicit-def: $vgpr0
	s_branch .LBB47_512
.LBB47_508:
	s_mov_b32 s2, -1
                                        ; implicit-def: $vgpr0
.LBB47_509:
	s_delay_alu instid0(SALU_CYCLE_1)
	s_and_not1_b32 vcc_lo, exec_lo, s2
	s_cbranch_vccnz .LBB47_511
; %bb.510:
	global_load_b32 v0, v[3:4], off
.LBB47_511:
	s_mov_b32 s2, 0
.LBB47_512:
	s_delay_alu instid0(SALU_CYCLE_1)
	s_and_not1_b32 vcc_lo, exec_lo, s2
	s_cbranch_vccnz .LBB47_514
; %bb.513:
	global_load_u16 v0, v[3:4], off
.LBB47_514:
	s_mov_b32 s2, 0
.LBB47_515:
	s_delay_alu instid0(SALU_CYCLE_1)
	s_and_not1_b32 vcc_lo, exec_lo, s2
	s_cbranch_vccnz .LBB47_521
; %bb.516:
	v_cmp_lt_i16_e32 vcc_lo, 0, v6
	s_mov_b32 s2, 0
	s_cbranch_vccz .LBB47_518
; %bb.517:
	global_load_i8 v0, v[3:4], off
	s_branch .LBB47_519
.LBB47_518:
	s_mov_b32 s2, -1
                                        ; implicit-def: $vgpr0
.LBB47_519:
	s_delay_alu instid0(SALU_CYCLE_1)
	s_and_not1_b32 vcc_lo, exec_lo, s2
	s_cbranch_vccnz .LBB47_521
; %bb.520:
	global_load_u8 v0, v[3:4], off
.LBB47_521:
	s_branch .LBB47_283
.LBB47_522:
	s_mov_b32 s22, 0
	s_mov_b32 s2, s34
.LBB47_523:
                                        ; implicit-def: $vgpr8
.LBB47_524:
	s_and_not1_b32 s23, s34, exec_lo
	s_and_b32 s2, s2, exec_lo
	s_and_not1_b32 s37, s35, exec_lo
	s_and_b32 s3, s3, exec_lo
	s_or_b32 s38, s23, s2
	s_or_b32 s37, s37, s3
	s_or_not1_b32 s2, s22, exec_lo
.LBB47_525:
	s_or_b32 exec_lo, exec_lo, s39
	s_mov_b32 s3, 0
	s_mov_b32 s23, 0
	;; [unrolled: 1-line block ×3, first 2 shown]
                                        ; implicit-def: $vgpr3_vgpr4
                                        ; implicit-def: $vgpr2
                                        ; implicit-def: $vgpr0
	s_and_saveexec_b32 s39, s2
	s_cbranch_execz .LBB47_889
; %bb.526:
	s_mov_b32 s42, -1
	s_mov_b32 s22, s37
	s_mov_b32 s23, s38
	s_mov_b32 s40, exec_lo
	v_cmpx_gt_i32_e64 s30, v8
	s_cbranch_execz .LBB47_794
; %bb.527:
	s_and_not1_b32 vcc_lo, exec_lo, s27
	s_cbranch_vccnz .LBB47_532
; %bb.528:
	v_mov_b32_e32 v2, 0
	s_waitcnt vmcnt(0)
	v_mov_b32_e32 v0, 0
	s_and_not1_b32 vcc_lo, exec_lo, s33
	s_mov_b32 s41, 0
	s_cbranch_vccnz .LBB47_537
; %bb.529:
	v_mov_b32_e32 v2, 0
	s_add_i32 s43, s31, 1
	s_cmp_eq_u32 s25, 2
	s_mov_b32 s42, 0
	s_cbranch_scc1 .LBB47_533
; %bb.530:
	v_dual_mov_b32 v0, 0 :: v_dual_mov_b32 v1, v8
	v_mov_b32_e32 v2, 0
	s_and_b32 s42, s43, 28
	s_mov_b32 s44, 0
	s_mov_b64 s[2:3], s[20:21]
	s_mov_b64 s[22:23], s[16:17]
.LBB47_531:                             ; =>This Inner Loop Header: Depth=1
	s_clause 0x1
	s_load_b256 s[48:55], s[22:23], 0x4
	s_load_b128 s[64:67], s[22:23], 0x24
	s_load_b256 s[56:63], s[2:3], 0x0
	s_add_u32 s22, s22, 48
	s_addc_u32 s23, s23, 0
	s_add_i32 s44, s44, 4
	s_add_u32 s2, s2, 32
	s_addc_u32 s3, s3, 0
	s_cmp_eq_u32 s42, s44
	s_waitcnt lgkmcnt(0)
	v_mul_hi_u32 v3, s49, v1
	s_delay_alu instid0(VALU_DEP_1) | instskip(NEXT) | instid1(VALU_DEP_1)
	v_add_nc_u32_e32 v3, v1, v3
	v_lshrrev_b32_e32 v3, s50, v3
	s_delay_alu instid0(VALU_DEP_1) | instskip(SKIP_1) | instid1(VALU_DEP_2)
	v_mul_hi_u32 v4, s52, v3
	v_mul_lo_u32 v9, v3, s48
	v_add_nc_u32_e32 v4, v3, v4
	s_delay_alu instid0(VALU_DEP_2) | instskip(NEXT) | instid1(VALU_DEP_2)
	v_sub_nc_u32_e32 v1, v1, v9
	v_lshrrev_b32_e32 v4, s53, v4
	s_delay_alu instid0(VALU_DEP_2) | instskip(SKIP_1) | instid1(VALU_DEP_3)
	v_mul_lo_u32 v9, v1, s56
	v_mul_lo_u32 v11, v1, s57
	v_mul_hi_u32 v7, s55, v4
	s_delay_alu instid0(VALU_DEP_1) | instskip(NEXT) | instid1(VALU_DEP_1)
	v_add_nc_u32_e32 v7, v4, v7
	v_lshrrev_b32_e32 v7, s64, v7
	s_delay_alu instid0(VALU_DEP_1) | instskip(SKIP_1) | instid1(VALU_DEP_2)
	v_mul_hi_u32 v10, s66, v7
	v_mul_lo_u32 v12, v7, s54
	v_add_nc_u32_e32 v1, v7, v10
	v_mul_lo_u32 v10, v4, s51
	s_delay_alu instid0(VALU_DEP_3) | instskip(NEXT) | instid1(VALU_DEP_3)
	v_sub_nc_u32_e32 v4, v4, v12
	v_lshrrev_b32_e32 v1, s67, v1
	s_delay_alu instid0(VALU_DEP_2) | instskip(SKIP_2) | instid1(VALU_DEP_4)
	v_mul_lo_u32 v12, v4, s60
	v_mul_lo_u32 v4, v4, s61
	v_sub_nc_u32_e32 v3, v3, v10
	v_mul_lo_u32 v13, v1, s65
	s_delay_alu instid0(VALU_DEP_2) | instskip(SKIP_1) | instid1(VALU_DEP_3)
	v_mul_lo_u32 v10, v3, s58
	v_mul_lo_u32 v3, v3, s59
	v_sub_nc_u32_e32 v7, v7, v13
	s_delay_alu instid0(VALU_DEP_3) | instskip(NEXT) | instid1(VALU_DEP_2)
	v_add3_u32 v2, v9, v2, v10
	v_mul_lo_u32 v13, v7, s62
	v_mul_lo_u32 v7, v7, s63
	v_add3_u32 v0, v11, v0, v3
	s_delay_alu instid0(VALU_DEP_3) | instskip(NEXT) | instid1(VALU_DEP_2)
	v_add3_u32 v2, v12, v2, v13
	v_add3_u32 v0, v4, v0, v7
	s_cbranch_scc0 .LBB47_531
	s_branch .LBB47_534
.LBB47_532:
	s_mov_b32 s41, -1
                                        ; implicit-def: $vgpr2
                                        ; implicit-def: $vgpr0
	s_branch .LBB47_537
.LBB47_533:
	v_dual_mov_b32 v1, v8 :: v_dual_mov_b32 v0, 0
.LBB47_534:
	s_and_b32 s43, s43, 3
	s_delay_alu instid0(SALU_CYCLE_1)
	s_cmp_eq_u32 s43, 0
	s_cbranch_scc1 .LBB47_537
; %bb.535:
	s_lshl_b32 s2, s42, 3
	s_mul_i32 s22, s42, 12
	s_add_u32 s2, s2, s16
	s_addc_u32 s3, s17, 0
	s_add_u32 s2, s2, 0xc4
	s_addc_u32 s3, s3, 0
	;; [unrolled: 2-line block ×3, first 2 shown]
	.p2align	6
.LBB47_536:                             ; =>This Inner Loop Header: Depth=1
	s_clause 0x1
	s_load_b64 s[44:45], s[22:23], 0x4
	s_load_b32 s42, s[22:23], 0xc
	s_load_b64 s[46:47], s[2:3], 0x0
	s_add_u32 s22, s22, 12
	s_addc_u32 s23, s23, 0
	s_add_u32 s2, s2, 8
	s_addc_u32 s3, s3, 0
	s_add_i32 s43, s43, -1
	s_delay_alu instid0(SALU_CYCLE_1) | instskip(SKIP_2) | instid1(VALU_DEP_1)
	s_cmp_lg_u32 s43, 0
	s_waitcnt lgkmcnt(0)
	v_mul_hi_u32 v3, s45, v1
	v_add_nc_u32_e32 v3, v1, v3
	s_delay_alu instid0(VALU_DEP_1) | instskip(NEXT) | instid1(VALU_DEP_1)
	v_lshrrev_b32_e32 v7, s42, v3
	v_mul_lo_u32 v3, v7, s44
	s_delay_alu instid0(VALU_DEP_1) | instskip(NEXT) | instid1(VALU_DEP_1)
	v_sub_nc_u32_e32 v1, v1, v3
	v_mad_u64_u32 v[3:4], null, v1, s46, v[2:3]
	v_mad_u64_u32 v[9:10], null, v1, s47, v[0:1]
	v_mov_b32_e32 v1, v7
	s_delay_alu instid0(VALU_DEP_3) | instskip(NEXT) | instid1(VALU_DEP_3)
	v_mov_b32_e32 v2, v3
	v_mov_b32_e32 v0, v9
	s_cbranch_scc1 .LBB47_536
.LBB47_537:
	s_and_not1_b32 vcc_lo, exec_lo, s41
	s_cbranch_vccnz .LBB47_540
; %bb.538:
	s_waitcnt vmcnt(0) lgkmcnt(0)
	v_mul_hi_u32 v0, s13, v8
	s_and_not1_b32 vcc_lo, exec_lo, s29
	s_delay_alu instid0(VALU_DEP_1) | instskip(NEXT) | instid1(VALU_DEP_1)
	v_add_nc_u32_e32 v0, v8, v0
	v_lshrrev_b32_e32 v1, s14, v0
	s_delay_alu instid0(VALU_DEP_1) | instskip(NEXT) | instid1(VALU_DEP_1)
	v_mul_lo_u32 v0, v1, s12
	v_sub_nc_u32_e32 v0, v8, v0
	s_delay_alu instid0(VALU_DEP_1)
	v_mul_lo_u32 v2, v0, s8
	v_mul_lo_u32 v0, v0, s9
	s_cbranch_vccnz .LBB47_540
; %bb.539:
	v_mul_hi_u32 v3, s18, v1
	s_delay_alu instid0(VALU_DEP_1) | instskip(NEXT) | instid1(VALU_DEP_1)
	v_add_nc_u32_e32 v3, v1, v3
	v_lshrrev_b32_e32 v3, s19, v3
	s_delay_alu instid0(VALU_DEP_1) | instskip(NEXT) | instid1(VALU_DEP_1)
	v_mul_lo_u32 v3, v3, s15
	v_sub_nc_u32_e32 v7, v1, v3
	s_delay_alu instid0(VALU_DEP_1) | instskip(SKIP_1) | instid1(VALU_DEP_2)
	v_mad_u64_u32 v[3:4], null, v7, s10, v[2:3]
	v_mad_u64_u32 v[1:2], null, v7, s11, v[0:1]
	v_mov_b32_e32 v2, v3
	s_delay_alu instid0(VALU_DEP_2)
	v_mov_b32_e32 v0, v1
.LBB47_540:
	v_cmp_gt_i16_e32 vcc_lo, 11, v6
	s_waitcnt vmcnt(0) lgkmcnt(0)
	s_delay_alu instid0(VALU_DEP_2) | instskip(NEXT) | instid1(VALU_DEP_1)
	v_add_co_u32 v3, s2, s6, v0
	v_add_co_ci_u32_e64 v4, null, s7, 0, s2
	s_mov_b32 s2, 0
	s_cbranch_vccnz .LBB47_547
; %bb.541:
	v_cmp_lt_i16_e32 vcc_lo, 25, v6
	s_cbranch_vccz .LBB47_548
; %bb.542:
	v_cmp_lt_i16_e32 vcc_lo, 28, v6
	s_cbranch_vccz .LBB47_549
	;; [unrolled: 3-line block ×4, first 2 shown]
; %bb.545:
	v_cmp_eq_u16_e32 vcc_lo, 46, v6
	s_mov_b32 s22, 0
	s_cbranch_vccz .LBB47_556
; %bb.546:
	global_load_b32 v0, v[3:4], off
	s_mov_b32 s2, -1
	s_mov_b32 s3, 0
	s_waitcnt vmcnt(0)
	v_lshlrev_b32_e32 v0, 16, v0
	s_delay_alu instid0(VALU_DEP_1)
	v_cvt_i32_f32_e32 v0, v0
	s_branch .LBB47_558
.LBB47_547:
	s_mov_b32 s22, -1
	s_mov_b32 s3, s37
                                        ; implicit-def: $vgpr0
	s_branch .LBB47_619
.LBB47_548:
	s_mov_b32 s22, -1
	s_mov_b32 s3, s37
                                        ; implicit-def: $vgpr0
	s_branch .LBB47_585
.LBB47_549:
	s_mov_b32 s22, -1
	s_mov_b32 s3, s37
                                        ; implicit-def: $vgpr0
	s_branch .LBB47_568
.LBB47_550:
	s_mov_b32 s22, -1
	s_mov_b32 s3, s37
                                        ; implicit-def: $vgpr0
	s_branch .LBB47_563
.LBB47_551:
	s_or_saveexec_b32 s37, s37
                                        ; implicit-def: $sgpr38
	s_delay_alu instid0(SALU_CYCLE_1)
	s_xor_b32 exec_lo, exec_lo, s37
	s_cbranch_execz .LBB47_366
.LBB47_552:
	v_add_f32_e64 v9, 0x46000000, |v7|
	s_and_not1_b32 s23, s23, exec_lo
	s_mov_b32 s38, 0
	s_delay_alu instid0(VALU_DEP_1) | instskip(NEXT) | instid1(VALU_DEP_1)
	v_and_b32_e32 v9, 0xff, v9
	v_cmp_ne_u32_e32 vcc_lo, 0, v9
	s_and_b32 s40, vcc_lo, exec_lo
	s_delay_alu instid0(SALU_CYCLE_1)
	s_or_b32 s23, s23, s40
	s_or_b32 exec_lo, exec_lo, s37
	v_mov_b32_e32 v10, s38
	s_and_saveexec_b32 s37, s23
	s_cbranch_execnz .LBB47_367
	s_branch .LBB47_368
.LBB47_553:
	s_mov_b32 s22, -1
	s_mov_b32 s3, s37
	s_branch .LBB47_557
.LBB47_554:
	s_or_saveexec_b32 s37, s37
                                        ; implicit-def: $sgpr38
	s_delay_alu instid0(SALU_CYCLE_1)
	s_xor_b32 exec_lo, exec_lo, s37
	s_cbranch_execz .LBB47_379
.LBB47_555:
	v_add_f32_e64 v9, 0x42800000, |v7|
	s_and_not1_b32 s23, s23, exec_lo
	s_mov_b32 s38, 0
	s_delay_alu instid0(VALU_DEP_1) | instskip(NEXT) | instid1(VALU_DEP_1)
	v_and_b32_e32 v9, 0xff, v9
	v_cmp_ne_u32_e32 vcc_lo, 0, v9
	s_and_b32 s40, vcc_lo, exec_lo
	s_delay_alu instid0(SALU_CYCLE_1)
	s_or_b32 s23, s23, s40
	s_or_b32 exec_lo, exec_lo, s37
	v_mov_b32_e32 v10, s38
	s_and_saveexec_b32 s37, s23
	s_cbranch_execnz .LBB47_380
	s_branch .LBB47_381
.LBB47_556:
	s_mov_b32 s3, -1
.LBB47_557:
                                        ; implicit-def: $vgpr0
.LBB47_558:
	s_and_b32 vcc_lo, exec_lo, s22
	s_cbranch_vccz .LBB47_562
; %bb.559:
	v_cmp_eq_u16_e32 vcc_lo, 44, v6
	s_cbranch_vccz .LBB47_561
; %bb.560:
	global_load_u8 v0, v[3:4], off
	s_mov_b32 s3, 0
	s_mov_b32 s2, -1
	s_waitcnt vmcnt(0)
	v_lshlrev_b32_e32 v1, 23, v0
	v_cmp_ne_u32_e32 vcc_lo, 0, v0
	s_delay_alu instid0(VALU_DEP_2) | instskip(NEXT) | instid1(VALU_DEP_1)
	v_cvt_i32_f32_e32 v1, v1
	v_cndmask_b32_e32 v0, 0, v1, vcc_lo
	s_branch .LBB47_562
.LBB47_561:
	s_mov_b32 s3, -1
                                        ; implicit-def: $vgpr0
.LBB47_562:
	s_mov_b32 s22, 0
.LBB47_563:
	s_delay_alu instid0(SALU_CYCLE_1)
	s_and_b32 vcc_lo, exec_lo, s22
	s_cbranch_vccz .LBB47_567
; %bb.564:
	v_cmp_eq_u16_e32 vcc_lo, 29, v6
	s_cbranch_vccz .LBB47_566
; %bb.565:
	global_load_b64 v[0:1], v[3:4], off
	s_mov_b32 s2, -1
	s_mov_b32 s3, 0
	s_branch .LBB47_567
.LBB47_566:
	s_mov_b32 s3, -1
                                        ; implicit-def: $vgpr0
.LBB47_567:
	s_mov_b32 s22, 0
.LBB47_568:
	s_delay_alu instid0(SALU_CYCLE_1)
	s_and_b32 vcc_lo, exec_lo, s22
	s_cbranch_vccz .LBB47_584
; %bb.569:
	v_cmp_gt_i16_e32 vcc_lo, 27, v6
	s_cbranch_vccnz .LBB47_572
; %bb.570:
	v_cmp_lt_i16_e32 vcc_lo, 27, v6
	s_cbranch_vccz .LBB47_573
; %bb.571:
	global_load_b32 v0, v[3:4], off
	s_mov_b32 s2, 0
	s_branch .LBB47_574
.LBB47_572:
	s_mov_b32 s2, -1
                                        ; implicit-def: $vgpr0
	s_branch .LBB47_577
.LBB47_573:
	s_mov_b32 s2, -1
                                        ; implicit-def: $vgpr0
.LBB47_574:
	s_delay_alu instid0(SALU_CYCLE_1)
	s_and_not1_b32 vcc_lo, exec_lo, s2
	s_cbranch_vccnz .LBB47_576
; %bb.575:
	global_load_u16 v0, v[3:4], off
.LBB47_576:
	s_mov_b32 s2, 0
.LBB47_577:
	s_delay_alu instid0(SALU_CYCLE_1)
	s_and_not1_b32 vcc_lo, exec_lo, s2
	s_cbranch_vccnz .LBB47_583
; %bb.578:
	global_load_u8 v1, v[3:4], off
	s_mov_b32 s2, 0
	s_mov_b32 s22, exec_lo
                                        ; implicit-def: $sgpr23
	s_waitcnt vmcnt(0)
	v_cmpx_lt_i16_e32 0x7f, v1
	s_xor_b32 s22, exec_lo, s22
	s_cbranch_execz .LBB47_595
; %bb.579:
	v_cmp_ne_u16_e32 vcc_lo, 0x80, v1
	s_mov_b32 s23, 0
	s_and_b32 s2, vcc_lo, exec_lo
	s_or_saveexec_b32 s22, s22
	v_mov_b32_e32 v0, s23
	s_xor_b32 exec_lo, exec_lo, s22
	s_cbranch_execnz .LBB47_596
.LBB47_580:
	s_or_b32 exec_lo, exec_lo, s22
	s_and_saveexec_b32 s22, s2
	s_cbranch_execz .LBB47_582
.LBB47_581:
	v_and_b32_e32 v0, 0xffff, v1
	v_lshlrev_b32_e32 v1, 24, v1
	s_delay_alu instid0(VALU_DEP_2) | instskip(NEXT) | instid1(VALU_DEP_2)
	v_and_b32_e32 v7, 7, v0
	v_and_b32_e32 v1, 0x80000000, v1
	s_delay_alu instid0(VALU_DEP_2) | instskip(NEXT) | instid1(VALU_DEP_1)
	v_clz_i32_u32_e32 v9, v7
	v_min_u32_e32 v9, 32, v9
	s_delay_alu instid0(VALU_DEP_1) | instskip(SKIP_1) | instid1(VALU_DEP_2)
	v_subrev_nc_u32_e32 v10, 28, v9
	v_sub_nc_u32_e32 v9, 29, v9
	v_lshlrev_b32_e32 v10, v10, v0
	v_bfe_u32 v0, v0, 3, 4
	s_delay_alu instid0(VALU_DEP_2) | instskip(NEXT) | instid1(VALU_DEP_2)
	v_and_b32_e32 v10, 7, v10
	v_cmp_eq_u32_e32 vcc_lo, 0, v0
	s_delay_alu instid0(VALU_DEP_2) | instskip(NEXT) | instid1(VALU_DEP_1)
	v_dual_cndmask_b32 v0, v0, v9 :: v_dual_cndmask_b32 v7, v7, v10
	v_lshl_add_u32 v0, v0, 23, 0x3b800000
	s_delay_alu instid0(VALU_DEP_2) | instskip(NEXT) | instid1(VALU_DEP_1)
	v_lshlrev_b32_e32 v7, 20, v7
	v_or3_b32 v0, v1, v0, v7
	s_delay_alu instid0(VALU_DEP_1)
	v_cvt_i32_f32_e32 v0, v0
.LBB47_582:
	s_or_b32 exec_lo, exec_lo, s22
.LBB47_583:
	s_mov_b32 s2, -1
.LBB47_584:
	s_mov_b32 s22, 0
.LBB47_585:
	s_delay_alu instid0(SALU_CYCLE_1)
	s_and_b32 vcc_lo, exec_lo, s22
	s_cbranch_vccz .LBB47_618
; %bb.586:
	v_cmp_lt_i16_e32 vcc_lo, 22, v6
	s_cbranch_vccz .LBB47_594
; %bb.587:
	v_cmp_gt_i16_e32 vcc_lo, 24, v6
	s_cbranch_vccnz .LBB47_597
; %bb.588:
	v_cmp_lt_i16_e32 vcc_lo, 24, v6
	s_cbranch_vccz .LBB47_598
; %bb.589:
	global_load_u8 v1, v[3:4], off
	s_mov_b32 s2, 0
	s_mov_b32 s22, exec_lo
                                        ; implicit-def: $sgpr23
	s_waitcnt vmcnt(0)
	v_cmpx_lt_i16_e32 0x7f, v1
	s_xor_b32 s22, exec_lo, s22
	s_cbranch_execz .LBB47_610
; %bb.590:
	v_cmp_ne_u16_e32 vcc_lo, 0x80, v1
	s_mov_b32 s23, 0
	s_and_b32 s2, vcc_lo, exec_lo
	s_or_saveexec_b32 s22, s22
	v_mov_b32_e32 v0, s23
	s_xor_b32 exec_lo, exec_lo, s22
	s_cbranch_execnz .LBB47_611
.LBB47_591:
	s_or_b32 exec_lo, exec_lo, s22
	s_and_saveexec_b32 s22, s2
	s_cbranch_execz .LBB47_593
.LBB47_592:
	v_and_b32_e32 v0, 0xffff, v1
	v_lshlrev_b32_e32 v1, 24, v1
	s_delay_alu instid0(VALU_DEP_2) | instskip(NEXT) | instid1(VALU_DEP_2)
	v_and_b32_e32 v7, 3, v0
	v_and_b32_e32 v1, 0x80000000, v1
	s_delay_alu instid0(VALU_DEP_2) | instskip(NEXT) | instid1(VALU_DEP_1)
	v_clz_i32_u32_e32 v9, v7
	v_min_u32_e32 v9, 32, v9
	s_delay_alu instid0(VALU_DEP_1) | instskip(SKIP_1) | instid1(VALU_DEP_2)
	v_subrev_nc_u32_e32 v10, 29, v9
	v_sub_nc_u32_e32 v9, 30, v9
	v_lshlrev_b32_e32 v10, v10, v0
	v_bfe_u32 v0, v0, 2, 5
	s_delay_alu instid0(VALU_DEP_2) | instskip(NEXT) | instid1(VALU_DEP_2)
	v_and_b32_e32 v10, 3, v10
	v_cmp_eq_u32_e32 vcc_lo, 0, v0
	s_delay_alu instid0(VALU_DEP_2) | instskip(NEXT) | instid1(VALU_DEP_1)
	v_dual_cndmask_b32 v0, v0, v9 :: v_dual_cndmask_b32 v7, v7, v10
	v_lshl_add_u32 v0, v0, 23, 0x37800000
	s_delay_alu instid0(VALU_DEP_2) | instskip(NEXT) | instid1(VALU_DEP_1)
	v_lshlrev_b32_e32 v7, 21, v7
	v_or3_b32 v0, v1, v0, v7
	s_delay_alu instid0(VALU_DEP_1)
	v_cvt_i32_f32_e32 v0, v0
.LBB47_593:
	s_or_b32 exec_lo, exec_lo, s22
	s_mov_b32 s2, 0
	s_branch .LBB47_599
.LBB47_594:
	s_mov_b32 s22, -1
                                        ; implicit-def: $vgpr0
	s_branch .LBB47_605
.LBB47_595:
	s_or_saveexec_b32 s22, s22
	v_mov_b32_e32 v0, s23
	s_xor_b32 exec_lo, exec_lo, s22
	s_cbranch_execz .LBB47_580
.LBB47_596:
	v_cmp_ne_u16_e32 vcc_lo, 0, v1
	v_mov_b32_e32 v0, 0
	s_and_not1_b32 s2, s2, exec_lo
	s_and_b32 s23, vcc_lo, exec_lo
	s_delay_alu instid0(SALU_CYCLE_1)
	s_or_b32 s2, s2, s23
	s_or_b32 exec_lo, exec_lo, s22
	s_and_saveexec_b32 s22, s2
	s_cbranch_execnz .LBB47_581
	s_branch .LBB47_582
.LBB47_597:
	s_mov_b32 s2, -1
                                        ; implicit-def: $vgpr0
	s_branch .LBB47_602
.LBB47_598:
	s_mov_b32 s2, -1
                                        ; implicit-def: $vgpr0
.LBB47_599:
	s_delay_alu instid0(SALU_CYCLE_1)
	s_and_b32 vcc_lo, exec_lo, s2
	s_cbranch_vccz .LBB47_601
; %bb.600:
	global_load_u8 v0, v[3:4], off
	s_waitcnt vmcnt(0)
	v_lshlrev_b32_e32 v0, 24, v0
	s_delay_alu instid0(VALU_DEP_1) | instskip(NEXT) | instid1(VALU_DEP_1)
	v_and_b32_e32 v1, 0x7f000000, v0
	v_clz_i32_u32_e32 v7, v1
	v_add_nc_u32_e32 v10, 0x1000000, v1
	v_cmp_ne_u32_e32 vcc_lo, 0, v1
	s_delay_alu instid0(VALU_DEP_3) | instskip(NEXT) | instid1(VALU_DEP_1)
	v_min_u32_e32 v7, 32, v7
	v_sub_nc_u32_e64 v7, v7, 4 clamp
	s_delay_alu instid0(VALU_DEP_1) | instskip(SKIP_1) | instid1(VALU_DEP_2)
	v_lshlrev_b32_e32 v9, v7, v1
	v_lshlrev_b32_e32 v7, 23, v7
	v_lshrrev_b32_e32 v9, 4, v9
	s_delay_alu instid0(VALU_DEP_1) | instskip(SKIP_1) | instid1(VALU_DEP_2)
	v_sub_nc_u32_e32 v7, v9, v7
	v_ashrrev_i32_e32 v9, 8, v10
	v_add_nc_u32_e32 v7, 0x3c000000, v7
	s_delay_alu instid0(VALU_DEP_1) | instskip(NEXT) | instid1(VALU_DEP_1)
	v_and_or_b32 v7, 0x7f800000, v9, v7
	v_cndmask_b32_e32 v1, 0, v7, vcc_lo
	s_delay_alu instid0(VALU_DEP_1) | instskip(NEXT) | instid1(VALU_DEP_1)
	v_and_or_b32 v0, 0x80000000, v0, v1
	v_cvt_i32_f32_e32 v0, v0
.LBB47_601:
	s_mov_b32 s2, 0
.LBB47_602:
	s_delay_alu instid0(SALU_CYCLE_1)
	s_and_not1_b32 vcc_lo, exec_lo, s2
	s_cbranch_vccnz .LBB47_604
; %bb.603:
	global_load_u8 v0, v[3:4], off
	s_waitcnt vmcnt(0)
	v_lshlrev_b32_e32 v1, 25, v0
	v_lshlrev_b16 v0, 8, v0
	s_delay_alu instid0(VALU_DEP_2) | instskip(NEXT) | instid1(VALU_DEP_2)
	v_lshrrev_b32_e32 v7, 4, v1
	v_and_or_b32 v9, 0x7f00, v0, 0.5
	v_cmp_gt_u32_e32 vcc_lo, 0x8000000, v1
	v_bfe_i32 v0, v0, 0, 16
	s_delay_alu instid0(VALU_DEP_4) | instskip(NEXT) | instid1(VALU_DEP_4)
	v_or_b32_e32 v7, 0x70000000, v7
	v_add_f32_e32 v9, -0.5, v9
	s_delay_alu instid0(VALU_DEP_2) | instskip(NEXT) | instid1(VALU_DEP_1)
	v_mul_f32_e32 v7, 0x7800000, v7
	v_cndmask_b32_e32 v1, v7, v9, vcc_lo
	s_delay_alu instid0(VALU_DEP_1) | instskip(NEXT) | instid1(VALU_DEP_1)
	v_and_or_b32 v0, 0x80000000, v0, v1
	v_cvt_i32_f32_e32 v0, v0
.LBB47_604:
	s_mov_b32 s22, 0
	s_mov_b32 s2, -1
.LBB47_605:
	s_and_not1_b32 vcc_lo, exec_lo, s22
	s_cbranch_vccnz .LBB47_618
; %bb.606:
	v_cmp_lt_i16_e32 vcc_lo, 14, v6
	s_cbranch_vccz .LBB47_609
; %bb.607:
	v_cmp_eq_u16_e32 vcc_lo, 15, v6
	s_cbranch_vccz .LBB47_612
; %bb.608:
	global_load_u16 v0, v[3:4], off
	s_mov_b32 s2, -1
	s_mov_b32 s3, 0
	s_waitcnt vmcnt(0)
	v_lshlrev_b32_e32 v0, 16, v0
	s_delay_alu instid0(VALU_DEP_1)
	v_cvt_i32_f32_e32 v0, v0
	s_branch .LBB47_613
.LBB47_609:
	s_mov_b32 s22, -1
                                        ; implicit-def: $vgpr0
	s_branch .LBB47_614
.LBB47_610:
	s_or_saveexec_b32 s22, s22
	v_mov_b32_e32 v0, s23
	s_xor_b32 exec_lo, exec_lo, s22
	s_cbranch_execz .LBB47_591
.LBB47_611:
	v_cmp_ne_u16_e32 vcc_lo, 0, v1
	v_mov_b32_e32 v0, 0
	s_and_not1_b32 s2, s2, exec_lo
	s_and_b32 s23, vcc_lo, exec_lo
	s_delay_alu instid0(SALU_CYCLE_1)
	s_or_b32 s2, s2, s23
	s_or_b32 exec_lo, exec_lo, s22
	s_and_saveexec_b32 s22, s2
	s_cbranch_execnz .LBB47_592
	s_branch .LBB47_593
.LBB47_612:
	s_mov_b32 s3, -1
                                        ; implicit-def: $vgpr0
.LBB47_613:
	s_mov_b32 s22, 0
.LBB47_614:
	s_delay_alu instid0(SALU_CYCLE_1)
	s_and_b32 vcc_lo, exec_lo, s22
	s_cbranch_vccz .LBB47_618
; %bb.615:
	v_cmp_eq_u16_e32 vcc_lo, 11, v6
	s_cbranch_vccz .LBB47_617
; %bb.616:
	global_load_u8 v0, v[3:4], off
	s_mov_b32 s3, 0
	s_mov_b32 s2, -1
	s_waitcnt vmcnt(0)
	v_cmp_ne_u16_e32 vcc_lo, 0, v0
	v_cndmask_b32_e64 v0, 0, 1, vcc_lo
	s_branch .LBB47_618
.LBB47_617:
	s_mov_b32 s3, -1
                                        ; implicit-def: $vgpr0
.LBB47_618:
	s_mov_b32 s22, 0
.LBB47_619:
	s_delay_alu instid0(SALU_CYCLE_1)
	s_and_b32 vcc_lo, exec_lo, s22
	s_cbranch_vccz .LBB47_668
; %bb.620:
	v_cmp_gt_i16_e32 vcc_lo, 5, v6
	s_cbranch_vccnz .LBB47_625
; %bb.621:
	v_cmp_gt_i16_e32 vcc_lo, 8, v6
	s_cbranch_vccnz .LBB47_626
	;; [unrolled: 3-line block ×3, first 2 shown]
; %bb.623:
	v_cmp_lt_i16_e32 vcc_lo, 9, v6
	s_cbranch_vccz .LBB47_628
; %bb.624:
	global_load_b64 v[0:1], v[3:4], off
	s_mov_b32 s2, 0
	s_waitcnt vmcnt(0)
	v_cvt_i32_f64_e32 v0, v[0:1]
	s_branch .LBB47_629
.LBB47_625:
	s_mov_b32 s2, -1
                                        ; implicit-def: $vgpr0
	s_branch .LBB47_647
.LBB47_626:
	s_mov_b32 s2, -1
                                        ; implicit-def: $vgpr0
	s_branch .LBB47_635
.LBB47_627:
	s_mov_b32 s2, -1
                                        ; implicit-def: $vgpr0
	s_branch .LBB47_632
.LBB47_628:
	s_mov_b32 s2, -1
                                        ; implicit-def: $vgpr0
.LBB47_629:
	s_delay_alu instid0(SALU_CYCLE_1)
	s_and_not1_b32 vcc_lo, exec_lo, s2
	s_cbranch_vccnz .LBB47_631
; %bb.630:
	global_load_b32 v0, v[3:4], off
	s_waitcnt vmcnt(0)
	v_cvt_i32_f32_e32 v0, v0
.LBB47_631:
	s_mov_b32 s2, 0
.LBB47_632:
	s_delay_alu instid0(SALU_CYCLE_1)
	s_and_not1_b32 vcc_lo, exec_lo, s2
	s_cbranch_vccnz .LBB47_634
; %bb.633:
	global_load_b32 v0, v[3:4], off
	s_waitcnt vmcnt(0)
	v_cvt_i16_f16_e32 v0, v0
.LBB47_634:
	s_mov_b32 s2, 0
.LBB47_635:
	s_delay_alu instid0(SALU_CYCLE_1)
	s_and_not1_b32 vcc_lo, exec_lo, s2
	s_cbranch_vccnz .LBB47_646
; %bb.636:
	v_cmp_gt_i16_e32 vcc_lo, 6, v6
	s_cbranch_vccnz .LBB47_639
; %bb.637:
	v_cmp_lt_i16_e32 vcc_lo, 6, v6
	s_cbranch_vccz .LBB47_640
; %bb.638:
	global_load_b64 v[0:1], v[3:4], off
	s_mov_b32 s2, 0
	s_waitcnt vmcnt(0)
	v_cvt_i32_f64_e32 v0, v[0:1]
	s_branch .LBB47_641
.LBB47_639:
	s_mov_b32 s2, -1
                                        ; implicit-def: $vgpr0
	s_branch .LBB47_644
.LBB47_640:
	s_mov_b32 s2, -1
                                        ; implicit-def: $vgpr0
.LBB47_641:
	s_delay_alu instid0(SALU_CYCLE_1)
	s_and_not1_b32 vcc_lo, exec_lo, s2
	s_cbranch_vccnz .LBB47_643
; %bb.642:
	global_load_b32 v0, v[3:4], off
	s_waitcnt vmcnt(0)
	v_cvt_i32_f32_e32 v0, v0
.LBB47_643:
	s_mov_b32 s2, 0
.LBB47_644:
	s_delay_alu instid0(SALU_CYCLE_1)
	s_and_not1_b32 vcc_lo, exec_lo, s2
	s_cbranch_vccnz .LBB47_646
; %bb.645:
	global_load_u16 v0, v[3:4], off
	s_waitcnt vmcnt(0)
	v_cvt_i16_f16_e32 v0, v0
.LBB47_646:
	s_mov_b32 s2, 0
.LBB47_647:
	s_delay_alu instid0(SALU_CYCLE_1)
	s_and_not1_b32 vcc_lo, exec_lo, s2
	s_cbranch_vccnz .LBB47_667
; %bb.648:
	v_cmp_gt_i16_e32 vcc_lo, 2, v6
	s_cbranch_vccnz .LBB47_652
; %bb.649:
	v_cmp_gt_i16_e32 vcc_lo, 3, v6
	s_cbranch_vccnz .LBB47_653
; %bb.650:
	v_cmp_lt_i16_e32 vcc_lo, 3, v6
	s_cbranch_vccz .LBB47_654
; %bb.651:
	global_load_b64 v[0:1], v[3:4], off
	s_mov_b32 s2, 0
	s_branch .LBB47_655
.LBB47_652:
	s_mov_b32 s2, -1
                                        ; implicit-def: $vgpr0
	s_branch .LBB47_661
.LBB47_653:
	s_mov_b32 s2, -1
                                        ; implicit-def: $vgpr0
	s_branch .LBB47_658
.LBB47_654:
	s_mov_b32 s2, -1
                                        ; implicit-def: $vgpr0
.LBB47_655:
	s_delay_alu instid0(SALU_CYCLE_1)
	s_and_not1_b32 vcc_lo, exec_lo, s2
	s_cbranch_vccnz .LBB47_657
; %bb.656:
	global_load_b32 v0, v[3:4], off
.LBB47_657:
	s_mov_b32 s2, 0
.LBB47_658:
	s_delay_alu instid0(SALU_CYCLE_1)
	s_and_not1_b32 vcc_lo, exec_lo, s2
	s_cbranch_vccnz .LBB47_660
; %bb.659:
	global_load_u16 v0, v[3:4], off
.LBB47_660:
	s_mov_b32 s2, 0
.LBB47_661:
	s_delay_alu instid0(SALU_CYCLE_1)
	s_and_not1_b32 vcc_lo, exec_lo, s2
	s_cbranch_vccnz .LBB47_667
; %bb.662:
	v_cmp_lt_i16_e32 vcc_lo, 0, v6
	s_mov_b32 s2, 0
	s_cbranch_vccz .LBB47_664
; %bb.663:
	global_load_i8 v0, v[3:4], off
	s_branch .LBB47_665
.LBB47_664:
	s_mov_b32 s2, -1
                                        ; implicit-def: $vgpr0
.LBB47_665:
	s_delay_alu instid0(SALU_CYCLE_1)
	s_and_not1_b32 vcc_lo, exec_lo, s2
	s_cbranch_vccnz .LBB47_667
; %bb.666:
	global_load_u8 v0, v[3:4], off
.LBB47_667:
	s_mov_b32 s2, -1
.LBB47_668:
	s_delay_alu instid0(SALU_CYCLE_1)
	s_and_not1_b32 vcc_lo, exec_lo, s2
	s_cbranch_vccnz .LBB47_676
; %bb.669:
	v_and_b32_e32 v4, 0xff, v5
	s_waitcnt vmcnt(0)
	v_add_co_u32 v1, s2, s4, v2
	s_delay_alu instid0(VALU_DEP_3)
	v_xor_b32_e32 v3, -1, v0
	v_add_co_ci_u32_e64 v2, null, s5, 0, s2
	v_cmp_gt_i16_e32 vcc_lo, 11, v4
	s_mov_b32 s23, -1
	s_mov_b32 s22, 0
	s_mov_b32 s2, s38
	s_cbranch_vccnz .LBB47_677
; %bb.670:
	v_cmp_lt_i16_e32 vcc_lo, 25, v4
	s_cbranch_vccz .LBB47_718
; %bb.671:
	v_cmp_lt_i16_e32 vcc_lo, 28, v4
	s_cbranch_vccz .LBB47_719
	;; [unrolled: 3-line block ×4, first 2 shown]
; %bb.674:
	v_cmp_eq_u16_e32 vcc_lo, 46, v4
	s_mov_b32 s23, 0
	s_mov_b32 s2, -1
	s_cbranch_vccz .LBB47_722
; %bb.675:
	v_bfe_i32 v7, v3, 0, 16
	s_mov_b32 s22, -1
	s_mov_b32 s2, 0
	s_delay_alu instid0(VALU_DEP_1) | instskip(NEXT) | instid1(VALU_DEP_1)
	v_cvt_f32_i32_e32 v7, v7
	v_bfe_u32 v9, v7, 16, 1
	s_delay_alu instid0(VALU_DEP_1) | instskip(NEXT) | instid1(VALU_DEP_1)
	v_add3_u32 v7, v7, v9, 0x7fff
	v_lshrrev_b32_e32 v7, 16, v7
	global_store_b32 v[1:2], v7, off
	s_branch .LBB47_722
.LBB47_676:
	s_mov_b32 s41, 0
	s_mov_b32 s2, s38
	s_branch .LBB47_717
.LBB47_677:
	s_and_b32 vcc_lo, exec_lo, s23
	s_cbranch_vccz .LBB47_791
; %bb.678:
	v_cmp_gt_i16_e32 vcc_lo, 5, v4
	s_mov_b32 s22, -1
	s_cbranch_vccnz .LBB47_699
; %bb.679:
	v_cmp_gt_i16_e32 vcc_lo, 8, v4
	s_cbranch_vccnz .LBB47_689
; %bb.680:
	v_cmp_gt_i16_e32 vcc_lo, 9, v4
	s_cbranch_vccnz .LBB47_686
; %bb.681:
	v_cmp_lt_i16_e32 vcc_lo, 9, v4
	s_cbranch_vccz .LBB47_683
; %bb.682:
	v_bfe_i32 v0, v3, 0, 16
	v_mov_b32_e32 v11, 0
	s_mov_b32 s22, 0
	s_delay_alu instid0(VALU_DEP_2) | instskip(NEXT) | instid1(VALU_DEP_2)
	v_cvt_f64_i32_e32 v[9:10], v0
	v_mov_b32_e32 v12, v11
	global_store_b128 v[1:2], v[9:12], off
.LBB47_683:
	s_and_not1_b32 vcc_lo, exec_lo, s22
	s_cbranch_vccnz .LBB47_685
; %bb.684:
	v_bfe_i32 v0, v3, 0, 16
	v_mov_b32_e32 v10, 0
	s_delay_alu instid0(VALU_DEP_2)
	v_cvt_f32_i32_e32 v9, v0
	global_store_b64 v[1:2], v[9:10], off
.LBB47_685:
	s_mov_b32 s22, 0
.LBB47_686:
	s_delay_alu instid0(SALU_CYCLE_1)
	s_and_not1_b32 vcc_lo, exec_lo, s22
	s_cbranch_vccnz .LBB47_688
; %bb.687:
	v_cvt_f16_i16_e32 v0, v3
	s_delay_alu instid0(VALU_DEP_1)
	v_and_b32_e32 v0, 0xffff, v0
	global_store_b32 v[1:2], v0, off
.LBB47_688:
	s_mov_b32 s22, 0
.LBB47_689:
	s_delay_alu instid0(SALU_CYCLE_1)
	s_and_not1_b32 vcc_lo, exec_lo, s22
	s_cbranch_vccnz .LBB47_698
; %bb.690:
	v_cmp_gt_i16_e32 vcc_lo, 6, v4
	s_mov_b32 s22, -1
	s_cbranch_vccnz .LBB47_696
; %bb.691:
	v_cmp_lt_i16_e32 vcc_lo, 6, v4
	s_cbranch_vccz .LBB47_693
; %bb.692:
	v_bfe_i32 v0, v3, 0, 16
	s_mov_b32 s22, 0
	s_delay_alu instid0(VALU_DEP_1)
	v_cvt_f64_i32_e32 v[9:10], v0
	global_store_b64 v[1:2], v[9:10], off
.LBB47_693:
	s_and_not1_b32 vcc_lo, exec_lo, s22
	s_cbranch_vccnz .LBB47_695
; %bb.694:
	v_bfe_i32 v0, v3, 0, 16
	s_delay_alu instid0(VALU_DEP_1)
	v_cvt_f32_i32_e32 v0, v0
	global_store_b32 v[1:2], v0, off
.LBB47_695:
	s_mov_b32 s22, 0
.LBB47_696:
	s_delay_alu instid0(SALU_CYCLE_1)
	s_and_not1_b32 vcc_lo, exec_lo, s22
	s_cbranch_vccnz .LBB47_698
; %bb.697:
	v_cvt_f16_i16_e32 v0, v3
	global_store_b16 v[1:2], v0, off
.LBB47_698:
	s_mov_b32 s22, 0
.LBB47_699:
	s_delay_alu instid0(SALU_CYCLE_1)
	s_and_not1_b32 vcc_lo, exec_lo, s22
	s_cbranch_vccnz .LBB47_715
; %bb.700:
	v_cmp_gt_i16_e32 vcc_lo, 2, v4
	s_mov_b32 s22, -1
	s_cbranch_vccnz .LBB47_710
; %bb.701:
	v_cmp_gt_i16_e32 vcc_lo, 3, v4
	s_cbranch_vccnz .LBB47_707
; %bb.702:
	v_cmp_lt_i16_e32 vcc_lo, 3, v4
	s_cbranch_vccz .LBB47_704
; %bb.703:
	v_bfe_i32 v9, v3, 0, 16
	s_mov_b32 s22, 0
	s_delay_alu instid0(VALU_DEP_1)
	v_ashrrev_i32_e32 v10, 31, v9
	global_store_b64 v[1:2], v[9:10], off
.LBB47_704:
	s_and_not1_b32 vcc_lo, exec_lo, s22
	s_cbranch_vccnz .LBB47_706
; %bb.705:
	v_bfe_i32 v0, v3, 0, 16
	global_store_b32 v[1:2], v0, off
.LBB47_706:
	s_mov_b32 s22, 0
.LBB47_707:
	s_delay_alu instid0(SALU_CYCLE_1)
	s_and_not1_b32 vcc_lo, exec_lo, s22
	s_cbranch_vccnz .LBB47_709
; %bb.708:
	global_store_b16 v[1:2], v3, off
.LBB47_709:
	s_mov_b32 s22, 0
.LBB47_710:
	s_delay_alu instid0(SALU_CYCLE_1)
	s_and_not1_b32 vcc_lo, exec_lo, s22
	s_cbranch_vccnz .LBB47_715
; %bb.711:
	v_cmp_lt_i16_e32 vcc_lo, 0, v4
	s_mov_b32 s22, -1
	s_cbranch_vccz .LBB47_713
; %bb.712:
	s_mov_b32 s22, 0
	global_store_b8 v[1:2], v3, off
.LBB47_713:
	s_and_not1_b32 vcc_lo, exec_lo, s22
	s_cbranch_vccnz .LBB47_715
; %bb.714:
	global_store_b8 v[1:2], v3, off
.LBB47_715:
	s_branch .LBB47_792
.LBB47_716:
	s_mov_b32 s41, 0
.LBB47_717:
                                        ; implicit-def: $vgpr8
	s_branch .LBB47_793
.LBB47_718:
	s_mov_b32 s2, s38
	s_branch .LBB47_749
.LBB47_719:
	s_mov_b32 s2, s38
	s_branch .LBB47_732
.LBB47_720:
	s_mov_b32 s2, s38
	s_branch .LBB47_728
.LBB47_721:
	s_mov_b32 s2, s38
.LBB47_722:
	s_and_b32 vcc_lo, exec_lo, s23
	s_cbranch_vccz .LBB47_727
; %bb.723:
	v_cmp_eq_u16_e32 vcc_lo, 44, v4
	s_mov_b32 s2, -1
	s_cbranch_vccz .LBB47_727
; %bb.724:
	v_bfe_i32 v7, v3, 0, 16
	v_mov_b32_e32 v9, 0xff
	s_mov_b32 s22, exec_lo
	s_delay_alu instid0(VALU_DEP_2) | instskip(NEXT) | instid1(VALU_DEP_1)
	v_cvt_f32_i32_e32 v7, v7
	v_bfe_u32 v10, v7, 23, 8
	s_delay_alu instid0(VALU_DEP_1)
	v_cmpx_ne_u32_e32 0xff, v10
; %bb.725:
	v_and_b32_e32 v9, 0x400000, v7
	v_and_or_b32 v10, 0x3fffff, v7, v10
	v_lshrrev_b32_e32 v7, 23, v7
	s_delay_alu instid0(VALU_DEP_3) | instskip(NEXT) | instid1(VALU_DEP_3)
	v_cmp_ne_u32_e32 vcc_lo, 0, v9
	v_cmp_ne_u32_e64 s2, 0, v10
	s_delay_alu instid0(VALU_DEP_1) | instskip(NEXT) | instid1(SALU_CYCLE_1)
	s_and_b32 s2, vcc_lo, s2
	v_cndmask_b32_e64 v9, 0, 1, s2
	s_delay_alu instid0(VALU_DEP_1)
	v_add_nc_u32_e32 v9, v7, v9
; %bb.726:
	s_or_b32 exec_lo, exec_lo, s22
	s_mov_b32 s22, -1
	s_mov_b32 s2, 0
	global_store_b8 v[1:2], v9, off
.LBB47_727:
	s_mov_b32 s23, 0
.LBB47_728:
	s_delay_alu instid0(SALU_CYCLE_1)
	s_and_b32 vcc_lo, exec_lo, s23
	s_cbranch_vccz .LBB47_731
; %bb.729:
	v_cmp_eq_u16_e32 vcc_lo, 29, v4
	s_mov_b32 s2, -1
	s_cbranch_vccz .LBB47_731
; %bb.730:
	v_bfe_i32 v9, v3, 0, 16
	s_mov_b32 s2, 0
	s_mov_b32 s22, -1
	s_mov_b32 s23, 0
	s_delay_alu instid0(VALU_DEP_1)
	v_ashrrev_i32_e32 v10, 31, v9
	global_store_b64 v[1:2], v[9:10], off
	s_branch .LBB47_732
.LBB47_731:
	s_mov_b32 s23, 0
.LBB47_732:
	s_delay_alu instid0(SALU_CYCLE_1)
	s_and_b32 vcc_lo, exec_lo, s23
	s_cbranch_vccz .LBB47_748
; %bb.733:
	v_cmp_gt_i16_e32 vcc_lo, 27, v4
	s_mov_b32 s22, -1
	s_cbranch_vccnz .LBB47_739
; %bb.734:
	v_cmp_lt_i16_e32 vcc_lo, 27, v4
	s_cbranch_vccz .LBB47_736
; %bb.735:
	v_bfe_i32 v7, v3, 0, 16
	s_mov_b32 s22, 0
	global_store_b32 v[1:2], v7, off
.LBB47_736:
	s_and_not1_b32 vcc_lo, exec_lo, s22
	s_cbranch_vccnz .LBB47_738
; %bb.737:
	global_store_b16 v[1:2], v3, off
.LBB47_738:
	s_mov_b32 s22, 0
.LBB47_739:
	s_delay_alu instid0(SALU_CYCLE_1)
	s_and_not1_b32 vcc_lo, exec_lo, s22
	s_cbranch_vccnz .LBB47_747
; %bb.740:
	v_bfe_i32 v7, v3, 0, 16
	v_mov_b32_e32 v10, 0x80
	s_mov_b32 s22, exec_lo
	s_delay_alu instid0(VALU_DEP_2) | instskip(NEXT) | instid1(VALU_DEP_1)
	v_cvt_f32_i32_e32 v7, v7
	v_and_b32_e32 v9, 0x7fffffff, v7
	s_delay_alu instid0(VALU_DEP_1)
	v_cmpx_gt_u32_e32 0x43800000, v9
	s_cbranch_execz .LBB47_746
; %bb.741:
	v_cmp_lt_u32_e32 vcc_lo, 0x3bffffff, v9
	s_mov_b32 s23, 0
                                        ; implicit-def: $vgpr9
	s_and_saveexec_b32 s41, vcc_lo
	s_delay_alu instid0(SALU_CYCLE_1)
	s_xor_b32 s41, exec_lo, s41
	s_cbranch_execz .LBB47_820
; %bb.742:
	v_bfe_u32 v9, v7, 20, 1
	s_mov_b32 s23, exec_lo
	s_delay_alu instid0(VALU_DEP_1) | instskip(NEXT) | instid1(VALU_DEP_1)
	v_add3_u32 v9, v7, v9, 0x487ffff
	v_lshrrev_b32_e32 v9, 20, v9
	s_or_saveexec_b32 s41, s41
                                        ; implicit-def: $sgpr42
	s_delay_alu instid0(SALU_CYCLE_1)
	s_xor_b32 exec_lo, exec_lo, s41
	s_cbranch_execnz .LBB47_821
.LBB47_743:
	s_or_b32 exec_lo, exec_lo, s41
	v_mov_b32_e32 v10, s42
	s_and_saveexec_b32 s41, s23
.LBB47_744:
	v_lshrrev_b32_e32 v7, 24, v7
	s_delay_alu instid0(VALU_DEP_1)
	v_and_or_b32 v10, 0x80, v7, v9
.LBB47_745:
	s_or_b32 exec_lo, exec_lo, s41
.LBB47_746:
	s_delay_alu instid0(SALU_CYCLE_1)
	s_or_b32 exec_lo, exec_lo, s22
	global_store_b8 v[1:2], v10, off
.LBB47_747:
	s_mov_b32 s22, -1
.LBB47_748:
	s_mov_b32 s23, 0
.LBB47_749:
	s_delay_alu instid0(SALU_CYCLE_1)
	s_and_b32 vcc_lo, exec_lo, s23
	s_cbranch_vccz .LBB47_790
; %bb.750:
	v_cmp_lt_i16_e32 vcc_lo, 22, v4
	s_mov_b32 s23, -1
	s_cbranch_vccz .LBB47_782
; %bb.751:
	v_cmp_gt_i16_e32 vcc_lo, 24, v4
	s_mov_b32 s22, -1
	s_cbranch_vccnz .LBB47_771
; %bb.752:
	v_cmp_lt_i16_e32 vcc_lo, 24, v4
	s_cbranch_vccz .LBB47_760
; %bb.753:
	v_bfe_i32 v7, v3, 0, 16
	v_mov_b32_e32 v10, 0x80
	s_mov_b32 s22, exec_lo
	s_delay_alu instid0(VALU_DEP_2) | instskip(NEXT) | instid1(VALU_DEP_1)
	v_cvt_f32_i32_e32 v7, v7
	v_and_b32_e32 v9, 0x7fffffff, v7
	s_delay_alu instid0(VALU_DEP_1)
	v_cmpx_gt_u32_e32 0x47800000, v9
	s_cbranch_execz .LBB47_759
; %bb.754:
	v_cmp_lt_u32_e32 vcc_lo, 0x37ffffff, v9
	s_mov_b32 s23, 0
                                        ; implicit-def: $vgpr9
	s_and_saveexec_b32 s41, vcc_lo
	s_delay_alu instid0(SALU_CYCLE_1)
	s_xor_b32 s41, exec_lo, s41
	s_cbranch_execz .LBB47_823
; %bb.755:
	v_bfe_u32 v9, v7, 21, 1
	s_mov_b32 s23, exec_lo
	s_delay_alu instid0(VALU_DEP_1) | instskip(NEXT) | instid1(VALU_DEP_1)
	v_add3_u32 v9, v7, v9, 0x88fffff
	v_lshrrev_b32_e32 v9, 21, v9
	s_or_saveexec_b32 s41, s41
                                        ; implicit-def: $sgpr42
	s_delay_alu instid0(SALU_CYCLE_1)
	s_xor_b32 exec_lo, exec_lo, s41
	s_cbranch_execnz .LBB47_824
.LBB47_756:
	s_or_b32 exec_lo, exec_lo, s41
	v_mov_b32_e32 v10, s42
	s_and_saveexec_b32 s41, s23
.LBB47_757:
	v_lshrrev_b32_e32 v7, 24, v7
	s_delay_alu instid0(VALU_DEP_1)
	v_and_or_b32 v10, 0x80, v7, v9
.LBB47_758:
	s_or_b32 exec_lo, exec_lo, s41
.LBB47_759:
	s_delay_alu instid0(SALU_CYCLE_1)
	s_or_b32 exec_lo, exec_lo, s22
	s_mov_b32 s22, 0
	global_store_b8 v[1:2], v10, off
.LBB47_760:
	s_and_b32 vcc_lo, exec_lo, s22
	s_cbranch_vccz .LBB47_770
; %bb.761:
	v_bfe_i32 v7, v3, 0, 16
	s_mov_b32 s22, exec_lo
                                        ; implicit-def: $vgpr9
	s_delay_alu instid0(VALU_DEP_1) | instskip(NEXT) | instid1(VALU_DEP_1)
	v_cvt_f32_i32_e32 v7, v7
	v_and_b32_e32 v10, 0x7fffffff, v7
	s_delay_alu instid0(VALU_DEP_1)
	v_cmpx_gt_u32_e32 0x43f00000, v10
	s_xor_b32 s22, exec_lo, s22
	s_cbranch_execz .LBB47_767
; %bb.762:
	s_mov_b32 s23, exec_lo
                                        ; implicit-def: $vgpr9
	v_cmpx_lt_u32_e32 0x3c7fffff, v10
	s_xor_b32 s23, exec_lo, s23
; %bb.763:
	v_bfe_u32 v9, v7, 20, 1
	s_delay_alu instid0(VALU_DEP_1) | instskip(NEXT) | instid1(VALU_DEP_1)
	v_add3_u32 v9, v7, v9, 0x407ffff
	v_and_b32_e32 v10, 0xff00000, v9
	v_lshrrev_b32_e32 v9, 20, v9
	s_delay_alu instid0(VALU_DEP_2) | instskip(NEXT) | instid1(VALU_DEP_2)
	v_cmp_ne_u32_e32 vcc_lo, 0x7f00000, v10
	v_cndmask_b32_e32 v9, 0x7e, v9, vcc_lo
; %bb.764:
	s_and_not1_saveexec_b32 s23, s23
; %bb.765:
	v_add_f32_e64 v9, 0x46800000, |v7|
; %bb.766:
	s_or_b32 exec_lo, exec_lo, s23
                                        ; implicit-def: $vgpr10
.LBB47_767:
	s_and_not1_saveexec_b32 s22, s22
; %bb.768:
	v_mov_b32_e32 v9, 0x7f
	v_cmp_lt_u32_e32 vcc_lo, 0x7f800000, v10
	s_delay_alu instid0(VALU_DEP_2)
	v_cndmask_b32_e32 v9, 0x7e, v9, vcc_lo
; %bb.769:
	s_or_b32 exec_lo, exec_lo, s22
	v_lshrrev_b32_e32 v7, 24, v7
	s_delay_alu instid0(VALU_DEP_1)
	v_and_or_b32 v7, 0x80, v7, v9
	global_store_b8 v[1:2], v7, off
.LBB47_770:
	s_mov_b32 s22, 0
.LBB47_771:
	s_delay_alu instid0(SALU_CYCLE_1)
	s_and_not1_b32 vcc_lo, exec_lo, s22
	s_cbranch_vccnz .LBB47_781
; %bb.772:
	v_bfe_i32 v7, v3, 0, 16
	s_mov_b32 s22, exec_lo
                                        ; implicit-def: $vgpr9
	s_delay_alu instid0(VALU_DEP_1) | instskip(NEXT) | instid1(VALU_DEP_1)
	v_cvt_f32_i32_e32 v7, v7
	v_and_b32_e32 v10, 0x7fffffff, v7
	s_delay_alu instid0(VALU_DEP_1)
	v_cmpx_gt_u32_e32 0x47800000, v10
	s_xor_b32 s22, exec_lo, s22
	s_cbranch_execz .LBB47_778
; %bb.773:
	s_mov_b32 s23, exec_lo
                                        ; implicit-def: $vgpr9
	v_cmpx_lt_u32_e32 0x387fffff, v10
	s_xor_b32 s23, exec_lo, s23
; %bb.774:
	v_bfe_u32 v9, v7, 21, 1
	s_delay_alu instid0(VALU_DEP_1) | instskip(NEXT) | instid1(VALU_DEP_1)
	v_add3_u32 v9, v7, v9, 0x80fffff
	v_lshrrev_b32_e32 v9, 21, v9
; %bb.775:
	s_and_not1_saveexec_b32 s23, s23
; %bb.776:
	v_add_f32_e64 v9, 0x43000000, |v7|
; %bb.777:
	s_or_b32 exec_lo, exec_lo, s23
                                        ; implicit-def: $vgpr10
.LBB47_778:
	s_and_not1_saveexec_b32 s22, s22
; %bb.779:
	v_mov_b32_e32 v9, 0x7f
	v_cmp_lt_u32_e32 vcc_lo, 0x7f800000, v10
	s_delay_alu instid0(VALU_DEP_2)
	v_cndmask_b32_e32 v9, 0x7c, v9, vcc_lo
; %bb.780:
	s_or_b32 exec_lo, exec_lo, s22
	v_lshrrev_b32_e32 v7, 24, v7
	s_delay_alu instid0(VALU_DEP_1)
	v_and_or_b32 v7, 0x80, v7, v9
	global_store_b8 v[1:2], v7, off
.LBB47_781:
	s_mov_b32 s23, 0
	s_mov_b32 s22, -1
.LBB47_782:
	s_and_not1_b32 vcc_lo, exec_lo, s23
	s_cbranch_vccnz .LBB47_790
; %bb.783:
	v_cmp_lt_i16_e32 vcc_lo, 14, v4
	s_mov_b32 s23, -1
	s_cbranch_vccz .LBB47_787
; %bb.784:
	v_cmp_eq_u16_e32 vcc_lo, 15, v4
	s_mov_b32 s2, -1
	s_cbranch_vccz .LBB47_786
; %bb.785:
	v_bfe_i32 v7, v3, 0, 16
	s_mov_b32 s22, -1
	s_mov_b32 s2, 0
	s_delay_alu instid0(VALU_DEP_1) | instskip(NEXT) | instid1(VALU_DEP_1)
	v_cvt_f32_i32_e32 v7, v7
	v_bfe_u32 v9, v7, 16, 1
	s_delay_alu instid0(VALU_DEP_1)
	v_add3_u32 v7, v7, v9, 0x7fff
	global_store_d16_hi_b16 v[1:2], v7, off
.LBB47_786:
	s_mov_b32 s23, 0
.LBB47_787:
	s_delay_alu instid0(SALU_CYCLE_1)
	s_and_b32 vcc_lo, exec_lo, s23
	s_cbranch_vccz .LBB47_790
; %bb.788:
	v_cmp_eq_u16_e32 vcc_lo, 11, v4
	s_mov_b32 s2, -1
	s_cbranch_vccz .LBB47_790
; %bb.789:
	v_cmp_ne_u16_e32 vcc_lo, -1, v0
	s_mov_b32 s22, -1
	s_mov_b32 s2, 0
	v_cndmask_b32_e64 v0, 0, 1, vcc_lo
	global_store_b8 v[1:2], v0, off
.LBB47_790:
.LBB47_791:
	s_and_not1_b32 vcc_lo, exec_lo, s22
	s_cbranch_vccnz .LBB47_716
.LBB47_792:
	v_add_nc_u32_e32 v8, 0x80, v8
	s_mov_b32 s41, -1
.LBB47_793:
	s_and_not1_b32 s22, s38, exec_lo
	s_and_b32 s2, s2, exec_lo
	s_and_not1_b32 s42, s37, exec_lo
	s_and_b32 s3, s3, exec_lo
	s_or_b32 s23, s22, s2
	s_or_b32 s22, s42, s3
	s_or_not1_b32 s42, s41, exec_lo
.LBB47_794:
	s_or_b32 exec_lo, exec_lo, s40
	s_mov_b32 s2, 0
	s_mov_b32 s3, 0
	;; [unrolled: 1-line block ×3, first 2 shown]
                                        ; implicit-def: $vgpr3_vgpr4
                                        ; implicit-def: $vgpr2
                                        ; implicit-def: $vgpr0
	s_and_saveexec_b32 s40, s42
	s_cbranch_execz .LBB47_888
; %bb.795:
	v_cmp_gt_i32_e32 vcc_lo, s30, v8
	s_mov_b32 s43, s22
	s_mov_b32 s42, 0
                                        ; implicit-def: $vgpr3_vgpr4
                                        ; implicit-def: $vgpr2
                                        ; implicit-def: $vgpr0
	s_and_saveexec_b32 s30, vcc_lo
	s_cbranch_execz .LBB47_887
; %bb.796:
	s_and_not1_b32 vcc_lo, exec_lo, s27
	s_cbranch_vccnz .LBB47_801
; %bb.797:
	v_mov_b32_e32 v2, 0
	s_waitcnt vmcnt(0)
	v_mov_b32_e32 v0, 0
	s_and_not1_b32 vcc_lo, exec_lo, s33
	s_mov_b32 s33, 0
	s_cbranch_vccnz .LBB47_806
; %bb.798:
	v_mov_b32_e32 v2, 0
	s_add_i32 s41, s31, 1
	s_cmp_eq_u32 s25, 2
	s_mov_b32 s31, 0
	s_cbranch_scc1 .LBB47_802
; %bb.799:
	v_dual_mov_b32 v0, 0 :: v_dual_mov_b32 v1, v8
	v_mov_b32_e32 v2, 0
	s_and_b32 s31, s41, 28
	s_mov_b64 s[2:3], s[16:17]
.LBB47_800:                             ; =>This Inner Loop Header: Depth=1
	s_clause 0x1
	s_load_b256 s[44:51], s[2:3], 0x4
	s_load_b128 s[60:63], s[2:3], 0x24
	s_load_b256 s[52:59], s[20:21], 0x0
	s_add_u32 s2, s2, 48
	s_addc_u32 s3, s3, 0
	s_add_i32 s42, s42, 4
	s_add_u32 s20, s20, 32
	s_addc_u32 s21, s21, 0
	s_cmp_eq_u32 s31, s42
	s_waitcnt lgkmcnt(0)
	v_mul_hi_u32 v3, s45, v1
	s_delay_alu instid0(VALU_DEP_1) | instskip(NEXT) | instid1(VALU_DEP_1)
	v_add_nc_u32_e32 v3, v1, v3
	v_lshrrev_b32_e32 v3, s46, v3
	s_delay_alu instid0(VALU_DEP_1) | instskip(SKIP_1) | instid1(VALU_DEP_2)
	v_mul_hi_u32 v4, s48, v3
	v_mul_lo_u32 v9, v3, s44
	v_add_nc_u32_e32 v4, v3, v4
	s_delay_alu instid0(VALU_DEP_2) | instskip(NEXT) | instid1(VALU_DEP_2)
	v_sub_nc_u32_e32 v1, v1, v9
	v_lshrrev_b32_e32 v4, s49, v4
	s_delay_alu instid0(VALU_DEP_2) | instskip(SKIP_1) | instid1(VALU_DEP_3)
	v_mul_lo_u32 v9, v1, s52
	v_mul_lo_u32 v11, v1, s53
	v_mul_hi_u32 v7, s51, v4
	s_delay_alu instid0(VALU_DEP_1) | instskip(NEXT) | instid1(VALU_DEP_1)
	v_add_nc_u32_e32 v7, v4, v7
	v_lshrrev_b32_e32 v7, s60, v7
	s_delay_alu instid0(VALU_DEP_1) | instskip(SKIP_1) | instid1(VALU_DEP_2)
	v_mul_hi_u32 v10, s62, v7
	v_mul_lo_u32 v12, v7, s50
	v_add_nc_u32_e32 v1, v7, v10
	v_mul_lo_u32 v10, v4, s47
	s_delay_alu instid0(VALU_DEP_3) | instskip(NEXT) | instid1(VALU_DEP_3)
	v_sub_nc_u32_e32 v4, v4, v12
	v_lshrrev_b32_e32 v1, s63, v1
	s_delay_alu instid0(VALU_DEP_2) | instskip(SKIP_2) | instid1(VALU_DEP_4)
	v_mul_lo_u32 v12, v4, s56
	v_mul_lo_u32 v4, v4, s57
	v_sub_nc_u32_e32 v3, v3, v10
	v_mul_lo_u32 v13, v1, s61
	s_delay_alu instid0(VALU_DEP_2) | instskip(SKIP_1) | instid1(VALU_DEP_3)
	v_mul_lo_u32 v10, v3, s54
	v_mul_lo_u32 v3, v3, s55
	v_sub_nc_u32_e32 v7, v7, v13
	s_delay_alu instid0(VALU_DEP_3) | instskip(NEXT) | instid1(VALU_DEP_2)
	v_add3_u32 v2, v9, v2, v10
	v_mul_lo_u32 v13, v7, s58
	v_mul_lo_u32 v7, v7, s59
	v_add3_u32 v0, v11, v0, v3
	s_delay_alu instid0(VALU_DEP_3) | instskip(NEXT) | instid1(VALU_DEP_2)
	v_add3_u32 v2, v12, v2, v13
	v_add3_u32 v0, v4, v0, v7
	s_cbranch_scc0 .LBB47_800
	s_branch .LBB47_803
.LBB47_801:
	s_mov_b32 s33, -1
                                        ; implicit-def: $vgpr2
                                        ; implicit-def: $vgpr0
	s_branch .LBB47_806
.LBB47_802:
	v_dual_mov_b32 v1, v8 :: v_dual_mov_b32 v0, 0
.LBB47_803:
	s_and_b32 s41, s41, 3
	s_delay_alu instid0(SALU_CYCLE_1)
	s_cmp_eq_u32 s41, 0
	s_cbranch_scc1 .LBB47_806
; %bb.804:
	s_lshl_b32 s2, s31, 3
	s_mul_i32 s20, s31, 12
	s_add_u32 s2, s2, s16
	s_addc_u32 s3, s17, 0
	s_add_u32 s2, s2, 0xc4
	s_addc_u32 s3, s3, 0
	;; [unrolled: 2-line block ×3, first 2 shown]
.LBB47_805:                             ; =>This Inner Loop Header: Depth=1
	s_clause 0x1
	s_load_b64 s[42:43], s[20:21], 0x4
	s_load_b32 s31, s[20:21], 0xc
	s_load_b64 s[44:45], s[2:3], 0x0
	s_add_u32 s20, s20, 12
	s_addc_u32 s21, s21, 0
	s_add_u32 s2, s2, 8
	s_addc_u32 s3, s3, 0
	s_add_i32 s41, s41, -1
	s_delay_alu instid0(SALU_CYCLE_1) | instskip(SKIP_2) | instid1(VALU_DEP_1)
	s_cmp_lg_u32 s41, 0
	s_waitcnt lgkmcnt(0)
	v_mul_hi_u32 v3, s43, v1
	v_add_nc_u32_e32 v3, v1, v3
	s_delay_alu instid0(VALU_DEP_1) | instskip(NEXT) | instid1(VALU_DEP_1)
	v_lshrrev_b32_e32 v7, s31, v3
	v_mul_lo_u32 v3, v7, s42
	s_delay_alu instid0(VALU_DEP_1) | instskip(NEXT) | instid1(VALU_DEP_1)
	v_sub_nc_u32_e32 v1, v1, v3
	v_mad_u64_u32 v[3:4], null, v1, s44, v[2:3]
	v_mad_u64_u32 v[9:10], null, v1, s45, v[0:1]
	v_mov_b32_e32 v1, v7
	s_delay_alu instid0(VALU_DEP_3) | instskip(NEXT) | instid1(VALU_DEP_3)
	v_mov_b32_e32 v2, v3
	v_mov_b32_e32 v0, v9
	s_cbranch_scc1 .LBB47_805
.LBB47_806:
	s_and_not1_b32 vcc_lo, exec_lo, s33
	s_cbranch_vccnz .LBB47_809
; %bb.807:
	s_waitcnt vmcnt(0) lgkmcnt(0)
	v_mul_hi_u32 v0, s13, v8
	s_and_not1_b32 vcc_lo, exec_lo, s29
	s_delay_alu instid0(VALU_DEP_1) | instskip(NEXT) | instid1(VALU_DEP_1)
	v_add_nc_u32_e32 v0, v8, v0
	v_lshrrev_b32_e32 v1, s14, v0
	s_delay_alu instid0(VALU_DEP_1) | instskip(NEXT) | instid1(VALU_DEP_1)
	v_mul_lo_u32 v0, v1, s12
	v_sub_nc_u32_e32 v0, v8, v0
	s_delay_alu instid0(VALU_DEP_1)
	v_mul_lo_u32 v2, v0, s8
	v_mul_lo_u32 v0, v0, s9
	s_cbranch_vccnz .LBB47_809
; %bb.808:
	v_mul_hi_u32 v3, s18, v1
	s_delay_alu instid0(VALU_DEP_1) | instskip(NEXT) | instid1(VALU_DEP_1)
	v_add_nc_u32_e32 v3, v1, v3
	v_lshrrev_b32_e32 v3, s19, v3
	s_delay_alu instid0(VALU_DEP_1) | instskip(NEXT) | instid1(VALU_DEP_1)
	v_mul_lo_u32 v3, v3, s15
	v_sub_nc_u32_e32 v7, v1, v3
	s_delay_alu instid0(VALU_DEP_1) | instskip(SKIP_1) | instid1(VALU_DEP_2)
	v_mad_u64_u32 v[3:4], null, v7, s10, v[2:3]
	v_mad_u64_u32 v[1:2], null, v7, s11, v[0:1]
	v_mov_b32_e32 v2, v3
	s_delay_alu instid0(VALU_DEP_2)
	v_mov_b32_e32 v0, v1
.LBB47_809:
	v_cmp_gt_i16_e32 vcc_lo, 11, v6
	s_waitcnt vmcnt(0) lgkmcnt(0)
	s_delay_alu instid0(VALU_DEP_2) | instskip(NEXT) | instid1(VALU_DEP_1)
	v_add_co_u32 v3, s2, s6, v0
	v_add_co_ci_u32_e64 v4, null, s7, 0, s2
	s_mov_b32 s6, 0
	s_cbranch_vccnz .LBB47_816
; %bb.810:
	v_cmp_lt_i16_e32 vcc_lo, 25, v6
	s_mov_b32 s3, 0
	s_cbranch_vccz .LBB47_817
; %bb.811:
	v_cmp_lt_i16_e32 vcc_lo, 28, v6
	s_cbranch_vccz .LBB47_818
; %bb.812:
	v_cmp_lt_i16_e32 vcc_lo, 43, v6
	s_cbranch_vccz .LBB47_819
; %bb.813:
	v_cmp_lt_i16_e32 vcc_lo, 45, v6
	s_cbranch_vccz .LBB47_822
; %bb.814:
	v_cmp_eq_u16_e32 vcc_lo, 46, v6
	s_mov_b32 s7, 0
	s_cbranch_vccz .LBB47_825
; %bb.815:
	global_load_b32 v0, v[3:4], off
	s_mov_b32 s2, 0
	s_mov_b32 s6, -1
	s_waitcnt vmcnt(0)
	v_lshlrev_b32_e32 v0, 16, v0
	s_delay_alu instid0(VALU_DEP_1)
	v_cvt_i32_f32_e32 v0, v0
	s_branch .LBB47_827
.LBB47_816:
	s_mov_b32 s7, -1
	s_mov_b32 s3, 0
	s_mov_b32 s2, s22
                                        ; implicit-def: $vgpr0
	s_branch .LBB47_886
.LBB47_817:
	s_mov_b32 s7, -1
	s_mov_b32 s2, s22
                                        ; implicit-def: $vgpr0
	s_branch .LBB47_854
.LBB47_818:
	s_mov_b32 s7, -1
	s_mov_b32 s2, s22
                                        ; implicit-def: $vgpr0
	s_branch .LBB47_837
.LBB47_819:
	s_mov_b32 s7, -1
	s_mov_b32 s2, s22
                                        ; implicit-def: $vgpr0
	s_branch .LBB47_832
.LBB47_820:
	s_or_saveexec_b32 s41, s41
                                        ; implicit-def: $sgpr42
	s_delay_alu instid0(SALU_CYCLE_1)
	s_xor_b32 exec_lo, exec_lo, s41
	s_cbranch_execz .LBB47_743
.LBB47_821:
	v_add_f32_e64 v9, 0x46000000, |v7|
	s_and_not1_b32 s23, s23, exec_lo
	s_mov_b32 s42, 0
	s_delay_alu instid0(VALU_DEP_1) | instskip(NEXT) | instid1(VALU_DEP_1)
	v_and_b32_e32 v9, 0xff, v9
	v_cmp_ne_u32_e32 vcc_lo, 0, v9
	s_and_b32 s43, vcc_lo, exec_lo
	s_delay_alu instid0(SALU_CYCLE_1)
	s_or_b32 s23, s23, s43
	s_or_b32 exec_lo, exec_lo, s41
	v_mov_b32_e32 v10, s42
	s_and_saveexec_b32 s41, s23
	s_cbranch_execnz .LBB47_744
	s_branch .LBB47_745
.LBB47_822:
	s_mov_b32 s7, -1
	s_mov_b32 s2, s22
	s_branch .LBB47_826
.LBB47_823:
	s_or_saveexec_b32 s41, s41
                                        ; implicit-def: $sgpr42
	s_delay_alu instid0(SALU_CYCLE_1)
	s_xor_b32 exec_lo, exec_lo, s41
	s_cbranch_execz .LBB47_756
.LBB47_824:
	v_add_f32_e64 v9, 0x42800000, |v7|
	s_and_not1_b32 s23, s23, exec_lo
	s_mov_b32 s42, 0
	s_delay_alu instid0(VALU_DEP_1) | instskip(NEXT) | instid1(VALU_DEP_1)
	v_and_b32_e32 v9, 0xff, v9
	v_cmp_ne_u32_e32 vcc_lo, 0, v9
	s_and_b32 s43, vcc_lo, exec_lo
	s_delay_alu instid0(SALU_CYCLE_1)
	s_or_b32 s23, s23, s43
	s_or_b32 exec_lo, exec_lo, s41
	v_mov_b32_e32 v10, s42
	s_and_saveexec_b32 s41, s23
	s_cbranch_execnz .LBB47_757
	s_branch .LBB47_758
.LBB47_825:
	s_mov_b32 s2, -1
.LBB47_826:
                                        ; implicit-def: $vgpr0
.LBB47_827:
	s_and_b32 vcc_lo, exec_lo, s7
	s_cbranch_vccz .LBB47_831
; %bb.828:
	v_cmp_eq_u16_e32 vcc_lo, 44, v6
	s_cbranch_vccz .LBB47_830
; %bb.829:
	global_load_u8 v0, v[3:4], off
	s_mov_b32 s2, 0
	s_mov_b32 s6, -1
	s_waitcnt vmcnt(0)
	v_lshlrev_b32_e32 v1, 23, v0
	v_cmp_ne_u32_e32 vcc_lo, 0, v0
	s_delay_alu instid0(VALU_DEP_2) | instskip(NEXT) | instid1(VALU_DEP_1)
	v_cvt_i32_f32_e32 v1, v1
	v_cndmask_b32_e32 v0, 0, v1, vcc_lo
	s_branch .LBB47_831
.LBB47_830:
	s_mov_b32 s2, -1
                                        ; implicit-def: $vgpr0
.LBB47_831:
	s_mov_b32 s7, 0
.LBB47_832:
	s_delay_alu instid0(SALU_CYCLE_1)
	s_and_b32 vcc_lo, exec_lo, s7
	s_cbranch_vccz .LBB47_836
; %bb.833:
	v_cmp_eq_u16_e32 vcc_lo, 29, v6
	s_cbranch_vccz .LBB47_835
; %bb.834:
	global_load_b64 v[0:1], v[3:4], off
	s_mov_b32 s2, 0
	s_mov_b32 s6, -1
	s_branch .LBB47_836
.LBB47_835:
	s_mov_b32 s2, -1
                                        ; implicit-def: $vgpr0
.LBB47_836:
	s_mov_b32 s7, 0
.LBB47_837:
	s_delay_alu instid0(SALU_CYCLE_1)
	s_and_b32 vcc_lo, exec_lo, s7
	s_cbranch_vccz .LBB47_853
; %bb.838:
	v_cmp_gt_i16_e32 vcc_lo, 27, v6
	s_cbranch_vccnz .LBB47_841
; %bb.839:
	v_cmp_lt_i16_e32 vcc_lo, 27, v6
	s_cbranch_vccz .LBB47_842
; %bb.840:
	global_load_b32 v0, v[3:4], off
	s_mov_b32 s6, 0
	s_branch .LBB47_843
.LBB47_841:
	s_mov_b32 s6, -1
                                        ; implicit-def: $vgpr0
	s_branch .LBB47_846
.LBB47_842:
	s_mov_b32 s6, -1
                                        ; implicit-def: $vgpr0
.LBB47_843:
	s_delay_alu instid0(SALU_CYCLE_1)
	s_and_not1_b32 vcc_lo, exec_lo, s6
	s_cbranch_vccnz .LBB47_845
; %bb.844:
	global_load_u16 v0, v[3:4], off
.LBB47_845:
	s_mov_b32 s6, 0
.LBB47_846:
	s_delay_alu instid0(SALU_CYCLE_1)
	s_and_not1_b32 vcc_lo, exec_lo, s6
	s_cbranch_vccnz .LBB47_852
; %bb.847:
	global_load_u8 v1, v[3:4], off
	s_mov_b32 s6, 0
	s_mov_b32 s7, exec_lo
                                        ; implicit-def: $sgpr8
	s_waitcnt vmcnt(0)
	v_cmpx_lt_i16_e32 0x7f, v1
	s_xor_b32 s7, exec_lo, s7
	s_cbranch_execz .LBB47_864
; %bb.848:
	v_cmp_ne_u16_e32 vcc_lo, 0x80, v1
	s_mov_b32 s8, 0
	s_and_b32 s6, vcc_lo, exec_lo
	s_or_saveexec_b32 s7, s7
	v_mov_b32_e32 v0, s8
	s_xor_b32 exec_lo, exec_lo, s7
	s_cbranch_execnz .LBB47_865
.LBB47_849:
	s_or_b32 exec_lo, exec_lo, s7
	s_and_saveexec_b32 s7, s6
	s_cbranch_execz .LBB47_851
.LBB47_850:
	v_and_b32_e32 v0, 0xffff, v1
	v_lshlrev_b32_e32 v1, 24, v1
	s_delay_alu instid0(VALU_DEP_2) | instskip(NEXT) | instid1(VALU_DEP_2)
	v_and_b32_e32 v7, 7, v0
	v_and_b32_e32 v1, 0x80000000, v1
	s_delay_alu instid0(VALU_DEP_2) | instskip(NEXT) | instid1(VALU_DEP_1)
	v_clz_i32_u32_e32 v8, v7
	v_min_u32_e32 v8, 32, v8
	s_delay_alu instid0(VALU_DEP_1) | instskip(SKIP_1) | instid1(VALU_DEP_2)
	v_subrev_nc_u32_e32 v9, 28, v8
	v_sub_nc_u32_e32 v8, 29, v8
	v_lshlrev_b32_e32 v9, v9, v0
	v_bfe_u32 v0, v0, 3, 4
	s_delay_alu instid0(VALU_DEP_1) | instskip(NEXT) | instid1(VALU_DEP_3)
	v_cmp_eq_u32_e32 vcc_lo, 0, v0
	v_dual_cndmask_b32 v0, v0, v8 :: v_dual_and_b32 v9, 7, v9
	s_delay_alu instid0(VALU_DEP_1) | instskip(NEXT) | instid1(VALU_DEP_2)
	v_cndmask_b32_e32 v7, v7, v9, vcc_lo
	v_lshl_add_u32 v0, v0, 23, 0x3b800000
	s_delay_alu instid0(VALU_DEP_2) | instskip(NEXT) | instid1(VALU_DEP_1)
	v_lshlrev_b32_e32 v7, 20, v7
	v_or3_b32 v0, v1, v0, v7
	s_delay_alu instid0(VALU_DEP_1)
	v_cvt_i32_f32_e32 v0, v0
.LBB47_851:
	s_or_b32 exec_lo, exec_lo, s7
.LBB47_852:
	s_mov_b32 s6, -1
.LBB47_853:
	s_mov_b32 s7, 0
.LBB47_854:
	s_delay_alu instid0(SALU_CYCLE_1)
	s_and_b32 vcc_lo, exec_lo, s7
	s_cbranch_vccz .LBB47_885
; %bb.855:
	v_cmp_lt_i16_e32 vcc_lo, 22, v6
	s_cbranch_vccz .LBB47_863
; %bb.856:
	v_cmp_gt_i16_e32 vcc_lo, 24, v6
	s_cbranch_vccnz .LBB47_866
; %bb.857:
	v_cmp_lt_i16_e32 vcc_lo, 24, v6
	s_cbranch_vccz .LBB47_867
; %bb.858:
	global_load_u8 v1, v[3:4], off
	s_mov_b32 s6, exec_lo
                                        ; implicit-def: $sgpr7
	s_waitcnt vmcnt(0)
	v_cmpx_lt_i16_e32 0x7f, v1
	s_xor_b32 s6, exec_lo, s6
	s_cbranch_execz .LBB47_879
; %bb.859:
	v_cmp_ne_u16_e32 vcc_lo, 0x80, v1
	s_mov_b32 s7, 0
	s_and_b32 s3, vcc_lo, exec_lo
	s_or_saveexec_b32 s6, s6
	v_mov_b32_e32 v0, s7
	s_xor_b32 exec_lo, exec_lo, s6
	s_cbranch_execnz .LBB47_880
.LBB47_860:
	s_or_b32 exec_lo, exec_lo, s6
	s_and_saveexec_b32 s6, s3
	s_cbranch_execz .LBB47_862
.LBB47_861:
	v_and_b32_e32 v0, 0xffff, v1
	v_lshlrev_b32_e32 v1, 24, v1
	s_delay_alu instid0(VALU_DEP_2) | instskip(NEXT) | instid1(VALU_DEP_2)
	v_and_b32_e32 v7, 3, v0
	v_and_b32_e32 v1, 0x80000000, v1
	s_delay_alu instid0(VALU_DEP_2) | instskip(NEXT) | instid1(VALU_DEP_1)
	v_clz_i32_u32_e32 v8, v7
	v_min_u32_e32 v8, 32, v8
	s_delay_alu instid0(VALU_DEP_1) | instskip(SKIP_1) | instid1(VALU_DEP_2)
	v_subrev_nc_u32_e32 v9, 29, v8
	v_sub_nc_u32_e32 v8, 30, v8
	v_lshlrev_b32_e32 v9, v9, v0
	v_bfe_u32 v0, v0, 2, 5
	s_delay_alu instid0(VALU_DEP_1) | instskip(NEXT) | instid1(VALU_DEP_3)
	v_cmp_eq_u32_e32 vcc_lo, 0, v0
	v_dual_cndmask_b32 v0, v0, v8 :: v_dual_and_b32 v9, 3, v9
	s_delay_alu instid0(VALU_DEP_1) | instskip(NEXT) | instid1(VALU_DEP_2)
	v_cndmask_b32_e32 v7, v7, v9, vcc_lo
	v_lshl_add_u32 v0, v0, 23, 0x37800000
	s_delay_alu instid0(VALU_DEP_2) | instskip(NEXT) | instid1(VALU_DEP_1)
	v_lshlrev_b32_e32 v7, 21, v7
	v_or3_b32 v0, v1, v0, v7
	s_delay_alu instid0(VALU_DEP_1)
	v_cvt_i32_f32_e32 v0, v0
.LBB47_862:
	s_or_b32 exec_lo, exec_lo, s6
	s_mov_b32 s3, 0
	s_branch .LBB47_868
.LBB47_863:
	s_mov_b32 s3, -1
                                        ; implicit-def: $vgpr0
	s_branch .LBB47_874
.LBB47_864:
	s_or_saveexec_b32 s7, s7
	v_mov_b32_e32 v0, s8
	s_xor_b32 exec_lo, exec_lo, s7
	s_cbranch_execz .LBB47_849
.LBB47_865:
	v_cmp_ne_u16_e32 vcc_lo, 0, v1
	v_mov_b32_e32 v0, 0
	s_and_not1_b32 s6, s6, exec_lo
	s_and_b32 s8, vcc_lo, exec_lo
	s_delay_alu instid0(SALU_CYCLE_1)
	s_or_b32 s6, s6, s8
	s_or_b32 exec_lo, exec_lo, s7
	s_and_saveexec_b32 s7, s6
	s_cbranch_execnz .LBB47_850
	s_branch .LBB47_851
.LBB47_866:
	s_mov_b32 s3, -1
                                        ; implicit-def: $vgpr0
	s_branch .LBB47_871
.LBB47_867:
	s_mov_b32 s3, -1
                                        ; implicit-def: $vgpr0
.LBB47_868:
	s_delay_alu instid0(SALU_CYCLE_1)
	s_and_b32 vcc_lo, exec_lo, s3
	s_cbranch_vccz .LBB47_870
; %bb.869:
	global_load_u8 v0, v[3:4], off
	s_waitcnt vmcnt(0)
	v_lshlrev_b32_e32 v0, 24, v0
	s_delay_alu instid0(VALU_DEP_1) | instskip(NEXT) | instid1(VALU_DEP_1)
	v_and_b32_e32 v1, 0x7f000000, v0
	v_clz_i32_u32_e32 v7, v1
	v_add_nc_u32_e32 v9, 0x1000000, v1
	v_cmp_ne_u32_e32 vcc_lo, 0, v1
	s_delay_alu instid0(VALU_DEP_3) | instskip(NEXT) | instid1(VALU_DEP_1)
	v_min_u32_e32 v7, 32, v7
	v_sub_nc_u32_e64 v7, v7, 4 clamp
	s_delay_alu instid0(VALU_DEP_1) | instskip(SKIP_1) | instid1(VALU_DEP_2)
	v_lshlrev_b32_e32 v8, v7, v1
	v_lshlrev_b32_e32 v7, 23, v7
	v_lshrrev_b32_e32 v8, 4, v8
	s_delay_alu instid0(VALU_DEP_1) | instskip(SKIP_1) | instid1(VALU_DEP_2)
	v_sub_nc_u32_e32 v7, v8, v7
	v_ashrrev_i32_e32 v8, 8, v9
	v_add_nc_u32_e32 v7, 0x3c000000, v7
	s_delay_alu instid0(VALU_DEP_1) | instskip(NEXT) | instid1(VALU_DEP_1)
	v_and_or_b32 v7, 0x7f800000, v8, v7
	v_cndmask_b32_e32 v1, 0, v7, vcc_lo
	s_delay_alu instid0(VALU_DEP_1) | instskip(NEXT) | instid1(VALU_DEP_1)
	v_and_or_b32 v0, 0x80000000, v0, v1
	v_cvt_i32_f32_e32 v0, v0
.LBB47_870:
	s_mov_b32 s3, 0
.LBB47_871:
	s_delay_alu instid0(SALU_CYCLE_1)
	s_and_not1_b32 vcc_lo, exec_lo, s3
	s_cbranch_vccnz .LBB47_873
; %bb.872:
	global_load_u8 v0, v[3:4], off
	s_waitcnt vmcnt(0)
	v_lshlrev_b32_e32 v1, 25, v0
	v_lshlrev_b16 v0, 8, v0
	s_delay_alu instid0(VALU_DEP_2) | instskip(NEXT) | instid1(VALU_DEP_2)
	v_lshrrev_b32_e32 v7, 4, v1
	v_and_or_b32 v8, 0x7f00, v0, 0.5
	v_cmp_gt_u32_e32 vcc_lo, 0x8000000, v1
	v_bfe_i32 v0, v0, 0, 16
	s_delay_alu instid0(VALU_DEP_4) | instskip(NEXT) | instid1(VALU_DEP_1)
	v_or_b32_e32 v7, 0x70000000, v7
	v_dual_add_f32 v8, -0.5, v8 :: v_dual_mul_f32 v7, 0x7800000, v7
	s_delay_alu instid0(VALU_DEP_1) | instskip(NEXT) | instid1(VALU_DEP_1)
	v_cndmask_b32_e32 v1, v7, v8, vcc_lo
	v_and_or_b32 v0, 0x80000000, v0, v1
	s_delay_alu instid0(VALU_DEP_1)
	v_cvt_i32_f32_e32 v0, v0
.LBB47_873:
	s_mov_b32 s3, 0
	s_mov_b32 s6, -1
.LBB47_874:
	s_and_not1_b32 vcc_lo, exec_lo, s3
	s_mov_b32 s3, 0
	s_cbranch_vccnz .LBB47_885
; %bb.875:
	v_cmp_lt_i16_e32 vcc_lo, 14, v6
	s_cbranch_vccz .LBB47_878
; %bb.876:
	v_cmp_eq_u16_e32 vcc_lo, 15, v6
	s_cbranch_vccz .LBB47_881
; %bb.877:
	global_load_u16 v0, v[3:4], off
	s_mov_b32 s2, 0
	s_mov_b32 s6, -1
	s_waitcnt vmcnt(0)
	v_lshlrev_b32_e32 v0, 16, v0
	s_delay_alu instid0(VALU_DEP_1)
	v_cvt_i32_f32_e32 v0, v0
	s_branch .LBB47_883
.LBB47_878:
	s_mov_b32 s3, -1
	s_branch .LBB47_882
.LBB47_879:
	s_or_saveexec_b32 s6, s6
	v_mov_b32_e32 v0, s7
	s_xor_b32 exec_lo, exec_lo, s6
	s_cbranch_execz .LBB47_860
.LBB47_880:
	v_cmp_ne_u16_e32 vcc_lo, 0, v1
	v_mov_b32_e32 v0, 0
	s_and_not1_b32 s3, s3, exec_lo
	s_and_b32 s7, vcc_lo, exec_lo
	s_delay_alu instid0(SALU_CYCLE_1)
	s_or_b32 s3, s3, s7
	s_or_b32 exec_lo, exec_lo, s6
	s_and_saveexec_b32 s6, s3
	s_cbranch_execnz .LBB47_861
	s_branch .LBB47_862
.LBB47_881:
	s_mov_b32 s2, -1
.LBB47_882:
                                        ; implicit-def: $vgpr0
.LBB47_883:
	s_and_b32 vcc_lo, exec_lo, s3
	s_mov_b32 s3, 0
	s_cbranch_vccz .LBB47_885
; %bb.884:
	v_cmp_ne_u16_e32 vcc_lo, 11, v6
	s_and_not1_b32 s2, s2, exec_lo
	s_mov_b32 s3, -1
                                        ; implicit-def: $vgpr0
	s_and_b32 s7, vcc_lo, exec_lo
	s_delay_alu instid0(SALU_CYCLE_1)
	s_or_b32 s2, s2, s7
.LBB47_885:
	s_mov_b32 s7, 0
.LBB47_886:
	s_and_b32 s41, s6, exec_lo
	s_and_b32 s42, s7, exec_lo
	s_and_not1_b32 s6, s22, exec_lo
	s_and_b32 s7, s2, exec_lo
	s_and_b32 s2, s3, exec_lo
	s_or_b32 s43, s6, s7
.LBB47_887:
	s_or_b32 exec_lo, exec_lo, s30
	s_waitcnt lgkmcnt(0)
	s_and_not1_b32 s6, s22, exec_lo
	s_and_b32 s7, s43, exec_lo
	s_and_b32 s41, s41, exec_lo
	;; [unrolled: 1-line block ×4, first 2 shown]
	s_or_b32 s22, s6, s7
.LBB47_888:
	s_or_b32 exec_lo, exec_lo, s40
	s_waitcnt lgkmcnt(0)
	s_and_not1_b32 s6, s38, exec_lo
	s_and_b32 s7, s23, exec_lo
	s_and_b32 s40, s41, exec_lo
	s_or_b32 s38, s6, s7
	s_and_not1_b32 s6, s37, exec_lo
	s_and_b32 s7, s22, exec_lo
	s_and_b32 s23, s3, exec_lo
	s_and_b32 s3, s2, exec_lo
	s_or_b32 s37, s6, s7
.LBB47_889:
	s_or_b32 exec_lo, exec_lo, s39
	s_delay_alu instid0(SALU_CYCLE_1)
	s_and_not1_b32 s2, s34, exec_lo
	s_waitcnt lgkmcnt(0)
	s_and_b32 s6, s38, exec_lo
	s_and_b32 s7, s37, exec_lo
	s_or_b32 s34, s2, s6
	s_and_not1_b32 s6, s35, exec_lo
	s_and_b32 s2, s40, exec_lo
	s_and_b32 s22, s23, exec_lo
	s_and_b32 s37, s3, exec_lo
	s_or_b32 s35, s6, s7
.LBB47_890:
	s_or_b32 exec_lo, exec_lo, s36
	s_mov_b32 s3, 0
	s_waitcnt lgkmcnt(0)
	s_and_saveexec_b32 s6, s35
	s_cbranch_execnz .LBB47_902
; %bb.891:
	s_or_b32 exec_lo, exec_lo, s6
	s_and_saveexec_b32 s6, s37
	s_delay_alu instid0(SALU_CYCLE_1)
	s_xor_b32 s6, exec_lo, s6
	s_cbranch_execz .LBB47_893
.LBB47_892:
	global_load_u8 v0, v[3:4], off
	s_or_b32 s2, s2, exec_lo
	s_waitcnt vmcnt(0)
	v_cmp_ne_u16_e32 vcc_lo, 0, v0
	v_cndmask_b32_e64 v0, 0, 1, vcc_lo
.LBB47_893:
	s_or_b32 exec_lo, exec_lo, s6
	s_and_saveexec_b32 s6, s22
	s_cbranch_execz .LBB47_941
; %bb.894:
	v_cmp_gt_i16_e32 vcc_lo, 5, v6
	s_cbranch_vccnz .LBB47_899
; %bb.895:
	v_cmp_gt_i16_e32 vcc_lo, 8, v6
	s_cbranch_vccnz .LBB47_900
	;; [unrolled: 3-line block ×3, first 2 shown]
; %bb.897:
	v_cmp_lt_i16_e32 vcc_lo, 9, v6
	s_cbranch_vccz .LBB47_904
; %bb.898:
	global_load_b64 v[0:1], v[3:4], off
	s_mov_b32 s7, 0
	s_waitcnt vmcnt(0)
	v_cvt_i32_f64_e32 v0, v[0:1]
	s_branch .LBB47_905
.LBB47_899:
                                        ; implicit-def: $vgpr0
	s_branch .LBB47_922
.LBB47_900:
                                        ; implicit-def: $vgpr0
	s_branch .LBB47_911
.LBB47_901:
	s_mov_b32 s7, -1
                                        ; implicit-def: $vgpr0
	s_branch .LBB47_908
.LBB47_902:
	s_cbranch_execnz .LBB47_1172
; %bb.903:
	s_mov_b32 s3, exec_lo
	s_and_not1_b32 s37, s37, exec_lo
                                        ; implicit-def: $vgpr0
	s_or_b32 exec_lo, exec_lo, s6
	s_and_saveexec_b32 s6, s37
	s_delay_alu instid0(SALU_CYCLE_1)
	s_xor_b32 s6, exec_lo, s6
	s_cbranch_execnz .LBB47_892
	s_branch .LBB47_893
.LBB47_904:
	s_mov_b32 s7, -1
                                        ; implicit-def: $vgpr0
.LBB47_905:
	s_delay_alu instid0(SALU_CYCLE_1)
	s_and_not1_b32 vcc_lo, exec_lo, s7
	s_cbranch_vccnz .LBB47_907
; %bb.906:
	global_load_b32 v0, v[3:4], off
	s_waitcnt vmcnt(0)
	v_cvt_i32_f32_e32 v0, v0
.LBB47_907:
	s_mov_b32 s7, 0
.LBB47_908:
	s_delay_alu instid0(SALU_CYCLE_1)
	s_and_not1_b32 vcc_lo, exec_lo, s7
	s_cbranch_vccnz .LBB47_910
; %bb.909:
	global_load_b32 v0, v[3:4], off
	s_waitcnt vmcnt(0)
	v_cvt_i16_f16_e32 v0, v0
.LBB47_910:
	s_cbranch_execnz .LBB47_921
.LBB47_911:
	v_cmp_gt_i16_e32 vcc_lo, 6, v6
	s_cbranch_vccnz .LBB47_914
; %bb.912:
	v_cmp_lt_i16_e32 vcc_lo, 6, v6
	s_cbranch_vccz .LBB47_915
; %bb.913:
	global_load_b64 v[0:1], v[3:4], off
	s_mov_b32 s7, 0
	s_waitcnt vmcnt(0)
	v_cvt_i32_f64_e32 v0, v[0:1]
	s_branch .LBB47_916
.LBB47_914:
	s_mov_b32 s7, -1
                                        ; implicit-def: $vgpr0
	s_branch .LBB47_919
.LBB47_915:
	s_mov_b32 s7, -1
                                        ; implicit-def: $vgpr0
.LBB47_916:
	s_delay_alu instid0(SALU_CYCLE_1)
	s_and_not1_b32 vcc_lo, exec_lo, s7
	s_cbranch_vccnz .LBB47_918
; %bb.917:
	global_load_b32 v0, v[3:4], off
	s_waitcnt vmcnt(0)
	v_cvt_i32_f32_e32 v0, v0
.LBB47_918:
	s_mov_b32 s7, 0
.LBB47_919:
	s_delay_alu instid0(SALU_CYCLE_1)
	s_and_not1_b32 vcc_lo, exec_lo, s7
	s_cbranch_vccnz .LBB47_921
; %bb.920:
	global_load_u16 v0, v[3:4], off
	s_waitcnt vmcnt(0)
	v_cvt_i16_f16_e32 v0, v0
.LBB47_921:
	s_cbranch_execnz .LBB47_940
.LBB47_922:
	v_cmp_gt_i16_e32 vcc_lo, 2, v6
	s_cbranch_vccnz .LBB47_926
; %bb.923:
	v_cmp_gt_i16_e32 vcc_lo, 3, v6
	s_cbranch_vccnz .LBB47_927
; %bb.924:
	v_cmp_lt_i16_e32 vcc_lo, 3, v6
	s_cbranch_vccz .LBB47_928
; %bb.925:
	global_load_b64 v[0:1], v[3:4], off
	s_mov_b32 s7, 0
	s_branch .LBB47_929
.LBB47_926:
                                        ; implicit-def: $vgpr0
	s_branch .LBB47_935
.LBB47_927:
	s_mov_b32 s7, -1
                                        ; implicit-def: $vgpr0
	s_branch .LBB47_932
.LBB47_928:
	s_mov_b32 s7, -1
                                        ; implicit-def: $vgpr0
.LBB47_929:
	s_delay_alu instid0(SALU_CYCLE_1)
	s_and_not1_b32 vcc_lo, exec_lo, s7
	s_cbranch_vccnz .LBB47_931
; %bb.930:
	global_load_b32 v0, v[3:4], off
.LBB47_931:
	s_mov_b32 s7, 0
.LBB47_932:
	s_delay_alu instid0(SALU_CYCLE_1)
	s_and_not1_b32 vcc_lo, exec_lo, s7
	s_cbranch_vccnz .LBB47_934
; %bb.933:
	global_load_u16 v0, v[3:4], off
.LBB47_934:
	s_cbranch_execnz .LBB47_940
.LBB47_935:
	v_cmp_lt_i16_e32 vcc_lo, 0, v6
	s_mov_b32 s7, 0
	s_cbranch_vccz .LBB47_937
; %bb.936:
	global_load_i8 v0, v[3:4], off
	s_branch .LBB47_938
.LBB47_937:
	s_mov_b32 s7, -1
                                        ; implicit-def: $vgpr0
.LBB47_938:
	s_delay_alu instid0(SALU_CYCLE_1)
	s_and_not1_b32 vcc_lo, exec_lo, s7
	s_cbranch_vccnz .LBB47_940
; %bb.939:
	global_load_u8 v0, v[3:4], off
.LBB47_940:
	s_or_b32 s2, s2, exec_lo
.LBB47_941:
	s_or_b32 exec_lo, exec_lo, s6
	s_mov_b32 s8, 0
	s_mov_b32 s7, 0
                                        ; implicit-def: $vgpr6
                                        ; implicit-def: $vgpr3_vgpr4
                                        ; implicit-def: $vgpr1
	s_and_saveexec_b32 s6, s2
	s_cbranch_execz .LBB47_1018
; %bb.942:
	v_and_b32_e32 v6, 0xff, v5
	v_add_co_u32 v3, s2, s4, v2
	s_waitcnt vmcnt(0)
	s_delay_alu instid0(VALU_DEP_3)
	v_xor_b32_e32 v1, -1, v0
	v_add_co_ci_u32_e64 v4, null, s5, 0, s2
	v_cmp_gt_i16_e32 vcc_lo, 11, v6
	s_mov_b32 s7, -1
	s_mov_b32 s2, s34
	s_cbranch_vccnz .LBB47_1017
; %bb.943:
	v_cmp_lt_i16_e32 vcc_lo, 25, v6
	s_mov_b32 s4, -1
	s_mov_b32 s2, s34
	s_cbranch_vccz .LBB47_976
; %bb.944:
	v_cmp_lt_i16_e32 vcc_lo, 28, v6
	s_mov_b32 s2, s34
	s_cbranch_vccz .LBB47_960
; %bb.945:
	v_cmp_lt_i16_e32 vcc_lo, 43, v6
	;; [unrolled: 4-line block ×3, first 2 shown]
	s_mov_b32 s2, s34
	s_cbranch_vccz .LBB47_950
; %bb.947:
	v_cmp_eq_u16_e32 vcc_lo, 46, v6
	s_mov_b32 s2, -1
	s_cbranch_vccz .LBB47_949
; %bb.948:
	v_bfe_i32 v2, v1, 0, 16
	s_mov_b32 s2, 0
	s_delay_alu instid0(VALU_DEP_1) | instskip(NEXT) | instid1(VALU_DEP_1)
	v_cvt_f32_i32_e32 v2, v2
	v_bfe_u32 v5, v2, 16, 1
	s_delay_alu instid0(VALU_DEP_1) | instskip(NEXT) | instid1(VALU_DEP_1)
	v_add3_u32 v2, v2, v5, 0x7fff
	v_lshrrev_b32_e32 v2, 16, v2
	global_store_b32 v[3:4], v2, off
.LBB47_949:
	s_mov_b32 s4, 0
.LBB47_950:
	s_delay_alu instid0(SALU_CYCLE_1)
	s_and_b32 vcc_lo, exec_lo, s4
	s_cbranch_vccz .LBB47_955
; %bb.951:
	v_cmp_eq_u16_e32 vcc_lo, 44, v6
	s_mov_b32 s2, -1
	s_cbranch_vccz .LBB47_955
; %bb.952:
	v_bfe_i32 v2, v1, 0, 16
	v_mov_b32_e32 v5, 0xff
	s_mov_b32 s4, exec_lo
	s_delay_alu instid0(VALU_DEP_2) | instskip(NEXT) | instid1(VALU_DEP_1)
	v_cvt_f32_i32_e32 v2, v2
	v_bfe_u32 v7, v2, 23, 8
	s_delay_alu instid0(VALU_DEP_1)
	v_cmpx_ne_u32_e32 0xff, v7
; %bb.953:
	v_and_b32_e32 v5, 0x400000, v2
	v_and_or_b32 v7, 0x3fffff, v2, v7
	v_lshrrev_b32_e32 v2, 23, v2
	s_delay_alu instid0(VALU_DEP_3) | instskip(NEXT) | instid1(VALU_DEP_3)
	v_cmp_ne_u32_e32 vcc_lo, 0, v5
	v_cmp_ne_u32_e64 s2, 0, v7
	s_delay_alu instid0(VALU_DEP_1) | instskip(NEXT) | instid1(SALU_CYCLE_1)
	s_and_b32 s2, vcc_lo, s2
	v_cndmask_b32_e64 v5, 0, 1, s2
	s_delay_alu instid0(VALU_DEP_1)
	v_add_nc_u32_e32 v5, v2, v5
; %bb.954:
	s_or_b32 exec_lo, exec_lo, s4
	s_mov_b32 s2, 0
	global_store_b8 v[3:4], v5, off
.LBB47_955:
	s_mov_b32 s4, 0
.LBB47_956:
	s_delay_alu instid0(SALU_CYCLE_1)
	s_and_b32 vcc_lo, exec_lo, s4
	s_cbranch_vccz .LBB47_959
; %bb.957:
	v_cmp_eq_u16_e32 vcc_lo, 29, v6
	s_mov_b32 s2, -1
	s_cbranch_vccz .LBB47_959
; %bb.958:
	v_bfe_i32 v7, v1, 0, 16
	s_mov_b32 s2, 0
	s_delay_alu instid0(VALU_DEP_1)
	v_ashrrev_i32_e32 v8, 31, v7
	global_store_b64 v[3:4], v[7:8], off
.LBB47_959:
	s_mov_b32 s4, 0
.LBB47_960:
	s_delay_alu instid0(SALU_CYCLE_1)
	s_and_b32 vcc_lo, exec_lo, s4
	s_cbranch_vccz .LBB47_975
; %bb.961:
	v_cmp_gt_i16_e32 vcc_lo, 27, v6
	s_mov_b32 s4, -1
	s_cbranch_vccnz .LBB47_967
; %bb.962:
	v_cmp_lt_i16_e32 vcc_lo, 27, v6
	s_cbranch_vccz .LBB47_964
; %bb.963:
	v_bfe_i32 v2, v1, 0, 16
	s_mov_b32 s4, 0
	global_store_b32 v[3:4], v2, off
.LBB47_964:
	s_and_not1_b32 vcc_lo, exec_lo, s4
	s_cbranch_vccnz .LBB47_966
; %bb.965:
	global_store_b16 v[3:4], v1, off
.LBB47_966:
	s_mov_b32 s4, 0
.LBB47_967:
	s_delay_alu instid0(SALU_CYCLE_1)
	s_and_not1_b32 vcc_lo, exec_lo, s4
	s_cbranch_vccnz .LBB47_975
; %bb.968:
	v_bfe_i32 v2, v1, 0, 16
	v_mov_b32_e32 v7, 0x80
	s_mov_b32 s4, exec_lo
	s_delay_alu instid0(VALU_DEP_2) | instskip(NEXT) | instid1(VALU_DEP_1)
	v_cvt_f32_i32_e32 v2, v2
	v_and_b32_e32 v5, 0x7fffffff, v2
	s_delay_alu instid0(VALU_DEP_1)
	v_cmpx_gt_u32_e32 0x43800000, v5
	s_cbranch_execz .LBB47_974
; %bb.969:
	v_cmp_lt_u32_e32 vcc_lo, 0x3bffffff, v5
	s_mov_b32 s5, 0
                                        ; implicit-def: $vgpr5
	s_and_saveexec_b32 s7, vcc_lo
	s_delay_alu instid0(SALU_CYCLE_1)
	s_xor_b32 s7, exec_lo, s7
	s_cbranch_execz .LBB47_1258
; %bb.970:
	v_bfe_u32 v5, v2, 20, 1
	s_mov_b32 s5, exec_lo
	s_delay_alu instid0(VALU_DEP_1) | instskip(NEXT) | instid1(VALU_DEP_1)
	v_add3_u32 v5, v2, v5, 0x487ffff
	v_lshrrev_b32_e32 v5, 20, v5
	s_or_saveexec_b32 s7, s7
                                        ; implicit-def: $sgpr8
	s_delay_alu instid0(SALU_CYCLE_1)
	s_xor_b32 exec_lo, exec_lo, s7
	s_cbranch_execnz .LBB47_1259
.LBB47_971:
	s_or_b32 exec_lo, exec_lo, s7
	v_mov_b32_e32 v7, s8
	s_and_saveexec_b32 s7, s5
.LBB47_972:
	v_lshrrev_b32_e32 v2, 24, v2
	s_delay_alu instid0(VALU_DEP_1)
	v_and_or_b32 v7, 0x80, v2, v5
.LBB47_973:
	s_or_b32 exec_lo, exec_lo, s7
.LBB47_974:
	s_delay_alu instid0(SALU_CYCLE_1)
	s_or_b32 exec_lo, exec_lo, s4
	global_store_b8 v[3:4], v7, off
.LBB47_975:
	s_mov_b32 s4, 0
.LBB47_976:
	s_delay_alu instid0(SALU_CYCLE_1)
	s_and_b32 vcc_lo, exec_lo, s4
	s_mov_b32 s7, 0
	s_cbranch_vccz .LBB47_1016
; %bb.977:
	v_cmp_lt_i16_e32 vcc_lo, 22, v6
	s_mov_b32 s4, -1
	s_cbranch_vccz .LBB47_1009
; %bb.978:
	v_cmp_gt_i16_e32 vcc_lo, 24, v6
	s_cbranch_vccnz .LBB47_998
; %bb.979:
	v_cmp_lt_i16_e32 vcc_lo, 24, v6
	s_cbranch_vccz .LBB47_987
; %bb.980:
	v_bfe_i32 v2, v1, 0, 16
	v_mov_b32_e32 v7, 0x80
	s_mov_b32 s4, exec_lo
	s_delay_alu instid0(VALU_DEP_2) | instskip(NEXT) | instid1(VALU_DEP_1)
	v_cvt_f32_i32_e32 v2, v2
	v_and_b32_e32 v5, 0x7fffffff, v2
	s_delay_alu instid0(VALU_DEP_1)
	v_cmpx_gt_u32_e32 0x47800000, v5
	s_cbranch_execz .LBB47_986
; %bb.981:
	v_cmp_lt_u32_e32 vcc_lo, 0x37ffffff, v5
	s_mov_b32 s5, 0
                                        ; implicit-def: $vgpr5
	s_and_saveexec_b32 s8, vcc_lo
	s_delay_alu instid0(SALU_CYCLE_1)
	s_xor_b32 s8, exec_lo, s8
	s_cbranch_execz .LBB47_1302
; %bb.982:
	v_bfe_u32 v5, v2, 21, 1
	s_mov_b32 s5, exec_lo
	s_delay_alu instid0(VALU_DEP_1) | instskip(NEXT) | instid1(VALU_DEP_1)
	v_add3_u32 v5, v2, v5, 0x88fffff
	v_lshrrev_b32_e32 v5, 21, v5
	s_or_saveexec_b32 s8, s8
                                        ; implicit-def: $sgpr9
	s_delay_alu instid0(SALU_CYCLE_1)
	s_xor_b32 exec_lo, exec_lo, s8
	s_cbranch_execnz .LBB47_1303
.LBB47_983:
	s_or_b32 exec_lo, exec_lo, s8
	v_mov_b32_e32 v7, s9
	s_and_saveexec_b32 s8, s5
.LBB47_984:
	v_lshrrev_b32_e32 v2, 24, v2
	s_delay_alu instid0(VALU_DEP_1)
	v_and_or_b32 v7, 0x80, v2, v5
.LBB47_985:
	s_or_b32 exec_lo, exec_lo, s8
.LBB47_986:
	s_delay_alu instid0(SALU_CYCLE_1)
	s_or_b32 exec_lo, exec_lo, s4
	s_mov_b32 s4, 0
	global_store_b8 v[3:4], v7, off
.LBB47_987:
	s_and_b32 vcc_lo, exec_lo, s4
	s_cbranch_vccz .LBB47_997
; %bb.988:
	v_bfe_i32 v2, v1, 0, 16
	s_mov_b32 s4, exec_lo
                                        ; implicit-def: $vgpr5
	s_delay_alu instid0(VALU_DEP_1) | instskip(NEXT) | instid1(VALU_DEP_1)
	v_cvt_f32_i32_e32 v2, v2
	v_and_b32_e32 v7, 0x7fffffff, v2
	s_delay_alu instid0(VALU_DEP_1)
	v_cmpx_gt_u32_e32 0x43f00000, v7
	s_xor_b32 s4, exec_lo, s4
	s_cbranch_execz .LBB47_994
; %bb.989:
	s_mov_b32 s5, exec_lo
                                        ; implicit-def: $vgpr5
	v_cmpx_lt_u32_e32 0x3c7fffff, v7
	s_xor_b32 s5, exec_lo, s5
; %bb.990:
	v_bfe_u32 v5, v2, 20, 1
	s_delay_alu instid0(VALU_DEP_1) | instskip(NEXT) | instid1(VALU_DEP_1)
	v_add3_u32 v5, v2, v5, 0x407ffff
	v_and_b32_e32 v7, 0xff00000, v5
	v_lshrrev_b32_e32 v5, 20, v5
	s_delay_alu instid0(VALU_DEP_2) | instskip(NEXT) | instid1(VALU_DEP_2)
	v_cmp_ne_u32_e32 vcc_lo, 0x7f00000, v7
	v_cndmask_b32_e32 v5, 0x7e, v5, vcc_lo
; %bb.991:
	s_and_not1_saveexec_b32 s5, s5
; %bb.992:
	v_add_f32_e64 v5, 0x46800000, |v2|
; %bb.993:
	s_or_b32 exec_lo, exec_lo, s5
                                        ; implicit-def: $vgpr7
.LBB47_994:
	s_and_not1_saveexec_b32 s4, s4
; %bb.995:
	v_mov_b32_e32 v5, 0x7f
	v_cmp_lt_u32_e32 vcc_lo, 0x7f800000, v7
	s_delay_alu instid0(VALU_DEP_2)
	v_cndmask_b32_e32 v5, 0x7e, v5, vcc_lo
; %bb.996:
	s_or_b32 exec_lo, exec_lo, s4
	v_lshrrev_b32_e32 v2, 24, v2
	s_delay_alu instid0(VALU_DEP_1)
	v_and_or_b32 v2, 0x80, v2, v5
	global_store_b8 v[3:4], v2, off
.LBB47_997:
	s_mov_b32 s4, 0
.LBB47_998:
	s_delay_alu instid0(SALU_CYCLE_1)
	s_and_not1_b32 vcc_lo, exec_lo, s4
	s_cbranch_vccnz .LBB47_1008
; %bb.999:
	v_bfe_i32 v2, v1, 0, 16
	s_mov_b32 s4, exec_lo
                                        ; implicit-def: $vgpr5
	s_delay_alu instid0(VALU_DEP_1) | instskip(NEXT) | instid1(VALU_DEP_1)
	v_cvt_f32_i32_e32 v2, v2
	v_and_b32_e32 v7, 0x7fffffff, v2
	s_delay_alu instid0(VALU_DEP_1)
	v_cmpx_gt_u32_e32 0x47800000, v7
	s_xor_b32 s4, exec_lo, s4
	s_cbranch_execz .LBB47_1005
; %bb.1000:
	s_mov_b32 s5, exec_lo
                                        ; implicit-def: $vgpr5
	v_cmpx_lt_u32_e32 0x387fffff, v7
	s_xor_b32 s5, exec_lo, s5
; %bb.1001:
	v_bfe_u32 v5, v2, 21, 1
	s_delay_alu instid0(VALU_DEP_1) | instskip(NEXT) | instid1(VALU_DEP_1)
	v_add3_u32 v5, v2, v5, 0x80fffff
	v_lshrrev_b32_e32 v5, 21, v5
; %bb.1002:
	s_and_not1_saveexec_b32 s5, s5
; %bb.1003:
	v_add_f32_e64 v5, 0x43000000, |v2|
; %bb.1004:
	s_or_b32 exec_lo, exec_lo, s5
                                        ; implicit-def: $vgpr7
.LBB47_1005:
	s_and_not1_saveexec_b32 s4, s4
; %bb.1006:
	v_mov_b32_e32 v5, 0x7f
	v_cmp_lt_u32_e32 vcc_lo, 0x7f800000, v7
	s_delay_alu instid0(VALU_DEP_2)
	v_cndmask_b32_e32 v5, 0x7c, v5, vcc_lo
; %bb.1007:
	s_or_b32 exec_lo, exec_lo, s4
	v_lshrrev_b32_e32 v2, 24, v2
	s_delay_alu instid0(VALU_DEP_1)
	v_and_or_b32 v2, 0x80, v2, v5
	global_store_b8 v[3:4], v2, off
.LBB47_1008:
	s_mov_b32 s4, 0
.LBB47_1009:
	s_delay_alu instid0(SALU_CYCLE_1)
	s_and_not1_b32 vcc_lo, exec_lo, s4
	s_mov_b32 s8, 0
	s_cbranch_vccnz .LBB47_1017
; %bb.1010:
	v_cmp_lt_i16_e32 vcc_lo, 14, v6
	s_mov_b32 s4, -1
	s_cbranch_vccz .LBB47_1014
; %bb.1011:
	v_cmp_eq_u16_e32 vcc_lo, 15, v6
	s_mov_b32 s2, -1
	s_cbranch_vccz .LBB47_1013
; %bb.1012:
	v_bfe_i32 v2, v1, 0, 16
	s_mov_b32 s2, 0
	s_delay_alu instid0(VALU_DEP_1) | instskip(NEXT) | instid1(VALU_DEP_1)
	v_cvt_f32_i32_e32 v2, v2
	v_bfe_u32 v5, v2, 16, 1
	s_delay_alu instid0(VALU_DEP_1)
	v_add3_u32 v2, v2, v5, 0x7fff
	global_store_d16_hi_b16 v[3:4], v2, off
.LBB47_1013:
	s_mov_b32 s4, 0
.LBB47_1014:
	s_delay_alu instid0(SALU_CYCLE_1)
	s_and_b32 vcc_lo, exec_lo, s4
	s_cbranch_vccz .LBB47_1017
; %bb.1015:
	v_cmp_ne_u16_e32 vcc_lo, 11, v6
	s_and_not1_b32 s2, s2, exec_lo
	s_mov_b32 s8, -1
	s_and_b32 s4, vcc_lo, exec_lo
	s_delay_alu instid0(SALU_CYCLE_1)
	s_or_b32 s2, s2, s4
	s_branch .LBB47_1017
.LBB47_1016:
	s_mov_b32 s8, 0
.LBB47_1017:
	s_and_not1_b32 s4, s34, exec_lo
	s_and_b32 s2, s2, exec_lo
	s_and_b32 s7, s7, exec_lo
	;; [unrolled: 1-line block ×3, first 2 shown]
	s_or_b32 s34, s4, s2
.LBB47_1018:
	s_or_b32 exec_lo, exec_lo, s6
	s_and_saveexec_b32 s2, s34
	s_cbranch_execnz .LBB47_1132
; %bb.1019:
	s_or_b32 exec_lo, exec_lo, s2
	s_and_saveexec_b32 s2, s8
	s_delay_alu instid0(SALU_CYCLE_1)
	s_xor_b32 s2, exec_lo, s2
	s_cbranch_execz .LBB47_1021
.LBB47_1020:
	s_waitcnt vmcnt(0)
	s_delay_alu instid0(VALU_DEP_1)
	v_cmp_ne_u16_e32 vcc_lo, -1, v0
	v_cndmask_b32_e64 v0, 0, 1, vcc_lo
	global_store_b8 v[3:4], v0, off
.LBB47_1021:
	s_or_b32 exec_lo, exec_lo, s2
	s_and_saveexec_b32 s2, s7
	s_delay_alu instid0(SALU_CYCLE_1)
	s_xor_b32 s2, exec_lo, s2
	s_cbranch_execz .LBB47_1059
; %bb.1022:
	v_cmp_gt_i16_e32 vcc_lo, 5, v6
	s_mov_b32 s4, -1
	s_cbranch_vccnz .LBB47_1043
; %bb.1023:
	v_cmp_gt_i16_e32 vcc_lo, 8, v6
	s_cbranch_vccnz .LBB47_1033
; %bb.1024:
	v_cmp_gt_i16_e32 vcc_lo, 9, v6
	s_cbranch_vccnz .LBB47_1030
; %bb.1025:
	v_cmp_lt_i16_e32 vcc_lo, 9, v6
	s_cbranch_vccz .LBB47_1027
; %bb.1026:
	s_waitcnt vmcnt(0)
	v_bfe_i32 v0, v1, 0, 16
	v_mov_b32_e32 v9, 0
	s_mov_b32 s4, 0
	s_delay_alu instid0(VALU_DEP_2) | instskip(NEXT) | instid1(VALU_DEP_2)
	v_cvt_f64_i32_e32 v[7:8], v0
	v_mov_b32_e32 v10, v9
	global_store_b128 v[3:4], v[7:10], off
.LBB47_1027:
	s_and_not1_b32 vcc_lo, exec_lo, s4
	s_cbranch_vccnz .LBB47_1029
; %bb.1028:
	s_waitcnt vmcnt(0)
	v_bfe_i32 v0, v1, 0, 16
	v_mov_b32_e32 v8, 0
	s_delay_alu instid0(VALU_DEP_2)
	v_cvt_f32_i32_e32 v7, v0
	global_store_b64 v[3:4], v[7:8], off
.LBB47_1029:
	s_mov_b32 s4, 0
.LBB47_1030:
	s_delay_alu instid0(SALU_CYCLE_1)
	s_and_not1_b32 vcc_lo, exec_lo, s4
	s_cbranch_vccnz .LBB47_1032
; %bb.1031:
	s_waitcnt vmcnt(0)
	v_cvt_f16_i16_e32 v0, v1
	s_delay_alu instid0(VALU_DEP_1)
	v_and_b32_e32 v0, 0xffff, v0
	global_store_b32 v[3:4], v0, off
.LBB47_1032:
	s_mov_b32 s4, 0
.LBB47_1033:
	s_delay_alu instid0(SALU_CYCLE_1)
	s_and_not1_b32 vcc_lo, exec_lo, s4
	s_cbranch_vccnz .LBB47_1042
; %bb.1034:
	v_cmp_gt_i16_e32 vcc_lo, 6, v6
	s_mov_b32 s4, -1
	s_cbranch_vccnz .LBB47_1040
; %bb.1035:
	v_cmp_lt_i16_e32 vcc_lo, 6, v6
	s_cbranch_vccz .LBB47_1037
; %bb.1036:
	s_waitcnt vmcnt(0)
	v_bfe_i32 v0, v1, 0, 16
	s_mov_b32 s4, 0
	s_delay_alu instid0(VALU_DEP_1)
	v_cvt_f64_i32_e32 v[7:8], v0
	global_store_b64 v[3:4], v[7:8], off
.LBB47_1037:
	s_and_not1_b32 vcc_lo, exec_lo, s4
	s_cbranch_vccnz .LBB47_1039
; %bb.1038:
	s_waitcnt vmcnt(0)
	v_bfe_i32 v0, v1, 0, 16
	s_delay_alu instid0(VALU_DEP_1)
	v_cvt_f32_i32_e32 v0, v0
	global_store_b32 v[3:4], v0, off
.LBB47_1039:
	s_mov_b32 s4, 0
.LBB47_1040:
	s_delay_alu instid0(SALU_CYCLE_1)
	s_and_not1_b32 vcc_lo, exec_lo, s4
	s_cbranch_vccnz .LBB47_1042
; %bb.1041:
	s_waitcnt vmcnt(0)
	v_cvt_f16_i16_e32 v0, v1
	global_store_b16 v[3:4], v0, off
.LBB47_1042:
	s_mov_b32 s4, 0
.LBB47_1043:
	s_delay_alu instid0(SALU_CYCLE_1)
	s_and_not1_b32 vcc_lo, exec_lo, s4
	s_cbranch_vccnz .LBB47_1059
; %bb.1044:
	v_cmp_gt_i16_e32 vcc_lo, 2, v6
	s_mov_b32 s4, -1
	s_cbranch_vccnz .LBB47_1054
; %bb.1045:
	v_cmp_gt_i16_e32 vcc_lo, 3, v6
	s_cbranch_vccnz .LBB47_1051
; %bb.1046:
	v_cmp_lt_i16_e32 vcc_lo, 3, v6
	s_cbranch_vccz .LBB47_1048
; %bb.1047:
	s_waitcnt vmcnt(0)
	v_bfe_i32 v7, v1, 0, 16
	s_mov_b32 s4, 0
	s_delay_alu instid0(VALU_DEP_1)
	v_ashrrev_i32_e32 v8, 31, v7
	global_store_b64 v[3:4], v[7:8], off
.LBB47_1048:
	s_and_not1_b32 vcc_lo, exec_lo, s4
	s_cbranch_vccnz .LBB47_1050
; %bb.1049:
	s_waitcnt vmcnt(0)
	v_bfe_i32 v0, v1, 0, 16
	global_store_b32 v[3:4], v0, off
.LBB47_1050:
	s_mov_b32 s4, 0
.LBB47_1051:
	s_delay_alu instid0(SALU_CYCLE_1)
	s_and_not1_b32 vcc_lo, exec_lo, s4
	s_cbranch_vccnz .LBB47_1053
; %bb.1052:
	s_waitcnt vmcnt(0)
	global_store_b16 v[3:4], v1, off
.LBB47_1053:
	s_mov_b32 s4, 0
.LBB47_1054:
	s_delay_alu instid0(SALU_CYCLE_1)
	s_and_not1_b32 vcc_lo, exec_lo, s4
	s_cbranch_vccnz .LBB47_1059
; %bb.1055:
	v_cmp_lt_i16_e32 vcc_lo, 0, v6
	s_mov_b32 s4, -1
	s_cbranch_vccz .LBB47_1057
; %bb.1056:
	s_mov_b32 s4, 0
	s_waitcnt vmcnt(0)
	global_store_b8 v[3:4], v1, off
.LBB47_1057:
	s_and_not1_b32 vcc_lo, exec_lo, s4
	s_cbranch_vccnz .LBB47_1059
; %bb.1058:
	s_waitcnt vmcnt(0)
	global_store_b8 v[3:4], v1, off
.LBB47_1059:
	s_or_b32 exec_lo, exec_lo, s2
	s_delay_alu instid0(SALU_CYCLE_1)
	s_and_b32 s8, s3, exec_lo
                                        ; implicit-def: $vgpr10
                                        ; implicit-def: $vgpr8
.LBB47_1060:
	s_or_saveexec_b32 s9, s28
	s_mov_b32 s3, 0
                                        ; implicit-def: $vgpr0_vgpr1
                                        ; implicit-def: $vgpr9
                                        ; implicit-def: $vgpr2
                                        ; implicit-def: $vgpr4
	s_xor_b32 exec_lo, exec_lo, s9
	s_cbranch_execz .LBB47_1432
; %bb.1061:
	s_waitcnt vmcnt(0)
	v_cndmask_b32_e64 v0, 0, 1, s27
	s_and_not1_b32 vcc_lo, exec_lo, s27
	s_cbranch_vccnz .LBB47_1067
; %bb.1062:
	v_mov_b32_e32 v3, 0
	v_mov_b32_e32 v7, 0
	s_cmp_lg_u32 s24, 0
	s_mov_b32 s6, 0
	s_cbranch_scc0 .LBB47_1071
; %bb.1063:
	s_min_u32 s7, s25, 15
	v_mov_b32_e32 v3, 0
	s_add_i32 s7, s7, 1
	s_cmp_eq_u32 s25, 2
	s_mov_b32 s10, 0
	s_cbranch_scc1 .LBB47_1068
; %bb.1064:
	v_mov_b32_e32 v7, 0
	v_mov_b32_e32 v3, 0
	;; [unrolled: 1-line block ×3, first 2 shown]
	s_add_u32 s2, s16, 0xc4
	s_addc_u32 s3, s17, 0
	s_and_b32 s10, s7, 28
	s_mov_b32 s11, 0
	s_mov_b64 s[4:5], s[16:17]
.LBB47_1065:                            ; =>This Inner Loop Header: Depth=1
	s_clause 0x1
	s_load_b256 s[36:43], s[4:5], 0x4
	s_load_b128 s[12:15], s[4:5], 0x24
	s_load_b256 s[44:51], s[2:3], 0x0
	s_add_u32 s4, s4, 48
	s_addc_u32 s5, s5, 0
	s_add_i32 s11, s11, 4
	s_add_u32 s2, s2, 32
	s_addc_u32 s3, s3, 0
	s_cmp_lg_u32 s10, s11
	s_waitcnt lgkmcnt(0)
	v_mul_hi_u32 v2, s37, v1
	s_delay_alu instid0(VALU_DEP_1) | instskip(NEXT) | instid1(VALU_DEP_1)
	v_add_nc_u32_e32 v2, v1, v2
	v_lshrrev_b32_e32 v2, s38, v2
	s_delay_alu instid0(VALU_DEP_1) | instskip(SKIP_1) | instid1(VALU_DEP_2)
	v_mul_hi_u32 v4, s40, v2
	v_mul_lo_u32 v6, v2, s36
	v_add_nc_u32_e32 v4, v2, v4
	s_delay_alu instid0(VALU_DEP_2) | instskip(NEXT) | instid1(VALU_DEP_2)
	v_sub_nc_u32_e32 v1, v1, v6
	v_lshrrev_b32_e32 v4, s41, v4
	s_delay_alu instid0(VALU_DEP_2) | instskip(SKIP_1) | instid1(VALU_DEP_3)
	v_mul_lo_u32 v6, v1, s44
	v_mul_lo_u32 v11, v1, s45
	v_mul_hi_u32 v5, s43, v4
	s_delay_alu instid0(VALU_DEP_1) | instskip(NEXT) | instid1(VALU_DEP_1)
	v_add_nc_u32_e32 v5, v4, v5
	v_lshrrev_b32_e32 v5, s12, v5
	s_delay_alu instid0(VALU_DEP_1) | instskip(SKIP_1) | instid1(VALU_DEP_2)
	v_mul_hi_u32 v9, s14, v5
	v_mul_lo_u32 v12, v5, s42
	v_add_nc_u32_e32 v1, v5, v9
	v_mul_lo_u32 v9, v4, s39
	s_delay_alu instid0(VALU_DEP_3) | instskip(NEXT) | instid1(VALU_DEP_3)
	v_sub_nc_u32_e32 v4, v4, v12
	v_lshrrev_b32_e32 v1, s15, v1
	s_delay_alu instid0(VALU_DEP_2) | instskip(SKIP_2) | instid1(VALU_DEP_4)
	v_mul_lo_u32 v12, v4, s48
	v_mul_lo_u32 v4, v4, s49
	v_sub_nc_u32_e32 v2, v2, v9
	v_mul_lo_u32 v13, v1, s13
	s_delay_alu instid0(VALU_DEP_2) | instskip(SKIP_1) | instid1(VALU_DEP_3)
	v_mul_lo_u32 v9, v2, s46
	v_mul_lo_u32 v2, v2, s47
	v_sub_nc_u32_e32 v5, v5, v13
	s_delay_alu instid0(VALU_DEP_3) | instskip(NEXT) | instid1(VALU_DEP_2)
	v_add3_u32 v3, v6, v3, v9
	v_mul_lo_u32 v13, v5, s50
	v_mul_lo_u32 v5, v5, s51
	v_add3_u32 v2, v11, v7, v2
	s_delay_alu instid0(VALU_DEP_3) | instskip(NEXT) | instid1(VALU_DEP_2)
	v_add3_u32 v3, v12, v3, v13
	v_add3_u32 v7, v4, v2, v5
	s_cbranch_scc1 .LBB47_1065
; %bb.1066:
	s_and_b32 s7, s7, 3
	s_delay_alu instid0(SALU_CYCLE_1)
	s_cmp_eq_u32 s7, 0
	s_cbranch_scc0 .LBB47_1069
	s_branch .LBB47_1071
.LBB47_1067:
	s_mov_b32 s6, -1
                                        ; implicit-def: $vgpr3
                                        ; implicit-def: $vgpr7
	s_branch .LBB47_1071
.LBB47_1068:
	v_mov_b32_e32 v1, v8
	v_mov_b32_e32 v7, 0
	s_and_b32 s7, s7, 3
	s_delay_alu instid0(SALU_CYCLE_1)
	s_cmp_eq_u32 s7, 0
	s_cbranch_scc1 .LBB47_1071
.LBB47_1069:
	s_lshl_b32 s2, s10, 3
	s_mul_i32 s4, s10, 12
	s_add_u32 s2, s2, s16
	s_addc_u32 s3, 0, s17
	s_add_u32 s2, s2, 0xc4
	s_addc_u32 s3, s3, 0
	;; [unrolled: 2-line block ×3, first 2 shown]
	.p2align	6
.LBB47_1070:                            ; =>This Inner Loop Header: Depth=1
	s_clause 0x1
	s_load_b64 s[10:11], s[4:5], 0x4
	s_load_b32 s14, s[4:5], 0xc
	s_load_b64 s[12:13], s[2:3], 0x0
	s_add_u32 s4, s4, 12
	s_addc_u32 s5, s5, 0
	s_add_u32 s2, s2, 8
	s_addc_u32 s3, s3, 0
	s_add_i32 s7, s7, -1
	s_delay_alu instid0(SALU_CYCLE_1) | instskip(SKIP_2) | instid1(VALU_DEP_1)
	s_cmp_lg_u32 s7, 0
	s_waitcnt lgkmcnt(0)
	v_mul_hi_u32 v2, s11, v1
	v_add_nc_u32_e32 v2, v1, v2
	s_delay_alu instid0(VALU_DEP_1) | instskip(NEXT) | instid1(VALU_DEP_1)
	v_lshrrev_b32_e32 v6, s14, v2
	v_mul_lo_u32 v2, v6, s10
	s_delay_alu instid0(VALU_DEP_1) | instskip(NEXT) | instid1(VALU_DEP_1)
	v_sub_nc_u32_e32 v1, v1, v2
	v_mad_u64_u32 v[4:5], null, v1, s12, v[3:4]
	v_mad_u64_u32 v[2:3], null, v1, s13, v[7:8]
	v_mov_b32_e32 v1, v6
	s_delay_alu instid0(VALU_DEP_3) | instskip(NEXT) | instid1(VALU_DEP_3)
	v_mov_b32_e32 v3, v4
	v_mov_b32_e32 v7, v2
	s_cbranch_scc1 .LBB47_1070
.LBB47_1071:
	s_and_not1_b32 vcc_lo, exec_lo, s6
	s_cbranch_vccnz .LBB47_1074
; %bb.1072:
	s_clause 0x1
	s_load_b128 s[4:7], s[16:17], 0x4
	s_load_b64 s[2:3], s[16:17], 0xc4
	s_cmp_lt_u32 s24, 2
	s_waitcnt lgkmcnt(0)
	v_mul_hi_u32 v1, s5, v8
	s_delay_alu instid0(VALU_DEP_1) | instskip(NEXT) | instid1(VALU_DEP_1)
	v_add_nc_u32_e32 v1, v8, v1
	v_lshrrev_b32_e32 v1, s6, v1
	s_delay_alu instid0(VALU_DEP_1) | instskip(NEXT) | instid1(VALU_DEP_1)
	v_mul_lo_u32 v2, v1, s4
	v_sub_nc_u32_e32 v2, v8, v2
	s_delay_alu instid0(VALU_DEP_1)
	v_mul_lo_u32 v3, v2, s2
	v_mul_lo_u32 v7, v2, s3
	s_cbranch_scc1 .LBB47_1074
; %bb.1073:
	s_clause 0x1
	s_load_b128 s[4:7], s[16:17], 0x10
	s_load_b64 s[2:3], s[16:17], 0xcc
	s_waitcnt lgkmcnt(0)
	v_mul_hi_u32 v2, s5, v1
	s_delay_alu instid0(VALU_DEP_1) | instskip(NEXT) | instid1(VALU_DEP_1)
	v_add_nc_u32_e32 v2, v1, v2
	v_lshrrev_b32_e32 v2, s6, v2
	s_delay_alu instid0(VALU_DEP_1) | instskip(NEXT) | instid1(VALU_DEP_1)
	v_mul_lo_u32 v2, v2, s4
	v_sub_nc_u32_e32 v4, v1, v2
	s_delay_alu instid0(VALU_DEP_1) | instskip(SKIP_1) | instid1(VALU_DEP_2)
	v_mad_u64_u32 v[1:2], null, v4, s2, v[3:4]
	v_mad_u64_u32 v[2:3], null, v4, s3, v[7:8]
	v_mov_b32_e32 v3, v1
	s_delay_alu instid0(VALU_DEP_2)
	v_mov_b32_e32 v7, v2
.LBB47_1074:
	v_cmp_ne_u32_e32 vcc_lo, 1, v0
	v_add_nc_u32_e32 v1, 0x80, v8
	s_cbranch_vccnz .LBB47_1080
; %bb.1075:
	v_mov_b32_e32 v2, 0
	v_mov_b32_e32 v6, 0
	s_cmp_lg_u32 s24, 0
	s_mov_b32 s6, 0
	s_cbranch_scc0 .LBB47_1084
; %bb.1076:
	s_min_u32 s7, s25, 15
	v_mov_b32_e32 v2, 0
	s_add_i32 s7, s7, 1
	s_cmp_eq_u32 s25, 2
	s_mov_b32 s10, 0
	s_cbranch_scc1 .LBB47_1081
; %bb.1077:
	v_mov_b32_e32 v6, 0
	v_mov_b32_e32 v2, 0
	;; [unrolled: 1-line block ×3, first 2 shown]
	s_add_u32 s2, s16, 0xc4
	s_addc_u32 s3, s17, 0
	s_and_b32 s10, s7, 28
	s_mov_b32 s11, 0
	s_mov_b64 s[4:5], s[16:17]
.LBB47_1078:                            ; =>This Inner Loop Header: Depth=1
	s_clause 0x1
	s_load_b256 s[36:43], s[4:5], 0x4
	s_load_b128 s[12:15], s[4:5], 0x24
	s_load_b256 s[44:51], s[2:3], 0x0
	s_add_u32 s4, s4, 48
	s_addc_u32 s5, s5, 0
	s_add_i32 s11, s11, 4
	s_add_u32 s2, s2, 32
	s_addc_u32 s3, s3, 0
	s_cmp_lg_u32 s10, s11
	s_waitcnt lgkmcnt(0)
	v_mul_hi_u32 v5, s37, v4
	s_delay_alu instid0(VALU_DEP_1) | instskip(NEXT) | instid1(VALU_DEP_1)
	v_add_nc_u32_e32 v5, v4, v5
	v_lshrrev_b32_e32 v5, s38, v5
	s_delay_alu instid0(VALU_DEP_1) | instskip(SKIP_1) | instid1(VALU_DEP_2)
	v_mul_hi_u32 v9, s40, v5
	v_mul_lo_u32 v12, v5, s36
	v_add_nc_u32_e32 v9, v5, v9
	s_delay_alu instid0(VALU_DEP_2) | instskip(NEXT) | instid1(VALU_DEP_2)
	v_sub_nc_u32_e32 v4, v4, v12
	v_lshrrev_b32_e32 v9, s41, v9
	s_delay_alu instid0(VALU_DEP_2) | instskip(SKIP_1) | instid1(VALU_DEP_3)
	v_mul_lo_u32 v12, v4, s44
	v_mul_lo_u32 v14, v4, s45
	v_mul_hi_u32 v11, s43, v9
	s_delay_alu instid0(VALU_DEP_1) | instskip(NEXT) | instid1(VALU_DEP_1)
	v_add_nc_u32_e32 v11, v9, v11
	v_lshrrev_b32_e32 v11, s12, v11
	s_delay_alu instid0(VALU_DEP_1) | instskip(SKIP_1) | instid1(VALU_DEP_2)
	v_mul_hi_u32 v13, s14, v11
	v_mul_lo_u32 v15, v11, s42
	v_add_nc_u32_e32 v4, v11, v13
	v_mul_lo_u32 v13, v9, s39
	s_delay_alu instid0(VALU_DEP_3) | instskip(NEXT) | instid1(VALU_DEP_3)
	v_sub_nc_u32_e32 v9, v9, v15
	v_lshrrev_b32_e32 v4, s15, v4
	s_delay_alu instid0(VALU_DEP_2) | instskip(SKIP_2) | instid1(VALU_DEP_4)
	v_mul_lo_u32 v15, v9, s48
	v_mul_lo_u32 v9, v9, s49
	v_sub_nc_u32_e32 v5, v5, v13
	v_mul_lo_u32 v16, v4, s13
	s_delay_alu instid0(VALU_DEP_2) | instskip(SKIP_1) | instid1(VALU_DEP_3)
	v_mul_lo_u32 v13, v5, s46
	v_mul_lo_u32 v5, v5, s47
	v_sub_nc_u32_e32 v11, v11, v16
	s_delay_alu instid0(VALU_DEP_3) | instskip(NEXT) | instid1(VALU_DEP_2)
	v_add3_u32 v2, v12, v2, v13
	v_mul_lo_u32 v16, v11, s50
	v_mul_lo_u32 v11, v11, s51
	v_add3_u32 v5, v14, v6, v5
	s_delay_alu instid0(VALU_DEP_3) | instskip(NEXT) | instid1(VALU_DEP_2)
	v_add3_u32 v2, v15, v2, v16
	v_add3_u32 v6, v9, v5, v11
	s_cbranch_scc1 .LBB47_1078
; %bb.1079:
	s_and_b32 s7, s7, 3
	s_delay_alu instid0(SALU_CYCLE_1)
	s_cmp_eq_u32 s7, 0
	s_cbranch_scc0 .LBB47_1082
	s_branch .LBB47_1084
.LBB47_1080:
	s_mov_b32 s6, -1
                                        ; implicit-def: $vgpr2
                                        ; implicit-def: $vgpr6
	s_branch .LBB47_1084
.LBB47_1081:
	v_mov_b32_e32 v4, v1
	v_mov_b32_e32 v6, 0
	s_and_b32 s7, s7, 3
	s_delay_alu instid0(SALU_CYCLE_1)
	s_cmp_eq_u32 s7, 0
	s_cbranch_scc1 .LBB47_1084
.LBB47_1082:
	s_lshl_b32 s2, s10, 3
	s_mul_i32 s4, s10, 12
	s_add_u32 s2, s2, s16
	s_addc_u32 s3, 0, s17
	s_add_u32 s2, s2, 0xc4
	s_addc_u32 s3, s3, 0
	;; [unrolled: 2-line block ×3, first 2 shown]
	.p2align	6
.LBB47_1083:                            ; =>This Inner Loop Header: Depth=1
	s_clause 0x1
	s_load_b64 s[10:11], s[4:5], 0x4
	s_load_b32 s14, s[4:5], 0xc
	s_load_b64 s[12:13], s[2:3], 0x0
	s_add_u32 s4, s4, 12
	s_addc_u32 s5, s5, 0
	s_add_u32 s2, s2, 8
	s_addc_u32 s3, s3, 0
	s_add_i32 s7, s7, -1
	s_delay_alu instid0(SALU_CYCLE_1) | instskip(SKIP_2) | instid1(VALU_DEP_1)
	s_cmp_lg_u32 s7, 0
	s_waitcnt lgkmcnt(0)
	v_mul_hi_u32 v5, s11, v4
	v_add_nc_u32_e32 v5, v4, v5
	s_delay_alu instid0(VALU_DEP_1) | instskip(NEXT) | instid1(VALU_DEP_1)
	v_lshrrev_b32_e32 v5, s14, v5
	v_mul_lo_u32 v9, v5, s10
	s_delay_alu instid0(VALU_DEP_1) | instskip(NEXT) | instid1(VALU_DEP_1)
	v_sub_nc_u32_e32 v4, v4, v9
	v_mad_u64_u32 v[11:12], null, v4, s12, v[2:3]
	v_mad_u64_u32 v[12:13], null, v4, s13, v[6:7]
	v_mov_b32_e32 v4, v5
	s_delay_alu instid0(VALU_DEP_3) | instskip(NEXT) | instid1(VALU_DEP_3)
	v_mov_b32_e32 v2, v11
	v_mov_b32_e32 v6, v12
	s_cbranch_scc1 .LBB47_1083
.LBB47_1084:
	s_and_not1_b32 vcc_lo, exec_lo, s6
	s_cbranch_vccnz .LBB47_1087
; %bb.1085:
	s_clause 0x1
	s_load_b128 s[4:7], s[16:17], 0x4
	s_load_b64 s[2:3], s[16:17], 0xc4
	s_cmp_lt_u32 s24, 2
	s_waitcnt lgkmcnt(0)
	v_mul_hi_u32 v2, s5, v1
	s_delay_alu instid0(VALU_DEP_1) | instskip(NEXT) | instid1(VALU_DEP_1)
	v_add_nc_u32_e32 v2, v1, v2
	v_lshrrev_b32_e32 v4, s6, v2
	s_delay_alu instid0(VALU_DEP_1) | instskip(NEXT) | instid1(VALU_DEP_1)
	v_mul_lo_u32 v2, v4, s4
	v_sub_nc_u32_e32 v1, v1, v2
	s_delay_alu instid0(VALU_DEP_1)
	v_mul_lo_u32 v2, v1, s2
	v_mul_lo_u32 v6, v1, s3
	s_cbranch_scc1 .LBB47_1087
; %bb.1086:
	s_clause 0x1
	s_load_b128 s[4:7], s[16:17], 0x10
	s_load_b64 s[2:3], s[16:17], 0xcc
	s_waitcnt lgkmcnt(0)
	v_mul_hi_u32 v1, s5, v4
	s_delay_alu instid0(VALU_DEP_1) | instskip(NEXT) | instid1(VALU_DEP_1)
	v_add_nc_u32_e32 v1, v4, v1
	v_lshrrev_b32_e32 v1, s6, v1
	s_delay_alu instid0(VALU_DEP_1) | instskip(NEXT) | instid1(VALU_DEP_1)
	v_mul_lo_u32 v1, v1, s4
	v_sub_nc_u32_e32 v9, v4, v1
	s_delay_alu instid0(VALU_DEP_1) | instskip(SKIP_1) | instid1(VALU_DEP_2)
	v_mad_u64_u32 v[4:5], null, v9, s2, v[2:3]
	v_mad_u64_u32 v[1:2], null, v9, s3, v[6:7]
	v_mov_b32_e32 v2, v4
	s_delay_alu instid0(VALU_DEP_2)
	v_mov_b32_e32 v6, v1
.LBB47_1087:
	v_cmp_ne_u32_e32 vcc_lo, 1, v0
	v_add_nc_u32_e32 v4, 0x100, v8
	s_cbranch_vccnz .LBB47_1093
; %bb.1088:
	v_mov_b32_e32 v1, 0
	v_mov_b32_e32 v5, 0
	s_cmp_lg_u32 s24, 0
	s_mov_b32 s6, 0
	s_cbranch_scc0 .LBB47_1097
; %bb.1089:
	s_min_u32 s7, s25, 15
	v_mov_b32_e32 v1, 0
	s_add_i32 s7, s7, 1
	s_cmp_eq_u32 s25, 2
	s_mov_b32 s10, 0
	s_cbranch_scc1 .LBB47_1094
; %bb.1090:
	v_dual_mov_b32 v5, 0 :: v_dual_mov_b32 v8, v4
	v_mov_b32_e32 v1, 0
	s_add_u32 s2, s16, 0xc4
	s_addc_u32 s3, s17, 0
	s_and_b32 s10, s7, 28
	s_mov_b32 s11, 0
	s_mov_b64 s[4:5], s[16:17]
.LBB47_1091:                            ; =>This Inner Loop Header: Depth=1
	s_clause 0x1
	s_load_b256 s[36:43], s[4:5], 0x4
	s_load_b128 s[12:15], s[4:5], 0x24
	s_load_b256 s[44:51], s[2:3], 0x0
	s_add_u32 s4, s4, 48
	s_addc_u32 s5, s5, 0
	s_add_i32 s11, s11, 4
	s_add_u32 s2, s2, 32
	s_addc_u32 s3, s3, 0
	s_cmp_lg_u32 s10, s11
	s_waitcnt lgkmcnt(0)
	v_mul_hi_u32 v9, s37, v8
	s_delay_alu instid0(VALU_DEP_1) | instskip(NEXT) | instid1(VALU_DEP_1)
	v_add_nc_u32_e32 v9, v8, v9
	v_lshrrev_b32_e32 v9, s38, v9
	s_delay_alu instid0(VALU_DEP_1) | instskip(SKIP_1) | instid1(VALU_DEP_2)
	v_mul_hi_u32 v11, s40, v9
	v_mul_lo_u32 v13, v9, s36
	v_add_nc_u32_e32 v11, v9, v11
	s_delay_alu instid0(VALU_DEP_2) | instskip(NEXT) | instid1(VALU_DEP_2)
	v_sub_nc_u32_e32 v8, v8, v13
	v_lshrrev_b32_e32 v11, s41, v11
	s_delay_alu instid0(VALU_DEP_2) | instskip(SKIP_1) | instid1(VALU_DEP_3)
	v_mul_lo_u32 v13, v8, s44
	v_mul_lo_u32 v15, v8, s45
	v_mul_hi_u32 v12, s43, v11
	s_delay_alu instid0(VALU_DEP_1) | instskip(NEXT) | instid1(VALU_DEP_1)
	v_add_nc_u32_e32 v12, v11, v12
	v_lshrrev_b32_e32 v12, s12, v12
	s_delay_alu instid0(VALU_DEP_1) | instskip(SKIP_1) | instid1(VALU_DEP_2)
	v_mul_hi_u32 v14, s14, v12
	v_mul_lo_u32 v16, v12, s42
	v_add_nc_u32_e32 v8, v12, v14
	v_mul_lo_u32 v14, v11, s39
	s_delay_alu instid0(VALU_DEP_3) | instskip(NEXT) | instid1(VALU_DEP_3)
	v_sub_nc_u32_e32 v11, v11, v16
	v_lshrrev_b32_e32 v8, s15, v8
	s_delay_alu instid0(VALU_DEP_2) | instskip(SKIP_2) | instid1(VALU_DEP_4)
	v_mul_lo_u32 v16, v11, s48
	v_mul_lo_u32 v11, v11, s49
	v_sub_nc_u32_e32 v9, v9, v14
	v_mul_lo_u32 v17, v8, s13
	s_delay_alu instid0(VALU_DEP_2) | instskip(SKIP_1) | instid1(VALU_DEP_3)
	v_mul_lo_u32 v14, v9, s46
	v_mul_lo_u32 v9, v9, s47
	v_sub_nc_u32_e32 v12, v12, v17
	s_delay_alu instid0(VALU_DEP_3) | instskip(NEXT) | instid1(VALU_DEP_2)
	v_add3_u32 v1, v13, v1, v14
	v_mul_lo_u32 v17, v12, s50
	v_mul_lo_u32 v12, v12, s51
	v_add3_u32 v5, v15, v5, v9
	s_delay_alu instid0(VALU_DEP_3) | instskip(NEXT) | instid1(VALU_DEP_2)
	v_add3_u32 v1, v16, v1, v17
	v_add3_u32 v5, v11, v5, v12
	s_cbranch_scc1 .LBB47_1091
; %bb.1092:
	s_and_b32 s7, s7, 3
	s_delay_alu instid0(SALU_CYCLE_1)
	s_cmp_eq_u32 s7, 0
	s_cbranch_scc0 .LBB47_1095
	s_branch .LBB47_1097
.LBB47_1093:
	s_mov_b32 s6, -1
                                        ; implicit-def: $vgpr1
                                        ; implicit-def: $vgpr5
	s_branch .LBB47_1097
.LBB47_1094:
	v_dual_mov_b32 v8, v4 :: v_dual_mov_b32 v5, 0
	s_and_b32 s7, s7, 3
	s_delay_alu instid0(SALU_CYCLE_1)
	s_cmp_eq_u32 s7, 0
	s_cbranch_scc1 .LBB47_1097
.LBB47_1095:
	s_lshl_b32 s2, s10, 3
	s_mul_i32 s4, s10, 12
	s_add_u32 s2, s2, s16
	s_addc_u32 s3, 0, s17
	s_add_u32 s2, s2, 0xc4
	s_addc_u32 s3, s3, 0
	;; [unrolled: 2-line block ×3, first 2 shown]
	.p2align	6
.LBB47_1096:                            ; =>This Inner Loop Header: Depth=1
	s_clause 0x1
	s_load_b64 s[10:11], s[4:5], 0x4
	s_load_b32 s14, s[4:5], 0xc
	s_load_b64 s[12:13], s[2:3], 0x0
	s_add_u32 s4, s4, 12
	s_addc_u32 s5, s5, 0
	s_add_u32 s2, s2, 8
	s_addc_u32 s3, s3, 0
	s_add_i32 s7, s7, -1
	s_delay_alu instid0(SALU_CYCLE_1) | instskip(SKIP_2) | instid1(VALU_DEP_1)
	s_cmp_lg_u32 s7, 0
	s_waitcnt lgkmcnt(0)
	v_mul_hi_u32 v9, s11, v8
	v_add_nc_u32_e32 v9, v8, v9
	s_delay_alu instid0(VALU_DEP_1) | instskip(NEXT) | instid1(VALU_DEP_1)
	v_lshrrev_b32_e32 v9, s14, v9
	v_mul_lo_u32 v11, v9, s10
	s_delay_alu instid0(VALU_DEP_1) | instskip(NEXT) | instid1(VALU_DEP_1)
	v_sub_nc_u32_e32 v8, v8, v11
	v_mad_u64_u32 v[11:12], null, v8, s12, v[1:2]
	v_mad_u64_u32 v[12:13], null, v8, s13, v[5:6]
	s_delay_alu instid0(VALU_DEP_2) | instskip(NEXT) | instid1(VALU_DEP_2)
	v_dual_mov_b32 v8, v9 :: v_dual_mov_b32 v1, v11
	v_mov_b32_e32 v5, v12
	s_cbranch_scc1 .LBB47_1096
.LBB47_1097:
	s_and_not1_b32 vcc_lo, exec_lo, s6
	s_cbranch_vccnz .LBB47_1100
; %bb.1098:
	s_clause 0x1
	s_load_b128 s[4:7], s[16:17], 0x4
	s_load_b64 s[2:3], s[16:17], 0xc4
	s_cmp_lt_u32 s24, 2
	s_waitcnt lgkmcnt(0)
	v_mul_hi_u32 v1, s5, v4
	s_delay_alu instid0(VALU_DEP_1) | instskip(NEXT) | instid1(VALU_DEP_1)
	v_add_nc_u32_e32 v1, v4, v1
	v_lshrrev_b32_e32 v8, s6, v1
	s_delay_alu instid0(VALU_DEP_1) | instskip(NEXT) | instid1(VALU_DEP_1)
	v_mul_lo_u32 v1, v8, s4
	v_sub_nc_u32_e32 v4, v4, v1
	s_delay_alu instid0(VALU_DEP_1)
	v_mul_lo_u32 v1, v4, s2
	v_mul_lo_u32 v5, v4, s3
	s_cbranch_scc1 .LBB47_1100
; %bb.1099:
	s_clause 0x1
	s_load_b128 s[4:7], s[16:17], 0x10
	s_load_b64 s[2:3], s[16:17], 0xcc
	s_waitcnt lgkmcnt(0)
	v_mul_hi_u32 v4, s5, v8
	s_delay_alu instid0(VALU_DEP_1) | instskip(NEXT) | instid1(VALU_DEP_1)
	v_add_nc_u32_e32 v4, v8, v4
	v_lshrrev_b32_e32 v4, s6, v4
	s_delay_alu instid0(VALU_DEP_1) | instskip(NEXT) | instid1(VALU_DEP_1)
	v_mul_lo_u32 v4, v4, s4
	v_sub_nc_u32_e32 v4, v8, v4
	s_delay_alu instid0(VALU_DEP_1) | instskip(SKIP_1) | instid1(VALU_DEP_2)
	v_mad_u64_u32 v[8:9], null, v4, s2, v[1:2]
	v_mad_u64_u32 v[11:12], null, v4, s3, v[5:6]
	v_mov_b32_e32 v1, v8
	s_delay_alu instid0(VALU_DEP_2)
	v_mov_b32_e32 v5, v11
.LBB47_1100:
	v_cmp_ne_u32_e32 vcc_lo, 1, v0
	s_cbranch_vccnz .LBB47_1106
; %bb.1101:
	v_mov_b32_e32 v0, 0
	v_mov_b32_e32 v4, 0
	s_cmp_lg_u32 s24, 0
	s_mov_b32 s6, 0
	s_cbranch_scc0 .LBB47_1110
; %bb.1102:
	s_min_u32 s7, s25, 15
	v_mov_b32_e32 v0, 0
	s_add_i32 s7, s7, 1
	s_cmp_eq_u32 s25, 2
	s_mov_b32 s10, 0
	s_cbranch_scc1 .LBB47_1107
; %bb.1103:
	v_mov_b32_e32 v4, 0
	v_mov_b32_e32 v0, 0
	;; [unrolled: 1-line block ×3, first 2 shown]
	s_add_u32 s2, s16, 0xc4
	s_addc_u32 s3, s17, 0
	s_and_b32 s10, s7, 28
	s_mov_b32 s11, 0
	s_mov_b64 s[4:5], s[16:17]
.LBB47_1104:                            ; =>This Inner Loop Header: Depth=1
	s_clause 0x1
	s_load_b256 s[36:43], s[4:5], 0x4
	s_load_b128 s[12:15], s[4:5], 0x24
	s_load_b256 s[44:51], s[2:3], 0x0
	s_add_u32 s4, s4, 48
	s_addc_u32 s5, s5, 0
	s_add_i32 s11, s11, 4
	s_add_u32 s2, s2, 32
	s_addc_u32 s3, s3, 0
	s_cmp_lg_u32 s10, s11
	s_waitcnt lgkmcnt(0)
	v_mul_hi_u32 v9, s37, v8
	s_delay_alu instid0(VALU_DEP_1) | instskip(NEXT) | instid1(VALU_DEP_1)
	v_add_nc_u32_e32 v9, v8, v9
	v_lshrrev_b32_e32 v9, s38, v9
	s_delay_alu instid0(VALU_DEP_1) | instskip(SKIP_1) | instid1(VALU_DEP_2)
	v_mul_hi_u32 v11, s40, v9
	v_mul_lo_u32 v13, v9, s36
	v_add_nc_u32_e32 v11, v9, v11
	s_delay_alu instid0(VALU_DEP_2) | instskip(NEXT) | instid1(VALU_DEP_2)
	v_sub_nc_u32_e32 v8, v8, v13
	v_lshrrev_b32_e32 v11, s41, v11
	s_delay_alu instid0(VALU_DEP_2) | instskip(SKIP_1) | instid1(VALU_DEP_3)
	v_mul_lo_u32 v13, v8, s44
	v_mul_lo_u32 v15, v8, s45
	v_mul_hi_u32 v12, s43, v11
	s_delay_alu instid0(VALU_DEP_1) | instskip(NEXT) | instid1(VALU_DEP_1)
	v_add_nc_u32_e32 v12, v11, v12
	v_lshrrev_b32_e32 v12, s12, v12
	s_delay_alu instid0(VALU_DEP_1) | instskip(SKIP_1) | instid1(VALU_DEP_2)
	v_mul_hi_u32 v14, s14, v12
	v_mul_lo_u32 v16, v12, s42
	v_add_nc_u32_e32 v8, v12, v14
	v_mul_lo_u32 v14, v11, s39
	s_delay_alu instid0(VALU_DEP_3) | instskip(NEXT) | instid1(VALU_DEP_3)
	v_sub_nc_u32_e32 v11, v11, v16
	v_lshrrev_b32_e32 v8, s15, v8
	s_delay_alu instid0(VALU_DEP_2) | instskip(SKIP_2) | instid1(VALU_DEP_4)
	v_mul_lo_u32 v16, v11, s48
	v_mul_lo_u32 v11, v11, s49
	v_sub_nc_u32_e32 v9, v9, v14
	v_mul_lo_u32 v17, v8, s13
	s_delay_alu instid0(VALU_DEP_2) | instskip(SKIP_1) | instid1(VALU_DEP_3)
	v_mul_lo_u32 v14, v9, s46
	v_mul_lo_u32 v9, v9, s47
	v_sub_nc_u32_e32 v12, v12, v17
	s_delay_alu instid0(VALU_DEP_3) | instskip(NEXT) | instid1(VALU_DEP_2)
	v_add3_u32 v0, v13, v0, v14
	v_mul_lo_u32 v17, v12, s50
	v_mul_lo_u32 v12, v12, s51
	v_add3_u32 v4, v15, v4, v9
	s_delay_alu instid0(VALU_DEP_3) | instskip(NEXT) | instid1(VALU_DEP_2)
	v_add3_u32 v0, v16, v0, v17
	v_add3_u32 v4, v11, v4, v12
	s_cbranch_scc1 .LBB47_1104
; %bb.1105:
	s_and_b32 s7, s7, 3
	s_delay_alu instid0(SALU_CYCLE_1)
	s_cmp_eq_u32 s7, 0
	s_cbranch_scc0 .LBB47_1108
	s_branch .LBB47_1110
.LBB47_1106:
	s_mov_b32 s6, -1
                                        ; implicit-def: $vgpr0
                                        ; implicit-def: $vgpr4
	s_branch .LBB47_1110
.LBB47_1107:
	v_mov_b32_e32 v8, v10
	v_mov_b32_e32 v4, 0
	s_and_b32 s7, s7, 3
	s_delay_alu instid0(SALU_CYCLE_1)
	s_cmp_eq_u32 s7, 0
	s_cbranch_scc1 .LBB47_1110
.LBB47_1108:
	s_lshl_b32 s2, s10, 3
	s_mul_i32 s4, s10, 12
	s_add_u32 s2, s2, s16
	s_addc_u32 s3, 0, s17
	s_add_u32 s2, s2, 0xc4
	s_addc_u32 s3, s3, 0
	s_add_u32 s4, s16, s4
	s_addc_u32 s5, 0, s17
	.p2align	6
.LBB47_1109:                            ; =>This Inner Loop Header: Depth=1
	s_clause 0x1
	s_load_b64 s[10:11], s[4:5], 0x4
	s_load_b32 s14, s[4:5], 0xc
	s_load_b64 s[12:13], s[2:3], 0x0
	s_add_u32 s4, s4, 12
	s_addc_u32 s5, s5, 0
	s_add_u32 s2, s2, 8
	s_addc_u32 s3, s3, 0
	s_add_i32 s7, s7, -1
	s_delay_alu instid0(SALU_CYCLE_1) | instskip(SKIP_2) | instid1(VALU_DEP_1)
	s_cmp_lg_u32 s7, 0
	s_waitcnt lgkmcnt(0)
	v_mul_hi_u32 v9, s11, v8
	v_add_nc_u32_e32 v9, v8, v9
	s_delay_alu instid0(VALU_DEP_1) | instskip(NEXT) | instid1(VALU_DEP_1)
	v_lshrrev_b32_e32 v9, s14, v9
	v_mul_lo_u32 v11, v9, s10
	s_delay_alu instid0(VALU_DEP_1) | instskip(NEXT) | instid1(VALU_DEP_1)
	v_sub_nc_u32_e32 v8, v8, v11
	v_mad_u64_u32 v[11:12], null, v8, s12, v[0:1]
	v_mad_u64_u32 v[12:13], null, v8, s13, v[4:5]
	v_mov_b32_e32 v8, v9
	s_delay_alu instid0(VALU_DEP_3) | instskip(NEXT) | instid1(VALU_DEP_3)
	v_mov_b32_e32 v0, v11
	v_mov_b32_e32 v4, v12
	s_cbranch_scc1 .LBB47_1109
.LBB47_1110:
	s_and_not1_b32 vcc_lo, exec_lo, s6
	s_cbranch_vccnz .LBB47_1113
; %bb.1111:
	s_clause 0x1
	s_load_b128 s[4:7], s[16:17], 0x4
	s_load_b64 s[2:3], s[16:17], 0xc4
	s_cmp_lt_u32 s24, 2
	s_waitcnt lgkmcnt(0)
	v_mul_hi_u32 v0, s5, v10
	s_delay_alu instid0(VALU_DEP_1) | instskip(NEXT) | instid1(VALU_DEP_1)
	v_add_nc_u32_e32 v0, v10, v0
	v_lshrrev_b32_e32 v8, s6, v0
	s_delay_alu instid0(VALU_DEP_1) | instskip(NEXT) | instid1(VALU_DEP_1)
	v_mul_lo_u32 v0, v8, s4
	v_sub_nc_u32_e32 v4, v10, v0
	s_delay_alu instid0(VALU_DEP_1)
	v_mul_lo_u32 v0, v4, s2
	v_mul_lo_u32 v4, v4, s3
	s_cbranch_scc1 .LBB47_1113
; %bb.1112:
	s_clause 0x1
	s_load_b128 s[4:7], s[16:17], 0x10
	s_load_b64 s[2:3], s[16:17], 0xcc
	s_waitcnt lgkmcnt(0)
	v_mul_hi_u32 v9, s5, v8
	s_delay_alu instid0(VALU_DEP_1) | instskip(NEXT) | instid1(VALU_DEP_1)
	v_add_nc_u32_e32 v9, v8, v9
	v_lshrrev_b32_e32 v9, s6, v9
	s_delay_alu instid0(VALU_DEP_1) | instskip(NEXT) | instid1(VALU_DEP_1)
	v_mul_lo_u32 v9, v9, s4
	v_sub_nc_u32_e32 v11, v8, v9
	s_delay_alu instid0(VALU_DEP_1) | instskip(SKIP_1) | instid1(VALU_DEP_2)
	v_mad_u64_u32 v[8:9], null, v11, s2, v[0:1]
	v_mad_u64_u32 v[9:10], null, v11, s3, v[4:5]
	v_mov_b32_e32 v0, v8
	s_delay_alu instid0(VALU_DEP_2)
	v_mov_b32_e32 v4, v9
.LBB47_1113:
	s_clause 0x1
	s_load_b32 s0, s[0:1], 0x160
	s_load_b128 s[4:7], s[16:17], 0x148
	s_mov_b32 s3, 0
	s_waitcnt lgkmcnt(0)
	s_lshr_b32 s1, s0, 16
	s_delay_alu instid0(SALU_CYCLE_1) | instskip(SKIP_1) | instid1(VALU_DEP_1)
	v_and_b32_e64 v13, 0xff, s1
	v_add_co_u32 v7, s1, s6, v7
	v_add_co_ci_u32_e64 v8, null, s7, 0, s1
	s_delay_alu instid0(VALU_DEP_3)
	v_cmp_gt_i16_e32 vcc_lo, 11, v13
	s_cbranch_vccnz .LBB47_1120
; %bb.1114:
	v_cmp_lt_i16_e32 vcc_lo, 25, v13
	s_mov_b32 s2, 0
	s_cbranch_vccz .LBB47_1126
; %bb.1115:
	v_cmp_lt_i16_e32 vcc_lo, 28, v13
	s_cbranch_vccz .LBB47_1128
; %bb.1116:
	v_cmp_lt_i16_e32 vcc_lo, 43, v13
	;; [unrolled: 3-line block ×3, first 2 shown]
	s_cbranch_vccz .LBB47_1134
; %bb.1118:
	v_cmp_eq_u16_e32 vcc_lo, 46, v13
	s_mov_b32 s10, 0
	s_cbranch_vccz .LBB47_1176
; %bb.1119:
	global_load_b32 v9, v[7:8], off
	s_mov_b32 s1, 0
	s_mov_b32 s3, -1
	s_waitcnt vmcnt(0)
	v_lshlrev_b32_e32 v9, 16, v9
	s_delay_alu instid0(VALU_DEP_1)
	v_cvt_i32_f32_e32 v10, v9
	s_branch .LBB47_1178
.LBB47_1120:
	s_mov_b32 s1, s8
                                        ; implicit-def: $vgpr10
	s_cbranch_execz .LBB47_1236
; %bb.1121:
	v_cmp_gt_i16_e32 vcc_lo, 5, v13
	s_cbranch_vccnz .LBB47_1127
; %bb.1122:
	v_cmp_gt_i16_e32 vcc_lo, 8, v13
	s_cbranch_vccnz .LBB47_1129
	;; [unrolled: 3-line block ×3, first 2 shown]
; %bb.1124:
	v_cmp_lt_i16_e32 vcc_lo, 9, v13
	s_cbranch_vccz .LBB47_1135
; %bb.1125:
	global_load_b64 v[9:10], v[7:8], off
	s_mov_b32 s2, 0
	s_waitcnt vmcnt(0)
	v_cvt_i32_f64_e32 v10, v[9:10]
	s_branch .LBB47_1136
.LBB47_1126:
	s_mov_b32 s1, 0
                                        ; implicit-def: $vgpr10
	s_cbranch_execnz .LBB47_1203
	s_branch .LBB47_1232
.LBB47_1127:
                                        ; implicit-def: $vgpr10
	s_branch .LBB47_1153
.LBB47_1128:
	s_mov_b32 s1, 0
                                        ; implicit-def: $vgpr10
	s_cbranch_execz .LBB47_1202
	s_branch .LBB47_1187
.LBB47_1129:
                                        ; implicit-def: $vgpr10
	s_branch .LBB47_1142
.LBB47_1130:
	s_mov_b32 s1, 0
                                        ; implicit-def: $vgpr10
	s_cbranch_execnz .LBB47_1183
	s_branch .LBB47_1186
.LBB47_1131:
	s_mov_b32 s2, -1
                                        ; implicit-def: $vgpr10
	s_branch .LBB47_1139
.LBB47_1132:
	s_cbranch_execnz .LBB47_1174
; %bb.1133:
	s_or_b32 s3, s3, exec_lo
	s_and_not1_b32 s8, s8, exec_lo
	s_or_b32 exec_lo, exec_lo, s2
	s_and_saveexec_b32 s2, s8
	s_delay_alu instid0(SALU_CYCLE_1)
	s_xor_b32 s2, exec_lo, s2
	s_cbranch_execnz .LBB47_1020
	s_branch .LBB47_1021
.LBB47_1134:
	s_mov_b32 s10, -1
	s_mov_b32 s1, 0
	s_branch .LBB47_1177
.LBB47_1135:
	s_mov_b32 s2, -1
                                        ; implicit-def: $vgpr10
.LBB47_1136:
	s_delay_alu instid0(SALU_CYCLE_1)
	s_and_not1_b32 vcc_lo, exec_lo, s2
	s_cbranch_vccnz .LBB47_1138
; %bb.1137:
	global_load_b32 v9, v[7:8], off
	s_waitcnt vmcnt(0)
	v_cvt_i32_f32_e32 v10, v9
.LBB47_1138:
	s_mov_b32 s2, 0
.LBB47_1139:
	s_delay_alu instid0(SALU_CYCLE_1)
	s_and_not1_b32 vcc_lo, exec_lo, s2
	s_cbranch_vccnz .LBB47_1141
; %bb.1140:
	global_load_b32 v9, v[7:8], off
	s_waitcnt vmcnt(0)
	v_cvt_i16_f16_e32 v10, v9
.LBB47_1141:
	s_cbranch_execnz .LBB47_1152
.LBB47_1142:
	v_cmp_gt_i16_e32 vcc_lo, 6, v13
	s_cbranch_vccnz .LBB47_1145
; %bb.1143:
	v_cmp_lt_i16_e32 vcc_lo, 6, v13
	s_cbranch_vccz .LBB47_1146
; %bb.1144:
	global_load_b64 v[9:10], v[7:8], off
	s_mov_b32 s2, 0
	s_waitcnt vmcnt(0)
	v_cvt_i32_f64_e32 v10, v[9:10]
	s_branch .LBB47_1147
.LBB47_1145:
	s_mov_b32 s2, -1
                                        ; implicit-def: $vgpr10
	s_branch .LBB47_1150
.LBB47_1146:
	s_mov_b32 s2, -1
                                        ; implicit-def: $vgpr10
.LBB47_1147:
	s_delay_alu instid0(SALU_CYCLE_1)
	s_and_not1_b32 vcc_lo, exec_lo, s2
	s_cbranch_vccnz .LBB47_1149
; %bb.1148:
	global_load_b32 v9, v[7:8], off
	s_waitcnt vmcnt(0)
	v_cvt_i32_f32_e32 v10, v9
.LBB47_1149:
	s_mov_b32 s2, 0
.LBB47_1150:
	s_delay_alu instid0(SALU_CYCLE_1)
	s_and_not1_b32 vcc_lo, exec_lo, s2
	s_cbranch_vccnz .LBB47_1152
; %bb.1151:
	global_load_u16 v9, v[7:8], off
	s_waitcnt vmcnt(0)
	v_cvt_i16_f16_e32 v10, v9
.LBB47_1152:
	s_cbranch_execnz .LBB47_1171
.LBB47_1153:
	v_cmp_gt_i16_e32 vcc_lo, 2, v13
	s_cbranch_vccnz .LBB47_1157
; %bb.1154:
	v_cmp_gt_i16_e32 vcc_lo, 3, v13
	s_cbranch_vccnz .LBB47_1158
; %bb.1155:
	v_cmp_lt_i16_e32 vcc_lo, 3, v13
	s_cbranch_vccz .LBB47_1159
; %bb.1156:
	global_load_b64 v[10:11], v[7:8], off
	s_mov_b32 s2, 0
	s_branch .LBB47_1160
.LBB47_1157:
                                        ; implicit-def: $vgpr10
	s_branch .LBB47_1166
.LBB47_1158:
	s_mov_b32 s2, -1
                                        ; implicit-def: $vgpr10
	s_branch .LBB47_1163
.LBB47_1159:
	s_mov_b32 s2, -1
                                        ; implicit-def: $vgpr10
.LBB47_1160:
	s_delay_alu instid0(SALU_CYCLE_1)
	s_and_not1_b32 vcc_lo, exec_lo, s2
	s_cbranch_vccnz .LBB47_1162
; %bb.1161:
	global_load_b32 v10, v[7:8], off
.LBB47_1162:
	s_mov_b32 s2, 0
.LBB47_1163:
	s_delay_alu instid0(SALU_CYCLE_1)
	s_and_not1_b32 vcc_lo, exec_lo, s2
	s_cbranch_vccnz .LBB47_1165
; %bb.1164:
	global_load_u16 v10, v[7:8], off
.LBB47_1165:
	s_cbranch_execnz .LBB47_1171
.LBB47_1166:
	v_cmp_lt_i16_e32 vcc_lo, 0, v13
	s_mov_b32 s2, 0
	s_cbranch_vccz .LBB47_1168
; %bb.1167:
	global_load_i8 v10, v[7:8], off
	s_branch .LBB47_1169
.LBB47_1168:
	s_mov_b32 s2, -1
                                        ; implicit-def: $vgpr10
.LBB47_1169:
	s_delay_alu instid0(SALU_CYCLE_1)
	s_and_not1_b32 vcc_lo, exec_lo, s2
	s_cbranch_vccnz .LBB47_1171
; %bb.1170:
	global_load_u8 v10, v[7:8], off
.LBB47_1171:
	s_branch .LBB47_1237
.LBB47_1172:
	s_trap 2
	s_sendmsg_rtn_b32 s0, sendmsg(MSG_RTN_GET_DOORBELL)
	s_mov_b32 ttmp2, m0
	s_waitcnt lgkmcnt(0)
	s_and_b32 s0, s0, 0x3ff
	s_delay_alu instid0(SALU_CYCLE_1) | instskip(NEXT) | instid1(SALU_CYCLE_1)
	s_bitset1_b32 s0, 10
	s_mov_b32 m0, s0
	s_sendmsg sendmsg(MSG_INTERRUPT)
	s_mov_b32 m0, ttmp2
.LBB47_1173:                            ; =>This Inner Loop Header: Depth=1
	s_sethalt 5
	s_branch .LBB47_1173
.LBB47_1174:
	s_trap 2
	s_sendmsg_rtn_b32 s0, sendmsg(MSG_RTN_GET_DOORBELL)
	s_mov_b32 ttmp2, m0
	s_waitcnt lgkmcnt(0)
	s_and_b32 s0, s0, 0x3ff
	s_delay_alu instid0(SALU_CYCLE_1) | instskip(NEXT) | instid1(SALU_CYCLE_1)
	s_bitset1_b32 s0, 10
	s_mov_b32 m0, s0
	s_sendmsg sendmsg(MSG_INTERRUPT)
	s_mov_b32 m0, ttmp2
.LBB47_1175:                            ; =>This Inner Loop Header: Depth=1
	s_sethalt 5
	s_branch .LBB47_1175
.LBB47_1176:
	s_mov_b32 s1, -1
.LBB47_1177:
                                        ; implicit-def: $vgpr10
.LBB47_1178:
	s_and_b32 vcc_lo, exec_lo, s10
	s_cbranch_vccz .LBB47_1181
; %bb.1179:
	v_cmp_eq_u16_e32 vcc_lo, 44, v13
	s_cbranch_vccz .LBB47_1182
; %bb.1180:
	global_load_u8 v9, v[7:8], off
	s_mov_b32 s1, 0
	s_mov_b32 s3, -1
	s_waitcnt vmcnt(0)
	v_lshlrev_b32_e32 v10, 23, v9
	v_cmp_ne_u32_e32 vcc_lo, 0, v9
	s_delay_alu instid0(VALU_DEP_2) | instskip(NEXT) | instid1(VALU_DEP_1)
	v_cvt_i32_f32_e32 v10, v10
	v_cndmask_b32_e32 v10, 0, v10, vcc_lo
.LBB47_1181:
	s_branch .LBB47_1186
.LBB47_1182:
	s_mov_b32 s1, -1
                                        ; implicit-def: $vgpr10
	s_branch .LBB47_1186
.LBB47_1183:
	v_cmp_eq_u16_e32 vcc_lo, 29, v13
	s_cbranch_vccz .LBB47_1185
; %bb.1184:
	global_load_b64 v[10:11], v[7:8], off
	s_mov_b32 s1, 0
	s_mov_b32 s3, -1
	s_branch .LBB47_1186
.LBB47_1185:
	s_mov_b32 s1, -1
                                        ; implicit-def: $vgpr10
.LBB47_1186:
	s_branch .LBB47_1202
.LBB47_1187:
	v_cmp_gt_i16_e32 vcc_lo, 27, v13
	s_cbranch_vccnz .LBB47_1190
; %bb.1188:
	v_cmp_lt_i16_e32 vcc_lo, 27, v13
	s_cbranch_vccz .LBB47_1191
; %bb.1189:
	global_load_b32 v10, v[7:8], off
	s_mov_b32 s3, 0
	s_branch .LBB47_1192
.LBB47_1190:
	s_mov_b32 s3, -1
                                        ; implicit-def: $vgpr10
	s_branch .LBB47_1195
.LBB47_1191:
	s_mov_b32 s3, -1
                                        ; implicit-def: $vgpr10
.LBB47_1192:
	s_delay_alu instid0(SALU_CYCLE_1)
	s_and_not1_b32 vcc_lo, exec_lo, s3
	s_cbranch_vccnz .LBB47_1194
; %bb.1193:
	global_load_u16 v10, v[7:8], off
.LBB47_1194:
	s_mov_b32 s3, 0
.LBB47_1195:
	s_delay_alu instid0(SALU_CYCLE_1)
	s_and_not1_b32 vcc_lo, exec_lo, s3
	s_cbranch_vccnz .LBB47_1201
; %bb.1196:
	global_load_u8 v9, v[7:8], off
	s_mov_b32 s3, 0
	s_mov_b32 s10, exec_lo
                                        ; implicit-def: $sgpr11
	s_waitcnt vmcnt(0)
	v_cmpx_lt_i16_e32 0x7f, v9
	s_xor_b32 s10, exec_lo, s10
	s_cbranch_execz .LBB47_1212
; %bb.1197:
	v_cmp_ne_u16_e32 vcc_lo, 0x80, v9
	s_mov_b32 s11, 0
	s_and_b32 s3, vcc_lo, exec_lo
	s_or_saveexec_b32 s10, s10
	v_mov_b32_e32 v10, s11
	s_xor_b32 exec_lo, exec_lo, s10
	s_cbranch_execnz .LBB47_1213
.LBB47_1198:
	s_or_b32 exec_lo, exec_lo, s10
	s_and_saveexec_b32 s10, s3
	s_cbranch_execz .LBB47_1200
.LBB47_1199:
	v_and_b32_e32 v10, 0xffff, v9
	v_lshlrev_b32_e32 v9, 24, v9
	s_delay_alu instid0(VALU_DEP_2) | instskip(NEXT) | instid1(VALU_DEP_2)
	v_and_b32_e32 v11, 7, v10
	v_and_b32_e32 v9, 0x80000000, v9
	s_delay_alu instid0(VALU_DEP_2) | instskip(NEXT) | instid1(VALU_DEP_1)
	v_clz_i32_u32_e32 v12, v11
	v_min_u32_e32 v12, 32, v12
	s_delay_alu instid0(VALU_DEP_1) | instskip(SKIP_1) | instid1(VALU_DEP_2)
	v_subrev_nc_u32_e32 v14, 28, v12
	v_sub_nc_u32_e32 v12, 29, v12
	v_lshlrev_b32_e32 v14, v14, v10
	v_bfe_u32 v10, v10, 3, 4
	s_delay_alu instid0(VALU_DEP_2) | instskip(NEXT) | instid1(VALU_DEP_2)
	v_and_b32_e32 v14, 7, v14
	v_cmp_eq_u32_e32 vcc_lo, 0, v10
	s_delay_alu instid0(VALU_DEP_2) | instskip(NEXT) | instid1(VALU_DEP_1)
	v_dual_cndmask_b32 v10, v10, v12 :: v_dual_cndmask_b32 v11, v11, v14
	v_lshl_add_u32 v10, v10, 23, 0x3b800000
	s_delay_alu instid0(VALU_DEP_2) | instskip(NEXT) | instid1(VALU_DEP_1)
	v_lshlrev_b32_e32 v11, 20, v11
	v_or3_b32 v9, v9, v10, v11
	s_delay_alu instid0(VALU_DEP_1)
	v_cvt_i32_f32_e32 v10, v9
.LBB47_1200:
	s_or_b32 exec_lo, exec_lo, s10
.LBB47_1201:
	s_mov_b32 s3, -1
.LBB47_1202:
	s_branch .LBB47_1232
.LBB47_1203:
	v_cmp_lt_i16_e32 vcc_lo, 22, v13
	s_cbranch_vccz .LBB47_1211
; %bb.1204:
	v_cmp_gt_i16_e32 vcc_lo, 24, v13
	s_cbranch_vccnz .LBB47_1214
; %bb.1205:
	v_cmp_lt_i16_e32 vcc_lo, 24, v13
	s_cbranch_vccz .LBB47_1215
; %bb.1206:
	global_load_u8 v9, v[7:8], off
	s_mov_b32 s3, exec_lo
                                        ; implicit-def: $sgpr10
	s_waitcnt vmcnt(0)
	v_cmpx_lt_i16_e32 0x7f, v9
	s_xor_b32 s3, exec_lo, s3
	s_cbranch_execz .LBB47_1226
; %bb.1207:
	v_cmp_ne_u16_e32 vcc_lo, 0x80, v9
	s_mov_b32 s10, 0
	s_and_b32 s2, vcc_lo, exec_lo
	s_or_saveexec_b32 s3, s3
	v_mov_b32_e32 v10, s10
	s_xor_b32 exec_lo, exec_lo, s3
	s_cbranch_execnz .LBB47_1227
.LBB47_1208:
	s_or_b32 exec_lo, exec_lo, s3
	s_and_saveexec_b32 s3, s2
	s_cbranch_execz .LBB47_1210
.LBB47_1209:
	v_and_b32_e32 v10, 0xffff, v9
	v_lshlrev_b32_e32 v9, 24, v9
	s_delay_alu instid0(VALU_DEP_2) | instskip(NEXT) | instid1(VALU_DEP_2)
	v_and_b32_e32 v11, 3, v10
	v_and_b32_e32 v9, 0x80000000, v9
	s_delay_alu instid0(VALU_DEP_2) | instskip(NEXT) | instid1(VALU_DEP_1)
	v_clz_i32_u32_e32 v12, v11
	v_min_u32_e32 v12, 32, v12
	s_delay_alu instid0(VALU_DEP_1) | instskip(SKIP_1) | instid1(VALU_DEP_2)
	v_subrev_nc_u32_e32 v14, 29, v12
	v_sub_nc_u32_e32 v12, 30, v12
	v_lshlrev_b32_e32 v14, v14, v10
	v_bfe_u32 v10, v10, 2, 5
	s_delay_alu instid0(VALU_DEP_2) | instskip(NEXT) | instid1(VALU_DEP_2)
	v_and_b32_e32 v14, 3, v14
	v_cmp_eq_u32_e32 vcc_lo, 0, v10
	s_delay_alu instid0(VALU_DEP_2) | instskip(NEXT) | instid1(VALU_DEP_1)
	v_dual_cndmask_b32 v10, v10, v12 :: v_dual_cndmask_b32 v11, v11, v14
	v_lshl_add_u32 v10, v10, 23, 0x37800000
	s_delay_alu instid0(VALU_DEP_2) | instskip(NEXT) | instid1(VALU_DEP_1)
	v_lshlrev_b32_e32 v11, 21, v11
	v_or3_b32 v9, v9, v10, v11
	s_delay_alu instid0(VALU_DEP_1)
	v_cvt_i32_f32_e32 v10, v9
.LBB47_1210:
	s_or_b32 exec_lo, exec_lo, s3
	s_mov_b32 s2, 0
	s_branch .LBB47_1216
.LBB47_1211:
                                        ; implicit-def: $vgpr10
	s_mov_b32 s2, 0
	s_branch .LBB47_1222
.LBB47_1212:
	s_or_saveexec_b32 s10, s10
	v_mov_b32_e32 v10, s11
	s_xor_b32 exec_lo, exec_lo, s10
	s_cbranch_execz .LBB47_1198
.LBB47_1213:
	v_cmp_ne_u16_e32 vcc_lo, 0, v9
	v_mov_b32_e32 v10, 0
	s_and_not1_b32 s3, s3, exec_lo
	s_and_b32 s11, vcc_lo, exec_lo
	s_delay_alu instid0(SALU_CYCLE_1)
	s_or_b32 s3, s3, s11
	s_or_b32 exec_lo, exec_lo, s10
	s_and_saveexec_b32 s10, s3
	s_cbranch_execnz .LBB47_1199
	s_branch .LBB47_1200
.LBB47_1214:
	s_mov_b32 s2, -1
                                        ; implicit-def: $vgpr10
	s_branch .LBB47_1219
.LBB47_1215:
	s_mov_b32 s2, -1
                                        ; implicit-def: $vgpr10
.LBB47_1216:
	s_delay_alu instid0(SALU_CYCLE_1)
	s_and_b32 vcc_lo, exec_lo, s2
	s_cbranch_vccz .LBB47_1218
; %bb.1217:
	global_load_u8 v9, v[7:8], off
	s_waitcnt vmcnt(0)
	v_lshlrev_b32_e32 v9, 24, v9
	s_delay_alu instid0(VALU_DEP_1) | instskip(NEXT) | instid1(VALU_DEP_1)
	v_and_b32_e32 v10, 0x7f000000, v9
	v_clz_i32_u32_e32 v11, v10
	v_add_nc_u32_e32 v14, 0x1000000, v10
	v_cmp_ne_u32_e32 vcc_lo, 0, v10
	s_delay_alu instid0(VALU_DEP_3) | instskip(NEXT) | instid1(VALU_DEP_1)
	v_min_u32_e32 v11, 32, v11
	v_sub_nc_u32_e64 v11, v11, 4 clamp
	s_delay_alu instid0(VALU_DEP_1) | instskip(SKIP_1) | instid1(VALU_DEP_2)
	v_lshlrev_b32_e32 v12, v11, v10
	v_lshlrev_b32_e32 v11, 23, v11
	v_lshrrev_b32_e32 v12, 4, v12
	s_delay_alu instid0(VALU_DEP_1) | instskip(SKIP_1) | instid1(VALU_DEP_2)
	v_sub_nc_u32_e32 v11, v12, v11
	v_ashrrev_i32_e32 v12, 8, v14
	v_add_nc_u32_e32 v11, 0x3c000000, v11
	s_delay_alu instid0(VALU_DEP_1) | instskip(NEXT) | instid1(VALU_DEP_1)
	v_and_or_b32 v11, 0x7f800000, v12, v11
	v_cndmask_b32_e32 v10, 0, v11, vcc_lo
	s_delay_alu instid0(VALU_DEP_1) | instskip(NEXT) | instid1(VALU_DEP_1)
	v_and_or_b32 v9, 0x80000000, v9, v10
	v_cvt_i32_f32_e32 v10, v9
.LBB47_1218:
	s_mov_b32 s2, 0
.LBB47_1219:
	s_delay_alu instid0(SALU_CYCLE_1)
	s_and_not1_b32 vcc_lo, exec_lo, s2
	s_cbranch_vccnz .LBB47_1221
; %bb.1220:
	global_load_u8 v9, v[7:8], off
	s_waitcnt vmcnt(0)
	v_lshlrev_b32_e32 v10, 25, v9
	v_lshlrev_b16 v9, 8, v9
	s_delay_alu instid0(VALU_DEP_2) | instskip(NEXT) | instid1(VALU_DEP_2)
	v_lshrrev_b32_e32 v11, 4, v10
	v_and_or_b32 v12, 0x7f00, v9, 0.5
	v_bfe_i32 v9, v9, 0, 16
	s_delay_alu instid0(VALU_DEP_3) | instskip(NEXT) | instid1(VALU_DEP_1)
	v_or_b32_e32 v11, 0x70000000, v11
	v_dual_add_f32 v12, -0.5, v12 :: v_dual_mul_f32 v11, 0x7800000, v11
	v_cmp_gt_u32_e32 vcc_lo, 0x8000000, v10
	s_delay_alu instid0(VALU_DEP_2) | instskip(NEXT) | instid1(VALU_DEP_1)
	v_cndmask_b32_e32 v10, v11, v12, vcc_lo
	v_and_or_b32 v9, 0x80000000, v9, v10
	s_delay_alu instid0(VALU_DEP_1)
	v_cvt_i32_f32_e32 v10, v9
.LBB47_1221:
	s_mov_b32 s3, -1
	s_mov_b32 s2, 0
	s_cbranch_execnz .LBB47_1232
.LBB47_1222:
	v_cmp_lt_i16_e32 vcc_lo, 14, v13
	s_cbranch_vccz .LBB47_1225
; %bb.1223:
	v_cmp_eq_u16_e32 vcc_lo, 15, v13
	s_cbranch_vccz .LBB47_1228
; %bb.1224:
	global_load_u16 v9, v[7:8], off
	s_mov_b32 s1, 0
	s_mov_b32 s3, -1
	s_waitcnt vmcnt(0)
	v_lshlrev_b32_e32 v9, 16, v9
	s_delay_alu instid0(VALU_DEP_1)
	v_cvt_i32_f32_e32 v10, v9
	s_branch .LBB47_1230
.LBB47_1225:
	s_mov_b32 s2, -1
	s_branch .LBB47_1229
.LBB47_1226:
	s_or_saveexec_b32 s3, s3
	v_mov_b32_e32 v10, s10
	s_xor_b32 exec_lo, exec_lo, s3
	s_cbranch_execz .LBB47_1208
.LBB47_1227:
	v_cmp_ne_u16_e32 vcc_lo, 0, v9
	v_mov_b32_e32 v10, 0
	s_and_not1_b32 s2, s2, exec_lo
	s_and_b32 s10, vcc_lo, exec_lo
	s_delay_alu instid0(SALU_CYCLE_1)
	s_or_b32 s2, s2, s10
	s_or_b32 exec_lo, exec_lo, s3
	s_and_saveexec_b32 s3, s2
	s_cbranch_execnz .LBB47_1209
	s_branch .LBB47_1210
.LBB47_1228:
	s_mov_b32 s1, -1
.LBB47_1229:
                                        ; implicit-def: $vgpr10
.LBB47_1230:
	s_and_b32 vcc_lo, exec_lo, s2
	s_mov_b32 s2, 0
	s_cbranch_vccz .LBB47_1232
; %bb.1231:
	v_cmp_ne_u16_e64 s1, 11, v13
	s_mov_b32 s2, -1
                                        ; implicit-def: $vgpr10
.LBB47_1232:
	s_delay_alu instid0(VALU_DEP_1)
	s_and_b32 vcc_lo, exec_lo, s1
	s_mov_b32 s1, s8
	s_cbranch_vccnz .LBB47_1256
; %bb.1233:
	s_and_not1_b32 vcc_lo, exec_lo, s2
	s_cbranch_vccnz .LBB47_1235
.LBB47_1234:
	global_load_u8 v9, v[7:8], off
	s_mov_b32 s3, -1
	s_waitcnt vmcnt(0)
	v_cmp_ne_u16_e32 vcc_lo, 0, v9
	v_cndmask_b32_e64 v10, 0, 1, vcc_lo
.LBB47_1235:
.LBB47_1236:
	s_and_not1_b32 vcc_lo, exec_lo, s3
	s_cbranch_vccnz .LBB47_1430
.LBB47_1237:
	v_cmp_gt_i16_e32 vcc_lo, 11, v13
	v_add_co_u32 v6, s2, s6, v6
	s_delay_alu instid0(VALU_DEP_1)
	v_add_co_ci_u32_e64 v7, null, s7, 0, s2
	s_mov_b32 s10, 0
	s_cbranch_vccnz .LBB47_1244
; %bb.1238:
	v_cmp_lt_i16_e32 vcc_lo, 25, v13
	s_mov_b32 s3, 0
	s_cbranch_vccz .LBB47_1250
; %bb.1239:
	v_cmp_lt_i16_e32 vcc_lo, 28, v13
	s_cbranch_vccz .LBB47_1252
; %bb.1240:
	v_cmp_lt_i16_e32 vcc_lo, 43, v13
	;; [unrolled: 3-line block ×3, first 2 shown]
	s_cbranch_vccz .LBB47_1260
; %bb.1242:
	v_cmp_eq_u16_e32 vcc_lo, 46, v13
	s_mov_b32 s11, 0
	s_cbranch_vccz .LBB47_1304
; %bb.1243:
	global_load_b32 v8, v[6:7], off
	s_mov_b32 s2, 0
	s_mov_b32 s10, -1
	s_waitcnt vmcnt(0)
	v_lshlrev_b32_e32 v8, 16, v8
	s_delay_alu instid0(VALU_DEP_1)
	v_cvt_i32_f32_e32 v8, v8
	s_branch .LBB47_1306
.LBB47_1244:
                                        ; implicit-def: $vgpr8
	s_cbranch_execz .LBB47_1367
; %bb.1245:
	v_cmp_gt_i16_e32 vcc_lo, 5, v13
	s_cbranch_vccnz .LBB47_1251
; %bb.1246:
	v_cmp_gt_i16_e32 vcc_lo, 8, v13
	s_cbranch_vccnz .LBB47_1253
	;; [unrolled: 3-line block ×3, first 2 shown]
; %bb.1248:
	v_cmp_lt_i16_e32 vcc_lo, 9, v13
	s_cbranch_vccz .LBB47_1261
; %bb.1249:
	global_load_b64 v[8:9], v[6:7], off
	s_mov_b32 s2, 0
	s_waitcnt vmcnt(0)
	v_cvt_i32_f64_e32 v8, v[8:9]
	s_branch .LBB47_1262
.LBB47_1250:
	s_mov_b32 s2, 0
                                        ; implicit-def: $vgpr8
	s_cbranch_execnz .LBB47_1333
	s_branch .LBB47_1363
.LBB47_1251:
                                        ; implicit-def: $vgpr8
	s_branch .LBB47_1280
.LBB47_1252:
	s_mov_b32 s11, -1
	s_mov_b32 s2, 0
                                        ; implicit-def: $vgpr8
	s_branch .LBB47_1316
.LBB47_1253:
	s_mov_b32 s2, -1
                                        ; implicit-def: $vgpr8
	s_branch .LBB47_1268
.LBB47_1254:
	s_mov_b32 s11, -1
	s_mov_b32 s2, 0
                                        ; implicit-def: $vgpr8
	s_branch .LBB47_1311
.LBB47_1255:
	s_mov_b32 s2, -1
                                        ; implicit-def: $vgpr8
	s_branch .LBB47_1265
.LBB47_1256:
	s_cbranch_execnz .LBB47_1300
; %bb.1257:
	s_or_b32 s1, s8, exec_lo
                                        ; implicit-def: $vgpr10
	s_cbranch_execz .LBB47_1234
	s_branch .LBB47_1235
.LBB47_1258:
	s_or_saveexec_b32 s7, s7
                                        ; implicit-def: $sgpr8
	s_delay_alu instid0(SALU_CYCLE_1)
	s_xor_b32 exec_lo, exec_lo, s7
	s_cbranch_execz .LBB47_971
.LBB47_1259:
	v_add_f32_e64 v5, 0x46000000, |v2|
	s_and_not1_b32 s5, s5, exec_lo
	s_mov_b32 s8, 0
	s_delay_alu instid0(VALU_DEP_1) | instskip(NEXT) | instid1(VALU_DEP_1)
	v_and_b32_e32 v5, 0xff, v5
	v_cmp_ne_u32_e32 vcc_lo, 0, v5
	s_and_b32 s9, vcc_lo, exec_lo
	s_delay_alu instid0(SALU_CYCLE_1)
	s_or_b32 s5, s5, s9
	s_or_b32 exec_lo, exec_lo, s7
	v_mov_b32_e32 v7, s8
	s_and_saveexec_b32 s7, s5
	s_cbranch_execnz .LBB47_972
	s_branch .LBB47_973
.LBB47_1260:
	s_mov_b32 s11, -1
	s_mov_b32 s2, 0
	s_branch .LBB47_1305
.LBB47_1261:
	s_mov_b32 s2, -1
                                        ; implicit-def: $vgpr8
.LBB47_1262:
	s_delay_alu instid0(SALU_CYCLE_1)
	s_and_not1_b32 vcc_lo, exec_lo, s2
	s_cbranch_vccnz .LBB47_1264
; %bb.1263:
	global_load_b32 v8, v[6:7], off
	s_waitcnt vmcnt(0)
	v_cvt_i32_f32_e32 v8, v8
.LBB47_1264:
	s_mov_b32 s2, 0
.LBB47_1265:
	s_delay_alu instid0(SALU_CYCLE_1)
	s_and_not1_b32 vcc_lo, exec_lo, s2
	s_cbranch_vccnz .LBB47_1267
; %bb.1266:
	global_load_b32 v8, v[6:7], off
	s_waitcnt vmcnt(0)
	v_cvt_i16_f16_e32 v8, v8
.LBB47_1267:
	s_mov_b32 s2, 0
.LBB47_1268:
	s_delay_alu instid0(SALU_CYCLE_1)
	s_and_not1_b32 vcc_lo, exec_lo, s2
	s_cbranch_vccnz .LBB47_1279
; %bb.1269:
	v_cmp_gt_i16_e32 vcc_lo, 6, v13
	s_cbranch_vccnz .LBB47_1272
; %bb.1270:
	v_cmp_lt_i16_e32 vcc_lo, 6, v13
	s_cbranch_vccz .LBB47_1273
; %bb.1271:
	global_load_b64 v[8:9], v[6:7], off
	s_mov_b32 s2, 0
	s_waitcnt vmcnt(0)
	v_cvt_i32_f64_e32 v8, v[8:9]
	s_branch .LBB47_1274
.LBB47_1272:
	s_mov_b32 s2, -1
                                        ; implicit-def: $vgpr8
	s_branch .LBB47_1277
.LBB47_1273:
	s_mov_b32 s2, -1
                                        ; implicit-def: $vgpr8
.LBB47_1274:
	s_delay_alu instid0(SALU_CYCLE_1)
	s_and_not1_b32 vcc_lo, exec_lo, s2
	s_cbranch_vccnz .LBB47_1276
; %bb.1275:
	global_load_b32 v8, v[6:7], off
	s_waitcnt vmcnt(0)
	v_cvt_i32_f32_e32 v8, v8
.LBB47_1276:
	s_mov_b32 s2, 0
.LBB47_1277:
	s_delay_alu instid0(SALU_CYCLE_1)
	s_and_not1_b32 vcc_lo, exec_lo, s2
	s_cbranch_vccnz .LBB47_1279
; %bb.1278:
	global_load_u16 v8, v[6:7], off
	s_waitcnt vmcnt(0)
	v_cvt_i16_f16_e32 v8, v8
.LBB47_1279:
	s_cbranch_execnz .LBB47_1299
.LBB47_1280:
	v_cmp_gt_i16_e32 vcc_lo, 2, v13
	s_cbranch_vccnz .LBB47_1284
; %bb.1281:
	v_cmp_gt_i16_e32 vcc_lo, 3, v13
	s_cbranch_vccnz .LBB47_1285
; %bb.1282:
	v_cmp_lt_i16_e32 vcc_lo, 3, v13
	s_cbranch_vccz .LBB47_1286
; %bb.1283:
	global_load_b64 v[8:9], v[6:7], off
	s_mov_b32 s2, 0
	s_branch .LBB47_1287
.LBB47_1284:
	s_mov_b32 s2, -1
                                        ; implicit-def: $vgpr8
	s_branch .LBB47_1293
.LBB47_1285:
	s_mov_b32 s2, -1
                                        ; implicit-def: $vgpr8
	s_branch .LBB47_1290
.LBB47_1286:
	s_mov_b32 s2, -1
                                        ; implicit-def: $vgpr8
.LBB47_1287:
	s_delay_alu instid0(SALU_CYCLE_1)
	s_and_not1_b32 vcc_lo, exec_lo, s2
	s_cbranch_vccnz .LBB47_1289
; %bb.1288:
	global_load_b32 v8, v[6:7], off
.LBB47_1289:
	s_mov_b32 s2, 0
.LBB47_1290:
	s_delay_alu instid0(SALU_CYCLE_1)
	s_and_not1_b32 vcc_lo, exec_lo, s2
	s_cbranch_vccnz .LBB47_1292
; %bb.1291:
	global_load_u16 v8, v[6:7], off
.LBB47_1292:
	s_mov_b32 s2, 0
.LBB47_1293:
	s_delay_alu instid0(SALU_CYCLE_1)
	s_and_not1_b32 vcc_lo, exec_lo, s2
	s_cbranch_vccnz .LBB47_1299
; %bb.1294:
	v_cmp_lt_i16_e32 vcc_lo, 0, v13
	s_mov_b32 s2, 0
	s_cbranch_vccz .LBB47_1296
; %bb.1295:
	global_load_i8 v8, v[6:7], off
	s_branch .LBB47_1297
.LBB47_1296:
	s_mov_b32 s2, -1
                                        ; implicit-def: $vgpr8
.LBB47_1297:
	s_delay_alu instid0(SALU_CYCLE_1)
	s_and_not1_b32 vcc_lo, exec_lo, s2
	s_cbranch_vccnz .LBB47_1299
; %bb.1298:
	global_load_u8 v8, v[6:7], off
.LBB47_1299:
	s_branch .LBB47_1368
.LBB47_1300:
	s_trap 2
	s_sendmsg_rtn_b32 s0, sendmsg(MSG_RTN_GET_DOORBELL)
	s_mov_b32 ttmp2, m0
	s_waitcnt lgkmcnt(0)
	s_and_b32 s0, s0, 0x3ff
	s_delay_alu instid0(SALU_CYCLE_1) | instskip(NEXT) | instid1(SALU_CYCLE_1)
	s_bitset1_b32 s0, 10
	s_mov_b32 m0, s0
	s_sendmsg sendmsg(MSG_INTERRUPT)
	s_mov_b32 m0, ttmp2
.LBB47_1301:                            ; =>This Inner Loop Header: Depth=1
	s_sethalt 5
	s_branch .LBB47_1301
.LBB47_1302:
	s_or_saveexec_b32 s8, s8
                                        ; implicit-def: $sgpr9
	s_delay_alu instid0(SALU_CYCLE_1)
	s_xor_b32 exec_lo, exec_lo, s8
	s_cbranch_execz .LBB47_983
.LBB47_1303:
	v_add_f32_e64 v5, 0x42800000, |v2|
	s_and_not1_b32 s5, s5, exec_lo
	s_mov_b32 s9, 0
	s_delay_alu instid0(VALU_DEP_1) | instskip(NEXT) | instid1(VALU_DEP_1)
	v_and_b32_e32 v5, 0xff, v5
	v_cmp_ne_u32_e32 vcc_lo, 0, v5
	s_and_b32 s10, vcc_lo, exec_lo
	s_delay_alu instid0(SALU_CYCLE_1)
	s_or_b32 s5, s5, s10
	s_or_b32 exec_lo, exec_lo, s8
	v_mov_b32_e32 v7, s9
	s_and_saveexec_b32 s8, s5
	s_cbranch_execnz .LBB47_984
	s_branch .LBB47_985
.LBB47_1304:
	s_mov_b32 s2, -1
.LBB47_1305:
                                        ; implicit-def: $vgpr8
.LBB47_1306:
	s_and_b32 vcc_lo, exec_lo, s11
	s_cbranch_vccz .LBB47_1310
; %bb.1307:
	v_cmp_eq_u16_e32 vcc_lo, 44, v13
	s_cbranch_vccz .LBB47_1309
; %bb.1308:
	global_load_u8 v8, v[6:7], off
	s_mov_b32 s2, 0
	s_mov_b32 s10, -1
	s_waitcnt vmcnt(0)
	v_lshlrev_b32_e32 v9, 23, v8
	v_cmp_ne_u32_e32 vcc_lo, 0, v8
	s_delay_alu instid0(VALU_DEP_2) | instskip(NEXT) | instid1(VALU_DEP_1)
	v_cvt_i32_f32_e32 v9, v9
	v_cndmask_b32_e32 v8, 0, v9, vcc_lo
	s_branch .LBB47_1310
.LBB47_1309:
	s_mov_b32 s2, -1
                                        ; implicit-def: $vgpr8
.LBB47_1310:
	s_mov_b32 s11, 0
.LBB47_1311:
	s_delay_alu instid0(SALU_CYCLE_1)
	s_and_b32 vcc_lo, exec_lo, s11
	s_cbranch_vccz .LBB47_1315
; %bb.1312:
	v_cmp_eq_u16_e32 vcc_lo, 29, v13
	s_cbranch_vccz .LBB47_1314
; %bb.1313:
	global_load_b64 v[8:9], v[6:7], off
	s_mov_b32 s2, 0
	s_mov_b32 s10, -1
	s_branch .LBB47_1315
.LBB47_1314:
	s_mov_b32 s2, -1
                                        ; implicit-def: $vgpr8
.LBB47_1315:
	s_mov_b32 s11, 0
.LBB47_1316:
	s_delay_alu instid0(SALU_CYCLE_1)
	s_and_b32 vcc_lo, exec_lo, s11
	s_cbranch_vccz .LBB47_1332
; %bb.1317:
	v_cmp_gt_i16_e32 vcc_lo, 27, v13
	s_cbranch_vccnz .LBB47_1320
; %bb.1318:
	v_cmp_lt_i16_e32 vcc_lo, 27, v13
	s_cbranch_vccz .LBB47_1321
; %bb.1319:
	global_load_b32 v8, v[6:7], off
	s_mov_b32 s10, 0
	s_branch .LBB47_1322
.LBB47_1320:
	s_mov_b32 s10, -1
                                        ; implicit-def: $vgpr8
	s_branch .LBB47_1325
.LBB47_1321:
	s_mov_b32 s10, -1
                                        ; implicit-def: $vgpr8
.LBB47_1322:
	s_delay_alu instid0(SALU_CYCLE_1)
	s_and_not1_b32 vcc_lo, exec_lo, s10
	s_cbranch_vccnz .LBB47_1324
; %bb.1323:
	global_load_u16 v8, v[6:7], off
.LBB47_1324:
	s_mov_b32 s10, 0
.LBB47_1325:
	s_delay_alu instid0(SALU_CYCLE_1)
	s_and_not1_b32 vcc_lo, exec_lo, s10
	s_cbranch_vccnz .LBB47_1331
; %bb.1326:
	global_load_u8 v9, v[6:7], off
	s_mov_b32 s10, 0
	s_mov_b32 s11, exec_lo
                                        ; implicit-def: $sgpr12
	s_waitcnt vmcnt(0)
	v_cmpx_lt_i16_e32 0x7f, v9
	s_xor_b32 s11, exec_lo, s11
	s_cbranch_execz .LBB47_1342
; %bb.1327:
	v_cmp_ne_u16_e32 vcc_lo, 0x80, v9
	s_mov_b32 s12, 0
	s_and_b32 s10, vcc_lo, exec_lo
	s_or_saveexec_b32 s11, s11
	v_mov_b32_e32 v8, s12
	s_xor_b32 exec_lo, exec_lo, s11
	s_cbranch_execnz .LBB47_1343
.LBB47_1328:
	s_or_b32 exec_lo, exec_lo, s11
	s_and_saveexec_b32 s11, s10
	s_cbranch_execz .LBB47_1330
.LBB47_1329:
	v_and_b32_e32 v8, 0xffff, v9
	s_delay_alu instid0(VALU_DEP_1) | instskip(NEXT) | instid1(VALU_DEP_1)
	v_and_b32_e32 v11, 7, v8
	v_clz_i32_u32_e32 v12, v11
	s_delay_alu instid0(VALU_DEP_1) | instskip(NEXT) | instid1(VALU_DEP_1)
	v_min_u32_e32 v12, 32, v12
	v_subrev_nc_u32_e32 v14, 28, v12
	v_sub_nc_u32_e32 v12, 29, v12
	s_delay_alu instid0(VALU_DEP_2) | instskip(SKIP_1) | instid1(VALU_DEP_2)
	v_lshlrev_b32_e32 v14, v14, v8
	v_bfe_u32 v8, v8, 3, 4
	v_and_b32_e32 v14, 7, v14
	s_delay_alu instid0(VALU_DEP_2) | instskip(SKIP_1) | instid1(VALU_DEP_3)
	v_cmp_eq_u32_e32 vcc_lo, 0, v8
	v_dual_cndmask_b32 v8, v8, v12 :: v_dual_lshlrev_b32 v9, 24, v9
	v_cndmask_b32_e32 v11, v11, v14, vcc_lo
	s_delay_alu instid0(VALU_DEP_2) | instskip(NEXT) | instid1(VALU_DEP_3)
	v_and_b32_e32 v9, 0x80000000, v9
	v_lshl_add_u32 v8, v8, 23, 0x3b800000
	s_delay_alu instid0(VALU_DEP_3) | instskip(NEXT) | instid1(VALU_DEP_1)
	v_lshlrev_b32_e32 v11, 20, v11
	v_or3_b32 v8, v9, v8, v11
	s_delay_alu instid0(VALU_DEP_1)
	v_cvt_i32_f32_e32 v8, v8
.LBB47_1330:
	s_or_b32 exec_lo, exec_lo, s11
.LBB47_1331:
	s_mov_b32 s10, -1
.LBB47_1332:
	s_branch .LBB47_1363
.LBB47_1333:
	v_cmp_lt_i16_e32 vcc_lo, 22, v13
	s_cbranch_vccz .LBB47_1341
; %bb.1334:
	v_cmp_gt_i16_e32 vcc_lo, 24, v13
	s_cbranch_vccnz .LBB47_1344
; %bb.1335:
	v_cmp_lt_i16_e32 vcc_lo, 24, v13
	s_cbranch_vccz .LBB47_1345
; %bb.1336:
	global_load_u8 v9, v[6:7], off
	s_mov_b32 s10, exec_lo
                                        ; implicit-def: $sgpr11
	s_waitcnt vmcnt(0)
	v_cmpx_lt_i16_e32 0x7f, v9
	s_xor_b32 s10, exec_lo, s10
	s_cbranch_execz .LBB47_1357
; %bb.1337:
	v_cmp_ne_u16_e32 vcc_lo, 0x80, v9
	s_mov_b32 s11, 0
	s_and_b32 s3, vcc_lo, exec_lo
	s_or_saveexec_b32 s10, s10
	v_mov_b32_e32 v8, s11
	s_xor_b32 exec_lo, exec_lo, s10
	s_cbranch_execnz .LBB47_1358
.LBB47_1338:
	s_or_b32 exec_lo, exec_lo, s10
	s_and_saveexec_b32 s10, s3
	s_cbranch_execz .LBB47_1340
.LBB47_1339:
	v_and_b32_e32 v8, 0xffff, v9
	s_delay_alu instid0(VALU_DEP_1) | instskip(NEXT) | instid1(VALU_DEP_1)
	v_and_b32_e32 v11, 3, v8
	v_clz_i32_u32_e32 v12, v11
	s_delay_alu instid0(VALU_DEP_1) | instskip(NEXT) | instid1(VALU_DEP_1)
	v_min_u32_e32 v12, 32, v12
	v_subrev_nc_u32_e32 v14, 29, v12
	v_sub_nc_u32_e32 v12, 30, v12
	s_delay_alu instid0(VALU_DEP_2) | instskip(SKIP_1) | instid1(VALU_DEP_2)
	v_lshlrev_b32_e32 v14, v14, v8
	v_bfe_u32 v8, v8, 2, 5
	v_and_b32_e32 v14, 3, v14
	s_delay_alu instid0(VALU_DEP_2) | instskip(SKIP_1) | instid1(VALU_DEP_3)
	v_cmp_eq_u32_e32 vcc_lo, 0, v8
	v_dual_cndmask_b32 v8, v8, v12 :: v_dual_lshlrev_b32 v9, 24, v9
	v_cndmask_b32_e32 v11, v11, v14, vcc_lo
	s_delay_alu instid0(VALU_DEP_2) | instskip(NEXT) | instid1(VALU_DEP_3)
	v_and_b32_e32 v9, 0x80000000, v9
	v_lshl_add_u32 v8, v8, 23, 0x37800000
	s_delay_alu instid0(VALU_DEP_3) | instskip(NEXT) | instid1(VALU_DEP_1)
	v_lshlrev_b32_e32 v11, 21, v11
	v_or3_b32 v8, v9, v8, v11
	s_delay_alu instid0(VALU_DEP_1)
	v_cvt_i32_f32_e32 v8, v8
.LBB47_1340:
	s_or_b32 exec_lo, exec_lo, s10
	s_mov_b32 s3, 0
	s_branch .LBB47_1346
.LBB47_1341:
	s_mov_b32 s3, -1
                                        ; implicit-def: $vgpr8
	s_branch .LBB47_1352
.LBB47_1342:
	s_or_saveexec_b32 s11, s11
	v_mov_b32_e32 v8, s12
	s_xor_b32 exec_lo, exec_lo, s11
	s_cbranch_execz .LBB47_1328
.LBB47_1343:
	v_cmp_ne_u16_e32 vcc_lo, 0, v9
	v_mov_b32_e32 v8, 0
	s_and_not1_b32 s10, s10, exec_lo
	s_and_b32 s12, vcc_lo, exec_lo
	s_delay_alu instid0(SALU_CYCLE_1)
	s_or_b32 s10, s10, s12
	s_or_b32 exec_lo, exec_lo, s11
	s_and_saveexec_b32 s11, s10
	s_cbranch_execnz .LBB47_1329
	s_branch .LBB47_1330
.LBB47_1344:
	s_mov_b32 s3, -1
                                        ; implicit-def: $vgpr8
	s_branch .LBB47_1349
.LBB47_1345:
	s_mov_b32 s3, -1
                                        ; implicit-def: $vgpr8
.LBB47_1346:
	s_delay_alu instid0(SALU_CYCLE_1)
	s_and_b32 vcc_lo, exec_lo, s3
	s_cbranch_vccz .LBB47_1348
; %bb.1347:
	global_load_u8 v8, v[6:7], off
	s_waitcnt vmcnt(0)
	v_lshlrev_b32_e32 v8, 24, v8
	s_delay_alu instid0(VALU_DEP_1) | instskip(NEXT) | instid1(VALU_DEP_1)
	v_and_b32_e32 v9, 0x7f000000, v8
	v_clz_i32_u32_e32 v11, v9
	v_add_nc_u32_e32 v14, 0x1000000, v9
	v_cmp_ne_u32_e32 vcc_lo, 0, v9
	s_delay_alu instid0(VALU_DEP_3) | instskip(NEXT) | instid1(VALU_DEP_1)
	v_min_u32_e32 v11, 32, v11
	v_sub_nc_u32_e64 v11, v11, 4 clamp
	s_delay_alu instid0(VALU_DEP_1) | instskip(SKIP_1) | instid1(VALU_DEP_2)
	v_lshlrev_b32_e32 v12, v11, v9
	v_lshlrev_b32_e32 v11, 23, v11
	v_lshrrev_b32_e32 v12, 4, v12
	s_delay_alu instid0(VALU_DEP_1) | instskip(SKIP_1) | instid1(VALU_DEP_2)
	v_sub_nc_u32_e32 v11, v12, v11
	v_ashrrev_i32_e32 v12, 8, v14
	v_add_nc_u32_e32 v11, 0x3c000000, v11
	s_delay_alu instid0(VALU_DEP_1) | instskip(NEXT) | instid1(VALU_DEP_1)
	v_and_or_b32 v11, 0x7f800000, v12, v11
	v_cndmask_b32_e32 v9, 0, v11, vcc_lo
	s_delay_alu instid0(VALU_DEP_1) | instskip(NEXT) | instid1(VALU_DEP_1)
	v_and_or_b32 v8, 0x80000000, v8, v9
	v_cvt_i32_f32_e32 v8, v8
.LBB47_1348:
	s_mov_b32 s3, 0
.LBB47_1349:
	s_delay_alu instid0(SALU_CYCLE_1)
	s_and_not1_b32 vcc_lo, exec_lo, s3
	s_cbranch_vccnz .LBB47_1351
; %bb.1350:
	global_load_u8 v8, v[6:7], off
	s_waitcnt vmcnt(0)
	v_lshlrev_b32_e32 v9, 25, v8
	v_lshlrev_b16 v8, 8, v8
	s_delay_alu instid0(VALU_DEP_2) | instskip(NEXT) | instid1(VALU_DEP_2)
	v_lshrrev_b32_e32 v11, 4, v9
	v_and_or_b32 v12, 0x7f00, v8, 0.5
	v_cmp_gt_u32_e32 vcc_lo, 0x8000000, v9
	v_bfe_i32 v8, v8, 0, 16
	s_delay_alu instid0(VALU_DEP_4) | instskip(NEXT) | instid1(VALU_DEP_1)
	v_or_b32_e32 v11, 0x70000000, v11
	v_dual_add_f32 v12, -0.5, v12 :: v_dual_mul_f32 v11, 0x7800000, v11
	s_delay_alu instid0(VALU_DEP_1) | instskip(NEXT) | instid1(VALU_DEP_1)
	v_cndmask_b32_e32 v9, v11, v12, vcc_lo
	v_and_or_b32 v8, 0x80000000, v8, v9
	s_delay_alu instid0(VALU_DEP_1)
	v_cvt_i32_f32_e32 v8, v8
.LBB47_1351:
	s_mov_b32 s3, 0
	s_mov_b32 s10, -1
.LBB47_1352:
	s_and_not1_b32 vcc_lo, exec_lo, s3
	s_mov_b32 s3, 0
	s_cbranch_vccnz .LBB47_1363
; %bb.1353:
	v_cmp_lt_i16_e32 vcc_lo, 14, v13
	s_cbranch_vccz .LBB47_1356
; %bb.1354:
	v_cmp_eq_u16_e32 vcc_lo, 15, v13
	s_cbranch_vccz .LBB47_1359
; %bb.1355:
	global_load_u16 v8, v[6:7], off
	s_mov_b32 s2, 0
	s_mov_b32 s10, -1
	s_waitcnt vmcnt(0)
	v_lshlrev_b32_e32 v8, 16, v8
	s_delay_alu instid0(VALU_DEP_1)
	v_cvt_i32_f32_e32 v8, v8
	s_branch .LBB47_1361
.LBB47_1356:
	s_mov_b32 s3, -1
	s_branch .LBB47_1360
.LBB47_1357:
	s_or_saveexec_b32 s10, s10
	v_mov_b32_e32 v8, s11
	s_xor_b32 exec_lo, exec_lo, s10
	s_cbranch_execz .LBB47_1338
.LBB47_1358:
	v_cmp_ne_u16_e32 vcc_lo, 0, v9
	v_mov_b32_e32 v8, 0
	s_and_not1_b32 s3, s3, exec_lo
	s_and_b32 s11, vcc_lo, exec_lo
	s_delay_alu instid0(SALU_CYCLE_1)
	s_or_b32 s3, s3, s11
	s_or_b32 exec_lo, exec_lo, s10
	s_and_saveexec_b32 s10, s3
	s_cbranch_execnz .LBB47_1339
	s_branch .LBB47_1340
.LBB47_1359:
	s_mov_b32 s2, -1
.LBB47_1360:
                                        ; implicit-def: $vgpr8
.LBB47_1361:
	s_and_b32 vcc_lo, exec_lo, s3
	s_mov_b32 s3, 0
	s_cbranch_vccz .LBB47_1363
; %bb.1362:
	v_cmp_ne_u16_e64 s2, 11, v13
	s_mov_b32 s3, -1
                                        ; implicit-def: $vgpr8
.LBB47_1363:
	s_delay_alu instid0(VALU_DEP_1)
	s_and_b32 vcc_lo, exec_lo, s2
	s_cbranch_vccnz .LBB47_1387
; %bb.1364:
	s_and_not1_b32 vcc_lo, exec_lo, s3
	s_cbranch_vccnz .LBB47_1366
.LBB47_1365:
	global_load_u8 v8, v[6:7], off
	s_mov_b32 s10, -1
	s_waitcnt vmcnt(0)
	v_cmp_ne_u16_e32 vcc_lo, 0, v8
	v_cndmask_b32_e64 v8, 0, 1, vcc_lo
.LBB47_1366:
.LBB47_1367:
	s_and_not1_b32 vcc_lo, exec_lo, s10
	s_cbranch_vccnz .LBB47_1430
.LBB47_1368:
	v_cmp_gt_i16_e32 vcc_lo, 11, v13
	s_waitcnt vmcnt(0)
	v_add_co_u32 v11, s2, s6, v5
	s_delay_alu instid0(VALU_DEP_1)
	v_add_co_ci_u32_e64 v12, null, s7, 0, s2
	s_mov_b32 s10, 0
	s_cbranch_vccnz .LBB47_1375
; %bb.1369:
	v_cmp_lt_i16_e32 vcc_lo, 25, v13
	s_mov_b32 s3, 0
	s_cbranch_vccz .LBB47_1381
; %bb.1370:
	v_cmp_lt_i16_e32 vcc_lo, 28, v13
	s_cbranch_vccz .LBB47_1383
; %bb.1371:
	v_cmp_lt_i16_e32 vcc_lo, 43, v13
	;; [unrolled: 3-line block ×3, first 2 shown]
	s_cbranch_vccz .LBB47_1389
; %bb.1373:
	v_cmp_eq_u16_e32 vcc_lo, 46, v13
	s_mov_b32 s11, 0
	s_cbranch_vccz .LBB47_1477
; %bb.1374:
	global_load_b32 v5, v[11:12], off
	s_mov_b32 s2, 0
	s_mov_b32 s10, -1
	s_waitcnt vmcnt(0)
	v_lshlrev_b32_e32 v5, 16, v5
	s_delay_alu instid0(VALU_DEP_1)
	v_cvt_i32_f32_e32 v6, v5
	s_branch .LBB47_1479
.LBB47_1375:
                                        ; implicit-def: $vgpr6
	s_cbranch_execz .LBB47_1541
; %bb.1376:
	v_cmp_gt_i16_e32 vcc_lo, 5, v13
	s_cbranch_vccnz .LBB47_1382
; %bb.1377:
	v_cmp_gt_i16_e32 vcc_lo, 8, v13
	s_cbranch_vccnz .LBB47_1384
	;; [unrolled: 3-line block ×3, first 2 shown]
; %bb.1379:
	v_cmp_lt_i16_e32 vcc_lo, 9, v13
	s_cbranch_vccz .LBB47_1390
; %bb.1380:
	global_load_b64 v[5:6], v[11:12], off
	s_mov_b32 s2, 0
	s_waitcnt vmcnt(0)
	v_cvt_i32_f64_e32 v6, v[5:6]
	s_branch .LBB47_1391
.LBB47_1381:
	s_mov_b32 s11, -1
	s_mov_b32 s2, 0
                                        ; implicit-def: $vgpr6
	s_branch .LBB47_1506
.LBB47_1382:
	s_mov_b32 s2, -1
                                        ; implicit-def: $vgpr6
	s_branch .LBB47_1409
.LBB47_1383:
	s_mov_b32 s11, -1
	s_mov_b32 s2, 0
                                        ; implicit-def: $vgpr6
	s_branch .LBB47_1489
.LBB47_1384:
	s_mov_b32 s2, -1
                                        ; implicit-def: $vgpr6
	s_branch .LBB47_1397
.LBB47_1385:
	s_mov_b32 s11, -1
	s_mov_b32 s2, 0
                                        ; implicit-def: $vgpr6
	s_branch .LBB47_1484
.LBB47_1386:
	s_mov_b32 s2, -1
                                        ; implicit-def: $vgpr6
	s_branch .LBB47_1394
.LBB47_1387:
	s_cbranch_execnz .LBB47_1475
; %bb.1388:
	s_or_b32 s1, s1, exec_lo
                                        ; implicit-def: $vgpr8
	s_cbranch_execz .LBB47_1365
	s_branch .LBB47_1366
.LBB47_1389:
	s_mov_b32 s11, -1
	s_mov_b32 s2, 0
	s_branch .LBB47_1478
.LBB47_1390:
	s_mov_b32 s2, -1
                                        ; implicit-def: $vgpr6
.LBB47_1391:
	s_delay_alu instid0(SALU_CYCLE_1)
	s_and_not1_b32 vcc_lo, exec_lo, s2
	s_cbranch_vccnz .LBB47_1393
; %bb.1392:
	global_load_b32 v5, v[11:12], off
	s_waitcnt vmcnt(0)
	v_cvt_i32_f32_e32 v6, v5
.LBB47_1393:
	s_mov_b32 s2, 0
.LBB47_1394:
	s_delay_alu instid0(SALU_CYCLE_1)
	s_and_not1_b32 vcc_lo, exec_lo, s2
	s_cbranch_vccnz .LBB47_1396
; %bb.1395:
	global_load_b32 v5, v[11:12], off
	s_waitcnt vmcnt(0)
	v_cvt_i16_f16_e32 v6, v5
.LBB47_1396:
	s_mov_b32 s2, 0
.LBB47_1397:
	s_delay_alu instid0(SALU_CYCLE_1)
	s_and_not1_b32 vcc_lo, exec_lo, s2
	s_cbranch_vccnz .LBB47_1408
; %bb.1398:
	v_cmp_gt_i16_e32 vcc_lo, 6, v13
	s_cbranch_vccnz .LBB47_1401
; %bb.1399:
	v_cmp_lt_i16_e32 vcc_lo, 6, v13
	s_cbranch_vccz .LBB47_1402
; %bb.1400:
	global_load_b64 v[5:6], v[11:12], off
	s_mov_b32 s2, 0
	s_waitcnt vmcnt(0)
	v_cvt_i32_f64_e32 v6, v[5:6]
	s_branch .LBB47_1403
.LBB47_1401:
	s_mov_b32 s2, -1
                                        ; implicit-def: $vgpr6
	s_branch .LBB47_1406
.LBB47_1402:
	s_mov_b32 s2, -1
                                        ; implicit-def: $vgpr6
.LBB47_1403:
	s_delay_alu instid0(SALU_CYCLE_1)
	s_and_not1_b32 vcc_lo, exec_lo, s2
	s_cbranch_vccnz .LBB47_1405
; %bb.1404:
	global_load_b32 v5, v[11:12], off
	s_waitcnt vmcnt(0)
	v_cvt_i32_f32_e32 v6, v5
.LBB47_1405:
	s_mov_b32 s2, 0
.LBB47_1406:
	s_delay_alu instid0(SALU_CYCLE_1)
	s_and_not1_b32 vcc_lo, exec_lo, s2
	s_cbranch_vccnz .LBB47_1408
; %bb.1407:
	global_load_u16 v5, v[11:12], off
	s_waitcnt vmcnt(0)
	v_cvt_i16_f16_e32 v6, v5
.LBB47_1408:
	s_mov_b32 s2, 0
.LBB47_1409:
	s_delay_alu instid0(SALU_CYCLE_1)
	s_and_not1_b32 vcc_lo, exec_lo, s2
	s_cbranch_vccnz .LBB47_1429
; %bb.1410:
	v_cmp_gt_i16_e32 vcc_lo, 2, v13
	s_cbranch_vccnz .LBB47_1414
; %bb.1411:
	v_cmp_gt_i16_e32 vcc_lo, 3, v13
	s_cbranch_vccnz .LBB47_1415
; %bb.1412:
	v_cmp_lt_i16_e32 vcc_lo, 3, v13
	s_cbranch_vccz .LBB47_1416
; %bb.1413:
	global_load_b64 v[6:7], v[11:12], off
	s_mov_b32 s2, 0
	s_branch .LBB47_1417
.LBB47_1414:
	s_mov_b32 s2, -1
                                        ; implicit-def: $vgpr6
	s_branch .LBB47_1423
.LBB47_1415:
	s_mov_b32 s2, -1
                                        ; implicit-def: $vgpr6
	s_branch .LBB47_1420
.LBB47_1416:
	s_mov_b32 s2, -1
                                        ; implicit-def: $vgpr6
.LBB47_1417:
	s_delay_alu instid0(SALU_CYCLE_1)
	s_and_not1_b32 vcc_lo, exec_lo, s2
	s_cbranch_vccnz .LBB47_1419
; %bb.1418:
	global_load_b32 v6, v[11:12], off
.LBB47_1419:
	s_mov_b32 s2, 0
.LBB47_1420:
	s_delay_alu instid0(SALU_CYCLE_1)
	s_and_not1_b32 vcc_lo, exec_lo, s2
	s_cbranch_vccnz .LBB47_1422
; %bb.1421:
	global_load_u16 v6, v[11:12], off
.LBB47_1422:
	s_mov_b32 s2, 0
.LBB47_1423:
	s_delay_alu instid0(SALU_CYCLE_1)
	s_and_not1_b32 vcc_lo, exec_lo, s2
	s_cbranch_vccnz .LBB47_1429
; %bb.1424:
	v_cmp_lt_i16_e32 vcc_lo, 0, v13
	s_mov_b32 s2, 0
	s_cbranch_vccz .LBB47_1426
; %bb.1425:
	global_load_i8 v6, v[11:12], off
	s_branch .LBB47_1427
.LBB47_1426:
	s_mov_b32 s2, -1
                                        ; implicit-def: $vgpr6
.LBB47_1427:
	s_delay_alu instid0(SALU_CYCLE_1)
	s_and_not1_b32 vcc_lo, exec_lo, s2
	s_cbranch_vccnz .LBB47_1429
; %bb.1428:
	global_load_u8 v6, v[11:12], off
.LBB47_1429:
	s_branch .LBB47_1542
.LBB47_1430:
	s_mov_b32 s0, 0
	s_mov_b32 s2, 0
                                        ; implicit-def: $vgpr0_vgpr1
                                        ; implicit-def: $vgpr9
                                        ; implicit-def: $vgpr2
                                        ; implicit-def: $vgpr4
.LBB47_1431:
	s_and_b32 s3, s0, exec_lo
	s_and_not1_b32 s0, s8, exec_lo
	s_and_b32 s1, s1, exec_lo
	s_and_b32 s26, s2, exec_lo
	s_or_b32 s8, s0, s1
.LBB47_1432:
	s_or_b32 exec_lo, exec_lo, s9
	s_and_saveexec_b32 s0, s8
	s_cbranch_execz .LBB47_1435
; %bb.1433:
	; divergent unreachable
	s_or_b32 exec_lo, exec_lo, s0
	s_and_saveexec_b32 s0, s26
	s_delay_alu instid0(SALU_CYCLE_1)
	s_xor_b32 s0, exec_lo, s0
	s_cbranch_execnz .LBB47_1436
.LBB47_1434:
	s_or_b32 exec_lo, exec_lo, s0
	s_and_saveexec_b32 s0, s3
	s_cbranch_execnz .LBB47_1437
	s_branch .LBB47_1474
.LBB47_1435:
	s_or_b32 exec_lo, exec_lo, s0
	s_and_saveexec_b32 s0, s26
	s_delay_alu instid0(SALU_CYCLE_1)
	s_xor_b32 s0, exec_lo, s0
	s_cbranch_execz .LBB47_1434
.LBB47_1436:
	s_waitcnt vmcnt(0)
	s_delay_alu instid0(VALU_DEP_1)
	v_cmp_ne_u16_e32 vcc_lo, -1, v4
	v_cndmask_b32_e64 v3, 0, 1, vcc_lo
	global_store_b8 v[0:1], v3, off
	s_or_b32 exec_lo, exec_lo, s0
	s_and_saveexec_b32 s0, s3
	s_cbranch_execz .LBB47_1474
.LBB47_1437:
	s_waitcnt vmcnt(0)
	v_cmp_gt_i16_e32 vcc_lo, 5, v9
	s_mov_b32 s0, -1
	s_cbranch_vccnz .LBB47_1458
; %bb.1438:
	v_cmp_gt_i16_e32 vcc_lo, 8, v9
	s_cbranch_vccnz .LBB47_1448
; %bb.1439:
	v_cmp_gt_i16_e32 vcc_lo, 9, v9
	s_cbranch_vccnz .LBB47_1445
; %bb.1440:
	v_cmp_lt_i16_e32 vcc_lo, 9, v9
	s_cbranch_vccz .LBB47_1442
; %bb.1441:
	v_bfe_i32 v3, v2, 0, 16
	v_mov_b32_e32 v5, 0
	s_mov_b32 s0, 0
	s_delay_alu instid0(VALU_DEP_2) | instskip(NEXT) | instid1(VALU_DEP_2)
	v_cvt_f64_i32_e32 v[3:4], v3
	v_mov_b32_e32 v6, v5
	global_store_b128 v[0:1], v[3:6], off
.LBB47_1442:
	s_and_not1_b32 vcc_lo, exec_lo, s0
	s_cbranch_vccnz .LBB47_1444
; %bb.1443:
	v_bfe_i32 v3, v2, 0, 16
	v_mov_b32_e32 v4, 0
	s_delay_alu instid0(VALU_DEP_2)
	v_cvt_f32_i32_e32 v3, v3
	global_store_b64 v[0:1], v[3:4], off
.LBB47_1444:
	s_mov_b32 s0, 0
.LBB47_1445:
	s_delay_alu instid0(SALU_CYCLE_1)
	s_and_not1_b32 vcc_lo, exec_lo, s0
	s_cbranch_vccnz .LBB47_1447
; %bb.1446:
	v_cvt_f16_i16_e32 v3, v2
	s_delay_alu instid0(VALU_DEP_1)
	v_and_b32_e32 v3, 0xffff, v3
	global_store_b32 v[0:1], v3, off
.LBB47_1447:
	s_mov_b32 s0, 0
.LBB47_1448:
	s_delay_alu instid0(SALU_CYCLE_1)
	s_and_not1_b32 vcc_lo, exec_lo, s0
	s_cbranch_vccnz .LBB47_1457
; %bb.1449:
	v_cmp_gt_i16_e32 vcc_lo, 6, v9
	s_mov_b32 s0, -1
	s_cbranch_vccnz .LBB47_1455
; %bb.1450:
	v_cmp_lt_i16_e32 vcc_lo, 6, v9
	s_cbranch_vccz .LBB47_1452
; %bb.1451:
	v_bfe_i32 v3, v2, 0, 16
	s_mov_b32 s0, 0
	s_delay_alu instid0(VALU_DEP_1)
	v_cvt_f64_i32_e32 v[3:4], v3
	global_store_b64 v[0:1], v[3:4], off
.LBB47_1452:
	s_and_not1_b32 vcc_lo, exec_lo, s0
	s_cbranch_vccnz .LBB47_1454
; %bb.1453:
	v_bfe_i32 v3, v2, 0, 16
	s_delay_alu instid0(VALU_DEP_1)
	v_cvt_f32_i32_e32 v3, v3
	global_store_b32 v[0:1], v3, off
.LBB47_1454:
	s_mov_b32 s0, 0
.LBB47_1455:
	s_delay_alu instid0(SALU_CYCLE_1)
	s_and_not1_b32 vcc_lo, exec_lo, s0
	s_cbranch_vccnz .LBB47_1457
; %bb.1456:
	v_cvt_f16_i16_e32 v3, v2
	global_store_b16 v[0:1], v3, off
.LBB47_1457:
	s_mov_b32 s0, 0
.LBB47_1458:
	s_delay_alu instid0(SALU_CYCLE_1)
	s_and_not1_b32 vcc_lo, exec_lo, s0
	s_cbranch_vccnz .LBB47_1474
; %bb.1459:
	v_cmp_gt_i16_e32 vcc_lo, 2, v9
	s_mov_b32 s0, -1
	s_cbranch_vccnz .LBB47_1469
; %bb.1460:
	v_cmp_gt_i16_e32 vcc_lo, 3, v9
	s_cbranch_vccnz .LBB47_1466
; %bb.1461:
	v_cmp_lt_i16_e32 vcc_lo, 3, v9
	s_cbranch_vccz .LBB47_1463
; %bb.1462:
	v_bfe_i32 v3, v2, 0, 16
	s_mov_b32 s0, 0
	s_delay_alu instid0(VALU_DEP_1)
	v_ashrrev_i32_e32 v4, 31, v3
	global_store_b64 v[0:1], v[3:4], off
.LBB47_1463:
	s_and_not1_b32 vcc_lo, exec_lo, s0
	s_cbranch_vccnz .LBB47_1465
; %bb.1464:
	v_bfe_i32 v3, v2, 0, 16
	global_store_b32 v[0:1], v3, off
.LBB47_1465:
	s_mov_b32 s0, 0
.LBB47_1466:
	s_delay_alu instid0(SALU_CYCLE_1)
	s_and_not1_b32 vcc_lo, exec_lo, s0
	s_cbranch_vccnz .LBB47_1468
; %bb.1467:
	global_store_b16 v[0:1], v2, off
.LBB47_1468:
	s_mov_b32 s0, 0
.LBB47_1469:
	s_delay_alu instid0(SALU_CYCLE_1)
	s_and_not1_b32 vcc_lo, exec_lo, s0
	s_cbranch_vccnz .LBB47_1474
; %bb.1470:
	v_cmp_lt_i16_e32 vcc_lo, 0, v9
	s_mov_b32 s0, -1
	s_cbranch_vccz .LBB47_1472
; %bb.1471:
	s_mov_b32 s0, 0
	global_store_b8 v[0:1], v2, off
.LBB47_1472:
	s_and_not1_b32 vcc_lo, exec_lo, s0
	s_cbranch_vccnz .LBB47_1474
; %bb.1473:
	global_store_b8 v[0:1], v2, off
	s_nop 0
	s_sendmsg sendmsg(MSG_DEALLOC_VGPRS)
	s_endpgm
.LBB47_1474:
	s_nop 0
	s_sendmsg sendmsg(MSG_DEALLOC_VGPRS)
	s_endpgm
.LBB47_1475:
	s_trap 2
	s_sendmsg_rtn_b32 s0, sendmsg(MSG_RTN_GET_DOORBELL)
	s_mov_b32 ttmp2, m0
	s_waitcnt lgkmcnt(0)
	s_and_b32 s0, s0, 0x3ff
	s_delay_alu instid0(SALU_CYCLE_1) | instskip(NEXT) | instid1(SALU_CYCLE_1)
	s_bitset1_b32 s0, 10
	s_mov_b32 m0, s0
	s_sendmsg sendmsg(MSG_INTERRUPT)
	s_mov_b32 m0, ttmp2
.LBB47_1476:                            ; =>This Inner Loop Header: Depth=1
	s_sethalt 5
	s_branch .LBB47_1476
.LBB47_1477:
	s_mov_b32 s2, -1
.LBB47_1478:
                                        ; implicit-def: $vgpr6
.LBB47_1479:
	s_and_b32 vcc_lo, exec_lo, s11
	s_cbranch_vccz .LBB47_1483
; %bb.1480:
	v_cmp_eq_u16_e32 vcc_lo, 44, v13
	s_cbranch_vccz .LBB47_1482
; %bb.1481:
	global_load_u8 v5, v[11:12], off
	s_mov_b32 s2, 0
	s_mov_b32 s10, -1
	s_waitcnt vmcnt(0)
	v_lshlrev_b32_e32 v6, 23, v5
	v_cmp_ne_u32_e32 vcc_lo, 0, v5
	s_delay_alu instid0(VALU_DEP_2) | instskip(NEXT) | instid1(VALU_DEP_1)
	v_cvt_i32_f32_e32 v6, v6
	v_cndmask_b32_e32 v6, 0, v6, vcc_lo
	s_branch .LBB47_1483
.LBB47_1482:
	s_mov_b32 s2, -1
                                        ; implicit-def: $vgpr6
.LBB47_1483:
	s_mov_b32 s11, 0
.LBB47_1484:
	s_delay_alu instid0(SALU_CYCLE_1)
	s_and_b32 vcc_lo, exec_lo, s11
	s_cbranch_vccz .LBB47_1488
; %bb.1485:
	v_cmp_eq_u16_e32 vcc_lo, 29, v13
	s_cbranch_vccz .LBB47_1487
; %bb.1486:
	global_load_b64 v[6:7], v[11:12], off
	s_mov_b32 s2, 0
	s_mov_b32 s10, -1
	s_branch .LBB47_1488
.LBB47_1487:
	s_mov_b32 s2, -1
                                        ; implicit-def: $vgpr6
.LBB47_1488:
	s_mov_b32 s11, 0
.LBB47_1489:
	s_delay_alu instid0(SALU_CYCLE_1)
	s_and_b32 vcc_lo, exec_lo, s11
	s_cbranch_vccz .LBB47_1505
; %bb.1490:
	v_cmp_gt_i16_e32 vcc_lo, 27, v13
	s_cbranch_vccnz .LBB47_1493
; %bb.1491:
	v_cmp_lt_i16_e32 vcc_lo, 27, v13
	s_cbranch_vccz .LBB47_1494
; %bb.1492:
	global_load_b32 v6, v[11:12], off
	s_mov_b32 s10, 0
	s_branch .LBB47_1495
.LBB47_1493:
	s_mov_b32 s10, -1
                                        ; implicit-def: $vgpr6
	s_branch .LBB47_1498
.LBB47_1494:
	s_mov_b32 s10, -1
                                        ; implicit-def: $vgpr6
.LBB47_1495:
	s_delay_alu instid0(SALU_CYCLE_1)
	s_and_not1_b32 vcc_lo, exec_lo, s10
	s_cbranch_vccnz .LBB47_1497
; %bb.1496:
	global_load_u16 v6, v[11:12], off
.LBB47_1497:
	s_mov_b32 s10, 0
.LBB47_1498:
	s_delay_alu instid0(SALU_CYCLE_1)
	s_and_not1_b32 vcc_lo, exec_lo, s10
	s_cbranch_vccnz .LBB47_1504
; %bb.1499:
	global_load_u8 v5, v[11:12], off
	s_mov_b32 s10, 0
	s_mov_b32 s11, exec_lo
                                        ; implicit-def: $sgpr12
	s_waitcnt vmcnt(0)
	v_cmpx_lt_i16_e32 0x7f, v5
	s_xor_b32 s11, exec_lo, s11
	s_cbranch_execz .LBB47_1516
; %bb.1500:
	v_cmp_ne_u16_e32 vcc_lo, 0x80, v5
	s_mov_b32 s12, 0
	s_and_b32 s10, vcc_lo, exec_lo
	s_or_saveexec_b32 s11, s11
	v_mov_b32_e32 v6, s12
	s_xor_b32 exec_lo, exec_lo, s11
	s_cbranch_execnz .LBB47_1517
.LBB47_1501:
	s_or_b32 exec_lo, exec_lo, s11
	s_and_saveexec_b32 s11, s10
	s_cbranch_execz .LBB47_1503
.LBB47_1502:
	v_and_b32_e32 v6, 0xffff, v5
	v_lshlrev_b32_e32 v5, 24, v5
	s_delay_alu instid0(VALU_DEP_2) | instskip(NEXT) | instid1(VALU_DEP_2)
	v_and_b32_e32 v7, 7, v6
	v_and_b32_e32 v5, 0x80000000, v5
	s_delay_alu instid0(VALU_DEP_2) | instskip(NEXT) | instid1(VALU_DEP_1)
	v_clz_i32_u32_e32 v9, v7
	v_min_u32_e32 v9, 32, v9
	s_delay_alu instid0(VALU_DEP_1) | instskip(SKIP_1) | instid1(VALU_DEP_2)
	v_subrev_nc_u32_e32 v14, 28, v9
	v_sub_nc_u32_e32 v9, 29, v9
	v_lshlrev_b32_e32 v14, v14, v6
	v_bfe_u32 v6, v6, 3, 4
	s_delay_alu instid0(VALU_DEP_2) | instskip(NEXT) | instid1(VALU_DEP_2)
	v_and_b32_e32 v14, 7, v14
	v_cmp_eq_u32_e32 vcc_lo, 0, v6
	s_delay_alu instid0(VALU_DEP_2) | instskip(NEXT) | instid1(VALU_DEP_1)
	v_dual_cndmask_b32 v6, v6, v9 :: v_dual_cndmask_b32 v7, v7, v14
	v_lshl_add_u32 v6, v6, 23, 0x3b800000
	s_delay_alu instid0(VALU_DEP_2) | instskip(NEXT) | instid1(VALU_DEP_1)
	v_lshlrev_b32_e32 v7, 20, v7
	v_or3_b32 v5, v5, v6, v7
	s_delay_alu instid0(VALU_DEP_1)
	v_cvt_i32_f32_e32 v6, v5
.LBB47_1503:
	s_or_b32 exec_lo, exec_lo, s11
.LBB47_1504:
	s_mov_b32 s10, -1
.LBB47_1505:
	s_mov_b32 s11, 0
.LBB47_1506:
	s_delay_alu instid0(SALU_CYCLE_1)
	s_and_b32 vcc_lo, exec_lo, s11
	s_cbranch_vccz .LBB47_1537
; %bb.1507:
	v_cmp_lt_i16_e32 vcc_lo, 22, v13
	s_cbranch_vccz .LBB47_1515
; %bb.1508:
	v_cmp_gt_i16_e32 vcc_lo, 24, v13
	s_cbranch_vccnz .LBB47_1518
; %bb.1509:
	v_cmp_lt_i16_e32 vcc_lo, 24, v13
	s_cbranch_vccz .LBB47_1519
; %bb.1510:
	global_load_u8 v5, v[11:12], off
	s_mov_b32 s10, exec_lo
                                        ; implicit-def: $sgpr11
	s_waitcnt vmcnt(0)
	v_cmpx_lt_i16_e32 0x7f, v5
	s_xor_b32 s10, exec_lo, s10
	s_cbranch_execz .LBB47_1531
; %bb.1511:
	v_cmp_ne_u16_e32 vcc_lo, 0x80, v5
	s_mov_b32 s11, 0
	s_and_b32 s3, vcc_lo, exec_lo
	s_or_saveexec_b32 s10, s10
	v_mov_b32_e32 v6, s11
	s_xor_b32 exec_lo, exec_lo, s10
	s_cbranch_execnz .LBB47_1532
.LBB47_1512:
	s_or_b32 exec_lo, exec_lo, s10
	s_and_saveexec_b32 s10, s3
	s_cbranch_execz .LBB47_1514
.LBB47_1513:
	v_and_b32_e32 v6, 0xffff, v5
	v_lshlrev_b32_e32 v5, 24, v5
	s_delay_alu instid0(VALU_DEP_2) | instskip(NEXT) | instid1(VALU_DEP_2)
	v_and_b32_e32 v7, 3, v6
	v_and_b32_e32 v5, 0x80000000, v5
	s_delay_alu instid0(VALU_DEP_2) | instskip(NEXT) | instid1(VALU_DEP_1)
	v_clz_i32_u32_e32 v9, v7
	v_min_u32_e32 v9, 32, v9
	s_delay_alu instid0(VALU_DEP_1) | instskip(SKIP_1) | instid1(VALU_DEP_2)
	v_subrev_nc_u32_e32 v14, 29, v9
	v_sub_nc_u32_e32 v9, 30, v9
	v_lshlrev_b32_e32 v14, v14, v6
	v_bfe_u32 v6, v6, 2, 5
	s_delay_alu instid0(VALU_DEP_2) | instskip(NEXT) | instid1(VALU_DEP_2)
	v_and_b32_e32 v14, 3, v14
	v_cmp_eq_u32_e32 vcc_lo, 0, v6
	s_delay_alu instid0(VALU_DEP_2) | instskip(NEXT) | instid1(VALU_DEP_1)
	v_dual_cndmask_b32 v6, v6, v9 :: v_dual_cndmask_b32 v7, v7, v14
	v_lshl_add_u32 v6, v6, 23, 0x37800000
	s_delay_alu instid0(VALU_DEP_2) | instskip(NEXT) | instid1(VALU_DEP_1)
	v_lshlrev_b32_e32 v7, 21, v7
	v_or3_b32 v5, v5, v6, v7
	s_delay_alu instid0(VALU_DEP_1)
	v_cvt_i32_f32_e32 v6, v5
.LBB47_1514:
	s_or_b32 exec_lo, exec_lo, s10
	s_mov_b32 s3, 0
	s_branch .LBB47_1520
.LBB47_1515:
	s_mov_b32 s3, -1
                                        ; implicit-def: $vgpr6
	s_branch .LBB47_1526
.LBB47_1516:
	s_or_saveexec_b32 s11, s11
	v_mov_b32_e32 v6, s12
	s_xor_b32 exec_lo, exec_lo, s11
	s_cbranch_execz .LBB47_1501
.LBB47_1517:
	v_cmp_ne_u16_e32 vcc_lo, 0, v5
	v_mov_b32_e32 v6, 0
	s_and_not1_b32 s10, s10, exec_lo
	s_and_b32 s12, vcc_lo, exec_lo
	s_delay_alu instid0(SALU_CYCLE_1)
	s_or_b32 s10, s10, s12
	s_or_b32 exec_lo, exec_lo, s11
	s_and_saveexec_b32 s11, s10
	s_cbranch_execnz .LBB47_1502
	s_branch .LBB47_1503
.LBB47_1518:
	s_mov_b32 s3, -1
                                        ; implicit-def: $vgpr6
	s_branch .LBB47_1523
.LBB47_1519:
	s_mov_b32 s3, -1
                                        ; implicit-def: $vgpr6
.LBB47_1520:
	s_delay_alu instid0(SALU_CYCLE_1)
	s_and_b32 vcc_lo, exec_lo, s3
	s_cbranch_vccz .LBB47_1522
; %bb.1521:
	global_load_u8 v5, v[11:12], off
	s_waitcnt vmcnt(0)
	v_lshlrev_b32_e32 v5, 24, v5
	s_delay_alu instid0(VALU_DEP_1) | instskip(NEXT) | instid1(VALU_DEP_1)
	v_and_b32_e32 v6, 0x7f000000, v5
	v_clz_i32_u32_e32 v7, v6
	v_add_nc_u32_e32 v14, 0x1000000, v6
	v_cmp_ne_u32_e32 vcc_lo, 0, v6
	s_delay_alu instid0(VALU_DEP_3) | instskip(NEXT) | instid1(VALU_DEP_1)
	v_min_u32_e32 v7, 32, v7
	v_sub_nc_u32_e64 v7, v7, 4 clamp
	s_delay_alu instid0(VALU_DEP_1) | instskip(SKIP_1) | instid1(VALU_DEP_2)
	v_lshlrev_b32_e32 v9, v7, v6
	v_lshlrev_b32_e32 v7, 23, v7
	v_lshrrev_b32_e32 v9, 4, v9
	s_delay_alu instid0(VALU_DEP_1) | instskip(SKIP_1) | instid1(VALU_DEP_2)
	v_sub_nc_u32_e32 v7, v9, v7
	v_ashrrev_i32_e32 v9, 8, v14
	v_add_nc_u32_e32 v7, 0x3c000000, v7
	s_delay_alu instid0(VALU_DEP_1) | instskip(NEXT) | instid1(VALU_DEP_1)
	v_and_or_b32 v7, 0x7f800000, v9, v7
	v_cndmask_b32_e32 v6, 0, v7, vcc_lo
	s_delay_alu instid0(VALU_DEP_1) | instskip(NEXT) | instid1(VALU_DEP_1)
	v_and_or_b32 v5, 0x80000000, v5, v6
	v_cvt_i32_f32_e32 v6, v5
.LBB47_1522:
	s_mov_b32 s3, 0
.LBB47_1523:
	s_delay_alu instid0(SALU_CYCLE_1)
	s_and_not1_b32 vcc_lo, exec_lo, s3
	s_cbranch_vccnz .LBB47_1525
; %bb.1524:
	global_load_u8 v5, v[11:12], off
	s_waitcnt vmcnt(0)
	v_lshlrev_b32_e32 v6, 25, v5
	v_lshlrev_b16 v5, 8, v5
	s_delay_alu instid0(VALU_DEP_2) | instskip(NEXT) | instid1(VALU_DEP_2)
	v_lshrrev_b32_e32 v7, 4, v6
	v_and_or_b32 v9, 0x7f00, v5, 0.5
	v_bfe_i32 v5, v5, 0, 16
	s_delay_alu instid0(VALU_DEP_3) | instskip(NEXT) | instid1(VALU_DEP_3)
	v_or_b32_e32 v7, 0x70000000, v7
	v_add_f32_e32 v9, -0.5, v9
	s_delay_alu instid0(VALU_DEP_2) | instskip(SKIP_1) | instid1(VALU_DEP_2)
	v_mul_f32_e32 v7, 0x7800000, v7
	v_cmp_gt_u32_e32 vcc_lo, 0x8000000, v6
	v_cndmask_b32_e32 v6, v7, v9, vcc_lo
	s_delay_alu instid0(VALU_DEP_1) | instskip(NEXT) | instid1(VALU_DEP_1)
	v_and_or_b32 v5, 0x80000000, v5, v6
	v_cvt_i32_f32_e32 v6, v5
.LBB47_1525:
	s_mov_b32 s3, 0
	s_mov_b32 s10, -1
.LBB47_1526:
	s_and_not1_b32 vcc_lo, exec_lo, s3
	s_mov_b32 s3, 0
	s_cbranch_vccnz .LBB47_1537
; %bb.1527:
	v_cmp_lt_i16_e32 vcc_lo, 14, v13
	s_cbranch_vccz .LBB47_1530
; %bb.1528:
	v_cmp_eq_u16_e32 vcc_lo, 15, v13
	s_cbranch_vccz .LBB47_1533
; %bb.1529:
	global_load_u16 v5, v[11:12], off
	s_mov_b32 s2, 0
	s_mov_b32 s10, -1
	s_waitcnt vmcnt(0)
	v_lshlrev_b32_e32 v5, 16, v5
	s_delay_alu instid0(VALU_DEP_1)
	v_cvt_i32_f32_e32 v6, v5
	s_branch .LBB47_1535
.LBB47_1530:
	s_mov_b32 s3, -1
	s_branch .LBB47_1534
.LBB47_1531:
	s_or_saveexec_b32 s10, s10
	v_mov_b32_e32 v6, s11
	s_xor_b32 exec_lo, exec_lo, s10
	s_cbranch_execz .LBB47_1512
.LBB47_1532:
	v_cmp_ne_u16_e32 vcc_lo, 0, v5
	v_mov_b32_e32 v6, 0
	s_and_not1_b32 s3, s3, exec_lo
	s_and_b32 s11, vcc_lo, exec_lo
	s_delay_alu instid0(SALU_CYCLE_1)
	s_or_b32 s3, s3, s11
	s_or_b32 exec_lo, exec_lo, s10
	s_and_saveexec_b32 s10, s3
	s_cbranch_execnz .LBB47_1513
	s_branch .LBB47_1514
.LBB47_1533:
	s_mov_b32 s2, -1
.LBB47_1534:
                                        ; implicit-def: $vgpr6
.LBB47_1535:
	s_and_b32 vcc_lo, exec_lo, s3
	s_mov_b32 s3, 0
	s_cbranch_vccz .LBB47_1537
; %bb.1536:
	v_cmp_ne_u16_e64 s2, 11, v13
	s_mov_b32 s3, -1
                                        ; implicit-def: $vgpr6
.LBB47_1537:
	s_delay_alu instid0(VALU_DEP_1)
	s_and_b32 vcc_lo, exec_lo, s2
	s_cbranch_vccnz .LBB47_1553
; %bb.1538:
	s_and_not1_b32 vcc_lo, exec_lo, s3
	s_cbranch_vccnz .LBB47_1540
.LBB47_1539:
	global_load_u8 v5, v[11:12], off
	s_mov_b32 s10, -1
	s_waitcnt vmcnt(0)
	v_cmp_ne_u16_e32 vcc_lo, 0, v5
	v_cndmask_b32_e64 v6, 0, 1, vcc_lo
.LBB47_1540:
.LBB47_1541:
	s_and_not1_b32 vcc_lo, exec_lo, s10
	s_cbranch_vccnz .LBB47_1430
.LBB47_1542:
	v_cmp_gt_i16_e32 vcc_lo, 11, v13
	v_add_co_u32 v11, s2, s6, v4
	s_delay_alu instid0(VALU_DEP_1)
	v_add_co_ci_u32_e64 v12, null, s7, 0, s2
	s_mov_b32 s6, 0
	s_cbranch_vccnz .LBB47_1549
; %bb.1543:
	v_cmp_lt_i16_e32 vcc_lo, 25, v13
	s_mov_b32 s3, 0
	s_cbranch_vccz .LBB47_1550
; %bb.1544:
	v_cmp_lt_i16_e32 vcc_lo, 28, v13
	s_cbranch_vccz .LBB47_1551
; %bb.1545:
	v_cmp_lt_i16_e32 vcc_lo, 43, v13
	;; [unrolled: 3-line block ×3, first 2 shown]
	s_cbranch_vccz .LBB47_1555
; %bb.1547:
	v_cmp_eq_u16_e32 vcc_lo, 46, v13
	s_mov_b32 s7, 0
	s_cbranch_vccz .LBB47_1558
; %bb.1548:
	global_load_b32 v4, v[11:12], off
	s_mov_b32 s2, 0
	s_mov_b32 s6, -1
	s_waitcnt vmcnt(0)
	v_lshlrev_b32_e32 v4, 16, v4
	s_delay_alu instid0(VALU_DEP_1)
	v_cvt_i32_f32_e32 v4, v4
	s_branch .LBB47_1560
.LBB47_1549:
	s_mov_b32 s2, -1
                                        ; implicit-def: $vgpr4
	s_branch .LBB47_1622
.LBB47_1550:
	s_mov_b32 s7, -1
	s_mov_b32 s2, 0
                                        ; implicit-def: $vgpr4
	s_branch .LBB47_1587
.LBB47_1551:
	s_mov_b32 s7, -1
	s_mov_b32 s2, 0
                                        ; implicit-def: $vgpr4
	s_branch .LBB47_1570
.LBB47_1552:
	s_mov_b32 s7, -1
	s_mov_b32 s2, 0
                                        ; implicit-def: $vgpr4
	s_branch .LBB47_1565
.LBB47_1553:
	s_cbranch_execnz .LBB47_1556
; %bb.1554:
	s_or_b32 s1, s1, exec_lo
                                        ; implicit-def: $vgpr6
	s_cbranch_execz .LBB47_1539
	s_branch .LBB47_1540
.LBB47_1555:
	s_mov_b32 s7, -1
	s_mov_b32 s2, 0
	s_branch .LBB47_1559
.LBB47_1556:
	s_trap 2
	s_sendmsg_rtn_b32 s0, sendmsg(MSG_RTN_GET_DOORBELL)
	s_mov_b32 ttmp2, m0
	s_waitcnt lgkmcnt(0)
	s_and_b32 s0, s0, 0x3ff
	s_delay_alu instid0(SALU_CYCLE_1) | instskip(NEXT) | instid1(SALU_CYCLE_1)
	s_bitset1_b32 s0, 10
	s_mov_b32 m0, s0
	s_sendmsg sendmsg(MSG_INTERRUPT)
	s_mov_b32 m0, ttmp2
.LBB47_1557:                            ; =>This Inner Loop Header: Depth=1
	s_sethalt 5
	s_branch .LBB47_1557
.LBB47_1558:
	s_mov_b32 s2, -1
.LBB47_1559:
                                        ; implicit-def: $vgpr4
.LBB47_1560:
	s_and_b32 vcc_lo, exec_lo, s7
	s_cbranch_vccz .LBB47_1564
; %bb.1561:
	v_cmp_eq_u16_e32 vcc_lo, 44, v13
	s_cbranch_vccz .LBB47_1563
; %bb.1562:
	global_load_u8 v4, v[11:12], off
	s_mov_b32 s2, 0
	s_mov_b32 s6, -1
	s_waitcnt vmcnt(0)
	v_lshlrev_b32_e32 v5, 23, v4
	v_cmp_ne_u32_e32 vcc_lo, 0, v4
	s_delay_alu instid0(VALU_DEP_2) | instskip(NEXT) | instid1(VALU_DEP_1)
	v_cvt_i32_f32_e32 v5, v5
	v_cndmask_b32_e32 v4, 0, v5, vcc_lo
	s_branch .LBB47_1564
.LBB47_1563:
	s_mov_b32 s2, -1
                                        ; implicit-def: $vgpr4
.LBB47_1564:
	s_mov_b32 s7, 0
.LBB47_1565:
	s_delay_alu instid0(SALU_CYCLE_1)
	s_and_b32 vcc_lo, exec_lo, s7
	s_cbranch_vccz .LBB47_1569
; %bb.1566:
	v_cmp_eq_u16_e32 vcc_lo, 29, v13
	s_cbranch_vccz .LBB47_1568
; %bb.1567:
	global_load_b64 v[4:5], v[11:12], off
	s_mov_b32 s2, 0
	s_mov_b32 s6, -1
	s_branch .LBB47_1569
.LBB47_1568:
	s_mov_b32 s2, -1
                                        ; implicit-def: $vgpr4
.LBB47_1569:
	s_mov_b32 s7, 0
.LBB47_1570:
	s_delay_alu instid0(SALU_CYCLE_1)
	s_and_b32 vcc_lo, exec_lo, s7
	s_cbranch_vccz .LBB47_1586
; %bb.1571:
	v_cmp_gt_i16_e32 vcc_lo, 27, v13
	s_cbranch_vccnz .LBB47_1574
; %bb.1572:
	v_cmp_lt_i16_e32 vcc_lo, 27, v13
	s_cbranch_vccz .LBB47_1575
; %bb.1573:
	global_load_b32 v4, v[11:12], off
	s_mov_b32 s6, 0
	s_branch .LBB47_1576
.LBB47_1574:
	s_mov_b32 s6, -1
                                        ; implicit-def: $vgpr4
	s_branch .LBB47_1579
.LBB47_1575:
	s_mov_b32 s6, -1
                                        ; implicit-def: $vgpr4
.LBB47_1576:
	s_delay_alu instid0(SALU_CYCLE_1)
	s_and_not1_b32 vcc_lo, exec_lo, s6
	s_cbranch_vccnz .LBB47_1578
; %bb.1577:
	global_load_u16 v4, v[11:12], off
.LBB47_1578:
	s_mov_b32 s6, 0
.LBB47_1579:
	s_delay_alu instid0(SALU_CYCLE_1)
	s_and_not1_b32 vcc_lo, exec_lo, s6
	s_cbranch_vccnz .LBB47_1585
; %bb.1580:
	global_load_u8 v5, v[11:12], off
	s_mov_b32 s6, 0
	s_mov_b32 s7, exec_lo
                                        ; implicit-def: $sgpr10
	s_waitcnt vmcnt(0)
	v_cmpx_lt_i16_e32 0x7f, v5
	s_xor_b32 s7, exec_lo, s7
	s_cbranch_execz .LBB47_1597
; %bb.1581:
	v_cmp_ne_u16_e32 vcc_lo, 0x80, v5
	s_mov_b32 s10, 0
	s_and_b32 s6, vcc_lo, exec_lo
	s_or_saveexec_b32 s7, s7
	v_mov_b32_e32 v4, s10
	s_xor_b32 exec_lo, exec_lo, s7
	s_cbranch_execnz .LBB47_1598
.LBB47_1582:
	s_or_b32 exec_lo, exec_lo, s7
	s_and_saveexec_b32 s7, s6
	s_cbranch_execz .LBB47_1584
.LBB47_1583:
	v_and_b32_e32 v4, 0xffff, v5
	v_lshlrev_b32_e32 v5, 24, v5
	s_delay_alu instid0(VALU_DEP_2) | instskip(NEXT) | instid1(VALU_DEP_2)
	v_and_b32_e32 v7, 7, v4
	v_and_b32_e32 v5, 0x80000000, v5
	s_delay_alu instid0(VALU_DEP_2) | instskip(NEXT) | instid1(VALU_DEP_1)
	v_clz_i32_u32_e32 v9, v7
	v_min_u32_e32 v9, 32, v9
	s_delay_alu instid0(VALU_DEP_1) | instskip(SKIP_1) | instid1(VALU_DEP_2)
	v_subrev_nc_u32_e32 v14, 28, v9
	v_sub_nc_u32_e32 v9, 29, v9
	v_lshlrev_b32_e32 v14, v14, v4
	v_bfe_u32 v4, v4, 3, 4
	s_delay_alu instid0(VALU_DEP_2) | instskip(NEXT) | instid1(VALU_DEP_2)
	v_and_b32_e32 v14, 7, v14
	v_cmp_eq_u32_e32 vcc_lo, 0, v4
	s_delay_alu instid0(VALU_DEP_2) | instskip(NEXT) | instid1(VALU_DEP_1)
	v_dual_cndmask_b32 v4, v4, v9 :: v_dual_cndmask_b32 v7, v7, v14
	v_lshl_add_u32 v4, v4, 23, 0x3b800000
	s_delay_alu instid0(VALU_DEP_2) | instskip(NEXT) | instid1(VALU_DEP_1)
	v_lshlrev_b32_e32 v7, 20, v7
	v_or3_b32 v4, v5, v4, v7
	s_delay_alu instid0(VALU_DEP_1)
	v_cvt_i32_f32_e32 v4, v4
.LBB47_1584:
	s_or_b32 exec_lo, exec_lo, s7
.LBB47_1585:
	s_mov_b32 s6, -1
.LBB47_1586:
	s_mov_b32 s7, 0
.LBB47_1587:
	s_delay_alu instid0(SALU_CYCLE_1)
	s_and_b32 vcc_lo, exec_lo, s7
	s_cbranch_vccz .LBB47_1618
; %bb.1588:
	v_cmp_lt_i16_e32 vcc_lo, 22, v13
	s_cbranch_vccz .LBB47_1596
; %bb.1589:
	v_cmp_gt_i16_e32 vcc_lo, 24, v13
	s_cbranch_vccnz .LBB47_1599
; %bb.1590:
	v_cmp_lt_i16_e32 vcc_lo, 24, v13
	s_cbranch_vccz .LBB47_1600
; %bb.1591:
	global_load_u8 v5, v[11:12], off
	s_mov_b32 s6, exec_lo
                                        ; implicit-def: $sgpr7
	s_waitcnt vmcnt(0)
	v_cmpx_lt_i16_e32 0x7f, v5
	s_xor_b32 s6, exec_lo, s6
	s_cbranch_execz .LBB47_1612
; %bb.1592:
	v_cmp_ne_u16_e32 vcc_lo, 0x80, v5
	s_mov_b32 s7, 0
	s_and_b32 s3, vcc_lo, exec_lo
	s_or_saveexec_b32 s6, s6
	v_mov_b32_e32 v4, s7
	s_xor_b32 exec_lo, exec_lo, s6
	s_cbranch_execnz .LBB47_1613
.LBB47_1593:
	s_or_b32 exec_lo, exec_lo, s6
	s_and_saveexec_b32 s6, s3
	s_cbranch_execz .LBB47_1595
.LBB47_1594:
	v_and_b32_e32 v4, 0xffff, v5
	v_lshlrev_b32_e32 v5, 24, v5
	s_delay_alu instid0(VALU_DEP_2) | instskip(NEXT) | instid1(VALU_DEP_2)
	v_and_b32_e32 v7, 3, v4
	v_and_b32_e32 v5, 0x80000000, v5
	s_delay_alu instid0(VALU_DEP_2) | instskip(NEXT) | instid1(VALU_DEP_1)
	v_clz_i32_u32_e32 v9, v7
	v_min_u32_e32 v9, 32, v9
	s_delay_alu instid0(VALU_DEP_1) | instskip(SKIP_1) | instid1(VALU_DEP_2)
	v_subrev_nc_u32_e32 v14, 29, v9
	v_sub_nc_u32_e32 v9, 30, v9
	v_lshlrev_b32_e32 v14, v14, v4
	v_bfe_u32 v4, v4, 2, 5
	s_delay_alu instid0(VALU_DEP_2) | instskip(NEXT) | instid1(VALU_DEP_2)
	v_and_b32_e32 v14, 3, v14
	v_cmp_eq_u32_e32 vcc_lo, 0, v4
	s_delay_alu instid0(VALU_DEP_2) | instskip(NEXT) | instid1(VALU_DEP_1)
	v_dual_cndmask_b32 v4, v4, v9 :: v_dual_cndmask_b32 v7, v7, v14
	v_lshl_add_u32 v4, v4, 23, 0x37800000
	s_delay_alu instid0(VALU_DEP_2) | instskip(NEXT) | instid1(VALU_DEP_1)
	v_lshlrev_b32_e32 v7, 21, v7
	v_or3_b32 v4, v5, v4, v7
	s_delay_alu instid0(VALU_DEP_1)
	v_cvt_i32_f32_e32 v4, v4
.LBB47_1595:
	s_or_b32 exec_lo, exec_lo, s6
	s_mov_b32 s3, 0
	s_branch .LBB47_1601
.LBB47_1596:
	s_mov_b32 s3, -1
                                        ; implicit-def: $vgpr4
	s_branch .LBB47_1607
.LBB47_1597:
	s_or_saveexec_b32 s7, s7
	v_mov_b32_e32 v4, s10
	s_xor_b32 exec_lo, exec_lo, s7
	s_cbranch_execz .LBB47_1582
.LBB47_1598:
	v_cmp_ne_u16_e32 vcc_lo, 0, v5
	v_mov_b32_e32 v4, 0
	s_and_not1_b32 s6, s6, exec_lo
	s_and_b32 s10, vcc_lo, exec_lo
	s_delay_alu instid0(SALU_CYCLE_1)
	s_or_b32 s6, s6, s10
	s_or_b32 exec_lo, exec_lo, s7
	s_and_saveexec_b32 s7, s6
	s_cbranch_execnz .LBB47_1583
	s_branch .LBB47_1584
.LBB47_1599:
	s_mov_b32 s3, -1
                                        ; implicit-def: $vgpr4
	s_branch .LBB47_1604
.LBB47_1600:
	s_mov_b32 s3, -1
                                        ; implicit-def: $vgpr4
.LBB47_1601:
	s_delay_alu instid0(SALU_CYCLE_1)
	s_and_b32 vcc_lo, exec_lo, s3
	s_cbranch_vccz .LBB47_1603
; %bb.1602:
	global_load_u8 v4, v[11:12], off
	s_waitcnt vmcnt(0)
	v_lshlrev_b32_e32 v4, 24, v4
	s_delay_alu instid0(VALU_DEP_1) | instskip(NEXT) | instid1(VALU_DEP_1)
	v_and_b32_e32 v5, 0x7f000000, v4
	v_clz_i32_u32_e32 v7, v5
	v_add_nc_u32_e32 v14, 0x1000000, v5
	v_cmp_ne_u32_e32 vcc_lo, 0, v5
	s_delay_alu instid0(VALU_DEP_3) | instskip(NEXT) | instid1(VALU_DEP_1)
	v_min_u32_e32 v7, 32, v7
	v_sub_nc_u32_e64 v7, v7, 4 clamp
	s_delay_alu instid0(VALU_DEP_1) | instskip(SKIP_1) | instid1(VALU_DEP_2)
	v_lshlrev_b32_e32 v9, v7, v5
	v_lshlrev_b32_e32 v7, 23, v7
	v_lshrrev_b32_e32 v9, 4, v9
	s_delay_alu instid0(VALU_DEP_1) | instskip(SKIP_1) | instid1(VALU_DEP_2)
	v_sub_nc_u32_e32 v7, v9, v7
	v_ashrrev_i32_e32 v9, 8, v14
	v_add_nc_u32_e32 v7, 0x3c000000, v7
	s_delay_alu instid0(VALU_DEP_1) | instskip(NEXT) | instid1(VALU_DEP_1)
	v_and_or_b32 v7, 0x7f800000, v9, v7
	v_cndmask_b32_e32 v5, 0, v7, vcc_lo
	s_delay_alu instid0(VALU_DEP_1) | instskip(NEXT) | instid1(VALU_DEP_1)
	v_and_or_b32 v4, 0x80000000, v4, v5
	v_cvt_i32_f32_e32 v4, v4
.LBB47_1603:
	s_mov_b32 s3, 0
.LBB47_1604:
	s_delay_alu instid0(SALU_CYCLE_1)
	s_and_not1_b32 vcc_lo, exec_lo, s3
	s_cbranch_vccnz .LBB47_1606
; %bb.1605:
	global_load_u8 v4, v[11:12], off
	s_waitcnt vmcnt(0)
	v_lshlrev_b32_e32 v5, 25, v4
	v_lshlrev_b16 v4, 8, v4
	s_delay_alu instid0(VALU_DEP_2) | instskip(NEXT) | instid1(VALU_DEP_2)
	v_lshrrev_b32_e32 v7, 4, v5
	v_and_or_b32 v9, 0x7f00, v4, 0.5
	v_cmp_gt_u32_e32 vcc_lo, 0x8000000, v5
	v_bfe_i32 v4, v4, 0, 16
	s_delay_alu instid0(VALU_DEP_4) | instskip(NEXT) | instid1(VALU_DEP_4)
	v_or_b32_e32 v7, 0x70000000, v7
	v_add_f32_e32 v9, -0.5, v9
	s_delay_alu instid0(VALU_DEP_2) | instskip(NEXT) | instid1(VALU_DEP_1)
	v_mul_f32_e32 v7, 0x7800000, v7
	v_cndmask_b32_e32 v5, v7, v9, vcc_lo
	s_delay_alu instid0(VALU_DEP_1) | instskip(NEXT) | instid1(VALU_DEP_1)
	v_and_or_b32 v4, 0x80000000, v4, v5
	v_cvt_i32_f32_e32 v4, v4
.LBB47_1606:
	s_mov_b32 s3, 0
	s_mov_b32 s6, -1
.LBB47_1607:
	s_and_not1_b32 vcc_lo, exec_lo, s3
	s_mov_b32 s3, 0
	s_cbranch_vccnz .LBB47_1618
; %bb.1608:
	v_cmp_lt_i16_e32 vcc_lo, 14, v13
	s_cbranch_vccz .LBB47_1611
; %bb.1609:
	v_cmp_eq_u16_e32 vcc_lo, 15, v13
	s_cbranch_vccz .LBB47_1614
; %bb.1610:
	global_load_u16 v4, v[11:12], off
	s_mov_b32 s2, 0
	s_mov_b32 s6, -1
	s_waitcnt vmcnt(0)
	v_lshlrev_b32_e32 v4, 16, v4
	s_delay_alu instid0(VALU_DEP_1)
	v_cvt_i32_f32_e32 v4, v4
	s_branch .LBB47_1616
.LBB47_1611:
	s_mov_b32 s3, -1
	s_branch .LBB47_1615
.LBB47_1612:
	s_or_saveexec_b32 s6, s6
	v_mov_b32_e32 v4, s7
	s_xor_b32 exec_lo, exec_lo, s6
	s_cbranch_execz .LBB47_1593
.LBB47_1613:
	v_cmp_ne_u16_e32 vcc_lo, 0, v5
	v_mov_b32_e32 v4, 0
	s_and_not1_b32 s3, s3, exec_lo
	s_and_b32 s7, vcc_lo, exec_lo
	s_delay_alu instid0(SALU_CYCLE_1)
	s_or_b32 s3, s3, s7
	s_or_b32 exec_lo, exec_lo, s6
	s_and_saveexec_b32 s6, s3
	s_cbranch_execnz .LBB47_1594
	s_branch .LBB47_1595
.LBB47_1614:
	s_mov_b32 s2, -1
.LBB47_1615:
                                        ; implicit-def: $vgpr4
.LBB47_1616:
	s_and_b32 vcc_lo, exec_lo, s3
	s_mov_b32 s3, 0
	s_cbranch_vccz .LBB47_1618
; %bb.1617:
	v_cmp_ne_u16_e64 s2, 11, v13
	s_mov_b32 s3, -1
                                        ; implicit-def: $vgpr4
.LBB47_1618:
	s_delay_alu instid0(VALU_DEP_1)
	s_and_b32 vcc_lo, exec_lo, s2
	s_cbranch_vccnz .LBB47_2103
; %bb.1619:
	s_and_not1_b32 vcc_lo, exec_lo, s3
	s_cbranch_vccnz .LBB47_1621
.LBB47_1620:
	global_load_u8 v4, v[11:12], off
	s_mov_b32 s6, -1
	s_waitcnt vmcnt(0)
	v_cmp_ne_u16_e32 vcc_lo, 0, v4
	v_cndmask_b32_e64 v4, 0, 1, vcc_lo
.LBB47_1621:
	s_mov_b32 s2, 0
.LBB47_1622:
	s_delay_alu instid0(SALU_CYCLE_1)
	s_and_b32 vcc_lo, exec_lo, s2
	s_cbranch_vccz .LBB47_1671
; %bb.1623:
	v_cmp_gt_i16_e32 vcc_lo, 5, v13
	s_cbranch_vccnz .LBB47_1628
; %bb.1624:
	v_cmp_gt_i16_e32 vcc_lo, 8, v13
	s_cbranch_vccnz .LBB47_1629
; %bb.1625:
	v_cmp_gt_i16_e32 vcc_lo, 9, v13
	s_cbranch_vccnz .LBB47_1630
; %bb.1626:
	v_cmp_lt_i16_e32 vcc_lo, 9, v13
	s_cbranch_vccz .LBB47_1631
; %bb.1627:
	global_load_b64 v[4:5], v[11:12], off
	s_mov_b32 s2, 0
	s_waitcnt vmcnt(0)
	v_cvt_i32_f64_e32 v4, v[4:5]
	s_branch .LBB47_1632
.LBB47_1628:
	s_mov_b32 s2, -1
                                        ; implicit-def: $vgpr4
	s_branch .LBB47_1650
.LBB47_1629:
	s_mov_b32 s2, -1
                                        ; implicit-def: $vgpr4
	s_branch .LBB47_1638
.LBB47_1630:
	s_mov_b32 s2, -1
                                        ; implicit-def: $vgpr4
	s_branch .LBB47_1635
.LBB47_1631:
	s_mov_b32 s2, -1
                                        ; implicit-def: $vgpr4
.LBB47_1632:
	s_delay_alu instid0(SALU_CYCLE_1)
	s_and_not1_b32 vcc_lo, exec_lo, s2
	s_cbranch_vccnz .LBB47_1634
; %bb.1633:
	global_load_b32 v4, v[11:12], off
	s_waitcnt vmcnt(0)
	v_cvt_i32_f32_e32 v4, v4
.LBB47_1634:
	s_mov_b32 s2, 0
.LBB47_1635:
	s_delay_alu instid0(SALU_CYCLE_1)
	s_and_not1_b32 vcc_lo, exec_lo, s2
	s_cbranch_vccnz .LBB47_1637
; %bb.1636:
	global_load_b32 v4, v[11:12], off
	s_waitcnt vmcnt(0)
	v_cvt_i16_f16_e32 v4, v4
.LBB47_1637:
	s_mov_b32 s2, 0
.LBB47_1638:
	s_delay_alu instid0(SALU_CYCLE_1)
	s_and_not1_b32 vcc_lo, exec_lo, s2
	s_cbranch_vccnz .LBB47_1649
; %bb.1639:
	v_cmp_gt_i16_e32 vcc_lo, 6, v13
	s_cbranch_vccnz .LBB47_1642
; %bb.1640:
	v_cmp_lt_i16_e32 vcc_lo, 6, v13
	s_cbranch_vccz .LBB47_1643
; %bb.1641:
	global_load_b64 v[4:5], v[11:12], off
	s_mov_b32 s2, 0
	s_waitcnt vmcnt(0)
	v_cvt_i32_f64_e32 v4, v[4:5]
	s_branch .LBB47_1644
.LBB47_1642:
	s_mov_b32 s2, -1
                                        ; implicit-def: $vgpr4
	s_branch .LBB47_1647
.LBB47_1643:
	s_mov_b32 s2, -1
                                        ; implicit-def: $vgpr4
.LBB47_1644:
	s_delay_alu instid0(SALU_CYCLE_1)
	s_and_not1_b32 vcc_lo, exec_lo, s2
	s_cbranch_vccnz .LBB47_1646
; %bb.1645:
	global_load_b32 v4, v[11:12], off
	s_waitcnt vmcnt(0)
	v_cvt_i32_f32_e32 v4, v4
.LBB47_1646:
	s_mov_b32 s2, 0
.LBB47_1647:
	s_delay_alu instid0(SALU_CYCLE_1)
	s_and_not1_b32 vcc_lo, exec_lo, s2
	s_cbranch_vccnz .LBB47_1649
; %bb.1648:
	global_load_u16 v4, v[11:12], off
	s_waitcnt vmcnt(0)
	v_cvt_i16_f16_e32 v4, v4
.LBB47_1649:
	s_mov_b32 s2, 0
.LBB47_1650:
	s_delay_alu instid0(SALU_CYCLE_1)
	s_and_not1_b32 vcc_lo, exec_lo, s2
	s_cbranch_vccnz .LBB47_1670
; %bb.1651:
	v_cmp_gt_i16_e32 vcc_lo, 2, v13
	s_cbranch_vccnz .LBB47_1655
; %bb.1652:
	v_cmp_gt_i16_e32 vcc_lo, 3, v13
	s_cbranch_vccnz .LBB47_1656
; %bb.1653:
	v_cmp_lt_i16_e32 vcc_lo, 3, v13
	s_cbranch_vccz .LBB47_1657
; %bb.1654:
	global_load_b64 v[4:5], v[11:12], off
	s_mov_b32 s2, 0
	s_branch .LBB47_1658
.LBB47_1655:
	s_mov_b32 s2, -1
                                        ; implicit-def: $vgpr4
	s_branch .LBB47_1664
.LBB47_1656:
	s_mov_b32 s2, -1
                                        ; implicit-def: $vgpr4
	s_branch .LBB47_1661
.LBB47_1657:
	s_mov_b32 s2, -1
                                        ; implicit-def: $vgpr4
.LBB47_1658:
	s_delay_alu instid0(SALU_CYCLE_1)
	s_and_not1_b32 vcc_lo, exec_lo, s2
	s_cbranch_vccnz .LBB47_1660
; %bb.1659:
	global_load_b32 v4, v[11:12], off
.LBB47_1660:
	s_mov_b32 s2, 0
.LBB47_1661:
	s_delay_alu instid0(SALU_CYCLE_1)
	s_and_not1_b32 vcc_lo, exec_lo, s2
	s_cbranch_vccnz .LBB47_1663
; %bb.1662:
	global_load_u16 v4, v[11:12], off
.LBB47_1663:
	s_mov_b32 s2, 0
.LBB47_1664:
	s_delay_alu instid0(SALU_CYCLE_1)
	s_and_not1_b32 vcc_lo, exec_lo, s2
	s_cbranch_vccnz .LBB47_1670
; %bb.1665:
	v_cmp_lt_i16_e32 vcc_lo, 0, v13
	s_mov_b32 s2, 0
	s_cbranch_vccz .LBB47_1667
; %bb.1666:
	global_load_i8 v4, v[11:12], off
	s_branch .LBB47_1668
.LBB47_1667:
	s_mov_b32 s2, -1
                                        ; implicit-def: $vgpr4
.LBB47_1668:
	s_delay_alu instid0(SALU_CYCLE_1)
	s_and_not1_b32 vcc_lo, exec_lo, s2
	s_cbranch_vccnz .LBB47_1670
; %bb.1669:
	global_load_u8 v4, v[11:12], off
.LBB47_1670:
	s_mov_b32 s6, -1
.LBB47_1671:
	s_delay_alu instid0(SALU_CYCLE_1)
	s_and_not1_b32 vcc_lo, exec_lo, s6
	s_cbranch_vccnz .LBB47_2102
; %bb.1672:
	s_lshr_b32 s0, s0, 8
	v_add_co_u32 v11, s2, s4, v3
	v_and_b32_e64 v9, 0xff, s0
	s_waitcnt vmcnt(0)
	v_xor_b32_e32 v5, -1, v10
	v_add_co_ci_u32_e64 v12, null, s5, 0, s2
	s_mov_b32 s0, -1
	v_cmp_gt_i16_e32 vcc_lo, 11, v9
	s_mov_b32 s3, 0
	s_cbranch_vccnz .LBB47_1750
; %bb.1673:
	v_cmp_lt_i16_e32 vcc_lo, 25, v9
	s_mov_b32 s6, -1
	s_mov_b32 s2, 0
	s_mov_b32 s0, 0
	s_cbranch_vccz .LBB47_1706
; %bb.1674:
	v_cmp_lt_i16_e32 vcc_lo, 28, v9
	s_cbranch_vccz .LBB47_1689
; %bb.1675:
	v_cmp_lt_i16_e32 vcc_lo, 43, v9
	;; [unrolled: 3-line block ×3, first 2 shown]
	s_cbranch_vccz .LBB47_1679
; %bb.1677:
	v_cmp_eq_u16_e32 vcc_lo, 46, v9
	s_mov_b32 s0, -1
	s_mov_b32 s6, 0
	s_cbranch_vccz .LBB47_1679
; %bb.1678:
	v_bfe_i32 v3, v5, 0, 16
	s_mov_b32 s0, 0
	s_mov_b32 s3, -1
	s_delay_alu instid0(VALU_DEP_1) | instskip(NEXT) | instid1(VALU_DEP_1)
	v_cvt_f32_i32_e32 v3, v3
	v_bfe_u32 v7, v3, 16, 1
	s_delay_alu instid0(VALU_DEP_1) | instskip(NEXT) | instid1(VALU_DEP_1)
	v_add3_u32 v3, v3, v7, 0x7fff
	v_lshrrev_b32_e32 v3, 16, v3
	global_store_b32 v[11:12], v3, off
.LBB47_1679:
	s_and_b32 vcc_lo, exec_lo, s6
	s_cbranch_vccz .LBB47_1684
; %bb.1680:
	v_cmp_eq_u16_e32 vcc_lo, 44, v9
	s_mov_b32 s0, -1
	s_cbranch_vccz .LBB47_1684
; %bb.1681:
	v_bfe_i32 v3, v5, 0, 16
	v_mov_b32_e32 v7, 0xff
	s_mov_b32 s3, exec_lo
	s_delay_alu instid0(VALU_DEP_2) | instskip(NEXT) | instid1(VALU_DEP_1)
	v_cvt_f32_i32_e32 v3, v3
	v_bfe_u32 v13, v3, 23, 8
	s_delay_alu instid0(VALU_DEP_1)
	v_cmpx_ne_u32_e32 0xff, v13
; %bb.1682:
	v_and_b32_e32 v7, 0x400000, v3
	v_and_or_b32 v13, 0x3fffff, v3, v13
	v_lshrrev_b32_e32 v3, 23, v3
	s_delay_alu instid0(VALU_DEP_3) | instskip(NEXT) | instid1(VALU_DEP_3)
	v_cmp_ne_u32_e32 vcc_lo, 0, v7
	v_cmp_ne_u32_e64 s0, 0, v13
	s_delay_alu instid0(VALU_DEP_1) | instskip(NEXT) | instid1(SALU_CYCLE_1)
	s_and_b32 s0, vcc_lo, s0
	v_cndmask_b32_e64 v7, 0, 1, s0
	s_delay_alu instid0(VALU_DEP_1)
	v_add_nc_u32_e32 v7, v3, v7
; %bb.1683:
	s_or_b32 exec_lo, exec_lo, s3
	s_mov_b32 s0, 0
	s_mov_b32 s3, -1
	global_store_b8 v[11:12], v7, off
.LBB47_1684:
	s_mov_b32 s6, 0
.LBB47_1685:
	s_delay_alu instid0(SALU_CYCLE_1)
	s_and_b32 vcc_lo, exec_lo, s6
	s_cbranch_vccz .LBB47_1688
; %bb.1686:
	v_cmp_eq_u16_e32 vcc_lo, 29, v9
	s_mov_b32 s0, -1
	s_cbranch_vccz .LBB47_1688
; %bb.1687:
	v_bfe_i32 v13, v5, 0, 16
	s_mov_b32 s0, 0
	s_mov_b32 s3, -1
	s_delay_alu instid0(VALU_DEP_1)
	v_ashrrev_i32_e32 v14, 31, v13
	global_store_b64 v[11:12], v[13:14], off
.LBB47_1688:
	s_mov_b32 s6, 0
.LBB47_1689:
	s_delay_alu instid0(SALU_CYCLE_1)
	s_and_b32 vcc_lo, exec_lo, s6
	s_cbranch_vccz .LBB47_1705
; %bb.1690:
	v_cmp_gt_i16_e32 vcc_lo, 27, v9
	s_mov_b32 s3, -1
	s_cbranch_vccnz .LBB47_1696
; %bb.1691:
	v_cmp_lt_i16_e32 vcc_lo, 27, v9
	s_cbranch_vccz .LBB47_1693
; %bb.1692:
	v_bfe_i32 v3, v5, 0, 16
	s_mov_b32 s3, 0
	global_store_b32 v[11:12], v3, off
.LBB47_1693:
	s_and_not1_b32 vcc_lo, exec_lo, s3
	s_cbranch_vccnz .LBB47_1695
; %bb.1694:
	global_store_b16 v[11:12], v5, off
.LBB47_1695:
	s_mov_b32 s3, 0
.LBB47_1696:
	s_delay_alu instid0(SALU_CYCLE_1)
	s_and_not1_b32 vcc_lo, exec_lo, s3
	s_cbranch_vccnz .LBB47_1704
; %bb.1697:
	v_bfe_i32 v3, v5, 0, 16
	v_mov_b32_e32 v13, 0x80
	s_mov_b32 s3, exec_lo
	s_delay_alu instid0(VALU_DEP_2) | instskip(NEXT) | instid1(VALU_DEP_1)
	v_cvt_f32_i32_e32 v3, v3
	v_and_b32_e32 v7, 0x7fffffff, v3
	s_delay_alu instid0(VALU_DEP_1)
	v_cmpx_gt_u32_e32 0x43800000, v7
	s_cbranch_execz .LBB47_1703
; %bb.1698:
	v_cmp_lt_u32_e32 vcc_lo, 0x3bffffff, v7
	s_mov_b32 s6, 0
                                        ; implicit-def: $vgpr7
	s_and_saveexec_b32 s7, vcc_lo
	s_delay_alu instid0(SALU_CYCLE_1)
	s_xor_b32 s7, exec_lo, s7
	s_cbranch_execz .LBB47_2105
; %bb.1699:
	v_bfe_u32 v7, v3, 20, 1
	s_mov_b32 s6, exec_lo
	s_delay_alu instid0(VALU_DEP_1) | instskip(NEXT) | instid1(VALU_DEP_1)
	v_add3_u32 v7, v3, v7, 0x487ffff
	v_lshrrev_b32_e32 v7, 20, v7
	s_or_saveexec_b32 s7, s7
                                        ; implicit-def: $sgpr10
	s_delay_alu instid0(SALU_CYCLE_1)
	s_xor_b32 exec_lo, exec_lo, s7
	s_cbranch_execnz .LBB47_2106
.LBB47_1700:
	s_or_b32 exec_lo, exec_lo, s7
	v_mov_b32_e32 v13, s10
	s_and_saveexec_b32 s7, s6
.LBB47_1701:
	v_lshrrev_b32_e32 v3, 24, v3
	s_delay_alu instid0(VALU_DEP_1)
	v_and_or_b32 v13, 0x80, v3, v7
.LBB47_1702:
	s_or_b32 exec_lo, exec_lo, s7
.LBB47_1703:
	s_delay_alu instid0(SALU_CYCLE_1)
	s_or_b32 exec_lo, exec_lo, s3
	global_store_b8 v[11:12], v13, off
.LBB47_1704:
	s_mov_b32 s3, -1
.LBB47_1705:
	s_mov_b32 s6, 0
.LBB47_1706:
	s_delay_alu instid0(SALU_CYCLE_1)
	s_and_b32 vcc_lo, exec_lo, s6
	s_cbranch_vccz .LBB47_1746
; %bb.1707:
	v_cmp_lt_i16_e32 vcc_lo, 22, v9
	s_mov_b32 s2, -1
	s_cbranch_vccz .LBB47_1739
; %bb.1708:
	v_cmp_gt_i16_e32 vcc_lo, 24, v9
	s_cbranch_vccnz .LBB47_1728
; %bb.1709:
	v_cmp_lt_i16_e32 vcc_lo, 24, v9
	s_cbranch_vccz .LBB47_1717
; %bb.1710:
	v_bfe_i32 v3, v5, 0, 16
	v_mov_b32_e32 v13, 0x80
	s_mov_b32 s2, exec_lo
	s_delay_alu instid0(VALU_DEP_2) | instskip(NEXT) | instid1(VALU_DEP_1)
	v_cvt_f32_i32_e32 v3, v3
	v_and_b32_e32 v7, 0x7fffffff, v3
	s_delay_alu instid0(VALU_DEP_1)
	v_cmpx_gt_u32_e32 0x47800000, v7
	s_cbranch_execz .LBB47_1716
; %bb.1711:
	v_cmp_lt_u32_e32 vcc_lo, 0x37ffffff, v7
	s_mov_b32 s3, 0
                                        ; implicit-def: $vgpr7
	s_and_saveexec_b32 s6, vcc_lo
	s_delay_alu instid0(SALU_CYCLE_1)
	s_xor_b32 s6, exec_lo, s6
	s_cbranch_execz .LBB47_2111
; %bb.1712:
	v_bfe_u32 v7, v3, 21, 1
	s_mov_b32 s3, exec_lo
	s_delay_alu instid0(VALU_DEP_1) | instskip(NEXT) | instid1(VALU_DEP_1)
	v_add3_u32 v7, v3, v7, 0x88fffff
	v_lshrrev_b32_e32 v7, 21, v7
	s_or_saveexec_b32 s6, s6
                                        ; implicit-def: $sgpr7
	s_delay_alu instid0(SALU_CYCLE_1)
	s_xor_b32 exec_lo, exec_lo, s6
	s_cbranch_execnz .LBB47_2112
.LBB47_1713:
	s_or_b32 exec_lo, exec_lo, s6
	v_mov_b32_e32 v13, s7
	s_and_saveexec_b32 s6, s3
.LBB47_1714:
	v_lshrrev_b32_e32 v3, 24, v3
	s_delay_alu instid0(VALU_DEP_1)
	v_and_or_b32 v13, 0x80, v3, v7
.LBB47_1715:
	s_or_b32 exec_lo, exec_lo, s6
.LBB47_1716:
	s_delay_alu instid0(SALU_CYCLE_1)
	s_or_b32 exec_lo, exec_lo, s2
	s_mov_b32 s2, 0
	global_store_b8 v[11:12], v13, off
.LBB47_1717:
	s_and_b32 vcc_lo, exec_lo, s2
	s_cbranch_vccz .LBB47_1727
; %bb.1718:
	v_bfe_i32 v3, v5, 0, 16
	s_mov_b32 s2, exec_lo
                                        ; implicit-def: $vgpr7
	s_delay_alu instid0(VALU_DEP_1) | instskip(NEXT) | instid1(VALU_DEP_1)
	v_cvt_f32_i32_e32 v3, v3
	v_and_b32_e32 v13, 0x7fffffff, v3
	s_delay_alu instid0(VALU_DEP_1)
	v_cmpx_gt_u32_e32 0x43f00000, v13
	s_xor_b32 s2, exec_lo, s2
	s_cbranch_execz .LBB47_1724
; %bb.1719:
	s_mov_b32 s3, exec_lo
                                        ; implicit-def: $vgpr7
	v_cmpx_lt_u32_e32 0x3c7fffff, v13
	s_xor_b32 s3, exec_lo, s3
; %bb.1720:
	v_bfe_u32 v7, v3, 20, 1
	s_delay_alu instid0(VALU_DEP_1) | instskip(NEXT) | instid1(VALU_DEP_1)
	v_add3_u32 v7, v3, v7, 0x407ffff
	v_and_b32_e32 v13, 0xff00000, v7
	v_lshrrev_b32_e32 v7, 20, v7
	s_delay_alu instid0(VALU_DEP_2) | instskip(NEXT) | instid1(VALU_DEP_2)
	v_cmp_ne_u32_e32 vcc_lo, 0x7f00000, v13
	v_cndmask_b32_e32 v7, 0x7e, v7, vcc_lo
; %bb.1721:
	s_and_not1_saveexec_b32 s3, s3
; %bb.1722:
	v_add_f32_e64 v7, 0x46800000, |v3|
; %bb.1723:
	s_or_b32 exec_lo, exec_lo, s3
                                        ; implicit-def: $vgpr13
.LBB47_1724:
	s_and_not1_saveexec_b32 s2, s2
; %bb.1725:
	v_mov_b32_e32 v7, 0x7f
	v_cmp_lt_u32_e32 vcc_lo, 0x7f800000, v13
	s_delay_alu instid0(VALU_DEP_2)
	v_cndmask_b32_e32 v7, 0x7e, v7, vcc_lo
; %bb.1726:
	s_or_b32 exec_lo, exec_lo, s2
	v_lshrrev_b32_e32 v3, 24, v3
	s_delay_alu instid0(VALU_DEP_1)
	v_and_or_b32 v3, 0x80, v3, v7
	global_store_b8 v[11:12], v3, off
.LBB47_1727:
	s_mov_b32 s2, 0
.LBB47_1728:
	s_delay_alu instid0(SALU_CYCLE_1)
	s_and_not1_b32 vcc_lo, exec_lo, s2
	s_cbranch_vccnz .LBB47_1738
; %bb.1729:
	v_bfe_i32 v3, v5, 0, 16
	s_mov_b32 s2, exec_lo
                                        ; implicit-def: $vgpr7
	s_delay_alu instid0(VALU_DEP_1) | instskip(NEXT) | instid1(VALU_DEP_1)
	v_cvt_f32_i32_e32 v3, v3
	v_and_b32_e32 v13, 0x7fffffff, v3
	s_delay_alu instid0(VALU_DEP_1)
	v_cmpx_gt_u32_e32 0x47800000, v13
	s_xor_b32 s2, exec_lo, s2
	s_cbranch_execz .LBB47_1735
; %bb.1730:
	s_mov_b32 s3, exec_lo
                                        ; implicit-def: $vgpr7
	v_cmpx_lt_u32_e32 0x387fffff, v13
	s_xor_b32 s3, exec_lo, s3
; %bb.1731:
	v_bfe_u32 v7, v3, 21, 1
	s_delay_alu instid0(VALU_DEP_1) | instskip(NEXT) | instid1(VALU_DEP_1)
	v_add3_u32 v7, v3, v7, 0x80fffff
	v_lshrrev_b32_e32 v7, 21, v7
; %bb.1732:
	s_and_not1_saveexec_b32 s3, s3
; %bb.1733:
	v_add_f32_e64 v7, 0x43000000, |v3|
; %bb.1734:
	s_or_b32 exec_lo, exec_lo, s3
                                        ; implicit-def: $vgpr13
.LBB47_1735:
	s_and_not1_saveexec_b32 s2, s2
; %bb.1736:
	v_mov_b32_e32 v7, 0x7f
	v_cmp_lt_u32_e32 vcc_lo, 0x7f800000, v13
	s_delay_alu instid0(VALU_DEP_2)
	v_cndmask_b32_e32 v7, 0x7c, v7, vcc_lo
; %bb.1737:
	s_or_b32 exec_lo, exec_lo, s2
	v_lshrrev_b32_e32 v3, 24, v3
	s_delay_alu instid0(VALU_DEP_1)
	v_and_or_b32 v3, 0x80, v3, v7
	global_store_b8 v[11:12], v3, off
.LBB47_1738:
	s_mov_b32 s2, 0
	s_mov_b32 s3, -1
.LBB47_1739:
	s_and_not1_b32 vcc_lo, exec_lo, s2
	s_mov_b32 s2, 0
	s_cbranch_vccnz .LBB47_1746
; %bb.1740:
	v_cmp_lt_i16_e32 vcc_lo, 14, v9
	s_mov_b32 s2, -1
	s_cbranch_vccz .LBB47_1744
; %bb.1741:
	v_cmp_eq_u16_e32 vcc_lo, 15, v9
	s_mov_b32 s0, -1
	s_cbranch_vccz .LBB47_1743
; %bb.1742:
	v_bfe_i32 v3, v5, 0, 16
	s_mov_b32 s0, 0
	s_mov_b32 s3, -1
	s_delay_alu instid0(VALU_DEP_1) | instskip(NEXT) | instid1(VALU_DEP_1)
	v_cvt_f32_i32_e32 v3, v3
	v_bfe_u32 v7, v3, 16, 1
	s_delay_alu instid0(VALU_DEP_1)
	v_add3_u32 v3, v3, v7, 0x7fff
	global_store_d16_hi_b16 v[11:12], v3, off
.LBB47_1743:
	s_mov_b32 s2, 0
.LBB47_1744:
	s_delay_alu instid0(SALU_CYCLE_1)
	s_and_b32 vcc_lo, exec_lo, s2
	s_mov_b32 s2, 0
	s_cbranch_vccz .LBB47_1746
; %bb.1745:
	v_cmp_ne_u16_e64 s0, 11, v9
	s_mov_b32 s2, -1
.LBB47_1746:
	s_delay_alu instid0(VALU_DEP_1)
	s_and_b32 vcc_lo, exec_lo, s0
	s_cbranch_vccnz .LBB47_2109
; %bb.1747:
	s_and_not1_b32 vcc_lo, exec_lo, s2
	s_cbranch_vccnz .LBB47_1749
.LBB47_1748:
	v_cmp_ne_u16_e32 vcc_lo, -1, v10
	s_mov_b32 s3, -1
	v_cndmask_b32_e64 v3, 0, 1, vcc_lo
	global_store_b8 v[11:12], v3, off
.LBB47_1749:
	s_mov_b32 s0, 0
.LBB47_1750:
	s_delay_alu instid0(SALU_CYCLE_1)
	s_and_b32 vcc_lo, exec_lo, s0
	s_cbranch_vccz .LBB47_1789
; %bb.1751:
	v_cmp_gt_i16_e32 vcc_lo, 5, v9
	s_mov_b32 s0, -1
	s_cbranch_vccnz .LBB47_1772
; %bb.1752:
	v_cmp_gt_i16_e32 vcc_lo, 8, v9
	s_cbranch_vccnz .LBB47_1762
; %bb.1753:
	v_cmp_gt_i16_e32 vcc_lo, 9, v9
	s_cbranch_vccnz .LBB47_1759
; %bb.1754:
	v_cmp_lt_i16_e32 vcc_lo, 9, v9
	s_cbranch_vccz .LBB47_1756
; %bb.1755:
	v_bfe_i32 v3, v5, 0, 16
	v_mov_b32_e32 v15, 0
	s_mov_b32 s0, 0
	s_delay_alu instid0(VALU_DEP_2) | instskip(NEXT) | instid1(VALU_DEP_2)
	v_cvt_f64_i32_e32 v[13:14], v3
	v_mov_b32_e32 v16, v15
	global_store_b128 v[11:12], v[13:16], off
.LBB47_1756:
	s_and_not1_b32 vcc_lo, exec_lo, s0
	s_cbranch_vccnz .LBB47_1758
; %bb.1757:
	v_bfe_i32 v3, v5, 0, 16
	v_mov_b32_e32 v14, 0
	s_delay_alu instid0(VALU_DEP_2)
	v_cvt_f32_i32_e32 v13, v3
	global_store_b64 v[11:12], v[13:14], off
.LBB47_1758:
	s_mov_b32 s0, 0
.LBB47_1759:
	s_delay_alu instid0(SALU_CYCLE_1)
	s_and_not1_b32 vcc_lo, exec_lo, s0
	s_cbranch_vccnz .LBB47_1761
; %bb.1760:
	v_cvt_f16_i16_e32 v3, v5
	s_delay_alu instid0(VALU_DEP_1)
	v_and_b32_e32 v3, 0xffff, v3
	global_store_b32 v[11:12], v3, off
.LBB47_1761:
	s_mov_b32 s0, 0
.LBB47_1762:
	s_delay_alu instid0(SALU_CYCLE_1)
	s_and_not1_b32 vcc_lo, exec_lo, s0
	s_cbranch_vccnz .LBB47_1771
; %bb.1763:
	v_cmp_gt_i16_e32 vcc_lo, 6, v9
	s_mov_b32 s0, -1
	s_cbranch_vccnz .LBB47_1769
; %bb.1764:
	v_cmp_lt_i16_e32 vcc_lo, 6, v9
	s_cbranch_vccz .LBB47_1766
; %bb.1765:
	v_bfe_i32 v3, v5, 0, 16
	s_mov_b32 s0, 0
	s_delay_alu instid0(VALU_DEP_1)
	v_cvt_f64_i32_e32 v[13:14], v3
	global_store_b64 v[11:12], v[13:14], off
.LBB47_1766:
	s_and_not1_b32 vcc_lo, exec_lo, s0
	s_cbranch_vccnz .LBB47_1768
; %bb.1767:
	v_bfe_i32 v3, v5, 0, 16
	s_delay_alu instid0(VALU_DEP_1)
	v_cvt_f32_i32_e32 v3, v3
	global_store_b32 v[11:12], v3, off
.LBB47_1768:
	s_mov_b32 s0, 0
.LBB47_1769:
	s_delay_alu instid0(SALU_CYCLE_1)
	s_and_not1_b32 vcc_lo, exec_lo, s0
	s_cbranch_vccnz .LBB47_1771
; %bb.1770:
	v_cvt_f16_i16_e32 v3, v5
	global_store_b16 v[11:12], v3, off
.LBB47_1771:
	s_mov_b32 s0, 0
.LBB47_1772:
	s_delay_alu instid0(SALU_CYCLE_1)
	s_and_not1_b32 vcc_lo, exec_lo, s0
	s_cbranch_vccnz .LBB47_1788
; %bb.1773:
	v_cmp_gt_i16_e32 vcc_lo, 2, v9
	s_mov_b32 s0, -1
	s_cbranch_vccnz .LBB47_1783
; %bb.1774:
	v_cmp_gt_i16_e32 vcc_lo, 3, v9
	s_cbranch_vccnz .LBB47_1780
; %bb.1775:
	v_cmp_lt_i16_e32 vcc_lo, 3, v9
	s_cbranch_vccz .LBB47_1777
; %bb.1776:
	v_bfe_i32 v13, v5, 0, 16
	s_mov_b32 s0, 0
	s_delay_alu instid0(VALU_DEP_1)
	v_ashrrev_i32_e32 v14, 31, v13
	global_store_b64 v[11:12], v[13:14], off
.LBB47_1777:
	s_and_not1_b32 vcc_lo, exec_lo, s0
	s_cbranch_vccnz .LBB47_1779
; %bb.1778:
	v_bfe_i32 v3, v5, 0, 16
	global_store_b32 v[11:12], v3, off
.LBB47_1779:
	s_mov_b32 s0, 0
.LBB47_1780:
	s_delay_alu instid0(SALU_CYCLE_1)
	s_and_not1_b32 vcc_lo, exec_lo, s0
	s_cbranch_vccnz .LBB47_1782
; %bb.1781:
	global_store_b16 v[11:12], v5, off
.LBB47_1782:
	s_mov_b32 s0, 0
.LBB47_1783:
	s_delay_alu instid0(SALU_CYCLE_1)
	s_and_not1_b32 vcc_lo, exec_lo, s0
	s_cbranch_vccnz .LBB47_1788
; %bb.1784:
	v_cmp_lt_i16_e32 vcc_lo, 0, v9
	s_mov_b32 s0, -1
	s_cbranch_vccz .LBB47_1786
; %bb.1785:
	s_mov_b32 s0, 0
	global_store_b8 v[11:12], v5, off
.LBB47_1786:
	s_and_not1_b32 vcc_lo, exec_lo, s0
	s_cbranch_vccnz .LBB47_1788
; %bb.1787:
	global_store_b8 v[11:12], v5, off
.LBB47_1788:
	s_mov_b32 s3, -1
.LBB47_1789:
	s_delay_alu instid0(SALU_CYCLE_1)
	s_and_not1_b32 vcc_lo, exec_lo, s3
	s_cbranch_vccnz .LBB47_2102
; %bb.1790:
	v_cmp_gt_i16_e32 vcc_lo, 11, v9
	v_add_co_u32 v2, s2, s4, v2
	v_xor_b32_e32 v5, -1, v8
	v_add_co_ci_u32_e64 v3, null, s5, 0, s2
	s_mov_b32 s0, -1
	s_mov_b32 s3, 0
	s_cbranch_vccnz .LBB47_1868
; %bb.1791:
	v_cmp_lt_i16_e32 vcc_lo, 25, v9
	s_mov_b32 s6, -1
	s_mov_b32 s2, 0
	s_mov_b32 s0, 0
	s_cbranch_vccz .LBB47_1824
; %bb.1792:
	v_cmp_lt_i16_e32 vcc_lo, 28, v9
	s_cbranch_vccz .LBB47_1807
; %bb.1793:
	v_cmp_lt_i16_e32 vcc_lo, 43, v9
	;; [unrolled: 3-line block ×3, first 2 shown]
	s_cbranch_vccz .LBB47_1797
; %bb.1795:
	v_cmp_eq_u16_e32 vcc_lo, 46, v9
	s_mov_b32 s0, -1
	s_mov_b32 s6, 0
	s_cbranch_vccz .LBB47_1797
; %bb.1796:
	v_bfe_i32 v7, v5, 0, 16
	s_mov_b32 s0, 0
	s_mov_b32 s3, -1
	s_delay_alu instid0(VALU_DEP_1) | instskip(NEXT) | instid1(VALU_DEP_1)
	v_cvt_f32_i32_e32 v7, v7
	v_bfe_u32 v10, v7, 16, 1
	s_delay_alu instid0(VALU_DEP_1) | instskip(NEXT) | instid1(VALU_DEP_1)
	v_add3_u32 v7, v7, v10, 0x7fff
	v_lshrrev_b32_e32 v7, 16, v7
	global_store_b32 v[2:3], v7, off
.LBB47_1797:
	s_and_b32 vcc_lo, exec_lo, s6
	s_cbranch_vccz .LBB47_1802
; %bb.1798:
	v_cmp_eq_u16_e32 vcc_lo, 44, v9
	s_mov_b32 s0, -1
	s_cbranch_vccz .LBB47_1802
; %bb.1799:
	v_bfe_i32 v7, v5, 0, 16
	v_mov_b32_e32 v10, 0xff
	s_mov_b32 s3, exec_lo
	s_delay_alu instid0(VALU_DEP_2) | instskip(NEXT) | instid1(VALU_DEP_1)
	v_cvt_f32_i32_e32 v7, v7
	v_bfe_u32 v11, v7, 23, 8
	s_delay_alu instid0(VALU_DEP_1)
	v_cmpx_ne_u32_e32 0xff, v11
; %bb.1800:
	v_and_b32_e32 v10, 0x400000, v7
	v_and_or_b32 v11, 0x3fffff, v7, v11
	v_lshrrev_b32_e32 v7, 23, v7
	s_delay_alu instid0(VALU_DEP_3) | instskip(NEXT) | instid1(VALU_DEP_3)
	v_cmp_ne_u32_e32 vcc_lo, 0, v10
	v_cmp_ne_u32_e64 s0, 0, v11
	s_delay_alu instid0(VALU_DEP_1) | instskip(NEXT) | instid1(SALU_CYCLE_1)
	s_and_b32 s0, vcc_lo, s0
	v_cndmask_b32_e64 v10, 0, 1, s0
	s_delay_alu instid0(VALU_DEP_1)
	v_add_nc_u32_e32 v10, v7, v10
; %bb.1801:
	s_or_b32 exec_lo, exec_lo, s3
	s_mov_b32 s0, 0
	s_mov_b32 s3, -1
	global_store_b8 v[2:3], v10, off
.LBB47_1802:
	s_mov_b32 s6, 0
.LBB47_1803:
	s_delay_alu instid0(SALU_CYCLE_1)
	s_and_b32 vcc_lo, exec_lo, s6
	s_cbranch_vccz .LBB47_1806
; %bb.1804:
	v_cmp_eq_u16_e32 vcc_lo, 29, v9
	s_mov_b32 s0, -1
	s_cbranch_vccz .LBB47_1806
; %bb.1805:
	v_bfe_i32 v10, v5, 0, 16
	s_mov_b32 s0, 0
	s_mov_b32 s3, -1
	s_delay_alu instid0(VALU_DEP_1)
	v_ashrrev_i32_e32 v11, 31, v10
	global_store_b64 v[2:3], v[10:11], off
.LBB47_1806:
	s_mov_b32 s6, 0
.LBB47_1807:
	s_delay_alu instid0(SALU_CYCLE_1)
	s_and_b32 vcc_lo, exec_lo, s6
	s_cbranch_vccz .LBB47_1823
; %bb.1808:
	v_cmp_gt_i16_e32 vcc_lo, 27, v9
	s_mov_b32 s3, -1
	s_cbranch_vccnz .LBB47_1814
; %bb.1809:
	v_cmp_lt_i16_e32 vcc_lo, 27, v9
	s_cbranch_vccz .LBB47_1811
; %bb.1810:
	v_bfe_i32 v7, v5, 0, 16
	s_mov_b32 s3, 0
	global_store_b32 v[2:3], v7, off
.LBB47_1811:
	s_and_not1_b32 vcc_lo, exec_lo, s3
	s_cbranch_vccnz .LBB47_1813
; %bb.1812:
	global_store_b16 v[2:3], v5, off
.LBB47_1813:
	s_mov_b32 s3, 0
.LBB47_1814:
	s_delay_alu instid0(SALU_CYCLE_1)
	s_and_not1_b32 vcc_lo, exec_lo, s3
	s_cbranch_vccnz .LBB47_1822
; %bb.1815:
	v_bfe_i32 v7, v5, 0, 16
	v_mov_b32_e32 v11, 0x80
	s_mov_b32 s3, exec_lo
	s_delay_alu instid0(VALU_DEP_2) | instskip(NEXT) | instid1(VALU_DEP_1)
	v_cvt_f32_i32_e32 v7, v7
	v_and_b32_e32 v10, 0x7fffffff, v7
	s_delay_alu instid0(VALU_DEP_1)
	v_cmpx_gt_u32_e32 0x43800000, v10
	s_cbranch_execz .LBB47_1821
; %bb.1816:
	v_cmp_lt_u32_e32 vcc_lo, 0x3bffffff, v10
	s_mov_b32 s6, 0
                                        ; implicit-def: $vgpr10
	s_and_saveexec_b32 s7, vcc_lo
	s_delay_alu instid0(SALU_CYCLE_1)
	s_xor_b32 s7, exec_lo, s7
	s_cbranch_execz .LBB47_2113
; %bb.1817:
	v_bfe_u32 v10, v7, 20, 1
	s_mov_b32 s6, exec_lo
	s_delay_alu instid0(VALU_DEP_1) | instskip(NEXT) | instid1(VALU_DEP_1)
	v_add3_u32 v10, v7, v10, 0x487ffff
	v_lshrrev_b32_e32 v10, 20, v10
	s_or_saveexec_b32 s7, s7
                                        ; implicit-def: $sgpr10
	s_delay_alu instid0(SALU_CYCLE_1)
	s_xor_b32 exec_lo, exec_lo, s7
	s_cbranch_execnz .LBB47_2114
.LBB47_1818:
	s_or_b32 exec_lo, exec_lo, s7
	v_mov_b32_e32 v11, s10
	s_and_saveexec_b32 s7, s6
.LBB47_1819:
	v_lshrrev_b32_e32 v7, 24, v7
	s_delay_alu instid0(VALU_DEP_1)
	v_and_or_b32 v11, 0x80, v7, v10
.LBB47_1820:
	s_or_b32 exec_lo, exec_lo, s7
.LBB47_1821:
	s_delay_alu instid0(SALU_CYCLE_1)
	s_or_b32 exec_lo, exec_lo, s3
	global_store_b8 v[2:3], v11, off
.LBB47_1822:
	s_mov_b32 s3, -1
.LBB47_1823:
	s_mov_b32 s6, 0
.LBB47_1824:
	s_delay_alu instid0(SALU_CYCLE_1)
	s_and_b32 vcc_lo, exec_lo, s6
	s_cbranch_vccz .LBB47_1864
; %bb.1825:
	v_cmp_lt_i16_e32 vcc_lo, 22, v9
	s_mov_b32 s2, -1
	s_cbranch_vccz .LBB47_1857
; %bb.1826:
	v_cmp_gt_i16_e32 vcc_lo, 24, v9
	s_cbranch_vccnz .LBB47_1846
; %bb.1827:
	v_cmp_lt_i16_e32 vcc_lo, 24, v9
	s_cbranch_vccz .LBB47_1835
; %bb.1828:
	v_bfe_i32 v7, v5, 0, 16
	v_mov_b32_e32 v11, 0x80
	s_mov_b32 s2, exec_lo
	s_delay_alu instid0(VALU_DEP_2) | instskip(NEXT) | instid1(VALU_DEP_1)
	v_cvt_f32_i32_e32 v7, v7
	v_and_b32_e32 v10, 0x7fffffff, v7
	s_delay_alu instid0(VALU_DEP_1)
	v_cmpx_gt_u32_e32 0x47800000, v10
	s_cbranch_execz .LBB47_1834
; %bb.1829:
	v_cmp_lt_u32_e32 vcc_lo, 0x37ffffff, v10
	s_mov_b32 s3, 0
                                        ; implicit-def: $vgpr10
	s_and_saveexec_b32 s6, vcc_lo
	s_delay_alu instid0(SALU_CYCLE_1)
	s_xor_b32 s6, exec_lo, s6
	s_cbranch_execz .LBB47_2119
; %bb.1830:
	v_bfe_u32 v10, v7, 21, 1
	s_mov_b32 s3, exec_lo
	s_delay_alu instid0(VALU_DEP_1) | instskip(NEXT) | instid1(VALU_DEP_1)
	v_add3_u32 v10, v7, v10, 0x88fffff
	v_lshrrev_b32_e32 v10, 21, v10
	s_or_saveexec_b32 s6, s6
                                        ; implicit-def: $sgpr7
	s_delay_alu instid0(SALU_CYCLE_1)
	s_xor_b32 exec_lo, exec_lo, s6
	s_cbranch_execnz .LBB47_2120
.LBB47_1831:
	s_or_b32 exec_lo, exec_lo, s6
	v_mov_b32_e32 v11, s7
	s_and_saveexec_b32 s6, s3
.LBB47_1832:
	v_lshrrev_b32_e32 v7, 24, v7
	s_delay_alu instid0(VALU_DEP_1)
	v_and_or_b32 v11, 0x80, v7, v10
.LBB47_1833:
	s_or_b32 exec_lo, exec_lo, s6
.LBB47_1834:
	s_delay_alu instid0(SALU_CYCLE_1)
	s_or_b32 exec_lo, exec_lo, s2
	s_mov_b32 s2, 0
	global_store_b8 v[2:3], v11, off
.LBB47_1835:
	s_and_b32 vcc_lo, exec_lo, s2
	s_cbranch_vccz .LBB47_1845
; %bb.1836:
	v_bfe_i32 v7, v5, 0, 16
	s_mov_b32 s2, exec_lo
                                        ; implicit-def: $vgpr10
	s_delay_alu instid0(VALU_DEP_1) | instskip(NEXT) | instid1(VALU_DEP_1)
	v_cvt_f32_i32_e32 v7, v7
	v_and_b32_e32 v11, 0x7fffffff, v7
	s_delay_alu instid0(VALU_DEP_1)
	v_cmpx_gt_u32_e32 0x43f00000, v11
	s_xor_b32 s2, exec_lo, s2
	s_cbranch_execz .LBB47_1842
; %bb.1837:
	s_mov_b32 s3, exec_lo
                                        ; implicit-def: $vgpr10
	v_cmpx_lt_u32_e32 0x3c7fffff, v11
	s_xor_b32 s3, exec_lo, s3
; %bb.1838:
	v_bfe_u32 v10, v7, 20, 1
	s_delay_alu instid0(VALU_DEP_1) | instskip(NEXT) | instid1(VALU_DEP_1)
	v_add3_u32 v10, v7, v10, 0x407ffff
	v_and_b32_e32 v11, 0xff00000, v10
	v_lshrrev_b32_e32 v10, 20, v10
	s_delay_alu instid0(VALU_DEP_2) | instskip(NEXT) | instid1(VALU_DEP_2)
	v_cmp_ne_u32_e32 vcc_lo, 0x7f00000, v11
	v_cndmask_b32_e32 v10, 0x7e, v10, vcc_lo
; %bb.1839:
	s_and_not1_saveexec_b32 s3, s3
; %bb.1840:
	v_add_f32_e64 v10, 0x46800000, |v7|
; %bb.1841:
	s_or_b32 exec_lo, exec_lo, s3
                                        ; implicit-def: $vgpr11
.LBB47_1842:
	s_and_not1_saveexec_b32 s2, s2
; %bb.1843:
	v_mov_b32_e32 v10, 0x7f
	v_cmp_lt_u32_e32 vcc_lo, 0x7f800000, v11
	s_delay_alu instid0(VALU_DEP_2)
	v_cndmask_b32_e32 v10, 0x7e, v10, vcc_lo
; %bb.1844:
	s_or_b32 exec_lo, exec_lo, s2
	v_lshrrev_b32_e32 v7, 24, v7
	s_delay_alu instid0(VALU_DEP_1)
	v_and_or_b32 v7, 0x80, v7, v10
	global_store_b8 v[2:3], v7, off
.LBB47_1845:
	s_mov_b32 s2, 0
.LBB47_1846:
	s_delay_alu instid0(SALU_CYCLE_1)
	s_and_not1_b32 vcc_lo, exec_lo, s2
	s_cbranch_vccnz .LBB47_1856
; %bb.1847:
	v_bfe_i32 v7, v5, 0, 16
	s_mov_b32 s2, exec_lo
                                        ; implicit-def: $vgpr10
	s_delay_alu instid0(VALU_DEP_1) | instskip(NEXT) | instid1(VALU_DEP_1)
	v_cvt_f32_i32_e32 v7, v7
	v_and_b32_e32 v11, 0x7fffffff, v7
	s_delay_alu instid0(VALU_DEP_1)
	v_cmpx_gt_u32_e32 0x47800000, v11
	s_xor_b32 s2, exec_lo, s2
	s_cbranch_execz .LBB47_1853
; %bb.1848:
	s_mov_b32 s3, exec_lo
                                        ; implicit-def: $vgpr10
	v_cmpx_lt_u32_e32 0x387fffff, v11
	s_xor_b32 s3, exec_lo, s3
; %bb.1849:
	v_bfe_u32 v10, v7, 21, 1
	s_delay_alu instid0(VALU_DEP_1) | instskip(NEXT) | instid1(VALU_DEP_1)
	v_add3_u32 v10, v7, v10, 0x80fffff
	v_lshrrev_b32_e32 v10, 21, v10
; %bb.1850:
	s_and_not1_saveexec_b32 s3, s3
; %bb.1851:
	v_add_f32_e64 v10, 0x43000000, |v7|
; %bb.1852:
	s_or_b32 exec_lo, exec_lo, s3
                                        ; implicit-def: $vgpr11
.LBB47_1853:
	s_and_not1_saveexec_b32 s2, s2
; %bb.1854:
	v_mov_b32_e32 v10, 0x7f
	v_cmp_lt_u32_e32 vcc_lo, 0x7f800000, v11
	s_delay_alu instid0(VALU_DEP_2)
	v_cndmask_b32_e32 v10, 0x7c, v10, vcc_lo
; %bb.1855:
	s_or_b32 exec_lo, exec_lo, s2
	v_lshrrev_b32_e32 v7, 24, v7
	s_delay_alu instid0(VALU_DEP_1)
	v_and_or_b32 v7, 0x80, v7, v10
	global_store_b8 v[2:3], v7, off
.LBB47_1856:
	s_mov_b32 s2, 0
	s_mov_b32 s3, -1
.LBB47_1857:
	s_and_not1_b32 vcc_lo, exec_lo, s2
	s_mov_b32 s2, 0
	s_cbranch_vccnz .LBB47_1864
; %bb.1858:
	v_cmp_lt_i16_e32 vcc_lo, 14, v9
	s_mov_b32 s2, -1
	s_cbranch_vccz .LBB47_1862
; %bb.1859:
	v_cmp_eq_u16_e32 vcc_lo, 15, v9
	s_mov_b32 s0, -1
	s_cbranch_vccz .LBB47_1861
; %bb.1860:
	v_bfe_i32 v7, v5, 0, 16
	s_mov_b32 s0, 0
	s_mov_b32 s3, -1
	s_delay_alu instid0(VALU_DEP_1) | instskip(NEXT) | instid1(VALU_DEP_1)
	v_cvt_f32_i32_e32 v7, v7
	v_bfe_u32 v10, v7, 16, 1
	s_delay_alu instid0(VALU_DEP_1)
	v_add3_u32 v7, v7, v10, 0x7fff
	global_store_d16_hi_b16 v[2:3], v7, off
.LBB47_1861:
	s_mov_b32 s2, 0
.LBB47_1862:
	s_delay_alu instid0(SALU_CYCLE_1)
	s_and_b32 vcc_lo, exec_lo, s2
	s_mov_b32 s2, 0
	s_cbranch_vccz .LBB47_1864
; %bb.1863:
	v_cmp_ne_u16_e64 s0, 11, v9
	s_mov_b32 s2, -1
.LBB47_1864:
	s_delay_alu instid0(VALU_DEP_1)
	s_and_b32 vcc_lo, exec_lo, s0
	s_cbranch_vccnz .LBB47_2117
; %bb.1865:
	s_and_not1_b32 vcc_lo, exec_lo, s2
	s_cbranch_vccnz .LBB47_1867
.LBB47_1866:
	v_cmp_ne_u16_e32 vcc_lo, -1, v8
	s_mov_b32 s3, -1
	v_cndmask_b32_e64 v7, 0, 1, vcc_lo
	global_store_b8 v[2:3], v7, off
.LBB47_1867:
	s_mov_b32 s0, 0
.LBB47_1868:
	s_delay_alu instid0(SALU_CYCLE_1)
	s_and_b32 vcc_lo, exec_lo, s0
	s_cbranch_vccz .LBB47_1907
; %bb.1869:
	v_cmp_gt_i16_e32 vcc_lo, 5, v9
	s_mov_b32 s0, -1
	s_cbranch_vccnz .LBB47_1890
; %bb.1870:
	v_cmp_gt_i16_e32 vcc_lo, 8, v9
	s_cbranch_vccnz .LBB47_1880
; %bb.1871:
	v_cmp_gt_i16_e32 vcc_lo, 9, v9
	s_cbranch_vccnz .LBB47_1877
; %bb.1872:
	v_cmp_lt_i16_e32 vcc_lo, 9, v9
	s_cbranch_vccz .LBB47_1874
; %bb.1873:
	v_bfe_i32 v7, v5, 0, 16
	v_mov_b32_e32 v12, 0
	s_mov_b32 s0, 0
	s_delay_alu instid0(VALU_DEP_2) | instskip(NEXT) | instid1(VALU_DEP_2)
	v_cvt_f64_i32_e32 v[10:11], v7
	v_mov_b32_e32 v13, v12
	global_store_b128 v[2:3], v[10:13], off
.LBB47_1874:
	s_and_not1_b32 vcc_lo, exec_lo, s0
	s_cbranch_vccnz .LBB47_1876
; %bb.1875:
	v_bfe_i32 v7, v5, 0, 16
	v_mov_b32_e32 v8, 0
	s_delay_alu instid0(VALU_DEP_2)
	v_cvt_f32_i32_e32 v7, v7
	global_store_b64 v[2:3], v[7:8], off
.LBB47_1876:
	s_mov_b32 s0, 0
.LBB47_1877:
	s_delay_alu instid0(SALU_CYCLE_1)
	s_and_not1_b32 vcc_lo, exec_lo, s0
	s_cbranch_vccnz .LBB47_1879
; %bb.1878:
	v_cvt_f16_i16_e32 v7, v5
	s_delay_alu instid0(VALU_DEP_1)
	v_and_b32_e32 v7, 0xffff, v7
	global_store_b32 v[2:3], v7, off
.LBB47_1879:
	s_mov_b32 s0, 0
.LBB47_1880:
	s_delay_alu instid0(SALU_CYCLE_1)
	s_and_not1_b32 vcc_lo, exec_lo, s0
	s_cbranch_vccnz .LBB47_1889
; %bb.1881:
	v_cmp_gt_i16_e32 vcc_lo, 6, v9
	s_mov_b32 s0, -1
	s_cbranch_vccnz .LBB47_1887
; %bb.1882:
	v_cmp_lt_i16_e32 vcc_lo, 6, v9
	s_cbranch_vccz .LBB47_1884
; %bb.1883:
	v_bfe_i32 v7, v5, 0, 16
	s_mov_b32 s0, 0
	s_delay_alu instid0(VALU_DEP_1)
	v_cvt_f64_i32_e32 v[7:8], v7
	global_store_b64 v[2:3], v[7:8], off
.LBB47_1884:
	s_and_not1_b32 vcc_lo, exec_lo, s0
	s_cbranch_vccnz .LBB47_1886
; %bb.1885:
	v_bfe_i32 v7, v5, 0, 16
	s_delay_alu instid0(VALU_DEP_1)
	v_cvt_f32_i32_e32 v7, v7
	global_store_b32 v[2:3], v7, off
.LBB47_1886:
	s_mov_b32 s0, 0
.LBB47_1887:
	s_delay_alu instid0(SALU_CYCLE_1)
	s_and_not1_b32 vcc_lo, exec_lo, s0
	s_cbranch_vccnz .LBB47_1889
; %bb.1888:
	v_cvt_f16_i16_e32 v7, v5
	global_store_b16 v[2:3], v7, off
.LBB47_1889:
	s_mov_b32 s0, 0
.LBB47_1890:
	s_delay_alu instid0(SALU_CYCLE_1)
	s_and_not1_b32 vcc_lo, exec_lo, s0
	s_cbranch_vccnz .LBB47_1906
; %bb.1891:
	v_cmp_gt_i16_e32 vcc_lo, 2, v9
	s_mov_b32 s0, -1
	s_cbranch_vccnz .LBB47_1901
; %bb.1892:
	v_cmp_gt_i16_e32 vcc_lo, 3, v9
	s_cbranch_vccnz .LBB47_1898
; %bb.1893:
	v_cmp_lt_i16_e32 vcc_lo, 3, v9
	v_bfe_i32 v7, v5, 0, 16
	s_cbranch_vccz .LBB47_1895
; %bb.1894:
	s_delay_alu instid0(VALU_DEP_1)
	v_ashrrev_i32_e32 v8, 31, v7
	s_mov_b32 s0, 0
	global_store_b64 v[2:3], v[7:8], off
.LBB47_1895:
	s_and_not1_b32 vcc_lo, exec_lo, s0
	s_cbranch_vccnz .LBB47_1897
; %bb.1896:
	global_store_b32 v[2:3], v7, off
.LBB47_1897:
	s_mov_b32 s0, 0
.LBB47_1898:
	s_delay_alu instid0(SALU_CYCLE_1)
	s_and_not1_b32 vcc_lo, exec_lo, s0
	s_cbranch_vccnz .LBB47_1900
; %bb.1899:
	global_store_b16 v[2:3], v5, off
.LBB47_1900:
	s_mov_b32 s0, 0
.LBB47_1901:
	s_delay_alu instid0(SALU_CYCLE_1)
	s_and_not1_b32 vcc_lo, exec_lo, s0
	s_cbranch_vccnz .LBB47_1906
; %bb.1902:
	v_cmp_lt_i16_e32 vcc_lo, 0, v9
	s_mov_b32 s0, -1
	s_cbranch_vccz .LBB47_1904
; %bb.1903:
	s_mov_b32 s0, 0
	global_store_b8 v[2:3], v5, off
.LBB47_1904:
	s_and_not1_b32 vcc_lo, exec_lo, s0
	s_cbranch_vccnz .LBB47_1906
; %bb.1905:
	global_store_b8 v[2:3], v5, off
.LBB47_1906:
	s_mov_b32 s3, -1
.LBB47_1907:
	s_delay_alu instid0(SALU_CYCLE_1)
	s_and_not1_b32 vcc_lo, exec_lo, s3
	s_cbranch_vccnz .LBB47_2102
; %bb.1908:
	v_cmp_gt_i16_e32 vcc_lo, 11, v9
	v_add_co_u32 v1, s2, s4, v1
	v_xor_b32_e32 v3, -1, v6
	v_add_co_ci_u32_e64 v2, null, s5, 0, s2
	s_mov_b32 s0, -1
	s_mov_b32 s3, 0
	s_cbranch_vccnz .LBB47_1986
; %bb.1909:
	v_cmp_lt_i16_e32 vcc_lo, 25, v9
	s_mov_b32 s6, -1
	s_mov_b32 s2, 0
	s_mov_b32 s0, 0
	s_cbranch_vccz .LBB47_1942
; %bb.1910:
	v_cmp_lt_i16_e32 vcc_lo, 28, v9
	s_cbranch_vccz .LBB47_1925
; %bb.1911:
	v_cmp_lt_i16_e32 vcc_lo, 43, v9
	;; [unrolled: 3-line block ×3, first 2 shown]
	s_cbranch_vccz .LBB47_1915
; %bb.1913:
	v_cmp_eq_u16_e32 vcc_lo, 46, v9
	s_mov_b32 s0, -1
	s_mov_b32 s6, 0
	s_cbranch_vccz .LBB47_1915
; %bb.1914:
	v_bfe_i32 v5, v3, 0, 16
	s_mov_b32 s0, 0
	s_mov_b32 s3, -1
	s_delay_alu instid0(VALU_DEP_1) | instskip(NEXT) | instid1(VALU_DEP_1)
	v_cvt_f32_i32_e32 v5, v5
	v_bfe_u32 v7, v5, 16, 1
	s_delay_alu instid0(VALU_DEP_1) | instskip(NEXT) | instid1(VALU_DEP_1)
	v_add3_u32 v5, v5, v7, 0x7fff
	v_lshrrev_b32_e32 v5, 16, v5
	global_store_b32 v[1:2], v5, off
.LBB47_1915:
	s_and_b32 vcc_lo, exec_lo, s6
	s_cbranch_vccz .LBB47_1920
; %bb.1916:
	v_cmp_eq_u16_e32 vcc_lo, 44, v9
	s_mov_b32 s0, -1
	s_cbranch_vccz .LBB47_1920
; %bb.1917:
	v_bfe_i32 v5, v3, 0, 16
	v_mov_b32_e32 v7, 0xff
	s_mov_b32 s3, exec_lo
	s_delay_alu instid0(VALU_DEP_2) | instskip(NEXT) | instid1(VALU_DEP_1)
	v_cvt_f32_i32_e32 v5, v5
	v_bfe_u32 v8, v5, 23, 8
	s_delay_alu instid0(VALU_DEP_1)
	v_cmpx_ne_u32_e32 0xff, v8
; %bb.1918:
	v_and_b32_e32 v7, 0x400000, v5
	v_and_or_b32 v8, 0x3fffff, v5, v8
	v_lshrrev_b32_e32 v5, 23, v5
	s_delay_alu instid0(VALU_DEP_3) | instskip(NEXT) | instid1(VALU_DEP_3)
	v_cmp_ne_u32_e32 vcc_lo, 0, v7
	v_cmp_ne_u32_e64 s0, 0, v8
	s_delay_alu instid0(VALU_DEP_1) | instskip(NEXT) | instid1(SALU_CYCLE_1)
	s_and_b32 s0, vcc_lo, s0
	v_cndmask_b32_e64 v7, 0, 1, s0
	s_delay_alu instid0(VALU_DEP_1)
	v_add_nc_u32_e32 v7, v5, v7
; %bb.1919:
	s_or_b32 exec_lo, exec_lo, s3
	s_mov_b32 s0, 0
	s_mov_b32 s3, -1
	global_store_b8 v[1:2], v7, off
.LBB47_1920:
	s_mov_b32 s6, 0
.LBB47_1921:
	s_delay_alu instid0(SALU_CYCLE_1)
	s_and_b32 vcc_lo, exec_lo, s6
	s_cbranch_vccz .LBB47_1924
; %bb.1922:
	v_cmp_eq_u16_e32 vcc_lo, 29, v9
	s_mov_b32 s0, -1
	s_cbranch_vccz .LBB47_1924
; %bb.1923:
	v_bfe_i32 v7, v3, 0, 16
	s_mov_b32 s0, 0
	s_mov_b32 s3, -1
	s_delay_alu instid0(VALU_DEP_1)
	v_ashrrev_i32_e32 v8, 31, v7
	global_store_b64 v[1:2], v[7:8], off
.LBB47_1924:
	s_mov_b32 s6, 0
.LBB47_1925:
	s_delay_alu instid0(SALU_CYCLE_1)
	s_and_b32 vcc_lo, exec_lo, s6
	s_cbranch_vccz .LBB47_1941
; %bb.1926:
	v_cmp_gt_i16_e32 vcc_lo, 27, v9
	s_mov_b32 s3, -1
	s_cbranch_vccnz .LBB47_1932
; %bb.1927:
	v_cmp_lt_i16_e32 vcc_lo, 27, v9
	s_cbranch_vccz .LBB47_1929
; %bb.1928:
	v_bfe_i32 v5, v3, 0, 16
	s_mov_b32 s3, 0
	global_store_b32 v[1:2], v5, off
.LBB47_1929:
	s_and_not1_b32 vcc_lo, exec_lo, s3
	s_cbranch_vccnz .LBB47_1931
; %bb.1930:
	global_store_b16 v[1:2], v3, off
.LBB47_1931:
	s_mov_b32 s3, 0
.LBB47_1932:
	s_delay_alu instid0(SALU_CYCLE_1)
	s_and_not1_b32 vcc_lo, exec_lo, s3
	s_cbranch_vccnz .LBB47_1940
; %bb.1933:
	v_bfe_i32 v5, v3, 0, 16
	v_mov_b32_e32 v8, 0x80
	s_mov_b32 s3, exec_lo
	s_delay_alu instid0(VALU_DEP_2) | instskip(NEXT) | instid1(VALU_DEP_1)
	v_cvt_f32_i32_e32 v5, v5
	v_and_b32_e32 v7, 0x7fffffff, v5
	s_delay_alu instid0(VALU_DEP_1)
	v_cmpx_gt_u32_e32 0x43800000, v7
	s_cbranch_execz .LBB47_1939
; %bb.1934:
	v_cmp_lt_u32_e32 vcc_lo, 0x3bffffff, v7
	s_mov_b32 s6, 0
                                        ; implicit-def: $vgpr7
	s_and_saveexec_b32 s7, vcc_lo
	s_delay_alu instid0(SALU_CYCLE_1)
	s_xor_b32 s7, exec_lo, s7
	s_cbranch_execz .LBB47_2121
; %bb.1935:
	v_bfe_u32 v7, v5, 20, 1
	s_mov_b32 s6, exec_lo
	s_delay_alu instid0(VALU_DEP_1) | instskip(NEXT) | instid1(VALU_DEP_1)
	v_add3_u32 v7, v5, v7, 0x487ffff
	v_lshrrev_b32_e32 v7, 20, v7
	s_or_saveexec_b32 s7, s7
                                        ; implicit-def: $sgpr10
	s_delay_alu instid0(SALU_CYCLE_1)
	s_xor_b32 exec_lo, exec_lo, s7
	s_cbranch_execnz .LBB47_2122
.LBB47_1936:
	s_or_b32 exec_lo, exec_lo, s7
	v_mov_b32_e32 v8, s10
	s_and_saveexec_b32 s7, s6
.LBB47_1937:
	v_lshrrev_b32_e32 v5, 24, v5
	s_delay_alu instid0(VALU_DEP_1)
	v_and_or_b32 v8, 0x80, v5, v7
.LBB47_1938:
	s_or_b32 exec_lo, exec_lo, s7
.LBB47_1939:
	s_delay_alu instid0(SALU_CYCLE_1)
	s_or_b32 exec_lo, exec_lo, s3
	global_store_b8 v[1:2], v8, off
.LBB47_1940:
	s_mov_b32 s3, -1
.LBB47_1941:
	s_mov_b32 s6, 0
.LBB47_1942:
	s_delay_alu instid0(SALU_CYCLE_1)
	s_and_b32 vcc_lo, exec_lo, s6
	s_cbranch_vccz .LBB47_1982
; %bb.1943:
	v_cmp_lt_i16_e32 vcc_lo, 22, v9
	s_mov_b32 s2, -1
	s_cbranch_vccz .LBB47_1975
; %bb.1944:
	v_cmp_gt_i16_e32 vcc_lo, 24, v9
	s_cbranch_vccnz .LBB47_1964
; %bb.1945:
	v_cmp_lt_i16_e32 vcc_lo, 24, v9
	s_cbranch_vccz .LBB47_1953
; %bb.1946:
	v_bfe_i32 v5, v3, 0, 16
	v_mov_b32_e32 v8, 0x80
	s_mov_b32 s2, exec_lo
	s_delay_alu instid0(VALU_DEP_2) | instskip(NEXT) | instid1(VALU_DEP_1)
	v_cvt_f32_i32_e32 v5, v5
	v_and_b32_e32 v7, 0x7fffffff, v5
	s_delay_alu instid0(VALU_DEP_1)
	v_cmpx_gt_u32_e32 0x47800000, v7
	s_cbranch_execz .LBB47_1952
; %bb.1947:
	v_cmp_lt_u32_e32 vcc_lo, 0x37ffffff, v7
	s_mov_b32 s3, 0
                                        ; implicit-def: $vgpr7
	s_and_saveexec_b32 s6, vcc_lo
	s_delay_alu instid0(SALU_CYCLE_1)
	s_xor_b32 s6, exec_lo, s6
	s_cbranch_execz .LBB47_2127
; %bb.1948:
	v_bfe_u32 v7, v5, 21, 1
	s_mov_b32 s3, exec_lo
	s_delay_alu instid0(VALU_DEP_1) | instskip(NEXT) | instid1(VALU_DEP_1)
	v_add3_u32 v7, v5, v7, 0x88fffff
	v_lshrrev_b32_e32 v7, 21, v7
	s_or_saveexec_b32 s6, s6
                                        ; implicit-def: $sgpr7
	s_delay_alu instid0(SALU_CYCLE_1)
	s_xor_b32 exec_lo, exec_lo, s6
	s_cbranch_execnz .LBB47_2128
.LBB47_1949:
	s_or_b32 exec_lo, exec_lo, s6
	v_mov_b32_e32 v8, s7
	s_and_saveexec_b32 s6, s3
.LBB47_1950:
	v_lshrrev_b32_e32 v5, 24, v5
	s_delay_alu instid0(VALU_DEP_1)
	v_and_or_b32 v8, 0x80, v5, v7
.LBB47_1951:
	s_or_b32 exec_lo, exec_lo, s6
.LBB47_1952:
	s_delay_alu instid0(SALU_CYCLE_1)
	s_or_b32 exec_lo, exec_lo, s2
	s_mov_b32 s2, 0
	global_store_b8 v[1:2], v8, off
.LBB47_1953:
	s_and_b32 vcc_lo, exec_lo, s2
	s_cbranch_vccz .LBB47_1963
; %bb.1954:
	v_bfe_i32 v5, v3, 0, 16
	s_mov_b32 s2, exec_lo
                                        ; implicit-def: $vgpr7
	s_delay_alu instid0(VALU_DEP_1) | instskip(NEXT) | instid1(VALU_DEP_1)
	v_cvt_f32_i32_e32 v5, v5
	v_and_b32_e32 v8, 0x7fffffff, v5
	s_delay_alu instid0(VALU_DEP_1)
	v_cmpx_gt_u32_e32 0x43f00000, v8
	s_xor_b32 s2, exec_lo, s2
	s_cbranch_execz .LBB47_1960
; %bb.1955:
	s_mov_b32 s3, exec_lo
                                        ; implicit-def: $vgpr7
	v_cmpx_lt_u32_e32 0x3c7fffff, v8
	s_xor_b32 s3, exec_lo, s3
; %bb.1956:
	v_bfe_u32 v7, v5, 20, 1
	s_delay_alu instid0(VALU_DEP_1) | instskip(NEXT) | instid1(VALU_DEP_1)
	v_add3_u32 v7, v5, v7, 0x407ffff
	v_and_b32_e32 v8, 0xff00000, v7
	v_lshrrev_b32_e32 v7, 20, v7
	s_delay_alu instid0(VALU_DEP_2) | instskip(NEXT) | instid1(VALU_DEP_2)
	v_cmp_ne_u32_e32 vcc_lo, 0x7f00000, v8
	v_cndmask_b32_e32 v7, 0x7e, v7, vcc_lo
; %bb.1957:
	s_and_not1_saveexec_b32 s3, s3
; %bb.1958:
	v_add_f32_e64 v7, 0x46800000, |v5|
; %bb.1959:
	s_or_b32 exec_lo, exec_lo, s3
                                        ; implicit-def: $vgpr8
.LBB47_1960:
	s_and_not1_saveexec_b32 s2, s2
; %bb.1961:
	v_mov_b32_e32 v7, 0x7f
	v_cmp_lt_u32_e32 vcc_lo, 0x7f800000, v8
	s_delay_alu instid0(VALU_DEP_2)
	v_cndmask_b32_e32 v7, 0x7e, v7, vcc_lo
; %bb.1962:
	s_or_b32 exec_lo, exec_lo, s2
	v_lshrrev_b32_e32 v5, 24, v5
	s_delay_alu instid0(VALU_DEP_1)
	v_and_or_b32 v5, 0x80, v5, v7
	global_store_b8 v[1:2], v5, off
.LBB47_1963:
	s_mov_b32 s2, 0
.LBB47_1964:
	s_delay_alu instid0(SALU_CYCLE_1)
	s_and_not1_b32 vcc_lo, exec_lo, s2
	s_cbranch_vccnz .LBB47_1974
; %bb.1965:
	v_bfe_i32 v5, v3, 0, 16
	s_mov_b32 s2, exec_lo
                                        ; implicit-def: $vgpr7
	s_delay_alu instid0(VALU_DEP_1) | instskip(NEXT) | instid1(VALU_DEP_1)
	v_cvt_f32_i32_e32 v5, v5
	v_and_b32_e32 v8, 0x7fffffff, v5
	s_delay_alu instid0(VALU_DEP_1)
	v_cmpx_gt_u32_e32 0x47800000, v8
	s_xor_b32 s2, exec_lo, s2
	s_cbranch_execz .LBB47_1971
; %bb.1966:
	s_mov_b32 s3, exec_lo
                                        ; implicit-def: $vgpr7
	v_cmpx_lt_u32_e32 0x387fffff, v8
	s_xor_b32 s3, exec_lo, s3
; %bb.1967:
	v_bfe_u32 v7, v5, 21, 1
	s_delay_alu instid0(VALU_DEP_1) | instskip(NEXT) | instid1(VALU_DEP_1)
	v_add3_u32 v7, v5, v7, 0x80fffff
	v_lshrrev_b32_e32 v7, 21, v7
; %bb.1968:
	s_and_not1_saveexec_b32 s3, s3
; %bb.1969:
	v_add_f32_e64 v7, 0x43000000, |v5|
; %bb.1970:
	s_or_b32 exec_lo, exec_lo, s3
                                        ; implicit-def: $vgpr8
.LBB47_1971:
	s_and_not1_saveexec_b32 s2, s2
; %bb.1972:
	v_mov_b32_e32 v7, 0x7f
	v_cmp_lt_u32_e32 vcc_lo, 0x7f800000, v8
	s_delay_alu instid0(VALU_DEP_2)
	v_cndmask_b32_e32 v7, 0x7c, v7, vcc_lo
; %bb.1973:
	s_or_b32 exec_lo, exec_lo, s2
	v_lshrrev_b32_e32 v5, 24, v5
	s_delay_alu instid0(VALU_DEP_1)
	v_and_or_b32 v5, 0x80, v5, v7
	global_store_b8 v[1:2], v5, off
.LBB47_1974:
	s_mov_b32 s2, 0
	s_mov_b32 s3, -1
.LBB47_1975:
	s_and_not1_b32 vcc_lo, exec_lo, s2
	s_mov_b32 s2, 0
	s_cbranch_vccnz .LBB47_1982
; %bb.1976:
	v_cmp_lt_i16_e32 vcc_lo, 14, v9
	s_mov_b32 s2, -1
	s_cbranch_vccz .LBB47_1980
; %bb.1977:
	v_cmp_eq_u16_e32 vcc_lo, 15, v9
	s_mov_b32 s0, -1
	s_cbranch_vccz .LBB47_1979
; %bb.1978:
	v_bfe_i32 v5, v3, 0, 16
	s_mov_b32 s0, 0
	s_mov_b32 s3, -1
	s_delay_alu instid0(VALU_DEP_1) | instskip(NEXT) | instid1(VALU_DEP_1)
	v_cvt_f32_i32_e32 v5, v5
	v_bfe_u32 v7, v5, 16, 1
	s_delay_alu instid0(VALU_DEP_1)
	v_add3_u32 v5, v5, v7, 0x7fff
	global_store_d16_hi_b16 v[1:2], v5, off
.LBB47_1979:
	s_mov_b32 s2, 0
.LBB47_1980:
	s_delay_alu instid0(SALU_CYCLE_1)
	s_and_b32 vcc_lo, exec_lo, s2
	s_mov_b32 s2, 0
	s_cbranch_vccz .LBB47_1982
; %bb.1981:
	v_cmp_ne_u16_e64 s0, 11, v9
	s_mov_b32 s2, -1
.LBB47_1982:
	s_delay_alu instid0(VALU_DEP_1)
	s_and_b32 vcc_lo, exec_lo, s0
	s_cbranch_vccnz .LBB47_2125
; %bb.1983:
	s_and_not1_b32 vcc_lo, exec_lo, s2
	s_cbranch_vccnz .LBB47_1985
.LBB47_1984:
	v_cmp_ne_u16_e32 vcc_lo, -1, v6
	s_mov_b32 s3, -1
	v_cndmask_b32_e64 v5, 0, 1, vcc_lo
	global_store_b8 v[1:2], v5, off
.LBB47_1985:
	s_mov_b32 s0, 0
.LBB47_1986:
	s_delay_alu instid0(SALU_CYCLE_1)
	s_and_b32 vcc_lo, exec_lo, s0
	s_cbranch_vccz .LBB47_2025
; %bb.1987:
	v_cmp_gt_i16_e32 vcc_lo, 5, v9
	s_mov_b32 s0, -1
	s_cbranch_vccnz .LBB47_2008
; %bb.1988:
	v_cmp_gt_i16_e32 vcc_lo, 8, v9
	s_cbranch_vccnz .LBB47_1998
; %bb.1989:
	v_cmp_gt_i16_e32 vcc_lo, 9, v9
	s_cbranch_vccnz .LBB47_1995
; %bb.1990:
	v_cmp_lt_i16_e32 vcc_lo, 9, v9
	s_cbranch_vccz .LBB47_1992
; %bb.1991:
	v_bfe_i32 v5, v3, 0, 16
	v_mov_b32_e32 v7, 0
	s_mov_b32 s0, 0
	s_delay_alu instid0(VALU_DEP_2) | instskip(NEXT) | instid1(VALU_DEP_2)
	v_cvt_f64_i32_e32 v[5:6], v5
	v_mov_b32_e32 v8, v7
	global_store_b128 v[1:2], v[5:8], off
.LBB47_1992:
	s_and_not1_b32 vcc_lo, exec_lo, s0
	s_cbranch_vccnz .LBB47_1994
; %bb.1993:
	v_bfe_i32 v5, v3, 0, 16
	v_mov_b32_e32 v6, 0
	s_delay_alu instid0(VALU_DEP_2)
	v_cvt_f32_i32_e32 v5, v5
	global_store_b64 v[1:2], v[5:6], off
.LBB47_1994:
	s_mov_b32 s0, 0
.LBB47_1995:
	s_delay_alu instid0(SALU_CYCLE_1)
	s_and_not1_b32 vcc_lo, exec_lo, s0
	s_cbranch_vccnz .LBB47_1997
; %bb.1996:
	v_cvt_f16_i16_e32 v5, v3
	s_delay_alu instid0(VALU_DEP_1)
	v_and_b32_e32 v5, 0xffff, v5
	global_store_b32 v[1:2], v5, off
.LBB47_1997:
	s_mov_b32 s0, 0
.LBB47_1998:
	s_delay_alu instid0(SALU_CYCLE_1)
	s_and_not1_b32 vcc_lo, exec_lo, s0
	s_cbranch_vccnz .LBB47_2007
; %bb.1999:
	v_cmp_gt_i16_e32 vcc_lo, 6, v9
	s_mov_b32 s0, -1
	s_cbranch_vccnz .LBB47_2005
; %bb.2000:
	v_cmp_lt_i16_e32 vcc_lo, 6, v9
	s_cbranch_vccz .LBB47_2002
; %bb.2001:
	v_bfe_i32 v5, v3, 0, 16
	s_mov_b32 s0, 0
	s_delay_alu instid0(VALU_DEP_1)
	v_cvt_f64_i32_e32 v[5:6], v5
	global_store_b64 v[1:2], v[5:6], off
.LBB47_2002:
	s_and_not1_b32 vcc_lo, exec_lo, s0
	s_cbranch_vccnz .LBB47_2004
; %bb.2003:
	v_bfe_i32 v5, v3, 0, 16
	s_delay_alu instid0(VALU_DEP_1)
	v_cvt_f32_i32_e32 v5, v5
	global_store_b32 v[1:2], v5, off
.LBB47_2004:
	s_mov_b32 s0, 0
.LBB47_2005:
	s_delay_alu instid0(SALU_CYCLE_1)
	s_and_not1_b32 vcc_lo, exec_lo, s0
	s_cbranch_vccnz .LBB47_2007
; %bb.2006:
	v_cvt_f16_i16_e32 v5, v3
	global_store_b16 v[1:2], v5, off
.LBB47_2007:
	s_mov_b32 s0, 0
.LBB47_2008:
	s_delay_alu instid0(SALU_CYCLE_1)
	s_and_not1_b32 vcc_lo, exec_lo, s0
	s_cbranch_vccnz .LBB47_2024
; %bb.2009:
	v_cmp_gt_i16_e32 vcc_lo, 2, v9
	s_mov_b32 s0, -1
	s_cbranch_vccnz .LBB47_2019
; %bb.2010:
	v_cmp_gt_i16_e32 vcc_lo, 3, v9
	s_cbranch_vccnz .LBB47_2016
; %bb.2011:
	v_cmp_lt_i16_e32 vcc_lo, 3, v9
	v_bfe_i32 v5, v3, 0, 16
	s_cbranch_vccz .LBB47_2013
; %bb.2012:
	s_delay_alu instid0(VALU_DEP_1)
	v_ashrrev_i32_e32 v6, 31, v5
	s_mov_b32 s0, 0
	global_store_b64 v[1:2], v[5:6], off
.LBB47_2013:
	s_and_not1_b32 vcc_lo, exec_lo, s0
	s_cbranch_vccnz .LBB47_2015
; %bb.2014:
	global_store_b32 v[1:2], v5, off
.LBB47_2015:
	s_mov_b32 s0, 0
.LBB47_2016:
	s_delay_alu instid0(SALU_CYCLE_1)
	s_and_not1_b32 vcc_lo, exec_lo, s0
	s_cbranch_vccnz .LBB47_2018
; %bb.2017:
	global_store_b16 v[1:2], v3, off
.LBB47_2018:
	s_mov_b32 s0, 0
.LBB47_2019:
	s_delay_alu instid0(SALU_CYCLE_1)
	s_and_not1_b32 vcc_lo, exec_lo, s0
	s_cbranch_vccnz .LBB47_2024
; %bb.2020:
	v_cmp_lt_i16_e32 vcc_lo, 0, v9
	s_mov_b32 s0, -1
	s_cbranch_vccz .LBB47_2022
; %bb.2021:
	s_mov_b32 s0, 0
	global_store_b8 v[1:2], v3, off
.LBB47_2022:
	s_and_not1_b32 vcc_lo, exec_lo, s0
	s_cbranch_vccnz .LBB47_2024
; %bb.2023:
	global_store_b8 v[1:2], v3, off
.LBB47_2024:
	s_mov_b32 s3, -1
.LBB47_2025:
	s_delay_alu instid0(SALU_CYCLE_1)
	s_and_not1_b32 vcc_lo, exec_lo, s3
	s_cbranch_vccnz .LBB47_2102
; %bb.2026:
	v_cmp_gt_i16_e32 vcc_lo, 11, v9
	v_add_co_u32 v0, s2, s4, v0
	v_xor_b32_e32 v2, -1, v4
	v_add_co_ci_u32_e64 v1, null, s5, 0, s2
	s_mov_b32 s0, -1
	s_mov_b32 s2, 0
	s_cbranch_vccnz .LBB47_1431
; %bb.2027:
	v_cmp_lt_i16_e32 vcc_lo, 25, v9
	s_mov_b32 s3, -1
	s_mov_b32 s0, 0
	s_cbranch_vccz .LBB47_2060
; %bb.2028:
	v_cmp_lt_i16_e32 vcc_lo, 28, v9
	s_cbranch_vccz .LBB47_2044
; %bb.2029:
	v_cmp_lt_i16_e32 vcc_lo, 43, v9
	;; [unrolled: 3-line block ×3, first 2 shown]
	s_cbranch_vccz .LBB47_2034
; %bb.2031:
	v_cmp_eq_u16_e32 vcc_lo, 46, v9
	s_mov_b32 s0, -1
	s_cbranch_vccz .LBB47_2033
; %bb.2032:
	v_bfe_i32 v3, v2, 0, 16
	s_mov_b32 s0, 0
	s_delay_alu instid0(VALU_DEP_1) | instskip(NEXT) | instid1(VALU_DEP_1)
	v_cvt_f32_i32_e32 v3, v3
	v_bfe_u32 v5, v3, 16, 1
	s_delay_alu instid0(VALU_DEP_1) | instskip(NEXT) | instid1(VALU_DEP_1)
	v_add3_u32 v3, v3, v5, 0x7fff
	v_lshrrev_b32_e32 v3, 16, v3
	global_store_b32 v[0:1], v3, off
.LBB47_2033:
	s_mov_b32 s3, 0
.LBB47_2034:
	s_delay_alu instid0(SALU_CYCLE_1)
	s_and_b32 vcc_lo, exec_lo, s3
	s_cbranch_vccz .LBB47_2039
; %bb.2035:
	v_cmp_eq_u16_e32 vcc_lo, 44, v9
	s_mov_b32 s0, -1
	s_cbranch_vccz .LBB47_2039
; %bb.2036:
	v_bfe_i32 v3, v2, 0, 16
	v_mov_b32_e32 v5, 0xff
	s_mov_b32 s3, exec_lo
	s_delay_alu instid0(VALU_DEP_2) | instskip(NEXT) | instid1(VALU_DEP_1)
	v_cvt_f32_i32_e32 v3, v3
	v_bfe_u32 v6, v3, 23, 8
	s_delay_alu instid0(VALU_DEP_1)
	v_cmpx_ne_u32_e32 0xff, v6
; %bb.2037:
	v_and_b32_e32 v5, 0x400000, v3
	v_and_or_b32 v6, 0x3fffff, v3, v6
	v_lshrrev_b32_e32 v3, 23, v3
	s_delay_alu instid0(VALU_DEP_3) | instskip(NEXT) | instid1(VALU_DEP_3)
	v_cmp_ne_u32_e32 vcc_lo, 0, v5
	v_cmp_ne_u32_e64 s0, 0, v6
	s_delay_alu instid0(VALU_DEP_1) | instskip(NEXT) | instid1(SALU_CYCLE_1)
	s_and_b32 s0, vcc_lo, s0
	v_cndmask_b32_e64 v5, 0, 1, s0
	s_delay_alu instid0(VALU_DEP_1)
	v_add_nc_u32_e32 v5, v3, v5
; %bb.2038:
	s_or_b32 exec_lo, exec_lo, s3
	s_mov_b32 s0, 0
	global_store_b8 v[0:1], v5, off
.LBB47_2039:
	s_mov_b32 s3, 0
.LBB47_2040:
	s_delay_alu instid0(SALU_CYCLE_1)
	s_and_b32 vcc_lo, exec_lo, s3
	s_cbranch_vccz .LBB47_2043
; %bb.2041:
	v_cmp_eq_u16_e32 vcc_lo, 29, v9
	s_mov_b32 s0, -1
	s_cbranch_vccz .LBB47_2043
; %bb.2042:
	v_bfe_i32 v5, v2, 0, 16
	s_mov_b32 s0, 0
	s_delay_alu instid0(VALU_DEP_1)
	v_ashrrev_i32_e32 v6, 31, v5
	global_store_b64 v[0:1], v[5:6], off
.LBB47_2043:
	s_mov_b32 s3, 0
.LBB47_2044:
	s_delay_alu instid0(SALU_CYCLE_1)
	s_and_b32 vcc_lo, exec_lo, s3
	s_cbranch_vccz .LBB47_2059
; %bb.2045:
	v_cmp_gt_i16_e32 vcc_lo, 27, v9
	s_mov_b32 s3, -1
	s_cbranch_vccnz .LBB47_2051
; %bb.2046:
	v_cmp_lt_i16_e32 vcc_lo, 27, v9
	s_cbranch_vccz .LBB47_2048
; %bb.2047:
	v_bfe_i32 v3, v2, 0, 16
	s_mov_b32 s3, 0
	global_store_b32 v[0:1], v3, off
.LBB47_2048:
	s_and_not1_b32 vcc_lo, exec_lo, s3
	s_cbranch_vccnz .LBB47_2050
; %bb.2049:
	global_store_b16 v[0:1], v2, off
.LBB47_2050:
	s_mov_b32 s3, 0
.LBB47_2051:
	s_delay_alu instid0(SALU_CYCLE_1)
	s_and_not1_b32 vcc_lo, exec_lo, s3
	s_cbranch_vccnz .LBB47_2059
; %bb.2052:
	v_bfe_i32 v3, v2, 0, 16
	v_mov_b32_e32 v6, 0x80
	s_mov_b32 s3, exec_lo
	s_delay_alu instid0(VALU_DEP_2) | instskip(NEXT) | instid1(VALU_DEP_1)
	v_cvt_f32_i32_e32 v3, v3
	v_and_b32_e32 v5, 0x7fffffff, v3
	s_delay_alu instid0(VALU_DEP_1)
	v_cmpx_gt_u32_e32 0x43800000, v5
	s_cbranch_execz .LBB47_2058
; %bb.2053:
	v_cmp_lt_u32_e32 vcc_lo, 0x3bffffff, v5
	s_mov_b32 s4, 0
                                        ; implicit-def: $vgpr5
	s_and_saveexec_b32 s5, vcc_lo
	s_delay_alu instid0(SALU_CYCLE_1)
	s_xor_b32 s5, exec_lo, s5
	s_cbranch_execz .LBB47_2129
; %bb.2054:
	v_bfe_u32 v5, v3, 20, 1
	s_mov_b32 s4, exec_lo
	s_delay_alu instid0(VALU_DEP_1) | instskip(NEXT) | instid1(VALU_DEP_1)
	v_add3_u32 v5, v3, v5, 0x487ffff
	v_lshrrev_b32_e32 v5, 20, v5
	s_or_saveexec_b32 s5, s5
                                        ; implicit-def: $sgpr6
	s_delay_alu instid0(SALU_CYCLE_1)
	s_xor_b32 exec_lo, exec_lo, s5
	s_cbranch_execnz .LBB47_2130
.LBB47_2055:
	s_or_b32 exec_lo, exec_lo, s5
	v_mov_b32_e32 v6, s6
	s_and_saveexec_b32 s5, s4
.LBB47_2056:
	v_lshrrev_b32_e32 v3, 24, v3
	s_delay_alu instid0(VALU_DEP_1)
	v_and_or_b32 v6, 0x80, v3, v5
.LBB47_2057:
	s_or_b32 exec_lo, exec_lo, s5
.LBB47_2058:
	s_delay_alu instid0(SALU_CYCLE_1)
	s_or_b32 exec_lo, exec_lo, s3
	global_store_b8 v[0:1], v6, off
.LBB47_2059:
	s_mov_b32 s3, 0
.LBB47_2060:
	s_delay_alu instid0(SALU_CYCLE_1)
	s_and_b32 vcc_lo, exec_lo, s3
	s_cbranch_vccz .LBB47_2100
; %bb.2061:
	v_cmp_lt_i16_e32 vcc_lo, 22, v9
	s_mov_b32 s2, -1
	s_cbranch_vccz .LBB47_2093
; %bb.2062:
	v_cmp_gt_i16_e32 vcc_lo, 24, v9
	s_cbranch_vccnz .LBB47_2082
; %bb.2063:
	v_cmp_lt_i16_e32 vcc_lo, 24, v9
	s_cbranch_vccz .LBB47_2071
; %bb.2064:
	v_bfe_i32 v3, v2, 0, 16
	v_mov_b32_e32 v6, 0x80
	s_mov_b32 s2, exec_lo
	s_delay_alu instid0(VALU_DEP_2) | instskip(NEXT) | instid1(VALU_DEP_1)
	v_cvt_f32_i32_e32 v3, v3
	v_and_b32_e32 v5, 0x7fffffff, v3
	s_delay_alu instid0(VALU_DEP_1)
	v_cmpx_gt_u32_e32 0x47800000, v5
	s_cbranch_execz .LBB47_2070
; %bb.2065:
	v_cmp_lt_u32_e32 vcc_lo, 0x37ffffff, v5
	s_mov_b32 s3, 0
                                        ; implicit-def: $vgpr5
	s_and_saveexec_b32 s4, vcc_lo
	s_delay_alu instid0(SALU_CYCLE_1)
	s_xor_b32 s4, exec_lo, s4
	s_cbranch_execz .LBB47_2135
; %bb.2066:
	v_bfe_u32 v5, v3, 21, 1
	s_mov_b32 s3, exec_lo
	s_delay_alu instid0(VALU_DEP_1) | instskip(NEXT) | instid1(VALU_DEP_1)
	v_add3_u32 v5, v3, v5, 0x88fffff
	v_lshrrev_b32_e32 v5, 21, v5
	s_or_saveexec_b32 s4, s4
                                        ; implicit-def: $sgpr5
	s_delay_alu instid0(SALU_CYCLE_1)
	s_xor_b32 exec_lo, exec_lo, s4
	s_cbranch_execnz .LBB47_2136
.LBB47_2067:
	s_or_b32 exec_lo, exec_lo, s4
	v_mov_b32_e32 v6, s5
	s_and_saveexec_b32 s4, s3
.LBB47_2068:
	v_lshrrev_b32_e32 v3, 24, v3
	s_delay_alu instid0(VALU_DEP_1)
	v_and_or_b32 v6, 0x80, v3, v5
.LBB47_2069:
	s_or_b32 exec_lo, exec_lo, s4
.LBB47_2070:
	s_delay_alu instid0(SALU_CYCLE_1)
	s_or_b32 exec_lo, exec_lo, s2
	s_mov_b32 s2, 0
	global_store_b8 v[0:1], v6, off
.LBB47_2071:
	s_and_b32 vcc_lo, exec_lo, s2
	s_cbranch_vccz .LBB47_2081
; %bb.2072:
	v_bfe_i32 v3, v2, 0, 16
	s_mov_b32 s2, exec_lo
                                        ; implicit-def: $vgpr5
	s_delay_alu instid0(VALU_DEP_1) | instskip(NEXT) | instid1(VALU_DEP_1)
	v_cvt_f32_i32_e32 v3, v3
	v_and_b32_e32 v6, 0x7fffffff, v3
	s_delay_alu instid0(VALU_DEP_1)
	v_cmpx_gt_u32_e32 0x43f00000, v6
	s_xor_b32 s2, exec_lo, s2
	s_cbranch_execz .LBB47_2078
; %bb.2073:
	s_mov_b32 s3, exec_lo
                                        ; implicit-def: $vgpr5
	v_cmpx_lt_u32_e32 0x3c7fffff, v6
	s_xor_b32 s3, exec_lo, s3
; %bb.2074:
	v_bfe_u32 v5, v3, 20, 1
	s_delay_alu instid0(VALU_DEP_1) | instskip(NEXT) | instid1(VALU_DEP_1)
	v_add3_u32 v5, v3, v5, 0x407ffff
	v_and_b32_e32 v6, 0xff00000, v5
	v_lshrrev_b32_e32 v5, 20, v5
	s_delay_alu instid0(VALU_DEP_2) | instskip(NEXT) | instid1(VALU_DEP_2)
	v_cmp_ne_u32_e32 vcc_lo, 0x7f00000, v6
	v_cndmask_b32_e32 v5, 0x7e, v5, vcc_lo
; %bb.2075:
	s_and_not1_saveexec_b32 s3, s3
; %bb.2076:
	v_add_f32_e64 v5, 0x46800000, |v3|
; %bb.2077:
	s_or_b32 exec_lo, exec_lo, s3
                                        ; implicit-def: $vgpr6
.LBB47_2078:
	s_and_not1_saveexec_b32 s2, s2
; %bb.2079:
	v_mov_b32_e32 v5, 0x7f
	v_cmp_lt_u32_e32 vcc_lo, 0x7f800000, v6
	s_delay_alu instid0(VALU_DEP_2)
	v_cndmask_b32_e32 v5, 0x7e, v5, vcc_lo
; %bb.2080:
	s_or_b32 exec_lo, exec_lo, s2
	v_lshrrev_b32_e32 v3, 24, v3
	s_delay_alu instid0(VALU_DEP_1)
	v_and_or_b32 v3, 0x80, v3, v5
	global_store_b8 v[0:1], v3, off
.LBB47_2081:
	s_mov_b32 s2, 0
.LBB47_2082:
	s_delay_alu instid0(SALU_CYCLE_1)
	s_and_not1_b32 vcc_lo, exec_lo, s2
	s_cbranch_vccnz .LBB47_2092
; %bb.2083:
	v_bfe_i32 v3, v2, 0, 16
	s_mov_b32 s2, exec_lo
                                        ; implicit-def: $vgpr5
	s_delay_alu instid0(VALU_DEP_1) | instskip(NEXT) | instid1(VALU_DEP_1)
	v_cvt_f32_i32_e32 v3, v3
	v_and_b32_e32 v6, 0x7fffffff, v3
	s_delay_alu instid0(VALU_DEP_1)
	v_cmpx_gt_u32_e32 0x47800000, v6
	s_xor_b32 s2, exec_lo, s2
	s_cbranch_execz .LBB47_2089
; %bb.2084:
	s_mov_b32 s3, exec_lo
                                        ; implicit-def: $vgpr5
	v_cmpx_lt_u32_e32 0x387fffff, v6
	s_xor_b32 s3, exec_lo, s3
; %bb.2085:
	v_bfe_u32 v5, v3, 21, 1
	s_delay_alu instid0(VALU_DEP_1) | instskip(NEXT) | instid1(VALU_DEP_1)
	v_add3_u32 v5, v3, v5, 0x80fffff
	v_lshrrev_b32_e32 v5, 21, v5
; %bb.2086:
	s_and_not1_saveexec_b32 s3, s3
; %bb.2087:
	v_add_f32_e64 v5, 0x43000000, |v3|
; %bb.2088:
	s_or_b32 exec_lo, exec_lo, s3
                                        ; implicit-def: $vgpr6
.LBB47_2089:
	s_and_not1_saveexec_b32 s2, s2
; %bb.2090:
	v_mov_b32_e32 v5, 0x7f
	v_cmp_lt_u32_e32 vcc_lo, 0x7f800000, v6
	s_delay_alu instid0(VALU_DEP_2)
	v_cndmask_b32_e32 v5, 0x7c, v5, vcc_lo
; %bb.2091:
	s_or_b32 exec_lo, exec_lo, s2
	v_lshrrev_b32_e32 v3, 24, v3
	s_delay_alu instid0(VALU_DEP_1)
	v_and_or_b32 v3, 0x80, v3, v5
	global_store_b8 v[0:1], v3, off
.LBB47_2092:
	s_mov_b32 s2, 0
.LBB47_2093:
	s_delay_alu instid0(SALU_CYCLE_1)
	s_and_not1_b32 vcc_lo, exec_lo, s2
	s_mov_b32 s2, 0
	s_cbranch_vccnz .LBB47_2100
; %bb.2094:
	v_cmp_lt_i16_e32 vcc_lo, 14, v9
	s_mov_b32 s2, -1
	s_cbranch_vccz .LBB47_2098
; %bb.2095:
	v_cmp_eq_u16_e32 vcc_lo, 15, v9
	s_mov_b32 s0, -1
	s_cbranch_vccz .LBB47_2097
; %bb.2096:
	v_bfe_i32 v3, v2, 0, 16
	s_mov_b32 s0, 0
	s_delay_alu instid0(VALU_DEP_1) | instskip(NEXT) | instid1(VALU_DEP_1)
	v_cvt_f32_i32_e32 v3, v3
	v_bfe_u32 v5, v3, 16, 1
	s_delay_alu instid0(VALU_DEP_1)
	v_add3_u32 v3, v3, v5, 0x7fff
	global_store_d16_hi_b16 v[0:1], v3, off
.LBB47_2097:
	s_mov_b32 s2, 0
.LBB47_2098:
	s_delay_alu instid0(SALU_CYCLE_1)
	s_and_b32 vcc_lo, exec_lo, s2
	s_mov_b32 s2, 0
	s_cbranch_vccz .LBB47_2100
; %bb.2099:
	v_cmp_ne_u16_e64 s0, 11, v9
	s_mov_b32 s2, -1
.LBB47_2100:
	s_delay_alu instid0(VALU_DEP_1)
	s_and_b32 vcc_lo, exec_lo, s0
	s_cbranch_vccnz .LBB47_2133
.LBB47_2101:
	s_mov_b32 s0, 0
	s_branch .LBB47_1431
.LBB47_2102:
	s_mov_b32 s0, 0
	s_mov_b32 s2, 0
                                        ; implicit-def: $vgpr0_vgpr1
                                        ; implicit-def: $vgpr9
                                        ; implicit-def: $vgpr2
	s_branch .LBB47_1431
.LBB47_2103:
	s_cbranch_execnz .LBB47_2107
; %bb.2104:
	s_or_b32 s1, s1, exec_lo
                                        ; implicit-def: $vgpr4
	s_cbranch_execz .LBB47_1620
	s_branch .LBB47_1621
.LBB47_2105:
	s_or_saveexec_b32 s7, s7
                                        ; implicit-def: $sgpr10
	s_delay_alu instid0(SALU_CYCLE_1)
	s_xor_b32 exec_lo, exec_lo, s7
	s_cbranch_execz .LBB47_1700
.LBB47_2106:
	v_add_f32_e64 v7, 0x46000000, |v3|
	s_and_not1_b32 s6, s6, exec_lo
	s_mov_b32 s10, 0
	s_delay_alu instid0(VALU_DEP_1) | instskip(NEXT) | instid1(VALU_DEP_1)
	v_and_b32_e32 v7, 0xff, v7
	v_cmp_ne_u32_e32 vcc_lo, 0, v7
	s_and_b32 s11, vcc_lo, exec_lo
	s_delay_alu instid0(SALU_CYCLE_1)
	s_or_b32 s6, s6, s11
	s_or_b32 exec_lo, exec_lo, s7
	v_mov_b32_e32 v13, s10
	s_and_saveexec_b32 s7, s6
	s_cbranch_execnz .LBB47_1701
	s_branch .LBB47_1702
.LBB47_2107:
	s_trap 2
	s_sendmsg_rtn_b32 s0, sendmsg(MSG_RTN_GET_DOORBELL)
	s_mov_b32 ttmp2, m0
	s_waitcnt lgkmcnt(0)
	s_and_b32 s0, s0, 0x3ff
	s_delay_alu instid0(SALU_CYCLE_1) | instskip(NEXT) | instid1(SALU_CYCLE_1)
	s_bitset1_b32 s0, 10
	s_mov_b32 m0, s0
	s_sendmsg sendmsg(MSG_INTERRUPT)
	s_mov_b32 m0, ttmp2
.LBB47_2108:                            ; =>This Inner Loop Header: Depth=1
	s_sethalt 5
	s_branch .LBB47_2108
.LBB47_2109:
	s_cbranch_execnz .LBB47_2115
; %bb.2110:
	s_or_b32 s1, s1, exec_lo
	s_cbranch_execz .LBB47_1748
	s_branch .LBB47_1749
.LBB47_2111:
	s_or_saveexec_b32 s6, s6
                                        ; implicit-def: $sgpr7
	s_delay_alu instid0(SALU_CYCLE_1)
	s_xor_b32 exec_lo, exec_lo, s6
	s_cbranch_execz .LBB47_1713
.LBB47_2112:
	v_add_f32_e64 v7, 0x42800000, |v3|
	s_and_not1_b32 s3, s3, exec_lo
	s_mov_b32 s7, 0
	s_delay_alu instid0(VALU_DEP_1) | instskip(NEXT) | instid1(VALU_DEP_1)
	v_and_b32_e32 v7, 0xff, v7
	v_cmp_ne_u32_e32 vcc_lo, 0, v7
	s_and_b32 s10, vcc_lo, exec_lo
	s_delay_alu instid0(SALU_CYCLE_1)
	s_or_b32 s3, s3, s10
	s_or_b32 exec_lo, exec_lo, s6
	v_mov_b32_e32 v13, s7
	s_and_saveexec_b32 s6, s3
	s_cbranch_execnz .LBB47_1714
	s_branch .LBB47_1715
.LBB47_2113:
	s_or_saveexec_b32 s7, s7
                                        ; implicit-def: $sgpr10
	s_delay_alu instid0(SALU_CYCLE_1)
	s_xor_b32 exec_lo, exec_lo, s7
	s_cbranch_execz .LBB47_1818
.LBB47_2114:
	v_add_f32_e64 v10, 0x46000000, |v7|
	s_and_not1_b32 s6, s6, exec_lo
	s_mov_b32 s10, 0
	s_delay_alu instid0(VALU_DEP_1) | instskip(NEXT) | instid1(VALU_DEP_1)
	v_and_b32_e32 v10, 0xff, v10
	v_cmp_ne_u32_e32 vcc_lo, 0, v10
	s_and_b32 s11, vcc_lo, exec_lo
	s_delay_alu instid0(SALU_CYCLE_1)
	s_or_b32 s6, s6, s11
	s_or_b32 exec_lo, exec_lo, s7
	v_mov_b32_e32 v11, s10
	s_and_saveexec_b32 s7, s6
	s_cbranch_execnz .LBB47_1819
	s_branch .LBB47_1820
.LBB47_2115:
	s_trap 2
	s_sendmsg_rtn_b32 s0, sendmsg(MSG_RTN_GET_DOORBELL)
	s_mov_b32 ttmp2, m0
	s_waitcnt lgkmcnt(0)
	s_and_b32 s0, s0, 0x3ff
	s_delay_alu instid0(SALU_CYCLE_1) | instskip(NEXT) | instid1(SALU_CYCLE_1)
	s_bitset1_b32 s0, 10
	s_mov_b32 m0, s0
	s_sendmsg sendmsg(MSG_INTERRUPT)
	s_mov_b32 m0, ttmp2
.LBB47_2116:                            ; =>This Inner Loop Header: Depth=1
	s_sethalt 5
	s_branch .LBB47_2116
.LBB47_2117:
	s_cbranch_execnz .LBB47_2123
; %bb.2118:
	s_or_b32 s1, s1, exec_lo
	s_cbranch_execz .LBB47_1866
	s_branch .LBB47_1867
.LBB47_2119:
	s_or_saveexec_b32 s6, s6
                                        ; implicit-def: $sgpr7
	s_delay_alu instid0(SALU_CYCLE_1)
	s_xor_b32 exec_lo, exec_lo, s6
	s_cbranch_execz .LBB47_1831
.LBB47_2120:
	v_add_f32_e64 v10, 0x42800000, |v7|
	s_and_not1_b32 s3, s3, exec_lo
	s_mov_b32 s7, 0
	s_delay_alu instid0(VALU_DEP_1) | instskip(NEXT) | instid1(VALU_DEP_1)
	v_and_b32_e32 v10, 0xff, v10
	v_cmp_ne_u32_e32 vcc_lo, 0, v10
	s_and_b32 s10, vcc_lo, exec_lo
	s_delay_alu instid0(SALU_CYCLE_1)
	s_or_b32 s3, s3, s10
	s_or_b32 exec_lo, exec_lo, s6
	v_mov_b32_e32 v11, s7
	s_and_saveexec_b32 s6, s3
	s_cbranch_execnz .LBB47_1832
	s_branch .LBB47_1833
.LBB47_2121:
	s_or_saveexec_b32 s7, s7
                                        ; implicit-def: $sgpr10
	s_delay_alu instid0(SALU_CYCLE_1)
	s_xor_b32 exec_lo, exec_lo, s7
	s_cbranch_execz .LBB47_1936
.LBB47_2122:
	v_add_f32_e64 v7, 0x46000000, |v5|
	s_and_not1_b32 s6, s6, exec_lo
	s_mov_b32 s10, 0
	s_delay_alu instid0(VALU_DEP_1) | instskip(NEXT) | instid1(VALU_DEP_1)
	v_and_b32_e32 v7, 0xff, v7
	v_cmp_ne_u32_e32 vcc_lo, 0, v7
	s_and_b32 s11, vcc_lo, exec_lo
	s_delay_alu instid0(SALU_CYCLE_1)
	s_or_b32 s6, s6, s11
	s_or_b32 exec_lo, exec_lo, s7
	v_mov_b32_e32 v8, s10
	s_and_saveexec_b32 s7, s6
	s_cbranch_execnz .LBB47_1937
	s_branch .LBB47_1938
.LBB47_2123:
	s_trap 2
	s_sendmsg_rtn_b32 s0, sendmsg(MSG_RTN_GET_DOORBELL)
	s_mov_b32 ttmp2, m0
	s_waitcnt lgkmcnt(0)
	s_and_b32 s0, s0, 0x3ff
	s_delay_alu instid0(SALU_CYCLE_1) | instskip(NEXT) | instid1(SALU_CYCLE_1)
	s_bitset1_b32 s0, 10
	s_mov_b32 m0, s0
	s_sendmsg sendmsg(MSG_INTERRUPT)
	s_mov_b32 m0, ttmp2
.LBB47_2124:                            ; =>This Inner Loop Header: Depth=1
	s_sethalt 5
	s_branch .LBB47_2124
.LBB47_2125:
	s_cbranch_execnz .LBB47_2131
; %bb.2126:
	s_or_b32 s1, s1, exec_lo
	s_cbranch_execz .LBB47_1984
	s_branch .LBB47_1985
.LBB47_2127:
	s_or_saveexec_b32 s6, s6
                                        ; implicit-def: $sgpr7
	s_delay_alu instid0(SALU_CYCLE_1)
	s_xor_b32 exec_lo, exec_lo, s6
	s_cbranch_execz .LBB47_1949
.LBB47_2128:
	v_add_f32_e64 v7, 0x42800000, |v5|
	s_and_not1_b32 s3, s3, exec_lo
	s_mov_b32 s7, 0
	s_delay_alu instid0(VALU_DEP_1) | instskip(NEXT) | instid1(VALU_DEP_1)
	v_and_b32_e32 v7, 0xff, v7
	v_cmp_ne_u32_e32 vcc_lo, 0, v7
	s_and_b32 s10, vcc_lo, exec_lo
	s_delay_alu instid0(SALU_CYCLE_1)
	s_or_b32 s3, s3, s10
	s_or_b32 exec_lo, exec_lo, s6
	v_mov_b32_e32 v8, s7
	s_and_saveexec_b32 s6, s3
	s_cbranch_execnz .LBB47_1950
	s_branch .LBB47_1951
.LBB47_2129:
	s_or_saveexec_b32 s5, s5
                                        ; implicit-def: $sgpr6
	s_delay_alu instid0(SALU_CYCLE_1)
	s_xor_b32 exec_lo, exec_lo, s5
	s_cbranch_execz .LBB47_2055
.LBB47_2130:
	v_add_f32_e64 v5, 0x46000000, |v3|
	s_and_not1_b32 s4, s4, exec_lo
	s_mov_b32 s6, 0
	s_delay_alu instid0(VALU_DEP_1) | instskip(NEXT) | instid1(VALU_DEP_1)
	v_and_b32_e32 v5, 0xff, v5
	v_cmp_ne_u32_e32 vcc_lo, 0, v5
	s_and_b32 s7, vcc_lo, exec_lo
	s_delay_alu instid0(SALU_CYCLE_1)
	s_or_b32 s4, s4, s7
	s_or_b32 exec_lo, exec_lo, s5
	v_mov_b32_e32 v6, s6
	s_and_saveexec_b32 s5, s4
	s_cbranch_execnz .LBB47_2056
	s_branch .LBB47_2057
.LBB47_2131:
	s_trap 2
	s_sendmsg_rtn_b32 s0, sendmsg(MSG_RTN_GET_DOORBELL)
	s_mov_b32 ttmp2, m0
	s_waitcnt lgkmcnt(0)
	s_and_b32 s0, s0, 0x3ff
	s_delay_alu instid0(SALU_CYCLE_1) | instskip(NEXT) | instid1(SALU_CYCLE_1)
	s_bitset1_b32 s0, 10
	s_mov_b32 m0, s0
	s_sendmsg sendmsg(MSG_INTERRUPT)
	s_mov_b32 m0, ttmp2
.LBB47_2132:                            ; =>This Inner Loop Header: Depth=1
	s_sethalt 5
	s_branch .LBB47_2132
.LBB47_2133:
	s_cbranch_execnz .LBB47_2137
; %bb.2134:
	s_mov_b32 s2, 0
	s_or_b32 s1, s1, exec_lo
	s_branch .LBB47_2101
.LBB47_2135:
	s_or_saveexec_b32 s4, s4
                                        ; implicit-def: $sgpr5
	s_delay_alu instid0(SALU_CYCLE_1)
	s_xor_b32 exec_lo, exec_lo, s4
	s_cbranch_execz .LBB47_2067
.LBB47_2136:
	v_add_f32_e64 v5, 0x42800000, |v3|
	s_and_not1_b32 s3, s3, exec_lo
	s_mov_b32 s5, 0
	s_delay_alu instid0(VALU_DEP_1) | instskip(NEXT) | instid1(VALU_DEP_1)
	v_and_b32_e32 v5, 0xff, v5
	v_cmp_ne_u32_e32 vcc_lo, 0, v5
	s_and_b32 s6, vcc_lo, exec_lo
	s_delay_alu instid0(SALU_CYCLE_1)
	s_or_b32 s3, s3, s6
	s_or_b32 exec_lo, exec_lo, s4
	v_mov_b32_e32 v6, s5
	s_and_saveexec_b32 s4, s3
	s_cbranch_execnz .LBB47_2068
	s_branch .LBB47_2069
.LBB47_2137:
	s_trap 2
	s_sendmsg_rtn_b32 s0, sendmsg(MSG_RTN_GET_DOORBELL)
	s_mov_b32 ttmp2, m0
	s_waitcnt lgkmcnt(0)
	s_and_b32 s0, s0, 0x3ff
	s_delay_alu instid0(SALU_CYCLE_1) | instskip(NEXT) | instid1(SALU_CYCLE_1)
	s_bitset1_b32 s0, 10
	s_mov_b32 m0, s0
	s_sendmsg sendmsg(MSG_INTERRUPT)
	s_mov_b32 m0, ttmp2
.LBB47_2138:                            ; =>This Inner Loop Header: Depth=1
	s_sethalt 5
	s_branch .LBB47_2138
	.section	.rodata,"a",@progbits
	.p2align	6, 0x0
	.amdhsa_kernel _ZN2at6native32elementwise_kernel_manual_unrollILi128ELi4EZNS0_15gpu_kernel_implIZZZNS0_23bitwise_not_kernel_cudaERNS_18TensorIteratorBaseEENKUlvE_clEvENKUlvE3_clEvEUlsE_EEvS4_RKT_EUlibE0_EEviT1_
		.amdhsa_group_segment_fixed_size 0
		.amdhsa_private_segment_fixed_size 0
		.amdhsa_kernarg_size 360
		.amdhsa_user_sgpr_count 15
		.amdhsa_user_sgpr_dispatch_ptr 0
		.amdhsa_user_sgpr_queue_ptr 0
		.amdhsa_user_sgpr_kernarg_segment_ptr 1
		.amdhsa_user_sgpr_dispatch_id 0
		.amdhsa_user_sgpr_private_segment_size 0
		.amdhsa_wavefront_size32 1
		.amdhsa_uses_dynamic_stack 0
		.amdhsa_enable_private_segment 0
		.amdhsa_system_sgpr_workgroup_id_x 1
		.amdhsa_system_sgpr_workgroup_id_y 0
		.amdhsa_system_sgpr_workgroup_id_z 0
		.amdhsa_system_sgpr_workgroup_info 0
		.amdhsa_system_vgpr_workitem_id 0
		.amdhsa_next_free_vgpr 18
		.amdhsa_next_free_sgpr 68
		.amdhsa_reserve_vcc 1
		.amdhsa_float_round_mode_32 0
		.amdhsa_float_round_mode_16_64 0
		.amdhsa_float_denorm_mode_32 3
		.amdhsa_float_denorm_mode_16_64 3
		.amdhsa_dx10_clamp 1
		.amdhsa_ieee_mode 1
		.amdhsa_fp16_overflow 0
		.amdhsa_workgroup_processor_mode 1
		.amdhsa_memory_ordered 1
		.amdhsa_forward_progress 0
		.amdhsa_shared_vgpr_count 0
		.amdhsa_exception_fp_ieee_invalid_op 0
		.amdhsa_exception_fp_denorm_src 0
		.amdhsa_exception_fp_ieee_div_zero 0
		.amdhsa_exception_fp_ieee_overflow 0
		.amdhsa_exception_fp_ieee_underflow 0
		.amdhsa_exception_fp_ieee_inexact 0
		.amdhsa_exception_int_div_zero 0
	.end_amdhsa_kernel
	.section	.text._ZN2at6native32elementwise_kernel_manual_unrollILi128ELi4EZNS0_15gpu_kernel_implIZZZNS0_23bitwise_not_kernel_cudaERNS_18TensorIteratorBaseEENKUlvE_clEvENKUlvE3_clEvEUlsE_EEvS4_RKT_EUlibE0_EEviT1_,"axG",@progbits,_ZN2at6native32elementwise_kernel_manual_unrollILi128ELi4EZNS0_15gpu_kernel_implIZZZNS0_23bitwise_not_kernel_cudaERNS_18TensorIteratorBaseEENKUlvE_clEvENKUlvE3_clEvEUlsE_EEvS4_RKT_EUlibE0_EEviT1_,comdat
.Lfunc_end47:
	.size	_ZN2at6native32elementwise_kernel_manual_unrollILi128ELi4EZNS0_15gpu_kernel_implIZZZNS0_23bitwise_not_kernel_cudaERNS_18TensorIteratorBaseEENKUlvE_clEvENKUlvE3_clEvEUlsE_EEvS4_RKT_EUlibE0_EEviT1_, .Lfunc_end47-_ZN2at6native32elementwise_kernel_manual_unrollILi128ELi4EZNS0_15gpu_kernel_implIZZZNS0_23bitwise_not_kernel_cudaERNS_18TensorIteratorBaseEENKUlvE_clEvENKUlvE3_clEvEUlsE_EEvS4_RKT_EUlibE0_EEviT1_
                                        ; -- End function
	.section	.AMDGPU.csdata,"",@progbits
; Kernel info:
; codeLenInByte = 39572
; NumSgprs: 70
; NumVgprs: 18
; ScratchSize: 0
; MemoryBound: 1
; FloatMode: 240
; IeeeMode: 1
; LDSByteSize: 0 bytes/workgroup (compile time only)
; SGPRBlocks: 8
; VGPRBlocks: 2
; NumSGPRsForWavesPerEU: 70
; NumVGPRsForWavesPerEU: 18
; Occupancy: 16
; WaveLimiterHint : 1
; COMPUTE_PGM_RSRC2:SCRATCH_EN: 0
; COMPUTE_PGM_RSRC2:USER_SGPR: 15
; COMPUTE_PGM_RSRC2:TRAP_HANDLER: 0
; COMPUTE_PGM_RSRC2:TGID_X_EN: 1
; COMPUTE_PGM_RSRC2:TGID_Y_EN: 0
; COMPUTE_PGM_RSRC2:TGID_Z_EN: 0
; COMPUTE_PGM_RSRC2:TIDIG_COMP_CNT: 0
	.text
	.p2align	2                               ; -- Begin function _ZZZZN2at6native15exp_kernel_cudaERNS_18TensorIteratorBaseEENKUlvE_clEvENKUlvE_clEvENKUlN3c107complexIdEEE_clES7_
	.type	_ZZZZN2at6native15exp_kernel_cudaERNS_18TensorIteratorBaseEENKUlvE_clEvENKUlvE_clEvENKUlN3c107complexIdEEE_clES7_,@function
_ZZZZN2at6native15exp_kernel_cudaERNS_18TensorIteratorBaseEENKUlvE_clEvENKUlvE_clEvENKUlN3c107complexIdEEE_clES7_: ; @_ZZZZN2at6native15exp_kernel_cudaERNS_18TensorIteratorBaseEENKUlvE_clEvENKUlvE_clEvENKUlN3c107complexIdEEE_clES7_
; %bb.0:
	s_waitcnt vmcnt(0) expcnt(0) lgkmcnt(0)
	v_and_b32_e32 v7, 0x7fffffff, v3
	s_delay_alu instid0(VALU_DEP_1) | instskip(NEXT) | instid1(VALU_DEP_1)
	v_or_b32_e32 v4, v7, v2
	v_cmp_ne_u32_e32 vcc_lo, 0, v4
                                        ; implicit-def: $vgpr4_vgpr5
	s_and_saveexec_b32 s0, vcc_lo
	s_delay_alu instid0(SALU_CYCLE_1)
	s_xor_b32 s4, exec_lo, s0
	s_cbranch_execz .LBB48_6
; %bb.1:
	v_and_b32_e32 v6, 0x7fffffff, v1
	s_delay_alu instid0(VALU_DEP_1) | instskip(NEXT) | instid1(VALU_DEP_1)
	v_or_b32_e32 v4, v6, v0
	v_cmp_ne_u32_e32 vcc_lo, 0, v4
                                        ; implicit-def: $vgpr4_vgpr5
	s_and_saveexec_b32 s0, vcc_lo
	s_delay_alu instid0(SALU_CYCLE_1)
	s_xor_b32 s5, exec_lo, s0
	s_cbranch_execz .LBB48_33
; %bb.2:
                                        ; implicit-def: $vgpr4_vgpr5
	s_mov_b32 s0, exec_lo
	v_cmpx_gt_u32_e32 0x7ff00000, v7
	s_xor_b32 s6, exec_lo, s0
	s_cbranch_execz .LBB48_26
; %bb.3:
	v_add_nc_u32_e32 v4, 0xbf79d1be, v1
	s_delay_alu instid0(VALU_DEP_1) | instskip(SKIP_1) | instid1(SALU_CYCLE_1)
	v_cmp_lt_u32_e32 vcc_lo, 0x108aa2, v4
                                        ; implicit-def: $vgpr4_vgpr5
	s_and_saveexec_b32 s0, vcc_lo
	s_xor_b32 s7, exec_lo, s0
	s_cbranch_execz .LBB48_15
; %bb.4:
	v_cmp_ngt_f64_e64 s1, 0x41d00000, |v[2:3]|
                                        ; implicit-def: $vgpr12
                                        ; implicit-def: $vgpr4_vgpr5
                                        ; implicit-def: $vgpr6_vgpr7
	s_delay_alu instid0(VALU_DEP_1) | instskip(NEXT) | instid1(SALU_CYCLE_1)
	s_and_saveexec_b32 s0, s1
	s_xor_b32 s2, exec_lo, s0
	s_cbranch_execz .LBB48_8
; %bb.5:
	v_ldexp_f64 v[4:5], |v[2:3]|, 0xffffff80
	v_cmp_le_f64_e64 vcc_lo, 0x7b000000, |v[2:3]|
	v_trig_preop_f64 v[6:7], |v[2:3]|, 0
	v_and_b32_e32 v8, 0x7fffffff, v3
	v_trig_preop_f64 v[18:19], |v[2:3]|, 2
	v_mov_b32_e32 v26, 0
	s_mov_b32 s8, 0x54442d18
	s_mov_b32 s9, 0x3ff921fb
	;; [unrolled: 1-line block ×4, first 2 shown]
	v_dual_cndmask_b32 v5, v8, v5 :: v_dual_cndmask_b32 v4, v2, v4
	v_trig_preop_f64 v[8:9], |v[2:3]|, 1
	s_delay_alu instid0(VALU_DEP_2) | instskip(SKIP_1) | instid1(VALU_DEP_3)
	v_mul_f64 v[10:11], v[6:7], v[4:5]
	v_mul_f64 v[24:25], v[18:19], v[4:5]
	;; [unrolled: 1-line block ×3, first 2 shown]
	s_delay_alu instid0(VALU_DEP_3) | instskip(NEXT) | instid1(VALU_DEP_2)
	v_fma_f64 v[6:7], v[6:7], v[4:5], -v[10:11]
	v_fma_f64 v[8:9], v[8:9], v[4:5], -v[12:13]
	s_delay_alu instid0(VALU_DEP_4) | instskip(NEXT) | instid1(VALU_DEP_3)
	v_fma_f64 v[4:5], v[18:19], v[4:5], -v[24:25]
	v_add_f64 v[14:15], v[12:13], v[6:7]
	s_delay_alu instid0(VALU_DEP_1) | instskip(SKIP_1) | instid1(VALU_DEP_2)
	v_add_f64 v[16:17], v[14:15], -v[12:13]
	v_add_f64 v[22:23], v[10:11], v[14:15]
	v_add_f64 v[20:21], v[14:15], -v[16:17]
	v_add_f64 v[6:7], v[6:7], -v[16:17]
	s_delay_alu instid0(VALU_DEP_3) | instskip(SKIP_1) | instid1(VALU_DEP_4)
	v_ldexp_f64 v[16:17], v[22:23], -2
	v_add_f64 v[10:11], v[22:23], -v[10:11]
	v_add_f64 v[12:13], v[12:13], -v[20:21]
	v_add_f64 v[20:21], v[24:25], v[8:9]
	s_delay_alu instid0(VALU_DEP_4) | instskip(NEXT) | instid1(VALU_DEP_4)
	v_cmp_neq_f64_e64 vcc_lo, 0x7ff00000, |v[16:17]|
	v_add_f64 v[10:11], v[14:15], -v[10:11]
	s_delay_alu instid0(VALU_DEP_4) | instskip(SKIP_1) | instid1(VALU_DEP_2)
	v_add_f64 v[6:7], v[6:7], v[12:13]
	v_fract_f64_e32 v[12:13], v[16:17]
	v_add_f64 v[14:15], v[20:21], v[6:7]
	s_delay_alu instid0(VALU_DEP_2) | instskip(NEXT) | instid1(VALU_DEP_1)
	v_dual_cndmask_b32 v13, 0, v13 :: v_dual_cndmask_b32 v12, 0, v12
	v_ldexp_f64 v[12:13], v[12:13], 2
	s_delay_alu instid0(VALU_DEP_3) | instskip(NEXT) | instid1(VALU_DEP_1)
	v_add_f64 v[16:17], v[10:11], v[14:15]
	v_add_f64 v[22:23], v[16:17], v[12:13]
	v_add_f64 v[10:11], v[16:17], -v[10:11]
	s_delay_alu instid0(VALU_DEP_2) | instskip(SKIP_1) | instid1(VALU_DEP_3)
	v_cmp_gt_f64_e32 vcc_lo, 0, v[22:23]
	v_add_f64 v[22:23], v[20:21], -v[24:25]
	v_add_f64 v[10:11], v[14:15], -v[10:11]
	v_cndmask_b32_e64 v27, 0, 0x40100000, vcc_lo
	s_delay_alu instid0(VALU_DEP_3) | instskip(SKIP_1) | instid1(VALU_DEP_3)
	v_add_f64 v[31:32], v[20:21], -v[22:23]
	v_add_f64 v[8:9], v[8:9], -v[22:23]
	v_add_f64 v[12:13], v[12:13], v[26:27]
	v_add_f64 v[27:28], v[14:15], -v[20:21]
	s_delay_alu instid0(VALU_DEP_4) | instskip(NEXT) | instid1(VALU_DEP_3)
	v_add_f64 v[22:23], v[24:25], -v[31:32]
	v_add_f64 v[29:30], v[16:17], v[12:13]
	s_delay_alu instid0(VALU_DEP_3) | instskip(SKIP_1) | instid1(VALU_DEP_4)
	v_add_f64 v[33:34], v[14:15], -v[27:28]
	v_add_f64 v[6:7], v[6:7], -v[27:28]
	v_add_f64 v[8:9], v[8:9], v[22:23]
	s_delay_alu instid0(VALU_DEP_4) | instskip(NEXT) | instid1(VALU_DEP_4)
	v_cvt_i32_f64_e32 v29, v[29:30]
	v_add_f64 v[20:21], v[20:21], -v[33:34]
	s_delay_alu instid0(VALU_DEP_2) | instskip(NEXT) | instid1(VALU_DEP_2)
	v_cvt_f64_i32_e32 v[27:28], v29
	v_add_f64 v[6:7], v[6:7], v[20:21]
	s_delay_alu instid0(VALU_DEP_2) | instskip(NEXT) | instid1(VALU_DEP_2)
	v_add_f64 v[12:13], v[12:13], -v[27:28]
	v_add_f64 v[6:7], v[8:9], v[6:7]
	s_delay_alu instid0(VALU_DEP_2) | instskip(NEXT) | instid1(VALU_DEP_2)
	v_add_f64 v[8:9], v[16:17], v[12:13]
	v_add_f64 v[4:5], v[4:5], v[6:7]
	s_delay_alu instid0(VALU_DEP_2) | instskip(SKIP_1) | instid1(VALU_DEP_3)
	v_add_f64 v[6:7], v[8:9], -v[12:13]
	v_cmp_le_f64_e32 vcc_lo, 0.5, v[8:9]
	v_add_f64 v[4:5], v[10:11], v[4:5]
	s_delay_alu instid0(VALU_DEP_3) | instskip(SKIP_2) | instid1(VALU_DEP_3)
	v_add_f64 v[6:7], v[16:17], -v[6:7]
	v_cndmask_b32_e64 v27, 0, 0x3ff00000, vcc_lo
	v_add_co_ci_u32_e64 v12, s0, 0, v29, vcc_lo
	v_add_f64 v[4:5], v[4:5], v[6:7]
	s_delay_alu instid0(VALU_DEP_3) | instskip(NEXT) | instid1(VALU_DEP_1)
	v_add_f64 v[6:7], v[8:9], -v[26:27]
	v_add_f64 v[8:9], v[6:7], v[4:5]
	s_delay_alu instid0(VALU_DEP_1) | instskip(SKIP_1) | instid1(VALU_DEP_2)
	v_mul_f64 v[10:11], v[8:9], s[8:9]
	v_add_f64 v[6:7], v[8:9], -v[6:7]
	v_fma_f64 v[13:14], v[8:9], s[8:9], -v[10:11]
	s_delay_alu instid0(VALU_DEP_2) | instskip(NEXT) | instid1(VALU_DEP_2)
	v_add_f64 v[4:5], v[4:5], -v[6:7]
	v_fma_f64 v[6:7], v[8:9], s[10:11], v[13:14]
	s_delay_alu instid0(VALU_DEP_1) | instskip(NEXT) | instid1(VALU_DEP_1)
	v_fma_f64 v[6:7], v[4:5], s[8:9], v[6:7]
	v_add_f64 v[4:5], v[10:11], v[6:7]
	s_delay_alu instid0(VALU_DEP_1) | instskip(NEXT) | instid1(VALU_DEP_1)
	v_add_f64 v[8:9], v[4:5], -v[10:11]
	v_add_f64 v[6:7], v[6:7], -v[8:9]
	s_and_not1_saveexec_b32 s0, s2
	s_cbranch_execz .LBB48_10
	s_branch .LBB48_9
.LBB48_6:
	s_and_not1_saveexec_b32 s1, s4
	s_cbranch_execz .LBB48_44
.LBB48_7:
	s_mov_b32 s2, 0x652b82fe
	s_mov_b32 s3, 0x3ff71547
	;; [unrolled: 1-line block ×3, first 2 shown]
	v_mul_f64 v[4:5], v[0:1], s[2:3]
	s_mov_b32 s2, 0xfefa39ef
	s_mov_b32 s3, 0xbfe62e42
	;; [unrolled: 1-line block ×3, first 2 shown]
	v_cmp_nlt_f64_e32 vcc_lo, 0x40900000, v[0:1]
	v_cmp_ngt_f64_e64 s0, 0xc090cc00, v[0:1]
	s_delay_alu instid0(VALU_DEP_3) | instskip(NEXT) | instid1(VALU_DEP_1)
	v_rndne_f64_e32 v[4:5], v[4:5]
	v_fma_f64 v[6:7], v[4:5], s[2:3], v[0:1]
	s_mov_b32 s2, 0x3b39803f
	s_mov_b32 s3, 0xbc7abc9e
	v_cvt_i32_f64_e32 v10, v[4:5]
	s_delay_alu instid0(VALU_DEP_2)
	v_fma_f64 v[6:7], v[4:5], s[2:3], v[6:7]
	s_mov_b32 s2, 0xfca7ab0c
	s_mov_b32 s3, 0x3e928af3
	s_delay_alu instid0(VALU_DEP_1) | instid1(SALU_CYCLE_1)
	v_fma_f64 v[8:9], v[6:7], s[4:5], s[2:3]
	s_mov_b32 s2, 0x623fde64
	s_mov_b32 s3, 0x3ec71dee
	s_delay_alu instid0(VALU_DEP_1) | instid1(SALU_CYCLE_1)
	;; [unrolled: 4-line block ×9, first 2 shown]
	v_fma_f64 v[8:9], v[6:7], v[8:9], s[2:3]
	s_delay_alu instid0(VALU_DEP_1) | instskip(NEXT) | instid1(VALU_DEP_1)
	v_fma_f64 v[8:9], v[6:7], v[8:9], 1.0
	v_fma_f64 v[4:5], v[6:7], v[8:9], 1.0
	s_delay_alu instid0(VALU_DEP_1) | instskip(NEXT) | instid1(VALU_DEP_1)
	v_ldexp_f64 v[4:5], v[4:5], v10
	v_cndmask_b32_e32 v5, 0x7ff00000, v5, vcc_lo
	s_and_b32 vcc_lo, s0, vcc_lo
	s_delay_alu instid0(VALU_DEP_2) | instskip(NEXT) | instid1(VALU_DEP_2)
	v_cndmask_b32_e32 v4, 0, v4, vcc_lo
	v_cndmask_b32_e64 v5, 0, v5, s0
	s_or_b32 exec_lo, exec_lo, s1
	s_delay_alu instid0(VALU_DEP_1)
	v_dual_mov_b32 v0, v4 :: v_dual_mov_b32 v1, v5
	s_setpc_b64 s[30:31]
.LBB48_8:
	s_and_not1_saveexec_b32 s0, s2
	s_cbranch_execz .LBB48_10
.LBB48_9:
	s_mov_b32 s2, 0x6dc9c883
	s_mov_b32 s3, 0x3fe45f30
	;; [unrolled: 1-line block ×3, first 2 shown]
	v_mul_f64 v[4:5], |v[2:3]|, s[2:3]
	s_mov_b32 s2, 0x54442d18
	s_mov_b32 s3, 0xbff921fb
	s_mov_b32 s8, 0x33145c00
	s_delay_alu instid0(VALU_DEP_1) | instskip(NEXT) | instid1(VALU_DEP_1)
	v_rndne_f64_e32 v[8:9], v[4:5]
	v_fma_f64 v[4:5], v[8:9], s[2:3], |v[2:3]|
	v_mul_f64 v[6:7], v[8:9], s[8:9]
	s_mov_b32 s2, 0x252049c0
	s_mov_b32 s3, 0xb97b839a
	s_delay_alu instid0(VALU_DEP_2) | instskip(NEXT) | instid1(VALU_DEP_2)
	v_fma_f64 v[12:13], v[8:9], s[8:9], v[4:5]
	v_add_f64 v[10:11], v[4:5], v[6:7]
	s_mov_b32 s9, 0x3c91a626
	s_delay_alu instid0(VALU_DEP_1) | instskip(NEXT) | instid1(VALU_DEP_3)
	v_add_f64 v[4:5], v[4:5], -v[10:11]
	v_add_f64 v[10:11], v[10:11], -v[12:13]
	s_delay_alu instid0(VALU_DEP_2) | instskip(SKIP_1) | instid1(VALU_DEP_2)
	v_add_f64 v[4:5], v[4:5], v[6:7]
	v_fma_f64 v[6:7], v[8:9], s[8:9], v[6:7]
	v_add_f64 v[4:5], v[10:11], v[4:5]
	s_delay_alu instid0(VALU_DEP_1) | instskip(NEXT) | instid1(VALU_DEP_1)
	v_add_f64 v[4:5], v[4:5], -v[6:7]
	v_fma_f64 v[6:7], v[8:9], s[2:3], v[4:5]
	s_delay_alu instid0(VALU_DEP_1) | instskip(NEXT) | instid1(VALU_DEP_1)
	v_add_f64 v[4:5], v[12:13], v[6:7]
	v_add_f64 v[10:11], v[4:5], -v[12:13]
	v_cvt_i32_f64_e32 v12, v[8:9]
	s_delay_alu instid0(VALU_DEP_2)
	v_add_f64 v[6:7], v[6:7], -v[10:11]
.LBB48_10:
	s_or_b32 exec_lo, exec_lo, s0
                                        ; implicit-def: $vgpr13
                                        ; implicit-def: $vgpr8_vgpr9
                                        ; implicit-def: $vgpr10_vgpr11
	s_and_saveexec_b32 s0, s1
	s_delay_alu instid0(SALU_CYCLE_1)
	s_xor_b32 s1, exec_lo, s0
	s_cbranch_execz .LBB48_12
; %bb.11:
	v_ldexp_f64 v[8:9], |v[2:3]|, 0xffffff80
	v_cmp_le_f64_e64 vcc_lo, 0x7b000000, |v[2:3]|
	v_trig_preop_f64 v[10:11], |v[2:3]|, 0
	v_and_b32_e32 v13, 0x7fffffff, v3
	v_trig_preop_f64 v[23:24], |v[2:3]|, 2
	v_mov_b32_e32 v31, 0
	s_mov_b32 s2, 0x54442d18
	s_mov_b32 s3, 0x3ff921fb
	;; [unrolled: 1-line block ×4, first 2 shown]
	v_dual_cndmask_b32 v8, v2, v8 :: v_dual_cndmask_b32 v9, v13, v9
	v_trig_preop_f64 v[13:14], |v[2:3]|, 1
	s_delay_alu instid0(VALU_DEP_2) | instskip(NEXT) | instid1(VALU_DEP_2)
	v_mul_f64 v[15:16], v[10:11], v[8:9]
	v_mul_f64 v[17:18], v[13:14], v[8:9]
	s_delay_alu instid0(VALU_DEP_2) | instskip(NEXT) | instid1(VALU_DEP_2)
	v_fma_f64 v[10:11], v[10:11], v[8:9], -v[15:16]
	v_fma_f64 v[13:14], v[13:14], v[8:9], -v[17:18]
	s_delay_alu instid0(VALU_DEP_2) | instskip(NEXT) | instid1(VALU_DEP_1)
	v_add_f64 v[19:20], v[17:18], v[10:11]
	v_add_f64 v[21:22], v[19:20], -v[17:18]
	v_add_f64 v[27:28], v[15:16], v[19:20]
	s_delay_alu instid0(VALU_DEP_2) | instskip(SKIP_1) | instid1(VALU_DEP_3)
	v_add_f64 v[25:26], v[19:20], -v[21:22]
	v_add_f64 v[10:11], v[10:11], -v[21:22]
	v_ldexp_f64 v[21:22], v[27:28], -2
	v_add_f64 v[15:16], v[27:28], -v[15:16]
	s_delay_alu instid0(VALU_DEP_4) | instskip(NEXT) | instid1(VALU_DEP_3)
	v_add_f64 v[17:18], v[17:18], -v[25:26]
	v_cmp_neq_f64_e64 vcc_lo, 0x7ff00000, |v[21:22]|
	s_delay_alu instid0(VALU_DEP_3) | instskip(NEXT) | instid1(VALU_DEP_3)
	v_add_f64 v[15:16], v[19:20], -v[15:16]
	v_add_f64 v[10:11], v[10:11], v[17:18]
	v_fract_f64_e32 v[17:18], v[21:22]
	s_delay_alu instid0(VALU_DEP_1) | instskip(SKIP_1) | instid1(VALU_DEP_3)
	v_cndmask_b32_e32 v18, 0, v18, vcc_lo
	v_mul_f64 v[29:30], v[23:24], v[8:9]
	v_cndmask_b32_e32 v17, 0, v17, vcc_lo
	s_delay_alu instid0(VALU_DEP_1) | instskip(NEXT) | instid1(VALU_DEP_3)
	v_ldexp_f64 v[17:18], v[17:18], 2
	v_add_f64 v[25:26], v[29:30], v[13:14]
	v_fma_f64 v[8:9], v[23:24], v[8:9], -v[29:30]
	s_delay_alu instid0(VALU_DEP_2) | instskip(NEXT) | instid1(VALU_DEP_1)
	v_add_f64 v[19:20], v[25:26], v[10:11]
	v_add_f64 v[21:22], v[15:16], v[19:20]
	s_delay_alu instid0(VALU_DEP_1) | instskip(SKIP_1) | instid1(VALU_DEP_2)
	v_add_f64 v[27:28], v[21:22], v[17:18]
	v_add_f64 v[15:16], v[21:22], -v[15:16]
	v_cmp_gt_f64_e32 vcc_lo, 0, v[27:28]
	v_add_f64 v[27:28], v[25:26], -v[29:30]
	v_cndmask_b32_e64 v32, 0, 0x40100000, vcc_lo
	s_delay_alu instid0(VALU_DEP_2) | instskip(SKIP_1) | instid1(VALU_DEP_3)
	v_add_f64 v[36:37], v[25:26], -v[27:28]
	v_add_f64 v[13:14], v[13:14], -v[27:28]
	v_add_f64 v[17:18], v[17:18], v[31:32]
	v_add_f64 v[32:33], v[19:20], -v[25:26]
	s_delay_alu instid0(VALU_DEP_4) | instskip(NEXT) | instid1(VALU_DEP_3)
	v_add_f64 v[27:28], v[29:30], -v[36:37]
	v_add_f64 v[34:35], v[21:22], v[17:18]
	s_delay_alu instid0(VALU_DEP_3) | instskip(SKIP_1) | instid1(VALU_DEP_4)
	v_add_f64 v[38:39], v[19:20], -v[32:33]
	v_add_f64 v[10:11], v[10:11], -v[32:33]
	v_add_f64 v[13:14], v[13:14], v[27:28]
	s_delay_alu instid0(VALU_DEP_4) | instskip(NEXT) | instid1(VALU_DEP_4)
	v_cvt_i32_f64_e32 v34, v[34:35]
	v_add_f64 v[25:26], v[25:26], -v[38:39]
	s_delay_alu instid0(VALU_DEP_2) | instskip(NEXT) | instid1(VALU_DEP_2)
	v_cvt_f64_i32_e32 v[32:33], v34
	v_add_f64 v[10:11], v[10:11], v[25:26]
	s_delay_alu instid0(VALU_DEP_2) | instskip(NEXT) | instid1(VALU_DEP_2)
	v_add_f64 v[17:18], v[17:18], -v[32:33]
	v_add_f64 v[10:11], v[13:14], v[10:11]
	v_add_f64 v[13:14], v[19:20], -v[15:16]
	s_delay_alu instid0(VALU_DEP_3) | instskip(NEXT) | instid1(VALU_DEP_3)
	v_add_f64 v[23:24], v[21:22], v[17:18]
	v_add_f64 v[8:9], v[8:9], v[10:11]
	s_delay_alu instid0(VALU_DEP_2) | instskip(SKIP_1) | instid1(VALU_DEP_3)
	v_add_f64 v[10:11], v[23:24], -v[17:18]
	v_cmp_le_f64_e32 vcc_lo, 0.5, v[23:24]
	v_add_f64 v[8:9], v[13:14], v[8:9]
	s_delay_alu instid0(VALU_DEP_3) | instskip(SKIP_2) | instid1(VALU_DEP_3)
	v_add_f64 v[10:11], v[21:22], -v[10:11]
	v_cndmask_b32_e64 v32, 0, 0x3ff00000, vcc_lo
	v_add_co_ci_u32_e64 v13, s0, 0, v34, vcc_lo
	v_add_f64 v[8:9], v[8:9], v[10:11]
	s_delay_alu instid0(VALU_DEP_3) | instskip(NEXT) | instid1(VALU_DEP_1)
	v_add_f64 v[10:11], v[23:24], -v[31:32]
	v_add_f64 v[14:15], v[10:11], v[8:9]
	s_delay_alu instid0(VALU_DEP_1) | instskip(SKIP_1) | instid1(VALU_DEP_2)
	v_mul_f64 v[16:17], v[14:15], s[2:3]
	v_add_f64 v[10:11], v[14:15], -v[10:11]
	v_fma_f64 v[18:19], v[14:15], s[2:3], -v[16:17]
	s_delay_alu instid0(VALU_DEP_2) | instskip(NEXT) | instid1(VALU_DEP_2)
	v_add_f64 v[8:9], v[8:9], -v[10:11]
	v_fma_f64 v[10:11], v[14:15], s[8:9], v[18:19]
	s_delay_alu instid0(VALU_DEP_1) | instskip(NEXT) | instid1(VALU_DEP_1)
	v_fma_f64 v[10:11], v[8:9], s[2:3], v[10:11]
	v_add_f64 v[8:9], v[16:17], v[10:11]
	s_delay_alu instid0(VALU_DEP_1) | instskip(NEXT) | instid1(VALU_DEP_1)
	v_add_f64 v[14:15], v[8:9], -v[16:17]
	v_add_f64 v[10:11], v[10:11], -v[14:15]
	s_and_not1_saveexec_b32 s0, s1
	s_cbranch_execnz .LBB48_13
	s_branch .LBB48_14
.LBB48_12:
	s_and_not1_saveexec_b32 s0, s1
	s_cbranch_execz .LBB48_14
.LBB48_13:
	s_mov_b32 s2, 0x6dc9c883
	s_mov_b32 s3, 0x3fe45f30
	;; [unrolled: 1-line block ×3, first 2 shown]
	v_mul_f64 v[8:9], |v[2:3]|, s[2:3]
	s_mov_b32 s2, 0x54442d18
	s_mov_b32 s3, 0xbff921fb
	;; [unrolled: 1-line block ×3, first 2 shown]
	s_delay_alu instid0(VALU_DEP_1) | instskip(NEXT) | instid1(VALU_DEP_1)
	v_rndne_f64_e32 v[13:14], v[8:9]
	v_fma_f64 v[8:9], v[13:14], s[2:3], |v[2:3]|
	v_mul_f64 v[10:11], v[13:14], s[8:9]
	s_mov_b32 s2, 0x252049c0
	s_mov_b32 s3, 0xb97b839a
	s_delay_alu instid0(VALU_DEP_2) | instskip(NEXT) | instid1(VALU_DEP_2)
	v_fma_f64 v[17:18], v[13:14], s[8:9], v[8:9]
	v_add_f64 v[15:16], v[8:9], v[10:11]
	s_mov_b32 s9, 0x3c91a626
	s_delay_alu instid0(VALU_DEP_1) | instskip(NEXT) | instid1(VALU_DEP_3)
	v_add_f64 v[8:9], v[8:9], -v[15:16]
	v_add_f64 v[15:16], v[15:16], -v[17:18]
	s_delay_alu instid0(VALU_DEP_2) | instskip(SKIP_1) | instid1(VALU_DEP_2)
	v_add_f64 v[8:9], v[8:9], v[10:11]
	v_fma_f64 v[10:11], v[13:14], s[8:9], v[10:11]
	v_add_f64 v[8:9], v[15:16], v[8:9]
	s_delay_alu instid0(VALU_DEP_1) | instskip(NEXT) | instid1(VALU_DEP_1)
	v_add_f64 v[8:9], v[8:9], -v[10:11]
	v_fma_f64 v[10:11], v[13:14], s[2:3], v[8:9]
	v_cvt_i32_f64_e32 v13, v[13:14]
	s_delay_alu instid0(VALU_DEP_2) | instskip(NEXT) | instid1(VALU_DEP_1)
	v_add_f64 v[8:9], v[17:18], v[10:11]
	v_add_f64 v[15:16], v[8:9], -v[17:18]
	s_delay_alu instid0(VALU_DEP_1)
	v_add_f64 v[10:11], v[10:11], -v[15:16]
.LBB48_14:
	s_or_b32 exec_lo, exec_lo, s0
	s_mov_b32 s0, 0x652b82fe
	s_mov_b32 s1, 0x3ff71547
	;; [unrolled: 1-line block ×3, first 2 shown]
	v_mul_f64 v[14:15], v[0:1], s[0:1]
	s_mov_b32 s0, 0xfefa39ef
	s_mov_b32 s1, 0xbfe62e42
	;; [unrolled: 1-line block ×3, first 2 shown]
	v_mul_f64 v[20:21], v[4:5], v[4:5]
	v_mul_f64 v[22:23], v[8:9], v[8:9]
	s_mov_b32 s8, 0x1852b7b0
	s_mov_b32 s9, 0x3f56c16c
	;; [unrolled: 1-line block ×6, first 2 shown]
	s_delay_alu instid0(VALU_DEP_4)
	v_mul_f64 v[48:49], v[6:7], 0.5
	v_mul_f64 v[54:55], v[10:11], 0.5
	v_rndne_f64_e32 v[14:15], v[14:15]
	v_mul_f64 v[28:29], v[20:21], 0.5
	v_mul_f64 v[32:33], v[22:23], 0.5
	v_mul_f64 v[50:51], v[4:5], -v[20:21]
	v_mul_f64 v[64:65], v[8:9], -v[22:23]
	v_fma_f64 v[16:17], v[14:15], s[0:1], v[0:1]
	s_mov_b32 s0, 0x3b39803f
	s_mov_b32 s1, 0xbc7abc9e
	v_add_f64 v[36:37], -v[28:29], 1.0
	v_add_f64 v[38:39], -v[32:33], 1.0
	s_delay_alu instid0(VALU_DEP_3) | instskip(SKIP_2) | instid1(VALU_DEP_3)
	v_fma_f64 v[16:17], v[14:15], s[0:1], v[16:17]
	s_mov_b32 s0, 0xfca7ab0c
	s_mov_b32 s1, 0x3e928af3
	v_add_f64 v[52:53], -v[36:37], 1.0
	s_delay_alu instid0(VALU_DEP_3) | instskip(NEXT) | instid1(VALU_DEP_3)
	v_add_f64 v[66:67], -v[38:39], 1.0
	v_fma_f64 v[18:19], v[16:17], s[2:3], s[0:1]
	s_mov_b32 s0, 0x623fde64
	s_mov_b32 s1, 0x3ec71dee
	;; [unrolled: 1-line block ×4, first 2 shown]
	s_delay_alu instid0(VALU_DEP_3) | instskip(NEXT) | instid1(VALU_DEP_3)
	v_add_f64 v[28:29], v[52:53], -v[28:29]
	v_add_f64 v[32:33], v[66:67], -v[32:33]
	s_delay_alu instid0(VALU_DEP_3) | instskip(SKIP_2) | instid1(VALU_DEP_3)
	v_fma_f64 v[18:19], v[16:17], v[18:19], s[0:1]
	s_mov_b32 s0, 0x7c89e6b0
	s_mov_b32 s1, 0x3efa0199
	v_fma_f64 v[28:29], v[4:5], -v[6:7], v[28:29]
	s_delay_alu instid0(VALU_DEP_2)
	v_fma_f64 v[18:19], v[16:17], v[18:19], s[0:1]
	s_mov_b32 s0, 0x14761f6e
	s_mov_b32 s1, 0x3f2a01a0
	s_delay_alu instid0(VALU_DEP_1) | instid1(SALU_CYCLE_1)
	v_fma_f64 v[18:19], v[16:17], v[18:19], s[0:1]
	s_mov_b32 s0, 0xb42fdfa7
	s_mov_b32 s1, 0xbe5ae600
	s_delay_alu instid0(SALU_CYCLE_1)
	v_fma_f64 v[24:25], v[20:21], s[2:3], s[0:1]
	v_fma_f64 v[26:27], v[22:23], s[2:3], s[0:1]
	s_mov_b32 s0, 0x46cc5e42
	s_mov_b32 s2, 0x796cde01
	;; [unrolled: 1-line block ×4, first 2 shown]
	s_delay_alu instid0(VALU_DEP_3) | instskip(SKIP_2) | instid1(SALU_CYCLE_1)
	v_fma_f64 v[18:19], v[16:17], v[18:19], s[8:9]
	s_mov_b32 s8, 0x9037ab78
	s_mov_b32 s9, 0x3e21eeb6
	v_fma_f64 v[30:31], v[20:21], s[0:1], s[8:9]
	s_delay_alu instid0(VALU_DEP_4)
	v_fma_f64 v[24:25], v[20:21], v[24:25], s[2:3]
	v_fma_f64 v[34:35], v[22:23], s[0:1], s[8:9]
	;; [unrolled: 1-line block ×3, first 2 shown]
	s_mov_b32 s0, 0xa17f65f6
	s_mov_b32 s2, 0x19e83e5c
	;; [unrolled: 1-line block ×6, first 2 shown]
	v_fma_f64 v[18:19], v[16:17], v[18:19], s[10:11]
	s_mov_b32 s10, 0x11110bb3
	v_fma_f64 v[30:31], v[20:21], v[30:31], s[0:1]
	v_fma_f64 v[24:25], v[20:21], v[24:25], s[2:3]
	;; [unrolled: 1-line block ×4, first 2 shown]
	s_mov_b32 s0, 0x55555511
	s_mov_b32 s1, 0x3fc55555
	;; [unrolled: 1-line block ×4, first 2 shown]
	v_fma_f64 v[18:19], v[16:17], v[18:19], s[8:9]
	s_mov_b32 s8, 0x55555555
	v_fma_f64 v[30:31], v[20:21], v[30:31], s[12:13]
	v_fma_f64 v[24:25], v[20:21], v[24:25], s[10:11]
	;; [unrolled: 1-line block ×5, first 2 shown]
	s_mov_b32 s0, 0x16c16967
	s_mov_b32 s1, 0xbf56c16c
	s_delay_alu instid0(SALU_CYCLE_1)
	v_fma_f64 v[30:31], v[20:21], v[30:31], s[0:1]
	v_fma_f64 v[24:25], v[50:51], v[24:25], v[48:49]
	;; [unrolled: 1-line block ×4, first 2 shown]
	v_mul_f64 v[48:49], v[20:21], v[20:21]
	v_cmp_nlt_f64_e64 s1, 0x40900000, v[0:1]
	v_cmp_class_f64_e64 s0, v[2:3], 0x1f8
	v_and_b32_e32 v2, 1, v13
	v_fma_f64 v[18:19], v[16:17], v[18:19], s[2:3]
	v_cmp_ngt_f64_e64 s2, 0xc090cc00, v[0:1]
	v_lshlrev_b32_e32 v0, 30, v13
	s_delay_alu instid0(VALU_DEP_4)
	v_cmp_eq_u32_e64 s3, 0, v2
	v_fma_f64 v[30:31], v[20:21], v[30:31], s[8:9]
	v_fma_f64 v[6:7], v[20:21], v[24:25], -v[6:7]
	v_mul_f64 v[20:21], v[22:23], v[22:23]
	v_fma_f64 v[24:25], v[8:9], -v[10:11], v[32:33]
	v_fma_f64 v[32:33], v[22:23], v[34:35], s[8:9]
	v_fma_f64 v[10:11], v[22:23], v[26:27], -v[10:11]
	s_mov_b32 s9, 0xbfc55555
	v_cvt_i32_f64_e32 v26, v[14:15]
	v_xor_b32_e32 v0, v0, v3
	v_lshlrev_b32_e32 v1, 30, v12
	v_fma_f64 v[18:19], v[16:17], v[18:19], 1.0
	v_fma_f64 v[22:23], v[48:49], v[30:31], v[28:29]
	v_fma_f64 v[6:7], v[50:51], s[8:9], v[6:7]
	;; [unrolled: 1-line block ×3, first 2 shown]
	s_delay_alu instid0(VALU_DEP_4)
	v_fma_f64 v[14:15], v[16:17], v[18:19], 1.0
	v_fma_f64 v[16:17], v[20:21], v[32:33], v[24:25]
	v_add_f64 v[18:19], v[36:37], v[22:23]
	v_add_f64 v[4:5], v[4:5], -v[6:7]
	v_add_f64 v[8:9], v[8:9], -v[10:11]
	v_and_b32_e32 v10, 1, v12
	s_delay_alu instid0(VALU_DEP_1) | instskip(SKIP_4) | instid1(VALU_DEP_1)
	v_cmp_eq_u32_e32 vcc_lo, 0, v10
	v_ldexp_f64 v[6:7], v[14:15], v26
	v_add_f64 v[14:15], v[38:39], v[16:17]
	v_cndmask_b32_e32 v4, v4, v18, vcc_lo
	v_xor_b32_e32 v5, 0x80000000, v5
	v_dual_cndmask_b32 v2, v5, v19 :: v_dual_and_b32 v1, 0x80000000, v1
	s_and_b32 vcc_lo, s2, s1
	v_and_b32_e32 v3, 0x80000000, v0
	v_cndmask_b32_e64 v0, 0, v4, s0
	s_delay_alu instid0(VALU_DEP_3) | instskip(NEXT) | instid1(VALU_DEP_1)
	v_xor_b32_e32 v1, v2, v1
	v_cndmask_b32_e64 v1, 0x7ff80000, v1, s0
	v_cndmask_b32_e32 v6, 0, v6, vcc_lo
	v_cndmask_b32_e64 v5, v14, v8, s3
	v_cndmask_b32_e64 v8, v15, v9, s3
	;; [unrolled: 1-line block ×3, first 2 shown]
	s_delay_alu instid0(VALU_DEP_3) | instskip(NEXT) | instid1(VALU_DEP_3)
	v_cndmask_b32_e64 v2, 0, v5, s0
	v_xor_b32_e32 v3, v8, v3
	s_delay_alu instid0(VALU_DEP_3) | instskip(NEXT) | instid1(VALU_DEP_2)
	v_cndmask_b32_e64 v7, 0, v7, s2
	v_cndmask_b32_e64 v3, 0x7ff80000, v3, s0
	s_delay_alu instid0(VALU_DEP_2) | instskip(NEXT) | instid1(VALU_DEP_2)
	v_mul_f64 v[4:5], v[6:7], v[0:1]
                                        ; implicit-def: $vgpr0_vgpr1
	v_mul_f64 v[2:3], v[6:7], v[2:3]
.LBB48_15:
	s_and_not1_saveexec_b32 s7, s7
	s_cbranch_execz .LBB48_18
; %bb.16:
	s_delay_alu instid0(VALU_DEP_1) | instskip(NEXT) | instid1(VALU_DEP_1)
	v_cmp_ngt_f64_e64 s1, 0x41d00000, |v[2:3]|
                                        ; implicit-def: $vgpr12
                                        ; implicit-def: $vgpr4_vgpr5
                                        ; implicit-def: $vgpr6_vgpr7
	s_and_saveexec_b32 s0, s1
	s_delay_alu instid0(SALU_CYCLE_1)
	s_xor_b32 s2, exec_lo, s0
	s_cbranch_execz .LBB48_19
; %bb.17:
	v_ldexp_f64 v[4:5], |v[2:3]|, 0xffffff80
	v_cmp_le_f64_e64 vcc_lo, 0x7b000000, |v[2:3]|
	v_trig_preop_f64 v[6:7], |v[2:3]|, 0
	v_and_b32_e32 v8, 0x7fffffff, v3
	v_trig_preop_f64 v[18:19], |v[2:3]|, 2
	v_mov_b32_e32 v26, 0
	s_mov_b32 s8, 0x54442d18
	s_mov_b32 s9, 0x3ff921fb
	;; [unrolled: 1-line block ×4, first 2 shown]
	v_dual_cndmask_b32 v5, v8, v5 :: v_dual_cndmask_b32 v4, v2, v4
	v_trig_preop_f64 v[8:9], |v[2:3]|, 1
	s_delay_alu instid0(VALU_DEP_2) | instskip(SKIP_1) | instid1(VALU_DEP_3)
	v_mul_f64 v[10:11], v[6:7], v[4:5]
	v_mul_f64 v[24:25], v[18:19], v[4:5]
	;; [unrolled: 1-line block ×3, first 2 shown]
	s_delay_alu instid0(VALU_DEP_3) | instskip(NEXT) | instid1(VALU_DEP_2)
	v_fma_f64 v[6:7], v[6:7], v[4:5], -v[10:11]
	v_fma_f64 v[8:9], v[8:9], v[4:5], -v[12:13]
	s_delay_alu instid0(VALU_DEP_4) | instskip(NEXT) | instid1(VALU_DEP_3)
	v_fma_f64 v[4:5], v[18:19], v[4:5], -v[24:25]
	v_add_f64 v[14:15], v[12:13], v[6:7]
	s_delay_alu instid0(VALU_DEP_1) | instskip(SKIP_1) | instid1(VALU_DEP_2)
	v_add_f64 v[16:17], v[14:15], -v[12:13]
	v_add_f64 v[22:23], v[10:11], v[14:15]
	v_add_f64 v[20:21], v[14:15], -v[16:17]
	v_add_f64 v[6:7], v[6:7], -v[16:17]
	s_delay_alu instid0(VALU_DEP_3) | instskip(SKIP_1) | instid1(VALU_DEP_4)
	v_ldexp_f64 v[16:17], v[22:23], -2
	v_add_f64 v[10:11], v[22:23], -v[10:11]
	v_add_f64 v[12:13], v[12:13], -v[20:21]
	v_add_f64 v[20:21], v[24:25], v[8:9]
	s_delay_alu instid0(VALU_DEP_4) | instskip(NEXT) | instid1(VALU_DEP_4)
	v_cmp_neq_f64_e64 vcc_lo, 0x7ff00000, |v[16:17]|
	v_add_f64 v[10:11], v[14:15], -v[10:11]
	s_delay_alu instid0(VALU_DEP_4) | instskip(SKIP_1) | instid1(VALU_DEP_2)
	v_add_f64 v[6:7], v[6:7], v[12:13]
	v_fract_f64_e32 v[12:13], v[16:17]
	v_add_f64 v[14:15], v[20:21], v[6:7]
	s_delay_alu instid0(VALU_DEP_2) | instskip(NEXT) | instid1(VALU_DEP_1)
	v_dual_cndmask_b32 v13, 0, v13 :: v_dual_cndmask_b32 v12, 0, v12
	v_ldexp_f64 v[12:13], v[12:13], 2
	s_delay_alu instid0(VALU_DEP_3) | instskip(NEXT) | instid1(VALU_DEP_1)
	v_add_f64 v[16:17], v[10:11], v[14:15]
	v_add_f64 v[22:23], v[16:17], v[12:13]
	v_add_f64 v[10:11], v[16:17], -v[10:11]
	s_delay_alu instid0(VALU_DEP_2) | instskip(SKIP_1) | instid1(VALU_DEP_3)
	v_cmp_gt_f64_e32 vcc_lo, 0, v[22:23]
	v_add_f64 v[22:23], v[20:21], -v[24:25]
	v_add_f64 v[10:11], v[14:15], -v[10:11]
	v_cndmask_b32_e64 v27, 0, 0x40100000, vcc_lo
	s_delay_alu instid0(VALU_DEP_3) | instskip(SKIP_1) | instid1(VALU_DEP_3)
	v_add_f64 v[31:32], v[20:21], -v[22:23]
	v_add_f64 v[8:9], v[8:9], -v[22:23]
	v_add_f64 v[12:13], v[12:13], v[26:27]
	v_add_f64 v[27:28], v[14:15], -v[20:21]
	s_delay_alu instid0(VALU_DEP_4) | instskip(NEXT) | instid1(VALU_DEP_3)
	v_add_f64 v[22:23], v[24:25], -v[31:32]
	v_add_f64 v[29:30], v[16:17], v[12:13]
	s_delay_alu instid0(VALU_DEP_3) | instskip(SKIP_1) | instid1(VALU_DEP_4)
	v_add_f64 v[33:34], v[14:15], -v[27:28]
	v_add_f64 v[6:7], v[6:7], -v[27:28]
	v_add_f64 v[8:9], v[8:9], v[22:23]
	s_delay_alu instid0(VALU_DEP_4) | instskip(NEXT) | instid1(VALU_DEP_4)
	v_cvt_i32_f64_e32 v29, v[29:30]
	v_add_f64 v[20:21], v[20:21], -v[33:34]
	s_delay_alu instid0(VALU_DEP_2) | instskip(NEXT) | instid1(VALU_DEP_2)
	v_cvt_f64_i32_e32 v[27:28], v29
	v_add_f64 v[6:7], v[6:7], v[20:21]
	s_delay_alu instid0(VALU_DEP_2) | instskip(NEXT) | instid1(VALU_DEP_2)
	v_add_f64 v[12:13], v[12:13], -v[27:28]
	v_add_f64 v[6:7], v[8:9], v[6:7]
	s_delay_alu instid0(VALU_DEP_2) | instskip(NEXT) | instid1(VALU_DEP_2)
	v_add_f64 v[8:9], v[16:17], v[12:13]
	v_add_f64 v[4:5], v[4:5], v[6:7]
	s_delay_alu instid0(VALU_DEP_2) | instskip(SKIP_1) | instid1(VALU_DEP_3)
	v_add_f64 v[6:7], v[8:9], -v[12:13]
	v_cmp_le_f64_e32 vcc_lo, 0.5, v[8:9]
	v_add_f64 v[4:5], v[10:11], v[4:5]
	s_delay_alu instid0(VALU_DEP_3) | instskip(SKIP_2) | instid1(VALU_DEP_3)
	v_add_f64 v[6:7], v[16:17], -v[6:7]
	v_cndmask_b32_e64 v27, 0, 0x3ff00000, vcc_lo
	v_add_co_ci_u32_e64 v12, s0, 0, v29, vcc_lo
	v_add_f64 v[4:5], v[4:5], v[6:7]
	s_delay_alu instid0(VALU_DEP_3) | instskip(NEXT) | instid1(VALU_DEP_1)
	v_add_f64 v[6:7], v[8:9], -v[26:27]
	v_add_f64 v[8:9], v[6:7], v[4:5]
	s_delay_alu instid0(VALU_DEP_1) | instskip(SKIP_1) | instid1(VALU_DEP_2)
	v_mul_f64 v[10:11], v[8:9], s[8:9]
	v_add_f64 v[6:7], v[8:9], -v[6:7]
	v_fma_f64 v[13:14], v[8:9], s[8:9], -v[10:11]
	s_delay_alu instid0(VALU_DEP_2) | instskip(NEXT) | instid1(VALU_DEP_2)
	v_add_f64 v[4:5], v[4:5], -v[6:7]
	v_fma_f64 v[6:7], v[8:9], s[10:11], v[13:14]
	s_delay_alu instid0(VALU_DEP_1) | instskip(NEXT) | instid1(VALU_DEP_1)
	v_fma_f64 v[6:7], v[4:5], s[8:9], v[6:7]
	v_add_f64 v[4:5], v[10:11], v[6:7]
	s_delay_alu instid0(VALU_DEP_1) | instskip(NEXT) | instid1(VALU_DEP_1)
	v_add_f64 v[8:9], v[4:5], -v[10:11]
	v_add_f64 v[6:7], v[6:7], -v[8:9]
	s_and_not1_saveexec_b32 s0, s2
	s_cbranch_execz .LBB48_21
	s_branch .LBB48_20
.LBB48_18:
	s_or_b32 exec_lo, exec_lo, s7
                                        ; implicit-def: $vgpr0_vgpr1
                                        ; implicit-def: $vgpr6
	s_and_not1_saveexec_b32 s1, s6
	s_cbranch_execnz .LBB48_27
	s_branch .LBB48_32
.LBB48_19:
	s_and_not1_saveexec_b32 s0, s2
	s_cbranch_execz .LBB48_21
.LBB48_20:
	s_mov_b32 s2, 0x6dc9c883
	s_mov_b32 s3, 0x3fe45f30
	;; [unrolled: 1-line block ×3, first 2 shown]
	v_mul_f64 v[4:5], |v[2:3]|, s[2:3]
	s_mov_b32 s2, 0x54442d18
	s_mov_b32 s3, 0xbff921fb
	;; [unrolled: 1-line block ×3, first 2 shown]
	s_delay_alu instid0(VALU_DEP_1) | instskip(NEXT) | instid1(VALU_DEP_1)
	v_rndne_f64_e32 v[8:9], v[4:5]
	v_fma_f64 v[4:5], v[8:9], s[2:3], |v[2:3]|
	v_mul_f64 v[6:7], v[8:9], s[8:9]
	s_mov_b32 s2, 0x252049c0
	s_mov_b32 s3, 0xb97b839a
	s_delay_alu instid0(VALU_DEP_2) | instskip(NEXT) | instid1(VALU_DEP_2)
	v_fma_f64 v[12:13], v[8:9], s[8:9], v[4:5]
	v_add_f64 v[10:11], v[4:5], v[6:7]
	s_mov_b32 s9, 0x3c91a626
	s_delay_alu instid0(VALU_DEP_1) | instskip(NEXT) | instid1(VALU_DEP_3)
	v_add_f64 v[4:5], v[4:5], -v[10:11]
	v_add_f64 v[10:11], v[10:11], -v[12:13]
	s_delay_alu instid0(VALU_DEP_2) | instskip(SKIP_1) | instid1(VALU_DEP_2)
	v_add_f64 v[4:5], v[4:5], v[6:7]
	v_fma_f64 v[6:7], v[8:9], s[8:9], v[6:7]
	v_add_f64 v[4:5], v[10:11], v[4:5]
	s_delay_alu instid0(VALU_DEP_1) | instskip(NEXT) | instid1(VALU_DEP_1)
	v_add_f64 v[4:5], v[4:5], -v[6:7]
	v_fma_f64 v[6:7], v[8:9], s[2:3], v[4:5]
	s_delay_alu instid0(VALU_DEP_1) | instskip(NEXT) | instid1(VALU_DEP_1)
	v_add_f64 v[4:5], v[12:13], v[6:7]
	v_add_f64 v[10:11], v[4:5], -v[12:13]
	v_cvt_i32_f64_e32 v12, v[8:9]
	s_delay_alu instid0(VALU_DEP_2)
	v_add_f64 v[6:7], v[6:7], -v[10:11]
.LBB48_21:
	s_or_b32 exec_lo, exec_lo, s0
                                        ; implicit-def: $vgpr13
                                        ; implicit-def: $vgpr8_vgpr9
                                        ; implicit-def: $vgpr10_vgpr11
	s_and_saveexec_b32 s0, s1
	s_delay_alu instid0(SALU_CYCLE_1)
	s_xor_b32 s1, exec_lo, s0
	s_cbranch_execz .LBB48_23
; %bb.22:
	v_ldexp_f64 v[8:9], |v[2:3]|, 0xffffff80
	v_cmp_le_f64_e64 vcc_lo, 0x7b000000, |v[2:3]|
	v_trig_preop_f64 v[10:11], |v[2:3]|, 0
	v_and_b32_e32 v13, 0x7fffffff, v3
	v_trig_preop_f64 v[23:24], |v[2:3]|, 2
	v_mov_b32_e32 v31, 0
	s_mov_b32 s2, 0x54442d18
	s_mov_b32 s3, 0x3ff921fb
	;; [unrolled: 1-line block ×4, first 2 shown]
	v_dual_cndmask_b32 v8, v2, v8 :: v_dual_cndmask_b32 v9, v13, v9
	v_trig_preop_f64 v[13:14], |v[2:3]|, 1
	s_delay_alu instid0(VALU_DEP_2) | instskip(NEXT) | instid1(VALU_DEP_2)
	v_mul_f64 v[15:16], v[10:11], v[8:9]
	v_mul_f64 v[17:18], v[13:14], v[8:9]
	s_delay_alu instid0(VALU_DEP_2) | instskip(NEXT) | instid1(VALU_DEP_2)
	v_fma_f64 v[10:11], v[10:11], v[8:9], -v[15:16]
	v_fma_f64 v[13:14], v[13:14], v[8:9], -v[17:18]
	s_delay_alu instid0(VALU_DEP_2) | instskip(NEXT) | instid1(VALU_DEP_1)
	v_add_f64 v[19:20], v[17:18], v[10:11]
	v_add_f64 v[21:22], v[19:20], -v[17:18]
	v_add_f64 v[27:28], v[15:16], v[19:20]
	s_delay_alu instid0(VALU_DEP_2) | instskip(SKIP_1) | instid1(VALU_DEP_3)
	v_add_f64 v[25:26], v[19:20], -v[21:22]
	v_add_f64 v[10:11], v[10:11], -v[21:22]
	v_ldexp_f64 v[21:22], v[27:28], -2
	v_add_f64 v[15:16], v[27:28], -v[15:16]
	s_delay_alu instid0(VALU_DEP_4) | instskip(NEXT) | instid1(VALU_DEP_3)
	v_add_f64 v[17:18], v[17:18], -v[25:26]
	v_cmp_neq_f64_e64 vcc_lo, 0x7ff00000, |v[21:22]|
	s_delay_alu instid0(VALU_DEP_3) | instskip(NEXT) | instid1(VALU_DEP_3)
	v_add_f64 v[15:16], v[19:20], -v[15:16]
	v_add_f64 v[10:11], v[10:11], v[17:18]
	v_fract_f64_e32 v[17:18], v[21:22]
	s_delay_alu instid0(VALU_DEP_1) | instskip(SKIP_1) | instid1(VALU_DEP_3)
	v_cndmask_b32_e32 v18, 0, v18, vcc_lo
	v_mul_f64 v[29:30], v[23:24], v[8:9]
	v_cndmask_b32_e32 v17, 0, v17, vcc_lo
	s_delay_alu instid0(VALU_DEP_1) | instskip(NEXT) | instid1(VALU_DEP_3)
	v_ldexp_f64 v[17:18], v[17:18], 2
	v_add_f64 v[25:26], v[29:30], v[13:14]
	v_fma_f64 v[8:9], v[23:24], v[8:9], -v[29:30]
	s_delay_alu instid0(VALU_DEP_2) | instskip(NEXT) | instid1(VALU_DEP_1)
	v_add_f64 v[19:20], v[25:26], v[10:11]
	v_add_f64 v[21:22], v[15:16], v[19:20]
	s_delay_alu instid0(VALU_DEP_1) | instskip(SKIP_1) | instid1(VALU_DEP_2)
	v_add_f64 v[27:28], v[21:22], v[17:18]
	v_add_f64 v[15:16], v[21:22], -v[15:16]
	v_cmp_gt_f64_e32 vcc_lo, 0, v[27:28]
	v_add_f64 v[27:28], v[25:26], -v[29:30]
	v_cndmask_b32_e64 v32, 0, 0x40100000, vcc_lo
	s_delay_alu instid0(VALU_DEP_2) | instskip(SKIP_1) | instid1(VALU_DEP_3)
	v_add_f64 v[36:37], v[25:26], -v[27:28]
	v_add_f64 v[13:14], v[13:14], -v[27:28]
	v_add_f64 v[17:18], v[17:18], v[31:32]
	v_add_f64 v[32:33], v[19:20], -v[25:26]
	s_delay_alu instid0(VALU_DEP_4) | instskip(NEXT) | instid1(VALU_DEP_3)
	v_add_f64 v[27:28], v[29:30], -v[36:37]
	v_add_f64 v[34:35], v[21:22], v[17:18]
	s_delay_alu instid0(VALU_DEP_3) | instskip(SKIP_1) | instid1(VALU_DEP_4)
	v_add_f64 v[38:39], v[19:20], -v[32:33]
	v_add_f64 v[10:11], v[10:11], -v[32:33]
	v_add_f64 v[13:14], v[13:14], v[27:28]
	s_delay_alu instid0(VALU_DEP_4) | instskip(NEXT) | instid1(VALU_DEP_4)
	v_cvt_i32_f64_e32 v34, v[34:35]
	v_add_f64 v[25:26], v[25:26], -v[38:39]
	s_delay_alu instid0(VALU_DEP_2) | instskip(NEXT) | instid1(VALU_DEP_2)
	v_cvt_f64_i32_e32 v[32:33], v34
	v_add_f64 v[10:11], v[10:11], v[25:26]
	s_delay_alu instid0(VALU_DEP_2) | instskip(NEXT) | instid1(VALU_DEP_2)
	v_add_f64 v[17:18], v[17:18], -v[32:33]
	v_add_f64 v[10:11], v[13:14], v[10:11]
	v_add_f64 v[13:14], v[19:20], -v[15:16]
	s_delay_alu instid0(VALU_DEP_3) | instskip(NEXT) | instid1(VALU_DEP_3)
	v_add_f64 v[23:24], v[21:22], v[17:18]
	v_add_f64 v[8:9], v[8:9], v[10:11]
	s_delay_alu instid0(VALU_DEP_2) | instskip(SKIP_1) | instid1(VALU_DEP_3)
	v_add_f64 v[10:11], v[23:24], -v[17:18]
	v_cmp_le_f64_e32 vcc_lo, 0.5, v[23:24]
	v_add_f64 v[8:9], v[13:14], v[8:9]
	s_delay_alu instid0(VALU_DEP_3) | instskip(SKIP_2) | instid1(VALU_DEP_3)
	v_add_f64 v[10:11], v[21:22], -v[10:11]
	v_cndmask_b32_e64 v32, 0, 0x3ff00000, vcc_lo
	v_add_co_ci_u32_e64 v13, s0, 0, v34, vcc_lo
	v_add_f64 v[8:9], v[8:9], v[10:11]
	s_delay_alu instid0(VALU_DEP_3) | instskip(NEXT) | instid1(VALU_DEP_1)
	v_add_f64 v[10:11], v[23:24], -v[31:32]
	v_add_f64 v[14:15], v[10:11], v[8:9]
	s_delay_alu instid0(VALU_DEP_1) | instskip(SKIP_1) | instid1(VALU_DEP_2)
	v_mul_f64 v[16:17], v[14:15], s[2:3]
	v_add_f64 v[10:11], v[14:15], -v[10:11]
	v_fma_f64 v[18:19], v[14:15], s[2:3], -v[16:17]
	s_delay_alu instid0(VALU_DEP_2) | instskip(NEXT) | instid1(VALU_DEP_2)
	v_add_f64 v[8:9], v[8:9], -v[10:11]
	v_fma_f64 v[10:11], v[14:15], s[8:9], v[18:19]
	s_delay_alu instid0(VALU_DEP_1) | instskip(NEXT) | instid1(VALU_DEP_1)
	v_fma_f64 v[10:11], v[8:9], s[2:3], v[10:11]
	v_add_f64 v[8:9], v[16:17], v[10:11]
	s_delay_alu instid0(VALU_DEP_1) | instskip(NEXT) | instid1(VALU_DEP_1)
	v_add_f64 v[14:15], v[8:9], -v[16:17]
	v_add_f64 v[10:11], v[10:11], -v[14:15]
	s_and_not1_saveexec_b32 s0, s1
	s_cbranch_execnz .LBB48_24
	s_branch .LBB48_25
.LBB48_23:
	s_and_not1_saveexec_b32 s0, s1
	s_cbranch_execz .LBB48_25
.LBB48_24:
	s_mov_b32 s2, 0x6dc9c883
	s_mov_b32 s3, 0x3fe45f30
	;; [unrolled: 1-line block ×3, first 2 shown]
	v_mul_f64 v[8:9], |v[2:3]|, s[2:3]
	s_mov_b32 s2, 0x54442d18
	s_mov_b32 s3, 0xbff921fb
	;; [unrolled: 1-line block ×3, first 2 shown]
	s_delay_alu instid0(VALU_DEP_1) | instskip(NEXT) | instid1(VALU_DEP_1)
	v_rndne_f64_e32 v[13:14], v[8:9]
	v_fma_f64 v[8:9], v[13:14], s[2:3], |v[2:3]|
	v_mul_f64 v[10:11], v[13:14], s[8:9]
	s_mov_b32 s2, 0x252049c0
	s_mov_b32 s3, 0xb97b839a
	s_delay_alu instid0(VALU_DEP_2) | instskip(NEXT) | instid1(VALU_DEP_2)
	v_fma_f64 v[17:18], v[13:14], s[8:9], v[8:9]
	v_add_f64 v[15:16], v[8:9], v[10:11]
	s_mov_b32 s9, 0x3c91a626
	s_delay_alu instid0(VALU_DEP_1) | instskip(NEXT) | instid1(VALU_DEP_3)
	v_add_f64 v[8:9], v[8:9], -v[15:16]
	v_add_f64 v[15:16], v[15:16], -v[17:18]
	s_delay_alu instid0(VALU_DEP_2) | instskip(SKIP_1) | instid1(VALU_DEP_2)
	v_add_f64 v[8:9], v[8:9], v[10:11]
	v_fma_f64 v[10:11], v[13:14], s[8:9], v[10:11]
	v_add_f64 v[8:9], v[15:16], v[8:9]
	s_delay_alu instid0(VALU_DEP_1) | instskip(NEXT) | instid1(VALU_DEP_1)
	v_add_f64 v[8:9], v[8:9], -v[10:11]
	v_fma_f64 v[10:11], v[13:14], s[2:3], v[8:9]
	v_cvt_i32_f64_e32 v13, v[13:14]
	s_delay_alu instid0(VALU_DEP_2) | instskip(NEXT) | instid1(VALU_DEP_1)
	v_add_f64 v[8:9], v[17:18], v[10:11]
	v_add_f64 v[15:16], v[8:9], -v[17:18]
	s_delay_alu instid0(VALU_DEP_1)
	v_add_f64 v[10:11], v[10:11], -v[15:16]
.LBB48_25:
	s_or_b32 exec_lo, exec_lo, s0
	s_mov_b32 s0, 0x19ba0da4
	s_mov_b32 s1, 0xc0937be3
	;; [unrolled: 1-line block ×3, first 2 shown]
	v_add_f64 v[0:1], v[0:1], s[0:1]
	s_mov_b32 s0, 0x652b82fe
	s_mov_b32 s1, 0x3ff71547
	;; [unrolled: 1-line block ×3, first 2 shown]
	s_delay_alu instid0(VALU_DEP_4)
	v_mul_f64 v[20:21], v[4:5], v[4:5]
	v_mul_f64 v[22:23], v[8:9], v[8:9]
	s_mov_b32 s8, 0x1852b7b0
	s_mov_b32 s9, 0x3f56c16c
	;; [unrolled: 1-line block ×5, first 2 shown]
	s_delay_alu instid0(VALU_DEP_4)
	v_mul_f64 v[48:49], v[6:7], 0.5
	v_mul_f64 v[54:55], v[10:11], 0.5
	v_mul_f64 v[14:15], v[0:1], s[0:1]
	s_mov_b32 s0, 0xfefa39ef
	s_mov_b32 s1, 0xbfe62e42
	v_mul_f64 v[30:31], v[20:21], 0.5
	v_mul_f64 v[32:33], v[22:23], 0.5
	v_mul_f64 v[50:51], v[4:5], -v[20:21]
	v_mul_f64 v[64:65], v[8:9], -v[22:23]
	v_rndne_f64_e32 v[14:15], v[14:15]
	v_add_f64 v[36:37], -v[30:31], 1.0
	v_add_f64 v[38:39], -v[32:33], 1.0
	s_delay_alu instid0(VALU_DEP_3) | instskip(SKIP_2) | instid1(VALU_DEP_3)
	v_fma_f64 v[16:17], v[14:15], s[0:1], v[0:1]
	s_mov_b32 s0, 0x3b39803f
	s_mov_b32 s1, 0xbc7abc9e
	v_add_f64 v[52:53], -v[36:37], 1.0
	s_delay_alu instid0(VALU_DEP_3) | instskip(NEXT) | instid1(VALU_DEP_3)
	v_add_f64 v[66:67], -v[38:39], 1.0
	v_fma_f64 v[16:17], v[14:15], s[0:1], v[16:17]
	s_mov_b32 s0, 0xfca7ab0c
	s_mov_b32 s1, 0x3e928af3
	s_delay_alu instid0(VALU_DEP_3) | instskip(NEXT) | instid1(VALU_DEP_3)
	v_add_f64 v[30:31], v[52:53], -v[30:31]
	v_add_f64 v[32:33], v[66:67], -v[32:33]
	s_delay_alu instid0(VALU_DEP_3) | instskip(SKIP_4) | instid1(VALU_DEP_3)
	v_fma_f64 v[18:19], v[16:17], s[2:3], s[0:1]
	s_mov_b32 s0, 0x623fde64
	s_mov_b32 s1, 0x3ec71dee
	s_mov_b32 s2, 0xf9a43bb8
	s_mov_b32 s3, 0x3de5e0b2
	v_fma_f64 v[30:31], v[4:5], -v[6:7], v[30:31]
	s_delay_alu instid0(VALU_DEP_3) | instskip(NEXT) | instid1(VALU_DEP_3)
	v_fma_f64 v[32:33], v[8:9], -v[10:11], v[32:33]
	v_fma_f64 v[18:19], v[16:17], v[18:19], s[0:1]
	s_mov_b32 s0, 0x7c89e6b0
	s_mov_b32 s1, 0x3efa0199
	s_delay_alu instid0(VALU_DEP_1) | instid1(SALU_CYCLE_1)
	v_fma_f64 v[18:19], v[16:17], v[18:19], s[0:1]
	s_mov_b32 s0, 0x14761f6e
	s_mov_b32 s1, 0x3f2a01a0
	s_delay_alu instid0(VALU_DEP_1) | instid1(SALU_CYCLE_1)
	v_fma_f64 v[18:19], v[16:17], v[18:19], s[0:1]
	s_mov_b32 s0, 0xb42fdfa7
	s_mov_b32 s1, 0xbe5ae600
	s_delay_alu instid0(SALU_CYCLE_1)
	v_fma_f64 v[24:25], v[20:21], s[2:3], s[0:1]
	v_fma_f64 v[26:27], v[22:23], s[2:3], s[0:1]
	s_mov_b32 s0, 0x796cde01
	s_mov_b32 s1, 0x3ec71de3
	;; [unrolled: 1-line block ×4, first 2 shown]
	s_delay_alu instid0(SALU_CYCLE_1) | instskip(NEXT) | instid1(VALU_DEP_3)
	s_mov_b32 s13, s3
	v_fma_f64 v[18:19], v[16:17], v[18:19], s[8:9]
	s_mov_b32 s8, 0x9037ab78
	s_mov_b32 s9, 0x3e21eeb6
	s_delay_alu instid0(VALU_DEP_3)
	v_fma_f64 v[24:25], v[20:21], v[24:25], s[0:1]
	v_fma_f64 v[28:29], v[20:21], s[10:11], s[8:9]
	;; [unrolled: 1-line block ×4, first 2 shown]
	s_mov_b32 s8, 0x19e83e5c
	s_mov_b32 s9, 0xbf2a01a0
	;; [unrolled: 1-line block ×6, first 2 shown]
	v_fma_f64 v[18:19], v[16:17], v[18:19], s[12:13]
	s_mov_b32 s12, 0xa17f65f6
	s_mov_b32 s13, 0xbe927e4f
	v_fma_f64 v[24:25], v[20:21], v[24:25], s[8:9]
	v_fma_f64 v[28:29], v[20:21], v[28:29], s[12:13]
	;; [unrolled: 1-line block ×4, first 2 shown]
	s_mov_b32 s8, 0x19f4ec90
	s_mov_b32 s9, 0x3efa01a0
	v_fma_f64 v[18:19], v[16:17], v[18:19], s[10:11]
	s_mov_b32 s10, 0x55555511
	s_mov_b32 s11, 0x3fc55555
	v_fma_f64 v[24:25], v[20:21], v[24:25], s[2:3]
	v_fma_f64 v[28:29], v[20:21], v[28:29], s[8:9]
	;; [unrolled: 1-line block ×4, first 2 shown]
	s_mov_b32 s2, 0x16c16967
	s_mov_b32 s8, 11
	;; [unrolled: 1-line block ×4, first 2 shown]
	v_fma_f64 v[18:19], v[16:17], v[18:19], s[10:11]
	v_fma_f64 v[24:25], v[50:51], v[24:25], v[48:49]
	;; [unrolled: 1-line block ×5, first 2 shown]
	v_mul_f64 v[48:49], v[20:21], v[20:21]
	v_cmp_ngt_f64_e64 s2, 0xc090cc00, v[0:1]
	v_fma_f64 v[18:19], v[16:17], v[18:19], s[8:9]
	v_fma_f64 v[6:7], v[20:21], v[24:25], -v[6:7]
	v_fma_f64 v[28:29], v[20:21], v[28:29], s[0:1]
	v_mul_f64 v[20:21], v[22:23], v[22:23]
	v_fma_f64 v[24:25], v[22:23], v[34:35], s[0:1]
	v_fma_f64 v[10:11], v[22:23], v[26:27], -v[10:11]
	s_mov_b32 s1, 0xbfc55555
	v_cvt_i32_f64_e32 v26, v[14:15]
	v_fma_f64 v[18:19], v[16:17], v[18:19], 1.0
	v_fma_f64 v[6:7], v[50:51], s[0:1], v[6:7]
	v_fma_f64 v[22:23], v[48:49], v[28:29], v[30:31]
	;; [unrolled: 1-line block ×3, first 2 shown]
	v_cmp_nlt_f64_e64 s1, 0x40900000, v[0:1]
	v_cmp_class_f64_e64 s0, v[2:3], 0x1f8
	v_lshlrev_b32_e32 v0, 30, v13
	v_lshlrev_b32_e32 v1, 30, v12
	s_delay_alu instid0(VALU_DEP_2) | instskip(NEXT) | instid1(VALU_DEP_2)
	v_xor_b32_e32 v0, v0, v3
	v_and_b32_e32 v1, 0x80000000, v1
	v_fma_f64 v[14:15], v[16:17], v[18:19], 1.0
	v_fma_f64 v[16:17], v[20:21], v[24:25], v[32:33]
	v_add_f64 v[4:5], v[4:5], -v[6:7]
	v_add_f64 v[18:19], v[36:37], v[22:23]
	v_add_f64 v[8:9], v[8:9], -v[10:11]
	v_ldexp_f64 v[6:7], v[14:15], v26
	v_add_f64 v[14:15], v[38:39], v[16:17]
	v_xor_b32_e32 v5, 0x80000000, v5
	v_and_b32_e32 v10, 1, v12
	s_delay_alu instid0(VALU_DEP_1) | instskip(NEXT) | instid1(VALU_DEP_3)
	v_cmp_eq_u32_e32 vcc_lo, 0, v10
	v_dual_cndmask_b32 v3, v5, v19 :: v_dual_cndmask_b32 v4, v4, v18
	s_and_b32 vcc_lo, s2, s1
	v_and_b32_e32 v5, 0x80000000, v0
	s_delay_alu instid0(VALU_DEP_2) | instskip(NEXT) | instid1(VALU_DEP_3)
	v_xor_b32_e32 v1, v3, v1
	v_cndmask_b32_e64 v0, 0, v4, s0
	s_delay_alu instid0(VALU_DEP_2) | instskip(SKIP_2) | instid1(VALU_DEP_1)
	v_cndmask_b32_e64 v1, 0x7ff80000, v1, s0
	v_cndmask_b32_e64 v2, 0x7ff00000, v7, s1
	v_dual_cndmask_b32 v4, 0, v6 :: v_dual_and_b32 v7, 1, v13
	v_cmp_eq_u32_e64 s3, 0, v7
	s_delay_alu instid0(VALU_DEP_1) | instskip(SKIP_3) | instid1(VALU_DEP_3)
	v_cndmask_b32_e64 v7, v14, v8, s3
	v_cndmask_b32_e64 v8, v15, v9, s3
	;; [unrolled: 1-line block ×3, first 2 shown]
	s_mov_b32 s3, 0xfffff
	v_cndmask_b32_e64 v2, 0, v7, s0
	s_delay_alu instid0(VALU_DEP_3) | instskip(NEXT) | instid1(VALU_DEP_3)
	v_xor_b32_e32 v3, v8, v5
	v_and_or_b32 v5, v9, s3, 0x7fe00000
	s_delay_alu instid0(VALU_DEP_2) | instskip(NEXT) | instid1(VALU_DEP_2)
	v_cndmask_b32_e64 v3, 0x7ff80000, v3, s0
	v_mul_f64 v[0:1], v[4:5], v[0:1]
	s_delay_alu instid0(VALU_DEP_2) | instskip(SKIP_1) | instid1(VALU_DEP_1)
	v_mul_f64 v[2:3], v[4:5], v[2:3]
	v_lshrrev_b32_e32 v4, 20, v9
	v_add_nc_u32_e32 v6, 0xffffff09, v4
	s_delay_alu instid0(VALU_DEP_1) | instskip(NEXT) | instid1(VALU_DEP_1)
	v_lshrrev_b16 v4, 15, v6
	v_add_nc_u16 v4, v6, v4
	s_delay_alu instid0(VALU_DEP_1) | instskip(NEXT) | instid1(VALU_DEP_1)
	v_ashrrev_i16 v4, 1, v4
	v_bfe_i32 v7, v4, 0, 16
	v_mov_b32_e32 v4, 0
	s_delay_alu instid0(VALU_DEP_2) | instskip(NEXT) | instid1(VALU_DEP_1)
	v_lshl_add_u32 v5, v7, 20, 0x3ff00000
	v_mul_f64 v[0:1], v[0:1], v[4:5]
	v_mul_f64 v[2:3], v[2:3], v[4:5]
	v_sub_nc_u32_e32 v5, v6, v7
	v_mov_b32_e32 v6, v4
	s_delay_alu instid0(VALU_DEP_2) | instskip(NEXT) | instid1(VALU_DEP_1)
	v_lshl_add_u32 v7, v5, 20, 0x3ff00000
	v_mul_f64 v[4:5], v[0:1], v[6:7]
	v_mul_f64 v[2:3], v[2:3], v[6:7]
	s_or_b32 exec_lo, exec_lo, s7
                                        ; implicit-def: $vgpr0_vgpr1
                                        ; implicit-def: $vgpr6
.LBB48_26:
	s_and_not1_saveexec_b32 s1, s6
	s_cbranch_execz .LBB48_32
.LBB48_27:
	s_delay_alu instid0(VALU_DEP_1) | instskip(SKIP_2) | instid1(VALU_DEP_1)
	v_add_f64 v[2:3], v[2:3], -v[2:3]
	v_cmp_ne_u32_e32 vcc_lo, 0, v0
	v_cmp_ne_u32_e64 s0, 0x7ff00000, v6
	s_or_b32 s0, vcc_lo, s0
	s_delay_alu instid0(SALU_CYCLE_1) | instskip(NEXT) | instid1(SALU_CYCLE_1)
	s_and_saveexec_b32 s2, s0
	s_xor_b32 s0, exec_lo, s2
; %bb.28:
                                        ; implicit-def: $vgpr0_vgpr1
; %bb.29:
	s_delay_alu instid0(SALU_CYCLE_1) | instskip(NEXT) | instid1(VALU_DEP_3)
	s_or_saveexec_b32 s0, s0
	v_dual_mov_b32 v5, v3 :: v_dual_mov_b32 v4, v2
	s_xor_b32 exec_lo, exec_lo, s0
; %bb.30:
	v_cmp_lt_i64_e32 vcc_lo, -1, v[0:1]
	v_dual_cndmask_b32 v5, 0, v1 :: v_dual_cndmask_b32 v4, 0, v0
	v_dual_cndmask_b32 v3, 0, v3 :: v_dual_cndmask_b32 v2, 0, v2
; %bb.31:
	s_or_b32 exec_lo, exec_lo, s0
.LBB48_32:
	s_delay_alu instid0(SALU_CYCLE_1)
	s_or_b32 exec_lo, exec_lo, s1
.LBB48_33:
	s_and_not1_saveexec_b32 s2, s5
	s_cbranch_execz .LBB48_43
; %bb.34:
	s_delay_alu instid0(VALU_DEP_1)
	v_cmp_ngt_f64_e64 s1, 0x41d00000, |v[2:3]|
	v_trig_preop_f64 v[10:11], |v[2:3]|, 0
	v_trig_preop_f64 v[8:9], |v[2:3]|, 1
	v_ldexp_f64 v[12:13], |v[2:3]|, 0xffffff80
	v_trig_preop_f64 v[6:7], |v[2:3]|, 2
	v_and_b32_e32 v20, 0x7fffffff, v3
                                        ; implicit-def: $vgpr18
                                        ; implicit-def: $vgpr0_vgpr1
                                        ; implicit-def: $vgpr4_vgpr5
	s_and_saveexec_b32 s0, s1
	s_delay_alu instid0(SALU_CYCLE_1)
	s_xor_b32 s3, exec_lo, s0
	s_cbranch_execz .LBB48_36
; %bb.35:
	v_cmp_le_f64_e64 vcc_lo, 0x7b000000, |v[2:3]|
	v_mov_b32_e32 v31, 0
	s_mov_b32 s6, 0x54442d18
	s_mov_b32 s7, 0x3ff921fb
	;; [unrolled: 1-line block ×4, first 2 shown]
	v_dual_cndmask_b32 v1, v20, v13 :: v_dual_cndmask_b32 v0, v2, v12
	s_delay_alu instid0(VALU_DEP_1) | instskip(SKIP_2) | instid1(VALU_DEP_3)
	v_mul_f64 v[4:5], v[10:11], v[0:1]
	v_mul_f64 v[14:15], v[8:9], v[0:1]
	;; [unrolled: 1-line block ×3, first 2 shown]
	v_fma_f64 v[16:17], v[10:11], v[0:1], -v[4:5]
	s_delay_alu instid0(VALU_DEP_3) | instskip(NEXT) | instid1(VALU_DEP_3)
	v_fma_f64 v[29:30], v[8:9], v[0:1], -v[14:15]
	v_fma_f64 v[0:1], v[6:7], v[0:1], -v[27:28]
	s_delay_alu instid0(VALU_DEP_3) | instskip(NEXT) | instid1(VALU_DEP_1)
	v_add_f64 v[18:19], v[14:15], v[16:17]
	v_add_f64 v[21:22], v[18:19], -v[14:15]
	v_add_f64 v[25:26], v[4:5], v[18:19]
	s_delay_alu instid0(VALU_DEP_2) | instskip(SKIP_1) | instid1(VALU_DEP_3)
	v_add_f64 v[23:24], v[18:19], -v[21:22]
	v_add_f64 v[16:17], v[16:17], -v[21:22]
	v_ldexp_f64 v[21:22], v[25:26], -2
	v_add_f64 v[4:5], v[25:26], -v[4:5]
	s_delay_alu instid0(VALU_DEP_4) | instskip(SKIP_1) | instid1(VALU_DEP_4)
	v_add_f64 v[14:15], v[14:15], -v[23:24]
	v_add_f64 v[23:24], v[27:28], v[29:30]
	v_cmp_neq_f64_e64 vcc_lo, 0x7ff00000, |v[21:22]|
	s_delay_alu instid0(VALU_DEP_4) | instskip(NEXT) | instid1(VALU_DEP_4)
	v_add_f64 v[4:5], v[18:19], -v[4:5]
	v_add_f64 v[14:15], v[16:17], v[14:15]
	v_fract_f64_e32 v[16:17], v[21:22]
	s_delay_alu instid0(VALU_DEP_2) | instskip(NEXT) | instid1(VALU_DEP_2)
	v_add_f64 v[18:19], v[23:24], v[14:15]
	v_dual_cndmask_b32 v17, 0, v17 :: v_dual_cndmask_b32 v16, 0, v16
	s_delay_alu instid0(VALU_DEP_1) | instskip(NEXT) | instid1(VALU_DEP_3)
	v_ldexp_f64 v[16:17], v[16:17], 2
	v_add_f64 v[21:22], v[4:5], v[18:19]
	s_delay_alu instid0(VALU_DEP_1) | instskip(SKIP_1) | instid1(VALU_DEP_2)
	v_add_f64 v[25:26], v[21:22], v[16:17]
	v_add_f64 v[4:5], v[21:22], -v[4:5]
	v_cmp_gt_f64_e32 vcc_lo, 0, v[25:26]
	v_add_f64 v[25:26], v[23:24], -v[27:28]
	s_delay_alu instid0(VALU_DEP_3) | instskip(SKIP_1) | instid1(VALU_DEP_3)
	v_add_f64 v[4:5], v[18:19], -v[4:5]
	v_cndmask_b32_e64 v32, 0, 0x40100000, vcc_lo
	v_add_f64 v[36:37], v[23:24], -v[25:26]
	v_add_f64 v[25:26], v[29:30], -v[25:26]
	s_delay_alu instid0(VALU_DEP_3) | instskip(SKIP_1) | instid1(VALU_DEP_4)
	v_add_f64 v[16:17], v[16:17], v[31:32]
	v_add_f64 v[32:33], v[18:19], -v[23:24]
	v_add_f64 v[29:30], v[27:28], -v[36:37]
	s_delay_alu instid0(VALU_DEP_3) | instskip(NEXT) | instid1(VALU_DEP_3)
	v_add_f64 v[34:35], v[21:22], v[16:17]
	v_add_f64 v[38:39], v[18:19], -v[32:33]
	v_add_f64 v[14:15], v[14:15], -v[32:33]
	s_delay_alu instid0(VALU_DEP_4) | instskip(NEXT) | instid1(VALU_DEP_4)
	v_add_f64 v[25:26], v[25:26], v[29:30]
	v_cvt_i32_f64_e32 v34, v[34:35]
	s_delay_alu instid0(VALU_DEP_4) | instskip(NEXT) | instid1(VALU_DEP_2)
	v_add_f64 v[23:24], v[23:24], -v[38:39]
	v_cvt_f64_i32_e32 v[32:33], v34
	s_delay_alu instid0(VALU_DEP_2) | instskip(NEXT) | instid1(VALU_DEP_2)
	v_add_f64 v[14:15], v[14:15], v[23:24]
	v_add_f64 v[16:17], v[16:17], -v[32:33]
	s_delay_alu instid0(VALU_DEP_2) | instskip(NEXT) | instid1(VALU_DEP_2)
	v_add_f64 v[14:15], v[25:26], v[14:15]
	v_add_f64 v[23:24], v[21:22], v[16:17]
	s_delay_alu instid0(VALU_DEP_2) | instskip(NEXT) | instid1(VALU_DEP_2)
	v_add_f64 v[0:1], v[0:1], v[14:15]
	v_add_f64 v[14:15], v[23:24], -v[16:17]
	v_cmp_le_f64_e32 vcc_lo, 0.5, v[23:24]
	s_delay_alu instid0(VALU_DEP_3) | instskip(NEXT) | instid1(VALU_DEP_3)
	v_add_f64 v[0:1], v[4:5], v[0:1]
	v_add_f64 v[4:5], v[21:22], -v[14:15]
	v_cndmask_b32_e64 v32, 0, 0x3ff00000, vcc_lo
	v_add_co_ci_u32_e64 v18, s0, 0, v34, vcc_lo
	s_delay_alu instid0(VALU_DEP_3) | instskip(NEXT) | instid1(VALU_DEP_3)
	v_add_f64 v[0:1], v[0:1], v[4:5]
	v_add_f64 v[4:5], v[23:24], -v[31:32]
	s_delay_alu instid0(VALU_DEP_1) | instskip(NEXT) | instid1(VALU_DEP_1)
	v_add_f64 v[14:15], v[4:5], v[0:1]
	v_mul_f64 v[16:17], v[14:15], s[6:7]
	v_add_f64 v[4:5], v[14:15], -v[4:5]
	s_delay_alu instid0(VALU_DEP_2) | instskip(NEXT) | instid1(VALU_DEP_2)
	v_fma_f64 v[21:22], v[14:15], s[6:7], -v[16:17]
	v_add_f64 v[0:1], v[0:1], -v[4:5]
	s_delay_alu instid0(VALU_DEP_2) | instskip(NEXT) | instid1(VALU_DEP_1)
	v_fma_f64 v[4:5], v[14:15], s[8:9], v[21:22]
	v_fma_f64 v[4:5], v[0:1], s[6:7], v[4:5]
	s_delay_alu instid0(VALU_DEP_1) | instskip(NEXT) | instid1(VALU_DEP_1)
	v_add_f64 v[0:1], v[16:17], v[4:5]
	v_add_f64 v[14:15], v[0:1], -v[16:17]
	s_delay_alu instid0(VALU_DEP_1)
	v_add_f64 v[4:5], v[4:5], -v[14:15]
	s_and_not1_saveexec_b32 s0, s3
	s_cbranch_execz .LBB48_38
	s_branch .LBB48_37
.LBB48_36:
	s_and_not1_saveexec_b32 s0, s3
	s_cbranch_execz .LBB48_38
.LBB48_37:
	s_mov_b32 s6, 0x6dc9c883
	s_mov_b32 s7, 0x3fe45f30
	;; [unrolled: 1-line block ×3, first 2 shown]
	v_mul_f64 v[0:1], |v[2:3]|, s[6:7]
	s_mov_b32 s6, 0x54442d18
	s_mov_b32 s7, 0xbff921fb
	;; [unrolled: 1-line block ×3, first 2 shown]
	s_delay_alu instid0(VALU_DEP_1) | instskip(NEXT) | instid1(VALU_DEP_1)
	v_rndne_f64_e32 v[14:15], v[0:1]
	v_fma_f64 v[0:1], v[14:15], s[6:7], |v[2:3]|
	v_mul_f64 v[4:5], v[14:15], s[8:9]
	s_mov_b32 s6, 0x252049c0
	s_mov_b32 s7, 0xb97b839a
	s_delay_alu instid0(VALU_DEP_2) | instskip(NEXT) | instid1(VALU_DEP_2)
	v_fma_f64 v[18:19], v[14:15], s[8:9], v[0:1]
	v_add_f64 v[16:17], v[0:1], v[4:5]
	s_mov_b32 s9, 0x3c91a626
	s_delay_alu instid0(VALU_DEP_1) | instskip(NEXT) | instid1(VALU_DEP_3)
	v_add_f64 v[0:1], v[0:1], -v[16:17]
	v_add_f64 v[16:17], v[16:17], -v[18:19]
	s_delay_alu instid0(VALU_DEP_2) | instskip(SKIP_1) | instid1(VALU_DEP_2)
	v_add_f64 v[0:1], v[0:1], v[4:5]
	v_fma_f64 v[4:5], v[14:15], s[8:9], v[4:5]
	v_add_f64 v[0:1], v[16:17], v[0:1]
	s_delay_alu instid0(VALU_DEP_1) | instskip(NEXT) | instid1(VALU_DEP_1)
	v_add_f64 v[0:1], v[0:1], -v[4:5]
	v_fma_f64 v[4:5], v[14:15], s[6:7], v[0:1]
	s_delay_alu instid0(VALU_DEP_1) | instskip(NEXT) | instid1(VALU_DEP_1)
	v_add_f64 v[0:1], v[18:19], v[4:5]
	v_add_f64 v[16:17], v[0:1], -v[18:19]
	v_cvt_i32_f64_e32 v18, v[14:15]
	s_delay_alu instid0(VALU_DEP_2)
	v_add_f64 v[4:5], v[4:5], -v[16:17]
.LBB48_38:
	s_or_b32 exec_lo, exec_lo, s0
                                        ; implicit-def: $vgpr19
                                        ; implicit-def: $vgpr14_vgpr15
                                        ; implicit-def: $vgpr16_vgpr17
	s_and_saveexec_b32 s0, s1
	s_delay_alu instid0(SALU_CYCLE_1)
	s_xor_b32 s1, exec_lo, s0
	s_cbranch_execz .LBB48_40
; %bb.39:
	v_cmp_le_f64_e64 vcc_lo, 0x7b000000, |v[2:3]|
	v_mov_b32_e32 v29, 0
	s_mov_b32 s6, 0x54442d18
	s_mov_b32 s7, 0x3ff921fb
	;; [unrolled: 1-line block ×4, first 2 shown]
	v_dual_cndmask_b32 v13, v20, v13 :: v_dual_cndmask_b32 v12, v2, v12
	s_delay_alu instid0(VALU_DEP_1) | instskip(SKIP_2) | instid1(VALU_DEP_3)
	v_mul_f64 v[14:15], v[10:11], v[12:13]
	v_mul_f64 v[16:17], v[8:9], v[12:13]
	;; [unrolled: 1-line block ×3, first 2 shown]
	v_fma_f64 v[10:11], v[10:11], v[12:13], -v[14:15]
	s_delay_alu instid0(VALU_DEP_3) | instskip(NEXT) | instid1(VALU_DEP_3)
	v_fma_f64 v[8:9], v[8:9], v[12:13], -v[16:17]
	v_fma_f64 v[6:7], v[6:7], v[12:13], -v[27:28]
	s_delay_alu instid0(VALU_DEP_3) | instskip(NEXT) | instid1(VALU_DEP_1)
	v_add_f64 v[19:20], v[16:17], v[10:11]
	v_add_f64 v[21:22], v[19:20], -v[16:17]
	v_add_f64 v[25:26], v[14:15], v[19:20]
	s_delay_alu instid0(VALU_DEP_2) | instskip(SKIP_1) | instid1(VALU_DEP_3)
	v_add_f64 v[23:24], v[19:20], -v[21:22]
	v_add_f64 v[10:11], v[10:11], -v[21:22]
	v_ldexp_f64 v[21:22], v[25:26], -2
	v_add_f64 v[14:15], v[25:26], -v[14:15]
	s_delay_alu instid0(VALU_DEP_4) | instskip(SKIP_1) | instid1(VALU_DEP_4)
	v_add_f64 v[16:17], v[16:17], -v[23:24]
	v_add_f64 v[23:24], v[27:28], v[8:9]
	v_cmp_neq_f64_e64 vcc_lo, 0x7ff00000, |v[21:22]|
	s_delay_alu instid0(VALU_DEP_4) | instskip(NEXT) | instid1(VALU_DEP_4)
	v_add_f64 v[14:15], v[19:20], -v[14:15]
	v_add_f64 v[10:11], v[10:11], v[16:17]
	v_fract_f64_e32 v[16:17], v[21:22]
	s_delay_alu instid0(VALU_DEP_2) | instskip(NEXT) | instid1(VALU_DEP_2)
	v_add_f64 v[19:20], v[23:24], v[10:11]
	v_dual_cndmask_b32 v17, 0, v17 :: v_dual_cndmask_b32 v16, 0, v16
	s_delay_alu instid0(VALU_DEP_1) | instskip(NEXT) | instid1(VALU_DEP_3)
	v_ldexp_f64 v[16:17], v[16:17], 2
	v_add_f64 v[21:22], v[14:15], v[19:20]
	s_delay_alu instid0(VALU_DEP_1) | instskip(SKIP_1) | instid1(VALU_DEP_2)
	v_add_f64 v[25:26], v[21:22], v[16:17]
	v_add_f64 v[12:13], v[21:22], -v[14:15]
	v_cmp_gt_f64_e32 vcc_lo, 0, v[25:26]
	v_add_f64 v[25:26], v[23:24], -v[27:28]
	s_delay_alu instid0(VALU_DEP_3) | instskip(SKIP_1) | instid1(VALU_DEP_3)
	v_add_f64 v[12:13], v[19:20], -v[12:13]
	v_cndmask_b32_e64 v30, 0, 0x40100000, vcc_lo
	v_add_f64 v[34:35], v[23:24], -v[25:26]
	v_add_f64 v[8:9], v[8:9], -v[25:26]
	s_delay_alu instid0(VALU_DEP_3) | instskip(SKIP_1) | instid1(VALU_DEP_4)
	v_add_f64 v[16:17], v[16:17], v[29:30]
	v_add_f64 v[30:31], v[19:20], -v[23:24]
	v_add_f64 v[25:26], v[27:28], -v[34:35]
	s_delay_alu instid0(VALU_DEP_3) | instskip(NEXT) | instid1(VALU_DEP_3)
	v_add_f64 v[32:33], v[21:22], v[16:17]
	v_add_f64 v[36:37], v[19:20], -v[30:31]
	v_add_f64 v[10:11], v[10:11], -v[30:31]
	s_delay_alu instid0(VALU_DEP_4) | instskip(NEXT) | instid1(VALU_DEP_4)
	v_add_f64 v[8:9], v[8:9], v[25:26]
	v_cvt_i32_f64_e32 v32, v[32:33]
	s_delay_alu instid0(VALU_DEP_4) | instskip(NEXT) | instid1(VALU_DEP_2)
	v_add_f64 v[23:24], v[23:24], -v[36:37]
	v_cvt_f64_i32_e32 v[30:31], v32
	s_delay_alu instid0(VALU_DEP_2) | instskip(NEXT) | instid1(VALU_DEP_2)
	v_add_f64 v[10:11], v[10:11], v[23:24]
	v_add_f64 v[16:17], v[16:17], -v[30:31]
	s_delay_alu instid0(VALU_DEP_2) | instskip(NEXT) | instid1(VALU_DEP_2)
	v_add_f64 v[8:9], v[8:9], v[10:11]
	v_add_f64 v[10:11], v[21:22], v[16:17]
	s_delay_alu instid0(VALU_DEP_2) | instskip(NEXT) | instid1(VALU_DEP_2)
	v_add_f64 v[6:7], v[6:7], v[8:9]
	v_add_f64 v[8:9], v[10:11], -v[16:17]
	v_cmp_le_f64_e32 vcc_lo, 0.5, v[10:11]
	s_delay_alu instid0(VALU_DEP_3) | instskip(NEXT) | instid1(VALU_DEP_3)
	v_add_f64 v[6:7], v[12:13], v[6:7]
	v_add_f64 v[8:9], v[21:22], -v[8:9]
	v_cndmask_b32_e64 v30, 0, 0x3ff00000, vcc_lo
	v_add_co_ci_u32_e64 v19, s0, 0, v32, vcc_lo
	s_delay_alu instid0(VALU_DEP_3) | instskip(NEXT) | instid1(VALU_DEP_3)
	v_add_f64 v[6:7], v[6:7], v[8:9]
	v_add_f64 v[8:9], v[10:11], -v[29:30]
	s_delay_alu instid0(VALU_DEP_1) | instskip(NEXT) | instid1(VALU_DEP_1)
	v_add_f64 v[10:11], v[8:9], v[6:7]
	v_mul_f64 v[12:13], v[10:11], s[6:7]
	v_add_f64 v[8:9], v[10:11], -v[8:9]
	s_delay_alu instid0(VALU_DEP_2) | instskip(NEXT) | instid1(VALU_DEP_2)
	v_fma_f64 v[14:15], v[10:11], s[6:7], -v[12:13]
	v_add_f64 v[6:7], v[6:7], -v[8:9]
	s_delay_alu instid0(VALU_DEP_2) | instskip(NEXT) | instid1(VALU_DEP_1)
	v_fma_f64 v[8:9], v[10:11], s[8:9], v[14:15]
	v_fma_f64 v[6:7], v[6:7], s[6:7], v[8:9]
	s_delay_alu instid0(VALU_DEP_1) | instskip(NEXT) | instid1(VALU_DEP_1)
	v_add_f64 v[14:15], v[12:13], v[6:7]
	v_add_f64 v[8:9], v[14:15], -v[12:13]
	s_delay_alu instid0(VALU_DEP_1)
	v_add_f64 v[16:17], v[6:7], -v[8:9]
	s_and_not1_saveexec_b32 s0, s1
	s_cbranch_execnz .LBB48_41
	s_branch .LBB48_42
.LBB48_40:
	s_and_not1_saveexec_b32 s0, s1
	s_cbranch_execz .LBB48_42
.LBB48_41:
	s_mov_b32 s6, 0x6dc9c883
	s_mov_b32 s7, 0x3fe45f30
	;; [unrolled: 1-line block ×3, first 2 shown]
	v_mul_f64 v[6:7], |v[2:3]|, s[6:7]
	s_mov_b32 s6, 0x54442d18
	s_mov_b32 s7, 0xbff921fb
	;; [unrolled: 1-line block ×3, first 2 shown]
	s_delay_alu instid0(VALU_DEP_1) | instskip(NEXT) | instid1(VALU_DEP_1)
	v_rndne_f64_e32 v[6:7], v[6:7]
	v_fma_f64 v[8:9], v[6:7], s[6:7], |v[2:3]|
	v_mul_f64 v[10:11], v[6:7], s[8:9]
	s_mov_b32 s6, 0x252049c0
	s_mov_b32 s7, 0xb97b839a
	v_cvt_i32_f64_e32 v19, v[6:7]
	s_delay_alu instid0(VALU_DEP_3) | instskip(NEXT) | instid1(VALU_DEP_3)
	v_fma_f64 v[16:17], v[6:7], s[8:9], v[8:9]
	v_add_f64 v[12:13], v[8:9], v[10:11]
	s_mov_b32 s9, 0x3c91a626
	s_delay_alu instid0(VALU_DEP_1) | instskip(NEXT) | instid1(VALU_DEP_3)
	v_add_f64 v[8:9], v[8:9], -v[12:13]
	v_add_f64 v[12:13], v[12:13], -v[16:17]
	s_delay_alu instid0(VALU_DEP_2) | instskip(SKIP_1) | instid1(VALU_DEP_2)
	v_add_f64 v[8:9], v[8:9], v[10:11]
	v_fma_f64 v[10:11], v[6:7], s[8:9], v[10:11]
	v_add_f64 v[8:9], v[12:13], v[8:9]
	s_delay_alu instid0(VALU_DEP_1) | instskip(NEXT) | instid1(VALU_DEP_1)
	v_add_f64 v[8:9], v[8:9], -v[10:11]
	v_fma_f64 v[8:9], v[6:7], s[6:7], v[8:9]
	s_delay_alu instid0(VALU_DEP_1) | instskip(NEXT) | instid1(VALU_DEP_1)
	v_add_f64 v[14:15], v[16:17], v[8:9]
	v_add_f64 v[10:11], v[14:15], -v[16:17]
	s_delay_alu instid0(VALU_DEP_1)
	v_add_f64 v[16:17], v[8:9], -v[10:11]
.LBB48_42:
	s_or_b32 exec_lo, exec_lo, s0
	v_mul_f64 v[6:7], v[0:1], v[0:1]
	v_mul_f64 v[8:9], v[14:15], v[14:15]
	s_mov_b32 s0, 0xb42fdfa7
	s_mov_b32 s6, 0xf9a43bb8
	;; [unrolled: 1-line block ×6, first 2 shown]
	s_delay_alu instid0(VALU_DEP_3) | instskip(NEXT) | instid1(VALU_DEP_4)
	v_mul_f64 v[32:33], v[4:5], 0.5
	v_mul_f64 v[38:39], v[16:17], 0.5
	s_delay_alu instid0(VALU_DEP_4) | instskip(NEXT) | instid1(VALU_DEP_4)
	v_fma_f64 v[10:11], v[6:7], s[6:7], s[0:1]
	v_fma_f64 v[12:13], v[8:9], s[6:7], s[0:1]
	v_mul_f64 v[22:23], v[6:7], 0.5
	s_mov_b32 s0, 0x9037ab78
	s_mov_b32 s6, 0x46cc5e42
	;; [unrolled: 1-line block ×4, first 2 shown]
	v_mul_f64 v[24:25], v[8:9], 0.5
	v_fma_f64 v[20:21], v[6:7], s[6:7], s[0:1]
	v_fma_f64 v[26:27], v[8:9], s[6:7], s[0:1]
	s_mov_b32 s6, 0x19e83e5c
	s_mov_b32 s7, 0xbf2a01a0
	;; [unrolled: 1-line block ×4, first 2 shown]
	v_mul_f64 v[34:35], v[0:1], -v[6:7]
	v_mul_f64 v[48:49], v[14:15], -v[8:9]
	v_fma_f64 v[10:11], v[6:7], v[10:11], s[8:9]
	v_fma_f64 v[12:13], v[8:9], v[12:13], s[8:9]
	v_add_f64 v[28:29], -v[22:23], 1.0
	v_add_f64 v[30:31], -v[24:25], 1.0
	v_fma_f64 v[20:21], v[6:7], v[20:21], s[0:1]
	v_fma_f64 v[26:27], v[8:9], v[26:27], s[0:1]
	s_mov_b32 s0, 0x19f4ec90
	s_mov_b32 s1, 0x3efa01a0
	v_fma_f64 v[10:11], v[6:7], v[10:11], s[6:7]
	v_fma_f64 v[12:13], v[8:9], v[12:13], s[6:7]
	s_mov_b32 s6, 0x11110bb3
	s_mov_b32 s7, 0x3f811111
	v_add_f64 v[36:37], -v[28:29], 1.0
	v_add_f64 v[50:51], -v[30:31], 1.0
	v_fma_f64 v[20:21], v[6:7], v[20:21], s[0:1]
	v_fma_f64 v[26:27], v[8:9], v[26:27], s[0:1]
	s_mov_b32 s0, 0x16c16967
	s_mov_b32 s1, 0xbf56c16c
	v_fma_f64 v[10:11], v[6:7], v[10:11], s[6:7]
	v_fma_f64 v[12:13], v[8:9], v[12:13], s[6:7]
	v_add_f64 v[22:23], v[36:37], -v[22:23]
	v_add_f64 v[24:25], v[50:51], -v[24:25]
	v_fma_f64 v[20:21], v[6:7], v[20:21], s[0:1]
	v_fma_f64 v[26:27], v[8:9], v[26:27], s[0:1]
	s_mov_b32 s0, 0x55555555
	s_mov_b32 s1, 0x3fa55555
	v_fma_f64 v[10:11], v[34:35], v[10:11], v[32:33]
	v_fma_f64 v[12:13], v[48:49], v[12:13], v[38:39]
	v_mul_f64 v[32:33], v[6:7], v[6:7]
	v_fma_f64 v[22:23], v[0:1], -v[4:5], v[22:23]
	v_fma_f64 v[24:25], v[14:15], -v[16:17], v[24:25]
	v_fma_f64 v[20:21], v[6:7], v[20:21], s[0:1]
	v_fma_f64 v[4:5], v[6:7], v[10:11], -v[4:5]
	v_mul_f64 v[6:7], v[8:9], v[8:9]
	v_fma_f64 v[10:11], v[8:9], v[26:27], s[0:1]
	v_fma_f64 v[8:9], v[8:9], v[12:13], -v[16:17]
	s_mov_b32 s1, 0xbfc55555
	v_fma_f64 v[12:13], v[32:33], v[20:21], v[22:23]
	v_fma_f64 v[4:5], v[34:35], s[0:1], v[4:5]
	s_delay_alu instid0(VALU_DEP_4) | instskip(NEXT) | instid1(VALU_DEP_4)
	v_fma_f64 v[6:7], v[6:7], v[10:11], v[24:25]
	v_fma_f64 v[8:9], v[48:49], s[0:1], v[8:9]
	v_cmp_class_f64_e64 s0, v[2:3], 0x1f8
	v_lshlrev_b32_e32 v2, 30, v19
	v_add_f64 v[10:11], v[28:29], v[12:13]
	s_delay_alu instid0(VALU_DEP_2) | instskip(NEXT) | instid1(VALU_DEP_1)
	v_xor_b32_e32 v2, v2, v3
	v_and_b32_e32 v2, 0x80000000, v2
	v_add_f64 v[0:1], v[0:1], -v[4:5]
	v_add_f64 v[4:5], v[30:31], v[6:7]
	v_add_f64 v[6:7], v[14:15], -v[8:9]
	v_lshlrev_b32_e32 v9, 30, v18
	s_delay_alu instid0(VALU_DEP_1) | instskip(SKIP_2) | instid1(VALU_DEP_1)
	v_and_b32_e32 v3, 0x80000000, v9
	v_xor_b32_e32 v1, 0x80000000, v1
	v_and_b32_e32 v8, 1, v18
	v_cmp_eq_u32_e32 vcc_lo, 0, v8
	v_and_b32_e32 v8, 1, v19
	s_delay_alu instid0(VALU_DEP_4) | instskip(NEXT) | instid1(VALU_DEP_2)
	v_cndmask_b32_e32 v1, v1, v11, vcc_lo
	v_cmp_eq_u32_e64 s1, 0, v8
	v_cndmask_b32_e32 v0, v0, v10, vcc_lo
	s_delay_alu instid0(VALU_DEP_3) | instskip(NEXT) | instid1(VALU_DEP_3)
	v_xor_b32_e32 v1, v1, v3
	v_cndmask_b32_e64 v6, v4, v6, s1
	v_cndmask_b32_e64 v4, v5, v7, s1
	s_delay_alu instid0(VALU_DEP_3) | instskip(NEXT) | instid1(VALU_DEP_2)
	v_cndmask_b32_e64 v5, 0x7ff80000, v1, s0
	v_xor_b32_e32 v3, v4, v2
	v_cndmask_b32_e64 v4, 0, v0, s0
	v_cndmask_b32_e64 v2, 0, v6, s0
	s_delay_alu instid0(VALU_DEP_3)
	v_cndmask_b32_e64 v3, 0x7ff80000, v3, s0
.LBB48_43:
	s_or_b32 exec_lo, exec_lo, s2
                                        ; implicit-def: $vgpr0_vgpr1
	s_and_not1_saveexec_b32 s1, s4
	s_cbranch_execnz .LBB48_7
.LBB48_44:
	s_or_b32 exec_lo, exec_lo, s1
	s_delay_alu instid0(VALU_DEP_2)
	v_dual_mov_b32 v0, v4 :: v_dual_mov_b32 v1, v5
	s_setpc_b64 s[30:31]
.Lfunc_end48:
	.size	_ZZZZN2at6native15exp_kernel_cudaERNS_18TensorIteratorBaseEENKUlvE_clEvENKUlvE_clEvENKUlN3c107complexIdEEE_clES7_, .Lfunc_end48-_ZZZZN2at6native15exp_kernel_cudaERNS_18TensorIteratorBaseEENKUlvE_clEvENKUlvE_clEvENKUlN3c107complexIdEEE_clES7_
                                        ; -- End function
	.section	.AMDGPU.csdata,"",@progbits
; Function info:
; codeLenInByte = 9828
; NumSgprs: 34
; NumVgprs: 68
; ScratchSize: 0
; MemoryBound: 0
	.section	.text._ZN2at6native29vectorized_elementwise_kernelILi16EZZZNS0_15exp_kernel_cudaERNS_18TensorIteratorBaseEENKUlvE_clEvENKUlvE_clEvEUlN3c107complexIdEEE_St5arrayIPcLm2EEEEviT0_T1_,"axG",@progbits,_ZN2at6native29vectorized_elementwise_kernelILi16EZZZNS0_15exp_kernel_cudaERNS_18TensorIteratorBaseEENKUlvE_clEvENKUlvE_clEvEUlN3c107complexIdEEE_St5arrayIPcLm2EEEEviT0_T1_,comdat
	.globl	_ZN2at6native29vectorized_elementwise_kernelILi16EZZZNS0_15exp_kernel_cudaERNS_18TensorIteratorBaseEENKUlvE_clEvENKUlvE_clEvEUlN3c107complexIdEEE_St5arrayIPcLm2EEEEviT0_T1_ ; -- Begin function _ZN2at6native29vectorized_elementwise_kernelILi16EZZZNS0_15exp_kernel_cudaERNS_18TensorIteratorBaseEENKUlvE_clEvENKUlvE_clEvEUlN3c107complexIdEEE_St5arrayIPcLm2EEEEviT0_T1_
	.p2align	8
	.type	_ZN2at6native29vectorized_elementwise_kernelILi16EZZZNS0_15exp_kernel_cudaERNS_18TensorIteratorBaseEENKUlvE_clEvENKUlvE_clEvEUlN3c107complexIdEEE_St5arrayIPcLm2EEEEviT0_T1_,@function
_ZN2at6native29vectorized_elementwise_kernelILi16EZZZNS0_15exp_kernel_cudaERNS_18TensorIteratorBaseEENKUlvE_clEvENKUlvE_clEvEUlN3c107complexIdEEE_St5arrayIPcLm2EEEEviT0_T1_: ; @_ZN2at6native29vectorized_elementwise_kernelILi16EZZZNS0_15exp_kernel_cudaERNS_18TensorIteratorBaseEENKUlvE_clEvENKUlvE_clEvEUlN3c107complexIdEEE_St5arrayIPcLm2EEEEviT0_T1_
; %bb.0:
	s_clause 0x1
	s_load_b32 s2, s[0:1], 0x0
	s_load_b128 s[16:19], s[0:1], 0x8
	s_lshl_b32 s20, s15, 10
	v_mov_b32_e32 v76, v0
	s_mov_b32 s0, -1
	s_mov_b32 s32, 0
	s_waitcnt lgkmcnt(0)
	s_sub_i32 s15, s2, s20
	s_delay_alu instid0(SALU_CYCLE_1)
	s_cmpk_gt_i32 s15, 0x3ff
	s_cbranch_scc0 .LBB49_2
; %bb.1:
	s_ashr_i32 s21, s20, 31
	v_lshlrev_b32_e32 v68, 6, v76
	s_lshl_b64 s[22:23], s[20:21], 4
	s_delay_alu instid0(SALU_CYCLE_1)
	s_add_u32 s0, s18, s22
	s_addc_u32 s1, s19, s23
	s_getpc_b64 s[24:25]
	s_add_u32 s24, s24, _ZZZZN2at6native15exp_kernel_cudaERNS_18TensorIteratorBaseEENKUlvE_clEvENKUlvE_clEvENKUlN3c107complexIdEEE_clES7_@rel32@lo+4
	s_addc_u32 s25, s25, _ZZZZN2at6native15exp_kernel_cudaERNS_18TensorIteratorBaseEENKUlvE_clEvENKUlvE_clEvENKUlN3c107complexIdEEE_clES7_@rel32@hi+12
	s_clause 0x3
	global_load_b128 v[0:3], v68, s[0:1]
	global_load_b128 v[40:43], v68, s[0:1] offset:16
	global_load_b128 v[44:47], v68, s[0:1] offset:48
	;; [unrolled: 1-line block ×3, first 2 shown]
	s_swappc_b64 s[30:31], s[24:25]
	v_dual_mov_b32 v60, v0 :: v_dual_mov_b32 v61, v1
	v_dual_mov_b32 v62, v2 :: v_dual_mov_b32 v63, v3
	;; [unrolled: 1-line block ×4, first 2 shown]
	s_swappc_b64 s[30:31], s[24:25]
	s_delay_alu instid0(VALU_DEP_2) | instskip(NEXT) | instid1(VALU_DEP_2)
	v_dual_mov_b32 v40, v0 :: v_dual_mov_b32 v41, v1
	v_dual_mov_b32 v42, v2 :: v_dual_mov_b32 v43, v3
	;; [unrolled: 1-line block ×4, first 2 shown]
	s_swappc_b64 s[30:31], s[24:25]
	s_delay_alu instid0(VALU_DEP_2) | instskip(NEXT) | instid1(VALU_DEP_2)
	v_dual_mov_b32 v56, v0 :: v_dual_mov_b32 v57, v1
	v_dual_mov_b32 v58, v2 :: v_dual_mov_b32 v59, v3
	;; [unrolled: 1-line block ×4, first 2 shown]
	s_swappc_b64 s[30:31], s[24:25]
	s_add_u32 s2, s16, s22
	s_addc_u32 s3, s17, s23
	s_mov_b32 s0, 0
	s_clause 0x3
	global_store_b128 v68, v[60:63], s[2:3]
	global_store_b128 v68, v[40:43], s[2:3] offset:16
	global_store_b128 v68, v[56:59], s[2:3] offset:32
	;; [unrolled: 1-line block ×3, first 2 shown]
.LBB49_2:
	s_and_not1_b32 vcc_lo, exec_lo, s0
	s_cbranch_vccnz .LBB49_23
; %bb.3:
	v_mov_b32_e32 v56, 0
	v_dual_mov_b32 v57, 0 :: v_dual_mov_b32 v4, v76
	v_cmp_gt_i32_e64 s14, s15, v76
	v_or_b32_e32 v77, s20, v76
	v_or_b32_e32 v79, 0x100, v76
	s_delay_alu instid0(VALU_DEP_4)
	v_dual_mov_b32 v0, v56 :: v_dual_mov_b32 v1, v57
	v_dual_mov_b32 v2, v56 :: v_dual_mov_b32 v3, v57
	s_and_saveexec_b32 s0, s14
	s_cbranch_execz .LBB49_5
; %bb.4:
	v_mov_b32_e32 v78, 0
	v_or_b32_e32 v4, 0x100, v76
	s_delay_alu instid0(VALU_DEP_2) | instskip(NEXT) | instid1(VALU_DEP_1)
	v_lshlrev_b64 v[0:1], 4, v[77:78]
	v_add_co_u32 v0, vcc_lo, s18, v0
	s_delay_alu instid0(VALU_DEP_2)
	v_add_co_ci_u32_e32 v1, vcc_lo, s19, v1, vcc_lo
	global_load_b128 v[0:3], v[0:1], off
.LBB49_5:
	s_or_b32 exec_lo, exec_lo, s0
	v_dual_mov_b32 v59, v57 :: v_dual_mov_b32 v58, v56
	s_mov_b32 s0, exec_lo
	v_cmpx_gt_i32_e64 s15, v4
	s_cbranch_execz .LBB49_7
; %bb.6:
	v_dual_mov_b32 v6, 0 :: v_dual_add_nc_u32 v5, s20, v4
	v_add_nc_u32_e32 v4, 0x100, v4
	s_delay_alu instid0(VALU_DEP_2) | instskip(NEXT) | instid1(VALU_DEP_1)
	v_lshlrev_b64 v[5:6], 4, v[5:6]
	v_add_co_u32 v5, vcc_lo, s18, v5
	s_delay_alu instid0(VALU_DEP_2)
	v_add_co_ci_u32_e32 v6, vcc_lo, s19, v6, vcc_lo
	global_load_b128 v[56:59], v[5:6], off
.LBB49_7:
	s_or_b32 exec_lo, exec_lo, s0
	v_mov_b32_e32 v44, 0
	v_mov_b32_e32 v45, 0
	s_mov_b32 s0, exec_lo
	s_delay_alu instid0(VALU_DEP_1)
	v_dual_mov_b32 v69, v45 :: v_dual_mov_b32 v68, v44
	v_dual_mov_b32 v71, v45 :: v_dual_mov_b32 v70, v44
	v_cmpx_gt_i32_e64 s15, v4
	s_cbranch_execz .LBB49_9
; %bb.8:
	v_dual_mov_b32 v6, 0 :: v_dual_add_nc_u32 v5, s20, v4
	v_add_nc_u32_e32 v4, 0x100, v4
	s_delay_alu instid0(VALU_DEP_2) | instskip(NEXT) | instid1(VALU_DEP_1)
	v_lshlrev_b64 v[5:6], 4, v[5:6]
	v_add_co_u32 v5, vcc_lo, s18, v5
	s_delay_alu instid0(VALU_DEP_2)
	v_add_co_ci_u32_e32 v6, vcc_lo, s19, v6, vcc_lo
	global_load_b128 v[68:71], v[5:6], off
.LBB49_9:
	s_or_b32 exec_lo, exec_lo, s0
	v_dual_mov_b32 v47, v45 :: v_dual_mov_b32 v46, v44
	s_mov_b32 s0, exec_lo
	v_cmpx_gt_i32_e64 s15, v4
	s_cbranch_execz .LBB49_11
; %bb.10:
	v_dual_mov_b32 v5, 0 :: v_dual_add_nc_u32 v4, s20, v4
	s_delay_alu instid0(VALU_DEP_1) | instskip(NEXT) | instid1(VALU_DEP_1)
	v_lshlrev_b64 v[4:5], 4, v[4:5]
	v_add_co_u32 v4, vcc_lo, s18, v4
	s_delay_alu instid0(VALU_DEP_2)
	v_add_co_ci_u32_e32 v5, vcc_lo, s19, v5, vcc_lo
	global_load_b128 v[44:47], v[4:5], off
.LBB49_11:
	s_or_b32 exec_lo, exec_lo, s0
	v_mov_b32_e32 v42, 0
	v_mov_b32_e32 v43, 0
	s_delay_alu instid0(VALU_DEP_1)
	v_dual_mov_b32 v63, v43 :: v_dual_mov_b32 v62, v42
	v_dual_mov_b32 v61, v43 :: v_dual_mov_b32 v60, v42
	s_and_saveexec_b32 s18, s14
	s_cbranch_execz .LBB49_13
; %bb.12:
	s_getpc_b64 s[0:1]
	s_add_u32 s0, s0, _ZZZZN2at6native15exp_kernel_cudaERNS_18TensorIteratorBaseEENKUlvE_clEvENKUlvE_clEvENKUlN3c107complexIdEEE_clES7_@rel32@lo+4
	s_addc_u32 s1, s1, _ZZZZN2at6native15exp_kernel_cudaERNS_18TensorIteratorBaseEENKUlvE_clEvENKUlvE_clEvENKUlN3c107complexIdEEE_clES7_@rel32@hi+12
	s_delay_alu instid0(SALU_CYCLE_1)
	s_swappc_b64 s[30:31], s[0:1]
	v_dual_mov_b32 v60, v0 :: v_dual_mov_b32 v61, v1
	v_dual_mov_b32 v62, v2 :: v_dual_mov_b32 v63, v3
.LBB49_13:
	s_or_b32 exec_lo, exec_lo, s18
	v_dual_mov_b32 v40, v42 :: v_dual_mov_b32 v41, v43
	s_mov_b32 s18, exec_lo
	v_cmpx_gt_i32_e64 s15, v79
	s_cbranch_execz .LBB49_15
; %bb.14:
	s_waitcnt vmcnt(0)
	v_dual_mov_b32 v0, v56 :: v_dual_mov_b32 v1, v57
	v_dual_mov_b32 v2, v58 :: v_dual_mov_b32 v3, v59
	s_getpc_b64 s[0:1]
	s_add_u32 s0, s0, _ZZZZN2at6native15exp_kernel_cudaERNS_18TensorIteratorBaseEENKUlvE_clEvENKUlvE_clEvENKUlN3c107complexIdEEE_clES7_@rel32@lo+4
	s_addc_u32 s1, s1, _ZZZZN2at6native15exp_kernel_cudaERNS_18TensorIteratorBaseEENKUlvE_clEvENKUlvE_clEvENKUlN3c107complexIdEEE_clES7_@rel32@hi+12
	s_delay_alu instid0(SALU_CYCLE_1)
	s_swappc_b64 s[30:31], s[0:1]
	v_dual_mov_b32 v40, v0 :: v_dual_mov_b32 v41, v1
	v_dual_mov_b32 v42, v2 :: v_dual_mov_b32 v43, v3
.LBB49_15:
	s_or_b32 exec_lo, exec_lo, s18
	s_waitcnt vmcnt(0)
	v_mov_b32_e32 v58, 0
	v_mov_b32_e32 v59, 0
	v_or_b32_e32 v0, 0x200, v76
	s_mov_b32 s18, exec_lo
	s_delay_alu instid0(VALU_DEP_2) | instskip(SKIP_1) | instid1(VALU_DEP_3)
	v_dual_mov_b32 v75, v59 :: v_dual_mov_b32 v74, v58
	v_dual_mov_b32 v73, v59 :: v_dual_mov_b32 v72, v58
	v_cmpx_gt_i32_e64 s15, v0
	s_cbranch_execz .LBB49_17
; %bb.16:
	v_dual_mov_b32 v0, v68 :: v_dual_mov_b32 v1, v69
	v_dual_mov_b32 v2, v70 :: v_dual_mov_b32 v3, v71
	s_getpc_b64 s[0:1]
	s_add_u32 s0, s0, _ZZZZN2at6native15exp_kernel_cudaERNS_18TensorIteratorBaseEENKUlvE_clEvENKUlvE_clEvENKUlN3c107complexIdEEE_clES7_@rel32@lo+4
	s_addc_u32 s1, s1, _ZZZZN2at6native15exp_kernel_cudaERNS_18TensorIteratorBaseEENKUlvE_clEvENKUlvE_clEvENKUlN3c107complexIdEEE_clES7_@rel32@hi+12
	s_delay_alu instid0(SALU_CYCLE_1)
	s_swappc_b64 s[30:31], s[0:1]
	v_dual_mov_b32 v72, v0 :: v_dual_mov_b32 v73, v1
	v_dual_mov_b32 v74, v2 :: v_dual_mov_b32 v75, v3
.LBB49_17:
	s_or_b32 exec_lo, exec_lo, s18
	v_or_b32_e32 v0, 0x300, v76
	v_dual_mov_b32 v56, v58 :: v_dual_mov_b32 v57, v59
	s_mov_b32 s18, exec_lo
	s_delay_alu instid0(VALU_DEP_2)
	v_cmpx_gt_i32_e64 s15, v0
	s_cbranch_execnz .LBB49_24
; %bb.18:
	s_or_b32 exec_lo, exec_lo, s18
	s_and_saveexec_b32 s0, s14
	s_delay_alu instid0(SALU_CYCLE_1)
	s_xor_b32 s0, exec_lo, s0
	s_cbranch_execnz .LBB49_25
.LBB49_19:
	s_or_b32 exec_lo, exec_lo, s0
	s_delay_alu instid0(SALU_CYCLE_1)
	s_mov_b32 s0, exec_lo
	v_cmpx_gt_i32_e64 s15, v76
	s_cbranch_execnz .LBB49_26
.LBB49_20:
	s_or_b32 exec_lo, exec_lo, s0
	s_delay_alu instid0(SALU_CYCLE_1)
	s_mov_b32 s0, exec_lo
	v_cmpx_gt_i32_e64 s15, v76
	s_cbranch_execnz .LBB49_27
.LBB49_21:
	s_or_b32 exec_lo, exec_lo, s0
	s_delay_alu instid0(SALU_CYCLE_1)
	s_mov_b32 s0, exec_lo
	v_cmpx_gt_i32_e64 s15, v76
	s_cbranch_execz .LBB49_23
.LBB49_22:
	v_dual_mov_b32 v1, 0 :: v_dual_add_nc_u32 v0, s20, v76
	s_delay_alu instid0(VALU_DEP_1) | instskip(NEXT) | instid1(VALU_DEP_1)
	v_lshlrev_b64 v[0:1], 4, v[0:1]
	v_add_co_u32 v0, vcc_lo, s16, v0
	s_delay_alu instid0(VALU_DEP_2)
	v_add_co_ci_u32_e32 v1, vcc_lo, s17, v1, vcc_lo
	global_store_b128 v[0:1], v[56:59], off
.LBB49_23:
	s_endpgm
.LBB49_24:
	v_dual_mov_b32 v0, v44 :: v_dual_mov_b32 v1, v45
	v_dual_mov_b32 v2, v46 :: v_dual_mov_b32 v3, v47
	s_getpc_b64 s[0:1]
	s_add_u32 s0, s0, _ZZZZN2at6native15exp_kernel_cudaERNS_18TensorIteratorBaseEENKUlvE_clEvENKUlvE_clEvENKUlN3c107complexIdEEE_clES7_@rel32@lo+4
	s_addc_u32 s1, s1, _ZZZZN2at6native15exp_kernel_cudaERNS_18TensorIteratorBaseEENKUlvE_clEvENKUlvE_clEvENKUlN3c107complexIdEEE_clES7_@rel32@hi+12
	s_delay_alu instid0(SALU_CYCLE_1) | instskip(SKIP_4) | instid1(SALU_CYCLE_1)
	s_swappc_b64 s[30:31], s[0:1]
	v_dual_mov_b32 v56, v0 :: v_dual_mov_b32 v57, v1
	v_dual_mov_b32 v58, v2 :: v_dual_mov_b32 v59, v3
	s_or_b32 exec_lo, exec_lo, s18
	s_and_saveexec_b32 s0, s14
	s_xor_b32 s0, exec_lo, s0
	s_cbranch_execz .LBB49_19
.LBB49_25:
	v_mov_b32_e32 v78, 0
	v_mov_b32_e32 v76, v79
	s_delay_alu instid0(VALU_DEP_2) | instskip(NEXT) | instid1(VALU_DEP_1)
	v_lshlrev_b64 v[0:1], 4, v[77:78]
	v_add_co_u32 v0, vcc_lo, s16, v0
	s_delay_alu instid0(VALU_DEP_2) | instskip(SKIP_2) | instid1(SALU_CYCLE_1)
	v_add_co_ci_u32_e32 v1, vcc_lo, s17, v1, vcc_lo
	global_store_b128 v[0:1], v[60:63], off
	s_or_b32 exec_lo, exec_lo, s0
	s_mov_b32 s0, exec_lo
	v_cmpx_gt_i32_e64 s15, v76
	s_cbranch_execz .LBB49_20
.LBB49_26:
	v_dual_mov_b32 v1, 0 :: v_dual_add_nc_u32 v0, s20, v76
	v_add_nc_u32_e32 v76, 0x100, v76
	s_delay_alu instid0(VALU_DEP_2) | instskip(NEXT) | instid1(VALU_DEP_1)
	v_lshlrev_b64 v[0:1], 4, v[0:1]
	v_add_co_u32 v0, vcc_lo, s16, v0
	s_delay_alu instid0(VALU_DEP_2) | instskip(SKIP_2) | instid1(SALU_CYCLE_1)
	v_add_co_ci_u32_e32 v1, vcc_lo, s17, v1, vcc_lo
	global_store_b128 v[0:1], v[40:43], off
	s_or_b32 exec_lo, exec_lo, s0
	s_mov_b32 s0, exec_lo
	v_cmpx_gt_i32_e64 s15, v76
	s_cbranch_execz .LBB49_21
.LBB49_27:
	v_dual_mov_b32 v1, 0 :: v_dual_add_nc_u32 v0, s20, v76
	v_add_nc_u32_e32 v76, 0x100, v76
	s_delay_alu instid0(VALU_DEP_2) | instskip(NEXT) | instid1(VALU_DEP_1)
	v_lshlrev_b64 v[0:1], 4, v[0:1]
	v_add_co_u32 v0, vcc_lo, s16, v0
	s_delay_alu instid0(VALU_DEP_2) | instskip(SKIP_2) | instid1(SALU_CYCLE_1)
	v_add_co_ci_u32_e32 v1, vcc_lo, s17, v1, vcc_lo
	global_store_b128 v[0:1], v[72:75], off
	s_or_b32 exec_lo, exec_lo, s0
	s_mov_b32 s0, exec_lo
	v_cmpx_gt_i32_e64 s15, v76
	s_cbranch_execnz .LBB49_22
	s_branch .LBB49_23
	.section	.rodata,"a",@progbits
	.p2align	6, 0x0
	.amdhsa_kernel _ZN2at6native29vectorized_elementwise_kernelILi16EZZZNS0_15exp_kernel_cudaERNS_18TensorIteratorBaseEENKUlvE_clEvENKUlvE_clEvEUlN3c107complexIdEEE_St5arrayIPcLm2EEEEviT0_T1_
		.amdhsa_group_segment_fixed_size 0
		.amdhsa_private_segment_fixed_size 0
		.amdhsa_kernarg_size 24
		.amdhsa_user_sgpr_count 15
		.amdhsa_user_sgpr_dispatch_ptr 0
		.amdhsa_user_sgpr_queue_ptr 0
		.amdhsa_user_sgpr_kernarg_segment_ptr 1
		.amdhsa_user_sgpr_dispatch_id 0
		.amdhsa_user_sgpr_private_segment_size 0
		.amdhsa_wavefront_size32 1
		.amdhsa_uses_dynamic_stack 0
		.amdhsa_enable_private_segment 0
		.amdhsa_system_sgpr_workgroup_id_x 1
		.amdhsa_system_sgpr_workgroup_id_y 0
		.amdhsa_system_sgpr_workgroup_id_z 0
		.amdhsa_system_sgpr_workgroup_info 0
		.amdhsa_system_vgpr_workitem_id 0
		.amdhsa_next_free_vgpr 80
		.amdhsa_next_free_sgpr 33
		.amdhsa_reserve_vcc 1
		.amdhsa_float_round_mode_32 0
		.amdhsa_float_round_mode_16_64 0
		.amdhsa_float_denorm_mode_32 3
		.amdhsa_float_denorm_mode_16_64 3
		.amdhsa_dx10_clamp 1
		.amdhsa_ieee_mode 1
		.amdhsa_fp16_overflow 0
		.amdhsa_workgroup_processor_mode 1
		.amdhsa_memory_ordered 1
		.amdhsa_forward_progress 0
		.amdhsa_shared_vgpr_count 0
		.amdhsa_exception_fp_ieee_invalid_op 0
		.amdhsa_exception_fp_denorm_src 0
		.amdhsa_exception_fp_ieee_div_zero 0
		.amdhsa_exception_fp_ieee_overflow 0
		.amdhsa_exception_fp_ieee_underflow 0
		.amdhsa_exception_fp_ieee_inexact 0
		.amdhsa_exception_int_div_zero 0
	.end_amdhsa_kernel
	.section	.text._ZN2at6native29vectorized_elementwise_kernelILi16EZZZNS0_15exp_kernel_cudaERNS_18TensorIteratorBaseEENKUlvE_clEvENKUlvE_clEvEUlN3c107complexIdEEE_St5arrayIPcLm2EEEEviT0_T1_,"axG",@progbits,_ZN2at6native29vectorized_elementwise_kernelILi16EZZZNS0_15exp_kernel_cudaERNS_18TensorIteratorBaseEENKUlvE_clEvENKUlvE_clEvEUlN3c107complexIdEEE_St5arrayIPcLm2EEEEviT0_T1_,comdat
.Lfunc_end49:
	.size	_ZN2at6native29vectorized_elementwise_kernelILi16EZZZNS0_15exp_kernel_cudaERNS_18TensorIteratorBaseEENKUlvE_clEvENKUlvE_clEvEUlN3c107complexIdEEE_St5arrayIPcLm2EEEEviT0_T1_, .Lfunc_end49-_ZN2at6native29vectorized_elementwise_kernelILi16EZZZNS0_15exp_kernel_cudaERNS_18TensorIteratorBaseEENKUlvE_clEvENKUlvE_clEvEUlN3c107complexIdEEE_St5arrayIPcLm2EEEEviT0_T1_
                                        ; -- End function
	.section	.AMDGPU.csdata,"",@progbits
; Kernel info:
; codeLenInByte = 1436
; NumSgprs: 35
; NumVgprs: 80
; ScratchSize: 0
; MemoryBound: 0
; FloatMode: 240
; IeeeMode: 1
; LDSByteSize: 0 bytes/workgroup (compile time only)
; SGPRBlocks: 4
; VGPRBlocks: 9
; NumSGPRsForWavesPerEU: 35
; NumVGPRsForWavesPerEU: 80
; Occupancy: 16
; WaveLimiterHint : 0
; COMPUTE_PGM_RSRC2:SCRATCH_EN: 0
; COMPUTE_PGM_RSRC2:USER_SGPR: 15
; COMPUTE_PGM_RSRC2:TRAP_HANDLER: 0
; COMPUTE_PGM_RSRC2:TGID_X_EN: 1
; COMPUTE_PGM_RSRC2:TGID_Y_EN: 0
; COMPUTE_PGM_RSRC2:TGID_Z_EN: 0
; COMPUTE_PGM_RSRC2:TIDIG_COMP_CNT: 0
	.section	.text._ZN2at6native29vectorized_elementwise_kernelILi8EZZZNS0_15exp_kernel_cudaERNS_18TensorIteratorBaseEENKUlvE_clEvENKUlvE_clEvEUlN3c107complexIdEEE_St5arrayIPcLm2EEEEviT0_T1_,"axG",@progbits,_ZN2at6native29vectorized_elementwise_kernelILi8EZZZNS0_15exp_kernel_cudaERNS_18TensorIteratorBaseEENKUlvE_clEvENKUlvE_clEvEUlN3c107complexIdEEE_St5arrayIPcLm2EEEEviT0_T1_,comdat
	.globl	_ZN2at6native29vectorized_elementwise_kernelILi8EZZZNS0_15exp_kernel_cudaERNS_18TensorIteratorBaseEENKUlvE_clEvENKUlvE_clEvEUlN3c107complexIdEEE_St5arrayIPcLm2EEEEviT0_T1_ ; -- Begin function _ZN2at6native29vectorized_elementwise_kernelILi8EZZZNS0_15exp_kernel_cudaERNS_18TensorIteratorBaseEENKUlvE_clEvENKUlvE_clEvEUlN3c107complexIdEEE_St5arrayIPcLm2EEEEviT0_T1_
	.p2align	8
	.type	_ZN2at6native29vectorized_elementwise_kernelILi8EZZZNS0_15exp_kernel_cudaERNS_18TensorIteratorBaseEENKUlvE_clEvENKUlvE_clEvEUlN3c107complexIdEEE_St5arrayIPcLm2EEEEviT0_T1_,@function
_ZN2at6native29vectorized_elementwise_kernelILi8EZZZNS0_15exp_kernel_cudaERNS_18TensorIteratorBaseEENKUlvE_clEvENKUlvE_clEvEUlN3c107complexIdEEE_St5arrayIPcLm2EEEEviT0_T1_: ; @_ZN2at6native29vectorized_elementwise_kernelILi8EZZZNS0_15exp_kernel_cudaERNS_18TensorIteratorBaseEENKUlvE_clEvENKUlvE_clEvEUlN3c107complexIdEEE_St5arrayIPcLm2EEEEviT0_T1_
; %bb.0:
	s_clause 0x1
	s_load_b32 s2, s[0:1], 0x0
	s_load_b128 s[16:19], s[0:1], 0x8
	s_lshl_b32 s20, s15, 10
	v_mov_b32_e32 v76, v0
	s_mov_b32 s0, -1
	s_mov_b32 s32, 0
	s_waitcnt lgkmcnt(0)
	s_sub_i32 s15, s2, s20
	s_delay_alu instid0(SALU_CYCLE_1)
	s_cmpk_gt_i32 s15, 0x3ff
	s_cbranch_scc0 .LBB50_2
; %bb.1:
	s_ashr_i32 s21, s20, 31
	v_lshlrev_b32_e32 v68, 6, v76
	s_lshl_b64 s[22:23], s[20:21], 4
	s_delay_alu instid0(SALU_CYCLE_1)
	s_add_u32 s0, s18, s22
	s_addc_u32 s1, s19, s23
	s_getpc_b64 s[24:25]
	s_add_u32 s24, s24, _ZZZZN2at6native15exp_kernel_cudaERNS_18TensorIteratorBaseEENKUlvE_clEvENKUlvE_clEvENKUlN3c107complexIdEEE_clES7_@rel32@lo+4
	s_addc_u32 s25, s25, _ZZZZN2at6native15exp_kernel_cudaERNS_18TensorIteratorBaseEENKUlvE_clEvENKUlvE_clEvENKUlN3c107complexIdEEE_clES7_@rel32@hi+12
	s_clause 0x3
	global_load_b128 v[0:3], v68, s[0:1]
	global_load_b128 v[40:43], v68, s[0:1] offset:16
	global_load_b128 v[44:47], v68, s[0:1] offset:48
	;; [unrolled: 1-line block ×3, first 2 shown]
	s_swappc_b64 s[30:31], s[24:25]
	v_dual_mov_b32 v60, v0 :: v_dual_mov_b32 v61, v1
	v_dual_mov_b32 v62, v2 :: v_dual_mov_b32 v63, v3
	;; [unrolled: 1-line block ×4, first 2 shown]
	s_swappc_b64 s[30:31], s[24:25]
	s_delay_alu instid0(VALU_DEP_2) | instskip(NEXT) | instid1(VALU_DEP_2)
	v_dual_mov_b32 v40, v0 :: v_dual_mov_b32 v41, v1
	v_dual_mov_b32 v42, v2 :: v_dual_mov_b32 v43, v3
	;; [unrolled: 1-line block ×4, first 2 shown]
	s_swappc_b64 s[30:31], s[24:25]
	s_delay_alu instid0(VALU_DEP_2) | instskip(NEXT) | instid1(VALU_DEP_2)
	v_dual_mov_b32 v56, v0 :: v_dual_mov_b32 v57, v1
	v_dual_mov_b32 v58, v2 :: v_dual_mov_b32 v59, v3
	;; [unrolled: 1-line block ×4, first 2 shown]
	s_swappc_b64 s[30:31], s[24:25]
	s_add_u32 s2, s16, s22
	s_addc_u32 s3, s17, s23
	s_mov_b32 s0, 0
	s_clause 0x3
	global_store_b128 v68, v[60:63], s[2:3]
	global_store_b128 v68, v[40:43], s[2:3] offset:16
	global_store_b128 v68, v[56:59], s[2:3] offset:32
	;; [unrolled: 1-line block ×3, first 2 shown]
.LBB50_2:
	s_and_not1_b32 vcc_lo, exec_lo, s0
	s_cbranch_vccnz .LBB50_23
; %bb.3:
	v_mov_b32_e32 v56, 0
	v_dual_mov_b32 v57, 0 :: v_dual_mov_b32 v4, v76
	v_cmp_gt_i32_e64 s14, s15, v76
	v_or_b32_e32 v77, s20, v76
	v_or_b32_e32 v79, 0x100, v76
	s_delay_alu instid0(VALU_DEP_4)
	v_dual_mov_b32 v0, v56 :: v_dual_mov_b32 v1, v57
	v_dual_mov_b32 v2, v56 :: v_dual_mov_b32 v3, v57
	s_and_saveexec_b32 s0, s14
	s_cbranch_execz .LBB50_5
; %bb.4:
	v_mov_b32_e32 v78, 0
	v_or_b32_e32 v4, 0x100, v76
	s_delay_alu instid0(VALU_DEP_2) | instskip(NEXT) | instid1(VALU_DEP_1)
	v_lshlrev_b64 v[0:1], 4, v[77:78]
	v_add_co_u32 v0, vcc_lo, s18, v0
	s_delay_alu instid0(VALU_DEP_2)
	v_add_co_ci_u32_e32 v1, vcc_lo, s19, v1, vcc_lo
	global_load_b128 v[0:3], v[0:1], off
.LBB50_5:
	s_or_b32 exec_lo, exec_lo, s0
	v_dual_mov_b32 v59, v57 :: v_dual_mov_b32 v58, v56
	s_mov_b32 s0, exec_lo
	v_cmpx_gt_i32_e64 s15, v4
	s_cbranch_execz .LBB50_7
; %bb.6:
	v_dual_mov_b32 v6, 0 :: v_dual_add_nc_u32 v5, s20, v4
	v_add_nc_u32_e32 v4, 0x100, v4
	s_delay_alu instid0(VALU_DEP_2) | instskip(NEXT) | instid1(VALU_DEP_1)
	v_lshlrev_b64 v[5:6], 4, v[5:6]
	v_add_co_u32 v5, vcc_lo, s18, v5
	s_delay_alu instid0(VALU_DEP_2)
	v_add_co_ci_u32_e32 v6, vcc_lo, s19, v6, vcc_lo
	global_load_b128 v[56:59], v[5:6], off
.LBB50_7:
	s_or_b32 exec_lo, exec_lo, s0
	v_mov_b32_e32 v44, 0
	v_mov_b32_e32 v45, 0
	s_mov_b32 s0, exec_lo
	s_delay_alu instid0(VALU_DEP_1)
	v_dual_mov_b32 v69, v45 :: v_dual_mov_b32 v68, v44
	v_dual_mov_b32 v71, v45 :: v_dual_mov_b32 v70, v44
	v_cmpx_gt_i32_e64 s15, v4
	s_cbranch_execz .LBB50_9
; %bb.8:
	v_dual_mov_b32 v6, 0 :: v_dual_add_nc_u32 v5, s20, v4
	v_add_nc_u32_e32 v4, 0x100, v4
	s_delay_alu instid0(VALU_DEP_2) | instskip(NEXT) | instid1(VALU_DEP_1)
	v_lshlrev_b64 v[5:6], 4, v[5:6]
	v_add_co_u32 v5, vcc_lo, s18, v5
	s_delay_alu instid0(VALU_DEP_2)
	v_add_co_ci_u32_e32 v6, vcc_lo, s19, v6, vcc_lo
	global_load_b128 v[68:71], v[5:6], off
.LBB50_9:
	s_or_b32 exec_lo, exec_lo, s0
	v_dual_mov_b32 v47, v45 :: v_dual_mov_b32 v46, v44
	s_mov_b32 s0, exec_lo
	v_cmpx_gt_i32_e64 s15, v4
	s_cbranch_execz .LBB50_11
; %bb.10:
	v_dual_mov_b32 v5, 0 :: v_dual_add_nc_u32 v4, s20, v4
	s_delay_alu instid0(VALU_DEP_1) | instskip(NEXT) | instid1(VALU_DEP_1)
	v_lshlrev_b64 v[4:5], 4, v[4:5]
	v_add_co_u32 v4, vcc_lo, s18, v4
	s_delay_alu instid0(VALU_DEP_2)
	v_add_co_ci_u32_e32 v5, vcc_lo, s19, v5, vcc_lo
	global_load_b128 v[44:47], v[4:5], off
.LBB50_11:
	s_or_b32 exec_lo, exec_lo, s0
	v_mov_b32_e32 v42, 0
	v_mov_b32_e32 v43, 0
	s_delay_alu instid0(VALU_DEP_1)
	v_dual_mov_b32 v63, v43 :: v_dual_mov_b32 v62, v42
	v_dual_mov_b32 v61, v43 :: v_dual_mov_b32 v60, v42
	s_and_saveexec_b32 s18, s14
	s_cbranch_execz .LBB50_13
; %bb.12:
	s_getpc_b64 s[0:1]
	s_add_u32 s0, s0, _ZZZZN2at6native15exp_kernel_cudaERNS_18TensorIteratorBaseEENKUlvE_clEvENKUlvE_clEvENKUlN3c107complexIdEEE_clES7_@rel32@lo+4
	s_addc_u32 s1, s1, _ZZZZN2at6native15exp_kernel_cudaERNS_18TensorIteratorBaseEENKUlvE_clEvENKUlvE_clEvENKUlN3c107complexIdEEE_clES7_@rel32@hi+12
	s_delay_alu instid0(SALU_CYCLE_1)
	s_swappc_b64 s[30:31], s[0:1]
	v_dual_mov_b32 v60, v0 :: v_dual_mov_b32 v61, v1
	v_dual_mov_b32 v62, v2 :: v_dual_mov_b32 v63, v3
.LBB50_13:
	s_or_b32 exec_lo, exec_lo, s18
	v_dual_mov_b32 v40, v42 :: v_dual_mov_b32 v41, v43
	s_mov_b32 s18, exec_lo
	v_cmpx_gt_i32_e64 s15, v79
	s_cbranch_execz .LBB50_15
; %bb.14:
	s_waitcnt vmcnt(0)
	v_dual_mov_b32 v0, v56 :: v_dual_mov_b32 v1, v57
	v_dual_mov_b32 v2, v58 :: v_dual_mov_b32 v3, v59
	s_getpc_b64 s[0:1]
	s_add_u32 s0, s0, _ZZZZN2at6native15exp_kernel_cudaERNS_18TensorIteratorBaseEENKUlvE_clEvENKUlvE_clEvENKUlN3c107complexIdEEE_clES7_@rel32@lo+4
	s_addc_u32 s1, s1, _ZZZZN2at6native15exp_kernel_cudaERNS_18TensorIteratorBaseEENKUlvE_clEvENKUlvE_clEvENKUlN3c107complexIdEEE_clES7_@rel32@hi+12
	s_delay_alu instid0(SALU_CYCLE_1)
	s_swappc_b64 s[30:31], s[0:1]
	v_dual_mov_b32 v40, v0 :: v_dual_mov_b32 v41, v1
	v_dual_mov_b32 v42, v2 :: v_dual_mov_b32 v43, v3
.LBB50_15:
	s_or_b32 exec_lo, exec_lo, s18
	s_waitcnt vmcnt(0)
	v_mov_b32_e32 v58, 0
	v_mov_b32_e32 v59, 0
	v_or_b32_e32 v0, 0x200, v76
	s_mov_b32 s18, exec_lo
	s_delay_alu instid0(VALU_DEP_2) | instskip(SKIP_1) | instid1(VALU_DEP_3)
	v_dual_mov_b32 v75, v59 :: v_dual_mov_b32 v74, v58
	v_dual_mov_b32 v73, v59 :: v_dual_mov_b32 v72, v58
	v_cmpx_gt_i32_e64 s15, v0
	s_cbranch_execz .LBB50_17
; %bb.16:
	v_dual_mov_b32 v0, v68 :: v_dual_mov_b32 v1, v69
	v_dual_mov_b32 v2, v70 :: v_dual_mov_b32 v3, v71
	s_getpc_b64 s[0:1]
	s_add_u32 s0, s0, _ZZZZN2at6native15exp_kernel_cudaERNS_18TensorIteratorBaseEENKUlvE_clEvENKUlvE_clEvENKUlN3c107complexIdEEE_clES7_@rel32@lo+4
	s_addc_u32 s1, s1, _ZZZZN2at6native15exp_kernel_cudaERNS_18TensorIteratorBaseEENKUlvE_clEvENKUlvE_clEvENKUlN3c107complexIdEEE_clES7_@rel32@hi+12
	s_delay_alu instid0(SALU_CYCLE_1)
	s_swappc_b64 s[30:31], s[0:1]
	v_dual_mov_b32 v72, v0 :: v_dual_mov_b32 v73, v1
	v_dual_mov_b32 v74, v2 :: v_dual_mov_b32 v75, v3
.LBB50_17:
	s_or_b32 exec_lo, exec_lo, s18
	v_or_b32_e32 v0, 0x300, v76
	v_dual_mov_b32 v56, v58 :: v_dual_mov_b32 v57, v59
	s_mov_b32 s18, exec_lo
	s_delay_alu instid0(VALU_DEP_2)
	v_cmpx_gt_i32_e64 s15, v0
	s_cbranch_execnz .LBB50_24
; %bb.18:
	s_or_b32 exec_lo, exec_lo, s18
	s_and_saveexec_b32 s0, s14
	s_delay_alu instid0(SALU_CYCLE_1)
	s_xor_b32 s0, exec_lo, s0
	s_cbranch_execnz .LBB50_25
.LBB50_19:
	s_or_b32 exec_lo, exec_lo, s0
	s_delay_alu instid0(SALU_CYCLE_1)
	s_mov_b32 s0, exec_lo
	v_cmpx_gt_i32_e64 s15, v76
	s_cbranch_execnz .LBB50_26
.LBB50_20:
	s_or_b32 exec_lo, exec_lo, s0
	s_delay_alu instid0(SALU_CYCLE_1)
	s_mov_b32 s0, exec_lo
	v_cmpx_gt_i32_e64 s15, v76
	s_cbranch_execnz .LBB50_27
.LBB50_21:
	s_or_b32 exec_lo, exec_lo, s0
	s_delay_alu instid0(SALU_CYCLE_1)
	s_mov_b32 s0, exec_lo
	v_cmpx_gt_i32_e64 s15, v76
	s_cbranch_execz .LBB50_23
.LBB50_22:
	v_dual_mov_b32 v1, 0 :: v_dual_add_nc_u32 v0, s20, v76
	s_delay_alu instid0(VALU_DEP_1) | instskip(NEXT) | instid1(VALU_DEP_1)
	v_lshlrev_b64 v[0:1], 4, v[0:1]
	v_add_co_u32 v0, vcc_lo, s16, v0
	s_delay_alu instid0(VALU_DEP_2)
	v_add_co_ci_u32_e32 v1, vcc_lo, s17, v1, vcc_lo
	global_store_b128 v[0:1], v[56:59], off
.LBB50_23:
	s_endpgm
.LBB50_24:
	v_dual_mov_b32 v0, v44 :: v_dual_mov_b32 v1, v45
	v_dual_mov_b32 v2, v46 :: v_dual_mov_b32 v3, v47
	s_getpc_b64 s[0:1]
	s_add_u32 s0, s0, _ZZZZN2at6native15exp_kernel_cudaERNS_18TensorIteratorBaseEENKUlvE_clEvENKUlvE_clEvENKUlN3c107complexIdEEE_clES7_@rel32@lo+4
	s_addc_u32 s1, s1, _ZZZZN2at6native15exp_kernel_cudaERNS_18TensorIteratorBaseEENKUlvE_clEvENKUlvE_clEvENKUlN3c107complexIdEEE_clES7_@rel32@hi+12
	s_delay_alu instid0(SALU_CYCLE_1) | instskip(SKIP_4) | instid1(SALU_CYCLE_1)
	s_swappc_b64 s[30:31], s[0:1]
	v_dual_mov_b32 v56, v0 :: v_dual_mov_b32 v57, v1
	v_dual_mov_b32 v58, v2 :: v_dual_mov_b32 v59, v3
	s_or_b32 exec_lo, exec_lo, s18
	s_and_saveexec_b32 s0, s14
	s_xor_b32 s0, exec_lo, s0
	s_cbranch_execz .LBB50_19
.LBB50_25:
	v_mov_b32_e32 v78, 0
	v_mov_b32_e32 v76, v79
	s_delay_alu instid0(VALU_DEP_2) | instskip(NEXT) | instid1(VALU_DEP_1)
	v_lshlrev_b64 v[0:1], 4, v[77:78]
	v_add_co_u32 v0, vcc_lo, s16, v0
	s_delay_alu instid0(VALU_DEP_2) | instskip(SKIP_2) | instid1(SALU_CYCLE_1)
	v_add_co_ci_u32_e32 v1, vcc_lo, s17, v1, vcc_lo
	global_store_b128 v[0:1], v[60:63], off
	s_or_b32 exec_lo, exec_lo, s0
	s_mov_b32 s0, exec_lo
	v_cmpx_gt_i32_e64 s15, v76
	s_cbranch_execz .LBB50_20
.LBB50_26:
	v_dual_mov_b32 v1, 0 :: v_dual_add_nc_u32 v0, s20, v76
	v_add_nc_u32_e32 v76, 0x100, v76
	s_delay_alu instid0(VALU_DEP_2) | instskip(NEXT) | instid1(VALU_DEP_1)
	v_lshlrev_b64 v[0:1], 4, v[0:1]
	v_add_co_u32 v0, vcc_lo, s16, v0
	s_delay_alu instid0(VALU_DEP_2) | instskip(SKIP_2) | instid1(SALU_CYCLE_1)
	v_add_co_ci_u32_e32 v1, vcc_lo, s17, v1, vcc_lo
	global_store_b128 v[0:1], v[40:43], off
	s_or_b32 exec_lo, exec_lo, s0
	s_mov_b32 s0, exec_lo
	v_cmpx_gt_i32_e64 s15, v76
	s_cbranch_execz .LBB50_21
.LBB50_27:
	v_dual_mov_b32 v1, 0 :: v_dual_add_nc_u32 v0, s20, v76
	v_add_nc_u32_e32 v76, 0x100, v76
	s_delay_alu instid0(VALU_DEP_2) | instskip(NEXT) | instid1(VALU_DEP_1)
	v_lshlrev_b64 v[0:1], 4, v[0:1]
	v_add_co_u32 v0, vcc_lo, s16, v0
	s_delay_alu instid0(VALU_DEP_2) | instskip(SKIP_2) | instid1(SALU_CYCLE_1)
	v_add_co_ci_u32_e32 v1, vcc_lo, s17, v1, vcc_lo
	global_store_b128 v[0:1], v[72:75], off
	s_or_b32 exec_lo, exec_lo, s0
	s_mov_b32 s0, exec_lo
	v_cmpx_gt_i32_e64 s15, v76
	s_cbranch_execnz .LBB50_22
	s_branch .LBB50_23
	.section	.rodata,"a",@progbits
	.p2align	6, 0x0
	.amdhsa_kernel _ZN2at6native29vectorized_elementwise_kernelILi8EZZZNS0_15exp_kernel_cudaERNS_18TensorIteratorBaseEENKUlvE_clEvENKUlvE_clEvEUlN3c107complexIdEEE_St5arrayIPcLm2EEEEviT0_T1_
		.amdhsa_group_segment_fixed_size 0
		.amdhsa_private_segment_fixed_size 0
		.amdhsa_kernarg_size 24
		.amdhsa_user_sgpr_count 15
		.amdhsa_user_sgpr_dispatch_ptr 0
		.amdhsa_user_sgpr_queue_ptr 0
		.amdhsa_user_sgpr_kernarg_segment_ptr 1
		.amdhsa_user_sgpr_dispatch_id 0
		.amdhsa_user_sgpr_private_segment_size 0
		.amdhsa_wavefront_size32 1
		.amdhsa_uses_dynamic_stack 0
		.amdhsa_enable_private_segment 0
		.amdhsa_system_sgpr_workgroup_id_x 1
		.amdhsa_system_sgpr_workgroup_id_y 0
		.amdhsa_system_sgpr_workgroup_id_z 0
		.amdhsa_system_sgpr_workgroup_info 0
		.amdhsa_system_vgpr_workitem_id 0
		.amdhsa_next_free_vgpr 80
		.amdhsa_next_free_sgpr 33
		.amdhsa_reserve_vcc 1
		.amdhsa_float_round_mode_32 0
		.amdhsa_float_round_mode_16_64 0
		.amdhsa_float_denorm_mode_32 3
		.amdhsa_float_denorm_mode_16_64 3
		.amdhsa_dx10_clamp 1
		.amdhsa_ieee_mode 1
		.amdhsa_fp16_overflow 0
		.amdhsa_workgroup_processor_mode 1
		.amdhsa_memory_ordered 1
		.amdhsa_forward_progress 0
		.amdhsa_shared_vgpr_count 0
		.amdhsa_exception_fp_ieee_invalid_op 0
		.amdhsa_exception_fp_denorm_src 0
		.amdhsa_exception_fp_ieee_div_zero 0
		.amdhsa_exception_fp_ieee_overflow 0
		.amdhsa_exception_fp_ieee_underflow 0
		.amdhsa_exception_fp_ieee_inexact 0
		.amdhsa_exception_int_div_zero 0
	.end_amdhsa_kernel
	.section	.text._ZN2at6native29vectorized_elementwise_kernelILi8EZZZNS0_15exp_kernel_cudaERNS_18TensorIteratorBaseEENKUlvE_clEvENKUlvE_clEvEUlN3c107complexIdEEE_St5arrayIPcLm2EEEEviT0_T1_,"axG",@progbits,_ZN2at6native29vectorized_elementwise_kernelILi8EZZZNS0_15exp_kernel_cudaERNS_18TensorIteratorBaseEENKUlvE_clEvENKUlvE_clEvEUlN3c107complexIdEEE_St5arrayIPcLm2EEEEviT0_T1_,comdat
.Lfunc_end50:
	.size	_ZN2at6native29vectorized_elementwise_kernelILi8EZZZNS0_15exp_kernel_cudaERNS_18TensorIteratorBaseEENKUlvE_clEvENKUlvE_clEvEUlN3c107complexIdEEE_St5arrayIPcLm2EEEEviT0_T1_, .Lfunc_end50-_ZN2at6native29vectorized_elementwise_kernelILi8EZZZNS0_15exp_kernel_cudaERNS_18TensorIteratorBaseEENKUlvE_clEvENKUlvE_clEvEUlN3c107complexIdEEE_St5arrayIPcLm2EEEEviT0_T1_
                                        ; -- End function
	.section	.AMDGPU.csdata,"",@progbits
; Kernel info:
; codeLenInByte = 1436
; NumSgprs: 35
; NumVgprs: 80
; ScratchSize: 0
; MemoryBound: 0
; FloatMode: 240
; IeeeMode: 1
; LDSByteSize: 0 bytes/workgroup (compile time only)
; SGPRBlocks: 4
; VGPRBlocks: 9
; NumSGPRsForWavesPerEU: 35
; NumVGPRsForWavesPerEU: 80
; Occupancy: 16
; WaveLimiterHint : 0
; COMPUTE_PGM_RSRC2:SCRATCH_EN: 0
; COMPUTE_PGM_RSRC2:USER_SGPR: 15
; COMPUTE_PGM_RSRC2:TRAP_HANDLER: 0
; COMPUTE_PGM_RSRC2:TGID_X_EN: 1
; COMPUTE_PGM_RSRC2:TGID_Y_EN: 0
; COMPUTE_PGM_RSRC2:TGID_Z_EN: 0
; COMPUTE_PGM_RSRC2:TIDIG_COMP_CNT: 0
	.section	.text._ZN2at6native29vectorized_elementwise_kernelILi4EZZZNS0_15exp_kernel_cudaERNS_18TensorIteratorBaseEENKUlvE_clEvENKUlvE_clEvEUlN3c107complexIdEEE_St5arrayIPcLm2EEEEviT0_T1_,"axG",@progbits,_ZN2at6native29vectorized_elementwise_kernelILi4EZZZNS0_15exp_kernel_cudaERNS_18TensorIteratorBaseEENKUlvE_clEvENKUlvE_clEvEUlN3c107complexIdEEE_St5arrayIPcLm2EEEEviT0_T1_,comdat
	.globl	_ZN2at6native29vectorized_elementwise_kernelILi4EZZZNS0_15exp_kernel_cudaERNS_18TensorIteratorBaseEENKUlvE_clEvENKUlvE_clEvEUlN3c107complexIdEEE_St5arrayIPcLm2EEEEviT0_T1_ ; -- Begin function _ZN2at6native29vectorized_elementwise_kernelILi4EZZZNS0_15exp_kernel_cudaERNS_18TensorIteratorBaseEENKUlvE_clEvENKUlvE_clEvEUlN3c107complexIdEEE_St5arrayIPcLm2EEEEviT0_T1_
	.p2align	8
	.type	_ZN2at6native29vectorized_elementwise_kernelILi4EZZZNS0_15exp_kernel_cudaERNS_18TensorIteratorBaseEENKUlvE_clEvENKUlvE_clEvEUlN3c107complexIdEEE_St5arrayIPcLm2EEEEviT0_T1_,@function
_ZN2at6native29vectorized_elementwise_kernelILi4EZZZNS0_15exp_kernel_cudaERNS_18TensorIteratorBaseEENKUlvE_clEvENKUlvE_clEvEUlN3c107complexIdEEE_St5arrayIPcLm2EEEEviT0_T1_: ; @_ZN2at6native29vectorized_elementwise_kernelILi4EZZZNS0_15exp_kernel_cudaERNS_18TensorIteratorBaseEENKUlvE_clEvENKUlvE_clEvEUlN3c107complexIdEEE_St5arrayIPcLm2EEEEviT0_T1_
; %bb.0:
	s_clause 0x1
	s_load_b32 s2, s[0:1], 0x0
	s_load_b128 s[16:19], s[0:1], 0x8
	s_lshl_b32 s20, s15, 10
	v_mov_b32_e32 v76, v0
	s_mov_b32 s0, -1
	s_mov_b32 s32, 0
	s_waitcnt lgkmcnt(0)
	s_sub_i32 s15, s2, s20
	s_delay_alu instid0(SALU_CYCLE_1)
	s_cmpk_gt_i32 s15, 0x3ff
	s_cbranch_scc0 .LBB51_2
; %bb.1:
	s_ashr_i32 s21, s20, 31
	v_lshlrev_b32_e32 v68, 6, v76
	s_lshl_b64 s[22:23], s[20:21], 4
	s_delay_alu instid0(SALU_CYCLE_1)
	s_add_u32 s0, s18, s22
	s_addc_u32 s1, s19, s23
	s_getpc_b64 s[24:25]
	s_add_u32 s24, s24, _ZZZZN2at6native15exp_kernel_cudaERNS_18TensorIteratorBaseEENKUlvE_clEvENKUlvE_clEvENKUlN3c107complexIdEEE_clES7_@rel32@lo+4
	s_addc_u32 s25, s25, _ZZZZN2at6native15exp_kernel_cudaERNS_18TensorIteratorBaseEENKUlvE_clEvENKUlvE_clEvENKUlN3c107complexIdEEE_clES7_@rel32@hi+12
	s_clause 0x3
	global_load_b128 v[0:3], v68, s[0:1]
	global_load_b128 v[40:43], v68, s[0:1] offset:16
	global_load_b128 v[44:47], v68, s[0:1] offset:48
	;; [unrolled: 1-line block ×3, first 2 shown]
	s_swappc_b64 s[30:31], s[24:25]
	v_dual_mov_b32 v60, v0 :: v_dual_mov_b32 v61, v1
	v_dual_mov_b32 v62, v2 :: v_dual_mov_b32 v63, v3
	;; [unrolled: 1-line block ×4, first 2 shown]
	s_swappc_b64 s[30:31], s[24:25]
	s_delay_alu instid0(VALU_DEP_2) | instskip(NEXT) | instid1(VALU_DEP_2)
	v_dual_mov_b32 v40, v0 :: v_dual_mov_b32 v41, v1
	v_dual_mov_b32 v42, v2 :: v_dual_mov_b32 v43, v3
	;; [unrolled: 1-line block ×4, first 2 shown]
	s_swappc_b64 s[30:31], s[24:25]
	s_delay_alu instid0(VALU_DEP_2) | instskip(NEXT) | instid1(VALU_DEP_2)
	v_dual_mov_b32 v56, v0 :: v_dual_mov_b32 v57, v1
	v_dual_mov_b32 v58, v2 :: v_dual_mov_b32 v59, v3
	;; [unrolled: 1-line block ×4, first 2 shown]
	s_swappc_b64 s[30:31], s[24:25]
	s_add_u32 s2, s16, s22
	s_addc_u32 s3, s17, s23
	s_mov_b32 s0, 0
	s_clause 0x3
	global_store_b128 v68, v[60:63], s[2:3]
	global_store_b128 v68, v[40:43], s[2:3] offset:16
	global_store_b128 v68, v[56:59], s[2:3] offset:32
	;; [unrolled: 1-line block ×3, first 2 shown]
.LBB51_2:
	s_and_not1_b32 vcc_lo, exec_lo, s0
	s_cbranch_vccnz .LBB51_23
; %bb.3:
	v_mov_b32_e32 v56, 0
	v_dual_mov_b32 v57, 0 :: v_dual_mov_b32 v4, v76
	v_cmp_gt_i32_e64 s14, s15, v76
	v_or_b32_e32 v77, s20, v76
	v_or_b32_e32 v79, 0x100, v76
	s_delay_alu instid0(VALU_DEP_4)
	v_dual_mov_b32 v0, v56 :: v_dual_mov_b32 v1, v57
	v_dual_mov_b32 v2, v56 :: v_dual_mov_b32 v3, v57
	s_and_saveexec_b32 s0, s14
	s_cbranch_execz .LBB51_5
; %bb.4:
	v_mov_b32_e32 v78, 0
	v_or_b32_e32 v4, 0x100, v76
	s_delay_alu instid0(VALU_DEP_2) | instskip(NEXT) | instid1(VALU_DEP_1)
	v_lshlrev_b64 v[0:1], 4, v[77:78]
	v_add_co_u32 v0, vcc_lo, s18, v0
	s_delay_alu instid0(VALU_DEP_2)
	v_add_co_ci_u32_e32 v1, vcc_lo, s19, v1, vcc_lo
	global_load_b128 v[0:3], v[0:1], off
.LBB51_5:
	s_or_b32 exec_lo, exec_lo, s0
	v_dual_mov_b32 v59, v57 :: v_dual_mov_b32 v58, v56
	s_mov_b32 s0, exec_lo
	v_cmpx_gt_i32_e64 s15, v4
	s_cbranch_execz .LBB51_7
; %bb.6:
	v_dual_mov_b32 v6, 0 :: v_dual_add_nc_u32 v5, s20, v4
	v_add_nc_u32_e32 v4, 0x100, v4
	s_delay_alu instid0(VALU_DEP_2) | instskip(NEXT) | instid1(VALU_DEP_1)
	v_lshlrev_b64 v[5:6], 4, v[5:6]
	v_add_co_u32 v5, vcc_lo, s18, v5
	s_delay_alu instid0(VALU_DEP_2)
	v_add_co_ci_u32_e32 v6, vcc_lo, s19, v6, vcc_lo
	global_load_b128 v[56:59], v[5:6], off
.LBB51_7:
	s_or_b32 exec_lo, exec_lo, s0
	v_mov_b32_e32 v44, 0
	v_mov_b32_e32 v45, 0
	s_mov_b32 s0, exec_lo
	s_delay_alu instid0(VALU_DEP_1)
	v_dual_mov_b32 v69, v45 :: v_dual_mov_b32 v68, v44
	v_dual_mov_b32 v71, v45 :: v_dual_mov_b32 v70, v44
	v_cmpx_gt_i32_e64 s15, v4
	s_cbranch_execz .LBB51_9
; %bb.8:
	v_dual_mov_b32 v6, 0 :: v_dual_add_nc_u32 v5, s20, v4
	v_add_nc_u32_e32 v4, 0x100, v4
	s_delay_alu instid0(VALU_DEP_2) | instskip(NEXT) | instid1(VALU_DEP_1)
	v_lshlrev_b64 v[5:6], 4, v[5:6]
	v_add_co_u32 v5, vcc_lo, s18, v5
	s_delay_alu instid0(VALU_DEP_2)
	v_add_co_ci_u32_e32 v6, vcc_lo, s19, v6, vcc_lo
	global_load_b128 v[68:71], v[5:6], off
.LBB51_9:
	s_or_b32 exec_lo, exec_lo, s0
	v_dual_mov_b32 v47, v45 :: v_dual_mov_b32 v46, v44
	s_mov_b32 s0, exec_lo
	v_cmpx_gt_i32_e64 s15, v4
	s_cbranch_execz .LBB51_11
; %bb.10:
	v_dual_mov_b32 v5, 0 :: v_dual_add_nc_u32 v4, s20, v4
	s_delay_alu instid0(VALU_DEP_1) | instskip(NEXT) | instid1(VALU_DEP_1)
	v_lshlrev_b64 v[4:5], 4, v[4:5]
	v_add_co_u32 v4, vcc_lo, s18, v4
	s_delay_alu instid0(VALU_DEP_2)
	v_add_co_ci_u32_e32 v5, vcc_lo, s19, v5, vcc_lo
	global_load_b128 v[44:47], v[4:5], off
.LBB51_11:
	s_or_b32 exec_lo, exec_lo, s0
	v_mov_b32_e32 v42, 0
	v_mov_b32_e32 v43, 0
	s_delay_alu instid0(VALU_DEP_1)
	v_dual_mov_b32 v63, v43 :: v_dual_mov_b32 v62, v42
	v_dual_mov_b32 v61, v43 :: v_dual_mov_b32 v60, v42
	s_and_saveexec_b32 s18, s14
	s_cbranch_execz .LBB51_13
; %bb.12:
	s_getpc_b64 s[0:1]
	s_add_u32 s0, s0, _ZZZZN2at6native15exp_kernel_cudaERNS_18TensorIteratorBaseEENKUlvE_clEvENKUlvE_clEvENKUlN3c107complexIdEEE_clES7_@rel32@lo+4
	s_addc_u32 s1, s1, _ZZZZN2at6native15exp_kernel_cudaERNS_18TensorIteratorBaseEENKUlvE_clEvENKUlvE_clEvENKUlN3c107complexIdEEE_clES7_@rel32@hi+12
	s_delay_alu instid0(SALU_CYCLE_1)
	s_swappc_b64 s[30:31], s[0:1]
	v_dual_mov_b32 v60, v0 :: v_dual_mov_b32 v61, v1
	v_dual_mov_b32 v62, v2 :: v_dual_mov_b32 v63, v3
.LBB51_13:
	s_or_b32 exec_lo, exec_lo, s18
	v_dual_mov_b32 v40, v42 :: v_dual_mov_b32 v41, v43
	s_mov_b32 s18, exec_lo
	v_cmpx_gt_i32_e64 s15, v79
	s_cbranch_execz .LBB51_15
; %bb.14:
	s_waitcnt vmcnt(0)
	v_dual_mov_b32 v0, v56 :: v_dual_mov_b32 v1, v57
	v_dual_mov_b32 v2, v58 :: v_dual_mov_b32 v3, v59
	s_getpc_b64 s[0:1]
	s_add_u32 s0, s0, _ZZZZN2at6native15exp_kernel_cudaERNS_18TensorIteratorBaseEENKUlvE_clEvENKUlvE_clEvENKUlN3c107complexIdEEE_clES7_@rel32@lo+4
	s_addc_u32 s1, s1, _ZZZZN2at6native15exp_kernel_cudaERNS_18TensorIteratorBaseEENKUlvE_clEvENKUlvE_clEvENKUlN3c107complexIdEEE_clES7_@rel32@hi+12
	s_delay_alu instid0(SALU_CYCLE_1)
	s_swappc_b64 s[30:31], s[0:1]
	v_dual_mov_b32 v40, v0 :: v_dual_mov_b32 v41, v1
	v_dual_mov_b32 v42, v2 :: v_dual_mov_b32 v43, v3
.LBB51_15:
	s_or_b32 exec_lo, exec_lo, s18
	s_waitcnt vmcnt(0)
	v_mov_b32_e32 v58, 0
	v_mov_b32_e32 v59, 0
	v_or_b32_e32 v0, 0x200, v76
	s_mov_b32 s18, exec_lo
	s_delay_alu instid0(VALU_DEP_2) | instskip(SKIP_1) | instid1(VALU_DEP_3)
	v_dual_mov_b32 v75, v59 :: v_dual_mov_b32 v74, v58
	v_dual_mov_b32 v73, v59 :: v_dual_mov_b32 v72, v58
	v_cmpx_gt_i32_e64 s15, v0
	s_cbranch_execz .LBB51_17
; %bb.16:
	v_dual_mov_b32 v0, v68 :: v_dual_mov_b32 v1, v69
	v_dual_mov_b32 v2, v70 :: v_dual_mov_b32 v3, v71
	s_getpc_b64 s[0:1]
	s_add_u32 s0, s0, _ZZZZN2at6native15exp_kernel_cudaERNS_18TensorIteratorBaseEENKUlvE_clEvENKUlvE_clEvENKUlN3c107complexIdEEE_clES7_@rel32@lo+4
	s_addc_u32 s1, s1, _ZZZZN2at6native15exp_kernel_cudaERNS_18TensorIteratorBaseEENKUlvE_clEvENKUlvE_clEvENKUlN3c107complexIdEEE_clES7_@rel32@hi+12
	s_delay_alu instid0(SALU_CYCLE_1)
	s_swappc_b64 s[30:31], s[0:1]
	v_dual_mov_b32 v72, v0 :: v_dual_mov_b32 v73, v1
	v_dual_mov_b32 v74, v2 :: v_dual_mov_b32 v75, v3
.LBB51_17:
	s_or_b32 exec_lo, exec_lo, s18
	v_or_b32_e32 v0, 0x300, v76
	v_dual_mov_b32 v56, v58 :: v_dual_mov_b32 v57, v59
	s_mov_b32 s18, exec_lo
	s_delay_alu instid0(VALU_DEP_2)
	v_cmpx_gt_i32_e64 s15, v0
	s_cbranch_execnz .LBB51_24
; %bb.18:
	s_or_b32 exec_lo, exec_lo, s18
	s_and_saveexec_b32 s0, s14
	s_delay_alu instid0(SALU_CYCLE_1)
	s_xor_b32 s0, exec_lo, s0
	s_cbranch_execnz .LBB51_25
.LBB51_19:
	s_or_b32 exec_lo, exec_lo, s0
	s_delay_alu instid0(SALU_CYCLE_1)
	s_mov_b32 s0, exec_lo
	v_cmpx_gt_i32_e64 s15, v76
	s_cbranch_execnz .LBB51_26
.LBB51_20:
	s_or_b32 exec_lo, exec_lo, s0
	s_delay_alu instid0(SALU_CYCLE_1)
	s_mov_b32 s0, exec_lo
	v_cmpx_gt_i32_e64 s15, v76
	s_cbranch_execnz .LBB51_27
.LBB51_21:
	s_or_b32 exec_lo, exec_lo, s0
	s_delay_alu instid0(SALU_CYCLE_1)
	s_mov_b32 s0, exec_lo
	v_cmpx_gt_i32_e64 s15, v76
	s_cbranch_execz .LBB51_23
.LBB51_22:
	v_dual_mov_b32 v1, 0 :: v_dual_add_nc_u32 v0, s20, v76
	s_delay_alu instid0(VALU_DEP_1) | instskip(NEXT) | instid1(VALU_DEP_1)
	v_lshlrev_b64 v[0:1], 4, v[0:1]
	v_add_co_u32 v0, vcc_lo, s16, v0
	s_delay_alu instid0(VALU_DEP_2)
	v_add_co_ci_u32_e32 v1, vcc_lo, s17, v1, vcc_lo
	global_store_b128 v[0:1], v[56:59], off
.LBB51_23:
	s_endpgm
.LBB51_24:
	v_dual_mov_b32 v0, v44 :: v_dual_mov_b32 v1, v45
	v_dual_mov_b32 v2, v46 :: v_dual_mov_b32 v3, v47
	s_getpc_b64 s[0:1]
	s_add_u32 s0, s0, _ZZZZN2at6native15exp_kernel_cudaERNS_18TensorIteratorBaseEENKUlvE_clEvENKUlvE_clEvENKUlN3c107complexIdEEE_clES7_@rel32@lo+4
	s_addc_u32 s1, s1, _ZZZZN2at6native15exp_kernel_cudaERNS_18TensorIteratorBaseEENKUlvE_clEvENKUlvE_clEvENKUlN3c107complexIdEEE_clES7_@rel32@hi+12
	s_delay_alu instid0(SALU_CYCLE_1) | instskip(SKIP_4) | instid1(SALU_CYCLE_1)
	s_swappc_b64 s[30:31], s[0:1]
	v_dual_mov_b32 v56, v0 :: v_dual_mov_b32 v57, v1
	v_dual_mov_b32 v58, v2 :: v_dual_mov_b32 v59, v3
	s_or_b32 exec_lo, exec_lo, s18
	s_and_saveexec_b32 s0, s14
	s_xor_b32 s0, exec_lo, s0
	s_cbranch_execz .LBB51_19
.LBB51_25:
	v_mov_b32_e32 v78, 0
	v_mov_b32_e32 v76, v79
	s_delay_alu instid0(VALU_DEP_2) | instskip(NEXT) | instid1(VALU_DEP_1)
	v_lshlrev_b64 v[0:1], 4, v[77:78]
	v_add_co_u32 v0, vcc_lo, s16, v0
	s_delay_alu instid0(VALU_DEP_2) | instskip(SKIP_2) | instid1(SALU_CYCLE_1)
	v_add_co_ci_u32_e32 v1, vcc_lo, s17, v1, vcc_lo
	global_store_b128 v[0:1], v[60:63], off
	s_or_b32 exec_lo, exec_lo, s0
	s_mov_b32 s0, exec_lo
	v_cmpx_gt_i32_e64 s15, v76
	s_cbranch_execz .LBB51_20
.LBB51_26:
	v_dual_mov_b32 v1, 0 :: v_dual_add_nc_u32 v0, s20, v76
	v_add_nc_u32_e32 v76, 0x100, v76
	s_delay_alu instid0(VALU_DEP_2) | instskip(NEXT) | instid1(VALU_DEP_1)
	v_lshlrev_b64 v[0:1], 4, v[0:1]
	v_add_co_u32 v0, vcc_lo, s16, v0
	s_delay_alu instid0(VALU_DEP_2) | instskip(SKIP_2) | instid1(SALU_CYCLE_1)
	v_add_co_ci_u32_e32 v1, vcc_lo, s17, v1, vcc_lo
	global_store_b128 v[0:1], v[40:43], off
	s_or_b32 exec_lo, exec_lo, s0
	s_mov_b32 s0, exec_lo
	v_cmpx_gt_i32_e64 s15, v76
	s_cbranch_execz .LBB51_21
.LBB51_27:
	v_dual_mov_b32 v1, 0 :: v_dual_add_nc_u32 v0, s20, v76
	v_add_nc_u32_e32 v76, 0x100, v76
	s_delay_alu instid0(VALU_DEP_2) | instskip(NEXT) | instid1(VALU_DEP_1)
	v_lshlrev_b64 v[0:1], 4, v[0:1]
	v_add_co_u32 v0, vcc_lo, s16, v0
	s_delay_alu instid0(VALU_DEP_2) | instskip(SKIP_2) | instid1(SALU_CYCLE_1)
	v_add_co_ci_u32_e32 v1, vcc_lo, s17, v1, vcc_lo
	global_store_b128 v[0:1], v[72:75], off
	s_or_b32 exec_lo, exec_lo, s0
	s_mov_b32 s0, exec_lo
	v_cmpx_gt_i32_e64 s15, v76
	s_cbranch_execnz .LBB51_22
	s_branch .LBB51_23
	.section	.rodata,"a",@progbits
	.p2align	6, 0x0
	.amdhsa_kernel _ZN2at6native29vectorized_elementwise_kernelILi4EZZZNS0_15exp_kernel_cudaERNS_18TensorIteratorBaseEENKUlvE_clEvENKUlvE_clEvEUlN3c107complexIdEEE_St5arrayIPcLm2EEEEviT0_T1_
		.amdhsa_group_segment_fixed_size 0
		.amdhsa_private_segment_fixed_size 0
		.amdhsa_kernarg_size 24
		.amdhsa_user_sgpr_count 15
		.amdhsa_user_sgpr_dispatch_ptr 0
		.amdhsa_user_sgpr_queue_ptr 0
		.amdhsa_user_sgpr_kernarg_segment_ptr 1
		.amdhsa_user_sgpr_dispatch_id 0
		.amdhsa_user_sgpr_private_segment_size 0
		.amdhsa_wavefront_size32 1
		.amdhsa_uses_dynamic_stack 0
		.amdhsa_enable_private_segment 0
		.amdhsa_system_sgpr_workgroup_id_x 1
		.amdhsa_system_sgpr_workgroup_id_y 0
		.amdhsa_system_sgpr_workgroup_id_z 0
		.amdhsa_system_sgpr_workgroup_info 0
		.amdhsa_system_vgpr_workitem_id 0
		.amdhsa_next_free_vgpr 80
		.amdhsa_next_free_sgpr 33
		.amdhsa_reserve_vcc 1
		.amdhsa_float_round_mode_32 0
		.amdhsa_float_round_mode_16_64 0
		.amdhsa_float_denorm_mode_32 3
		.amdhsa_float_denorm_mode_16_64 3
		.amdhsa_dx10_clamp 1
		.amdhsa_ieee_mode 1
		.amdhsa_fp16_overflow 0
		.amdhsa_workgroup_processor_mode 1
		.amdhsa_memory_ordered 1
		.amdhsa_forward_progress 0
		.amdhsa_shared_vgpr_count 0
		.amdhsa_exception_fp_ieee_invalid_op 0
		.amdhsa_exception_fp_denorm_src 0
		.amdhsa_exception_fp_ieee_div_zero 0
		.amdhsa_exception_fp_ieee_overflow 0
		.amdhsa_exception_fp_ieee_underflow 0
		.amdhsa_exception_fp_ieee_inexact 0
		.amdhsa_exception_int_div_zero 0
	.end_amdhsa_kernel
	.section	.text._ZN2at6native29vectorized_elementwise_kernelILi4EZZZNS0_15exp_kernel_cudaERNS_18TensorIteratorBaseEENKUlvE_clEvENKUlvE_clEvEUlN3c107complexIdEEE_St5arrayIPcLm2EEEEviT0_T1_,"axG",@progbits,_ZN2at6native29vectorized_elementwise_kernelILi4EZZZNS0_15exp_kernel_cudaERNS_18TensorIteratorBaseEENKUlvE_clEvENKUlvE_clEvEUlN3c107complexIdEEE_St5arrayIPcLm2EEEEviT0_T1_,comdat
.Lfunc_end51:
	.size	_ZN2at6native29vectorized_elementwise_kernelILi4EZZZNS0_15exp_kernel_cudaERNS_18TensorIteratorBaseEENKUlvE_clEvENKUlvE_clEvEUlN3c107complexIdEEE_St5arrayIPcLm2EEEEviT0_T1_, .Lfunc_end51-_ZN2at6native29vectorized_elementwise_kernelILi4EZZZNS0_15exp_kernel_cudaERNS_18TensorIteratorBaseEENKUlvE_clEvENKUlvE_clEvEUlN3c107complexIdEEE_St5arrayIPcLm2EEEEviT0_T1_
                                        ; -- End function
	.section	.AMDGPU.csdata,"",@progbits
; Kernel info:
; codeLenInByte = 1436
; NumSgprs: 35
; NumVgprs: 80
; ScratchSize: 0
; MemoryBound: 0
; FloatMode: 240
; IeeeMode: 1
; LDSByteSize: 0 bytes/workgroup (compile time only)
; SGPRBlocks: 4
; VGPRBlocks: 9
; NumSGPRsForWavesPerEU: 35
; NumVGPRsForWavesPerEU: 80
; Occupancy: 16
; WaveLimiterHint : 0
; COMPUTE_PGM_RSRC2:SCRATCH_EN: 0
; COMPUTE_PGM_RSRC2:USER_SGPR: 15
; COMPUTE_PGM_RSRC2:TRAP_HANDLER: 0
; COMPUTE_PGM_RSRC2:TGID_X_EN: 1
; COMPUTE_PGM_RSRC2:TGID_Y_EN: 0
; COMPUTE_PGM_RSRC2:TGID_Z_EN: 0
; COMPUTE_PGM_RSRC2:TIDIG_COMP_CNT: 0
	.section	.text._ZN2at6native29vectorized_elementwise_kernelILi2EZZZNS0_15exp_kernel_cudaERNS_18TensorIteratorBaseEENKUlvE_clEvENKUlvE_clEvEUlN3c107complexIdEEE_St5arrayIPcLm2EEEEviT0_T1_,"axG",@progbits,_ZN2at6native29vectorized_elementwise_kernelILi2EZZZNS0_15exp_kernel_cudaERNS_18TensorIteratorBaseEENKUlvE_clEvENKUlvE_clEvEUlN3c107complexIdEEE_St5arrayIPcLm2EEEEviT0_T1_,comdat
	.globl	_ZN2at6native29vectorized_elementwise_kernelILi2EZZZNS0_15exp_kernel_cudaERNS_18TensorIteratorBaseEENKUlvE_clEvENKUlvE_clEvEUlN3c107complexIdEEE_St5arrayIPcLm2EEEEviT0_T1_ ; -- Begin function _ZN2at6native29vectorized_elementwise_kernelILi2EZZZNS0_15exp_kernel_cudaERNS_18TensorIteratorBaseEENKUlvE_clEvENKUlvE_clEvEUlN3c107complexIdEEE_St5arrayIPcLm2EEEEviT0_T1_
	.p2align	8
	.type	_ZN2at6native29vectorized_elementwise_kernelILi2EZZZNS0_15exp_kernel_cudaERNS_18TensorIteratorBaseEENKUlvE_clEvENKUlvE_clEvEUlN3c107complexIdEEE_St5arrayIPcLm2EEEEviT0_T1_,@function
_ZN2at6native29vectorized_elementwise_kernelILi2EZZZNS0_15exp_kernel_cudaERNS_18TensorIteratorBaseEENKUlvE_clEvENKUlvE_clEvEUlN3c107complexIdEEE_St5arrayIPcLm2EEEEviT0_T1_: ; @_ZN2at6native29vectorized_elementwise_kernelILi2EZZZNS0_15exp_kernel_cudaERNS_18TensorIteratorBaseEENKUlvE_clEvENKUlvE_clEvEUlN3c107complexIdEEE_St5arrayIPcLm2EEEEviT0_T1_
; %bb.0:
	s_clause 0x1
	s_load_b32 s2, s[0:1], 0x0
	s_load_b128 s[16:19], s[0:1], 0x8
	s_lshl_b32 s20, s15, 10
	v_mov_b32_e32 v76, v0
	s_mov_b32 s14, -1
	s_mov_b32 s32, 0
	s_waitcnt lgkmcnt(0)
	s_sub_i32 s15, s2, s20
	s_delay_alu instid0(SALU_CYCLE_1)
	s_cmpk_gt_i32 s15, 0x3ff
	s_cbranch_scc0 .LBB52_2
; %bb.1:
	s_ashr_i32 s21, s20, 31
	v_lshlrev_b32_e32 v68, 5, v76
	s_lshl_b64 s[22:23], s[20:21], 4
	s_mov_b32 s14, 0
	s_add_u32 s0, s18, s22
	s_addc_u32 s1, s19, s23
	v_add_co_u32 v4, s2, s0, v68
	s_delay_alu instid0(VALU_DEP_1)
	v_add_co_ci_u32_e64 v5, null, s1, 0, s2
	global_load_b128 v[0:3], v68, s[0:1]
	v_add_co_u32 v4, vcc_lo, 0x2000, v4
	v_add_co_ci_u32_e32 v5, vcc_lo, 0, v5, vcc_lo
	s_getpc_b64 s[24:25]
	s_add_u32 s24, s24, _ZZZZN2at6native15exp_kernel_cudaERNS_18TensorIteratorBaseEENKUlvE_clEvENKUlvE_clEvENKUlN3c107complexIdEEE_clES7_@rel32@lo+4
	s_addc_u32 s25, s25, _ZZZZN2at6native15exp_kernel_cudaERNS_18TensorIteratorBaseEENKUlvE_clEvENKUlvE_clEvENKUlN3c107complexIdEEE_clES7_@rel32@hi+12
	s_clause 0x2
	global_load_b128 v[40:43], v68, s[0:1] offset:16
	global_load_b128 v[44:47], v[4:5], off
	global_load_b128 v[56:59], v[4:5], off offset:16
	s_swappc_b64 s[30:31], s[24:25]
	v_dual_mov_b32 v60, v0 :: v_dual_mov_b32 v61, v1
	v_dual_mov_b32 v62, v2 :: v_dual_mov_b32 v63, v3
	;; [unrolled: 1-line block ×4, first 2 shown]
	s_swappc_b64 s[30:31], s[24:25]
	s_delay_alu instid0(VALU_DEP_2) | instskip(NEXT) | instid1(VALU_DEP_2)
	v_dual_mov_b32 v40, v0 :: v_dual_mov_b32 v41, v1
	v_dual_mov_b32 v42, v2 :: v_dual_mov_b32 v43, v3
	;; [unrolled: 1-line block ×4, first 2 shown]
	s_swappc_b64 s[30:31], s[24:25]
	s_delay_alu instid0(VALU_DEP_2) | instskip(NEXT) | instid1(VALU_DEP_2)
	v_dual_mov_b32 v44, v0 :: v_dual_mov_b32 v45, v1
	v_dual_mov_b32 v46, v2 :: v_dual_mov_b32 v47, v3
	;; [unrolled: 1-line block ×4, first 2 shown]
	s_swappc_b64 s[30:31], s[24:25]
	s_add_u32 s0, s16, s22
	s_addc_u32 s1, s17, s23
	v_add_co_u32 v4, s2, s0, v68
	s_delay_alu instid0(VALU_DEP_1) | instskip(NEXT) | instid1(VALU_DEP_2)
	v_add_co_ci_u32_e64 v5, null, s1, 0, s2
	v_add_co_u32 v4, vcc_lo, 0x2000, v4
	s_delay_alu instid0(VALU_DEP_2)
	v_add_co_ci_u32_e32 v5, vcc_lo, 0, v5, vcc_lo
	s_clause 0x3
	global_store_b128 v68, v[60:63], s[0:1]
	global_store_b128 v68, v[40:43], s[0:1] offset:16
	global_store_b128 v[4:5], v[44:47], off
	global_store_b128 v[4:5], v[0:3], off offset:16
.LBB52_2:
	s_and_not1_b32 vcc_lo, exec_lo, s14
	s_cbranch_vccnz .LBB52_23
; %bb.3:
	v_mov_b32_e32 v56, 0
	v_dual_mov_b32 v57, 0 :: v_dual_mov_b32 v4, v76
	v_cmp_gt_i32_e64 s14, s15, v76
	v_or_b32_e32 v77, s20, v76
	v_or_b32_e32 v79, 0x100, v76
	s_delay_alu instid0(VALU_DEP_4)
	v_dual_mov_b32 v0, v56 :: v_dual_mov_b32 v1, v57
	v_dual_mov_b32 v2, v56 :: v_dual_mov_b32 v3, v57
	s_and_saveexec_b32 s0, s14
	s_cbranch_execz .LBB52_5
; %bb.4:
	v_mov_b32_e32 v78, 0
	v_or_b32_e32 v4, 0x100, v76
	s_delay_alu instid0(VALU_DEP_2) | instskip(NEXT) | instid1(VALU_DEP_1)
	v_lshlrev_b64 v[0:1], 4, v[77:78]
	v_add_co_u32 v0, vcc_lo, s18, v0
	s_delay_alu instid0(VALU_DEP_2)
	v_add_co_ci_u32_e32 v1, vcc_lo, s19, v1, vcc_lo
	global_load_b128 v[0:3], v[0:1], off
.LBB52_5:
	s_or_b32 exec_lo, exec_lo, s0
	v_dual_mov_b32 v59, v57 :: v_dual_mov_b32 v58, v56
	s_mov_b32 s0, exec_lo
	v_cmpx_gt_i32_e64 s15, v4
	s_cbranch_execz .LBB52_7
; %bb.6:
	v_dual_mov_b32 v6, 0 :: v_dual_add_nc_u32 v5, s20, v4
	v_add_nc_u32_e32 v4, 0x100, v4
	s_delay_alu instid0(VALU_DEP_2) | instskip(NEXT) | instid1(VALU_DEP_1)
	v_lshlrev_b64 v[5:6], 4, v[5:6]
	v_add_co_u32 v5, vcc_lo, s18, v5
	s_delay_alu instid0(VALU_DEP_2)
	v_add_co_ci_u32_e32 v6, vcc_lo, s19, v6, vcc_lo
	global_load_b128 v[56:59], v[5:6], off
.LBB52_7:
	s_or_b32 exec_lo, exec_lo, s0
	v_mov_b32_e32 v44, 0
	v_mov_b32_e32 v45, 0
	s_mov_b32 s0, exec_lo
	s_delay_alu instid0(VALU_DEP_1)
	v_dual_mov_b32 v69, v45 :: v_dual_mov_b32 v68, v44
	v_dual_mov_b32 v71, v45 :: v_dual_mov_b32 v70, v44
	v_cmpx_gt_i32_e64 s15, v4
	s_cbranch_execz .LBB52_9
; %bb.8:
	v_dual_mov_b32 v6, 0 :: v_dual_add_nc_u32 v5, s20, v4
	v_add_nc_u32_e32 v4, 0x100, v4
	s_delay_alu instid0(VALU_DEP_2) | instskip(NEXT) | instid1(VALU_DEP_1)
	v_lshlrev_b64 v[5:6], 4, v[5:6]
	v_add_co_u32 v5, vcc_lo, s18, v5
	s_delay_alu instid0(VALU_DEP_2)
	v_add_co_ci_u32_e32 v6, vcc_lo, s19, v6, vcc_lo
	global_load_b128 v[68:71], v[5:6], off
.LBB52_9:
	s_or_b32 exec_lo, exec_lo, s0
	v_dual_mov_b32 v47, v45 :: v_dual_mov_b32 v46, v44
	s_mov_b32 s0, exec_lo
	v_cmpx_gt_i32_e64 s15, v4
	s_cbranch_execz .LBB52_11
; %bb.10:
	v_dual_mov_b32 v5, 0 :: v_dual_add_nc_u32 v4, s20, v4
	s_delay_alu instid0(VALU_DEP_1) | instskip(NEXT) | instid1(VALU_DEP_1)
	v_lshlrev_b64 v[4:5], 4, v[4:5]
	v_add_co_u32 v4, vcc_lo, s18, v4
	s_delay_alu instid0(VALU_DEP_2)
	v_add_co_ci_u32_e32 v5, vcc_lo, s19, v5, vcc_lo
	global_load_b128 v[44:47], v[4:5], off
.LBB52_11:
	s_or_b32 exec_lo, exec_lo, s0
	v_mov_b32_e32 v42, 0
	v_mov_b32_e32 v43, 0
	s_delay_alu instid0(VALU_DEP_1)
	v_dual_mov_b32 v63, v43 :: v_dual_mov_b32 v62, v42
	v_dual_mov_b32 v61, v43 :: v_dual_mov_b32 v60, v42
	s_and_saveexec_b32 s18, s14
	s_cbranch_execz .LBB52_13
; %bb.12:
	s_getpc_b64 s[0:1]
	s_add_u32 s0, s0, _ZZZZN2at6native15exp_kernel_cudaERNS_18TensorIteratorBaseEENKUlvE_clEvENKUlvE_clEvENKUlN3c107complexIdEEE_clES7_@rel32@lo+4
	s_addc_u32 s1, s1, _ZZZZN2at6native15exp_kernel_cudaERNS_18TensorIteratorBaseEENKUlvE_clEvENKUlvE_clEvENKUlN3c107complexIdEEE_clES7_@rel32@hi+12
	s_delay_alu instid0(SALU_CYCLE_1)
	s_swappc_b64 s[30:31], s[0:1]
	v_dual_mov_b32 v60, v0 :: v_dual_mov_b32 v61, v1
	v_dual_mov_b32 v62, v2 :: v_dual_mov_b32 v63, v3
.LBB52_13:
	s_or_b32 exec_lo, exec_lo, s18
	v_dual_mov_b32 v40, v42 :: v_dual_mov_b32 v41, v43
	s_mov_b32 s18, exec_lo
	v_cmpx_gt_i32_e64 s15, v79
	s_cbranch_execz .LBB52_15
; %bb.14:
	s_waitcnt vmcnt(0)
	v_dual_mov_b32 v0, v56 :: v_dual_mov_b32 v1, v57
	v_dual_mov_b32 v2, v58 :: v_dual_mov_b32 v3, v59
	s_getpc_b64 s[0:1]
	s_add_u32 s0, s0, _ZZZZN2at6native15exp_kernel_cudaERNS_18TensorIteratorBaseEENKUlvE_clEvENKUlvE_clEvENKUlN3c107complexIdEEE_clES7_@rel32@lo+4
	s_addc_u32 s1, s1, _ZZZZN2at6native15exp_kernel_cudaERNS_18TensorIteratorBaseEENKUlvE_clEvENKUlvE_clEvENKUlN3c107complexIdEEE_clES7_@rel32@hi+12
	s_delay_alu instid0(SALU_CYCLE_1)
	s_swappc_b64 s[30:31], s[0:1]
	v_dual_mov_b32 v40, v0 :: v_dual_mov_b32 v41, v1
	v_dual_mov_b32 v42, v2 :: v_dual_mov_b32 v43, v3
.LBB52_15:
	s_or_b32 exec_lo, exec_lo, s18
	s_waitcnt vmcnt(0)
	v_mov_b32_e32 v58, 0
	v_mov_b32_e32 v59, 0
	v_or_b32_e32 v0, 0x200, v76
	s_mov_b32 s18, exec_lo
	s_delay_alu instid0(VALU_DEP_2) | instskip(SKIP_1) | instid1(VALU_DEP_3)
	v_dual_mov_b32 v75, v59 :: v_dual_mov_b32 v74, v58
	v_dual_mov_b32 v73, v59 :: v_dual_mov_b32 v72, v58
	v_cmpx_gt_i32_e64 s15, v0
	s_cbranch_execz .LBB52_17
; %bb.16:
	v_dual_mov_b32 v0, v68 :: v_dual_mov_b32 v1, v69
	v_dual_mov_b32 v2, v70 :: v_dual_mov_b32 v3, v71
	s_getpc_b64 s[0:1]
	s_add_u32 s0, s0, _ZZZZN2at6native15exp_kernel_cudaERNS_18TensorIteratorBaseEENKUlvE_clEvENKUlvE_clEvENKUlN3c107complexIdEEE_clES7_@rel32@lo+4
	s_addc_u32 s1, s1, _ZZZZN2at6native15exp_kernel_cudaERNS_18TensorIteratorBaseEENKUlvE_clEvENKUlvE_clEvENKUlN3c107complexIdEEE_clES7_@rel32@hi+12
	s_delay_alu instid0(SALU_CYCLE_1)
	s_swappc_b64 s[30:31], s[0:1]
	v_dual_mov_b32 v72, v0 :: v_dual_mov_b32 v73, v1
	v_dual_mov_b32 v74, v2 :: v_dual_mov_b32 v75, v3
.LBB52_17:
	s_or_b32 exec_lo, exec_lo, s18
	v_or_b32_e32 v0, 0x300, v76
	v_dual_mov_b32 v56, v58 :: v_dual_mov_b32 v57, v59
	s_mov_b32 s18, exec_lo
	s_delay_alu instid0(VALU_DEP_2)
	v_cmpx_gt_i32_e64 s15, v0
	s_cbranch_execnz .LBB52_24
; %bb.18:
	s_or_b32 exec_lo, exec_lo, s18
	s_and_saveexec_b32 s0, s14
	s_delay_alu instid0(SALU_CYCLE_1)
	s_xor_b32 s0, exec_lo, s0
	s_cbranch_execnz .LBB52_25
.LBB52_19:
	s_or_b32 exec_lo, exec_lo, s0
	s_delay_alu instid0(SALU_CYCLE_1)
	s_mov_b32 s0, exec_lo
	v_cmpx_gt_i32_e64 s15, v76
	s_cbranch_execnz .LBB52_26
.LBB52_20:
	s_or_b32 exec_lo, exec_lo, s0
	s_delay_alu instid0(SALU_CYCLE_1)
	s_mov_b32 s0, exec_lo
	v_cmpx_gt_i32_e64 s15, v76
	s_cbranch_execnz .LBB52_27
.LBB52_21:
	s_or_b32 exec_lo, exec_lo, s0
	s_delay_alu instid0(SALU_CYCLE_1)
	s_mov_b32 s0, exec_lo
	v_cmpx_gt_i32_e64 s15, v76
	s_cbranch_execz .LBB52_23
.LBB52_22:
	v_dual_mov_b32 v1, 0 :: v_dual_add_nc_u32 v0, s20, v76
	s_delay_alu instid0(VALU_DEP_1) | instskip(NEXT) | instid1(VALU_DEP_1)
	v_lshlrev_b64 v[0:1], 4, v[0:1]
	v_add_co_u32 v0, vcc_lo, s16, v0
	s_delay_alu instid0(VALU_DEP_2)
	v_add_co_ci_u32_e32 v1, vcc_lo, s17, v1, vcc_lo
	global_store_b128 v[0:1], v[56:59], off
.LBB52_23:
	s_endpgm
.LBB52_24:
	v_dual_mov_b32 v0, v44 :: v_dual_mov_b32 v1, v45
	v_dual_mov_b32 v2, v46 :: v_dual_mov_b32 v3, v47
	s_getpc_b64 s[0:1]
	s_add_u32 s0, s0, _ZZZZN2at6native15exp_kernel_cudaERNS_18TensorIteratorBaseEENKUlvE_clEvENKUlvE_clEvENKUlN3c107complexIdEEE_clES7_@rel32@lo+4
	s_addc_u32 s1, s1, _ZZZZN2at6native15exp_kernel_cudaERNS_18TensorIteratorBaseEENKUlvE_clEvENKUlvE_clEvENKUlN3c107complexIdEEE_clES7_@rel32@hi+12
	s_delay_alu instid0(SALU_CYCLE_1) | instskip(SKIP_4) | instid1(SALU_CYCLE_1)
	s_swappc_b64 s[30:31], s[0:1]
	v_dual_mov_b32 v56, v0 :: v_dual_mov_b32 v57, v1
	v_dual_mov_b32 v58, v2 :: v_dual_mov_b32 v59, v3
	s_or_b32 exec_lo, exec_lo, s18
	s_and_saveexec_b32 s0, s14
	s_xor_b32 s0, exec_lo, s0
	s_cbranch_execz .LBB52_19
.LBB52_25:
	v_mov_b32_e32 v78, 0
	v_mov_b32_e32 v76, v79
	s_delay_alu instid0(VALU_DEP_2) | instskip(NEXT) | instid1(VALU_DEP_1)
	v_lshlrev_b64 v[0:1], 4, v[77:78]
	v_add_co_u32 v0, vcc_lo, s16, v0
	s_delay_alu instid0(VALU_DEP_2) | instskip(SKIP_2) | instid1(SALU_CYCLE_1)
	v_add_co_ci_u32_e32 v1, vcc_lo, s17, v1, vcc_lo
	global_store_b128 v[0:1], v[60:63], off
	s_or_b32 exec_lo, exec_lo, s0
	s_mov_b32 s0, exec_lo
	v_cmpx_gt_i32_e64 s15, v76
	s_cbranch_execz .LBB52_20
.LBB52_26:
	v_dual_mov_b32 v1, 0 :: v_dual_add_nc_u32 v0, s20, v76
	v_add_nc_u32_e32 v76, 0x100, v76
	s_delay_alu instid0(VALU_DEP_2) | instskip(NEXT) | instid1(VALU_DEP_1)
	v_lshlrev_b64 v[0:1], 4, v[0:1]
	v_add_co_u32 v0, vcc_lo, s16, v0
	s_delay_alu instid0(VALU_DEP_2) | instskip(SKIP_2) | instid1(SALU_CYCLE_1)
	v_add_co_ci_u32_e32 v1, vcc_lo, s17, v1, vcc_lo
	global_store_b128 v[0:1], v[40:43], off
	s_or_b32 exec_lo, exec_lo, s0
	s_mov_b32 s0, exec_lo
	v_cmpx_gt_i32_e64 s15, v76
	s_cbranch_execz .LBB52_21
.LBB52_27:
	v_dual_mov_b32 v1, 0 :: v_dual_add_nc_u32 v0, s20, v76
	v_add_nc_u32_e32 v76, 0x100, v76
	s_delay_alu instid0(VALU_DEP_2) | instskip(NEXT) | instid1(VALU_DEP_1)
	v_lshlrev_b64 v[0:1], 4, v[0:1]
	v_add_co_u32 v0, vcc_lo, s16, v0
	s_delay_alu instid0(VALU_DEP_2) | instskip(SKIP_2) | instid1(SALU_CYCLE_1)
	v_add_co_ci_u32_e32 v1, vcc_lo, s17, v1, vcc_lo
	global_store_b128 v[0:1], v[72:75], off
	s_or_b32 exec_lo, exec_lo, s0
	s_mov_b32 s0, exec_lo
	v_cmpx_gt_i32_e64 s15, v76
	s_cbranch_execnz .LBB52_22
	s_branch .LBB52_23
	.section	.rodata,"a",@progbits
	.p2align	6, 0x0
	.amdhsa_kernel _ZN2at6native29vectorized_elementwise_kernelILi2EZZZNS0_15exp_kernel_cudaERNS_18TensorIteratorBaseEENKUlvE_clEvENKUlvE_clEvEUlN3c107complexIdEEE_St5arrayIPcLm2EEEEviT0_T1_
		.amdhsa_group_segment_fixed_size 0
		.amdhsa_private_segment_fixed_size 0
		.amdhsa_kernarg_size 24
		.amdhsa_user_sgpr_count 15
		.amdhsa_user_sgpr_dispatch_ptr 0
		.amdhsa_user_sgpr_queue_ptr 0
		.amdhsa_user_sgpr_kernarg_segment_ptr 1
		.amdhsa_user_sgpr_dispatch_id 0
		.amdhsa_user_sgpr_private_segment_size 0
		.amdhsa_wavefront_size32 1
		.amdhsa_uses_dynamic_stack 0
		.amdhsa_enable_private_segment 0
		.amdhsa_system_sgpr_workgroup_id_x 1
		.amdhsa_system_sgpr_workgroup_id_y 0
		.amdhsa_system_sgpr_workgroup_id_z 0
		.amdhsa_system_sgpr_workgroup_info 0
		.amdhsa_system_vgpr_workitem_id 0
		.amdhsa_next_free_vgpr 80
		.amdhsa_next_free_sgpr 33
		.amdhsa_reserve_vcc 1
		.amdhsa_float_round_mode_32 0
		.amdhsa_float_round_mode_16_64 0
		.amdhsa_float_denorm_mode_32 3
		.amdhsa_float_denorm_mode_16_64 3
		.amdhsa_dx10_clamp 1
		.amdhsa_ieee_mode 1
		.amdhsa_fp16_overflow 0
		.amdhsa_workgroup_processor_mode 1
		.amdhsa_memory_ordered 1
		.amdhsa_forward_progress 0
		.amdhsa_shared_vgpr_count 0
		.amdhsa_exception_fp_ieee_invalid_op 0
		.amdhsa_exception_fp_denorm_src 0
		.amdhsa_exception_fp_ieee_div_zero 0
		.amdhsa_exception_fp_ieee_overflow 0
		.amdhsa_exception_fp_ieee_underflow 0
		.amdhsa_exception_fp_ieee_inexact 0
		.amdhsa_exception_int_div_zero 0
	.end_amdhsa_kernel
	.section	.text._ZN2at6native29vectorized_elementwise_kernelILi2EZZZNS0_15exp_kernel_cudaERNS_18TensorIteratorBaseEENKUlvE_clEvENKUlvE_clEvEUlN3c107complexIdEEE_St5arrayIPcLm2EEEEviT0_T1_,"axG",@progbits,_ZN2at6native29vectorized_elementwise_kernelILi2EZZZNS0_15exp_kernel_cudaERNS_18TensorIteratorBaseEENKUlvE_clEvENKUlvE_clEvEUlN3c107complexIdEEE_St5arrayIPcLm2EEEEviT0_T1_,comdat
.Lfunc_end52:
	.size	_ZN2at6native29vectorized_elementwise_kernelILi2EZZZNS0_15exp_kernel_cudaERNS_18TensorIteratorBaseEENKUlvE_clEvENKUlvE_clEvEUlN3c107complexIdEEE_St5arrayIPcLm2EEEEviT0_T1_, .Lfunc_end52-_ZN2at6native29vectorized_elementwise_kernelILi2EZZZNS0_15exp_kernel_cudaERNS_18TensorIteratorBaseEENKUlvE_clEvENKUlvE_clEvEUlN3c107complexIdEEE_St5arrayIPcLm2EEEEviT0_T1_
                                        ; -- End function
	.section	.AMDGPU.csdata,"",@progbits
; Kernel info:
; codeLenInByte = 1508
; NumSgprs: 35
; NumVgprs: 80
; ScratchSize: 0
; MemoryBound: 0
; FloatMode: 240
; IeeeMode: 1
; LDSByteSize: 0 bytes/workgroup (compile time only)
; SGPRBlocks: 4
; VGPRBlocks: 9
; NumSGPRsForWavesPerEU: 35
; NumVGPRsForWavesPerEU: 80
; Occupancy: 16
; WaveLimiterHint : 1
; COMPUTE_PGM_RSRC2:SCRATCH_EN: 0
; COMPUTE_PGM_RSRC2:USER_SGPR: 15
; COMPUTE_PGM_RSRC2:TRAP_HANDLER: 0
; COMPUTE_PGM_RSRC2:TGID_X_EN: 1
; COMPUTE_PGM_RSRC2:TGID_Y_EN: 0
; COMPUTE_PGM_RSRC2:TGID_Z_EN: 0
; COMPUTE_PGM_RSRC2:TIDIG_COMP_CNT: 0
	.section	.text._ZN2at6native27unrolled_elementwise_kernelIZZZNS0_15exp_kernel_cudaERNS_18TensorIteratorBaseEENKUlvE_clEvENKUlvE_clEvEUlN3c107complexIdEEE_St5arrayIPcLm2EELi4E23TrivialOffsetCalculatorILi1EjESE_NS0_6memory15LoadWithoutCastENSF_16StoreWithoutCastEEEviT_T0_T2_T3_T4_T5_,"axG",@progbits,_ZN2at6native27unrolled_elementwise_kernelIZZZNS0_15exp_kernel_cudaERNS_18TensorIteratorBaseEENKUlvE_clEvENKUlvE_clEvEUlN3c107complexIdEEE_St5arrayIPcLm2EELi4E23TrivialOffsetCalculatorILi1EjESE_NS0_6memory15LoadWithoutCastENSF_16StoreWithoutCastEEEviT_T0_T2_T3_T4_T5_,comdat
	.globl	_ZN2at6native27unrolled_elementwise_kernelIZZZNS0_15exp_kernel_cudaERNS_18TensorIteratorBaseEENKUlvE_clEvENKUlvE_clEvEUlN3c107complexIdEEE_St5arrayIPcLm2EELi4E23TrivialOffsetCalculatorILi1EjESE_NS0_6memory15LoadWithoutCastENSF_16StoreWithoutCastEEEviT_T0_T2_T3_T4_T5_ ; -- Begin function _ZN2at6native27unrolled_elementwise_kernelIZZZNS0_15exp_kernel_cudaERNS_18TensorIteratorBaseEENKUlvE_clEvENKUlvE_clEvEUlN3c107complexIdEEE_St5arrayIPcLm2EELi4E23TrivialOffsetCalculatorILi1EjESE_NS0_6memory15LoadWithoutCastENSF_16StoreWithoutCastEEEviT_T0_T2_T3_T4_T5_
	.p2align	8
	.type	_ZN2at6native27unrolled_elementwise_kernelIZZZNS0_15exp_kernel_cudaERNS_18TensorIteratorBaseEENKUlvE_clEvENKUlvE_clEvEUlN3c107complexIdEEE_St5arrayIPcLm2EELi4E23TrivialOffsetCalculatorILi1EjESE_NS0_6memory15LoadWithoutCastENSF_16StoreWithoutCastEEEviT_T0_T2_T3_T4_T5_,@function
_ZN2at6native27unrolled_elementwise_kernelIZZZNS0_15exp_kernel_cudaERNS_18TensorIteratorBaseEENKUlvE_clEvENKUlvE_clEvEUlN3c107complexIdEEE_St5arrayIPcLm2EELi4E23TrivialOffsetCalculatorILi1EjESE_NS0_6memory15LoadWithoutCastENSF_16StoreWithoutCastEEEviT_T0_T2_T3_T4_T5_: ; @_ZN2at6native27unrolled_elementwise_kernelIZZZNS0_15exp_kernel_cudaERNS_18TensorIteratorBaseEENKUlvE_clEvENKUlvE_clEvEUlN3c107complexIdEEE_St5arrayIPcLm2EELi4E23TrivialOffsetCalculatorILi1EjESE_NS0_6memory15LoadWithoutCastENSF_16StoreWithoutCastEEEviT_T0_T2_T3_T4_T5_
; %bb.0:
	s_clause 0x1
	s_load_b32 s2, s[0:1], 0x0
	s_load_b128 s[16:19], s[0:1], 0x8
	v_mov_b32_e32 v56, 0
	v_dual_mov_b32 v76, v0 :: v_dual_mov_b32 v57, 0
	s_lshl_b32 s15, s15, 10
	s_delay_alu instid0(VALU_DEP_2) | instskip(SKIP_1) | instid1(VALU_DEP_3)
	v_mov_b32_e32 v0, v56
	v_mov_b32_e32 v2, v56
	v_or_b32_e32 v77, s15, v76
	v_mov_b32_e32 v3, v57
	v_or_b32_e32 v79, 0x100, v76
	v_dual_mov_b32 v1, v57 :: v_dual_mov_b32 v4, v76
	s_mov_b32 s32, 0
	s_waitcnt lgkmcnt(0)
	s_sub_i32 s20, s2, s15
	s_delay_alu instid0(SALU_CYCLE_1) | instskip(NEXT) | instid1(VALU_DEP_1)
	v_cmp_gt_i32_e64 s14, s20, v76
	s_and_saveexec_b32 s0, s14
	s_cbranch_execz .LBB53_2
; %bb.1:
	v_mov_b32_e32 v78, 0
	v_or_b32_e32 v4, 0x100, v76
	s_delay_alu instid0(VALU_DEP_2) | instskip(NEXT) | instid1(VALU_DEP_1)
	v_lshlrev_b64 v[0:1], 4, v[77:78]
	v_add_co_u32 v0, vcc_lo, s18, v0
	s_delay_alu instid0(VALU_DEP_2)
	v_add_co_ci_u32_e32 v1, vcc_lo, s19, v1, vcc_lo
	global_load_b128 v[0:3], v[0:1], off
.LBB53_2:
	s_or_b32 exec_lo, exec_lo, s0
	v_dual_mov_b32 v59, v57 :: v_dual_mov_b32 v58, v56
	s_mov_b32 s0, exec_lo
	v_cmpx_gt_i32_e64 s20, v4
	s_cbranch_execz .LBB53_4
; %bb.3:
	v_dual_mov_b32 v6, 0 :: v_dual_add_nc_u32 v5, s15, v4
	v_add_nc_u32_e32 v4, 0x100, v4
	s_delay_alu instid0(VALU_DEP_2) | instskip(NEXT) | instid1(VALU_DEP_1)
	v_lshlrev_b64 v[5:6], 4, v[5:6]
	v_add_co_u32 v5, vcc_lo, s18, v5
	s_delay_alu instid0(VALU_DEP_2)
	v_add_co_ci_u32_e32 v6, vcc_lo, s19, v6, vcc_lo
	global_load_b128 v[56:59], v[5:6], off
.LBB53_4:
	s_or_b32 exec_lo, exec_lo, s0
	v_mov_b32_e32 v44, 0
	v_mov_b32_e32 v45, 0
	s_mov_b32 s0, exec_lo
	s_delay_alu instid0(VALU_DEP_1)
	v_dual_mov_b32 v69, v45 :: v_dual_mov_b32 v68, v44
	v_dual_mov_b32 v71, v45 :: v_dual_mov_b32 v70, v44
	v_cmpx_gt_i32_e64 s20, v4
	s_cbranch_execz .LBB53_6
; %bb.5:
	v_dual_mov_b32 v6, 0 :: v_dual_add_nc_u32 v5, s15, v4
	v_add_nc_u32_e32 v4, 0x100, v4
	s_delay_alu instid0(VALU_DEP_2) | instskip(NEXT) | instid1(VALU_DEP_1)
	v_lshlrev_b64 v[5:6], 4, v[5:6]
	v_add_co_u32 v5, vcc_lo, s18, v5
	s_delay_alu instid0(VALU_DEP_2)
	v_add_co_ci_u32_e32 v6, vcc_lo, s19, v6, vcc_lo
	global_load_b128 v[68:71], v[5:6], off
.LBB53_6:
	s_or_b32 exec_lo, exec_lo, s0
	v_dual_mov_b32 v47, v45 :: v_dual_mov_b32 v46, v44
	s_mov_b32 s0, exec_lo
	v_cmpx_gt_i32_e64 s20, v4
	s_cbranch_execz .LBB53_8
; %bb.7:
	v_dual_mov_b32 v5, 0 :: v_dual_add_nc_u32 v4, s15, v4
	s_delay_alu instid0(VALU_DEP_1) | instskip(NEXT) | instid1(VALU_DEP_1)
	v_lshlrev_b64 v[4:5], 4, v[4:5]
	v_add_co_u32 v4, vcc_lo, s18, v4
	s_delay_alu instid0(VALU_DEP_2)
	v_add_co_ci_u32_e32 v5, vcc_lo, s19, v5, vcc_lo
	global_load_b128 v[44:47], v[4:5], off
.LBB53_8:
	s_or_b32 exec_lo, exec_lo, s0
	v_mov_b32_e32 v42, 0
	v_mov_b32_e32 v43, 0
	s_delay_alu instid0(VALU_DEP_1)
	v_dual_mov_b32 v63, v43 :: v_dual_mov_b32 v62, v42
	v_dual_mov_b32 v61, v43 :: v_dual_mov_b32 v60, v42
	s_and_saveexec_b32 s18, s14
	s_cbranch_execz .LBB53_10
; %bb.9:
	s_getpc_b64 s[0:1]
	s_add_u32 s0, s0, _ZZZZN2at6native15exp_kernel_cudaERNS_18TensorIteratorBaseEENKUlvE_clEvENKUlvE_clEvENKUlN3c107complexIdEEE_clES7_@rel32@lo+4
	s_addc_u32 s1, s1, _ZZZZN2at6native15exp_kernel_cudaERNS_18TensorIteratorBaseEENKUlvE_clEvENKUlvE_clEvENKUlN3c107complexIdEEE_clES7_@rel32@hi+12
	s_delay_alu instid0(SALU_CYCLE_1)
	s_swappc_b64 s[30:31], s[0:1]
	v_dual_mov_b32 v60, v0 :: v_dual_mov_b32 v61, v1
	v_dual_mov_b32 v62, v2 :: v_dual_mov_b32 v63, v3
.LBB53_10:
	s_or_b32 exec_lo, exec_lo, s18
	v_dual_mov_b32 v40, v42 :: v_dual_mov_b32 v41, v43
	s_mov_b32 s18, exec_lo
	v_cmpx_gt_i32_e64 s20, v79
	s_cbranch_execz .LBB53_12
; %bb.11:
	s_waitcnt vmcnt(0)
	v_dual_mov_b32 v0, v56 :: v_dual_mov_b32 v1, v57
	v_dual_mov_b32 v2, v58 :: v_dual_mov_b32 v3, v59
	s_getpc_b64 s[0:1]
	s_add_u32 s0, s0, _ZZZZN2at6native15exp_kernel_cudaERNS_18TensorIteratorBaseEENKUlvE_clEvENKUlvE_clEvENKUlN3c107complexIdEEE_clES7_@rel32@lo+4
	s_addc_u32 s1, s1, _ZZZZN2at6native15exp_kernel_cudaERNS_18TensorIteratorBaseEENKUlvE_clEvENKUlvE_clEvENKUlN3c107complexIdEEE_clES7_@rel32@hi+12
	s_delay_alu instid0(SALU_CYCLE_1)
	s_swappc_b64 s[30:31], s[0:1]
	v_dual_mov_b32 v40, v0 :: v_dual_mov_b32 v41, v1
	v_dual_mov_b32 v42, v2 :: v_dual_mov_b32 v43, v3
.LBB53_12:
	s_or_b32 exec_lo, exec_lo, s18
	s_waitcnt vmcnt(0)
	v_mov_b32_e32 v58, 0
	v_mov_b32_e32 v59, 0
	v_or_b32_e32 v0, 0x200, v76
	s_mov_b32 s18, exec_lo
	s_delay_alu instid0(VALU_DEP_2) | instskip(SKIP_1) | instid1(VALU_DEP_3)
	v_dual_mov_b32 v75, v59 :: v_dual_mov_b32 v74, v58
	v_dual_mov_b32 v73, v59 :: v_dual_mov_b32 v72, v58
	v_cmpx_gt_i32_e64 s20, v0
	s_cbranch_execz .LBB53_14
; %bb.13:
	v_dual_mov_b32 v0, v68 :: v_dual_mov_b32 v1, v69
	v_dual_mov_b32 v2, v70 :: v_dual_mov_b32 v3, v71
	s_getpc_b64 s[0:1]
	s_add_u32 s0, s0, _ZZZZN2at6native15exp_kernel_cudaERNS_18TensorIteratorBaseEENKUlvE_clEvENKUlvE_clEvENKUlN3c107complexIdEEE_clES7_@rel32@lo+4
	s_addc_u32 s1, s1, _ZZZZN2at6native15exp_kernel_cudaERNS_18TensorIteratorBaseEENKUlvE_clEvENKUlvE_clEvENKUlN3c107complexIdEEE_clES7_@rel32@hi+12
	s_delay_alu instid0(SALU_CYCLE_1)
	s_swappc_b64 s[30:31], s[0:1]
	v_dual_mov_b32 v72, v0 :: v_dual_mov_b32 v73, v1
	v_dual_mov_b32 v74, v2 :: v_dual_mov_b32 v75, v3
.LBB53_14:
	s_or_b32 exec_lo, exec_lo, s18
	v_or_b32_e32 v0, 0x300, v76
	v_dual_mov_b32 v56, v58 :: v_dual_mov_b32 v57, v59
	s_mov_b32 s18, exec_lo
	s_delay_alu instid0(VALU_DEP_2)
	v_cmpx_gt_i32_e64 s20, v0
	s_cbranch_execnz .LBB53_20
; %bb.15:
	s_or_b32 exec_lo, exec_lo, s18
	s_and_saveexec_b32 s0, s14
	s_delay_alu instid0(SALU_CYCLE_1)
	s_xor_b32 s0, exec_lo, s0
	s_cbranch_execnz .LBB53_21
.LBB53_16:
	s_or_b32 exec_lo, exec_lo, s0
	s_delay_alu instid0(SALU_CYCLE_1)
	s_mov_b32 s0, exec_lo
	v_cmpx_gt_i32_e64 s20, v76
	s_cbranch_execnz .LBB53_22
.LBB53_17:
	s_or_b32 exec_lo, exec_lo, s0
	s_delay_alu instid0(SALU_CYCLE_1)
	s_mov_b32 s0, exec_lo
	v_cmpx_gt_i32_e64 s20, v76
	s_cbranch_execnz .LBB53_23
.LBB53_18:
	s_or_b32 exec_lo, exec_lo, s0
	s_delay_alu instid0(SALU_CYCLE_1)
	s_mov_b32 s0, exec_lo
	v_cmpx_gt_i32_e64 s20, v76
	s_cbranch_execnz .LBB53_24
.LBB53_19:
	s_endpgm
.LBB53_20:
	v_dual_mov_b32 v0, v44 :: v_dual_mov_b32 v1, v45
	v_dual_mov_b32 v2, v46 :: v_dual_mov_b32 v3, v47
	s_getpc_b64 s[0:1]
	s_add_u32 s0, s0, _ZZZZN2at6native15exp_kernel_cudaERNS_18TensorIteratorBaseEENKUlvE_clEvENKUlvE_clEvENKUlN3c107complexIdEEE_clES7_@rel32@lo+4
	s_addc_u32 s1, s1, _ZZZZN2at6native15exp_kernel_cudaERNS_18TensorIteratorBaseEENKUlvE_clEvENKUlvE_clEvENKUlN3c107complexIdEEE_clES7_@rel32@hi+12
	s_delay_alu instid0(SALU_CYCLE_1) | instskip(SKIP_4) | instid1(SALU_CYCLE_1)
	s_swappc_b64 s[30:31], s[0:1]
	v_dual_mov_b32 v56, v0 :: v_dual_mov_b32 v57, v1
	v_dual_mov_b32 v58, v2 :: v_dual_mov_b32 v59, v3
	s_or_b32 exec_lo, exec_lo, s18
	s_and_saveexec_b32 s0, s14
	s_xor_b32 s0, exec_lo, s0
	s_cbranch_execz .LBB53_16
.LBB53_21:
	v_mov_b32_e32 v78, 0
	v_mov_b32_e32 v76, v79
	s_delay_alu instid0(VALU_DEP_2) | instskip(NEXT) | instid1(VALU_DEP_1)
	v_lshlrev_b64 v[0:1], 4, v[77:78]
	v_add_co_u32 v0, vcc_lo, s16, v0
	s_delay_alu instid0(VALU_DEP_2) | instskip(SKIP_2) | instid1(SALU_CYCLE_1)
	v_add_co_ci_u32_e32 v1, vcc_lo, s17, v1, vcc_lo
	global_store_b128 v[0:1], v[60:63], off
	s_or_b32 exec_lo, exec_lo, s0
	s_mov_b32 s0, exec_lo
	v_cmpx_gt_i32_e64 s20, v76
	s_cbranch_execz .LBB53_17
.LBB53_22:
	v_dual_mov_b32 v1, 0 :: v_dual_add_nc_u32 v0, s15, v76
	v_add_nc_u32_e32 v76, 0x100, v76
	s_delay_alu instid0(VALU_DEP_2) | instskip(NEXT) | instid1(VALU_DEP_1)
	v_lshlrev_b64 v[0:1], 4, v[0:1]
	v_add_co_u32 v0, vcc_lo, s16, v0
	s_delay_alu instid0(VALU_DEP_2) | instskip(SKIP_2) | instid1(SALU_CYCLE_1)
	v_add_co_ci_u32_e32 v1, vcc_lo, s17, v1, vcc_lo
	global_store_b128 v[0:1], v[40:43], off
	s_or_b32 exec_lo, exec_lo, s0
	s_mov_b32 s0, exec_lo
	v_cmpx_gt_i32_e64 s20, v76
	s_cbranch_execz .LBB53_18
.LBB53_23:
	v_dual_mov_b32 v1, 0 :: v_dual_add_nc_u32 v0, s15, v76
	v_add_nc_u32_e32 v76, 0x100, v76
	s_delay_alu instid0(VALU_DEP_2) | instskip(NEXT) | instid1(VALU_DEP_1)
	v_lshlrev_b64 v[0:1], 4, v[0:1]
	v_add_co_u32 v0, vcc_lo, s16, v0
	s_delay_alu instid0(VALU_DEP_2) | instskip(SKIP_2) | instid1(SALU_CYCLE_1)
	v_add_co_ci_u32_e32 v1, vcc_lo, s17, v1, vcc_lo
	global_store_b128 v[0:1], v[72:75], off
	s_or_b32 exec_lo, exec_lo, s0
	s_mov_b32 s0, exec_lo
	v_cmpx_gt_i32_e64 s20, v76
	s_cbranch_execz .LBB53_19
.LBB53_24:
	v_dual_mov_b32 v1, 0 :: v_dual_add_nc_u32 v0, s15, v76
	s_delay_alu instid0(VALU_DEP_1) | instskip(NEXT) | instid1(VALU_DEP_1)
	v_lshlrev_b64 v[0:1], 4, v[0:1]
	v_add_co_u32 v0, vcc_lo, s16, v0
	s_delay_alu instid0(VALU_DEP_2)
	v_add_co_ci_u32_e32 v1, vcc_lo, s17, v1, vcc_lo
	global_store_b128 v[0:1], v[56:59], off
	s_endpgm
	.section	.rodata,"a",@progbits
	.p2align	6, 0x0
	.amdhsa_kernel _ZN2at6native27unrolled_elementwise_kernelIZZZNS0_15exp_kernel_cudaERNS_18TensorIteratorBaseEENKUlvE_clEvENKUlvE_clEvEUlN3c107complexIdEEE_St5arrayIPcLm2EELi4E23TrivialOffsetCalculatorILi1EjESE_NS0_6memory15LoadWithoutCastENSF_16StoreWithoutCastEEEviT_T0_T2_T3_T4_T5_
		.amdhsa_group_segment_fixed_size 0
		.amdhsa_private_segment_fixed_size 0
		.amdhsa_kernarg_size 28
		.amdhsa_user_sgpr_count 15
		.amdhsa_user_sgpr_dispatch_ptr 0
		.amdhsa_user_sgpr_queue_ptr 0
		.amdhsa_user_sgpr_kernarg_segment_ptr 1
		.amdhsa_user_sgpr_dispatch_id 0
		.amdhsa_user_sgpr_private_segment_size 0
		.amdhsa_wavefront_size32 1
		.amdhsa_uses_dynamic_stack 0
		.amdhsa_enable_private_segment 0
		.amdhsa_system_sgpr_workgroup_id_x 1
		.amdhsa_system_sgpr_workgroup_id_y 0
		.amdhsa_system_sgpr_workgroup_id_z 0
		.amdhsa_system_sgpr_workgroup_info 0
		.amdhsa_system_vgpr_workitem_id 0
		.amdhsa_next_free_vgpr 80
		.amdhsa_next_free_sgpr 33
		.amdhsa_reserve_vcc 1
		.amdhsa_float_round_mode_32 0
		.amdhsa_float_round_mode_16_64 0
		.amdhsa_float_denorm_mode_32 3
		.amdhsa_float_denorm_mode_16_64 3
		.amdhsa_dx10_clamp 1
		.amdhsa_ieee_mode 1
		.amdhsa_fp16_overflow 0
		.amdhsa_workgroup_processor_mode 1
		.amdhsa_memory_ordered 1
		.amdhsa_forward_progress 0
		.amdhsa_shared_vgpr_count 0
		.amdhsa_exception_fp_ieee_invalid_op 0
		.amdhsa_exception_fp_denorm_src 0
		.amdhsa_exception_fp_ieee_div_zero 0
		.amdhsa_exception_fp_ieee_overflow 0
		.amdhsa_exception_fp_ieee_underflow 0
		.amdhsa_exception_fp_ieee_inexact 0
		.amdhsa_exception_int_div_zero 0
	.end_amdhsa_kernel
	.section	.text._ZN2at6native27unrolled_elementwise_kernelIZZZNS0_15exp_kernel_cudaERNS_18TensorIteratorBaseEENKUlvE_clEvENKUlvE_clEvEUlN3c107complexIdEEE_St5arrayIPcLm2EELi4E23TrivialOffsetCalculatorILi1EjESE_NS0_6memory15LoadWithoutCastENSF_16StoreWithoutCastEEEviT_T0_T2_T3_T4_T5_,"axG",@progbits,_ZN2at6native27unrolled_elementwise_kernelIZZZNS0_15exp_kernel_cudaERNS_18TensorIteratorBaseEENKUlvE_clEvENKUlvE_clEvEUlN3c107complexIdEEE_St5arrayIPcLm2EELi4E23TrivialOffsetCalculatorILi1EjESE_NS0_6memory15LoadWithoutCastENSF_16StoreWithoutCastEEEviT_T0_T2_T3_T4_T5_,comdat
.Lfunc_end53:
	.size	_ZN2at6native27unrolled_elementwise_kernelIZZZNS0_15exp_kernel_cudaERNS_18TensorIteratorBaseEENKUlvE_clEvENKUlvE_clEvEUlN3c107complexIdEEE_St5arrayIPcLm2EELi4E23TrivialOffsetCalculatorILi1EjESE_NS0_6memory15LoadWithoutCastENSF_16StoreWithoutCastEEEviT_T0_T2_T3_T4_T5_, .Lfunc_end53-_ZN2at6native27unrolled_elementwise_kernelIZZZNS0_15exp_kernel_cudaERNS_18TensorIteratorBaseEENKUlvE_clEvENKUlvE_clEvEUlN3c107complexIdEEE_St5arrayIPcLm2EELi4E23TrivialOffsetCalculatorILi1EjESE_NS0_6memory15LoadWithoutCastENSF_16StoreWithoutCastEEEviT_T0_T2_T3_T4_T5_
                                        ; -- End function
	.section	.AMDGPU.csdata,"",@progbits
; Kernel info:
; codeLenInByte = 1168
; NumSgprs: 35
; NumVgprs: 80
; ScratchSize: 0
; MemoryBound: 0
; FloatMode: 240
; IeeeMode: 1
; LDSByteSize: 0 bytes/workgroup (compile time only)
; SGPRBlocks: 4
; VGPRBlocks: 9
; NumSGPRsForWavesPerEU: 35
; NumVGPRsForWavesPerEU: 80
; Occupancy: 16
; WaveLimiterHint : 0
; COMPUTE_PGM_RSRC2:SCRATCH_EN: 0
; COMPUTE_PGM_RSRC2:USER_SGPR: 15
; COMPUTE_PGM_RSRC2:TRAP_HANDLER: 0
; COMPUTE_PGM_RSRC2:TGID_X_EN: 1
; COMPUTE_PGM_RSRC2:TGID_Y_EN: 0
; COMPUTE_PGM_RSRC2:TGID_Z_EN: 0
; COMPUTE_PGM_RSRC2:TIDIG_COMP_CNT: 0
	.section	.text._ZN2at6native32elementwise_kernel_manual_unrollILi128ELi4EZNS0_22gpu_kernel_impl_nocastIZZZNS0_15exp_kernel_cudaERNS_18TensorIteratorBaseEENKUlvE_clEvENKUlvE_clEvEUlN3c107complexIdEEE_EEvS4_RKT_EUlibE_EEviT1_,"axG",@progbits,_ZN2at6native32elementwise_kernel_manual_unrollILi128ELi4EZNS0_22gpu_kernel_impl_nocastIZZZNS0_15exp_kernel_cudaERNS_18TensorIteratorBaseEENKUlvE_clEvENKUlvE_clEvEUlN3c107complexIdEEE_EEvS4_RKT_EUlibE_EEviT1_,comdat
	.globl	_ZN2at6native32elementwise_kernel_manual_unrollILi128ELi4EZNS0_22gpu_kernel_impl_nocastIZZZNS0_15exp_kernel_cudaERNS_18TensorIteratorBaseEENKUlvE_clEvENKUlvE_clEvEUlN3c107complexIdEEE_EEvS4_RKT_EUlibE_EEviT1_ ; -- Begin function _ZN2at6native32elementwise_kernel_manual_unrollILi128ELi4EZNS0_22gpu_kernel_impl_nocastIZZZNS0_15exp_kernel_cudaERNS_18TensorIteratorBaseEENKUlvE_clEvENKUlvE_clEvEUlN3c107complexIdEEE_EEvS4_RKT_EUlibE_EEviT1_
	.p2align	8
	.type	_ZN2at6native32elementwise_kernel_manual_unrollILi128ELi4EZNS0_22gpu_kernel_impl_nocastIZZZNS0_15exp_kernel_cudaERNS_18TensorIteratorBaseEENKUlvE_clEvENKUlvE_clEvEUlN3c107complexIdEEE_EEvS4_RKT_EUlibE_EEviT1_,@function
_ZN2at6native32elementwise_kernel_manual_unrollILi128ELi4EZNS0_22gpu_kernel_impl_nocastIZZZNS0_15exp_kernel_cudaERNS_18TensorIteratorBaseEENKUlvE_clEvENKUlvE_clEvEUlN3c107complexIdEEE_EEvS4_RKT_EUlibE_EEviT1_: ; @_ZN2at6native32elementwise_kernel_manual_unrollILi128ELi4EZNS0_22gpu_kernel_impl_nocastIZZZNS0_15exp_kernel_cudaERNS_18TensorIteratorBaseEENKUlvE_clEvENKUlvE_clEvEUlN3c107complexIdEEE_EEvS4_RKT_EUlibE_EEviT1_
; %bb.0:
	s_clause 0x1
	s_load_b32 s28, s[0:1], 0x8
	s_load_b32 s40, s[0:1], 0x0
	v_lshl_or_b32 v41, s15, 9, v0
	s_mov_b64 s[16:17], s[0:1]
	s_mov_b32 s14, 0
	s_or_b32 s16, s16, 8
	s_mov_b32 s32, 0
	v_or_b32_e32 v1, 0x180, v41
                                        ; implicit-def: $vgpr70_vgpr71
                                        ; implicit-def: $vgpr2_vgpr3
	s_mov_b32 s0, exec_lo
	s_waitcnt lgkmcnt(0)
	s_add_i32 s29, s28, -1
	s_delay_alu instid0(SALU_CYCLE_1)
	s_cmp_gt_u32 s29, 1
	s_cselect_b32 s33, -1, 0
	v_cmpx_le_i32_e64 s40, v1
	s_xor_b32 s34, exec_lo, s0
	s_cbranch_execnz .LBB54_4
; %bb.1:
	s_and_not1_saveexec_b32 s15, s34
	s_cbranch_execnz .LBB54_65
.LBB54_2:
	s_or_b32 exec_lo, exec_lo, s15
	s_and_saveexec_b32 s0, s14
	s_cbranch_execnz .LBB54_118
.LBB54_3:
	s_endpgm
.LBB54_4:
	s_clause 0x3
	s_load_b128 s[36:39], s[16:17], 0x4
	s_load_b64 s[14:15], s[16:17], 0x14
	s_load_b128 s[24:27], s[16:17], 0xc4
	s_load_b128 s[20:23], s[16:17], 0x148
	s_cmp_lg_u32 s28, 0
	s_mov_b32 s43, exec_lo
	s_cselect_b32 s42, -1, 0
	s_add_u32 s18, s16, 0xc4
	s_addc_u32 s19, s17, 0
	s_min_u32 s41, s29, 15
	s_cmp_gt_u32 s28, 1
	s_cselect_b32 s35, -1, 0
	v_cmpx_gt_i32_e64 s40, v41
	s_cbranch_execnz .LBB54_7
; %bb.5:
	s_or_b32 exec_lo, exec_lo, s43
	s_delay_alu instid0(SALU_CYCLE_1)
	s_mov_b32 s43, exec_lo
	v_cmpx_gt_i32_e64 s40, v41
	s_cbranch_execnz .LBB54_21
.LBB54_6:
	s_or_b32 exec_lo, exec_lo, s43
	s_delay_alu instid0(SALU_CYCLE_1)
	s_mov_b32 s43, exec_lo
	v_cmpx_gt_i32_e64 s40, v41
	s_cbranch_execnz .LBB54_35
	s_branch .LBB54_49
.LBB54_7:
	s_and_not1_b32 vcc_lo, exec_lo, s33
	s_cbranch_vccnz .LBB54_12
; %bb.8:
	v_mov_b32_e32 v40, 0
	v_mov_b32_e32 v0, 0
	s_and_not1_b32 vcc_lo, exec_lo, s42
	s_mov_b32 s4, 0
	s_cbranch_vccnz .LBB54_17
; %bb.9:
	v_mov_b32_e32 v40, 0
	s_add_i32 s6, s41, 1
	s_cmp_eq_u32 s29, 2
	s_mov_b32 s5, 0
	s_cbranch_scc1 .LBB54_13
; %bb.10:
	v_dual_mov_b32 v0, 0 :: v_dual_mov_b32 v1, v41
	v_mov_b32_e32 v40, 0
	s_and_b32 s5, s6, 28
	s_mov_b32 s7, 0
	s_mov_b64 s[0:1], s[18:19]
	s_mov_b64 s[2:3], s[16:17]
.LBB54_11:                              ; =>This Inner Loop Header: Depth=1
	s_clause 0x1
	s_load_b256 s[44:51], s[2:3], 0x4
	s_load_b128 s[8:11], s[2:3], 0x24
	s_load_b256 s[52:59], s[0:1], 0x0
	s_add_u32 s2, s2, 48
	s_addc_u32 s3, s3, 0
	s_add_i32 s7, s7, 4
	s_add_u32 s0, s0, 32
	s_addc_u32 s1, s1, 0
	s_cmp_lg_u32 s5, s7
	s_waitcnt lgkmcnt(0)
	v_mul_hi_u32 v2, s45, v1
	s_delay_alu instid0(VALU_DEP_1) | instskip(NEXT) | instid1(VALU_DEP_1)
	v_add_nc_u32_e32 v2, v1, v2
	v_lshrrev_b32_e32 v2, s46, v2
	s_delay_alu instid0(VALU_DEP_1) | instskip(SKIP_1) | instid1(VALU_DEP_2)
	v_mul_hi_u32 v3, s48, v2
	v_mul_lo_u32 v5, v2, s44
	v_add_nc_u32_e32 v3, v2, v3
	s_delay_alu instid0(VALU_DEP_2) | instskip(NEXT) | instid1(VALU_DEP_2)
	v_sub_nc_u32_e32 v1, v1, v5
	v_lshrrev_b32_e32 v3, s49, v3
	s_delay_alu instid0(VALU_DEP_2) | instskip(SKIP_1) | instid1(VALU_DEP_3)
	v_mul_lo_u32 v5, v1, s52
	v_mul_lo_u32 v7, v1, s53
	v_mul_hi_u32 v4, s51, v3
	s_delay_alu instid0(VALU_DEP_1) | instskip(NEXT) | instid1(VALU_DEP_1)
	v_add_nc_u32_e32 v4, v3, v4
	v_lshrrev_b32_e32 v4, s8, v4
	s_delay_alu instid0(VALU_DEP_1) | instskip(SKIP_1) | instid1(VALU_DEP_2)
	v_mul_hi_u32 v6, s10, v4
	v_mul_lo_u32 v8, v4, s50
	v_add_nc_u32_e32 v1, v4, v6
	v_mul_lo_u32 v6, v3, s47
	s_delay_alu instid0(VALU_DEP_3) | instskip(NEXT) | instid1(VALU_DEP_3)
	v_sub_nc_u32_e32 v3, v3, v8
	v_lshrrev_b32_e32 v1, s11, v1
	s_delay_alu instid0(VALU_DEP_2) | instskip(SKIP_2) | instid1(VALU_DEP_4)
	v_mul_lo_u32 v8, v3, s56
	v_mul_lo_u32 v3, v3, s57
	v_sub_nc_u32_e32 v2, v2, v6
	v_mul_lo_u32 v9, v1, s9
	s_delay_alu instid0(VALU_DEP_2) | instskip(SKIP_1) | instid1(VALU_DEP_3)
	v_mul_lo_u32 v6, v2, s54
	v_mul_lo_u32 v2, v2, s55
	v_sub_nc_u32_e32 v4, v4, v9
	s_delay_alu instid0(VALU_DEP_3) | instskip(NEXT) | instid1(VALU_DEP_2)
	v_add3_u32 v5, v5, v40, v6
	v_mul_lo_u32 v9, v4, s58
	v_mul_lo_u32 v4, v4, s59
	v_add3_u32 v0, v7, v0, v2
	s_delay_alu instid0(VALU_DEP_3) | instskip(NEXT) | instid1(VALU_DEP_2)
	v_add3_u32 v40, v8, v5, v9
	v_add3_u32 v0, v3, v0, v4
	s_cbranch_scc1 .LBB54_11
	s_branch .LBB54_14
.LBB54_12:
	s_mov_b32 s4, -1
                                        ; implicit-def: $vgpr40
                                        ; implicit-def: $vgpr0
	s_branch .LBB54_17
.LBB54_13:
	v_dual_mov_b32 v1, v41 :: v_dual_mov_b32 v0, 0
.LBB54_14:
	s_and_b32 s6, s6, 3
	s_delay_alu instid0(SALU_CYCLE_1)
	s_cmp_eq_u32 s6, 0
	s_cbranch_scc1 .LBB54_17
; %bb.15:
	s_lshl_b32 s0, s5, 3
	s_mul_i32 s2, s5, 12
	s_add_u32 s0, s0, s16
	s_addc_u32 s1, s17, 0
	s_add_u32 s0, s0, 0xc4
	s_addc_u32 s1, s1, 0
	;; [unrolled: 2-line block ×3, first 2 shown]
	.p2align	6
.LBB54_16:                              ; =>This Inner Loop Header: Depth=1
	s_clause 0x1
	s_load_b64 s[8:9], s[2:3], 0x4
	s_load_b32 s5, s[2:3], 0xc
	s_load_b64 s[10:11], s[0:1], 0x0
	s_add_u32 s2, s2, 12
	s_addc_u32 s3, s3, 0
	s_add_u32 s0, s0, 8
	s_addc_u32 s1, s1, 0
	s_add_i32 s6, s6, -1
	s_delay_alu instid0(SALU_CYCLE_1) | instskip(SKIP_2) | instid1(VALU_DEP_1)
	s_cmp_lg_u32 s6, 0
	s_waitcnt lgkmcnt(0)
	v_mul_hi_u32 v2, s9, v1
	v_add_nc_u32_e32 v2, v1, v2
	s_delay_alu instid0(VALU_DEP_1) | instskip(NEXT) | instid1(VALU_DEP_1)
	v_lshrrev_b32_e32 v5, s5, v2
	v_mul_lo_u32 v2, v5, s8
	s_delay_alu instid0(VALU_DEP_1) | instskip(NEXT) | instid1(VALU_DEP_1)
	v_sub_nc_u32_e32 v1, v1, v2
	v_mad_u64_u32 v[2:3], null, v1, s10, v[40:41]
	v_mad_u64_u32 v[3:4], null, v1, s11, v[0:1]
	s_delay_alu instid0(VALU_DEP_2) | instskip(NEXT) | instid1(VALU_DEP_2)
	v_dual_mov_b32 v1, v5 :: v_dual_mov_b32 v40, v2
	v_mov_b32_e32 v0, v3
	s_cbranch_scc1 .LBB54_16
.LBB54_17:
	s_and_not1_b32 vcc_lo, exec_lo, s4
	s_cbranch_vccnz .LBB54_20
; %bb.18:
	s_waitcnt lgkmcnt(0)
	v_mul_hi_u32 v0, s37, v41
	s_and_not1_b32 vcc_lo, exec_lo, s35
	s_delay_alu instid0(VALU_DEP_1) | instskip(NEXT) | instid1(VALU_DEP_1)
	v_add_nc_u32_e32 v0, v41, v0
	v_lshrrev_b32_e32 v1, s38, v0
	s_delay_alu instid0(VALU_DEP_1) | instskip(NEXT) | instid1(VALU_DEP_1)
	v_mul_lo_u32 v0, v1, s36
	v_sub_nc_u32_e32 v0, v41, v0
	s_delay_alu instid0(VALU_DEP_1)
	v_mul_lo_u32 v40, v0, s24
	v_mul_lo_u32 v0, v0, s25
	s_cbranch_vccnz .LBB54_20
; %bb.19:
	v_mul_hi_u32 v2, s14, v1
	s_delay_alu instid0(VALU_DEP_1) | instskip(NEXT) | instid1(VALU_DEP_1)
	v_add_nc_u32_e32 v2, v1, v2
	v_lshrrev_b32_e32 v2, s15, v2
	s_delay_alu instid0(VALU_DEP_1) | instskip(NEXT) | instid1(VALU_DEP_1)
	v_mul_lo_u32 v2, v2, s39
	v_sub_nc_u32_e32 v4, v1, v2
	s_delay_alu instid0(VALU_DEP_1) | instskip(NEXT) | instid1(VALU_DEP_1)
	v_mad_u64_u32 v[1:2], null, v4, s26, v[40:41]
	v_mad_u64_u32 v[2:3], null, v4, s27, v[0:1]
	v_mov_b32_e32 v40, v1
	s_delay_alu instid0(VALU_DEP_2)
	v_mov_b32_e32 v0, v2
.LBB54_20:
	s_waitcnt lgkmcnt(0)
	global_load_b128 v[0:3], v0, s[22:23]
	s_getpc_b64 s[0:1]
	s_add_u32 s0, s0, _ZZZZN2at6native15exp_kernel_cudaERNS_18TensorIteratorBaseEENKUlvE_clEvENKUlvE_clEvENKUlN3c107complexIdEEE_clES7_@rel32@lo+4
	s_addc_u32 s1, s1, _ZZZZN2at6native15exp_kernel_cudaERNS_18TensorIteratorBaseEENKUlvE_clEvENKUlvE_clEvENKUlN3c107complexIdEEE_clES7_@rel32@hi+12
	s_delay_alu instid0(SALU_CYCLE_1) | instskip(SKIP_3) | instid1(SALU_CYCLE_1)
	s_swappc_b64 s[30:31], s[0:1]
	v_add_nc_u32_e32 v41, 0x80, v41
	global_store_b128 v40, v[0:3], s[20:21]
	s_or_b32 exec_lo, exec_lo, s43
	s_mov_b32 s43, exec_lo
	v_cmpx_gt_i32_e64 s40, v41
	s_cbranch_execz .LBB54_6
.LBB54_21:
	s_and_not1_b32 vcc_lo, exec_lo, s33
	s_cbranch_vccnz .LBB54_26
; %bb.22:
	v_mov_b32_e32 v40, 0
	v_mov_b32_e32 v0, 0
	s_and_not1_b32 vcc_lo, exec_lo, s42
	s_mov_b32 s4, 0
	s_cbranch_vccnz .LBB54_31
; %bb.23:
	v_mov_b32_e32 v40, 0
	s_add_i32 s6, s41, 1
	s_cmp_eq_u32 s29, 2
	s_mov_b32 s5, 0
	s_cbranch_scc1 .LBB54_27
; %bb.24:
	v_dual_mov_b32 v0, 0 :: v_dual_mov_b32 v1, v41
	v_mov_b32_e32 v40, 0
	s_and_b32 s5, s6, 28
	s_mov_b32 s7, 0
	s_mov_b64 s[0:1], s[18:19]
	s_mov_b64 s[2:3], s[16:17]
.LBB54_25:                              ; =>This Inner Loop Header: Depth=1
	s_clause 0x1
	s_load_b256 s[44:51], s[2:3], 0x4
	s_load_b128 s[8:11], s[2:3], 0x24
	s_load_b256 s[52:59], s[0:1], 0x0
	s_add_u32 s2, s2, 48
	s_addc_u32 s3, s3, 0
	s_add_i32 s7, s7, 4
	s_add_u32 s0, s0, 32
	s_addc_u32 s1, s1, 0
	s_cmp_eq_u32 s5, s7
	s_waitcnt lgkmcnt(0)
	v_mul_hi_u32 v2, s45, v1
	s_delay_alu instid0(VALU_DEP_1) | instskip(NEXT) | instid1(VALU_DEP_1)
	v_add_nc_u32_e32 v2, v1, v2
	v_lshrrev_b32_e32 v2, s46, v2
	s_delay_alu instid0(VALU_DEP_1) | instskip(SKIP_1) | instid1(VALU_DEP_2)
	v_mul_hi_u32 v3, s48, v2
	v_mul_lo_u32 v5, v2, s44
	v_add_nc_u32_e32 v3, v2, v3
	s_delay_alu instid0(VALU_DEP_2) | instskip(NEXT) | instid1(VALU_DEP_2)
	v_sub_nc_u32_e32 v1, v1, v5
	v_lshrrev_b32_e32 v3, s49, v3
	s_delay_alu instid0(VALU_DEP_2) | instskip(SKIP_1) | instid1(VALU_DEP_3)
	v_mul_lo_u32 v5, v1, s52
	v_mul_lo_u32 v7, v1, s53
	v_mul_hi_u32 v4, s51, v3
	s_delay_alu instid0(VALU_DEP_1) | instskip(NEXT) | instid1(VALU_DEP_1)
	v_add_nc_u32_e32 v4, v3, v4
	v_lshrrev_b32_e32 v4, s8, v4
	s_delay_alu instid0(VALU_DEP_1) | instskip(SKIP_1) | instid1(VALU_DEP_2)
	v_mul_hi_u32 v6, s10, v4
	v_mul_lo_u32 v8, v4, s50
	v_add_nc_u32_e32 v1, v4, v6
	v_mul_lo_u32 v6, v3, s47
	s_delay_alu instid0(VALU_DEP_3) | instskip(NEXT) | instid1(VALU_DEP_3)
	v_sub_nc_u32_e32 v3, v3, v8
	v_lshrrev_b32_e32 v1, s11, v1
	s_delay_alu instid0(VALU_DEP_2) | instskip(SKIP_2) | instid1(VALU_DEP_4)
	v_mul_lo_u32 v8, v3, s56
	v_mul_lo_u32 v3, v3, s57
	v_sub_nc_u32_e32 v2, v2, v6
	v_mul_lo_u32 v9, v1, s9
	s_delay_alu instid0(VALU_DEP_2) | instskip(SKIP_1) | instid1(VALU_DEP_3)
	v_mul_lo_u32 v6, v2, s54
	v_mul_lo_u32 v2, v2, s55
	v_sub_nc_u32_e32 v4, v4, v9
	s_delay_alu instid0(VALU_DEP_3) | instskip(NEXT) | instid1(VALU_DEP_2)
	v_add3_u32 v5, v5, v40, v6
	v_mul_lo_u32 v9, v4, s58
	v_mul_lo_u32 v4, v4, s59
	v_add3_u32 v0, v7, v0, v2
	s_delay_alu instid0(VALU_DEP_3) | instskip(NEXT) | instid1(VALU_DEP_2)
	v_add3_u32 v40, v8, v5, v9
	v_add3_u32 v0, v3, v0, v4
	s_cbranch_scc0 .LBB54_25
	s_branch .LBB54_28
.LBB54_26:
	s_mov_b32 s4, -1
                                        ; implicit-def: $vgpr40
                                        ; implicit-def: $vgpr0
	s_branch .LBB54_31
.LBB54_27:
	v_dual_mov_b32 v1, v41 :: v_dual_mov_b32 v0, 0
.LBB54_28:
	s_and_b32 s6, s6, 3
	s_delay_alu instid0(SALU_CYCLE_1)
	s_cmp_eq_u32 s6, 0
	s_cbranch_scc1 .LBB54_31
; %bb.29:
	s_lshl_b32 s0, s5, 3
	s_mul_i32 s2, s5, 12
	s_add_u32 s0, s0, s16
	s_addc_u32 s1, s17, 0
	s_add_u32 s0, s0, 0xc4
	s_addc_u32 s1, s1, 0
	;; [unrolled: 2-line block ×3, first 2 shown]
	.p2align	6
.LBB54_30:                              ; =>This Inner Loop Header: Depth=1
	s_clause 0x1
	s_load_b64 s[8:9], s[2:3], 0x4
	s_load_b32 s5, s[2:3], 0xc
	s_load_b64 s[10:11], s[0:1], 0x0
	s_add_u32 s2, s2, 12
	s_addc_u32 s3, s3, 0
	s_add_u32 s0, s0, 8
	s_addc_u32 s1, s1, 0
	s_add_i32 s6, s6, -1
	s_delay_alu instid0(SALU_CYCLE_1) | instskip(SKIP_2) | instid1(VALU_DEP_1)
	s_cmp_lg_u32 s6, 0
	s_waitcnt lgkmcnt(0)
	v_mul_hi_u32 v2, s9, v1
	v_add_nc_u32_e32 v2, v1, v2
	s_delay_alu instid0(VALU_DEP_1) | instskip(NEXT) | instid1(VALU_DEP_1)
	v_lshrrev_b32_e32 v5, s5, v2
	v_mul_lo_u32 v2, v5, s8
	s_delay_alu instid0(VALU_DEP_1) | instskip(NEXT) | instid1(VALU_DEP_1)
	v_sub_nc_u32_e32 v1, v1, v2
	v_mad_u64_u32 v[2:3], null, v1, s10, v[40:41]
	v_mad_u64_u32 v[3:4], null, v1, s11, v[0:1]
	s_delay_alu instid0(VALU_DEP_2) | instskip(NEXT) | instid1(VALU_DEP_2)
	v_dual_mov_b32 v1, v5 :: v_dual_mov_b32 v40, v2
	v_mov_b32_e32 v0, v3
	s_cbranch_scc1 .LBB54_30
.LBB54_31:
	s_and_not1_b32 vcc_lo, exec_lo, s4
	s_cbranch_vccnz .LBB54_34
; %bb.32:
	s_waitcnt lgkmcnt(0)
	v_mul_hi_u32 v0, s37, v41
	s_and_not1_b32 vcc_lo, exec_lo, s35
	s_delay_alu instid0(VALU_DEP_1) | instskip(NEXT) | instid1(VALU_DEP_1)
	v_add_nc_u32_e32 v0, v41, v0
	v_lshrrev_b32_e32 v1, s38, v0
	s_delay_alu instid0(VALU_DEP_1) | instskip(NEXT) | instid1(VALU_DEP_1)
	v_mul_lo_u32 v0, v1, s36
	v_sub_nc_u32_e32 v0, v41, v0
	s_delay_alu instid0(VALU_DEP_1)
	v_mul_lo_u32 v40, v0, s24
	v_mul_lo_u32 v0, v0, s25
	s_cbranch_vccnz .LBB54_34
; %bb.33:
	v_mul_hi_u32 v2, s14, v1
	s_delay_alu instid0(VALU_DEP_1) | instskip(NEXT) | instid1(VALU_DEP_1)
	v_add_nc_u32_e32 v2, v1, v2
	v_lshrrev_b32_e32 v2, s15, v2
	s_delay_alu instid0(VALU_DEP_1) | instskip(NEXT) | instid1(VALU_DEP_1)
	v_mul_lo_u32 v2, v2, s39
	v_sub_nc_u32_e32 v4, v1, v2
	s_delay_alu instid0(VALU_DEP_1) | instskip(NEXT) | instid1(VALU_DEP_1)
	v_mad_u64_u32 v[1:2], null, v4, s26, v[40:41]
	v_mad_u64_u32 v[2:3], null, v4, s27, v[0:1]
	v_mov_b32_e32 v40, v1
	s_delay_alu instid0(VALU_DEP_2)
	v_mov_b32_e32 v0, v2
.LBB54_34:
	s_waitcnt lgkmcnt(0)
	global_load_b128 v[0:3], v0, s[22:23]
	s_getpc_b64 s[0:1]
	s_add_u32 s0, s0, _ZZZZN2at6native15exp_kernel_cudaERNS_18TensorIteratorBaseEENKUlvE_clEvENKUlvE_clEvENKUlN3c107complexIdEEE_clES7_@rel32@lo+4
	s_addc_u32 s1, s1, _ZZZZN2at6native15exp_kernel_cudaERNS_18TensorIteratorBaseEENKUlvE_clEvENKUlvE_clEvENKUlN3c107complexIdEEE_clES7_@rel32@hi+12
	s_delay_alu instid0(SALU_CYCLE_1) | instskip(SKIP_3) | instid1(SALU_CYCLE_1)
	s_swappc_b64 s[30:31], s[0:1]
	v_add_nc_u32_e32 v41, 0x80, v41
	global_store_b128 v40, v[0:3], s[20:21]
	s_or_b32 exec_lo, exec_lo, s43
	s_mov_b32 s43, exec_lo
	v_cmpx_gt_i32_e64 s40, v41
	s_cbranch_execz .LBB54_49
.LBB54_35:
	s_and_not1_b32 vcc_lo, exec_lo, s33
	s_cbranch_vccnz .LBB54_40
; %bb.36:
	v_mov_b32_e32 v40, 0
	v_mov_b32_e32 v0, 0
	s_and_not1_b32 vcc_lo, exec_lo, s42
	s_mov_b32 s4, 0
	s_cbranch_vccnz .LBB54_45
; %bb.37:
	v_mov_b32_e32 v40, 0
	s_add_i32 s6, s41, 1
	s_cmp_eq_u32 s29, 2
	s_mov_b32 s5, 0
	s_cbranch_scc1 .LBB54_41
; %bb.38:
	v_dual_mov_b32 v0, 0 :: v_dual_mov_b32 v1, v41
	v_mov_b32_e32 v40, 0
	s_and_b32 s5, s6, 28
	s_mov_b32 s7, 0
	s_mov_b64 s[0:1], s[18:19]
	s_mov_b64 s[2:3], s[16:17]
.LBB54_39:                              ; =>This Inner Loop Header: Depth=1
	s_clause 0x1
	s_load_b256 s[44:51], s[2:3], 0x4
	s_load_b128 s[8:11], s[2:3], 0x24
	s_load_b256 s[52:59], s[0:1], 0x0
	s_add_u32 s2, s2, 48
	s_addc_u32 s3, s3, 0
	s_add_i32 s7, s7, 4
	s_add_u32 s0, s0, 32
	s_addc_u32 s1, s1, 0
	s_cmp_eq_u32 s5, s7
	s_waitcnt lgkmcnt(0)
	v_mul_hi_u32 v2, s45, v1
	s_delay_alu instid0(VALU_DEP_1) | instskip(NEXT) | instid1(VALU_DEP_1)
	v_add_nc_u32_e32 v2, v1, v2
	v_lshrrev_b32_e32 v2, s46, v2
	s_delay_alu instid0(VALU_DEP_1) | instskip(SKIP_1) | instid1(VALU_DEP_2)
	v_mul_hi_u32 v3, s48, v2
	v_mul_lo_u32 v5, v2, s44
	v_add_nc_u32_e32 v3, v2, v3
	s_delay_alu instid0(VALU_DEP_2) | instskip(NEXT) | instid1(VALU_DEP_2)
	v_sub_nc_u32_e32 v1, v1, v5
	v_lshrrev_b32_e32 v3, s49, v3
	s_delay_alu instid0(VALU_DEP_2) | instskip(SKIP_1) | instid1(VALU_DEP_3)
	v_mul_lo_u32 v5, v1, s52
	v_mul_lo_u32 v7, v1, s53
	v_mul_hi_u32 v4, s51, v3
	s_delay_alu instid0(VALU_DEP_1) | instskip(NEXT) | instid1(VALU_DEP_1)
	v_add_nc_u32_e32 v4, v3, v4
	v_lshrrev_b32_e32 v4, s8, v4
	s_delay_alu instid0(VALU_DEP_1) | instskip(SKIP_1) | instid1(VALU_DEP_2)
	v_mul_hi_u32 v6, s10, v4
	v_mul_lo_u32 v8, v4, s50
	v_add_nc_u32_e32 v1, v4, v6
	v_mul_lo_u32 v6, v3, s47
	s_delay_alu instid0(VALU_DEP_3) | instskip(NEXT) | instid1(VALU_DEP_3)
	v_sub_nc_u32_e32 v3, v3, v8
	v_lshrrev_b32_e32 v1, s11, v1
	s_delay_alu instid0(VALU_DEP_2) | instskip(SKIP_2) | instid1(VALU_DEP_4)
	v_mul_lo_u32 v8, v3, s56
	v_mul_lo_u32 v3, v3, s57
	v_sub_nc_u32_e32 v2, v2, v6
	v_mul_lo_u32 v9, v1, s9
	s_delay_alu instid0(VALU_DEP_2) | instskip(SKIP_1) | instid1(VALU_DEP_3)
	v_mul_lo_u32 v6, v2, s54
	v_mul_lo_u32 v2, v2, s55
	v_sub_nc_u32_e32 v4, v4, v9
	s_delay_alu instid0(VALU_DEP_3) | instskip(NEXT) | instid1(VALU_DEP_2)
	v_add3_u32 v5, v5, v40, v6
	v_mul_lo_u32 v9, v4, s58
	v_mul_lo_u32 v4, v4, s59
	v_add3_u32 v0, v7, v0, v2
	s_delay_alu instid0(VALU_DEP_3) | instskip(NEXT) | instid1(VALU_DEP_2)
	v_add3_u32 v40, v8, v5, v9
	v_add3_u32 v0, v3, v0, v4
	s_cbranch_scc0 .LBB54_39
	s_branch .LBB54_42
.LBB54_40:
	s_mov_b32 s4, -1
                                        ; implicit-def: $vgpr40
                                        ; implicit-def: $vgpr0
	s_branch .LBB54_45
.LBB54_41:
	v_dual_mov_b32 v1, v41 :: v_dual_mov_b32 v0, 0
.LBB54_42:
	s_and_b32 s6, s6, 3
	s_delay_alu instid0(SALU_CYCLE_1)
	s_cmp_eq_u32 s6, 0
	s_cbranch_scc1 .LBB54_45
; %bb.43:
	s_lshl_b32 s0, s5, 3
	s_mul_i32 s2, s5, 12
	s_add_u32 s0, s0, s16
	s_addc_u32 s1, s17, 0
	s_add_u32 s0, s0, 0xc4
	s_addc_u32 s1, s1, 0
	;; [unrolled: 2-line block ×3, first 2 shown]
	.p2align	6
.LBB54_44:                              ; =>This Inner Loop Header: Depth=1
	s_clause 0x1
	s_load_b64 s[8:9], s[2:3], 0x4
	s_load_b32 s5, s[2:3], 0xc
	s_load_b64 s[10:11], s[0:1], 0x0
	s_add_u32 s2, s2, 12
	s_addc_u32 s3, s3, 0
	s_add_u32 s0, s0, 8
	s_addc_u32 s1, s1, 0
	s_add_i32 s6, s6, -1
	s_delay_alu instid0(SALU_CYCLE_1) | instskip(SKIP_2) | instid1(VALU_DEP_1)
	s_cmp_lg_u32 s6, 0
	s_waitcnt lgkmcnt(0)
	v_mul_hi_u32 v2, s9, v1
	v_add_nc_u32_e32 v2, v1, v2
	s_delay_alu instid0(VALU_DEP_1) | instskip(NEXT) | instid1(VALU_DEP_1)
	v_lshrrev_b32_e32 v5, s5, v2
	v_mul_lo_u32 v2, v5, s8
	s_delay_alu instid0(VALU_DEP_1) | instskip(NEXT) | instid1(VALU_DEP_1)
	v_sub_nc_u32_e32 v1, v1, v2
	v_mad_u64_u32 v[2:3], null, v1, s10, v[40:41]
	v_mad_u64_u32 v[3:4], null, v1, s11, v[0:1]
	s_delay_alu instid0(VALU_DEP_2) | instskip(NEXT) | instid1(VALU_DEP_2)
	v_dual_mov_b32 v1, v5 :: v_dual_mov_b32 v40, v2
	v_mov_b32_e32 v0, v3
	s_cbranch_scc1 .LBB54_44
.LBB54_45:
	s_and_not1_b32 vcc_lo, exec_lo, s4
	s_cbranch_vccnz .LBB54_48
; %bb.46:
	s_waitcnt lgkmcnt(0)
	v_mul_hi_u32 v0, s37, v41
	s_and_not1_b32 vcc_lo, exec_lo, s35
	s_delay_alu instid0(VALU_DEP_1) | instskip(NEXT) | instid1(VALU_DEP_1)
	v_add_nc_u32_e32 v0, v41, v0
	v_lshrrev_b32_e32 v1, s38, v0
	s_delay_alu instid0(VALU_DEP_1) | instskip(NEXT) | instid1(VALU_DEP_1)
	v_mul_lo_u32 v0, v1, s36
	v_sub_nc_u32_e32 v0, v41, v0
	s_delay_alu instid0(VALU_DEP_1)
	v_mul_lo_u32 v40, v0, s24
	v_mul_lo_u32 v0, v0, s25
	s_cbranch_vccnz .LBB54_48
; %bb.47:
	v_mul_hi_u32 v2, s14, v1
	s_delay_alu instid0(VALU_DEP_1) | instskip(NEXT) | instid1(VALU_DEP_1)
	v_add_nc_u32_e32 v2, v1, v2
	v_lshrrev_b32_e32 v2, s15, v2
	s_delay_alu instid0(VALU_DEP_1) | instskip(NEXT) | instid1(VALU_DEP_1)
	v_mul_lo_u32 v2, v2, s39
	v_sub_nc_u32_e32 v4, v1, v2
	s_delay_alu instid0(VALU_DEP_1) | instskip(NEXT) | instid1(VALU_DEP_1)
	v_mad_u64_u32 v[1:2], null, v4, s26, v[40:41]
	v_mad_u64_u32 v[2:3], null, v4, s27, v[0:1]
	v_mov_b32_e32 v40, v1
	s_delay_alu instid0(VALU_DEP_2)
	v_mov_b32_e32 v0, v2
.LBB54_48:
	s_waitcnt lgkmcnt(0)
	global_load_b128 v[0:3], v0, s[22:23]
	s_getpc_b64 s[0:1]
	s_add_u32 s0, s0, _ZZZZN2at6native15exp_kernel_cudaERNS_18TensorIteratorBaseEENKUlvE_clEvENKUlvE_clEvENKUlN3c107complexIdEEE_clES7_@rel32@lo+4
	s_addc_u32 s1, s1, _ZZZZN2at6native15exp_kernel_cudaERNS_18TensorIteratorBaseEENKUlvE_clEvENKUlvE_clEvENKUlN3c107complexIdEEE_clES7_@rel32@hi+12
	s_delay_alu instid0(SALU_CYCLE_1)
	s_swappc_b64 s[30:31], s[0:1]
	v_add_nc_u32_e32 v41, 0x80, v41
	global_store_b128 v40, v[0:3], s[20:21]
.LBB54_49:
	s_or_b32 exec_lo, exec_lo, s43
	v_cmp_gt_i32_e32 vcc_lo, s40, v41
	s_mov_b32 s0, 0
                                        ; implicit-def: $vgpr70_vgpr71
                                        ; implicit-def: $vgpr2_vgpr3
	s_and_saveexec_b32 s40, vcc_lo
	s_cbranch_execz .LBB54_64
; %bb.50:
	s_and_not1_b32 vcc_lo, exec_lo, s33
	s_cbranch_vccnz .LBB54_55
; %bb.51:
	v_mov_b32_e32 v40, 0
	v_mov_b32_e32 v0, 0
	s_and_not1_b32 vcc_lo, exec_lo, s42
	s_mov_b32 s4, 0
	s_cbranch_vccnz .LBB54_60
; %bb.52:
	v_mov_b32_e32 v40, 0
	s_add_i32 s41, s41, 1
	s_cmp_eq_u32 s29, 2
	s_mov_b32 s2, 0
	s_cbranch_scc1 .LBB54_56
; %bb.53:
	v_dual_mov_b32 v0, 0 :: v_dual_mov_b32 v1, v41
	v_mov_b32_e32 v40, 0
	s_and_b32 s2, s41, 28
	s_mov_b32 s3, 0
	s_mov_b64 s[0:1], s[16:17]
.LBB54_54:                              ; =>This Inner Loop Header: Depth=1
	s_clause 0x1
	s_load_b256 s[44:51], s[0:1], 0x4
	s_load_b128 s[8:11], s[0:1], 0x24
	s_load_b256 s[52:59], s[18:19], 0x0
	s_add_u32 s0, s0, 48
	s_addc_u32 s1, s1, 0
	s_add_i32 s3, s3, 4
	s_add_u32 s18, s18, 32
	s_addc_u32 s19, s19, 0
	s_cmp_eq_u32 s2, s3
	s_waitcnt lgkmcnt(0)
	v_mul_hi_u32 v2, s45, v1
	s_delay_alu instid0(VALU_DEP_1) | instskip(NEXT) | instid1(VALU_DEP_1)
	v_add_nc_u32_e32 v2, v1, v2
	v_lshrrev_b32_e32 v2, s46, v2
	s_delay_alu instid0(VALU_DEP_1) | instskip(SKIP_1) | instid1(VALU_DEP_2)
	v_mul_hi_u32 v3, s48, v2
	v_mul_lo_u32 v5, v2, s44
	v_add_nc_u32_e32 v3, v2, v3
	s_delay_alu instid0(VALU_DEP_2) | instskip(NEXT) | instid1(VALU_DEP_2)
	v_sub_nc_u32_e32 v1, v1, v5
	v_lshrrev_b32_e32 v3, s49, v3
	s_delay_alu instid0(VALU_DEP_2) | instskip(SKIP_1) | instid1(VALU_DEP_3)
	v_mul_lo_u32 v5, v1, s52
	v_mul_lo_u32 v7, v1, s53
	v_mul_hi_u32 v4, s51, v3
	s_delay_alu instid0(VALU_DEP_1) | instskip(NEXT) | instid1(VALU_DEP_1)
	v_add_nc_u32_e32 v4, v3, v4
	v_lshrrev_b32_e32 v4, s8, v4
	s_delay_alu instid0(VALU_DEP_1) | instskip(SKIP_1) | instid1(VALU_DEP_2)
	v_mul_hi_u32 v6, s10, v4
	v_mul_lo_u32 v8, v4, s50
	v_add_nc_u32_e32 v1, v4, v6
	v_mul_lo_u32 v6, v3, s47
	s_delay_alu instid0(VALU_DEP_3) | instskip(NEXT) | instid1(VALU_DEP_3)
	v_sub_nc_u32_e32 v3, v3, v8
	v_lshrrev_b32_e32 v1, s11, v1
	s_delay_alu instid0(VALU_DEP_2) | instskip(SKIP_2) | instid1(VALU_DEP_4)
	v_mul_lo_u32 v8, v3, s56
	v_mul_lo_u32 v3, v3, s57
	v_sub_nc_u32_e32 v2, v2, v6
	v_mul_lo_u32 v9, v1, s9
	s_delay_alu instid0(VALU_DEP_2) | instskip(SKIP_1) | instid1(VALU_DEP_3)
	v_mul_lo_u32 v6, v2, s54
	v_mul_lo_u32 v2, v2, s55
	v_sub_nc_u32_e32 v4, v4, v9
	s_delay_alu instid0(VALU_DEP_3) | instskip(NEXT) | instid1(VALU_DEP_2)
	v_add3_u32 v5, v5, v40, v6
	v_mul_lo_u32 v9, v4, s58
	v_mul_lo_u32 v4, v4, s59
	v_add3_u32 v0, v7, v0, v2
	s_delay_alu instid0(VALU_DEP_3) | instskip(NEXT) | instid1(VALU_DEP_2)
	v_add3_u32 v40, v8, v5, v9
	v_add3_u32 v0, v3, v0, v4
	s_cbranch_scc0 .LBB54_54
	s_branch .LBB54_57
.LBB54_55:
	s_mov_b32 s4, -1
                                        ; implicit-def: $vgpr40
                                        ; implicit-def: $vgpr0
	s_branch .LBB54_60
.LBB54_56:
	v_dual_mov_b32 v1, v41 :: v_dual_mov_b32 v0, 0
.LBB54_57:
	s_and_b32 s5, s41, 3
	s_delay_alu instid0(SALU_CYCLE_1)
	s_cmp_eq_u32 s5, 0
	s_cbranch_scc1 .LBB54_60
; %bb.58:
	s_lshl_b32 s0, s2, 3
	s_mul_i32 s2, s2, 12
	s_add_u32 s0, s0, s16
	s_addc_u32 s1, s17, 0
	s_add_u32 s0, s0, 0xc4
	s_addc_u32 s1, s1, 0
	;; [unrolled: 2-line block ×3, first 2 shown]
	.p2align	6
.LBB54_59:                              ; =>This Inner Loop Header: Depth=1
	s_clause 0x1
	s_load_b64 s[6:7], s[2:3], 0x4
	s_load_b32 s10, s[2:3], 0xc
	s_load_b64 s[8:9], s[0:1], 0x0
	s_add_u32 s2, s2, 12
	s_addc_u32 s3, s3, 0
	s_add_u32 s0, s0, 8
	s_addc_u32 s1, s1, 0
	s_add_i32 s5, s5, -1
	s_delay_alu instid0(SALU_CYCLE_1) | instskip(SKIP_2) | instid1(VALU_DEP_1)
	s_cmp_lg_u32 s5, 0
	s_waitcnt lgkmcnt(0)
	v_mul_hi_u32 v2, s7, v1
	v_add_nc_u32_e32 v2, v1, v2
	s_delay_alu instid0(VALU_DEP_1) | instskip(NEXT) | instid1(VALU_DEP_1)
	v_lshrrev_b32_e32 v5, s10, v2
	v_mul_lo_u32 v2, v5, s6
	s_delay_alu instid0(VALU_DEP_1) | instskip(NEXT) | instid1(VALU_DEP_1)
	v_sub_nc_u32_e32 v1, v1, v2
	v_mad_u64_u32 v[2:3], null, v1, s8, v[40:41]
	v_mad_u64_u32 v[3:4], null, v1, s9, v[0:1]
	s_delay_alu instid0(VALU_DEP_2) | instskip(NEXT) | instid1(VALU_DEP_2)
	v_dual_mov_b32 v1, v5 :: v_dual_mov_b32 v40, v2
	v_mov_b32_e32 v0, v3
	s_cbranch_scc1 .LBB54_59
.LBB54_60:
	s_and_not1_b32 vcc_lo, exec_lo, s4
	s_cbranch_vccnz .LBB54_63
; %bb.61:
	s_waitcnt lgkmcnt(0)
	v_mul_hi_u32 v0, s37, v41
	s_and_not1_b32 vcc_lo, exec_lo, s35
	s_delay_alu instid0(VALU_DEP_1) | instskip(NEXT) | instid1(VALU_DEP_1)
	v_add_nc_u32_e32 v0, v41, v0
	v_lshrrev_b32_e32 v1, s38, v0
	s_delay_alu instid0(VALU_DEP_1) | instskip(NEXT) | instid1(VALU_DEP_1)
	v_mul_lo_u32 v0, v1, s36
	v_sub_nc_u32_e32 v0, v41, v0
	s_delay_alu instid0(VALU_DEP_1)
	v_mul_lo_u32 v40, v0, s24
	v_mul_lo_u32 v0, v0, s25
	s_cbranch_vccnz .LBB54_63
; %bb.62:
	v_mul_hi_u32 v2, s14, v1
	s_delay_alu instid0(VALU_DEP_1) | instskip(NEXT) | instid1(VALU_DEP_1)
	v_add_nc_u32_e32 v2, v1, v2
	v_lshrrev_b32_e32 v2, s15, v2
	s_delay_alu instid0(VALU_DEP_1) | instskip(NEXT) | instid1(VALU_DEP_1)
	v_mul_lo_u32 v2, v2, s39
	v_sub_nc_u32_e32 v4, v1, v2
	s_delay_alu instid0(VALU_DEP_1) | instskip(NEXT) | instid1(VALU_DEP_1)
	v_mad_u64_u32 v[1:2], null, v4, s26, v[40:41]
	v_mad_u64_u32 v[2:3], null, v4, s27, v[0:1]
	v_mov_b32_e32 v40, v1
	s_delay_alu instid0(VALU_DEP_2)
	v_mov_b32_e32 v0, v2
.LBB54_63:
	s_waitcnt lgkmcnt(0)
	global_load_b128 v[0:3], v0, s[22:23]
	v_add_co_u32 v70, s0, s20, v40
	s_delay_alu instid0(VALU_DEP_1) | instskip(SKIP_3) | instid1(SALU_CYCLE_1)
	v_add_co_ci_u32_e64 v71, null, s21, 0, s0
	s_getpc_b64 s[0:1]
	s_add_u32 s0, s0, _ZZZZN2at6native15exp_kernel_cudaERNS_18TensorIteratorBaseEENKUlvE_clEvENKUlvE_clEvENKUlN3c107complexIdEEE_clES7_@rel32@lo+4
	s_addc_u32 s1, s1, _ZZZZN2at6native15exp_kernel_cudaERNS_18TensorIteratorBaseEENKUlvE_clEvENKUlvE_clEvENKUlN3c107complexIdEEE_clES7_@rel32@hi+12
	s_swappc_b64 s[30:31], s[0:1]
	s_mov_b32 s0, exec_lo
	global_store_b64 v40, v[0:1], s[20:21]
.LBB54_64:
	s_or_b32 exec_lo, exec_lo, s40
	s_waitcnt lgkmcnt(0)
	s_and_b32 s14, s0, exec_lo
                                        ; implicit-def: $vgpr1
                                        ; implicit-def: $vgpr41
	s_and_not1_saveexec_b32 s15, s34
	s_cbranch_execz .LBB54_2
.LBB54_65:
	v_cndmask_b32_e64 v2, 0, 1, s33
	s_and_not1_b32 vcc_lo, exec_lo, s33
	s_cbranch_vccnz .LBB54_71
; %bb.66:
	v_mov_b32_e32 v60, 0
	v_mov_b32_e32 v0, 0
	s_cmp_lg_u32 s28, 0
	s_mov_b32 s4, 0
	s_cbranch_scc0 .LBB54_75
; %bb.67:
	s_min_u32 s5, s29, 15
	v_mov_b32_e32 v60, 0
	s_add_i32 s5, s5, 1
	s_cmp_eq_u32 s29, 2
	s_mov_b32 s6, 0
	s_cbranch_scc1 .LBB54_72
; %bb.68:
	v_dual_mov_b32 v0, 0 :: v_dual_mov_b32 v3, v41
	v_mov_b32_e32 v60, 0
	s_add_u32 s0, s16, 0xc4
	s_addc_u32 s1, s17, 0
	s_and_b32 s6, s5, 28
	s_mov_b32 s7, 0
	s_mov_b64 s[2:3], s[16:17]
.LBB54_69:                              ; =>This Inner Loop Header: Depth=1
	s_clause 0x1
	s_load_b256 s[20:27], s[2:3], 0x4
	s_load_b128 s[8:11], s[2:3], 0x24
	s_load_b256 s[36:43], s[0:1], 0x0
	s_add_u32 s2, s2, 48
	s_addc_u32 s3, s3, 0
	s_add_i32 s7, s7, 4
	s_add_u32 s0, s0, 32
	s_addc_u32 s1, s1, 0
	s_cmp_lg_u32 s6, s7
	s_waitcnt lgkmcnt(0)
	v_mul_hi_u32 v4, s21, v3
	s_delay_alu instid0(VALU_DEP_1) | instskip(NEXT) | instid1(VALU_DEP_1)
	v_add_nc_u32_e32 v4, v3, v4
	v_lshrrev_b32_e32 v4, s22, v4
	s_delay_alu instid0(VALU_DEP_1) | instskip(SKIP_1) | instid1(VALU_DEP_2)
	v_mul_hi_u32 v5, s24, v4
	v_mul_lo_u32 v7, v4, s20
	v_add_nc_u32_e32 v5, v4, v5
	s_delay_alu instid0(VALU_DEP_2) | instskip(NEXT) | instid1(VALU_DEP_2)
	v_sub_nc_u32_e32 v3, v3, v7
	v_lshrrev_b32_e32 v5, s25, v5
	s_delay_alu instid0(VALU_DEP_2) | instskip(SKIP_1) | instid1(VALU_DEP_3)
	v_mul_lo_u32 v7, v3, s36
	v_mul_lo_u32 v9, v3, s37
	v_mul_hi_u32 v6, s27, v5
	s_delay_alu instid0(VALU_DEP_1) | instskip(NEXT) | instid1(VALU_DEP_1)
	v_add_nc_u32_e32 v6, v5, v6
	v_lshrrev_b32_e32 v6, s8, v6
	s_delay_alu instid0(VALU_DEP_1) | instskip(SKIP_1) | instid1(VALU_DEP_2)
	v_mul_hi_u32 v8, s10, v6
	v_mul_lo_u32 v10, v6, s26
	v_add_nc_u32_e32 v3, v6, v8
	v_mul_lo_u32 v8, v5, s23
	s_delay_alu instid0(VALU_DEP_3) | instskip(NEXT) | instid1(VALU_DEP_3)
	v_sub_nc_u32_e32 v5, v5, v10
	v_lshrrev_b32_e32 v3, s11, v3
	s_delay_alu instid0(VALU_DEP_2) | instskip(SKIP_2) | instid1(VALU_DEP_4)
	v_mul_lo_u32 v10, v5, s40
	v_mul_lo_u32 v5, v5, s41
	v_sub_nc_u32_e32 v4, v4, v8
	v_mul_lo_u32 v11, v3, s9
	s_delay_alu instid0(VALU_DEP_2) | instskip(SKIP_1) | instid1(VALU_DEP_3)
	v_mul_lo_u32 v8, v4, s38
	v_mul_lo_u32 v4, v4, s39
	v_sub_nc_u32_e32 v6, v6, v11
	s_delay_alu instid0(VALU_DEP_3) | instskip(NEXT) | instid1(VALU_DEP_2)
	v_add3_u32 v7, v7, v60, v8
	v_mul_lo_u32 v11, v6, s42
	v_mul_lo_u32 v6, v6, s43
	v_add3_u32 v0, v9, v0, v4
	s_delay_alu instid0(VALU_DEP_3) | instskip(NEXT) | instid1(VALU_DEP_2)
	v_add3_u32 v60, v10, v7, v11
	v_add3_u32 v0, v5, v0, v6
	s_cbranch_scc1 .LBB54_69
; %bb.70:
	s_and_b32 s5, s5, 3
	s_delay_alu instid0(SALU_CYCLE_1)
	s_cmp_eq_u32 s5, 0
	s_cbranch_scc0 .LBB54_73
	s_branch .LBB54_75
.LBB54_71:
	s_mov_b32 s4, -1
                                        ; implicit-def: $vgpr60
                                        ; implicit-def: $vgpr0
	s_branch .LBB54_75
.LBB54_72:
	v_dual_mov_b32 v3, v41 :: v_dual_mov_b32 v0, 0
	s_and_b32 s5, s5, 3
	s_delay_alu instid0(SALU_CYCLE_1)
	s_cmp_eq_u32 s5, 0
	s_cbranch_scc1 .LBB54_75
.LBB54_73:
	s_lshl_b32 s0, s6, 3
	s_mul_i32 s2, s6, 12
	s_add_u32 s0, s0, s16
	s_addc_u32 s1, 0, s17
	s_add_u32 s0, s0, 0xc4
	s_addc_u32 s1, s1, 0
	;; [unrolled: 2-line block ×3, first 2 shown]
	.p2align	6
.LBB54_74:                              ; =>This Inner Loop Header: Depth=1
	s_clause 0x1
	s_load_b64 s[6:7], s[2:3], 0x4
	s_load_b32 s10, s[2:3], 0xc
	s_load_b64 s[8:9], s[0:1], 0x0
	s_add_u32 s2, s2, 12
	s_addc_u32 s3, s3, 0
	s_add_u32 s0, s0, 8
	s_addc_u32 s1, s1, 0
	s_add_i32 s5, s5, -1
	s_delay_alu instid0(SALU_CYCLE_1) | instskip(SKIP_2) | instid1(VALU_DEP_1)
	s_cmp_lg_u32 s5, 0
	s_waitcnt lgkmcnt(0)
	v_mul_hi_u32 v4, s7, v3
	v_add_nc_u32_e32 v4, v3, v4
	s_delay_alu instid0(VALU_DEP_1) | instskip(NEXT) | instid1(VALU_DEP_1)
	v_lshrrev_b32_e32 v7, s10, v4
	v_mul_lo_u32 v4, v7, s6
	s_delay_alu instid0(VALU_DEP_1) | instskip(NEXT) | instid1(VALU_DEP_1)
	v_sub_nc_u32_e32 v3, v3, v4
	v_mad_u64_u32 v[4:5], null, v3, s8, v[60:61]
	v_mad_u64_u32 v[5:6], null, v3, s9, v[0:1]
	s_delay_alu instid0(VALU_DEP_2) | instskip(NEXT) | instid1(VALU_DEP_2)
	v_dual_mov_b32 v3, v7 :: v_dual_mov_b32 v60, v4
	v_mov_b32_e32 v0, v5
	s_cbranch_scc1 .LBB54_74
.LBB54_75:
	s_and_not1_b32 vcc_lo, exec_lo, s4
	s_cbranch_vccnz .LBB54_78
; %bb.76:
	s_clause 0x1
	s_load_b128 s[0:3], s[16:17], 0x4
	s_load_b64 s[4:5], s[16:17], 0xc4
	s_cmp_lt_u32 s28, 2
	s_waitcnt lgkmcnt(0)
	v_mul_hi_u32 v0, s1, v41
	s_delay_alu instid0(VALU_DEP_1) | instskip(NEXT) | instid1(VALU_DEP_1)
	v_add_nc_u32_e32 v0, v41, v0
	v_lshrrev_b32_e32 v3, s2, v0
	s_delay_alu instid0(VALU_DEP_1) | instskip(NEXT) | instid1(VALU_DEP_1)
	v_mul_lo_u32 v0, v3, s0
	v_sub_nc_u32_e32 v0, v41, v0
	s_delay_alu instid0(VALU_DEP_1)
	v_mul_lo_u32 v60, v0, s4
	v_mul_lo_u32 v0, v0, s5
	s_cbranch_scc1 .LBB54_78
; %bb.77:
	s_clause 0x1
	s_load_b128 s[0:3], s[16:17], 0x10
	s_load_b64 s[4:5], s[16:17], 0xcc
	s_waitcnt lgkmcnt(0)
	v_mul_hi_u32 v4, s1, v3
	s_delay_alu instid0(VALU_DEP_1) | instskip(NEXT) | instid1(VALU_DEP_1)
	v_add_nc_u32_e32 v4, v3, v4
	v_lshrrev_b32_e32 v4, s2, v4
	s_delay_alu instid0(VALU_DEP_1) | instskip(NEXT) | instid1(VALU_DEP_1)
	v_mul_lo_u32 v4, v4, s0
	v_sub_nc_u32_e32 v6, v3, v4
	s_delay_alu instid0(VALU_DEP_1) | instskip(SKIP_1) | instid1(VALU_DEP_2)
	v_mad_u64_u32 v[3:4], null, v6, s4, v[60:61]
	v_mad_u64_u32 v[4:5], null, v6, s5, v[0:1]
	v_mov_b32_e32 v60, v3
	s_delay_alu instid0(VALU_DEP_2)
	v_mov_b32_e32 v0, v4
.LBB54_78:
	v_cmp_ne_u32_e32 vcc_lo, 1, v2
	v_add_nc_u32_e32 v3, 0x80, v41
	s_cbranch_vccnz .LBB54_84
; %bb.79:
	v_dual_mov_b32 v61, 0 :: v_dual_mov_b32 v44, 0
	s_cmp_lg_u32 s28, 0
	s_mov_b32 s4, 0
	s_cbranch_scc0 .LBB54_88
; %bb.80:
	s_min_u32 s5, s29, 15
	v_mov_b32_e32 v61, 0
	s_add_i32 s5, s5, 1
	s_cmp_eq_u32 s29, 2
	s_mov_b32 s6, 0
	s_cbranch_scc1 .LBB54_85
; %bb.81:
	v_dual_mov_b32 v44, 0 :: v_dual_mov_b32 v61, 0
	v_mov_b32_e32 v4, v3
	s_add_u32 s0, s16, 0xc4
	s_addc_u32 s1, s17, 0
	s_and_b32 s6, s5, 28
	s_mov_b32 s7, 0
	s_mov_b64 s[2:3], s[16:17]
.LBB54_82:                              ; =>This Inner Loop Header: Depth=1
	s_clause 0x1
	s_load_b256 s[20:27], s[2:3], 0x4
	s_load_b128 s[8:11], s[2:3], 0x24
	s_load_b256 s[36:43], s[0:1], 0x0
	s_add_u32 s2, s2, 48
	s_addc_u32 s3, s3, 0
	s_add_i32 s7, s7, 4
	s_add_u32 s0, s0, 32
	s_addc_u32 s1, s1, 0
	s_cmp_lg_u32 s6, s7
	s_waitcnt lgkmcnt(0)
	v_mul_hi_u32 v5, s21, v4
	s_delay_alu instid0(VALU_DEP_1) | instskip(NEXT) | instid1(VALU_DEP_1)
	v_add_nc_u32_e32 v5, v4, v5
	v_lshrrev_b32_e32 v5, s22, v5
	s_delay_alu instid0(VALU_DEP_1) | instskip(SKIP_1) | instid1(VALU_DEP_2)
	v_mul_hi_u32 v6, s24, v5
	v_mul_lo_u32 v8, v5, s20
	v_add_nc_u32_e32 v6, v5, v6
	s_delay_alu instid0(VALU_DEP_2) | instskip(NEXT) | instid1(VALU_DEP_2)
	v_sub_nc_u32_e32 v4, v4, v8
	v_lshrrev_b32_e32 v6, s25, v6
	s_delay_alu instid0(VALU_DEP_2) | instskip(SKIP_1) | instid1(VALU_DEP_3)
	v_mul_lo_u32 v8, v4, s36
	v_mul_lo_u32 v10, v4, s37
	v_mul_hi_u32 v7, s27, v6
	s_delay_alu instid0(VALU_DEP_1) | instskip(NEXT) | instid1(VALU_DEP_1)
	v_add_nc_u32_e32 v7, v6, v7
	v_lshrrev_b32_e32 v7, s8, v7
	s_delay_alu instid0(VALU_DEP_1) | instskip(SKIP_1) | instid1(VALU_DEP_2)
	v_mul_hi_u32 v9, s10, v7
	v_mul_lo_u32 v11, v7, s26
	v_add_nc_u32_e32 v4, v7, v9
	v_mul_lo_u32 v9, v6, s23
	s_delay_alu instid0(VALU_DEP_3) | instskip(NEXT) | instid1(VALU_DEP_3)
	v_sub_nc_u32_e32 v6, v6, v11
	v_lshrrev_b32_e32 v4, s11, v4
	s_delay_alu instid0(VALU_DEP_2) | instskip(SKIP_2) | instid1(VALU_DEP_4)
	v_mul_lo_u32 v11, v6, s40
	v_mul_lo_u32 v6, v6, s41
	v_sub_nc_u32_e32 v5, v5, v9
	v_mul_lo_u32 v12, v4, s9
	s_delay_alu instid0(VALU_DEP_2) | instskip(SKIP_1) | instid1(VALU_DEP_3)
	v_mul_lo_u32 v9, v5, s38
	v_mul_lo_u32 v5, v5, s39
	v_sub_nc_u32_e32 v7, v7, v12
	s_delay_alu instid0(VALU_DEP_3) | instskip(NEXT) | instid1(VALU_DEP_2)
	v_add3_u32 v8, v8, v61, v9
	v_mul_lo_u32 v12, v7, s42
	v_mul_lo_u32 v7, v7, s43
	v_add3_u32 v5, v10, v44, v5
	s_delay_alu instid0(VALU_DEP_3) | instskip(NEXT) | instid1(VALU_DEP_2)
	v_add3_u32 v61, v11, v8, v12
	v_add3_u32 v44, v6, v5, v7
	s_cbranch_scc1 .LBB54_82
; %bb.83:
	s_and_b32 s5, s5, 3
	s_delay_alu instid0(SALU_CYCLE_1)
	s_cmp_eq_u32 s5, 0
	s_cbranch_scc0 .LBB54_86
	s_branch .LBB54_88
.LBB54_84:
	s_mov_b32 s4, -1
                                        ; implicit-def: $vgpr61
                                        ; implicit-def: $vgpr44
	s_branch .LBB54_88
.LBB54_85:
	v_mov_b32_e32 v4, v3
	v_mov_b32_e32 v44, 0
	s_and_b32 s5, s5, 3
	s_delay_alu instid0(SALU_CYCLE_1)
	s_cmp_eq_u32 s5, 0
	s_cbranch_scc1 .LBB54_88
.LBB54_86:
	s_lshl_b32 s0, s6, 3
	s_mul_i32 s2, s6, 12
	s_add_u32 s0, s0, s16
	s_addc_u32 s1, 0, s17
	s_add_u32 s0, s0, 0xc4
	s_addc_u32 s1, s1, 0
	;; [unrolled: 2-line block ×3, first 2 shown]
	.p2align	6
.LBB54_87:                              ; =>This Inner Loop Header: Depth=1
	s_clause 0x1
	s_load_b64 s[6:7], s[2:3], 0x4
	s_load_b32 s10, s[2:3], 0xc
	s_load_b64 s[8:9], s[0:1], 0x0
	s_add_u32 s2, s2, 12
	s_addc_u32 s3, s3, 0
	s_add_u32 s0, s0, 8
	s_addc_u32 s1, s1, 0
	s_add_i32 s5, s5, -1
	s_delay_alu instid0(SALU_CYCLE_1) | instskip(SKIP_2) | instid1(VALU_DEP_1)
	s_cmp_lg_u32 s5, 0
	s_waitcnt lgkmcnt(0)
	v_mul_hi_u32 v5, s7, v4
	v_add_nc_u32_e32 v5, v4, v5
	s_delay_alu instid0(VALU_DEP_1) | instskip(NEXT) | instid1(VALU_DEP_1)
	v_lshrrev_b32_e32 v8, s10, v5
	v_mul_lo_u32 v5, v8, s6
	s_delay_alu instid0(VALU_DEP_1) | instskip(NEXT) | instid1(VALU_DEP_1)
	v_sub_nc_u32_e32 v4, v4, v5
	v_mad_u64_u32 v[5:6], null, v4, s8, v[61:62]
	v_mad_u64_u32 v[6:7], null, v4, s9, v[44:45]
	s_delay_alu instid0(VALU_DEP_2) | instskip(NEXT) | instid1(VALU_DEP_2)
	v_dual_mov_b32 v4, v8 :: v_dual_mov_b32 v61, v5
	v_mov_b32_e32 v44, v6
	s_cbranch_scc1 .LBB54_87
.LBB54_88:
	s_and_not1_b32 vcc_lo, exec_lo, s4
	s_cbranch_vccnz .LBB54_91
; %bb.89:
	s_clause 0x1
	s_load_b128 s[0:3], s[16:17], 0x4
	s_load_b64 s[4:5], s[16:17], 0xc4
	s_cmp_lt_u32 s28, 2
	s_waitcnt lgkmcnt(0)
	v_mul_hi_u32 v4, s1, v3
	s_delay_alu instid0(VALU_DEP_1) | instskip(NEXT) | instid1(VALU_DEP_1)
	v_add_nc_u32_e32 v4, v3, v4
	v_lshrrev_b32_e32 v4, s2, v4
	s_delay_alu instid0(VALU_DEP_1) | instskip(NEXT) | instid1(VALU_DEP_1)
	v_mul_lo_u32 v5, v4, s0
	v_sub_nc_u32_e32 v3, v3, v5
	s_delay_alu instid0(VALU_DEP_1)
	v_mul_lo_u32 v61, v3, s4
	v_mul_lo_u32 v44, v3, s5
	s_cbranch_scc1 .LBB54_91
; %bb.90:
	s_clause 0x1
	s_load_b128 s[0:3], s[16:17], 0x10
	s_load_b64 s[4:5], s[16:17], 0xcc
	s_waitcnt lgkmcnt(0)
	v_mul_hi_u32 v3, s1, v4
	s_delay_alu instid0(VALU_DEP_1) | instskip(NEXT) | instid1(VALU_DEP_1)
	v_add_nc_u32_e32 v3, v4, v3
	v_lshrrev_b32_e32 v3, s2, v3
	s_delay_alu instid0(VALU_DEP_1) | instskip(NEXT) | instid1(VALU_DEP_1)
	v_mul_lo_u32 v3, v3, s0
	v_sub_nc_u32_e32 v6, v4, v3
	s_delay_alu instid0(VALU_DEP_1) | instskip(SKIP_1) | instid1(VALU_DEP_1)
	v_mad_u64_u32 v[3:4], null, v6, s4, v[61:62]
	v_mad_u64_u32 v[4:5], null, v6, s5, v[44:45]
	v_dual_mov_b32 v61, v3 :: v_dual_mov_b32 v44, v4
.LBB54_91:
	v_cmp_ne_u32_e32 vcc_lo, 1, v2
	v_add_nc_u32_e32 v3, 0x100, v41
	s_cbranch_vccnz .LBB54_97
; %bb.92:
	v_mov_b32_e32 v62, 0
	v_mov_b32_e32 v56, 0
	s_cmp_lg_u32 s28, 0
	s_mov_b32 s4, 0
	s_cbranch_scc0 .LBB54_101
; %bb.93:
	s_min_u32 s5, s29, 15
	v_mov_b32_e32 v62, 0
	s_add_i32 s5, s5, 1
	s_cmp_eq_u32 s29, 2
	s_mov_b32 s6, 0
	s_cbranch_scc1 .LBB54_98
; %bb.94:
	v_mov_b32_e32 v56, 0
	v_mov_b32_e32 v62, 0
	;; [unrolled: 1-line block ×3, first 2 shown]
	s_add_u32 s0, s16, 0xc4
	s_addc_u32 s1, s17, 0
	s_and_b32 s6, s5, 28
	s_mov_b32 s7, 0
	s_mov_b64 s[2:3], s[16:17]
.LBB54_95:                              ; =>This Inner Loop Header: Depth=1
	s_clause 0x1
	s_load_b256 s[20:27], s[2:3], 0x4
	s_load_b128 s[8:11], s[2:3], 0x24
	s_load_b256 s[36:43], s[0:1], 0x0
	s_add_u32 s2, s2, 48
	s_addc_u32 s3, s3, 0
	s_add_i32 s7, s7, 4
	s_add_u32 s0, s0, 32
	s_addc_u32 s1, s1, 0
	s_cmp_lg_u32 s6, s7
	s_waitcnt lgkmcnt(0)
	v_mul_hi_u32 v5, s21, v4
	s_delay_alu instid0(VALU_DEP_1) | instskip(NEXT) | instid1(VALU_DEP_1)
	v_add_nc_u32_e32 v5, v4, v5
	v_lshrrev_b32_e32 v5, s22, v5
	s_delay_alu instid0(VALU_DEP_1) | instskip(SKIP_1) | instid1(VALU_DEP_2)
	v_mul_hi_u32 v6, s24, v5
	v_mul_lo_u32 v8, v5, s20
	v_add_nc_u32_e32 v6, v5, v6
	s_delay_alu instid0(VALU_DEP_2) | instskip(NEXT) | instid1(VALU_DEP_2)
	v_sub_nc_u32_e32 v4, v4, v8
	v_lshrrev_b32_e32 v6, s25, v6
	s_delay_alu instid0(VALU_DEP_2) | instskip(SKIP_1) | instid1(VALU_DEP_3)
	v_mul_lo_u32 v8, v4, s36
	v_mul_lo_u32 v10, v4, s37
	v_mul_hi_u32 v7, s27, v6
	s_delay_alu instid0(VALU_DEP_1) | instskip(NEXT) | instid1(VALU_DEP_1)
	v_add_nc_u32_e32 v7, v6, v7
	v_lshrrev_b32_e32 v7, s8, v7
	s_delay_alu instid0(VALU_DEP_1) | instskip(SKIP_1) | instid1(VALU_DEP_2)
	v_mul_hi_u32 v9, s10, v7
	v_mul_lo_u32 v11, v7, s26
	v_add_nc_u32_e32 v4, v7, v9
	v_mul_lo_u32 v9, v6, s23
	s_delay_alu instid0(VALU_DEP_3) | instskip(NEXT) | instid1(VALU_DEP_3)
	v_sub_nc_u32_e32 v6, v6, v11
	v_lshrrev_b32_e32 v4, s11, v4
	s_delay_alu instid0(VALU_DEP_2) | instskip(SKIP_2) | instid1(VALU_DEP_4)
	v_mul_lo_u32 v11, v6, s40
	v_mul_lo_u32 v6, v6, s41
	v_sub_nc_u32_e32 v5, v5, v9
	v_mul_lo_u32 v12, v4, s9
	s_delay_alu instid0(VALU_DEP_2) | instskip(SKIP_1) | instid1(VALU_DEP_3)
	v_mul_lo_u32 v9, v5, s38
	v_mul_lo_u32 v5, v5, s39
	v_sub_nc_u32_e32 v7, v7, v12
	s_delay_alu instid0(VALU_DEP_3) | instskip(NEXT) | instid1(VALU_DEP_2)
	v_add3_u32 v8, v8, v62, v9
	v_mul_lo_u32 v12, v7, s42
	v_mul_lo_u32 v7, v7, s43
	v_add3_u32 v5, v10, v56, v5
	s_delay_alu instid0(VALU_DEP_3) | instskip(NEXT) | instid1(VALU_DEP_2)
	v_add3_u32 v62, v11, v8, v12
	v_add3_u32 v56, v6, v5, v7
	s_cbranch_scc1 .LBB54_95
; %bb.96:
	s_and_b32 s5, s5, 3
	s_delay_alu instid0(SALU_CYCLE_1)
	s_cmp_eq_u32 s5, 0
	s_cbranch_scc0 .LBB54_99
	s_branch .LBB54_101
.LBB54_97:
	s_mov_b32 s4, -1
                                        ; implicit-def: $vgpr62
                                        ; implicit-def: $vgpr56
	s_branch .LBB54_101
.LBB54_98:
	v_mov_b32_e32 v4, v3
	v_mov_b32_e32 v56, 0
	s_and_b32 s5, s5, 3
	s_delay_alu instid0(SALU_CYCLE_1)
	s_cmp_eq_u32 s5, 0
	s_cbranch_scc1 .LBB54_101
.LBB54_99:
	s_lshl_b32 s0, s6, 3
	s_mul_i32 s2, s6, 12
	s_add_u32 s0, s0, s16
	s_addc_u32 s1, 0, s17
	s_add_u32 s0, s0, 0xc4
	s_addc_u32 s1, s1, 0
	;; [unrolled: 2-line block ×3, first 2 shown]
	.p2align	6
.LBB54_100:                             ; =>This Inner Loop Header: Depth=1
	s_clause 0x1
	s_load_b64 s[6:7], s[2:3], 0x4
	s_load_b32 s10, s[2:3], 0xc
	s_load_b64 s[8:9], s[0:1], 0x0
	s_add_u32 s2, s2, 12
	s_addc_u32 s3, s3, 0
	s_add_u32 s0, s0, 8
	s_addc_u32 s1, s1, 0
	s_add_i32 s5, s5, -1
	s_delay_alu instid0(SALU_CYCLE_1) | instskip(SKIP_2) | instid1(VALU_DEP_1)
	s_cmp_lg_u32 s5, 0
	s_waitcnt lgkmcnt(0)
	v_mul_hi_u32 v5, s7, v4
	v_add_nc_u32_e32 v5, v4, v5
	s_delay_alu instid0(VALU_DEP_1) | instskip(NEXT) | instid1(VALU_DEP_1)
	v_lshrrev_b32_e32 v8, s10, v5
	v_mul_lo_u32 v5, v8, s6
	s_delay_alu instid0(VALU_DEP_1) | instskip(NEXT) | instid1(VALU_DEP_1)
	v_sub_nc_u32_e32 v4, v4, v5
	v_mad_u64_u32 v[5:6], null, v4, s8, v[62:63]
	v_mad_u64_u32 v[6:7], null, v4, s9, v[56:57]
	v_mov_b32_e32 v4, v8
	s_delay_alu instid0(VALU_DEP_3) | instskip(NEXT) | instid1(VALU_DEP_3)
	v_mov_b32_e32 v62, v5
	v_mov_b32_e32 v56, v6
	s_cbranch_scc1 .LBB54_100
.LBB54_101:
	s_and_not1_b32 vcc_lo, exec_lo, s4
	s_cbranch_vccnz .LBB54_104
; %bb.102:
	s_clause 0x1
	s_load_b128 s[0:3], s[16:17], 0x4
	s_load_b64 s[4:5], s[16:17], 0xc4
	s_cmp_lt_u32 s28, 2
	s_waitcnt lgkmcnt(0)
	v_mul_hi_u32 v4, s1, v3
	s_delay_alu instid0(VALU_DEP_1) | instskip(NEXT) | instid1(VALU_DEP_1)
	v_add_nc_u32_e32 v4, v3, v4
	v_lshrrev_b32_e32 v4, s2, v4
	s_delay_alu instid0(VALU_DEP_1) | instskip(NEXT) | instid1(VALU_DEP_1)
	v_mul_lo_u32 v5, v4, s0
	v_sub_nc_u32_e32 v3, v3, v5
	s_delay_alu instid0(VALU_DEP_1)
	v_mul_lo_u32 v62, v3, s4
	v_mul_lo_u32 v56, v3, s5
	s_cbranch_scc1 .LBB54_104
; %bb.103:
	s_clause 0x1
	s_load_b128 s[0:3], s[16:17], 0x10
	s_load_b64 s[4:5], s[16:17], 0xcc
	s_waitcnt lgkmcnt(0)
	v_mul_hi_u32 v3, s1, v4
	s_delay_alu instid0(VALU_DEP_1) | instskip(NEXT) | instid1(VALU_DEP_1)
	v_add_nc_u32_e32 v3, v4, v3
	v_lshrrev_b32_e32 v3, s2, v3
	s_delay_alu instid0(VALU_DEP_1) | instskip(NEXT) | instid1(VALU_DEP_1)
	v_mul_lo_u32 v3, v3, s0
	v_sub_nc_u32_e32 v6, v4, v3
	s_delay_alu instid0(VALU_DEP_1) | instskip(SKIP_1) | instid1(VALU_DEP_2)
	v_mad_u64_u32 v[3:4], null, v6, s4, v[62:63]
	v_mad_u64_u32 v[4:5], null, v6, s5, v[56:57]
	v_mov_b32_e32 v62, v3
	s_delay_alu instid0(VALU_DEP_2)
	v_mov_b32_e32 v56, v4
.LBB54_104:
	v_cmp_ne_u32_e32 vcc_lo, 1, v2
	s_cbranch_vccnz .LBB54_110
; %bb.105:
	v_dual_mov_b32 v68, 0 :: v_dual_mov_b32 v69, 0
	s_cmp_lg_u32 s28, 0
	s_mov_b32 s4, 0
	s_cbranch_scc0 .LBB54_114
; %bb.106:
	s_min_u32 s5, s29, 15
	v_mov_b32_e32 v68, 0
	s_add_i32 s5, s5, 1
	s_cmp_eq_u32 s29, 2
	s_mov_b32 s6, 0
	s_cbranch_scc1 .LBB54_111
; %bb.107:
	v_dual_mov_b32 v69, 0 :: v_dual_mov_b32 v68, 0
	v_mov_b32_e32 v2, v1
	s_add_u32 s0, s16, 0xc4
	s_addc_u32 s1, s17, 0
	s_and_b32 s6, s5, 28
	s_mov_b32 s7, 0
	s_mov_b64 s[2:3], s[16:17]
.LBB54_108:                             ; =>This Inner Loop Header: Depth=1
	s_clause 0x1
	s_load_b256 s[20:27], s[2:3], 0x4
	s_load_b128 s[8:11], s[2:3], 0x24
	s_load_b256 s[36:43], s[0:1], 0x0
	s_add_u32 s2, s2, 48
	s_addc_u32 s3, s3, 0
	s_add_i32 s7, s7, 4
	s_add_u32 s0, s0, 32
	s_addc_u32 s1, s1, 0
	s_cmp_lg_u32 s6, s7
	s_waitcnt lgkmcnt(0)
	v_mul_hi_u32 v3, s21, v2
	s_delay_alu instid0(VALU_DEP_1) | instskip(NEXT) | instid1(VALU_DEP_1)
	v_add_nc_u32_e32 v3, v2, v3
	v_lshrrev_b32_e32 v3, s22, v3
	s_delay_alu instid0(VALU_DEP_1) | instskip(SKIP_1) | instid1(VALU_DEP_2)
	v_mul_hi_u32 v4, s24, v3
	v_mul_lo_u32 v6, v3, s20
	v_add_nc_u32_e32 v4, v3, v4
	s_delay_alu instid0(VALU_DEP_2) | instskip(NEXT) | instid1(VALU_DEP_2)
	v_sub_nc_u32_e32 v2, v2, v6
	v_lshrrev_b32_e32 v4, s25, v4
	s_delay_alu instid0(VALU_DEP_2) | instskip(SKIP_1) | instid1(VALU_DEP_3)
	v_mul_lo_u32 v6, v2, s36
	v_mul_lo_u32 v8, v2, s37
	v_mul_hi_u32 v5, s27, v4
	s_delay_alu instid0(VALU_DEP_1) | instskip(NEXT) | instid1(VALU_DEP_1)
	v_add_nc_u32_e32 v5, v4, v5
	v_lshrrev_b32_e32 v5, s8, v5
	s_delay_alu instid0(VALU_DEP_1) | instskip(SKIP_1) | instid1(VALU_DEP_2)
	v_mul_hi_u32 v7, s10, v5
	v_mul_lo_u32 v9, v5, s26
	v_add_nc_u32_e32 v2, v5, v7
	v_mul_lo_u32 v7, v4, s23
	s_delay_alu instid0(VALU_DEP_3) | instskip(NEXT) | instid1(VALU_DEP_3)
	v_sub_nc_u32_e32 v4, v4, v9
	v_lshrrev_b32_e32 v2, s11, v2
	s_delay_alu instid0(VALU_DEP_2) | instskip(SKIP_2) | instid1(VALU_DEP_4)
	v_mul_lo_u32 v9, v4, s40
	v_mul_lo_u32 v4, v4, s41
	v_sub_nc_u32_e32 v3, v3, v7
	v_mul_lo_u32 v10, v2, s9
	s_delay_alu instid0(VALU_DEP_2) | instskip(SKIP_1) | instid1(VALU_DEP_3)
	v_mul_lo_u32 v7, v3, s38
	v_mul_lo_u32 v3, v3, s39
	v_sub_nc_u32_e32 v5, v5, v10
	s_delay_alu instid0(VALU_DEP_3) | instskip(NEXT) | instid1(VALU_DEP_2)
	v_add3_u32 v6, v6, v68, v7
	v_mul_lo_u32 v10, v5, s42
	v_mul_lo_u32 v5, v5, s43
	v_add3_u32 v3, v8, v69, v3
	s_delay_alu instid0(VALU_DEP_3) | instskip(NEXT) | instid1(VALU_DEP_2)
	v_add3_u32 v68, v9, v6, v10
	v_add3_u32 v69, v4, v3, v5
	s_cbranch_scc1 .LBB54_108
; %bb.109:
	s_and_b32 s5, s5, 3
	s_delay_alu instid0(SALU_CYCLE_1)
	s_cmp_eq_u32 s5, 0
	s_cbranch_scc0 .LBB54_112
	s_branch .LBB54_114
.LBB54_110:
	s_mov_b32 s4, -1
                                        ; implicit-def: $vgpr68
                                        ; implicit-def: $vgpr69
	s_branch .LBB54_114
.LBB54_111:
	v_dual_mov_b32 v2, v1 :: v_dual_mov_b32 v69, 0
	s_and_b32 s5, s5, 3
	s_delay_alu instid0(SALU_CYCLE_1)
	s_cmp_eq_u32 s5, 0
	s_cbranch_scc1 .LBB54_114
.LBB54_112:
	s_lshl_b32 s0, s6, 3
	s_mul_i32 s2, s6, 12
	s_add_u32 s0, s0, s16
	s_addc_u32 s1, 0, s17
	s_add_u32 s0, s0, 0xc4
	s_addc_u32 s1, s1, 0
	;; [unrolled: 2-line block ×3, first 2 shown]
	.p2align	6
.LBB54_113:                             ; =>This Inner Loop Header: Depth=1
	s_clause 0x1
	s_load_b64 s[6:7], s[2:3], 0x4
	s_load_b32 s10, s[2:3], 0xc
	s_load_b64 s[8:9], s[0:1], 0x0
	s_add_u32 s2, s2, 12
	s_addc_u32 s3, s3, 0
	s_add_u32 s0, s0, 8
	s_addc_u32 s1, s1, 0
	s_add_i32 s5, s5, -1
	s_delay_alu instid0(SALU_CYCLE_1) | instskip(SKIP_2) | instid1(VALU_DEP_1)
	s_cmp_lg_u32 s5, 0
	s_waitcnt lgkmcnt(0)
	v_mul_hi_u32 v3, s7, v2
	v_add_nc_u32_e32 v3, v2, v3
	s_delay_alu instid0(VALU_DEP_1) | instskip(NEXT) | instid1(VALU_DEP_1)
	v_lshrrev_b32_e32 v6, s10, v3
	v_mul_lo_u32 v3, v6, s6
	s_delay_alu instid0(VALU_DEP_1) | instskip(NEXT) | instid1(VALU_DEP_1)
	v_sub_nc_u32_e32 v2, v2, v3
	v_mad_u64_u32 v[3:4], null, v2, s8, v[68:69]
	v_mad_u64_u32 v[4:5], null, v2, s9, v[69:70]
	v_mov_b32_e32 v2, v6
	s_delay_alu instid0(VALU_DEP_2)
	v_dual_mov_b32 v68, v3 :: v_dual_mov_b32 v69, v4
	s_cbranch_scc1 .LBB54_113
.LBB54_114:
	s_and_not1_b32 vcc_lo, exec_lo, s4
	s_cbranch_vccnz .LBB54_117
; %bb.115:
	s_clause 0x1
	s_load_b128 s[0:3], s[16:17], 0x4
	s_load_b64 s[4:5], s[16:17], 0xc4
	s_cmp_lt_u32 s28, 2
	s_waitcnt lgkmcnt(0)
	v_mul_hi_u32 v2, s1, v1
	s_delay_alu instid0(VALU_DEP_1) | instskip(NEXT) | instid1(VALU_DEP_1)
	v_add_nc_u32_e32 v2, v1, v2
	v_lshrrev_b32_e32 v2, s2, v2
	s_delay_alu instid0(VALU_DEP_1) | instskip(NEXT) | instid1(VALU_DEP_1)
	v_mul_lo_u32 v3, v2, s0
	v_sub_nc_u32_e32 v1, v1, v3
	s_delay_alu instid0(VALU_DEP_1)
	v_mul_lo_u32 v68, v1, s4
	v_mul_lo_u32 v69, v1, s5
	s_cbranch_scc1 .LBB54_117
; %bb.116:
	s_clause 0x1
	s_load_b128 s[0:3], s[16:17], 0x10
	s_load_b64 s[4:5], s[16:17], 0xcc
	s_waitcnt lgkmcnt(0)
	v_mul_hi_u32 v1, s1, v2
	s_delay_alu instid0(VALU_DEP_1) | instskip(NEXT) | instid1(VALU_DEP_1)
	v_add_nc_u32_e32 v1, v2, v1
	v_lshrrev_b32_e32 v1, s2, v1
	s_delay_alu instid0(VALU_DEP_1) | instskip(NEXT) | instid1(VALU_DEP_1)
	v_mul_lo_u32 v1, v1, s0
	v_sub_nc_u32_e32 v4, v2, v1
	s_delay_alu instid0(VALU_DEP_1) | instskip(SKIP_1) | instid1(VALU_DEP_1)
	v_mad_u64_u32 v[1:2], null, v4, s4, v[68:69]
	v_mad_u64_u32 v[2:3], null, v4, s5, v[69:70]
	v_dual_mov_b32 v68, v1 :: v_dual_mov_b32 v69, v2
.LBB54_117:
	s_load_b128 s[16:19], s[16:17], 0x148
	s_getpc_b64 s[20:21]
	s_add_u32 s20, s20, _ZZZZN2at6native15exp_kernel_cudaERNS_18TensorIteratorBaseEENKUlvE_clEvENKUlvE_clEvENKUlN3c107complexIdEEE_clES7_@rel32@lo+4
	s_addc_u32 s21, s21, _ZZZZN2at6native15exp_kernel_cudaERNS_18TensorIteratorBaseEENKUlvE_clEvENKUlvE_clEvENKUlN3c107complexIdEEE_clES7_@rel32@hi+12
	s_waitcnt lgkmcnt(0)
	global_load_b128 v[0:3], v0, s[18:19]
	v_add_co_u32 v70, s0, s16, v68
	s_delay_alu instid0(VALU_DEP_1)
	v_add_co_ci_u32_e64 v71, null, s17, 0, s0
	s_swappc_b64 s[30:31], s[20:21]
	v_dual_mov_b32 v40, v0 :: v_dual_mov_b32 v41, v1
	v_dual_mov_b32 v42, v2 :: v_dual_mov_b32 v43, v3
	global_load_b128 v[0:3], v44, s[18:19]
	s_swappc_b64 s[30:31], s[20:21]
	v_dual_mov_b32 v44, v0 :: v_dual_mov_b32 v45, v1
	v_dual_mov_b32 v46, v2 :: v_dual_mov_b32 v47, v3
	global_load_b128 v[0:3], v56, s[18:19]
	;; [unrolled: 4-line block ×3, first 2 shown]
	s_swappc_b64 s[30:31], s[20:21]
	s_or_b32 s14, s14, exec_lo
	s_clause 0x3
	global_store_b128 v60, v[40:43], s[16:17]
	global_store_b128 v61, v[44:47], s[16:17]
	;; [unrolled: 1-line block ×3, first 2 shown]
	global_store_b64 v68, v[0:1], s[16:17]
	s_or_b32 exec_lo, exec_lo, s15
	s_and_saveexec_b32 s0, s14
	s_cbranch_execz .LBB54_3
.LBB54_118:
	global_store_b64 v[70:71], v[2:3], off offset:8
	s_endpgm
	.section	.rodata,"a",@progbits
	.p2align	6, 0x0
	.amdhsa_kernel _ZN2at6native32elementwise_kernel_manual_unrollILi128ELi4EZNS0_22gpu_kernel_impl_nocastIZZZNS0_15exp_kernel_cudaERNS_18TensorIteratorBaseEENKUlvE_clEvENKUlvE_clEvEUlN3c107complexIdEEE_EEvS4_RKT_EUlibE_EEviT1_
		.amdhsa_group_segment_fixed_size 0
		.amdhsa_private_segment_fixed_size 0
		.amdhsa_kernarg_size 360
		.amdhsa_user_sgpr_count 15
		.amdhsa_user_sgpr_dispatch_ptr 0
		.amdhsa_user_sgpr_queue_ptr 0
		.amdhsa_user_sgpr_kernarg_segment_ptr 1
		.amdhsa_user_sgpr_dispatch_id 0
		.amdhsa_user_sgpr_private_segment_size 0
		.amdhsa_wavefront_size32 1
		.amdhsa_uses_dynamic_stack 0
		.amdhsa_enable_private_segment 0
		.amdhsa_system_sgpr_workgroup_id_x 1
		.amdhsa_system_sgpr_workgroup_id_y 0
		.amdhsa_system_sgpr_workgroup_id_z 0
		.amdhsa_system_sgpr_workgroup_info 0
		.amdhsa_system_vgpr_workitem_id 0
		.amdhsa_next_free_vgpr 72
		.amdhsa_next_free_sgpr 60
		.amdhsa_reserve_vcc 1
		.amdhsa_float_round_mode_32 0
		.amdhsa_float_round_mode_16_64 0
		.amdhsa_float_denorm_mode_32 3
		.amdhsa_float_denorm_mode_16_64 3
		.amdhsa_dx10_clamp 1
		.amdhsa_ieee_mode 1
		.amdhsa_fp16_overflow 0
		.amdhsa_workgroup_processor_mode 1
		.amdhsa_memory_ordered 1
		.amdhsa_forward_progress 0
		.amdhsa_shared_vgpr_count 0
		.amdhsa_exception_fp_ieee_invalid_op 0
		.amdhsa_exception_fp_denorm_src 0
		.amdhsa_exception_fp_ieee_div_zero 0
		.amdhsa_exception_fp_ieee_overflow 0
		.amdhsa_exception_fp_ieee_underflow 0
		.amdhsa_exception_fp_ieee_inexact 0
		.amdhsa_exception_int_div_zero 0
	.end_amdhsa_kernel
	.section	.text._ZN2at6native32elementwise_kernel_manual_unrollILi128ELi4EZNS0_22gpu_kernel_impl_nocastIZZZNS0_15exp_kernel_cudaERNS_18TensorIteratorBaseEENKUlvE_clEvENKUlvE_clEvEUlN3c107complexIdEEE_EEvS4_RKT_EUlibE_EEviT1_,"axG",@progbits,_ZN2at6native32elementwise_kernel_manual_unrollILi128ELi4EZNS0_22gpu_kernel_impl_nocastIZZZNS0_15exp_kernel_cudaERNS_18TensorIteratorBaseEENKUlvE_clEvENKUlvE_clEvEUlN3c107complexIdEEE_EEvS4_RKT_EUlibE_EEviT1_,comdat
.Lfunc_end54:
	.size	_ZN2at6native32elementwise_kernel_manual_unrollILi128ELi4EZNS0_22gpu_kernel_impl_nocastIZZZNS0_15exp_kernel_cudaERNS_18TensorIteratorBaseEENKUlvE_clEvENKUlvE_clEvEUlN3c107complexIdEEE_EEvS4_RKT_EUlibE_EEviT1_, .Lfunc_end54-_ZN2at6native32elementwise_kernel_manual_unrollILi128ELi4EZNS0_22gpu_kernel_impl_nocastIZZZNS0_15exp_kernel_cudaERNS_18TensorIteratorBaseEENKUlvE_clEvENKUlvE_clEvEUlN3c107complexIdEEE_EEvS4_RKT_EUlibE_EEviT1_
                                        ; -- End function
	.section	.AMDGPU.csdata,"",@progbits
; Kernel info:
; codeLenInByte = 6968
; NumSgprs: 62
; NumVgprs: 72
; ScratchSize: 0
; MemoryBound: 0
; FloatMode: 240
; IeeeMode: 1
; LDSByteSize: 0 bytes/workgroup (compile time only)
; SGPRBlocks: 7
; VGPRBlocks: 8
; NumSGPRsForWavesPerEU: 62
; NumVGPRsForWavesPerEU: 72
; Occupancy: 16
; WaveLimiterHint : 1
; COMPUTE_PGM_RSRC2:SCRATCH_EN: 0
; COMPUTE_PGM_RSRC2:USER_SGPR: 15
; COMPUTE_PGM_RSRC2:TRAP_HANDLER: 0
; COMPUTE_PGM_RSRC2:TGID_X_EN: 1
; COMPUTE_PGM_RSRC2:TGID_Y_EN: 0
; COMPUTE_PGM_RSRC2:TGID_Z_EN: 0
; COMPUTE_PGM_RSRC2:TIDIG_COMP_CNT: 0
	.section	.text._ZN2at6native32elementwise_kernel_manual_unrollILi128ELi4EZNS0_15gpu_kernel_implIZZZNS0_15exp_kernel_cudaERNS_18TensorIteratorBaseEENKUlvE_clEvENKUlvE_clEvEUlN3c107complexIdEEE_EEvS4_RKT_EUlibE_EEviT1_,"axG",@progbits,_ZN2at6native32elementwise_kernel_manual_unrollILi128ELi4EZNS0_15gpu_kernel_implIZZZNS0_15exp_kernel_cudaERNS_18TensorIteratorBaseEENKUlvE_clEvENKUlvE_clEvEUlN3c107complexIdEEE_EEvS4_RKT_EUlibE_EEviT1_,comdat
	.globl	_ZN2at6native32elementwise_kernel_manual_unrollILi128ELi4EZNS0_15gpu_kernel_implIZZZNS0_15exp_kernel_cudaERNS_18TensorIteratorBaseEENKUlvE_clEvENKUlvE_clEvEUlN3c107complexIdEEE_EEvS4_RKT_EUlibE_EEviT1_ ; -- Begin function _ZN2at6native32elementwise_kernel_manual_unrollILi128ELi4EZNS0_15gpu_kernel_implIZZZNS0_15exp_kernel_cudaERNS_18TensorIteratorBaseEENKUlvE_clEvENKUlvE_clEvEUlN3c107complexIdEEE_EEvS4_RKT_EUlibE_EEviT1_
	.p2align	8
	.type	_ZN2at6native32elementwise_kernel_manual_unrollILi128ELi4EZNS0_15gpu_kernel_implIZZZNS0_15exp_kernel_cudaERNS_18TensorIteratorBaseEENKUlvE_clEvENKUlvE_clEvEUlN3c107complexIdEEE_EEvS4_RKT_EUlibE_EEviT1_,@function
_ZN2at6native32elementwise_kernel_manual_unrollILi128ELi4EZNS0_15gpu_kernel_implIZZZNS0_15exp_kernel_cudaERNS_18TensorIteratorBaseEENKUlvE_clEvENKUlvE_clEvEUlN3c107complexIdEEE_EEvS4_RKT_EUlibE_EEviT1_: ; @_ZN2at6native32elementwise_kernel_manual_unrollILi128ELi4EZNS0_15gpu_kernel_implIZZZNS0_15exp_kernel_cudaERNS_18TensorIteratorBaseEENKUlvE_clEvENKUlvE_clEvEUlN3c107complexIdEEE_EEvS4_RKT_EUlibE_EEviT1_
; %bb.0:
	v_mov_b32_e32 v1, 0
	s_clause 0x2
	s_load_b32 s23, s[0:1], 0x0
	s_load_b64 s[20:21], s[0:1], 0x18
	s_load_b128 s[16:19], s[0:1], 0x8
	v_lshl_or_b32 v61, s15, 9, v0
	s_mov_b32 s14, 0
	s_mov_b32 s22, 0
	global_load_u16 v60, v1, s[0:1] offset:33
	s_mov_b32 s32, 0
	v_or_b32_e32 v0, 0x180, v61
	s_mov_b32 s0, exec_lo
	s_waitcnt vmcnt(0)
	v_lshrrev_b16 v62, 8, v60
	s_waitcnt lgkmcnt(0)
	v_cmpx_le_i32_e64 s23, v0
	s_xor_b32 s15, exec_lo, s0
	s_cbranch_execz .LBB55_1053
; %bb.1:
	s_mov_b32 s1, -1
	s_mov_b32 s26, 0
	s_mov_b32 s24, 0
	s_mov_b32 s25, exec_lo
	v_cmpx_gt_i32_e64 s23, v61
	s_cbranch_execz .LBB55_257
; %bb.2:
	v_mul_lo_u32 v0, v61, s21
	v_cmp_gt_i16_e32 vcc_lo, 11, v62
	s_delay_alu instid0(VALU_DEP_2) | instskip(SKIP_1) | instid1(VALU_DEP_1)
	v_ashrrev_i32_e32 v1, 31, v0
	v_add_co_u32 v4, s0, s18, v0
	v_add_co_ci_u32_e64 v5, s0, s19, v1, s0
	s_cbranch_vccnz .LBB55_9
; %bb.3:
	v_cmp_lt_i16_e32 vcc_lo, 25, v62
	s_cbranch_vccz .LBB55_18
; %bb.4:
	v_cmp_lt_i16_e32 vcc_lo, 28, v62
	s_cbranch_vccz .LBB55_21
	;; [unrolled: 3-line block ×4, first 2 shown]
; %bb.7:
	v_cmp_eq_u16_e32 vcc_lo, 46, v62
	s_mov_b32 s0, 0
	s_cbranch_vccz .LBB55_27
; %bb.8:
	global_load_b32 v0, v[4:5], off
	s_mov_b32 s2, -1
	s_waitcnt vmcnt(0)
	v_lshlrev_b32_e32 v1, 16, v0
	v_and_b32_e32 v2, 0xffff0000, v0
	s_delay_alu instid0(VALU_DEP_2) | instskip(NEXT) | instid1(VALU_DEP_2)
	v_cvt_f64_f32_e32 v[0:1], v1
	v_cvt_f64_f32_e32 v[2:3], v2
	s_branch .LBB55_29
.LBB55_9:
	s_mov_b32 s2, 0
                                        ; implicit-def: $vgpr2_vgpr3
	s_cbranch_execnz .LBB55_205
.LBB55_10:
	s_and_not1_b32 vcc_lo, exec_lo, s2
	s_cbranch_vccnz .LBB55_254
.LBB55_11:
	s_getpc_b64 s[0:1]
	s_add_u32 s0, s0, _ZZZZN2at6native15exp_kernel_cudaERNS_18TensorIteratorBaseEENKUlvE_clEvENKUlvE_clEvENKUlN3c107complexIdEEE_clES7_@rel32@lo+4
	s_addc_u32 s1, s1, _ZZZZN2at6native15exp_kernel_cudaERNS_18TensorIteratorBaseEENKUlvE_clEvENKUlvE_clEvENKUlN3c107complexIdEEE_clES7_@rel32@hi+12
	s_delay_alu instid0(SALU_CYCLE_1) | instskip(SKIP_2) | instid1(VALU_DEP_1)
	s_swappc_b64 s[30:31], s[0:1]
	v_mul_lo_u32 v4, v61, s20
	v_and_b32_e32 v6, 0xff, v60
	v_cmp_gt_i16_e32 vcc_lo, 11, v6
	s_delay_alu instid0(VALU_DEP_3) | instskip(SKIP_1) | instid1(VALU_DEP_1)
	v_ashrrev_i32_e32 v5, 31, v4
	v_add_co_u32 v4, s0, s16, v4
	v_add_co_ci_u32_e64 v5, s0, s17, v5, s0
	s_cbranch_vccnz .LBB55_19
; %bb.12:
	v_cmp_lt_i16_e32 vcc_lo, 25, v6
	s_cbranch_vccz .LBB55_22
; %bb.13:
	v_cmp_lt_i16_e32 vcc_lo, 28, v6
	s_cbranch_vccz .LBB55_24
	;; [unrolled: 3-line block ×4, first 2 shown]
; %bb.16:
	v_cmp_eq_u16_e32 vcc_lo, 46, v6
	s_mov_b32 s2, 0
	s_mov_b32 s0, -1
	s_mov_b32 s1, 0
	s_cbranch_vccz .LBB55_33
; %bb.17:
	v_cvt_f32_f64_e32 v7, v[2:3]
	v_cvt_f32_f64_e32 v8, v[0:1]
	s_mov_b32 s1, -1
	s_mov_b32 s0, 0
	s_delay_alu instid0(VALU_DEP_2) | instskip(NEXT) | instid1(VALU_DEP_2)
	v_bfe_u32 v9, v7, 16, 1
	v_bfe_u32 v10, v8, 16, 1
	v_cmp_o_f32_e32 vcc_lo, v7, v7
	s_delay_alu instid0(VALU_DEP_3) | instskip(NEXT) | instid1(VALU_DEP_3)
	v_add3_u32 v9, v7, v9, 0x7fff
	v_add3_u32 v10, v8, v10, 0x7fff
	s_delay_alu instid0(VALU_DEP_2) | instskip(NEXT) | instid1(VALU_DEP_2)
	v_and_b32_e32 v9, 0xffff0000, v9
	v_lshrrev_b32_e32 v10, 16, v10
	s_delay_alu instid0(VALU_DEP_2) | instskip(SKIP_1) | instid1(VALU_DEP_3)
	v_cndmask_b32_e32 v7, 0x7fc00000, v9, vcc_lo
	v_cmp_o_f32_e32 vcc_lo, v8, v8
	v_cndmask_b32_e32 v8, 0x7fc0, v10, vcc_lo
	s_delay_alu instid0(VALU_DEP_1)
	v_or_b32_e32 v7, v7, v8
	global_store_b32 v[4:5], v7, off
	s_branch .LBB55_33
.LBB55_18:
	s_mov_b32 s2, 0
                                        ; implicit-def: $vgpr2_vgpr3
	s_cbranch_execnz .LBB55_171
	s_branch .LBB55_204
.LBB55_19:
	s_mov_b32 s0, 0
	s_mov_b32 s1, 0
	s_cbranch_execnz .LBB55_102
.LBB55_20:
	s_and_not1_b32 vcc_lo, exec_lo, s1
	s_cbranch_vccnz .LBB55_255
	s_branch .LBB55_140
.LBB55_21:
	s_mov_b32 s0, -1
	s_mov_b32 s2, 0
                                        ; implicit-def: $vgpr2_vgpr3
	s_branch .LBB55_150
.LBB55_22:
	s_mov_b32 s2, -1
	s_mov_b32 s0, 0
	s_mov_b32 s1, 0
	s_branch .LBB55_60
.LBB55_23:
	s_mov_b32 s0, -1
	s_mov_b32 s2, 0
                                        ; implicit-def: $vgpr2_vgpr3
	s_branch .LBB55_144
.LBB55_24:
	s_mov_b32 s2, -1
	s_mov_b32 s0, 0
	s_mov_b32 s1, 0
	s_branch .LBB55_43
.LBB55_25:
	s_mov_b32 s0, -1
	s_branch .LBB55_28
.LBB55_26:
	s_mov_b32 s2, -1
	s_mov_b32 s0, 0
	s_mov_b32 s1, 0
	s_branch .LBB55_39
.LBB55_27:
	s_mov_b32 s24, -1
.LBB55_28:
	s_mov_b32 s2, 0
                                        ; implicit-def: $vgpr2_vgpr3
.LBB55_29:
	s_and_b32 vcc_lo, exec_lo, s0
	s_cbranch_vccz .LBB55_143
; %bb.30:
	v_cmp_eq_u16_e32 vcc_lo, 44, v62
	s_cbranch_vccz .LBB55_141
; %bb.31:
	global_load_u8 v2, v[4:5], off
	s_mov_b32 s24, 0
	s_mov_b32 s2, -1
	s_mov_b64 s[0:1], 0
	s_waitcnt vmcnt(0)
	v_cmp_ne_u32_e32 vcc_lo, 0xff, v2
	v_lshlrev_b32_e32 v0, 23, v2
	s_delay_alu instid0(VALU_DEP_1) | instskip(NEXT) | instid1(VALU_DEP_1)
	v_cvt_f64_f32_e32 v[0:1], v0
	v_cndmask_b32_e32 v1, 0x7ff80000, v1, vcc_lo
	s_delay_alu instid0(VALU_DEP_2) | instskip(SKIP_1) | instid1(VALU_DEP_3)
	v_cndmask_b32_e32 v0, 0x20000000, v0, vcc_lo
	v_cmp_ne_u32_e32 vcc_lo, 0, v2
	v_cndmask_b32_e32 v1, 0x38000000, v1, vcc_lo
	s_delay_alu instid0(VALU_DEP_3)
	v_cndmask_b32_e32 v0, 0, v0, vcc_lo
	s_branch .LBB55_142
.LBB55_32:
	s_mov_b32 s2, -1
	s_mov_b32 s0, 0
	s_mov_b32 s1, 0
.LBB55_33:
	s_and_b32 vcc_lo, exec_lo, s2
	s_cbranch_vccz .LBB55_38
; %bb.34:
	v_cmp_eq_u16_e32 vcc_lo, 44, v6
	s_mov_b32 s0, -1
	s_cbranch_vccz .LBB55_38
; %bb.35:
	v_cvt_f32_f64_e32 v7, v[0:1]
	v_mov_b32_e32 v8, 0xff
	s_mov_b32 s1, exec_lo
	s_delay_alu instid0(VALU_DEP_2) | instskip(NEXT) | instid1(VALU_DEP_1)
	v_bfe_u32 v9, v7, 23, 8
	v_cmpx_ne_u32_e32 0xff, v9
; %bb.36:
	v_and_b32_e32 v8, 0x400000, v7
	v_and_or_b32 v9, 0x3fffff, v7, v9
	v_lshrrev_b32_e32 v7, 23, v7
	s_delay_alu instid0(VALU_DEP_3) | instskip(NEXT) | instid1(VALU_DEP_3)
	v_cmp_ne_u32_e32 vcc_lo, 0, v8
	v_cmp_ne_u32_e64 s0, 0, v9
	s_delay_alu instid0(VALU_DEP_1) | instskip(NEXT) | instid1(SALU_CYCLE_1)
	s_and_b32 s0, vcc_lo, s0
	v_cndmask_b32_e64 v8, 0, 1, s0
	s_delay_alu instid0(VALU_DEP_1)
	v_add_nc_u32_e32 v8, v7, v8
; %bb.37:
	s_or_b32 exec_lo, exec_lo, s1
	s_mov_b32 s1, -1
	s_mov_b32 s0, 0
	global_store_b8 v[4:5], v8, off
.LBB55_38:
	s_mov_b32 s2, 0
.LBB55_39:
	s_delay_alu instid0(SALU_CYCLE_1)
	s_and_b32 vcc_lo, exec_lo, s2
	s_cbranch_vccz .LBB55_42
; %bb.40:
	v_cmp_eq_u16_e32 vcc_lo, 29, v6
	s_mov_b32 s0, -1
	s_cbranch_vccz .LBB55_42
; %bb.41:
	v_trunc_f64_e32 v[7:8], v[0:1]
	s_mov_b32 s1, -1
	s_mov_b32 s0, 0
	s_mov_b32 s2, 0
	s_delay_alu instid0(VALU_DEP_1) | instskip(NEXT) | instid1(VALU_DEP_1)
	v_ldexp_f64 v[9:10], v[7:8], 0xffffffe0
	v_floor_f64_e32 v[9:10], v[9:10]
	s_delay_alu instid0(VALU_DEP_1) | instskip(SKIP_1) | instid1(VALU_DEP_2)
	v_fma_f64 v[7:8], 0xc1f00000, v[9:10], v[7:8]
	v_cvt_u32_f64_e32 v9, v[9:10]
	v_cvt_u32_f64_e32 v8, v[7:8]
	global_store_b64 v[4:5], v[8:9], off
	s_branch .LBB55_43
.LBB55_42:
	s_mov_b32 s2, 0
.LBB55_43:
	s_delay_alu instid0(SALU_CYCLE_1)
	s_and_b32 vcc_lo, exec_lo, s2
	s_cbranch_vccz .LBB55_59
; %bb.44:
	v_cmp_gt_i16_e32 vcc_lo, 27, v6
	s_mov_b32 s1, -1
	s_cbranch_vccnz .LBB55_50
; %bb.45:
	v_cmp_lt_i16_e32 vcc_lo, 27, v6
	s_cbranch_vccz .LBB55_47
; %bb.46:
	v_cvt_u32_f64_e32 v7, v[0:1]
	s_mov_b32 s1, 0
	global_store_b32 v[4:5], v7, off
.LBB55_47:
	s_and_not1_b32 vcc_lo, exec_lo, s1
	s_cbranch_vccnz .LBB55_49
; %bb.48:
	v_cvt_u32_f64_e32 v7, v[0:1]
	global_store_b16 v[4:5], v7, off
.LBB55_49:
	s_mov_b32 s1, 0
.LBB55_50:
	s_delay_alu instid0(SALU_CYCLE_1)
	s_and_not1_b32 vcc_lo, exec_lo, s1
	s_cbranch_vccnz .LBB55_58
; %bb.51:
	v_cvt_f32_f64_e32 v7, v[0:1]
	v_mov_b32_e32 v9, 0x80
	s_mov_b32 s1, exec_lo
	s_delay_alu instid0(VALU_DEP_2) | instskip(NEXT) | instid1(VALU_DEP_1)
	v_and_b32_e32 v8, 0x7fffffff, v7
	v_cmpx_gt_u32_e32 0x43800000, v8
	s_cbranch_execz .LBB55_57
; %bb.52:
	v_cmp_lt_u32_e32 vcc_lo, 0x3bffffff, v8
	s_mov_b32 s2, 0
                                        ; implicit-def: $vgpr8
	s_and_saveexec_b32 s3, vcc_lo
	s_delay_alu instid0(SALU_CYCLE_1)
	s_xor_b32 s3, exec_lo, s3
	s_cbranch_execz .LBB55_281
; %bb.53:
	v_bfe_u32 v8, v7, 20, 1
	s_mov_b32 s2, exec_lo
	s_delay_alu instid0(VALU_DEP_1) | instskip(NEXT) | instid1(VALU_DEP_1)
	v_add3_u32 v8, v7, v8, 0x487ffff
	v_lshrrev_b32_e32 v8, 20, v8
	s_or_saveexec_b32 s3, s3
                                        ; implicit-def: $sgpr4
	s_delay_alu instid0(SALU_CYCLE_1)
	s_xor_b32 exec_lo, exec_lo, s3
	s_cbranch_execnz .LBB55_282
.LBB55_54:
	s_or_b32 exec_lo, exec_lo, s3
	v_mov_b32_e32 v9, s4
	s_and_saveexec_b32 s3, s2
.LBB55_55:
	v_lshrrev_b32_e32 v7, 24, v7
	s_delay_alu instid0(VALU_DEP_1)
	v_and_or_b32 v9, 0x80, v7, v8
.LBB55_56:
	s_or_b32 exec_lo, exec_lo, s3
.LBB55_57:
	s_delay_alu instid0(SALU_CYCLE_1)
	s_or_b32 exec_lo, exec_lo, s1
	global_store_b8 v[4:5], v9, off
.LBB55_58:
	s_mov_b32 s1, -1
.LBB55_59:
	s_mov_b32 s2, 0
.LBB55_60:
	s_delay_alu instid0(SALU_CYCLE_1)
	s_and_b32 vcc_lo, exec_lo, s2
	s_cbranch_vccz .LBB55_101
; %bb.61:
	v_cmp_lt_i16_e32 vcc_lo, 22, v6
	s_mov_b32 s2, -1
	s_cbranch_vccz .LBB55_93
; %bb.62:
	v_cmp_gt_i16_e32 vcc_lo, 24, v6
	s_mov_b32 s1, -1
	s_cbranch_vccnz .LBB55_82
; %bb.63:
	v_cmp_lt_i16_e32 vcc_lo, 24, v6
	s_cbranch_vccz .LBB55_71
; %bb.64:
	v_cvt_f32_f64_e32 v7, v[0:1]
	v_mov_b32_e32 v9, 0x80
	s_mov_b32 s1, exec_lo
	s_delay_alu instid0(VALU_DEP_2) | instskip(NEXT) | instid1(VALU_DEP_1)
	v_and_b32_e32 v8, 0x7fffffff, v7
	v_cmpx_gt_u32_e32 0x47800000, v8
	s_cbranch_execz .LBB55_70
; %bb.65:
	v_cmp_lt_u32_e32 vcc_lo, 0x37ffffff, v8
	s_mov_b32 s2, 0
                                        ; implicit-def: $vgpr8
	s_and_saveexec_b32 s3, vcc_lo
	s_delay_alu instid0(SALU_CYCLE_1)
	s_xor_b32 s3, exec_lo, s3
	s_cbranch_execz .LBB55_285
; %bb.66:
	v_bfe_u32 v8, v7, 21, 1
	s_mov_b32 s2, exec_lo
	s_delay_alu instid0(VALU_DEP_1) | instskip(NEXT) | instid1(VALU_DEP_1)
	v_add3_u32 v8, v7, v8, 0x88fffff
	v_lshrrev_b32_e32 v8, 21, v8
	s_or_saveexec_b32 s3, s3
                                        ; implicit-def: $sgpr4
	s_delay_alu instid0(SALU_CYCLE_1)
	s_xor_b32 exec_lo, exec_lo, s3
	s_cbranch_execnz .LBB55_286
.LBB55_67:
	s_or_b32 exec_lo, exec_lo, s3
	v_mov_b32_e32 v9, s4
	s_and_saveexec_b32 s3, s2
.LBB55_68:
	v_lshrrev_b32_e32 v7, 24, v7
	s_delay_alu instid0(VALU_DEP_1)
	v_and_or_b32 v9, 0x80, v7, v8
.LBB55_69:
	s_or_b32 exec_lo, exec_lo, s3
.LBB55_70:
	s_delay_alu instid0(SALU_CYCLE_1)
	s_or_b32 exec_lo, exec_lo, s1
	s_mov_b32 s1, 0
	global_store_b8 v[4:5], v9, off
.LBB55_71:
	s_and_b32 vcc_lo, exec_lo, s1
	s_cbranch_vccz .LBB55_81
; %bb.72:
	v_cvt_f32_f64_e32 v7, v[0:1]
	s_mov_b32 s1, exec_lo
                                        ; implicit-def: $vgpr8
	s_delay_alu instid0(VALU_DEP_1) | instskip(NEXT) | instid1(VALU_DEP_1)
	v_and_b32_e32 v9, 0x7fffffff, v7
	v_cmpx_gt_u32_e32 0x43f00000, v9
	s_xor_b32 s1, exec_lo, s1
	s_cbranch_execz .LBB55_78
; %bb.73:
	s_mov_b32 s2, exec_lo
                                        ; implicit-def: $vgpr8
	v_cmpx_lt_u32_e32 0x3c7fffff, v9
	s_xor_b32 s2, exec_lo, s2
; %bb.74:
	v_bfe_u32 v8, v7, 20, 1
	s_delay_alu instid0(VALU_DEP_1) | instskip(NEXT) | instid1(VALU_DEP_1)
	v_add3_u32 v8, v7, v8, 0x407ffff
	v_and_b32_e32 v9, 0xff00000, v8
	v_lshrrev_b32_e32 v8, 20, v8
	s_delay_alu instid0(VALU_DEP_2) | instskip(NEXT) | instid1(VALU_DEP_2)
	v_cmp_ne_u32_e32 vcc_lo, 0x7f00000, v9
	v_cndmask_b32_e32 v8, 0x7e, v8, vcc_lo
; %bb.75:
	s_and_not1_saveexec_b32 s2, s2
; %bb.76:
	v_add_f32_e64 v8, 0x46800000, |v7|
; %bb.77:
	s_or_b32 exec_lo, exec_lo, s2
                                        ; implicit-def: $vgpr9
.LBB55_78:
	s_and_not1_saveexec_b32 s1, s1
; %bb.79:
	v_mov_b32_e32 v8, 0x7f
	v_cmp_lt_u32_e32 vcc_lo, 0x7f800000, v9
	s_delay_alu instid0(VALU_DEP_2)
	v_cndmask_b32_e32 v8, 0x7e, v8, vcc_lo
; %bb.80:
	s_or_b32 exec_lo, exec_lo, s1
	v_lshrrev_b32_e32 v7, 24, v7
	s_delay_alu instid0(VALU_DEP_1)
	v_and_or_b32 v7, 0x80, v7, v8
	global_store_b8 v[4:5], v7, off
.LBB55_81:
	s_mov_b32 s1, 0
.LBB55_82:
	s_delay_alu instid0(SALU_CYCLE_1)
	s_and_not1_b32 vcc_lo, exec_lo, s1
	s_cbranch_vccnz .LBB55_92
; %bb.83:
	v_cvt_f32_f64_e32 v7, v[0:1]
	s_mov_b32 s1, exec_lo
                                        ; implicit-def: $vgpr8
	s_delay_alu instid0(VALU_DEP_1) | instskip(NEXT) | instid1(VALU_DEP_1)
	v_and_b32_e32 v9, 0x7fffffff, v7
	v_cmpx_gt_u32_e32 0x47800000, v9
	s_xor_b32 s1, exec_lo, s1
	s_cbranch_execz .LBB55_89
; %bb.84:
	s_mov_b32 s2, exec_lo
                                        ; implicit-def: $vgpr8
	v_cmpx_lt_u32_e32 0x387fffff, v9
	s_xor_b32 s2, exec_lo, s2
; %bb.85:
	v_bfe_u32 v8, v7, 21, 1
	s_delay_alu instid0(VALU_DEP_1) | instskip(NEXT) | instid1(VALU_DEP_1)
	v_add3_u32 v8, v7, v8, 0x80fffff
	v_lshrrev_b32_e32 v8, 21, v8
; %bb.86:
	s_and_not1_saveexec_b32 s2, s2
; %bb.87:
	v_add_f32_e64 v8, 0x43000000, |v7|
; %bb.88:
	s_or_b32 exec_lo, exec_lo, s2
                                        ; implicit-def: $vgpr9
.LBB55_89:
	s_and_not1_saveexec_b32 s1, s1
; %bb.90:
	v_mov_b32_e32 v8, 0x7f
	v_cmp_lt_u32_e32 vcc_lo, 0x7f800000, v9
	s_delay_alu instid0(VALU_DEP_2)
	v_cndmask_b32_e32 v8, 0x7c, v8, vcc_lo
; %bb.91:
	s_or_b32 exec_lo, exec_lo, s1
	v_lshrrev_b32_e32 v7, 24, v7
	s_delay_alu instid0(VALU_DEP_1)
	v_and_or_b32 v7, 0x80, v7, v8
	global_store_b8 v[4:5], v7, off
.LBB55_92:
	s_mov_b32 s2, 0
	s_mov_b32 s1, -1
.LBB55_93:
	s_and_not1_b32 vcc_lo, exec_lo, s2
	s_cbranch_vccnz .LBB55_101
; %bb.94:
	v_cmp_lt_i16_e32 vcc_lo, 14, v6
	s_mov_b32 s2, -1
	s_cbranch_vccz .LBB55_98
; %bb.95:
	v_cmp_eq_u16_e32 vcc_lo, 15, v6
	s_mov_b32 s0, -1
	s_cbranch_vccz .LBB55_97
; %bb.96:
	v_cvt_f32_f64_e32 v7, v[0:1]
	s_mov_b32 s1, -1
	s_mov_b32 s0, 0
	s_delay_alu instid0(VALU_DEP_1) | instskip(SKIP_1) | instid1(VALU_DEP_2)
	v_bfe_u32 v8, v7, 16, 1
	v_cmp_o_f32_e32 vcc_lo, v7, v7
	v_add3_u32 v8, v7, v8, 0x7fff
	s_delay_alu instid0(VALU_DEP_1) | instskip(NEXT) | instid1(VALU_DEP_1)
	v_lshrrev_b32_e32 v8, 16, v8
	v_cndmask_b32_e32 v7, 0x7fc0, v8, vcc_lo
	global_store_b16 v[4:5], v7, off
.LBB55_97:
	s_mov_b32 s2, 0
.LBB55_98:
	s_delay_alu instid0(SALU_CYCLE_1)
	s_and_b32 vcc_lo, exec_lo, s2
	s_cbranch_vccz .LBB55_101
; %bb.99:
	v_cmp_eq_u16_e32 vcc_lo, 11, v6
	s_mov_b32 s0, -1
	s_cbranch_vccz .LBB55_101
; %bb.100:
	v_cmp_neq_f64_e32 vcc_lo, 0, v[0:1]
	v_cmp_neq_f64_e64 s0, 0, v[2:3]
	s_mov_b32 s1, -1
	s_delay_alu instid0(VALU_DEP_1) | instskip(NEXT) | instid1(SALU_CYCLE_1)
	s_or_b32 s0, vcc_lo, s0
	v_cndmask_b32_e64 v7, 0, 1, s0
	s_mov_b32 s0, 0
	global_store_b8 v[4:5], v7, off
.LBB55_101:
	s_branch .LBB55_20
.LBB55_102:
	v_cmp_gt_i16_e32 vcc_lo, 5, v6
	s_mov_b32 s1, -1
	s_cbranch_vccnz .LBB55_123
; %bb.103:
	v_cmp_gt_i16_e32 vcc_lo, 8, v6
	s_cbranch_vccnz .LBB55_113
; %bb.104:
	v_cmp_gt_i16_e32 vcc_lo, 9, v6
	s_cbranch_vccnz .LBB55_110
; %bb.105:
	v_cmp_lt_i16_e32 vcc_lo, 9, v6
	s_cbranch_vccz .LBB55_107
; %bb.106:
	s_mov_b32 s1, 0
	global_store_b128 v[4:5], v[0:3], off
.LBB55_107:
	s_and_not1_b32 vcc_lo, exec_lo, s1
	s_cbranch_vccnz .LBB55_109
; %bb.108:
	v_cvt_f32_f64_e32 v7, v[0:1]
	v_cvt_f32_f64_e32 v8, v[2:3]
	global_store_b64 v[4:5], v[7:8], off
.LBB55_109:
	s_mov_b32 s1, 0
.LBB55_110:
	s_delay_alu instid0(SALU_CYCLE_1)
	s_and_not1_b32 vcc_lo, exec_lo, s1
	s_cbranch_vccnz .LBB55_112
; %bb.111:
	v_cvt_f32_f64_e32 v2, v[2:3]
	v_cvt_f32_f64_e32 v3, v[0:1]
	s_delay_alu instid0(VALU_DEP_2) | instskip(NEXT) | instid1(VALU_DEP_2)
	v_cvt_f16_f32_e32 v2, v2
	v_cvt_f16_f32_e32 v3, v3
	s_delay_alu instid0(VALU_DEP_2) | instskip(NEXT) | instid1(VALU_DEP_2)
	v_lshlrev_b32_e32 v2, 16, v2
	v_and_b32_e32 v3, 0xffff, v3
	s_delay_alu instid0(VALU_DEP_1)
	v_or_b32_e32 v2, v2, v3
	global_store_b32 v[4:5], v2, off
.LBB55_112:
	s_mov_b32 s1, 0
.LBB55_113:
	s_delay_alu instid0(SALU_CYCLE_1)
	s_and_not1_b32 vcc_lo, exec_lo, s1
	s_cbranch_vccnz .LBB55_122
; %bb.114:
	v_cmp_gt_i16_e32 vcc_lo, 6, v6
	s_mov_b32 s1, -1
	s_cbranch_vccnz .LBB55_120
; %bb.115:
	v_cmp_lt_i16_e32 vcc_lo, 6, v6
	s_cbranch_vccz .LBB55_117
; %bb.116:
	s_mov_b32 s1, 0
	global_store_b64 v[4:5], v[0:1], off
.LBB55_117:
	s_and_not1_b32 vcc_lo, exec_lo, s1
	s_cbranch_vccnz .LBB55_119
; %bb.118:
	v_cvt_f32_f64_e32 v2, v[0:1]
	global_store_b32 v[4:5], v2, off
.LBB55_119:
	s_mov_b32 s1, 0
.LBB55_120:
	s_delay_alu instid0(SALU_CYCLE_1)
	s_and_not1_b32 vcc_lo, exec_lo, s1
	s_cbranch_vccnz .LBB55_122
; %bb.121:
	v_cvt_f32_f64_e32 v2, v[0:1]
	s_delay_alu instid0(VALU_DEP_1)
	v_cvt_f16_f32_e32 v2, v2
	global_store_b16 v[4:5], v2, off
.LBB55_122:
	s_mov_b32 s1, 0
.LBB55_123:
	s_delay_alu instid0(SALU_CYCLE_1)
	s_and_not1_b32 vcc_lo, exec_lo, s1
	s_cbranch_vccnz .LBB55_139
; %bb.124:
	v_cmp_gt_i16_e32 vcc_lo, 2, v6
	s_mov_b32 s1, -1
	s_cbranch_vccnz .LBB55_134
; %bb.125:
	v_cmp_gt_i16_e32 vcc_lo, 3, v6
	s_cbranch_vccnz .LBB55_131
; %bb.126:
	v_cmp_lt_i16_e32 vcc_lo, 3, v6
	s_cbranch_vccz .LBB55_128
; %bb.127:
	v_trunc_f64_e32 v[2:3], v[0:1]
	s_mov_b32 s1, 0
	s_delay_alu instid0(VALU_DEP_1) | instskip(NEXT) | instid1(VALU_DEP_1)
	v_ldexp_f64 v[7:8], v[2:3], 0xffffffe0
	v_floor_f64_e32 v[7:8], v[7:8]
	s_delay_alu instid0(VALU_DEP_1) | instskip(SKIP_1) | instid1(VALU_DEP_2)
	v_fma_f64 v[2:3], 0xc1f00000, v[7:8], v[2:3]
	v_cvt_i32_f64_e32 v8, v[7:8]
	v_cvt_u32_f64_e32 v7, v[2:3]
	global_store_b64 v[4:5], v[7:8], off
.LBB55_128:
	s_and_not1_b32 vcc_lo, exec_lo, s1
	s_cbranch_vccnz .LBB55_130
; %bb.129:
	v_cvt_i32_f64_e32 v2, v[0:1]
	global_store_b32 v[4:5], v2, off
.LBB55_130:
	s_mov_b32 s1, 0
.LBB55_131:
	s_delay_alu instid0(SALU_CYCLE_1)
	s_and_not1_b32 vcc_lo, exec_lo, s1
	s_cbranch_vccnz .LBB55_133
; %bb.132:
	v_cvt_i32_f64_e32 v2, v[0:1]
	global_store_b16 v[4:5], v2, off
.LBB55_133:
	s_mov_b32 s1, 0
.LBB55_134:
	s_delay_alu instid0(SALU_CYCLE_1)
	s_and_not1_b32 vcc_lo, exec_lo, s1
	s_cbranch_vccnz .LBB55_139
; %bb.135:
	v_cmp_lt_i16_e32 vcc_lo, 0, v6
	s_mov_b32 s1, -1
	s_cbranch_vccz .LBB55_137
; %bb.136:
	v_cvt_i32_f64_e32 v2, v[0:1]
	s_mov_b32 s1, 0
	global_store_b8 v[4:5], v2, off
.LBB55_137:
	s_and_not1_b32 vcc_lo, exec_lo, s1
	s_cbranch_vccnz .LBB55_139
; %bb.138:
	v_trunc_f64_e32 v[0:1], v[0:1]
	s_delay_alu instid0(VALU_DEP_1) | instskip(NEXT) | instid1(VALU_DEP_1)
	v_ldexp_f64 v[2:3], v[0:1], 0xffffffe0
	v_floor_f64_e32 v[2:3], v[2:3]
	s_delay_alu instid0(VALU_DEP_1) | instskip(NEXT) | instid1(VALU_DEP_1)
	v_fma_f64 v[0:1], 0xc1f00000, v[2:3], v[0:1]
	v_cvt_u32_f64_e32 v0, v[0:1]
	global_store_b8 v[4:5], v0, off
.LBB55_139:
.LBB55_140:
	v_add_nc_u32_e32 v61, 0x80, v61
	s_mov_b32 s1, -1
	s_branch .LBB55_256
.LBB55_141:
	s_mov_b32 s24, -1
                                        ; implicit-def: $sgpr0_sgpr1
                                        ; implicit-def: $vgpr0_vgpr1
.LBB55_142:
	v_dual_mov_b32 v3, s1 :: v_dual_mov_b32 v2, s0
.LBB55_143:
	s_mov_b32 s0, 0
.LBB55_144:
	s_delay_alu instid0(SALU_CYCLE_1)
	s_and_b32 vcc_lo, exec_lo, s0
	s_cbranch_vccz .LBB55_149
; %bb.145:
	v_cmp_eq_u16_e32 vcc_lo, 29, v62
	s_cbranch_vccz .LBB55_147
; %bb.146:
	global_load_b64 v[0:1], v[4:5], off
	s_mov_b32 s2, -1
	s_mov_b32 s24, 0
	s_mov_b64 s[0:1], 0
	s_waitcnt vmcnt(0)
	v_cvt_f64_u32_e32 v[1:2], v1
	v_cvt_f64_u32_e32 v[6:7], v0
	s_delay_alu instid0(VALU_DEP_2) | instskip(NEXT) | instid1(VALU_DEP_1)
	v_ldexp_f64 v[1:2], v[1:2], 32
	v_add_f64 v[0:1], v[1:2], v[6:7]
	s_branch .LBB55_148
.LBB55_147:
	s_mov_b32 s24, -1
                                        ; implicit-def: $sgpr0_sgpr1
                                        ; implicit-def: $vgpr0_vgpr1
.LBB55_148:
	v_dual_mov_b32 v3, s1 :: v_dual_mov_b32 v2, s0
.LBB55_149:
	s_mov_b32 s0, 0
.LBB55_150:
	s_delay_alu instid0(SALU_CYCLE_1)
	s_and_b32 vcc_lo, exec_lo, s0
	s_cbranch_vccz .LBB55_170
; %bb.151:
	v_cmp_gt_i16_e32 vcc_lo, 27, v62
	s_cbranch_vccnz .LBB55_154
; %bb.152:
	v_cmp_lt_i16_e32 vcc_lo, 27, v62
	s_cbranch_vccz .LBB55_155
; %bb.153:
	global_load_b32 v0, v[4:5], off
	s_mov_b32 s2, 0
	s_mov_b64 s[0:1], 0
	s_waitcnt vmcnt(0)
	v_cvt_f64_u32_e32 v[0:1], v0
	s_branch .LBB55_156
.LBB55_154:
	s_mov_b32 s2, -1
                                        ; implicit-def: $sgpr0_sgpr1
                                        ; implicit-def: $vgpr0_vgpr1
	s_branch .LBB55_159
.LBB55_155:
	s_mov_b32 s2, -1
                                        ; implicit-def: $sgpr0_sgpr1
                                        ; implicit-def: $vgpr0_vgpr1
.LBB55_156:
	s_delay_alu instid0(SALU_CYCLE_1)
	s_and_not1_b32 vcc_lo, exec_lo, s2
	s_cbranch_vccnz .LBB55_158
; %bb.157:
	global_load_u16 v0, v[4:5], off
	s_mov_b64 s[0:1], 0
	s_waitcnt vmcnt(0)
	v_cvt_f64_u32_e32 v[0:1], v0
.LBB55_158:
	s_mov_b32 s2, 0
.LBB55_159:
	v_dual_mov_b32 v3, s1 :: v_dual_mov_b32 v2, s0
	s_and_not1_b32 vcc_lo, exec_lo, s2
	s_cbranch_vccnz .LBB55_169
; %bb.160:
	global_load_u8 v6, v[4:5], off
	s_mov_b32 s4, 0
	s_mov_b32 s5, exec_lo
                                        ; implicit-def: $sgpr0_sgpr1
                                        ; implicit-def: $sgpr2_sgpr3
	s_waitcnt vmcnt(0)
	v_cmpx_lt_i16_e32 0x7f, v6
	s_xor_b32 s5, exec_lo, s5
	s_cbranch_execz .LBB55_164
; %bb.161:
	s_mov_b32 s4, -1
	s_mov_b32 s6, exec_lo
                                        ; implicit-def: $sgpr0_sgpr1
                                        ; implicit-def: $sgpr2_sgpr3
	v_cmpx_eq_u16_e32 0x80, v6
; %bb.162:
	s_mov_b64 s[0:1], 0
	s_mov_b32 s3, 0x7ff80000
	s_brev_b32 s2, 4
	s_xor_b32 s4, exec_lo, -1
; %bb.163:
	s_or_b32 exec_lo, exec_lo, s6
	s_delay_alu instid0(SALU_CYCLE_1)
	s_and_b32 s4, s4, exec_lo
.LBB55_164:
	s_or_saveexec_b32 s5, s5
	v_dual_mov_b32 v3, s1 :: v_dual_mov_b32 v2, s0
	v_dual_mov_b32 v0, s2 :: v_dual_mov_b32 v1, s3
	s_xor_b32 exec_lo, exec_lo, s5
; %bb.165:
	v_mov_b32_e32 v2, 0
	v_mov_b32_e32 v3, 0
	v_cmp_ne_u16_e32 vcc_lo, 0, v6
	s_delay_alu instid0(VALU_DEP_3) | instskip(SKIP_1) | instid1(VALU_DEP_3)
	v_mov_b32_e32 v0, v2
	s_and_not1_b32 s0, s4, exec_lo
	v_mov_b32_e32 v1, v3
	s_and_b32 s1, vcc_lo, exec_lo
	s_delay_alu instid0(SALU_CYCLE_1)
	s_or_b32 s4, s0, s1
; %bb.166:
	s_or_b32 exec_lo, exec_lo, s5
	s_and_saveexec_b32 s0, s4
	s_cbranch_execz .LBB55_168
; %bb.167:
	v_and_b32_e32 v0, 0xffff, v6
	v_lshlrev_b32_e32 v6, 24, v6
	s_delay_alu instid0(VALU_DEP_2) | instskip(NEXT) | instid1(VALU_DEP_1)
	v_and_b32_e32 v1, 7, v0
	v_clz_i32_u32_e32 v2, v1
	s_delay_alu instid0(VALU_DEP_1) | instskip(NEXT) | instid1(VALU_DEP_1)
	v_min_u32_e32 v2, 32, v2
	v_subrev_nc_u32_e32 v3, 28, v2
	v_sub_nc_u32_e32 v2, 29, v2
	s_delay_alu instid0(VALU_DEP_2) | instskip(SKIP_1) | instid1(VALU_DEP_2)
	v_lshlrev_b32_e32 v3, v3, v0
	v_bfe_u32 v0, v0, 3, 4
	v_and_b32_e32 v3, 7, v3
	s_delay_alu instid0(VALU_DEP_2) | instskip(NEXT) | instid1(VALU_DEP_2)
	v_cmp_eq_u32_e32 vcc_lo, 0, v0
	v_dual_cndmask_b32 v0, v0, v2 :: v_dual_cndmask_b32 v1, v1, v3
	v_and_b32_e32 v2, 0x80000000, v6
	s_delay_alu instid0(VALU_DEP_2) | instskip(NEXT) | instid1(VALU_DEP_3)
	v_lshl_add_u32 v0, v0, 23, 0x3b800000
	v_lshlrev_b32_e32 v1, 20, v1
	s_delay_alu instid0(VALU_DEP_1) | instskip(SKIP_2) | instid1(VALU_DEP_3)
	v_or3_b32 v0, v2, v0, v1
	v_mov_b32_e32 v2, 0
	v_mov_b32_e32 v3, 0
	v_cvt_f64_f32_e32 v[0:1], v0
.LBB55_168:
	s_or_b32 exec_lo, exec_lo, s0
.LBB55_169:
	s_mov_b32 s2, -1
.LBB55_170:
	s_branch .LBB55_204
.LBB55_171:
	v_cmp_lt_i16_e32 vcc_lo, 22, v62
	s_cbranch_vccz .LBB55_183
; %bb.172:
	v_cmp_gt_i16_e32 vcc_lo, 24, v62
	s_cbranch_vccnz .LBB55_184
; %bb.173:
	v_cmp_lt_i16_e32 vcc_lo, 24, v62
	s_cbranch_vccz .LBB55_185
; %bb.174:
	global_load_u8 v6, v[4:5], off
	s_mov_b32 s4, 0
	s_mov_b32 s5, exec_lo
                                        ; implicit-def: $sgpr0_sgpr1
                                        ; implicit-def: $sgpr2_sgpr3
	s_waitcnt vmcnt(0)
	v_cmpx_lt_i16_e32 0x7f, v6
	s_xor_b32 s5, exec_lo, s5
	s_cbranch_execz .LBB55_178
; %bb.175:
	s_mov_b32 s4, -1
	s_mov_b32 s6, exec_lo
                                        ; implicit-def: $sgpr0_sgpr1
                                        ; implicit-def: $sgpr2_sgpr3
	v_cmpx_eq_u16_e32 0x80, v6
; %bb.176:
	s_mov_b64 s[0:1], 0
	s_mov_b32 s3, 0x7ff80000
	s_brev_b32 s2, 4
	s_xor_b32 s4, exec_lo, -1
; %bb.177:
	s_or_b32 exec_lo, exec_lo, s6
	s_delay_alu instid0(SALU_CYCLE_1)
	s_and_b32 s4, s4, exec_lo
.LBB55_178:
	s_or_saveexec_b32 s5, s5
	v_dual_mov_b32 v3, s1 :: v_dual_mov_b32 v2, s0
	v_dual_mov_b32 v0, s2 :: v_dual_mov_b32 v1, s3
	s_xor_b32 exec_lo, exec_lo, s5
; %bb.179:
	v_mov_b32_e32 v2, 0
	v_mov_b32_e32 v3, 0
	v_cmp_ne_u16_e32 vcc_lo, 0, v6
	s_delay_alu instid0(VALU_DEP_3) | instskip(SKIP_1) | instid1(VALU_DEP_3)
	v_mov_b32_e32 v0, v2
	s_and_not1_b32 s0, s4, exec_lo
	v_mov_b32_e32 v1, v3
	s_and_b32 s1, vcc_lo, exec_lo
	s_delay_alu instid0(SALU_CYCLE_1)
	s_or_b32 s4, s0, s1
; %bb.180:
	s_or_b32 exec_lo, exec_lo, s5
	s_and_saveexec_b32 s0, s4
	s_cbranch_execz .LBB55_182
; %bb.181:
	v_and_b32_e32 v0, 0xffff, v6
	v_lshlrev_b32_e32 v6, 24, v6
	s_delay_alu instid0(VALU_DEP_2) | instskip(NEXT) | instid1(VALU_DEP_1)
	v_and_b32_e32 v1, 3, v0
	v_clz_i32_u32_e32 v2, v1
	s_delay_alu instid0(VALU_DEP_1) | instskip(NEXT) | instid1(VALU_DEP_1)
	v_min_u32_e32 v2, 32, v2
	v_subrev_nc_u32_e32 v3, 29, v2
	v_sub_nc_u32_e32 v2, 30, v2
	s_delay_alu instid0(VALU_DEP_2) | instskip(SKIP_1) | instid1(VALU_DEP_2)
	v_lshlrev_b32_e32 v3, v3, v0
	v_bfe_u32 v0, v0, 2, 5
	v_and_b32_e32 v3, 3, v3
	s_delay_alu instid0(VALU_DEP_2) | instskip(NEXT) | instid1(VALU_DEP_2)
	v_cmp_eq_u32_e32 vcc_lo, 0, v0
	v_dual_cndmask_b32 v0, v0, v2 :: v_dual_cndmask_b32 v1, v1, v3
	v_and_b32_e32 v2, 0x80000000, v6
	s_delay_alu instid0(VALU_DEP_2) | instskip(NEXT) | instid1(VALU_DEP_3)
	v_lshl_add_u32 v0, v0, 23, 0x37800000
	v_lshlrev_b32_e32 v1, 21, v1
	s_delay_alu instid0(VALU_DEP_1) | instskip(SKIP_2) | instid1(VALU_DEP_3)
	v_or3_b32 v0, v2, v0, v1
	v_mov_b32_e32 v2, 0
	v_mov_b32_e32 v3, 0
	v_cvt_f64_f32_e32 v[0:1], v0
.LBB55_182:
	s_or_b32 exec_lo, exec_lo, s0
	s_mov_b32 s0, 0
	s_branch .LBB55_186
.LBB55_183:
	s_mov_b32 s0, -1
                                        ; implicit-def: $vgpr2_vgpr3
	s_branch .LBB55_192
.LBB55_184:
	s_mov_b32 s0, -1
                                        ; implicit-def: $vgpr2_vgpr3
	s_branch .LBB55_189
.LBB55_185:
	s_mov_b32 s0, -1
                                        ; implicit-def: $vgpr2_vgpr3
.LBB55_186:
	s_delay_alu instid0(SALU_CYCLE_1)
	s_and_b32 vcc_lo, exec_lo, s0
	s_cbranch_vccz .LBB55_188
; %bb.187:
	global_load_u8 v0, v[4:5], off
	s_waitcnt vmcnt(0)
	v_lshlrev_b32_e32 v0, 24, v0
	s_delay_alu instid0(VALU_DEP_1) | instskip(NEXT) | instid1(VALU_DEP_1)
	v_and_b32_e32 v1, 0x7f000000, v0
	v_clz_i32_u32_e32 v2, v1
	v_add_nc_u32_e32 v6, 0x1000000, v1
	v_cmp_ne_u32_e32 vcc_lo, 0, v1
	s_delay_alu instid0(VALU_DEP_3) | instskip(NEXT) | instid1(VALU_DEP_1)
	v_min_u32_e32 v2, 32, v2
	v_sub_nc_u32_e64 v2, v2, 4 clamp
	s_delay_alu instid0(VALU_DEP_1) | instskip(SKIP_1) | instid1(VALU_DEP_2)
	v_lshlrev_b32_e32 v3, v2, v1
	v_lshlrev_b32_e32 v2, 23, v2
	v_lshrrev_b32_e32 v3, 4, v3
	s_delay_alu instid0(VALU_DEP_1) | instskip(SKIP_1) | instid1(VALU_DEP_2)
	v_sub_nc_u32_e32 v2, v3, v2
	v_ashrrev_i32_e32 v3, 8, v6
	v_add_nc_u32_e32 v2, 0x3c000000, v2
	s_delay_alu instid0(VALU_DEP_1) | instskip(NEXT) | instid1(VALU_DEP_1)
	v_and_or_b32 v2, 0x7f800000, v3, v2
	v_dual_cndmask_b32 v1, 0, v2 :: v_dual_mov_b32 v2, 0
	v_mov_b32_e32 v3, 0
	s_delay_alu instid0(VALU_DEP_2) | instskip(NEXT) | instid1(VALU_DEP_1)
	v_and_or_b32 v0, 0x80000000, v0, v1
	v_cvt_f64_f32_e32 v[0:1], v0
.LBB55_188:
	s_mov_b32 s0, 0
.LBB55_189:
	s_delay_alu instid0(SALU_CYCLE_1)
	s_and_not1_b32 vcc_lo, exec_lo, s0
	s_cbranch_vccnz .LBB55_191
; %bb.190:
	global_load_u8 v0, v[4:5], off
	s_waitcnt vmcnt(0)
	v_lshlrev_b32_e32 v1, 25, v0
	v_lshlrev_b16 v0, 8, v0
	s_delay_alu instid0(VALU_DEP_2) | instskip(NEXT) | instid1(VALU_DEP_2)
	v_lshrrev_b32_e32 v2, 4, v1
	v_and_or_b32 v3, 0x7f00, v0, 0.5
	v_bfe_i32 v0, v0, 0, 16
	s_delay_alu instid0(VALU_DEP_3) | instskip(NEXT) | instid1(VALU_DEP_1)
	v_or_b32_e32 v2, 0x70000000, v2
	v_dual_add_f32 v3, -0.5, v3 :: v_dual_mul_f32 v2, 0x7800000, v2
	v_cmp_gt_u32_e32 vcc_lo, 0x8000000, v1
	s_delay_alu instid0(VALU_DEP_2) | instskip(SKIP_1) | instid1(VALU_DEP_2)
	v_dual_cndmask_b32 v1, v2, v3 :: v_dual_mov_b32 v2, 0
	v_mov_b32_e32 v3, 0
	v_and_or_b32 v0, 0x80000000, v0, v1
	s_delay_alu instid0(VALU_DEP_1)
	v_cvt_f64_f32_e32 v[0:1], v0
.LBB55_191:
	s_mov_b32 s0, 0
	s_mov_b32 s2, -1
.LBB55_192:
	s_and_not1_b32 vcc_lo, exec_lo, s0
	s_cbranch_vccnz .LBB55_204
; %bb.193:
	v_cmp_lt_i16_e32 vcc_lo, 14, v62
	s_cbranch_vccz .LBB55_196
; %bb.194:
	v_cmp_eq_u16_e32 vcc_lo, 15, v62
	s_cbranch_vccz .LBB55_197
; %bb.195:
	global_load_u16 v0, v[4:5], off
	s_mov_b32 s2, -1
	s_mov_b32 s24, 0
	s_mov_b64 s[0:1], 0
	s_waitcnt vmcnt(0)
	v_lshlrev_b32_e32 v0, 16, v0
	s_delay_alu instid0(VALU_DEP_1)
	v_cvt_f64_f32_e32 v[0:1], v0
	s_branch .LBB55_198
.LBB55_196:
	s_mov_b32 s3, -1
                                        ; implicit-def: $sgpr0_sgpr1
                                        ; implicit-def: $vgpr0_vgpr1
	s_branch .LBB55_199
.LBB55_197:
	s_mov_b32 s24, -1
                                        ; implicit-def: $sgpr0_sgpr1
                                        ; implicit-def: $vgpr0_vgpr1
.LBB55_198:
	s_mov_b32 s3, 0
.LBB55_199:
	s_delay_alu instid0(SALU_CYCLE_1)
	s_and_b32 vcc_lo, exec_lo, s3
	s_cbranch_vccz .LBB55_203
; %bb.200:
	v_cmp_eq_u16_e32 vcc_lo, 11, v62
	s_cbranch_vccz .LBB55_202
; %bb.201:
	global_load_u8 v0, v[4:5], off
	s_mov_b32 s24, 0
	s_mov_b32 s2, -1
	s_mov_b64 s[0:1], 0
	s_waitcnt vmcnt(0)
	v_cmp_ne_u16_e32 vcc_lo, 0, v0
	v_mov_b32_e32 v0, 0
	v_cndmask_b32_e64 v1, 0, 0x3ff00000, vcc_lo
	s_branch .LBB55_203
.LBB55_202:
	s_mov_b32 s24, -1
                                        ; implicit-def: $sgpr0_sgpr1
                                        ; implicit-def: $vgpr0_vgpr1
.LBB55_203:
	v_dual_mov_b32 v3, s1 :: v_dual_mov_b32 v2, s0
.LBB55_204:
	s_branch .LBB55_10
.LBB55_205:
	v_cmp_gt_i16_e32 vcc_lo, 5, v62
	s_cbranch_vccnz .LBB55_210
; %bb.206:
	v_cmp_gt_i16_e32 vcc_lo, 8, v62
	s_cbranch_vccnz .LBB55_211
; %bb.207:
	;; [unrolled: 3-line block ×3, first 2 shown]
	v_cmp_lt_i16_e32 vcc_lo, 9, v62
	s_cbranch_vccz .LBB55_213
; %bb.209:
	global_load_b128 v[0:3], v[4:5], off
	s_mov_b32 s0, 0
	s_branch .LBB55_214
.LBB55_210:
                                        ; implicit-def: $vgpr2_vgpr3
	s_branch .LBB55_233
.LBB55_211:
	s_mov_b32 s0, -1
                                        ; implicit-def: $vgpr2_vgpr3
	s_branch .LBB55_220
.LBB55_212:
	s_mov_b32 s0, -1
                                        ; implicit-def: $vgpr2_vgpr3
	s_branch .LBB55_217
.LBB55_213:
	s_mov_b32 s0, -1
                                        ; implicit-def: $vgpr2_vgpr3
.LBB55_214:
	s_delay_alu instid0(SALU_CYCLE_1)
	s_and_not1_b32 vcc_lo, exec_lo, s0
	s_cbranch_vccnz .LBB55_216
; %bb.215:
	global_load_b64 v[1:2], v[4:5], off
	s_waitcnt vmcnt(0)
	v_cvt_f64_f32_e32 v[0:1], v1
	v_cvt_f64_f32_e32 v[2:3], v2
.LBB55_216:
	s_mov_b32 s0, 0
.LBB55_217:
	s_delay_alu instid0(SALU_CYCLE_1)
	s_and_not1_b32 vcc_lo, exec_lo, s0
	s_cbranch_vccnz .LBB55_219
; %bb.218:
	global_load_b32 v0, v[4:5], off
	s_waitcnt vmcnt(0)
	v_lshrrev_b32_e32 v1, 16, v0
	v_cvt_f32_f16_e32 v0, v0
	s_delay_alu instid0(VALU_DEP_2) | instskip(NEXT) | instid1(VALU_DEP_2)
	v_cvt_f32_f16_e32 v2, v1
	v_cvt_f64_f32_e32 v[0:1], v0
	s_delay_alu instid0(VALU_DEP_2)
	v_cvt_f64_f32_e32 v[2:3], v2
.LBB55_219:
	s_mov_b32 s0, 0
.LBB55_220:
	s_delay_alu instid0(SALU_CYCLE_1)
	s_and_not1_b32 vcc_lo, exec_lo, s0
	s_cbranch_vccnz .LBB55_232
; %bb.221:
	v_cmp_gt_i16_e32 vcc_lo, 6, v62
	s_cbranch_vccnz .LBB55_224
; %bb.222:
	v_cmp_lt_i16_e32 vcc_lo, 6, v62
	s_cbranch_vccz .LBB55_225
; %bb.223:
	global_load_b64 v[0:1], v[4:5], off
	s_mov_b32 s2, 0
	s_mov_b64 s[0:1], 0
	s_branch .LBB55_226
.LBB55_224:
	s_mov_b32 s2, -1
                                        ; implicit-def: $sgpr0_sgpr1
                                        ; implicit-def: $vgpr0_vgpr1
	s_branch .LBB55_229
.LBB55_225:
	s_mov_b32 s2, -1
                                        ; implicit-def: $sgpr0_sgpr1
                                        ; implicit-def: $vgpr0_vgpr1
.LBB55_226:
	s_delay_alu instid0(SALU_CYCLE_1)
	s_and_not1_b32 vcc_lo, exec_lo, s2
	s_cbranch_vccnz .LBB55_228
; %bb.227:
	global_load_b32 v0, v[4:5], off
	s_mov_b64 s[0:1], 0
	s_waitcnt vmcnt(0)
	v_cvt_f64_f32_e32 v[0:1], v0
.LBB55_228:
	s_mov_b32 s2, 0
.LBB55_229:
	s_delay_alu instid0(SALU_CYCLE_1)
	s_and_not1_b32 vcc_lo, exec_lo, s2
	s_cbranch_vccnz .LBB55_231
; %bb.230:
	global_load_u16 v0, v[4:5], off
	s_mov_b64 s[0:1], 0
	s_waitcnt vmcnt(0)
	v_cvt_f32_f16_e32 v0, v0
	s_delay_alu instid0(VALU_DEP_1)
	v_cvt_f64_f32_e32 v[0:1], v0
.LBB55_231:
	s_waitcnt vmcnt(0)
	v_dual_mov_b32 v3, s1 :: v_dual_mov_b32 v2, s0
.LBB55_232:
	s_cbranch_execnz .LBB55_253
.LBB55_233:
	v_cmp_gt_i16_e32 vcc_lo, 2, v62
	s_cbranch_vccnz .LBB55_237
; %bb.234:
	v_cmp_gt_i16_e32 vcc_lo, 3, v62
	s_cbranch_vccnz .LBB55_238
; %bb.235:
	v_cmp_lt_i16_e32 vcc_lo, 3, v62
	s_cbranch_vccz .LBB55_239
; %bb.236:
	global_load_b64 v[0:1], v[4:5], off
	s_mov_b32 s2, 0
	s_mov_b64 s[0:1], 0
	s_waitcnt vmcnt(0)
	v_cvt_f64_i32_e32 v[1:2], v1
	v_cvt_f64_u32_e32 v[6:7], v0
	s_delay_alu instid0(VALU_DEP_2) | instskip(NEXT) | instid1(VALU_DEP_1)
	v_ldexp_f64 v[1:2], v[1:2], 32
	v_add_f64 v[0:1], v[1:2], v[6:7]
	s_branch .LBB55_240
.LBB55_237:
	s_mov_b32 s2, -1
                                        ; implicit-def: $sgpr0_sgpr1
                                        ; implicit-def: $vgpr0_vgpr1
	s_branch .LBB55_246
.LBB55_238:
	s_mov_b32 s2, -1
                                        ; implicit-def: $sgpr0_sgpr1
                                        ; implicit-def: $vgpr0_vgpr1
	s_branch .LBB55_243
.LBB55_239:
	s_mov_b32 s2, -1
                                        ; implicit-def: $sgpr0_sgpr1
                                        ; implicit-def: $vgpr0_vgpr1
.LBB55_240:
	s_delay_alu instid0(SALU_CYCLE_1)
	s_and_not1_b32 vcc_lo, exec_lo, s2
	s_cbranch_vccnz .LBB55_242
; %bb.241:
	global_load_b32 v0, v[4:5], off
	s_mov_b64 s[0:1], 0
	s_waitcnt vmcnt(0)
	v_cvt_f64_i32_e32 v[0:1], v0
.LBB55_242:
	s_mov_b32 s2, 0
.LBB55_243:
	s_delay_alu instid0(SALU_CYCLE_1)
	s_and_not1_b32 vcc_lo, exec_lo, s2
	s_cbranch_vccnz .LBB55_245
; %bb.244:
	global_load_i16 v0, v[4:5], off
	s_mov_b64 s[0:1], 0
	s_waitcnt vmcnt(0)
	v_cvt_f64_i32_e32 v[0:1], v0
.LBB55_245:
	s_mov_b32 s2, 0
.LBB55_246:
	s_delay_alu instid0(SALU_CYCLE_1)
	s_and_not1_b32 vcc_lo, exec_lo, s2
	s_cbranch_vccnz .LBB55_252
; %bb.247:
	v_cmp_lt_i16_e32 vcc_lo, 0, v62
	s_mov_b32 s2, 0
	s_cbranch_vccz .LBB55_249
; %bb.248:
	global_load_i8 v0, v[4:5], off
	s_mov_b64 s[0:1], 0
	s_waitcnt vmcnt(0)
	v_cvt_f64_i32_e32 v[0:1], v0
	s_branch .LBB55_250
.LBB55_249:
	s_mov_b32 s2, -1
                                        ; implicit-def: $sgpr0_sgpr1
                                        ; implicit-def: $vgpr0_vgpr1
.LBB55_250:
	s_delay_alu instid0(SALU_CYCLE_1)
	s_and_not1_b32 vcc_lo, exec_lo, s2
	s_cbranch_vccnz .LBB55_252
; %bb.251:
	global_load_u8 v0, v[4:5], off
	s_mov_b64 s[0:1], 0
	s_waitcnt vmcnt(0)
	v_cvt_f64_u32_e32 v[0:1], v0
.LBB55_252:
	s_waitcnt vmcnt(0)
	v_dual_mov_b32 v3, s1 :: v_dual_mov_b32 v2, s0
.LBB55_253:
	s_branch .LBB55_11
.LBB55_254:
	s_mov_b32 s0, 0
.LBB55_255:
	s_mov_b32 s1, 0
                                        ; implicit-def: $vgpr61
.LBB55_256:
	s_and_b32 s22, s0, exec_lo
	s_and_b32 s24, s24, exec_lo
	s_or_not1_b32 s1, s1, exec_lo
.LBB55_257:
	s_or_b32 exec_lo, exec_lo, s25
	s_mov_b32 s0, 0
	s_mov_b32 s2, 0
                                        ; implicit-def: $vgpr0_vgpr1
                                        ; implicit-def: $vgpr6_vgpr7
	s_and_saveexec_b32 s25, s1
	s_cbranch_execz .LBB55_878
; %bb.258:
	s_mov_b32 s3, -1
	s_mov_b32 s26, s24
	s_mov_b32 s27, s22
	s_mov_b32 s28, exec_lo
	v_cmpx_gt_i32_e64 s23, v61
	s_cbranch_execz .LBB55_522
; %bb.259:
	s_waitcnt vmcnt(0)
	v_mul_lo_u32 v0, v61, s21
	v_cmp_gt_i16_e32 vcc_lo, 11, v62
	s_delay_alu instid0(VALU_DEP_2) | instskip(SKIP_1) | instid1(VALU_DEP_1)
	v_ashrrev_i32_e32 v1, 31, v0
	v_add_co_u32 v4, s0, s18, v0
	v_add_co_ci_u32_e64 v5, s0, s19, v1, s0
	s_cbranch_vccnz .LBB55_266
; %bb.260:
	v_cmp_lt_i16_e32 vcc_lo, 25, v62
	s_cbranch_vccz .LBB55_275
; %bb.261:
	v_cmp_lt_i16_e32 vcc_lo, 28, v62
	s_cbranch_vccz .LBB55_277
	;; [unrolled: 3-line block ×4, first 2 shown]
; %bb.264:
	v_cmp_eq_u16_e32 vcc_lo, 46, v62
	s_mov_b32 s0, 0
	s_cbranch_vccz .LBB55_287
; %bb.265:
	global_load_b32 v0, v[4:5], off
	s_mov_b32 s2, -1
	s_mov_b32 s26, 0
	s_waitcnt vmcnt(0)
	v_lshlrev_b32_e32 v1, 16, v0
	v_and_b32_e32 v2, 0xffff0000, v0
	s_delay_alu instid0(VALU_DEP_2) | instskip(NEXT) | instid1(VALU_DEP_2)
	v_cvt_f64_f32_e32 v[0:1], v1
	v_cvt_f64_f32_e32 v[2:3], v2
	s_branch .LBB55_289
.LBB55_266:
	s_mov_b32 s26, s24
                                        ; implicit-def: $vgpr2_vgpr3
	s_cbranch_execnz .LBB55_469
.LBB55_267:
	s_and_not1_b32 vcc_lo, exec_lo, s2
	s_cbranch_vccnz .LBB55_519
.LBB55_268:
	s_getpc_b64 s[0:1]
	s_add_u32 s0, s0, _ZZZZN2at6native15exp_kernel_cudaERNS_18TensorIteratorBaseEENKUlvE_clEvENKUlvE_clEvENKUlN3c107complexIdEEE_clES7_@rel32@lo+4
	s_addc_u32 s1, s1, _ZZZZN2at6native15exp_kernel_cudaERNS_18TensorIteratorBaseEENKUlvE_clEvENKUlvE_clEvENKUlN3c107complexIdEEE_clES7_@rel32@hi+12
	s_delay_alu instid0(SALU_CYCLE_1) | instskip(SKIP_2) | instid1(VALU_DEP_1)
	s_swappc_b64 s[30:31], s[0:1]
	v_mul_lo_u32 v4, v61, s20
	v_and_b32_e32 v6, 0xff, v60
	v_cmp_gt_i16_e32 vcc_lo, 11, v6
	s_delay_alu instid0(VALU_DEP_3) | instskip(SKIP_1) | instid1(VALU_DEP_1)
	v_ashrrev_i32_e32 v5, 31, v4
	v_add_co_u32 v4, s0, s16, v4
	v_add_co_ci_u32_e64 v5, s0, s17, v5, s0
	s_cbranch_vccnz .LBB55_276
; %bb.269:
	v_cmp_lt_i16_e32 vcc_lo, 25, v6
	s_cbranch_vccz .LBB55_278
; %bb.270:
	v_cmp_lt_i16_e32 vcc_lo, 28, v6
	s_cbranch_vccz .LBB55_280
	;; [unrolled: 3-line block ×4, first 2 shown]
; %bb.273:
	v_cmp_eq_u16_e32 vcc_lo, 46, v6
	s_mov_b32 s2, 0
	s_mov_b32 s0, -1
	s_mov_b32 s1, 0
	s_cbranch_vccz .LBB55_293
; %bb.274:
	v_cvt_f32_f64_e32 v7, v[2:3]
	v_cvt_f32_f64_e32 v8, v[0:1]
	s_mov_b32 s1, -1
	s_mov_b32 s0, 0
	s_delay_alu instid0(VALU_DEP_2) | instskip(NEXT) | instid1(VALU_DEP_2)
	v_bfe_u32 v9, v7, 16, 1
	v_bfe_u32 v10, v8, 16, 1
	v_cmp_o_f32_e32 vcc_lo, v7, v7
	s_delay_alu instid0(VALU_DEP_3) | instskip(NEXT) | instid1(VALU_DEP_3)
	v_add3_u32 v9, v7, v9, 0x7fff
	v_add3_u32 v10, v8, v10, 0x7fff
	s_delay_alu instid0(VALU_DEP_2) | instskip(NEXT) | instid1(VALU_DEP_2)
	v_and_b32_e32 v9, 0xffff0000, v9
	v_lshrrev_b32_e32 v10, 16, v10
	s_delay_alu instid0(VALU_DEP_2) | instskip(SKIP_1) | instid1(VALU_DEP_3)
	v_cndmask_b32_e32 v7, 0x7fc00000, v9, vcc_lo
	v_cmp_o_f32_e32 vcc_lo, v8, v8
	v_cndmask_b32_e32 v8, 0x7fc0, v10, vcc_lo
	s_delay_alu instid0(VALU_DEP_1)
	v_or_b32_e32 v7, v7, v8
	global_store_b32 v[4:5], v7, off
	s_branch .LBB55_293
.LBB55_275:
	s_mov_b32 s0, -1
	s_mov_b32 s26, s24
                                        ; implicit-def: $vgpr2_vgpr3
	s_branch .LBB55_434
.LBB55_276:
	s_mov_b32 s2, -1
	s_mov_b32 s1, 0
	s_mov_b32 s0, s22
	s_branch .LBB55_362
.LBB55_277:
	s_mov_b32 s0, -1
	s_mov_b32 s26, s24
                                        ; implicit-def: $vgpr2_vgpr3
	s_branch .LBB55_413
.LBB55_278:
	s_mov_b32 s2, -1
	s_mov_b32 s1, 0
	s_mov_b32 s0, s22
	s_branch .LBB55_320
.LBB55_279:
	s_mov_b32 s0, -1
	s_mov_b32 s26, s24
                                        ; implicit-def: $vgpr2_vgpr3
	s_branch .LBB55_407
.LBB55_280:
	s_mov_b32 s2, -1
	s_mov_b32 s1, 0
	s_mov_b32 s0, s22
	s_branch .LBB55_303
.LBB55_281:
	s_or_saveexec_b32 s3, s3
                                        ; implicit-def: $sgpr4
	s_delay_alu instid0(SALU_CYCLE_1)
	s_xor_b32 exec_lo, exec_lo, s3
	s_cbranch_execz .LBB55_54
.LBB55_282:
	v_add_f32_e64 v8, 0x46000000, |v7|
	s_and_not1_b32 s2, s2, exec_lo
	s_mov_b32 s4, 0
	s_delay_alu instid0(VALU_DEP_1) | instskip(NEXT) | instid1(VALU_DEP_1)
	v_and_b32_e32 v8, 0xff, v8
	v_cmp_ne_u32_e32 vcc_lo, 0, v8
	s_and_b32 s5, vcc_lo, exec_lo
	s_delay_alu instid0(SALU_CYCLE_1)
	s_or_b32 s2, s2, s5
	s_or_b32 exec_lo, exec_lo, s3
	v_mov_b32_e32 v9, s4
	s_and_saveexec_b32 s3, s2
	s_cbranch_execnz .LBB55_55
	s_branch .LBB55_56
.LBB55_283:
	s_mov_b32 s0, -1
	s_mov_b32 s26, s24
	s_branch .LBB55_288
.LBB55_284:
	s_mov_b32 s2, -1
	s_mov_b32 s1, 0
	s_mov_b32 s0, s22
	s_branch .LBB55_299
.LBB55_285:
	s_or_saveexec_b32 s3, s3
                                        ; implicit-def: $sgpr4
	s_delay_alu instid0(SALU_CYCLE_1)
	s_xor_b32 exec_lo, exec_lo, s3
	s_cbranch_execz .LBB55_67
.LBB55_286:
	v_add_f32_e64 v8, 0x42800000, |v7|
	s_and_not1_b32 s2, s2, exec_lo
	s_mov_b32 s4, 0
	s_delay_alu instid0(VALU_DEP_1) | instskip(NEXT) | instid1(VALU_DEP_1)
	v_and_b32_e32 v8, 0xff, v8
	v_cmp_ne_u32_e32 vcc_lo, 0, v8
	s_and_b32 s5, vcc_lo, exec_lo
	s_delay_alu instid0(SALU_CYCLE_1)
	s_or_b32 s2, s2, s5
	s_or_b32 exec_lo, exec_lo, s3
	v_mov_b32_e32 v9, s4
	s_and_saveexec_b32 s3, s2
	s_cbranch_execnz .LBB55_68
	s_branch .LBB55_69
.LBB55_287:
	s_mov_b32 s26, -1
.LBB55_288:
                                        ; implicit-def: $vgpr2_vgpr3
.LBB55_289:
	s_and_b32 vcc_lo, exec_lo, s0
	s_cbranch_vccz .LBB55_406
; %bb.290:
	v_cmp_eq_u16_e32 vcc_lo, 44, v62
	s_cbranch_vccz .LBB55_404
; %bb.291:
	global_load_u8 v2, v[4:5], off
	s_mov_b32 s26, 0
	s_mov_b32 s2, -1
	s_mov_b64 s[0:1], 0
	s_waitcnt vmcnt(0)
	v_cmp_ne_u32_e32 vcc_lo, 0xff, v2
	v_lshlrev_b32_e32 v0, 23, v2
	s_delay_alu instid0(VALU_DEP_1) | instskip(NEXT) | instid1(VALU_DEP_1)
	v_cvt_f64_f32_e32 v[0:1], v0
	v_cndmask_b32_e32 v1, 0x7ff80000, v1, vcc_lo
	s_delay_alu instid0(VALU_DEP_2) | instskip(SKIP_1) | instid1(VALU_DEP_3)
	v_cndmask_b32_e32 v0, 0x20000000, v0, vcc_lo
	v_cmp_ne_u32_e32 vcc_lo, 0, v2
	v_cndmask_b32_e32 v1, 0x38000000, v1, vcc_lo
	s_delay_alu instid0(VALU_DEP_3)
	v_cndmask_b32_e32 v0, 0, v0, vcc_lo
	s_branch .LBB55_405
.LBB55_292:
	s_mov_b32 s2, -1
	s_mov_b32 s1, 0
	s_mov_b32 s0, s22
.LBB55_293:
	s_and_b32 vcc_lo, exec_lo, s2
	s_cbranch_vccz .LBB55_298
; %bb.294:
	v_cmp_eq_u16_e32 vcc_lo, 44, v6
	s_mov_b32 s0, -1
	s_cbranch_vccz .LBB55_298
; %bb.295:
	v_cvt_f32_f64_e32 v7, v[0:1]
	v_mov_b32_e32 v8, 0xff
	s_mov_b32 s1, exec_lo
	s_delay_alu instid0(VALU_DEP_2) | instskip(NEXT) | instid1(VALU_DEP_1)
	v_bfe_u32 v9, v7, 23, 8
	v_cmpx_ne_u32_e32 0xff, v9
; %bb.296:
	v_and_b32_e32 v8, 0x400000, v7
	v_and_or_b32 v9, 0x3fffff, v7, v9
	v_lshrrev_b32_e32 v7, 23, v7
	s_delay_alu instid0(VALU_DEP_3) | instskip(NEXT) | instid1(VALU_DEP_3)
	v_cmp_ne_u32_e32 vcc_lo, 0, v8
	v_cmp_ne_u32_e64 s0, 0, v9
	s_delay_alu instid0(VALU_DEP_1) | instskip(NEXT) | instid1(SALU_CYCLE_1)
	s_and_b32 s0, vcc_lo, s0
	v_cndmask_b32_e64 v8, 0, 1, s0
	s_delay_alu instid0(VALU_DEP_1)
	v_add_nc_u32_e32 v8, v7, v8
; %bb.297:
	s_or_b32 exec_lo, exec_lo, s1
	s_mov_b32 s1, -1
	s_mov_b32 s0, 0
	global_store_b8 v[4:5], v8, off
.LBB55_298:
	s_mov_b32 s2, 0
.LBB55_299:
	s_delay_alu instid0(SALU_CYCLE_1)
	s_and_b32 vcc_lo, exec_lo, s2
	s_cbranch_vccz .LBB55_302
; %bb.300:
	v_cmp_eq_u16_e32 vcc_lo, 29, v6
	s_mov_b32 s0, -1
	s_cbranch_vccz .LBB55_302
; %bb.301:
	v_trunc_f64_e32 v[7:8], v[0:1]
	s_mov_b32 s1, -1
	s_mov_b32 s0, 0
	s_mov_b32 s2, 0
	s_delay_alu instid0(VALU_DEP_1) | instskip(NEXT) | instid1(VALU_DEP_1)
	v_ldexp_f64 v[9:10], v[7:8], 0xffffffe0
	v_floor_f64_e32 v[9:10], v[9:10]
	s_delay_alu instid0(VALU_DEP_1) | instskip(SKIP_1) | instid1(VALU_DEP_2)
	v_fma_f64 v[7:8], 0xc1f00000, v[9:10], v[7:8]
	v_cvt_u32_f64_e32 v9, v[9:10]
	v_cvt_u32_f64_e32 v8, v[7:8]
	global_store_b64 v[4:5], v[8:9], off
	s_branch .LBB55_303
.LBB55_302:
	s_mov_b32 s2, 0
.LBB55_303:
	s_delay_alu instid0(SALU_CYCLE_1)
	s_and_b32 vcc_lo, exec_lo, s2
	s_cbranch_vccz .LBB55_319
; %bb.304:
	v_cmp_gt_i16_e32 vcc_lo, 27, v6
	s_mov_b32 s1, -1
	s_cbranch_vccnz .LBB55_310
; %bb.305:
	v_cmp_lt_i16_e32 vcc_lo, 27, v6
	s_cbranch_vccz .LBB55_307
; %bb.306:
	v_cvt_u32_f64_e32 v7, v[0:1]
	s_mov_b32 s1, 0
	global_store_b32 v[4:5], v7, off
.LBB55_307:
	s_and_not1_b32 vcc_lo, exec_lo, s1
	s_cbranch_vccnz .LBB55_309
; %bb.308:
	v_cvt_u32_f64_e32 v7, v[0:1]
	global_store_b16 v[4:5], v7, off
.LBB55_309:
	s_mov_b32 s1, 0
.LBB55_310:
	s_delay_alu instid0(SALU_CYCLE_1)
	s_and_not1_b32 vcc_lo, exec_lo, s1
	s_cbranch_vccnz .LBB55_318
; %bb.311:
	v_cvt_f32_f64_e32 v7, v[0:1]
	v_mov_b32_e32 v9, 0x80
	s_mov_b32 s1, exec_lo
	s_delay_alu instid0(VALU_DEP_2) | instskip(NEXT) | instid1(VALU_DEP_1)
	v_and_b32_e32 v8, 0x7fffffff, v7
	v_cmpx_gt_u32_e32 0x43800000, v8
	s_cbranch_execz .LBB55_317
; %bb.312:
	v_cmp_lt_u32_e32 vcc_lo, 0x3bffffff, v8
	s_mov_b32 s2, 0
                                        ; implicit-def: $vgpr8
	s_and_saveexec_b32 s3, vcc_lo
	s_delay_alu instid0(SALU_CYCLE_1)
	s_xor_b32 s3, exec_lo, s3
	s_cbranch_execz .LBB55_535
; %bb.313:
	v_bfe_u32 v8, v7, 20, 1
	s_mov_b32 s2, exec_lo
	s_delay_alu instid0(VALU_DEP_1) | instskip(NEXT) | instid1(VALU_DEP_1)
	v_add3_u32 v8, v7, v8, 0x487ffff
	v_lshrrev_b32_e32 v8, 20, v8
	s_or_saveexec_b32 s3, s3
                                        ; implicit-def: $sgpr4
	s_delay_alu instid0(SALU_CYCLE_1)
	s_xor_b32 exec_lo, exec_lo, s3
	s_cbranch_execnz .LBB55_536
.LBB55_314:
	s_or_b32 exec_lo, exec_lo, s3
	v_mov_b32_e32 v9, s4
	s_and_saveexec_b32 s3, s2
.LBB55_315:
	v_lshrrev_b32_e32 v7, 24, v7
	s_delay_alu instid0(VALU_DEP_1)
	v_and_or_b32 v9, 0x80, v7, v8
.LBB55_316:
	s_or_b32 exec_lo, exec_lo, s3
.LBB55_317:
	s_delay_alu instid0(SALU_CYCLE_1)
	s_or_b32 exec_lo, exec_lo, s1
	global_store_b8 v[4:5], v9, off
.LBB55_318:
	s_mov_b32 s1, -1
.LBB55_319:
	s_mov_b32 s2, 0
.LBB55_320:
	s_delay_alu instid0(SALU_CYCLE_1)
	s_and_b32 vcc_lo, exec_lo, s2
	s_cbranch_vccz .LBB55_361
; %bb.321:
	v_cmp_lt_i16_e32 vcc_lo, 22, v6
	s_mov_b32 s2, -1
	s_cbranch_vccz .LBB55_353
; %bb.322:
	v_cmp_gt_i16_e32 vcc_lo, 24, v6
	s_mov_b32 s1, -1
	s_cbranch_vccnz .LBB55_342
; %bb.323:
	v_cmp_lt_i16_e32 vcc_lo, 24, v6
	s_cbranch_vccz .LBB55_331
; %bb.324:
	v_cvt_f32_f64_e32 v7, v[0:1]
	v_mov_b32_e32 v9, 0x80
	s_mov_b32 s1, exec_lo
	s_delay_alu instid0(VALU_DEP_2) | instskip(NEXT) | instid1(VALU_DEP_1)
	v_and_b32_e32 v8, 0x7fffffff, v7
	v_cmpx_gt_u32_e32 0x47800000, v8
	s_cbranch_execz .LBB55_330
; %bb.325:
	v_cmp_lt_u32_e32 vcc_lo, 0x37ffffff, v8
	s_mov_b32 s2, 0
                                        ; implicit-def: $vgpr8
	s_and_saveexec_b32 s3, vcc_lo
	s_delay_alu instid0(SALU_CYCLE_1)
	s_xor_b32 s3, exec_lo, s3
	s_cbranch_execz .LBB55_538
; %bb.326:
	v_bfe_u32 v8, v7, 21, 1
	s_mov_b32 s2, exec_lo
	s_delay_alu instid0(VALU_DEP_1) | instskip(NEXT) | instid1(VALU_DEP_1)
	v_add3_u32 v8, v7, v8, 0x88fffff
	v_lshrrev_b32_e32 v8, 21, v8
	s_or_saveexec_b32 s3, s3
                                        ; implicit-def: $sgpr4
	s_delay_alu instid0(SALU_CYCLE_1)
	s_xor_b32 exec_lo, exec_lo, s3
	s_cbranch_execnz .LBB55_539
.LBB55_327:
	s_or_b32 exec_lo, exec_lo, s3
	v_mov_b32_e32 v9, s4
	s_and_saveexec_b32 s3, s2
.LBB55_328:
	v_lshrrev_b32_e32 v7, 24, v7
	s_delay_alu instid0(VALU_DEP_1)
	v_and_or_b32 v9, 0x80, v7, v8
.LBB55_329:
	s_or_b32 exec_lo, exec_lo, s3
.LBB55_330:
	s_delay_alu instid0(SALU_CYCLE_1)
	s_or_b32 exec_lo, exec_lo, s1
	s_mov_b32 s1, 0
	global_store_b8 v[4:5], v9, off
.LBB55_331:
	s_and_b32 vcc_lo, exec_lo, s1
	s_cbranch_vccz .LBB55_341
; %bb.332:
	v_cvt_f32_f64_e32 v7, v[0:1]
	s_mov_b32 s1, exec_lo
                                        ; implicit-def: $vgpr8
	s_delay_alu instid0(VALU_DEP_1) | instskip(NEXT) | instid1(VALU_DEP_1)
	v_and_b32_e32 v9, 0x7fffffff, v7
	v_cmpx_gt_u32_e32 0x43f00000, v9
	s_xor_b32 s1, exec_lo, s1
	s_cbranch_execz .LBB55_338
; %bb.333:
	s_mov_b32 s2, exec_lo
                                        ; implicit-def: $vgpr8
	v_cmpx_lt_u32_e32 0x3c7fffff, v9
	s_xor_b32 s2, exec_lo, s2
; %bb.334:
	v_bfe_u32 v8, v7, 20, 1
	s_delay_alu instid0(VALU_DEP_1) | instskip(NEXT) | instid1(VALU_DEP_1)
	v_add3_u32 v8, v7, v8, 0x407ffff
	v_and_b32_e32 v9, 0xff00000, v8
	v_lshrrev_b32_e32 v8, 20, v8
	s_delay_alu instid0(VALU_DEP_2) | instskip(NEXT) | instid1(VALU_DEP_2)
	v_cmp_ne_u32_e32 vcc_lo, 0x7f00000, v9
	v_cndmask_b32_e32 v8, 0x7e, v8, vcc_lo
; %bb.335:
	s_and_not1_saveexec_b32 s2, s2
; %bb.336:
	v_add_f32_e64 v8, 0x46800000, |v7|
; %bb.337:
	s_or_b32 exec_lo, exec_lo, s2
                                        ; implicit-def: $vgpr9
.LBB55_338:
	s_and_not1_saveexec_b32 s1, s1
; %bb.339:
	v_mov_b32_e32 v8, 0x7f
	v_cmp_lt_u32_e32 vcc_lo, 0x7f800000, v9
	s_delay_alu instid0(VALU_DEP_2)
	v_cndmask_b32_e32 v8, 0x7e, v8, vcc_lo
; %bb.340:
	s_or_b32 exec_lo, exec_lo, s1
	v_lshrrev_b32_e32 v7, 24, v7
	s_delay_alu instid0(VALU_DEP_1)
	v_and_or_b32 v7, 0x80, v7, v8
	global_store_b8 v[4:5], v7, off
.LBB55_341:
	s_mov_b32 s1, 0
.LBB55_342:
	s_delay_alu instid0(SALU_CYCLE_1)
	s_and_not1_b32 vcc_lo, exec_lo, s1
	s_cbranch_vccnz .LBB55_352
; %bb.343:
	v_cvt_f32_f64_e32 v7, v[0:1]
	s_mov_b32 s1, exec_lo
                                        ; implicit-def: $vgpr8
	s_delay_alu instid0(VALU_DEP_1) | instskip(NEXT) | instid1(VALU_DEP_1)
	v_and_b32_e32 v9, 0x7fffffff, v7
	v_cmpx_gt_u32_e32 0x47800000, v9
	s_xor_b32 s1, exec_lo, s1
	s_cbranch_execz .LBB55_349
; %bb.344:
	s_mov_b32 s2, exec_lo
                                        ; implicit-def: $vgpr8
	v_cmpx_lt_u32_e32 0x387fffff, v9
	s_xor_b32 s2, exec_lo, s2
; %bb.345:
	v_bfe_u32 v8, v7, 21, 1
	s_delay_alu instid0(VALU_DEP_1) | instskip(NEXT) | instid1(VALU_DEP_1)
	v_add3_u32 v8, v7, v8, 0x80fffff
	v_lshrrev_b32_e32 v8, 21, v8
; %bb.346:
	s_and_not1_saveexec_b32 s2, s2
; %bb.347:
	v_add_f32_e64 v8, 0x43000000, |v7|
; %bb.348:
	s_or_b32 exec_lo, exec_lo, s2
                                        ; implicit-def: $vgpr9
.LBB55_349:
	s_and_not1_saveexec_b32 s1, s1
; %bb.350:
	v_mov_b32_e32 v8, 0x7f
	v_cmp_lt_u32_e32 vcc_lo, 0x7f800000, v9
	s_delay_alu instid0(VALU_DEP_2)
	v_cndmask_b32_e32 v8, 0x7c, v8, vcc_lo
; %bb.351:
	s_or_b32 exec_lo, exec_lo, s1
	v_lshrrev_b32_e32 v7, 24, v7
	s_delay_alu instid0(VALU_DEP_1)
	v_and_or_b32 v7, 0x80, v7, v8
	global_store_b8 v[4:5], v7, off
.LBB55_352:
	s_mov_b32 s2, 0
	s_mov_b32 s1, -1
.LBB55_353:
	s_and_not1_b32 vcc_lo, exec_lo, s2
	s_cbranch_vccnz .LBB55_361
; %bb.354:
	v_cmp_lt_i16_e32 vcc_lo, 14, v6
	s_mov_b32 s2, -1
	s_cbranch_vccz .LBB55_358
; %bb.355:
	v_cmp_eq_u16_e32 vcc_lo, 15, v6
	s_mov_b32 s0, -1
	s_cbranch_vccz .LBB55_357
; %bb.356:
	v_cvt_f32_f64_e32 v7, v[0:1]
	s_mov_b32 s1, -1
	s_mov_b32 s0, 0
	s_delay_alu instid0(VALU_DEP_1) | instskip(SKIP_1) | instid1(VALU_DEP_2)
	v_bfe_u32 v8, v7, 16, 1
	v_cmp_o_f32_e32 vcc_lo, v7, v7
	v_add3_u32 v8, v7, v8, 0x7fff
	s_delay_alu instid0(VALU_DEP_1) | instskip(NEXT) | instid1(VALU_DEP_1)
	v_lshrrev_b32_e32 v8, 16, v8
	v_cndmask_b32_e32 v7, 0x7fc0, v8, vcc_lo
	global_store_b16 v[4:5], v7, off
.LBB55_357:
	s_mov_b32 s2, 0
.LBB55_358:
	s_delay_alu instid0(SALU_CYCLE_1)
	s_and_b32 vcc_lo, exec_lo, s2
	s_cbranch_vccz .LBB55_361
; %bb.359:
	v_cmp_eq_u16_e32 vcc_lo, 11, v6
	s_mov_b32 s0, -1
	s_cbranch_vccz .LBB55_361
; %bb.360:
	v_cmp_neq_f64_e32 vcc_lo, 0, v[0:1]
	v_cmp_neq_f64_e64 s0, 0, v[2:3]
	s_mov_b32 s1, -1
	s_delay_alu instid0(VALU_DEP_1) | instskip(NEXT) | instid1(SALU_CYCLE_1)
	s_or_b32 s0, vcc_lo, s0
	v_cndmask_b32_e64 v7, 0, 1, s0
	s_mov_b32 s0, 0
	global_store_b8 v[4:5], v7, off
.LBB55_361:
	s_mov_b32 s2, 0
.LBB55_362:
	s_delay_alu instid0(SALU_CYCLE_1)
	s_and_b32 vcc_lo, exec_lo, s2
	s_cbranch_vccz .LBB55_401
; %bb.363:
	v_cmp_gt_i16_e32 vcc_lo, 5, v6
	s_mov_b32 s1, -1
	s_cbranch_vccnz .LBB55_384
; %bb.364:
	v_cmp_gt_i16_e32 vcc_lo, 8, v6
	s_cbranch_vccnz .LBB55_374
; %bb.365:
	v_cmp_gt_i16_e32 vcc_lo, 9, v6
	s_cbranch_vccnz .LBB55_371
; %bb.366:
	v_cmp_lt_i16_e32 vcc_lo, 9, v6
	s_cbranch_vccz .LBB55_368
; %bb.367:
	s_mov_b32 s1, 0
	global_store_b128 v[4:5], v[0:3], off
.LBB55_368:
	s_and_not1_b32 vcc_lo, exec_lo, s1
	s_cbranch_vccnz .LBB55_370
; %bb.369:
	v_cvt_f32_f64_e32 v7, v[0:1]
	v_cvt_f32_f64_e32 v8, v[2:3]
	global_store_b64 v[4:5], v[7:8], off
.LBB55_370:
	s_mov_b32 s1, 0
.LBB55_371:
	s_delay_alu instid0(SALU_CYCLE_1)
	s_and_not1_b32 vcc_lo, exec_lo, s1
	s_cbranch_vccnz .LBB55_373
; %bb.372:
	v_cvt_f32_f64_e32 v2, v[2:3]
	v_cvt_f32_f64_e32 v3, v[0:1]
	s_delay_alu instid0(VALU_DEP_2) | instskip(NEXT) | instid1(VALU_DEP_2)
	v_cvt_f16_f32_e32 v2, v2
	v_cvt_f16_f32_e32 v3, v3
	s_delay_alu instid0(VALU_DEP_2) | instskip(NEXT) | instid1(VALU_DEP_2)
	v_lshlrev_b32_e32 v2, 16, v2
	v_and_b32_e32 v3, 0xffff, v3
	s_delay_alu instid0(VALU_DEP_1)
	v_or_b32_e32 v2, v2, v3
	global_store_b32 v[4:5], v2, off
.LBB55_373:
	s_mov_b32 s1, 0
.LBB55_374:
	s_delay_alu instid0(SALU_CYCLE_1)
	s_and_not1_b32 vcc_lo, exec_lo, s1
	s_cbranch_vccnz .LBB55_383
; %bb.375:
	v_cmp_gt_i16_e32 vcc_lo, 6, v6
	s_mov_b32 s1, -1
	s_cbranch_vccnz .LBB55_381
; %bb.376:
	v_cmp_lt_i16_e32 vcc_lo, 6, v6
	s_cbranch_vccz .LBB55_378
; %bb.377:
	s_mov_b32 s1, 0
	global_store_b64 v[4:5], v[0:1], off
.LBB55_378:
	s_and_not1_b32 vcc_lo, exec_lo, s1
	s_cbranch_vccnz .LBB55_380
; %bb.379:
	v_cvt_f32_f64_e32 v2, v[0:1]
	global_store_b32 v[4:5], v2, off
.LBB55_380:
	s_mov_b32 s1, 0
.LBB55_381:
	s_delay_alu instid0(SALU_CYCLE_1)
	s_and_not1_b32 vcc_lo, exec_lo, s1
	s_cbranch_vccnz .LBB55_383
; %bb.382:
	v_cvt_f32_f64_e32 v2, v[0:1]
	s_delay_alu instid0(VALU_DEP_1)
	v_cvt_f16_f32_e32 v2, v2
	global_store_b16 v[4:5], v2, off
.LBB55_383:
	s_mov_b32 s1, 0
.LBB55_384:
	s_delay_alu instid0(SALU_CYCLE_1)
	s_and_not1_b32 vcc_lo, exec_lo, s1
	s_cbranch_vccnz .LBB55_400
; %bb.385:
	v_cmp_gt_i16_e32 vcc_lo, 2, v6
	s_mov_b32 s1, -1
	s_cbranch_vccnz .LBB55_395
; %bb.386:
	v_cmp_gt_i16_e32 vcc_lo, 3, v6
	s_cbranch_vccnz .LBB55_392
; %bb.387:
	v_cmp_lt_i16_e32 vcc_lo, 3, v6
	s_cbranch_vccz .LBB55_389
; %bb.388:
	v_trunc_f64_e32 v[2:3], v[0:1]
	s_mov_b32 s1, 0
	s_delay_alu instid0(VALU_DEP_1) | instskip(NEXT) | instid1(VALU_DEP_1)
	v_ldexp_f64 v[7:8], v[2:3], 0xffffffe0
	v_floor_f64_e32 v[7:8], v[7:8]
	s_delay_alu instid0(VALU_DEP_1) | instskip(SKIP_1) | instid1(VALU_DEP_2)
	v_fma_f64 v[2:3], 0xc1f00000, v[7:8], v[2:3]
	v_cvt_i32_f64_e32 v8, v[7:8]
	v_cvt_u32_f64_e32 v7, v[2:3]
	global_store_b64 v[4:5], v[7:8], off
.LBB55_389:
	s_and_not1_b32 vcc_lo, exec_lo, s1
	s_cbranch_vccnz .LBB55_391
; %bb.390:
	v_cvt_i32_f64_e32 v2, v[0:1]
	global_store_b32 v[4:5], v2, off
.LBB55_391:
	s_mov_b32 s1, 0
.LBB55_392:
	s_delay_alu instid0(SALU_CYCLE_1)
	s_and_not1_b32 vcc_lo, exec_lo, s1
	s_cbranch_vccnz .LBB55_394
; %bb.393:
	v_cvt_i32_f64_e32 v2, v[0:1]
	global_store_b16 v[4:5], v2, off
.LBB55_394:
	s_mov_b32 s1, 0
.LBB55_395:
	s_delay_alu instid0(SALU_CYCLE_1)
	s_and_not1_b32 vcc_lo, exec_lo, s1
	s_cbranch_vccnz .LBB55_400
; %bb.396:
	v_cmp_lt_i16_e32 vcc_lo, 0, v6
	s_mov_b32 s1, -1
	s_cbranch_vccz .LBB55_398
; %bb.397:
	v_cvt_i32_f64_e32 v2, v[0:1]
	s_mov_b32 s1, 0
	global_store_b8 v[4:5], v2, off
.LBB55_398:
	s_and_not1_b32 vcc_lo, exec_lo, s1
	s_cbranch_vccnz .LBB55_400
; %bb.399:
	v_trunc_f64_e32 v[0:1], v[0:1]
	s_delay_alu instid0(VALU_DEP_1) | instskip(NEXT) | instid1(VALU_DEP_1)
	v_ldexp_f64 v[2:3], v[0:1], 0xffffffe0
	v_floor_f64_e32 v[2:3], v[2:3]
	s_delay_alu instid0(VALU_DEP_1) | instskip(NEXT) | instid1(VALU_DEP_1)
	v_fma_f64 v[0:1], 0xc1f00000, v[2:3], v[0:1]
	v_cvt_u32_f64_e32 v0, v[0:1]
	global_store_b8 v[4:5], v0, off
.LBB55_400:
	s_mov_b32 s1, -1
.LBB55_401:
	s_delay_alu instid0(SALU_CYCLE_1)
	s_and_not1_b32 vcc_lo, exec_lo, s1
	s_cbranch_vccnz .LBB55_403
; %bb.402:
	v_add_nc_u32_e32 v61, 0x80, v61
	s_mov_b32 s1, -1
	s_branch .LBB55_521
.LBB55_403:
	s_mov_b32 s1, 0
	s_branch .LBB55_520
.LBB55_404:
	s_mov_b32 s26, -1
                                        ; implicit-def: $sgpr0_sgpr1
                                        ; implicit-def: $vgpr0_vgpr1
.LBB55_405:
	v_dual_mov_b32 v3, s1 :: v_dual_mov_b32 v2, s0
.LBB55_406:
	s_mov_b32 s0, 0
.LBB55_407:
	s_delay_alu instid0(SALU_CYCLE_1)
	s_and_b32 vcc_lo, exec_lo, s0
	s_cbranch_vccz .LBB55_412
; %bb.408:
	v_cmp_eq_u16_e32 vcc_lo, 29, v62
	s_cbranch_vccz .LBB55_410
; %bb.409:
	global_load_b64 v[0:1], v[4:5], off
	s_mov_b32 s2, -1
	s_mov_b32 s26, 0
	s_mov_b64 s[0:1], 0
	s_waitcnt vmcnt(0)
	v_cvt_f64_u32_e32 v[1:2], v1
	v_cvt_f64_u32_e32 v[6:7], v0
	s_delay_alu instid0(VALU_DEP_2) | instskip(NEXT) | instid1(VALU_DEP_1)
	v_ldexp_f64 v[1:2], v[1:2], 32
	v_add_f64 v[0:1], v[1:2], v[6:7]
	s_branch .LBB55_411
.LBB55_410:
	s_mov_b32 s26, -1
                                        ; implicit-def: $sgpr0_sgpr1
                                        ; implicit-def: $vgpr0_vgpr1
.LBB55_411:
	v_dual_mov_b32 v3, s1 :: v_dual_mov_b32 v2, s0
.LBB55_412:
	s_mov_b32 s0, 0
.LBB55_413:
	s_delay_alu instid0(SALU_CYCLE_1)
	s_and_b32 vcc_lo, exec_lo, s0
	s_cbranch_vccz .LBB55_433
; %bb.414:
	v_cmp_gt_i16_e32 vcc_lo, 27, v62
	s_cbranch_vccnz .LBB55_417
; %bb.415:
	v_cmp_lt_i16_e32 vcc_lo, 27, v62
	s_cbranch_vccz .LBB55_418
; %bb.416:
	global_load_b32 v0, v[4:5], off
	s_mov_b32 s2, 0
	s_mov_b64 s[0:1], 0
	s_waitcnt vmcnt(0)
	v_cvt_f64_u32_e32 v[0:1], v0
	s_branch .LBB55_419
.LBB55_417:
	s_mov_b32 s2, -1
                                        ; implicit-def: $sgpr0_sgpr1
                                        ; implicit-def: $vgpr0_vgpr1
	s_branch .LBB55_422
.LBB55_418:
	s_mov_b32 s2, -1
                                        ; implicit-def: $sgpr0_sgpr1
                                        ; implicit-def: $vgpr0_vgpr1
.LBB55_419:
	s_delay_alu instid0(SALU_CYCLE_1)
	s_and_not1_b32 vcc_lo, exec_lo, s2
	s_cbranch_vccnz .LBB55_421
; %bb.420:
	global_load_u16 v0, v[4:5], off
	s_mov_b64 s[0:1], 0
	s_waitcnt vmcnt(0)
	v_cvt_f64_u32_e32 v[0:1], v0
.LBB55_421:
	s_mov_b32 s2, 0
.LBB55_422:
	v_dual_mov_b32 v3, s1 :: v_dual_mov_b32 v2, s0
	s_and_not1_b32 vcc_lo, exec_lo, s2
	s_cbranch_vccnz .LBB55_432
; %bb.423:
	global_load_u8 v6, v[4:5], off
	s_mov_b32 s4, 0
	s_mov_b32 s5, exec_lo
                                        ; implicit-def: $sgpr0_sgpr1
                                        ; implicit-def: $sgpr2_sgpr3
	s_waitcnt vmcnt(0)
	v_cmpx_lt_i16_e32 0x7f, v6
	s_xor_b32 s5, exec_lo, s5
	s_cbranch_execz .LBB55_427
; %bb.424:
	s_mov_b32 s4, -1
	s_mov_b32 s6, exec_lo
                                        ; implicit-def: $sgpr0_sgpr1
                                        ; implicit-def: $sgpr2_sgpr3
	v_cmpx_eq_u16_e32 0x80, v6
; %bb.425:
	s_mov_b64 s[0:1], 0
	s_mov_b32 s3, 0x7ff80000
	s_brev_b32 s2, 4
	s_xor_b32 s4, exec_lo, -1
; %bb.426:
	s_or_b32 exec_lo, exec_lo, s6
	s_delay_alu instid0(SALU_CYCLE_1)
	s_and_b32 s4, s4, exec_lo
.LBB55_427:
	s_or_saveexec_b32 s5, s5
	v_dual_mov_b32 v3, s1 :: v_dual_mov_b32 v2, s0
	v_dual_mov_b32 v0, s2 :: v_dual_mov_b32 v1, s3
	s_xor_b32 exec_lo, exec_lo, s5
; %bb.428:
	v_mov_b32_e32 v2, 0
	v_mov_b32_e32 v3, 0
	v_cmp_ne_u16_e32 vcc_lo, 0, v6
	s_delay_alu instid0(VALU_DEP_3) | instskip(SKIP_1) | instid1(VALU_DEP_3)
	v_mov_b32_e32 v0, v2
	s_and_not1_b32 s0, s4, exec_lo
	v_mov_b32_e32 v1, v3
	s_and_b32 s1, vcc_lo, exec_lo
	s_delay_alu instid0(SALU_CYCLE_1)
	s_or_b32 s4, s0, s1
; %bb.429:
	s_or_b32 exec_lo, exec_lo, s5
	s_and_saveexec_b32 s0, s4
	s_cbranch_execz .LBB55_431
; %bb.430:
	v_and_b32_e32 v0, 0xffff, v6
	v_lshlrev_b32_e32 v6, 24, v6
	s_delay_alu instid0(VALU_DEP_2) | instskip(NEXT) | instid1(VALU_DEP_1)
	v_and_b32_e32 v1, 7, v0
	v_clz_i32_u32_e32 v2, v1
	s_delay_alu instid0(VALU_DEP_1) | instskip(NEXT) | instid1(VALU_DEP_1)
	v_min_u32_e32 v2, 32, v2
	v_subrev_nc_u32_e32 v3, 28, v2
	v_sub_nc_u32_e32 v2, 29, v2
	s_delay_alu instid0(VALU_DEP_2) | instskip(SKIP_1) | instid1(VALU_DEP_2)
	v_lshlrev_b32_e32 v3, v3, v0
	v_bfe_u32 v0, v0, 3, 4
	v_and_b32_e32 v3, 7, v3
	s_delay_alu instid0(VALU_DEP_2) | instskip(NEXT) | instid1(VALU_DEP_2)
	v_cmp_eq_u32_e32 vcc_lo, 0, v0
	v_dual_cndmask_b32 v0, v0, v2 :: v_dual_cndmask_b32 v1, v1, v3
	v_and_b32_e32 v2, 0x80000000, v6
	s_delay_alu instid0(VALU_DEP_2) | instskip(NEXT) | instid1(VALU_DEP_3)
	v_lshl_add_u32 v0, v0, 23, 0x3b800000
	v_lshlrev_b32_e32 v1, 20, v1
	s_delay_alu instid0(VALU_DEP_1) | instskip(SKIP_2) | instid1(VALU_DEP_3)
	v_or3_b32 v0, v2, v0, v1
	v_mov_b32_e32 v2, 0
	v_mov_b32_e32 v3, 0
	v_cvt_f64_f32_e32 v[0:1], v0
.LBB55_431:
	s_or_b32 exec_lo, exec_lo, s0
.LBB55_432:
	s_mov_b32 s2, -1
.LBB55_433:
	s_mov_b32 s0, 0
.LBB55_434:
	s_delay_alu instid0(SALU_CYCLE_1)
	s_and_b32 vcc_lo, exec_lo, s0
	s_cbranch_vccz .LBB55_468
; %bb.435:
	v_cmp_lt_i16_e32 vcc_lo, 22, v62
	s_cbranch_vccz .LBB55_447
; %bb.436:
	v_cmp_gt_i16_e32 vcc_lo, 24, v62
	s_cbranch_vccnz .LBB55_448
; %bb.437:
	v_cmp_lt_i16_e32 vcc_lo, 24, v62
	s_cbranch_vccz .LBB55_449
; %bb.438:
	global_load_u8 v6, v[4:5], off
	s_mov_b32 s4, 0
	s_mov_b32 s5, exec_lo
                                        ; implicit-def: $sgpr0_sgpr1
                                        ; implicit-def: $sgpr2_sgpr3
	s_waitcnt vmcnt(0)
	v_cmpx_lt_i16_e32 0x7f, v6
	s_xor_b32 s5, exec_lo, s5
	s_cbranch_execz .LBB55_442
; %bb.439:
	s_mov_b32 s4, -1
	s_mov_b32 s6, exec_lo
                                        ; implicit-def: $sgpr0_sgpr1
                                        ; implicit-def: $sgpr2_sgpr3
	v_cmpx_eq_u16_e32 0x80, v6
; %bb.440:
	s_mov_b64 s[0:1], 0
	s_mov_b32 s3, 0x7ff80000
	s_brev_b32 s2, 4
	s_xor_b32 s4, exec_lo, -1
; %bb.441:
	s_or_b32 exec_lo, exec_lo, s6
	s_delay_alu instid0(SALU_CYCLE_1)
	s_and_b32 s4, s4, exec_lo
.LBB55_442:
	s_or_saveexec_b32 s5, s5
	v_dual_mov_b32 v3, s1 :: v_dual_mov_b32 v2, s0
	v_dual_mov_b32 v0, s2 :: v_dual_mov_b32 v1, s3
	s_xor_b32 exec_lo, exec_lo, s5
; %bb.443:
	v_mov_b32_e32 v2, 0
	v_mov_b32_e32 v3, 0
	v_cmp_ne_u16_e32 vcc_lo, 0, v6
	s_delay_alu instid0(VALU_DEP_3) | instskip(SKIP_1) | instid1(VALU_DEP_3)
	v_mov_b32_e32 v0, v2
	s_and_not1_b32 s0, s4, exec_lo
	v_mov_b32_e32 v1, v3
	s_and_b32 s1, vcc_lo, exec_lo
	s_delay_alu instid0(SALU_CYCLE_1)
	s_or_b32 s4, s0, s1
; %bb.444:
	s_or_b32 exec_lo, exec_lo, s5
	s_and_saveexec_b32 s0, s4
	s_cbranch_execz .LBB55_446
; %bb.445:
	v_and_b32_e32 v0, 0xffff, v6
	v_lshlrev_b32_e32 v6, 24, v6
	s_delay_alu instid0(VALU_DEP_2) | instskip(NEXT) | instid1(VALU_DEP_1)
	v_and_b32_e32 v1, 3, v0
	v_clz_i32_u32_e32 v2, v1
	s_delay_alu instid0(VALU_DEP_1) | instskip(NEXT) | instid1(VALU_DEP_1)
	v_min_u32_e32 v2, 32, v2
	v_subrev_nc_u32_e32 v3, 29, v2
	v_sub_nc_u32_e32 v2, 30, v2
	s_delay_alu instid0(VALU_DEP_2) | instskip(SKIP_1) | instid1(VALU_DEP_2)
	v_lshlrev_b32_e32 v3, v3, v0
	v_bfe_u32 v0, v0, 2, 5
	v_and_b32_e32 v3, 3, v3
	s_delay_alu instid0(VALU_DEP_2) | instskip(NEXT) | instid1(VALU_DEP_2)
	v_cmp_eq_u32_e32 vcc_lo, 0, v0
	v_dual_cndmask_b32 v0, v0, v2 :: v_dual_cndmask_b32 v1, v1, v3
	v_and_b32_e32 v2, 0x80000000, v6
	s_delay_alu instid0(VALU_DEP_2) | instskip(NEXT) | instid1(VALU_DEP_3)
	v_lshl_add_u32 v0, v0, 23, 0x37800000
	v_lshlrev_b32_e32 v1, 21, v1
	s_delay_alu instid0(VALU_DEP_1) | instskip(SKIP_2) | instid1(VALU_DEP_3)
	v_or3_b32 v0, v2, v0, v1
	v_mov_b32_e32 v2, 0
	v_mov_b32_e32 v3, 0
	v_cvt_f64_f32_e32 v[0:1], v0
.LBB55_446:
	s_or_b32 exec_lo, exec_lo, s0
	s_mov_b32 s0, 0
	s_branch .LBB55_450
.LBB55_447:
	s_mov_b32 s0, -1
                                        ; implicit-def: $vgpr2_vgpr3
	s_branch .LBB55_456
.LBB55_448:
	s_mov_b32 s0, -1
                                        ; implicit-def: $vgpr2_vgpr3
	s_branch .LBB55_453
.LBB55_449:
	s_mov_b32 s0, -1
                                        ; implicit-def: $vgpr2_vgpr3
.LBB55_450:
	s_delay_alu instid0(SALU_CYCLE_1)
	s_and_b32 vcc_lo, exec_lo, s0
	s_cbranch_vccz .LBB55_452
; %bb.451:
	global_load_u8 v0, v[4:5], off
	s_waitcnt vmcnt(0)
	v_lshlrev_b32_e32 v0, 24, v0
	s_delay_alu instid0(VALU_DEP_1) | instskip(NEXT) | instid1(VALU_DEP_1)
	v_and_b32_e32 v1, 0x7f000000, v0
	v_clz_i32_u32_e32 v2, v1
	v_add_nc_u32_e32 v6, 0x1000000, v1
	v_cmp_ne_u32_e32 vcc_lo, 0, v1
	s_delay_alu instid0(VALU_DEP_3) | instskip(NEXT) | instid1(VALU_DEP_1)
	v_min_u32_e32 v2, 32, v2
	v_sub_nc_u32_e64 v2, v2, 4 clamp
	s_delay_alu instid0(VALU_DEP_1) | instskip(SKIP_1) | instid1(VALU_DEP_2)
	v_lshlrev_b32_e32 v3, v2, v1
	v_lshlrev_b32_e32 v2, 23, v2
	v_lshrrev_b32_e32 v3, 4, v3
	s_delay_alu instid0(VALU_DEP_1) | instskip(SKIP_1) | instid1(VALU_DEP_2)
	v_sub_nc_u32_e32 v2, v3, v2
	v_ashrrev_i32_e32 v3, 8, v6
	v_add_nc_u32_e32 v2, 0x3c000000, v2
	s_delay_alu instid0(VALU_DEP_1) | instskip(NEXT) | instid1(VALU_DEP_1)
	v_and_or_b32 v2, 0x7f800000, v3, v2
	v_dual_cndmask_b32 v1, 0, v2 :: v_dual_mov_b32 v2, 0
	v_mov_b32_e32 v3, 0
	s_delay_alu instid0(VALU_DEP_2) | instskip(NEXT) | instid1(VALU_DEP_1)
	v_and_or_b32 v0, 0x80000000, v0, v1
	v_cvt_f64_f32_e32 v[0:1], v0
.LBB55_452:
	s_mov_b32 s0, 0
.LBB55_453:
	s_delay_alu instid0(SALU_CYCLE_1)
	s_and_not1_b32 vcc_lo, exec_lo, s0
	s_cbranch_vccnz .LBB55_455
; %bb.454:
	global_load_u8 v0, v[4:5], off
	s_waitcnt vmcnt(0)
	v_lshlrev_b32_e32 v1, 25, v0
	v_lshlrev_b16 v0, 8, v0
	s_delay_alu instid0(VALU_DEP_2) | instskip(NEXT) | instid1(VALU_DEP_2)
	v_lshrrev_b32_e32 v2, 4, v1
	v_and_or_b32 v3, 0x7f00, v0, 0.5
	v_bfe_i32 v0, v0, 0, 16
	s_delay_alu instid0(VALU_DEP_3) | instskip(NEXT) | instid1(VALU_DEP_1)
	v_or_b32_e32 v2, 0x70000000, v2
	v_dual_add_f32 v3, -0.5, v3 :: v_dual_mul_f32 v2, 0x7800000, v2
	v_cmp_gt_u32_e32 vcc_lo, 0x8000000, v1
	s_delay_alu instid0(VALU_DEP_2) | instskip(SKIP_1) | instid1(VALU_DEP_2)
	v_dual_cndmask_b32 v1, v2, v3 :: v_dual_mov_b32 v2, 0
	v_mov_b32_e32 v3, 0
	v_and_or_b32 v0, 0x80000000, v0, v1
	s_delay_alu instid0(VALU_DEP_1)
	v_cvt_f64_f32_e32 v[0:1], v0
.LBB55_455:
	s_mov_b32 s0, 0
	s_mov_b32 s2, -1
.LBB55_456:
	s_and_not1_b32 vcc_lo, exec_lo, s0
	s_cbranch_vccnz .LBB55_468
; %bb.457:
	v_cmp_lt_i16_e32 vcc_lo, 14, v62
	s_cbranch_vccz .LBB55_460
; %bb.458:
	v_cmp_eq_u16_e32 vcc_lo, 15, v62
	s_cbranch_vccz .LBB55_461
; %bb.459:
	global_load_u16 v0, v[4:5], off
	s_mov_b32 s2, -1
	s_mov_b32 s26, 0
	s_mov_b64 s[0:1], 0
	s_waitcnt vmcnt(0)
	v_lshlrev_b32_e32 v0, 16, v0
	s_delay_alu instid0(VALU_DEP_1)
	v_cvt_f64_f32_e32 v[0:1], v0
	s_branch .LBB55_462
.LBB55_460:
	s_mov_b32 s3, -1
                                        ; implicit-def: $sgpr0_sgpr1
                                        ; implicit-def: $vgpr0_vgpr1
	s_branch .LBB55_463
.LBB55_461:
	s_mov_b32 s26, -1
                                        ; implicit-def: $sgpr0_sgpr1
                                        ; implicit-def: $vgpr0_vgpr1
.LBB55_462:
	s_mov_b32 s3, 0
.LBB55_463:
	s_delay_alu instid0(SALU_CYCLE_1)
	s_and_b32 vcc_lo, exec_lo, s3
	s_cbranch_vccz .LBB55_467
; %bb.464:
	v_cmp_eq_u16_e32 vcc_lo, 11, v62
	s_cbranch_vccz .LBB55_466
; %bb.465:
	global_load_u8 v0, v[4:5], off
	s_mov_b32 s26, 0
	s_mov_b32 s2, -1
	s_mov_b64 s[0:1], 0
	s_waitcnt vmcnt(0)
	v_cmp_ne_u16_e32 vcc_lo, 0, v0
	v_mov_b32_e32 v0, 0
	v_cndmask_b32_e64 v1, 0, 0x3ff00000, vcc_lo
	s_branch .LBB55_467
.LBB55_466:
	s_mov_b32 s26, -1
                                        ; implicit-def: $sgpr0_sgpr1
                                        ; implicit-def: $vgpr0_vgpr1
.LBB55_467:
	v_dual_mov_b32 v3, s1 :: v_dual_mov_b32 v2, s0
.LBB55_468:
	s_branch .LBB55_267
.LBB55_469:
	v_cmp_gt_i16_e32 vcc_lo, 5, v62
	s_cbranch_vccnz .LBB55_474
; %bb.470:
	v_cmp_gt_i16_e32 vcc_lo, 8, v62
	s_cbranch_vccnz .LBB55_475
; %bb.471:
	;; [unrolled: 3-line block ×3, first 2 shown]
	v_cmp_lt_i16_e32 vcc_lo, 9, v62
	s_cbranch_vccz .LBB55_477
; %bb.473:
	global_load_b128 v[0:3], v[4:5], off
	s_mov_b32 s0, 0
	s_branch .LBB55_478
.LBB55_474:
	s_mov_b32 s0, -1
                                        ; implicit-def: $vgpr2_vgpr3
	s_branch .LBB55_497
.LBB55_475:
	s_mov_b32 s0, -1
                                        ; implicit-def: $vgpr2_vgpr3
	s_branch .LBB55_484
.LBB55_476:
	s_mov_b32 s0, -1
                                        ; implicit-def: $vgpr2_vgpr3
	s_branch .LBB55_481
.LBB55_477:
	s_mov_b32 s0, -1
                                        ; implicit-def: $vgpr2_vgpr3
.LBB55_478:
	s_delay_alu instid0(SALU_CYCLE_1)
	s_and_not1_b32 vcc_lo, exec_lo, s0
	s_cbranch_vccnz .LBB55_480
; %bb.479:
	global_load_b64 v[1:2], v[4:5], off
	s_waitcnt vmcnt(0)
	v_cvt_f64_f32_e32 v[0:1], v1
	v_cvt_f64_f32_e32 v[2:3], v2
.LBB55_480:
	s_mov_b32 s0, 0
.LBB55_481:
	s_delay_alu instid0(SALU_CYCLE_1)
	s_and_not1_b32 vcc_lo, exec_lo, s0
	s_cbranch_vccnz .LBB55_483
; %bb.482:
	global_load_b32 v0, v[4:5], off
	s_waitcnt vmcnt(0)
	v_lshrrev_b32_e32 v1, 16, v0
	v_cvt_f32_f16_e32 v0, v0
	s_delay_alu instid0(VALU_DEP_2) | instskip(NEXT) | instid1(VALU_DEP_2)
	v_cvt_f32_f16_e32 v2, v1
	v_cvt_f64_f32_e32 v[0:1], v0
	s_delay_alu instid0(VALU_DEP_2)
	v_cvt_f64_f32_e32 v[2:3], v2
.LBB55_483:
	s_mov_b32 s0, 0
.LBB55_484:
	s_delay_alu instid0(SALU_CYCLE_1)
	s_and_not1_b32 vcc_lo, exec_lo, s0
	s_cbranch_vccnz .LBB55_496
; %bb.485:
	v_cmp_gt_i16_e32 vcc_lo, 6, v62
	s_cbranch_vccnz .LBB55_488
; %bb.486:
	v_cmp_lt_i16_e32 vcc_lo, 6, v62
	s_cbranch_vccz .LBB55_489
; %bb.487:
	global_load_b64 v[0:1], v[4:5], off
	s_mov_b32 s2, 0
	s_mov_b64 s[0:1], 0
	s_branch .LBB55_490
.LBB55_488:
	s_mov_b32 s2, -1
                                        ; implicit-def: $sgpr0_sgpr1
                                        ; implicit-def: $vgpr0_vgpr1
	s_branch .LBB55_493
.LBB55_489:
	s_mov_b32 s2, -1
                                        ; implicit-def: $sgpr0_sgpr1
                                        ; implicit-def: $vgpr0_vgpr1
.LBB55_490:
	s_delay_alu instid0(SALU_CYCLE_1)
	s_and_not1_b32 vcc_lo, exec_lo, s2
	s_cbranch_vccnz .LBB55_492
; %bb.491:
	global_load_b32 v0, v[4:5], off
	s_mov_b64 s[0:1], 0
	s_waitcnt vmcnt(0)
	v_cvt_f64_f32_e32 v[0:1], v0
.LBB55_492:
	s_mov_b32 s2, 0
.LBB55_493:
	s_delay_alu instid0(SALU_CYCLE_1)
	s_and_not1_b32 vcc_lo, exec_lo, s2
	s_cbranch_vccnz .LBB55_495
; %bb.494:
	global_load_u16 v0, v[4:5], off
	s_mov_b64 s[0:1], 0
	s_waitcnt vmcnt(0)
	v_cvt_f32_f16_e32 v0, v0
	s_delay_alu instid0(VALU_DEP_1)
	v_cvt_f64_f32_e32 v[0:1], v0
.LBB55_495:
	s_waitcnt vmcnt(0)
	v_dual_mov_b32 v3, s1 :: v_dual_mov_b32 v2, s0
.LBB55_496:
	s_mov_b32 s0, 0
.LBB55_497:
	s_delay_alu instid0(SALU_CYCLE_1)
	s_and_not1_b32 vcc_lo, exec_lo, s0
	s_cbranch_vccnz .LBB55_518
; %bb.498:
	v_cmp_gt_i16_e32 vcc_lo, 2, v62
	s_cbranch_vccnz .LBB55_502
; %bb.499:
	v_cmp_gt_i16_e32 vcc_lo, 3, v62
	s_cbranch_vccnz .LBB55_503
; %bb.500:
	v_cmp_lt_i16_e32 vcc_lo, 3, v62
	s_cbranch_vccz .LBB55_504
; %bb.501:
	global_load_b64 v[0:1], v[4:5], off
	s_mov_b32 s2, 0
	s_mov_b64 s[0:1], 0
	s_waitcnt vmcnt(0)
	v_cvt_f64_i32_e32 v[1:2], v1
	v_cvt_f64_u32_e32 v[6:7], v0
	s_delay_alu instid0(VALU_DEP_2) | instskip(NEXT) | instid1(VALU_DEP_1)
	v_ldexp_f64 v[1:2], v[1:2], 32
	v_add_f64 v[0:1], v[1:2], v[6:7]
	s_branch .LBB55_505
.LBB55_502:
	s_mov_b32 s2, -1
                                        ; implicit-def: $sgpr0_sgpr1
                                        ; implicit-def: $vgpr0_vgpr1
	s_branch .LBB55_511
.LBB55_503:
	s_mov_b32 s2, -1
                                        ; implicit-def: $sgpr0_sgpr1
                                        ; implicit-def: $vgpr0_vgpr1
	s_branch .LBB55_508
.LBB55_504:
	s_mov_b32 s2, -1
                                        ; implicit-def: $sgpr0_sgpr1
                                        ; implicit-def: $vgpr0_vgpr1
.LBB55_505:
	s_delay_alu instid0(SALU_CYCLE_1)
	s_and_not1_b32 vcc_lo, exec_lo, s2
	s_cbranch_vccnz .LBB55_507
; %bb.506:
	global_load_b32 v0, v[4:5], off
	s_mov_b64 s[0:1], 0
	s_waitcnt vmcnt(0)
	v_cvt_f64_i32_e32 v[0:1], v0
.LBB55_507:
	s_mov_b32 s2, 0
.LBB55_508:
	s_delay_alu instid0(SALU_CYCLE_1)
	s_and_not1_b32 vcc_lo, exec_lo, s2
	s_cbranch_vccnz .LBB55_510
; %bb.509:
	global_load_i16 v0, v[4:5], off
	s_mov_b64 s[0:1], 0
	s_waitcnt vmcnt(0)
	v_cvt_f64_i32_e32 v[0:1], v0
.LBB55_510:
	s_mov_b32 s2, 0
.LBB55_511:
	s_delay_alu instid0(SALU_CYCLE_1)
	s_and_not1_b32 vcc_lo, exec_lo, s2
	s_cbranch_vccnz .LBB55_517
; %bb.512:
	v_cmp_lt_i16_e32 vcc_lo, 0, v62
	s_mov_b32 s2, 0
	s_cbranch_vccz .LBB55_514
; %bb.513:
	global_load_i8 v0, v[4:5], off
	s_mov_b64 s[0:1], 0
	s_waitcnt vmcnt(0)
	v_cvt_f64_i32_e32 v[0:1], v0
	s_branch .LBB55_515
.LBB55_514:
	s_mov_b32 s2, -1
                                        ; implicit-def: $sgpr0_sgpr1
                                        ; implicit-def: $vgpr0_vgpr1
.LBB55_515:
	s_delay_alu instid0(SALU_CYCLE_1)
	s_and_not1_b32 vcc_lo, exec_lo, s2
	s_cbranch_vccnz .LBB55_517
; %bb.516:
	global_load_u8 v0, v[4:5], off
	s_mov_b64 s[0:1], 0
	s_waitcnt vmcnt(0)
	v_cvt_f64_u32_e32 v[0:1], v0
.LBB55_517:
	s_waitcnt vmcnt(0)
	v_dual_mov_b32 v3, s1 :: v_dual_mov_b32 v2, s0
.LBB55_518:
	s_branch .LBB55_268
.LBB55_519:
	s_mov_b32 s1, 0
	s_mov_b32 s0, s22
.LBB55_520:
                                        ; implicit-def: $vgpr61
.LBB55_521:
	s_and_not1_b32 s2, s22, exec_lo
	s_and_b32 s0, s0, exec_lo
	s_and_not1_b32 s3, s24, exec_lo
	s_and_b32 s4, s26, exec_lo
	s_or_b32 s27, s2, s0
	s_or_b32 s26, s3, s4
	s_or_not1_b32 s3, s1, exec_lo
.LBB55_522:
	s_or_b32 exec_lo, exec_lo, s28
	s_mov_b32 s1, 0
	s_mov_b32 s0, 0
	s_mov_b32 s2, 0
                                        ; implicit-def: $vgpr0_vgpr1
                                        ; implicit-def: $vgpr6_vgpr7
	s_and_saveexec_b32 s28, s3
	s_cbranch_execz .LBB55_877
; %bb.523:
	s_mov_b32 s3, -1
	s_mov_b32 s4, s26
	s_mov_b32 s5, s27
	s_mov_b32 s29, exec_lo
	v_cmpx_gt_i32_e64 s23, v61
	s_cbranch_execz .LBB55_788
; %bb.524:
	s_waitcnt vmcnt(0)
	v_mul_lo_u32 v0, v61, s21
	v_cmp_gt_i16_e32 vcc_lo, 11, v62
	s_delay_alu instid0(VALU_DEP_2) | instskip(SKIP_1) | instid1(VALU_DEP_1)
	v_ashrrev_i32_e32 v1, 31, v0
	v_add_co_u32 v4, s0, s18, v0
	v_add_co_ci_u32_e64 v5, s0, s19, v1, s0
	s_cbranch_vccnz .LBB55_531
; %bb.525:
	v_cmp_lt_i16_e32 vcc_lo, 25, v62
	s_cbranch_vccz .LBB55_532
; %bb.526:
	v_cmp_lt_i16_e32 vcc_lo, 28, v62
	s_cbranch_vccz .LBB55_533
	;; [unrolled: 3-line block ×4, first 2 shown]
; %bb.529:
	v_cmp_eq_u16_e32 vcc_lo, 46, v62
	s_mov_b32 s0, 0
	s_cbranch_vccz .LBB55_540
; %bb.530:
	global_load_b32 v0, v[4:5], off
	s_mov_b32 s2, -1
	s_mov_b32 s33, 0
	s_waitcnt vmcnt(0)
	v_lshlrev_b32_e32 v1, 16, v0
	v_and_b32_e32 v2, 0xffff0000, v0
	s_delay_alu instid0(VALU_DEP_2) | instskip(NEXT) | instid1(VALU_DEP_2)
	v_cvt_f64_f32_e32 v[0:1], v1
	v_cvt_f64_f32_e32 v[2:3], v2
	s_branch .LBB55_542
.LBB55_531:
	s_mov_b32 s0, -1
	s_mov_b32 s33, s26
                                        ; implicit-def: $vgpr2_vgpr3
	s_branch .LBB55_610
.LBB55_532:
	s_mov_b32 s0, -1
	s_mov_b32 s33, s26
                                        ; implicit-def: $vgpr2_vgpr3
	s_branch .LBB55_575
.LBB55_533:
	s_mov_b32 s0, -1
	s_mov_b32 s33, s26
                                        ; implicit-def: $vgpr2_vgpr3
	s_branch .LBB55_554
.LBB55_534:
	s_mov_b32 s0, -1
	s_mov_b32 s33, s26
                                        ; implicit-def: $vgpr2_vgpr3
	s_branch .LBB55_548
.LBB55_535:
	s_or_saveexec_b32 s3, s3
                                        ; implicit-def: $sgpr4
	s_delay_alu instid0(SALU_CYCLE_1)
	s_xor_b32 exec_lo, exec_lo, s3
	s_cbranch_execz .LBB55_314
.LBB55_536:
	v_add_f32_e64 v8, 0x46000000, |v7|
	s_and_not1_b32 s2, s2, exec_lo
	s_mov_b32 s4, 0
	s_delay_alu instid0(VALU_DEP_1) | instskip(NEXT) | instid1(VALU_DEP_1)
	v_and_b32_e32 v8, 0xff, v8
	v_cmp_ne_u32_e32 vcc_lo, 0, v8
	s_and_b32 s5, vcc_lo, exec_lo
	s_delay_alu instid0(SALU_CYCLE_1)
	s_or_b32 s2, s2, s5
	s_or_b32 exec_lo, exec_lo, s3
	v_mov_b32_e32 v9, s4
	s_and_saveexec_b32 s3, s2
	s_cbranch_execnz .LBB55_315
	s_branch .LBB55_316
.LBB55_537:
	s_mov_b32 s0, -1
	s_mov_b32 s33, s26
	s_branch .LBB55_541
.LBB55_538:
	s_or_saveexec_b32 s3, s3
                                        ; implicit-def: $sgpr4
	s_delay_alu instid0(SALU_CYCLE_1)
	s_xor_b32 exec_lo, exec_lo, s3
	s_cbranch_execz .LBB55_327
.LBB55_539:
	v_add_f32_e64 v8, 0x42800000, |v7|
	s_and_not1_b32 s2, s2, exec_lo
	s_mov_b32 s4, 0
	s_delay_alu instid0(VALU_DEP_1) | instskip(NEXT) | instid1(VALU_DEP_1)
	v_and_b32_e32 v8, 0xff, v8
	v_cmp_ne_u32_e32 vcc_lo, 0, v8
	s_and_b32 s5, vcc_lo, exec_lo
	s_delay_alu instid0(SALU_CYCLE_1)
	s_or_b32 s2, s2, s5
	s_or_b32 exec_lo, exec_lo, s3
	v_mov_b32_e32 v9, s4
	s_and_saveexec_b32 s3, s2
	s_cbranch_execnz .LBB55_328
	s_branch .LBB55_329
.LBB55_540:
	s_mov_b32 s33, -1
.LBB55_541:
                                        ; implicit-def: $vgpr2_vgpr3
.LBB55_542:
	s_and_b32 vcc_lo, exec_lo, s0
	s_cbranch_vccz .LBB55_547
; %bb.543:
	v_cmp_eq_u16_e32 vcc_lo, 44, v62
	s_cbranch_vccz .LBB55_545
; %bb.544:
	global_load_u8 v2, v[4:5], off
	s_mov_b32 s33, 0
	s_mov_b32 s2, -1
	s_mov_b64 s[0:1], 0
	s_waitcnt vmcnt(0)
	v_cmp_ne_u32_e32 vcc_lo, 0xff, v2
	v_lshlrev_b32_e32 v0, 23, v2
	s_delay_alu instid0(VALU_DEP_1) | instskip(NEXT) | instid1(VALU_DEP_1)
	v_cvt_f64_f32_e32 v[0:1], v0
	v_cndmask_b32_e32 v1, 0x7ff80000, v1, vcc_lo
	s_delay_alu instid0(VALU_DEP_2) | instskip(SKIP_1) | instid1(VALU_DEP_3)
	v_cndmask_b32_e32 v0, 0x20000000, v0, vcc_lo
	v_cmp_ne_u32_e32 vcc_lo, 0, v2
	v_cndmask_b32_e32 v1, 0x38000000, v1, vcc_lo
	s_delay_alu instid0(VALU_DEP_3)
	v_cndmask_b32_e32 v0, 0, v0, vcc_lo
	s_branch .LBB55_546
.LBB55_545:
	s_mov_b32 s33, -1
                                        ; implicit-def: $sgpr0_sgpr1
                                        ; implicit-def: $vgpr0_vgpr1
.LBB55_546:
	v_dual_mov_b32 v3, s1 :: v_dual_mov_b32 v2, s0
.LBB55_547:
	s_mov_b32 s0, 0
.LBB55_548:
	s_delay_alu instid0(SALU_CYCLE_1)
	s_and_b32 vcc_lo, exec_lo, s0
	s_cbranch_vccz .LBB55_553
; %bb.549:
	v_cmp_eq_u16_e32 vcc_lo, 29, v62
	s_cbranch_vccz .LBB55_551
; %bb.550:
	global_load_b64 v[0:1], v[4:5], off
	s_mov_b32 s2, -1
	s_mov_b32 s33, 0
	s_mov_b64 s[0:1], 0
	s_waitcnt vmcnt(0)
	v_cvt_f64_u32_e32 v[1:2], v1
	v_cvt_f64_u32_e32 v[6:7], v0
	s_delay_alu instid0(VALU_DEP_2) | instskip(NEXT) | instid1(VALU_DEP_1)
	v_ldexp_f64 v[1:2], v[1:2], 32
	v_add_f64 v[0:1], v[1:2], v[6:7]
	s_branch .LBB55_552
.LBB55_551:
	s_mov_b32 s33, -1
                                        ; implicit-def: $sgpr0_sgpr1
                                        ; implicit-def: $vgpr0_vgpr1
.LBB55_552:
	v_dual_mov_b32 v3, s1 :: v_dual_mov_b32 v2, s0
.LBB55_553:
	s_mov_b32 s0, 0
.LBB55_554:
	s_delay_alu instid0(SALU_CYCLE_1)
	s_and_b32 vcc_lo, exec_lo, s0
	s_cbranch_vccz .LBB55_574
; %bb.555:
	v_cmp_gt_i16_e32 vcc_lo, 27, v62
	s_cbranch_vccnz .LBB55_558
; %bb.556:
	v_cmp_lt_i16_e32 vcc_lo, 27, v62
	s_cbranch_vccz .LBB55_559
; %bb.557:
	global_load_b32 v0, v[4:5], off
	s_mov_b32 s2, 0
	s_mov_b64 s[0:1], 0
	s_waitcnt vmcnt(0)
	v_cvt_f64_u32_e32 v[0:1], v0
	s_branch .LBB55_560
.LBB55_558:
	s_mov_b32 s2, -1
                                        ; implicit-def: $sgpr0_sgpr1
                                        ; implicit-def: $vgpr0_vgpr1
	s_branch .LBB55_563
.LBB55_559:
	s_mov_b32 s2, -1
                                        ; implicit-def: $sgpr0_sgpr1
                                        ; implicit-def: $vgpr0_vgpr1
.LBB55_560:
	s_delay_alu instid0(SALU_CYCLE_1)
	s_and_not1_b32 vcc_lo, exec_lo, s2
	s_cbranch_vccnz .LBB55_562
; %bb.561:
	global_load_u16 v0, v[4:5], off
	s_mov_b64 s[0:1], 0
	s_waitcnt vmcnt(0)
	v_cvt_f64_u32_e32 v[0:1], v0
.LBB55_562:
	s_mov_b32 s2, 0
.LBB55_563:
	v_dual_mov_b32 v3, s1 :: v_dual_mov_b32 v2, s0
	s_and_not1_b32 vcc_lo, exec_lo, s2
	s_cbranch_vccnz .LBB55_573
; %bb.564:
	global_load_u8 v6, v[4:5], off
	s_mov_b32 s4, 0
	s_mov_b32 s5, exec_lo
                                        ; implicit-def: $sgpr0_sgpr1
                                        ; implicit-def: $sgpr2_sgpr3
	s_waitcnt vmcnt(0)
	v_cmpx_lt_i16_e32 0x7f, v6
	s_xor_b32 s5, exec_lo, s5
	s_cbranch_execz .LBB55_568
; %bb.565:
	s_mov_b32 s4, -1
	s_mov_b32 s6, exec_lo
                                        ; implicit-def: $sgpr0_sgpr1
                                        ; implicit-def: $sgpr2_sgpr3
	v_cmpx_eq_u16_e32 0x80, v6
; %bb.566:
	s_mov_b64 s[0:1], 0
	s_mov_b32 s3, 0x7ff80000
	s_brev_b32 s2, 4
	s_xor_b32 s4, exec_lo, -1
; %bb.567:
	s_or_b32 exec_lo, exec_lo, s6
	s_delay_alu instid0(SALU_CYCLE_1)
	s_and_b32 s4, s4, exec_lo
.LBB55_568:
	s_or_saveexec_b32 s5, s5
	v_dual_mov_b32 v3, s1 :: v_dual_mov_b32 v2, s0
	v_dual_mov_b32 v0, s2 :: v_dual_mov_b32 v1, s3
	s_xor_b32 exec_lo, exec_lo, s5
; %bb.569:
	v_mov_b32_e32 v2, 0
	v_mov_b32_e32 v3, 0
	v_cmp_ne_u16_e32 vcc_lo, 0, v6
	s_delay_alu instid0(VALU_DEP_3) | instskip(SKIP_1) | instid1(VALU_DEP_3)
	v_mov_b32_e32 v0, v2
	s_and_not1_b32 s0, s4, exec_lo
	v_mov_b32_e32 v1, v3
	s_and_b32 s1, vcc_lo, exec_lo
	s_delay_alu instid0(SALU_CYCLE_1)
	s_or_b32 s4, s0, s1
; %bb.570:
	s_or_b32 exec_lo, exec_lo, s5
	s_and_saveexec_b32 s0, s4
	s_cbranch_execz .LBB55_572
; %bb.571:
	v_and_b32_e32 v0, 0xffff, v6
	v_lshlrev_b32_e32 v6, 24, v6
	s_delay_alu instid0(VALU_DEP_2) | instskip(NEXT) | instid1(VALU_DEP_1)
	v_and_b32_e32 v1, 7, v0
	v_clz_i32_u32_e32 v2, v1
	s_delay_alu instid0(VALU_DEP_1) | instskip(NEXT) | instid1(VALU_DEP_1)
	v_min_u32_e32 v2, 32, v2
	v_subrev_nc_u32_e32 v3, 28, v2
	v_sub_nc_u32_e32 v2, 29, v2
	s_delay_alu instid0(VALU_DEP_2) | instskip(SKIP_1) | instid1(VALU_DEP_2)
	v_lshlrev_b32_e32 v3, v3, v0
	v_bfe_u32 v0, v0, 3, 4
	v_and_b32_e32 v3, 7, v3
	s_delay_alu instid0(VALU_DEP_2) | instskip(NEXT) | instid1(VALU_DEP_2)
	v_cmp_eq_u32_e32 vcc_lo, 0, v0
	v_dual_cndmask_b32 v0, v0, v2 :: v_dual_cndmask_b32 v1, v1, v3
	v_and_b32_e32 v2, 0x80000000, v6
	s_delay_alu instid0(VALU_DEP_2) | instskip(NEXT) | instid1(VALU_DEP_3)
	v_lshl_add_u32 v0, v0, 23, 0x3b800000
	v_lshlrev_b32_e32 v1, 20, v1
	s_delay_alu instid0(VALU_DEP_1) | instskip(SKIP_2) | instid1(VALU_DEP_3)
	v_or3_b32 v0, v2, v0, v1
	v_mov_b32_e32 v2, 0
	v_mov_b32_e32 v3, 0
	v_cvt_f64_f32_e32 v[0:1], v0
.LBB55_572:
	s_or_b32 exec_lo, exec_lo, s0
.LBB55_573:
	s_mov_b32 s2, -1
.LBB55_574:
	s_mov_b32 s0, 0
.LBB55_575:
	s_delay_alu instid0(SALU_CYCLE_1)
	s_and_b32 vcc_lo, exec_lo, s0
	s_cbranch_vccz .LBB55_609
; %bb.576:
	v_cmp_lt_i16_e32 vcc_lo, 22, v62
	s_cbranch_vccz .LBB55_588
; %bb.577:
	v_cmp_gt_i16_e32 vcc_lo, 24, v62
	s_cbranch_vccnz .LBB55_589
; %bb.578:
	v_cmp_lt_i16_e32 vcc_lo, 24, v62
	s_cbranch_vccz .LBB55_590
; %bb.579:
	global_load_u8 v6, v[4:5], off
	s_mov_b32 s4, 0
	s_mov_b32 s5, exec_lo
                                        ; implicit-def: $sgpr0_sgpr1
                                        ; implicit-def: $sgpr2_sgpr3
	s_waitcnt vmcnt(0)
	v_cmpx_lt_i16_e32 0x7f, v6
	s_xor_b32 s5, exec_lo, s5
	s_cbranch_execz .LBB55_583
; %bb.580:
	s_mov_b32 s4, -1
	s_mov_b32 s6, exec_lo
                                        ; implicit-def: $sgpr0_sgpr1
                                        ; implicit-def: $sgpr2_sgpr3
	v_cmpx_eq_u16_e32 0x80, v6
; %bb.581:
	s_mov_b64 s[0:1], 0
	s_mov_b32 s3, 0x7ff80000
	s_brev_b32 s2, 4
	s_xor_b32 s4, exec_lo, -1
; %bb.582:
	s_or_b32 exec_lo, exec_lo, s6
	s_delay_alu instid0(SALU_CYCLE_1)
	s_and_b32 s4, s4, exec_lo
.LBB55_583:
	s_or_saveexec_b32 s5, s5
	v_dual_mov_b32 v3, s1 :: v_dual_mov_b32 v2, s0
	v_dual_mov_b32 v0, s2 :: v_dual_mov_b32 v1, s3
	s_xor_b32 exec_lo, exec_lo, s5
; %bb.584:
	v_mov_b32_e32 v2, 0
	v_mov_b32_e32 v3, 0
	v_cmp_ne_u16_e32 vcc_lo, 0, v6
	s_delay_alu instid0(VALU_DEP_3) | instskip(SKIP_1) | instid1(VALU_DEP_3)
	v_mov_b32_e32 v0, v2
	s_and_not1_b32 s0, s4, exec_lo
	v_mov_b32_e32 v1, v3
	s_and_b32 s1, vcc_lo, exec_lo
	s_delay_alu instid0(SALU_CYCLE_1)
	s_or_b32 s4, s0, s1
; %bb.585:
	s_or_b32 exec_lo, exec_lo, s5
	s_and_saveexec_b32 s0, s4
	s_cbranch_execz .LBB55_587
; %bb.586:
	v_and_b32_e32 v0, 0xffff, v6
	v_lshlrev_b32_e32 v6, 24, v6
	s_delay_alu instid0(VALU_DEP_2) | instskip(NEXT) | instid1(VALU_DEP_1)
	v_and_b32_e32 v1, 3, v0
	v_clz_i32_u32_e32 v2, v1
	s_delay_alu instid0(VALU_DEP_1) | instskip(NEXT) | instid1(VALU_DEP_1)
	v_min_u32_e32 v2, 32, v2
	v_subrev_nc_u32_e32 v3, 29, v2
	v_sub_nc_u32_e32 v2, 30, v2
	s_delay_alu instid0(VALU_DEP_2) | instskip(SKIP_1) | instid1(VALU_DEP_2)
	v_lshlrev_b32_e32 v3, v3, v0
	v_bfe_u32 v0, v0, 2, 5
	v_and_b32_e32 v3, 3, v3
	s_delay_alu instid0(VALU_DEP_2) | instskip(NEXT) | instid1(VALU_DEP_2)
	v_cmp_eq_u32_e32 vcc_lo, 0, v0
	v_dual_cndmask_b32 v0, v0, v2 :: v_dual_cndmask_b32 v1, v1, v3
	v_and_b32_e32 v2, 0x80000000, v6
	s_delay_alu instid0(VALU_DEP_2) | instskip(NEXT) | instid1(VALU_DEP_3)
	v_lshl_add_u32 v0, v0, 23, 0x37800000
	v_lshlrev_b32_e32 v1, 21, v1
	s_delay_alu instid0(VALU_DEP_1) | instskip(SKIP_2) | instid1(VALU_DEP_3)
	v_or3_b32 v0, v2, v0, v1
	v_mov_b32_e32 v2, 0
	v_mov_b32_e32 v3, 0
	v_cvt_f64_f32_e32 v[0:1], v0
.LBB55_587:
	s_or_b32 exec_lo, exec_lo, s0
	s_mov_b32 s0, 0
	s_branch .LBB55_591
.LBB55_588:
	s_mov_b32 s0, -1
                                        ; implicit-def: $vgpr2_vgpr3
	s_branch .LBB55_597
.LBB55_589:
	s_mov_b32 s0, -1
                                        ; implicit-def: $vgpr2_vgpr3
	s_branch .LBB55_594
.LBB55_590:
	s_mov_b32 s0, -1
                                        ; implicit-def: $vgpr2_vgpr3
.LBB55_591:
	s_delay_alu instid0(SALU_CYCLE_1)
	s_and_b32 vcc_lo, exec_lo, s0
	s_cbranch_vccz .LBB55_593
; %bb.592:
	global_load_u8 v0, v[4:5], off
	s_waitcnt vmcnt(0)
	v_lshlrev_b32_e32 v0, 24, v0
	s_delay_alu instid0(VALU_DEP_1) | instskip(NEXT) | instid1(VALU_DEP_1)
	v_and_b32_e32 v1, 0x7f000000, v0
	v_clz_i32_u32_e32 v2, v1
	v_add_nc_u32_e32 v6, 0x1000000, v1
	v_cmp_ne_u32_e32 vcc_lo, 0, v1
	s_delay_alu instid0(VALU_DEP_3) | instskip(NEXT) | instid1(VALU_DEP_1)
	v_min_u32_e32 v2, 32, v2
	v_sub_nc_u32_e64 v2, v2, 4 clamp
	s_delay_alu instid0(VALU_DEP_1) | instskip(SKIP_1) | instid1(VALU_DEP_2)
	v_lshlrev_b32_e32 v3, v2, v1
	v_lshlrev_b32_e32 v2, 23, v2
	v_lshrrev_b32_e32 v3, 4, v3
	s_delay_alu instid0(VALU_DEP_1) | instskip(SKIP_1) | instid1(VALU_DEP_2)
	v_sub_nc_u32_e32 v2, v3, v2
	v_ashrrev_i32_e32 v3, 8, v6
	v_add_nc_u32_e32 v2, 0x3c000000, v2
	s_delay_alu instid0(VALU_DEP_1) | instskip(NEXT) | instid1(VALU_DEP_1)
	v_and_or_b32 v2, 0x7f800000, v3, v2
	v_dual_cndmask_b32 v1, 0, v2 :: v_dual_mov_b32 v2, 0
	v_mov_b32_e32 v3, 0
	s_delay_alu instid0(VALU_DEP_2) | instskip(NEXT) | instid1(VALU_DEP_1)
	v_and_or_b32 v0, 0x80000000, v0, v1
	v_cvt_f64_f32_e32 v[0:1], v0
.LBB55_593:
	s_mov_b32 s0, 0
.LBB55_594:
	s_delay_alu instid0(SALU_CYCLE_1)
	s_and_not1_b32 vcc_lo, exec_lo, s0
	s_cbranch_vccnz .LBB55_596
; %bb.595:
	global_load_u8 v0, v[4:5], off
	s_waitcnt vmcnt(0)
	v_lshlrev_b32_e32 v1, 25, v0
	v_lshlrev_b16 v0, 8, v0
	s_delay_alu instid0(VALU_DEP_2) | instskip(NEXT) | instid1(VALU_DEP_2)
	v_lshrrev_b32_e32 v2, 4, v1
	v_and_or_b32 v3, 0x7f00, v0, 0.5
	v_bfe_i32 v0, v0, 0, 16
	s_delay_alu instid0(VALU_DEP_3) | instskip(NEXT) | instid1(VALU_DEP_1)
	v_or_b32_e32 v2, 0x70000000, v2
	v_dual_add_f32 v3, -0.5, v3 :: v_dual_mul_f32 v2, 0x7800000, v2
	v_cmp_gt_u32_e32 vcc_lo, 0x8000000, v1
	s_delay_alu instid0(VALU_DEP_2) | instskip(SKIP_1) | instid1(VALU_DEP_2)
	v_dual_cndmask_b32 v1, v2, v3 :: v_dual_mov_b32 v2, 0
	v_mov_b32_e32 v3, 0
	v_and_or_b32 v0, 0x80000000, v0, v1
	s_delay_alu instid0(VALU_DEP_1)
	v_cvt_f64_f32_e32 v[0:1], v0
.LBB55_596:
	s_mov_b32 s0, 0
	s_mov_b32 s2, -1
.LBB55_597:
	s_and_not1_b32 vcc_lo, exec_lo, s0
	s_cbranch_vccnz .LBB55_609
; %bb.598:
	v_cmp_lt_i16_e32 vcc_lo, 14, v62
	s_cbranch_vccz .LBB55_601
; %bb.599:
	v_cmp_eq_u16_e32 vcc_lo, 15, v62
	s_cbranch_vccz .LBB55_602
; %bb.600:
	global_load_u16 v0, v[4:5], off
	s_mov_b32 s2, -1
	s_mov_b32 s33, 0
	s_mov_b64 s[0:1], 0
	s_waitcnt vmcnt(0)
	v_lshlrev_b32_e32 v0, 16, v0
	s_delay_alu instid0(VALU_DEP_1)
	v_cvt_f64_f32_e32 v[0:1], v0
	s_branch .LBB55_603
.LBB55_601:
	s_mov_b32 s3, -1
                                        ; implicit-def: $sgpr0_sgpr1
                                        ; implicit-def: $vgpr0_vgpr1
	s_branch .LBB55_604
.LBB55_602:
	s_mov_b32 s33, -1
                                        ; implicit-def: $sgpr0_sgpr1
                                        ; implicit-def: $vgpr0_vgpr1
.LBB55_603:
	s_mov_b32 s3, 0
.LBB55_604:
	s_delay_alu instid0(SALU_CYCLE_1)
	s_and_b32 vcc_lo, exec_lo, s3
	s_cbranch_vccz .LBB55_608
; %bb.605:
	v_cmp_eq_u16_e32 vcc_lo, 11, v62
	s_cbranch_vccz .LBB55_607
; %bb.606:
	global_load_u8 v0, v[4:5], off
	s_mov_b32 s33, 0
	s_mov_b32 s2, -1
	s_mov_b64 s[0:1], 0
	s_waitcnt vmcnt(0)
	v_cmp_ne_u16_e32 vcc_lo, 0, v0
	v_mov_b32_e32 v0, 0
	v_cndmask_b32_e64 v1, 0, 0x3ff00000, vcc_lo
	s_branch .LBB55_608
.LBB55_607:
	s_mov_b32 s33, -1
                                        ; implicit-def: $sgpr0_sgpr1
                                        ; implicit-def: $vgpr0_vgpr1
.LBB55_608:
	v_dual_mov_b32 v3, s1 :: v_dual_mov_b32 v2, s0
.LBB55_609:
	s_mov_b32 s0, 0
.LBB55_610:
	s_delay_alu instid0(SALU_CYCLE_1)
	s_and_b32 vcc_lo, exec_lo, s0
	s_cbranch_vccz .LBB55_661
; %bb.611:
	v_cmp_gt_i16_e32 vcc_lo, 5, v62
	s_cbranch_vccnz .LBB55_616
; %bb.612:
	v_cmp_gt_i16_e32 vcc_lo, 8, v62
	s_cbranch_vccnz .LBB55_617
; %bb.613:
	v_cmp_gt_i16_e32 vcc_lo, 9, v62
	s_cbranch_vccnz .LBB55_618
; %bb.614:
	v_cmp_lt_i16_e32 vcc_lo, 9, v62
	s_cbranch_vccz .LBB55_619
; %bb.615:
	global_load_b128 v[0:3], v[4:5], off
	s_mov_b32 s0, 0
	s_branch .LBB55_620
.LBB55_616:
	s_mov_b32 s0, -1
                                        ; implicit-def: $vgpr2_vgpr3
	s_branch .LBB55_639
.LBB55_617:
	s_mov_b32 s0, -1
                                        ; implicit-def: $vgpr2_vgpr3
	s_branch .LBB55_626
.LBB55_618:
	s_mov_b32 s0, -1
                                        ; implicit-def: $vgpr2_vgpr3
	s_branch .LBB55_623
.LBB55_619:
	s_mov_b32 s0, -1
                                        ; implicit-def: $vgpr2_vgpr3
.LBB55_620:
	s_delay_alu instid0(SALU_CYCLE_1)
	s_and_not1_b32 vcc_lo, exec_lo, s0
	s_cbranch_vccnz .LBB55_622
; %bb.621:
	global_load_b64 v[1:2], v[4:5], off
	s_waitcnt vmcnt(0)
	v_cvt_f64_f32_e32 v[0:1], v1
	v_cvt_f64_f32_e32 v[2:3], v2
.LBB55_622:
	s_mov_b32 s0, 0
.LBB55_623:
	s_delay_alu instid0(SALU_CYCLE_1)
	s_and_not1_b32 vcc_lo, exec_lo, s0
	s_cbranch_vccnz .LBB55_625
; %bb.624:
	global_load_b32 v0, v[4:5], off
	s_waitcnt vmcnt(0)
	v_lshrrev_b32_e32 v1, 16, v0
	v_cvt_f32_f16_e32 v0, v0
	s_delay_alu instid0(VALU_DEP_2) | instskip(NEXT) | instid1(VALU_DEP_2)
	v_cvt_f32_f16_e32 v2, v1
	v_cvt_f64_f32_e32 v[0:1], v0
	s_delay_alu instid0(VALU_DEP_2)
	v_cvt_f64_f32_e32 v[2:3], v2
.LBB55_625:
	s_mov_b32 s0, 0
.LBB55_626:
	s_delay_alu instid0(SALU_CYCLE_1)
	s_and_not1_b32 vcc_lo, exec_lo, s0
	s_cbranch_vccnz .LBB55_638
; %bb.627:
	v_cmp_gt_i16_e32 vcc_lo, 6, v62
	s_cbranch_vccnz .LBB55_630
; %bb.628:
	v_cmp_lt_i16_e32 vcc_lo, 6, v62
	s_cbranch_vccz .LBB55_631
; %bb.629:
	global_load_b64 v[0:1], v[4:5], off
	s_mov_b32 s2, 0
	s_mov_b64 s[0:1], 0
	s_branch .LBB55_632
.LBB55_630:
	s_mov_b32 s2, -1
                                        ; implicit-def: $sgpr0_sgpr1
                                        ; implicit-def: $vgpr0_vgpr1
	s_branch .LBB55_635
.LBB55_631:
	s_mov_b32 s2, -1
                                        ; implicit-def: $sgpr0_sgpr1
                                        ; implicit-def: $vgpr0_vgpr1
.LBB55_632:
	s_delay_alu instid0(SALU_CYCLE_1)
	s_and_not1_b32 vcc_lo, exec_lo, s2
	s_cbranch_vccnz .LBB55_634
; %bb.633:
	global_load_b32 v0, v[4:5], off
	s_mov_b64 s[0:1], 0
	s_waitcnt vmcnt(0)
	v_cvt_f64_f32_e32 v[0:1], v0
.LBB55_634:
	s_mov_b32 s2, 0
.LBB55_635:
	s_delay_alu instid0(SALU_CYCLE_1)
	s_and_not1_b32 vcc_lo, exec_lo, s2
	s_cbranch_vccnz .LBB55_637
; %bb.636:
	global_load_u16 v0, v[4:5], off
	s_mov_b64 s[0:1], 0
	s_waitcnt vmcnt(0)
	v_cvt_f32_f16_e32 v0, v0
	s_delay_alu instid0(VALU_DEP_1)
	v_cvt_f64_f32_e32 v[0:1], v0
.LBB55_637:
	s_waitcnt vmcnt(0)
	v_dual_mov_b32 v3, s1 :: v_dual_mov_b32 v2, s0
.LBB55_638:
	s_mov_b32 s0, 0
.LBB55_639:
	s_delay_alu instid0(SALU_CYCLE_1)
	s_and_not1_b32 vcc_lo, exec_lo, s0
	s_cbranch_vccnz .LBB55_660
; %bb.640:
	v_cmp_gt_i16_e32 vcc_lo, 2, v62
	s_cbranch_vccnz .LBB55_644
; %bb.641:
	v_cmp_gt_i16_e32 vcc_lo, 3, v62
	s_cbranch_vccnz .LBB55_645
; %bb.642:
	v_cmp_lt_i16_e32 vcc_lo, 3, v62
	s_cbranch_vccz .LBB55_646
; %bb.643:
	global_load_b64 v[0:1], v[4:5], off
	s_mov_b32 s2, 0
	s_mov_b64 s[0:1], 0
	s_waitcnt vmcnt(0)
	v_cvt_f64_i32_e32 v[1:2], v1
	v_cvt_f64_u32_e32 v[6:7], v0
	s_delay_alu instid0(VALU_DEP_2) | instskip(NEXT) | instid1(VALU_DEP_1)
	v_ldexp_f64 v[1:2], v[1:2], 32
	v_add_f64 v[0:1], v[1:2], v[6:7]
	s_branch .LBB55_647
.LBB55_644:
	s_mov_b32 s2, -1
                                        ; implicit-def: $sgpr0_sgpr1
                                        ; implicit-def: $vgpr0_vgpr1
	s_branch .LBB55_653
.LBB55_645:
	s_mov_b32 s2, -1
                                        ; implicit-def: $sgpr0_sgpr1
                                        ; implicit-def: $vgpr0_vgpr1
	s_branch .LBB55_650
.LBB55_646:
	s_mov_b32 s2, -1
                                        ; implicit-def: $sgpr0_sgpr1
                                        ; implicit-def: $vgpr0_vgpr1
.LBB55_647:
	s_delay_alu instid0(SALU_CYCLE_1)
	s_and_not1_b32 vcc_lo, exec_lo, s2
	s_cbranch_vccnz .LBB55_649
; %bb.648:
	global_load_b32 v0, v[4:5], off
	s_mov_b64 s[0:1], 0
	s_waitcnt vmcnt(0)
	v_cvt_f64_i32_e32 v[0:1], v0
.LBB55_649:
	s_mov_b32 s2, 0
.LBB55_650:
	s_delay_alu instid0(SALU_CYCLE_1)
	s_and_not1_b32 vcc_lo, exec_lo, s2
	s_cbranch_vccnz .LBB55_652
; %bb.651:
	global_load_i16 v0, v[4:5], off
	s_mov_b64 s[0:1], 0
	s_waitcnt vmcnt(0)
	v_cvt_f64_i32_e32 v[0:1], v0
.LBB55_652:
	s_mov_b32 s2, 0
.LBB55_653:
	s_delay_alu instid0(SALU_CYCLE_1)
	s_and_not1_b32 vcc_lo, exec_lo, s2
	s_cbranch_vccnz .LBB55_659
; %bb.654:
	v_cmp_lt_i16_e32 vcc_lo, 0, v62
	s_mov_b32 s2, 0
	s_cbranch_vccz .LBB55_656
; %bb.655:
	global_load_i8 v0, v[4:5], off
	s_mov_b64 s[0:1], 0
	s_waitcnt vmcnt(0)
	v_cvt_f64_i32_e32 v[0:1], v0
	s_branch .LBB55_657
.LBB55_656:
	s_mov_b32 s2, -1
                                        ; implicit-def: $sgpr0_sgpr1
                                        ; implicit-def: $vgpr0_vgpr1
.LBB55_657:
	s_delay_alu instid0(SALU_CYCLE_1)
	s_and_not1_b32 vcc_lo, exec_lo, s2
	s_cbranch_vccnz .LBB55_659
; %bb.658:
	global_load_u8 v0, v[4:5], off
	s_mov_b64 s[0:1], 0
	s_waitcnt vmcnt(0)
	v_cvt_f64_u32_e32 v[0:1], v0
.LBB55_659:
	s_waitcnt vmcnt(0)
	v_dual_mov_b32 v3, s1 :: v_dual_mov_b32 v2, s0
.LBB55_660:
	s_mov_b32 s2, -1
.LBB55_661:
	s_delay_alu instid0(SALU_CYCLE_1)
	s_and_not1_b32 vcc_lo, exec_lo, s2
	s_cbranch_vccnz .LBB55_669
; %bb.662:
	s_getpc_b64 s[0:1]
	s_add_u32 s0, s0, _ZZZZN2at6native15exp_kernel_cudaERNS_18TensorIteratorBaseEENKUlvE_clEvENKUlvE_clEvENKUlN3c107complexIdEEE_clES7_@rel32@lo+4
	s_addc_u32 s1, s1, _ZZZZN2at6native15exp_kernel_cudaERNS_18TensorIteratorBaseEENKUlvE_clEvENKUlvE_clEvENKUlN3c107complexIdEEE_clES7_@rel32@hi+12
	s_delay_alu instid0(SALU_CYCLE_1) | instskip(SKIP_2) | instid1(VALU_DEP_1)
	s_swappc_b64 s[30:31], s[0:1]
	v_mul_lo_u32 v4, v61, s20
	v_and_b32_e32 v6, 0xff, v60
	v_cmp_gt_i16_e32 vcc_lo, 11, v6
	s_delay_alu instid0(VALU_DEP_3) | instskip(SKIP_1) | instid1(VALU_DEP_1)
	v_ashrrev_i32_e32 v5, 31, v4
	v_add_co_u32 v4, s0, s16, v4
	v_add_co_ci_u32_e64 v5, s0, s17, v5, s0
	s_cbranch_vccnz .LBB55_670
; %bb.663:
	v_cmp_lt_i16_e32 vcc_lo, 25, v6
	s_cbranch_vccz .LBB55_671
; %bb.664:
	v_cmp_lt_i16_e32 vcc_lo, 28, v6
	s_cbranch_vccz .LBB55_672
	;; [unrolled: 3-line block ×4, first 2 shown]
; %bb.667:
	v_cmp_eq_u16_e32 vcc_lo, 46, v6
	s_mov_b32 s2, 0
	s_mov_b32 s0, -1
	s_mov_b32 s1, 0
	s_cbranch_vccz .LBB55_675
; %bb.668:
	v_cvt_f32_f64_e32 v7, v[2:3]
	v_cvt_f32_f64_e32 v8, v[0:1]
	s_mov_b32 s1, -1
	s_mov_b32 s0, 0
	s_delay_alu instid0(VALU_DEP_2) | instskip(NEXT) | instid1(VALU_DEP_2)
	v_bfe_u32 v9, v7, 16, 1
	v_bfe_u32 v10, v8, 16, 1
	v_cmp_o_f32_e32 vcc_lo, v7, v7
	s_delay_alu instid0(VALU_DEP_3) | instskip(NEXT) | instid1(VALU_DEP_3)
	v_add3_u32 v9, v7, v9, 0x7fff
	v_add3_u32 v10, v8, v10, 0x7fff
	s_delay_alu instid0(VALU_DEP_2) | instskip(NEXT) | instid1(VALU_DEP_2)
	v_and_b32_e32 v9, 0xffff0000, v9
	v_lshrrev_b32_e32 v10, 16, v10
	s_delay_alu instid0(VALU_DEP_2) | instskip(SKIP_1) | instid1(VALU_DEP_3)
	v_cndmask_b32_e32 v7, 0x7fc00000, v9, vcc_lo
	v_cmp_o_f32_e32 vcc_lo, v8, v8
	v_cndmask_b32_e32 v8, 0x7fc0, v10, vcc_lo
	s_delay_alu instid0(VALU_DEP_1)
	v_or_b32_e32 v7, v7, v8
	global_store_b32 v[4:5], v7, off
	s_branch .LBB55_675
.LBB55_669:
	s_mov_b32 s1, 0
	s_mov_b32 s0, s27
	s_branch .LBB55_786
.LBB55_670:
	s_mov_b32 s2, -1
	s_mov_b32 s1, 0
	s_mov_b32 s0, s27
	s_branch .LBB55_744
.LBB55_671:
	s_mov_b32 s2, -1
	s_mov_b32 s1, 0
	s_mov_b32 s0, s27
	s_branch .LBB55_702
.LBB55_672:
	s_mov_b32 s2, -1
	s_mov_b32 s1, 0
	s_mov_b32 s0, s27
	s_branch .LBB55_685
.LBB55_673:
	s_mov_b32 s2, -1
	s_mov_b32 s1, 0
	s_mov_b32 s0, s27
	s_branch .LBB55_681
.LBB55_674:
	s_mov_b32 s2, -1
	s_mov_b32 s1, 0
	s_mov_b32 s0, s27
.LBB55_675:
	s_and_b32 vcc_lo, exec_lo, s2
	s_cbranch_vccz .LBB55_680
; %bb.676:
	v_cmp_eq_u16_e32 vcc_lo, 44, v6
	s_mov_b32 s0, -1
	s_cbranch_vccz .LBB55_680
; %bb.677:
	v_cvt_f32_f64_e32 v7, v[0:1]
	v_mov_b32_e32 v8, 0xff
	s_mov_b32 s1, exec_lo
	s_delay_alu instid0(VALU_DEP_2) | instskip(NEXT) | instid1(VALU_DEP_1)
	v_bfe_u32 v9, v7, 23, 8
	v_cmpx_ne_u32_e32 0xff, v9
; %bb.678:
	v_and_b32_e32 v8, 0x400000, v7
	v_and_or_b32 v9, 0x3fffff, v7, v9
	v_lshrrev_b32_e32 v7, 23, v7
	s_delay_alu instid0(VALU_DEP_3) | instskip(NEXT) | instid1(VALU_DEP_3)
	v_cmp_ne_u32_e32 vcc_lo, 0, v8
	v_cmp_ne_u32_e64 s0, 0, v9
	s_delay_alu instid0(VALU_DEP_1) | instskip(NEXT) | instid1(SALU_CYCLE_1)
	s_and_b32 s0, vcc_lo, s0
	v_cndmask_b32_e64 v8, 0, 1, s0
	s_delay_alu instid0(VALU_DEP_1)
	v_add_nc_u32_e32 v8, v7, v8
; %bb.679:
	s_or_b32 exec_lo, exec_lo, s1
	s_mov_b32 s1, -1
	s_mov_b32 s0, 0
	global_store_b8 v[4:5], v8, off
.LBB55_680:
	s_mov_b32 s2, 0
.LBB55_681:
	s_delay_alu instid0(SALU_CYCLE_1)
	s_and_b32 vcc_lo, exec_lo, s2
	s_cbranch_vccz .LBB55_684
; %bb.682:
	v_cmp_eq_u16_e32 vcc_lo, 29, v6
	s_mov_b32 s0, -1
	s_cbranch_vccz .LBB55_684
; %bb.683:
	v_trunc_f64_e32 v[7:8], v[0:1]
	s_mov_b32 s1, -1
	s_mov_b32 s0, 0
	s_mov_b32 s2, 0
	s_delay_alu instid0(VALU_DEP_1) | instskip(NEXT) | instid1(VALU_DEP_1)
	v_ldexp_f64 v[9:10], v[7:8], 0xffffffe0
	v_floor_f64_e32 v[9:10], v[9:10]
	s_delay_alu instid0(VALU_DEP_1) | instskip(SKIP_1) | instid1(VALU_DEP_2)
	v_fma_f64 v[7:8], 0xc1f00000, v[9:10], v[7:8]
	v_cvt_u32_f64_e32 v9, v[9:10]
	v_cvt_u32_f64_e32 v8, v[7:8]
	global_store_b64 v[4:5], v[8:9], off
	s_branch .LBB55_685
.LBB55_684:
	s_mov_b32 s2, 0
.LBB55_685:
	s_delay_alu instid0(SALU_CYCLE_1)
	s_and_b32 vcc_lo, exec_lo, s2
	s_cbranch_vccz .LBB55_701
; %bb.686:
	v_cmp_gt_i16_e32 vcc_lo, 27, v6
	s_mov_b32 s1, -1
	s_cbranch_vccnz .LBB55_692
; %bb.687:
	v_cmp_lt_i16_e32 vcc_lo, 27, v6
	s_cbranch_vccz .LBB55_689
; %bb.688:
	v_cvt_u32_f64_e32 v7, v[0:1]
	s_mov_b32 s1, 0
	global_store_b32 v[4:5], v7, off
.LBB55_689:
	s_and_not1_b32 vcc_lo, exec_lo, s1
	s_cbranch_vccnz .LBB55_691
; %bb.690:
	v_cvt_u32_f64_e32 v7, v[0:1]
	global_store_b16 v[4:5], v7, off
.LBB55_691:
	s_mov_b32 s1, 0
.LBB55_692:
	s_delay_alu instid0(SALU_CYCLE_1)
	s_and_not1_b32 vcc_lo, exec_lo, s1
	s_cbranch_vccnz .LBB55_700
; %bb.693:
	v_cvt_f32_f64_e32 v7, v[0:1]
	v_mov_b32_e32 v9, 0x80
	s_mov_b32 s1, exec_lo
	s_delay_alu instid0(VALU_DEP_2) | instskip(NEXT) | instid1(VALU_DEP_1)
	v_and_b32_e32 v8, 0x7fffffff, v7
	v_cmpx_gt_u32_e32 0x43800000, v8
	s_cbranch_execz .LBB55_699
; %bb.694:
	v_cmp_lt_u32_e32 vcc_lo, 0x3bffffff, v8
	s_mov_b32 s2, 0
                                        ; implicit-def: $vgpr8
	s_and_saveexec_b32 s3, vcc_lo
	s_delay_alu instid0(SALU_CYCLE_1)
	s_xor_b32 s3, exec_lo, s3
	s_cbranch_execz .LBB55_801
; %bb.695:
	v_bfe_u32 v8, v7, 20, 1
	s_mov_b32 s2, exec_lo
	s_delay_alu instid0(VALU_DEP_1) | instskip(NEXT) | instid1(VALU_DEP_1)
	v_add3_u32 v8, v7, v8, 0x487ffff
	v_lshrrev_b32_e32 v8, 20, v8
	s_or_saveexec_b32 s3, s3
                                        ; implicit-def: $sgpr4
	s_delay_alu instid0(SALU_CYCLE_1)
	s_xor_b32 exec_lo, exec_lo, s3
	s_cbranch_execnz .LBB55_802
.LBB55_696:
	s_or_b32 exec_lo, exec_lo, s3
	v_mov_b32_e32 v9, s4
	s_and_saveexec_b32 s3, s2
.LBB55_697:
	v_lshrrev_b32_e32 v7, 24, v7
	s_delay_alu instid0(VALU_DEP_1)
	v_and_or_b32 v9, 0x80, v7, v8
.LBB55_698:
	s_or_b32 exec_lo, exec_lo, s3
.LBB55_699:
	s_delay_alu instid0(SALU_CYCLE_1)
	s_or_b32 exec_lo, exec_lo, s1
	global_store_b8 v[4:5], v9, off
.LBB55_700:
	s_mov_b32 s1, -1
.LBB55_701:
	s_mov_b32 s2, 0
.LBB55_702:
	s_delay_alu instid0(SALU_CYCLE_1)
	s_and_b32 vcc_lo, exec_lo, s2
	s_cbranch_vccz .LBB55_743
; %bb.703:
	v_cmp_lt_i16_e32 vcc_lo, 22, v6
	s_mov_b32 s2, -1
	s_cbranch_vccz .LBB55_735
; %bb.704:
	v_cmp_gt_i16_e32 vcc_lo, 24, v6
	s_mov_b32 s1, -1
	s_cbranch_vccnz .LBB55_724
; %bb.705:
	v_cmp_lt_i16_e32 vcc_lo, 24, v6
	s_cbranch_vccz .LBB55_713
; %bb.706:
	v_cvt_f32_f64_e32 v7, v[0:1]
	v_mov_b32_e32 v9, 0x80
	s_mov_b32 s1, exec_lo
	s_delay_alu instid0(VALU_DEP_2) | instskip(NEXT) | instid1(VALU_DEP_1)
	v_and_b32_e32 v8, 0x7fffffff, v7
	v_cmpx_gt_u32_e32 0x47800000, v8
	s_cbranch_execz .LBB55_712
; %bb.707:
	v_cmp_lt_u32_e32 vcc_lo, 0x37ffffff, v8
	s_mov_b32 s2, 0
                                        ; implicit-def: $vgpr8
	s_and_saveexec_b32 s3, vcc_lo
	s_delay_alu instid0(SALU_CYCLE_1)
	s_xor_b32 s3, exec_lo, s3
	s_cbranch_execz .LBB55_804
; %bb.708:
	v_bfe_u32 v8, v7, 21, 1
	s_mov_b32 s2, exec_lo
	s_delay_alu instid0(VALU_DEP_1) | instskip(NEXT) | instid1(VALU_DEP_1)
	v_add3_u32 v8, v7, v8, 0x88fffff
	v_lshrrev_b32_e32 v8, 21, v8
	s_or_saveexec_b32 s3, s3
                                        ; implicit-def: $sgpr4
	s_delay_alu instid0(SALU_CYCLE_1)
	s_xor_b32 exec_lo, exec_lo, s3
	s_cbranch_execnz .LBB55_805
.LBB55_709:
	s_or_b32 exec_lo, exec_lo, s3
	v_mov_b32_e32 v9, s4
	s_and_saveexec_b32 s3, s2
.LBB55_710:
	v_lshrrev_b32_e32 v7, 24, v7
	s_delay_alu instid0(VALU_DEP_1)
	v_and_or_b32 v9, 0x80, v7, v8
.LBB55_711:
	s_or_b32 exec_lo, exec_lo, s3
.LBB55_712:
	s_delay_alu instid0(SALU_CYCLE_1)
	s_or_b32 exec_lo, exec_lo, s1
	s_mov_b32 s1, 0
	global_store_b8 v[4:5], v9, off
.LBB55_713:
	s_and_b32 vcc_lo, exec_lo, s1
	s_cbranch_vccz .LBB55_723
; %bb.714:
	v_cvt_f32_f64_e32 v7, v[0:1]
	s_mov_b32 s1, exec_lo
                                        ; implicit-def: $vgpr8
	s_delay_alu instid0(VALU_DEP_1) | instskip(NEXT) | instid1(VALU_DEP_1)
	v_and_b32_e32 v9, 0x7fffffff, v7
	v_cmpx_gt_u32_e32 0x43f00000, v9
	s_xor_b32 s1, exec_lo, s1
	s_cbranch_execz .LBB55_720
; %bb.715:
	s_mov_b32 s2, exec_lo
                                        ; implicit-def: $vgpr8
	v_cmpx_lt_u32_e32 0x3c7fffff, v9
	s_xor_b32 s2, exec_lo, s2
; %bb.716:
	v_bfe_u32 v8, v7, 20, 1
	s_delay_alu instid0(VALU_DEP_1) | instskip(NEXT) | instid1(VALU_DEP_1)
	v_add3_u32 v8, v7, v8, 0x407ffff
	v_and_b32_e32 v9, 0xff00000, v8
	v_lshrrev_b32_e32 v8, 20, v8
	s_delay_alu instid0(VALU_DEP_2) | instskip(NEXT) | instid1(VALU_DEP_2)
	v_cmp_ne_u32_e32 vcc_lo, 0x7f00000, v9
	v_cndmask_b32_e32 v8, 0x7e, v8, vcc_lo
; %bb.717:
	s_and_not1_saveexec_b32 s2, s2
; %bb.718:
	v_add_f32_e64 v8, 0x46800000, |v7|
; %bb.719:
	s_or_b32 exec_lo, exec_lo, s2
                                        ; implicit-def: $vgpr9
.LBB55_720:
	s_and_not1_saveexec_b32 s1, s1
; %bb.721:
	v_mov_b32_e32 v8, 0x7f
	v_cmp_lt_u32_e32 vcc_lo, 0x7f800000, v9
	s_delay_alu instid0(VALU_DEP_2)
	v_cndmask_b32_e32 v8, 0x7e, v8, vcc_lo
; %bb.722:
	s_or_b32 exec_lo, exec_lo, s1
	v_lshrrev_b32_e32 v7, 24, v7
	s_delay_alu instid0(VALU_DEP_1)
	v_and_or_b32 v7, 0x80, v7, v8
	global_store_b8 v[4:5], v7, off
.LBB55_723:
	s_mov_b32 s1, 0
.LBB55_724:
	s_delay_alu instid0(SALU_CYCLE_1)
	s_and_not1_b32 vcc_lo, exec_lo, s1
	s_cbranch_vccnz .LBB55_734
; %bb.725:
	v_cvt_f32_f64_e32 v7, v[0:1]
	s_mov_b32 s1, exec_lo
                                        ; implicit-def: $vgpr8
	s_delay_alu instid0(VALU_DEP_1) | instskip(NEXT) | instid1(VALU_DEP_1)
	v_and_b32_e32 v9, 0x7fffffff, v7
	v_cmpx_gt_u32_e32 0x47800000, v9
	s_xor_b32 s1, exec_lo, s1
	s_cbranch_execz .LBB55_731
; %bb.726:
	s_mov_b32 s2, exec_lo
                                        ; implicit-def: $vgpr8
	v_cmpx_lt_u32_e32 0x387fffff, v9
	s_xor_b32 s2, exec_lo, s2
; %bb.727:
	v_bfe_u32 v8, v7, 21, 1
	s_delay_alu instid0(VALU_DEP_1) | instskip(NEXT) | instid1(VALU_DEP_1)
	v_add3_u32 v8, v7, v8, 0x80fffff
	v_lshrrev_b32_e32 v8, 21, v8
; %bb.728:
	s_and_not1_saveexec_b32 s2, s2
; %bb.729:
	v_add_f32_e64 v8, 0x43000000, |v7|
; %bb.730:
	s_or_b32 exec_lo, exec_lo, s2
                                        ; implicit-def: $vgpr9
.LBB55_731:
	s_and_not1_saveexec_b32 s1, s1
; %bb.732:
	v_mov_b32_e32 v8, 0x7f
	v_cmp_lt_u32_e32 vcc_lo, 0x7f800000, v9
	s_delay_alu instid0(VALU_DEP_2)
	v_cndmask_b32_e32 v8, 0x7c, v8, vcc_lo
; %bb.733:
	s_or_b32 exec_lo, exec_lo, s1
	v_lshrrev_b32_e32 v7, 24, v7
	s_delay_alu instid0(VALU_DEP_1)
	v_and_or_b32 v7, 0x80, v7, v8
	global_store_b8 v[4:5], v7, off
.LBB55_734:
	s_mov_b32 s2, 0
	s_mov_b32 s1, -1
.LBB55_735:
	s_and_not1_b32 vcc_lo, exec_lo, s2
	s_cbranch_vccnz .LBB55_743
; %bb.736:
	v_cmp_lt_i16_e32 vcc_lo, 14, v6
	s_mov_b32 s2, -1
	s_cbranch_vccz .LBB55_740
; %bb.737:
	v_cmp_eq_u16_e32 vcc_lo, 15, v6
	s_mov_b32 s0, -1
	s_cbranch_vccz .LBB55_739
; %bb.738:
	v_cvt_f32_f64_e32 v7, v[0:1]
	s_mov_b32 s1, -1
	s_mov_b32 s0, 0
	s_delay_alu instid0(VALU_DEP_1) | instskip(SKIP_1) | instid1(VALU_DEP_2)
	v_bfe_u32 v8, v7, 16, 1
	v_cmp_o_f32_e32 vcc_lo, v7, v7
	v_add3_u32 v8, v7, v8, 0x7fff
	s_delay_alu instid0(VALU_DEP_1) | instskip(NEXT) | instid1(VALU_DEP_1)
	v_lshrrev_b32_e32 v8, 16, v8
	v_cndmask_b32_e32 v7, 0x7fc0, v8, vcc_lo
	global_store_b16 v[4:5], v7, off
.LBB55_739:
	s_mov_b32 s2, 0
.LBB55_740:
	s_delay_alu instid0(SALU_CYCLE_1)
	s_and_b32 vcc_lo, exec_lo, s2
	s_cbranch_vccz .LBB55_743
; %bb.741:
	v_cmp_eq_u16_e32 vcc_lo, 11, v6
	s_mov_b32 s0, -1
	s_cbranch_vccz .LBB55_743
; %bb.742:
	v_cmp_neq_f64_e32 vcc_lo, 0, v[0:1]
	v_cmp_neq_f64_e64 s0, 0, v[2:3]
	s_mov_b32 s1, -1
	s_delay_alu instid0(VALU_DEP_1) | instskip(NEXT) | instid1(SALU_CYCLE_1)
	s_or_b32 s0, vcc_lo, s0
	v_cndmask_b32_e64 v7, 0, 1, s0
	s_mov_b32 s0, 0
	global_store_b8 v[4:5], v7, off
.LBB55_743:
	s_mov_b32 s2, 0
.LBB55_744:
	s_delay_alu instid0(SALU_CYCLE_1)
	s_and_b32 vcc_lo, exec_lo, s2
	s_cbranch_vccz .LBB55_783
; %bb.745:
	v_cmp_gt_i16_e32 vcc_lo, 5, v6
	s_mov_b32 s1, -1
	s_cbranch_vccnz .LBB55_766
; %bb.746:
	v_cmp_gt_i16_e32 vcc_lo, 8, v6
	s_cbranch_vccnz .LBB55_756
; %bb.747:
	v_cmp_gt_i16_e32 vcc_lo, 9, v6
	s_cbranch_vccnz .LBB55_753
; %bb.748:
	v_cmp_lt_i16_e32 vcc_lo, 9, v6
	s_cbranch_vccz .LBB55_750
; %bb.749:
	s_mov_b32 s1, 0
	global_store_b128 v[4:5], v[0:3], off
.LBB55_750:
	s_and_not1_b32 vcc_lo, exec_lo, s1
	s_cbranch_vccnz .LBB55_752
; %bb.751:
	v_cvt_f32_f64_e32 v7, v[0:1]
	v_cvt_f32_f64_e32 v8, v[2:3]
	global_store_b64 v[4:5], v[7:8], off
.LBB55_752:
	s_mov_b32 s1, 0
.LBB55_753:
	s_delay_alu instid0(SALU_CYCLE_1)
	s_and_not1_b32 vcc_lo, exec_lo, s1
	s_cbranch_vccnz .LBB55_755
; %bb.754:
	v_cvt_f32_f64_e32 v2, v[2:3]
	v_cvt_f32_f64_e32 v3, v[0:1]
	s_delay_alu instid0(VALU_DEP_2) | instskip(NEXT) | instid1(VALU_DEP_2)
	v_cvt_f16_f32_e32 v2, v2
	v_cvt_f16_f32_e32 v3, v3
	s_delay_alu instid0(VALU_DEP_2) | instskip(NEXT) | instid1(VALU_DEP_2)
	v_lshlrev_b32_e32 v2, 16, v2
	v_and_b32_e32 v3, 0xffff, v3
	s_delay_alu instid0(VALU_DEP_1)
	v_or_b32_e32 v2, v2, v3
	global_store_b32 v[4:5], v2, off
.LBB55_755:
	s_mov_b32 s1, 0
.LBB55_756:
	s_delay_alu instid0(SALU_CYCLE_1)
	s_and_not1_b32 vcc_lo, exec_lo, s1
	s_cbranch_vccnz .LBB55_765
; %bb.757:
	v_cmp_gt_i16_e32 vcc_lo, 6, v6
	s_mov_b32 s1, -1
	s_cbranch_vccnz .LBB55_763
; %bb.758:
	v_cmp_lt_i16_e32 vcc_lo, 6, v6
	s_cbranch_vccz .LBB55_760
; %bb.759:
	s_mov_b32 s1, 0
	global_store_b64 v[4:5], v[0:1], off
.LBB55_760:
	s_and_not1_b32 vcc_lo, exec_lo, s1
	s_cbranch_vccnz .LBB55_762
; %bb.761:
	v_cvt_f32_f64_e32 v2, v[0:1]
	global_store_b32 v[4:5], v2, off
.LBB55_762:
	s_mov_b32 s1, 0
.LBB55_763:
	s_delay_alu instid0(SALU_CYCLE_1)
	s_and_not1_b32 vcc_lo, exec_lo, s1
	s_cbranch_vccnz .LBB55_765
; %bb.764:
	v_cvt_f32_f64_e32 v2, v[0:1]
	s_delay_alu instid0(VALU_DEP_1)
	v_cvt_f16_f32_e32 v2, v2
	global_store_b16 v[4:5], v2, off
.LBB55_765:
	s_mov_b32 s1, 0
.LBB55_766:
	s_delay_alu instid0(SALU_CYCLE_1)
	s_and_not1_b32 vcc_lo, exec_lo, s1
	s_cbranch_vccnz .LBB55_782
; %bb.767:
	v_cmp_gt_i16_e32 vcc_lo, 2, v6
	s_mov_b32 s1, -1
	s_cbranch_vccnz .LBB55_777
; %bb.768:
	v_cmp_gt_i16_e32 vcc_lo, 3, v6
	s_cbranch_vccnz .LBB55_774
; %bb.769:
	v_cmp_lt_i16_e32 vcc_lo, 3, v6
	s_cbranch_vccz .LBB55_771
; %bb.770:
	v_trunc_f64_e32 v[2:3], v[0:1]
	s_mov_b32 s1, 0
	s_delay_alu instid0(VALU_DEP_1) | instskip(NEXT) | instid1(VALU_DEP_1)
	v_ldexp_f64 v[7:8], v[2:3], 0xffffffe0
	v_floor_f64_e32 v[7:8], v[7:8]
	s_delay_alu instid0(VALU_DEP_1) | instskip(SKIP_1) | instid1(VALU_DEP_2)
	v_fma_f64 v[2:3], 0xc1f00000, v[7:8], v[2:3]
	v_cvt_i32_f64_e32 v8, v[7:8]
	v_cvt_u32_f64_e32 v7, v[2:3]
	global_store_b64 v[4:5], v[7:8], off
.LBB55_771:
	s_and_not1_b32 vcc_lo, exec_lo, s1
	s_cbranch_vccnz .LBB55_773
; %bb.772:
	v_cvt_i32_f64_e32 v2, v[0:1]
	global_store_b32 v[4:5], v2, off
.LBB55_773:
	s_mov_b32 s1, 0
.LBB55_774:
	s_delay_alu instid0(SALU_CYCLE_1)
	s_and_not1_b32 vcc_lo, exec_lo, s1
	s_cbranch_vccnz .LBB55_776
; %bb.775:
	v_cvt_i32_f64_e32 v2, v[0:1]
	global_store_b16 v[4:5], v2, off
.LBB55_776:
	s_mov_b32 s1, 0
.LBB55_777:
	s_delay_alu instid0(SALU_CYCLE_1)
	s_and_not1_b32 vcc_lo, exec_lo, s1
	s_cbranch_vccnz .LBB55_782
; %bb.778:
	v_cmp_lt_i16_e32 vcc_lo, 0, v6
	s_mov_b32 s1, -1
	s_cbranch_vccz .LBB55_780
; %bb.779:
	v_cvt_i32_f64_e32 v2, v[0:1]
	s_mov_b32 s1, 0
	global_store_b8 v[4:5], v2, off
.LBB55_780:
	s_and_not1_b32 vcc_lo, exec_lo, s1
	s_cbranch_vccnz .LBB55_782
; %bb.781:
	v_trunc_f64_e32 v[0:1], v[0:1]
	s_delay_alu instid0(VALU_DEP_1) | instskip(NEXT) | instid1(VALU_DEP_1)
	v_ldexp_f64 v[2:3], v[0:1], 0xffffffe0
	v_floor_f64_e32 v[2:3], v[2:3]
	s_delay_alu instid0(VALU_DEP_1) | instskip(NEXT) | instid1(VALU_DEP_1)
	v_fma_f64 v[0:1], 0xc1f00000, v[2:3], v[0:1]
	v_cvt_u32_f64_e32 v0, v[0:1]
	global_store_b8 v[4:5], v0, off
.LBB55_782:
	s_mov_b32 s1, -1
.LBB55_783:
	s_delay_alu instid0(SALU_CYCLE_1)
	s_and_not1_b32 vcc_lo, exec_lo, s1
	s_cbranch_vccnz .LBB55_785
; %bb.784:
	v_add_nc_u32_e32 v61, 0x80, v61
	s_mov_b32 s1, -1
	s_branch .LBB55_787
.LBB55_785:
	s_mov_b32 s1, 0
.LBB55_786:
                                        ; implicit-def: $vgpr61
.LBB55_787:
	s_and_not1_b32 s2, s27, exec_lo
	s_and_b32 s0, s0, exec_lo
	s_and_not1_b32 s3, s26, exec_lo
	s_and_b32 s4, s33, exec_lo
	s_or_b32 s5, s2, s0
	s_or_b32 s4, s3, s4
	s_or_not1_b32 s3, s1, exec_lo
.LBB55_788:
	s_or_b32 exec_lo, exec_lo, s29
	s_mov_b32 s1, 0
	s_mov_b32 s0, 0
	;; [unrolled: 1-line block ×3, first 2 shown]
                                        ; implicit-def: $vgpr0_vgpr1
                                        ; implicit-def: $vgpr6_vgpr7
	s_and_saveexec_b32 s6, s3
	s_cbranch_execz .LBB55_876
; %bb.789:
	s_mov_b32 s3, s4
	s_mov_b32 s7, exec_lo
                                        ; implicit-def: $vgpr0_vgpr1
                                        ; implicit-def: $vgpr6_vgpr7
	v_cmpx_gt_i32_e64 s23, v61
	s_cbranch_execz .LBB55_875
; %bb.790:
	s_waitcnt vmcnt(0)
	v_mul_lo_u32 v0, v61, s21
	v_cmp_gt_i16_e32 vcc_lo, 11, v62
	s_delay_alu instid0(VALU_DEP_2) | instskip(SKIP_1) | instid1(VALU_DEP_1)
	v_ashrrev_i32_e32 v1, 31, v0
	v_add_co_u32 v0, s0, s18, v0
	v_add_co_ci_u32_e64 v1, s0, s19, v1, s0
	s_cbranch_vccnz .LBB55_797
; %bb.791:
	v_cmp_lt_i16_e32 vcc_lo, 25, v62
	s_mov_b32 s9, 0
	s_cbranch_vccz .LBB55_798
; %bb.792:
	v_cmp_lt_i16_e32 vcc_lo, 28, v62
	s_cbranch_vccz .LBB55_799
; %bb.793:
	v_cmp_lt_i16_e32 vcc_lo, 43, v62
	;; [unrolled: 3-line block ×3, first 2 shown]
	s_cbranch_vccz .LBB55_803
; %bb.795:
	v_cmp_eq_u16_e32 vcc_lo, 46, v62
	s_mov_b32 s0, 0
	s_cbranch_vccz .LBB55_806
; %bb.796:
	global_load_b32 v2, v[0:1], off
	s_mov_b32 s8, 0
	s_mov_b32 s2, -1
	s_waitcnt vmcnt(0)
	v_lshlrev_b32_e32 v3, 16, v2
	v_and_b32_e32 v2, 0xffff0000, v2
	s_delay_alu instid0(VALU_DEP_2) | instskip(NEXT) | instid1(VALU_DEP_2)
	v_cvt_f64_f32_e32 v[4:5], v3
	v_cvt_f64_f32_e32 v[6:7], v2
	s_branch .LBB55_808
.LBB55_797:
	s_mov_b32 s0, -1
	s_mov_b32 s9, 0
	s_mov_b32 s8, s4
                                        ; implicit-def: $vgpr6_vgpr7
	s_branch .LBB55_874
.LBB55_798:
	s_mov_b32 s0, -1
	s_mov_b32 s8, s4
                                        ; implicit-def: $vgpr6_vgpr7
	s_branch .LBB55_841
.LBB55_799:
	s_mov_b32 s0, -1
	s_mov_b32 s8, s4
                                        ; implicit-def: $vgpr6_vgpr7
	s_branch .LBB55_820
.LBB55_800:
	s_mov_b32 s0, -1
	s_mov_b32 s8, s4
                                        ; implicit-def: $vgpr6_vgpr7
	s_branch .LBB55_814
.LBB55_801:
	s_or_saveexec_b32 s3, s3
                                        ; implicit-def: $sgpr4
	s_delay_alu instid0(SALU_CYCLE_1)
	s_xor_b32 exec_lo, exec_lo, s3
	s_cbranch_execz .LBB55_696
.LBB55_802:
	v_add_f32_e64 v8, 0x46000000, |v7|
	s_and_not1_b32 s2, s2, exec_lo
	s_mov_b32 s4, 0
	s_delay_alu instid0(VALU_DEP_1) | instskip(NEXT) | instid1(VALU_DEP_1)
	v_and_b32_e32 v8, 0xff, v8
	v_cmp_ne_u32_e32 vcc_lo, 0, v8
	s_and_b32 s5, vcc_lo, exec_lo
	s_delay_alu instid0(SALU_CYCLE_1)
	s_or_b32 s2, s2, s5
	s_or_b32 exec_lo, exec_lo, s3
	v_mov_b32_e32 v9, s4
	s_and_saveexec_b32 s3, s2
	s_cbranch_execnz .LBB55_697
	s_branch .LBB55_698
.LBB55_803:
	s_mov_b32 s0, -1
	s_mov_b32 s8, s4
	s_branch .LBB55_807
.LBB55_804:
	s_or_saveexec_b32 s3, s3
                                        ; implicit-def: $sgpr4
	s_delay_alu instid0(SALU_CYCLE_1)
	s_xor_b32 exec_lo, exec_lo, s3
	s_cbranch_execz .LBB55_709
.LBB55_805:
	v_add_f32_e64 v8, 0x42800000, |v7|
	s_and_not1_b32 s2, s2, exec_lo
	s_mov_b32 s4, 0
	s_delay_alu instid0(VALU_DEP_1) | instskip(NEXT) | instid1(VALU_DEP_1)
	v_and_b32_e32 v8, 0xff, v8
	v_cmp_ne_u32_e32 vcc_lo, 0, v8
	s_and_b32 s5, vcc_lo, exec_lo
	s_delay_alu instid0(SALU_CYCLE_1)
	s_or_b32 s2, s2, s5
	s_or_b32 exec_lo, exec_lo, s3
	v_mov_b32_e32 v9, s4
	s_and_saveexec_b32 s3, s2
	s_cbranch_execnz .LBB55_710
	s_branch .LBB55_711
.LBB55_806:
	s_mov_b32 s8, -1
.LBB55_807:
                                        ; implicit-def: $vgpr6_vgpr7
.LBB55_808:
	s_and_b32 vcc_lo, exec_lo, s0
	s_cbranch_vccz .LBB55_813
; %bb.809:
	v_cmp_eq_u16_e32 vcc_lo, 44, v62
	s_cbranch_vccz .LBB55_811
; %bb.810:
	global_load_u8 v4, v[0:1], off
	s_mov_b32 s8, 0
	s_mov_b32 s2, -1
	s_mov_b64 s[0:1], 0
	s_waitcnt vmcnt(0)
	v_cmp_ne_u32_e32 vcc_lo, 0xff, v4
	v_lshlrev_b32_e32 v2, 23, v4
	s_delay_alu instid0(VALU_DEP_1) | instskip(NEXT) | instid1(VALU_DEP_1)
	v_cvt_f64_f32_e32 v[2:3], v2
	v_cndmask_b32_e32 v3, 0x7ff80000, v3, vcc_lo
	s_delay_alu instid0(VALU_DEP_2) | instskip(SKIP_1) | instid1(VALU_DEP_3)
	v_cndmask_b32_e32 v2, 0x20000000, v2, vcc_lo
	v_cmp_ne_u32_e32 vcc_lo, 0, v4
	v_cndmask_b32_e32 v5, 0x38000000, v3, vcc_lo
	s_delay_alu instid0(VALU_DEP_3)
	v_cndmask_b32_e32 v4, 0, v2, vcc_lo
	s_branch .LBB55_812
.LBB55_811:
	s_mov_b32 s8, -1
                                        ; implicit-def: $sgpr0_sgpr1
                                        ; implicit-def: $vgpr4_vgpr5
.LBB55_812:
	v_dual_mov_b32 v7, s1 :: v_dual_mov_b32 v6, s0
.LBB55_813:
	s_mov_b32 s0, 0
.LBB55_814:
	s_delay_alu instid0(SALU_CYCLE_1)
	s_and_b32 vcc_lo, exec_lo, s0
	s_cbranch_vccz .LBB55_819
; %bb.815:
	v_cmp_eq_u16_e32 vcc_lo, 29, v62
	s_cbranch_vccz .LBB55_817
; %bb.816:
	global_load_b64 v[2:3], v[0:1], off
	s_mov_b32 s8, 0
	s_mov_b32 s2, -1
	s_mov_b64 s[0:1], 0
	s_waitcnt vmcnt(0)
	v_cvt_f64_u32_e32 v[3:4], v3
	v_cvt_f64_u32_e32 v[5:6], v2
	s_delay_alu instid0(VALU_DEP_2) | instskip(NEXT) | instid1(VALU_DEP_1)
	v_ldexp_f64 v[3:4], v[3:4], 32
	v_add_f64 v[4:5], v[3:4], v[5:6]
	s_branch .LBB55_818
.LBB55_817:
	s_mov_b32 s8, -1
                                        ; implicit-def: $sgpr0_sgpr1
                                        ; implicit-def: $vgpr4_vgpr5
.LBB55_818:
	v_dual_mov_b32 v7, s1 :: v_dual_mov_b32 v6, s0
.LBB55_819:
	s_mov_b32 s0, 0
.LBB55_820:
	s_delay_alu instid0(SALU_CYCLE_1)
	s_and_b32 vcc_lo, exec_lo, s0
	s_cbranch_vccz .LBB55_840
; %bb.821:
	v_cmp_gt_i16_e32 vcc_lo, 27, v62
	s_cbranch_vccnz .LBB55_824
; %bb.822:
	v_cmp_lt_i16_e32 vcc_lo, 27, v62
	s_cbranch_vccz .LBB55_825
; %bb.823:
	global_load_b32 v2, v[0:1], off
	s_mov_b32 s2, 0
	s_mov_b64 s[0:1], 0
	s_waitcnt vmcnt(0)
	v_cvt_f64_u32_e32 v[4:5], v2
	s_branch .LBB55_826
.LBB55_824:
	s_mov_b32 s2, -1
                                        ; implicit-def: $sgpr0_sgpr1
                                        ; implicit-def: $vgpr4_vgpr5
	s_branch .LBB55_829
.LBB55_825:
	s_mov_b32 s2, -1
                                        ; implicit-def: $sgpr0_sgpr1
                                        ; implicit-def: $vgpr4_vgpr5
.LBB55_826:
	s_delay_alu instid0(SALU_CYCLE_1)
	s_and_not1_b32 vcc_lo, exec_lo, s2
	s_cbranch_vccnz .LBB55_828
; %bb.827:
	global_load_u16 v2, v[0:1], off
	s_mov_b64 s[0:1], 0
	s_waitcnt vmcnt(0)
	v_cvt_f64_u32_e32 v[4:5], v2
.LBB55_828:
	s_mov_b32 s2, 0
.LBB55_829:
	v_dual_mov_b32 v7, s1 :: v_dual_mov_b32 v6, s0
	s_and_not1_b32 vcc_lo, exec_lo, s2
	s_cbranch_vccnz .LBB55_839
; %bb.830:
	global_load_u8 v2, v[0:1], off
	s_mov_b32 s10, 0
	s_mov_b32 s11, exec_lo
                                        ; implicit-def: $sgpr0_sgpr1
                                        ; implicit-def: $sgpr2_sgpr3
	s_waitcnt vmcnt(0)
	v_cmpx_lt_i16_e32 0x7f, v2
	s_xor_b32 s11, exec_lo, s11
	s_cbranch_execz .LBB55_834
; %bb.831:
	s_mov_b32 s10, -1
	s_mov_b32 s12, exec_lo
                                        ; implicit-def: $sgpr0_sgpr1
                                        ; implicit-def: $sgpr2_sgpr3
	v_cmpx_eq_u16_e32 0x80, v2
; %bb.832:
	s_mov_b64 s[0:1], 0
	s_mov_b32 s3, 0x7ff80000
	s_brev_b32 s2, 4
	s_xor_b32 s10, exec_lo, -1
; %bb.833:
	s_or_b32 exec_lo, exec_lo, s12
	s_delay_alu instid0(SALU_CYCLE_1)
	s_and_b32 s10, s10, exec_lo
.LBB55_834:
	s_or_saveexec_b32 s11, s11
	v_dual_mov_b32 v7, s1 :: v_dual_mov_b32 v6, s0
	v_dual_mov_b32 v5, s3 :: v_dual_mov_b32 v4, s2
	s_xor_b32 exec_lo, exec_lo, s11
; %bb.835:
	v_mov_b32_e32 v6, 0
	v_mov_b32_e32 v7, 0
	v_cmp_ne_u16_e32 vcc_lo, 0, v2
	s_delay_alu instid0(VALU_DEP_3) | instskip(SKIP_1) | instid1(VALU_DEP_3)
	v_mov_b32_e32 v4, v6
	s_and_not1_b32 s0, s10, exec_lo
	v_mov_b32_e32 v5, v7
	s_and_b32 s1, vcc_lo, exec_lo
	s_delay_alu instid0(SALU_CYCLE_1)
	s_or_b32 s10, s0, s1
; %bb.836:
	s_or_b32 exec_lo, exec_lo, s11
	s_and_saveexec_b32 s0, s10
	s_cbranch_execz .LBB55_838
; %bb.837:
	v_and_b32_e32 v3, 0xffff, v2
	v_lshlrev_b32_e32 v2, 24, v2
	s_delay_alu instid0(VALU_DEP_2) | instskip(NEXT) | instid1(VALU_DEP_1)
	v_and_b32_e32 v4, 7, v3
	v_clz_i32_u32_e32 v5, v4
	s_delay_alu instid0(VALU_DEP_1) | instskip(NEXT) | instid1(VALU_DEP_1)
	v_min_u32_e32 v5, 32, v5
	v_subrev_nc_u32_e32 v6, 28, v5
	v_sub_nc_u32_e32 v5, 29, v5
	s_delay_alu instid0(VALU_DEP_2) | instskip(SKIP_1) | instid1(VALU_DEP_2)
	v_lshlrev_b32_e32 v6, v6, v3
	v_bfe_u32 v3, v3, 3, 4
	v_and_b32_e32 v6, 7, v6
	s_delay_alu instid0(VALU_DEP_2) | instskip(NEXT) | instid1(VALU_DEP_2)
	v_cmp_eq_u32_e32 vcc_lo, 0, v3
	v_dual_cndmask_b32 v3, v3, v5 :: v_dual_cndmask_b32 v4, v4, v6
	v_mov_b32_e32 v6, 0
	v_dual_mov_b32 v7, 0 :: v_dual_and_b32 v2, 0x80000000, v2
	s_delay_alu instid0(VALU_DEP_3) | instskip(NEXT) | instid1(VALU_DEP_4)
	v_lshl_add_u32 v3, v3, 23, 0x3b800000
	v_lshlrev_b32_e32 v4, 20, v4
	s_delay_alu instid0(VALU_DEP_1) | instskip(NEXT) | instid1(VALU_DEP_1)
	v_or3_b32 v2, v2, v3, v4
	v_cvt_f64_f32_e32 v[4:5], v2
.LBB55_838:
	s_or_b32 exec_lo, exec_lo, s0
.LBB55_839:
	s_mov_b32 s2, -1
.LBB55_840:
	s_mov_b32 s0, 0
.LBB55_841:
	s_delay_alu instid0(SALU_CYCLE_1)
	s_and_b32 vcc_lo, exec_lo, s0
	s_cbranch_vccz .LBB55_873
; %bb.842:
	v_cmp_lt_i16_e32 vcc_lo, 22, v62
	s_cbranch_vccz .LBB55_854
; %bb.843:
	v_cmp_gt_i16_e32 vcc_lo, 24, v62
	s_cbranch_vccnz .LBB55_855
; %bb.844:
	v_cmp_lt_i16_e32 vcc_lo, 24, v62
	s_cbranch_vccz .LBB55_856
; %bb.845:
	global_load_u8 v2, v[0:1], off
	s_mov_b32 s10, exec_lo
                                        ; implicit-def: $sgpr0_sgpr1
                                        ; implicit-def: $sgpr2_sgpr3
	s_waitcnt vmcnt(0)
	v_cmpx_lt_i16_e32 0x7f, v2
	s_xor_b32 s10, exec_lo, s10
	s_cbranch_execz .LBB55_849
; %bb.846:
	s_mov_b32 s9, -1
	s_mov_b32 s11, exec_lo
                                        ; implicit-def: $sgpr0_sgpr1
                                        ; implicit-def: $sgpr2_sgpr3
	v_cmpx_eq_u16_e32 0x80, v2
; %bb.847:
	s_mov_b64 s[0:1], 0
	s_mov_b32 s3, 0x7ff80000
	s_brev_b32 s2, 4
	s_xor_b32 s9, exec_lo, -1
; %bb.848:
	s_or_b32 exec_lo, exec_lo, s11
	s_delay_alu instid0(SALU_CYCLE_1)
	s_and_b32 s9, s9, exec_lo
.LBB55_849:
	s_or_saveexec_b32 s10, s10
	v_dual_mov_b32 v7, s1 :: v_dual_mov_b32 v6, s0
	v_dual_mov_b32 v5, s3 :: v_dual_mov_b32 v4, s2
	s_xor_b32 exec_lo, exec_lo, s10
; %bb.850:
	v_mov_b32_e32 v6, 0
	v_mov_b32_e32 v7, 0
	v_cmp_ne_u16_e32 vcc_lo, 0, v2
	s_delay_alu instid0(VALU_DEP_3) | instskip(SKIP_1) | instid1(VALU_DEP_3)
	v_mov_b32_e32 v4, v6
	s_and_not1_b32 s0, s9, exec_lo
	v_mov_b32_e32 v5, v7
	s_and_b32 s1, vcc_lo, exec_lo
	s_delay_alu instid0(SALU_CYCLE_1)
	s_or_b32 s9, s0, s1
; %bb.851:
	s_or_b32 exec_lo, exec_lo, s10
	s_and_saveexec_b32 s0, s9
	s_cbranch_execz .LBB55_853
; %bb.852:
	v_and_b32_e32 v3, 0xffff, v2
	v_lshlrev_b32_e32 v2, 24, v2
	s_delay_alu instid0(VALU_DEP_2) | instskip(NEXT) | instid1(VALU_DEP_1)
	v_and_b32_e32 v4, 3, v3
	v_clz_i32_u32_e32 v5, v4
	s_delay_alu instid0(VALU_DEP_1) | instskip(NEXT) | instid1(VALU_DEP_1)
	v_min_u32_e32 v5, 32, v5
	v_subrev_nc_u32_e32 v6, 29, v5
	v_sub_nc_u32_e32 v5, 30, v5
	s_delay_alu instid0(VALU_DEP_2) | instskip(SKIP_1) | instid1(VALU_DEP_2)
	v_lshlrev_b32_e32 v6, v6, v3
	v_bfe_u32 v3, v3, 2, 5
	v_and_b32_e32 v6, 3, v6
	s_delay_alu instid0(VALU_DEP_2) | instskip(NEXT) | instid1(VALU_DEP_2)
	v_cmp_eq_u32_e32 vcc_lo, 0, v3
	v_dual_cndmask_b32 v3, v3, v5 :: v_dual_cndmask_b32 v4, v4, v6
	v_mov_b32_e32 v6, 0
	v_dual_mov_b32 v7, 0 :: v_dual_and_b32 v2, 0x80000000, v2
	s_delay_alu instid0(VALU_DEP_3) | instskip(NEXT) | instid1(VALU_DEP_4)
	v_lshl_add_u32 v3, v3, 23, 0x37800000
	v_lshlrev_b32_e32 v4, 21, v4
	s_delay_alu instid0(VALU_DEP_1) | instskip(NEXT) | instid1(VALU_DEP_1)
	v_or3_b32 v2, v2, v3, v4
	v_cvt_f64_f32_e32 v[4:5], v2
.LBB55_853:
	s_or_b32 exec_lo, exec_lo, s0
	s_mov_b32 s0, 0
	s_branch .LBB55_857
.LBB55_854:
	s_mov_b32 s0, -1
                                        ; implicit-def: $vgpr6_vgpr7
	s_branch .LBB55_863
.LBB55_855:
	s_mov_b32 s0, -1
                                        ; implicit-def: $vgpr6_vgpr7
	s_branch .LBB55_860
.LBB55_856:
	s_mov_b32 s0, -1
                                        ; implicit-def: $vgpr6_vgpr7
.LBB55_857:
	s_delay_alu instid0(SALU_CYCLE_1)
	s_and_b32 vcc_lo, exec_lo, s0
	s_cbranch_vccz .LBB55_859
; %bb.858:
	global_load_u8 v2, v[0:1], off
	s_waitcnt vmcnt(0)
	v_lshlrev_b32_e32 v2, 24, v2
	s_delay_alu instid0(VALU_DEP_1) | instskip(NEXT) | instid1(VALU_DEP_1)
	v_and_b32_e32 v3, 0x7f000000, v2
	v_clz_i32_u32_e32 v4, v3
	v_add_nc_u32_e32 v6, 0x1000000, v3
	s_delay_alu instid0(VALU_DEP_2) | instskip(NEXT) | instid1(VALU_DEP_1)
	v_min_u32_e32 v4, 32, v4
	v_sub_nc_u32_e64 v4, v4, 4 clamp
	s_delay_alu instid0(VALU_DEP_1) | instskip(SKIP_1) | instid1(VALU_DEP_2)
	v_lshlrev_b32_e32 v5, v4, v3
	v_lshlrev_b32_e32 v4, 23, v4
	v_lshrrev_b32_e32 v5, 4, v5
	s_delay_alu instid0(VALU_DEP_1)
	v_sub_nc_u32_e32 v4, v5, v4
	v_ashrrev_i32_e32 v5, 8, v6
	v_mov_b32_e32 v6, 0
	v_mov_b32_e32 v7, 0
	v_cmp_ne_u32_e32 vcc_lo, 0, v3
	v_add_nc_u32_e32 v4, 0x3c000000, v4
	s_delay_alu instid0(VALU_DEP_1) | instskip(NEXT) | instid1(VALU_DEP_1)
	v_and_or_b32 v4, 0x7f800000, v5, v4
	v_cndmask_b32_e32 v3, 0, v4, vcc_lo
	s_delay_alu instid0(VALU_DEP_1) | instskip(NEXT) | instid1(VALU_DEP_1)
	v_and_or_b32 v2, 0x80000000, v2, v3
	v_cvt_f64_f32_e32 v[4:5], v2
.LBB55_859:
	s_mov_b32 s0, 0
.LBB55_860:
	s_delay_alu instid0(SALU_CYCLE_1)
	s_and_not1_b32 vcc_lo, exec_lo, s0
	s_cbranch_vccnz .LBB55_862
; %bb.861:
	global_load_u8 v2, v[0:1], off
	v_mov_b32_e32 v6, 0
	v_mov_b32_e32 v7, 0
	s_waitcnt vmcnt(0)
	v_lshlrev_b32_e32 v3, 25, v2
	v_lshlrev_b16 v2, 8, v2
	s_delay_alu instid0(VALU_DEP_2) | instskip(NEXT) | instid1(VALU_DEP_2)
	v_lshrrev_b32_e32 v4, 4, v3
	v_and_or_b32 v5, 0x7f00, v2, 0.5
	v_bfe_i32 v2, v2, 0, 16
	s_delay_alu instid0(VALU_DEP_3) | instskip(NEXT) | instid1(VALU_DEP_1)
	v_or_b32_e32 v4, 0x70000000, v4
	v_dual_add_f32 v5, -0.5, v5 :: v_dual_mul_f32 v4, 0x7800000, v4
	v_cmp_gt_u32_e32 vcc_lo, 0x8000000, v3
	s_delay_alu instid0(VALU_DEP_2) | instskip(NEXT) | instid1(VALU_DEP_1)
	v_cndmask_b32_e32 v3, v4, v5, vcc_lo
	v_and_or_b32 v2, 0x80000000, v2, v3
	s_delay_alu instid0(VALU_DEP_1)
	v_cvt_f64_f32_e32 v[4:5], v2
.LBB55_862:
	s_mov_b32 s0, 0
	s_mov_b32 s2, -1
.LBB55_863:
	s_and_not1_b32 vcc_lo, exec_lo, s0
	s_mov_b32 s9, 0
	s_cbranch_vccnz .LBB55_873
; %bb.864:
	v_cmp_lt_i16_e32 vcc_lo, 14, v62
	s_cbranch_vccz .LBB55_867
; %bb.865:
	v_cmp_eq_u16_e32 vcc_lo, 15, v62
	s_cbranch_vccz .LBB55_868
; %bb.866:
	global_load_u16 v2, v[0:1], off
	s_mov_b32 s8, 0
	s_mov_b32 s2, -1
	s_mov_b64 s[0:1], 0
	s_waitcnt vmcnt(0)
	v_lshlrev_b32_e32 v2, 16, v2
	s_delay_alu instid0(VALU_DEP_1)
	v_cvt_f64_f32_e32 v[4:5], v2
	s_branch .LBB55_869
.LBB55_867:
	s_mov_b32 s3, -1
                                        ; implicit-def: $sgpr0_sgpr1
                                        ; implicit-def: $vgpr4_vgpr5
	s_branch .LBB55_870
.LBB55_868:
	s_mov_b32 s8, -1
                                        ; implicit-def: $sgpr0_sgpr1
                                        ; implicit-def: $vgpr4_vgpr5
.LBB55_869:
	s_mov_b32 s3, 0
.LBB55_870:
	s_delay_alu instid0(SALU_CYCLE_1)
	s_and_b32 vcc_lo, exec_lo, s3
	s_cbranch_vccz .LBB55_872
; %bb.871:
	v_cmp_ne_u16_e32 vcc_lo, 11, v62
	s_and_not1_b32 s0, s8, exec_lo
	s_mov_b32 s9, -1
                                        ; implicit-def: $vgpr4_vgpr5
	s_and_b32 s1, vcc_lo, exec_lo
	s_delay_alu instid0(SALU_CYCLE_1)
	s_or_b32 s8, s0, s1
                                        ; implicit-def: $sgpr0_sgpr1
.LBB55_872:
	v_dual_mov_b32 v7, s1 :: v_dual_mov_b32 v6, s0
.LBB55_873:
	s_mov_b32 s0, 0
.LBB55_874:
	s_and_not1_b32 s3, s4, exec_lo
	s_and_b32 s8, s8, exec_lo
	s_and_b32 s2, s2, exec_lo
	;; [unrolled: 1-line block ×4, first 2 shown]
	s_or_b32 s3, s3, s8
.LBB55_875:
	s_or_b32 exec_lo, exec_lo, s7
	s_delay_alu instid0(SALU_CYCLE_1)
	s_and_not1_b32 s4, s4, exec_lo
	s_and_b32 s3, s3, exec_lo
	s_and_b32 s2, s2, exec_lo
	;; [unrolled: 1-line block ×4, first 2 shown]
	s_or_b32 s4, s4, s3
.LBB55_876:
	s_or_b32 exec_lo, exec_lo, s6
	s_delay_alu instid0(SALU_CYCLE_1)
	s_and_not1_b32 s3, s27, exec_lo
	s_and_b32 s5, s5, exec_lo
	s_and_b32 s4, s4, exec_lo
	s_or_b32 s27, s3, s5
	s_and_not1_b32 s3, s26, exec_lo
	s_and_b32 s2, s2, exec_lo
	s_and_b32 s0, s0, exec_lo
	;; [unrolled: 1-line block ×3, first 2 shown]
	s_or_b32 s26, s3, s4
.LBB55_877:
	s_or_b32 exec_lo, exec_lo, s28
	s_delay_alu instid0(SALU_CYCLE_1)
	s_and_not1_b32 s3, s22, exec_lo
	s_and_b32 s4, s27, exec_lo
	s_and_b32 s2, s2, exec_lo
	s_or_b32 s22, s3, s4
	s_and_not1_b32 s3, s24, exec_lo
	s_and_b32 s4, s26, exec_lo
	s_and_b32 s0, s0, exec_lo
	;; [unrolled: 1-line block ×3, first 2 shown]
	s_or_b32 s24, s3, s4
.LBB55_878:
	s_or_b32 exec_lo, exec_lo, s25
	s_mov_b32 s23, 0
	s_and_saveexec_b32 s1, s24
	s_cbranch_execnz .LBB55_890
; %bb.879:
	s_or_b32 exec_lo, exec_lo, s1
	s_and_saveexec_b32 s1, s26
	s_delay_alu instid0(SALU_CYCLE_1)
	s_xor_b32 s1, exec_lo, s1
	s_cbranch_execz .LBB55_881
.LBB55_880:
	s_waitcnt vmcnt(0)
	global_load_u8 v2, v[0:1], off
	v_mov_b32_e32 v6, 0
	v_dual_mov_b32 v7, 0 :: v_dual_mov_b32 v4, 0
	s_or_b32 s2, s2, exec_lo
	s_waitcnt vmcnt(0)
	v_cmp_ne_u16_e32 vcc_lo, 0, v2
	v_cndmask_b32_e64 v5, 0, 0x3ff00000, vcc_lo
.LBB55_881:
	s_or_b32 exec_lo, exec_lo, s1
	s_and_saveexec_b32 s3, s0
	s_cbranch_execz .LBB55_931
; %bb.882:
	v_cmp_gt_i16_e32 vcc_lo, 5, v62
	s_cbranch_vccnz .LBB55_887
; %bb.883:
	v_cmp_gt_i16_e32 vcc_lo, 8, v62
	s_cbranch_vccnz .LBB55_888
	;; [unrolled: 3-line block ×3, first 2 shown]
; %bb.885:
	v_cmp_lt_i16_e32 vcc_lo, 9, v62
	s_cbranch_vccz .LBB55_892
; %bb.886:
	s_waitcnt vmcnt(0)
	global_load_b128 v[4:7], v[0:1], off
	s_mov_b32 s0, 0
	s_branch .LBB55_893
.LBB55_887:
                                        ; implicit-def: $vgpr6_vgpr7
	s_branch .LBB55_911
.LBB55_888:
                                        ; implicit-def: $vgpr6_vgpr7
	s_branch .LBB55_899
.LBB55_889:
	s_mov_b32 s0, -1
                                        ; implicit-def: $vgpr6_vgpr7
	s_branch .LBB55_896
.LBB55_890:
	s_cbranch_execnz .LBB55_940
; %bb.891:
	s_mov_b32 s23, exec_lo
	s_and_not1_b32 s26, s26, exec_lo
                                        ; implicit-def: $vgpr6_vgpr7
	s_or_b32 exec_lo, exec_lo, s1
	s_and_saveexec_b32 s1, s26
	s_delay_alu instid0(SALU_CYCLE_1)
	s_xor_b32 s1, exec_lo, s1
	s_cbranch_execnz .LBB55_880
	s_branch .LBB55_881
.LBB55_892:
	s_mov_b32 s0, -1
                                        ; implicit-def: $vgpr6_vgpr7
.LBB55_893:
	s_delay_alu instid0(SALU_CYCLE_1)
	s_and_not1_b32 vcc_lo, exec_lo, s0
	s_cbranch_vccnz .LBB55_895
; %bb.894:
	s_waitcnt vmcnt(0)
	global_load_b64 v[2:3], v[0:1], off
	s_waitcnt vmcnt(0)
	v_cvt_f64_f32_e32 v[4:5], v2
	v_cvt_f64_f32_e32 v[6:7], v3
.LBB55_895:
	s_mov_b32 s0, 0
.LBB55_896:
	s_delay_alu instid0(SALU_CYCLE_1)
	s_and_not1_b32 vcc_lo, exec_lo, s0
	s_cbranch_vccnz .LBB55_898
; %bb.897:
	s_waitcnt vmcnt(0)
	global_load_b32 v2, v[0:1], off
	s_waitcnt vmcnt(0)
	v_lshrrev_b32_e32 v3, 16, v2
	v_cvt_f32_f16_e32 v2, v2
	s_delay_alu instid0(VALU_DEP_2) | instskip(NEXT) | instid1(VALU_DEP_2)
	v_cvt_f32_f16_e32 v3, v3
	v_cvt_f64_f32_e32 v[4:5], v2
	s_delay_alu instid0(VALU_DEP_2)
	v_cvt_f64_f32_e32 v[6:7], v3
.LBB55_898:
	s_cbranch_execnz .LBB55_910
.LBB55_899:
	v_cmp_gt_i16_e32 vcc_lo, 6, v62
	s_cbranch_vccnz .LBB55_902
; %bb.900:
	v_cmp_lt_i16_e32 vcc_lo, 6, v62
	s_cbranch_vccz .LBB55_903
; %bb.901:
	s_waitcnt vmcnt(0)
	global_load_b64 v[4:5], v[0:1], off
	s_mov_b32 s4, 0
	s_mov_b64 s[0:1], 0
	s_branch .LBB55_904
.LBB55_902:
	s_mov_b32 s4, -1
                                        ; implicit-def: $sgpr0_sgpr1
                                        ; implicit-def: $vgpr4_vgpr5
	s_branch .LBB55_907
.LBB55_903:
	s_mov_b32 s4, -1
                                        ; implicit-def: $sgpr0_sgpr1
                                        ; implicit-def: $vgpr4_vgpr5
.LBB55_904:
	s_delay_alu instid0(SALU_CYCLE_1)
	s_and_not1_b32 vcc_lo, exec_lo, s4
	s_cbranch_vccnz .LBB55_906
; %bb.905:
	s_waitcnt vmcnt(0)
	global_load_b32 v2, v[0:1], off
	s_mov_b64 s[0:1], 0
	s_waitcnt vmcnt(0)
	v_cvt_f64_f32_e32 v[4:5], v2
.LBB55_906:
	s_mov_b32 s4, 0
.LBB55_907:
	s_delay_alu instid0(SALU_CYCLE_1)
	s_and_not1_b32 vcc_lo, exec_lo, s4
	s_cbranch_vccnz .LBB55_909
; %bb.908:
	s_waitcnt vmcnt(0)
	global_load_u16 v2, v[0:1], off
	s_mov_b64 s[0:1], 0
	s_waitcnt vmcnt(0)
	v_cvt_f32_f16_e32 v2, v2
	s_delay_alu instid0(VALU_DEP_1)
	v_cvt_f64_f32_e32 v[4:5], v2
.LBB55_909:
	s_waitcnt vmcnt(0)
	v_dual_mov_b32 v7, s1 :: v_dual_mov_b32 v6, s0
.LBB55_910:
	s_cbranch_execnz .LBB55_930
.LBB55_911:
	v_cmp_gt_i16_e32 vcc_lo, 2, v62
	s_cbranch_vccnz .LBB55_915
; %bb.912:
	v_cmp_gt_i16_e32 vcc_lo, 3, v62
	s_cbranch_vccnz .LBB55_916
; %bb.913:
	v_cmp_lt_i16_e32 vcc_lo, 3, v62
	s_cbranch_vccz .LBB55_917
; %bb.914:
	s_waitcnt vmcnt(0)
	global_load_b64 v[2:3], v[0:1], off
	s_mov_b32 s4, 0
	s_mov_b64 s[0:1], 0
	s_waitcnt vmcnt(0)
	v_cvt_f64_i32_e32 v[3:4], v3
	v_cvt_f64_u32_e32 v[5:6], v2
	s_delay_alu instid0(VALU_DEP_2) | instskip(NEXT) | instid1(VALU_DEP_1)
	v_ldexp_f64 v[3:4], v[3:4], 32
	v_add_f64 v[4:5], v[3:4], v[5:6]
	s_branch .LBB55_918
.LBB55_915:
                                        ; implicit-def: $sgpr0_sgpr1
                                        ; implicit-def: $vgpr4_vgpr5
	s_branch .LBB55_924
.LBB55_916:
	s_mov_b32 s4, -1
                                        ; implicit-def: $sgpr0_sgpr1
                                        ; implicit-def: $vgpr4_vgpr5
	s_branch .LBB55_921
.LBB55_917:
	s_mov_b32 s4, -1
                                        ; implicit-def: $sgpr0_sgpr1
                                        ; implicit-def: $vgpr4_vgpr5
.LBB55_918:
	s_delay_alu instid0(SALU_CYCLE_1)
	s_and_not1_b32 vcc_lo, exec_lo, s4
	s_cbranch_vccnz .LBB55_920
; %bb.919:
	s_waitcnt vmcnt(0)
	global_load_b32 v2, v[0:1], off
	s_mov_b64 s[0:1], 0
	s_waitcnt vmcnt(0)
	v_cvt_f64_i32_e32 v[4:5], v2
.LBB55_920:
	s_mov_b32 s4, 0
.LBB55_921:
	s_delay_alu instid0(SALU_CYCLE_1)
	s_and_not1_b32 vcc_lo, exec_lo, s4
	s_cbranch_vccnz .LBB55_923
; %bb.922:
	s_waitcnt vmcnt(0)
	global_load_i16 v2, v[0:1], off
	s_mov_b64 s[0:1], 0
	s_waitcnt vmcnt(0)
	v_cvt_f64_i32_e32 v[4:5], v2
.LBB55_923:
	s_cbranch_execnz .LBB55_929
.LBB55_924:
	v_cmp_lt_i16_e32 vcc_lo, 0, v62
	s_mov_b32 s4, 0
	s_cbranch_vccz .LBB55_926
; %bb.925:
	s_waitcnt vmcnt(0)
	global_load_i8 v2, v[0:1], off
	s_mov_b64 s[0:1], 0
	s_waitcnt vmcnt(0)
	v_cvt_f64_i32_e32 v[4:5], v2
	s_branch .LBB55_927
.LBB55_926:
	s_mov_b32 s4, -1
                                        ; implicit-def: $sgpr0_sgpr1
                                        ; implicit-def: $vgpr4_vgpr5
.LBB55_927:
	s_delay_alu instid0(SALU_CYCLE_1)
	s_and_not1_b32 vcc_lo, exec_lo, s4
	s_cbranch_vccnz .LBB55_929
; %bb.928:
	s_waitcnt vmcnt(0)
	global_load_u8 v0, v[0:1], off
	s_mov_b64 s[0:1], 0
	s_waitcnt vmcnt(0)
	v_cvt_f64_u32_e32 v[4:5], v0
.LBB55_929:
	s_waitcnt vmcnt(0)
	v_dual_mov_b32 v7, s1 :: v_dual_mov_b32 v6, s0
.LBB55_930:
	s_or_b32 s2, s2, exec_lo
.LBB55_931:
	s_or_b32 exec_lo, exec_lo, s3
	s_mov_b32 s0, 0
	s_mov_b32 s1, 0
                                        ; implicit-def: $vgpr10
                                        ; implicit-def: $vgpr8_vgpr9
                                        ; implicit-def: $vgpr2_vgpr3
	s_and_saveexec_b32 s24, s2
	s_cbranch_execz .LBB55_1011
; %bb.932:
	s_waitcnt vmcnt(0)
	s_delay_alu instid0(VALU_DEP_1) | instskip(NEXT) | instid1(VALU_DEP_2)
	v_dual_mov_b32 v0, v4 :: v_dual_mov_b32 v1, v5
	v_dual_mov_b32 v2, v6 :: v_dual_mov_b32 v3, v7
	s_getpc_b64 s[0:1]
	s_add_u32 s0, s0, _ZZZZN2at6native15exp_kernel_cudaERNS_18TensorIteratorBaseEENKUlvE_clEvENKUlvE_clEvENKUlN3c107complexIdEEE_clES7_@rel32@lo+4
	s_addc_u32 s1, s1, _ZZZZN2at6native15exp_kernel_cudaERNS_18TensorIteratorBaseEENKUlvE_clEvENKUlvE_clEvENKUlN3c107complexIdEEE_clES7_@rel32@hi+12
	s_delay_alu instid0(SALU_CYCLE_1) | instskip(SKIP_2) | instid1(VALU_DEP_1)
	s_swappc_b64 s[30:31], s[0:1]
	v_mul_lo_u32 v4, v61, s20
	v_and_b32_e32 v10, 0xff, v60
	v_cmp_gt_i16_e32 vcc_lo, 11, v10
	s_delay_alu instid0(VALU_DEP_3) | instskip(SKIP_1) | instid1(VALU_DEP_1)
	v_ashrrev_i32_e32 v5, 31, v4
	v_add_co_u32 v8, s0, s16, v4
	v_add_co_ci_u32_e64 v9, s0, s17, v5, s0
	s_cbranch_vccnz .LBB55_939
; %bb.933:
	v_cmp_lt_i16_e32 vcc_lo, 25, v10
	s_mov_b32 s1, -1
	s_mov_b32 s0, s22
	s_cbranch_vccz .LBB55_969
; %bb.934:
	v_cmp_lt_i16_e32 vcc_lo, 28, v10
	s_mov_b32 s0, s22
	s_cbranch_vccz .LBB55_953
; %bb.935:
	v_cmp_lt_i16_e32 vcc_lo, 43, v10
	s_mov_b32 s0, s22
	s_cbranch_vccz .LBB55_949
; %bb.936:
	v_cmp_lt_i16_e32 vcc_lo, 45, v10
	s_mov_b32 s0, s22
	s_cbranch_vccz .LBB55_943
; %bb.937:
	v_cmp_eq_u16_e32 vcc_lo, 46, v10
	s_mov_b32 s0, -1
	s_cbranch_vccz .LBB55_942
; %bb.938:
	v_cvt_f32_f64_e32 v4, v[2:3]
	v_cvt_f32_f64_e32 v5, v[0:1]
	s_mov_b32 s0, 0
	s_mov_b32 s1, 0
	s_delay_alu instid0(VALU_DEP_2) | instskip(NEXT) | instid1(VALU_DEP_2)
	v_bfe_u32 v6, v4, 16, 1
	v_bfe_u32 v7, v5, 16, 1
	v_cmp_o_f32_e32 vcc_lo, v4, v4
	s_delay_alu instid0(VALU_DEP_3) | instskip(NEXT) | instid1(VALU_DEP_3)
	v_add3_u32 v6, v4, v6, 0x7fff
	v_add3_u32 v7, v5, v7, 0x7fff
	s_delay_alu instid0(VALU_DEP_2) | instskip(NEXT) | instid1(VALU_DEP_2)
	v_and_b32_e32 v6, 0xffff0000, v6
	v_lshrrev_b32_e32 v7, 16, v7
	s_delay_alu instid0(VALU_DEP_2) | instskip(SKIP_1) | instid1(VALU_DEP_3)
	v_cndmask_b32_e32 v4, 0x7fc00000, v6, vcc_lo
	v_cmp_o_f32_e32 vcc_lo, v5, v5
	v_cndmask_b32_e32 v5, 0x7fc0, v7, vcc_lo
	s_delay_alu instid0(VALU_DEP_1)
	v_or_b32_e32 v4, v4, v5
	global_store_b32 v[8:9], v4, off
	s_branch .LBB55_943
.LBB55_939:
	s_mov_b32 s2, 0
	s_mov_b32 s1, -1
	s_mov_b32 s0, s22
	s_branch .LBB55_1010
.LBB55_940:
	s_trap 2
	s_sendmsg_rtn_b32 s0, sendmsg(MSG_RTN_GET_DOORBELL)
	s_mov_b32 ttmp2, m0
	s_waitcnt lgkmcnt(0)
	s_and_b32 s0, s0, 0x3ff
	s_delay_alu instid0(SALU_CYCLE_1) | instskip(NEXT) | instid1(SALU_CYCLE_1)
	s_bitset1_b32 s0, 10
	s_mov_b32 m0, s0
	s_sendmsg sendmsg(MSG_INTERRUPT)
	s_mov_b32 m0, ttmp2
.LBB55_941:                             ; =>This Inner Loop Header: Depth=1
	s_sethalt 5
	s_branch .LBB55_941
.LBB55_942:
	s_mov_b32 s1, 0
.LBB55_943:
	s_delay_alu instid0(SALU_CYCLE_1)
	s_and_b32 vcc_lo, exec_lo, s1
	s_cbranch_vccz .LBB55_948
; %bb.944:
	v_cmp_eq_u16_e32 vcc_lo, 44, v10
	s_mov_b32 s0, -1
	s_cbranch_vccz .LBB55_948
; %bb.945:
	v_cvt_f32_f64_e32 v4, v[0:1]
	v_mov_b32_e32 v5, 0xff
	s_mov_b32 s1, exec_lo
	s_delay_alu instid0(VALU_DEP_2) | instskip(NEXT) | instid1(VALU_DEP_1)
	v_bfe_u32 v6, v4, 23, 8
	v_cmpx_ne_u32_e32 0xff, v6
; %bb.946:
	v_and_b32_e32 v5, 0x400000, v4
	v_and_or_b32 v6, 0x3fffff, v4, v6
	v_lshrrev_b32_e32 v4, 23, v4
	s_delay_alu instid0(VALU_DEP_3) | instskip(NEXT) | instid1(VALU_DEP_3)
	v_cmp_ne_u32_e32 vcc_lo, 0, v5
	v_cmp_ne_u32_e64 s0, 0, v6
	s_delay_alu instid0(VALU_DEP_1) | instskip(NEXT) | instid1(SALU_CYCLE_1)
	s_and_b32 s0, vcc_lo, s0
	v_cndmask_b32_e64 v5, 0, 1, s0
	s_delay_alu instid0(VALU_DEP_1)
	v_add_nc_u32_e32 v5, v4, v5
; %bb.947:
	s_or_b32 exec_lo, exec_lo, s1
	s_mov_b32 s0, 0
	global_store_b8 v[8:9], v5, off
.LBB55_948:
	s_mov_b32 s1, 0
.LBB55_949:
	s_delay_alu instid0(SALU_CYCLE_1)
	s_and_b32 vcc_lo, exec_lo, s1
	s_cbranch_vccz .LBB55_952
; %bb.950:
	v_cmp_eq_u16_e32 vcc_lo, 29, v10
	s_mov_b32 s0, -1
	s_cbranch_vccz .LBB55_952
; %bb.951:
	v_trunc_f64_e32 v[4:5], v[0:1]
	s_mov_b32 s0, 0
	s_mov_b32 s1, 0
	s_delay_alu instid0(VALU_DEP_1) | instskip(NEXT) | instid1(VALU_DEP_1)
	v_ldexp_f64 v[6:7], v[4:5], 0xffffffe0
	v_floor_f64_e32 v[6:7], v[6:7]
	s_delay_alu instid0(VALU_DEP_1) | instskip(SKIP_1) | instid1(VALU_DEP_2)
	v_fma_f64 v[4:5], 0xc1f00000, v[6:7], v[4:5]
	v_cvt_u32_f64_e32 v6, v[6:7]
	v_cvt_u32_f64_e32 v5, v[4:5]
	global_store_b64 v[8:9], v[5:6], off
	s_branch .LBB55_953
.LBB55_952:
	s_mov_b32 s1, 0
.LBB55_953:
	s_delay_alu instid0(SALU_CYCLE_1)
	s_and_b32 vcc_lo, exec_lo, s1
	s_cbranch_vccz .LBB55_968
; %bb.954:
	v_cmp_gt_i16_e32 vcc_lo, 27, v10
	s_mov_b32 s1, -1
	s_cbranch_vccnz .LBB55_960
; %bb.955:
	v_cvt_u32_f64_e32 v4, v[0:1]
	v_cmp_lt_i16_e32 vcc_lo, 27, v10
	s_cbranch_vccz .LBB55_957
; %bb.956:
	s_mov_b32 s1, 0
	global_store_b32 v[8:9], v4, off
.LBB55_957:
	s_and_not1_b32 vcc_lo, exec_lo, s1
	s_cbranch_vccnz .LBB55_959
; %bb.958:
	global_store_b16 v[8:9], v4, off
.LBB55_959:
	s_mov_b32 s1, 0
.LBB55_960:
	s_delay_alu instid0(SALU_CYCLE_1)
	s_and_not1_b32 vcc_lo, exec_lo, s1
	s_cbranch_vccnz .LBB55_968
; %bb.961:
	v_cvt_f32_f64_e32 v4, v[0:1]
	v_mov_b32_e32 v6, 0x80
	s_mov_b32 s1, exec_lo
	s_delay_alu instid0(VALU_DEP_2) | instskip(NEXT) | instid1(VALU_DEP_1)
	v_and_b32_e32 v5, 0x7fffffff, v4
	v_cmpx_gt_u32_e32 0x43800000, v5
	s_cbranch_execz .LBB55_967
; %bb.962:
	v_cmp_lt_u32_e32 vcc_lo, 0x3bffffff, v5
	s_mov_b32 s2, 0
                                        ; implicit-def: $vgpr5
	s_and_saveexec_b32 s3, vcc_lo
	s_delay_alu instid0(SALU_CYCLE_1)
	s_xor_b32 s3, exec_lo, s3
	s_cbranch_execz .LBB55_1208
; %bb.963:
	v_bfe_u32 v5, v4, 20, 1
	s_mov_b32 s2, exec_lo
	s_delay_alu instid0(VALU_DEP_1) | instskip(NEXT) | instid1(VALU_DEP_1)
	v_add3_u32 v5, v4, v5, 0x487ffff
	v_lshrrev_b32_e32 v5, 20, v5
	s_or_saveexec_b32 s3, s3
                                        ; implicit-def: $sgpr4
	s_delay_alu instid0(SALU_CYCLE_1)
	s_xor_b32 exec_lo, exec_lo, s3
	s_cbranch_execnz .LBB55_1209
.LBB55_964:
	s_or_b32 exec_lo, exec_lo, s3
	v_mov_b32_e32 v6, s4
	s_and_saveexec_b32 s3, s2
.LBB55_965:
	v_lshrrev_b32_e32 v4, 24, v4
	s_delay_alu instid0(VALU_DEP_1)
	v_and_or_b32 v6, 0x80, v4, v5
.LBB55_966:
	s_or_b32 exec_lo, exec_lo, s3
.LBB55_967:
	s_delay_alu instid0(SALU_CYCLE_1)
	s_or_b32 exec_lo, exec_lo, s1
	global_store_b8 v[8:9], v6, off
.LBB55_968:
	s_mov_b32 s1, 0
.LBB55_969:
	s_delay_alu instid0(SALU_CYCLE_1)
	s_and_b32 vcc_lo, exec_lo, s1
	s_mov_b32 s1, 0
	s_cbranch_vccz .LBB55_1009
; %bb.970:
	v_cmp_lt_i16_e32 vcc_lo, 22, v10
	s_mov_b32 s2, -1
	s_cbranch_vccz .LBB55_1002
; %bb.971:
	v_cmp_gt_i16_e32 vcc_lo, 24, v10
	s_cbranch_vccnz .LBB55_991
; %bb.972:
	v_cmp_lt_i16_e32 vcc_lo, 24, v10
	s_cbranch_vccz .LBB55_980
; %bb.973:
	v_cvt_f32_f64_e32 v4, v[0:1]
	v_mov_b32_e32 v6, 0x80
	s_mov_b32 s2, exec_lo
	s_delay_alu instid0(VALU_DEP_2) | instskip(NEXT) | instid1(VALU_DEP_1)
	v_and_b32_e32 v5, 0x7fffffff, v4
	v_cmpx_gt_u32_e32 0x47800000, v5
	s_cbranch_execz .LBB55_979
; %bb.974:
	v_cmp_lt_u32_e32 vcc_lo, 0x37ffffff, v5
	s_mov_b32 s3, 0
                                        ; implicit-def: $vgpr5
	s_and_saveexec_b32 s4, vcc_lo
	s_delay_alu instid0(SALU_CYCLE_1)
	s_xor_b32 s4, exec_lo, s4
	s_cbranch_execz .LBB55_1253
; %bb.975:
	v_bfe_u32 v5, v4, 21, 1
	s_mov_b32 s3, exec_lo
	s_delay_alu instid0(VALU_DEP_1) | instskip(NEXT) | instid1(VALU_DEP_1)
	v_add3_u32 v5, v4, v5, 0x88fffff
	v_lshrrev_b32_e32 v5, 21, v5
	s_or_saveexec_b32 s4, s4
                                        ; implicit-def: $sgpr5
	s_delay_alu instid0(SALU_CYCLE_1)
	s_xor_b32 exec_lo, exec_lo, s4
	s_cbranch_execnz .LBB55_1254
.LBB55_976:
	s_or_b32 exec_lo, exec_lo, s4
	v_mov_b32_e32 v6, s5
	s_and_saveexec_b32 s4, s3
.LBB55_977:
	v_lshrrev_b32_e32 v4, 24, v4
	s_delay_alu instid0(VALU_DEP_1)
	v_and_or_b32 v6, 0x80, v4, v5
.LBB55_978:
	s_or_b32 exec_lo, exec_lo, s4
.LBB55_979:
	s_delay_alu instid0(SALU_CYCLE_1)
	s_or_b32 exec_lo, exec_lo, s2
	s_mov_b32 s2, 0
	global_store_b8 v[8:9], v6, off
.LBB55_980:
	s_and_b32 vcc_lo, exec_lo, s2
	s_cbranch_vccz .LBB55_990
; %bb.981:
	v_cvt_f32_f64_e32 v4, v[0:1]
	s_mov_b32 s2, exec_lo
                                        ; implicit-def: $vgpr5
	s_delay_alu instid0(VALU_DEP_1) | instskip(NEXT) | instid1(VALU_DEP_1)
	v_and_b32_e32 v6, 0x7fffffff, v4
	v_cmpx_gt_u32_e32 0x43f00000, v6
	s_xor_b32 s2, exec_lo, s2
	s_cbranch_execz .LBB55_987
; %bb.982:
	s_mov_b32 s3, exec_lo
                                        ; implicit-def: $vgpr5
	v_cmpx_lt_u32_e32 0x3c7fffff, v6
	s_xor_b32 s3, exec_lo, s3
; %bb.983:
	v_bfe_u32 v5, v4, 20, 1
	s_delay_alu instid0(VALU_DEP_1) | instskip(NEXT) | instid1(VALU_DEP_1)
	v_add3_u32 v5, v4, v5, 0x407ffff
	v_and_b32_e32 v6, 0xff00000, v5
	v_lshrrev_b32_e32 v5, 20, v5
	s_delay_alu instid0(VALU_DEP_2) | instskip(NEXT) | instid1(VALU_DEP_2)
	v_cmp_ne_u32_e32 vcc_lo, 0x7f00000, v6
	v_cndmask_b32_e32 v5, 0x7e, v5, vcc_lo
; %bb.984:
	s_and_not1_saveexec_b32 s3, s3
; %bb.985:
	v_add_f32_e64 v5, 0x46800000, |v4|
; %bb.986:
	s_or_b32 exec_lo, exec_lo, s3
                                        ; implicit-def: $vgpr6
.LBB55_987:
	s_and_not1_saveexec_b32 s2, s2
; %bb.988:
	v_mov_b32_e32 v5, 0x7f
	v_cmp_lt_u32_e32 vcc_lo, 0x7f800000, v6
	s_delay_alu instid0(VALU_DEP_2)
	v_cndmask_b32_e32 v5, 0x7e, v5, vcc_lo
; %bb.989:
	s_or_b32 exec_lo, exec_lo, s2
	v_lshrrev_b32_e32 v4, 24, v4
	s_delay_alu instid0(VALU_DEP_1)
	v_and_or_b32 v4, 0x80, v4, v5
	global_store_b8 v[8:9], v4, off
.LBB55_990:
	s_mov_b32 s2, 0
.LBB55_991:
	s_delay_alu instid0(SALU_CYCLE_1)
	s_and_not1_b32 vcc_lo, exec_lo, s2
	s_cbranch_vccnz .LBB55_1001
; %bb.992:
	v_cvt_f32_f64_e32 v4, v[0:1]
	s_mov_b32 s2, exec_lo
                                        ; implicit-def: $vgpr5
	s_delay_alu instid0(VALU_DEP_1) | instskip(NEXT) | instid1(VALU_DEP_1)
	v_and_b32_e32 v6, 0x7fffffff, v4
	v_cmpx_gt_u32_e32 0x47800000, v6
	s_xor_b32 s2, exec_lo, s2
	s_cbranch_execz .LBB55_998
; %bb.993:
	s_mov_b32 s3, exec_lo
                                        ; implicit-def: $vgpr5
	v_cmpx_lt_u32_e32 0x387fffff, v6
	s_xor_b32 s3, exec_lo, s3
; %bb.994:
	v_bfe_u32 v5, v4, 21, 1
	s_delay_alu instid0(VALU_DEP_1) | instskip(NEXT) | instid1(VALU_DEP_1)
	v_add3_u32 v5, v4, v5, 0x80fffff
	v_lshrrev_b32_e32 v5, 21, v5
; %bb.995:
	s_and_not1_saveexec_b32 s3, s3
; %bb.996:
	v_add_f32_e64 v5, 0x43000000, |v4|
; %bb.997:
	s_or_b32 exec_lo, exec_lo, s3
                                        ; implicit-def: $vgpr6
.LBB55_998:
	s_and_not1_saveexec_b32 s2, s2
; %bb.999:
	v_mov_b32_e32 v5, 0x7f
	v_cmp_lt_u32_e32 vcc_lo, 0x7f800000, v6
	s_delay_alu instid0(VALU_DEP_2)
	v_cndmask_b32_e32 v5, 0x7c, v5, vcc_lo
; %bb.1000:
	s_or_b32 exec_lo, exec_lo, s2
	v_lshrrev_b32_e32 v4, 24, v4
	s_delay_alu instid0(VALU_DEP_1)
	v_and_or_b32 v4, 0x80, v4, v5
	global_store_b8 v[8:9], v4, off
.LBB55_1001:
	s_mov_b32 s2, 0
.LBB55_1002:
	s_delay_alu instid0(SALU_CYCLE_1)
	s_and_not1_b32 vcc_lo, exec_lo, s2
	s_mov_b32 s2, 0
	s_cbranch_vccnz .LBB55_1010
; %bb.1003:
	v_cmp_lt_i16_e32 vcc_lo, 14, v10
	s_mov_b32 s2, -1
	s_cbranch_vccz .LBB55_1007
; %bb.1004:
	v_cmp_eq_u16_e32 vcc_lo, 15, v10
	s_mov_b32 s0, -1
	s_cbranch_vccz .LBB55_1006
; %bb.1005:
	v_cvt_f32_f64_e32 v4, v[0:1]
	s_mov_b32 s0, 0
	s_delay_alu instid0(VALU_DEP_1) | instskip(SKIP_1) | instid1(VALU_DEP_2)
	v_bfe_u32 v5, v4, 16, 1
	v_cmp_o_f32_e32 vcc_lo, v4, v4
	v_add3_u32 v5, v4, v5, 0x7fff
	s_delay_alu instid0(VALU_DEP_1) | instskip(NEXT) | instid1(VALU_DEP_1)
	v_lshrrev_b32_e32 v5, 16, v5
	v_cndmask_b32_e32 v4, 0x7fc0, v5, vcc_lo
	global_store_b16 v[8:9], v4, off
.LBB55_1006:
	s_mov_b32 s2, 0
.LBB55_1007:
	s_delay_alu instid0(SALU_CYCLE_1)
	s_and_b32 vcc_lo, exec_lo, s2
	s_mov_b32 s2, 0
	s_cbranch_vccz .LBB55_1010
; %bb.1008:
	v_cmp_ne_u16_e32 vcc_lo, 11, v10
	s_and_not1_b32 s0, s0, exec_lo
	s_mov_b32 s2, -1
	s_and_b32 s3, vcc_lo, exec_lo
	s_delay_alu instid0(SALU_CYCLE_1)
	s_or_b32 s0, s0, s3
	s_branch .LBB55_1010
.LBB55_1009:
	s_mov_b32 s2, 0
.LBB55_1010:
	s_and_not1_b32 s3, s22, exec_lo
	s_and_b32 s4, s0, exec_lo
	s_and_b32 s1, s1, exec_lo
	;; [unrolled: 1-line block ×3, first 2 shown]
	s_or_b32 s22, s3, s4
.LBB55_1011:
	s_or_b32 exec_lo, exec_lo, s24
	s_and_saveexec_b32 s2, s22
	s_cbranch_execnz .LBB55_1074
; %bb.1012:
	s_or_b32 exec_lo, exec_lo, s2
	s_and_saveexec_b32 s2, s0
	s_delay_alu instid0(SALU_CYCLE_1)
	s_xor_b32 s2, exec_lo, s2
	s_cbranch_execz .LBB55_1014
.LBB55_1013:
	s_waitcnt vmcnt(0)
	v_cmp_neq_f64_e32 vcc_lo, 0, v[0:1]
	v_cmp_neq_f64_e64 s0, 0, v[2:3]
	s_delay_alu instid0(VALU_DEP_1) | instskip(NEXT) | instid1(SALU_CYCLE_1)
	s_or_b32 s0, vcc_lo, s0
	v_cndmask_b32_e64 v4, 0, 1, s0
	global_store_b8 v[8:9], v4, off
.LBB55_1014:
	s_or_b32 exec_lo, exec_lo, s2
	s_and_saveexec_b32 s0, s1
	s_delay_alu instid0(SALU_CYCLE_1)
	s_xor_b32 s0, exec_lo, s0
	s_cbranch_execz .LBB55_1052
; %bb.1015:
	v_cmp_gt_i16_e32 vcc_lo, 5, v10
	s_mov_b32 s1, -1
	s_cbranch_vccnz .LBB55_1036
; %bb.1016:
	v_cmp_gt_i16_e32 vcc_lo, 8, v10
	s_cbranch_vccnz .LBB55_1026
; %bb.1017:
	v_cmp_gt_i16_e32 vcc_lo, 9, v10
	s_cbranch_vccnz .LBB55_1023
; %bb.1018:
	v_cmp_lt_i16_e32 vcc_lo, 9, v10
	s_cbranch_vccz .LBB55_1020
; %bb.1019:
	s_mov_b32 s1, 0
	s_waitcnt vmcnt(0)
	global_store_b128 v[8:9], v[0:3], off
.LBB55_1020:
	s_and_not1_b32 vcc_lo, exec_lo, s1
	s_cbranch_vccnz .LBB55_1022
; %bb.1021:
	s_waitcnt vmcnt(0)
	v_cvt_f32_f64_e32 v4, v[0:1]
	v_cvt_f32_f64_e32 v5, v[2:3]
	global_store_b64 v[8:9], v[4:5], off
.LBB55_1022:
	s_mov_b32 s1, 0
.LBB55_1023:
	s_delay_alu instid0(SALU_CYCLE_1)
	s_and_not1_b32 vcc_lo, exec_lo, s1
	s_cbranch_vccnz .LBB55_1025
; %bb.1024:
	s_waitcnt vmcnt(0)
	v_cvt_f32_f64_e32 v2, v[2:3]
	v_cvt_f32_f64_e32 v3, v[0:1]
	s_delay_alu instid0(VALU_DEP_2) | instskip(NEXT) | instid1(VALU_DEP_2)
	v_cvt_f16_f32_e32 v2, v2
	v_cvt_f16_f32_e32 v3, v3
	s_delay_alu instid0(VALU_DEP_2) | instskip(NEXT) | instid1(VALU_DEP_2)
	v_lshlrev_b32_e32 v2, 16, v2
	v_and_b32_e32 v3, 0xffff, v3
	s_delay_alu instid0(VALU_DEP_1)
	v_or_b32_e32 v2, v2, v3
	global_store_b32 v[8:9], v2, off
.LBB55_1025:
	s_mov_b32 s1, 0
.LBB55_1026:
	s_delay_alu instid0(SALU_CYCLE_1)
	s_and_not1_b32 vcc_lo, exec_lo, s1
	s_cbranch_vccnz .LBB55_1035
; %bb.1027:
	v_cmp_gt_i16_e32 vcc_lo, 6, v10
	s_mov_b32 s1, -1
	s_cbranch_vccnz .LBB55_1033
; %bb.1028:
	v_cmp_lt_i16_e32 vcc_lo, 6, v10
	s_cbranch_vccz .LBB55_1030
; %bb.1029:
	s_mov_b32 s1, 0
	s_waitcnt vmcnt(0)
	global_store_b64 v[8:9], v[0:1], off
.LBB55_1030:
	s_and_not1_b32 vcc_lo, exec_lo, s1
	s_cbranch_vccnz .LBB55_1032
; %bb.1031:
	s_waitcnt vmcnt(0)
	v_cvt_f32_f64_e32 v2, v[0:1]
	global_store_b32 v[8:9], v2, off
.LBB55_1032:
	s_mov_b32 s1, 0
.LBB55_1033:
	s_delay_alu instid0(SALU_CYCLE_1)
	s_and_not1_b32 vcc_lo, exec_lo, s1
	s_cbranch_vccnz .LBB55_1035
; %bb.1034:
	s_waitcnt vmcnt(0)
	v_cvt_f32_f64_e32 v2, v[0:1]
	s_delay_alu instid0(VALU_DEP_1)
	v_cvt_f16_f32_e32 v2, v2
	global_store_b16 v[8:9], v2, off
.LBB55_1035:
	s_mov_b32 s1, 0
.LBB55_1036:
	s_delay_alu instid0(SALU_CYCLE_1)
	s_and_not1_b32 vcc_lo, exec_lo, s1
	s_cbranch_vccnz .LBB55_1052
; %bb.1037:
	v_cmp_gt_i16_e32 vcc_lo, 2, v10
	s_mov_b32 s1, -1
	s_cbranch_vccnz .LBB55_1047
; %bb.1038:
	v_cmp_gt_i16_e32 vcc_lo, 3, v10
	s_cbranch_vccnz .LBB55_1044
; %bb.1039:
	v_cmp_lt_i16_e32 vcc_lo, 3, v10
	s_cbranch_vccz .LBB55_1041
; %bb.1040:
	s_waitcnt vmcnt(0)
	v_trunc_f64_e32 v[2:3], v[0:1]
	s_mov_b32 s1, 0
	s_delay_alu instid0(VALU_DEP_1) | instskip(NEXT) | instid1(VALU_DEP_1)
	v_ldexp_f64 v[4:5], v[2:3], 0xffffffe0
	v_floor_f64_e32 v[4:5], v[4:5]
	s_delay_alu instid0(VALU_DEP_1) | instskip(SKIP_1) | instid1(VALU_DEP_2)
	v_fma_f64 v[2:3], 0xc1f00000, v[4:5], v[2:3]
	v_cvt_i32_f64_e32 v4, v[4:5]
	v_cvt_u32_f64_e32 v3, v[2:3]
	global_store_b64 v[8:9], v[3:4], off
.LBB55_1041:
	s_and_not1_b32 vcc_lo, exec_lo, s1
	s_cbranch_vccnz .LBB55_1043
; %bb.1042:
	s_waitcnt vmcnt(0)
	v_cvt_i32_f64_e32 v2, v[0:1]
	global_store_b32 v[8:9], v2, off
.LBB55_1043:
	s_mov_b32 s1, 0
.LBB55_1044:
	s_delay_alu instid0(SALU_CYCLE_1)
	s_and_not1_b32 vcc_lo, exec_lo, s1
	s_cbranch_vccnz .LBB55_1046
; %bb.1045:
	s_waitcnt vmcnt(0)
	v_cvt_i32_f64_e32 v2, v[0:1]
	global_store_b16 v[8:9], v2, off
.LBB55_1046:
	s_mov_b32 s1, 0
.LBB55_1047:
	s_delay_alu instid0(SALU_CYCLE_1)
	s_and_not1_b32 vcc_lo, exec_lo, s1
	s_cbranch_vccnz .LBB55_1052
; %bb.1048:
	v_cmp_lt_i16_e32 vcc_lo, 0, v10
	s_mov_b32 s1, -1
	s_cbranch_vccz .LBB55_1050
; %bb.1049:
	s_waitcnt vmcnt(0)
	v_cvt_i32_f64_e32 v2, v[0:1]
	s_mov_b32 s1, 0
	global_store_b8 v[8:9], v2, off
.LBB55_1050:
	s_and_not1_b32 vcc_lo, exec_lo, s1
	s_cbranch_vccnz .LBB55_1052
; %bb.1051:
	s_waitcnt vmcnt(0)
	v_trunc_f64_e32 v[0:1], v[0:1]
	s_delay_alu instid0(VALU_DEP_1) | instskip(NEXT) | instid1(VALU_DEP_1)
	v_ldexp_f64 v[2:3], v[0:1], 0xffffffe0
	v_floor_f64_e32 v[2:3], v[2:3]
	s_delay_alu instid0(VALU_DEP_1) | instskip(NEXT) | instid1(VALU_DEP_1)
	v_fma_f64 v[0:1], 0xc1f00000, v[2:3], v[0:1]
	v_cvt_u32_f64_e32 v0, v[0:1]
	global_store_b8 v[8:9], v0, off
.LBB55_1052:
	s_or_b32 exec_lo, exec_lo, s0
	s_delay_alu instid0(SALU_CYCLE_1)
	s_and_b32 s22, s23, exec_lo
                                        ; implicit-def: $vgpr61
                                        ; implicit-def: $vgpr62
                                        ; implicit-def: $vgpr60
.LBB55_1053:
	s_or_saveexec_b32 s15, s15
	s_mov_b32 s2, 0
                                        ; implicit-def: $vgpr63
                                        ; implicit-def: $vgpr4_vgpr5
                                        ; implicit-def: $vgpr2_vgpr3
	s_xor_b32 exec_lo, exec_lo, s15
	s_cbranch_execz .LBB55_2038
; %bb.1054:
	s_waitcnt vmcnt(0)
	v_mul_lo_u32 v6, s21, v61
	v_cmp_gt_i16_e32 vcc_lo, 11, v62
	s_delay_alu instid0(VALU_DEP_2) | instskip(SKIP_1) | instid1(VALU_DEP_1)
	v_ashrrev_i32_e32 v0, 31, v6
	v_add_co_u32 v4, s0, s18, v6
	v_add_co_ci_u32_e64 v5, s0, s19, v0, s0
	s_cbranch_vccnz .LBB55_1061
; %bb.1055:
	v_cmp_lt_i16_e32 vcc_lo, 25, v62
	s_mov_b32 s5, 0
	s_cbranch_vccz .LBB55_1067
; %bb.1056:
	v_cmp_lt_i16_e32 vcc_lo, 28, v62
	s_cbranch_vccz .LBB55_1070
; %bb.1057:
	v_cmp_lt_i16_e32 vcc_lo, 43, v62
	;; [unrolled: 3-line block ×3, first 2 shown]
	s_cbranch_vccz .LBB55_1076
; %bb.1059:
	v_cmp_eq_u16_e32 vcc_lo, 46, v62
	s_mov_b32 s0, 0
	s_cbranch_vccz .LBB55_1117
; %bb.1060:
	global_load_b32 v0, v[4:5], off
	s_mov_b32 s4, 0
	s_mov_b32 s2, -1
	s_waitcnt vmcnt(0)
	v_lshlrev_b32_e32 v1, 16, v0
	v_and_b32_e32 v2, 0xffff0000, v0
	s_delay_alu instid0(VALU_DEP_2) | instskip(NEXT) | instid1(VALU_DEP_2)
	v_cvt_f64_f32_e32 v[0:1], v1
	v_cvt_f64_f32_e32 v[2:3], v2
	s_branch .LBB55_1119
.LBB55_1061:
	s_mov_b32 s14, s22
                                        ; implicit-def: $vgpr2_vgpr3
	s_cbranch_execz .LBB55_1185
; %bb.1062:
	v_cmp_gt_i16_e32 vcc_lo, 5, v62
	s_cbranch_vccnz .LBB55_1068
; %bb.1063:
	v_cmp_gt_i16_e32 vcc_lo, 8, v62
	s_cbranch_vccnz .LBB55_1071
	;; [unrolled: 3-line block ×3, first 2 shown]
; %bb.1065:
	v_cmp_lt_i16_e32 vcc_lo, 9, v62
	s_cbranch_vccz .LBB55_1077
; %bb.1066:
	global_load_b128 v[0:3], v[4:5], off
	s_mov_b32 s0, 0
	s_branch .LBB55_1078
.LBB55_1067:
	s_mov_b32 s4, 0
                                        ; implicit-def: $vgpr2_vgpr3
	s_cbranch_execnz .LBB55_1151
	s_branch .LBB55_1181
.LBB55_1068:
                                        ; implicit-def: $vgpr2_vgpr3
	s_branch .LBB55_1096
.LBB55_1069:
	s_branch .LBB55_1186
.LBB55_1070:
	s_mov_b32 s4, 0
                                        ; implicit-def: $vgpr2_vgpr3
	s_cbranch_execnz .LBB55_1131
	s_branch .LBB55_1150
.LBB55_1071:
                                        ; implicit-def: $vgpr2_vgpr3
	s_branch .LBB55_1084
.LBB55_1072:
	s_mov_b32 s0, -1
	s_mov_b32 s4, 0
                                        ; implicit-def: $vgpr2_vgpr3
	s_branch .LBB55_1125
.LBB55_1073:
	s_mov_b32 s0, -1
                                        ; implicit-def: $vgpr2_vgpr3
	s_branch .LBB55_1081
.LBB55_1074:
	s_cbranch_execnz .LBB55_1115
; %bb.1075:
	s_or_b32 s23, s23, exec_lo
	s_and_not1_b32 s0, s0, exec_lo
	s_or_b32 exec_lo, exec_lo, s2
	s_and_saveexec_b32 s2, s0
	s_delay_alu instid0(SALU_CYCLE_1)
	s_xor_b32 s2, exec_lo, s2
	s_cbranch_execnz .LBB55_1013
	s_branch .LBB55_1014
.LBB55_1076:
	s_mov_b32 s0, -1
	s_mov_b32 s4, 0
	s_branch .LBB55_1118
.LBB55_1077:
	s_mov_b32 s0, -1
                                        ; implicit-def: $vgpr2_vgpr3
.LBB55_1078:
	s_delay_alu instid0(SALU_CYCLE_1)
	s_and_not1_b32 vcc_lo, exec_lo, s0
	s_cbranch_vccnz .LBB55_1080
; %bb.1079:
	global_load_b64 v[1:2], v[4:5], off
	s_waitcnt vmcnt(0)
	v_cvt_f64_f32_e32 v[0:1], v1
	v_cvt_f64_f32_e32 v[2:3], v2
.LBB55_1080:
	s_mov_b32 s0, 0
.LBB55_1081:
	s_delay_alu instid0(SALU_CYCLE_1)
	s_and_not1_b32 vcc_lo, exec_lo, s0
	s_cbranch_vccnz .LBB55_1083
; %bb.1082:
	global_load_b32 v0, v[4:5], off
	s_waitcnt vmcnt(0)
	v_lshrrev_b32_e32 v1, 16, v0
	v_cvt_f32_f16_e32 v0, v0
	s_delay_alu instid0(VALU_DEP_2) | instskip(NEXT) | instid1(VALU_DEP_2)
	v_cvt_f32_f16_e32 v2, v1
	v_cvt_f64_f32_e32 v[0:1], v0
	s_delay_alu instid0(VALU_DEP_2)
	v_cvt_f64_f32_e32 v[2:3], v2
.LBB55_1083:
	s_cbranch_execnz .LBB55_1095
.LBB55_1084:
	v_cmp_gt_i16_e32 vcc_lo, 6, v62
	s_cbranch_vccnz .LBB55_1087
; %bb.1085:
	v_cmp_lt_i16_e32 vcc_lo, 6, v62
	s_cbranch_vccz .LBB55_1088
; %bb.1086:
	global_load_b64 v[0:1], v[4:5], off
	s_mov_b32 s2, 0
	s_mov_b64 s[0:1], 0
	s_branch .LBB55_1089
.LBB55_1087:
	s_mov_b32 s2, -1
                                        ; implicit-def: $sgpr0_sgpr1
                                        ; implicit-def: $vgpr0_vgpr1
	s_branch .LBB55_1092
.LBB55_1088:
	s_mov_b32 s2, -1
                                        ; implicit-def: $sgpr0_sgpr1
                                        ; implicit-def: $vgpr0_vgpr1
.LBB55_1089:
	s_delay_alu instid0(SALU_CYCLE_1)
	s_and_not1_b32 vcc_lo, exec_lo, s2
	s_cbranch_vccnz .LBB55_1091
; %bb.1090:
	global_load_b32 v0, v[4:5], off
	s_mov_b64 s[0:1], 0
	s_waitcnt vmcnt(0)
	v_cvt_f64_f32_e32 v[0:1], v0
.LBB55_1091:
	s_mov_b32 s2, 0
.LBB55_1092:
	s_delay_alu instid0(SALU_CYCLE_1)
	s_and_not1_b32 vcc_lo, exec_lo, s2
	s_cbranch_vccnz .LBB55_1094
; %bb.1093:
	global_load_u16 v0, v[4:5], off
	s_mov_b64 s[0:1], 0
	s_waitcnt vmcnt(0)
	v_cvt_f32_f16_e32 v0, v0
	s_delay_alu instid0(VALU_DEP_1)
	v_cvt_f64_f32_e32 v[0:1], v0
.LBB55_1094:
	s_waitcnt vmcnt(0)
	v_dual_mov_b32 v3, s1 :: v_dual_mov_b32 v2, s0
.LBB55_1095:
	s_cbranch_execnz .LBB55_1069
.LBB55_1096:
	v_cmp_gt_i16_e32 vcc_lo, 2, v62
	s_cbranch_vccnz .LBB55_1100
; %bb.1097:
	v_cmp_gt_i16_e32 vcc_lo, 3, v62
	s_cbranch_vccnz .LBB55_1101
; %bb.1098:
	v_cmp_lt_i16_e32 vcc_lo, 3, v62
	s_cbranch_vccz .LBB55_1102
; %bb.1099:
	global_load_b64 v[0:1], v[4:5], off
	s_mov_b32 s2, 0
	s_mov_b64 s[0:1], 0
	s_waitcnt vmcnt(0)
	v_cvt_f64_i32_e32 v[1:2], v1
	v_cvt_f64_u32_e32 v[7:8], v0
	s_delay_alu instid0(VALU_DEP_2) | instskip(NEXT) | instid1(VALU_DEP_1)
	v_ldexp_f64 v[1:2], v[1:2], 32
	v_add_f64 v[0:1], v[1:2], v[7:8]
	s_branch .LBB55_1103
.LBB55_1100:
                                        ; implicit-def: $sgpr0_sgpr1
                                        ; implicit-def: $vgpr0_vgpr1
	s_branch .LBB55_1109
.LBB55_1101:
	s_mov_b32 s2, -1
                                        ; implicit-def: $sgpr0_sgpr1
                                        ; implicit-def: $vgpr0_vgpr1
	s_branch .LBB55_1106
.LBB55_1102:
	s_mov_b32 s2, -1
                                        ; implicit-def: $sgpr0_sgpr1
                                        ; implicit-def: $vgpr0_vgpr1
.LBB55_1103:
	s_delay_alu instid0(SALU_CYCLE_1)
	s_and_not1_b32 vcc_lo, exec_lo, s2
	s_cbranch_vccnz .LBB55_1105
; %bb.1104:
	global_load_b32 v0, v[4:5], off
	s_mov_b64 s[0:1], 0
	s_waitcnt vmcnt(0)
	v_cvt_f64_i32_e32 v[0:1], v0
.LBB55_1105:
	s_mov_b32 s2, 0
.LBB55_1106:
	s_delay_alu instid0(SALU_CYCLE_1)
	s_and_not1_b32 vcc_lo, exec_lo, s2
	s_cbranch_vccnz .LBB55_1108
; %bb.1107:
	global_load_i16 v0, v[4:5], off
	s_mov_b64 s[0:1], 0
	s_waitcnt vmcnt(0)
	v_cvt_f64_i32_e32 v[0:1], v0
.LBB55_1108:
	s_cbranch_execnz .LBB55_1114
.LBB55_1109:
	v_cmp_lt_i16_e32 vcc_lo, 0, v62
	s_mov_b32 s2, 0
	s_cbranch_vccz .LBB55_1111
; %bb.1110:
	global_load_i8 v0, v[4:5], off
	s_mov_b64 s[0:1], 0
	s_waitcnt vmcnt(0)
	v_cvt_f64_i32_e32 v[0:1], v0
	s_branch .LBB55_1112
.LBB55_1111:
	s_mov_b32 s2, -1
                                        ; implicit-def: $sgpr0_sgpr1
                                        ; implicit-def: $vgpr0_vgpr1
.LBB55_1112:
	s_delay_alu instid0(SALU_CYCLE_1)
	s_and_not1_b32 vcc_lo, exec_lo, s2
	s_cbranch_vccnz .LBB55_1114
; %bb.1113:
	global_load_u8 v0, v[4:5], off
	s_mov_b64 s[0:1], 0
	s_waitcnt vmcnt(0)
	v_cvt_f64_u32_e32 v[0:1], v0
.LBB55_1114:
	s_waitcnt vmcnt(0)
	v_dual_mov_b32 v3, s1 :: v_dual_mov_b32 v2, s0
	s_branch .LBB55_1186
.LBB55_1115:
	s_trap 2
	s_sendmsg_rtn_b32 s0, sendmsg(MSG_RTN_GET_DOORBELL)
	s_mov_b32 ttmp2, m0
	s_waitcnt lgkmcnt(0)
	s_and_b32 s0, s0, 0x3ff
	s_delay_alu instid0(SALU_CYCLE_1) | instskip(NEXT) | instid1(SALU_CYCLE_1)
	s_bitset1_b32 s0, 10
	s_mov_b32 m0, s0
	s_sendmsg sendmsg(MSG_INTERRUPT)
	s_mov_b32 m0, ttmp2
.LBB55_1116:                            ; =>This Inner Loop Header: Depth=1
	s_sethalt 5
	s_branch .LBB55_1116
.LBB55_1117:
	s_mov_b32 s4, -1
.LBB55_1118:
                                        ; implicit-def: $vgpr2_vgpr3
.LBB55_1119:
	s_and_b32 vcc_lo, exec_lo, s0
	s_cbranch_vccz .LBB55_1124
; %bb.1120:
	v_cmp_eq_u16_e32 vcc_lo, 44, v62
	s_cbranch_vccz .LBB55_1122
; %bb.1121:
	global_load_u8 v2, v[4:5], off
	s_mov_b32 s4, 0
	s_mov_b32 s2, -1
	s_mov_b64 s[0:1], 0
	s_waitcnt vmcnt(0)
	v_cmp_ne_u32_e32 vcc_lo, 0xff, v2
	v_lshlrev_b32_e32 v0, 23, v2
	s_delay_alu instid0(VALU_DEP_1) | instskip(NEXT) | instid1(VALU_DEP_1)
	v_cvt_f64_f32_e32 v[0:1], v0
	v_cndmask_b32_e32 v1, 0x7ff80000, v1, vcc_lo
	s_delay_alu instid0(VALU_DEP_2) | instskip(SKIP_1) | instid1(VALU_DEP_3)
	v_cndmask_b32_e32 v0, 0x20000000, v0, vcc_lo
	v_cmp_ne_u32_e32 vcc_lo, 0, v2
	v_cndmask_b32_e32 v1, 0x38000000, v1, vcc_lo
	s_delay_alu instid0(VALU_DEP_3)
	v_cndmask_b32_e32 v0, 0, v0, vcc_lo
	s_branch .LBB55_1123
.LBB55_1122:
	s_mov_b32 s4, -1
                                        ; implicit-def: $sgpr0_sgpr1
                                        ; implicit-def: $vgpr0_vgpr1
.LBB55_1123:
	v_dual_mov_b32 v3, s1 :: v_dual_mov_b32 v2, s0
.LBB55_1124:
	s_mov_b32 s0, 0
.LBB55_1125:
	s_delay_alu instid0(SALU_CYCLE_1)
	s_and_b32 vcc_lo, exec_lo, s0
	s_cbranch_vccz .LBB55_1130
; %bb.1126:
	v_cmp_eq_u16_e32 vcc_lo, 29, v62
	s_cbranch_vccz .LBB55_1128
; %bb.1127:
	global_load_b64 v[0:1], v[4:5], off
	s_mov_b32 s4, 0
	s_mov_b32 s2, -1
	s_mov_b64 s[0:1], 0
	s_waitcnt vmcnt(0)
	v_cvt_f64_u32_e32 v[1:2], v1
	v_cvt_f64_u32_e32 v[7:8], v0
	s_delay_alu instid0(VALU_DEP_2) | instskip(NEXT) | instid1(VALU_DEP_1)
	v_ldexp_f64 v[1:2], v[1:2], 32
	v_add_f64 v[0:1], v[1:2], v[7:8]
	s_branch .LBB55_1129
.LBB55_1128:
	s_mov_b32 s4, -1
                                        ; implicit-def: $sgpr0_sgpr1
                                        ; implicit-def: $vgpr0_vgpr1
.LBB55_1129:
	v_dual_mov_b32 v3, s1 :: v_dual_mov_b32 v2, s0
.LBB55_1130:
	s_branch .LBB55_1150
.LBB55_1131:
	v_cmp_gt_i16_e32 vcc_lo, 27, v62
	s_cbranch_vccnz .LBB55_1134
; %bb.1132:
	v_cmp_lt_i16_e32 vcc_lo, 27, v62
	s_cbranch_vccz .LBB55_1135
; %bb.1133:
	global_load_b32 v0, v[4:5], off
	s_mov_b32 s2, 0
	s_mov_b64 s[0:1], 0
	s_waitcnt vmcnt(0)
	v_cvt_f64_u32_e32 v[0:1], v0
	s_branch .LBB55_1136
.LBB55_1134:
	s_mov_b32 s2, -1
                                        ; implicit-def: $sgpr0_sgpr1
                                        ; implicit-def: $vgpr0_vgpr1
	s_branch .LBB55_1139
.LBB55_1135:
	s_mov_b32 s2, -1
                                        ; implicit-def: $sgpr0_sgpr1
                                        ; implicit-def: $vgpr0_vgpr1
.LBB55_1136:
	s_delay_alu instid0(SALU_CYCLE_1)
	s_and_not1_b32 vcc_lo, exec_lo, s2
	s_cbranch_vccnz .LBB55_1138
; %bb.1137:
	global_load_u16 v0, v[4:5], off
	s_mov_b64 s[0:1], 0
	s_waitcnt vmcnt(0)
	v_cvt_f64_u32_e32 v[0:1], v0
.LBB55_1138:
	s_mov_b32 s2, 0
.LBB55_1139:
	v_dual_mov_b32 v3, s1 :: v_dual_mov_b32 v2, s0
	s_and_not1_b32 vcc_lo, exec_lo, s2
	s_cbranch_vccnz .LBB55_1149
; %bb.1140:
	global_load_u8 v7, v[4:5], off
	s_mov_b32 s6, 0
	s_mov_b32 s7, exec_lo
                                        ; implicit-def: $sgpr0_sgpr1
                                        ; implicit-def: $sgpr2_sgpr3
	s_waitcnt vmcnt(0)
	v_cmpx_lt_i16_e32 0x7f, v7
	s_xor_b32 s7, exec_lo, s7
	s_cbranch_execz .LBB55_1144
; %bb.1141:
	s_mov_b32 s6, -1
	s_mov_b32 s8, exec_lo
                                        ; implicit-def: $sgpr0_sgpr1
                                        ; implicit-def: $sgpr2_sgpr3
	v_cmpx_eq_u16_e32 0x80, v7
; %bb.1142:
	s_mov_b64 s[0:1], 0
	s_mov_b32 s3, 0x7ff80000
	s_brev_b32 s2, 4
	s_xor_b32 s6, exec_lo, -1
; %bb.1143:
	s_or_b32 exec_lo, exec_lo, s8
	s_delay_alu instid0(SALU_CYCLE_1)
	s_and_b32 s6, s6, exec_lo
.LBB55_1144:
	s_or_saveexec_b32 s7, s7
	v_dual_mov_b32 v3, s1 :: v_dual_mov_b32 v2, s0
	v_dual_mov_b32 v0, s2 :: v_dual_mov_b32 v1, s3
	s_xor_b32 exec_lo, exec_lo, s7
; %bb.1145:
	v_mov_b32_e32 v2, 0
	v_mov_b32_e32 v3, 0
	v_cmp_ne_u16_e32 vcc_lo, 0, v7
	s_delay_alu instid0(VALU_DEP_3) | instskip(SKIP_1) | instid1(VALU_DEP_3)
	v_mov_b32_e32 v0, v2
	s_and_not1_b32 s0, s6, exec_lo
	v_mov_b32_e32 v1, v3
	s_and_b32 s1, vcc_lo, exec_lo
	s_delay_alu instid0(SALU_CYCLE_1)
	s_or_b32 s6, s0, s1
; %bb.1146:
	s_or_b32 exec_lo, exec_lo, s7
	s_and_saveexec_b32 s0, s6
	s_cbranch_execz .LBB55_1148
; %bb.1147:
	v_and_b32_e32 v0, 0xffff, v7
	v_lshlrev_b32_e32 v7, 24, v7
	s_delay_alu instid0(VALU_DEP_2) | instskip(NEXT) | instid1(VALU_DEP_1)
	v_and_b32_e32 v1, 7, v0
	v_clz_i32_u32_e32 v2, v1
	s_delay_alu instid0(VALU_DEP_1) | instskip(NEXT) | instid1(VALU_DEP_1)
	v_min_u32_e32 v2, 32, v2
	v_subrev_nc_u32_e32 v3, 28, v2
	v_sub_nc_u32_e32 v2, 29, v2
	s_delay_alu instid0(VALU_DEP_2) | instskip(SKIP_1) | instid1(VALU_DEP_2)
	v_lshlrev_b32_e32 v3, v3, v0
	v_bfe_u32 v0, v0, 3, 4
	v_and_b32_e32 v3, 7, v3
	s_delay_alu instid0(VALU_DEP_2) | instskip(NEXT) | instid1(VALU_DEP_2)
	v_cmp_eq_u32_e32 vcc_lo, 0, v0
	v_dual_cndmask_b32 v0, v0, v2 :: v_dual_cndmask_b32 v1, v1, v3
	v_and_b32_e32 v2, 0x80000000, v7
	s_delay_alu instid0(VALU_DEP_2) | instskip(NEXT) | instid1(VALU_DEP_3)
	v_lshl_add_u32 v0, v0, 23, 0x3b800000
	v_lshlrev_b32_e32 v1, 20, v1
	s_delay_alu instid0(VALU_DEP_1) | instskip(SKIP_2) | instid1(VALU_DEP_3)
	v_or3_b32 v0, v2, v0, v1
	v_mov_b32_e32 v2, 0
	v_mov_b32_e32 v3, 0
	v_cvt_f64_f32_e32 v[0:1], v0
.LBB55_1148:
	s_or_b32 exec_lo, exec_lo, s0
.LBB55_1149:
	s_mov_b32 s2, -1
.LBB55_1150:
	s_branch .LBB55_1181
.LBB55_1151:
	v_cmp_lt_i16_e32 vcc_lo, 22, v62
	s_cbranch_vccz .LBB55_1163
; %bb.1152:
	v_cmp_gt_i16_e32 vcc_lo, 24, v62
	s_cbranch_vccnz .LBB55_1164
; %bb.1153:
	v_cmp_lt_i16_e32 vcc_lo, 24, v62
	s_cbranch_vccz .LBB55_1165
; %bb.1154:
	global_load_u8 v7, v[4:5], off
	s_mov_b32 s6, exec_lo
                                        ; implicit-def: $sgpr0_sgpr1
                                        ; implicit-def: $sgpr2_sgpr3
	s_waitcnt vmcnt(0)
	v_cmpx_lt_i16_e32 0x7f, v7
	s_xor_b32 s6, exec_lo, s6
	s_cbranch_execz .LBB55_1158
; %bb.1155:
	s_mov_b32 s5, -1
	s_mov_b32 s7, exec_lo
                                        ; implicit-def: $sgpr0_sgpr1
                                        ; implicit-def: $sgpr2_sgpr3
	v_cmpx_eq_u16_e32 0x80, v7
; %bb.1156:
	s_mov_b64 s[0:1], 0
	s_mov_b32 s3, 0x7ff80000
	s_brev_b32 s2, 4
	s_xor_b32 s5, exec_lo, -1
; %bb.1157:
	s_or_b32 exec_lo, exec_lo, s7
	s_delay_alu instid0(SALU_CYCLE_1)
	s_and_b32 s5, s5, exec_lo
.LBB55_1158:
	s_or_saveexec_b32 s6, s6
	v_dual_mov_b32 v3, s1 :: v_dual_mov_b32 v2, s0
	v_dual_mov_b32 v0, s2 :: v_dual_mov_b32 v1, s3
	s_xor_b32 exec_lo, exec_lo, s6
; %bb.1159:
	v_mov_b32_e32 v2, 0
	v_mov_b32_e32 v3, 0
	v_cmp_ne_u16_e32 vcc_lo, 0, v7
	s_delay_alu instid0(VALU_DEP_3) | instskip(SKIP_1) | instid1(VALU_DEP_3)
	v_mov_b32_e32 v0, v2
	s_and_not1_b32 s0, s5, exec_lo
	v_mov_b32_e32 v1, v3
	s_and_b32 s1, vcc_lo, exec_lo
	s_delay_alu instid0(SALU_CYCLE_1)
	s_or_b32 s5, s0, s1
; %bb.1160:
	s_or_b32 exec_lo, exec_lo, s6
	s_and_saveexec_b32 s0, s5
	s_cbranch_execz .LBB55_1162
; %bb.1161:
	v_and_b32_e32 v0, 0xffff, v7
	v_lshlrev_b32_e32 v7, 24, v7
	s_delay_alu instid0(VALU_DEP_2) | instskip(NEXT) | instid1(VALU_DEP_1)
	v_and_b32_e32 v1, 3, v0
	v_clz_i32_u32_e32 v2, v1
	s_delay_alu instid0(VALU_DEP_1) | instskip(NEXT) | instid1(VALU_DEP_1)
	v_min_u32_e32 v2, 32, v2
	v_subrev_nc_u32_e32 v3, 29, v2
	v_sub_nc_u32_e32 v2, 30, v2
	s_delay_alu instid0(VALU_DEP_2) | instskip(SKIP_1) | instid1(VALU_DEP_2)
	v_lshlrev_b32_e32 v3, v3, v0
	v_bfe_u32 v0, v0, 2, 5
	v_and_b32_e32 v3, 3, v3
	s_delay_alu instid0(VALU_DEP_2) | instskip(NEXT) | instid1(VALU_DEP_2)
	v_cmp_eq_u32_e32 vcc_lo, 0, v0
	v_dual_cndmask_b32 v0, v0, v2 :: v_dual_cndmask_b32 v1, v1, v3
	v_and_b32_e32 v2, 0x80000000, v7
	s_delay_alu instid0(VALU_DEP_2) | instskip(NEXT) | instid1(VALU_DEP_3)
	v_lshl_add_u32 v0, v0, 23, 0x37800000
	v_lshlrev_b32_e32 v1, 21, v1
	s_delay_alu instid0(VALU_DEP_1) | instskip(SKIP_2) | instid1(VALU_DEP_3)
	v_or3_b32 v0, v2, v0, v1
	v_mov_b32_e32 v2, 0
	v_mov_b32_e32 v3, 0
	v_cvt_f64_f32_e32 v[0:1], v0
.LBB55_1162:
	s_or_b32 exec_lo, exec_lo, s0
	s_mov_b32 s0, 0
	s_branch .LBB55_1166
.LBB55_1163:
                                        ; implicit-def: $vgpr2_vgpr3
	s_mov_b32 s5, 0
	s_branch .LBB55_1172
.LBB55_1164:
	s_mov_b32 s0, -1
                                        ; implicit-def: $vgpr2_vgpr3
	s_branch .LBB55_1169
.LBB55_1165:
	s_mov_b32 s0, -1
                                        ; implicit-def: $vgpr2_vgpr3
.LBB55_1166:
	s_delay_alu instid0(SALU_CYCLE_1)
	s_and_b32 vcc_lo, exec_lo, s0
	s_cbranch_vccz .LBB55_1168
; %bb.1167:
	global_load_u8 v0, v[4:5], off
	s_waitcnt vmcnt(0)
	v_lshlrev_b32_e32 v0, 24, v0
	s_delay_alu instid0(VALU_DEP_1) | instskip(NEXT) | instid1(VALU_DEP_1)
	v_and_b32_e32 v1, 0x7f000000, v0
	v_clz_i32_u32_e32 v2, v1
	v_add_nc_u32_e32 v7, 0x1000000, v1
	v_cmp_ne_u32_e32 vcc_lo, 0, v1
	s_delay_alu instid0(VALU_DEP_3) | instskip(NEXT) | instid1(VALU_DEP_1)
	v_min_u32_e32 v2, 32, v2
	v_sub_nc_u32_e64 v2, v2, 4 clamp
	s_delay_alu instid0(VALU_DEP_1) | instskip(SKIP_1) | instid1(VALU_DEP_2)
	v_lshlrev_b32_e32 v3, v2, v1
	v_lshlrev_b32_e32 v2, 23, v2
	v_lshrrev_b32_e32 v3, 4, v3
	s_delay_alu instid0(VALU_DEP_1) | instskip(SKIP_1) | instid1(VALU_DEP_2)
	v_sub_nc_u32_e32 v2, v3, v2
	v_ashrrev_i32_e32 v3, 8, v7
	v_add_nc_u32_e32 v2, 0x3c000000, v2
	s_delay_alu instid0(VALU_DEP_1) | instskip(NEXT) | instid1(VALU_DEP_1)
	v_and_or_b32 v2, 0x7f800000, v3, v2
	v_dual_cndmask_b32 v1, 0, v2 :: v_dual_mov_b32 v2, 0
	v_mov_b32_e32 v3, 0
	s_delay_alu instid0(VALU_DEP_2) | instskip(NEXT) | instid1(VALU_DEP_1)
	v_and_or_b32 v0, 0x80000000, v0, v1
	v_cvt_f64_f32_e32 v[0:1], v0
.LBB55_1168:
	s_mov_b32 s0, 0
.LBB55_1169:
	s_delay_alu instid0(SALU_CYCLE_1)
	s_and_not1_b32 vcc_lo, exec_lo, s0
	s_cbranch_vccnz .LBB55_1171
; %bb.1170:
	global_load_u8 v0, v[4:5], off
	s_waitcnt vmcnt(0)
	v_lshlrev_b32_e32 v1, 25, v0
	v_lshlrev_b16 v0, 8, v0
	s_delay_alu instid0(VALU_DEP_2) | instskip(NEXT) | instid1(VALU_DEP_2)
	v_lshrrev_b32_e32 v2, 4, v1
	v_and_or_b32 v3, 0x7f00, v0, 0.5
	v_bfe_i32 v0, v0, 0, 16
	s_delay_alu instid0(VALU_DEP_3) | instskip(NEXT) | instid1(VALU_DEP_1)
	v_or_b32_e32 v2, 0x70000000, v2
	v_dual_add_f32 v3, -0.5, v3 :: v_dual_mul_f32 v2, 0x7800000, v2
	v_cmp_gt_u32_e32 vcc_lo, 0x8000000, v1
	s_delay_alu instid0(VALU_DEP_2) | instskip(SKIP_1) | instid1(VALU_DEP_2)
	v_dual_cndmask_b32 v1, v2, v3 :: v_dual_mov_b32 v2, 0
	v_mov_b32_e32 v3, 0
	v_and_or_b32 v0, 0x80000000, v0, v1
	s_delay_alu instid0(VALU_DEP_1)
	v_cvt_f64_f32_e32 v[0:1], v0
.LBB55_1171:
	s_mov_b32 s2, -1
	s_mov_b32 s5, 0
	s_cbranch_execnz .LBB55_1181
.LBB55_1172:
	v_cmp_lt_i16_e32 vcc_lo, 14, v62
	s_cbranch_vccz .LBB55_1175
; %bb.1173:
	v_cmp_eq_u16_e32 vcc_lo, 15, v62
	s_cbranch_vccz .LBB55_1176
; %bb.1174:
	global_load_u16 v0, v[4:5], off
	s_mov_b32 s4, 0
	s_mov_b32 s2, -1
	s_mov_b64 s[0:1], 0
	s_waitcnt vmcnt(0)
	v_lshlrev_b32_e32 v0, 16, v0
	s_delay_alu instid0(VALU_DEP_1)
	v_cvt_f64_f32_e32 v[0:1], v0
	s_branch .LBB55_1177
.LBB55_1175:
	s_mov_b32 s3, -1
                                        ; implicit-def: $sgpr0_sgpr1
                                        ; implicit-def: $vgpr0_vgpr1
	s_branch .LBB55_1178
.LBB55_1176:
	s_mov_b32 s4, -1
                                        ; implicit-def: $sgpr0_sgpr1
                                        ; implicit-def: $vgpr0_vgpr1
.LBB55_1177:
	s_mov_b32 s3, 0
.LBB55_1178:
	s_delay_alu instid0(SALU_CYCLE_1)
	s_and_b32 vcc_lo, exec_lo, s3
	s_cbranch_vccz .LBB55_1180
; %bb.1179:
	v_cmp_ne_u16_e64 s4, 11, v62
	s_mov_b32 s5, -1
                                        ; implicit-def: $sgpr0_sgpr1
                                        ; implicit-def: $vgpr0_vgpr1
.LBB55_1180:
	v_dual_mov_b32 v3, s1 :: v_dual_mov_b32 v2, s0
.LBB55_1181:
	s_delay_alu instid0(VALU_DEP_2)
	s_and_b32 vcc_lo, exec_lo, s4
	s_mov_b32 s14, s22
	s_cbranch_vccnz .LBB55_1206
; %bb.1182:
	s_and_not1_b32 vcc_lo, exec_lo, s5
	s_cbranch_vccnz .LBB55_1184
.LBB55_1183:
	global_load_u8 v0, v[4:5], off
	v_mov_b32_e32 v2, 0
	v_mov_b32_e32 v3, 0
	s_mov_b32 s2, -1
	s_waitcnt vmcnt(0)
	v_cmp_ne_u16_e32 vcc_lo, 0, v0
	v_mov_b32_e32 v0, 0
	v_cndmask_b32_e64 v1, 0, 0x3ff00000, vcc_lo
.LBB55_1184:
.LBB55_1185:
	s_and_not1_b32 vcc_lo, exec_lo, s2
	s_cbranch_vccnz .LBB55_2036
.LBB55_1186:
	s_lshl_b32 s4, s21, 7
	v_cmp_gt_i16_e32 vcc_lo, 11, v62
	v_add_nc_u32_e32 v6, s4, v6
	s_delay_alu instid0(VALU_DEP_1) | instskip(SKIP_1) | instid1(VALU_DEP_1)
	v_ashrrev_i32_e32 v5, 31, v6
	v_add_co_u32 v4, s0, s18, v6
	v_add_co_ci_u32_e64 v5, s0, s19, v5, s0
	s_cbranch_vccnz .LBB55_1193
; %bb.1187:
	v_cmp_lt_i16_e32 vcc_lo, 25, v62
	s_mov_b32 s6, 0
	s_cbranch_vccz .LBB55_1199
; %bb.1188:
	v_cmp_lt_i16_e32 vcc_lo, 28, v62
	s_cbranch_vccz .LBB55_1202
; %bb.1189:
	v_cmp_lt_i16_e32 vcc_lo, 43, v62
	;; [unrolled: 3-line block ×3, first 2 shown]
	s_cbranch_vccz .LBB55_1210
; %bb.1191:
	v_cmp_eq_u16_e32 vcc_lo, 46, v62
	s_mov_b32 s0, 0
	s_cbranch_vccz .LBB55_1255
; %bb.1192:
	global_load_b32 v7, v[4:5], off
	s_mov_b32 s5, 0
	s_mov_b32 s2, -1
	s_waitcnt vmcnt(0)
	v_lshlrev_b32_e32 v8, 16, v7
	v_and_b32_e32 v7, 0xffff0000, v7
	s_delay_alu instid0(VALU_DEP_2) | instskip(NEXT) | instid1(VALU_DEP_2)
	v_cvt_f64_f32_e32 v[40:41], v8
	v_cvt_f64_f32_e32 v[42:43], v7
	s_branch .LBB55_1257
.LBB55_1193:
	s_mov_b32 s2, 0
                                        ; implicit-def: $vgpr42_vgpr43
	s_cbranch_execz .LBB55_1325
; %bb.1194:
	v_cmp_gt_i16_e32 vcc_lo, 5, v62
	s_cbranch_vccnz .LBB55_1200
; %bb.1195:
	v_cmp_gt_i16_e32 vcc_lo, 8, v62
	s_cbranch_vccnz .LBB55_1203
	;; [unrolled: 3-line block ×3, first 2 shown]
; %bb.1197:
	v_cmp_lt_i16_e32 vcc_lo, 9, v62
	s_cbranch_vccz .LBB55_1211
; %bb.1198:
	global_load_b128 v[40:43], v[4:5], off
	s_mov_b32 s0, 0
	s_branch .LBB55_1212
.LBB55_1199:
	s_mov_b32 s2, 0
	s_mov_b32 s5, 0
                                        ; implicit-def: $vgpr42_vgpr43
	s_cbranch_execnz .LBB55_1290
	s_branch .LBB55_1321
.LBB55_1200:
                                        ; implicit-def: $vgpr42_vgpr43
	s_branch .LBB55_1231
.LBB55_1201:
	s_branch .LBB55_1326
.LBB55_1202:
	s_mov_b32 s0, -1
	s_mov_b32 s2, 0
	s_mov_b32 s5, 0
                                        ; implicit-def: $vgpr42_vgpr43
	s_branch .LBB55_1269
.LBB55_1203:
	s_mov_b32 s0, -1
                                        ; implicit-def: $vgpr42_vgpr43
	s_branch .LBB55_1218
.LBB55_1204:
	s_mov_b32 s0, -1
	s_mov_b32 s2, 0
	s_mov_b32 s5, 0
                                        ; implicit-def: $vgpr42_vgpr43
	s_branch .LBB55_1263
.LBB55_1205:
	s_mov_b32 s0, -1
                                        ; implicit-def: $vgpr42_vgpr43
	s_branch .LBB55_1215
.LBB55_1206:
	s_cbranch_execnz .LBB55_1251
; %bb.1207:
	s_or_b32 s14, s22, exec_lo
                                        ; implicit-def: $vgpr2_vgpr3
	s_cbranch_execz .LBB55_1183
	s_branch .LBB55_1184
.LBB55_1208:
	s_or_saveexec_b32 s3, s3
                                        ; implicit-def: $sgpr4
	s_delay_alu instid0(SALU_CYCLE_1)
	s_xor_b32 exec_lo, exec_lo, s3
	s_cbranch_execz .LBB55_964
.LBB55_1209:
	v_add_f32_e64 v5, 0x46000000, |v4|
	s_and_not1_b32 s2, s2, exec_lo
	s_mov_b32 s4, 0
	s_delay_alu instid0(VALU_DEP_1) | instskip(NEXT) | instid1(VALU_DEP_1)
	v_and_b32_e32 v5, 0xff, v5
	v_cmp_ne_u32_e32 vcc_lo, 0, v5
	s_and_b32 s5, vcc_lo, exec_lo
	s_delay_alu instid0(SALU_CYCLE_1)
	s_or_b32 s2, s2, s5
	s_or_b32 exec_lo, exec_lo, s3
	v_mov_b32_e32 v6, s4
	s_and_saveexec_b32 s3, s2
	s_cbranch_execnz .LBB55_965
	s_branch .LBB55_966
.LBB55_1210:
	s_mov_b32 s0, -1
	s_mov_b32 s2, 0
	s_mov_b32 s5, 0
	s_branch .LBB55_1256
.LBB55_1211:
	s_mov_b32 s0, -1
                                        ; implicit-def: $vgpr42_vgpr43
.LBB55_1212:
	s_delay_alu instid0(SALU_CYCLE_1)
	s_and_not1_b32 vcc_lo, exec_lo, s0
	s_cbranch_vccnz .LBB55_1214
; %bb.1213:
	global_load_b64 v[7:8], v[4:5], off
	s_waitcnt vmcnt(0)
	v_cvt_f64_f32_e32 v[40:41], v7
	v_cvt_f64_f32_e32 v[42:43], v8
.LBB55_1214:
	s_mov_b32 s0, 0
.LBB55_1215:
	s_delay_alu instid0(SALU_CYCLE_1)
	s_and_not1_b32 vcc_lo, exec_lo, s0
	s_cbranch_vccnz .LBB55_1217
; %bb.1216:
	global_load_b32 v7, v[4:5], off
	s_waitcnt vmcnt(0)
	v_lshrrev_b32_e32 v8, 16, v7
	v_cvt_f32_f16_e32 v7, v7
	s_delay_alu instid0(VALU_DEP_2) | instskip(NEXT) | instid1(VALU_DEP_2)
	v_cvt_f32_f16_e32 v8, v8
	v_cvt_f64_f32_e32 v[40:41], v7
	s_delay_alu instid0(VALU_DEP_2)
	v_cvt_f64_f32_e32 v[42:43], v8
.LBB55_1217:
	s_mov_b32 s0, 0
.LBB55_1218:
	s_delay_alu instid0(SALU_CYCLE_1)
	s_and_not1_b32 vcc_lo, exec_lo, s0
	s_cbranch_vccnz .LBB55_1230
; %bb.1219:
	v_cmp_gt_i16_e32 vcc_lo, 6, v62
	s_cbranch_vccnz .LBB55_1222
; %bb.1220:
	v_cmp_lt_i16_e32 vcc_lo, 6, v62
	s_cbranch_vccz .LBB55_1223
; %bb.1221:
	global_load_b64 v[40:41], v[4:5], off
	s_mov_b32 s2, 0
	s_mov_b64 s[0:1], 0
	s_branch .LBB55_1224
.LBB55_1222:
	s_mov_b32 s2, -1
                                        ; implicit-def: $sgpr0_sgpr1
                                        ; implicit-def: $vgpr40_vgpr41
	s_branch .LBB55_1227
.LBB55_1223:
	s_mov_b32 s2, -1
                                        ; implicit-def: $sgpr0_sgpr1
                                        ; implicit-def: $vgpr40_vgpr41
.LBB55_1224:
	s_delay_alu instid0(SALU_CYCLE_1)
	s_and_not1_b32 vcc_lo, exec_lo, s2
	s_cbranch_vccnz .LBB55_1226
; %bb.1225:
	global_load_b32 v7, v[4:5], off
	s_mov_b64 s[0:1], 0
	s_waitcnt vmcnt(0)
	v_cvt_f64_f32_e32 v[40:41], v7
.LBB55_1226:
	s_mov_b32 s2, 0
.LBB55_1227:
	s_delay_alu instid0(SALU_CYCLE_1)
	s_and_not1_b32 vcc_lo, exec_lo, s2
	s_cbranch_vccnz .LBB55_1229
; %bb.1228:
	global_load_u16 v7, v[4:5], off
	s_mov_b64 s[0:1], 0
	s_waitcnt vmcnt(0)
	v_cvt_f32_f16_e32 v7, v7
	s_delay_alu instid0(VALU_DEP_1)
	v_cvt_f64_f32_e32 v[40:41], v7
.LBB55_1229:
	s_waitcnt vmcnt(0)
	v_dual_mov_b32 v43, s1 :: v_dual_mov_b32 v42, s0
.LBB55_1230:
	s_cbranch_execnz .LBB55_1201
.LBB55_1231:
	v_cmp_gt_i16_e32 vcc_lo, 2, v62
	s_cbranch_vccnz .LBB55_1235
; %bb.1232:
	v_cmp_gt_i16_e32 vcc_lo, 3, v62
	s_cbranch_vccnz .LBB55_1236
; %bb.1233:
	v_cmp_lt_i16_e32 vcc_lo, 3, v62
	s_cbranch_vccz .LBB55_1237
; %bb.1234:
	global_load_b64 v[7:8], v[4:5], off
	s_mov_b32 s2, 0
	s_mov_b64 s[0:1], 0
	s_waitcnt vmcnt(0)
	v_cvt_f64_i32_e32 v[8:9], v8
	v_cvt_f64_u32_e32 v[10:11], v7
	s_delay_alu instid0(VALU_DEP_2) | instskip(NEXT) | instid1(VALU_DEP_1)
	v_ldexp_f64 v[8:9], v[8:9], 32
	v_add_f64 v[40:41], v[8:9], v[10:11]
	s_branch .LBB55_1238
.LBB55_1235:
	s_mov_b32 s2, -1
                                        ; implicit-def: $sgpr0_sgpr1
                                        ; implicit-def: $vgpr40_vgpr41
	s_branch .LBB55_1244
.LBB55_1236:
	s_mov_b32 s2, -1
                                        ; implicit-def: $sgpr0_sgpr1
                                        ; implicit-def: $vgpr40_vgpr41
	s_branch .LBB55_1241
.LBB55_1237:
	s_mov_b32 s2, -1
                                        ; implicit-def: $sgpr0_sgpr1
                                        ; implicit-def: $vgpr40_vgpr41
.LBB55_1238:
	s_delay_alu instid0(SALU_CYCLE_1)
	s_and_not1_b32 vcc_lo, exec_lo, s2
	s_cbranch_vccnz .LBB55_1240
; %bb.1239:
	global_load_b32 v7, v[4:5], off
	s_mov_b64 s[0:1], 0
	s_waitcnt vmcnt(0)
	v_cvt_f64_i32_e32 v[40:41], v7
.LBB55_1240:
	s_mov_b32 s2, 0
.LBB55_1241:
	s_delay_alu instid0(SALU_CYCLE_1)
	s_and_not1_b32 vcc_lo, exec_lo, s2
	s_cbranch_vccnz .LBB55_1243
; %bb.1242:
	global_load_i16 v7, v[4:5], off
	s_mov_b64 s[0:1], 0
	s_waitcnt vmcnt(0)
	v_cvt_f64_i32_e32 v[40:41], v7
.LBB55_1243:
	s_mov_b32 s2, 0
.LBB55_1244:
	s_delay_alu instid0(SALU_CYCLE_1)
	s_and_not1_b32 vcc_lo, exec_lo, s2
	s_cbranch_vccnz .LBB55_1250
; %bb.1245:
	v_cmp_lt_i16_e32 vcc_lo, 0, v62
	s_mov_b32 s2, 0
	s_cbranch_vccz .LBB55_1247
; %bb.1246:
	global_load_i8 v7, v[4:5], off
	s_mov_b64 s[0:1], 0
	s_waitcnt vmcnt(0)
	v_cvt_f64_i32_e32 v[40:41], v7
	s_branch .LBB55_1248
.LBB55_1247:
	s_mov_b32 s2, -1
                                        ; implicit-def: $sgpr0_sgpr1
                                        ; implicit-def: $vgpr40_vgpr41
.LBB55_1248:
	s_delay_alu instid0(SALU_CYCLE_1)
	s_and_not1_b32 vcc_lo, exec_lo, s2
	s_cbranch_vccnz .LBB55_1250
; %bb.1249:
	global_load_u8 v4, v[4:5], off
	s_mov_b64 s[0:1], 0
	s_waitcnt vmcnt(0)
	v_cvt_f64_u32_e32 v[40:41], v4
.LBB55_1250:
	s_waitcnt vmcnt(0)
	v_dual_mov_b32 v43, s1 :: v_dual_mov_b32 v42, s0
	s_branch .LBB55_1326
.LBB55_1251:
	s_trap 2
	s_sendmsg_rtn_b32 s0, sendmsg(MSG_RTN_GET_DOORBELL)
	s_mov_b32 ttmp2, m0
	s_waitcnt lgkmcnt(0)
	s_and_b32 s0, s0, 0x3ff
	s_delay_alu instid0(SALU_CYCLE_1) | instskip(NEXT) | instid1(SALU_CYCLE_1)
	s_bitset1_b32 s0, 10
	s_mov_b32 m0, s0
	s_sendmsg sendmsg(MSG_INTERRUPT)
	s_mov_b32 m0, ttmp2
.LBB55_1252:                            ; =>This Inner Loop Header: Depth=1
	s_sethalt 5
	s_branch .LBB55_1252
.LBB55_1253:
	s_or_saveexec_b32 s4, s4
                                        ; implicit-def: $sgpr5
	s_delay_alu instid0(SALU_CYCLE_1)
	s_xor_b32 exec_lo, exec_lo, s4
	s_cbranch_execz .LBB55_976
.LBB55_1254:
	v_add_f32_e64 v5, 0x42800000, |v4|
	s_and_not1_b32 s3, s3, exec_lo
	s_mov_b32 s5, 0
	s_delay_alu instid0(VALU_DEP_1) | instskip(NEXT) | instid1(VALU_DEP_1)
	v_and_b32_e32 v5, 0xff, v5
	v_cmp_ne_u32_e32 vcc_lo, 0, v5
	s_and_b32 s6, vcc_lo, exec_lo
	s_delay_alu instid0(SALU_CYCLE_1)
	s_or_b32 s3, s3, s6
	s_or_b32 exec_lo, exec_lo, s4
	v_mov_b32_e32 v6, s5
	s_and_saveexec_b32 s4, s3
	s_cbranch_execnz .LBB55_977
	s_branch .LBB55_978
.LBB55_1255:
	s_mov_b32 s5, -1
	s_mov_b32 s2, 0
.LBB55_1256:
                                        ; implicit-def: $vgpr42_vgpr43
.LBB55_1257:
	s_and_b32 vcc_lo, exec_lo, s0
	s_cbranch_vccz .LBB55_1262
; %bb.1258:
	v_cmp_eq_u16_e32 vcc_lo, 44, v62
	s_cbranch_vccz .LBB55_1260
; %bb.1259:
	global_load_u8 v9, v[4:5], off
	s_mov_b32 s5, 0
	s_mov_b32 s2, -1
	s_mov_b64 s[0:1], 0
	s_waitcnt vmcnt(0)
	v_cmp_ne_u32_e32 vcc_lo, 0xff, v9
	v_lshlrev_b32_e32 v7, 23, v9
	s_delay_alu instid0(VALU_DEP_1) | instskip(NEXT) | instid1(VALU_DEP_1)
	v_cvt_f64_f32_e32 v[7:8], v7
	v_cndmask_b32_e32 v8, 0x7ff80000, v8, vcc_lo
	s_delay_alu instid0(VALU_DEP_2) | instskip(SKIP_1) | instid1(VALU_DEP_3)
	v_cndmask_b32_e32 v7, 0x20000000, v7, vcc_lo
	v_cmp_ne_u32_e32 vcc_lo, 0, v9
	v_cndmask_b32_e32 v41, 0x38000000, v8, vcc_lo
	s_delay_alu instid0(VALU_DEP_3)
	v_cndmask_b32_e32 v40, 0, v7, vcc_lo
	s_branch .LBB55_1261
.LBB55_1260:
	s_mov_b32 s5, -1
                                        ; implicit-def: $sgpr0_sgpr1
                                        ; implicit-def: $vgpr40_vgpr41
.LBB55_1261:
	v_dual_mov_b32 v43, s1 :: v_dual_mov_b32 v42, s0
.LBB55_1262:
	s_mov_b32 s0, 0
.LBB55_1263:
	s_delay_alu instid0(SALU_CYCLE_1)
	s_and_b32 vcc_lo, exec_lo, s0
	s_cbranch_vccz .LBB55_1268
; %bb.1264:
	v_cmp_eq_u16_e32 vcc_lo, 29, v62
	s_cbranch_vccz .LBB55_1266
; %bb.1265:
	global_load_b64 v[7:8], v[4:5], off
	s_mov_b32 s5, 0
	s_mov_b32 s2, -1
	s_mov_b64 s[0:1], 0
	s_waitcnt vmcnt(0)
	v_cvt_f64_u32_e32 v[8:9], v8
	v_cvt_f64_u32_e32 v[10:11], v7
	s_delay_alu instid0(VALU_DEP_2) | instskip(NEXT) | instid1(VALU_DEP_1)
	v_ldexp_f64 v[8:9], v[8:9], 32
	v_add_f64 v[40:41], v[8:9], v[10:11]
	s_branch .LBB55_1267
.LBB55_1266:
	s_mov_b32 s5, -1
                                        ; implicit-def: $sgpr0_sgpr1
                                        ; implicit-def: $vgpr40_vgpr41
.LBB55_1267:
	v_dual_mov_b32 v43, s1 :: v_dual_mov_b32 v42, s0
.LBB55_1268:
	s_mov_b32 s0, 0
.LBB55_1269:
	s_delay_alu instid0(SALU_CYCLE_1)
	s_and_b32 vcc_lo, exec_lo, s0
	s_cbranch_vccz .LBB55_1289
; %bb.1270:
	v_cmp_gt_i16_e32 vcc_lo, 27, v62
	s_cbranch_vccnz .LBB55_1273
; %bb.1271:
	v_cmp_lt_i16_e32 vcc_lo, 27, v62
	s_cbranch_vccz .LBB55_1274
; %bb.1272:
	global_load_b32 v7, v[4:5], off
	s_mov_b32 s2, 0
	s_mov_b64 s[0:1], 0
	s_waitcnt vmcnt(0)
	v_cvt_f64_u32_e32 v[40:41], v7
	s_branch .LBB55_1275
.LBB55_1273:
	s_mov_b32 s2, -1
                                        ; implicit-def: $sgpr0_sgpr1
                                        ; implicit-def: $vgpr40_vgpr41
	s_branch .LBB55_1278
.LBB55_1274:
	s_mov_b32 s2, -1
                                        ; implicit-def: $sgpr0_sgpr1
                                        ; implicit-def: $vgpr40_vgpr41
.LBB55_1275:
	s_delay_alu instid0(SALU_CYCLE_1)
	s_and_not1_b32 vcc_lo, exec_lo, s2
	s_cbranch_vccnz .LBB55_1277
; %bb.1276:
	global_load_u16 v7, v[4:5], off
	s_mov_b64 s[0:1], 0
	s_waitcnt vmcnt(0)
	v_cvt_f64_u32_e32 v[40:41], v7
.LBB55_1277:
	s_mov_b32 s2, 0
.LBB55_1278:
	v_dual_mov_b32 v43, s1 :: v_dual_mov_b32 v42, s0
	s_and_not1_b32 vcc_lo, exec_lo, s2
	s_cbranch_vccnz .LBB55_1288
; %bb.1279:
	global_load_u8 v7, v[4:5], off
	s_mov_b32 s7, 0
	s_mov_b32 s8, exec_lo
                                        ; implicit-def: $sgpr0_sgpr1
                                        ; implicit-def: $sgpr2_sgpr3
	s_waitcnt vmcnt(0)
	v_cmpx_lt_i16_e32 0x7f, v7
	s_xor_b32 s8, exec_lo, s8
	s_cbranch_execz .LBB55_1283
; %bb.1280:
	s_mov_b32 s7, -1
	s_mov_b32 s9, exec_lo
                                        ; implicit-def: $sgpr0_sgpr1
                                        ; implicit-def: $sgpr2_sgpr3
	v_cmpx_eq_u16_e32 0x80, v7
; %bb.1281:
	s_mov_b64 s[0:1], 0
	s_mov_b32 s3, 0x7ff80000
	s_brev_b32 s2, 4
	s_xor_b32 s7, exec_lo, -1
; %bb.1282:
	s_or_b32 exec_lo, exec_lo, s9
	s_delay_alu instid0(SALU_CYCLE_1)
	s_and_b32 s7, s7, exec_lo
.LBB55_1283:
	s_or_saveexec_b32 s8, s8
	v_dual_mov_b32 v43, s1 :: v_dual_mov_b32 v42, s0
	v_dual_mov_b32 v41, s3 :: v_dual_mov_b32 v40, s2
	s_xor_b32 exec_lo, exec_lo, s8
; %bb.1284:
	v_mov_b32_e32 v42, 0
	v_mov_b32_e32 v43, 0
	v_cmp_ne_u16_e32 vcc_lo, 0, v7
	s_delay_alu instid0(VALU_DEP_3) | instskip(SKIP_1) | instid1(VALU_DEP_3)
	v_mov_b32_e32 v40, v42
	s_and_not1_b32 s0, s7, exec_lo
	v_mov_b32_e32 v41, v43
	s_and_b32 s1, vcc_lo, exec_lo
	s_delay_alu instid0(SALU_CYCLE_1)
	s_or_b32 s7, s0, s1
; %bb.1285:
	s_or_b32 exec_lo, exec_lo, s8
	s_and_saveexec_b32 s0, s7
	s_cbranch_execz .LBB55_1287
; %bb.1286:
	v_and_b32_e32 v8, 0xffff, v7
	v_dual_mov_b32 v42, 0 :: v_dual_lshlrev_b32 v7, 24, v7
	v_mov_b32_e32 v43, 0
	s_delay_alu instid0(VALU_DEP_3) | instskip(NEXT) | instid1(VALU_DEP_3)
	v_and_b32_e32 v9, 7, v8
	v_and_b32_e32 v7, 0x80000000, v7
	s_delay_alu instid0(VALU_DEP_2) | instskip(NEXT) | instid1(VALU_DEP_1)
	v_clz_i32_u32_e32 v10, v9
	v_min_u32_e32 v10, 32, v10
	s_delay_alu instid0(VALU_DEP_1) | instskip(SKIP_1) | instid1(VALU_DEP_2)
	v_subrev_nc_u32_e32 v11, 28, v10
	v_sub_nc_u32_e32 v10, 29, v10
	v_lshlrev_b32_e32 v11, v11, v8
	v_bfe_u32 v8, v8, 3, 4
	s_delay_alu instid0(VALU_DEP_2) | instskip(NEXT) | instid1(VALU_DEP_2)
	v_and_b32_e32 v11, 7, v11
	v_cmp_eq_u32_e32 vcc_lo, 0, v8
	s_delay_alu instid0(VALU_DEP_2) | instskip(NEXT) | instid1(VALU_DEP_1)
	v_dual_cndmask_b32 v8, v8, v10 :: v_dual_cndmask_b32 v9, v9, v11
	v_lshl_add_u32 v8, v8, 23, 0x3b800000
	s_delay_alu instid0(VALU_DEP_2) | instskip(NEXT) | instid1(VALU_DEP_1)
	v_lshlrev_b32_e32 v9, 20, v9
	v_or3_b32 v7, v7, v8, v9
	s_delay_alu instid0(VALU_DEP_1)
	v_cvt_f64_f32_e32 v[40:41], v7
.LBB55_1287:
	s_or_b32 exec_lo, exec_lo, s0
.LBB55_1288:
	s_mov_b32 s2, -1
.LBB55_1289:
	s_branch .LBB55_1321
.LBB55_1290:
	v_cmp_lt_i16_e32 vcc_lo, 22, v62
	s_cbranch_vccz .LBB55_1302
; %bb.1291:
	v_cmp_gt_i16_e32 vcc_lo, 24, v62
	s_cbranch_vccnz .LBB55_1303
; %bb.1292:
	v_cmp_lt_i16_e32 vcc_lo, 24, v62
	s_cbranch_vccz .LBB55_1304
; %bb.1293:
	global_load_u8 v7, v[4:5], off
	s_mov_b32 s7, exec_lo
                                        ; implicit-def: $sgpr0_sgpr1
                                        ; implicit-def: $sgpr2_sgpr3
	s_waitcnt vmcnt(0)
	v_cmpx_lt_i16_e32 0x7f, v7
	s_xor_b32 s7, exec_lo, s7
	s_cbranch_execz .LBB55_1297
; %bb.1294:
	s_mov_b32 s6, -1
	s_mov_b32 s8, exec_lo
                                        ; implicit-def: $sgpr0_sgpr1
                                        ; implicit-def: $sgpr2_sgpr3
	v_cmpx_eq_u16_e32 0x80, v7
; %bb.1295:
	s_mov_b64 s[0:1], 0
	s_mov_b32 s3, 0x7ff80000
	s_brev_b32 s2, 4
	s_xor_b32 s6, exec_lo, -1
; %bb.1296:
	s_or_b32 exec_lo, exec_lo, s8
	s_delay_alu instid0(SALU_CYCLE_1)
	s_and_b32 s6, s6, exec_lo
.LBB55_1297:
	s_or_saveexec_b32 s7, s7
	v_dual_mov_b32 v43, s1 :: v_dual_mov_b32 v42, s0
	v_dual_mov_b32 v41, s3 :: v_dual_mov_b32 v40, s2
	s_xor_b32 exec_lo, exec_lo, s7
; %bb.1298:
	v_mov_b32_e32 v42, 0
	v_mov_b32_e32 v43, 0
	v_cmp_ne_u16_e32 vcc_lo, 0, v7
	s_delay_alu instid0(VALU_DEP_3) | instskip(SKIP_1) | instid1(VALU_DEP_3)
	v_mov_b32_e32 v40, v42
	s_and_not1_b32 s0, s6, exec_lo
	v_mov_b32_e32 v41, v43
	s_and_b32 s1, vcc_lo, exec_lo
	s_delay_alu instid0(SALU_CYCLE_1)
	s_or_b32 s6, s0, s1
; %bb.1299:
	s_or_b32 exec_lo, exec_lo, s7
	s_and_saveexec_b32 s0, s6
	s_cbranch_execz .LBB55_1301
; %bb.1300:
	v_and_b32_e32 v8, 0xffff, v7
	v_dual_mov_b32 v42, 0 :: v_dual_lshlrev_b32 v7, 24, v7
	v_mov_b32_e32 v43, 0
	s_delay_alu instid0(VALU_DEP_3) | instskip(NEXT) | instid1(VALU_DEP_3)
	v_and_b32_e32 v9, 3, v8
	v_and_b32_e32 v7, 0x80000000, v7
	s_delay_alu instid0(VALU_DEP_2) | instskip(NEXT) | instid1(VALU_DEP_1)
	v_clz_i32_u32_e32 v10, v9
	v_min_u32_e32 v10, 32, v10
	s_delay_alu instid0(VALU_DEP_1) | instskip(SKIP_1) | instid1(VALU_DEP_2)
	v_subrev_nc_u32_e32 v11, 29, v10
	v_sub_nc_u32_e32 v10, 30, v10
	v_lshlrev_b32_e32 v11, v11, v8
	v_bfe_u32 v8, v8, 2, 5
	s_delay_alu instid0(VALU_DEP_2) | instskip(NEXT) | instid1(VALU_DEP_2)
	v_and_b32_e32 v11, 3, v11
	v_cmp_eq_u32_e32 vcc_lo, 0, v8
	s_delay_alu instid0(VALU_DEP_2) | instskip(NEXT) | instid1(VALU_DEP_1)
	v_dual_cndmask_b32 v8, v8, v10 :: v_dual_cndmask_b32 v9, v9, v11
	v_lshl_add_u32 v8, v8, 23, 0x37800000
	s_delay_alu instid0(VALU_DEP_2) | instskip(NEXT) | instid1(VALU_DEP_1)
	v_lshlrev_b32_e32 v9, 21, v9
	v_or3_b32 v7, v7, v8, v9
	s_delay_alu instid0(VALU_DEP_1)
	v_cvt_f64_f32_e32 v[40:41], v7
.LBB55_1301:
	s_or_b32 exec_lo, exec_lo, s0
	s_mov_b32 s0, 0
	s_branch .LBB55_1305
.LBB55_1302:
	s_mov_b32 s0, -1
                                        ; implicit-def: $vgpr42_vgpr43
	s_branch .LBB55_1311
.LBB55_1303:
	s_mov_b32 s0, -1
                                        ; implicit-def: $vgpr42_vgpr43
	s_branch .LBB55_1308
.LBB55_1304:
	s_mov_b32 s0, -1
                                        ; implicit-def: $vgpr42_vgpr43
.LBB55_1305:
	s_delay_alu instid0(SALU_CYCLE_1)
	s_and_b32 vcc_lo, exec_lo, s0
	s_cbranch_vccz .LBB55_1307
; %bb.1306:
	global_load_u8 v7, v[4:5], off
	v_mov_b32_e32 v42, 0
	v_mov_b32_e32 v43, 0
	s_waitcnt vmcnt(0)
	v_lshlrev_b32_e32 v7, 24, v7
	s_delay_alu instid0(VALU_DEP_1) | instskip(NEXT) | instid1(VALU_DEP_1)
	v_and_b32_e32 v8, 0x7f000000, v7
	v_clz_i32_u32_e32 v9, v8
	v_add_nc_u32_e32 v11, 0x1000000, v8
	v_cmp_ne_u32_e32 vcc_lo, 0, v8
	s_delay_alu instid0(VALU_DEP_3) | instskip(NEXT) | instid1(VALU_DEP_1)
	v_min_u32_e32 v9, 32, v9
	v_sub_nc_u32_e64 v9, v9, 4 clamp
	s_delay_alu instid0(VALU_DEP_1) | instskip(SKIP_1) | instid1(VALU_DEP_2)
	v_lshlrev_b32_e32 v10, v9, v8
	v_lshlrev_b32_e32 v9, 23, v9
	v_lshrrev_b32_e32 v10, 4, v10
	s_delay_alu instid0(VALU_DEP_1) | instskip(SKIP_1) | instid1(VALU_DEP_2)
	v_sub_nc_u32_e32 v9, v10, v9
	v_ashrrev_i32_e32 v10, 8, v11
	v_add_nc_u32_e32 v9, 0x3c000000, v9
	s_delay_alu instid0(VALU_DEP_1) | instskip(NEXT) | instid1(VALU_DEP_1)
	v_and_or_b32 v9, 0x7f800000, v10, v9
	v_cndmask_b32_e32 v8, 0, v9, vcc_lo
	s_delay_alu instid0(VALU_DEP_1) | instskip(NEXT) | instid1(VALU_DEP_1)
	v_and_or_b32 v7, 0x80000000, v7, v8
	v_cvt_f64_f32_e32 v[40:41], v7
.LBB55_1307:
	s_mov_b32 s0, 0
.LBB55_1308:
	s_delay_alu instid0(SALU_CYCLE_1)
	s_and_not1_b32 vcc_lo, exec_lo, s0
	s_cbranch_vccnz .LBB55_1310
; %bb.1309:
	global_load_u8 v7, v[4:5], off
	v_mov_b32_e32 v42, 0
	s_waitcnt vmcnt(0)
	v_dual_mov_b32 v43, 0 :: v_dual_lshlrev_b32 v8, 25, v7
	v_lshlrev_b16 v7, 8, v7
	s_delay_alu instid0(VALU_DEP_2) | instskip(NEXT) | instid1(VALU_DEP_2)
	v_lshrrev_b32_e32 v9, 4, v8
	v_and_or_b32 v10, 0x7f00, v7, 0.5
	v_bfe_i32 v7, v7, 0, 16
	s_delay_alu instid0(VALU_DEP_3) | instskip(NEXT) | instid1(VALU_DEP_1)
	v_or_b32_e32 v9, 0x70000000, v9
	v_dual_add_f32 v10, -0.5, v10 :: v_dual_mul_f32 v9, 0x7800000, v9
	v_cmp_gt_u32_e32 vcc_lo, 0x8000000, v8
	s_delay_alu instid0(VALU_DEP_2) | instskip(NEXT) | instid1(VALU_DEP_1)
	v_cndmask_b32_e32 v8, v9, v10, vcc_lo
	v_and_or_b32 v7, 0x80000000, v7, v8
	s_delay_alu instid0(VALU_DEP_1)
	v_cvt_f64_f32_e32 v[40:41], v7
.LBB55_1310:
	s_mov_b32 s0, 0
	s_mov_b32 s2, -1
.LBB55_1311:
	s_and_not1_b32 vcc_lo, exec_lo, s0
	s_mov_b32 s6, 0
	s_cbranch_vccnz .LBB55_1321
; %bb.1312:
	v_cmp_lt_i16_e32 vcc_lo, 14, v62
	s_cbranch_vccz .LBB55_1315
; %bb.1313:
	v_cmp_eq_u16_e32 vcc_lo, 15, v62
	s_cbranch_vccz .LBB55_1316
; %bb.1314:
	global_load_u16 v7, v[4:5], off
	s_mov_b32 s5, 0
	s_mov_b32 s2, -1
	s_mov_b64 s[0:1], 0
	s_waitcnt vmcnt(0)
	v_lshlrev_b32_e32 v7, 16, v7
	s_delay_alu instid0(VALU_DEP_1)
	v_cvt_f64_f32_e32 v[40:41], v7
	s_branch .LBB55_1317
.LBB55_1315:
	s_mov_b32 s3, -1
                                        ; implicit-def: $sgpr0_sgpr1
                                        ; implicit-def: $vgpr40_vgpr41
	s_branch .LBB55_1318
.LBB55_1316:
	s_mov_b32 s5, -1
                                        ; implicit-def: $sgpr0_sgpr1
                                        ; implicit-def: $vgpr40_vgpr41
.LBB55_1317:
	s_mov_b32 s3, 0
.LBB55_1318:
	s_delay_alu instid0(SALU_CYCLE_1)
	s_and_b32 vcc_lo, exec_lo, s3
	s_cbranch_vccz .LBB55_1320
; %bb.1319:
	v_cmp_ne_u16_e64 s5, 11, v62
	s_mov_b32 s6, -1
                                        ; implicit-def: $sgpr0_sgpr1
                                        ; implicit-def: $vgpr40_vgpr41
.LBB55_1320:
	v_dual_mov_b32 v43, s1 :: v_dual_mov_b32 v42, s0
.LBB55_1321:
	s_delay_alu instid0(VALU_DEP_2)
	s_and_b32 vcc_lo, exec_lo, s5
	s_cbranch_vccnz .LBB55_1345
; %bb.1322:
	s_and_not1_b32 vcc_lo, exec_lo, s6
	s_cbranch_vccnz .LBB55_1324
.LBB55_1323:
	global_load_u8 v7, v[4:5], off
	v_mov_b32_e32 v42, 0
	v_dual_mov_b32 v43, 0 :: v_dual_mov_b32 v40, 0
	s_mov_b32 s2, -1
	s_waitcnt vmcnt(0)
	v_cmp_ne_u16_e32 vcc_lo, 0, v7
	v_cndmask_b32_e64 v41, 0, 0x3ff00000, vcc_lo
.LBB55_1324:
.LBB55_1325:
	s_and_not1_b32 vcc_lo, exec_lo, s2
	s_cbranch_vccnz .LBB55_2036
.LBB55_1326:
	v_add_nc_u32_e32 v6, s4, v6
	v_cmp_gt_i16_e32 vcc_lo, 11, v62
	s_delay_alu instid0(VALU_DEP_2) | instskip(SKIP_1) | instid1(VALU_DEP_1)
	v_ashrrev_i32_e32 v5, 31, v6
	v_add_co_u32 v4, s0, s18, v6
	v_add_co_ci_u32_e64 v5, s0, s19, v5, s0
	s_cbranch_vccnz .LBB55_1333
; %bb.1327:
	v_cmp_lt_i16_e32 vcc_lo, 25, v62
	s_mov_b32 s6, 0
	s_cbranch_vccz .LBB55_1339
; %bb.1328:
	v_cmp_lt_i16_e32 vcc_lo, 28, v62
	s_cbranch_vccz .LBB55_1341
; %bb.1329:
	v_cmp_lt_i16_e32 vcc_lo, 43, v62
	;; [unrolled: 3-line block ×3, first 2 shown]
	s_cbranch_vccz .LBB55_1347
; %bb.1331:
	v_cmp_eq_u16_e32 vcc_lo, 46, v62
	s_mov_b32 s0, 0
	s_cbranch_vccz .LBB55_1392
; %bb.1332:
	global_load_b32 v7, v[4:5], off
	s_mov_b32 s5, 0
	s_mov_b32 s2, -1
	s_waitcnt vmcnt(0)
	v_lshlrev_b32_e32 v8, 16, v7
	v_and_b32_e32 v7, 0xffff0000, v7
	s_delay_alu instid0(VALU_DEP_2) | instskip(NEXT) | instid1(VALU_DEP_2)
	v_cvt_f64_f32_e32 v[44:45], v8
	v_cvt_f64_f32_e32 v[46:47], v7
	s_branch .LBB55_1394
.LBB55_1333:
	s_mov_b32 s2, 0
                                        ; implicit-def: $vgpr46_vgpr47
	s_cbranch_execz .LBB55_1463
; %bb.1334:
	v_cmp_gt_i16_e32 vcc_lo, 5, v62
	s_cbranch_vccnz .LBB55_1340
; %bb.1335:
	v_cmp_gt_i16_e32 vcc_lo, 8, v62
	s_cbranch_vccnz .LBB55_1342
	;; [unrolled: 3-line block ×3, first 2 shown]
; %bb.1337:
	v_cmp_lt_i16_e32 vcc_lo, 9, v62
	s_cbranch_vccz .LBB55_1348
; %bb.1338:
	global_load_b128 v[44:47], v[4:5], off
	s_mov_b32 s0, 0
	s_branch .LBB55_1349
.LBB55_1339:
	s_mov_b32 s0, -1
	s_mov_b32 s2, 0
	s_mov_b32 s5, 0
                                        ; implicit-def: $vgpr46_vgpr47
	s_branch .LBB55_1427
.LBB55_1340:
	s_mov_b32 s0, -1
                                        ; implicit-def: $vgpr46_vgpr47
	s_branch .LBB55_1368
.LBB55_1341:
	s_mov_b32 s0, -1
	s_mov_b32 s2, 0
	s_mov_b32 s5, 0
                                        ; implicit-def: $vgpr46_vgpr47
	s_branch .LBB55_1406
.LBB55_1342:
	s_mov_b32 s0, -1
                                        ; implicit-def: $vgpr46_vgpr47
	s_branch .LBB55_1355
.LBB55_1343:
	s_mov_b32 s0, -1
	s_mov_b32 s2, 0
	s_mov_b32 s5, 0
                                        ; implicit-def: $vgpr46_vgpr47
	s_branch .LBB55_1400
.LBB55_1344:
	s_mov_b32 s0, -1
                                        ; implicit-def: $vgpr46_vgpr47
	s_branch .LBB55_1352
.LBB55_1345:
	s_cbranch_execnz .LBB55_1390
; %bb.1346:
	s_or_b32 s14, s14, exec_lo
                                        ; implicit-def: $vgpr42_vgpr43
	s_cbranch_execz .LBB55_1323
	s_branch .LBB55_1324
.LBB55_1347:
	s_mov_b32 s0, -1
	s_mov_b32 s2, 0
	s_mov_b32 s5, 0
	s_branch .LBB55_1393
.LBB55_1348:
	s_mov_b32 s0, -1
                                        ; implicit-def: $vgpr46_vgpr47
.LBB55_1349:
	s_delay_alu instid0(SALU_CYCLE_1)
	s_and_not1_b32 vcc_lo, exec_lo, s0
	s_cbranch_vccnz .LBB55_1351
; %bb.1350:
	global_load_b64 v[7:8], v[4:5], off
	s_waitcnt vmcnt(0)
	v_cvt_f64_f32_e32 v[44:45], v7
	v_cvt_f64_f32_e32 v[46:47], v8
.LBB55_1351:
	s_mov_b32 s0, 0
.LBB55_1352:
	s_delay_alu instid0(SALU_CYCLE_1)
	s_and_not1_b32 vcc_lo, exec_lo, s0
	s_cbranch_vccnz .LBB55_1354
; %bb.1353:
	global_load_b32 v7, v[4:5], off
	s_waitcnt vmcnt(0)
	v_lshrrev_b32_e32 v8, 16, v7
	v_cvt_f32_f16_e32 v7, v7
	s_delay_alu instid0(VALU_DEP_2) | instskip(NEXT) | instid1(VALU_DEP_2)
	v_cvt_f32_f16_e32 v8, v8
	v_cvt_f64_f32_e32 v[44:45], v7
	s_delay_alu instid0(VALU_DEP_2)
	v_cvt_f64_f32_e32 v[46:47], v8
.LBB55_1354:
	s_mov_b32 s0, 0
.LBB55_1355:
	s_delay_alu instid0(SALU_CYCLE_1)
	s_and_not1_b32 vcc_lo, exec_lo, s0
	s_cbranch_vccnz .LBB55_1367
; %bb.1356:
	v_cmp_gt_i16_e32 vcc_lo, 6, v62
	s_cbranch_vccnz .LBB55_1359
; %bb.1357:
	v_cmp_lt_i16_e32 vcc_lo, 6, v62
	s_cbranch_vccz .LBB55_1360
; %bb.1358:
	global_load_b64 v[44:45], v[4:5], off
	s_mov_b32 s2, 0
	s_mov_b64 s[0:1], 0
	s_branch .LBB55_1361
.LBB55_1359:
	s_mov_b32 s2, -1
                                        ; implicit-def: $sgpr0_sgpr1
                                        ; implicit-def: $vgpr44_vgpr45
	s_branch .LBB55_1364
.LBB55_1360:
	s_mov_b32 s2, -1
                                        ; implicit-def: $sgpr0_sgpr1
                                        ; implicit-def: $vgpr44_vgpr45
.LBB55_1361:
	s_delay_alu instid0(SALU_CYCLE_1)
	s_and_not1_b32 vcc_lo, exec_lo, s2
	s_cbranch_vccnz .LBB55_1363
; %bb.1362:
	global_load_b32 v7, v[4:5], off
	s_mov_b64 s[0:1], 0
	s_waitcnt vmcnt(0)
	v_cvt_f64_f32_e32 v[44:45], v7
.LBB55_1363:
	s_mov_b32 s2, 0
.LBB55_1364:
	s_delay_alu instid0(SALU_CYCLE_1)
	s_and_not1_b32 vcc_lo, exec_lo, s2
	s_cbranch_vccnz .LBB55_1366
; %bb.1365:
	global_load_u16 v7, v[4:5], off
	s_mov_b64 s[0:1], 0
	s_waitcnt vmcnt(0)
	v_cvt_f32_f16_e32 v7, v7
	s_delay_alu instid0(VALU_DEP_1)
	v_cvt_f64_f32_e32 v[44:45], v7
.LBB55_1366:
	s_waitcnt vmcnt(0)
	v_dual_mov_b32 v47, s1 :: v_dual_mov_b32 v46, s0
.LBB55_1367:
	s_mov_b32 s0, 0
.LBB55_1368:
	s_delay_alu instid0(SALU_CYCLE_1)
	s_and_not1_b32 vcc_lo, exec_lo, s0
	s_cbranch_vccnz .LBB55_1389
; %bb.1369:
	v_cmp_gt_i16_e32 vcc_lo, 2, v62
	s_cbranch_vccnz .LBB55_1373
; %bb.1370:
	v_cmp_gt_i16_e32 vcc_lo, 3, v62
	s_cbranch_vccnz .LBB55_1374
; %bb.1371:
	v_cmp_lt_i16_e32 vcc_lo, 3, v62
	s_cbranch_vccz .LBB55_1375
; %bb.1372:
	global_load_b64 v[7:8], v[4:5], off
	s_mov_b32 s2, 0
	s_mov_b64 s[0:1], 0
	s_waitcnt vmcnt(0)
	v_cvt_f64_i32_e32 v[8:9], v8
	v_cvt_f64_u32_e32 v[10:11], v7
	s_delay_alu instid0(VALU_DEP_2) | instskip(NEXT) | instid1(VALU_DEP_1)
	v_ldexp_f64 v[8:9], v[8:9], 32
	v_add_f64 v[44:45], v[8:9], v[10:11]
	s_branch .LBB55_1376
.LBB55_1373:
	s_mov_b32 s2, -1
                                        ; implicit-def: $sgpr0_sgpr1
                                        ; implicit-def: $vgpr44_vgpr45
	s_branch .LBB55_1382
.LBB55_1374:
	s_mov_b32 s2, -1
                                        ; implicit-def: $sgpr0_sgpr1
                                        ; implicit-def: $vgpr44_vgpr45
	s_branch .LBB55_1379
.LBB55_1375:
	s_mov_b32 s2, -1
                                        ; implicit-def: $sgpr0_sgpr1
                                        ; implicit-def: $vgpr44_vgpr45
.LBB55_1376:
	s_delay_alu instid0(SALU_CYCLE_1)
	s_and_not1_b32 vcc_lo, exec_lo, s2
	s_cbranch_vccnz .LBB55_1378
; %bb.1377:
	global_load_b32 v7, v[4:5], off
	s_mov_b64 s[0:1], 0
	s_waitcnt vmcnt(0)
	v_cvt_f64_i32_e32 v[44:45], v7
.LBB55_1378:
	s_mov_b32 s2, 0
.LBB55_1379:
	s_delay_alu instid0(SALU_CYCLE_1)
	s_and_not1_b32 vcc_lo, exec_lo, s2
	s_cbranch_vccnz .LBB55_1381
; %bb.1380:
	global_load_i16 v7, v[4:5], off
	s_mov_b64 s[0:1], 0
	s_waitcnt vmcnt(0)
	v_cvt_f64_i32_e32 v[44:45], v7
.LBB55_1381:
	s_mov_b32 s2, 0
.LBB55_1382:
	s_delay_alu instid0(SALU_CYCLE_1)
	s_and_not1_b32 vcc_lo, exec_lo, s2
	s_cbranch_vccnz .LBB55_1388
; %bb.1383:
	v_cmp_lt_i16_e32 vcc_lo, 0, v62
	s_mov_b32 s2, 0
	s_cbranch_vccz .LBB55_1385
; %bb.1384:
	global_load_i8 v7, v[4:5], off
	s_mov_b64 s[0:1], 0
	s_waitcnt vmcnt(0)
	v_cvt_f64_i32_e32 v[44:45], v7
	s_branch .LBB55_1386
.LBB55_1385:
	s_mov_b32 s2, -1
                                        ; implicit-def: $sgpr0_sgpr1
                                        ; implicit-def: $vgpr44_vgpr45
.LBB55_1386:
	s_delay_alu instid0(SALU_CYCLE_1)
	s_and_not1_b32 vcc_lo, exec_lo, s2
	s_cbranch_vccnz .LBB55_1388
; %bb.1387:
	global_load_u8 v4, v[4:5], off
	s_mov_b64 s[0:1], 0
	s_waitcnt vmcnt(0)
	v_cvt_f64_u32_e32 v[44:45], v4
.LBB55_1388:
	s_waitcnt vmcnt(0)
	v_dual_mov_b32 v47, s1 :: v_dual_mov_b32 v46, s0
.LBB55_1389:
	s_branch .LBB55_1464
.LBB55_1390:
	s_trap 2
	s_sendmsg_rtn_b32 s0, sendmsg(MSG_RTN_GET_DOORBELL)
	s_mov_b32 ttmp2, m0
	s_waitcnt lgkmcnt(0)
	s_and_b32 s0, s0, 0x3ff
	s_delay_alu instid0(SALU_CYCLE_1) | instskip(NEXT) | instid1(SALU_CYCLE_1)
	s_bitset1_b32 s0, 10
	s_mov_b32 m0, s0
	s_sendmsg sendmsg(MSG_INTERRUPT)
	s_mov_b32 m0, ttmp2
.LBB55_1391:                            ; =>This Inner Loop Header: Depth=1
	s_sethalt 5
	s_branch .LBB55_1391
.LBB55_1392:
	s_mov_b32 s5, -1
	s_mov_b32 s2, 0
.LBB55_1393:
                                        ; implicit-def: $vgpr46_vgpr47
.LBB55_1394:
	s_and_b32 vcc_lo, exec_lo, s0
	s_cbranch_vccz .LBB55_1399
; %bb.1395:
	v_cmp_eq_u16_e32 vcc_lo, 44, v62
	s_cbranch_vccz .LBB55_1397
; %bb.1396:
	global_load_u8 v9, v[4:5], off
	s_mov_b32 s5, 0
	s_mov_b32 s2, -1
	s_mov_b64 s[0:1], 0
	s_waitcnt vmcnt(0)
	v_cmp_ne_u32_e32 vcc_lo, 0xff, v9
	v_lshlrev_b32_e32 v7, 23, v9
	s_delay_alu instid0(VALU_DEP_1) | instskip(NEXT) | instid1(VALU_DEP_1)
	v_cvt_f64_f32_e32 v[7:8], v7
	v_cndmask_b32_e32 v8, 0x7ff80000, v8, vcc_lo
	s_delay_alu instid0(VALU_DEP_2) | instskip(SKIP_1) | instid1(VALU_DEP_3)
	v_cndmask_b32_e32 v7, 0x20000000, v7, vcc_lo
	v_cmp_ne_u32_e32 vcc_lo, 0, v9
	v_cndmask_b32_e32 v45, 0x38000000, v8, vcc_lo
	s_delay_alu instid0(VALU_DEP_3)
	v_cndmask_b32_e32 v44, 0, v7, vcc_lo
	s_branch .LBB55_1398
.LBB55_1397:
	s_mov_b32 s5, -1
                                        ; implicit-def: $sgpr0_sgpr1
                                        ; implicit-def: $vgpr44_vgpr45
.LBB55_1398:
	v_dual_mov_b32 v47, s1 :: v_dual_mov_b32 v46, s0
.LBB55_1399:
	s_mov_b32 s0, 0
.LBB55_1400:
	s_delay_alu instid0(SALU_CYCLE_1)
	s_and_b32 vcc_lo, exec_lo, s0
	s_cbranch_vccz .LBB55_1405
; %bb.1401:
	v_cmp_eq_u16_e32 vcc_lo, 29, v62
	s_cbranch_vccz .LBB55_1403
; %bb.1402:
	global_load_b64 v[7:8], v[4:5], off
	s_mov_b32 s5, 0
	s_mov_b32 s2, -1
	s_mov_b64 s[0:1], 0
	s_waitcnt vmcnt(0)
	v_cvt_f64_u32_e32 v[8:9], v8
	v_cvt_f64_u32_e32 v[10:11], v7
	s_delay_alu instid0(VALU_DEP_2) | instskip(NEXT) | instid1(VALU_DEP_1)
	v_ldexp_f64 v[8:9], v[8:9], 32
	v_add_f64 v[44:45], v[8:9], v[10:11]
	s_branch .LBB55_1404
.LBB55_1403:
	s_mov_b32 s5, -1
                                        ; implicit-def: $sgpr0_sgpr1
                                        ; implicit-def: $vgpr44_vgpr45
.LBB55_1404:
	v_dual_mov_b32 v47, s1 :: v_dual_mov_b32 v46, s0
.LBB55_1405:
	s_mov_b32 s0, 0
.LBB55_1406:
	s_delay_alu instid0(SALU_CYCLE_1)
	s_and_b32 vcc_lo, exec_lo, s0
	s_cbranch_vccz .LBB55_1426
; %bb.1407:
	v_cmp_gt_i16_e32 vcc_lo, 27, v62
	s_cbranch_vccnz .LBB55_1410
; %bb.1408:
	v_cmp_lt_i16_e32 vcc_lo, 27, v62
	s_cbranch_vccz .LBB55_1411
; %bb.1409:
	global_load_b32 v7, v[4:5], off
	s_mov_b32 s2, 0
	s_mov_b64 s[0:1], 0
	s_waitcnt vmcnt(0)
	v_cvt_f64_u32_e32 v[44:45], v7
	s_branch .LBB55_1412
.LBB55_1410:
	s_mov_b32 s2, -1
                                        ; implicit-def: $sgpr0_sgpr1
                                        ; implicit-def: $vgpr44_vgpr45
	s_branch .LBB55_1415
.LBB55_1411:
	s_mov_b32 s2, -1
                                        ; implicit-def: $sgpr0_sgpr1
                                        ; implicit-def: $vgpr44_vgpr45
.LBB55_1412:
	s_delay_alu instid0(SALU_CYCLE_1)
	s_and_not1_b32 vcc_lo, exec_lo, s2
	s_cbranch_vccnz .LBB55_1414
; %bb.1413:
	global_load_u16 v7, v[4:5], off
	s_mov_b64 s[0:1], 0
	s_waitcnt vmcnt(0)
	v_cvt_f64_u32_e32 v[44:45], v7
.LBB55_1414:
	s_mov_b32 s2, 0
.LBB55_1415:
	v_dual_mov_b32 v47, s1 :: v_dual_mov_b32 v46, s0
	s_and_not1_b32 vcc_lo, exec_lo, s2
	s_cbranch_vccnz .LBB55_1425
; %bb.1416:
	global_load_u8 v7, v[4:5], off
	s_mov_b32 s7, 0
	s_mov_b32 s8, exec_lo
                                        ; implicit-def: $sgpr0_sgpr1
                                        ; implicit-def: $sgpr2_sgpr3
	s_waitcnt vmcnt(0)
	v_cmpx_lt_i16_e32 0x7f, v7
	s_xor_b32 s8, exec_lo, s8
	s_cbranch_execz .LBB55_1420
; %bb.1417:
	s_mov_b32 s7, -1
	s_mov_b32 s9, exec_lo
                                        ; implicit-def: $sgpr0_sgpr1
                                        ; implicit-def: $sgpr2_sgpr3
	v_cmpx_eq_u16_e32 0x80, v7
; %bb.1418:
	s_mov_b64 s[0:1], 0
	s_mov_b32 s3, 0x7ff80000
	s_brev_b32 s2, 4
	s_xor_b32 s7, exec_lo, -1
; %bb.1419:
	s_or_b32 exec_lo, exec_lo, s9
	s_delay_alu instid0(SALU_CYCLE_1)
	s_and_b32 s7, s7, exec_lo
.LBB55_1420:
	s_or_saveexec_b32 s8, s8
	v_dual_mov_b32 v47, s1 :: v_dual_mov_b32 v46, s0
	v_dual_mov_b32 v45, s3 :: v_dual_mov_b32 v44, s2
	s_xor_b32 exec_lo, exec_lo, s8
; %bb.1421:
	v_mov_b32_e32 v46, 0
	v_mov_b32_e32 v47, 0
	v_cmp_ne_u16_e32 vcc_lo, 0, v7
	s_delay_alu instid0(VALU_DEP_3) | instskip(SKIP_1) | instid1(VALU_DEP_3)
	v_mov_b32_e32 v44, v46
	s_and_not1_b32 s0, s7, exec_lo
	v_mov_b32_e32 v45, v47
	s_and_b32 s1, vcc_lo, exec_lo
	s_delay_alu instid0(SALU_CYCLE_1)
	s_or_b32 s7, s0, s1
; %bb.1422:
	s_or_b32 exec_lo, exec_lo, s8
	s_and_saveexec_b32 s0, s7
	s_cbranch_execz .LBB55_1424
; %bb.1423:
	v_and_b32_e32 v8, 0xffff, v7
	v_dual_mov_b32 v46, 0 :: v_dual_lshlrev_b32 v7, 24, v7
	v_mov_b32_e32 v47, 0
	s_delay_alu instid0(VALU_DEP_3) | instskip(NEXT) | instid1(VALU_DEP_3)
	v_and_b32_e32 v9, 7, v8
	v_and_b32_e32 v7, 0x80000000, v7
	s_delay_alu instid0(VALU_DEP_2) | instskip(NEXT) | instid1(VALU_DEP_1)
	v_clz_i32_u32_e32 v10, v9
	v_min_u32_e32 v10, 32, v10
	s_delay_alu instid0(VALU_DEP_1) | instskip(SKIP_1) | instid1(VALU_DEP_2)
	v_subrev_nc_u32_e32 v11, 28, v10
	v_sub_nc_u32_e32 v10, 29, v10
	v_lshlrev_b32_e32 v11, v11, v8
	v_bfe_u32 v8, v8, 3, 4
	s_delay_alu instid0(VALU_DEP_2) | instskip(NEXT) | instid1(VALU_DEP_2)
	v_and_b32_e32 v11, 7, v11
	v_cmp_eq_u32_e32 vcc_lo, 0, v8
	s_delay_alu instid0(VALU_DEP_2) | instskip(NEXT) | instid1(VALU_DEP_1)
	v_dual_cndmask_b32 v8, v8, v10 :: v_dual_cndmask_b32 v9, v9, v11
	v_lshl_add_u32 v8, v8, 23, 0x3b800000
	s_delay_alu instid0(VALU_DEP_2) | instskip(NEXT) | instid1(VALU_DEP_1)
	v_lshlrev_b32_e32 v9, 20, v9
	v_or3_b32 v7, v7, v8, v9
	s_delay_alu instid0(VALU_DEP_1)
	v_cvt_f64_f32_e32 v[44:45], v7
.LBB55_1424:
	s_or_b32 exec_lo, exec_lo, s0
.LBB55_1425:
	s_mov_b32 s2, -1
.LBB55_1426:
	s_mov_b32 s0, 0
.LBB55_1427:
	s_delay_alu instid0(SALU_CYCLE_1)
	s_and_b32 vcc_lo, exec_lo, s0
	s_cbranch_vccz .LBB55_1459
; %bb.1428:
	v_cmp_lt_i16_e32 vcc_lo, 22, v62
	s_cbranch_vccz .LBB55_1440
; %bb.1429:
	v_cmp_gt_i16_e32 vcc_lo, 24, v62
	s_cbranch_vccnz .LBB55_1441
; %bb.1430:
	v_cmp_lt_i16_e32 vcc_lo, 24, v62
	s_cbranch_vccz .LBB55_1442
; %bb.1431:
	global_load_u8 v7, v[4:5], off
	s_mov_b32 s7, exec_lo
                                        ; implicit-def: $sgpr0_sgpr1
                                        ; implicit-def: $sgpr2_sgpr3
	s_waitcnt vmcnt(0)
	v_cmpx_lt_i16_e32 0x7f, v7
	s_xor_b32 s7, exec_lo, s7
	s_cbranch_execz .LBB55_1435
; %bb.1432:
	s_mov_b32 s6, -1
	s_mov_b32 s8, exec_lo
                                        ; implicit-def: $sgpr0_sgpr1
                                        ; implicit-def: $sgpr2_sgpr3
	v_cmpx_eq_u16_e32 0x80, v7
; %bb.1433:
	s_mov_b64 s[0:1], 0
	s_mov_b32 s3, 0x7ff80000
	s_brev_b32 s2, 4
	s_xor_b32 s6, exec_lo, -1
; %bb.1434:
	s_or_b32 exec_lo, exec_lo, s8
	s_delay_alu instid0(SALU_CYCLE_1)
	s_and_b32 s6, s6, exec_lo
.LBB55_1435:
	s_or_saveexec_b32 s7, s7
	v_dual_mov_b32 v47, s1 :: v_dual_mov_b32 v46, s0
	v_dual_mov_b32 v45, s3 :: v_dual_mov_b32 v44, s2
	s_xor_b32 exec_lo, exec_lo, s7
; %bb.1436:
	v_mov_b32_e32 v46, 0
	v_mov_b32_e32 v47, 0
	v_cmp_ne_u16_e32 vcc_lo, 0, v7
	s_delay_alu instid0(VALU_DEP_3) | instskip(SKIP_1) | instid1(VALU_DEP_3)
	v_mov_b32_e32 v44, v46
	s_and_not1_b32 s0, s6, exec_lo
	v_mov_b32_e32 v45, v47
	s_and_b32 s1, vcc_lo, exec_lo
	s_delay_alu instid0(SALU_CYCLE_1)
	s_or_b32 s6, s0, s1
; %bb.1437:
	s_or_b32 exec_lo, exec_lo, s7
	s_and_saveexec_b32 s0, s6
	s_cbranch_execz .LBB55_1439
; %bb.1438:
	v_and_b32_e32 v8, 0xffff, v7
	v_dual_mov_b32 v46, 0 :: v_dual_lshlrev_b32 v7, 24, v7
	v_mov_b32_e32 v47, 0
	s_delay_alu instid0(VALU_DEP_3) | instskip(NEXT) | instid1(VALU_DEP_3)
	v_and_b32_e32 v9, 3, v8
	v_and_b32_e32 v7, 0x80000000, v7
	s_delay_alu instid0(VALU_DEP_2) | instskip(NEXT) | instid1(VALU_DEP_1)
	v_clz_i32_u32_e32 v10, v9
	v_min_u32_e32 v10, 32, v10
	s_delay_alu instid0(VALU_DEP_1) | instskip(SKIP_1) | instid1(VALU_DEP_2)
	v_subrev_nc_u32_e32 v11, 29, v10
	v_sub_nc_u32_e32 v10, 30, v10
	v_lshlrev_b32_e32 v11, v11, v8
	v_bfe_u32 v8, v8, 2, 5
	s_delay_alu instid0(VALU_DEP_2) | instskip(NEXT) | instid1(VALU_DEP_2)
	v_and_b32_e32 v11, 3, v11
	v_cmp_eq_u32_e32 vcc_lo, 0, v8
	s_delay_alu instid0(VALU_DEP_2) | instskip(NEXT) | instid1(VALU_DEP_1)
	v_dual_cndmask_b32 v8, v8, v10 :: v_dual_cndmask_b32 v9, v9, v11
	v_lshl_add_u32 v8, v8, 23, 0x37800000
	s_delay_alu instid0(VALU_DEP_2) | instskip(NEXT) | instid1(VALU_DEP_1)
	v_lshlrev_b32_e32 v9, 21, v9
	v_or3_b32 v7, v7, v8, v9
	s_delay_alu instid0(VALU_DEP_1)
	v_cvt_f64_f32_e32 v[44:45], v7
.LBB55_1439:
	s_or_b32 exec_lo, exec_lo, s0
	s_mov_b32 s0, 0
	s_branch .LBB55_1443
.LBB55_1440:
	s_mov_b32 s0, -1
                                        ; implicit-def: $vgpr46_vgpr47
	s_branch .LBB55_1449
.LBB55_1441:
	s_mov_b32 s0, -1
                                        ; implicit-def: $vgpr46_vgpr47
	s_branch .LBB55_1446
.LBB55_1442:
	s_mov_b32 s0, -1
                                        ; implicit-def: $vgpr46_vgpr47
.LBB55_1443:
	s_delay_alu instid0(SALU_CYCLE_1)
	s_and_b32 vcc_lo, exec_lo, s0
	s_cbranch_vccz .LBB55_1445
; %bb.1444:
	global_load_u8 v7, v[4:5], off
	v_mov_b32_e32 v46, 0
	v_mov_b32_e32 v47, 0
	s_waitcnt vmcnt(0)
	v_lshlrev_b32_e32 v7, 24, v7
	s_delay_alu instid0(VALU_DEP_1) | instskip(NEXT) | instid1(VALU_DEP_1)
	v_and_b32_e32 v8, 0x7f000000, v7
	v_clz_i32_u32_e32 v9, v8
	v_add_nc_u32_e32 v11, 0x1000000, v8
	v_cmp_ne_u32_e32 vcc_lo, 0, v8
	s_delay_alu instid0(VALU_DEP_3) | instskip(NEXT) | instid1(VALU_DEP_1)
	v_min_u32_e32 v9, 32, v9
	v_sub_nc_u32_e64 v9, v9, 4 clamp
	s_delay_alu instid0(VALU_DEP_1) | instskip(SKIP_1) | instid1(VALU_DEP_2)
	v_lshlrev_b32_e32 v10, v9, v8
	v_lshlrev_b32_e32 v9, 23, v9
	v_lshrrev_b32_e32 v10, 4, v10
	s_delay_alu instid0(VALU_DEP_1) | instskip(SKIP_1) | instid1(VALU_DEP_2)
	v_sub_nc_u32_e32 v9, v10, v9
	v_ashrrev_i32_e32 v10, 8, v11
	v_add_nc_u32_e32 v9, 0x3c000000, v9
	s_delay_alu instid0(VALU_DEP_1) | instskip(NEXT) | instid1(VALU_DEP_1)
	v_and_or_b32 v9, 0x7f800000, v10, v9
	v_cndmask_b32_e32 v8, 0, v9, vcc_lo
	s_delay_alu instid0(VALU_DEP_1) | instskip(NEXT) | instid1(VALU_DEP_1)
	v_and_or_b32 v7, 0x80000000, v7, v8
	v_cvt_f64_f32_e32 v[44:45], v7
.LBB55_1445:
	s_mov_b32 s0, 0
.LBB55_1446:
	s_delay_alu instid0(SALU_CYCLE_1)
	s_and_not1_b32 vcc_lo, exec_lo, s0
	s_cbranch_vccnz .LBB55_1448
; %bb.1447:
	global_load_u8 v7, v[4:5], off
	v_mov_b32_e32 v46, 0
	s_waitcnt vmcnt(0)
	v_dual_mov_b32 v47, 0 :: v_dual_lshlrev_b32 v8, 25, v7
	v_lshlrev_b16 v7, 8, v7
	s_delay_alu instid0(VALU_DEP_2) | instskip(NEXT) | instid1(VALU_DEP_2)
	v_lshrrev_b32_e32 v9, 4, v8
	v_and_or_b32 v10, 0x7f00, v7, 0.5
	v_bfe_i32 v7, v7, 0, 16
	s_delay_alu instid0(VALU_DEP_3) | instskip(NEXT) | instid1(VALU_DEP_1)
	v_or_b32_e32 v9, 0x70000000, v9
	v_dual_add_f32 v10, -0.5, v10 :: v_dual_mul_f32 v9, 0x7800000, v9
	v_cmp_gt_u32_e32 vcc_lo, 0x8000000, v8
	s_delay_alu instid0(VALU_DEP_2) | instskip(NEXT) | instid1(VALU_DEP_1)
	v_cndmask_b32_e32 v8, v9, v10, vcc_lo
	v_and_or_b32 v7, 0x80000000, v7, v8
	s_delay_alu instid0(VALU_DEP_1)
	v_cvt_f64_f32_e32 v[44:45], v7
.LBB55_1448:
	s_mov_b32 s0, 0
	s_mov_b32 s2, -1
.LBB55_1449:
	s_and_not1_b32 vcc_lo, exec_lo, s0
	s_mov_b32 s6, 0
	s_cbranch_vccnz .LBB55_1459
; %bb.1450:
	v_cmp_lt_i16_e32 vcc_lo, 14, v62
	s_cbranch_vccz .LBB55_1453
; %bb.1451:
	v_cmp_eq_u16_e32 vcc_lo, 15, v62
	s_cbranch_vccz .LBB55_1454
; %bb.1452:
	global_load_u16 v7, v[4:5], off
	s_mov_b32 s5, 0
	s_mov_b32 s2, -1
	s_mov_b64 s[0:1], 0
	s_waitcnt vmcnt(0)
	v_lshlrev_b32_e32 v7, 16, v7
	s_delay_alu instid0(VALU_DEP_1)
	v_cvt_f64_f32_e32 v[44:45], v7
	s_branch .LBB55_1455
.LBB55_1453:
	s_mov_b32 s3, -1
                                        ; implicit-def: $sgpr0_sgpr1
                                        ; implicit-def: $vgpr44_vgpr45
	s_branch .LBB55_1456
.LBB55_1454:
	s_mov_b32 s5, -1
                                        ; implicit-def: $sgpr0_sgpr1
                                        ; implicit-def: $vgpr44_vgpr45
.LBB55_1455:
	s_mov_b32 s3, 0
.LBB55_1456:
	s_delay_alu instid0(SALU_CYCLE_1)
	s_and_b32 vcc_lo, exec_lo, s3
	s_cbranch_vccz .LBB55_1458
; %bb.1457:
	v_cmp_ne_u16_e64 s5, 11, v62
	s_mov_b32 s6, -1
                                        ; implicit-def: $sgpr0_sgpr1
                                        ; implicit-def: $vgpr44_vgpr45
.LBB55_1458:
	v_dual_mov_b32 v47, s1 :: v_dual_mov_b32 v46, s0
.LBB55_1459:
	s_delay_alu instid0(VALU_DEP_2)
	s_and_b32 vcc_lo, exec_lo, s5
	s_cbranch_vccnz .LBB55_1475
; %bb.1460:
	s_and_not1_b32 vcc_lo, exec_lo, s6
	s_cbranch_vccnz .LBB55_1462
.LBB55_1461:
	global_load_u8 v7, v[4:5], off
	v_mov_b32_e32 v46, 0
	v_dual_mov_b32 v47, 0 :: v_dual_mov_b32 v44, 0
	s_mov_b32 s2, -1
	s_waitcnt vmcnt(0)
	v_cmp_ne_u16_e32 vcc_lo, 0, v7
	v_cndmask_b32_e64 v45, 0, 0x3ff00000, vcc_lo
.LBB55_1462:
.LBB55_1463:
	s_and_not1_b32 vcc_lo, exec_lo, s2
	s_cbranch_vccnz .LBB55_2036
.LBB55_1464:
	v_add_nc_u32_e32 v4, s4, v6
	v_cmp_gt_i16_e32 vcc_lo, 11, v62
	s_delay_alu instid0(VALU_DEP_2) | instskip(SKIP_1) | instid1(VALU_DEP_1)
	v_ashrrev_i32_e32 v5, 31, v4
	v_add_co_u32 v4, s0, s18, v4
	v_add_co_ci_u32_e64 v5, s0, s19, v5, s0
	s_cbranch_vccnz .LBB55_1471
; %bb.1465:
	v_cmp_lt_i16_e32 vcc_lo, 25, v62
	s_mov_b32 s5, 0
	s_cbranch_vccz .LBB55_1472
; %bb.1466:
	v_cmp_lt_i16_e32 vcc_lo, 28, v62
	s_cbranch_vccz .LBB55_1473
; %bb.1467:
	v_cmp_lt_i16_e32 vcc_lo, 43, v62
	;; [unrolled: 3-line block ×3, first 2 shown]
	s_cbranch_vccz .LBB55_1477
; %bb.1469:
	v_cmp_eq_u16_e32 vcc_lo, 46, v62
	s_mov_b32 s0, 0
	s_cbranch_vccz .LBB55_1480
; %bb.1470:
	global_load_b32 v6, v[4:5], off
	s_mov_b32 s4, 0
	s_mov_b32 s2, -1
	s_waitcnt vmcnt(0)
	v_lshlrev_b32_e32 v7, 16, v6
	v_and_b32_e32 v6, 0xffff0000, v6
	s_delay_alu instid0(VALU_DEP_2) | instskip(NEXT) | instid1(VALU_DEP_2)
	v_cvt_f64_f32_e32 v[56:57], v7
	v_cvt_f64_f32_e32 v[58:59], v6
	s_branch .LBB55_1482
.LBB55_1471:
	s_mov_b32 s0, -1
	s_mov_b32 s2, 0
                                        ; implicit-def: $vgpr58_vgpr59
	s_branch .LBB55_1551
.LBB55_1472:
	s_mov_b32 s0, -1
	s_mov_b32 s2, 0
	s_mov_b32 s4, 0
                                        ; implicit-def: $vgpr58_vgpr59
	s_branch .LBB55_1515
.LBB55_1473:
	s_mov_b32 s0, -1
	s_mov_b32 s2, 0
	s_mov_b32 s4, 0
                                        ; implicit-def: $vgpr58_vgpr59
	s_branch .LBB55_1494
.LBB55_1474:
	s_mov_b32 s0, -1
	s_mov_b32 s2, 0
	s_mov_b32 s4, 0
                                        ; implicit-def: $vgpr58_vgpr59
	s_branch .LBB55_1488
.LBB55_1475:
	s_cbranch_execnz .LBB55_1478
; %bb.1476:
	s_or_b32 s14, s14, exec_lo
                                        ; implicit-def: $vgpr46_vgpr47
	s_cbranch_execz .LBB55_1461
	s_branch .LBB55_1462
.LBB55_1477:
	s_mov_b32 s0, -1
	s_mov_b32 s2, 0
	s_mov_b32 s4, 0
	s_branch .LBB55_1481
.LBB55_1478:
	s_trap 2
	s_sendmsg_rtn_b32 s0, sendmsg(MSG_RTN_GET_DOORBELL)
	s_mov_b32 ttmp2, m0
	s_waitcnt lgkmcnt(0)
	s_and_b32 s0, s0, 0x3ff
	s_delay_alu instid0(SALU_CYCLE_1) | instskip(NEXT) | instid1(SALU_CYCLE_1)
	s_bitset1_b32 s0, 10
	s_mov_b32 m0, s0
	s_sendmsg sendmsg(MSG_INTERRUPT)
	s_mov_b32 m0, ttmp2
.LBB55_1479:                            ; =>This Inner Loop Header: Depth=1
	s_sethalt 5
	s_branch .LBB55_1479
.LBB55_1480:
	s_mov_b32 s4, -1
	s_mov_b32 s2, 0
.LBB55_1481:
                                        ; implicit-def: $vgpr58_vgpr59
.LBB55_1482:
	s_and_b32 vcc_lo, exec_lo, s0
	s_cbranch_vccz .LBB55_1487
; %bb.1483:
	v_cmp_eq_u16_e32 vcc_lo, 44, v62
	s_cbranch_vccz .LBB55_1485
; %bb.1484:
	global_load_u8 v8, v[4:5], off
	s_mov_b32 s4, 0
	s_mov_b32 s2, -1
	s_mov_b64 s[0:1], 0
	s_waitcnt vmcnt(0)
	v_cmp_ne_u32_e32 vcc_lo, 0xff, v8
	v_lshlrev_b32_e32 v6, 23, v8
	s_delay_alu instid0(VALU_DEP_1) | instskip(NEXT) | instid1(VALU_DEP_1)
	v_cvt_f64_f32_e32 v[6:7], v6
	v_cndmask_b32_e32 v7, 0x7ff80000, v7, vcc_lo
	s_delay_alu instid0(VALU_DEP_2) | instskip(SKIP_1) | instid1(VALU_DEP_3)
	v_cndmask_b32_e32 v6, 0x20000000, v6, vcc_lo
	v_cmp_ne_u32_e32 vcc_lo, 0, v8
	v_cndmask_b32_e32 v57, 0x38000000, v7, vcc_lo
	s_delay_alu instid0(VALU_DEP_3)
	v_cndmask_b32_e32 v56, 0, v6, vcc_lo
	s_branch .LBB55_1486
.LBB55_1485:
	s_mov_b32 s4, -1
                                        ; implicit-def: $sgpr0_sgpr1
                                        ; implicit-def: $vgpr56_vgpr57
.LBB55_1486:
	v_dual_mov_b32 v59, s1 :: v_dual_mov_b32 v58, s0
.LBB55_1487:
	s_mov_b32 s0, 0
.LBB55_1488:
	s_delay_alu instid0(SALU_CYCLE_1)
	s_and_b32 vcc_lo, exec_lo, s0
	s_cbranch_vccz .LBB55_1493
; %bb.1489:
	v_cmp_eq_u16_e32 vcc_lo, 29, v62
	s_cbranch_vccz .LBB55_1491
; %bb.1490:
	global_load_b64 v[6:7], v[4:5], off
	s_mov_b32 s4, 0
	s_mov_b32 s2, -1
	s_mov_b64 s[0:1], 0
	s_waitcnt vmcnt(0)
	v_cvt_f64_u32_e32 v[7:8], v7
	v_cvt_f64_u32_e32 v[9:10], v6
	s_delay_alu instid0(VALU_DEP_2) | instskip(NEXT) | instid1(VALU_DEP_1)
	v_ldexp_f64 v[7:8], v[7:8], 32
	v_add_f64 v[56:57], v[7:8], v[9:10]
	s_branch .LBB55_1492
.LBB55_1491:
	s_mov_b32 s4, -1
                                        ; implicit-def: $sgpr0_sgpr1
                                        ; implicit-def: $vgpr56_vgpr57
.LBB55_1492:
	v_dual_mov_b32 v59, s1 :: v_dual_mov_b32 v58, s0
.LBB55_1493:
	s_mov_b32 s0, 0
.LBB55_1494:
	s_delay_alu instid0(SALU_CYCLE_1)
	s_and_b32 vcc_lo, exec_lo, s0
	s_cbranch_vccz .LBB55_1514
; %bb.1495:
	v_cmp_gt_i16_e32 vcc_lo, 27, v62
	s_cbranch_vccnz .LBB55_1498
; %bb.1496:
	v_cmp_lt_i16_e32 vcc_lo, 27, v62
	s_cbranch_vccz .LBB55_1499
; %bb.1497:
	global_load_b32 v6, v[4:5], off
	s_mov_b32 s2, 0
	s_mov_b64 s[0:1], 0
	s_waitcnt vmcnt(0)
	v_cvt_f64_u32_e32 v[56:57], v6
	s_branch .LBB55_1500
.LBB55_1498:
	s_mov_b32 s2, -1
                                        ; implicit-def: $sgpr0_sgpr1
                                        ; implicit-def: $vgpr56_vgpr57
	s_branch .LBB55_1503
.LBB55_1499:
	s_mov_b32 s2, -1
                                        ; implicit-def: $sgpr0_sgpr1
                                        ; implicit-def: $vgpr56_vgpr57
.LBB55_1500:
	s_delay_alu instid0(SALU_CYCLE_1)
	s_and_not1_b32 vcc_lo, exec_lo, s2
	s_cbranch_vccnz .LBB55_1502
; %bb.1501:
	global_load_u16 v6, v[4:5], off
	s_mov_b64 s[0:1], 0
	s_waitcnt vmcnt(0)
	v_cvt_f64_u32_e32 v[56:57], v6
.LBB55_1502:
	s_mov_b32 s2, 0
.LBB55_1503:
	v_dual_mov_b32 v59, s1 :: v_dual_mov_b32 v58, s0
	s_and_not1_b32 vcc_lo, exec_lo, s2
	s_cbranch_vccnz .LBB55_1513
; %bb.1504:
	global_load_u8 v6, v[4:5], off
	s_mov_b32 s6, 0
	s_mov_b32 s7, exec_lo
                                        ; implicit-def: $sgpr0_sgpr1
                                        ; implicit-def: $sgpr2_sgpr3
	s_waitcnt vmcnt(0)
	v_cmpx_lt_i16_e32 0x7f, v6
	s_xor_b32 s7, exec_lo, s7
	s_cbranch_execz .LBB55_1508
; %bb.1505:
	s_mov_b32 s6, -1
	s_mov_b32 s8, exec_lo
                                        ; implicit-def: $sgpr0_sgpr1
                                        ; implicit-def: $sgpr2_sgpr3
	v_cmpx_eq_u16_e32 0x80, v6
; %bb.1506:
	s_mov_b64 s[0:1], 0
	s_mov_b32 s3, 0x7ff80000
	s_brev_b32 s2, 4
	s_xor_b32 s6, exec_lo, -1
; %bb.1507:
	s_or_b32 exec_lo, exec_lo, s8
	s_delay_alu instid0(SALU_CYCLE_1)
	s_and_b32 s6, s6, exec_lo
.LBB55_1508:
	s_or_saveexec_b32 s7, s7
	v_dual_mov_b32 v59, s1 :: v_dual_mov_b32 v58, s0
	v_dual_mov_b32 v57, s3 :: v_dual_mov_b32 v56, s2
	s_xor_b32 exec_lo, exec_lo, s7
; %bb.1509:
	v_mov_b32_e32 v58, 0
	v_mov_b32_e32 v59, 0
	v_cmp_ne_u16_e32 vcc_lo, 0, v6
	s_delay_alu instid0(VALU_DEP_3) | instskip(SKIP_1) | instid1(VALU_DEP_3)
	v_mov_b32_e32 v56, v58
	s_and_not1_b32 s0, s6, exec_lo
	v_mov_b32_e32 v57, v59
	s_and_b32 s1, vcc_lo, exec_lo
	s_delay_alu instid0(SALU_CYCLE_1)
	s_or_b32 s6, s0, s1
; %bb.1510:
	s_or_b32 exec_lo, exec_lo, s7
	s_and_saveexec_b32 s0, s6
	s_cbranch_execz .LBB55_1512
; %bb.1511:
	v_dual_mov_b32 v58, 0 :: v_dual_and_b32 v7, 0xffff, v6
	v_dual_mov_b32 v59, 0 :: v_dual_lshlrev_b32 v6, 24, v6
	s_delay_alu instid0(VALU_DEP_2) | instskip(NEXT) | instid1(VALU_DEP_2)
	v_and_b32_e32 v8, 7, v7
	v_and_b32_e32 v6, 0x80000000, v6
	s_delay_alu instid0(VALU_DEP_2) | instskip(NEXT) | instid1(VALU_DEP_1)
	v_clz_i32_u32_e32 v9, v8
	v_min_u32_e32 v9, 32, v9
	s_delay_alu instid0(VALU_DEP_1) | instskip(SKIP_1) | instid1(VALU_DEP_2)
	v_subrev_nc_u32_e32 v10, 28, v9
	v_sub_nc_u32_e32 v9, 29, v9
	v_lshlrev_b32_e32 v10, v10, v7
	v_bfe_u32 v7, v7, 3, 4
	s_delay_alu instid0(VALU_DEP_2) | instskip(NEXT) | instid1(VALU_DEP_2)
	v_and_b32_e32 v10, 7, v10
	v_cmp_eq_u32_e32 vcc_lo, 0, v7
	s_delay_alu instid0(VALU_DEP_2) | instskip(NEXT) | instid1(VALU_DEP_1)
	v_dual_cndmask_b32 v7, v7, v9 :: v_dual_cndmask_b32 v8, v8, v10
	v_lshl_add_u32 v7, v7, 23, 0x3b800000
	s_delay_alu instid0(VALU_DEP_2) | instskip(NEXT) | instid1(VALU_DEP_1)
	v_lshlrev_b32_e32 v8, 20, v8
	v_or3_b32 v6, v6, v7, v8
	s_delay_alu instid0(VALU_DEP_1)
	v_cvt_f64_f32_e32 v[56:57], v6
.LBB55_1512:
	s_or_b32 exec_lo, exec_lo, s0
.LBB55_1513:
	s_mov_b32 s2, -1
.LBB55_1514:
	s_mov_b32 s0, 0
.LBB55_1515:
	s_delay_alu instid0(SALU_CYCLE_1)
	s_and_b32 vcc_lo, exec_lo, s0
	s_cbranch_vccz .LBB55_1547
; %bb.1516:
	v_cmp_lt_i16_e32 vcc_lo, 22, v62
	s_cbranch_vccz .LBB55_1528
; %bb.1517:
	v_cmp_gt_i16_e32 vcc_lo, 24, v62
	s_cbranch_vccnz .LBB55_1529
; %bb.1518:
	v_cmp_lt_i16_e32 vcc_lo, 24, v62
	s_cbranch_vccz .LBB55_1530
; %bb.1519:
	global_load_u8 v6, v[4:5], off
	s_mov_b32 s6, exec_lo
                                        ; implicit-def: $sgpr0_sgpr1
                                        ; implicit-def: $sgpr2_sgpr3
	s_waitcnt vmcnt(0)
	v_cmpx_lt_i16_e32 0x7f, v6
	s_xor_b32 s6, exec_lo, s6
	s_cbranch_execz .LBB55_1523
; %bb.1520:
	s_mov_b32 s5, -1
	s_mov_b32 s7, exec_lo
                                        ; implicit-def: $sgpr0_sgpr1
                                        ; implicit-def: $sgpr2_sgpr3
	v_cmpx_eq_u16_e32 0x80, v6
; %bb.1521:
	s_mov_b64 s[0:1], 0
	s_mov_b32 s3, 0x7ff80000
	s_brev_b32 s2, 4
	s_xor_b32 s5, exec_lo, -1
; %bb.1522:
	s_or_b32 exec_lo, exec_lo, s7
	s_delay_alu instid0(SALU_CYCLE_1)
	s_and_b32 s5, s5, exec_lo
.LBB55_1523:
	s_or_saveexec_b32 s6, s6
	v_dual_mov_b32 v59, s1 :: v_dual_mov_b32 v58, s0
	v_dual_mov_b32 v57, s3 :: v_dual_mov_b32 v56, s2
	s_xor_b32 exec_lo, exec_lo, s6
; %bb.1524:
	v_mov_b32_e32 v58, 0
	v_mov_b32_e32 v59, 0
	v_cmp_ne_u16_e32 vcc_lo, 0, v6
	s_delay_alu instid0(VALU_DEP_3) | instskip(SKIP_1) | instid1(VALU_DEP_3)
	v_mov_b32_e32 v56, v58
	s_and_not1_b32 s0, s5, exec_lo
	v_mov_b32_e32 v57, v59
	s_and_b32 s1, vcc_lo, exec_lo
	s_delay_alu instid0(SALU_CYCLE_1)
	s_or_b32 s5, s0, s1
; %bb.1525:
	s_or_b32 exec_lo, exec_lo, s6
	s_and_saveexec_b32 s0, s5
	s_cbranch_execz .LBB55_1527
; %bb.1526:
	v_dual_mov_b32 v58, 0 :: v_dual_and_b32 v7, 0xffff, v6
	v_dual_mov_b32 v59, 0 :: v_dual_lshlrev_b32 v6, 24, v6
	s_delay_alu instid0(VALU_DEP_2) | instskip(NEXT) | instid1(VALU_DEP_2)
	v_and_b32_e32 v8, 3, v7
	v_and_b32_e32 v6, 0x80000000, v6
	s_delay_alu instid0(VALU_DEP_2) | instskip(NEXT) | instid1(VALU_DEP_1)
	v_clz_i32_u32_e32 v9, v8
	v_min_u32_e32 v9, 32, v9
	s_delay_alu instid0(VALU_DEP_1) | instskip(SKIP_1) | instid1(VALU_DEP_2)
	v_subrev_nc_u32_e32 v10, 29, v9
	v_sub_nc_u32_e32 v9, 30, v9
	v_lshlrev_b32_e32 v10, v10, v7
	v_bfe_u32 v7, v7, 2, 5
	s_delay_alu instid0(VALU_DEP_2) | instskip(NEXT) | instid1(VALU_DEP_2)
	v_and_b32_e32 v10, 3, v10
	v_cmp_eq_u32_e32 vcc_lo, 0, v7
	s_delay_alu instid0(VALU_DEP_2) | instskip(NEXT) | instid1(VALU_DEP_1)
	v_dual_cndmask_b32 v7, v7, v9 :: v_dual_cndmask_b32 v8, v8, v10
	v_lshl_add_u32 v7, v7, 23, 0x37800000
	s_delay_alu instid0(VALU_DEP_2) | instskip(NEXT) | instid1(VALU_DEP_1)
	v_lshlrev_b32_e32 v8, 21, v8
	v_or3_b32 v6, v6, v7, v8
	s_delay_alu instid0(VALU_DEP_1)
	v_cvt_f64_f32_e32 v[56:57], v6
.LBB55_1527:
	s_or_b32 exec_lo, exec_lo, s0
	s_mov_b32 s0, 0
	s_branch .LBB55_1531
.LBB55_1528:
	s_mov_b32 s0, -1
                                        ; implicit-def: $vgpr58_vgpr59
	s_branch .LBB55_1537
.LBB55_1529:
	s_mov_b32 s0, -1
                                        ; implicit-def: $vgpr58_vgpr59
	s_branch .LBB55_1534
.LBB55_1530:
	s_mov_b32 s0, -1
                                        ; implicit-def: $vgpr58_vgpr59
.LBB55_1531:
	s_delay_alu instid0(SALU_CYCLE_1)
	s_and_b32 vcc_lo, exec_lo, s0
	s_cbranch_vccz .LBB55_1533
; %bb.1532:
	global_load_u8 v6, v[4:5], off
	v_mov_b32_e32 v58, 0
	s_waitcnt vmcnt(0)
	v_dual_mov_b32 v59, 0 :: v_dual_lshlrev_b32 v6, 24, v6
	s_delay_alu instid0(VALU_DEP_1) | instskip(NEXT) | instid1(VALU_DEP_1)
	v_and_b32_e32 v7, 0x7f000000, v6
	v_clz_i32_u32_e32 v8, v7
	v_add_nc_u32_e32 v10, 0x1000000, v7
	v_cmp_ne_u32_e32 vcc_lo, 0, v7
	s_delay_alu instid0(VALU_DEP_3) | instskip(NEXT) | instid1(VALU_DEP_1)
	v_min_u32_e32 v8, 32, v8
	v_sub_nc_u32_e64 v8, v8, 4 clamp
	s_delay_alu instid0(VALU_DEP_1) | instskip(SKIP_1) | instid1(VALU_DEP_2)
	v_lshlrev_b32_e32 v9, v8, v7
	v_lshlrev_b32_e32 v8, 23, v8
	v_lshrrev_b32_e32 v9, 4, v9
	s_delay_alu instid0(VALU_DEP_1) | instskip(SKIP_1) | instid1(VALU_DEP_2)
	v_sub_nc_u32_e32 v8, v9, v8
	v_ashrrev_i32_e32 v9, 8, v10
	v_add_nc_u32_e32 v8, 0x3c000000, v8
	s_delay_alu instid0(VALU_DEP_1) | instskip(NEXT) | instid1(VALU_DEP_1)
	v_and_or_b32 v8, 0x7f800000, v9, v8
	v_cndmask_b32_e32 v7, 0, v8, vcc_lo
	s_delay_alu instid0(VALU_DEP_1) | instskip(NEXT) | instid1(VALU_DEP_1)
	v_and_or_b32 v6, 0x80000000, v6, v7
	v_cvt_f64_f32_e32 v[56:57], v6
.LBB55_1533:
	s_mov_b32 s0, 0
.LBB55_1534:
	s_delay_alu instid0(SALU_CYCLE_1)
	s_and_not1_b32 vcc_lo, exec_lo, s0
	s_cbranch_vccnz .LBB55_1536
; %bb.1535:
	global_load_u8 v6, v[4:5], off
	v_mov_b32_e32 v58, 0
	v_mov_b32_e32 v59, 0
	s_waitcnt vmcnt(0)
	v_lshlrev_b32_e32 v7, 25, v6
	v_lshlrev_b16 v6, 8, v6
	s_delay_alu instid0(VALU_DEP_2) | instskip(NEXT) | instid1(VALU_DEP_2)
	v_lshrrev_b32_e32 v8, 4, v7
	v_and_or_b32 v9, 0x7f00, v6, 0.5
	v_bfe_i32 v6, v6, 0, 16
	s_delay_alu instid0(VALU_DEP_3) | instskip(NEXT) | instid1(VALU_DEP_1)
	v_or_b32_e32 v8, 0x70000000, v8
	v_dual_add_f32 v9, -0.5, v9 :: v_dual_mul_f32 v8, 0x7800000, v8
	v_cmp_gt_u32_e32 vcc_lo, 0x8000000, v7
	s_delay_alu instid0(VALU_DEP_2) | instskip(NEXT) | instid1(VALU_DEP_1)
	v_cndmask_b32_e32 v7, v8, v9, vcc_lo
	v_and_or_b32 v6, 0x80000000, v6, v7
	s_delay_alu instid0(VALU_DEP_1)
	v_cvt_f64_f32_e32 v[56:57], v6
.LBB55_1536:
	s_mov_b32 s0, 0
	s_mov_b32 s2, -1
.LBB55_1537:
	s_and_not1_b32 vcc_lo, exec_lo, s0
	s_mov_b32 s5, 0
	s_cbranch_vccnz .LBB55_1547
; %bb.1538:
	v_cmp_lt_i16_e32 vcc_lo, 14, v62
	s_cbranch_vccz .LBB55_1541
; %bb.1539:
	v_cmp_eq_u16_e32 vcc_lo, 15, v62
	s_cbranch_vccz .LBB55_1542
; %bb.1540:
	global_load_u16 v6, v[4:5], off
	s_mov_b32 s4, 0
	s_mov_b32 s2, -1
	s_mov_b64 s[0:1], 0
	s_waitcnt vmcnt(0)
	v_lshlrev_b32_e32 v6, 16, v6
	s_delay_alu instid0(VALU_DEP_1)
	v_cvt_f64_f32_e32 v[56:57], v6
	s_branch .LBB55_1543
.LBB55_1541:
	s_mov_b32 s3, -1
                                        ; implicit-def: $sgpr0_sgpr1
                                        ; implicit-def: $vgpr56_vgpr57
	s_branch .LBB55_1544
.LBB55_1542:
	s_mov_b32 s4, -1
                                        ; implicit-def: $sgpr0_sgpr1
                                        ; implicit-def: $vgpr56_vgpr57
.LBB55_1543:
	s_mov_b32 s3, 0
.LBB55_1544:
	s_delay_alu instid0(SALU_CYCLE_1)
	s_and_b32 vcc_lo, exec_lo, s3
	s_cbranch_vccz .LBB55_1546
; %bb.1545:
	v_cmp_ne_u16_e64 s4, 11, v62
	s_mov_b32 s5, -1
                                        ; implicit-def: $sgpr0_sgpr1
                                        ; implicit-def: $vgpr56_vgpr57
.LBB55_1546:
	v_dual_mov_b32 v59, s1 :: v_dual_mov_b32 v58, s0
.LBB55_1547:
	s_delay_alu instid0(VALU_DEP_2)
	s_and_b32 vcc_lo, exec_lo, s4
	s_cbranch_vccnz .LBB55_2082
; %bb.1548:
	s_and_not1_b32 vcc_lo, exec_lo, s5
	s_cbranch_vccnz .LBB55_1550
.LBB55_1549:
	global_load_u8 v6, v[4:5], off
	v_mov_b32_e32 v58, 0
	v_dual_mov_b32 v59, 0 :: v_dual_mov_b32 v56, 0
	s_mov_b32 s2, -1
	s_waitcnt vmcnt(0)
	v_cmp_ne_u16_e32 vcc_lo, 0, v6
	v_cndmask_b32_e64 v57, 0, 0x3ff00000, vcc_lo
.LBB55_1550:
	s_mov_b32 s0, 0
.LBB55_1551:
	s_delay_alu instid0(SALU_CYCLE_1)
	s_and_b32 vcc_lo, exec_lo, s0
	s_cbranch_vccz .LBB55_1602
; %bb.1552:
	v_cmp_gt_i16_e32 vcc_lo, 5, v62
	s_cbranch_vccnz .LBB55_1557
; %bb.1553:
	v_cmp_gt_i16_e32 vcc_lo, 8, v62
	s_cbranch_vccnz .LBB55_1558
	;; [unrolled: 3-line block ×3, first 2 shown]
; %bb.1555:
	v_cmp_lt_i16_e32 vcc_lo, 9, v62
	s_cbranch_vccz .LBB55_1560
; %bb.1556:
	global_load_b128 v[56:59], v[4:5], off
	s_mov_b32 s0, 0
	s_branch .LBB55_1561
.LBB55_1557:
	s_mov_b32 s0, -1
                                        ; implicit-def: $vgpr58_vgpr59
	s_branch .LBB55_1580
.LBB55_1558:
	s_mov_b32 s0, -1
                                        ; implicit-def: $vgpr58_vgpr59
	s_branch .LBB55_1567
.LBB55_1559:
	s_mov_b32 s0, -1
                                        ; implicit-def: $vgpr58_vgpr59
	s_branch .LBB55_1564
.LBB55_1560:
	s_mov_b32 s0, -1
                                        ; implicit-def: $vgpr58_vgpr59
.LBB55_1561:
	s_delay_alu instid0(SALU_CYCLE_1)
	s_and_not1_b32 vcc_lo, exec_lo, s0
	s_cbranch_vccnz .LBB55_1563
; %bb.1562:
	global_load_b64 v[6:7], v[4:5], off
	s_waitcnt vmcnt(0)
	v_cvt_f64_f32_e32 v[56:57], v6
	v_cvt_f64_f32_e32 v[58:59], v7
.LBB55_1563:
	s_mov_b32 s0, 0
.LBB55_1564:
	s_delay_alu instid0(SALU_CYCLE_1)
	s_and_not1_b32 vcc_lo, exec_lo, s0
	s_cbranch_vccnz .LBB55_1566
; %bb.1565:
	global_load_b32 v6, v[4:5], off
	s_waitcnt vmcnt(0)
	v_lshrrev_b32_e32 v7, 16, v6
	v_cvt_f32_f16_e32 v6, v6
	s_delay_alu instid0(VALU_DEP_2) | instskip(NEXT) | instid1(VALU_DEP_2)
	v_cvt_f32_f16_e32 v7, v7
	v_cvt_f64_f32_e32 v[56:57], v6
	s_delay_alu instid0(VALU_DEP_2)
	v_cvt_f64_f32_e32 v[58:59], v7
.LBB55_1566:
	s_mov_b32 s0, 0
.LBB55_1567:
	s_delay_alu instid0(SALU_CYCLE_1)
	s_and_not1_b32 vcc_lo, exec_lo, s0
	s_cbranch_vccnz .LBB55_1579
; %bb.1568:
	v_cmp_gt_i16_e32 vcc_lo, 6, v62
	s_cbranch_vccnz .LBB55_1571
; %bb.1569:
	v_cmp_lt_i16_e32 vcc_lo, 6, v62
	s_cbranch_vccz .LBB55_1572
; %bb.1570:
	global_load_b64 v[56:57], v[4:5], off
	s_mov_b32 s2, 0
	s_mov_b64 s[0:1], 0
	s_branch .LBB55_1573
.LBB55_1571:
	s_mov_b32 s2, -1
                                        ; implicit-def: $sgpr0_sgpr1
                                        ; implicit-def: $vgpr56_vgpr57
	s_branch .LBB55_1576
.LBB55_1572:
	s_mov_b32 s2, -1
                                        ; implicit-def: $sgpr0_sgpr1
                                        ; implicit-def: $vgpr56_vgpr57
.LBB55_1573:
	s_delay_alu instid0(SALU_CYCLE_1)
	s_and_not1_b32 vcc_lo, exec_lo, s2
	s_cbranch_vccnz .LBB55_1575
; %bb.1574:
	global_load_b32 v6, v[4:5], off
	s_mov_b64 s[0:1], 0
	s_waitcnt vmcnt(0)
	v_cvt_f64_f32_e32 v[56:57], v6
.LBB55_1575:
	s_mov_b32 s2, 0
.LBB55_1576:
	s_delay_alu instid0(SALU_CYCLE_1)
	s_and_not1_b32 vcc_lo, exec_lo, s2
	s_cbranch_vccnz .LBB55_1578
; %bb.1577:
	global_load_u16 v6, v[4:5], off
	s_mov_b64 s[0:1], 0
	s_waitcnt vmcnt(0)
	v_cvt_f32_f16_e32 v6, v6
	s_delay_alu instid0(VALU_DEP_1)
	v_cvt_f64_f32_e32 v[56:57], v6
.LBB55_1578:
	s_waitcnt vmcnt(0)
	v_dual_mov_b32 v59, s1 :: v_dual_mov_b32 v58, s0
.LBB55_1579:
	s_mov_b32 s0, 0
.LBB55_1580:
	s_delay_alu instid0(SALU_CYCLE_1)
	s_and_not1_b32 vcc_lo, exec_lo, s0
	s_cbranch_vccnz .LBB55_1601
; %bb.1581:
	v_cmp_gt_i16_e32 vcc_lo, 2, v62
	s_cbranch_vccnz .LBB55_1585
; %bb.1582:
	v_cmp_gt_i16_e32 vcc_lo, 3, v62
	s_cbranch_vccnz .LBB55_1586
; %bb.1583:
	v_cmp_lt_i16_e32 vcc_lo, 3, v62
	s_cbranch_vccz .LBB55_1587
; %bb.1584:
	global_load_b64 v[6:7], v[4:5], off
	s_mov_b32 s2, 0
	s_mov_b64 s[0:1], 0
	s_waitcnt vmcnt(0)
	v_cvt_f64_i32_e32 v[7:8], v7
	v_cvt_f64_u32_e32 v[9:10], v6
	s_delay_alu instid0(VALU_DEP_2) | instskip(NEXT) | instid1(VALU_DEP_1)
	v_ldexp_f64 v[7:8], v[7:8], 32
	v_add_f64 v[56:57], v[7:8], v[9:10]
	s_branch .LBB55_1588
.LBB55_1585:
	s_mov_b32 s2, -1
                                        ; implicit-def: $sgpr0_sgpr1
                                        ; implicit-def: $vgpr56_vgpr57
	s_branch .LBB55_1594
.LBB55_1586:
	s_mov_b32 s2, -1
                                        ; implicit-def: $sgpr0_sgpr1
                                        ; implicit-def: $vgpr56_vgpr57
	s_branch .LBB55_1591
.LBB55_1587:
	s_mov_b32 s2, -1
                                        ; implicit-def: $sgpr0_sgpr1
                                        ; implicit-def: $vgpr56_vgpr57
.LBB55_1588:
	s_delay_alu instid0(SALU_CYCLE_1)
	s_and_not1_b32 vcc_lo, exec_lo, s2
	s_cbranch_vccnz .LBB55_1590
; %bb.1589:
	global_load_b32 v6, v[4:5], off
	s_mov_b64 s[0:1], 0
	s_waitcnt vmcnt(0)
	v_cvt_f64_i32_e32 v[56:57], v6
.LBB55_1590:
	s_mov_b32 s2, 0
.LBB55_1591:
	s_delay_alu instid0(SALU_CYCLE_1)
	s_and_not1_b32 vcc_lo, exec_lo, s2
	s_cbranch_vccnz .LBB55_1593
; %bb.1592:
	global_load_i16 v6, v[4:5], off
	s_mov_b64 s[0:1], 0
	s_waitcnt vmcnt(0)
	v_cvt_f64_i32_e32 v[56:57], v6
.LBB55_1593:
	s_mov_b32 s2, 0
.LBB55_1594:
	s_delay_alu instid0(SALU_CYCLE_1)
	s_and_not1_b32 vcc_lo, exec_lo, s2
	s_cbranch_vccnz .LBB55_1600
; %bb.1595:
	v_cmp_lt_i16_e32 vcc_lo, 0, v62
	s_mov_b32 s2, 0
	s_cbranch_vccz .LBB55_1597
; %bb.1596:
	global_load_i8 v6, v[4:5], off
	s_mov_b64 s[0:1], 0
	s_waitcnt vmcnt(0)
	v_cvt_f64_i32_e32 v[56:57], v6
	s_branch .LBB55_1598
.LBB55_1597:
	s_mov_b32 s2, -1
                                        ; implicit-def: $sgpr0_sgpr1
                                        ; implicit-def: $vgpr56_vgpr57
.LBB55_1598:
	s_delay_alu instid0(SALU_CYCLE_1)
	s_and_not1_b32 vcc_lo, exec_lo, s2
	s_cbranch_vccnz .LBB55_1600
; %bb.1599:
	global_load_u8 v4, v[4:5], off
	s_mov_b64 s[0:1], 0
	s_waitcnt vmcnt(0)
	v_cvt_f64_u32_e32 v[56:57], v4
.LBB55_1600:
	s_waitcnt vmcnt(0)
	v_dual_mov_b32 v59, s1 :: v_dual_mov_b32 v58, s0
.LBB55_1601:
	s_mov_b32 s2, -1
.LBB55_1602:
	s_delay_alu instid0(SALU_CYCLE_1)
	s_and_not1_b32 vcc_lo, exec_lo, s2
	s_cbranch_vccnz .LBB55_2036
; %bb.1603:
	s_getpc_b64 s[0:1]
	s_add_u32 s0, s0, _ZZZZN2at6native15exp_kernel_cudaERNS_18TensorIteratorBaseEENKUlvE_clEvENKUlvE_clEvENKUlN3c107complexIdEEE_clES7_@rel32@lo+4
	s_addc_u32 s1, s1, _ZZZZN2at6native15exp_kernel_cudaERNS_18TensorIteratorBaseEENKUlvE_clEvENKUlvE_clEvENKUlN3c107complexIdEEE_clES7_@rel32@hi+12
	s_delay_alu instid0(SALU_CYCLE_1) | instskip(SKIP_2) | instid1(VALU_DEP_1)
	s_swappc_b64 s[30:31], s[0:1]
	v_mul_lo_u32 v61, s20, v61
	v_and_b32_e32 v63, 0xff, v60
	v_cmp_gt_i16_e32 vcc_lo, 11, v63
	s_delay_alu instid0(VALU_DEP_3) | instskip(SKIP_1) | instid1(VALU_DEP_1)
	v_ashrrev_i32_e32 v5, 31, v61
	v_add_co_u32 v4, s0, s16, v61
	v_add_co_ci_u32_e64 v5, s0, s17, v5, s0
	s_cbranch_vccnz .LBB55_1681
; %bb.1604:
	v_cmp_lt_i16_e32 vcc_lo, 25, v63
	s_mov_b32 s3, -1
	s_mov_b32 s1, 0
	s_mov_b32 s2, 0
	;; [unrolled: 1-line block ×3, first 2 shown]
	s_cbranch_vccz .LBB55_1637
; %bb.1605:
	v_cmp_lt_i16_e32 vcc_lo, 28, v63
	s_cbranch_vccz .LBB55_1620
; %bb.1606:
	v_cmp_lt_i16_e32 vcc_lo, 43, v63
	;; [unrolled: 3-line block ×3, first 2 shown]
	s_cbranch_vccz .LBB55_1610
; %bb.1608:
	v_cmp_eq_u16_e32 vcc_lo, 46, v63
	s_mov_b32 s0, -1
	s_mov_b32 s3, 0
	s_cbranch_vccz .LBB55_1610
; %bb.1609:
	v_cvt_f32_f64_e32 v6, v[2:3]
	v_cvt_f32_f64_e32 v7, v[0:1]
	s_mov_b32 s0, 0
	s_mov_b32 s2, -1
	s_delay_alu instid0(VALU_DEP_2) | instskip(NEXT) | instid1(VALU_DEP_2)
	v_bfe_u32 v8, v6, 16, 1
	v_bfe_u32 v9, v7, 16, 1
	v_cmp_o_f32_e32 vcc_lo, v6, v6
	s_delay_alu instid0(VALU_DEP_3) | instskip(NEXT) | instid1(VALU_DEP_3)
	v_add3_u32 v8, v6, v8, 0x7fff
	v_add3_u32 v9, v7, v9, 0x7fff
	s_delay_alu instid0(VALU_DEP_2) | instskip(NEXT) | instid1(VALU_DEP_2)
	v_and_b32_e32 v8, 0xffff0000, v8
	v_lshrrev_b32_e32 v9, 16, v9
	s_delay_alu instid0(VALU_DEP_2) | instskip(SKIP_1) | instid1(VALU_DEP_3)
	v_cndmask_b32_e32 v6, 0x7fc00000, v8, vcc_lo
	v_cmp_o_f32_e32 vcc_lo, v7, v7
	v_cndmask_b32_e32 v7, 0x7fc0, v9, vcc_lo
	s_delay_alu instid0(VALU_DEP_1)
	v_or_b32_e32 v6, v6, v7
	global_store_b32 v[4:5], v6, off
.LBB55_1610:
	s_and_b32 vcc_lo, exec_lo, s3
	s_cbranch_vccz .LBB55_1615
; %bb.1611:
	v_cmp_eq_u16_e32 vcc_lo, 44, v63
	s_mov_b32 s0, -1
	s_cbranch_vccz .LBB55_1615
; %bb.1612:
	v_cvt_f32_f64_e32 v6, v[0:1]
	v_mov_b32_e32 v7, 0xff
	s_mov_b32 s2, exec_lo
	s_delay_alu instid0(VALU_DEP_2) | instskip(NEXT) | instid1(VALU_DEP_1)
	v_bfe_u32 v8, v6, 23, 8
	v_cmpx_ne_u32_e32 0xff, v8
; %bb.1613:
	v_and_b32_e32 v7, 0x400000, v6
	v_and_or_b32 v8, 0x3fffff, v6, v8
	v_lshrrev_b32_e32 v6, 23, v6
	s_delay_alu instid0(VALU_DEP_3) | instskip(NEXT) | instid1(VALU_DEP_3)
	v_cmp_ne_u32_e32 vcc_lo, 0, v7
	v_cmp_ne_u32_e64 s0, 0, v8
	s_delay_alu instid0(VALU_DEP_1) | instskip(NEXT) | instid1(SALU_CYCLE_1)
	s_and_b32 s0, vcc_lo, s0
	v_cndmask_b32_e64 v7, 0, 1, s0
	s_delay_alu instid0(VALU_DEP_1)
	v_add_nc_u32_e32 v7, v6, v7
; %bb.1614:
	s_or_b32 exec_lo, exec_lo, s2
	s_mov_b32 s0, 0
	s_mov_b32 s2, -1
	global_store_b8 v[4:5], v7, off
.LBB55_1615:
	s_mov_b32 s3, 0
.LBB55_1616:
	s_delay_alu instid0(SALU_CYCLE_1)
	s_and_b32 vcc_lo, exec_lo, s3
	s_cbranch_vccz .LBB55_1619
; %bb.1617:
	v_cmp_eq_u16_e32 vcc_lo, 29, v63
	s_mov_b32 s0, -1
	s_cbranch_vccz .LBB55_1619
; %bb.1618:
	v_trunc_f64_e32 v[6:7], v[0:1]
	s_mov_b32 s0, 0
	s_mov_b32 s2, -1
	s_delay_alu instid0(VALU_DEP_1) | instskip(NEXT) | instid1(VALU_DEP_1)
	v_ldexp_f64 v[8:9], v[6:7], 0xffffffe0
	v_floor_f64_e32 v[8:9], v[8:9]
	s_delay_alu instid0(VALU_DEP_1) | instskip(SKIP_1) | instid1(VALU_DEP_2)
	v_fma_f64 v[6:7], 0xc1f00000, v[8:9], v[6:7]
	v_cvt_u32_f64_e32 v8, v[8:9]
	v_cvt_u32_f64_e32 v7, v[6:7]
	global_store_b64 v[4:5], v[7:8], off
.LBB55_1619:
	s_mov_b32 s3, 0
.LBB55_1620:
	s_delay_alu instid0(SALU_CYCLE_1)
	s_and_b32 vcc_lo, exec_lo, s3
	s_cbranch_vccz .LBB55_1636
; %bb.1621:
	v_cmp_gt_i16_e32 vcc_lo, 27, v63
	s_mov_b32 s2, -1
	s_cbranch_vccnz .LBB55_1627
; %bb.1622:
	v_cvt_u32_f64_e32 v6, v[0:1]
	v_cmp_lt_i16_e32 vcc_lo, 27, v63
	s_cbranch_vccz .LBB55_1624
; %bb.1623:
	s_mov_b32 s2, 0
	global_store_b32 v[4:5], v6, off
.LBB55_1624:
	s_and_not1_b32 vcc_lo, exec_lo, s2
	s_cbranch_vccnz .LBB55_1626
; %bb.1625:
	global_store_b16 v[4:5], v6, off
.LBB55_1626:
	s_mov_b32 s2, 0
.LBB55_1627:
	s_delay_alu instid0(SALU_CYCLE_1)
	s_and_not1_b32 vcc_lo, exec_lo, s2
	s_cbranch_vccnz .LBB55_1635
; %bb.1628:
	v_cvt_f32_f64_e32 v6, v[0:1]
	v_mov_b32_e32 v8, 0x80
	s_mov_b32 s2, exec_lo
	s_delay_alu instid0(VALU_DEP_2) | instskip(NEXT) | instid1(VALU_DEP_1)
	v_and_b32_e32 v7, 0x7fffffff, v6
	v_cmpx_gt_u32_e32 0x43800000, v7
	s_cbranch_execz .LBB55_1634
; %bb.1629:
	v_cmp_lt_u32_e32 vcc_lo, 0x3bffffff, v7
	s_mov_b32 s3, 0
                                        ; implicit-def: $vgpr7
	s_and_saveexec_b32 s4, vcc_lo
	s_delay_alu instid0(SALU_CYCLE_1)
	s_xor_b32 s4, exec_lo, s4
	s_cbranch_execz .LBB55_2084
; %bb.1630:
	v_bfe_u32 v7, v6, 20, 1
	s_mov_b32 s3, exec_lo
	s_delay_alu instid0(VALU_DEP_1) | instskip(NEXT) | instid1(VALU_DEP_1)
	v_add3_u32 v7, v6, v7, 0x487ffff
	v_lshrrev_b32_e32 v7, 20, v7
	s_or_saveexec_b32 s4, s4
                                        ; implicit-def: $sgpr5
	s_delay_alu instid0(SALU_CYCLE_1)
	s_xor_b32 exec_lo, exec_lo, s4
	s_cbranch_execnz .LBB55_2085
.LBB55_1631:
	s_or_b32 exec_lo, exec_lo, s4
	v_mov_b32_e32 v8, s5
	s_and_saveexec_b32 s4, s3
.LBB55_1632:
	v_lshrrev_b32_e32 v6, 24, v6
	s_delay_alu instid0(VALU_DEP_1)
	v_and_or_b32 v8, 0x80, v6, v7
.LBB55_1633:
	s_or_b32 exec_lo, exec_lo, s4
.LBB55_1634:
	s_delay_alu instid0(SALU_CYCLE_1)
	s_or_b32 exec_lo, exec_lo, s2
	global_store_b8 v[4:5], v8, off
.LBB55_1635:
	s_mov_b32 s2, -1
.LBB55_1636:
	s_mov_b32 s3, 0
.LBB55_1637:
	s_delay_alu instid0(SALU_CYCLE_1)
	s_and_b32 vcc_lo, exec_lo, s3
	s_cbranch_vccz .LBB55_1677
; %bb.1638:
	v_cmp_lt_i16_e32 vcc_lo, 22, v63
	s_mov_b32 s1, -1
	s_cbranch_vccz .LBB55_1670
; %bb.1639:
	v_cmp_gt_i16_e32 vcc_lo, 24, v63
	s_cbranch_vccnz .LBB55_1659
; %bb.1640:
	v_cmp_lt_i16_e32 vcc_lo, 24, v63
	s_cbranch_vccz .LBB55_1648
; %bb.1641:
	v_cvt_f32_f64_e32 v6, v[0:1]
	v_mov_b32_e32 v8, 0x80
	s_mov_b32 s1, exec_lo
	s_delay_alu instid0(VALU_DEP_2) | instskip(NEXT) | instid1(VALU_DEP_1)
	v_and_b32_e32 v7, 0x7fffffff, v6
	v_cmpx_gt_u32_e32 0x47800000, v7
	s_cbranch_execz .LBB55_1647
; %bb.1642:
	v_cmp_lt_u32_e32 vcc_lo, 0x37ffffff, v7
	s_mov_b32 s2, 0
                                        ; implicit-def: $vgpr7
	s_and_saveexec_b32 s3, vcc_lo
	s_delay_alu instid0(SALU_CYCLE_1)
	s_xor_b32 s3, exec_lo, s3
	s_cbranch_execz .LBB55_2090
; %bb.1643:
	v_bfe_u32 v7, v6, 21, 1
	s_mov_b32 s2, exec_lo
	s_delay_alu instid0(VALU_DEP_1) | instskip(NEXT) | instid1(VALU_DEP_1)
	v_add3_u32 v7, v6, v7, 0x88fffff
	v_lshrrev_b32_e32 v7, 21, v7
	s_or_saveexec_b32 s3, s3
                                        ; implicit-def: $sgpr4
	s_delay_alu instid0(SALU_CYCLE_1)
	s_xor_b32 exec_lo, exec_lo, s3
	s_cbranch_execnz .LBB55_2091
.LBB55_1644:
	s_or_b32 exec_lo, exec_lo, s3
	v_mov_b32_e32 v8, s4
	s_and_saveexec_b32 s3, s2
.LBB55_1645:
	v_lshrrev_b32_e32 v6, 24, v6
	s_delay_alu instid0(VALU_DEP_1)
	v_and_or_b32 v8, 0x80, v6, v7
.LBB55_1646:
	s_or_b32 exec_lo, exec_lo, s3
.LBB55_1647:
	s_delay_alu instid0(SALU_CYCLE_1)
	s_or_b32 exec_lo, exec_lo, s1
	s_mov_b32 s1, 0
	global_store_b8 v[4:5], v8, off
.LBB55_1648:
	s_and_b32 vcc_lo, exec_lo, s1
	s_cbranch_vccz .LBB55_1658
; %bb.1649:
	v_cvt_f32_f64_e32 v6, v[0:1]
	s_mov_b32 s1, exec_lo
                                        ; implicit-def: $vgpr7
	s_delay_alu instid0(VALU_DEP_1) | instskip(NEXT) | instid1(VALU_DEP_1)
	v_and_b32_e32 v8, 0x7fffffff, v6
	v_cmpx_gt_u32_e32 0x43f00000, v8
	s_xor_b32 s1, exec_lo, s1
	s_cbranch_execz .LBB55_1655
; %bb.1650:
	s_mov_b32 s2, exec_lo
                                        ; implicit-def: $vgpr7
	v_cmpx_lt_u32_e32 0x3c7fffff, v8
	s_xor_b32 s2, exec_lo, s2
; %bb.1651:
	v_bfe_u32 v7, v6, 20, 1
	s_delay_alu instid0(VALU_DEP_1) | instskip(NEXT) | instid1(VALU_DEP_1)
	v_add3_u32 v7, v6, v7, 0x407ffff
	v_and_b32_e32 v8, 0xff00000, v7
	v_lshrrev_b32_e32 v7, 20, v7
	s_delay_alu instid0(VALU_DEP_2) | instskip(NEXT) | instid1(VALU_DEP_2)
	v_cmp_ne_u32_e32 vcc_lo, 0x7f00000, v8
	v_cndmask_b32_e32 v7, 0x7e, v7, vcc_lo
; %bb.1652:
	s_and_not1_saveexec_b32 s2, s2
; %bb.1653:
	v_add_f32_e64 v7, 0x46800000, |v6|
; %bb.1654:
	s_or_b32 exec_lo, exec_lo, s2
                                        ; implicit-def: $vgpr8
.LBB55_1655:
	s_and_not1_saveexec_b32 s1, s1
; %bb.1656:
	v_mov_b32_e32 v7, 0x7f
	v_cmp_lt_u32_e32 vcc_lo, 0x7f800000, v8
	s_delay_alu instid0(VALU_DEP_2)
	v_cndmask_b32_e32 v7, 0x7e, v7, vcc_lo
; %bb.1657:
	s_or_b32 exec_lo, exec_lo, s1
	v_lshrrev_b32_e32 v6, 24, v6
	s_delay_alu instid0(VALU_DEP_1)
	v_and_or_b32 v6, 0x80, v6, v7
	global_store_b8 v[4:5], v6, off
.LBB55_1658:
	s_mov_b32 s1, 0
.LBB55_1659:
	s_delay_alu instid0(SALU_CYCLE_1)
	s_and_not1_b32 vcc_lo, exec_lo, s1
	s_cbranch_vccnz .LBB55_1669
; %bb.1660:
	v_cvt_f32_f64_e32 v6, v[0:1]
	s_mov_b32 s1, exec_lo
                                        ; implicit-def: $vgpr7
	s_delay_alu instid0(VALU_DEP_1) | instskip(NEXT) | instid1(VALU_DEP_1)
	v_and_b32_e32 v8, 0x7fffffff, v6
	v_cmpx_gt_u32_e32 0x47800000, v8
	s_xor_b32 s1, exec_lo, s1
	s_cbranch_execz .LBB55_1666
; %bb.1661:
	s_mov_b32 s2, exec_lo
                                        ; implicit-def: $vgpr7
	v_cmpx_lt_u32_e32 0x387fffff, v8
	s_xor_b32 s2, exec_lo, s2
; %bb.1662:
	v_bfe_u32 v7, v6, 21, 1
	s_delay_alu instid0(VALU_DEP_1) | instskip(NEXT) | instid1(VALU_DEP_1)
	v_add3_u32 v7, v6, v7, 0x80fffff
	v_lshrrev_b32_e32 v7, 21, v7
; %bb.1663:
	s_and_not1_saveexec_b32 s2, s2
; %bb.1664:
	v_add_f32_e64 v7, 0x43000000, |v6|
; %bb.1665:
	s_or_b32 exec_lo, exec_lo, s2
                                        ; implicit-def: $vgpr8
.LBB55_1666:
	s_and_not1_saveexec_b32 s1, s1
; %bb.1667:
	v_mov_b32_e32 v7, 0x7f
	v_cmp_lt_u32_e32 vcc_lo, 0x7f800000, v8
	s_delay_alu instid0(VALU_DEP_2)
	v_cndmask_b32_e32 v7, 0x7c, v7, vcc_lo
; %bb.1668:
	s_or_b32 exec_lo, exec_lo, s1
	v_lshrrev_b32_e32 v6, 24, v6
	s_delay_alu instid0(VALU_DEP_1)
	v_and_or_b32 v6, 0x80, v6, v7
	global_store_b8 v[4:5], v6, off
.LBB55_1669:
	s_mov_b32 s1, 0
	s_mov_b32 s2, -1
.LBB55_1670:
	s_and_not1_b32 vcc_lo, exec_lo, s1
	s_mov_b32 s1, 0
	s_cbranch_vccnz .LBB55_1677
; %bb.1671:
	v_cmp_lt_i16_e32 vcc_lo, 14, v63
	s_mov_b32 s1, -1
	s_cbranch_vccz .LBB55_1675
; %bb.1672:
	v_cmp_eq_u16_e32 vcc_lo, 15, v63
	s_mov_b32 s0, -1
	s_cbranch_vccz .LBB55_1674
; %bb.1673:
	v_cvt_f32_f64_e32 v6, v[0:1]
	s_mov_b32 s0, 0
	s_mov_b32 s2, -1
	s_delay_alu instid0(VALU_DEP_1) | instskip(SKIP_1) | instid1(VALU_DEP_2)
	v_bfe_u32 v7, v6, 16, 1
	v_cmp_o_f32_e32 vcc_lo, v6, v6
	v_add3_u32 v7, v6, v7, 0x7fff
	s_delay_alu instid0(VALU_DEP_1) | instskip(NEXT) | instid1(VALU_DEP_1)
	v_lshrrev_b32_e32 v7, 16, v7
	v_cndmask_b32_e32 v6, 0x7fc0, v7, vcc_lo
	global_store_b16 v[4:5], v6, off
.LBB55_1674:
	s_mov_b32 s1, 0
.LBB55_1675:
	s_delay_alu instid0(SALU_CYCLE_1)
	s_and_b32 vcc_lo, exec_lo, s1
	s_mov_b32 s1, 0
	s_cbranch_vccz .LBB55_1677
; %bb.1676:
	v_cmp_ne_u16_e64 s0, 11, v63
	s_mov_b32 s1, -1
.LBB55_1677:
	s_delay_alu instid0(VALU_DEP_1)
	s_and_b32 vcc_lo, exec_lo, s0
	s_cbranch_vccnz .LBB55_2088
; %bb.1678:
	s_and_not1_b32 vcc_lo, exec_lo, s1
	s_cbranch_vccnz .LBB55_1680
.LBB55_1679:
	v_cmp_neq_f64_e32 vcc_lo, 0, v[0:1]
	v_cmp_neq_f64_e64 s0, 0, v[2:3]
	s_mov_b32 s2, -1
	s_delay_alu instid0(VALU_DEP_1) | instskip(NEXT) | instid1(SALU_CYCLE_1)
	s_or_b32 s0, vcc_lo, s0
	v_cndmask_b32_e64 v6, 0, 1, s0
	global_store_b8 v[4:5], v6, off
.LBB55_1680:
	s_mov_b32 s0, 0
	s_branch .LBB55_1682
.LBB55_1681:
	s_mov_b32 s0, -1
	s_mov_b32 s2, 0
.LBB55_1682:
	s_and_b32 vcc_lo, exec_lo, s0
	s_cbranch_vccz .LBB55_1721
; %bb.1683:
	v_cmp_gt_i16_e32 vcc_lo, 5, v63
	s_mov_b32 s0, -1
	s_cbranch_vccnz .LBB55_1704
; %bb.1684:
	v_cmp_gt_i16_e32 vcc_lo, 8, v63
	s_cbranch_vccnz .LBB55_1694
; %bb.1685:
	v_cmp_gt_i16_e32 vcc_lo, 9, v63
	s_cbranch_vccnz .LBB55_1691
; %bb.1686:
	v_cmp_lt_i16_e32 vcc_lo, 9, v63
	s_cbranch_vccz .LBB55_1688
; %bb.1687:
	s_mov_b32 s0, 0
	global_store_b128 v[4:5], v[0:3], off
.LBB55_1688:
	s_and_not1_b32 vcc_lo, exec_lo, s0
	s_cbranch_vccnz .LBB55_1690
; %bb.1689:
	v_cvt_f32_f64_e32 v6, v[0:1]
	v_cvt_f32_f64_e32 v7, v[2:3]
	global_store_b64 v[4:5], v[6:7], off
.LBB55_1690:
	s_mov_b32 s0, 0
.LBB55_1691:
	s_delay_alu instid0(SALU_CYCLE_1)
	s_and_not1_b32 vcc_lo, exec_lo, s0
	s_cbranch_vccnz .LBB55_1693
; %bb.1692:
	v_cvt_f32_f64_e32 v2, v[2:3]
	v_cvt_f32_f64_e32 v3, v[0:1]
	s_delay_alu instid0(VALU_DEP_2) | instskip(NEXT) | instid1(VALU_DEP_2)
	v_cvt_f16_f32_e32 v2, v2
	v_cvt_f16_f32_e32 v3, v3
	s_delay_alu instid0(VALU_DEP_2) | instskip(NEXT) | instid1(VALU_DEP_2)
	v_lshlrev_b32_e32 v2, 16, v2
	v_and_b32_e32 v3, 0xffff, v3
	s_delay_alu instid0(VALU_DEP_1)
	v_or_b32_e32 v2, v2, v3
	global_store_b32 v[4:5], v2, off
.LBB55_1693:
	s_mov_b32 s0, 0
.LBB55_1694:
	s_delay_alu instid0(SALU_CYCLE_1)
	s_and_not1_b32 vcc_lo, exec_lo, s0
	s_cbranch_vccnz .LBB55_1703
; %bb.1695:
	v_cmp_gt_i16_e32 vcc_lo, 6, v63
	s_mov_b32 s0, -1
	s_cbranch_vccnz .LBB55_1701
; %bb.1696:
	v_cmp_lt_i16_e32 vcc_lo, 6, v63
	s_cbranch_vccz .LBB55_1698
; %bb.1697:
	s_mov_b32 s0, 0
	global_store_b64 v[4:5], v[0:1], off
.LBB55_1698:
	s_and_not1_b32 vcc_lo, exec_lo, s0
	s_cbranch_vccnz .LBB55_1700
; %bb.1699:
	v_cvt_f32_f64_e32 v2, v[0:1]
	global_store_b32 v[4:5], v2, off
.LBB55_1700:
	s_mov_b32 s0, 0
.LBB55_1701:
	s_delay_alu instid0(SALU_CYCLE_1)
	s_and_not1_b32 vcc_lo, exec_lo, s0
	s_cbranch_vccnz .LBB55_1703
; %bb.1702:
	v_cvt_f32_f64_e32 v2, v[0:1]
	s_delay_alu instid0(VALU_DEP_1)
	v_cvt_f16_f32_e32 v2, v2
	global_store_b16 v[4:5], v2, off
.LBB55_1703:
	s_mov_b32 s0, 0
.LBB55_1704:
	s_delay_alu instid0(SALU_CYCLE_1)
	s_and_not1_b32 vcc_lo, exec_lo, s0
	s_cbranch_vccnz .LBB55_1720
; %bb.1705:
	v_cmp_gt_i16_e32 vcc_lo, 2, v63
	s_mov_b32 s0, -1
	s_cbranch_vccnz .LBB55_1715
; %bb.1706:
	v_cmp_gt_i16_e32 vcc_lo, 3, v63
	s_cbranch_vccnz .LBB55_1712
; %bb.1707:
	v_cmp_lt_i16_e32 vcc_lo, 3, v63
	s_cbranch_vccz .LBB55_1709
; %bb.1708:
	v_trunc_f64_e32 v[2:3], v[0:1]
	s_mov_b32 s0, 0
	s_delay_alu instid0(VALU_DEP_1) | instskip(NEXT) | instid1(VALU_DEP_1)
	v_ldexp_f64 v[6:7], v[2:3], 0xffffffe0
	v_floor_f64_e32 v[6:7], v[6:7]
	s_delay_alu instid0(VALU_DEP_1) | instskip(SKIP_1) | instid1(VALU_DEP_2)
	v_fma_f64 v[2:3], 0xc1f00000, v[6:7], v[2:3]
	v_cvt_i32_f64_e32 v7, v[6:7]
	v_cvt_u32_f64_e32 v6, v[2:3]
	global_store_b64 v[4:5], v[6:7], off
.LBB55_1709:
	s_and_not1_b32 vcc_lo, exec_lo, s0
	s_cbranch_vccnz .LBB55_1711
; %bb.1710:
	v_cvt_i32_f64_e32 v2, v[0:1]
	global_store_b32 v[4:5], v2, off
.LBB55_1711:
	s_mov_b32 s0, 0
.LBB55_1712:
	s_delay_alu instid0(SALU_CYCLE_1)
	s_and_not1_b32 vcc_lo, exec_lo, s0
	s_cbranch_vccnz .LBB55_1714
; %bb.1713:
	v_cvt_i32_f64_e32 v2, v[0:1]
	global_store_b16 v[4:5], v2, off
.LBB55_1714:
	s_mov_b32 s0, 0
.LBB55_1715:
	s_delay_alu instid0(SALU_CYCLE_1)
	s_and_not1_b32 vcc_lo, exec_lo, s0
	s_cbranch_vccnz .LBB55_1720
; %bb.1716:
	v_cmp_lt_i16_e32 vcc_lo, 0, v63
	s_mov_b32 s0, -1
	s_cbranch_vccz .LBB55_1718
; %bb.1717:
	v_cvt_i32_f64_e32 v2, v[0:1]
	s_mov_b32 s0, 0
	global_store_b8 v[4:5], v2, off
.LBB55_1718:
	s_and_not1_b32 vcc_lo, exec_lo, s0
	s_cbranch_vccnz .LBB55_1720
; %bb.1719:
	v_trunc_f64_e32 v[0:1], v[0:1]
	s_delay_alu instid0(VALU_DEP_1) | instskip(NEXT) | instid1(VALU_DEP_1)
	v_ldexp_f64 v[2:3], v[0:1], 0xffffffe0
	v_floor_f64_e32 v[2:3], v[2:3]
	s_delay_alu instid0(VALU_DEP_1) | instskip(NEXT) | instid1(VALU_DEP_1)
	v_fma_f64 v[0:1], 0xc1f00000, v[2:3], v[0:1]
	v_cvt_u32_f64_e32 v0, v[0:1]
	global_store_b8 v[4:5], v0, off
.LBB55_1720:
	s_mov_b32 s2, -1
.LBB55_1721:
	s_delay_alu instid0(SALU_CYCLE_1)
	s_and_not1_b32 vcc_lo, exec_lo, s2
	s_cbranch_vccnz .LBB55_2036
; %bb.1722:
	v_dual_mov_b32 v0, v40 :: v_dual_mov_b32 v1, v41
	v_dual_mov_b32 v2, v42 :: v_dual_mov_b32 v3, v43
	s_getpc_b64 s[0:1]
	s_add_u32 s0, s0, _ZZZZN2at6native15exp_kernel_cudaERNS_18TensorIteratorBaseEENKUlvE_clEvENKUlvE_clEvENKUlN3c107complexIdEEE_clES7_@rel32@lo+4
	s_addc_u32 s1, s1, _ZZZZN2at6native15exp_kernel_cudaERNS_18TensorIteratorBaseEENKUlvE_clEvENKUlvE_clEvENKUlN3c107complexIdEEE_clES7_@rel32@hi+12
	s_delay_alu instid0(SALU_CYCLE_1) | instskip(SKIP_3) | instid1(VALU_DEP_1)
	s_swappc_b64 s[30:31], s[0:1]
	s_lshl_b32 s18, s20, 7
	v_cmp_gt_i16_e32 vcc_lo, 11, v63
	v_add_nc_u32_e32 v40, s18, v61
	v_ashrrev_i32_e32 v5, 31, v40
	v_add_co_u32 v4, s0, s16, v40
	s_delay_alu instid0(VALU_DEP_1)
	v_add_co_ci_u32_e64 v5, s0, s17, v5, s0
	s_cbranch_vccnz .LBB55_1800
; %bb.1723:
	v_cmp_lt_i16_e32 vcc_lo, 25, v63
	s_mov_b32 s3, -1
	s_mov_b32 s1, 0
	s_mov_b32 s2, 0
	;; [unrolled: 1-line block ×3, first 2 shown]
	s_cbranch_vccz .LBB55_1756
; %bb.1724:
	v_cmp_lt_i16_e32 vcc_lo, 28, v63
	s_cbranch_vccz .LBB55_1739
; %bb.1725:
	v_cmp_lt_i16_e32 vcc_lo, 43, v63
	;; [unrolled: 3-line block ×3, first 2 shown]
	s_cbranch_vccz .LBB55_1729
; %bb.1727:
	v_cmp_eq_u16_e32 vcc_lo, 46, v63
	s_mov_b32 s0, -1
	s_mov_b32 s3, 0
	s_cbranch_vccz .LBB55_1729
; %bb.1728:
	v_cvt_f32_f64_e32 v6, v[2:3]
	v_cvt_f32_f64_e32 v7, v[0:1]
	s_mov_b32 s0, 0
	s_mov_b32 s2, -1
	s_delay_alu instid0(VALU_DEP_2) | instskip(NEXT) | instid1(VALU_DEP_2)
	v_bfe_u32 v8, v6, 16, 1
	v_bfe_u32 v9, v7, 16, 1
	v_cmp_o_f32_e32 vcc_lo, v6, v6
	s_delay_alu instid0(VALU_DEP_3) | instskip(NEXT) | instid1(VALU_DEP_3)
	v_add3_u32 v8, v6, v8, 0x7fff
	v_add3_u32 v9, v7, v9, 0x7fff
	s_delay_alu instid0(VALU_DEP_2) | instskip(NEXT) | instid1(VALU_DEP_2)
	v_and_b32_e32 v8, 0xffff0000, v8
	v_lshrrev_b32_e32 v9, 16, v9
	s_delay_alu instid0(VALU_DEP_2) | instskip(SKIP_1) | instid1(VALU_DEP_3)
	v_cndmask_b32_e32 v6, 0x7fc00000, v8, vcc_lo
	v_cmp_o_f32_e32 vcc_lo, v7, v7
	v_cndmask_b32_e32 v7, 0x7fc0, v9, vcc_lo
	s_delay_alu instid0(VALU_DEP_1)
	v_or_b32_e32 v6, v6, v7
	global_store_b32 v[4:5], v6, off
.LBB55_1729:
	s_and_b32 vcc_lo, exec_lo, s3
	s_cbranch_vccz .LBB55_1734
; %bb.1730:
	v_cmp_eq_u16_e32 vcc_lo, 44, v63
	s_mov_b32 s0, -1
	s_cbranch_vccz .LBB55_1734
; %bb.1731:
	v_cvt_f32_f64_e32 v6, v[0:1]
	v_mov_b32_e32 v7, 0xff
	s_mov_b32 s2, exec_lo
	s_delay_alu instid0(VALU_DEP_2) | instskip(NEXT) | instid1(VALU_DEP_1)
	v_bfe_u32 v8, v6, 23, 8
	v_cmpx_ne_u32_e32 0xff, v8
; %bb.1732:
	v_and_b32_e32 v7, 0x400000, v6
	v_and_or_b32 v8, 0x3fffff, v6, v8
	v_lshrrev_b32_e32 v6, 23, v6
	s_delay_alu instid0(VALU_DEP_3) | instskip(NEXT) | instid1(VALU_DEP_3)
	v_cmp_ne_u32_e32 vcc_lo, 0, v7
	v_cmp_ne_u32_e64 s0, 0, v8
	s_delay_alu instid0(VALU_DEP_1) | instskip(NEXT) | instid1(SALU_CYCLE_1)
	s_and_b32 s0, vcc_lo, s0
	v_cndmask_b32_e64 v7, 0, 1, s0
	s_delay_alu instid0(VALU_DEP_1)
	v_add_nc_u32_e32 v7, v6, v7
; %bb.1733:
	s_or_b32 exec_lo, exec_lo, s2
	s_mov_b32 s0, 0
	s_mov_b32 s2, -1
	global_store_b8 v[4:5], v7, off
.LBB55_1734:
	s_mov_b32 s3, 0
.LBB55_1735:
	s_delay_alu instid0(SALU_CYCLE_1)
	s_and_b32 vcc_lo, exec_lo, s3
	s_cbranch_vccz .LBB55_1738
; %bb.1736:
	v_cmp_eq_u16_e32 vcc_lo, 29, v63
	s_mov_b32 s0, -1
	s_cbranch_vccz .LBB55_1738
; %bb.1737:
	v_trunc_f64_e32 v[6:7], v[0:1]
	s_mov_b32 s0, 0
	s_mov_b32 s2, -1
	s_delay_alu instid0(VALU_DEP_1) | instskip(NEXT) | instid1(VALU_DEP_1)
	v_ldexp_f64 v[8:9], v[6:7], 0xffffffe0
	v_floor_f64_e32 v[8:9], v[8:9]
	s_delay_alu instid0(VALU_DEP_1) | instskip(SKIP_1) | instid1(VALU_DEP_2)
	v_fma_f64 v[6:7], 0xc1f00000, v[8:9], v[6:7]
	v_cvt_u32_f64_e32 v8, v[8:9]
	v_cvt_u32_f64_e32 v7, v[6:7]
	global_store_b64 v[4:5], v[7:8], off
.LBB55_1738:
	s_mov_b32 s3, 0
.LBB55_1739:
	s_delay_alu instid0(SALU_CYCLE_1)
	s_and_b32 vcc_lo, exec_lo, s3
	s_cbranch_vccz .LBB55_1755
; %bb.1740:
	v_cmp_gt_i16_e32 vcc_lo, 27, v63
	s_mov_b32 s2, -1
	s_cbranch_vccnz .LBB55_1746
; %bb.1741:
	v_cvt_u32_f64_e32 v6, v[0:1]
	v_cmp_lt_i16_e32 vcc_lo, 27, v63
	s_cbranch_vccz .LBB55_1743
; %bb.1742:
	s_mov_b32 s2, 0
	global_store_b32 v[4:5], v6, off
.LBB55_1743:
	s_and_not1_b32 vcc_lo, exec_lo, s2
	s_cbranch_vccnz .LBB55_1745
; %bb.1744:
	global_store_b16 v[4:5], v6, off
.LBB55_1745:
	s_mov_b32 s2, 0
.LBB55_1746:
	s_delay_alu instid0(SALU_CYCLE_1)
	s_and_not1_b32 vcc_lo, exec_lo, s2
	s_cbranch_vccnz .LBB55_1754
; %bb.1747:
	v_cvt_f32_f64_e32 v6, v[0:1]
	v_mov_b32_e32 v8, 0x80
	s_mov_b32 s2, exec_lo
	s_delay_alu instid0(VALU_DEP_2) | instskip(NEXT) | instid1(VALU_DEP_1)
	v_and_b32_e32 v7, 0x7fffffff, v6
	v_cmpx_gt_u32_e32 0x43800000, v7
	s_cbranch_execz .LBB55_1753
; %bb.1748:
	v_cmp_lt_u32_e32 vcc_lo, 0x3bffffff, v7
	s_mov_b32 s3, 0
                                        ; implicit-def: $vgpr7
	s_and_saveexec_b32 s4, vcc_lo
	s_delay_alu instid0(SALU_CYCLE_1)
	s_xor_b32 s4, exec_lo, s4
	s_cbranch_execz .LBB55_2092
; %bb.1749:
	v_bfe_u32 v7, v6, 20, 1
	s_mov_b32 s3, exec_lo
	s_delay_alu instid0(VALU_DEP_1) | instskip(NEXT) | instid1(VALU_DEP_1)
	v_add3_u32 v7, v6, v7, 0x487ffff
	v_lshrrev_b32_e32 v7, 20, v7
	s_or_saveexec_b32 s4, s4
                                        ; implicit-def: $sgpr5
	s_delay_alu instid0(SALU_CYCLE_1)
	s_xor_b32 exec_lo, exec_lo, s4
	s_cbranch_execnz .LBB55_2093
.LBB55_1750:
	s_or_b32 exec_lo, exec_lo, s4
	v_mov_b32_e32 v8, s5
	s_and_saveexec_b32 s4, s3
.LBB55_1751:
	v_lshrrev_b32_e32 v6, 24, v6
	s_delay_alu instid0(VALU_DEP_1)
	v_and_or_b32 v8, 0x80, v6, v7
.LBB55_1752:
	s_or_b32 exec_lo, exec_lo, s4
.LBB55_1753:
	s_delay_alu instid0(SALU_CYCLE_1)
	s_or_b32 exec_lo, exec_lo, s2
	global_store_b8 v[4:5], v8, off
.LBB55_1754:
	s_mov_b32 s2, -1
.LBB55_1755:
	s_mov_b32 s3, 0
.LBB55_1756:
	s_delay_alu instid0(SALU_CYCLE_1)
	s_and_b32 vcc_lo, exec_lo, s3
	s_cbranch_vccz .LBB55_1796
; %bb.1757:
	v_cmp_lt_i16_e32 vcc_lo, 22, v63
	s_mov_b32 s1, -1
	s_cbranch_vccz .LBB55_1789
; %bb.1758:
	v_cmp_gt_i16_e32 vcc_lo, 24, v63
	s_cbranch_vccnz .LBB55_1778
; %bb.1759:
	v_cmp_lt_i16_e32 vcc_lo, 24, v63
	s_cbranch_vccz .LBB55_1767
; %bb.1760:
	v_cvt_f32_f64_e32 v6, v[0:1]
	v_mov_b32_e32 v8, 0x80
	s_mov_b32 s1, exec_lo
	s_delay_alu instid0(VALU_DEP_2) | instskip(NEXT) | instid1(VALU_DEP_1)
	v_and_b32_e32 v7, 0x7fffffff, v6
	v_cmpx_gt_u32_e32 0x47800000, v7
	s_cbranch_execz .LBB55_1766
; %bb.1761:
	v_cmp_lt_u32_e32 vcc_lo, 0x37ffffff, v7
	s_mov_b32 s2, 0
                                        ; implicit-def: $vgpr7
	s_and_saveexec_b32 s3, vcc_lo
	s_delay_alu instid0(SALU_CYCLE_1)
	s_xor_b32 s3, exec_lo, s3
	s_cbranch_execz .LBB55_2098
; %bb.1762:
	v_bfe_u32 v7, v6, 21, 1
	s_mov_b32 s2, exec_lo
	s_delay_alu instid0(VALU_DEP_1) | instskip(NEXT) | instid1(VALU_DEP_1)
	v_add3_u32 v7, v6, v7, 0x88fffff
	v_lshrrev_b32_e32 v7, 21, v7
	s_or_saveexec_b32 s3, s3
                                        ; implicit-def: $sgpr4
	s_delay_alu instid0(SALU_CYCLE_1)
	s_xor_b32 exec_lo, exec_lo, s3
	s_cbranch_execnz .LBB55_2099
.LBB55_1763:
	s_or_b32 exec_lo, exec_lo, s3
	v_mov_b32_e32 v8, s4
	s_and_saveexec_b32 s3, s2
.LBB55_1764:
	v_lshrrev_b32_e32 v6, 24, v6
	s_delay_alu instid0(VALU_DEP_1)
	v_and_or_b32 v8, 0x80, v6, v7
.LBB55_1765:
	s_or_b32 exec_lo, exec_lo, s3
.LBB55_1766:
	s_delay_alu instid0(SALU_CYCLE_1)
	s_or_b32 exec_lo, exec_lo, s1
	s_mov_b32 s1, 0
	global_store_b8 v[4:5], v8, off
.LBB55_1767:
	s_and_b32 vcc_lo, exec_lo, s1
	s_cbranch_vccz .LBB55_1777
; %bb.1768:
	v_cvt_f32_f64_e32 v6, v[0:1]
	s_mov_b32 s1, exec_lo
                                        ; implicit-def: $vgpr7
	s_delay_alu instid0(VALU_DEP_1) | instskip(NEXT) | instid1(VALU_DEP_1)
	v_and_b32_e32 v8, 0x7fffffff, v6
	v_cmpx_gt_u32_e32 0x43f00000, v8
	s_xor_b32 s1, exec_lo, s1
	s_cbranch_execz .LBB55_1774
; %bb.1769:
	s_mov_b32 s2, exec_lo
                                        ; implicit-def: $vgpr7
	v_cmpx_lt_u32_e32 0x3c7fffff, v8
	s_xor_b32 s2, exec_lo, s2
; %bb.1770:
	v_bfe_u32 v7, v6, 20, 1
	s_delay_alu instid0(VALU_DEP_1) | instskip(NEXT) | instid1(VALU_DEP_1)
	v_add3_u32 v7, v6, v7, 0x407ffff
	v_and_b32_e32 v8, 0xff00000, v7
	v_lshrrev_b32_e32 v7, 20, v7
	s_delay_alu instid0(VALU_DEP_2) | instskip(NEXT) | instid1(VALU_DEP_2)
	v_cmp_ne_u32_e32 vcc_lo, 0x7f00000, v8
	v_cndmask_b32_e32 v7, 0x7e, v7, vcc_lo
; %bb.1771:
	s_and_not1_saveexec_b32 s2, s2
; %bb.1772:
	v_add_f32_e64 v7, 0x46800000, |v6|
; %bb.1773:
	s_or_b32 exec_lo, exec_lo, s2
                                        ; implicit-def: $vgpr8
.LBB55_1774:
	s_and_not1_saveexec_b32 s1, s1
; %bb.1775:
	v_mov_b32_e32 v7, 0x7f
	v_cmp_lt_u32_e32 vcc_lo, 0x7f800000, v8
	s_delay_alu instid0(VALU_DEP_2)
	v_cndmask_b32_e32 v7, 0x7e, v7, vcc_lo
; %bb.1776:
	s_or_b32 exec_lo, exec_lo, s1
	v_lshrrev_b32_e32 v6, 24, v6
	s_delay_alu instid0(VALU_DEP_1)
	v_and_or_b32 v6, 0x80, v6, v7
	global_store_b8 v[4:5], v6, off
.LBB55_1777:
	s_mov_b32 s1, 0
.LBB55_1778:
	s_delay_alu instid0(SALU_CYCLE_1)
	s_and_not1_b32 vcc_lo, exec_lo, s1
	s_cbranch_vccnz .LBB55_1788
; %bb.1779:
	v_cvt_f32_f64_e32 v6, v[0:1]
	s_mov_b32 s1, exec_lo
                                        ; implicit-def: $vgpr7
	s_delay_alu instid0(VALU_DEP_1) | instskip(NEXT) | instid1(VALU_DEP_1)
	v_and_b32_e32 v8, 0x7fffffff, v6
	v_cmpx_gt_u32_e32 0x47800000, v8
	s_xor_b32 s1, exec_lo, s1
	s_cbranch_execz .LBB55_1785
; %bb.1780:
	s_mov_b32 s2, exec_lo
                                        ; implicit-def: $vgpr7
	v_cmpx_lt_u32_e32 0x387fffff, v8
	s_xor_b32 s2, exec_lo, s2
; %bb.1781:
	v_bfe_u32 v7, v6, 21, 1
	s_delay_alu instid0(VALU_DEP_1) | instskip(NEXT) | instid1(VALU_DEP_1)
	v_add3_u32 v7, v6, v7, 0x80fffff
	v_lshrrev_b32_e32 v7, 21, v7
; %bb.1782:
	s_and_not1_saveexec_b32 s2, s2
; %bb.1783:
	v_add_f32_e64 v7, 0x43000000, |v6|
; %bb.1784:
	s_or_b32 exec_lo, exec_lo, s2
                                        ; implicit-def: $vgpr8
.LBB55_1785:
	s_and_not1_saveexec_b32 s1, s1
; %bb.1786:
	v_mov_b32_e32 v7, 0x7f
	v_cmp_lt_u32_e32 vcc_lo, 0x7f800000, v8
	s_delay_alu instid0(VALU_DEP_2)
	v_cndmask_b32_e32 v7, 0x7c, v7, vcc_lo
; %bb.1787:
	s_or_b32 exec_lo, exec_lo, s1
	v_lshrrev_b32_e32 v6, 24, v6
	s_delay_alu instid0(VALU_DEP_1)
	v_and_or_b32 v6, 0x80, v6, v7
	global_store_b8 v[4:5], v6, off
.LBB55_1788:
	s_mov_b32 s1, 0
	s_mov_b32 s2, -1
.LBB55_1789:
	s_and_not1_b32 vcc_lo, exec_lo, s1
	s_mov_b32 s1, 0
	s_cbranch_vccnz .LBB55_1796
; %bb.1790:
	v_cmp_lt_i16_e32 vcc_lo, 14, v63
	s_mov_b32 s1, -1
	s_cbranch_vccz .LBB55_1794
; %bb.1791:
	v_cmp_eq_u16_e32 vcc_lo, 15, v63
	s_mov_b32 s0, -1
	s_cbranch_vccz .LBB55_1793
; %bb.1792:
	v_cvt_f32_f64_e32 v6, v[0:1]
	s_mov_b32 s0, 0
	s_mov_b32 s2, -1
	s_delay_alu instid0(VALU_DEP_1) | instskip(SKIP_1) | instid1(VALU_DEP_2)
	v_bfe_u32 v7, v6, 16, 1
	v_cmp_o_f32_e32 vcc_lo, v6, v6
	v_add3_u32 v7, v6, v7, 0x7fff
	s_delay_alu instid0(VALU_DEP_1) | instskip(NEXT) | instid1(VALU_DEP_1)
	v_lshrrev_b32_e32 v7, 16, v7
	v_cndmask_b32_e32 v6, 0x7fc0, v7, vcc_lo
	global_store_b16 v[4:5], v6, off
.LBB55_1793:
	s_mov_b32 s1, 0
.LBB55_1794:
	s_delay_alu instid0(SALU_CYCLE_1)
	s_and_b32 vcc_lo, exec_lo, s1
	s_mov_b32 s1, 0
	s_cbranch_vccz .LBB55_1796
; %bb.1795:
	v_cmp_ne_u16_e64 s0, 11, v63
	s_mov_b32 s1, -1
.LBB55_1796:
	s_delay_alu instid0(VALU_DEP_1)
	s_and_b32 vcc_lo, exec_lo, s0
	s_cbranch_vccnz .LBB55_2096
; %bb.1797:
	s_and_not1_b32 vcc_lo, exec_lo, s1
	s_cbranch_vccnz .LBB55_1799
.LBB55_1798:
	v_cmp_neq_f64_e32 vcc_lo, 0, v[0:1]
	v_cmp_neq_f64_e64 s0, 0, v[2:3]
	s_mov_b32 s2, -1
	s_delay_alu instid0(VALU_DEP_1) | instskip(NEXT) | instid1(SALU_CYCLE_1)
	s_or_b32 s0, vcc_lo, s0
	v_cndmask_b32_e64 v6, 0, 1, s0
	global_store_b8 v[4:5], v6, off
.LBB55_1799:
	s_mov_b32 s0, 0
	s_branch .LBB55_1801
.LBB55_1800:
	s_mov_b32 s0, -1
	s_mov_b32 s2, 0
.LBB55_1801:
	s_and_b32 vcc_lo, exec_lo, s0
	s_cbranch_vccz .LBB55_1840
; %bb.1802:
	v_cmp_gt_i16_e32 vcc_lo, 5, v63
	s_mov_b32 s0, -1
	s_cbranch_vccnz .LBB55_1823
; %bb.1803:
	v_cmp_gt_i16_e32 vcc_lo, 8, v63
	s_cbranch_vccnz .LBB55_1813
; %bb.1804:
	v_cmp_gt_i16_e32 vcc_lo, 9, v63
	s_cbranch_vccnz .LBB55_1810
; %bb.1805:
	v_cmp_lt_i16_e32 vcc_lo, 9, v63
	s_cbranch_vccz .LBB55_1807
; %bb.1806:
	s_mov_b32 s0, 0
	global_store_b128 v[4:5], v[0:3], off
.LBB55_1807:
	s_and_not1_b32 vcc_lo, exec_lo, s0
	s_cbranch_vccnz .LBB55_1809
; %bb.1808:
	v_cvt_f32_f64_e32 v6, v[0:1]
	v_cvt_f32_f64_e32 v7, v[2:3]
	global_store_b64 v[4:5], v[6:7], off
.LBB55_1809:
	s_mov_b32 s0, 0
.LBB55_1810:
	s_delay_alu instid0(SALU_CYCLE_1)
	s_and_not1_b32 vcc_lo, exec_lo, s0
	s_cbranch_vccnz .LBB55_1812
; %bb.1811:
	v_cvt_f32_f64_e32 v2, v[2:3]
	v_cvt_f32_f64_e32 v3, v[0:1]
	s_delay_alu instid0(VALU_DEP_2) | instskip(NEXT) | instid1(VALU_DEP_2)
	v_cvt_f16_f32_e32 v2, v2
	v_cvt_f16_f32_e32 v3, v3
	s_delay_alu instid0(VALU_DEP_2) | instskip(NEXT) | instid1(VALU_DEP_2)
	v_lshlrev_b32_e32 v2, 16, v2
	v_and_b32_e32 v3, 0xffff, v3
	s_delay_alu instid0(VALU_DEP_1)
	v_or_b32_e32 v2, v2, v3
	global_store_b32 v[4:5], v2, off
.LBB55_1812:
	s_mov_b32 s0, 0
.LBB55_1813:
	s_delay_alu instid0(SALU_CYCLE_1)
	s_and_not1_b32 vcc_lo, exec_lo, s0
	s_cbranch_vccnz .LBB55_1822
; %bb.1814:
	v_cmp_gt_i16_e32 vcc_lo, 6, v63
	s_mov_b32 s0, -1
	s_cbranch_vccnz .LBB55_1820
; %bb.1815:
	v_cmp_lt_i16_e32 vcc_lo, 6, v63
	s_cbranch_vccz .LBB55_1817
; %bb.1816:
	s_mov_b32 s0, 0
	global_store_b64 v[4:5], v[0:1], off
.LBB55_1817:
	s_and_not1_b32 vcc_lo, exec_lo, s0
	s_cbranch_vccnz .LBB55_1819
; %bb.1818:
	v_cvt_f32_f64_e32 v2, v[0:1]
	global_store_b32 v[4:5], v2, off
.LBB55_1819:
	s_mov_b32 s0, 0
.LBB55_1820:
	s_delay_alu instid0(SALU_CYCLE_1)
	s_and_not1_b32 vcc_lo, exec_lo, s0
	s_cbranch_vccnz .LBB55_1822
; %bb.1821:
	v_cvt_f32_f64_e32 v2, v[0:1]
	s_delay_alu instid0(VALU_DEP_1)
	v_cvt_f16_f32_e32 v2, v2
	global_store_b16 v[4:5], v2, off
.LBB55_1822:
	s_mov_b32 s0, 0
.LBB55_1823:
	s_delay_alu instid0(SALU_CYCLE_1)
	s_and_not1_b32 vcc_lo, exec_lo, s0
	s_cbranch_vccnz .LBB55_1839
; %bb.1824:
	v_cmp_gt_i16_e32 vcc_lo, 2, v63
	s_mov_b32 s0, -1
	s_cbranch_vccnz .LBB55_1834
; %bb.1825:
	v_cmp_gt_i16_e32 vcc_lo, 3, v63
	s_cbranch_vccnz .LBB55_1831
; %bb.1826:
	v_cmp_lt_i16_e32 vcc_lo, 3, v63
	s_cbranch_vccz .LBB55_1828
; %bb.1827:
	v_trunc_f64_e32 v[2:3], v[0:1]
	s_mov_b32 s0, 0
	s_delay_alu instid0(VALU_DEP_1) | instskip(NEXT) | instid1(VALU_DEP_1)
	v_ldexp_f64 v[6:7], v[2:3], 0xffffffe0
	v_floor_f64_e32 v[6:7], v[6:7]
	s_delay_alu instid0(VALU_DEP_1) | instskip(SKIP_1) | instid1(VALU_DEP_2)
	v_fma_f64 v[2:3], 0xc1f00000, v[6:7], v[2:3]
	v_cvt_i32_f64_e32 v7, v[6:7]
	v_cvt_u32_f64_e32 v6, v[2:3]
	global_store_b64 v[4:5], v[6:7], off
.LBB55_1828:
	s_and_not1_b32 vcc_lo, exec_lo, s0
	s_cbranch_vccnz .LBB55_1830
; %bb.1829:
	v_cvt_i32_f64_e32 v2, v[0:1]
	global_store_b32 v[4:5], v2, off
.LBB55_1830:
	s_mov_b32 s0, 0
.LBB55_1831:
	s_delay_alu instid0(SALU_CYCLE_1)
	s_and_not1_b32 vcc_lo, exec_lo, s0
	s_cbranch_vccnz .LBB55_1833
; %bb.1832:
	v_cvt_i32_f64_e32 v2, v[0:1]
	global_store_b16 v[4:5], v2, off
.LBB55_1833:
	s_mov_b32 s0, 0
.LBB55_1834:
	s_delay_alu instid0(SALU_CYCLE_1)
	s_and_not1_b32 vcc_lo, exec_lo, s0
	s_cbranch_vccnz .LBB55_1839
; %bb.1835:
	v_cmp_lt_i16_e32 vcc_lo, 0, v63
	s_mov_b32 s0, -1
	s_cbranch_vccz .LBB55_1837
; %bb.1836:
	v_cvt_i32_f64_e32 v2, v[0:1]
	s_mov_b32 s0, 0
	global_store_b8 v[4:5], v2, off
.LBB55_1837:
	s_and_not1_b32 vcc_lo, exec_lo, s0
	s_cbranch_vccnz .LBB55_1839
; %bb.1838:
	v_trunc_f64_e32 v[0:1], v[0:1]
	s_delay_alu instid0(VALU_DEP_1) | instskip(NEXT) | instid1(VALU_DEP_1)
	v_ldexp_f64 v[2:3], v[0:1], 0xffffffe0
	v_floor_f64_e32 v[2:3], v[2:3]
	s_delay_alu instid0(VALU_DEP_1) | instskip(NEXT) | instid1(VALU_DEP_1)
	v_fma_f64 v[0:1], 0xc1f00000, v[2:3], v[0:1]
	v_cvt_u32_f64_e32 v0, v[0:1]
	global_store_b8 v[4:5], v0, off
.LBB55_1839:
	s_mov_b32 s2, -1
.LBB55_1840:
	s_delay_alu instid0(SALU_CYCLE_1)
	s_and_not1_b32 vcc_lo, exec_lo, s2
	s_cbranch_vccnz .LBB55_2036
; %bb.1841:
	v_dual_mov_b32 v0, v44 :: v_dual_mov_b32 v1, v45
	v_dual_mov_b32 v2, v46 :: v_dual_mov_b32 v3, v47
	s_getpc_b64 s[0:1]
	s_add_u32 s0, s0, _ZZZZN2at6native15exp_kernel_cudaERNS_18TensorIteratorBaseEENKUlvE_clEvENKUlvE_clEvENKUlN3c107complexIdEEE_clES7_@rel32@lo+4
	s_addc_u32 s1, s1, _ZZZZN2at6native15exp_kernel_cudaERNS_18TensorIteratorBaseEENKUlvE_clEvENKUlvE_clEvENKUlN3c107complexIdEEE_clES7_@rel32@hi+12
	s_delay_alu instid0(SALU_CYCLE_1) | instskip(SKIP_2) | instid1(VALU_DEP_2)
	s_swappc_b64 s[30:31], s[0:1]
	v_add_nc_u32_e32 v40, s18, v40
	v_cmp_gt_i16_e32 vcc_lo, 11, v63
	v_ashrrev_i32_e32 v5, 31, v40
	v_add_co_u32 v4, s0, s16, v40
	s_delay_alu instid0(VALU_DEP_1)
	v_add_co_ci_u32_e64 v5, s0, s17, v5, s0
	s_cbranch_vccnz .LBB55_1919
; %bb.1842:
	v_cmp_lt_i16_e32 vcc_lo, 25, v63
	s_mov_b32 s3, -1
	s_mov_b32 s1, 0
	s_mov_b32 s2, 0
	;; [unrolled: 1-line block ×3, first 2 shown]
	s_cbranch_vccz .LBB55_1875
; %bb.1843:
	v_cmp_lt_i16_e32 vcc_lo, 28, v63
	s_cbranch_vccz .LBB55_1858
; %bb.1844:
	v_cmp_lt_i16_e32 vcc_lo, 43, v63
	;; [unrolled: 3-line block ×3, first 2 shown]
	s_cbranch_vccz .LBB55_1848
; %bb.1846:
	v_cmp_eq_u16_e32 vcc_lo, 46, v63
	s_mov_b32 s0, -1
	s_mov_b32 s3, 0
	s_cbranch_vccz .LBB55_1848
; %bb.1847:
	v_cvt_f32_f64_e32 v6, v[2:3]
	v_cvt_f32_f64_e32 v7, v[0:1]
	s_mov_b32 s0, 0
	s_mov_b32 s2, -1
	s_delay_alu instid0(VALU_DEP_2) | instskip(NEXT) | instid1(VALU_DEP_2)
	v_bfe_u32 v8, v6, 16, 1
	v_bfe_u32 v9, v7, 16, 1
	v_cmp_o_f32_e32 vcc_lo, v6, v6
	s_delay_alu instid0(VALU_DEP_3) | instskip(NEXT) | instid1(VALU_DEP_3)
	v_add3_u32 v8, v6, v8, 0x7fff
	v_add3_u32 v9, v7, v9, 0x7fff
	s_delay_alu instid0(VALU_DEP_2) | instskip(NEXT) | instid1(VALU_DEP_2)
	v_and_b32_e32 v8, 0xffff0000, v8
	v_lshrrev_b32_e32 v9, 16, v9
	s_delay_alu instid0(VALU_DEP_2) | instskip(SKIP_1) | instid1(VALU_DEP_3)
	v_cndmask_b32_e32 v6, 0x7fc00000, v8, vcc_lo
	v_cmp_o_f32_e32 vcc_lo, v7, v7
	v_cndmask_b32_e32 v7, 0x7fc0, v9, vcc_lo
	s_delay_alu instid0(VALU_DEP_1)
	v_or_b32_e32 v6, v6, v7
	global_store_b32 v[4:5], v6, off
.LBB55_1848:
	s_and_b32 vcc_lo, exec_lo, s3
	s_cbranch_vccz .LBB55_1853
; %bb.1849:
	v_cmp_eq_u16_e32 vcc_lo, 44, v63
	s_mov_b32 s0, -1
	s_cbranch_vccz .LBB55_1853
; %bb.1850:
	v_cvt_f32_f64_e32 v6, v[0:1]
	v_mov_b32_e32 v7, 0xff
	s_mov_b32 s2, exec_lo
	s_delay_alu instid0(VALU_DEP_2) | instskip(NEXT) | instid1(VALU_DEP_1)
	v_bfe_u32 v8, v6, 23, 8
	v_cmpx_ne_u32_e32 0xff, v8
; %bb.1851:
	v_and_b32_e32 v7, 0x400000, v6
	v_and_or_b32 v8, 0x3fffff, v6, v8
	v_lshrrev_b32_e32 v6, 23, v6
	s_delay_alu instid0(VALU_DEP_3) | instskip(NEXT) | instid1(VALU_DEP_3)
	v_cmp_ne_u32_e32 vcc_lo, 0, v7
	v_cmp_ne_u32_e64 s0, 0, v8
	s_delay_alu instid0(VALU_DEP_1) | instskip(NEXT) | instid1(SALU_CYCLE_1)
	s_and_b32 s0, vcc_lo, s0
	v_cndmask_b32_e64 v7, 0, 1, s0
	s_delay_alu instid0(VALU_DEP_1)
	v_add_nc_u32_e32 v7, v6, v7
; %bb.1852:
	s_or_b32 exec_lo, exec_lo, s2
	s_mov_b32 s0, 0
	s_mov_b32 s2, -1
	global_store_b8 v[4:5], v7, off
.LBB55_1853:
	s_mov_b32 s3, 0
.LBB55_1854:
	s_delay_alu instid0(SALU_CYCLE_1)
	s_and_b32 vcc_lo, exec_lo, s3
	s_cbranch_vccz .LBB55_1857
; %bb.1855:
	v_cmp_eq_u16_e32 vcc_lo, 29, v63
	s_mov_b32 s0, -1
	s_cbranch_vccz .LBB55_1857
; %bb.1856:
	v_trunc_f64_e32 v[6:7], v[0:1]
	s_mov_b32 s0, 0
	s_mov_b32 s2, -1
	s_delay_alu instid0(VALU_DEP_1) | instskip(NEXT) | instid1(VALU_DEP_1)
	v_ldexp_f64 v[8:9], v[6:7], 0xffffffe0
	v_floor_f64_e32 v[8:9], v[8:9]
	s_delay_alu instid0(VALU_DEP_1) | instskip(SKIP_1) | instid1(VALU_DEP_2)
	v_fma_f64 v[6:7], 0xc1f00000, v[8:9], v[6:7]
	v_cvt_u32_f64_e32 v8, v[8:9]
	v_cvt_u32_f64_e32 v7, v[6:7]
	global_store_b64 v[4:5], v[7:8], off
.LBB55_1857:
	s_mov_b32 s3, 0
.LBB55_1858:
	s_delay_alu instid0(SALU_CYCLE_1)
	s_and_b32 vcc_lo, exec_lo, s3
	s_cbranch_vccz .LBB55_1874
; %bb.1859:
	v_cmp_gt_i16_e32 vcc_lo, 27, v63
	s_mov_b32 s2, -1
	s_cbranch_vccnz .LBB55_1865
; %bb.1860:
	v_cvt_u32_f64_e32 v6, v[0:1]
	v_cmp_lt_i16_e32 vcc_lo, 27, v63
	s_cbranch_vccz .LBB55_1862
; %bb.1861:
	s_mov_b32 s2, 0
	global_store_b32 v[4:5], v6, off
.LBB55_1862:
	s_and_not1_b32 vcc_lo, exec_lo, s2
	s_cbranch_vccnz .LBB55_1864
; %bb.1863:
	global_store_b16 v[4:5], v6, off
.LBB55_1864:
	s_mov_b32 s2, 0
.LBB55_1865:
	s_delay_alu instid0(SALU_CYCLE_1)
	s_and_not1_b32 vcc_lo, exec_lo, s2
	s_cbranch_vccnz .LBB55_1873
; %bb.1866:
	v_cvt_f32_f64_e32 v6, v[0:1]
	v_mov_b32_e32 v8, 0x80
	s_mov_b32 s2, exec_lo
	s_delay_alu instid0(VALU_DEP_2) | instskip(NEXT) | instid1(VALU_DEP_1)
	v_and_b32_e32 v7, 0x7fffffff, v6
	v_cmpx_gt_u32_e32 0x43800000, v7
	s_cbranch_execz .LBB55_1872
; %bb.1867:
	v_cmp_lt_u32_e32 vcc_lo, 0x3bffffff, v7
	s_mov_b32 s3, 0
                                        ; implicit-def: $vgpr7
	s_and_saveexec_b32 s4, vcc_lo
	s_delay_alu instid0(SALU_CYCLE_1)
	s_xor_b32 s4, exec_lo, s4
	s_cbranch_execz .LBB55_2100
; %bb.1868:
	v_bfe_u32 v7, v6, 20, 1
	s_mov_b32 s3, exec_lo
	s_delay_alu instid0(VALU_DEP_1) | instskip(NEXT) | instid1(VALU_DEP_1)
	v_add3_u32 v7, v6, v7, 0x487ffff
	v_lshrrev_b32_e32 v7, 20, v7
	s_or_saveexec_b32 s4, s4
                                        ; implicit-def: $sgpr5
	s_delay_alu instid0(SALU_CYCLE_1)
	s_xor_b32 exec_lo, exec_lo, s4
	s_cbranch_execnz .LBB55_2101
.LBB55_1869:
	s_or_b32 exec_lo, exec_lo, s4
	v_mov_b32_e32 v8, s5
	s_and_saveexec_b32 s4, s3
.LBB55_1870:
	v_lshrrev_b32_e32 v6, 24, v6
	s_delay_alu instid0(VALU_DEP_1)
	v_and_or_b32 v8, 0x80, v6, v7
.LBB55_1871:
	s_or_b32 exec_lo, exec_lo, s4
.LBB55_1872:
	s_delay_alu instid0(SALU_CYCLE_1)
	s_or_b32 exec_lo, exec_lo, s2
	global_store_b8 v[4:5], v8, off
.LBB55_1873:
	s_mov_b32 s2, -1
.LBB55_1874:
	s_mov_b32 s3, 0
.LBB55_1875:
	s_delay_alu instid0(SALU_CYCLE_1)
	s_and_b32 vcc_lo, exec_lo, s3
	s_cbranch_vccz .LBB55_1915
; %bb.1876:
	v_cmp_lt_i16_e32 vcc_lo, 22, v63
	s_mov_b32 s1, -1
	s_cbranch_vccz .LBB55_1908
; %bb.1877:
	v_cmp_gt_i16_e32 vcc_lo, 24, v63
	s_cbranch_vccnz .LBB55_1897
; %bb.1878:
	v_cmp_lt_i16_e32 vcc_lo, 24, v63
	s_cbranch_vccz .LBB55_1886
; %bb.1879:
	v_cvt_f32_f64_e32 v6, v[0:1]
	v_mov_b32_e32 v8, 0x80
	s_mov_b32 s1, exec_lo
	s_delay_alu instid0(VALU_DEP_2) | instskip(NEXT) | instid1(VALU_DEP_1)
	v_and_b32_e32 v7, 0x7fffffff, v6
	v_cmpx_gt_u32_e32 0x47800000, v7
	s_cbranch_execz .LBB55_1885
; %bb.1880:
	v_cmp_lt_u32_e32 vcc_lo, 0x37ffffff, v7
	s_mov_b32 s2, 0
                                        ; implicit-def: $vgpr7
	s_and_saveexec_b32 s3, vcc_lo
	s_delay_alu instid0(SALU_CYCLE_1)
	s_xor_b32 s3, exec_lo, s3
	s_cbranch_execz .LBB55_2106
; %bb.1881:
	v_bfe_u32 v7, v6, 21, 1
	s_mov_b32 s2, exec_lo
	s_delay_alu instid0(VALU_DEP_1) | instskip(NEXT) | instid1(VALU_DEP_1)
	v_add3_u32 v7, v6, v7, 0x88fffff
	v_lshrrev_b32_e32 v7, 21, v7
	s_or_saveexec_b32 s3, s3
                                        ; implicit-def: $sgpr4
	s_delay_alu instid0(SALU_CYCLE_1)
	s_xor_b32 exec_lo, exec_lo, s3
	s_cbranch_execnz .LBB55_2107
.LBB55_1882:
	s_or_b32 exec_lo, exec_lo, s3
	v_mov_b32_e32 v8, s4
	s_and_saveexec_b32 s3, s2
.LBB55_1883:
	v_lshrrev_b32_e32 v6, 24, v6
	s_delay_alu instid0(VALU_DEP_1)
	v_and_or_b32 v8, 0x80, v6, v7
.LBB55_1884:
	s_or_b32 exec_lo, exec_lo, s3
.LBB55_1885:
	s_delay_alu instid0(SALU_CYCLE_1)
	s_or_b32 exec_lo, exec_lo, s1
	s_mov_b32 s1, 0
	global_store_b8 v[4:5], v8, off
.LBB55_1886:
	s_and_b32 vcc_lo, exec_lo, s1
	s_cbranch_vccz .LBB55_1896
; %bb.1887:
	v_cvt_f32_f64_e32 v6, v[0:1]
	s_mov_b32 s1, exec_lo
                                        ; implicit-def: $vgpr7
	s_delay_alu instid0(VALU_DEP_1) | instskip(NEXT) | instid1(VALU_DEP_1)
	v_and_b32_e32 v8, 0x7fffffff, v6
	v_cmpx_gt_u32_e32 0x43f00000, v8
	s_xor_b32 s1, exec_lo, s1
	s_cbranch_execz .LBB55_1893
; %bb.1888:
	s_mov_b32 s2, exec_lo
                                        ; implicit-def: $vgpr7
	v_cmpx_lt_u32_e32 0x3c7fffff, v8
	s_xor_b32 s2, exec_lo, s2
; %bb.1889:
	v_bfe_u32 v7, v6, 20, 1
	s_delay_alu instid0(VALU_DEP_1) | instskip(NEXT) | instid1(VALU_DEP_1)
	v_add3_u32 v7, v6, v7, 0x407ffff
	v_and_b32_e32 v8, 0xff00000, v7
	v_lshrrev_b32_e32 v7, 20, v7
	s_delay_alu instid0(VALU_DEP_2) | instskip(NEXT) | instid1(VALU_DEP_2)
	v_cmp_ne_u32_e32 vcc_lo, 0x7f00000, v8
	v_cndmask_b32_e32 v7, 0x7e, v7, vcc_lo
; %bb.1890:
	s_and_not1_saveexec_b32 s2, s2
; %bb.1891:
	v_add_f32_e64 v7, 0x46800000, |v6|
; %bb.1892:
	s_or_b32 exec_lo, exec_lo, s2
                                        ; implicit-def: $vgpr8
.LBB55_1893:
	s_and_not1_saveexec_b32 s1, s1
; %bb.1894:
	v_mov_b32_e32 v7, 0x7f
	v_cmp_lt_u32_e32 vcc_lo, 0x7f800000, v8
	s_delay_alu instid0(VALU_DEP_2)
	v_cndmask_b32_e32 v7, 0x7e, v7, vcc_lo
; %bb.1895:
	s_or_b32 exec_lo, exec_lo, s1
	v_lshrrev_b32_e32 v6, 24, v6
	s_delay_alu instid0(VALU_DEP_1)
	v_and_or_b32 v6, 0x80, v6, v7
	global_store_b8 v[4:5], v6, off
.LBB55_1896:
	s_mov_b32 s1, 0
.LBB55_1897:
	s_delay_alu instid0(SALU_CYCLE_1)
	s_and_not1_b32 vcc_lo, exec_lo, s1
	s_cbranch_vccnz .LBB55_1907
; %bb.1898:
	v_cvt_f32_f64_e32 v6, v[0:1]
	s_mov_b32 s1, exec_lo
                                        ; implicit-def: $vgpr7
	s_delay_alu instid0(VALU_DEP_1) | instskip(NEXT) | instid1(VALU_DEP_1)
	v_and_b32_e32 v8, 0x7fffffff, v6
	v_cmpx_gt_u32_e32 0x47800000, v8
	s_xor_b32 s1, exec_lo, s1
	s_cbranch_execz .LBB55_1904
; %bb.1899:
	s_mov_b32 s2, exec_lo
                                        ; implicit-def: $vgpr7
	v_cmpx_lt_u32_e32 0x387fffff, v8
	s_xor_b32 s2, exec_lo, s2
; %bb.1900:
	v_bfe_u32 v7, v6, 21, 1
	s_delay_alu instid0(VALU_DEP_1) | instskip(NEXT) | instid1(VALU_DEP_1)
	v_add3_u32 v7, v6, v7, 0x80fffff
	v_lshrrev_b32_e32 v7, 21, v7
; %bb.1901:
	s_and_not1_saveexec_b32 s2, s2
; %bb.1902:
	v_add_f32_e64 v7, 0x43000000, |v6|
; %bb.1903:
	s_or_b32 exec_lo, exec_lo, s2
                                        ; implicit-def: $vgpr8
.LBB55_1904:
	s_and_not1_saveexec_b32 s1, s1
; %bb.1905:
	v_mov_b32_e32 v7, 0x7f
	v_cmp_lt_u32_e32 vcc_lo, 0x7f800000, v8
	s_delay_alu instid0(VALU_DEP_2)
	v_cndmask_b32_e32 v7, 0x7c, v7, vcc_lo
; %bb.1906:
	s_or_b32 exec_lo, exec_lo, s1
	v_lshrrev_b32_e32 v6, 24, v6
	s_delay_alu instid0(VALU_DEP_1)
	v_and_or_b32 v6, 0x80, v6, v7
	global_store_b8 v[4:5], v6, off
.LBB55_1907:
	s_mov_b32 s1, 0
	s_mov_b32 s2, -1
.LBB55_1908:
	s_and_not1_b32 vcc_lo, exec_lo, s1
	s_mov_b32 s1, 0
	s_cbranch_vccnz .LBB55_1915
; %bb.1909:
	v_cmp_lt_i16_e32 vcc_lo, 14, v63
	s_mov_b32 s1, -1
	s_cbranch_vccz .LBB55_1913
; %bb.1910:
	v_cmp_eq_u16_e32 vcc_lo, 15, v63
	s_mov_b32 s0, -1
	s_cbranch_vccz .LBB55_1912
; %bb.1911:
	v_cvt_f32_f64_e32 v6, v[0:1]
	s_mov_b32 s0, 0
	s_mov_b32 s2, -1
	s_delay_alu instid0(VALU_DEP_1) | instskip(SKIP_1) | instid1(VALU_DEP_2)
	v_bfe_u32 v7, v6, 16, 1
	v_cmp_o_f32_e32 vcc_lo, v6, v6
	v_add3_u32 v7, v6, v7, 0x7fff
	s_delay_alu instid0(VALU_DEP_1) | instskip(NEXT) | instid1(VALU_DEP_1)
	v_lshrrev_b32_e32 v7, 16, v7
	v_cndmask_b32_e32 v6, 0x7fc0, v7, vcc_lo
	global_store_b16 v[4:5], v6, off
.LBB55_1912:
	s_mov_b32 s1, 0
.LBB55_1913:
	s_delay_alu instid0(SALU_CYCLE_1)
	s_and_b32 vcc_lo, exec_lo, s1
	s_mov_b32 s1, 0
	s_cbranch_vccz .LBB55_1915
; %bb.1914:
	v_cmp_ne_u16_e64 s0, 11, v63
	s_mov_b32 s1, -1
.LBB55_1915:
	s_delay_alu instid0(VALU_DEP_1)
	s_and_b32 vcc_lo, exec_lo, s0
	s_cbranch_vccnz .LBB55_2104
; %bb.1916:
	s_and_not1_b32 vcc_lo, exec_lo, s1
	s_cbranch_vccnz .LBB55_1918
.LBB55_1917:
	v_cmp_neq_f64_e32 vcc_lo, 0, v[0:1]
	v_cmp_neq_f64_e64 s0, 0, v[2:3]
	s_mov_b32 s2, -1
	s_delay_alu instid0(VALU_DEP_1) | instskip(NEXT) | instid1(SALU_CYCLE_1)
	s_or_b32 s0, vcc_lo, s0
	v_cndmask_b32_e64 v6, 0, 1, s0
	global_store_b8 v[4:5], v6, off
.LBB55_1918:
	s_mov_b32 s0, 0
	s_branch .LBB55_1920
.LBB55_1919:
	s_mov_b32 s0, -1
	s_mov_b32 s2, 0
.LBB55_1920:
	s_and_b32 vcc_lo, exec_lo, s0
	s_cbranch_vccz .LBB55_1959
; %bb.1921:
	v_cmp_gt_i16_e32 vcc_lo, 5, v63
	s_mov_b32 s0, -1
	s_cbranch_vccnz .LBB55_1942
; %bb.1922:
	v_cmp_gt_i16_e32 vcc_lo, 8, v63
	s_cbranch_vccnz .LBB55_1932
; %bb.1923:
	v_cmp_gt_i16_e32 vcc_lo, 9, v63
	s_cbranch_vccnz .LBB55_1929
; %bb.1924:
	v_cmp_lt_i16_e32 vcc_lo, 9, v63
	s_cbranch_vccz .LBB55_1926
; %bb.1925:
	s_mov_b32 s0, 0
	global_store_b128 v[4:5], v[0:3], off
.LBB55_1926:
	s_and_not1_b32 vcc_lo, exec_lo, s0
	s_cbranch_vccnz .LBB55_1928
; %bb.1927:
	v_cvt_f32_f64_e32 v6, v[0:1]
	v_cvt_f32_f64_e32 v7, v[2:3]
	global_store_b64 v[4:5], v[6:7], off
.LBB55_1928:
	s_mov_b32 s0, 0
.LBB55_1929:
	s_delay_alu instid0(SALU_CYCLE_1)
	s_and_not1_b32 vcc_lo, exec_lo, s0
	s_cbranch_vccnz .LBB55_1931
; %bb.1930:
	v_cvt_f32_f64_e32 v2, v[2:3]
	v_cvt_f32_f64_e32 v3, v[0:1]
	s_delay_alu instid0(VALU_DEP_2) | instskip(NEXT) | instid1(VALU_DEP_2)
	v_cvt_f16_f32_e32 v2, v2
	v_cvt_f16_f32_e32 v3, v3
	s_delay_alu instid0(VALU_DEP_2) | instskip(NEXT) | instid1(VALU_DEP_2)
	v_lshlrev_b32_e32 v2, 16, v2
	v_and_b32_e32 v3, 0xffff, v3
	s_delay_alu instid0(VALU_DEP_1)
	v_or_b32_e32 v2, v2, v3
	global_store_b32 v[4:5], v2, off
.LBB55_1931:
	s_mov_b32 s0, 0
.LBB55_1932:
	s_delay_alu instid0(SALU_CYCLE_1)
	s_and_not1_b32 vcc_lo, exec_lo, s0
	s_cbranch_vccnz .LBB55_1941
; %bb.1933:
	v_cmp_gt_i16_e32 vcc_lo, 6, v63
	s_mov_b32 s0, -1
	s_cbranch_vccnz .LBB55_1939
; %bb.1934:
	v_cmp_lt_i16_e32 vcc_lo, 6, v63
	s_cbranch_vccz .LBB55_1936
; %bb.1935:
	s_mov_b32 s0, 0
	global_store_b64 v[4:5], v[0:1], off
.LBB55_1936:
	s_and_not1_b32 vcc_lo, exec_lo, s0
	s_cbranch_vccnz .LBB55_1938
; %bb.1937:
	v_cvt_f32_f64_e32 v2, v[0:1]
	global_store_b32 v[4:5], v2, off
.LBB55_1938:
	s_mov_b32 s0, 0
.LBB55_1939:
	s_delay_alu instid0(SALU_CYCLE_1)
	s_and_not1_b32 vcc_lo, exec_lo, s0
	s_cbranch_vccnz .LBB55_1941
; %bb.1940:
	v_cvt_f32_f64_e32 v2, v[0:1]
	s_delay_alu instid0(VALU_DEP_1)
	v_cvt_f16_f32_e32 v2, v2
	global_store_b16 v[4:5], v2, off
.LBB55_1941:
	s_mov_b32 s0, 0
.LBB55_1942:
	s_delay_alu instid0(SALU_CYCLE_1)
	s_and_not1_b32 vcc_lo, exec_lo, s0
	s_cbranch_vccnz .LBB55_1958
; %bb.1943:
	v_cmp_gt_i16_e32 vcc_lo, 2, v63
	s_mov_b32 s0, -1
	s_cbranch_vccnz .LBB55_1953
; %bb.1944:
	v_cmp_gt_i16_e32 vcc_lo, 3, v63
	s_cbranch_vccnz .LBB55_1950
; %bb.1945:
	v_cmp_lt_i16_e32 vcc_lo, 3, v63
	s_cbranch_vccz .LBB55_1947
; %bb.1946:
	v_trunc_f64_e32 v[2:3], v[0:1]
	s_mov_b32 s0, 0
	s_delay_alu instid0(VALU_DEP_1) | instskip(NEXT) | instid1(VALU_DEP_1)
	v_ldexp_f64 v[6:7], v[2:3], 0xffffffe0
	v_floor_f64_e32 v[6:7], v[6:7]
	s_delay_alu instid0(VALU_DEP_1) | instskip(SKIP_1) | instid1(VALU_DEP_2)
	v_fma_f64 v[2:3], 0xc1f00000, v[6:7], v[2:3]
	v_cvt_i32_f64_e32 v7, v[6:7]
	v_cvt_u32_f64_e32 v6, v[2:3]
	global_store_b64 v[4:5], v[6:7], off
.LBB55_1947:
	s_and_not1_b32 vcc_lo, exec_lo, s0
	s_cbranch_vccnz .LBB55_1949
; %bb.1948:
	v_cvt_i32_f64_e32 v2, v[0:1]
	global_store_b32 v[4:5], v2, off
.LBB55_1949:
	s_mov_b32 s0, 0
.LBB55_1950:
	s_delay_alu instid0(SALU_CYCLE_1)
	s_and_not1_b32 vcc_lo, exec_lo, s0
	s_cbranch_vccnz .LBB55_1952
; %bb.1951:
	v_cvt_i32_f64_e32 v2, v[0:1]
	global_store_b16 v[4:5], v2, off
.LBB55_1952:
	s_mov_b32 s0, 0
.LBB55_1953:
	s_delay_alu instid0(SALU_CYCLE_1)
	s_and_not1_b32 vcc_lo, exec_lo, s0
	s_cbranch_vccnz .LBB55_1958
; %bb.1954:
	v_cmp_lt_i16_e32 vcc_lo, 0, v63
	s_mov_b32 s0, -1
	s_cbranch_vccz .LBB55_1956
; %bb.1955:
	v_cvt_i32_f64_e32 v2, v[0:1]
	s_mov_b32 s0, 0
	global_store_b8 v[4:5], v2, off
.LBB55_1956:
	s_and_not1_b32 vcc_lo, exec_lo, s0
	s_cbranch_vccnz .LBB55_1958
; %bb.1957:
	v_trunc_f64_e32 v[0:1], v[0:1]
	s_delay_alu instid0(VALU_DEP_1) | instskip(NEXT) | instid1(VALU_DEP_1)
	v_ldexp_f64 v[2:3], v[0:1], 0xffffffe0
	v_floor_f64_e32 v[2:3], v[2:3]
	s_delay_alu instid0(VALU_DEP_1) | instskip(NEXT) | instid1(VALU_DEP_1)
	v_fma_f64 v[0:1], 0xc1f00000, v[2:3], v[0:1]
	v_cvt_u32_f64_e32 v0, v[0:1]
	global_store_b8 v[4:5], v0, off
.LBB55_1958:
	s_mov_b32 s2, -1
.LBB55_1959:
	s_delay_alu instid0(SALU_CYCLE_1)
	s_and_not1_b32 vcc_lo, exec_lo, s2
	s_cbranch_vccnz .LBB55_2036
; %bb.1960:
	v_dual_mov_b32 v0, v56 :: v_dual_mov_b32 v1, v57
	v_dual_mov_b32 v2, v58 :: v_dual_mov_b32 v3, v59
	s_getpc_b64 s[0:1]
	s_add_u32 s0, s0, _ZZZZN2at6native15exp_kernel_cudaERNS_18TensorIteratorBaseEENKUlvE_clEvENKUlvE_clEvENKUlN3c107complexIdEEE_clES7_@rel32@lo+4
	s_addc_u32 s1, s1, _ZZZZN2at6native15exp_kernel_cudaERNS_18TensorIteratorBaseEENKUlvE_clEvENKUlvE_clEvENKUlN3c107complexIdEEE_clES7_@rel32@hi+12
	s_delay_alu instid0(SALU_CYCLE_1) | instskip(SKIP_2) | instid1(VALU_DEP_2)
	s_swappc_b64 s[30:31], s[0:1]
	v_add_nc_u32_e32 v4, s18, v40
	v_cmp_gt_i16_e32 vcc_lo, 11, v63
	v_ashrrev_i32_e32 v5, 31, v4
	v_add_co_u32 v4, s0, s16, v4
	s_delay_alu instid0(VALU_DEP_1)
	v_add_co_ci_u32_e64 v5, s0, s17, v5, s0
	s_cbranch_vccnz .LBB55_2081
; %bb.1961:
	v_cmp_lt_i16_e32 vcc_lo, 25, v63
	s_mov_b32 s2, -1
	s_mov_b32 s1, 0
	s_mov_b32 s0, 0
	s_cbranch_vccz .LBB55_1994
; %bb.1962:
	v_cmp_lt_i16_e32 vcc_lo, 28, v63
	s_cbranch_vccz .LBB55_1978
; %bb.1963:
	v_cmp_lt_i16_e32 vcc_lo, 43, v63
	;; [unrolled: 3-line block ×3, first 2 shown]
	s_cbranch_vccz .LBB55_1968
; %bb.1965:
	v_cmp_eq_u16_e32 vcc_lo, 46, v63
	s_mov_b32 s0, -1
	s_cbranch_vccz .LBB55_1967
; %bb.1966:
	v_cvt_f32_f64_e32 v6, v[2:3]
	v_cvt_f32_f64_e32 v7, v[0:1]
	s_mov_b32 s0, 0
	s_delay_alu instid0(VALU_DEP_2) | instskip(NEXT) | instid1(VALU_DEP_2)
	v_bfe_u32 v8, v6, 16, 1
	v_bfe_u32 v9, v7, 16, 1
	v_cmp_o_f32_e32 vcc_lo, v6, v6
	s_delay_alu instid0(VALU_DEP_3) | instskip(NEXT) | instid1(VALU_DEP_3)
	v_add3_u32 v8, v6, v8, 0x7fff
	v_add3_u32 v9, v7, v9, 0x7fff
	s_delay_alu instid0(VALU_DEP_2) | instskip(NEXT) | instid1(VALU_DEP_2)
	v_and_b32_e32 v8, 0xffff0000, v8
	v_lshrrev_b32_e32 v9, 16, v9
	s_delay_alu instid0(VALU_DEP_2) | instskip(SKIP_1) | instid1(VALU_DEP_3)
	v_cndmask_b32_e32 v6, 0x7fc00000, v8, vcc_lo
	v_cmp_o_f32_e32 vcc_lo, v7, v7
	v_cndmask_b32_e32 v7, 0x7fc0, v9, vcc_lo
	s_delay_alu instid0(VALU_DEP_1)
	v_or_b32_e32 v6, v6, v7
	global_store_b32 v[4:5], v6, off
.LBB55_1967:
	s_mov_b32 s2, 0
.LBB55_1968:
	s_delay_alu instid0(SALU_CYCLE_1)
	s_and_b32 vcc_lo, exec_lo, s2
	s_cbranch_vccz .LBB55_1973
; %bb.1969:
	v_cmp_eq_u16_e32 vcc_lo, 44, v63
	s_mov_b32 s0, -1
	s_cbranch_vccz .LBB55_1973
; %bb.1970:
	v_cvt_f32_f64_e32 v6, v[0:1]
	v_mov_b32_e32 v7, 0xff
	s_mov_b32 s2, exec_lo
	s_delay_alu instid0(VALU_DEP_2) | instskip(NEXT) | instid1(VALU_DEP_1)
	v_bfe_u32 v8, v6, 23, 8
	v_cmpx_ne_u32_e32 0xff, v8
; %bb.1971:
	v_and_b32_e32 v7, 0x400000, v6
	v_and_or_b32 v8, 0x3fffff, v6, v8
	v_lshrrev_b32_e32 v6, 23, v6
	s_delay_alu instid0(VALU_DEP_3) | instskip(NEXT) | instid1(VALU_DEP_3)
	v_cmp_ne_u32_e32 vcc_lo, 0, v7
	v_cmp_ne_u32_e64 s0, 0, v8
	s_delay_alu instid0(VALU_DEP_1) | instskip(NEXT) | instid1(SALU_CYCLE_1)
	s_and_b32 s0, vcc_lo, s0
	v_cndmask_b32_e64 v7, 0, 1, s0
	s_delay_alu instid0(VALU_DEP_1)
	v_add_nc_u32_e32 v7, v6, v7
; %bb.1972:
	s_or_b32 exec_lo, exec_lo, s2
	s_mov_b32 s0, 0
	global_store_b8 v[4:5], v7, off
.LBB55_1973:
	s_mov_b32 s2, 0
.LBB55_1974:
	s_delay_alu instid0(SALU_CYCLE_1)
	s_and_b32 vcc_lo, exec_lo, s2
	s_cbranch_vccz .LBB55_1977
; %bb.1975:
	v_cmp_eq_u16_e32 vcc_lo, 29, v63
	s_mov_b32 s0, -1
	s_cbranch_vccz .LBB55_1977
; %bb.1976:
	v_trunc_f64_e32 v[6:7], v[0:1]
	s_mov_b32 s0, 0
	s_delay_alu instid0(VALU_DEP_1) | instskip(NEXT) | instid1(VALU_DEP_1)
	v_ldexp_f64 v[8:9], v[6:7], 0xffffffe0
	v_floor_f64_e32 v[8:9], v[8:9]
	s_delay_alu instid0(VALU_DEP_1) | instskip(SKIP_1) | instid1(VALU_DEP_2)
	v_fma_f64 v[6:7], 0xc1f00000, v[8:9], v[6:7]
	v_cvt_u32_f64_e32 v8, v[8:9]
	v_cvt_u32_f64_e32 v7, v[6:7]
	global_store_b64 v[4:5], v[7:8], off
.LBB55_1977:
	s_mov_b32 s2, 0
.LBB55_1978:
	s_delay_alu instid0(SALU_CYCLE_1)
	s_and_b32 vcc_lo, exec_lo, s2
	s_cbranch_vccz .LBB55_1993
; %bb.1979:
	v_cmp_gt_i16_e32 vcc_lo, 27, v63
	s_mov_b32 s2, -1
	s_cbranch_vccnz .LBB55_1985
; %bb.1980:
	v_cvt_u32_f64_e32 v6, v[0:1]
	v_cmp_lt_i16_e32 vcc_lo, 27, v63
	s_cbranch_vccz .LBB55_1982
; %bb.1981:
	s_mov_b32 s2, 0
	global_store_b32 v[4:5], v6, off
.LBB55_1982:
	s_and_not1_b32 vcc_lo, exec_lo, s2
	s_cbranch_vccnz .LBB55_1984
; %bb.1983:
	global_store_b16 v[4:5], v6, off
.LBB55_1984:
	s_mov_b32 s2, 0
.LBB55_1985:
	s_delay_alu instid0(SALU_CYCLE_1)
	s_and_not1_b32 vcc_lo, exec_lo, s2
	s_cbranch_vccnz .LBB55_1993
; %bb.1986:
	v_cvt_f32_f64_e32 v6, v[0:1]
	v_mov_b32_e32 v8, 0x80
	s_mov_b32 s2, exec_lo
	s_delay_alu instid0(VALU_DEP_2) | instskip(NEXT) | instid1(VALU_DEP_1)
	v_and_b32_e32 v7, 0x7fffffff, v6
	v_cmpx_gt_u32_e32 0x43800000, v7
	s_cbranch_execz .LBB55_1992
; %bb.1987:
	v_cmp_lt_u32_e32 vcc_lo, 0x3bffffff, v7
	s_mov_b32 s3, 0
                                        ; implicit-def: $vgpr7
	s_and_saveexec_b32 s4, vcc_lo
	s_delay_alu instid0(SALU_CYCLE_1)
	s_xor_b32 s4, exec_lo, s4
	s_cbranch_execz .LBB55_2108
; %bb.1988:
	v_bfe_u32 v7, v6, 20, 1
	s_mov_b32 s3, exec_lo
	s_delay_alu instid0(VALU_DEP_1) | instskip(NEXT) | instid1(VALU_DEP_1)
	v_add3_u32 v7, v6, v7, 0x487ffff
	v_lshrrev_b32_e32 v7, 20, v7
	s_or_saveexec_b32 s4, s4
                                        ; implicit-def: $sgpr5
	s_delay_alu instid0(SALU_CYCLE_1)
	s_xor_b32 exec_lo, exec_lo, s4
	s_cbranch_execnz .LBB55_2109
.LBB55_1989:
	s_or_b32 exec_lo, exec_lo, s4
	v_mov_b32_e32 v8, s5
	s_and_saveexec_b32 s4, s3
.LBB55_1990:
	v_lshrrev_b32_e32 v6, 24, v6
	s_delay_alu instid0(VALU_DEP_1)
	v_and_or_b32 v8, 0x80, v6, v7
.LBB55_1991:
	s_or_b32 exec_lo, exec_lo, s4
.LBB55_1992:
	s_delay_alu instid0(SALU_CYCLE_1)
	s_or_b32 exec_lo, exec_lo, s2
	global_store_b8 v[4:5], v8, off
.LBB55_1993:
	s_mov_b32 s2, 0
.LBB55_1994:
	s_delay_alu instid0(SALU_CYCLE_1)
	s_and_b32 vcc_lo, exec_lo, s2
	s_cbranch_vccz .LBB55_2034
; %bb.1995:
	v_cmp_lt_i16_e32 vcc_lo, 22, v63
	s_mov_b32 s1, -1
	s_cbranch_vccz .LBB55_2027
; %bb.1996:
	v_cmp_gt_i16_e32 vcc_lo, 24, v63
	s_cbranch_vccnz .LBB55_2016
; %bb.1997:
	v_cmp_lt_i16_e32 vcc_lo, 24, v63
	s_cbranch_vccz .LBB55_2005
; %bb.1998:
	v_cvt_f32_f64_e32 v6, v[0:1]
	v_mov_b32_e32 v8, 0x80
	s_mov_b32 s1, exec_lo
	s_delay_alu instid0(VALU_DEP_2) | instskip(NEXT) | instid1(VALU_DEP_1)
	v_and_b32_e32 v7, 0x7fffffff, v6
	v_cmpx_gt_u32_e32 0x47800000, v7
	s_cbranch_execz .LBB55_2004
; %bb.1999:
	v_cmp_lt_u32_e32 vcc_lo, 0x37ffffff, v7
	s_mov_b32 s2, 0
                                        ; implicit-def: $vgpr7
	s_and_saveexec_b32 s3, vcc_lo
	s_delay_alu instid0(SALU_CYCLE_1)
	s_xor_b32 s3, exec_lo, s3
	s_cbranch_execz .LBB55_2114
; %bb.2000:
	v_bfe_u32 v7, v6, 21, 1
	s_mov_b32 s2, exec_lo
	s_delay_alu instid0(VALU_DEP_1) | instskip(NEXT) | instid1(VALU_DEP_1)
	v_add3_u32 v7, v6, v7, 0x88fffff
	v_lshrrev_b32_e32 v7, 21, v7
	s_or_saveexec_b32 s3, s3
                                        ; implicit-def: $sgpr4
	s_delay_alu instid0(SALU_CYCLE_1)
	s_xor_b32 exec_lo, exec_lo, s3
	s_cbranch_execnz .LBB55_2115
.LBB55_2001:
	s_or_b32 exec_lo, exec_lo, s3
	v_mov_b32_e32 v8, s4
	s_and_saveexec_b32 s3, s2
.LBB55_2002:
	v_lshrrev_b32_e32 v6, 24, v6
	s_delay_alu instid0(VALU_DEP_1)
	v_and_or_b32 v8, 0x80, v6, v7
.LBB55_2003:
	s_or_b32 exec_lo, exec_lo, s3
.LBB55_2004:
	s_delay_alu instid0(SALU_CYCLE_1)
	s_or_b32 exec_lo, exec_lo, s1
	s_mov_b32 s1, 0
	global_store_b8 v[4:5], v8, off
.LBB55_2005:
	s_and_b32 vcc_lo, exec_lo, s1
	s_cbranch_vccz .LBB55_2015
; %bb.2006:
	v_cvt_f32_f64_e32 v6, v[0:1]
	s_mov_b32 s1, exec_lo
                                        ; implicit-def: $vgpr7
	s_delay_alu instid0(VALU_DEP_1) | instskip(NEXT) | instid1(VALU_DEP_1)
	v_and_b32_e32 v8, 0x7fffffff, v6
	v_cmpx_gt_u32_e32 0x43f00000, v8
	s_xor_b32 s1, exec_lo, s1
	s_cbranch_execz .LBB55_2012
; %bb.2007:
	s_mov_b32 s2, exec_lo
                                        ; implicit-def: $vgpr7
	v_cmpx_lt_u32_e32 0x3c7fffff, v8
	s_xor_b32 s2, exec_lo, s2
; %bb.2008:
	v_bfe_u32 v7, v6, 20, 1
	s_delay_alu instid0(VALU_DEP_1) | instskip(NEXT) | instid1(VALU_DEP_1)
	v_add3_u32 v7, v6, v7, 0x407ffff
	v_and_b32_e32 v8, 0xff00000, v7
	v_lshrrev_b32_e32 v7, 20, v7
	s_delay_alu instid0(VALU_DEP_2) | instskip(NEXT) | instid1(VALU_DEP_2)
	v_cmp_ne_u32_e32 vcc_lo, 0x7f00000, v8
	v_cndmask_b32_e32 v7, 0x7e, v7, vcc_lo
; %bb.2009:
	s_and_not1_saveexec_b32 s2, s2
; %bb.2010:
	v_add_f32_e64 v7, 0x46800000, |v6|
; %bb.2011:
	s_or_b32 exec_lo, exec_lo, s2
                                        ; implicit-def: $vgpr8
.LBB55_2012:
	s_and_not1_saveexec_b32 s1, s1
; %bb.2013:
	v_mov_b32_e32 v7, 0x7f
	v_cmp_lt_u32_e32 vcc_lo, 0x7f800000, v8
	s_delay_alu instid0(VALU_DEP_2)
	v_cndmask_b32_e32 v7, 0x7e, v7, vcc_lo
; %bb.2014:
	s_or_b32 exec_lo, exec_lo, s1
	v_lshrrev_b32_e32 v6, 24, v6
	s_delay_alu instid0(VALU_DEP_1)
	v_and_or_b32 v6, 0x80, v6, v7
	global_store_b8 v[4:5], v6, off
.LBB55_2015:
	s_mov_b32 s1, 0
.LBB55_2016:
	s_delay_alu instid0(SALU_CYCLE_1)
	s_and_not1_b32 vcc_lo, exec_lo, s1
	s_cbranch_vccnz .LBB55_2026
; %bb.2017:
	v_cvt_f32_f64_e32 v6, v[0:1]
	s_mov_b32 s1, exec_lo
                                        ; implicit-def: $vgpr7
	s_delay_alu instid0(VALU_DEP_1) | instskip(NEXT) | instid1(VALU_DEP_1)
	v_and_b32_e32 v8, 0x7fffffff, v6
	v_cmpx_gt_u32_e32 0x47800000, v8
	s_xor_b32 s1, exec_lo, s1
	s_cbranch_execz .LBB55_2023
; %bb.2018:
	s_mov_b32 s2, exec_lo
                                        ; implicit-def: $vgpr7
	v_cmpx_lt_u32_e32 0x387fffff, v8
	s_xor_b32 s2, exec_lo, s2
; %bb.2019:
	v_bfe_u32 v7, v6, 21, 1
	s_delay_alu instid0(VALU_DEP_1) | instskip(NEXT) | instid1(VALU_DEP_1)
	v_add3_u32 v7, v6, v7, 0x80fffff
	v_lshrrev_b32_e32 v7, 21, v7
; %bb.2020:
	s_and_not1_saveexec_b32 s2, s2
; %bb.2021:
	v_add_f32_e64 v7, 0x43000000, |v6|
; %bb.2022:
	s_or_b32 exec_lo, exec_lo, s2
                                        ; implicit-def: $vgpr8
.LBB55_2023:
	s_and_not1_saveexec_b32 s1, s1
; %bb.2024:
	v_mov_b32_e32 v7, 0x7f
	v_cmp_lt_u32_e32 vcc_lo, 0x7f800000, v8
	s_delay_alu instid0(VALU_DEP_2)
	v_cndmask_b32_e32 v7, 0x7c, v7, vcc_lo
; %bb.2025:
	s_or_b32 exec_lo, exec_lo, s1
	v_lshrrev_b32_e32 v6, 24, v6
	s_delay_alu instid0(VALU_DEP_1)
	v_and_or_b32 v6, 0x80, v6, v7
	global_store_b8 v[4:5], v6, off
.LBB55_2026:
	s_mov_b32 s1, 0
.LBB55_2027:
	s_delay_alu instid0(SALU_CYCLE_1)
	s_and_not1_b32 vcc_lo, exec_lo, s1
	s_mov_b32 s1, 0
	s_cbranch_vccnz .LBB55_2034
; %bb.2028:
	v_cmp_lt_i16_e32 vcc_lo, 14, v63
	s_mov_b32 s1, -1
	s_cbranch_vccz .LBB55_2032
; %bb.2029:
	v_cmp_eq_u16_e32 vcc_lo, 15, v63
	s_mov_b32 s0, -1
	s_cbranch_vccz .LBB55_2031
; %bb.2030:
	v_cvt_f32_f64_e32 v6, v[0:1]
	s_mov_b32 s0, 0
	s_delay_alu instid0(VALU_DEP_1) | instskip(SKIP_1) | instid1(VALU_DEP_2)
	v_bfe_u32 v7, v6, 16, 1
	v_cmp_o_f32_e32 vcc_lo, v6, v6
	v_add3_u32 v7, v6, v7, 0x7fff
	s_delay_alu instid0(VALU_DEP_1) | instskip(NEXT) | instid1(VALU_DEP_1)
	v_lshrrev_b32_e32 v7, 16, v7
	v_cndmask_b32_e32 v6, 0x7fc0, v7, vcc_lo
	global_store_b16 v[4:5], v6, off
.LBB55_2031:
	s_mov_b32 s1, 0
.LBB55_2032:
	s_delay_alu instid0(SALU_CYCLE_1)
	s_and_b32 vcc_lo, exec_lo, s1
	s_mov_b32 s1, 0
	s_cbranch_vccz .LBB55_2034
; %bb.2033:
	v_cmp_ne_u16_e64 s0, 11, v63
	s_mov_b32 s1, -1
.LBB55_2034:
	s_delay_alu instid0(VALU_DEP_1)
	s_and_b32 vcc_lo, exec_lo, s0
	s_cbranch_vccnz .LBB55_2112
.LBB55_2035:
	s_mov_b32 s0, 0
	s_branch .LBB55_2037
.LBB55_2036:
	s_mov_b32 s0, 0
	s_mov_b32 s1, 0
                                        ; implicit-def: $vgpr63
                                        ; implicit-def: $vgpr4_vgpr5
                                        ; implicit-def: $vgpr2_vgpr3
.LBB55_2037:
	s_and_b32 s2, s0, exec_lo
	s_and_not1_b32 s0, s22, exec_lo
	s_and_b32 s3, s14, exec_lo
	s_and_b32 s14, s1, exec_lo
	s_or_b32 s22, s0, s3
.LBB55_2038:
	s_or_b32 exec_lo, exec_lo, s15
	s_and_saveexec_b32 s0, s22
	s_cbranch_execz .LBB55_2041
; %bb.2039:
	; divergent unreachable
	s_or_b32 exec_lo, exec_lo, s0
	s_and_saveexec_b32 s0, s14
	s_delay_alu instid0(SALU_CYCLE_1)
	s_xor_b32 s1, exec_lo, s0
	s_cbranch_execnz .LBB55_2042
.LBB55_2040:
	s_or_b32 exec_lo, exec_lo, s1
	s_and_saveexec_b32 s0, s2
	s_cbranch_execnz .LBB55_2043
	s_branch .LBB55_2080
.LBB55_2041:
	s_or_b32 exec_lo, exec_lo, s0
	s_and_saveexec_b32 s0, s14
	s_delay_alu instid0(SALU_CYCLE_1)
	s_xor_b32 s1, exec_lo, s0
	s_cbranch_execz .LBB55_2040
.LBB55_2042:
	s_waitcnt vmcnt(0)
	s_delay_alu instid0(VALU_DEP_1) | instskip(NEXT) | instid1(VALU_DEP_2)
	v_cmp_neq_f64_e32 vcc_lo, 0, v[0:1]
	v_cmp_neq_f64_e64 s0, 0, v[2:3]
	s_delay_alu instid0(VALU_DEP_1) | instskip(NEXT) | instid1(SALU_CYCLE_1)
	s_or_b32 s0, vcc_lo, s0
	v_cndmask_b32_e64 v6, 0, 1, s0
	global_store_b8 v[4:5], v6, off
	s_or_b32 exec_lo, exec_lo, s1
	s_and_saveexec_b32 s0, s2
	s_cbranch_execz .LBB55_2080
.LBB55_2043:
	v_cmp_gt_i16_e32 vcc_lo, 5, v63
	s_mov_b32 s0, -1
	s_cbranch_vccnz .LBB55_2064
; %bb.2044:
	v_cmp_gt_i16_e32 vcc_lo, 8, v63
	s_cbranch_vccnz .LBB55_2054
; %bb.2045:
	v_cmp_gt_i16_e32 vcc_lo, 9, v63
	s_cbranch_vccnz .LBB55_2051
; %bb.2046:
	v_cmp_lt_i16_e32 vcc_lo, 9, v63
	s_cbranch_vccz .LBB55_2048
; %bb.2047:
	s_mov_b32 s0, 0
	s_waitcnt vmcnt(0)
	global_store_b128 v[4:5], v[0:3], off
.LBB55_2048:
	s_and_not1_b32 vcc_lo, exec_lo, s0
	s_cbranch_vccnz .LBB55_2050
; %bb.2049:
	s_waitcnt vmcnt(0)
	v_cvt_f32_f64_e32 v6, v[0:1]
	v_cvt_f32_f64_e32 v7, v[2:3]
	global_store_b64 v[4:5], v[6:7], off
.LBB55_2050:
	s_mov_b32 s0, 0
.LBB55_2051:
	s_delay_alu instid0(SALU_CYCLE_1)
	s_and_not1_b32 vcc_lo, exec_lo, s0
	s_cbranch_vccnz .LBB55_2053
; %bb.2052:
	s_waitcnt vmcnt(0)
	v_cvt_f32_f64_e32 v2, v[2:3]
	v_cvt_f32_f64_e32 v3, v[0:1]
	s_delay_alu instid0(VALU_DEP_2) | instskip(NEXT) | instid1(VALU_DEP_2)
	v_cvt_f16_f32_e32 v2, v2
	v_cvt_f16_f32_e32 v3, v3
	s_delay_alu instid0(VALU_DEP_2) | instskip(NEXT) | instid1(VALU_DEP_2)
	v_lshlrev_b32_e32 v2, 16, v2
	v_and_b32_e32 v3, 0xffff, v3
	s_delay_alu instid0(VALU_DEP_1)
	v_or_b32_e32 v2, v2, v3
	global_store_b32 v[4:5], v2, off
.LBB55_2053:
	s_mov_b32 s0, 0
.LBB55_2054:
	s_delay_alu instid0(SALU_CYCLE_1)
	s_and_not1_b32 vcc_lo, exec_lo, s0
	s_cbranch_vccnz .LBB55_2063
; %bb.2055:
	v_cmp_gt_i16_e32 vcc_lo, 6, v63
	s_mov_b32 s0, -1
	s_cbranch_vccnz .LBB55_2061
; %bb.2056:
	v_cmp_lt_i16_e32 vcc_lo, 6, v63
	s_cbranch_vccz .LBB55_2058
; %bb.2057:
	s_mov_b32 s0, 0
	s_waitcnt vmcnt(0)
	global_store_b64 v[4:5], v[0:1], off
.LBB55_2058:
	s_and_not1_b32 vcc_lo, exec_lo, s0
	s_cbranch_vccnz .LBB55_2060
; %bb.2059:
	s_waitcnt vmcnt(0)
	v_cvt_f32_f64_e32 v2, v[0:1]
	global_store_b32 v[4:5], v2, off
.LBB55_2060:
	s_mov_b32 s0, 0
.LBB55_2061:
	s_delay_alu instid0(SALU_CYCLE_1)
	s_and_not1_b32 vcc_lo, exec_lo, s0
	s_cbranch_vccnz .LBB55_2063
; %bb.2062:
	s_waitcnt vmcnt(0)
	v_cvt_f32_f64_e32 v2, v[0:1]
	s_delay_alu instid0(VALU_DEP_1)
	v_cvt_f16_f32_e32 v2, v2
	global_store_b16 v[4:5], v2, off
.LBB55_2063:
	s_mov_b32 s0, 0
.LBB55_2064:
	s_delay_alu instid0(SALU_CYCLE_1)
	s_and_not1_b32 vcc_lo, exec_lo, s0
	s_cbranch_vccnz .LBB55_2080
; %bb.2065:
	v_cmp_gt_i16_e32 vcc_lo, 2, v63
	s_mov_b32 s0, -1
	s_cbranch_vccnz .LBB55_2075
; %bb.2066:
	v_cmp_gt_i16_e32 vcc_lo, 3, v63
	s_cbranch_vccnz .LBB55_2072
; %bb.2067:
	v_cmp_lt_i16_e32 vcc_lo, 3, v63
	s_cbranch_vccz .LBB55_2069
; %bb.2068:
	s_waitcnt vmcnt(0)
	v_trunc_f64_e32 v[2:3], v[0:1]
	s_mov_b32 s0, 0
	s_delay_alu instid0(VALU_DEP_1) | instskip(NEXT) | instid1(VALU_DEP_1)
	v_ldexp_f64 v[6:7], v[2:3], 0xffffffe0
	v_floor_f64_e32 v[6:7], v[6:7]
	s_delay_alu instid0(VALU_DEP_1) | instskip(SKIP_1) | instid1(VALU_DEP_2)
	v_fma_f64 v[2:3], 0xc1f00000, v[6:7], v[2:3]
	v_cvt_i32_f64_e32 v7, v[6:7]
	v_cvt_u32_f64_e32 v6, v[2:3]
	global_store_b64 v[4:5], v[6:7], off
.LBB55_2069:
	s_and_not1_b32 vcc_lo, exec_lo, s0
	s_cbranch_vccnz .LBB55_2071
; %bb.2070:
	s_waitcnt vmcnt(0)
	v_cvt_i32_f64_e32 v2, v[0:1]
	global_store_b32 v[4:5], v2, off
.LBB55_2071:
	s_mov_b32 s0, 0
.LBB55_2072:
	s_delay_alu instid0(SALU_CYCLE_1)
	s_and_not1_b32 vcc_lo, exec_lo, s0
	s_cbranch_vccnz .LBB55_2074
; %bb.2073:
	s_waitcnt vmcnt(0)
	v_cvt_i32_f64_e32 v2, v[0:1]
	global_store_b16 v[4:5], v2, off
.LBB55_2074:
	s_mov_b32 s0, 0
.LBB55_2075:
	s_delay_alu instid0(SALU_CYCLE_1)
	s_and_not1_b32 vcc_lo, exec_lo, s0
	s_cbranch_vccnz .LBB55_2080
; %bb.2076:
	v_cmp_lt_i16_e32 vcc_lo, 0, v63
	s_mov_b32 s0, -1
	s_cbranch_vccz .LBB55_2078
; %bb.2077:
	s_waitcnt vmcnt(0)
	v_cvt_i32_f64_e32 v2, v[0:1]
	s_mov_b32 s0, 0
	global_store_b8 v[4:5], v2, off
.LBB55_2078:
	s_and_not1_b32 vcc_lo, exec_lo, s0
	s_cbranch_vccnz .LBB55_2080
; %bb.2079:
	s_waitcnt vmcnt(0)
	v_trunc_f64_e32 v[0:1], v[0:1]
	s_delay_alu instid0(VALU_DEP_1) | instskip(NEXT) | instid1(VALU_DEP_1)
	v_ldexp_f64 v[2:3], v[0:1], 0xffffffe0
	v_floor_f64_e32 v[2:3], v[2:3]
	s_delay_alu instid0(VALU_DEP_1) | instskip(NEXT) | instid1(VALU_DEP_1)
	v_fma_f64 v[0:1], 0xc1f00000, v[2:3], v[0:1]
	v_cvt_u32_f64_e32 v0, v[0:1]
	global_store_b8 v[4:5], v0, off
	s_endpgm
.LBB55_2080:
	s_endpgm
.LBB55_2081:
	s_mov_b32 s1, 0
	s_mov_b32 s0, -1
	s_branch .LBB55_2037
.LBB55_2082:
	s_cbranch_execnz .LBB55_2086
; %bb.2083:
	s_or_b32 s14, s14, exec_lo
                                        ; implicit-def: $vgpr58_vgpr59
	s_cbranch_execz .LBB55_1549
	s_branch .LBB55_1550
.LBB55_2084:
	s_or_saveexec_b32 s4, s4
                                        ; implicit-def: $sgpr5
	s_delay_alu instid0(SALU_CYCLE_1)
	s_xor_b32 exec_lo, exec_lo, s4
	s_cbranch_execz .LBB55_1631
.LBB55_2085:
	v_add_f32_e64 v7, 0x46000000, |v6|
	s_and_not1_b32 s3, s3, exec_lo
	s_mov_b32 s5, 0
	s_delay_alu instid0(VALU_DEP_1) | instskip(NEXT) | instid1(VALU_DEP_1)
	v_and_b32_e32 v7, 0xff, v7
	v_cmp_ne_u32_e32 vcc_lo, 0, v7
	s_and_b32 s6, vcc_lo, exec_lo
	s_delay_alu instid0(SALU_CYCLE_1)
	s_or_b32 s3, s3, s6
	s_or_b32 exec_lo, exec_lo, s4
	v_mov_b32_e32 v8, s5
	s_and_saveexec_b32 s4, s3
	s_cbranch_execnz .LBB55_1632
	s_branch .LBB55_1633
.LBB55_2086:
	s_trap 2
	s_sendmsg_rtn_b32 s0, sendmsg(MSG_RTN_GET_DOORBELL)
	s_mov_b32 ttmp2, m0
	s_waitcnt lgkmcnt(0)
	s_and_b32 s0, s0, 0x3ff
	s_delay_alu instid0(SALU_CYCLE_1) | instskip(NEXT) | instid1(SALU_CYCLE_1)
	s_bitset1_b32 s0, 10
	s_mov_b32 m0, s0
	s_sendmsg sendmsg(MSG_INTERRUPT)
	s_mov_b32 m0, ttmp2
.LBB55_2087:                            ; =>This Inner Loop Header: Depth=1
	s_sethalt 5
	s_branch .LBB55_2087
.LBB55_2088:
	s_cbranch_execnz .LBB55_2094
; %bb.2089:
	s_or_b32 s14, s14, exec_lo
	s_cbranch_execz .LBB55_1679
	s_branch .LBB55_1680
.LBB55_2090:
	s_or_saveexec_b32 s3, s3
                                        ; implicit-def: $sgpr4
	s_delay_alu instid0(SALU_CYCLE_1)
	s_xor_b32 exec_lo, exec_lo, s3
	s_cbranch_execz .LBB55_1644
.LBB55_2091:
	v_add_f32_e64 v7, 0x42800000, |v6|
	s_and_not1_b32 s2, s2, exec_lo
	s_mov_b32 s4, 0
	s_delay_alu instid0(VALU_DEP_1) | instskip(NEXT) | instid1(VALU_DEP_1)
	v_and_b32_e32 v7, 0xff, v7
	v_cmp_ne_u32_e32 vcc_lo, 0, v7
	s_and_b32 s5, vcc_lo, exec_lo
	s_delay_alu instid0(SALU_CYCLE_1)
	s_or_b32 s2, s2, s5
	s_or_b32 exec_lo, exec_lo, s3
	v_mov_b32_e32 v8, s4
	s_and_saveexec_b32 s3, s2
	s_cbranch_execnz .LBB55_1645
	s_branch .LBB55_1646
.LBB55_2092:
	s_or_saveexec_b32 s4, s4
                                        ; implicit-def: $sgpr5
	s_delay_alu instid0(SALU_CYCLE_1)
	s_xor_b32 exec_lo, exec_lo, s4
	s_cbranch_execz .LBB55_1750
.LBB55_2093:
	v_add_f32_e64 v7, 0x46000000, |v6|
	s_and_not1_b32 s3, s3, exec_lo
	s_mov_b32 s5, 0
	s_delay_alu instid0(VALU_DEP_1) | instskip(NEXT) | instid1(VALU_DEP_1)
	v_and_b32_e32 v7, 0xff, v7
	v_cmp_ne_u32_e32 vcc_lo, 0, v7
	s_and_b32 s6, vcc_lo, exec_lo
	s_delay_alu instid0(SALU_CYCLE_1)
	s_or_b32 s3, s3, s6
	s_or_b32 exec_lo, exec_lo, s4
	v_mov_b32_e32 v8, s5
	s_and_saveexec_b32 s4, s3
	s_cbranch_execnz .LBB55_1751
	s_branch .LBB55_1752
.LBB55_2094:
	s_trap 2
	s_sendmsg_rtn_b32 s0, sendmsg(MSG_RTN_GET_DOORBELL)
	s_mov_b32 ttmp2, m0
	s_waitcnt lgkmcnt(0)
	s_and_b32 s0, s0, 0x3ff
	s_delay_alu instid0(SALU_CYCLE_1) | instskip(NEXT) | instid1(SALU_CYCLE_1)
	s_bitset1_b32 s0, 10
	s_mov_b32 m0, s0
	s_sendmsg sendmsg(MSG_INTERRUPT)
	s_mov_b32 m0, ttmp2
.LBB55_2095:                            ; =>This Inner Loop Header: Depth=1
	s_sethalt 5
	s_branch .LBB55_2095
.LBB55_2096:
	s_cbranch_execnz .LBB55_2102
; %bb.2097:
	s_or_b32 s14, s14, exec_lo
	s_cbranch_execz .LBB55_1798
	s_branch .LBB55_1799
.LBB55_2098:
	s_or_saveexec_b32 s3, s3
                                        ; implicit-def: $sgpr4
	s_delay_alu instid0(SALU_CYCLE_1)
	s_xor_b32 exec_lo, exec_lo, s3
	s_cbranch_execz .LBB55_1763
.LBB55_2099:
	v_add_f32_e64 v7, 0x42800000, |v6|
	s_and_not1_b32 s2, s2, exec_lo
	s_mov_b32 s4, 0
	s_delay_alu instid0(VALU_DEP_1) | instskip(NEXT) | instid1(VALU_DEP_1)
	v_and_b32_e32 v7, 0xff, v7
	v_cmp_ne_u32_e32 vcc_lo, 0, v7
	s_and_b32 s5, vcc_lo, exec_lo
	s_delay_alu instid0(SALU_CYCLE_1)
	s_or_b32 s2, s2, s5
	s_or_b32 exec_lo, exec_lo, s3
	v_mov_b32_e32 v8, s4
	s_and_saveexec_b32 s3, s2
	s_cbranch_execnz .LBB55_1764
	s_branch .LBB55_1765
.LBB55_2100:
	s_or_saveexec_b32 s4, s4
                                        ; implicit-def: $sgpr5
	s_delay_alu instid0(SALU_CYCLE_1)
	s_xor_b32 exec_lo, exec_lo, s4
	s_cbranch_execz .LBB55_1869
.LBB55_2101:
	v_add_f32_e64 v7, 0x46000000, |v6|
	s_and_not1_b32 s3, s3, exec_lo
	s_mov_b32 s5, 0
	s_delay_alu instid0(VALU_DEP_1) | instskip(NEXT) | instid1(VALU_DEP_1)
	v_and_b32_e32 v7, 0xff, v7
	v_cmp_ne_u32_e32 vcc_lo, 0, v7
	s_and_b32 s6, vcc_lo, exec_lo
	s_delay_alu instid0(SALU_CYCLE_1)
	s_or_b32 s3, s3, s6
	s_or_b32 exec_lo, exec_lo, s4
	v_mov_b32_e32 v8, s5
	s_and_saveexec_b32 s4, s3
	s_cbranch_execnz .LBB55_1870
	s_branch .LBB55_1871
.LBB55_2102:
	s_trap 2
	s_sendmsg_rtn_b32 s0, sendmsg(MSG_RTN_GET_DOORBELL)
	s_mov_b32 ttmp2, m0
	s_waitcnt lgkmcnt(0)
	s_and_b32 s0, s0, 0x3ff
	s_delay_alu instid0(SALU_CYCLE_1) | instskip(NEXT) | instid1(SALU_CYCLE_1)
	s_bitset1_b32 s0, 10
	s_mov_b32 m0, s0
	s_sendmsg sendmsg(MSG_INTERRUPT)
	s_mov_b32 m0, ttmp2
.LBB55_2103:                            ; =>This Inner Loop Header: Depth=1
	s_sethalt 5
	s_branch .LBB55_2103
.LBB55_2104:
	s_cbranch_execnz .LBB55_2110
; %bb.2105:
	s_or_b32 s14, s14, exec_lo
	s_cbranch_execz .LBB55_1917
	s_branch .LBB55_1918
.LBB55_2106:
	s_or_saveexec_b32 s3, s3
                                        ; implicit-def: $sgpr4
	s_delay_alu instid0(SALU_CYCLE_1)
	s_xor_b32 exec_lo, exec_lo, s3
	s_cbranch_execz .LBB55_1882
.LBB55_2107:
	v_add_f32_e64 v7, 0x42800000, |v6|
	s_and_not1_b32 s2, s2, exec_lo
	s_mov_b32 s4, 0
	s_delay_alu instid0(VALU_DEP_1) | instskip(NEXT) | instid1(VALU_DEP_1)
	v_and_b32_e32 v7, 0xff, v7
	v_cmp_ne_u32_e32 vcc_lo, 0, v7
	s_and_b32 s5, vcc_lo, exec_lo
	s_delay_alu instid0(SALU_CYCLE_1)
	s_or_b32 s2, s2, s5
	s_or_b32 exec_lo, exec_lo, s3
	v_mov_b32_e32 v8, s4
	s_and_saveexec_b32 s3, s2
	s_cbranch_execnz .LBB55_1883
	s_branch .LBB55_1884
.LBB55_2108:
	s_or_saveexec_b32 s4, s4
                                        ; implicit-def: $sgpr5
	s_delay_alu instid0(SALU_CYCLE_1)
	s_xor_b32 exec_lo, exec_lo, s4
	s_cbranch_execz .LBB55_1989
.LBB55_2109:
	v_add_f32_e64 v7, 0x46000000, |v6|
	s_and_not1_b32 s3, s3, exec_lo
	s_mov_b32 s5, 0
	s_delay_alu instid0(VALU_DEP_1) | instskip(NEXT) | instid1(VALU_DEP_1)
	v_and_b32_e32 v7, 0xff, v7
	v_cmp_ne_u32_e32 vcc_lo, 0, v7
	s_and_b32 s6, vcc_lo, exec_lo
	s_delay_alu instid0(SALU_CYCLE_1)
	s_or_b32 s3, s3, s6
	s_or_b32 exec_lo, exec_lo, s4
	v_mov_b32_e32 v8, s5
	s_and_saveexec_b32 s4, s3
	s_cbranch_execnz .LBB55_1990
	s_branch .LBB55_1991
.LBB55_2110:
	s_trap 2
	s_sendmsg_rtn_b32 s0, sendmsg(MSG_RTN_GET_DOORBELL)
	s_mov_b32 ttmp2, m0
	s_waitcnt lgkmcnt(0)
	s_and_b32 s0, s0, 0x3ff
	s_delay_alu instid0(SALU_CYCLE_1) | instskip(NEXT) | instid1(SALU_CYCLE_1)
	s_bitset1_b32 s0, 10
	s_mov_b32 m0, s0
	s_sendmsg sendmsg(MSG_INTERRUPT)
	s_mov_b32 m0, ttmp2
.LBB55_2111:                            ; =>This Inner Loop Header: Depth=1
	s_sethalt 5
	s_branch .LBB55_2111
.LBB55_2112:
	s_cbranch_execnz .LBB55_2116
; %bb.2113:
	s_mov_b32 s1, 0
	s_or_b32 s14, s14, exec_lo
	s_branch .LBB55_2035
.LBB55_2114:
	s_or_saveexec_b32 s3, s3
                                        ; implicit-def: $sgpr4
	s_delay_alu instid0(SALU_CYCLE_1)
	s_xor_b32 exec_lo, exec_lo, s3
	s_cbranch_execz .LBB55_2001
.LBB55_2115:
	v_add_f32_e64 v7, 0x42800000, |v6|
	s_and_not1_b32 s2, s2, exec_lo
	s_mov_b32 s4, 0
	s_delay_alu instid0(VALU_DEP_1) | instskip(NEXT) | instid1(VALU_DEP_1)
	v_and_b32_e32 v7, 0xff, v7
	v_cmp_ne_u32_e32 vcc_lo, 0, v7
	s_and_b32 s5, vcc_lo, exec_lo
	s_delay_alu instid0(SALU_CYCLE_1)
	s_or_b32 s2, s2, s5
	s_or_b32 exec_lo, exec_lo, s3
	v_mov_b32_e32 v8, s4
	s_and_saveexec_b32 s3, s2
	s_cbranch_execnz .LBB55_2002
	s_branch .LBB55_2003
.LBB55_2116:
	s_trap 2
	s_sendmsg_rtn_b32 s0, sendmsg(MSG_RTN_GET_DOORBELL)
	s_mov_b32 ttmp2, m0
	s_waitcnt lgkmcnt(0)
	s_and_b32 s0, s0, 0x3ff
	s_delay_alu instid0(SALU_CYCLE_1) | instskip(NEXT) | instid1(SALU_CYCLE_1)
	s_bitset1_b32 s0, 10
	s_mov_b32 m0, s0
	s_sendmsg sendmsg(MSG_INTERRUPT)
	s_mov_b32 m0, ttmp2
.LBB55_2117:                            ; =>This Inner Loop Header: Depth=1
	s_sethalt 5
	s_branch .LBB55_2117
	.section	.rodata,"a",@progbits
	.p2align	6, 0x0
	.amdhsa_kernel _ZN2at6native32elementwise_kernel_manual_unrollILi128ELi4EZNS0_15gpu_kernel_implIZZZNS0_15exp_kernel_cudaERNS_18TensorIteratorBaseEENKUlvE_clEvENKUlvE_clEvEUlN3c107complexIdEEE_EEvS4_RKT_EUlibE_EEviT1_
		.amdhsa_group_segment_fixed_size 0
		.amdhsa_private_segment_fixed_size 0
		.amdhsa_kernarg_size 40
		.amdhsa_user_sgpr_count 15
		.amdhsa_user_sgpr_dispatch_ptr 0
		.amdhsa_user_sgpr_queue_ptr 0
		.amdhsa_user_sgpr_kernarg_segment_ptr 1
		.amdhsa_user_sgpr_dispatch_id 0
		.amdhsa_user_sgpr_private_segment_size 0
		.amdhsa_wavefront_size32 1
		.amdhsa_uses_dynamic_stack 0
		.amdhsa_enable_private_segment 0
		.amdhsa_system_sgpr_workgroup_id_x 1
		.amdhsa_system_sgpr_workgroup_id_y 0
		.amdhsa_system_sgpr_workgroup_id_z 0
		.amdhsa_system_sgpr_workgroup_info 0
		.amdhsa_system_vgpr_workitem_id 0
		.amdhsa_next_free_vgpr 68
		.amdhsa_next_free_sgpr 34
		.amdhsa_reserve_vcc 1
		.amdhsa_float_round_mode_32 0
		.amdhsa_float_round_mode_16_64 0
		.amdhsa_float_denorm_mode_32 3
		.amdhsa_float_denorm_mode_16_64 3
		.amdhsa_dx10_clamp 1
		.amdhsa_ieee_mode 1
		.amdhsa_fp16_overflow 0
		.amdhsa_workgroup_processor_mode 1
		.amdhsa_memory_ordered 1
		.amdhsa_forward_progress 0
		.amdhsa_shared_vgpr_count 0
		.amdhsa_exception_fp_ieee_invalid_op 0
		.amdhsa_exception_fp_denorm_src 0
		.amdhsa_exception_fp_ieee_div_zero 0
		.amdhsa_exception_fp_ieee_overflow 0
		.amdhsa_exception_fp_ieee_underflow 0
		.amdhsa_exception_fp_ieee_inexact 0
		.amdhsa_exception_int_div_zero 0
	.end_amdhsa_kernel
	.section	.text._ZN2at6native32elementwise_kernel_manual_unrollILi128ELi4EZNS0_15gpu_kernel_implIZZZNS0_15exp_kernel_cudaERNS_18TensorIteratorBaseEENKUlvE_clEvENKUlvE_clEvEUlN3c107complexIdEEE_EEvS4_RKT_EUlibE_EEviT1_,"axG",@progbits,_ZN2at6native32elementwise_kernel_manual_unrollILi128ELi4EZNS0_15gpu_kernel_implIZZZNS0_15exp_kernel_cudaERNS_18TensorIteratorBaseEENKUlvE_clEvENKUlvE_clEvEUlN3c107complexIdEEE_EEvS4_RKT_EUlibE_EEviT1_,comdat
.Lfunc_end55:
	.size	_ZN2at6native32elementwise_kernel_manual_unrollILi128ELi4EZNS0_15gpu_kernel_implIZZZNS0_15exp_kernel_cudaERNS_18TensorIteratorBaseEENKUlvE_clEvENKUlvE_clEvEUlN3c107complexIdEEE_EEvS4_RKT_EUlibE_EEviT1_, .Lfunc_end55-_ZN2at6native32elementwise_kernel_manual_unrollILi128ELi4EZNS0_15gpu_kernel_implIZZZNS0_15exp_kernel_cudaERNS_18TensorIteratorBaseEENKUlvE_clEvENKUlvE_clEvEUlN3c107complexIdEEE_EEvS4_RKT_EUlibE_EEviT1_
                                        ; -- End function
	.section	.AMDGPU.csdata,"",@progbits
; Kernel info:
; codeLenInByte = 37932
; NumSgprs: 36
; NumVgprs: 68
; ScratchSize: 0
; MemoryBound: 1
; FloatMode: 240
; IeeeMode: 1
; LDSByteSize: 0 bytes/workgroup (compile time only)
; SGPRBlocks: 4
; VGPRBlocks: 8
; NumSGPRsForWavesPerEU: 36
; NumVGPRsForWavesPerEU: 68
; Occupancy: 16
; WaveLimiterHint : 0
; COMPUTE_PGM_RSRC2:SCRATCH_EN: 0
; COMPUTE_PGM_RSRC2:USER_SGPR: 15
; COMPUTE_PGM_RSRC2:TRAP_HANDLER: 0
; COMPUTE_PGM_RSRC2:TGID_X_EN: 1
; COMPUTE_PGM_RSRC2:TGID_Y_EN: 0
; COMPUTE_PGM_RSRC2:TGID_Z_EN: 0
; COMPUTE_PGM_RSRC2:TIDIG_COMP_CNT: 0
	.section	.text._ZN2at6native32elementwise_kernel_manual_unrollILi128ELi4EZNS0_15gpu_kernel_implIZZZNS0_15exp_kernel_cudaERNS_18TensorIteratorBaseEENKUlvE_clEvENKUlvE_clEvEUlN3c107complexIdEEE_EEvS4_RKT_EUlibE0_EEviT1_,"axG",@progbits,_ZN2at6native32elementwise_kernel_manual_unrollILi128ELi4EZNS0_15gpu_kernel_implIZZZNS0_15exp_kernel_cudaERNS_18TensorIteratorBaseEENKUlvE_clEvENKUlvE_clEvEUlN3c107complexIdEEE_EEvS4_RKT_EUlibE0_EEviT1_,comdat
	.globl	_ZN2at6native32elementwise_kernel_manual_unrollILi128ELi4EZNS0_15gpu_kernel_implIZZZNS0_15exp_kernel_cudaERNS_18TensorIteratorBaseEENKUlvE_clEvENKUlvE_clEvEUlN3c107complexIdEEE_EEvS4_RKT_EUlibE0_EEviT1_ ; -- Begin function _ZN2at6native32elementwise_kernel_manual_unrollILi128ELi4EZNS0_15gpu_kernel_implIZZZNS0_15exp_kernel_cudaERNS_18TensorIteratorBaseEENKUlvE_clEvENKUlvE_clEvEUlN3c107complexIdEEE_EEvS4_RKT_EUlibE0_EEviT1_
	.p2align	8
	.type	_ZN2at6native32elementwise_kernel_manual_unrollILi128ELi4EZNS0_15gpu_kernel_implIZZZNS0_15exp_kernel_cudaERNS_18TensorIteratorBaseEENKUlvE_clEvENKUlvE_clEvEUlN3c107complexIdEEE_EEvS4_RKT_EUlibE0_EEviT1_,@function
_ZN2at6native32elementwise_kernel_manual_unrollILi128ELi4EZNS0_15gpu_kernel_implIZZZNS0_15exp_kernel_cudaERNS_18TensorIteratorBaseEENKUlvE_clEvENKUlvE_clEvEUlN3c107complexIdEEE_EEvS4_RKT_EUlibE0_EEviT1_: ; @_ZN2at6native32elementwise_kernel_manual_unrollILi128ELi4EZNS0_15gpu_kernel_implIZZZNS0_15exp_kernel_cudaERNS_18TensorIteratorBaseEENKUlvE_clEvENKUlvE_clEvEUlN3c107complexIdEEE_EEvS4_RKT_EUlibE0_EEviT1_
; %bb.0:
	s_clause 0x1
	s_load_b32 s33, s[0:1], 0x8
	s_load_b32 s43, s[0:1], 0x0
	v_lshl_or_b32 v43, s15, 9, v0
	s_mov_b64 s[16:17], s[0:1]
	s_mov_b32 s1, -1
	s_or_b32 s14, s16, 8
	s_mov_b32 s35, 0
	v_or_b32_e32 v1, 0x180, v43
	s_mov_b32 s15, s17
	s_mov_b32 s20, 0
	;; [unrolled: 1-line block ×3, first 2 shown]
	s_mov_b32 s0, exec_lo
	s_waitcnt lgkmcnt(0)
	s_add_i32 s34, s33, -1
	s_delay_alu instid0(SALU_CYCLE_1)
	s_cmp_gt_u32 s34, 1
	s_cselect_b32 s40, -1, 0
	v_cmpx_le_i32_e64 s43, v1
	s_xor_b32 s41, exec_lo, s0
	s_cbranch_execz .LBB56_1096
; %bb.1:
	v_mov_b32_e32 v0, 0
	s_clause 0x3
	s_load_b128 s[36:39], s[14:15], 0x4
	s_load_b64 s[18:19], s[14:15], 0x14
	s_load_b128 s[24:27], s[14:15], 0xc4
	s_load_b128 s[20:23], s[14:15], 0x148
	s_cmp_lg_u32 s33, 0
	s_mov_b32 s49, 0
	s_cselect_b32 s45, -1, 0
	global_load_u16 v41, v0, s[14:15] offset:345
	s_add_u32 s28, s14, 0xc4
	s_addc_u32 s29, s15, 0
	s_min_u32 s44, s34, 15
	s_cmp_gt_u32 s33, 1
	s_mov_b32 s47, 0
	s_cselect_b32 s42, -1, 0
	s_mov_b32 s46, 0
	s_mov_b32 s48, exec_lo
	s_waitcnt vmcnt(0)
	v_lshrrev_b16 v42, 8, v41
	v_cmpx_gt_i32_e64 s43, v43
	s_cbranch_execz .LBB56_268
; %bb.2:
	s_and_not1_b32 vcc_lo, exec_lo, s40
	s_cbranch_vccnz .LBB56_7
; %bb.3:
	v_mov_b32_e32 v40, 0
	v_mov_b32_e32 v0, 0
	s_and_not1_b32 vcc_lo, exec_lo, s45
	s_mov_b32 s4, 0
	s_cbranch_vccnz .LBB56_12
; %bb.4:
	v_mov_b32_e32 v40, 0
	s_add_i32 s6, s44, 1
	s_cmp_eq_u32 s34, 2
	s_mov_b32 s5, 0
	s_cbranch_scc1 .LBB56_8
; %bb.5:
	v_dual_mov_b32 v0, 0 :: v_dual_mov_b32 v1, v43
	v_mov_b32_e32 v40, 0
	s_and_b32 s5, s6, 28
	s_mov_b32 s7, 0
	s_mov_b64 s[0:1], s[28:29]
	s_mov_b64 s[2:3], s[14:15]
.LBB56_6:                               ; =>This Inner Loop Header: Depth=1
	s_clause 0x1
	s_load_b256 s[52:59], s[2:3], 0x4
	s_load_b128 s[8:11], s[2:3], 0x24
	s_load_b256 s[60:67], s[0:1], 0x0
	s_add_u32 s2, s2, 48
	s_addc_u32 s3, s3, 0
	s_add_i32 s7, s7, 4
	s_add_u32 s0, s0, 32
	s_addc_u32 s1, s1, 0
	s_cmp_lg_u32 s5, s7
	s_waitcnt lgkmcnt(0)
	v_mul_hi_u32 v2, s53, v1
	s_delay_alu instid0(VALU_DEP_1) | instskip(NEXT) | instid1(VALU_DEP_1)
	v_add_nc_u32_e32 v2, v1, v2
	v_lshrrev_b32_e32 v2, s54, v2
	s_delay_alu instid0(VALU_DEP_1) | instskip(SKIP_1) | instid1(VALU_DEP_2)
	v_mul_hi_u32 v3, s56, v2
	v_mul_lo_u32 v5, v2, s52
	v_add_nc_u32_e32 v3, v2, v3
	s_delay_alu instid0(VALU_DEP_2) | instskip(NEXT) | instid1(VALU_DEP_2)
	v_sub_nc_u32_e32 v1, v1, v5
	v_lshrrev_b32_e32 v3, s57, v3
	s_delay_alu instid0(VALU_DEP_2) | instskip(SKIP_1) | instid1(VALU_DEP_3)
	v_mul_lo_u32 v5, v1, s60
	v_mul_lo_u32 v7, v1, s61
	v_mul_hi_u32 v4, s59, v3
	s_delay_alu instid0(VALU_DEP_1) | instskip(NEXT) | instid1(VALU_DEP_1)
	v_add_nc_u32_e32 v4, v3, v4
	v_lshrrev_b32_e32 v4, s8, v4
	s_delay_alu instid0(VALU_DEP_1) | instskip(SKIP_1) | instid1(VALU_DEP_2)
	v_mul_hi_u32 v6, s10, v4
	v_mul_lo_u32 v8, v4, s58
	v_add_nc_u32_e32 v1, v4, v6
	v_mul_lo_u32 v6, v3, s55
	s_delay_alu instid0(VALU_DEP_3) | instskip(NEXT) | instid1(VALU_DEP_3)
	v_sub_nc_u32_e32 v3, v3, v8
	v_lshrrev_b32_e32 v1, s11, v1
	s_delay_alu instid0(VALU_DEP_2) | instskip(SKIP_2) | instid1(VALU_DEP_4)
	v_mul_lo_u32 v8, v3, s64
	v_mul_lo_u32 v3, v3, s65
	v_sub_nc_u32_e32 v2, v2, v6
	v_mul_lo_u32 v9, v1, s9
	s_delay_alu instid0(VALU_DEP_2) | instskip(SKIP_1) | instid1(VALU_DEP_3)
	v_mul_lo_u32 v6, v2, s62
	v_mul_lo_u32 v2, v2, s63
	v_sub_nc_u32_e32 v4, v4, v9
	s_delay_alu instid0(VALU_DEP_3) | instskip(NEXT) | instid1(VALU_DEP_2)
	v_add3_u32 v5, v5, v40, v6
	v_mul_lo_u32 v9, v4, s66
	v_mul_lo_u32 v4, v4, s67
	v_add3_u32 v0, v7, v0, v2
	s_delay_alu instid0(VALU_DEP_3) | instskip(NEXT) | instid1(VALU_DEP_2)
	v_add3_u32 v40, v8, v5, v9
	v_add3_u32 v0, v3, v0, v4
	s_cbranch_scc1 .LBB56_6
	s_branch .LBB56_9
.LBB56_7:
	s_mov_b32 s4, -1
                                        ; implicit-def: $vgpr40
                                        ; implicit-def: $vgpr0
	s_branch .LBB56_12
.LBB56_8:
	v_dual_mov_b32 v1, v43 :: v_dual_mov_b32 v0, 0
.LBB56_9:
	s_and_b32 s6, s6, 3
	s_delay_alu instid0(SALU_CYCLE_1)
	s_cmp_eq_u32 s6, 0
	s_cbranch_scc1 .LBB56_12
; %bb.10:
	s_lshl_b32 s0, s5, 3
	s_mul_i32 s2, s5, 12
	s_add_u32 s0, s0, s14
	s_addc_u32 s1, s15, 0
	s_add_u32 s0, s0, 0xc4
	s_addc_u32 s1, s1, 0
	;; [unrolled: 2-line block ×3, first 2 shown]
	.p2align	6
.LBB56_11:                              ; =>This Inner Loop Header: Depth=1
	s_clause 0x1
	s_load_b64 s[8:9], s[2:3], 0x4
	s_load_b32 s5, s[2:3], 0xc
	s_load_b64 s[10:11], s[0:1], 0x0
	s_add_u32 s2, s2, 12
	s_addc_u32 s3, s3, 0
	s_add_u32 s0, s0, 8
	s_addc_u32 s1, s1, 0
	s_add_i32 s6, s6, -1
	s_delay_alu instid0(SALU_CYCLE_1) | instskip(SKIP_2) | instid1(VALU_DEP_1)
	s_cmp_lg_u32 s6, 0
	s_waitcnt lgkmcnt(0)
	v_mul_hi_u32 v2, s9, v1
	v_add_nc_u32_e32 v2, v1, v2
	s_delay_alu instid0(VALU_DEP_1) | instskip(NEXT) | instid1(VALU_DEP_1)
	v_lshrrev_b32_e32 v5, s5, v2
	v_mul_lo_u32 v2, v5, s8
	s_delay_alu instid0(VALU_DEP_1) | instskip(NEXT) | instid1(VALU_DEP_1)
	v_sub_nc_u32_e32 v1, v1, v2
	v_mad_u64_u32 v[2:3], null, v1, s10, v[40:41]
	v_mad_u64_u32 v[3:4], null, v1, s11, v[0:1]
	s_delay_alu instid0(VALU_DEP_2) | instskip(NEXT) | instid1(VALU_DEP_2)
	v_dual_mov_b32 v1, v5 :: v_dual_mov_b32 v40, v2
	v_mov_b32_e32 v0, v3
	s_cbranch_scc1 .LBB56_11
.LBB56_12:
	s_and_not1_b32 vcc_lo, exec_lo, s4
	s_cbranch_vccnz .LBB56_15
; %bb.13:
	s_waitcnt lgkmcnt(0)
	v_mul_hi_u32 v0, s37, v43
	s_and_not1_b32 vcc_lo, exec_lo, s42
	s_delay_alu instid0(VALU_DEP_1) | instskip(NEXT) | instid1(VALU_DEP_1)
	v_add_nc_u32_e32 v0, v43, v0
	v_lshrrev_b32_e32 v1, s38, v0
	s_delay_alu instid0(VALU_DEP_1) | instskip(NEXT) | instid1(VALU_DEP_1)
	v_mul_lo_u32 v0, v1, s36
	v_sub_nc_u32_e32 v0, v43, v0
	s_delay_alu instid0(VALU_DEP_1)
	v_mul_lo_u32 v40, v0, s24
	v_mul_lo_u32 v0, v0, s25
	s_cbranch_vccnz .LBB56_15
; %bb.14:
	v_mul_hi_u32 v2, s18, v1
	s_delay_alu instid0(VALU_DEP_1) | instskip(NEXT) | instid1(VALU_DEP_1)
	v_add_nc_u32_e32 v2, v1, v2
	v_lshrrev_b32_e32 v2, s19, v2
	s_delay_alu instid0(VALU_DEP_1) | instskip(NEXT) | instid1(VALU_DEP_1)
	v_mul_lo_u32 v2, v2, s39
	v_sub_nc_u32_e32 v4, v1, v2
	s_delay_alu instid0(VALU_DEP_1) | instskip(NEXT) | instid1(VALU_DEP_1)
	v_mad_u64_u32 v[1:2], null, v4, s26, v[40:41]
	v_mad_u64_u32 v[2:3], null, v4, s27, v[0:1]
	v_mov_b32_e32 v40, v1
	s_delay_alu instid0(VALU_DEP_2)
	v_mov_b32_e32 v0, v2
.LBB56_15:
	v_cmp_gt_i16_e32 vcc_lo, 11, v42
	s_waitcnt lgkmcnt(0)
	s_delay_alu instid0(VALU_DEP_2) | instskip(NEXT) | instid1(VALU_DEP_1)
	v_add_co_u32 v4, s0, s22, v0
	v_add_co_ci_u32_e64 v5, null, s23, 0, s0
	s_mov_b32 s47, 0
	s_cbranch_vccnz .LBB56_22
; %bb.16:
	v_cmp_lt_i16_e32 vcc_lo, 25, v42
	s_cbranch_vccz .LBB56_141
; %bb.17:
	v_cmp_lt_i16_e32 vcc_lo, 28, v42
	s_cbranch_vccz .LBB56_142
	;; [unrolled: 3-line block ×4, first 2 shown]
; %bb.20:
	v_cmp_eq_u16_e32 vcc_lo, 46, v42
	s_mov_b32 s0, 0
	s_cbranch_vccz .LBB56_145
; %bb.21:
	global_load_b32 v0, v[4:5], off
	s_mov_b32 s2, -1
	s_waitcnt vmcnt(0)
	v_lshlrev_b32_e32 v1, 16, v0
	v_and_b32_e32 v2, 0xffff0000, v0
	s_delay_alu instid0(VALU_DEP_2) | instskip(NEXT) | instid1(VALU_DEP_2)
	v_cvt_f64_f32_e32 v[0:1], v1
	v_cvt_f64_f32_e32 v[2:3], v2
	s_branch .LBB56_147
.LBB56_22:
	s_mov_b32 s2, 0
                                        ; implicit-def: $vgpr2_vgpr3
	s_cbranch_execnz .LBB56_216
.LBB56_23:
	s_and_not1_b32 vcc_lo, exec_lo, s2
	s_cbranch_vccnz .LBB56_265
.LBB56_24:
	s_getpc_b64 s[0:1]
	s_add_u32 s0, s0, _ZZZZN2at6native15exp_kernel_cudaERNS_18TensorIteratorBaseEENKUlvE_clEvENKUlvE_clEvENKUlN3c107complexIdEEE_clES7_@rel32@lo+4
	s_addc_u32 s1, s1, _ZZZZN2at6native15exp_kernel_cudaERNS_18TensorIteratorBaseEENKUlvE_clEvENKUlvE_clEvENKUlN3c107complexIdEEE_clES7_@rel32@hi+12
	s_delay_alu instid0(SALU_CYCLE_1) | instskip(SKIP_2) | instid1(VALU_DEP_1)
	s_swappc_b64 s[30:31], s[0:1]
	v_and_b32_e32 v6, 0xff, v41
	v_add_co_u32 v4, s1, s20, v40
	v_add_co_ci_u32_e64 v5, null, s21, 0, s1
	s_delay_alu instid0(VALU_DEP_3)
	v_cmp_gt_i16_e32 vcc_lo, 11, v6
	s_mov_b32 s0, 0
	s_mov_b32 s2, -1
	s_mov_b32 s1, 0
	s_cbranch_vccnz .LBB56_101
; %bb.25:
	v_cmp_lt_i16_e32 vcc_lo, 25, v6
	s_cbranch_vccz .LBB56_58
; %bb.26:
	v_cmp_lt_i16_e32 vcc_lo, 28, v6
	s_cbranch_vccz .LBB56_41
	;; [unrolled: 3-line block ×4, first 2 shown]
; %bb.29:
	v_cmp_eq_u16_e32 vcc_lo, 46, v6
	s_mov_b32 s2, 0
	s_mov_b32 s0, -1
	s_cbranch_vccz .LBB56_31
; %bb.30:
	v_cvt_f32_f64_e32 v7, v[2:3]
	v_cvt_f32_f64_e32 v8, v[0:1]
	s_mov_b32 s1, -1
	s_mov_b32 s0, 0
	s_delay_alu instid0(VALU_DEP_2) | instskip(NEXT) | instid1(VALU_DEP_2)
	v_bfe_u32 v9, v7, 16, 1
	v_bfe_u32 v10, v8, 16, 1
	v_cmp_o_f32_e32 vcc_lo, v7, v7
	s_delay_alu instid0(VALU_DEP_3) | instskip(NEXT) | instid1(VALU_DEP_3)
	v_add3_u32 v9, v7, v9, 0x7fff
	v_add3_u32 v10, v8, v10, 0x7fff
	s_delay_alu instid0(VALU_DEP_2) | instskip(NEXT) | instid1(VALU_DEP_2)
	v_and_b32_e32 v9, 0xffff0000, v9
	v_lshrrev_b32_e32 v10, 16, v10
	s_delay_alu instid0(VALU_DEP_2) | instskip(SKIP_1) | instid1(VALU_DEP_3)
	v_cndmask_b32_e32 v7, 0x7fc00000, v9, vcc_lo
	v_cmp_o_f32_e32 vcc_lo, v8, v8
	v_cndmask_b32_e32 v8, 0x7fc0, v10, vcc_lo
	s_delay_alu instid0(VALU_DEP_1)
	v_or_b32_e32 v7, v7, v8
	global_store_b32 v[4:5], v7, off
.LBB56_31:
	s_and_b32 vcc_lo, exec_lo, s2
	s_cbranch_vccz .LBB56_36
; %bb.32:
	v_cmp_eq_u16_e32 vcc_lo, 44, v6
	s_mov_b32 s0, -1
	s_cbranch_vccz .LBB56_36
; %bb.33:
	v_cvt_f32_f64_e32 v7, v[0:1]
	v_mov_b32_e32 v8, 0xff
	s_mov_b32 s1, exec_lo
	s_delay_alu instid0(VALU_DEP_2) | instskip(NEXT) | instid1(VALU_DEP_1)
	v_bfe_u32 v9, v7, 23, 8
	v_cmpx_ne_u32_e32 0xff, v9
; %bb.34:
	v_and_b32_e32 v8, 0x400000, v7
	v_and_or_b32 v9, 0x3fffff, v7, v9
	v_lshrrev_b32_e32 v7, 23, v7
	s_delay_alu instid0(VALU_DEP_3) | instskip(NEXT) | instid1(VALU_DEP_3)
	v_cmp_ne_u32_e32 vcc_lo, 0, v8
	v_cmp_ne_u32_e64 s0, 0, v9
	s_delay_alu instid0(VALU_DEP_1) | instskip(NEXT) | instid1(SALU_CYCLE_1)
	s_and_b32 s0, vcc_lo, s0
	v_cndmask_b32_e64 v8, 0, 1, s0
	s_delay_alu instid0(VALU_DEP_1)
	v_add_nc_u32_e32 v8, v7, v8
; %bb.35:
	s_or_b32 exec_lo, exec_lo, s1
	s_mov_b32 s1, -1
	s_mov_b32 s0, 0
	global_store_b8 v[4:5], v8, off
.LBB56_36:
	s_mov_b32 s2, 0
.LBB56_37:
	s_delay_alu instid0(SALU_CYCLE_1)
	s_and_b32 vcc_lo, exec_lo, s2
	s_cbranch_vccz .LBB56_40
; %bb.38:
	v_cmp_eq_u16_e32 vcc_lo, 29, v6
	s_mov_b32 s0, -1
	s_cbranch_vccz .LBB56_40
; %bb.39:
	v_trunc_f64_e32 v[7:8], v[0:1]
	s_mov_b32 s1, -1
	s_mov_b32 s0, 0
	s_delay_alu instid0(VALU_DEP_1) | instskip(NEXT) | instid1(VALU_DEP_1)
	v_ldexp_f64 v[9:10], v[7:8], 0xffffffe0
	v_floor_f64_e32 v[9:10], v[9:10]
	s_delay_alu instid0(VALU_DEP_1) | instskip(SKIP_1) | instid1(VALU_DEP_2)
	v_fma_f64 v[7:8], 0xc1f00000, v[9:10], v[7:8]
	v_cvt_u32_f64_e32 v9, v[9:10]
	v_cvt_u32_f64_e32 v8, v[7:8]
	global_store_b64 v[4:5], v[8:9], off
.LBB56_40:
	s_mov_b32 s2, 0
.LBB56_41:
	s_delay_alu instid0(SALU_CYCLE_1)
	s_and_b32 vcc_lo, exec_lo, s2
	s_cbranch_vccz .LBB56_57
; %bb.42:
	v_cmp_gt_i16_e32 vcc_lo, 27, v6
	s_mov_b32 s1, -1
	s_cbranch_vccnz .LBB56_48
; %bb.43:
	v_cmp_lt_i16_e32 vcc_lo, 27, v6
	s_cbranch_vccz .LBB56_45
; %bb.44:
	v_cvt_u32_f64_e32 v7, v[0:1]
	s_mov_b32 s1, 0
	global_store_b32 v[4:5], v7, off
.LBB56_45:
	s_and_not1_b32 vcc_lo, exec_lo, s1
	s_cbranch_vccnz .LBB56_47
; %bb.46:
	v_cvt_u32_f64_e32 v7, v[0:1]
	global_store_b16 v[4:5], v7, off
.LBB56_47:
	s_mov_b32 s1, 0
.LBB56_48:
	s_delay_alu instid0(SALU_CYCLE_1)
	s_and_not1_b32 vcc_lo, exec_lo, s1
	s_cbranch_vccnz .LBB56_56
; %bb.49:
	v_cvt_f32_f64_e32 v7, v[0:1]
	v_mov_b32_e32 v9, 0x80
	s_mov_b32 s1, exec_lo
	s_delay_alu instid0(VALU_DEP_2) | instskip(NEXT) | instid1(VALU_DEP_1)
	v_and_b32_e32 v8, 0x7fffffff, v7
	v_cmpx_gt_u32_e32 0x43800000, v8
	s_cbranch_execz .LBB56_55
; %bb.50:
	v_cmp_lt_u32_e32 vcc_lo, 0x3bffffff, v8
	s_mov_b32 s2, 0
                                        ; implicit-def: $vgpr8
	s_and_saveexec_b32 s3, vcc_lo
	s_delay_alu instid0(SALU_CYCLE_1)
	s_xor_b32 s3, exec_lo, s3
	s_cbranch_execz .LBB56_150
; %bb.51:
	v_bfe_u32 v8, v7, 20, 1
	s_mov_b32 s2, exec_lo
	s_delay_alu instid0(VALU_DEP_1) | instskip(NEXT) | instid1(VALU_DEP_1)
	v_add3_u32 v8, v7, v8, 0x487ffff
	v_lshrrev_b32_e32 v8, 20, v8
	s_or_saveexec_b32 s3, s3
                                        ; implicit-def: $sgpr4
	s_delay_alu instid0(SALU_CYCLE_1)
	s_xor_b32 exec_lo, exec_lo, s3
	s_cbranch_execnz .LBB56_151
.LBB56_52:
	s_or_b32 exec_lo, exec_lo, s3
	v_mov_b32_e32 v9, s4
	s_and_saveexec_b32 s3, s2
.LBB56_53:
	v_lshrrev_b32_e32 v7, 24, v7
	s_delay_alu instid0(VALU_DEP_1)
	v_and_or_b32 v9, 0x80, v7, v8
.LBB56_54:
	s_or_b32 exec_lo, exec_lo, s3
.LBB56_55:
	s_delay_alu instid0(SALU_CYCLE_1)
	s_or_b32 exec_lo, exec_lo, s1
	global_store_b8 v[4:5], v9, off
.LBB56_56:
	s_mov_b32 s1, -1
.LBB56_57:
	s_mov_b32 s2, 0
.LBB56_58:
	s_delay_alu instid0(SALU_CYCLE_1)
	s_and_b32 vcc_lo, exec_lo, s2
	s_cbranch_vccz .LBB56_99
; %bb.59:
	v_cmp_lt_i16_e32 vcc_lo, 22, v6
	s_mov_b32 s2, -1
	s_cbranch_vccz .LBB56_91
; %bb.60:
	v_cmp_gt_i16_e32 vcc_lo, 24, v6
	s_mov_b32 s1, -1
	s_cbranch_vccnz .LBB56_80
; %bb.61:
	v_cmp_lt_i16_e32 vcc_lo, 24, v6
	s_cbranch_vccz .LBB56_69
; %bb.62:
	v_cvt_f32_f64_e32 v7, v[0:1]
	v_mov_b32_e32 v9, 0x80
	s_mov_b32 s1, exec_lo
	s_delay_alu instid0(VALU_DEP_2) | instskip(NEXT) | instid1(VALU_DEP_1)
	v_and_b32_e32 v8, 0x7fffffff, v7
	v_cmpx_gt_u32_e32 0x47800000, v8
	s_cbranch_execz .LBB56_68
; %bb.63:
	v_cmp_lt_u32_e32 vcc_lo, 0x37ffffff, v8
	s_mov_b32 s2, 0
                                        ; implicit-def: $vgpr8
	s_and_saveexec_b32 s3, vcc_lo
	s_delay_alu instid0(SALU_CYCLE_1)
	s_xor_b32 s3, exec_lo, s3
	s_cbranch_execz .LBB56_346
; %bb.64:
	v_bfe_u32 v8, v7, 21, 1
	s_mov_b32 s2, exec_lo
	s_delay_alu instid0(VALU_DEP_1) | instskip(NEXT) | instid1(VALU_DEP_1)
	v_add3_u32 v8, v7, v8, 0x88fffff
	v_lshrrev_b32_e32 v8, 21, v8
	s_or_saveexec_b32 s3, s3
                                        ; implicit-def: $sgpr4
	s_delay_alu instid0(SALU_CYCLE_1)
	s_xor_b32 exec_lo, exec_lo, s3
	s_cbranch_execnz .LBB56_347
.LBB56_65:
	s_or_b32 exec_lo, exec_lo, s3
	v_mov_b32_e32 v9, s4
	s_and_saveexec_b32 s3, s2
.LBB56_66:
	v_lshrrev_b32_e32 v7, 24, v7
	s_delay_alu instid0(VALU_DEP_1)
	v_and_or_b32 v9, 0x80, v7, v8
.LBB56_67:
	s_or_b32 exec_lo, exec_lo, s3
.LBB56_68:
	s_delay_alu instid0(SALU_CYCLE_1)
	s_or_b32 exec_lo, exec_lo, s1
	s_mov_b32 s1, 0
	global_store_b8 v[4:5], v9, off
.LBB56_69:
	s_and_b32 vcc_lo, exec_lo, s1
	s_cbranch_vccz .LBB56_79
; %bb.70:
	v_cvt_f32_f64_e32 v7, v[0:1]
	s_mov_b32 s1, exec_lo
                                        ; implicit-def: $vgpr8
	s_delay_alu instid0(VALU_DEP_1) | instskip(NEXT) | instid1(VALU_DEP_1)
	v_and_b32_e32 v9, 0x7fffffff, v7
	v_cmpx_gt_u32_e32 0x43f00000, v9
	s_xor_b32 s1, exec_lo, s1
	s_cbranch_execz .LBB56_76
; %bb.71:
	s_mov_b32 s2, exec_lo
                                        ; implicit-def: $vgpr8
	v_cmpx_lt_u32_e32 0x3c7fffff, v9
	s_xor_b32 s2, exec_lo, s2
; %bb.72:
	v_bfe_u32 v8, v7, 20, 1
	s_delay_alu instid0(VALU_DEP_1) | instskip(NEXT) | instid1(VALU_DEP_1)
	v_add3_u32 v8, v7, v8, 0x407ffff
	v_and_b32_e32 v9, 0xff00000, v8
	v_lshrrev_b32_e32 v8, 20, v8
	s_delay_alu instid0(VALU_DEP_2) | instskip(NEXT) | instid1(VALU_DEP_2)
	v_cmp_ne_u32_e32 vcc_lo, 0x7f00000, v9
	v_cndmask_b32_e32 v8, 0x7e, v8, vcc_lo
; %bb.73:
	s_and_not1_saveexec_b32 s2, s2
; %bb.74:
	v_add_f32_e64 v8, 0x46800000, |v7|
; %bb.75:
	s_or_b32 exec_lo, exec_lo, s2
                                        ; implicit-def: $vgpr9
.LBB56_76:
	s_and_not1_saveexec_b32 s1, s1
; %bb.77:
	v_mov_b32_e32 v8, 0x7f
	v_cmp_lt_u32_e32 vcc_lo, 0x7f800000, v9
	s_delay_alu instid0(VALU_DEP_2)
	v_cndmask_b32_e32 v8, 0x7e, v8, vcc_lo
; %bb.78:
	s_or_b32 exec_lo, exec_lo, s1
	v_lshrrev_b32_e32 v7, 24, v7
	s_delay_alu instid0(VALU_DEP_1)
	v_and_or_b32 v7, 0x80, v7, v8
	global_store_b8 v[4:5], v7, off
.LBB56_79:
	s_mov_b32 s1, 0
.LBB56_80:
	s_delay_alu instid0(SALU_CYCLE_1)
	s_and_not1_b32 vcc_lo, exec_lo, s1
	s_cbranch_vccnz .LBB56_90
; %bb.81:
	v_cvt_f32_f64_e32 v7, v[0:1]
	s_mov_b32 s1, exec_lo
                                        ; implicit-def: $vgpr8
	s_delay_alu instid0(VALU_DEP_1) | instskip(NEXT) | instid1(VALU_DEP_1)
	v_and_b32_e32 v9, 0x7fffffff, v7
	v_cmpx_gt_u32_e32 0x47800000, v9
	s_xor_b32 s1, exec_lo, s1
	s_cbranch_execz .LBB56_87
; %bb.82:
	s_mov_b32 s2, exec_lo
                                        ; implicit-def: $vgpr8
	v_cmpx_lt_u32_e32 0x387fffff, v9
	s_xor_b32 s2, exec_lo, s2
; %bb.83:
	v_bfe_u32 v8, v7, 21, 1
	s_delay_alu instid0(VALU_DEP_1) | instskip(NEXT) | instid1(VALU_DEP_1)
	v_add3_u32 v8, v7, v8, 0x80fffff
	v_lshrrev_b32_e32 v8, 21, v8
; %bb.84:
	s_and_not1_saveexec_b32 s2, s2
; %bb.85:
	v_add_f32_e64 v8, 0x43000000, |v7|
; %bb.86:
	s_or_b32 exec_lo, exec_lo, s2
                                        ; implicit-def: $vgpr9
.LBB56_87:
	s_and_not1_saveexec_b32 s1, s1
; %bb.88:
	v_mov_b32_e32 v8, 0x7f
	v_cmp_lt_u32_e32 vcc_lo, 0x7f800000, v9
	s_delay_alu instid0(VALU_DEP_2)
	v_cndmask_b32_e32 v8, 0x7c, v8, vcc_lo
; %bb.89:
	s_or_b32 exec_lo, exec_lo, s1
	v_lshrrev_b32_e32 v7, 24, v7
	s_delay_alu instid0(VALU_DEP_1)
	v_and_or_b32 v7, 0x80, v7, v8
	global_store_b8 v[4:5], v7, off
.LBB56_90:
	s_mov_b32 s2, 0
	s_mov_b32 s1, -1
.LBB56_91:
	s_and_not1_b32 vcc_lo, exec_lo, s2
	s_cbranch_vccnz .LBB56_99
; %bb.92:
	v_cmp_lt_i16_e32 vcc_lo, 14, v6
	s_mov_b32 s2, -1
	s_cbranch_vccz .LBB56_96
; %bb.93:
	v_cmp_eq_u16_e32 vcc_lo, 15, v6
	s_mov_b32 s0, -1
	s_cbranch_vccz .LBB56_95
; %bb.94:
	v_cvt_f32_f64_e32 v7, v[0:1]
	s_mov_b32 s1, -1
	s_mov_b32 s0, 0
	s_delay_alu instid0(VALU_DEP_1) | instskip(SKIP_1) | instid1(VALU_DEP_2)
	v_bfe_u32 v8, v7, 16, 1
	v_cmp_o_f32_e32 vcc_lo, v7, v7
	v_add3_u32 v8, v7, v8, 0x7fff
	s_delay_alu instid0(VALU_DEP_1) | instskip(NEXT) | instid1(VALU_DEP_1)
	v_lshrrev_b32_e32 v8, 16, v8
	v_cndmask_b32_e32 v7, 0x7fc0, v8, vcc_lo
	global_store_b16 v[4:5], v7, off
.LBB56_95:
	s_mov_b32 s2, 0
.LBB56_96:
	s_delay_alu instid0(SALU_CYCLE_1)
	s_and_b32 vcc_lo, exec_lo, s2
	s_cbranch_vccz .LBB56_99
; %bb.97:
	v_cmp_eq_u16_e32 vcc_lo, 11, v6
	s_mov_b32 s0, -1
	s_cbranch_vccz .LBB56_99
; %bb.98:
	v_cmp_neq_f64_e32 vcc_lo, 0, v[0:1]
	v_cmp_neq_f64_e64 s0, 0, v[2:3]
	s_mov_b32 s1, -1
	s_delay_alu instid0(VALU_DEP_1) | instskip(NEXT) | instid1(SALU_CYCLE_1)
	s_or_b32 s0, vcc_lo, s0
	v_cndmask_b32_e64 v7, 0, 1, s0
	s_mov_b32 s0, 0
	global_store_b8 v[4:5], v7, off
.LBB56_99:
.LBB56_100:
	s_and_not1_b32 vcc_lo, exec_lo, s1
	s_cbranch_vccz .LBB56_140
	s_branch .LBB56_266
.LBB56_101:
	s_and_b32 vcc_lo, exec_lo, s2
	s_cbranch_vccz .LBB56_100
; %bb.102:
	v_cmp_gt_i16_e32 vcc_lo, 5, v6
	s_mov_b32 s1, -1
	s_cbranch_vccnz .LBB56_123
; %bb.103:
	v_cmp_gt_i16_e32 vcc_lo, 8, v6
	s_cbranch_vccnz .LBB56_113
; %bb.104:
	v_cmp_gt_i16_e32 vcc_lo, 9, v6
	s_cbranch_vccnz .LBB56_110
; %bb.105:
	v_cmp_lt_i16_e32 vcc_lo, 9, v6
	s_cbranch_vccz .LBB56_107
; %bb.106:
	s_mov_b32 s1, 0
	global_store_b128 v[4:5], v[0:3], off
.LBB56_107:
	s_and_not1_b32 vcc_lo, exec_lo, s1
	s_cbranch_vccnz .LBB56_109
; %bb.108:
	v_cvt_f32_f64_e32 v7, v[0:1]
	v_cvt_f32_f64_e32 v8, v[2:3]
	global_store_b64 v[4:5], v[7:8], off
.LBB56_109:
	s_mov_b32 s1, 0
.LBB56_110:
	s_delay_alu instid0(SALU_CYCLE_1)
	s_and_not1_b32 vcc_lo, exec_lo, s1
	s_cbranch_vccnz .LBB56_112
; %bb.111:
	v_cvt_f32_f64_e32 v2, v[2:3]
	v_cvt_f32_f64_e32 v3, v[0:1]
	s_delay_alu instid0(VALU_DEP_2) | instskip(NEXT) | instid1(VALU_DEP_2)
	v_cvt_f16_f32_e32 v2, v2
	v_cvt_f16_f32_e32 v3, v3
	s_delay_alu instid0(VALU_DEP_2) | instskip(NEXT) | instid1(VALU_DEP_2)
	v_lshlrev_b32_e32 v2, 16, v2
	v_and_b32_e32 v3, 0xffff, v3
	s_delay_alu instid0(VALU_DEP_1)
	v_or_b32_e32 v2, v2, v3
	global_store_b32 v[4:5], v2, off
.LBB56_112:
	s_mov_b32 s1, 0
.LBB56_113:
	s_delay_alu instid0(SALU_CYCLE_1)
	s_and_not1_b32 vcc_lo, exec_lo, s1
	s_cbranch_vccnz .LBB56_122
; %bb.114:
	v_cmp_gt_i16_e32 vcc_lo, 6, v6
	s_mov_b32 s1, -1
	s_cbranch_vccnz .LBB56_120
; %bb.115:
	v_cmp_lt_i16_e32 vcc_lo, 6, v6
	s_cbranch_vccz .LBB56_117
; %bb.116:
	s_mov_b32 s1, 0
	global_store_b64 v[4:5], v[0:1], off
.LBB56_117:
	s_and_not1_b32 vcc_lo, exec_lo, s1
	s_cbranch_vccnz .LBB56_119
; %bb.118:
	v_cvt_f32_f64_e32 v2, v[0:1]
	global_store_b32 v[4:5], v2, off
.LBB56_119:
	s_mov_b32 s1, 0
.LBB56_120:
	s_delay_alu instid0(SALU_CYCLE_1)
	s_and_not1_b32 vcc_lo, exec_lo, s1
	s_cbranch_vccnz .LBB56_122
; %bb.121:
	v_cvt_f32_f64_e32 v2, v[0:1]
	s_delay_alu instid0(VALU_DEP_1)
	v_cvt_f16_f32_e32 v2, v2
	global_store_b16 v[4:5], v2, off
.LBB56_122:
	s_mov_b32 s1, 0
.LBB56_123:
	s_delay_alu instid0(SALU_CYCLE_1)
	s_and_not1_b32 vcc_lo, exec_lo, s1
	s_cbranch_vccnz .LBB56_139
; %bb.124:
	v_cmp_gt_i16_e32 vcc_lo, 2, v6
	s_mov_b32 s1, -1
	s_cbranch_vccnz .LBB56_134
; %bb.125:
	v_cmp_gt_i16_e32 vcc_lo, 3, v6
	s_cbranch_vccnz .LBB56_131
; %bb.126:
	v_cmp_lt_i16_e32 vcc_lo, 3, v6
	s_cbranch_vccz .LBB56_128
; %bb.127:
	v_trunc_f64_e32 v[2:3], v[0:1]
	s_mov_b32 s1, 0
	s_delay_alu instid0(VALU_DEP_1) | instskip(NEXT) | instid1(VALU_DEP_1)
	v_ldexp_f64 v[7:8], v[2:3], 0xffffffe0
	v_floor_f64_e32 v[7:8], v[7:8]
	s_delay_alu instid0(VALU_DEP_1) | instskip(SKIP_1) | instid1(VALU_DEP_2)
	v_fma_f64 v[2:3], 0xc1f00000, v[7:8], v[2:3]
	v_cvt_i32_f64_e32 v8, v[7:8]
	v_cvt_u32_f64_e32 v7, v[2:3]
	global_store_b64 v[4:5], v[7:8], off
.LBB56_128:
	s_and_not1_b32 vcc_lo, exec_lo, s1
	s_cbranch_vccnz .LBB56_130
; %bb.129:
	v_cvt_i32_f64_e32 v2, v[0:1]
	global_store_b32 v[4:5], v2, off
.LBB56_130:
	s_mov_b32 s1, 0
.LBB56_131:
	s_delay_alu instid0(SALU_CYCLE_1)
	s_and_not1_b32 vcc_lo, exec_lo, s1
	s_cbranch_vccnz .LBB56_133
; %bb.132:
	v_cvt_i32_f64_e32 v2, v[0:1]
	global_store_b16 v[4:5], v2, off
.LBB56_133:
	s_mov_b32 s1, 0
.LBB56_134:
	s_delay_alu instid0(SALU_CYCLE_1)
	s_and_not1_b32 vcc_lo, exec_lo, s1
	s_cbranch_vccnz .LBB56_139
; %bb.135:
	v_cmp_lt_i16_e32 vcc_lo, 0, v6
	s_mov_b32 s1, -1
	s_cbranch_vccz .LBB56_137
; %bb.136:
	v_cvt_i32_f64_e32 v2, v[0:1]
	s_mov_b32 s1, 0
	global_store_b8 v[4:5], v2, off
.LBB56_137:
	s_and_not1_b32 vcc_lo, exec_lo, s1
	s_cbranch_vccnz .LBB56_139
; %bb.138:
	v_trunc_f64_e32 v[0:1], v[0:1]
	s_delay_alu instid0(VALU_DEP_1) | instskip(NEXT) | instid1(VALU_DEP_1)
	v_ldexp_f64 v[2:3], v[0:1], 0xffffffe0
	v_floor_f64_e32 v[2:3], v[2:3]
	s_delay_alu instid0(VALU_DEP_1) | instskip(NEXT) | instid1(VALU_DEP_1)
	v_fma_f64 v[0:1], 0xc1f00000, v[2:3], v[0:1]
	v_cvt_u32_f64_e32 v0, v[0:1]
	global_store_b8 v[4:5], v0, off
.LBB56_139:
.LBB56_140:
	v_add_nc_u32_e32 v43, 0x80, v43
	s_mov_b32 s1, -1
	s_branch .LBB56_267
.LBB56_141:
	s_mov_b32 s2, 0
                                        ; implicit-def: $vgpr2_vgpr3
	s_cbranch_execnz .LBB56_182
	s_branch .LBB56_215
.LBB56_142:
	s_mov_b32 s0, -1
	s_mov_b32 s2, 0
                                        ; implicit-def: $vgpr2_vgpr3
	s_branch .LBB56_161
.LBB56_143:
	s_mov_b32 s0, -1
	s_mov_b32 s2, 0
                                        ; implicit-def: $vgpr2_vgpr3
	s_branch .LBB56_155
.LBB56_144:
	s_mov_b32 s0, -1
	s_branch .LBB56_146
.LBB56_145:
	s_mov_b32 s47, -1
.LBB56_146:
	s_mov_b32 s2, 0
                                        ; implicit-def: $vgpr2_vgpr3
.LBB56_147:
	s_and_b32 vcc_lo, exec_lo, s0
	s_cbranch_vccz .LBB56_154
; %bb.148:
	v_cmp_eq_u16_e32 vcc_lo, 44, v42
	s_cbranch_vccz .LBB56_152
; %bb.149:
	global_load_u8 v2, v[4:5], off
	s_mov_b32 s47, 0
	s_mov_b32 s2, -1
	s_mov_b64 s[0:1], 0
	s_waitcnt vmcnt(0)
	v_cmp_ne_u32_e32 vcc_lo, 0xff, v2
	v_lshlrev_b32_e32 v0, 23, v2
	s_delay_alu instid0(VALU_DEP_1) | instskip(NEXT) | instid1(VALU_DEP_1)
	v_cvt_f64_f32_e32 v[0:1], v0
	v_cndmask_b32_e32 v1, 0x7ff80000, v1, vcc_lo
	s_delay_alu instid0(VALU_DEP_2) | instskip(SKIP_1) | instid1(VALU_DEP_3)
	v_cndmask_b32_e32 v0, 0x20000000, v0, vcc_lo
	v_cmp_ne_u32_e32 vcc_lo, 0, v2
	v_cndmask_b32_e32 v1, 0x38000000, v1, vcc_lo
	s_delay_alu instid0(VALU_DEP_3)
	v_cndmask_b32_e32 v0, 0, v0, vcc_lo
	s_branch .LBB56_153
.LBB56_150:
	s_or_saveexec_b32 s3, s3
                                        ; implicit-def: $sgpr4
	s_delay_alu instid0(SALU_CYCLE_1)
	s_xor_b32 exec_lo, exec_lo, s3
	s_cbranch_execz .LBB56_52
.LBB56_151:
	v_add_f32_e64 v8, 0x46000000, |v7|
	s_and_not1_b32 s2, s2, exec_lo
	s_mov_b32 s4, 0
	s_delay_alu instid0(VALU_DEP_1) | instskip(NEXT) | instid1(VALU_DEP_1)
	v_and_b32_e32 v8, 0xff, v8
	v_cmp_ne_u32_e32 vcc_lo, 0, v8
	s_and_b32 s5, vcc_lo, exec_lo
	s_delay_alu instid0(SALU_CYCLE_1)
	s_or_b32 s2, s2, s5
	s_or_b32 exec_lo, exec_lo, s3
	v_mov_b32_e32 v9, s4
	s_and_saveexec_b32 s3, s2
	s_cbranch_execnz .LBB56_53
	s_branch .LBB56_54
.LBB56_152:
	s_mov_b32 s47, -1
                                        ; implicit-def: $sgpr0_sgpr1
                                        ; implicit-def: $vgpr0_vgpr1
.LBB56_153:
	v_dual_mov_b32 v3, s1 :: v_dual_mov_b32 v2, s0
.LBB56_154:
	s_mov_b32 s0, 0
.LBB56_155:
	s_delay_alu instid0(SALU_CYCLE_1)
	s_and_b32 vcc_lo, exec_lo, s0
	s_cbranch_vccz .LBB56_160
; %bb.156:
	v_cmp_eq_u16_e32 vcc_lo, 29, v42
	s_cbranch_vccz .LBB56_158
; %bb.157:
	global_load_b64 v[0:1], v[4:5], off
	s_mov_b32 s2, -1
	s_mov_b32 s47, 0
	s_mov_b64 s[0:1], 0
	s_waitcnt vmcnt(0)
	v_cvt_f64_u32_e32 v[1:2], v1
	v_cvt_f64_u32_e32 v[6:7], v0
	s_delay_alu instid0(VALU_DEP_2) | instskip(NEXT) | instid1(VALU_DEP_1)
	v_ldexp_f64 v[1:2], v[1:2], 32
	v_add_f64 v[0:1], v[1:2], v[6:7]
	s_branch .LBB56_159
.LBB56_158:
	s_mov_b32 s47, -1
                                        ; implicit-def: $sgpr0_sgpr1
                                        ; implicit-def: $vgpr0_vgpr1
.LBB56_159:
	v_dual_mov_b32 v3, s1 :: v_dual_mov_b32 v2, s0
.LBB56_160:
	s_mov_b32 s0, 0
.LBB56_161:
	s_delay_alu instid0(SALU_CYCLE_1)
	s_and_b32 vcc_lo, exec_lo, s0
	s_cbranch_vccz .LBB56_181
; %bb.162:
	v_cmp_gt_i16_e32 vcc_lo, 27, v42
	s_cbranch_vccnz .LBB56_165
; %bb.163:
	v_cmp_lt_i16_e32 vcc_lo, 27, v42
	s_cbranch_vccz .LBB56_166
; %bb.164:
	global_load_b32 v0, v[4:5], off
	s_mov_b32 s2, 0
	s_mov_b64 s[0:1], 0
	s_waitcnt vmcnt(0)
	v_cvt_f64_u32_e32 v[0:1], v0
	s_branch .LBB56_167
.LBB56_165:
	s_mov_b32 s2, -1
                                        ; implicit-def: $sgpr0_sgpr1
                                        ; implicit-def: $vgpr0_vgpr1
	s_branch .LBB56_170
.LBB56_166:
	s_mov_b32 s2, -1
                                        ; implicit-def: $sgpr0_sgpr1
                                        ; implicit-def: $vgpr0_vgpr1
.LBB56_167:
	s_delay_alu instid0(SALU_CYCLE_1)
	s_and_not1_b32 vcc_lo, exec_lo, s2
	s_cbranch_vccnz .LBB56_169
; %bb.168:
	global_load_u16 v0, v[4:5], off
	s_mov_b64 s[0:1], 0
	s_waitcnt vmcnt(0)
	v_cvt_f64_u32_e32 v[0:1], v0
.LBB56_169:
	s_mov_b32 s2, 0
.LBB56_170:
	v_dual_mov_b32 v3, s1 :: v_dual_mov_b32 v2, s0
	s_and_not1_b32 vcc_lo, exec_lo, s2
	s_cbranch_vccnz .LBB56_180
; %bb.171:
	global_load_u8 v6, v[4:5], off
	s_mov_b32 s4, 0
	s_mov_b32 s5, exec_lo
                                        ; implicit-def: $sgpr0_sgpr1
                                        ; implicit-def: $sgpr2_sgpr3
	s_waitcnt vmcnt(0)
	v_cmpx_lt_i16_e32 0x7f, v6
	s_xor_b32 s5, exec_lo, s5
	s_cbranch_execz .LBB56_175
; %bb.172:
	s_mov_b32 s4, -1
	s_mov_b32 s6, exec_lo
                                        ; implicit-def: $sgpr0_sgpr1
                                        ; implicit-def: $sgpr2_sgpr3
	v_cmpx_eq_u16_e32 0x80, v6
; %bb.173:
	s_mov_b64 s[0:1], 0
	s_mov_b32 s3, 0x7ff80000
	s_brev_b32 s2, 4
	s_xor_b32 s4, exec_lo, -1
; %bb.174:
	s_or_b32 exec_lo, exec_lo, s6
	s_delay_alu instid0(SALU_CYCLE_1)
	s_and_b32 s4, s4, exec_lo
.LBB56_175:
	s_or_saveexec_b32 s5, s5
	v_dual_mov_b32 v3, s1 :: v_dual_mov_b32 v2, s0
	v_dual_mov_b32 v0, s2 :: v_dual_mov_b32 v1, s3
	s_xor_b32 exec_lo, exec_lo, s5
; %bb.176:
	v_mov_b32_e32 v2, 0
	v_mov_b32_e32 v3, 0
	v_cmp_ne_u16_e32 vcc_lo, 0, v6
	s_delay_alu instid0(VALU_DEP_3) | instskip(SKIP_1) | instid1(VALU_DEP_3)
	v_mov_b32_e32 v0, v2
	s_and_not1_b32 s0, s4, exec_lo
	v_mov_b32_e32 v1, v3
	s_and_b32 s1, vcc_lo, exec_lo
	s_delay_alu instid0(SALU_CYCLE_1)
	s_or_b32 s4, s0, s1
; %bb.177:
	s_or_b32 exec_lo, exec_lo, s5
	s_and_saveexec_b32 s0, s4
	s_cbranch_execz .LBB56_179
; %bb.178:
	v_and_b32_e32 v0, 0xffff, v6
	v_lshlrev_b32_e32 v6, 24, v6
	s_delay_alu instid0(VALU_DEP_2) | instskip(NEXT) | instid1(VALU_DEP_1)
	v_and_b32_e32 v1, 7, v0
	v_clz_i32_u32_e32 v2, v1
	s_delay_alu instid0(VALU_DEP_1) | instskip(NEXT) | instid1(VALU_DEP_1)
	v_min_u32_e32 v2, 32, v2
	v_subrev_nc_u32_e32 v3, 28, v2
	v_sub_nc_u32_e32 v2, 29, v2
	s_delay_alu instid0(VALU_DEP_2) | instskip(SKIP_1) | instid1(VALU_DEP_2)
	v_lshlrev_b32_e32 v3, v3, v0
	v_bfe_u32 v0, v0, 3, 4
	v_and_b32_e32 v3, 7, v3
	s_delay_alu instid0(VALU_DEP_2) | instskip(NEXT) | instid1(VALU_DEP_2)
	v_cmp_eq_u32_e32 vcc_lo, 0, v0
	v_dual_cndmask_b32 v0, v0, v2 :: v_dual_cndmask_b32 v1, v1, v3
	v_and_b32_e32 v2, 0x80000000, v6
	s_delay_alu instid0(VALU_DEP_2) | instskip(NEXT) | instid1(VALU_DEP_3)
	v_lshl_add_u32 v0, v0, 23, 0x3b800000
	v_lshlrev_b32_e32 v1, 20, v1
	s_delay_alu instid0(VALU_DEP_1) | instskip(SKIP_2) | instid1(VALU_DEP_3)
	v_or3_b32 v0, v2, v0, v1
	v_mov_b32_e32 v2, 0
	v_mov_b32_e32 v3, 0
	v_cvt_f64_f32_e32 v[0:1], v0
.LBB56_179:
	s_or_b32 exec_lo, exec_lo, s0
.LBB56_180:
	s_mov_b32 s2, -1
.LBB56_181:
	s_branch .LBB56_215
.LBB56_182:
	v_cmp_lt_i16_e32 vcc_lo, 22, v42
	s_cbranch_vccz .LBB56_194
; %bb.183:
	v_cmp_gt_i16_e32 vcc_lo, 24, v42
	s_cbranch_vccnz .LBB56_195
; %bb.184:
	v_cmp_lt_i16_e32 vcc_lo, 24, v42
	s_cbranch_vccz .LBB56_196
; %bb.185:
	global_load_u8 v6, v[4:5], off
	s_mov_b32 s4, 0
	s_mov_b32 s5, exec_lo
                                        ; implicit-def: $sgpr0_sgpr1
                                        ; implicit-def: $sgpr2_sgpr3
	s_waitcnt vmcnt(0)
	v_cmpx_lt_i16_e32 0x7f, v6
	s_xor_b32 s5, exec_lo, s5
	s_cbranch_execz .LBB56_189
; %bb.186:
	s_mov_b32 s4, -1
	s_mov_b32 s6, exec_lo
                                        ; implicit-def: $sgpr0_sgpr1
                                        ; implicit-def: $sgpr2_sgpr3
	v_cmpx_eq_u16_e32 0x80, v6
; %bb.187:
	s_mov_b64 s[0:1], 0
	s_mov_b32 s3, 0x7ff80000
	s_brev_b32 s2, 4
	s_xor_b32 s4, exec_lo, -1
; %bb.188:
	s_or_b32 exec_lo, exec_lo, s6
	s_delay_alu instid0(SALU_CYCLE_1)
	s_and_b32 s4, s4, exec_lo
.LBB56_189:
	s_or_saveexec_b32 s5, s5
	v_dual_mov_b32 v3, s1 :: v_dual_mov_b32 v2, s0
	v_dual_mov_b32 v0, s2 :: v_dual_mov_b32 v1, s3
	s_xor_b32 exec_lo, exec_lo, s5
; %bb.190:
	v_mov_b32_e32 v2, 0
	v_mov_b32_e32 v3, 0
	v_cmp_ne_u16_e32 vcc_lo, 0, v6
	s_delay_alu instid0(VALU_DEP_3) | instskip(SKIP_1) | instid1(VALU_DEP_3)
	v_mov_b32_e32 v0, v2
	s_and_not1_b32 s0, s4, exec_lo
	v_mov_b32_e32 v1, v3
	s_and_b32 s1, vcc_lo, exec_lo
	s_delay_alu instid0(SALU_CYCLE_1)
	s_or_b32 s4, s0, s1
; %bb.191:
	s_or_b32 exec_lo, exec_lo, s5
	s_and_saveexec_b32 s0, s4
	s_cbranch_execz .LBB56_193
; %bb.192:
	v_and_b32_e32 v0, 0xffff, v6
	v_lshlrev_b32_e32 v6, 24, v6
	s_delay_alu instid0(VALU_DEP_2) | instskip(NEXT) | instid1(VALU_DEP_1)
	v_and_b32_e32 v1, 3, v0
	v_clz_i32_u32_e32 v2, v1
	s_delay_alu instid0(VALU_DEP_1) | instskip(NEXT) | instid1(VALU_DEP_1)
	v_min_u32_e32 v2, 32, v2
	v_subrev_nc_u32_e32 v3, 29, v2
	v_sub_nc_u32_e32 v2, 30, v2
	s_delay_alu instid0(VALU_DEP_2) | instskip(SKIP_1) | instid1(VALU_DEP_2)
	v_lshlrev_b32_e32 v3, v3, v0
	v_bfe_u32 v0, v0, 2, 5
	v_and_b32_e32 v3, 3, v3
	s_delay_alu instid0(VALU_DEP_2) | instskip(NEXT) | instid1(VALU_DEP_2)
	v_cmp_eq_u32_e32 vcc_lo, 0, v0
	v_dual_cndmask_b32 v0, v0, v2 :: v_dual_cndmask_b32 v1, v1, v3
	v_and_b32_e32 v2, 0x80000000, v6
	s_delay_alu instid0(VALU_DEP_2) | instskip(NEXT) | instid1(VALU_DEP_3)
	v_lshl_add_u32 v0, v0, 23, 0x37800000
	v_lshlrev_b32_e32 v1, 21, v1
	s_delay_alu instid0(VALU_DEP_1) | instskip(SKIP_2) | instid1(VALU_DEP_3)
	v_or3_b32 v0, v2, v0, v1
	v_mov_b32_e32 v2, 0
	v_mov_b32_e32 v3, 0
	v_cvt_f64_f32_e32 v[0:1], v0
.LBB56_193:
	s_or_b32 exec_lo, exec_lo, s0
	s_mov_b32 s0, 0
	s_branch .LBB56_197
.LBB56_194:
	s_mov_b32 s0, -1
                                        ; implicit-def: $vgpr2_vgpr3
	s_branch .LBB56_203
.LBB56_195:
	s_mov_b32 s0, -1
                                        ; implicit-def: $vgpr2_vgpr3
	s_branch .LBB56_200
.LBB56_196:
	s_mov_b32 s0, -1
                                        ; implicit-def: $vgpr2_vgpr3
.LBB56_197:
	s_delay_alu instid0(SALU_CYCLE_1)
	s_and_b32 vcc_lo, exec_lo, s0
	s_cbranch_vccz .LBB56_199
; %bb.198:
	global_load_u8 v0, v[4:5], off
	s_waitcnt vmcnt(0)
	v_lshlrev_b32_e32 v0, 24, v0
	s_delay_alu instid0(VALU_DEP_1) | instskip(NEXT) | instid1(VALU_DEP_1)
	v_and_b32_e32 v1, 0x7f000000, v0
	v_clz_i32_u32_e32 v2, v1
	v_add_nc_u32_e32 v6, 0x1000000, v1
	v_cmp_ne_u32_e32 vcc_lo, 0, v1
	s_delay_alu instid0(VALU_DEP_3) | instskip(NEXT) | instid1(VALU_DEP_1)
	v_min_u32_e32 v2, 32, v2
	v_sub_nc_u32_e64 v2, v2, 4 clamp
	s_delay_alu instid0(VALU_DEP_1) | instskip(SKIP_1) | instid1(VALU_DEP_2)
	v_lshlrev_b32_e32 v3, v2, v1
	v_lshlrev_b32_e32 v2, 23, v2
	v_lshrrev_b32_e32 v3, 4, v3
	s_delay_alu instid0(VALU_DEP_1) | instskip(SKIP_1) | instid1(VALU_DEP_2)
	v_sub_nc_u32_e32 v2, v3, v2
	v_ashrrev_i32_e32 v3, 8, v6
	v_add_nc_u32_e32 v2, 0x3c000000, v2
	s_delay_alu instid0(VALU_DEP_1) | instskip(NEXT) | instid1(VALU_DEP_1)
	v_and_or_b32 v2, 0x7f800000, v3, v2
	v_dual_cndmask_b32 v1, 0, v2 :: v_dual_mov_b32 v2, 0
	v_mov_b32_e32 v3, 0
	s_delay_alu instid0(VALU_DEP_2) | instskip(NEXT) | instid1(VALU_DEP_1)
	v_and_or_b32 v0, 0x80000000, v0, v1
	v_cvt_f64_f32_e32 v[0:1], v0
.LBB56_199:
	s_mov_b32 s0, 0
.LBB56_200:
	s_delay_alu instid0(SALU_CYCLE_1)
	s_and_not1_b32 vcc_lo, exec_lo, s0
	s_cbranch_vccnz .LBB56_202
; %bb.201:
	global_load_u8 v0, v[4:5], off
	s_waitcnt vmcnt(0)
	v_lshlrev_b32_e32 v1, 25, v0
	v_lshlrev_b16 v0, 8, v0
	s_delay_alu instid0(VALU_DEP_2) | instskip(NEXT) | instid1(VALU_DEP_2)
	v_lshrrev_b32_e32 v2, 4, v1
	v_and_or_b32 v3, 0x7f00, v0, 0.5
	v_bfe_i32 v0, v0, 0, 16
	s_delay_alu instid0(VALU_DEP_3) | instskip(NEXT) | instid1(VALU_DEP_1)
	v_or_b32_e32 v2, 0x70000000, v2
	v_dual_add_f32 v3, -0.5, v3 :: v_dual_mul_f32 v2, 0x7800000, v2
	v_cmp_gt_u32_e32 vcc_lo, 0x8000000, v1
	s_delay_alu instid0(VALU_DEP_2) | instskip(SKIP_1) | instid1(VALU_DEP_2)
	v_dual_cndmask_b32 v1, v2, v3 :: v_dual_mov_b32 v2, 0
	v_mov_b32_e32 v3, 0
	v_and_or_b32 v0, 0x80000000, v0, v1
	s_delay_alu instid0(VALU_DEP_1)
	v_cvt_f64_f32_e32 v[0:1], v0
.LBB56_202:
	s_mov_b32 s0, 0
	s_mov_b32 s2, -1
.LBB56_203:
	s_and_not1_b32 vcc_lo, exec_lo, s0
	s_cbranch_vccnz .LBB56_215
; %bb.204:
	v_cmp_lt_i16_e32 vcc_lo, 14, v42
	s_cbranch_vccz .LBB56_207
; %bb.205:
	v_cmp_eq_u16_e32 vcc_lo, 15, v42
	s_cbranch_vccz .LBB56_208
; %bb.206:
	global_load_u16 v0, v[4:5], off
	s_mov_b32 s2, -1
	s_mov_b32 s47, 0
	s_mov_b64 s[0:1], 0
	s_waitcnt vmcnt(0)
	v_lshlrev_b32_e32 v0, 16, v0
	s_delay_alu instid0(VALU_DEP_1)
	v_cvt_f64_f32_e32 v[0:1], v0
	s_branch .LBB56_209
.LBB56_207:
	s_mov_b32 s3, -1
                                        ; implicit-def: $sgpr0_sgpr1
                                        ; implicit-def: $vgpr0_vgpr1
	s_branch .LBB56_210
.LBB56_208:
	s_mov_b32 s47, -1
                                        ; implicit-def: $sgpr0_sgpr1
                                        ; implicit-def: $vgpr0_vgpr1
.LBB56_209:
	s_mov_b32 s3, 0
.LBB56_210:
	s_delay_alu instid0(SALU_CYCLE_1)
	s_and_b32 vcc_lo, exec_lo, s3
	s_cbranch_vccz .LBB56_214
; %bb.211:
	v_cmp_eq_u16_e32 vcc_lo, 11, v42
	s_cbranch_vccz .LBB56_213
; %bb.212:
	global_load_u8 v0, v[4:5], off
	s_mov_b32 s47, 0
	s_mov_b32 s2, -1
	s_mov_b64 s[0:1], 0
	s_waitcnt vmcnt(0)
	v_cmp_ne_u16_e32 vcc_lo, 0, v0
	v_mov_b32_e32 v0, 0
	v_cndmask_b32_e64 v1, 0, 0x3ff00000, vcc_lo
	s_branch .LBB56_214
.LBB56_213:
	s_mov_b32 s47, -1
                                        ; implicit-def: $sgpr0_sgpr1
                                        ; implicit-def: $vgpr0_vgpr1
.LBB56_214:
	v_dual_mov_b32 v3, s1 :: v_dual_mov_b32 v2, s0
.LBB56_215:
	s_branch .LBB56_23
.LBB56_216:
	v_cmp_gt_i16_e32 vcc_lo, 5, v42
	s_cbranch_vccnz .LBB56_221
; %bb.217:
	v_cmp_gt_i16_e32 vcc_lo, 8, v42
	s_cbranch_vccnz .LBB56_222
; %bb.218:
	;; [unrolled: 3-line block ×3, first 2 shown]
	v_cmp_lt_i16_e32 vcc_lo, 9, v42
	s_cbranch_vccz .LBB56_224
; %bb.220:
	global_load_b128 v[0:3], v[4:5], off
	s_mov_b32 s0, 0
	s_branch .LBB56_225
.LBB56_221:
                                        ; implicit-def: $vgpr2_vgpr3
	s_branch .LBB56_244
.LBB56_222:
	s_mov_b32 s0, -1
                                        ; implicit-def: $vgpr2_vgpr3
	s_branch .LBB56_231
.LBB56_223:
	s_mov_b32 s0, -1
                                        ; implicit-def: $vgpr2_vgpr3
	s_branch .LBB56_228
.LBB56_224:
	s_mov_b32 s0, -1
                                        ; implicit-def: $vgpr2_vgpr3
.LBB56_225:
	s_delay_alu instid0(SALU_CYCLE_1)
	s_and_not1_b32 vcc_lo, exec_lo, s0
	s_cbranch_vccnz .LBB56_227
; %bb.226:
	global_load_b64 v[1:2], v[4:5], off
	s_waitcnt vmcnt(0)
	v_cvt_f64_f32_e32 v[0:1], v1
	v_cvt_f64_f32_e32 v[2:3], v2
.LBB56_227:
	s_mov_b32 s0, 0
.LBB56_228:
	s_delay_alu instid0(SALU_CYCLE_1)
	s_and_not1_b32 vcc_lo, exec_lo, s0
	s_cbranch_vccnz .LBB56_230
; %bb.229:
	global_load_b32 v0, v[4:5], off
	s_waitcnt vmcnt(0)
	v_lshrrev_b32_e32 v1, 16, v0
	v_cvt_f32_f16_e32 v0, v0
	s_delay_alu instid0(VALU_DEP_2) | instskip(NEXT) | instid1(VALU_DEP_2)
	v_cvt_f32_f16_e32 v2, v1
	v_cvt_f64_f32_e32 v[0:1], v0
	s_delay_alu instid0(VALU_DEP_2)
	v_cvt_f64_f32_e32 v[2:3], v2
.LBB56_230:
	s_mov_b32 s0, 0
.LBB56_231:
	s_delay_alu instid0(SALU_CYCLE_1)
	s_and_not1_b32 vcc_lo, exec_lo, s0
	s_cbranch_vccnz .LBB56_243
; %bb.232:
	v_cmp_gt_i16_e32 vcc_lo, 6, v42
	s_cbranch_vccnz .LBB56_235
; %bb.233:
	v_cmp_lt_i16_e32 vcc_lo, 6, v42
	s_cbranch_vccz .LBB56_236
; %bb.234:
	global_load_b64 v[0:1], v[4:5], off
	s_mov_b32 s2, 0
	s_mov_b64 s[0:1], 0
	s_branch .LBB56_237
.LBB56_235:
	s_mov_b32 s2, -1
                                        ; implicit-def: $sgpr0_sgpr1
                                        ; implicit-def: $vgpr0_vgpr1
	s_branch .LBB56_240
.LBB56_236:
	s_mov_b32 s2, -1
                                        ; implicit-def: $sgpr0_sgpr1
                                        ; implicit-def: $vgpr0_vgpr1
.LBB56_237:
	s_delay_alu instid0(SALU_CYCLE_1)
	s_and_not1_b32 vcc_lo, exec_lo, s2
	s_cbranch_vccnz .LBB56_239
; %bb.238:
	global_load_b32 v0, v[4:5], off
	s_mov_b64 s[0:1], 0
	s_waitcnt vmcnt(0)
	v_cvt_f64_f32_e32 v[0:1], v0
.LBB56_239:
	s_mov_b32 s2, 0
.LBB56_240:
	s_delay_alu instid0(SALU_CYCLE_1)
	s_and_not1_b32 vcc_lo, exec_lo, s2
	s_cbranch_vccnz .LBB56_242
; %bb.241:
	global_load_u16 v0, v[4:5], off
	s_mov_b64 s[0:1], 0
	s_waitcnt vmcnt(0)
	v_cvt_f32_f16_e32 v0, v0
	s_delay_alu instid0(VALU_DEP_1)
	v_cvt_f64_f32_e32 v[0:1], v0
.LBB56_242:
	s_waitcnt vmcnt(0)
	v_dual_mov_b32 v3, s1 :: v_dual_mov_b32 v2, s0
.LBB56_243:
	s_cbranch_execnz .LBB56_264
.LBB56_244:
	v_cmp_gt_i16_e32 vcc_lo, 2, v42
	s_cbranch_vccnz .LBB56_248
; %bb.245:
	v_cmp_gt_i16_e32 vcc_lo, 3, v42
	s_cbranch_vccnz .LBB56_249
; %bb.246:
	v_cmp_lt_i16_e32 vcc_lo, 3, v42
	s_cbranch_vccz .LBB56_250
; %bb.247:
	global_load_b64 v[0:1], v[4:5], off
	s_mov_b32 s2, 0
	s_mov_b64 s[0:1], 0
	s_waitcnt vmcnt(0)
	v_cvt_f64_i32_e32 v[1:2], v1
	v_cvt_f64_u32_e32 v[6:7], v0
	s_delay_alu instid0(VALU_DEP_2) | instskip(NEXT) | instid1(VALU_DEP_1)
	v_ldexp_f64 v[1:2], v[1:2], 32
	v_add_f64 v[0:1], v[1:2], v[6:7]
	s_branch .LBB56_251
.LBB56_248:
	s_mov_b32 s2, -1
                                        ; implicit-def: $sgpr0_sgpr1
                                        ; implicit-def: $vgpr0_vgpr1
	s_branch .LBB56_257
.LBB56_249:
	s_mov_b32 s2, -1
                                        ; implicit-def: $sgpr0_sgpr1
                                        ; implicit-def: $vgpr0_vgpr1
	s_branch .LBB56_254
.LBB56_250:
	s_mov_b32 s2, -1
                                        ; implicit-def: $sgpr0_sgpr1
                                        ; implicit-def: $vgpr0_vgpr1
.LBB56_251:
	s_delay_alu instid0(SALU_CYCLE_1)
	s_and_not1_b32 vcc_lo, exec_lo, s2
	s_cbranch_vccnz .LBB56_253
; %bb.252:
	global_load_b32 v0, v[4:5], off
	s_mov_b64 s[0:1], 0
	s_waitcnt vmcnt(0)
	v_cvt_f64_i32_e32 v[0:1], v0
.LBB56_253:
	s_mov_b32 s2, 0
.LBB56_254:
	s_delay_alu instid0(SALU_CYCLE_1)
	s_and_not1_b32 vcc_lo, exec_lo, s2
	s_cbranch_vccnz .LBB56_256
; %bb.255:
	global_load_i16 v0, v[4:5], off
	s_mov_b64 s[0:1], 0
	s_waitcnt vmcnt(0)
	v_cvt_f64_i32_e32 v[0:1], v0
.LBB56_256:
	s_mov_b32 s2, 0
.LBB56_257:
	s_delay_alu instid0(SALU_CYCLE_1)
	s_and_not1_b32 vcc_lo, exec_lo, s2
	s_cbranch_vccnz .LBB56_263
; %bb.258:
	v_cmp_lt_i16_e32 vcc_lo, 0, v42
	s_mov_b32 s2, 0
	s_cbranch_vccz .LBB56_260
; %bb.259:
	global_load_i8 v0, v[4:5], off
	s_mov_b64 s[0:1], 0
	s_waitcnt vmcnt(0)
	v_cvt_f64_i32_e32 v[0:1], v0
	s_branch .LBB56_261
.LBB56_260:
	s_mov_b32 s2, -1
                                        ; implicit-def: $sgpr0_sgpr1
                                        ; implicit-def: $vgpr0_vgpr1
.LBB56_261:
	s_delay_alu instid0(SALU_CYCLE_1)
	s_and_not1_b32 vcc_lo, exec_lo, s2
	s_cbranch_vccnz .LBB56_263
; %bb.262:
	global_load_u8 v0, v[4:5], off
	s_mov_b64 s[0:1], 0
	s_waitcnt vmcnt(0)
	v_cvt_f64_u32_e32 v[0:1], v0
.LBB56_263:
	s_waitcnt vmcnt(0)
	v_dual_mov_b32 v3, s1 :: v_dual_mov_b32 v2, s0
.LBB56_264:
	s_branch .LBB56_24
.LBB56_265:
	s_mov_b32 s0, 0
.LBB56_266:
	s_mov_b32 s1, 0
                                        ; implicit-def: $vgpr43
.LBB56_267:
	s_and_b32 s46, s0, exec_lo
	s_and_b32 s47, s47, exec_lo
	s_or_not1_b32 s1, s1, exec_lo
.LBB56_268:
	s_or_b32 exec_lo, exec_lo, s48
	s_mov_b32 s0, 0
	s_mov_b32 s2, 0
                                        ; implicit-def: $vgpr0_vgpr1
                                        ; implicit-def: $vgpr40
                                        ; implicit-def: $vgpr6_vgpr7
	s_and_saveexec_b32 s48, s1
	s_cbranch_execz .LBB56_924
; %bb.269:
	s_mov_b32 s3, -1
	s_mov_b32 s49, s47
	s_mov_b32 s50, s46
	s_mov_b32 s51, exec_lo
	v_cmpx_gt_i32_e64 s43, v43
	s_cbranch_execz .LBB56_543
; %bb.270:
	s_and_not1_b32 vcc_lo, exec_lo, s40
	s_cbranch_vccnz .LBB56_275
; %bb.271:
	v_mov_b32_e32 v40, 0
	s_waitcnt vmcnt(0)
	v_mov_b32_e32 v0, 0
	s_and_not1_b32 vcc_lo, exec_lo, s45
	s_mov_b32 s4, 0
	s_cbranch_vccnz .LBB56_280
; %bb.272:
	v_mov_b32_e32 v40, 0
	s_add_i32 s6, s44, 1
	s_cmp_eq_u32 s34, 2
	s_mov_b32 s5, 0
	s_cbranch_scc1 .LBB56_276
; %bb.273:
	v_dual_mov_b32 v0, 0 :: v_dual_mov_b32 v1, v43
	v_mov_b32_e32 v40, 0
	s_and_b32 s5, s6, 28
	s_mov_b32 s7, 0
	s_mov_b64 s[0:1], s[28:29]
	s_mov_b64 s[2:3], s[14:15]
.LBB56_274:                             ; =>This Inner Loop Header: Depth=1
	s_clause 0x1
	s_load_b256 s[52:59], s[2:3], 0x4
	s_load_b128 s[8:11], s[2:3], 0x24
	s_load_b256 s[60:67], s[0:1], 0x0
	s_add_u32 s2, s2, 48
	s_addc_u32 s3, s3, 0
	s_add_i32 s7, s7, 4
	s_add_u32 s0, s0, 32
	s_addc_u32 s1, s1, 0
	s_cmp_eq_u32 s5, s7
	s_waitcnt lgkmcnt(0)
	v_mul_hi_u32 v2, s53, v1
	s_delay_alu instid0(VALU_DEP_1) | instskip(NEXT) | instid1(VALU_DEP_1)
	v_add_nc_u32_e32 v2, v1, v2
	v_lshrrev_b32_e32 v2, s54, v2
	s_delay_alu instid0(VALU_DEP_1) | instskip(SKIP_1) | instid1(VALU_DEP_2)
	v_mul_hi_u32 v3, s56, v2
	v_mul_lo_u32 v5, v2, s52
	v_add_nc_u32_e32 v3, v2, v3
	s_delay_alu instid0(VALU_DEP_2) | instskip(NEXT) | instid1(VALU_DEP_2)
	v_sub_nc_u32_e32 v1, v1, v5
	v_lshrrev_b32_e32 v3, s57, v3
	s_delay_alu instid0(VALU_DEP_2) | instskip(SKIP_1) | instid1(VALU_DEP_3)
	v_mul_lo_u32 v5, v1, s60
	v_mul_lo_u32 v7, v1, s61
	v_mul_hi_u32 v4, s59, v3
	s_delay_alu instid0(VALU_DEP_1) | instskip(NEXT) | instid1(VALU_DEP_1)
	v_add_nc_u32_e32 v4, v3, v4
	v_lshrrev_b32_e32 v4, s8, v4
	s_delay_alu instid0(VALU_DEP_1) | instskip(SKIP_1) | instid1(VALU_DEP_2)
	v_mul_hi_u32 v6, s10, v4
	v_mul_lo_u32 v8, v4, s58
	v_add_nc_u32_e32 v1, v4, v6
	v_mul_lo_u32 v6, v3, s55
	s_delay_alu instid0(VALU_DEP_3) | instskip(NEXT) | instid1(VALU_DEP_3)
	v_sub_nc_u32_e32 v3, v3, v8
	v_lshrrev_b32_e32 v1, s11, v1
	s_delay_alu instid0(VALU_DEP_2) | instskip(SKIP_2) | instid1(VALU_DEP_4)
	v_mul_lo_u32 v8, v3, s64
	v_mul_lo_u32 v3, v3, s65
	v_sub_nc_u32_e32 v2, v2, v6
	v_mul_lo_u32 v9, v1, s9
	s_delay_alu instid0(VALU_DEP_2) | instskip(SKIP_1) | instid1(VALU_DEP_3)
	v_mul_lo_u32 v6, v2, s62
	v_mul_lo_u32 v2, v2, s63
	v_sub_nc_u32_e32 v4, v4, v9
	s_delay_alu instid0(VALU_DEP_3) | instskip(NEXT) | instid1(VALU_DEP_2)
	v_add3_u32 v5, v5, v40, v6
	v_mul_lo_u32 v9, v4, s66
	v_mul_lo_u32 v4, v4, s67
	v_add3_u32 v0, v7, v0, v2
	s_delay_alu instid0(VALU_DEP_3) | instskip(NEXT) | instid1(VALU_DEP_2)
	v_add3_u32 v40, v8, v5, v9
	v_add3_u32 v0, v3, v0, v4
	s_cbranch_scc0 .LBB56_274
	s_branch .LBB56_277
.LBB56_275:
	s_mov_b32 s4, -1
                                        ; implicit-def: $vgpr40
                                        ; implicit-def: $vgpr0
	s_branch .LBB56_280
.LBB56_276:
	v_dual_mov_b32 v1, v43 :: v_dual_mov_b32 v0, 0
.LBB56_277:
	s_and_b32 s6, s6, 3
	s_delay_alu instid0(SALU_CYCLE_1)
	s_cmp_eq_u32 s6, 0
	s_cbranch_scc1 .LBB56_280
; %bb.278:
	s_lshl_b32 s0, s5, 3
	s_mul_i32 s2, s5, 12
	s_add_u32 s0, s0, s14
	s_addc_u32 s1, s15, 0
	s_add_u32 s0, s0, 0xc4
	s_addc_u32 s1, s1, 0
	;; [unrolled: 2-line block ×3, first 2 shown]
	.p2align	6
.LBB56_279:                             ; =>This Inner Loop Header: Depth=1
	s_clause 0x1
	s_load_b64 s[8:9], s[2:3], 0x4
	s_load_b32 s5, s[2:3], 0xc
	s_load_b64 s[10:11], s[0:1], 0x0
	s_add_u32 s2, s2, 12
	s_addc_u32 s3, s3, 0
	s_add_u32 s0, s0, 8
	s_addc_u32 s1, s1, 0
	s_add_i32 s6, s6, -1
	s_delay_alu instid0(SALU_CYCLE_1) | instskip(SKIP_2) | instid1(VALU_DEP_1)
	s_cmp_lg_u32 s6, 0
	s_waitcnt lgkmcnt(0)
	v_mul_hi_u32 v2, s9, v1
	v_add_nc_u32_e32 v2, v1, v2
	s_delay_alu instid0(VALU_DEP_1) | instskip(NEXT) | instid1(VALU_DEP_1)
	v_lshrrev_b32_e32 v5, s5, v2
	v_mul_lo_u32 v2, v5, s8
	s_delay_alu instid0(VALU_DEP_1) | instskip(NEXT) | instid1(VALU_DEP_1)
	v_sub_nc_u32_e32 v1, v1, v2
	v_mad_u64_u32 v[2:3], null, v1, s10, v[40:41]
	v_mad_u64_u32 v[3:4], null, v1, s11, v[0:1]
	s_delay_alu instid0(VALU_DEP_2) | instskip(NEXT) | instid1(VALU_DEP_2)
	v_dual_mov_b32 v1, v5 :: v_dual_mov_b32 v40, v2
	v_mov_b32_e32 v0, v3
	s_cbranch_scc1 .LBB56_279
.LBB56_280:
	s_and_not1_b32 vcc_lo, exec_lo, s4
	s_cbranch_vccnz .LBB56_283
; %bb.281:
	s_waitcnt vmcnt(0) lgkmcnt(0)
	v_mul_hi_u32 v0, s37, v43
	s_and_not1_b32 vcc_lo, exec_lo, s42
	s_delay_alu instid0(VALU_DEP_1) | instskip(NEXT) | instid1(VALU_DEP_1)
	v_add_nc_u32_e32 v0, v43, v0
	v_lshrrev_b32_e32 v1, s38, v0
	s_delay_alu instid0(VALU_DEP_1) | instskip(NEXT) | instid1(VALU_DEP_1)
	v_mul_lo_u32 v0, v1, s36
	v_sub_nc_u32_e32 v0, v43, v0
	s_delay_alu instid0(VALU_DEP_1)
	v_mul_lo_u32 v40, v0, s24
	v_mul_lo_u32 v0, v0, s25
	s_cbranch_vccnz .LBB56_283
; %bb.282:
	v_mul_hi_u32 v2, s18, v1
	s_delay_alu instid0(VALU_DEP_1) | instskip(NEXT) | instid1(VALU_DEP_1)
	v_add_nc_u32_e32 v2, v1, v2
	v_lshrrev_b32_e32 v2, s19, v2
	s_delay_alu instid0(VALU_DEP_1) | instskip(NEXT) | instid1(VALU_DEP_1)
	v_mul_lo_u32 v2, v2, s39
	v_sub_nc_u32_e32 v4, v1, v2
	s_delay_alu instid0(VALU_DEP_1) | instskip(NEXT) | instid1(VALU_DEP_1)
	v_mad_u64_u32 v[1:2], null, v4, s26, v[40:41]
	v_mad_u64_u32 v[2:3], null, v4, s27, v[0:1]
	v_mov_b32_e32 v40, v1
	s_delay_alu instid0(VALU_DEP_2)
	v_mov_b32_e32 v0, v2
.LBB56_283:
	v_cmp_gt_i16_e32 vcc_lo, 11, v42
	s_waitcnt vmcnt(0) lgkmcnt(0)
	s_delay_alu instid0(VALU_DEP_2) | instskip(NEXT) | instid1(VALU_DEP_1)
	v_add_co_u32 v4, s0, s22, v0
	v_add_co_ci_u32_e64 v5, null, s23, 0, s0
	s_mov_b32 s2, 0
	s_cbranch_vccnz .LBB56_290
; %bb.284:
	v_cmp_lt_i16_e32 vcc_lo, 25, v42
	s_cbranch_vccz .LBB56_339
; %bb.285:
	v_cmp_lt_i16_e32 vcc_lo, 28, v42
	s_cbranch_vccz .LBB56_340
; %bb.286:
	v_cmp_lt_i16_e32 vcc_lo, 43, v42
	s_cbranch_vccz .LBB56_342
; %bb.287:
	v_cmp_lt_i16_e32 vcc_lo, 45, v42
	s_cbranch_vccz .LBB56_344
; %bb.288:
	v_cmp_eq_u16_e32 vcc_lo, 46, v42
	s_mov_b32 s0, 0
	s_cbranch_vccz .LBB56_348
; %bb.289:
	global_load_b32 v0, v[4:5], off
	s_mov_b32 s2, -1
	s_mov_b32 s49, 0
	s_waitcnt vmcnt(0)
	v_lshlrev_b32_e32 v1, 16, v0
	v_and_b32_e32 v2, 0xffff0000, v0
	s_delay_alu instid0(VALU_DEP_2) | instskip(NEXT) | instid1(VALU_DEP_2)
	v_cvt_f64_f32_e32 v[0:1], v1
	v_cvt_f64_f32_e32 v[2:3], v2
	s_branch .LBB56_350
.LBB56_290:
	s_mov_b32 s49, s47
                                        ; implicit-def: $vgpr2_vgpr3
	s_cbranch_execnz .LBB56_490
.LBB56_291:
	s_and_not1_b32 vcc_lo, exec_lo, s2
	s_cbranch_vccnz .LBB56_540
.LBB56_292:
	s_getpc_b64 s[0:1]
	s_add_u32 s0, s0, _ZZZZN2at6native15exp_kernel_cudaERNS_18TensorIteratorBaseEENKUlvE_clEvENKUlvE_clEvENKUlN3c107complexIdEEE_clES7_@rel32@lo+4
	s_addc_u32 s1, s1, _ZZZZN2at6native15exp_kernel_cudaERNS_18TensorIteratorBaseEENKUlvE_clEvENKUlvE_clEvENKUlN3c107complexIdEEE_clES7_@rel32@hi+12
	s_delay_alu instid0(SALU_CYCLE_1) | instskip(SKIP_2) | instid1(VALU_DEP_1)
	s_swappc_b64 s[30:31], s[0:1]
	v_and_b32_e32 v6, 0xff, v41
	v_add_co_u32 v4, s0, s20, v40
	v_add_co_ci_u32_e64 v5, null, s21, 0, s0
	s_delay_alu instid0(VALU_DEP_3)
	v_cmp_gt_i16_e32 vcc_lo, 11, v6
	s_mov_b32 s1, 0
	s_mov_b32 s2, -1
	s_mov_b32 s0, s46
	s_cbranch_vccnz .LBB56_299
; %bb.293:
	v_cmp_lt_i16_e32 vcc_lo, 25, v6
	s_cbranch_vccz .LBB56_341
; %bb.294:
	v_cmp_lt_i16_e32 vcc_lo, 28, v6
	s_cbranch_vccz .LBB56_343
	;; [unrolled: 3-line block ×4, first 2 shown]
; %bb.297:
	v_cmp_eq_u16_e32 vcc_lo, 46, v6
	s_mov_b32 s2, 0
	s_mov_b32 s0, -1
	s_cbranch_vccz .LBB56_354
; %bb.298:
	v_cvt_f32_f64_e32 v7, v[2:3]
	v_cvt_f32_f64_e32 v8, v[0:1]
	s_mov_b32 s1, -1
	s_mov_b32 s0, 0
	s_delay_alu instid0(VALU_DEP_2) | instskip(NEXT) | instid1(VALU_DEP_2)
	v_bfe_u32 v9, v7, 16, 1
	v_bfe_u32 v10, v8, 16, 1
	v_cmp_o_f32_e32 vcc_lo, v7, v7
	s_delay_alu instid0(VALU_DEP_3) | instskip(NEXT) | instid1(VALU_DEP_3)
	v_add3_u32 v9, v7, v9, 0x7fff
	v_add3_u32 v10, v8, v10, 0x7fff
	s_delay_alu instid0(VALU_DEP_2) | instskip(NEXT) | instid1(VALU_DEP_2)
	v_and_b32_e32 v9, 0xffff0000, v9
	v_lshrrev_b32_e32 v10, 16, v10
	s_delay_alu instid0(VALU_DEP_2) | instskip(SKIP_1) | instid1(VALU_DEP_3)
	v_cndmask_b32_e32 v7, 0x7fc00000, v9, vcc_lo
	v_cmp_o_f32_e32 vcc_lo, v8, v8
	v_cndmask_b32_e32 v8, 0x7fc0, v10, vcc_lo
	s_delay_alu instid0(VALU_DEP_1)
	v_or_b32_e32 v7, v7, v8
	global_store_b32 v[4:5], v7, off
	s_branch .LBB56_354
.LBB56_299:
	s_and_b32 vcc_lo, exec_lo, s2
	s_cbranch_vccz .LBB56_423
; %bb.300:
	v_cmp_gt_i16_e32 vcc_lo, 5, v6
	s_mov_b32 s1, -1
	s_cbranch_vccnz .LBB56_321
; %bb.301:
	v_cmp_gt_i16_e32 vcc_lo, 8, v6
	s_cbranch_vccnz .LBB56_311
; %bb.302:
	v_cmp_gt_i16_e32 vcc_lo, 9, v6
	s_cbranch_vccnz .LBB56_308
; %bb.303:
	v_cmp_lt_i16_e32 vcc_lo, 9, v6
	s_cbranch_vccz .LBB56_305
; %bb.304:
	s_mov_b32 s1, 0
	global_store_b128 v[4:5], v[0:3], off
.LBB56_305:
	s_and_not1_b32 vcc_lo, exec_lo, s1
	s_cbranch_vccnz .LBB56_307
; %bb.306:
	v_cvt_f32_f64_e32 v7, v[0:1]
	v_cvt_f32_f64_e32 v8, v[2:3]
	global_store_b64 v[4:5], v[7:8], off
.LBB56_307:
	s_mov_b32 s1, 0
.LBB56_308:
	s_delay_alu instid0(SALU_CYCLE_1)
	s_and_not1_b32 vcc_lo, exec_lo, s1
	s_cbranch_vccnz .LBB56_310
; %bb.309:
	v_cvt_f32_f64_e32 v2, v[2:3]
	v_cvt_f32_f64_e32 v3, v[0:1]
	s_delay_alu instid0(VALU_DEP_2) | instskip(NEXT) | instid1(VALU_DEP_2)
	v_cvt_f16_f32_e32 v2, v2
	v_cvt_f16_f32_e32 v3, v3
	s_delay_alu instid0(VALU_DEP_2) | instskip(NEXT) | instid1(VALU_DEP_2)
	v_lshlrev_b32_e32 v2, 16, v2
	v_and_b32_e32 v3, 0xffff, v3
	s_delay_alu instid0(VALU_DEP_1)
	v_or_b32_e32 v2, v2, v3
	global_store_b32 v[4:5], v2, off
.LBB56_310:
	s_mov_b32 s1, 0
.LBB56_311:
	s_delay_alu instid0(SALU_CYCLE_1)
	s_and_not1_b32 vcc_lo, exec_lo, s1
	s_cbranch_vccnz .LBB56_320
; %bb.312:
	v_cmp_gt_i16_e32 vcc_lo, 6, v6
	s_mov_b32 s1, -1
	s_cbranch_vccnz .LBB56_318
; %bb.313:
	v_cmp_lt_i16_e32 vcc_lo, 6, v6
	s_cbranch_vccz .LBB56_315
; %bb.314:
	s_mov_b32 s1, 0
	global_store_b64 v[4:5], v[0:1], off
.LBB56_315:
	s_and_not1_b32 vcc_lo, exec_lo, s1
	s_cbranch_vccnz .LBB56_317
; %bb.316:
	v_cvt_f32_f64_e32 v2, v[0:1]
	global_store_b32 v[4:5], v2, off
.LBB56_317:
	s_mov_b32 s1, 0
.LBB56_318:
	s_delay_alu instid0(SALU_CYCLE_1)
	s_and_not1_b32 vcc_lo, exec_lo, s1
	s_cbranch_vccnz .LBB56_320
; %bb.319:
	v_cvt_f32_f64_e32 v2, v[0:1]
	s_delay_alu instid0(VALU_DEP_1)
	v_cvt_f16_f32_e32 v2, v2
	global_store_b16 v[4:5], v2, off
.LBB56_320:
	s_mov_b32 s1, 0
.LBB56_321:
	s_delay_alu instid0(SALU_CYCLE_1)
	s_and_not1_b32 vcc_lo, exec_lo, s1
	s_cbranch_vccnz .LBB56_337
; %bb.322:
	v_cmp_gt_i16_e32 vcc_lo, 2, v6
	s_mov_b32 s1, -1
	s_cbranch_vccnz .LBB56_332
; %bb.323:
	v_cmp_gt_i16_e32 vcc_lo, 3, v6
	s_cbranch_vccnz .LBB56_329
; %bb.324:
	v_cmp_lt_i16_e32 vcc_lo, 3, v6
	s_cbranch_vccz .LBB56_326
; %bb.325:
	v_trunc_f64_e32 v[2:3], v[0:1]
	s_mov_b32 s1, 0
	s_delay_alu instid0(VALU_DEP_1) | instskip(NEXT) | instid1(VALU_DEP_1)
	v_ldexp_f64 v[7:8], v[2:3], 0xffffffe0
	v_floor_f64_e32 v[7:8], v[7:8]
	s_delay_alu instid0(VALU_DEP_1) | instskip(SKIP_1) | instid1(VALU_DEP_2)
	v_fma_f64 v[2:3], 0xc1f00000, v[7:8], v[2:3]
	v_cvt_i32_f64_e32 v8, v[7:8]
	v_cvt_u32_f64_e32 v7, v[2:3]
	global_store_b64 v[4:5], v[7:8], off
.LBB56_326:
	s_and_not1_b32 vcc_lo, exec_lo, s1
	s_cbranch_vccnz .LBB56_328
; %bb.327:
	v_cvt_i32_f64_e32 v2, v[0:1]
	global_store_b32 v[4:5], v2, off
.LBB56_328:
	s_mov_b32 s1, 0
.LBB56_329:
	s_delay_alu instid0(SALU_CYCLE_1)
	s_and_not1_b32 vcc_lo, exec_lo, s1
	s_cbranch_vccnz .LBB56_331
; %bb.330:
	v_cvt_i32_f64_e32 v2, v[0:1]
	global_store_b16 v[4:5], v2, off
.LBB56_331:
	s_mov_b32 s1, 0
.LBB56_332:
	s_delay_alu instid0(SALU_CYCLE_1)
	s_and_not1_b32 vcc_lo, exec_lo, s1
	s_cbranch_vccnz .LBB56_337
; %bb.333:
	v_cmp_lt_i16_e32 vcc_lo, 0, v6
	s_mov_b32 s1, -1
	s_cbranch_vccz .LBB56_335
; %bb.334:
	v_cvt_i32_f64_e32 v2, v[0:1]
	s_mov_b32 s1, 0
	global_store_b8 v[4:5], v2, off
.LBB56_335:
	s_and_not1_b32 vcc_lo, exec_lo, s1
	s_cbranch_vccnz .LBB56_337
; %bb.336:
	v_trunc_f64_e32 v[0:1], v[0:1]
	s_delay_alu instid0(VALU_DEP_1) | instskip(NEXT) | instid1(VALU_DEP_1)
	v_ldexp_f64 v[2:3], v[0:1], 0xffffffe0
	v_floor_f64_e32 v[2:3], v[2:3]
	s_delay_alu instid0(VALU_DEP_1) | instskip(NEXT) | instid1(VALU_DEP_1)
	v_fma_f64 v[0:1], 0xc1f00000, v[2:3], v[0:1]
	v_cvt_u32_f64_e32 v0, v[0:1]
	global_store_b8 v[4:5], v0, off
.LBB56_337:
	s_branch .LBB56_424
.LBB56_338:
	s_mov_b32 s1, 0
	s_branch .LBB56_541
.LBB56_339:
	s_mov_b32 s0, -1
	s_mov_b32 s49, s47
                                        ; implicit-def: $vgpr2_vgpr3
	s_branch .LBB56_455
.LBB56_340:
	s_mov_b32 s0, -1
	s_mov_b32 s49, s47
                                        ; implicit-def: $vgpr2_vgpr3
	s_branch .LBB56_434
.LBB56_341:
	s_mov_b32 s0, s46
	s_branch .LBB56_381
.LBB56_342:
	s_mov_b32 s0, -1
	s_mov_b32 s49, s47
                                        ; implicit-def: $vgpr2_vgpr3
	s_branch .LBB56_428
.LBB56_343:
	s_mov_b32 s0, s46
	s_branch .LBB56_364
.LBB56_344:
	s_mov_b32 s0, -1
	s_mov_b32 s49, s47
	s_branch .LBB56_349
.LBB56_345:
	s_mov_b32 s0, s46
	s_branch .LBB56_360
.LBB56_346:
	s_or_saveexec_b32 s3, s3
                                        ; implicit-def: $sgpr4
	s_delay_alu instid0(SALU_CYCLE_1)
	s_xor_b32 exec_lo, exec_lo, s3
	s_cbranch_execz .LBB56_65
.LBB56_347:
	v_add_f32_e64 v8, 0x42800000, |v7|
	s_and_not1_b32 s2, s2, exec_lo
	s_mov_b32 s4, 0
	s_delay_alu instid0(VALU_DEP_1) | instskip(NEXT) | instid1(VALU_DEP_1)
	v_and_b32_e32 v8, 0xff, v8
	v_cmp_ne_u32_e32 vcc_lo, 0, v8
	s_and_b32 s5, vcc_lo, exec_lo
	s_delay_alu instid0(SALU_CYCLE_1)
	s_or_b32 s2, s2, s5
	s_or_b32 exec_lo, exec_lo, s3
	v_mov_b32_e32 v9, s4
	s_and_saveexec_b32 s3, s2
	s_cbranch_execnz .LBB56_66
	s_branch .LBB56_67
.LBB56_348:
	s_mov_b32 s49, -1
.LBB56_349:
                                        ; implicit-def: $vgpr2_vgpr3
.LBB56_350:
	s_and_b32 vcc_lo, exec_lo, s0
	s_cbranch_vccz .LBB56_427
; %bb.351:
	v_cmp_eq_u16_e32 vcc_lo, 44, v42
	s_cbranch_vccz .LBB56_425
; %bb.352:
	global_load_u8 v2, v[4:5], off
	s_mov_b32 s49, 0
	s_mov_b32 s2, -1
	s_mov_b64 s[0:1], 0
	s_waitcnt vmcnt(0)
	v_cmp_ne_u32_e32 vcc_lo, 0xff, v2
	v_lshlrev_b32_e32 v0, 23, v2
	s_delay_alu instid0(VALU_DEP_1) | instskip(NEXT) | instid1(VALU_DEP_1)
	v_cvt_f64_f32_e32 v[0:1], v0
	v_cndmask_b32_e32 v1, 0x7ff80000, v1, vcc_lo
	s_delay_alu instid0(VALU_DEP_2) | instskip(SKIP_1) | instid1(VALU_DEP_3)
	v_cndmask_b32_e32 v0, 0x20000000, v0, vcc_lo
	v_cmp_ne_u32_e32 vcc_lo, 0, v2
	v_cndmask_b32_e32 v1, 0x38000000, v1, vcc_lo
	s_delay_alu instid0(VALU_DEP_3)
	v_cndmask_b32_e32 v0, 0, v0, vcc_lo
	s_branch .LBB56_426
.LBB56_353:
	s_mov_b32 s0, s46
.LBB56_354:
	s_and_b32 vcc_lo, exec_lo, s2
	s_cbranch_vccz .LBB56_359
; %bb.355:
	v_cmp_eq_u16_e32 vcc_lo, 44, v6
	s_mov_b32 s0, -1
	s_cbranch_vccz .LBB56_359
; %bb.356:
	v_cvt_f32_f64_e32 v7, v[0:1]
	v_mov_b32_e32 v8, 0xff
	s_mov_b32 s1, exec_lo
	s_delay_alu instid0(VALU_DEP_2) | instskip(NEXT) | instid1(VALU_DEP_1)
	v_bfe_u32 v9, v7, 23, 8
	v_cmpx_ne_u32_e32 0xff, v9
; %bb.357:
	v_and_b32_e32 v8, 0x400000, v7
	v_and_or_b32 v9, 0x3fffff, v7, v9
	v_lshrrev_b32_e32 v7, 23, v7
	s_delay_alu instid0(VALU_DEP_3) | instskip(NEXT) | instid1(VALU_DEP_3)
	v_cmp_ne_u32_e32 vcc_lo, 0, v8
	v_cmp_ne_u32_e64 s0, 0, v9
	s_delay_alu instid0(VALU_DEP_1) | instskip(NEXT) | instid1(SALU_CYCLE_1)
	s_and_b32 s0, vcc_lo, s0
	v_cndmask_b32_e64 v8, 0, 1, s0
	s_delay_alu instid0(VALU_DEP_1)
	v_add_nc_u32_e32 v8, v7, v8
; %bb.358:
	s_or_b32 exec_lo, exec_lo, s1
	s_mov_b32 s1, -1
	s_mov_b32 s0, 0
	global_store_b8 v[4:5], v8, off
.LBB56_359:
	s_mov_b32 s2, 0
.LBB56_360:
	s_delay_alu instid0(SALU_CYCLE_1)
	s_and_b32 vcc_lo, exec_lo, s2
	s_cbranch_vccz .LBB56_363
; %bb.361:
	v_cmp_eq_u16_e32 vcc_lo, 29, v6
	s_mov_b32 s0, -1
	s_cbranch_vccz .LBB56_363
; %bb.362:
	v_trunc_f64_e32 v[7:8], v[0:1]
	s_mov_b32 s1, -1
	s_mov_b32 s0, 0
	s_mov_b32 s2, 0
	s_delay_alu instid0(VALU_DEP_1) | instskip(NEXT) | instid1(VALU_DEP_1)
	v_ldexp_f64 v[9:10], v[7:8], 0xffffffe0
	v_floor_f64_e32 v[9:10], v[9:10]
	s_delay_alu instid0(VALU_DEP_1) | instskip(SKIP_1) | instid1(VALU_DEP_2)
	v_fma_f64 v[7:8], 0xc1f00000, v[9:10], v[7:8]
	v_cvt_u32_f64_e32 v9, v[9:10]
	v_cvt_u32_f64_e32 v8, v[7:8]
	global_store_b64 v[4:5], v[8:9], off
	s_branch .LBB56_364
.LBB56_363:
	s_mov_b32 s2, 0
.LBB56_364:
	s_delay_alu instid0(SALU_CYCLE_1)
	s_and_b32 vcc_lo, exec_lo, s2
	s_cbranch_vccz .LBB56_380
; %bb.365:
	v_cmp_gt_i16_e32 vcc_lo, 27, v6
	s_mov_b32 s1, -1
	s_cbranch_vccnz .LBB56_371
; %bb.366:
	v_cmp_lt_i16_e32 vcc_lo, 27, v6
	s_cbranch_vccz .LBB56_368
; %bb.367:
	v_cvt_u32_f64_e32 v7, v[0:1]
	s_mov_b32 s1, 0
	global_store_b32 v[4:5], v7, off
.LBB56_368:
	s_and_not1_b32 vcc_lo, exec_lo, s1
	s_cbranch_vccnz .LBB56_370
; %bb.369:
	v_cvt_u32_f64_e32 v7, v[0:1]
	global_store_b16 v[4:5], v7, off
.LBB56_370:
	s_mov_b32 s1, 0
.LBB56_371:
	s_delay_alu instid0(SALU_CYCLE_1)
	s_and_not1_b32 vcc_lo, exec_lo, s1
	s_cbranch_vccnz .LBB56_379
; %bb.372:
	v_cvt_f32_f64_e32 v7, v[0:1]
	v_mov_b32_e32 v9, 0x80
	s_mov_b32 s1, exec_lo
	s_delay_alu instid0(VALU_DEP_2) | instskip(NEXT) | instid1(VALU_DEP_1)
	v_and_b32_e32 v8, 0x7fffffff, v7
	v_cmpx_gt_u32_e32 0x43800000, v8
	s_cbranch_execz .LBB56_378
; %bb.373:
	v_cmp_lt_u32_e32 vcc_lo, 0x3bffffff, v8
	s_mov_b32 s2, 0
                                        ; implicit-def: $vgpr8
	s_and_saveexec_b32 s3, vcc_lo
	s_delay_alu instid0(SALU_CYCLE_1)
	s_xor_b32 s3, exec_lo, s3
	s_cbranch_execz .LBB56_569
; %bb.374:
	v_bfe_u32 v8, v7, 20, 1
	s_mov_b32 s2, exec_lo
	s_delay_alu instid0(VALU_DEP_1) | instskip(NEXT) | instid1(VALU_DEP_1)
	v_add3_u32 v8, v7, v8, 0x487ffff
	v_lshrrev_b32_e32 v8, 20, v8
	s_or_saveexec_b32 s3, s3
                                        ; implicit-def: $sgpr4
	s_delay_alu instid0(SALU_CYCLE_1)
	s_xor_b32 exec_lo, exec_lo, s3
	s_cbranch_execnz .LBB56_570
.LBB56_375:
	s_or_b32 exec_lo, exec_lo, s3
	v_mov_b32_e32 v9, s4
	s_and_saveexec_b32 s3, s2
.LBB56_376:
	v_lshrrev_b32_e32 v7, 24, v7
	s_delay_alu instid0(VALU_DEP_1)
	v_and_or_b32 v9, 0x80, v7, v8
.LBB56_377:
	s_or_b32 exec_lo, exec_lo, s3
.LBB56_378:
	s_delay_alu instid0(SALU_CYCLE_1)
	s_or_b32 exec_lo, exec_lo, s1
	global_store_b8 v[4:5], v9, off
.LBB56_379:
	s_mov_b32 s1, -1
.LBB56_380:
	s_mov_b32 s2, 0
.LBB56_381:
	s_delay_alu instid0(SALU_CYCLE_1)
	s_and_b32 vcc_lo, exec_lo, s2
	s_cbranch_vccz .LBB56_422
; %bb.382:
	v_cmp_lt_i16_e32 vcc_lo, 22, v6
	s_mov_b32 s2, -1
	s_cbranch_vccz .LBB56_414
; %bb.383:
	v_cmp_gt_i16_e32 vcc_lo, 24, v6
	s_mov_b32 s1, -1
	s_cbranch_vccnz .LBB56_403
; %bb.384:
	v_cmp_lt_i16_e32 vcc_lo, 24, v6
	s_cbranch_vccz .LBB56_392
; %bb.385:
	v_cvt_f32_f64_e32 v7, v[0:1]
	v_mov_b32_e32 v9, 0x80
	s_mov_b32 s1, exec_lo
	s_delay_alu instid0(VALU_DEP_2) | instskip(NEXT) | instid1(VALU_DEP_1)
	v_and_b32_e32 v8, 0x7fffffff, v7
	v_cmpx_gt_u32_e32 0x47800000, v8
	s_cbranch_execz .LBB56_391
; %bb.386:
	v_cmp_lt_u32_e32 vcc_lo, 0x37ffffff, v8
	s_mov_b32 s2, 0
                                        ; implicit-def: $vgpr8
	s_and_saveexec_b32 s3, vcc_lo
	s_delay_alu instid0(SALU_CYCLE_1)
	s_xor_b32 s3, exec_lo, s3
	s_cbranch_execz .LBB56_572
; %bb.387:
	v_bfe_u32 v8, v7, 21, 1
	s_mov_b32 s2, exec_lo
	s_delay_alu instid0(VALU_DEP_1) | instskip(NEXT) | instid1(VALU_DEP_1)
	v_add3_u32 v8, v7, v8, 0x88fffff
	v_lshrrev_b32_e32 v8, 21, v8
	s_or_saveexec_b32 s3, s3
                                        ; implicit-def: $sgpr4
	s_delay_alu instid0(SALU_CYCLE_1)
	s_xor_b32 exec_lo, exec_lo, s3
	s_cbranch_execnz .LBB56_573
.LBB56_388:
	s_or_b32 exec_lo, exec_lo, s3
	v_mov_b32_e32 v9, s4
	s_and_saveexec_b32 s3, s2
.LBB56_389:
	v_lshrrev_b32_e32 v7, 24, v7
	s_delay_alu instid0(VALU_DEP_1)
	v_and_or_b32 v9, 0x80, v7, v8
.LBB56_390:
	s_or_b32 exec_lo, exec_lo, s3
.LBB56_391:
	s_delay_alu instid0(SALU_CYCLE_1)
	s_or_b32 exec_lo, exec_lo, s1
	s_mov_b32 s1, 0
	global_store_b8 v[4:5], v9, off
.LBB56_392:
	s_and_b32 vcc_lo, exec_lo, s1
	s_cbranch_vccz .LBB56_402
; %bb.393:
	v_cvt_f32_f64_e32 v7, v[0:1]
	s_mov_b32 s1, exec_lo
                                        ; implicit-def: $vgpr8
	s_delay_alu instid0(VALU_DEP_1) | instskip(NEXT) | instid1(VALU_DEP_1)
	v_and_b32_e32 v9, 0x7fffffff, v7
	v_cmpx_gt_u32_e32 0x43f00000, v9
	s_xor_b32 s1, exec_lo, s1
	s_cbranch_execz .LBB56_399
; %bb.394:
	s_mov_b32 s2, exec_lo
                                        ; implicit-def: $vgpr8
	v_cmpx_lt_u32_e32 0x3c7fffff, v9
	s_xor_b32 s2, exec_lo, s2
; %bb.395:
	v_bfe_u32 v8, v7, 20, 1
	s_delay_alu instid0(VALU_DEP_1) | instskip(NEXT) | instid1(VALU_DEP_1)
	v_add3_u32 v8, v7, v8, 0x407ffff
	v_and_b32_e32 v9, 0xff00000, v8
	v_lshrrev_b32_e32 v8, 20, v8
	s_delay_alu instid0(VALU_DEP_2) | instskip(NEXT) | instid1(VALU_DEP_2)
	v_cmp_ne_u32_e32 vcc_lo, 0x7f00000, v9
	v_cndmask_b32_e32 v8, 0x7e, v8, vcc_lo
; %bb.396:
	s_and_not1_saveexec_b32 s2, s2
; %bb.397:
	v_add_f32_e64 v8, 0x46800000, |v7|
; %bb.398:
	s_or_b32 exec_lo, exec_lo, s2
                                        ; implicit-def: $vgpr9
.LBB56_399:
	s_and_not1_saveexec_b32 s1, s1
; %bb.400:
	v_mov_b32_e32 v8, 0x7f
	v_cmp_lt_u32_e32 vcc_lo, 0x7f800000, v9
	s_delay_alu instid0(VALU_DEP_2)
	v_cndmask_b32_e32 v8, 0x7e, v8, vcc_lo
; %bb.401:
	s_or_b32 exec_lo, exec_lo, s1
	v_lshrrev_b32_e32 v7, 24, v7
	s_delay_alu instid0(VALU_DEP_1)
	v_and_or_b32 v7, 0x80, v7, v8
	global_store_b8 v[4:5], v7, off
.LBB56_402:
	s_mov_b32 s1, 0
.LBB56_403:
	s_delay_alu instid0(SALU_CYCLE_1)
	s_and_not1_b32 vcc_lo, exec_lo, s1
	s_cbranch_vccnz .LBB56_413
; %bb.404:
	v_cvt_f32_f64_e32 v7, v[0:1]
	s_mov_b32 s1, exec_lo
                                        ; implicit-def: $vgpr8
	s_delay_alu instid0(VALU_DEP_1) | instskip(NEXT) | instid1(VALU_DEP_1)
	v_and_b32_e32 v9, 0x7fffffff, v7
	v_cmpx_gt_u32_e32 0x47800000, v9
	s_xor_b32 s1, exec_lo, s1
	s_cbranch_execz .LBB56_410
; %bb.405:
	s_mov_b32 s2, exec_lo
                                        ; implicit-def: $vgpr8
	v_cmpx_lt_u32_e32 0x387fffff, v9
	s_xor_b32 s2, exec_lo, s2
; %bb.406:
	v_bfe_u32 v8, v7, 21, 1
	s_delay_alu instid0(VALU_DEP_1) | instskip(NEXT) | instid1(VALU_DEP_1)
	v_add3_u32 v8, v7, v8, 0x80fffff
	v_lshrrev_b32_e32 v8, 21, v8
; %bb.407:
	s_and_not1_saveexec_b32 s2, s2
; %bb.408:
	v_add_f32_e64 v8, 0x43000000, |v7|
; %bb.409:
	s_or_b32 exec_lo, exec_lo, s2
                                        ; implicit-def: $vgpr9
.LBB56_410:
	s_and_not1_saveexec_b32 s1, s1
; %bb.411:
	v_mov_b32_e32 v8, 0x7f
	v_cmp_lt_u32_e32 vcc_lo, 0x7f800000, v9
	s_delay_alu instid0(VALU_DEP_2)
	v_cndmask_b32_e32 v8, 0x7c, v8, vcc_lo
; %bb.412:
	s_or_b32 exec_lo, exec_lo, s1
	v_lshrrev_b32_e32 v7, 24, v7
	s_delay_alu instid0(VALU_DEP_1)
	v_and_or_b32 v7, 0x80, v7, v8
	global_store_b8 v[4:5], v7, off
.LBB56_413:
	s_mov_b32 s2, 0
	s_mov_b32 s1, -1
.LBB56_414:
	s_and_not1_b32 vcc_lo, exec_lo, s2
	s_cbranch_vccnz .LBB56_422
; %bb.415:
	v_cmp_lt_i16_e32 vcc_lo, 14, v6
	s_mov_b32 s2, -1
	s_cbranch_vccz .LBB56_419
; %bb.416:
	v_cmp_eq_u16_e32 vcc_lo, 15, v6
	s_mov_b32 s0, -1
	s_cbranch_vccz .LBB56_418
; %bb.417:
	v_cvt_f32_f64_e32 v7, v[0:1]
	s_mov_b32 s1, -1
	s_mov_b32 s0, 0
	s_delay_alu instid0(VALU_DEP_1) | instskip(SKIP_1) | instid1(VALU_DEP_2)
	v_bfe_u32 v8, v7, 16, 1
	v_cmp_o_f32_e32 vcc_lo, v7, v7
	v_add3_u32 v8, v7, v8, 0x7fff
	s_delay_alu instid0(VALU_DEP_1) | instskip(NEXT) | instid1(VALU_DEP_1)
	v_lshrrev_b32_e32 v8, 16, v8
	v_cndmask_b32_e32 v7, 0x7fc0, v8, vcc_lo
	global_store_b16 v[4:5], v7, off
.LBB56_418:
	s_mov_b32 s2, 0
.LBB56_419:
	s_delay_alu instid0(SALU_CYCLE_1)
	s_and_b32 vcc_lo, exec_lo, s2
	s_cbranch_vccz .LBB56_422
; %bb.420:
	v_cmp_eq_u16_e32 vcc_lo, 11, v6
	s_mov_b32 s0, -1
	s_cbranch_vccz .LBB56_422
; %bb.421:
	v_cmp_neq_f64_e32 vcc_lo, 0, v[0:1]
	v_cmp_neq_f64_e64 s0, 0, v[2:3]
	s_mov_b32 s1, -1
	s_delay_alu instid0(VALU_DEP_1) | instskip(NEXT) | instid1(SALU_CYCLE_1)
	s_or_b32 s0, vcc_lo, s0
	v_cndmask_b32_e64 v7, 0, 1, s0
	s_mov_b32 s0, 0
	global_store_b8 v[4:5], v7, off
.LBB56_422:
.LBB56_423:
	s_and_not1_b32 vcc_lo, exec_lo, s1
	s_cbranch_vccnz .LBB56_338
.LBB56_424:
	v_add_nc_u32_e32 v43, 0x80, v43
	s_mov_b32 s1, -1
	s_branch .LBB56_542
.LBB56_425:
	s_mov_b32 s49, -1
                                        ; implicit-def: $sgpr0_sgpr1
                                        ; implicit-def: $vgpr0_vgpr1
.LBB56_426:
	v_dual_mov_b32 v3, s1 :: v_dual_mov_b32 v2, s0
.LBB56_427:
	s_mov_b32 s0, 0
.LBB56_428:
	s_delay_alu instid0(SALU_CYCLE_1)
	s_and_b32 vcc_lo, exec_lo, s0
	s_cbranch_vccz .LBB56_433
; %bb.429:
	v_cmp_eq_u16_e32 vcc_lo, 29, v42
	s_cbranch_vccz .LBB56_431
; %bb.430:
	global_load_b64 v[0:1], v[4:5], off
	s_mov_b32 s2, -1
	s_mov_b32 s49, 0
	s_mov_b64 s[0:1], 0
	s_waitcnt vmcnt(0)
	v_cvt_f64_u32_e32 v[1:2], v1
	v_cvt_f64_u32_e32 v[6:7], v0
	s_delay_alu instid0(VALU_DEP_2) | instskip(NEXT) | instid1(VALU_DEP_1)
	v_ldexp_f64 v[1:2], v[1:2], 32
	v_add_f64 v[0:1], v[1:2], v[6:7]
	s_branch .LBB56_432
.LBB56_431:
	s_mov_b32 s49, -1
                                        ; implicit-def: $sgpr0_sgpr1
                                        ; implicit-def: $vgpr0_vgpr1
.LBB56_432:
	v_dual_mov_b32 v3, s1 :: v_dual_mov_b32 v2, s0
.LBB56_433:
	s_mov_b32 s0, 0
.LBB56_434:
	s_delay_alu instid0(SALU_CYCLE_1)
	s_and_b32 vcc_lo, exec_lo, s0
	s_cbranch_vccz .LBB56_454
; %bb.435:
	v_cmp_gt_i16_e32 vcc_lo, 27, v42
	s_cbranch_vccnz .LBB56_438
; %bb.436:
	v_cmp_lt_i16_e32 vcc_lo, 27, v42
	s_cbranch_vccz .LBB56_439
; %bb.437:
	global_load_b32 v0, v[4:5], off
	s_mov_b32 s2, 0
	s_mov_b64 s[0:1], 0
	s_waitcnt vmcnt(0)
	v_cvt_f64_u32_e32 v[0:1], v0
	s_branch .LBB56_440
.LBB56_438:
	s_mov_b32 s2, -1
                                        ; implicit-def: $sgpr0_sgpr1
                                        ; implicit-def: $vgpr0_vgpr1
	s_branch .LBB56_443
.LBB56_439:
	s_mov_b32 s2, -1
                                        ; implicit-def: $sgpr0_sgpr1
                                        ; implicit-def: $vgpr0_vgpr1
.LBB56_440:
	s_delay_alu instid0(SALU_CYCLE_1)
	s_and_not1_b32 vcc_lo, exec_lo, s2
	s_cbranch_vccnz .LBB56_442
; %bb.441:
	global_load_u16 v0, v[4:5], off
	s_mov_b64 s[0:1], 0
	s_waitcnt vmcnt(0)
	v_cvt_f64_u32_e32 v[0:1], v0
.LBB56_442:
	s_mov_b32 s2, 0
.LBB56_443:
	v_dual_mov_b32 v3, s1 :: v_dual_mov_b32 v2, s0
	s_and_not1_b32 vcc_lo, exec_lo, s2
	s_cbranch_vccnz .LBB56_453
; %bb.444:
	global_load_u8 v6, v[4:5], off
	s_mov_b32 s4, 0
	s_mov_b32 s5, exec_lo
                                        ; implicit-def: $sgpr0_sgpr1
                                        ; implicit-def: $sgpr2_sgpr3
	s_waitcnt vmcnt(0)
	v_cmpx_lt_i16_e32 0x7f, v6
	s_xor_b32 s5, exec_lo, s5
	s_cbranch_execz .LBB56_448
; %bb.445:
	s_mov_b32 s4, -1
	s_mov_b32 s6, exec_lo
                                        ; implicit-def: $sgpr0_sgpr1
                                        ; implicit-def: $sgpr2_sgpr3
	v_cmpx_eq_u16_e32 0x80, v6
; %bb.446:
	s_mov_b64 s[0:1], 0
	s_mov_b32 s3, 0x7ff80000
	s_brev_b32 s2, 4
	s_xor_b32 s4, exec_lo, -1
; %bb.447:
	s_or_b32 exec_lo, exec_lo, s6
	s_delay_alu instid0(SALU_CYCLE_1)
	s_and_b32 s4, s4, exec_lo
.LBB56_448:
	s_or_saveexec_b32 s5, s5
	v_dual_mov_b32 v3, s1 :: v_dual_mov_b32 v2, s0
	v_dual_mov_b32 v0, s2 :: v_dual_mov_b32 v1, s3
	s_xor_b32 exec_lo, exec_lo, s5
; %bb.449:
	v_mov_b32_e32 v2, 0
	v_mov_b32_e32 v3, 0
	v_cmp_ne_u16_e32 vcc_lo, 0, v6
	s_delay_alu instid0(VALU_DEP_3) | instskip(SKIP_1) | instid1(VALU_DEP_3)
	v_mov_b32_e32 v0, v2
	s_and_not1_b32 s0, s4, exec_lo
	v_mov_b32_e32 v1, v3
	s_and_b32 s1, vcc_lo, exec_lo
	s_delay_alu instid0(SALU_CYCLE_1)
	s_or_b32 s4, s0, s1
; %bb.450:
	s_or_b32 exec_lo, exec_lo, s5
	s_and_saveexec_b32 s0, s4
	s_cbranch_execz .LBB56_452
; %bb.451:
	v_and_b32_e32 v0, 0xffff, v6
	v_lshlrev_b32_e32 v6, 24, v6
	s_delay_alu instid0(VALU_DEP_2) | instskip(NEXT) | instid1(VALU_DEP_1)
	v_and_b32_e32 v1, 7, v0
	v_clz_i32_u32_e32 v2, v1
	s_delay_alu instid0(VALU_DEP_1) | instskip(NEXT) | instid1(VALU_DEP_1)
	v_min_u32_e32 v2, 32, v2
	v_subrev_nc_u32_e32 v3, 28, v2
	v_sub_nc_u32_e32 v2, 29, v2
	s_delay_alu instid0(VALU_DEP_2) | instskip(SKIP_1) | instid1(VALU_DEP_2)
	v_lshlrev_b32_e32 v3, v3, v0
	v_bfe_u32 v0, v0, 3, 4
	v_and_b32_e32 v3, 7, v3
	s_delay_alu instid0(VALU_DEP_2) | instskip(NEXT) | instid1(VALU_DEP_2)
	v_cmp_eq_u32_e32 vcc_lo, 0, v0
	v_dual_cndmask_b32 v0, v0, v2 :: v_dual_cndmask_b32 v1, v1, v3
	v_and_b32_e32 v2, 0x80000000, v6
	s_delay_alu instid0(VALU_DEP_2) | instskip(NEXT) | instid1(VALU_DEP_3)
	v_lshl_add_u32 v0, v0, 23, 0x3b800000
	v_lshlrev_b32_e32 v1, 20, v1
	s_delay_alu instid0(VALU_DEP_1) | instskip(SKIP_2) | instid1(VALU_DEP_3)
	v_or3_b32 v0, v2, v0, v1
	v_mov_b32_e32 v2, 0
	v_mov_b32_e32 v3, 0
	v_cvt_f64_f32_e32 v[0:1], v0
.LBB56_452:
	s_or_b32 exec_lo, exec_lo, s0
.LBB56_453:
	s_mov_b32 s2, -1
.LBB56_454:
	s_mov_b32 s0, 0
.LBB56_455:
	s_delay_alu instid0(SALU_CYCLE_1)
	s_and_b32 vcc_lo, exec_lo, s0
	s_cbranch_vccz .LBB56_489
; %bb.456:
	v_cmp_lt_i16_e32 vcc_lo, 22, v42
	s_cbranch_vccz .LBB56_468
; %bb.457:
	v_cmp_gt_i16_e32 vcc_lo, 24, v42
	s_cbranch_vccnz .LBB56_469
; %bb.458:
	v_cmp_lt_i16_e32 vcc_lo, 24, v42
	s_cbranch_vccz .LBB56_470
; %bb.459:
	global_load_u8 v6, v[4:5], off
	s_mov_b32 s4, 0
	s_mov_b32 s5, exec_lo
                                        ; implicit-def: $sgpr0_sgpr1
                                        ; implicit-def: $sgpr2_sgpr3
	s_waitcnt vmcnt(0)
	v_cmpx_lt_i16_e32 0x7f, v6
	s_xor_b32 s5, exec_lo, s5
	s_cbranch_execz .LBB56_463
; %bb.460:
	s_mov_b32 s4, -1
	s_mov_b32 s6, exec_lo
                                        ; implicit-def: $sgpr0_sgpr1
                                        ; implicit-def: $sgpr2_sgpr3
	v_cmpx_eq_u16_e32 0x80, v6
; %bb.461:
	s_mov_b64 s[0:1], 0
	s_mov_b32 s3, 0x7ff80000
	s_brev_b32 s2, 4
	s_xor_b32 s4, exec_lo, -1
; %bb.462:
	s_or_b32 exec_lo, exec_lo, s6
	s_delay_alu instid0(SALU_CYCLE_1)
	s_and_b32 s4, s4, exec_lo
.LBB56_463:
	s_or_saveexec_b32 s5, s5
	v_dual_mov_b32 v3, s1 :: v_dual_mov_b32 v2, s0
	v_dual_mov_b32 v0, s2 :: v_dual_mov_b32 v1, s3
	s_xor_b32 exec_lo, exec_lo, s5
; %bb.464:
	v_mov_b32_e32 v2, 0
	v_mov_b32_e32 v3, 0
	v_cmp_ne_u16_e32 vcc_lo, 0, v6
	s_delay_alu instid0(VALU_DEP_3) | instskip(SKIP_1) | instid1(VALU_DEP_3)
	v_mov_b32_e32 v0, v2
	s_and_not1_b32 s0, s4, exec_lo
	v_mov_b32_e32 v1, v3
	s_and_b32 s1, vcc_lo, exec_lo
	s_delay_alu instid0(SALU_CYCLE_1)
	s_or_b32 s4, s0, s1
; %bb.465:
	s_or_b32 exec_lo, exec_lo, s5
	s_and_saveexec_b32 s0, s4
	s_cbranch_execz .LBB56_467
; %bb.466:
	v_and_b32_e32 v0, 0xffff, v6
	v_lshlrev_b32_e32 v6, 24, v6
	s_delay_alu instid0(VALU_DEP_2) | instskip(NEXT) | instid1(VALU_DEP_1)
	v_and_b32_e32 v1, 3, v0
	v_clz_i32_u32_e32 v2, v1
	s_delay_alu instid0(VALU_DEP_1) | instskip(NEXT) | instid1(VALU_DEP_1)
	v_min_u32_e32 v2, 32, v2
	v_subrev_nc_u32_e32 v3, 29, v2
	v_sub_nc_u32_e32 v2, 30, v2
	s_delay_alu instid0(VALU_DEP_2) | instskip(SKIP_1) | instid1(VALU_DEP_2)
	v_lshlrev_b32_e32 v3, v3, v0
	v_bfe_u32 v0, v0, 2, 5
	v_and_b32_e32 v3, 3, v3
	s_delay_alu instid0(VALU_DEP_2) | instskip(NEXT) | instid1(VALU_DEP_2)
	v_cmp_eq_u32_e32 vcc_lo, 0, v0
	v_dual_cndmask_b32 v0, v0, v2 :: v_dual_cndmask_b32 v1, v1, v3
	v_and_b32_e32 v2, 0x80000000, v6
	s_delay_alu instid0(VALU_DEP_2) | instskip(NEXT) | instid1(VALU_DEP_3)
	v_lshl_add_u32 v0, v0, 23, 0x37800000
	v_lshlrev_b32_e32 v1, 21, v1
	s_delay_alu instid0(VALU_DEP_1) | instskip(SKIP_2) | instid1(VALU_DEP_3)
	v_or3_b32 v0, v2, v0, v1
	v_mov_b32_e32 v2, 0
	v_mov_b32_e32 v3, 0
	v_cvt_f64_f32_e32 v[0:1], v0
.LBB56_467:
	s_or_b32 exec_lo, exec_lo, s0
	s_mov_b32 s0, 0
	s_branch .LBB56_471
.LBB56_468:
	s_mov_b32 s0, -1
                                        ; implicit-def: $vgpr2_vgpr3
	s_branch .LBB56_477
.LBB56_469:
	s_mov_b32 s0, -1
                                        ; implicit-def: $vgpr2_vgpr3
	s_branch .LBB56_474
.LBB56_470:
	s_mov_b32 s0, -1
                                        ; implicit-def: $vgpr2_vgpr3
.LBB56_471:
	s_delay_alu instid0(SALU_CYCLE_1)
	s_and_b32 vcc_lo, exec_lo, s0
	s_cbranch_vccz .LBB56_473
; %bb.472:
	global_load_u8 v0, v[4:5], off
	s_waitcnt vmcnt(0)
	v_lshlrev_b32_e32 v0, 24, v0
	s_delay_alu instid0(VALU_DEP_1) | instskip(NEXT) | instid1(VALU_DEP_1)
	v_and_b32_e32 v1, 0x7f000000, v0
	v_clz_i32_u32_e32 v2, v1
	v_add_nc_u32_e32 v6, 0x1000000, v1
	v_cmp_ne_u32_e32 vcc_lo, 0, v1
	s_delay_alu instid0(VALU_DEP_3) | instskip(NEXT) | instid1(VALU_DEP_1)
	v_min_u32_e32 v2, 32, v2
	v_sub_nc_u32_e64 v2, v2, 4 clamp
	s_delay_alu instid0(VALU_DEP_1) | instskip(SKIP_1) | instid1(VALU_DEP_2)
	v_lshlrev_b32_e32 v3, v2, v1
	v_lshlrev_b32_e32 v2, 23, v2
	v_lshrrev_b32_e32 v3, 4, v3
	s_delay_alu instid0(VALU_DEP_1) | instskip(SKIP_1) | instid1(VALU_DEP_2)
	v_sub_nc_u32_e32 v2, v3, v2
	v_ashrrev_i32_e32 v3, 8, v6
	v_add_nc_u32_e32 v2, 0x3c000000, v2
	s_delay_alu instid0(VALU_DEP_1) | instskip(NEXT) | instid1(VALU_DEP_1)
	v_and_or_b32 v2, 0x7f800000, v3, v2
	v_dual_cndmask_b32 v1, 0, v2 :: v_dual_mov_b32 v2, 0
	v_mov_b32_e32 v3, 0
	s_delay_alu instid0(VALU_DEP_2) | instskip(NEXT) | instid1(VALU_DEP_1)
	v_and_or_b32 v0, 0x80000000, v0, v1
	v_cvt_f64_f32_e32 v[0:1], v0
.LBB56_473:
	s_mov_b32 s0, 0
.LBB56_474:
	s_delay_alu instid0(SALU_CYCLE_1)
	s_and_not1_b32 vcc_lo, exec_lo, s0
	s_cbranch_vccnz .LBB56_476
; %bb.475:
	global_load_u8 v0, v[4:5], off
	s_waitcnt vmcnt(0)
	v_lshlrev_b32_e32 v1, 25, v0
	v_lshlrev_b16 v0, 8, v0
	s_delay_alu instid0(VALU_DEP_2) | instskip(NEXT) | instid1(VALU_DEP_2)
	v_lshrrev_b32_e32 v2, 4, v1
	v_and_or_b32 v3, 0x7f00, v0, 0.5
	v_bfe_i32 v0, v0, 0, 16
	s_delay_alu instid0(VALU_DEP_3) | instskip(NEXT) | instid1(VALU_DEP_1)
	v_or_b32_e32 v2, 0x70000000, v2
	v_dual_add_f32 v3, -0.5, v3 :: v_dual_mul_f32 v2, 0x7800000, v2
	v_cmp_gt_u32_e32 vcc_lo, 0x8000000, v1
	s_delay_alu instid0(VALU_DEP_2) | instskip(SKIP_1) | instid1(VALU_DEP_2)
	v_dual_cndmask_b32 v1, v2, v3 :: v_dual_mov_b32 v2, 0
	v_mov_b32_e32 v3, 0
	v_and_or_b32 v0, 0x80000000, v0, v1
	s_delay_alu instid0(VALU_DEP_1)
	v_cvt_f64_f32_e32 v[0:1], v0
.LBB56_476:
	s_mov_b32 s0, 0
	s_mov_b32 s2, -1
.LBB56_477:
	s_and_not1_b32 vcc_lo, exec_lo, s0
	s_cbranch_vccnz .LBB56_489
; %bb.478:
	v_cmp_lt_i16_e32 vcc_lo, 14, v42
	s_cbranch_vccz .LBB56_481
; %bb.479:
	v_cmp_eq_u16_e32 vcc_lo, 15, v42
	s_cbranch_vccz .LBB56_482
; %bb.480:
	global_load_u16 v0, v[4:5], off
	s_mov_b32 s2, -1
	s_mov_b32 s49, 0
	s_mov_b64 s[0:1], 0
	s_waitcnt vmcnt(0)
	v_lshlrev_b32_e32 v0, 16, v0
	s_delay_alu instid0(VALU_DEP_1)
	v_cvt_f64_f32_e32 v[0:1], v0
	s_branch .LBB56_483
.LBB56_481:
	s_mov_b32 s3, -1
                                        ; implicit-def: $sgpr0_sgpr1
                                        ; implicit-def: $vgpr0_vgpr1
	s_branch .LBB56_484
.LBB56_482:
	s_mov_b32 s49, -1
                                        ; implicit-def: $sgpr0_sgpr1
                                        ; implicit-def: $vgpr0_vgpr1
.LBB56_483:
	s_mov_b32 s3, 0
.LBB56_484:
	s_delay_alu instid0(SALU_CYCLE_1)
	s_and_b32 vcc_lo, exec_lo, s3
	s_cbranch_vccz .LBB56_488
; %bb.485:
	v_cmp_eq_u16_e32 vcc_lo, 11, v42
	s_cbranch_vccz .LBB56_487
; %bb.486:
	global_load_u8 v0, v[4:5], off
	s_mov_b32 s49, 0
	s_mov_b32 s2, -1
	s_mov_b64 s[0:1], 0
	s_waitcnt vmcnt(0)
	v_cmp_ne_u16_e32 vcc_lo, 0, v0
	v_mov_b32_e32 v0, 0
	v_cndmask_b32_e64 v1, 0, 0x3ff00000, vcc_lo
	s_branch .LBB56_488
.LBB56_487:
	s_mov_b32 s49, -1
                                        ; implicit-def: $sgpr0_sgpr1
                                        ; implicit-def: $vgpr0_vgpr1
.LBB56_488:
	v_dual_mov_b32 v3, s1 :: v_dual_mov_b32 v2, s0
.LBB56_489:
	s_branch .LBB56_291
.LBB56_490:
	v_cmp_gt_i16_e32 vcc_lo, 5, v42
	s_cbranch_vccnz .LBB56_495
; %bb.491:
	v_cmp_gt_i16_e32 vcc_lo, 8, v42
	s_cbranch_vccnz .LBB56_496
; %bb.492:
	;; [unrolled: 3-line block ×3, first 2 shown]
	v_cmp_lt_i16_e32 vcc_lo, 9, v42
	s_cbranch_vccz .LBB56_498
; %bb.494:
	global_load_b128 v[0:3], v[4:5], off
	s_mov_b32 s0, 0
	s_branch .LBB56_499
.LBB56_495:
	s_mov_b32 s0, -1
                                        ; implicit-def: $vgpr2_vgpr3
	s_branch .LBB56_518
.LBB56_496:
	s_mov_b32 s0, -1
                                        ; implicit-def: $vgpr2_vgpr3
	s_branch .LBB56_505
.LBB56_497:
	s_mov_b32 s0, -1
                                        ; implicit-def: $vgpr2_vgpr3
	s_branch .LBB56_502
.LBB56_498:
	s_mov_b32 s0, -1
                                        ; implicit-def: $vgpr2_vgpr3
.LBB56_499:
	s_delay_alu instid0(SALU_CYCLE_1)
	s_and_not1_b32 vcc_lo, exec_lo, s0
	s_cbranch_vccnz .LBB56_501
; %bb.500:
	global_load_b64 v[1:2], v[4:5], off
	s_waitcnt vmcnt(0)
	v_cvt_f64_f32_e32 v[0:1], v1
	v_cvt_f64_f32_e32 v[2:3], v2
.LBB56_501:
	s_mov_b32 s0, 0
.LBB56_502:
	s_delay_alu instid0(SALU_CYCLE_1)
	s_and_not1_b32 vcc_lo, exec_lo, s0
	s_cbranch_vccnz .LBB56_504
; %bb.503:
	global_load_b32 v0, v[4:5], off
	s_waitcnt vmcnt(0)
	v_lshrrev_b32_e32 v1, 16, v0
	v_cvt_f32_f16_e32 v0, v0
	s_delay_alu instid0(VALU_DEP_2) | instskip(NEXT) | instid1(VALU_DEP_2)
	v_cvt_f32_f16_e32 v2, v1
	v_cvt_f64_f32_e32 v[0:1], v0
	s_delay_alu instid0(VALU_DEP_2)
	v_cvt_f64_f32_e32 v[2:3], v2
.LBB56_504:
	s_mov_b32 s0, 0
.LBB56_505:
	s_delay_alu instid0(SALU_CYCLE_1)
	s_and_not1_b32 vcc_lo, exec_lo, s0
	s_cbranch_vccnz .LBB56_517
; %bb.506:
	v_cmp_gt_i16_e32 vcc_lo, 6, v42
	s_cbranch_vccnz .LBB56_509
; %bb.507:
	v_cmp_lt_i16_e32 vcc_lo, 6, v42
	s_cbranch_vccz .LBB56_510
; %bb.508:
	global_load_b64 v[0:1], v[4:5], off
	s_mov_b32 s2, 0
	s_mov_b64 s[0:1], 0
	s_branch .LBB56_511
.LBB56_509:
	s_mov_b32 s2, -1
                                        ; implicit-def: $sgpr0_sgpr1
                                        ; implicit-def: $vgpr0_vgpr1
	s_branch .LBB56_514
.LBB56_510:
	s_mov_b32 s2, -1
                                        ; implicit-def: $sgpr0_sgpr1
                                        ; implicit-def: $vgpr0_vgpr1
.LBB56_511:
	s_delay_alu instid0(SALU_CYCLE_1)
	s_and_not1_b32 vcc_lo, exec_lo, s2
	s_cbranch_vccnz .LBB56_513
; %bb.512:
	global_load_b32 v0, v[4:5], off
	s_mov_b64 s[0:1], 0
	s_waitcnt vmcnt(0)
	v_cvt_f64_f32_e32 v[0:1], v0
.LBB56_513:
	s_mov_b32 s2, 0
.LBB56_514:
	s_delay_alu instid0(SALU_CYCLE_1)
	s_and_not1_b32 vcc_lo, exec_lo, s2
	s_cbranch_vccnz .LBB56_516
; %bb.515:
	global_load_u16 v0, v[4:5], off
	s_mov_b64 s[0:1], 0
	s_waitcnt vmcnt(0)
	v_cvt_f32_f16_e32 v0, v0
	s_delay_alu instid0(VALU_DEP_1)
	v_cvt_f64_f32_e32 v[0:1], v0
.LBB56_516:
	s_waitcnt vmcnt(0)
	v_dual_mov_b32 v3, s1 :: v_dual_mov_b32 v2, s0
.LBB56_517:
	s_mov_b32 s0, 0
.LBB56_518:
	s_delay_alu instid0(SALU_CYCLE_1)
	s_and_not1_b32 vcc_lo, exec_lo, s0
	s_cbranch_vccnz .LBB56_539
; %bb.519:
	v_cmp_gt_i16_e32 vcc_lo, 2, v42
	s_cbranch_vccnz .LBB56_523
; %bb.520:
	v_cmp_gt_i16_e32 vcc_lo, 3, v42
	s_cbranch_vccnz .LBB56_524
; %bb.521:
	v_cmp_lt_i16_e32 vcc_lo, 3, v42
	s_cbranch_vccz .LBB56_525
; %bb.522:
	global_load_b64 v[0:1], v[4:5], off
	s_mov_b32 s2, 0
	s_mov_b64 s[0:1], 0
	s_waitcnt vmcnt(0)
	v_cvt_f64_i32_e32 v[1:2], v1
	v_cvt_f64_u32_e32 v[6:7], v0
	s_delay_alu instid0(VALU_DEP_2) | instskip(NEXT) | instid1(VALU_DEP_1)
	v_ldexp_f64 v[1:2], v[1:2], 32
	v_add_f64 v[0:1], v[1:2], v[6:7]
	s_branch .LBB56_526
.LBB56_523:
	s_mov_b32 s2, -1
                                        ; implicit-def: $sgpr0_sgpr1
                                        ; implicit-def: $vgpr0_vgpr1
	s_branch .LBB56_532
.LBB56_524:
	s_mov_b32 s2, -1
                                        ; implicit-def: $sgpr0_sgpr1
                                        ; implicit-def: $vgpr0_vgpr1
	s_branch .LBB56_529
.LBB56_525:
	s_mov_b32 s2, -1
                                        ; implicit-def: $sgpr0_sgpr1
                                        ; implicit-def: $vgpr0_vgpr1
.LBB56_526:
	s_delay_alu instid0(SALU_CYCLE_1)
	s_and_not1_b32 vcc_lo, exec_lo, s2
	s_cbranch_vccnz .LBB56_528
; %bb.527:
	global_load_b32 v0, v[4:5], off
	s_mov_b64 s[0:1], 0
	s_waitcnt vmcnt(0)
	v_cvt_f64_i32_e32 v[0:1], v0
.LBB56_528:
	s_mov_b32 s2, 0
.LBB56_529:
	s_delay_alu instid0(SALU_CYCLE_1)
	s_and_not1_b32 vcc_lo, exec_lo, s2
	s_cbranch_vccnz .LBB56_531
; %bb.530:
	global_load_i16 v0, v[4:5], off
	s_mov_b64 s[0:1], 0
	s_waitcnt vmcnt(0)
	v_cvt_f64_i32_e32 v[0:1], v0
.LBB56_531:
	s_mov_b32 s2, 0
.LBB56_532:
	s_delay_alu instid0(SALU_CYCLE_1)
	s_and_not1_b32 vcc_lo, exec_lo, s2
	s_cbranch_vccnz .LBB56_538
; %bb.533:
	v_cmp_lt_i16_e32 vcc_lo, 0, v42
	s_mov_b32 s2, 0
	s_cbranch_vccz .LBB56_535
; %bb.534:
	global_load_i8 v0, v[4:5], off
	s_mov_b64 s[0:1], 0
	s_waitcnt vmcnt(0)
	v_cvt_f64_i32_e32 v[0:1], v0
	s_branch .LBB56_536
.LBB56_535:
	s_mov_b32 s2, -1
                                        ; implicit-def: $sgpr0_sgpr1
                                        ; implicit-def: $vgpr0_vgpr1
.LBB56_536:
	s_delay_alu instid0(SALU_CYCLE_1)
	s_and_not1_b32 vcc_lo, exec_lo, s2
	s_cbranch_vccnz .LBB56_538
; %bb.537:
	global_load_u8 v0, v[4:5], off
	s_mov_b64 s[0:1], 0
	s_waitcnt vmcnt(0)
	v_cvt_f64_u32_e32 v[0:1], v0
.LBB56_538:
	s_waitcnt vmcnt(0)
	v_dual_mov_b32 v3, s1 :: v_dual_mov_b32 v2, s0
.LBB56_539:
	s_branch .LBB56_292
.LBB56_540:
	s_mov_b32 s1, 0
	s_mov_b32 s0, s46
.LBB56_541:
                                        ; implicit-def: $vgpr43
.LBB56_542:
	s_and_not1_b32 s2, s46, exec_lo
	s_and_b32 s0, s0, exec_lo
	s_and_not1_b32 s3, s47, exec_lo
	s_and_b32 s4, s49, exec_lo
	s_or_b32 s50, s2, s0
	s_or_b32 s49, s3, s4
	s_or_not1_b32 s3, s1, exec_lo
.LBB56_543:
	s_or_b32 exec_lo, exec_lo, s51
	s_mov_b32 s1, 0
	s_mov_b32 s0, 0
	;; [unrolled: 1-line block ×3, first 2 shown]
                                        ; implicit-def: $vgpr0_vgpr1
                                        ; implicit-def: $vgpr40
                                        ; implicit-def: $vgpr6_vgpr7
	s_and_saveexec_b32 s51, s3
	s_cbranch_execz .LBB56_923
; %bb.544:
	s_mov_b32 s3, -1
	s_mov_b32 s4, s49
	s_mov_b32 s5, s50
	s_mov_b32 s52, exec_lo
	v_cmpx_gt_i32_e64 s43, v43
	s_cbranch_execz .LBB56_821
; %bb.545:
	s_and_not1_b32 vcc_lo, exec_lo, s40
	s_cbranch_vccnz .LBB56_550
; %bb.546:
	v_mov_b32_e32 v40, 0
	s_waitcnt vmcnt(0)
	v_mov_b32_e32 v0, 0
	s_and_not1_b32 vcc_lo, exec_lo, s45
	s_mov_b32 s4, 0
	s_cbranch_vccnz .LBB56_555
; %bb.547:
	v_mov_b32_e32 v40, 0
	s_add_i32 s6, s44, 1
	s_cmp_eq_u32 s34, 2
	s_mov_b32 s5, 0
	s_cbranch_scc1 .LBB56_551
; %bb.548:
	v_dual_mov_b32 v0, 0 :: v_dual_mov_b32 v1, v43
	v_mov_b32_e32 v40, 0
	s_and_b32 s5, s6, 28
	s_mov_b32 s7, 0
	s_mov_b64 s[0:1], s[28:29]
	s_mov_b64 s[2:3], s[14:15]
.LBB56_549:                             ; =>This Inner Loop Header: Depth=1
	s_clause 0x1
	s_load_b256 s[56:63], s[2:3], 0x4
	s_load_b128 s[8:11], s[2:3], 0x24
	s_load_b256 s[64:71], s[0:1], 0x0
	s_add_u32 s2, s2, 48
	s_addc_u32 s3, s3, 0
	s_add_i32 s7, s7, 4
	s_add_u32 s0, s0, 32
	s_addc_u32 s1, s1, 0
	s_cmp_eq_u32 s5, s7
	s_waitcnt lgkmcnt(0)
	v_mul_hi_u32 v2, s57, v1
	s_delay_alu instid0(VALU_DEP_1) | instskip(NEXT) | instid1(VALU_DEP_1)
	v_add_nc_u32_e32 v2, v1, v2
	v_lshrrev_b32_e32 v2, s58, v2
	s_delay_alu instid0(VALU_DEP_1) | instskip(SKIP_1) | instid1(VALU_DEP_2)
	v_mul_hi_u32 v3, s60, v2
	v_mul_lo_u32 v5, v2, s56
	v_add_nc_u32_e32 v3, v2, v3
	s_delay_alu instid0(VALU_DEP_2) | instskip(NEXT) | instid1(VALU_DEP_2)
	v_sub_nc_u32_e32 v1, v1, v5
	v_lshrrev_b32_e32 v3, s61, v3
	s_delay_alu instid0(VALU_DEP_2) | instskip(SKIP_1) | instid1(VALU_DEP_3)
	v_mul_lo_u32 v5, v1, s64
	v_mul_lo_u32 v7, v1, s65
	v_mul_hi_u32 v4, s63, v3
	s_delay_alu instid0(VALU_DEP_1) | instskip(NEXT) | instid1(VALU_DEP_1)
	v_add_nc_u32_e32 v4, v3, v4
	v_lshrrev_b32_e32 v4, s8, v4
	s_delay_alu instid0(VALU_DEP_1) | instskip(SKIP_1) | instid1(VALU_DEP_2)
	v_mul_hi_u32 v6, s10, v4
	v_mul_lo_u32 v8, v4, s62
	v_add_nc_u32_e32 v1, v4, v6
	v_mul_lo_u32 v6, v3, s59
	s_delay_alu instid0(VALU_DEP_3) | instskip(NEXT) | instid1(VALU_DEP_3)
	v_sub_nc_u32_e32 v3, v3, v8
	v_lshrrev_b32_e32 v1, s11, v1
	s_delay_alu instid0(VALU_DEP_2) | instskip(SKIP_2) | instid1(VALU_DEP_4)
	v_mul_lo_u32 v8, v3, s68
	v_mul_lo_u32 v3, v3, s69
	v_sub_nc_u32_e32 v2, v2, v6
	v_mul_lo_u32 v9, v1, s9
	s_delay_alu instid0(VALU_DEP_2) | instskip(SKIP_1) | instid1(VALU_DEP_3)
	v_mul_lo_u32 v6, v2, s66
	v_mul_lo_u32 v2, v2, s67
	v_sub_nc_u32_e32 v4, v4, v9
	s_delay_alu instid0(VALU_DEP_3) | instskip(NEXT) | instid1(VALU_DEP_2)
	v_add3_u32 v5, v5, v40, v6
	v_mul_lo_u32 v9, v4, s70
	v_mul_lo_u32 v4, v4, s71
	v_add3_u32 v0, v7, v0, v2
	s_delay_alu instid0(VALU_DEP_3) | instskip(NEXT) | instid1(VALU_DEP_2)
	v_add3_u32 v40, v8, v5, v9
	v_add3_u32 v0, v3, v0, v4
	s_cbranch_scc0 .LBB56_549
	s_branch .LBB56_552
.LBB56_550:
	s_mov_b32 s4, -1
                                        ; implicit-def: $vgpr40
                                        ; implicit-def: $vgpr0
	s_branch .LBB56_555
.LBB56_551:
	v_dual_mov_b32 v1, v43 :: v_dual_mov_b32 v0, 0
.LBB56_552:
	s_and_b32 s6, s6, 3
	s_delay_alu instid0(SALU_CYCLE_1)
	s_cmp_eq_u32 s6, 0
	s_cbranch_scc1 .LBB56_555
; %bb.553:
	s_lshl_b32 s0, s5, 3
	s_mul_i32 s2, s5, 12
	s_add_u32 s0, s0, s14
	s_addc_u32 s1, s15, 0
	s_add_u32 s0, s0, 0xc4
	s_addc_u32 s1, s1, 0
	s_add_u32 s2, s14, s2
	s_addc_u32 s3, s15, 0
	.p2align	6
.LBB56_554:                             ; =>This Inner Loop Header: Depth=1
	s_clause 0x1
	s_load_b64 s[8:9], s[2:3], 0x4
	s_load_b32 s5, s[2:3], 0xc
	s_load_b64 s[10:11], s[0:1], 0x0
	s_add_u32 s2, s2, 12
	s_addc_u32 s3, s3, 0
	s_add_u32 s0, s0, 8
	s_addc_u32 s1, s1, 0
	s_add_i32 s6, s6, -1
	s_delay_alu instid0(SALU_CYCLE_1) | instskip(SKIP_2) | instid1(VALU_DEP_1)
	s_cmp_lg_u32 s6, 0
	s_waitcnt lgkmcnt(0)
	v_mul_hi_u32 v2, s9, v1
	v_add_nc_u32_e32 v2, v1, v2
	s_delay_alu instid0(VALU_DEP_1) | instskip(NEXT) | instid1(VALU_DEP_1)
	v_lshrrev_b32_e32 v5, s5, v2
	v_mul_lo_u32 v2, v5, s8
	s_delay_alu instid0(VALU_DEP_1) | instskip(NEXT) | instid1(VALU_DEP_1)
	v_sub_nc_u32_e32 v1, v1, v2
	v_mad_u64_u32 v[2:3], null, v1, s10, v[40:41]
	v_mad_u64_u32 v[3:4], null, v1, s11, v[0:1]
	s_delay_alu instid0(VALU_DEP_2) | instskip(NEXT) | instid1(VALU_DEP_2)
	v_dual_mov_b32 v1, v5 :: v_dual_mov_b32 v40, v2
	v_mov_b32_e32 v0, v3
	s_cbranch_scc1 .LBB56_554
.LBB56_555:
	s_and_not1_b32 vcc_lo, exec_lo, s4
	s_cbranch_vccnz .LBB56_558
; %bb.556:
	s_waitcnt vmcnt(0) lgkmcnt(0)
	v_mul_hi_u32 v0, s37, v43
	s_and_not1_b32 vcc_lo, exec_lo, s42
	s_delay_alu instid0(VALU_DEP_1) | instskip(NEXT) | instid1(VALU_DEP_1)
	v_add_nc_u32_e32 v0, v43, v0
	v_lshrrev_b32_e32 v1, s38, v0
	s_delay_alu instid0(VALU_DEP_1) | instskip(NEXT) | instid1(VALU_DEP_1)
	v_mul_lo_u32 v0, v1, s36
	v_sub_nc_u32_e32 v0, v43, v0
	s_delay_alu instid0(VALU_DEP_1)
	v_mul_lo_u32 v40, v0, s24
	v_mul_lo_u32 v0, v0, s25
	s_cbranch_vccnz .LBB56_558
; %bb.557:
	v_mul_hi_u32 v2, s18, v1
	s_delay_alu instid0(VALU_DEP_1) | instskip(NEXT) | instid1(VALU_DEP_1)
	v_add_nc_u32_e32 v2, v1, v2
	v_lshrrev_b32_e32 v2, s19, v2
	s_delay_alu instid0(VALU_DEP_1) | instskip(NEXT) | instid1(VALU_DEP_1)
	v_mul_lo_u32 v2, v2, s39
	v_sub_nc_u32_e32 v4, v1, v2
	s_delay_alu instid0(VALU_DEP_1) | instskip(NEXT) | instid1(VALU_DEP_1)
	v_mad_u64_u32 v[1:2], null, v4, s26, v[40:41]
	v_mad_u64_u32 v[2:3], null, v4, s27, v[0:1]
	v_mov_b32_e32 v40, v1
	s_delay_alu instid0(VALU_DEP_2)
	v_mov_b32_e32 v0, v2
.LBB56_558:
	v_cmp_gt_i16_e32 vcc_lo, 11, v42
	s_waitcnt vmcnt(0) lgkmcnt(0)
	s_delay_alu instid0(VALU_DEP_2) | instskip(NEXT) | instid1(VALU_DEP_1)
	v_add_co_u32 v4, s0, s22, v0
	v_add_co_ci_u32_e64 v5, null, s23, 0, s0
	s_mov_b32 s2, 0
	s_cbranch_vccnz .LBB56_565
; %bb.559:
	v_cmp_lt_i16_e32 vcc_lo, 25, v42
	s_cbranch_vccz .LBB56_566
; %bb.560:
	v_cmp_lt_i16_e32 vcc_lo, 28, v42
	s_cbranch_vccz .LBB56_567
	;; [unrolled: 3-line block ×4, first 2 shown]
; %bb.563:
	v_cmp_eq_u16_e32 vcc_lo, 46, v42
	s_mov_b32 s0, 0
	s_cbranch_vccz .LBB56_574
; %bb.564:
	global_load_b32 v0, v[4:5], off
	s_mov_b32 s2, -1
	s_mov_b32 s53, 0
	s_waitcnt vmcnt(0)
	v_lshlrev_b32_e32 v1, 16, v0
	v_and_b32_e32 v2, 0xffff0000, v0
	s_delay_alu instid0(VALU_DEP_2) | instskip(NEXT) | instid1(VALU_DEP_2)
	v_cvt_f64_f32_e32 v[0:1], v1
	v_cvt_f64_f32_e32 v[2:3], v2
	s_branch .LBB56_576
.LBB56_565:
	s_mov_b32 s0, -1
	s_mov_b32 s53, s49
                                        ; implicit-def: $vgpr2_vgpr3
	s_branch .LBB56_644
.LBB56_566:
	s_mov_b32 s0, -1
	s_mov_b32 s53, s49
                                        ; implicit-def: $vgpr2_vgpr3
	s_branch .LBB56_609
.LBB56_567:
	s_mov_b32 s0, -1
	s_mov_b32 s53, s49
                                        ; implicit-def: $vgpr2_vgpr3
	s_branch .LBB56_588
.LBB56_568:
	s_mov_b32 s0, -1
	s_mov_b32 s53, s49
                                        ; implicit-def: $vgpr2_vgpr3
	s_branch .LBB56_582
.LBB56_569:
	s_or_saveexec_b32 s3, s3
                                        ; implicit-def: $sgpr4
	s_delay_alu instid0(SALU_CYCLE_1)
	s_xor_b32 exec_lo, exec_lo, s3
	s_cbranch_execz .LBB56_375
.LBB56_570:
	v_add_f32_e64 v8, 0x46000000, |v7|
	s_and_not1_b32 s2, s2, exec_lo
	s_mov_b32 s4, 0
	s_delay_alu instid0(VALU_DEP_1) | instskip(NEXT) | instid1(VALU_DEP_1)
	v_and_b32_e32 v8, 0xff, v8
	v_cmp_ne_u32_e32 vcc_lo, 0, v8
	s_and_b32 s5, vcc_lo, exec_lo
	s_delay_alu instid0(SALU_CYCLE_1)
	s_or_b32 s2, s2, s5
	s_or_b32 exec_lo, exec_lo, s3
	v_mov_b32_e32 v9, s4
	s_and_saveexec_b32 s3, s2
	s_cbranch_execnz .LBB56_376
	s_branch .LBB56_377
.LBB56_571:
	s_mov_b32 s0, -1
	s_mov_b32 s53, s49
	s_branch .LBB56_575
.LBB56_572:
	s_or_saveexec_b32 s3, s3
                                        ; implicit-def: $sgpr4
	s_delay_alu instid0(SALU_CYCLE_1)
	s_xor_b32 exec_lo, exec_lo, s3
	s_cbranch_execz .LBB56_388
.LBB56_573:
	v_add_f32_e64 v8, 0x42800000, |v7|
	s_and_not1_b32 s2, s2, exec_lo
	s_mov_b32 s4, 0
	s_delay_alu instid0(VALU_DEP_1) | instskip(NEXT) | instid1(VALU_DEP_1)
	v_and_b32_e32 v8, 0xff, v8
	v_cmp_ne_u32_e32 vcc_lo, 0, v8
	s_and_b32 s5, vcc_lo, exec_lo
	s_delay_alu instid0(SALU_CYCLE_1)
	s_or_b32 s2, s2, s5
	s_or_b32 exec_lo, exec_lo, s3
	v_mov_b32_e32 v9, s4
	s_and_saveexec_b32 s3, s2
	s_cbranch_execnz .LBB56_389
	s_branch .LBB56_390
.LBB56_574:
	s_mov_b32 s53, -1
.LBB56_575:
                                        ; implicit-def: $vgpr2_vgpr3
.LBB56_576:
	s_and_b32 vcc_lo, exec_lo, s0
	s_cbranch_vccz .LBB56_581
; %bb.577:
	v_cmp_eq_u16_e32 vcc_lo, 44, v42
	s_cbranch_vccz .LBB56_579
; %bb.578:
	global_load_u8 v2, v[4:5], off
	s_mov_b32 s53, 0
	s_mov_b32 s2, -1
	s_mov_b64 s[0:1], 0
	s_waitcnt vmcnt(0)
	v_cmp_ne_u32_e32 vcc_lo, 0xff, v2
	v_lshlrev_b32_e32 v0, 23, v2
	s_delay_alu instid0(VALU_DEP_1) | instskip(NEXT) | instid1(VALU_DEP_1)
	v_cvt_f64_f32_e32 v[0:1], v0
	v_cndmask_b32_e32 v1, 0x7ff80000, v1, vcc_lo
	s_delay_alu instid0(VALU_DEP_2) | instskip(SKIP_1) | instid1(VALU_DEP_3)
	v_cndmask_b32_e32 v0, 0x20000000, v0, vcc_lo
	v_cmp_ne_u32_e32 vcc_lo, 0, v2
	v_cndmask_b32_e32 v1, 0x38000000, v1, vcc_lo
	s_delay_alu instid0(VALU_DEP_3)
	v_cndmask_b32_e32 v0, 0, v0, vcc_lo
	s_branch .LBB56_580
.LBB56_579:
	s_mov_b32 s53, -1
                                        ; implicit-def: $sgpr0_sgpr1
                                        ; implicit-def: $vgpr0_vgpr1
.LBB56_580:
	v_dual_mov_b32 v3, s1 :: v_dual_mov_b32 v2, s0
.LBB56_581:
	s_mov_b32 s0, 0
.LBB56_582:
	s_delay_alu instid0(SALU_CYCLE_1)
	s_and_b32 vcc_lo, exec_lo, s0
	s_cbranch_vccz .LBB56_587
; %bb.583:
	v_cmp_eq_u16_e32 vcc_lo, 29, v42
	s_cbranch_vccz .LBB56_585
; %bb.584:
	global_load_b64 v[0:1], v[4:5], off
	s_mov_b32 s2, -1
	s_mov_b32 s53, 0
	s_mov_b64 s[0:1], 0
	s_waitcnt vmcnt(0)
	v_cvt_f64_u32_e32 v[1:2], v1
	v_cvt_f64_u32_e32 v[6:7], v0
	s_delay_alu instid0(VALU_DEP_2) | instskip(NEXT) | instid1(VALU_DEP_1)
	v_ldexp_f64 v[1:2], v[1:2], 32
	v_add_f64 v[0:1], v[1:2], v[6:7]
	s_branch .LBB56_586
.LBB56_585:
	s_mov_b32 s53, -1
                                        ; implicit-def: $sgpr0_sgpr1
                                        ; implicit-def: $vgpr0_vgpr1
.LBB56_586:
	v_dual_mov_b32 v3, s1 :: v_dual_mov_b32 v2, s0
.LBB56_587:
	s_mov_b32 s0, 0
.LBB56_588:
	s_delay_alu instid0(SALU_CYCLE_1)
	s_and_b32 vcc_lo, exec_lo, s0
	s_cbranch_vccz .LBB56_608
; %bb.589:
	v_cmp_gt_i16_e32 vcc_lo, 27, v42
	s_cbranch_vccnz .LBB56_592
; %bb.590:
	v_cmp_lt_i16_e32 vcc_lo, 27, v42
	s_cbranch_vccz .LBB56_593
; %bb.591:
	global_load_b32 v0, v[4:5], off
	s_mov_b32 s2, 0
	s_mov_b64 s[0:1], 0
	s_waitcnt vmcnt(0)
	v_cvt_f64_u32_e32 v[0:1], v0
	s_branch .LBB56_594
.LBB56_592:
	s_mov_b32 s2, -1
                                        ; implicit-def: $sgpr0_sgpr1
                                        ; implicit-def: $vgpr0_vgpr1
	s_branch .LBB56_597
.LBB56_593:
	s_mov_b32 s2, -1
                                        ; implicit-def: $sgpr0_sgpr1
                                        ; implicit-def: $vgpr0_vgpr1
.LBB56_594:
	s_delay_alu instid0(SALU_CYCLE_1)
	s_and_not1_b32 vcc_lo, exec_lo, s2
	s_cbranch_vccnz .LBB56_596
; %bb.595:
	global_load_u16 v0, v[4:5], off
	s_mov_b64 s[0:1], 0
	s_waitcnt vmcnt(0)
	v_cvt_f64_u32_e32 v[0:1], v0
.LBB56_596:
	s_mov_b32 s2, 0
.LBB56_597:
	v_dual_mov_b32 v3, s1 :: v_dual_mov_b32 v2, s0
	s_and_not1_b32 vcc_lo, exec_lo, s2
	s_cbranch_vccnz .LBB56_607
; %bb.598:
	global_load_u8 v6, v[4:5], off
	s_mov_b32 s4, 0
	s_mov_b32 s5, exec_lo
                                        ; implicit-def: $sgpr0_sgpr1
                                        ; implicit-def: $sgpr2_sgpr3
	s_waitcnt vmcnt(0)
	v_cmpx_lt_i16_e32 0x7f, v6
	s_xor_b32 s5, exec_lo, s5
	s_cbranch_execz .LBB56_602
; %bb.599:
	s_mov_b32 s4, -1
	s_mov_b32 s6, exec_lo
                                        ; implicit-def: $sgpr0_sgpr1
                                        ; implicit-def: $sgpr2_sgpr3
	v_cmpx_eq_u16_e32 0x80, v6
; %bb.600:
	s_mov_b64 s[0:1], 0
	s_mov_b32 s3, 0x7ff80000
	s_brev_b32 s2, 4
	s_xor_b32 s4, exec_lo, -1
; %bb.601:
	s_or_b32 exec_lo, exec_lo, s6
	s_delay_alu instid0(SALU_CYCLE_1)
	s_and_b32 s4, s4, exec_lo
.LBB56_602:
	s_or_saveexec_b32 s5, s5
	v_dual_mov_b32 v3, s1 :: v_dual_mov_b32 v2, s0
	v_dual_mov_b32 v0, s2 :: v_dual_mov_b32 v1, s3
	s_xor_b32 exec_lo, exec_lo, s5
; %bb.603:
	v_mov_b32_e32 v2, 0
	v_mov_b32_e32 v3, 0
	v_cmp_ne_u16_e32 vcc_lo, 0, v6
	s_delay_alu instid0(VALU_DEP_3) | instskip(SKIP_1) | instid1(VALU_DEP_3)
	v_mov_b32_e32 v0, v2
	s_and_not1_b32 s0, s4, exec_lo
	v_mov_b32_e32 v1, v3
	s_and_b32 s1, vcc_lo, exec_lo
	s_delay_alu instid0(SALU_CYCLE_1)
	s_or_b32 s4, s0, s1
; %bb.604:
	s_or_b32 exec_lo, exec_lo, s5
	s_and_saveexec_b32 s0, s4
	s_cbranch_execz .LBB56_606
; %bb.605:
	v_and_b32_e32 v0, 0xffff, v6
	v_lshlrev_b32_e32 v6, 24, v6
	s_delay_alu instid0(VALU_DEP_2) | instskip(NEXT) | instid1(VALU_DEP_1)
	v_and_b32_e32 v1, 7, v0
	v_clz_i32_u32_e32 v2, v1
	s_delay_alu instid0(VALU_DEP_1) | instskip(NEXT) | instid1(VALU_DEP_1)
	v_min_u32_e32 v2, 32, v2
	v_subrev_nc_u32_e32 v3, 28, v2
	v_sub_nc_u32_e32 v2, 29, v2
	s_delay_alu instid0(VALU_DEP_2) | instskip(SKIP_1) | instid1(VALU_DEP_2)
	v_lshlrev_b32_e32 v3, v3, v0
	v_bfe_u32 v0, v0, 3, 4
	v_and_b32_e32 v3, 7, v3
	s_delay_alu instid0(VALU_DEP_2) | instskip(NEXT) | instid1(VALU_DEP_2)
	v_cmp_eq_u32_e32 vcc_lo, 0, v0
	v_dual_cndmask_b32 v0, v0, v2 :: v_dual_cndmask_b32 v1, v1, v3
	v_and_b32_e32 v2, 0x80000000, v6
	s_delay_alu instid0(VALU_DEP_2) | instskip(NEXT) | instid1(VALU_DEP_3)
	v_lshl_add_u32 v0, v0, 23, 0x3b800000
	v_lshlrev_b32_e32 v1, 20, v1
	s_delay_alu instid0(VALU_DEP_1) | instskip(SKIP_2) | instid1(VALU_DEP_3)
	v_or3_b32 v0, v2, v0, v1
	v_mov_b32_e32 v2, 0
	v_mov_b32_e32 v3, 0
	v_cvt_f64_f32_e32 v[0:1], v0
.LBB56_606:
	s_or_b32 exec_lo, exec_lo, s0
.LBB56_607:
	s_mov_b32 s2, -1
.LBB56_608:
	s_mov_b32 s0, 0
.LBB56_609:
	s_delay_alu instid0(SALU_CYCLE_1)
	s_and_b32 vcc_lo, exec_lo, s0
	s_cbranch_vccz .LBB56_643
; %bb.610:
	v_cmp_lt_i16_e32 vcc_lo, 22, v42
	s_cbranch_vccz .LBB56_622
; %bb.611:
	v_cmp_gt_i16_e32 vcc_lo, 24, v42
	s_cbranch_vccnz .LBB56_623
; %bb.612:
	v_cmp_lt_i16_e32 vcc_lo, 24, v42
	s_cbranch_vccz .LBB56_624
; %bb.613:
	global_load_u8 v6, v[4:5], off
	s_mov_b32 s4, 0
	s_mov_b32 s5, exec_lo
                                        ; implicit-def: $sgpr0_sgpr1
                                        ; implicit-def: $sgpr2_sgpr3
	s_waitcnt vmcnt(0)
	v_cmpx_lt_i16_e32 0x7f, v6
	s_xor_b32 s5, exec_lo, s5
	s_cbranch_execz .LBB56_617
; %bb.614:
	s_mov_b32 s4, -1
	s_mov_b32 s6, exec_lo
                                        ; implicit-def: $sgpr0_sgpr1
                                        ; implicit-def: $sgpr2_sgpr3
	v_cmpx_eq_u16_e32 0x80, v6
; %bb.615:
	s_mov_b64 s[0:1], 0
	s_mov_b32 s3, 0x7ff80000
	s_brev_b32 s2, 4
	s_xor_b32 s4, exec_lo, -1
; %bb.616:
	s_or_b32 exec_lo, exec_lo, s6
	s_delay_alu instid0(SALU_CYCLE_1)
	s_and_b32 s4, s4, exec_lo
.LBB56_617:
	s_or_saveexec_b32 s5, s5
	v_dual_mov_b32 v3, s1 :: v_dual_mov_b32 v2, s0
	v_dual_mov_b32 v0, s2 :: v_dual_mov_b32 v1, s3
	s_xor_b32 exec_lo, exec_lo, s5
; %bb.618:
	v_mov_b32_e32 v2, 0
	v_mov_b32_e32 v3, 0
	v_cmp_ne_u16_e32 vcc_lo, 0, v6
	s_delay_alu instid0(VALU_DEP_3) | instskip(SKIP_1) | instid1(VALU_DEP_3)
	v_mov_b32_e32 v0, v2
	s_and_not1_b32 s0, s4, exec_lo
	v_mov_b32_e32 v1, v3
	s_and_b32 s1, vcc_lo, exec_lo
	s_delay_alu instid0(SALU_CYCLE_1)
	s_or_b32 s4, s0, s1
; %bb.619:
	s_or_b32 exec_lo, exec_lo, s5
	s_and_saveexec_b32 s0, s4
	s_cbranch_execz .LBB56_621
; %bb.620:
	v_and_b32_e32 v0, 0xffff, v6
	v_lshlrev_b32_e32 v6, 24, v6
	s_delay_alu instid0(VALU_DEP_2) | instskip(NEXT) | instid1(VALU_DEP_1)
	v_and_b32_e32 v1, 3, v0
	v_clz_i32_u32_e32 v2, v1
	s_delay_alu instid0(VALU_DEP_1) | instskip(NEXT) | instid1(VALU_DEP_1)
	v_min_u32_e32 v2, 32, v2
	v_subrev_nc_u32_e32 v3, 29, v2
	v_sub_nc_u32_e32 v2, 30, v2
	s_delay_alu instid0(VALU_DEP_2) | instskip(SKIP_1) | instid1(VALU_DEP_2)
	v_lshlrev_b32_e32 v3, v3, v0
	v_bfe_u32 v0, v0, 2, 5
	v_and_b32_e32 v3, 3, v3
	s_delay_alu instid0(VALU_DEP_2) | instskip(NEXT) | instid1(VALU_DEP_2)
	v_cmp_eq_u32_e32 vcc_lo, 0, v0
	v_dual_cndmask_b32 v0, v0, v2 :: v_dual_cndmask_b32 v1, v1, v3
	v_and_b32_e32 v2, 0x80000000, v6
	s_delay_alu instid0(VALU_DEP_2) | instskip(NEXT) | instid1(VALU_DEP_3)
	v_lshl_add_u32 v0, v0, 23, 0x37800000
	v_lshlrev_b32_e32 v1, 21, v1
	s_delay_alu instid0(VALU_DEP_1) | instskip(SKIP_2) | instid1(VALU_DEP_3)
	v_or3_b32 v0, v2, v0, v1
	v_mov_b32_e32 v2, 0
	v_mov_b32_e32 v3, 0
	v_cvt_f64_f32_e32 v[0:1], v0
.LBB56_621:
	s_or_b32 exec_lo, exec_lo, s0
	s_mov_b32 s0, 0
	s_branch .LBB56_625
.LBB56_622:
	s_mov_b32 s0, -1
                                        ; implicit-def: $vgpr2_vgpr3
	s_branch .LBB56_631
.LBB56_623:
	s_mov_b32 s0, -1
                                        ; implicit-def: $vgpr2_vgpr3
	s_branch .LBB56_628
.LBB56_624:
	s_mov_b32 s0, -1
                                        ; implicit-def: $vgpr2_vgpr3
.LBB56_625:
	s_delay_alu instid0(SALU_CYCLE_1)
	s_and_b32 vcc_lo, exec_lo, s0
	s_cbranch_vccz .LBB56_627
; %bb.626:
	global_load_u8 v0, v[4:5], off
	s_waitcnt vmcnt(0)
	v_lshlrev_b32_e32 v0, 24, v0
	s_delay_alu instid0(VALU_DEP_1) | instskip(NEXT) | instid1(VALU_DEP_1)
	v_and_b32_e32 v1, 0x7f000000, v0
	v_clz_i32_u32_e32 v2, v1
	v_add_nc_u32_e32 v6, 0x1000000, v1
	v_cmp_ne_u32_e32 vcc_lo, 0, v1
	s_delay_alu instid0(VALU_DEP_3) | instskip(NEXT) | instid1(VALU_DEP_1)
	v_min_u32_e32 v2, 32, v2
	v_sub_nc_u32_e64 v2, v2, 4 clamp
	s_delay_alu instid0(VALU_DEP_1) | instskip(SKIP_1) | instid1(VALU_DEP_2)
	v_lshlrev_b32_e32 v3, v2, v1
	v_lshlrev_b32_e32 v2, 23, v2
	v_lshrrev_b32_e32 v3, 4, v3
	s_delay_alu instid0(VALU_DEP_1) | instskip(SKIP_1) | instid1(VALU_DEP_2)
	v_sub_nc_u32_e32 v2, v3, v2
	v_ashrrev_i32_e32 v3, 8, v6
	v_add_nc_u32_e32 v2, 0x3c000000, v2
	s_delay_alu instid0(VALU_DEP_1) | instskip(NEXT) | instid1(VALU_DEP_1)
	v_and_or_b32 v2, 0x7f800000, v3, v2
	v_dual_cndmask_b32 v1, 0, v2 :: v_dual_mov_b32 v2, 0
	v_mov_b32_e32 v3, 0
	s_delay_alu instid0(VALU_DEP_2) | instskip(NEXT) | instid1(VALU_DEP_1)
	v_and_or_b32 v0, 0x80000000, v0, v1
	v_cvt_f64_f32_e32 v[0:1], v0
.LBB56_627:
	s_mov_b32 s0, 0
.LBB56_628:
	s_delay_alu instid0(SALU_CYCLE_1)
	s_and_not1_b32 vcc_lo, exec_lo, s0
	s_cbranch_vccnz .LBB56_630
; %bb.629:
	global_load_u8 v0, v[4:5], off
	s_waitcnt vmcnt(0)
	v_lshlrev_b32_e32 v1, 25, v0
	v_lshlrev_b16 v0, 8, v0
	s_delay_alu instid0(VALU_DEP_2) | instskip(NEXT) | instid1(VALU_DEP_2)
	v_lshrrev_b32_e32 v2, 4, v1
	v_and_or_b32 v3, 0x7f00, v0, 0.5
	v_bfe_i32 v0, v0, 0, 16
	s_delay_alu instid0(VALU_DEP_3) | instskip(NEXT) | instid1(VALU_DEP_1)
	v_or_b32_e32 v2, 0x70000000, v2
	v_dual_add_f32 v3, -0.5, v3 :: v_dual_mul_f32 v2, 0x7800000, v2
	v_cmp_gt_u32_e32 vcc_lo, 0x8000000, v1
	s_delay_alu instid0(VALU_DEP_2) | instskip(SKIP_1) | instid1(VALU_DEP_2)
	v_dual_cndmask_b32 v1, v2, v3 :: v_dual_mov_b32 v2, 0
	v_mov_b32_e32 v3, 0
	v_and_or_b32 v0, 0x80000000, v0, v1
	s_delay_alu instid0(VALU_DEP_1)
	v_cvt_f64_f32_e32 v[0:1], v0
.LBB56_630:
	s_mov_b32 s0, 0
	s_mov_b32 s2, -1
.LBB56_631:
	s_and_not1_b32 vcc_lo, exec_lo, s0
	s_cbranch_vccnz .LBB56_643
; %bb.632:
	v_cmp_lt_i16_e32 vcc_lo, 14, v42
	s_cbranch_vccz .LBB56_635
; %bb.633:
	v_cmp_eq_u16_e32 vcc_lo, 15, v42
	s_cbranch_vccz .LBB56_636
; %bb.634:
	global_load_u16 v0, v[4:5], off
	s_mov_b32 s2, -1
	s_mov_b32 s53, 0
	s_mov_b64 s[0:1], 0
	s_waitcnt vmcnt(0)
	v_lshlrev_b32_e32 v0, 16, v0
	s_delay_alu instid0(VALU_DEP_1)
	v_cvt_f64_f32_e32 v[0:1], v0
	s_branch .LBB56_637
.LBB56_635:
	s_mov_b32 s3, -1
                                        ; implicit-def: $sgpr0_sgpr1
                                        ; implicit-def: $vgpr0_vgpr1
	s_branch .LBB56_638
.LBB56_636:
	s_mov_b32 s53, -1
                                        ; implicit-def: $sgpr0_sgpr1
                                        ; implicit-def: $vgpr0_vgpr1
.LBB56_637:
	s_mov_b32 s3, 0
.LBB56_638:
	s_delay_alu instid0(SALU_CYCLE_1)
	s_and_b32 vcc_lo, exec_lo, s3
	s_cbranch_vccz .LBB56_642
; %bb.639:
	v_cmp_eq_u16_e32 vcc_lo, 11, v42
	s_cbranch_vccz .LBB56_641
; %bb.640:
	global_load_u8 v0, v[4:5], off
	s_mov_b32 s53, 0
	s_mov_b32 s2, -1
	s_mov_b64 s[0:1], 0
	s_waitcnt vmcnt(0)
	v_cmp_ne_u16_e32 vcc_lo, 0, v0
	v_mov_b32_e32 v0, 0
	v_cndmask_b32_e64 v1, 0, 0x3ff00000, vcc_lo
	s_branch .LBB56_642
.LBB56_641:
	s_mov_b32 s53, -1
                                        ; implicit-def: $sgpr0_sgpr1
                                        ; implicit-def: $vgpr0_vgpr1
.LBB56_642:
	v_dual_mov_b32 v3, s1 :: v_dual_mov_b32 v2, s0
.LBB56_643:
	s_mov_b32 s0, 0
.LBB56_644:
	s_delay_alu instid0(SALU_CYCLE_1)
	s_and_b32 vcc_lo, exec_lo, s0
	s_cbranch_vccz .LBB56_695
; %bb.645:
	v_cmp_gt_i16_e32 vcc_lo, 5, v42
	s_cbranch_vccnz .LBB56_650
; %bb.646:
	v_cmp_gt_i16_e32 vcc_lo, 8, v42
	s_cbranch_vccnz .LBB56_651
	;; [unrolled: 3-line block ×3, first 2 shown]
; %bb.648:
	v_cmp_lt_i16_e32 vcc_lo, 9, v42
	s_cbranch_vccz .LBB56_653
; %bb.649:
	global_load_b128 v[0:3], v[4:5], off
	s_mov_b32 s0, 0
	s_branch .LBB56_654
.LBB56_650:
	s_mov_b32 s0, -1
                                        ; implicit-def: $vgpr2_vgpr3
	s_branch .LBB56_673
.LBB56_651:
	s_mov_b32 s0, -1
                                        ; implicit-def: $vgpr2_vgpr3
	s_branch .LBB56_660
.LBB56_652:
	s_mov_b32 s0, -1
                                        ; implicit-def: $vgpr2_vgpr3
	s_branch .LBB56_657
.LBB56_653:
	s_mov_b32 s0, -1
                                        ; implicit-def: $vgpr2_vgpr3
.LBB56_654:
	s_delay_alu instid0(SALU_CYCLE_1)
	s_and_not1_b32 vcc_lo, exec_lo, s0
	s_cbranch_vccnz .LBB56_656
; %bb.655:
	global_load_b64 v[1:2], v[4:5], off
	s_waitcnt vmcnt(0)
	v_cvt_f64_f32_e32 v[0:1], v1
	v_cvt_f64_f32_e32 v[2:3], v2
.LBB56_656:
	s_mov_b32 s0, 0
.LBB56_657:
	s_delay_alu instid0(SALU_CYCLE_1)
	s_and_not1_b32 vcc_lo, exec_lo, s0
	s_cbranch_vccnz .LBB56_659
; %bb.658:
	global_load_b32 v0, v[4:5], off
	s_waitcnt vmcnt(0)
	v_lshrrev_b32_e32 v1, 16, v0
	v_cvt_f32_f16_e32 v0, v0
	s_delay_alu instid0(VALU_DEP_2) | instskip(NEXT) | instid1(VALU_DEP_2)
	v_cvt_f32_f16_e32 v2, v1
	v_cvt_f64_f32_e32 v[0:1], v0
	s_delay_alu instid0(VALU_DEP_2)
	v_cvt_f64_f32_e32 v[2:3], v2
.LBB56_659:
	s_mov_b32 s0, 0
.LBB56_660:
	s_delay_alu instid0(SALU_CYCLE_1)
	s_and_not1_b32 vcc_lo, exec_lo, s0
	s_cbranch_vccnz .LBB56_672
; %bb.661:
	v_cmp_gt_i16_e32 vcc_lo, 6, v42
	s_cbranch_vccnz .LBB56_664
; %bb.662:
	v_cmp_lt_i16_e32 vcc_lo, 6, v42
	s_cbranch_vccz .LBB56_665
; %bb.663:
	global_load_b64 v[0:1], v[4:5], off
	s_mov_b32 s2, 0
	s_mov_b64 s[0:1], 0
	s_branch .LBB56_666
.LBB56_664:
	s_mov_b32 s2, -1
                                        ; implicit-def: $sgpr0_sgpr1
                                        ; implicit-def: $vgpr0_vgpr1
	s_branch .LBB56_669
.LBB56_665:
	s_mov_b32 s2, -1
                                        ; implicit-def: $sgpr0_sgpr1
                                        ; implicit-def: $vgpr0_vgpr1
.LBB56_666:
	s_delay_alu instid0(SALU_CYCLE_1)
	s_and_not1_b32 vcc_lo, exec_lo, s2
	s_cbranch_vccnz .LBB56_668
; %bb.667:
	global_load_b32 v0, v[4:5], off
	s_mov_b64 s[0:1], 0
	s_waitcnt vmcnt(0)
	v_cvt_f64_f32_e32 v[0:1], v0
.LBB56_668:
	s_mov_b32 s2, 0
.LBB56_669:
	s_delay_alu instid0(SALU_CYCLE_1)
	s_and_not1_b32 vcc_lo, exec_lo, s2
	s_cbranch_vccnz .LBB56_671
; %bb.670:
	global_load_u16 v0, v[4:5], off
	s_mov_b64 s[0:1], 0
	s_waitcnt vmcnt(0)
	v_cvt_f32_f16_e32 v0, v0
	s_delay_alu instid0(VALU_DEP_1)
	v_cvt_f64_f32_e32 v[0:1], v0
.LBB56_671:
	s_waitcnt vmcnt(0)
	v_dual_mov_b32 v3, s1 :: v_dual_mov_b32 v2, s0
.LBB56_672:
	s_mov_b32 s0, 0
.LBB56_673:
	s_delay_alu instid0(SALU_CYCLE_1)
	s_and_not1_b32 vcc_lo, exec_lo, s0
	s_cbranch_vccnz .LBB56_694
; %bb.674:
	v_cmp_gt_i16_e32 vcc_lo, 2, v42
	s_cbranch_vccnz .LBB56_678
; %bb.675:
	v_cmp_gt_i16_e32 vcc_lo, 3, v42
	s_cbranch_vccnz .LBB56_679
; %bb.676:
	v_cmp_lt_i16_e32 vcc_lo, 3, v42
	s_cbranch_vccz .LBB56_680
; %bb.677:
	global_load_b64 v[0:1], v[4:5], off
	s_mov_b32 s2, 0
	s_mov_b64 s[0:1], 0
	s_waitcnt vmcnt(0)
	v_cvt_f64_i32_e32 v[1:2], v1
	v_cvt_f64_u32_e32 v[6:7], v0
	s_delay_alu instid0(VALU_DEP_2) | instskip(NEXT) | instid1(VALU_DEP_1)
	v_ldexp_f64 v[1:2], v[1:2], 32
	v_add_f64 v[0:1], v[1:2], v[6:7]
	s_branch .LBB56_681
.LBB56_678:
	s_mov_b32 s2, -1
                                        ; implicit-def: $sgpr0_sgpr1
                                        ; implicit-def: $vgpr0_vgpr1
	s_branch .LBB56_687
.LBB56_679:
	s_mov_b32 s2, -1
                                        ; implicit-def: $sgpr0_sgpr1
                                        ; implicit-def: $vgpr0_vgpr1
	s_branch .LBB56_684
.LBB56_680:
	s_mov_b32 s2, -1
                                        ; implicit-def: $sgpr0_sgpr1
                                        ; implicit-def: $vgpr0_vgpr1
.LBB56_681:
	s_delay_alu instid0(SALU_CYCLE_1)
	s_and_not1_b32 vcc_lo, exec_lo, s2
	s_cbranch_vccnz .LBB56_683
; %bb.682:
	global_load_b32 v0, v[4:5], off
	s_mov_b64 s[0:1], 0
	s_waitcnt vmcnt(0)
	v_cvt_f64_i32_e32 v[0:1], v0
.LBB56_683:
	s_mov_b32 s2, 0
.LBB56_684:
	s_delay_alu instid0(SALU_CYCLE_1)
	s_and_not1_b32 vcc_lo, exec_lo, s2
	s_cbranch_vccnz .LBB56_686
; %bb.685:
	global_load_i16 v0, v[4:5], off
	s_mov_b64 s[0:1], 0
	s_waitcnt vmcnt(0)
	v_cvt_f64_i32_e32 v[0:1], v0
.LBB56_686:
	s_mov_b32 s2, 0
.LBB56_687:
	s_delay_alu instid0(SALU_CYCLE_1)
	s_and_not1_b32 vcc_lo, exec_lo, s2
	s_cbranch_vccnz .LBB56_693
; %bb.688:
	v_cmp_lt_i16_e32 vcc_lo, 0, v42
	s_mov_b32 s2, 0
	s_cbranch_vccz .LBB56_690
; %bb.689:
	global_load_i8 v0, v[4:5], off
	s_mov_b64 s[0:1], 0
	s_waitcnt vmcnt(0)
	v_cvt_f64_i32_e32 v[0:1], v0
	s_branch .LBB56_691
.LBB56_690:
	s_mov_b32 s2, -1
                                        ; implicit-def: $sgpr0_sgpr1
                                        ; implicit-def: $vgpr0_vgpr1
.LBB56_691:
	s_delay_alu instid0(SALU_CYCLE_1)
	s_and_not1_b32 vcc_lo, exec_lo, s2
	s_cbranch_vccnz .LBB56_693
; %bb.692:
	global_load_u8 v0, v[4:5], off
	s_mov_b64 s[0:1], 0
	s_waitcnt vmcnt(0)
	v_cvt_f64_u32_e32 v[0:1], v0
.LBB56_693:
	s_waitcnt vmcnt(0)
	v_dual_mov_b32 v3, s1 :: v_dual_mov_b32 v2, s0
.LBB56_694:
	s_mov_b32 s2, -1
.LBB56_695:
	s_delay_alu instid0(SALU_CYCLE_1)
	s_and_not1_b32 vcc_lo, exec_lo, s2
	s_cbranch_vccnz .LBB56_703
; %bb.696:
	s_getpc_b64 s[0:1]
	s_add_u32 s0, s0, _ZZZZN2at6native15exp_kernel_cudaERNS_18TensorIteratorBaseEENKUlvE_clEvENKUlvE_clEvENKUlN3c107complexIdEEE_clES7_@rel32@lo+4
	s_addc_u32 s1, s1, _ZZZZN2at6native15exp_kernel_cudaERNS_18TensorIteratorBaseEENKUlvE_clEvENKUlvE_clEvENKUlN3c107complexIdEEE_clES7_@rel32@hi+12
	s_delay_alu instid0(SALU_CYCLE_1) | instskip(SKIP_2) | instid1(VALU_DEP_1)
	s_swappc_b64 s[30:31], s[0:1]
	v_and_b32_e32 v6, 0xff, v41
	v_add_co_u32 v4, s0, s20, v40
	v_add_co_ci_u32_e64 v5, null, s21, 0, s0
	s_delay_alu instid0(VALU_DEP_3)
	v_cmp_gt_i16_e32 vcc_lo, 11, v6
	s_mov_b32 s1, 0
	s_mov_b32 s2, -1
	s_mov_b32 s0, s50
	s_cbranch_vccnz .LBB56_704
; %bb.697:
	v_cmp_lt_i16_e32 vcc_lo, 25, v6
	s_cbranch_vccz .LBB56_745
; %bb.698:
	v_cmp_lt_i16_e32 vcc_lo, 28, v6
	s_cbranch_vccz .LBB56_746
	;; [unrolled: 3-line block ×4, first 2 shown]
; %bb.701:
	v_cmp_eq_u16_e32 vcc_lo, 46, v6
	s_mov_b32 s2, 0
	s_mov_b32 s0, -1
	s_cbranch_vccz .LBB56_749
; %bb.702:
	v_cvt_f32_f64_e32 v7, v[2:3]
	v_cvt_f32_f64_e32 v8, v[0:1]
	s_mov_b32 s1, -1
	s_mov_b32 s0, 0
	s_delay_alu instid0(VALU_DEP_2) | instskip(NEXT) | instid1(VALU_DEP_2)
	v_bfe_u32 v9, v7, 16, 1
	v_bfe_u32 v10, v8, 16, 1
	v_cmp_o_f32_e32 vcc_lo, v7, v7
	s_delay_alu instid0(VALU_DEP_3) | instskip(NEXT) | instid1(VALU_DEP_3)
	v_add3_u32 v9, v7, v9, 0x7fff
	v_add3_u32 v10, v8, v10, 0x7fff
	s_delay_alu instid0(VALU_DEP_2) | instskip(NEXT) | instid1(VALU_DEP_2)
	v_and_b32_e32 v9, 0xffff0000, v9
	v_lshrrev_b32_e32 v10, 16, v10
	s_delay_alu instid0(VALU_DEP_2) | instskip(SKIP_1) | instid1(VALU_DEP_3)
	v_cndmask_b32_e32 v7, 0x7fc00000, v9, vcc_lo
	v_cmp_o_f32_e32 vcc_lo, v8, v8
	v_cndmask_b32_e32 v8, 0x7fc0, v10, vcc_lo
	s_delay_alu instid0(VALU_DEP_1)
	v_or_b32_e32 v7, v7, v8
	global_store_b32 v[4:5], v7, off
	s_branch .LBB56_749
.LBB56_703:
	s_mov_b32 s1, 0
	s_mov_b32 s0, s50
	s_branch .LBB56_744
.LBB56_704:
	s_and_b32 vcc_lo, exec_lo, s2
	s_cbranch_vccz .LBB56_818
; %bb.705:
	v_cmp_gt_i16_e32 vcc_lo, 5, v6
	s_mov_b32 s1, -1
	s_cbranch_vccnz .LBB56_726
; %bb.706:
	v_cmp_gt_i16_e32 vcc_lo, 8, v6
	s_cbranch_vccnz .LBB56_716
; %bb.707:
	v_cmp_gt_i16_e32 vcc_lo, 9, v6
	s_cbranch_vccnz .LBB56_713
; %bb.708:
	v_cmp_lt_i16_e32 vcc_lo, 9, v6
	s_cbranch_vccz .LBB56_710
; %bb.709:
	s_mov_b32 s1, 0
	global_store_b128 v[4:5], v[0:3], off
.LBB56_710:
	s_and_not1_b32 vcc_lo, exec_lo, s1
	s_cbranch_vccnz .LBB56_712
; %bb.711:
	v_cvt_f32_f64_e32 v7, v[0:1]
	v_cvt_f32_f64_e32 v8, v[2:3]
	global_store_b64 v[4:5], v[7:8], off
.LBB56_712:
	s_mov_b32 s1, 0
.LBB56_713:
	s_delay_alu instid0(SALU_CYCLE_1)
	s_and_not1_b32 vcc_lo, exec_lo, s1
	s_cbranch_vccnz .LBB56_715
; %bb.714:
	v_cvt_f32_f64_e32 v2, v[2:3]
	v_cvt_f32_f64_e32 v3, v[0:1]
	s_delay_alu instid0(VALU_DEP_2) | instskip(NEXT) | instid1(VALU_DEP_2)
	v_cvt_f16_f32_e32 v2, v2
	v_cvt_f16_f32_e32 v3, v3
	s_delay_alu instid0(VALU_DEP_2) | instskip(NEXT) | instid1(VALU_DEP_2)
	v_lshlrev_b32_e32 v2, 16, v2
	v_and_b32_e32 v3, 0xffff, v3
	s_delay_alu instid0(VALU_DEP_1)
	v_or_b32_e32 v2, v2, v3
	global_store_b32 v[4:5], v2, off
.LBB56_715:
	s_mov_b32 s1, 0
.LBB56_716:
	s_delay_alu instid0(SALU_CYCLE_1)
	s_and_not1_b32 vcc_lo, exec_lo, s1
	s_cbranch_vccnz .LBB56_725
; %bb.717:
	v_cmp_gt_i16_e32 vcc_lo, 6, v6
	s_mov_b32 s1, -1
	s_cbranch_vccnz .LBB56_723
; %bb.718:
	v_cmp_lt_i16_e32 vcc_lo, 6, v6
	s_cbranch_vccz .LBB56_720
; %bb.719:
	s_mov_b32 s1, 0
	global_store_b64 v[4:5], v[0:1], off
.LBB56_720:
	s_and_not1_b32 vcc_lo, exec_lo, s1
	s_cbranch_vccnz .LBB56_722
; %bb.721:
	v_cvt_f32_f64_e32 v2, v[0:1]
	global_store_b32 v[4:5], v2, off
.LBB56_722:
	s_mov_b32 s1, 0
.LBB56_723:
	s_delay_alu instid0(SALU_CYCLE_1)
	s_and_not1_b32 vcc_lo, exec_lo, s1
	s_cbranch_vccnz .LBB56_725
; %bb.724:
	v_cvt_f32_f64_e32 v2, v[0:1]
	s_delay_alu instid0(VALU_DEP_1)
	v_cvt_f16_f32_e32 v2, v2
	global_store_b16 v[4:5], v2, off
.LBB56_725:
	s_mov_b32 s1, 0
.LBB56_726:
	s_delay_alu instid0(SALU_CYCLE_1)
	s_and_not1_b32 vcc_lo, exec_lo, s1
	s_cbranch_vccnz .LBB56_742
; %bb.727:
	v_cmp_gt_i16_e32 vcc_lo, 2, v6
	s_mov_b32 s1, -1
	s_cbranch_vccnz .LBB56_737
; %bb.728:
	v_cmp_gt_i16_e32 vcc_lo, 3, v6
	s_cbranch_vccnz .LBB56_734
; %bb.729:
	v_cmp_lt_i16_e32 vcc_lo, 3, v6
	s_cbranch_vccz .LBB56_731
; %bb.730:
	v_trunc_f64_e32 v[2:3], v[0:1]
	s_mov_b32 s1, 0
	s_delay_alu instid0(VALU_DEP_1) | instskip(NEXT) | instid1(VALU_DEP_1)
	v_ldexp_f64 v[7:8], v[2:3], 0xffffffe0
	v_floor_f64_e32 v[7:8], v[7:8]
	s_delay_alu instid0(VALU_DEP_1) | instskip(SKIP_1) | instid1(VALU_DEP_2)
	v_fma_f64 v[2:3], 0xc1f00000, v[7:8], v[2:3]
	v_cvt_i32_f64_e32 v8, v[7:8]
	v_cvt_u32_f64_e32 v7, v[2:3]
	global_store_b64 v[4:5], v[7:8], off
.LBB56_731:
	s_and_not1_b32 vcc_lo, exec_lo, s1
	s_cbranch_vccnz .LBB56_733
; %bb.732:
	v_cvt_i32_f64_e32 v2, v[0:1]
	global_store_b32 v[4:5], v2, off
.LBB56_733:
	s_mov_b32 s1, 0
.LBB56_734:
	s_delay_alu instid0(SALU_CYCLE_1)
	s_and_not1_b32 vcc_lo, exec_lo, s1
	s_cbranch_vccnz .LBB56_736
; %bb.735:
	v_cvt_i32_f64_e32 v2, v[0:1]
	global_store_b16 v[4:5], v2, off
.LBB56_736:
	s_mov_b32 s1, 0
.LBB56_737:
	s_delay_alu instid0(SALU_CYCLE_1)
	s_and_not1_b32 vcc_lo, exec_lo, s1
	s_cbranch_vccnz .LBB56_742
; %bb.738:
	v_cmp_lt_i16_e32 vcc_lo, 0, v6
	s_mov_b32 s1, -1
	s_cbranch_vccz .LBB56_740
; %bb.739:
	v_cvt_i32_f64_e32 v2, v[0:1]
	s_mov_b32 s1, 0
	global_store_b8 v[4:5], v2, off
.LBB56_740:
	s_and_not1_b32 vcc_lo, exec_lo, s1
	s_cbranch_vccnz .LBB56_742
; %bb.741:
	v_trunc_f64_e32 v[0:1], v[0:1]
	s_delay_alu instid0(VALU_DEP_1) | instskip(NEXT) | instid1(VALU_DEP_1)
	v_ldexp_f64 v[2:3], v[0:1], 0xffffffe0
	v_floor_f64_e32 v[2:3], v[2:3]
	s_delay_alu instid0(VALU_DEP_1) | instskip(NEXT) | instid1(VALU_DEP_1)
	v_fma_f64 v[0:1], 0xc1f00000, v[2:3], v[0:1]
	v_cvt_u32_f64_e32 v0, v[0:1]
	global_store_b8 v[4:5], v0, off
.LBB56_742:
	s_branch .LBB56_819
.LBB56_743:
	s_mov_b32 s1, 0
.LBB56_744:
                                        ; implicit-def: $vgpr43
	s_branch .LBB56_820
.LBB56_745:
	s_mov_b32 s0, s50
	s_branch .LBB56_776
.LBB56_746:
	s_mov_b32 s0, s50
	s_branch .LBB56_759
.LBB56_747:
	s_mov_b32 s0, s50
	s_branch .LBB56_755
.LBB56_748:
	s_mov_b32 s0, s50
.LBB56_749:
	s_and_b32 vcc_lo, exec_lo, s2
	s_cbranch_vccz .LBB56_754
; %bb.750:
	v_cmp_eq_u16_e32 vcc_lo, 44, v6
	s_mov_b32 s0, -1
	s_cbranch_vccz .LBB56_754
; %bb.751:
	v_cvt_f32_f64_e32 v7, v[0:1]
	v_mov_b32_e32 v8, 0xff
	s_mov_b32 s1, exec_lo
	s_delay_alu instid0(VALU_DEP_2) | instskip(NEXT) | instid1(VALU_DEP_1)
	v_bfe_u32 v9, v7, 23, 8
	v_cmpx_ne_u32_e32 0xff, v9
; %bb.752:
	v_and_b32_e32 v8, 0x400000, v7
	v_and_or_b32 v9, 0x3fffff, v7, v9
	v_lshrrev_b32_e32 v7, 23, v7
	s_delay_alu instid0(VALU_DEP_3) | instskip(NEXT) | instid1(VALU_DEP_3)
	v_cmp_ne_u32_e32 vcc_lo, 0, v8
	v_cmp_ne_u32_e64 s0, 0, v9
	s_delay_alu instid0(VALU_DEP_1) | instskip(NEXT) | instid1(SALU_CYCLE_1)
	s_and_b32 s0, vcc_lo, s0
	v_cndmask_b32_e64 v8, 0, 1, s0
	s_delay_alu instid0(VALU_DEP_1)
	v_add_nc_u32_e32 v8, v7, v8
; %bb.753:
	s_or_b32 exec_lo, exec_lo, s1
	s_mov_b32 s1, -1
	s_mov_b32 s0, 0
	global_store_b8 v[4:5], v8, off
.LBB56_754:
	s_mov_b32 s2, 0
.LBB56_755:
	s_delay_alu instid0(SALU_CYCLE_1)
	s_and_b32 vcc_lo, exec_lo, s2
	s_cbranch_vccz .LBB56_758
; %bb.756:
	v_cmp_eq_u16_e32 vcc_lo, 29, v6
	s_mov_b32 s0, -1
	s_cbranch_vccz .LBB56_758
; %bb.757:
	v_trunc_f64_e32 v[7:8], v[0:1]
	s_mov_b32 s1, -1
	s_mov_b32 s0, 0
	s_mov_b32 s2, 0
	s_delay_alu instid0(VALU_DEP_1) | instskip(NEXT) | instid1(VALU_DEP_1)
	v_ldexp_f64 v[9:10], v[7:8], 0xffffffe0
	v_floor_f64_e32 v[9:10], v[9:10]
	s_delay_alu instid0(VALU_DEP_1) | instskip(SKIP_1) | instid1(VALU_DEP_2)
	v_fma_f64 v[7:8], 0xc1f00000, v[9:10], v[7:8]
	v_cvt_u32_f64_e32 v9, v[9:10]
	v_cvt_u32_f64_e32 v8, v[7:8]
	global_store_b64 v[4:5], v[8:9], off
	s_branch .LBB56_759
.LBB56_758:
	s_mov_b32 s2, 0
.LBB56_759:
	s_delay_alu instid0(SALU_CYCLE_1)
	s_and_b32 vcc_lo, exec_lo, s2
	s_cbranch_vccz .LBB56_775
; %bb.760:
	v_cmp_gt_i16_e32 vcc_lo, 27, v6
	s_mov_b32 s1, -1
	s_cbranch_vccnz .LBB56_766
; %bb.761:
	v_cmp_lt_i16_e32 vcc_lo, 27, v6
	s_cbranch_vccz .LBB56_763
; %bb.762:
	v_cvt_u32_f64_e32 v7, v[0:1]
	s_mov_b32 s1, 0
	global_store_b32 v[4:5], v7, off
.LBB56_763:
	s_and_not1_b32 vcc_lo, exec_lo, s1
	s_cbranch_vccnz .LBB56_765
; %bb.764:
	v_cvt_u32_f64_e32 v7, v[0:1]
	global_store_b16 v[4:5], v7, off
.LBB56_765:
	s_mov_b32 s1, 0
.LBB56_766:
	s_delay_alu instid0(SALU_CYCLE_1)
	s_and_not1_b32 vcc_lo, exec_lo, s1
	s_cbranch_vccnz .LBB56_774
; %bb.767:
	v_cvt_f32_f64_e32 v7, v[0:1]
	v_mov_b32_e32 v9, 0x80
	s_mov_b32 s1, exec_lo
	s_delay_alu instid0(VALU_DEP_2) | instskip(NEXT) | instid1(VALU_DEP_1)
	v_and_b32_e32 v8, 0x7fffffff, v7
	v_cmpx_gt_u32_e32 0x43800000, v8
	s_cbranch_execz .LBB56_773
; %bb.768:
	v_cmp_lt_u32_e32 vcc_lo, 0x3bffffff, v8
	s_mov_b32 s2, 0
                                        ; implicit-def: $vgpr8
	s_and_saveexec_b32 s3, vcc_lo
	s_delay_alu instid0(SALU_CYCLE_1)
	s_xor_b32 s3, exec_lo, s3
	s_cbranch_execz .LBB56_847
; %bb.769:
	v_bfe_u32 v8, v7, 20, 1
	s_mov_b32 s2, exec_lo
	s_delay_alu instid0(VALU_DEP_1) | instskip(NEXT) | instid1(VALU_DEP_1)
	v_add3_u32 v8, v7, v8, 0x487ffff
	v_lshrrev_b32_e32 v8, 20, v8
	s_or_saveexec_b32 s3, s3
                                        ; implicit-def: $sgpr4
	s_delay_alu instid0(SALU_CYCLE_1)
	s_xor_b32 exec_lo, exec_lo, s3
	s_cbranch_execnz .LBB56_848
.LBB56_770:
	s_or_b32 exec_lo, exec_lo, s3
	v_mov_b32_e32 v9, s4
	s_and_saveexec_b32 s3, s2
.LBB56_771:
	v_lshrrev_b32_e32 v7, 24, v7
	s_delay_alu instid0(VALU_DEP_1)
	v_and_or_b32 v9, 0x80, v7, v8
.LBB56_772:
	s_or_b32 exec_lo, exec_lo, s3
.LBB56_773:
	s_delay_alu instid0(SALU_CYCLE_1)
	s_or_b32 exec_lo, exec_lo, s1
	global_store_b8 v[4:5], v9, off
.LBB56_774:
	s_mov_b32 s1, -1
.LBB56_775:
	s_mov_b32 s2, 0
.LBB56_776:
	s_delay_alu instid0(SALU_CYCLE_1)
	s_and_b32 vcc_lo, exec_lo, s2
	s_cbranch_vccz .LBB56_817
; %bb.777:
	v_cmp_lt_i16_e32 vcc_lo, 22, v6
	s_mov_b32 s2, -1
	s_cbranch_vccz .LBB56_809
; %bb.778:
	v_cmp_gt_i16_e32 vcc_lo, 24, v6
	s_mov_b32 s1, -1
	s_cbranch_vccnz .LBB56_798
; %bb.779:
	v_cmp_lt_i16_e32 vcc_lo, 24, v6
	s_cbranch_vccz .LBB56_787
; %bb.780:
	v_cvt_f32_f64_e32 v7, v[0:1]
	v_mov_b32_e32 v9, 0x80
	s_mov_b32 s1, exec_lo
	s_delay_alu instid0(VALU_DEP_2) | instskip(NEXT) | instid1(VALU_DEP_1)
	v_and_b32_e32 v8, 0x7fffffff, v7
	v_cmpx_gt_u32_e32 0x47800000, v8
	s_cbranch_execz .LBB56_786
; %bb.781:
	v_cmp_lt_u32_e32 vcc_lo, 0x37ffffff, v8
	s_mov_b32 s2, 0
                                        ; implicit-def: $vgpr8
	s_and_saveexec_b32 s3, vcc_lo
	s_delay_alu instid0(SALU_CYCLE_1)
	s_xor_b32 s3, exec_lo, s3
	s_cbranch_execz .LBB56_850
; %bb.782:
	v_bfe_u32 v8, v7, 21, 1
	s_mov_b32 s2, exec_lo
	s_delay_alu instid0(VALU_DEP_1) | instskip(NEXT) | instid1(VALU_DEP_1)
	v_add3_u32 v8, v7, v8, 0x88fffff
	v_lshrrev_b32_e32 v8, 21, v8
	s_or_saveexec_b32 s3, s3
                                        ; implicit-def: $sgpr4
	s_delay_alu instid0(SALU_CYCLE_1)
	s_xor_b32 exec_lo, exec_lo, s3
	s_cbranch_execnz .LBB56_851
.LBB56_783:
	s_or_b32 exec_lo, exec_lo, s3
	v_mov_b32_e32 v9, s4
	s_and_saveexec_b32 s3, s2
.LBB56_784:
	v_lshrrev_b32_e32 v7, 24, v7
	s_delay_alu instid0(VALU_DEP_1)
	v_and_or_b32 v9, 0x80, v7, v8
.LBB56_785:
	s_or_b32 exec_lo, exec_lo, s3
.LBB56_786:
	s_delay_alu instid0(SALU_CYCLE_1)
	s_or_b32 exec_lo, exec_lo, s1
	s_mov_b32 s1, 0
	global_store_b8 v[4:5], v9, off
.LBB56_787:
	s_and_b32 vcc_lo, exec_lo, s1
	s_cbranch_vccz .LBB56_797
; %bb.788:
	v_cvt_f32_f64_e32 v7, v[0:1]
	s_mov_b32 s1, exec_lo
                                        ; implicit-def: $vgpr8
	s_delay_alu instid0(VALU_DEP_1) | instskip(NEXT) | instid1(VALU_DEP_1)
	v_and_b32_e32 v9, 0x7fffffff, v7
	v_cmpx_gt_u32_e32 0x43f00000, v9
	s_xor_b32 s1, exec_lo, s1
	s_cbranch_execz .LBB56_794
; %bb.789:
	s_mov_b32 s2, exec_lo
                                        ; implicit-def: $vgpr8
	v_cmpx_lt_u32_e32 0x3c7fffff, v9
	s_xor_b32 s2, exec_lo, s2
; %bb.790:
	v_bfe_u32 v8, v7, 20, 1
	s_delay_alu instid0(VALU_DEP_1) | instskip(NEXT) | instid1(VALU_DEP_1)
	v_add3_u32 v8, v7, v8, 0x407ffff
	v_and_b32_e32 v9, 0xff00000, v8
	v_lshrrev_b32_e32 v8, 20, v8
	s_delay_alu instid0(VALU_DEP_2) | instskip(NEXT) | instid1(VALU_DEP_2)
	v_cmp_ne_u32_e32 vcc_lo, 0x7f00000, v9
	v_cndmask_b32_e32 v8, 0x7e, v8, vcc_lo
; %bb.791:
	s_and_not1_saveexec_b32 s2, s2
; %bb.792:
	v_add_f32_e64 v8, 0x46800000, |v7|
; %bb.793:
	s_or_b32 exec_lo, exec_lo, s2
                                        ; implicit-def: $vgpr9
.LBB56_794:
	s_and_not1_saveexec_b32 s1, s1
; %bb.795:
	v_mov_b32_e32 v8, 0x7f
	v_cmp_lt_u32_e32 vcc_lo, 0x7f800000, v9
	s_delay_alu instid0(VALU_DEP_2)
	v_cndmask_b32_e32 v8, 0x7e, v8, vcc_lo
; %bb.796:
	s_or_b32 exec_lo, exec_lo, s1
	v_lshrrev_b32_e32 v7, 24, v7
	s_delay_alu instid0(VALU_DEP_1)
	v_and_or_b32 v7, 0x80, v7, v8
	global_store_b8 v[4:5], v7, off
.LBB56_797:
	s_mov_b32 s1, 0
.LBB56_798:
	s_delay_alu instid0(SALU_CYCLE_1)
	s_and_not1_b32 vcc_lo, exec_lo, s1
	s_cbranch_vccnz .LBB56_808
; %bb.799:
	v_cvt_f32_f64_e32 v7, v[0:1]
	s_mov_b32 s1, exec_lo
                                        ; implicit-def: $vgpr8
	s_delay_alu instid0(VALU_DEP_1) | instskip(NEXT) | instid1(VALU_DEP_1)
	v_and_b32_e32 v9, 0x7fffffff, v7
	v_cmpx_gt_u32_e32 0x47800000, v9
	s_xor_b32 s1, exec_lo, s1
	s_cbranch_execz .LBB56_805
; %bb.800:
	s_mov_b32 s2, exec_lo
                                        ; implicit-def: $vgpr8
	v_cmpx_lt_u32_e32 0x387fffff, v9
	s_xor_b32 s2, exec_lo, s2
; %bb.801:
	v_bfe_u32 v8, v7, 21, 1
	s_delay_alu instid0(VALU_DEP_1) | instskip(NEXT) | instid1(VALU_DEP_1)
	v_add3_u32 v8, v7, v8, 0x80fffff
	v_lshrrev_b32_e32 v8, 21, v8
; %bb.802:
	s_and_not1_saveexec_b32 s2, s2
; %bb.803:
	v_add_f32_e64 v8, 0x43000000, |v7|
; %bb.804:
	s_or_b32 exec_lo, exec_lo, s2
                                        ; implicit-def: $vgpr9
.LBB56_805:
	s_and_not1_saveexec_b32 s1, s1
; %bb.806:
	v_mov_b32_e32 v8, 0x7f
	v_cmp_lt_u32_e32 vcc_lo, 0x7f800000, v9
	s_delay_alu instid0(VALU_DEP_2)
	v_cndmask_b32_e32 v8, 0x7c, v8, vcc_lo
; %bb.807:
	s_or_b32 exec_lo, exec_lo, s1
	v_lshrrev_b32_e32 v7, 24, v7
	s_delay_alu instid0(VALU_DEP_1)
	v_and_or_b32 v7, 0x80, v7, v8
	global_store_b8 v[4:5], v7, off
.LBB56_808:
	s_mov_b32 s2, 0
	s_mov_b32 s1, -1
.LBB56_809:
	s_and_not1_b32 vcc_lo, exec_lo, s2
	s_cbranch_vccnz .LBB56_817
; %bb.810:
	v_cmp_lt_i16_e32 vcc_lo, 14, v6
	s_mov_b32 s2, -1
	s_cbranch_vccz .LBB56_814
; %bb.811:
	v_cmp_eq_u16_e32 vcc_lo, 15, v6
	s_mov_b32 s0, -1
	s_cbranch_vccz .LBB56_813
; %bb.812:
	v_cvt_f32_f64_e32 v7, v[0:1]
	s_mov_b32 s1, -1
	s_mov_b32 s0, 0
	s_delay_alu instid0(VALU_DEP_1) | instskip(SKIP_1) | instid1(VALU_DEP_2)
	v_bfe_u32 v8, v7, 16, 1
	v_cmp_o_f32_e32 vcc_lo, v7, v7
	v_add3_u32 v8, v7, v8, 0x7fff
	s_delay_alu instid0(VALU_DEP_1) | instskip(NEXT) | instid1(VALU_DEP_1)
	v_lshrrev_b32_e32 v8, 16, v8
	v_cndmask_b32_e32 v7, 0x7fc0, v8, vcc_lo
	global_store_b16 v[4:5], v7, off
.LBB56_813:
	s_mov_b32 s2, 0
.LBB56_814:
	s_delay_alu instid0(SALU_CYCLE_1)
	s_and_b32 vcc_lo, exec_lo, s2
	s_cbranch_vccz .LBB56_817
; %bb.815:
	v_cmp_eq_u16_e32 vcc_lo, 11, v6
	s_mov_b32 s0, -1
	s_cbranch_vccz .LBB56_817
; %bb.816:
	v_cmp_neq_f64_e32 vcc_lo, 0, v[0:1]
	v_cmp_neq_f64_e64 s0, 0, v[2:3]
	s_mov_b32 s1, -1
	s_delay_alu instid0(VALU_DEP_1) | instskip(NEXT) | instid1(SALU_CYCLE_1)
	s_or_b32 s0, vcc_lo, s0
	v_cndmask_b32_e64 v7, 0, 1, s0
	s_mov_b32 s0, 0
	global_store_b8 v[4:5], v7, off
.LBB56_817:
.LBB56_818:
	s_and_not1_b32 vcc_lo, exec_lo, s1
	s_cbranch_vccnz .LBB56_743
.LBB56_819:
	v_add_nc_u32_e32 v43, 0x80, v43
	s_mov_b32 s1, -1
.LBB56_820:
	s_and_not1_b32 s2, s50, exec_lo
	s_and_b32 s0, s0, exec_lo
	s_and_not1_b32 s3, s49, exec_lo
	s_and_b32 s4, s53, exec_lo
	s_or_b32 s5, s2, s0
	s_or_b32 s4, s3, s4
	s_or_not1_b32 s3, s1, exec_lo
.LBB56_821:
	s_or_b32 exec_lo, exec_lo, s52
	s_mov_b32 s1, 0
	s_mov_b32 s0, 0
	;; [unrolled: 1-line block ×3, first 2 shown]
                                        ; implicit-def: $vgpr0_vgpr1
                                        ; implicit-def: $vgpr40
                                        ; implicit-def: $vgpr6_vgpr7
	s_and_saveexec_b32 s6, s3
	s_cbranch_execz .LBB56_922
; %bb.822:
	s_mov_b32 s3, s4
	s_mov_b32 s7, exec_lo
                                        ; implicit-def: $vgpr0_vgpr1
                                        ; implicit-def: $vgpr40
                                        ; implicit-def: $vgpr6_vgpr7
	v_cmpx_gt_i32_e64 s43, v43
	s_cbranch_execz .LBB56_921
; %bb.823:
	s_and_not1_b32 vcc_lo, exec_lo, s40
	s_cbranch_vccnz .LBB56_828
; %bb.824:
	v_mov_b32_e32 v40, 0
	s_waitcnt vmcnt(0)
	v_mov_b32_e32 v0, 0
	s_and_not1_b32 vcc_lo, exec_lo, s45
	s_mov_b32 s8, 0
	s_cbranch_vccnz .LBB56_833
; %bb.825:
	v_mov_b32_e32 v40, 0
	s_add_i32 s44, s44, 1
	s_cmp_eq_u32 s34, 2
	s_cbranch_scc1 .LBB56_829
; %bb.826:
	v_dual_mov_b32 v0, 0 :: v_dual_mov_b32 v1, v43
	v_mov_b32_e32 v40, 0
	s_and_b32 s2, s44, 28
	s_mov_b32 s3, 0
	s_mov_b64 s[0:1], s[14:15]
.LBB56_827:                             ; =>This Inner Loop Header: Depth=1
	s_clause 0x1
	s_load_b256 s[52:59], s[0:1], 0x4
	s_load_b128 s[68:71], s[0:1], 0x24
	s_load_b256 s[60:67], s[28:29], 0x0
	s_add_u32 s0, s0, 48
	s_addc_u32 s1, s1, 0
	s_add_i32 s3, s3, 4
	s_add_u32 s28, s28, 32
	s_addc_u32 s29, s29, 0
	s_cmp_eq_u32 s2, s3
	s_waitcnt lgkmcnt(0)
	v_mul_hi_u32 v2, s53, v1
	s_delay_alu instid0(VALU_DEP_1) | instskip(NEXT) | instid1(VALU_DEP_1)
	v_add_nc_u32_e32 v2, v1, v2
	v_lshrrev_b32_e32 v2, s54, v2
	s_delay_alu instid0(VALU_DEP_1) | instskip(SKIP_1) | instid1(VALU_DEP_2)
	v_mul_hi_u32 v3, s56, v2
	v_mul_lo_u32 v5, v2, s52
	v_add_nc_u32_e32 v3, v2, v3
	s_delay_alu instid0(VALU_DEP_2) | instskip(NEXT) | instid1(VALU_DEP_2)
	v_sub_nc_u32_e32 v1, v1, v5
	v_lshrrev_b32_e32 v3, s57, v3
	s_delay_alu instid0(VALU_DEP_2) | instskip(SKIP_1) | instid1(VALU_DEP_3)
	v_mul_lo_u32 v5, v1, s60
	v_mul_lo_u32 v7, v1, s61
	v_mul_hi_u32 v4, s59, v3
	s_delay_alu instid0(VALU_DEP_1) | instskip(NEXT) | instid1(VALU_DEP_1)
	v_add_nc_u32_e32 v4, v3, v4
	v_lshrrev_b32_e32 v4, s68, v4
	s_delay_alu instid0(VALU_DEP_1) | instskip(SKIP_1) | instid1(VALU_DEP_2)
	v_mul_hi_u32 v6, s70, v4
	v_mul_lo_u32 v8, v4, s58
	v_add_nc_u32_e32 v1, v4, v6
	v_mul_lo_u32 v6, v3, s55
	s_delay_alu instid0(VALU_DEP_3) | instskip(NEXT) | instid1(VALU_DEP_3)
	v_sub_nc_u32_e32 v3, v3, v8
	v_lshrrev_b32_e32 v1, s71, v1
	s_delay_alu instid0(VALU_DEP_2) | instskip(SKIP_2) | instid1(VALU_DEP_4)
	v_mul_lo_u32 v8, v3, s64
	v_mul_lo_u32 v3, v3, s65
	v_sub_nc_u32_e32 v2, v2, v6
	v_mul_lo_u32 v9, v1, s69
	s_delay_alu instid0(VALU_DEP_2) | instskip(SKIP_1) | instid1(VALU_DEP_3)
	v_mul_lo_u32 v6, v2, s62
	v_mul_lo_u32 v2, v2, s63
	v_sub_nc_u32_e32 v4, v4, v9
	s_delay_alu instid0(VALU_DEP_3) | instskip(NEXT) | instid1(VALU_DEP_2)
	v_add3_u32 v5, v5, v40, v6
	v_mul_lo_u32 v9, v4, s66
	v_mul_lo_u32 v4, v4, s67
	v_add3_u32 v0, v7, v0, v2
	s_delay_alu instid0(VALU_DEP_3) | instskip(NEXT) | instid1(VALU_DEP_2)
	v_add3_u32 v40, v8, v5, v9
	v_add3_u32 v0, v3, v0, v4
	s_cbranch_scc0 .LBB56_827
	s_branch .LBB56_830
.LBB56_828:
	s_mov_b32 s8, -1
                                        ; implicit-def: $vgpr40
                                        ; implicit-def: $vgpr0
	s_branch .LBB56_833
.LBB56_829:
	v_dual_mov_b32 v1, v43 :: v_dual_mov_b32 v0, 0
.LBB56_830:
	s_and_b32 s9, s44, 3
	s_delay_alu instid0(SALU_CYCLE_1)
	s_cmp_eq_u32 s9, 0
	s_cbranch_scc1 .LBB56_833
; %bb.831:
	s_lshl_b32 s0, s2, 3
	s_mul_i32 s2, s2, 12
	s_add_u32 s0, s0, s14
	s_addc_u32 s1, s15, 0
	s_add_u32 s0, s0, 0xc4
	s_addc_u32 s1, s1, 0
	;; [unrolled: 2-line block ×3, first 2 shown]
.LBB56_832:                             ; =>This Inner Loop Header: Depth=1
	s_clause 0x1
	s_load_b64 s[10:11], s[2:3], 0x4
	s_load_b32 s28, s[2:3], 0xc
	s_load_b64 s[12:13], s[0:1], 0x0
	s_add_u32 s2, s2, 12
	s_addc_u32 s3, s3, 0
	s_add_u32 s0, s0, 8
	s_addc_u32 s1, s1, 0
	s_add_i32 s9, s9, -1
	s_delay_alu instid0(SALU_CYCLE_1) | instskip(SKIP_2) | instid1(VALU_DEP_1)
	s_cmp_lg_u32 s9, 0
	s_waitcnt lgkmcnt(0)
	v_mul_hi_u32 v2, s11, v1
	v_add_nc_u32_e32 v2, v1, v2
	s_delay_alu instid0(VALU_DEP_1) | instskip(NEXT) | instid1(VALU_DEP_1)
	v_lshrrev_b32_e32 v5, s28, v2
	v_mul_lo_u32 v2, v5, s10
	s_delay_alu instid0(VALU_DEP_1) | instskip(NEXT) | instid1(VALU_DEP_1)
	v_sub_nc_u32_e32 v1, v1, v2
	v_mad_u64_u32 v[2:3], null, v1, s12, v[40:41]
	v_mad_u64_u32 v[3:4], null, v1, s13, v[0:1]
	s_delay_alu instid0(VALU_DEP_2) | instskip(NEXT) | instid1(VALU_DEP_2)
	v_dual_mov_b32 v1, v5 :: v_dual_mov_b32 v40, v2
	v_mov_b32_e32 v0, v3
	s_cbranch_scc1 .LBB56_832
.LBB56_833:
	s_and_not1_b32 vcc_lo, exec_lo, s8
	s_cbranch_vccnz .LBB56_836
; %bb.834:
	s_waitcnt vmcnt(0) lgkmcnt(0)
	v_mul_hi_u32 v0, s37, v43
	s_and_not1_b32 vcc_lo, exec_lo, s42
	s_delay_alu instid0(VALU_DEP_1) | instskip(NEXT) | instid1(VALU_DEP_1)
	v_add_nc_u32_e32 v0, v43, v0
	v_lshrrev_b32_e32 v1, s38, v0
	s_delay_alu instid0(VALU_DEP_1) | instskip(NEXT) | instid1(VALU_DEP_1)
	v_mul_lo_u32 v0, v1, s36
	v_sub_nc_u32_e32 v0, v43, v0
	s_delay_alu instid0(VALU_DEP_1)
	v_mul_lo_u32 v40, v0, s24
	v_mul_lo_u32 v0, v0, s25
	s_cbranch_vccnz .LBB56_836
; %bb.835:
	v_mul_hi_u32 v2, s18, v1
	s_delay_alu instid0(VALU_DEP_1) | instskip(NEXT) | instid1(VALU_DEP_1)
	v_add_nc_u32_e32 v2, v1, v2
	v_lshrrev_b32_e32 v2, s19, v2
	s_delay_alu instid0(VALU_DEP_1) | instskip(NEXT) | instid1(VALU_DEP_1)
	v_mul_lo_u32 v2, v2, s39
	v_sub_nc_u32_e32 v4, v1, v2
	s_delay_alu instid0(VALU_DEP_1) | instskip(NEXT) | instid1(VALU_DEP_1)
	v_mad_u64_u32 v[1:2], null, v4, s26, v[40:41]
	v_mad_u64_u32 v[2:3], null, v4, s27, v[0:1]
	v_mov_b32_e32 v40, v1
	s_delay_alu instid0(VALU_DEP_2)
	v_mov_b32_e32 v0, v2
.LBB56_836:
	v_cmp_gt_i16_e32 vcc_lo, 11, v42
	s_waitcnt vmcnt(0) lgkmcnt(0)
	s_delay_alu instid0(VALU_DEP_2) | instskip(NEXT) | instid1(VALU_DEP_1)
	v_add_co_u32 v0, s0, s22, v0
	v_add_co_ci_u32_e64 v1, null, s23, 0, s0
	s_mov_b32 s2, 0
	s_cbranch_vccnz .LBB56_843
; %bb.837:
	v_cmp_lt_i16_e32 vcc_lo, 25, v42
	s_mov_b32 s9, 0
	s_cbranch_vccz .LBB56_844
; %bb.838:
	v_cmp_lt_i16_e32 vcc_lo, 28, v42
	s_cbranch_vccz .LBB56_845
; %bb.839:
	v_cmp_lt_i16_e32 vcc_lo, 43, v42
	;; [unrolled: 3-line block ×3, first 2 shown]
	s_cbranch_vccz .LBB56_849
; %bb.841:
	v_cmp_eq_u16_e32 vcc_lo, 46, v42
	s_mov_b32 s0, 0
	s_cbranch_vccz .LBB56_852
; %bb.842:
	global_load_b32 v2, v[0:1], off
	s_mov_b32 s8, 0
	s_mov_b32 s2, -1
	s_waitcnt vmcnt(0)
	v_lshlrev_b32_e32 v3, 16, v2
	v_and_b32_e32 v2, 0xffff0000, v2
	s_delay_alu instid0(VALU_DEP_2) | instskip(NEXT) | instid1(VALU_DEP_2)
	v_cvt_f64_f32_e32 v[4:5], v3
	v_cvt_f64_f32_e32 v[6:7], v2
	s_branch .LBB56_854
.LBB56_843:
	s_mov_b32 s0, -1
	s_mov_b32 s9, 0
	s_mov_b32 s8, s4
                                        ; implicit-def: $vgpr6_vgpr7
	s_branch .LBB56_920
.LBB56_844:
	s_mov_b32 s0, -1
	s_mov_b32 s8, s4
                                        ; implicit-def: $vgpr6_vgpr7
	s_branch .LBB56_887
.LBB56_845:
	s_mov_b32 s0, -1
	s_mov_b32 s8, s4
                                        ; implicit-def: $vgpr6_vgpr7
	s_branch .LBB56_866
.LBB56_846:
	s_mov_b32 s0, -1
	s_mov_b32 s8, s4
                                        ; implicit-def: $vgpr6_vgpr7
	s_branch .LBB56_860
.LBB56_847:
	s_or_saveexec_b32 s3, s3
                                        ; implicit-def: $sgpr4
	s_delay_alu instid0(SALU_CYCLE_1)
	s_xor_b32 exec_lo, exec_lo, s3
	s_cbranch_execz .LBB56_770
.LBB56_848:
	v_add_f32_e64 v8, 0x46000000, |v7|
	s_and_not1_b32 s2, s2, exec_lo
	s_mov_b32 s4, 0
	s_delay_alu instid0(VALU_DEP_1) | instskip(NEXT) | instid1(VALU_DEP_1)
	v_and_b32_e32 v8, 0xff, v8
	v_cmp_ne_u32_e32 vcc_lo, 0, v8
	s_and_b32 s5, vcc_lo, exec_lo
	s_delay_alu instid0(SALU_CYCLE_1)
	s_or_b32 s2, s2, s5
	s_or_b32 exec_lo, exec_lo, s3
	v_mov_b32_e32 v9, s4
	s_and_saveexec_b32 s3, s2
	s_cbranch_execnz .LBB56_771
	s_branch .LBB56_772
.LBB56_849:
	s_mov_b32 s0, -1
	s_mov_b32 s8, s4
	s_branch .LBB56_853
.LBB56_850:
	s_or_saveexec_b32 s3, s3
                                        ; implicit-def: $sgpr4
	s_delay_alu instid0(SALU_CYCLE_1)
	s_xor_b32 exec_lo, exec_lo, s3
	s_cbranch_execz .LBB56_783
.LBB56_851:
	v_add_f32_e64 v8, 0x42800000, |v7|
	s_and_not1_b32 s2, s2, exec_lo
	s_mov_b32 s4, 0
	s_delay_alu instid0(VALU_DEP_1) | instskip(NEXT) | instid1(VALU_DEP_1)
	v_and_b32_e32 v8, 0xff, v8
	v_cmp_ne_u32_e32 vcc_lo, 0, v8
	s_and_b32 s5, vcc_lo, exec_lo
	s_delay_alu instid0(SALU_CYCLE_1)
	s_or_b32 s2, s2, s5
	s_or_b32 exec_lo, exec_lo, s3
	v_mov_b32_e32 v9, s4
	s_and_saveexec_b32 s3, s2
	s_cbranch_execnz .LBB56_784
	s_branch .LBB56_785
.LBB56_852:
	s_mov_b32 s8, -1
.LBB56_853:
                                        ; implicit-def: $vgpr6_vgpr7
.LBB56_854:
	s_and_b32 vcc_lo, exec_lo, s0
	s_cbranch_vccz .LBB56_859
; %bb.855:
	v_cmp_eq_u16_e32 vcc_lo, 44, v42
	s_cbranch_vccz .LBB56_857
; %bb.856:
	global_load_u8 v4, v[0:1], off
	s_mov_b32 s8, 0
	s_mov_b32 s2, -1
	s_mov_b64 s[0:1], 0
	s_waitcnt vmcnt(0)
	v_cmp_ne_u32_e32 vcc_lo, 0xff, v4
	v_lshlrev_b32_e32 v2, 23, v4
	s_delay_alu instid0(VALU_DEP_1) | instskip(NEXT) | instid1(VALU_DEP_1)
	v_cvt_f64_f32_e32 v[2:3], v2
	v_cndmask_b32_e32 v3, 0x7ff80000, v3, vcc_lo
	s_delay_alu instid0(VALU_DEP_2) | instskip(SKIP_1) | instid1(VALU_DEP_3)
	v_cndmask_b32_e32 v2, 0x20000000, v2, vcc_lo
	v_cmp_ne_u32_e32 vcc_lo, 0, v4
	v_cndmask_b32_e32 v5, 0x38000000, v3, vcc_lo
	s_delay_alu instid0(VALU_DEP_3)
	v_cndmask_b32_e32 v4, 0, v2, vcc_lo
	s_branch .LBB56_858
.LBB56_857:
	s_mov_b32 s8, -1
                                        ; implicit-def: $sgpr0_sgpr1
                                        ; implicit-def: $vgpr4_vgpr5
.LBB56_858:
	v_dual_mov_b32 v7, s1 :: v_dual_mov_b32 v6, s0
.LBB56_859:
	s_mov_b32 s0, 0
.LBB56_860:
	s_delay_alu instid0(SALU_CYCLE_1)
	s_and_b32 vcc_lo, exec_lo, s0
	s_cbranch_vccz .LBB56_865
; %bb.861:
	v_cmp_eq_u16_e32 vcc_lo, 29, v42
	s_cbranch_vccz .LBB56_863
; %bb.862:
	global_load_b64 v[2:3], v[0:1], off
	s_mov_b32 s8, 0
	s_mov_b32 s2, -1
	s_mov_b64 s[0:1], 0
	s_waitcnt vmcnt(0)
	v_cvt_f64_u32_e32 v[3:4], v3
	v_cvt_f64_u32_e32 v[5:6], v2
	s_delay_alu instid0(VALU_DEP_2) | instskip(NEXT) | instid1(VALU_DEP_1)
	v_ldexp_f64 v[3:4], v[3:4], 32
	v_add_f64 v[4:5], v[3:4], v[5:6]
	s_branch .LBB56_864
.LBB56_863:
	s_mov_b32 s8, -1
                                        ; implicit-def: $sgpr0_sgpr1
                                        ; implicit-def: $vgpr4_vgpr5
.LBB56_864:
	v_dual_mov_b32 v7, s1 :: v_dual_mov_b32 v6, s0
.LBB56_865:
	s_mov_b32 s0, 0
.LBB56_866:
	s_delay_alu instid0(SALU_CYCLE_1)
	s_and_b32 vcc_lo, exec_lo, s0
	s_cbranch_vccz .LBB56_886
; %bb.867:
	v_cmp_gt_i16_e32 vcc_lo, 27, v42
	s_cbranch_vccnz .LBB56_870
; %bb.868:
	v_cmp_lt_i16_e32 vcc_lo, 27, v42
	s_cbranch_vccz .LBB56_871
; %bb.869:
	global_load_b32 v2, v[0:1], off
	s_mov_b32 s2, 0
	s_mov_b64 s[0:1], 0
	s_waitcnt vmcnt(0)
	v_cvt_f64_u32_e32 v[4:5], v2
	s_branch .LBB56_872
.LBB56_870:
	s_mov_b32 s2, -1
                                        ; implicit-def: $sgpr0_sgpr1
                                        ; implicit-def: $vgpr4_vgpr5
	s_branch .LBB56_875
.LBB56_871:
	s_mov_b32 s2, -1
                                        ; implicit-def: $sgpr0_sgpr1
                                        ; implicit-def: $vgpr4_vgpr5
.LBB56_872:
	s_delay_alu instid0(SALU_CYCLE_1)
	s_and_not1_b32 vcc_lo, exec_lo, s2
	s_cbranch_vccnz .LBB56_874
; %bb.873:
	global_load_u16 v2, v[0:1], off
	s_mov_b64 s[0:1], 0
	s_waitcnt vmcnt(0)
	v_cvt_f64_u32_e32 v[4:5], v2
.LBB56_874:
	s_mov_b32 s2, 0
.LBB56_875:
	v_dual_mov_b32 v7, s1 :: v_dual_mov_b32 v6, s0
	s_and_not1_b32 vcc_lo, exec_lo, s2
	s_cbranch_vccnz .LBB56_885
; %bb.876:
	global_load_u8 v2, v[0:1], off
	s_mov_b32 s10, 0
	s_mov_b32 s11, exec_lo
                                        ; implicit-def: $sgpr0_sgpr1
                                        ; implicit-def: $sgpr2_sgpr3
	s_waitcnt vmcnt(0)
	v_cmpx_lt_i16_e32 0x7f, v2
	s_xor_b32 s11, exec_lo, s11
	s_cbranch_execz .LBB56_880
; %bb.877:
	s_mov_b32 s10, -1
	s_mov_b32 s12, exec_lo
                                        ; implicit-def: $sgpr0_sgpr1
                                        ; implicit-def: $sgpr2_sgpr3
	v_cmpx_eq_u16_e32 0x80, v2
; %bb.878:
	s_mov_b64 s[0:1], 0
	s_mov_b32 s3, 0x7ff80000
	s_brev_b32 s2, 4
	s_xor_b32 s10, exec_lo, -1
; %bb.879:
	s_or_b32 exec_lo, exec_lo, s12
	s_delay_alu instid0(SALU_CYCLE_1)
	s_and_b32 s10, s10, exec_lo
.LBB56_880:
	s_or_saveexec_b32 s11, s11
	v_dual_mov_b32 v7, s1 :: v_dual_mov_b32 v6, s0
	v_dual_mov_b32 v5, s3 :: v_dual_mov_b32 v4, s2
	s_xor_b32 exec_lo, exec_lo, s11
; %bb.881:
	v_mov_b32_e32 v6, 0
	v_mov_b32_e32 v7, 0
	v_cmp_ne_u16_e32 vcc_lo, 0, v2
	s_delay_alu instid0(VALU_DEP_3) | instskip(SKIP_1) | instid1(VALU_DEP_3)
	v_mov_b32_e32 v4, v6
	s_and_not1_b32 s0, s10, exec_lo
	v_mov_b32_e32 v5, v7
	s_and_b32 s1, vcc_lo, exec_lo
	s_delay_alu instid0(SALU_CYCLE_1)
	s_or_b32 s10, s0, s1
; %bb.882:
	s_or_b32 exec_lo, exec_lo, s11
	s_and_saveexec_b32 s0, s10
	s_cbranch_execz .LBB56_884
; %bb.883:
	v_and_b32_e32 v3, 0xffff, v2
	v_lshlrev_b32_e32 v2, 24, v2
	s_delay_alu instid0(VALU_DEP_2) | instskip(NEXT) | instid1(VALU_DEP_1)
	v_and_b32_e32 v4, 7, v3
	v_clz_i32_u32_e32 v5, v4
	s_delay_alu instid0(VALU_DEP_1) | instskip(NEXT) | instid1(VALU_DEP_1)
	v_min_u32_e32 v5, 32, v5
	v_subrev_nc_u32_e32 v6, 28, v5
	v_sub_nc_u32_e32 v5, 29, v5
	s_delay_alu instid0(VALU_DEP_2) | instskip(SKIP_1) | instid1(VALU_DEP_2)
	v_lshlrev_b32_e32 v6, v6, v3
	v_bfe_u32 v3, v3, 3, 4
	v_and_b32_e32 v6, 7, v6
	s_delay_alu instid0(VALU_DEP_2) | instskip(NEXT) | instid1(VALU_DEP_2)
	v_cmp_eq_u32_e32 vcc_lo, 0, v3
	v_dual_cndmask_b32 v3, v3, v5 :: v_dual_cndmask_b32 v4, v4, v6
	v_mov_b32_e32 v6, 0
	v_dual_mov_b32 v7, 0 :: v_dual_and_b32 v2, 0x80000000, v2
	s_delay_alu instid0(VALU_DEP_3) | instskip(NEXT) | instid1(VALU_DEP_4)
	v_lshl_add_u32 v3, v3, 23, 0x3b800000
	v_lshlrev_b32_e32 v4, 20, v4
	s_delay_alu instid0(VALU_DEP_1) | instskip(NEXT) | instid1(VALU_DEP_1)
	v_or3_b32 v2, v2, v3, v4
	v_cvt_f64_f32_e32 v[4:5], v2
.LBB56_884:
	s_or_b32 exec_lo, exec_lo, s0
.LBB56_885:
	s_mov_b32 s2, -1
.LBB56_886:
	s_mov_b32 s0, 0
.LBB56_887:
	s_delay_alu instid0(SALU_CYCLE_1)
	s_and_b32 vcc_lo, exec_lo, s0
	s_cbranch_vccz .LBB56_919
; %bb.888:
	v_cmp_lt_i16_e32 vcc_lo, 22, v42
	s_cbranch_vccz .LBB56_900
; %bb.889:
	v_cmp_gt_i16_e32 vcc_lo, 24, v42
	s_cbranch_vccnz .LBB56_901
; %bb.890:
	v_cmp_lt_i16_e32 vcc_lo, 24, v42
	s_cbranch_vccz .LBB56_902
; %bb.891:
	global_load_u8 v2, v[0:1], off
	s_mov_b32 s10, exec_lo
                                        ; implicit-def: $sgpr0_sgpr1
                                        ; implicit-def: $sgpr2_sgpr3
	s_waitcnt vmcnt(0)
	v_cmpx_lt_i16_e32 0x7f, v2
	s_xor_b32 s10, exec_lo, s10
	s_cbranch_execz .LBB56_895
; %bb.892:
	s_mov_b32 s9, -1
	s_mov_b32 s11, exec_lo
                                        ; implicit-def: $sgpr0_sgpr1
                                        ; implicit-def: $sgpr2_sgpr3
	v_cmpx_eq_u16_e32 0x80, v2
; %bb.893:
	s_mov_b64 s[0:1], 0
	s_mov_b32 s3, 0x7ff80000
	s_brev_b32 s2, 4
	s_xor_b32 s9, exec_lo, -1
; %bb.894:
	s_or_b32 exec_lo, exec_lo, s11
	s_delay_alu instid0(SALU_CYCLE_1)
	s_and_b32 s9, s9, exec_lo
.LBB56_895:
	s_or_saveexec_b32 s10, s10
	v_dual_mov_b32 v7, s1 :: v_dual_mov_b32 v6, s0
	v_dual_mov_b32 v5, s3 :: v_dual_mov_b32 v4, s2
	s_xor_b32 exec_lo, exec_lo, s10
; %bb.896:
	v_mov_b32_e32 v6, 0
	v_mov_b32_e32 v7, 0
	v_cmp_ne_u16_e32 vcc_lo, 0, v2
	s_delay_alu instid0(VALU_DEP_3) | instskip(SKIP_1) | instid1(VALU_DEP_3)
	v_mov_b32_e32 v4, v6
	s_and_not1_b32 s0, s9, exec_lo
	v_mov_b32_e32 v5, v7
	s_and_b32 s1, vcc_lo, exec_lo
	s_delay_alu instid0(SALU_CYCLE_1)
	s_or_b32 s9, s0, s1
; %bb.897:
	s_or_b32 exec_lo, exec_lo, s10
	s_and_saveexec_b32 s0, s9
	s_cbranch_execz .LBB56_899
; %bb.898:
	v_and_b32_e32 v3, 0xffff, v2
	v_lshlrev_b32_e32 v2, 24, v2
	s_delay_alu instid0(VALU_DEP_2) | instskip(NEXT) | instid1(VALU_DEP_1)
	v_and_b32_e32 v4, 3, v3
	v_clz_i32_u32_e32 v5, v4
	s_delay_alu instid0(VALU_DEP_1) | instskip(NEXT) | instid1(VALU_DEP_1)
	v_min_u32_e32 v5, 32, v5
	v_subrev_nc_u32_e32 v6, 29, v5
	v_sub_nc_u32_e32 v5, 30, v5
	s_delay_alu instid0(VALU_DEP_2) | instskip(SKIP_1) | instid1(VALU_DEP_2)
	v_lshlrev_b32_e32 v6, v6, v3
	v_bfe_u32 v3, v3, 2, 5
	v_and_b32_e32 v6, 3, v6
	s_delay_alu instid0(VALU_DEP_2) | instskip(NEXT) | instid1(VALU_DEP_2)
	v_cmp_eq_u32_e32 vcc_lo, 0, v3
	v_dual_cndmask_b32 v3, v3, v5 :: v_dual_cndmask_b32 v4, v4, v6
	v_mov_b32_e32 v6, 0
	v_dual_mov_b32 v7, 0 :: v_dual_and_b32 v2, 0x80000000, v2
	s_delay_alu instid0(VALU_DEP_3) | instskip(NEXT) | instid1(VALU_DEP_4)
	v_lshl_add_u32 v3, v3, 23, 0x37800000
	v_lshlrev_b32_e32 v4, 21, v4
	s_delay_alu instid0(VALU_DEP_1) | instskip(NEXT) | instid1(VALU_DEP_1)
	v_or3_b32 v2, v2, v3, v4
	v_cvt_f64_f32_e32 v[4:5], v2
.LBB56_899:
	s_or_b32 exec_lo, exec_lo, s0
	s_mov_b32 s0, 0
	s_branch .LBB56_903
.LBB56_900:
	s_mov_b32 s0, -1
                                        ; implicit-def: $vgpr6_vgpr7
	s_branch .LBB56_909
.LBB56_901:
	s_mov_b32 s0, -1
                                        ; implicit-def: $vgpr6_vgpr7
	s_branch .LBB56_906
.LBB56_902:
	s_mov_b32 s0, -1
                                        ; implicit-def: $vgpr6_vgpr7
.LBB56_903:
	s_delay_alu instid0(SALU_CYCLE_1)
	s_and_b32 vcc_lo, exec_lo, s0
	s_cbranch_vccz .LBB56_905
; %bb.904:
	global_load_u8 v2, v[0:1], off
	s_waitcnt vmcnt(0)
	v_lshlrev_b32_e32 v2, 24, v2
	s_delay_alu instid0(VALU_DEP_1) | instskip(NEXT) | instid1(VALU_DEP_1)
	v_and_b32_e32 v3, 0x7f000000, v2
	v_clz_i32_u32_e32 v4, v3
	v_add_nc_u32_e32 v6, 0x1000000, v3
	s_delay_alu instid0(VALU_DEP_2) | instskip(NEXT) | instid1(VALU_DEP_1)
	v_min_u32_e32 v4, 32, v4
	v_sub_nc_u32_e64 v4, v4, 4 clamp
	s_delay_alu instid0(VALU_DEP_1) | instskip(SKIP_1) | instid1(VALU_DEP_2)
	v_lshlrev_b32_e32 v5, v4, v3
	v_lshlrev_b32_e32 v4, 23, v4
	v_lshrrev_b32_e32 v5, 4, v5
	s_delay_alu instid0(VALU_DEP_1)
	v_sub_nc_u32_e32 v4, v5, v4
	v_ashrrev_i32_e32 v5, 8, v6
	v_mov_b32_e32 v6, 0
	v_mov_b32_e32 v7, 0
	v_cmp_ne_u32_e32 vcc_lo, 0, v3
	v_add_nc_u32_e32 v4, 0x3c000000, v4
	s_delay_alu instid0(VALU_DEP_1) | instskip(NEXT) | instid1(VALU_DEP_1)
	v_and_or_b32 v4, 0x7f800000, v5, v4
	v_cndmask_b32_e32 v3, 0, v4, vcc_lo
	s_delay_alu instid0(VALU_DEP_1) | instskip(NEXT) | instid1(VALU_DEP_1)
	v_and_or_b32 v2, 0x80000000, v2, v3
	v_cvt_f64_f32_e32 v[4:5], v2
.LBB56_905:
	s_mov_b32 s0, 0
.LBB56_906:
	s_delay_alu instid0(SALU_CYCLE_1)
	s_and_not1_b32 vcc_lo, exec_lo, s0
	s_cbranch_vccnz .LBB56_908
; %bb.907:
	global_load_u8 v2, v[0:1], off
	v_mov_b32_e32 v6, 0
	v_mov_b32_e32 v7, 0
	s_waitcnt vmcnt(0)
	v_lshlrev_b32_e32 v3, 25, v2
	v_lshlrev_b16 v2, 8, v2
	s_delay_alu instid0(VALU_DEP_2) | instskip(NEXT) | instid1(VALU_DEP_2)
	v_lshrrev_b32_e32 v4, 4, v3
	v_and_or_b32 v5, 0x7f00, v2, 0.5
	v_bfe_i32 v2, v2, 0, 16
	s_delay_alu instid0(VALU_DEP_3) | instskip(NEXT) | instid1(VALU_DEP_1)
	v_or_b32_e32 v4, 0x70000000, v4
	v_dual_add_f32 v5, -0.5, v5 :: v_dual_mul_f32 v4, 0x7800000, v4
	v_cmp_gt_u32_e32 vcc_lo, 0x8000000, v3
	s_delay_alu instid0(VALU_DEP_2) | instskip(NEXT) | instid1(VALU_DEP_1)
	v_cndmask_b32_e32 v3, v4, v5, vcc_lo
	v_and_or_b32 v2, 0x80000000, v2, v3
	s_delay_alu instid0(VALU_DEP_1)
	v_cvt_f64_f32_e32 v[4:5], v2
.LBB56_908:
	s_mov_b32 s0, 0
	s_mov_b32 s2, -1
.LBB56_909:
	s_and_not1_b32 vcc_lo, exec_lo, s0
	s_mov_b32 s9, 0
	s_cbranch_vccnz .LBB56_919
; %bb.910:
	v_cmp_lt_i16_e32 vcc_lo, 14, v42
	s_cbranch_vccz .LBB56_913
; %bb.911:
	v_cmp_eq_u16_e32 vcc_lo, 15, v42
	s_cbranch_vccz .LBB56_914
; %bb.912:
	global_load_u16 v2, v[0:1], off
	s_mov_b32 s8, 0
	s_mov_b32 s2, -1
	s_mov_b64 s[0:1], 0
	s_waitcnt vmcnt(0)
	v_lshlrev_b32_e32 v2, 16, v2
	s_delay_alu instid0(VALU_DEP_1)
	v_cvt_f64_f32_e32 v[4:5], v2
	s_branch .LBB56_915
.LBB56_913:
	s_mov_b32 s3, -1
                                        ; implicit-def: $sgpr0_sgpr1
                                        ; implicit-def: $vgpr4_vgpr5
	s_branch .LBB56_916
.LBB56_914:
	s_mov_b32 s8, -1
                                        ; implicit-def: $sgpr0_sgpr1
                                        ; implicit-def: $vgpr4_vgpr5
.LBB56_915:
	s_mov_b32 s3, 0
.LBB56_916:
	s_delay_alu instid0(SALU_CYCLE_1)
	s_and_b32 vcc_lo, exec_lo, s3
	s_cbranch_vccz .LBB56_918
; %bb.917:
	v_cmp_ne_u16_e32 vcc_lo, 11, v42
	s_and_not1_b32 s0, s8, exec_lo
	s_mov_b32 s9, -1
                                        ; implicit-def: $vgpr4_vgpr5
	s_and_b32 s1, vcc_lo, exec_lo
	s_delay_alu instid0(SALU_CYCLE_1)
	s_or_b32 s8, s0, s1
                                        ; implicit-def: $sgpr0_sgpr1
.LBB56_918:
	v_dual_mov_b32 v7, s1 :: v_dual_mov_b32 v6, s0
.LBB56_919:
	s_mov_b32 s0, 0
.LBB56_920:
	s_and_not1_b32 s3, s4, exec_lo
	s_and_b32 s8, s8, exec_lo
	s_and_b32 s2, s2, exec_lo
	;; [unrolled: 1-line block ×4, first 2 shown]
	s_or_b32 s3, s3, s8
.LBB56_921:
	s_or_b32 exec_lo, exec_lo, s7
	s_delay_alu instid0(SALU_CYCLE_1)
	s_and_not1_b32 s4, s4, exec_lo
	s_and_b32 s3, s3, exec_lo
	s_and_b32 s2, s2, exec_lo
	;; [unrolled: 1-line block ×4, first 2 shown]
	s_or_b32 s4, s4, s3
.LBB56_922:
	s_or_b32 exec_lo, exec_lo, s6
	s_delay_alu instid0(SALU_CYCLE_1)
	s_and_not1_b32 s3, s50, exec_lo
	s_and_b32 s5, s5, exec_lo
	s_and_b32 s4, s4, exec_lo
	s_or_b32 s50, s3, s5
	s_and_not1_b32 s3, s49, exec_lo
	s_and_b32 s2, s2, exec_lo
	s_and_b32 s0, s0, exec_lo
	;; [unrolled: 1-line block ×3, first 2 shown]
	s_or_b32 s49, s3, s4
.LBB56_923:
	s_or_b32 exec_lo, exec_lo, s51
	s_delay_alu instid0(SALU_CYCLE_1)
	s_and_not1_b32 s3, s46, exec_lo
	s_and_b32 s4, s50, exec_lo
	s_and_b32 s2, s2, exec_lo
	s_or_b32 s46, s3, s4
	s_and_not1_b32 s3, s47, exec_lo
	s_and_b32 s4, s49, exec_lo
	s_and_b32 s0, s0, exec_lo
	;; [unrolled: 1-line block ×3, first 2 shown]
	s_or_b32 s47, s3, s4
.LBB56_924:
	s_or_b32 exec_lo, exec_lo, s48
	s_waitcnt lgkmcnt(0)
	s_mov_b32 s18, 0
	s_and_saveexec_b32 s1, s47
	s_cbranch_execnz .LBB56_936
; %bb.925:
	s_or_b32 exec_lo, exec_lo, s1
	s_and_saveexec_b32 s1, s49
	s_delay_alu instid0(SALU_CYCLE_1)
	s_xor_b32 s1, exec_lo, s1
	s_cbranch_execz .LBB56_927
.LBB56_926:
	s_waitcnt vmcnt(0)
	global_load_u8 v2, v[0:1], off
	v_mov_b32_e32 v6, 0
	v_dual_mov_b32 v7, 0 :: v_dual_mov_b32 v4, 0
	s_or_b32 s2, s2, exec_lo
	s_waitcnt vmcnt(0)
	v_cmp_ne_u16_e32 vcc_lo, 0, v2
	v_cndmask_b32_e64 v5, 0, 0x3ff00000, vcc_lo
.LBB56_927:
	s_or_b32 exec_lo, exec_lo, s1
	s_and_saveexec_b32 s3, s0
	s_cbranch_execz .LBB56_977
; %bb.928:
	v_cmp_gt_i16_e32 vcc_lo, 5, v42
	s_cbranch_vccnz .LBB56_933
; %bb.929:
	v_cmp_gt_i16_e32 vcc_lo, 8, v42
	s_cbranch_vccnz .LBB56_934
	;; [unrolled: 3-line block ×3, first 2 shown]
; %bb.931:
	v_cmp_lt_i16_e32 vcc_lo, 9, v42
	s_cbranch_vccz .LBB56_938
; %bb.932:
	s_waitcnt vmcnt(0)
	global_load_b128 v[4:7], v[0:1], off
	s_mov_b32 s0, 0
	s_branch .LBB56_939
.LBB56_933:
                                        ; implicit-def: $vgpr6_vgpr7
	s_branch .LBB56_957
.LBB56_934:
                                        ; implicit-def: $vgpr6_vgpr7
	s_branch .LBB56_945
.LBB56_935:
	s_mov_b32 s0, -1
                                        ; implicit-def: $vgpr6_vgpr7
	s_branch .LBB56_942
.LBB56_936:
	s_cbranch_execnz .LBB56_1210
; %bb.937:
	s_mov_b32 s18, exec_lo
	s_and_not1_b32 s49, s49, exec_lo
                                        ; implicit-def: $vgpr6_vgpr7
	s_or_b32 exec_lo, exec_lo, s1
	s_and_saveexec_b32 s1, s49
	s_delay_alu instid0(SALU_CYCLE_1)
	s_xor_b32 s1, exec_lo, s1
	s_cbranch_execnz .LBB56_926
	s_branch .LBB56_927
.LBB56_938:
	s_mov_b32 s0, -1
                                        ; implicit-def: $vgpr6_vgpr7
.LBB56_939:
	s_delay_alu instid0(SALU_CYCLE_1)
	s_and_not1_b32 vcc_lo, exec_lo, s0
	s_cbranch_vccnz .LBB56_941
; %bb.940:
	s_waitcnt vmcnt(0)
	global_load_b64 v[2:3], v[0:1], off
	s_waitcnt vmcnt(0)
	v_cvt_f64_f32_e32 v[4:5], v2
	v_cvt_f64_f32_e32 v[6:7], v3
.LBB56_941:
	s_mov_b32 s0, 0
.LBB56_942:
	s_delay_alu instid0(SALU_CYCLE_1)
	s_and_not1_b32 vcc_lo, exec_lo, s0
	s_cbranch_vccnz .LBB56_944
; %bb.943:
	s_waitcnt vmcnt(0)
	global_load_b32 v2, v[0:1], off
	s_waitcnt vmcnt(0)
	v_lshrrev_b32_e32 v3, 16, v2
	v_cvt_f32_f16_e32 v2, v2
	s_delay_alu instid0(VALU_DEP_2) | instskip(NEXT) | instid1(VALU_DEP_2)
	v_cvt_f32_f16_e32 v3, v3
	v_cvt_f64_f32_e32 v[4:5], v2
	s_delay_alu instid0(VALU_DEP_2)
	v_cvt_f64_f32_e32 v[6:7], v3
.LBB56_944:
	s_cbranch_execnz .LBB56_956
.LBB56_945:
	v_cmp_gt_i16_e32 vcc_lo, 6, v42
	s_cbranch_vccnz .LBB56_948
; %bb.946:
	v_cmp_lt_i16_e32 vcc_lo, 6, v42
	s_cbranch_vccz .LBB56_949
; %bb.947:
	s_waitcnt vmcnt(0)
	global_load_b64 v[4:5], v[0:1], off
	s_mov_b32 s4, 0
	s_mov_b64 s[0:1], 0
	s_branch .LBB56_950
.LBB56_948:
	s_mov_b32 s4, -1
                                        ; implicit-def: $sgpr0_sgpr1
                                        ; implicit-def: $vgpr4_vgpr5
	s_branch .LBB56_953
.LBB56_949:
	s_mov_b32 s4, -1
                                        ; implicit-def: $sgpr0_sgpr1
                                        ; implicit-def: $vgpr4_vgpr5
.LBB56_950:
	s_delay_alu instid0(SALU_CYCLE_1)
	s_and_not1_b32 vcc_lo, exec_lo, s4
	s_cbranch_vccnz .LBB56_952
; %bb.951:
	s_waitcnt vmcnt(0)
	global_load_b32 v2, v[0:1], off
	s_mov_b64 s[0:1], 0
	s_waitcnt vmcnt(0)
	v_cvt_f64_f32_e32 v[4:5], v2
.LBB56_952:
	s_mov_b32 s4, 0
.LBB56_953:
	s_delay_alu instid0(SALU_CYCLE_1)
	s_and_not1_b32 vcc_lo, exec_lo, s4
	s_cbranch_vccnz .LBB56_955
; %bb.954:
	s_waitcnt vmcnt(0)
	global_load_u16 v2, v[0:1], off
	s_mov_b64 s[0:1], 0
	s_waitcnt vmcnt(0)
	v_cvt_f32_f16_e32 v2, v2
	s_delay_alu instid0(VALU_DEP_1)
	v_cvt_f64_f32_e32 v[4:5], v2
.LBB56_955:
	s_waitcnt vmcnt(0)
	v_dual_mov_b32 v7, s1 :: v_dual_mov_b32 v6, s0
.LBB56_956:
	s_cbranch_execnz .LBB56_976
.LBB56_957:
	v_cmp_gt_i16_e32 vcc_lo, 2, v42
	s_cbranch_vccnz .LBB56_961
; %bb.958:
	v_cmp_gt_i16_e32 vcc_lo, 3, v42
	s_cbranch_vccnz .LBB56_962
; %bb.959:
	v_cmp_lt_i16_e32 vcc_lo, 3, v42
	s_cbranch_vccz .LBB56_963
; %bb.960:
	s_waitcnt vmcnt(0)
	global_load_b64 v[2:3], v[0:1], off
	s_mov_b32 s4, 0
	s_mov_b64 s[0:1], 0
	s_waitcnt vmcnt(0)
	v_cvt_f64_i32_e32 v[3:4], v3
	v_cvt_f64_u32_e32 v[5:6], v2
	s_delay_alu instid0(VALU_DEP_2) | instskip(NEXT) | instid1(VALU_DEP_1)
	v_ldexp_f64 v[3:4], v[3:4], 32
	v_add_f64 v[4:5], v[3:4], v[5:6]
	s_branch .LBB56_964
.LBB56_961:
                                        ; implicit-def: $sgpr0_sgpr1
                                        ; implicit-def: $vgpr4_vgpr5
	s_branch .LBB56_970
.LBB56_962:
	s_mov_b32 s4, -1
                                        ; implicit-def: $sgpr0_sgpr1
                                        ; implicit-def: $vgpr4_vgpr5
	s_branch .LBB56_967
.LBB56_963:
	s_mov_b32 s4, -1
                                        ; implicit-def: $sgpr0_sgpr1
                                        ; implicit-def: $vgpr4_vgpr5
.LBB56_964:
	s_delay_alu instid0(SALU_CYCLE_1)
	s_and_not1_b32 vcc_lo, exec_lo, s4
	s_cbranch_vccnz .LBB56_966
; %bb.965:
	s_waitcnt vmcnt(0)
	global_load_b32 v2, v[0:1], off
	s_mov_b64 s[0:1], 0
	s_waitcnt vmcnt(0)
	v_cvt_f64_i32_e32 v[4:5], v2
.LBB56_966:
	s_mov_b32 s4, 0
.LBB56_967:
	s_delay_alu instid0(SALU_CYCLE_1)
	s_and_not1_b32 vcc_lo, exec_lo, s4
	s_cbranch_vccnz .LBB56_969
; %bb.968:
	s_waitcnt vmcnt(0)
	global_load_i16 v2, v[0:1], off
	s_mov_b64 s[0:1], 0
	s_waitcnt vmcnt(0)
	v_cvt_f64_i32_e32 v[4:5], v2
.LBB56_969:
	s_cbranch_execnz .LBB56_975
.LBB56_970:
	v_cmp_lt_i16_e32 vcc_lo, 0, v42
	s_mov_b32 s4, 0
	s_cbranch_vccz .LBB56_972
; %bb.971:
	s_waitcnt vmcnt(0)
	global_load_i8 v2, v[0:1], off
	s_mov_b64 s[0:1], 0
	s_waitcnt vmcnt(0)
	v_cvt_f64_i32_e32 v[4:5], v2
	s_branch .LBB56_973
.LBB56_972:
	s_mov_b32 s4, -1
                                        ; implicit-def: $sgpr0_sgpr1
                                        ; implicit-def: $vgpr4_vgpr5
.LBB56_973:
	s_delay_alu instid0(SALU_CYCLE_1)
	s_and_not1_b32 vcc_lo, exec_lo, s4
	s_cbranch_vccnz .LBB56_975
; %bb.974:
	s_waitcnt vmcnt(0)
	global_load_u8 v0, v[0:1], off
	s_mov_b64 s[0:1], 0
	s_waitcnt vmcnt(0)
	v_cvt_f64_u32_e32 v[4:5], v0
.LBB56_975:
	s_waitcnt vmcnt(0)
	v_dual_mov_b32 v7, s1 :: v_dual_mov_b32 v6, s0
.LBB56_976:
	s_or_b32 s2, s2, exec_lo
.LBB56_977:
	s_or_b32 exec_lo, exec_lo, s3
	s_mov_b32 s0, 0
	s_mov_b32 s1, 0
                                        ; implicit-def: $vgpr10
                                        ; implicit-def: $vgpr8_vgpr9
                                        ; implicit-def: $vgpr2_vgpr3
	s_and_saveexec_b32 s19, s2
	s_cbranch_execz .LBB56_1054
; %bb.978:
	s_waitcnt vmcnt(0)
	s_delay_alu instid0(VALU_DEP_1) | instskip(NEXT) | instid1(VALU_DEP_2)
	v_dual_mov_b32 v0, v4 :: v_dual_mov_b32 v1, v5
	v_dual_mov_b32 v2, v6 :: v_dual_mov_b32 v3, v7
	s_getpc_b64 s[0:1]
	s_add_u32 s0, s0, _ZZZZN2at6native15exp_kernel_cudaERNS_18TensorIteratorBaseEENKUlvE_clEvENKUlvE_clEvENKUlN3c107complexIdEEE_clES7_@rel32@lo+4
	s_addc_u32 s1, s1, _ZZZZN2at6native15exp_kernel_cudaERNS_18TensorIteratorBaseEENKUlvE_clEvENKUlvE_clEvENKUlN3c107complexIdEEE_clES7_@rel32@hi+12
	s_delay_alu instid0(SALU_CYCLE_1) | instskip(SKIP_2) | instid1(VALU_DEP_1)
	s_swappc_b64 s[30:31], s[0:1]
	v_and_b32_e32 v10, 0xff, v41
	v_add_co_u32 v8, s0, s20, v40
	v_add_co_ci_u32_e64 v9, null, s21, 0, s0
	s_delay_alu instid0(VALU_DEP_3)
	v_cmp_gt_i16_e32 vcc_lo, 11, v10
	s_mov_b32 s2, 0
	s_mov_b32 s1, -1
	s_mov_b32 s0, s46
	s_cbranch_vccnz .LBB56_1053
; %bb.979:
	v_cmp_lt_i16_e32 vcc_lo, 25, v10
	s_mov_b32 s0, s46
	s_cbranch_vccz .LBB56_1012
; %bb.980:
	v_cmp_lt_i16_e32 vcc_lo, 28, v10
	s_mov_b32 s0, s46
	s_cbranch_vccz .LBB56_996
	;; [unrolled: 4-line block ×4, first 2 shown]
; %bb.983:
	v_cmp_eq_u16_e32 vcc_lo, 46, v10
	s_mov_b32 s0, -1
	s_cbranch_vccz .LBB56_985
; %bb.984:
	v_cvt_f32_f64_e32 v4, v[2:3]
	v_cvt_f32_f64_e32 v5, v[0:1]
	s_mov_b32 s0, 0
	s_delay_alu instid0(VALU_DEP_2) | instskip(NEXT) | instid1(VALU_DEP_2)
	v_bfe_u32 v6, v4, 16, 1
	v_bfe_u32 v7, v5, 16, 1
	v_cmp_o_f32_e32 vcc_lo, v4, v4
	s_delay_alu instid0(VALU_DEP_3) | instskip(NEXT) | instid1(VALU_DEP_3)
	v_add3_u32 v6, v4, v6, 0x7fff
	v_add3_u32 v7, v5, v7, 0x7fff
	s_delay_alu instid0(VALU_DEP_2) | instskip(NEXT) | instid1(VALU_DEP_2)
	v_and_b32_e32 v6, 0xffff0000, v6
	v_lshrrev_b32_e32 v7, 16, v7
	s_delay_alu instid0(VALU_DEP_2) | instskip(SKIP_1) | instid1(VALU_DEP_3)
	v_cndmask_b32_e32 v4, 0x7fc00000, v6, vcc_lo
	v_cmp_o_f32_e32 vcc_lo, v5, v5
	v_cndmask_b32_e32 v5, 0x7fc0, v7, vcc_lo
	s_delay_alu instid0(VALU_DEP_1)
	v_or_b32_e32 v4, v4, v5
	global_store_b32 v[8:9], v4, off
.LBB56_985:
	s_mov_b32 s1, 0
.LBB56_986:
	s_delay_alu instid0(SALU_CYCLE_1)
	s_and_b32 vcc_lo, exec_lo, s1
	s_cbranch_vccz .LBB56_991
; %bb.987:
	v_cmp_eq_u16_e32 vcc_lo, 44, v10
	s_mov_b32 s0, -1
	s_cbranch_vccz .LBB56_991
; %bb.988:
	v_cvt_f32_f64_e32 v4, v[0:1]
	v_mov_b32_e32 v5, 0xff
	s_mov_b32 s1, exec_lo
	s_delay_alu instid0(VALU_DEP_2) | instskip(NEXT) | instid1(VALU_DEP_1)
	v_bfe_u32 v6, v4, 23, 8
	v_cmpx_ne_u32_e32 0xff, v6
; %bb.989:
	v_and_b32_e32 v5, 0x400000, v4
	v_and_or_b32 v6, 0x3fffff, v4, v6
	v_lshrrev_b32_e32 v4, 23, v4
	s_delay_alu instid0(VALU_DEP_3) | instskip(NEXT) | instid1(VALU_DEP_3)
	v_cmp_ne_u32_e32 vcc_lo, 0, v5
	v_cmp_ne_u32_e64 s0, 0, v6
	s_delay_alu instid0(VALU_DEP_1) | instskip(NEXT) | instid1(SALU_CYCLE_1)
	s_and_b32 s0, vcc_lo, s0
	v_cndmask_b32_e64 v5, 0, 1, s0
	s_delay_alu instid0(VALU_DEP_1)
	v_add_nc_u32_e32 v5, v4, v5
; %bb.990:
	s_or_b32 exec_lo, exec_lo, s1
	s_mov_b32 s0, 0
	global_store_b8 v[8:9], v5, off
.LBB56_991:
	s_mov_b32 s1, 0
.LBB56_992:
	s_delay_alu instid0(SALU_CYCLE_1)
	s_and_b32 vcc_lo, exec_lo, s1
	s_cbranch_vccz .LBB56_995
; %bb.993:
	v_cmp_eq_u16_e32 vcc_lo, 29, v10
	s_mov_b32 s0, -1
	s_cbranch_vccz .LBB56_995
; %bb.994:
	v_trunc_f64_e32 v[4:5], v[0:1]
	s_mov_b32 s0, 0
	s_delay_alu instid0(VALU_DEP_1) | instskip(NEXT) | instid1(VALU_DEP_1)
	v_ldexp_f64 v[6:7], v[4:5], 0xffffffe0
	v_floor_f64_e32 v[6:7], v[6:7]
	s_delay_alu instid0(VALU_DEP_1) | instskip(SKIP_1) | instid1(VALU_DEP_2)
	v_fma_f64 v[4:5], 0xc1f00000, v[6:7], v[4:5]
	v_cvt_u32_f64_e32 v6, v[6:7]
	v_cvt_u32_f64_e32 v5, v[4:5]
	global_store_b64 v[8:9], v[5:6], off
.LBB56_995:
	s_mov_b32 s1, 0
.LBB56_996:
	s_delay_alu instid0(SALU_CYCLE_1)
	s_and_b32 vcc_lo, exec_lo, s1
	s_cbranch_vccz .LBB56_1011
; %bb.997:
	v_cmp_gt_i16_e32 vcc_lo, 27, v10
	s_mov_b32 s1, -1
	s_cbranch_vccnz .LBB56_1003
; %bb.998:
	v_cvt_u32_f64_e32 v4, v[0:1]
	v_cmp_lt_i16_e32 vcc_lo, 27, v10
	s_cbranch_vccz .LBB56_1000
; %bb.999:
	s_mov_b32 s1, 0
	global_store_b32 v[8:9], v4, off
.LBB56_1000:
	s_and_not1_b32 vcc_lo, exec_lo, s1
	s_cbranch_vccnz .LBB56_1002
; %bb.1001:
	global_store_b16 v[8:9], v4, off
.LBB56_1002:
	s_mov_b32 s1, 0
.LBB56_1003:
	s_delay_alu instid0(SALU_CYCLE_1)
	s_and_not1_b32 vcc_lo, exec_lo, s1
	s_cbranch_vccnz .LBB56_1011
; %bb.1004:
	v_cvt_f32_f64_e32 v4, v[0:1]
	v_mov_b32_e32 v6, 0x80
	s_mov_b32 s1, exec_lo
	s_delay_alu instid0(VALU_DEP_2) | instskip(NEXT) | instid1(VALU_DEP_1)
	v_and_b32_e32 v5, 0x7fffffff, v4
	v_cmpx_gt_u32_e32 0x43800000, v5
	s_cbranch_execz .LBB56_1010
; %bb.1005:
	v_cmp_lt_u32_e32 vcc_lo, 0x3bffffff, v5
                                        ; implicit-def: $vgpr5
	s_and_saveexec_b32 s3, vcc_lo
	s_delay_alu instid0(SALU_CYCLE_1)
	s_xor_b32 s3, exec_lo, s3
	s_cbranch_execz .LBB56_1305
; %bb.1006:
	v_bfe_u32 v5, v4, 20, 1
	s_mov_b32 s2, exec_lo
	s_delay_alu instid0(VALU_DEP_1) | instskip(NEXT) | instid1(VALU_DEP_1)
	v_add3_u32 v5, v4, v5, 0x487ffff
	v_lshrrev_b32_e32 v5, 20, v5
	s_or_saveexec_b32 s3, s3
                                        ; implicit-def: $sgpr4
	s_delay_alu instid0(SALU_CYCLE_1)
	s_xor_b32 exec_lo, exec_lo, s3
	s_cbranch_execnz .LBB56_1306
.LBB56_1007:
	s_or_b32 exec_lo, exec_lo, s3
	v_mov_b32_e32 v6, s4
	s_and_saveexec_b32 s3, s2
.LBB56_1008:
	v_lshrrev_b32_e32 v4, 24, v4
	s_delay_alu instid0(VALU_DEP_1)
	v_and_or_b32 v6, 0x80, v4, v5
.LBB56_1009:
	s_or_b32 exec_lo, exec_lo, s3
.LBB56_1010:
	s_delay_alu instid0(SALU_CYCLE_1)
	s_or_b32 exec_lo, exec_lo, s1
	global_store_b8 v[8:9], v6, off
.LBB56_1011:
	s_mov_b32 s1, 0
.LBB56_1012:
	s_delay_alu instid0(SALU_CYCLE_1)
	s_and_b32 vcc_lo, exec_lo, s1
	s_mov_b32 s1, 0
	s_cbranch_vccz .LBB56_1052
; %bb.1013:
	v_cmp_lt_i16_e32 vcc_lo, 22, v10
	s_mov_b32 s2, -1
	s_cbranch_vccz .LBB56_1045
; %bb.1014:
	v_cmp_gt_i16_e32 vcc_lo, 24, v10
	s_cbranch_vccnz .LBB56_1034
; %bb.1015:
	v_cmp_lt_i16_e32 vcc_lo, 24, v10
	s_cbranch_vccz .LBB56_1023
; %bb.1016:
	v_cvt_f32_f64_e32 v4, v[0:1]
	v_mov_b32_e32 v6, 0x80
	s_mov_b32 s2, exec_lo
	s_delay_alu instid0(VALU_DEP_2) | instskip(NEXT) | instid1(VALU_DEP_1)
	v_and_b32_e32 v5, 0x7fffffff, v4
	v_cmpx_gt_u32_e32 0x47800000, v5
	s_cbranch_execz .LBB56_1022
; %bb.1017:
	v_cmp_lt_u32_e32 vcc_lo, 0x37ffffff, v5
	s_mov_b32 s3, 0
                                        ; implicit-def: $vgpr5
	s_and_saveexec_b32 s4, vcc_lo
	s_delay_alu instid0(SALU_CYCLE_1)
	s_xor_b32 s4, exec_lo, s4
	s_cbranch_execz .LBB56_1350
; %bb.1018:
	v_bfe_u32 v5, v4, 21, 1
	s_mov_b32 s3, exec_lo
	s_delay_alu instid0(VALU_DEP_1) | instskip(NEXT) | instid1(VALU_DEP_1)
	v_add3_u32 v5, v4, v5, 0x88fffff
	v_lshrrev_b32_e32 v5, 21, v5
	s_or_saveexec_b32 s4, s4
                                        ; implicit-def: $sgpr5
	s_delay_alu instid0(SALU_CYCLE_1)
	s_xor_b32 exec_lo, exec_lo, s4
	s_cbranch_execnz .LBB56_1351
.LBB56_1019:
	s_or_b32 exec_lo, exec_lo, s4
	v_mov_b32_e32 v6, s5
	s_and_saveexec_b32 s4, s3
.LBB56_1020:
	v_lshrrev_b32_e32 v4, 24, v4
	s_delay_alu instid0(VALU_DEP_1)
	v_and_or_b32 v6, 0x80, v4, v5
.LBB56_1021:
	s_or_b32 exec_lo, exec_lo, s4
.LBB56_1022:
	s_delay_alu instid0(SALU_CYCLE_1)
	s_or_b32 exec_lo, exec_lo, s2
	s_mov_b32 s2, 0
	global_store_b8 v[8:9], v6, off
.LBB56_1023:
	s_and_b32 vcc_lo, exec_lo, s2
	s_cbranch_vccz .LBB56_1033
; %bb.1024:
	v_cvt_f32_f64_e32 v4, v[0:1]
	s_mov_b32 s2, exec_lo
                                        ; implicit-def: $vgpr5
	s_delay_alu instid0(VALU_DEP_1) | instskip(NEXT) | instid1(VALU_DEP_1)
	v_and_b32_e32 v6, 0x7fffffff, v4
	v_cmpx_gt_u32_e32 0x43f00000, v6
	s_xor_b32 s2, exec_lo, s2
	s_cbranch_execz .LBB56_1030
; %bb.1025:
	s_mov_b32 s3, exec_lo
                                        ; implicit-def: $vgpr5
	v_cmpx_lt_u32_e32 0x3c7fffff, v6
	s_xor_b32 s3, exec_lo, s3
; %bb.1026:
	v_bfe_u32 v5, v4, 20, 1
	s_delay_alu instid0(VALU_DEP_1) | instskip(NEXT) | instid1(VALU_DEP_1)
	v_add3_u32 v5, v4, v5, 0x407ffff
	v_and_b32_e32 v6, 0xff00000, v5
	v_lshrrev_b32_e32 v5, 20, v5
	s_delay_alu instid0(VALU_DEP_2) | instskip(NEXT) | instid1(VALU_DEP_2)
	v_cmp_ne_u32_e32 vcc_lo, 0x7f00000, v6
	v_cndmask_b32_e32 v5, 0x7e, v5, vcc_lo
; %bb.1027:
	s_and_not1_saveexec_b32 s3, s3
; %bb.1028:
	v_add_f32_e64 v5, 0x46800000, |v4|
; %bb.1029:
	s_or_b32 exec_lo, exec_lo, s3
                                        ; implicit-def: $vgpr6
.LBB56_1030:
	s_and_not1_saveexec_b32 s2, s2
; %bb.1031:
	v_mov_b32_e32 v5, 0x7f
	v_cmp_lt_u32_e32 vcc_lo, 0x7f800000, v6
	s_delay_alu instid0(VALU_DEP_2)
	v_cndmask_b32_e32 v5, 0x7e, v5, vcc_lo
; %bb.1032:
	s_or_b32 exec_lo, exec_lo, s2
	v_lshrrev_b32_e32 v4, 24, v4
	s_delay_alu instid0(VALU_DEP_1)
	v_and_or_b32 v4, 0x80, v4, v5
	global_store_b8 v[8:9], v4, off
.LBB56_1033:
	s_mov_b32 s2, 0
.LBB56_1034:
	s_delay_alu instid0(SALU_CYCLE_1)
	s_and_not1_b32 vcc_lo, exec_lo, s2
	s_cbranch_vccnz .LBB56_1044
; %bb.1035:
	v_cvt_f32_f64_e32 v4, v[0:1]
	s_mov_b32 s2, exec_lo
                                        ; implicit-def: $vgpr5
	s_delay_alu instid0(VALU_DEP_1) | instskip(NEXT) | instid1(VALU_DEP_1)
	v_and_b32_e32 v6, 0x7fffffff, v4
	v_cmpx_gt_u32_e32 0x47800000, v6
	s_xor_b32 s2, exec_lo, s2
	s_cbranch_execz .LBB56_1041
; %bb.1036:
	s_mov_b32 s3, exec_lo
                                        ; implicit-def: $vgpr5
	v_cmpx_lt_u32_e32 0x387fffff, v6
	s_xor_b32 s3, exec_lo, s3
; %bb.1037:
	v_bfe_u32 v5, v4, 21, 1
	s_delay_alu instid0(VALU_DEP_1) | instskip(NEXT) | instid1(VALU_DEP_1)
	v_add3_u32 v5, v4, v5, 0x80fffff
	v_lshrrev_b32_e32 v5, 21, v5
; %bb.1038:
	s_and_not1_saveexec_b32 s3, s3
; %bb.1039:
	v_add_f32_e64 v5, 0x43000000, |v4|
; %bb.1040:
	s_or_b32 exec_lo, exec_lo, s3
                                        ; implicit-def: $vgpr6
.LBB56_1041:
	s_and_not1_saveexec_b32 s2, s2
; %bb.1042:
	v_mov_b32_e32 v5, 0x7f
	v_cmp_lt_u32_e32 vcc_lo, 0x7f800000, v6
	s_delay_alu instid0(VALU_DEP_2)
	v_cndmask_b32_e32 v5, 0x7c, v5, vcc_lo
; %bb.1043:
	s_or_b32 exec_lo, exec_lo, s2
	v_lshrrev_b32_e32 v4, 24, v4
	s_delay_alu instid0(VALU_DEP_1)
	v_and_or_b32 v4, 0x80, v4, v5
	global_store_b8 v[8:9], v4, off
.LBB56_1044:
	s_mov_b32 s2, 0
.LBB56_1045:
	s_delay_alu instid0(SALU_CYCLE_1)
	s_and_not1_b32 vcc_lo, exec_lo, s2
	s_mov_b32 s2, 0
	s_cbranch_vccnz .LBB56_1053
; %bb.1046:
	v_cmp_lt_i16_e32 vcc_lo, 14, v10
	s_mov_b32 s2, -1
	s_cbranch_vccz .LBB56_1050
; %bb.1047:
	v_cmp_eq_u16_e32 vcc_lo, 15, v10
	s_mov_b32 s0, -1
	s_cbranch_vccz .LBB56_1049
; %bb.1048:
	v_cvt_f32_f64_e32 v4, v[0:1]
	s_mov_b32 s0, 0
	s_delay_alu instid0(VALU_DEP_1) | instskip(SKIP_1) | instid1(VALU_DEP_2)
	v_bfe_u32 v5, v4, 16, 1
	v_cmp_o_f32_e32 vcc_lo, v4, v4
	v_add3_u32 v5, v4, v5, 0x7fff
	s_delay_alu instid0(VALU_DEP_1) | instskip(NEXT) | instid1(VALU_DEP_1)
	v_lshrrev_b32_e32 v5, 16, v5
	v_cndmask_b32_e32 v4, 0x7fc0, v5, vcc_lo
	global_store_b16 v[8:9], v4, off
.LBB56_1049:
	s_mov_b32 s2, 0
.LBB56_1050:
	s_delay_alu instid0(SALU_CYCLE_1)
	s_and_b32 vcc_lo, exec_lo, s2
	s_mov_b32 s2, 0
	s_cbranch_vccz .LBB56_1053
; %bb.1051:
	v_cmp_ne_u16_e32 vcc_lo, 11, v10
	s_and_not1_b32 s0, s0, exec_lo
	s_mov_b32 s2, -1
	s_and_b32 s3, vcc_lo, exec_lo
	s_delay_alu instid0(SALU_CYCLE_1)
	s_or_b32 s0, s0, s3
	s_branch .LBB56_1053
.LBB56_1052:
	s_mov_b32 s2, 0
.LBB56_1053:
	s_and_not1_b32 s3, s46, exec_lo
	s_and_b32 s4, s0, exec_lo
	s_and_b32 s1, s1, exec_lo
	s_and_b32 s0, s2, exec_lo
	s_or_b32 s46, s3, s4
.LBB56_1054:
	s_or_b32 exec_lo, exec_lo, s19
	s_and_saveexec_b32 s2, s46
	s_cbranch_execnz .LBB56_1169
; %bb.1055:
	s_or_b32 exec_lo, exec_lo, s2
	s_and_saveexec_b32 s2, s0
	s_delay_alu instid0(SALU_CYCLE_1)
	s_xor_b32 s2, exec_lo, s2
	s_cbranch_execz .LBB56_1057
.LBB56_1056:
	s_waitcnt vmcnt(0)
	v_cmp_neq_f64_e32 vcc_lo, 0, v[0:1]
	v_cmp_neq_f64_e64 s0, 0, v[2:3]
	s_delay_alu instid0(VALU_DEP_1) | instskip(NEXT) | instid1(SALU_CYCLE_1)
	s_or_b32 s0, vcc_lo, s0
	v_cndmask_b32_e64 v4, 0, 1, s0
	global_store_b8 v[8:9], v4, off
.LBB56_1057:
	s_or_b32 exec_lo, exec_lo, s2
	s_and_saveexec_b32 s0, s1
	s_delay_alu instid0(SALU_CYCLE_1)
	s_xor_b32 s0, exec_lo, s0
	s_cbranch_execz .LBB56_1095
; %bb.1058:
	v_cmp_gt_i16_e32 vcc_lo, 5, v10
	s_mov_b32 s1, -1
	s_cbranch_vccnz .LBB56_1079
; %bb.1059:
	v_cmp_gt_i16_e32 vcc_lo, 8, v10
	s_cbranch_vccnz .LBB56_1069
; %bb.1060:
	v_cmp_gt_i16_e32 vcc_lo, 9, v10
	s_cbranch_vccnz .LBB56_1066
; %bb.1061:
	v_cmp_lt_i16_e32 vcc_lo, 9, v10
	s_cbranch_vccz .LBB56_1063
; %bb.1062:
	s_mov_b32 s1, 0
	s_waitcnt vmcnt(0)
	global_store_b128 v[8:9], v[0:3], off
.LBB56_1063:
	s_and_not1_b32 vcc_lo, exec_lo, s1
	s_cbranch_vccnz .LBB56_1065
; %bb.1064:
	s_waitcnt vmcnt(0)
	v_cvt_f32_f64_e32 v4, v[0:1]
	v_cvt_f32_f64_e32 v5, v[2:3]
	global_store_b64 v[8:9], v[4:5], off
.LBB56_1065:
	s_mov_b32 s1, 0
.LBB56_1066:
	s_delay_alu instid0(SALU_CYCLE_1)
	s_and_not1_b32 vcc_lo, exec_lo, s1
	s_cbranch_vccnz .LBB56_1068
; %bb.1067:
	s_waitcnt vmcnt(0)
	v_cvt_f32_f64_e32 v2, v[2:3]
	v_cvt_f32_f64_e32 v3, v[0:1]
	s_delay_alu instid0(VALU_DEP_2) | instskip(NEXT) | instid1(VALU_DEP_2)
	v_cvt_f16_f32_e32 v2, v2
	v_cvt_f16_f32_e32 v3, v3
	s_delay_alu instid0(VALU_DEP_2) | instskip(NEXT) | instid1(VALU_DEP_2)
	v_lshlrev_b32_e32 v2, 16, v2
	v_and_b32_e32 v3, 0xffff, v3
	s_delay_alu instid0(VALU_DEP_1)
	v_or_b32_e32 v2, v2, v3
	global_store_b32 v[8:9], v2, off
.LBB56_1068:
	s_mov_b32 s1, 0
.LBB56_1069:
	s_delay_alu instid0(SALU_CYCLE_1)
	s_and_not1_b32 vcc_lo, exec_lo, s1
	s_cbranch_vccnz .LBB56_1078
; %bb.1070:
	v_cmp_gt_i16_e32 vcc_lo, 6, v10
	s_mov_b32 s1, -1
	s_cbranch_vccnz .LBB56_1076
; %bb.1071:
	v_cmp_lt_i16_e32 vcc_lo, 6, v10
	s_cbranch_vccz .LBB56_1073
; %bb.1072:
	s_mov_b32 s1, 0
	s_waitcnt vmcnt(0)
	global_store_b64 v[8:9], v[0:1], off
.LBB56_1073:
	s_and_not1_b32 vcc_lo, exec_lo, s1
	s_cbranch_vccnz .LBB56_1075
; %bb.1074:
	s_waitcnt vmcnt(0)
	v_cvt_f32_f64_e32 v2, v[0:1]
	global_store_b32 v[8:9], v2, off
.LBB56_1075:
	s_mov_b32 s1, 0
.LBB56_1076:
	s_delay_alu instid0(SALU_CYCLE_1)
	s_and_not1_b32 vcc_lo, exec_lo, s1
	s_cbranch_vccnz .LBB56_1078
; %bb.1077:
	s_waitcnt vmcnt(0)
	v_cvt_f32_f64_e32 v2, v[0:1]
	s_delay_alu instid0(VALU_DEP_1)
	v_cvt_f16_f32_e32 v2, v2
	global_store_b16 v[8:9], v2, off
.LBB56_1078:
	s_mov_b32 s1, 0
.LBB56_1079:
	s_delay_alu instid0(SALU_CYCLE_1)
	s_and_not1_b32 vcc_lo, exec_lo, s1
	s_cbranch_vccnz .LBB56_1095
; %bb.1080:
	v_cmp_gt_i16_e32 vcc_lo, 2, v10
	s_mov_b32 s1, -1
	s_cbranch_vccnz .LBB56_1090
; %bb.1081:
	v_cmp_gt_i16_e32 vcc_lo, 3, v10
	s_cbranch_vccnz .LBB56_1087
; %bb.1082:
	v_cmp_lt_i16_e32 vcc_lo, 3, v10
	s_cbranch_vccz .LBB56_1084
; %bb.1083:
	s_waitcnt vmcnt(0)
	v_trunc_f64_e32 v[2:3], v[0:1]
	s_mov_b32 s1, 0
	s_delay_alu instid0(VALU_DEP_1) | instskip(NEXT) | instid1(VALU_DEP_1)
	v_ldexp_f64 v[4:5], v[2:3], 0xffffffe0
	v_floor_f64_e32 v[4:5], v[4:5]
	s_delay_alu instid0(VALU_DEP_1) | instskip(SKIP_1) | instid1(VALU_DEP_2)
	v_fma_f64 v[2:3], 0xc1f00000, v[4:5], v[2:3]
	v_cvt_i32_f64_e32 v4, v[4:5]
	v_cvt_u32_f64_e32 v3, v[2:3]
	global_store_b64 v[8:9], v[3:4], off
.LBB56_1084:
	s_and_not1_b32 vcc_lo, exec_lo, s1
	s_cbranch_vccnz .LBB56_1086
; %bb.1085:
	s_waitcnt vmcnt(0)
	v_cvt_i32_f64_e32 v2, v[0:1]
	global_store_b32 v[8:9], v2, off
.LBB56_1086:
	s_mov_b32 s1, 0
.LBB56_1087:
	s_delay_alu instid0(SALU_CYCLE_1)
	s_and_not1_b32 vcc_lo, exec_lo, s1
	s_cbranch_vccnz .LBB56_1089
; %bb.1088:
	s_waitcnt vmcnt(0)
	v_cvt_i32_f64_e32 v2, v[0:1]
	global_store_b16 v[8:9], v2, off
.LBB56_1089:
	s_mov_b32 s1, 0
.LBB56_1090:
	s_delay_alu instid0(SALU_CYCLE_1)
	s_and_not1_b32 vcc_lo, exec_lo, s1
	s_cbranch_vccnz .LBB56_1095
; %bb.1091:
	v_cmp_lt_i16_e32 vcc_lo, 0, v10
	s_mov_b32 s1, -1
	s_cbranch_vccz .LBB56_1093
; %bb.1092:
	s_waitcnt vmcnt(0)
	v_cvt_i32_f64_e32 v2, v[0:1]
	s_mov_b32 s1, 0
	global_store_b8 v[8:9], v2, off
.LBB56_1093:
	s_and_not1_b32 vcc_lo, exec_lo, s1
	s_cbranch_vccnz .LBB56_1095
; %bb.1094:
	s_waitcnt vmcnt(0)
	v_trunc_f64_e32 v[0:1], v[0:1]
	s_delay_alu instid0(VALU_DEP_1) | instskip(NEXT) | instid1(VALU_DEP_1)
	v_ldexp_f64 v[2:3], v[0:1], 0xffffffe0
	v_floor_f64_e32 v[2:3], v[2:3]
	s_delay_alu instid0(VALU_DEP_1) | instskip(NEXT) | instid1(VALU_DEP_1)
	v_fma_f64 v[0:1], 0xc1f00000, v[2:3], v[0:1]
	v_cvt_u32_f64_e32 v0, v[0:1]
	global_store_b8 v[8:9], v0, off
.LBB56_1095:
	s_or_b32 exec_lo, exec_lo, s0
	s_delay_alu instid0(SALU_CYCLE_1)
	s_and_b32 s20, s18, exec_lo
                                        ; implicit-def: $vgpr1
                                        ; implicit-def: $vgpr43
.LBB56_1096:
	s_or_saveexec_b32 s21, s41
	s_mov_b32 s2, 0
                                        ; implicit-def: $vgpr4_vgpr5
                                        ; implicit-def: $vgpr63
                                        ; implicit-def: $vgpr2_vgpr3
	s_xor_b32 exec_lo, exec_lo, s21
	s_cbranch_execz .LBB56_2132
; %bb.1097:
	s_waitcnt vmcnt(0)
	v_cndmask_b32_e64 v2, 0, 1, s40
	s_and_not1_b32 vcc_lo, exec_lo, s40
	s_cbranch_vccnz .LBB56_1103
; %bb.1098:
	v_mov_b32_e32 v68, 0
	v_mov_b32_e32 v0, 0
	s_cmp_lg_u32 s33, 0
	s_mov_b32 s4, 0
	s_cbranch_scc0 .LBB56_1107
; %bb.1099:
	s_min_u32 s5, s34, 15
	v_mov_b32_e32 v68, 0
	s_add_i32 s5, s5, 1
	s_cmp_eq_u32 s34, 2
	s_mov_b32 s6, 0
	s_cbranch_scc1 .LBB56_1104
; %bb.1100:
	v_dual_mov_b32 v0, 0 :: v_dual_mov_b32 v3, v43
	v_mov_b32_e32 v68, 0
	s_add_u32 s0, s14, 0xc4
	s_addc_u32 s1, s15, 0
	s_and_b32 s6, s5, 28
	s_mov_b32 s7, 0
	s_mov_b64 s[2:3], s[14:15]
.LBB56_1101:                            ; =>This Inner Loop Header: Depth=1
	s_clause 0x1
	s_load_b256 s[24:31], s[2:3], 0x4
	s_load_b128 s[8:11], s[2:3], 0x24
	s_load_b256 s[36:43], s[0:1], 0x0
	s_add_u32 s2, s2, 48
	s_addc_u32 s3, s3, 0
	s_add_i32 s7, s7, 4
	s_add_u32 s0, s0, 32
	s_addc_u32 s1, s1, 0
	s_cmp_lg_u32 s6, s7
	s_waitcnt lgkmcnt(0)
	v_mul_hi_u32 v4, s25, v3
	s_delay_alu instid0(VALU_DEP_1) | instskip(NEXT) | instid1(VALU_DEP_1)
	v_add_nc_u32_e32 v4, v3, v4
	v_lshrrev_b32_e32 v4, s26, v4
	s_delay_alu instid0(VALU_DEP_1) | instskip(SKIP_1) | instid1(VALU_DEP_2)
	v_mul_hi_u32 v5, s28, v4
	v_mul_lo_u32 v7, v4, s24
	v_add_nc_u32_e32 v5, v4, v5
	s_delay_alu instid0(VALU_DEP_2) | instskip(NEXT) | instid1(VALU_DEP_2)
	v_sub_nc_u32_e32 v3, v3, v7
	v_lshrrev_b32_e32 v5, s29, v5
	s_delay_alu instid0(VALU_DEP_2) | instskip(SKIP_1) | instid1(VALU_DEP_3)
	v_mul_lo_u32 v7, v3, s36
	v_mul_lo_u32 v9, v3, s37
	v_mul_hi_u32 v6, s31, v5
	s_delay_alu instid0(VALU_DEP_1) | instskip(NEXT) | instid1(VALU_DEP_1)
	v_add_nc_u32_e32 v6, v5, v6
	v_lshrrev_b32_e32 v6, s8, v6
	s_delay_alu instid0(VALU_DEP_1) | instskip(SKIP_1) | instid1(VALU_DEP_2)
	v_mul_hi_u32 v8, s10, v6
	v_mul_lo_u32 v10, v6, s30
	v_add_nc_u32_e32 v3, v6, v8
	v_mul_lo_u32 v8, v5, s27
	s_delay_alu instid0(VALU_DEP_3) | instskip(NEXT) | instid1(VALU_DEP_3)
	v_sub_nc_u32_e32 v5, v5, v10
	v_lshrrev_b32_e32 v3, s11, v3
	s_delay_alu instid0(VALU_DEP_2) | instskip(SKIP_2) | instid1(VALU_DEP_4)
	v_mul_lo_u32 v10, v5, s40
	v_mul_lo_u32 v5, v5, s41
	v_sub_nc_u32_e32 v4, v4, v8
	v_mul_lo_u32 v11, v3, s9
	s_delay_alu instid0(VALU_DEP_2) | instskip(SKIP_1) | instid1(VALU_DEP_3)
	v_mul_lo_u32 v8, v4, s38
	v_mul_lo_u32 v4, v4, s39
	v_sub_nc_u32_e32 v6, v6, v11
	s_delay_alu instid0(VALU_DEP_3) | instskip(NEXT) | instid1(VALU_DEP_2)
	v_add3_u32 v7, v7, v68, v8
	v_mul_lo_u32 v11, v6, s42
	v_mul_lo_u32 v6, v6, s43
	v_add3_u32 v0, v9, v0, v4
	s_delay_alu instid0(VALU_DEP_3) | instskip(NEXT) | instid1(VALU_DEP_2)
	v_add3_u32 v68, v10, v7, v11
	v_add3_u32 v0, v5, v0, v6
	s_cbranch_scc1 .LBB56_1101
; %bb.1102:
	s_and_b32 s5, s5, 3
	s_delay_alu instid0(SALU_CYCLE_1)
	s_cmp_eq_u32 s5, 0
	s_cbranch_scc0 .LBB56_1105
	s_branch .LBB56_1107
.LBB56_1103:
	s_mov_b32 s4, -1
                                        ; implicit-def: $vgpr68
                                        ; implicit-def: $vgpr0
	s_branch .LBB56_1107
.LBB56_1104:
	v_dual_mov_b32 v3, v43 :: v_dual_mov_b32 v0, 0
	s_and_b32 s5, s5, 3
	s_delay_alu instid0(SALU_CYCLE_1)
	s_cmp_eq_u32 s5, 0
	s_cbranch_scc1 .LBB56_1107
.LBB56_1105:
	s_lshl_b32 s0, s6, 3
	s_mul_i32 s2, s6, 12
	s_add_u32 s0, s0, s14
	s_addc_u32 s1, 0, s15
	s_add_u32 s0, s0, 0xc4
	s_addc_u32 s1, s1, 0
	;; [unrolled: 2-line block ×3, first 2 shown]
	.p2align	6
.LBB56_1106:                            ; =>This Inner Loop Header: Depth=1
	s_clause 0x1
	s_load_b64 s[6:7], s[2:3], 0x4
	s_load_b32 s10, s[2:3], 0xc
	s_load_b64 s[8:9], s[0:1], 0x0
	s_add_u32 s2, s2, 12
	s_addc_u32 s3, s3, 0
	s_add_u32 s0, s0, 8
	s_addc_u32 s1, s1, 0
	s_add_i32 s5, s5, -1
	s_delay_alu instid0(SALU_CYCLE_1) | instskip(SKIP_2) | instid1(VALU_DEP_1)
	s_cmp_lg_u32 s5, 0
	s_waitcnt lgkmcnt(0)
	v_mul_hi_u32 v4, s7, v3
	v_add_nc_u32_e32 v4, v3, v4
	s_delay_alu instid0(VALU_DEP_1) | instskip(NEXT) | instid1(VALU_DEP_1)
	v_lshrrev_b32_e32 v7, s10, v4
	v_mul_lo_u32 v4, v7, s6
	s_delay_alu instid0(VALU_DEP_1) | instskip(NEXT) | instid1(VALU_DEP_1)
	v_sub_nc_u32_e32 v3, v3, v4
	v_mad_u64_u32 v[4:5], null, v3, s8, v[68:69]
	v_mad_u64_u32 v[5:6], null, v3, s9, v[0:1]
	s_delay_alu instid0(VALU_DEP_2) | instskip(NEXT) | instid1(VALU_DEP_2)
	v_dual_mov_b32 v3, v7 :: v_dual_mov_b32 v68, v4
	v_mov_b32_e32 v0, v5
	s_cbranch_scc1 .LBB56_1106
.LBB56_1107:
	s_and_not1_b32 vcc_lo, exec_lo, s4
	s_cbranch_vccnz .LBB56_1110
; %bb.1108:
	s_clause 0x1
	s_load_b128 s[0:3], s[14:15], 0x4
	s_load_b64 s[4:5], s[14:15], 0xc4
	s_cmp_lt_u32 s33, 2
	s_waitcnt lgkmcnt(0)
	v_mul_hi_u32 v0, s1, v43
	s_delay_alu instid0(VALU_DEP_1) | instskip(NEXT) | instid1(VALU_DEP_1)
	v_add_nc_u32_e32 v0, v43, v0
	v_lshrrev_b32_e32 v3, s2, v0
	s_delay_alu instid0(VALU_DEP_1) | instskip(NEXT) | instid1(VALU_DEP_1)
	v_mul_lo_u32 v0, v3, s0
	v_sub_nc_u32_e32 v0, v43, v0
	s_delay_alu instid0(VALU_DEP_1)
	v_mul_lo_u32 v68, v0, s4
	v_mul_lo_u32 v0, v0, s5
	s_cbranch_scc1 .LBB56_1110
; %bb.1109:
	s_clause 0x1
	s_load_b128 s[0:3], s[14:15], 0x10
	s_load_b64 s[4:5], s[14:15], 0xcc
	s_waitcnt lgkmcnt(0)
	v_mul_hi_u32 v4, s1, v3
	s_delay_alu instid0(VALU_DEP_1) | instskip(NEXT) | instid1(VALU_DEP_1)
	v_add_nc_u32_e32 v4, v3, v4
	v_lshrrev_b32_e32 v4, s2, v4
	s_delay_alu instid0(VALU_DEP_1) | instskip(NEXT) | instid1(VALU_DEP_1)
	v_mul_lo_u32 v4, v4, s0
	v_sub_nc_u32_e32 v6, v3, v4
	s_delay_alu instid0(VALU_DEP_1) | instskip(SKIP_1) | instid1(VALU_DEP_2)
	v_mad_u64_u32 v[3:4], null, v6, s4, v[68:69]
	v_mad_u64_u32 v[4:5], null, v6, s5, v[0:1]
	v_mov_b32_e32 v68, v3
	s_delay_alu instid0(VALU_DEP_2)
	v_mov_b32_e32 v0, v4
.LBB56_1110:
	v_cmp_ne_u32_e32 vcc_lo, 1, v2
	v_add_nc_u32_e32 v3, 0x80, v43
	s_cbranch_vccnz .LBB56_1116
; %bb.1111:
	v_mov_b32_e32 v62, 0
	v_mov_b32_e32 v6, 0
	s_cmp_lg_u32 s33, 0
	s_mov_b32 s4, 0
	s_cbranch_scc0 .LBB56_1120
; %bb.1112:
	s_min_u32 s5, s34, 15
	v_mov_b32_e32 v62, 0
	s_add_i32 s5, s5, 1
	s_cmp_eq_u32 s34, 2
	s_mov_b32 s6, 0
	s_cbranch_scc1 .LBB56_1117
; %bb.1113:
	v_mov_b32_e32 v6, 0
	v_mov_b32_e32 v62, 0
	;; [unrolled: 1-line block ×3, first 2 shown]
	s_add_u32 s0, s14, 0xc4
	s_addc_u32 s1, s15, 0
	s_and_b32 s6, s5, 28
	s_mov_b32 s7, 0
	s_mov_b64 s[2:3], s[14:15]
.LBB56_1114:                            ; =>This Inner Loop Header: Depth=1
	s_clause 0x1
	s_load_b256 s[24:31], s[2:3], 0x4
	s_load_b128 s[8:11], s[2:3], 0x24
	s_load_b256 s[36:43], s[0:1], 0x0
	s_add_u32 s2, s2, 48
	s_addc_u32 s3, s3, 0
	s_add_i32 s7, s7, 4
	s_add_u32 s0, s0, 32
	s_addc_u32 s1, s1, 0
	s_cmp_lg_u32 s6, s7
	s_waitcnt lgkmcnt(0)
	v_mul_hi_u32 v5, s25, v4
	s_delay_alu instid0(VALU_DEP_1) | instskip(NEXT) | instid1(VALU_DEP_1)
	v_add_nc_u32_e32 v5, v4, v5
	v_lshrrev_b32_e32 v5, s26, v5
	s_delay_alu instid0(VALU_DEP_1) | instskip(SKIP_1) | instid1(VALU_DEP_2)
	v_mul_hi_u32 v7, s28, v5
	v_mul_lo_u32 v9, v5, s24
	v_add_nc_u32_e32 v7, v5, v7
	s_delay_alu instid0(VALU_DEP_2) | instskip(NEXT) | instid1(VALU_DEP_2)
	v_sub_nc_u32_e32 v4, v4, v9
	v_lshrrev_b32_e32 v7, s29, v7
	s_delay_alu instid0(VALU_DEP_2) | instskip(SKIP_1) | instid1(VALU_DEP_3)
	v_mul_lo_u32 v9, v4, s36
	v_mul_lo_u32 v11, v4, s37
	v_mul_hi_u32 v8, s31, v7
	s_delay_alu instid0(VALU_DEP_1) | instskip(NEXT) | instid1(VALU_DEP_1)
	v_add_nc_u32_e32 v8, v7, v8
	v_lshrrev_b32_e32 v8, s8, v8
	s_delay_alu instid0(VALU_DEP_1) | instskip(SKIP_1) | instid1(VALU_DEP_2)
	v_mul_hi_u32 v10, s10, v8
	v_mul_lo_u32 v12, v8, s30
	v_add_nc_u32_e32 v4, v8, v10
	v_mul_lo_u32 v10, v7, s27
	s_delay_alu instid0(VALU_DEP_3) | instskip(NEXT) | instid1(VALU_DEP_3)
	v_sub_nc_u32_e32 v7, v7, v12
	v_lshrrev_b32_e32 v4, s11, v4
	s_delay_alu instid0(VALU_DEP_2) | instskip(SKIP_2) | instid1(VALU_DEP_4)
	v_mul_lo_u32 v12, v7, s40
	v_mul_lo_u32 v7, v7, s41
	v_sub_nc_u32_e32 v5, v5, v10
	v_mul_lo_u32 v13, v4, s9
	s_delay_alu instid0(VALU_DEP_2) | instskip(SKIP_1) | instid1(VALU_DEP_3)
	v_mul_lo_u32 v10, v5, s38
	v_mul_lo_u32 v5, v5, s39
	v_sub_nc_u32_e32 v8, v8, v13
	s_delay_alu instid0(VALU_DEP_3) | instskip(NEXT) | instid1(VALU_DEP_2)
	v_add3_u32 v9, v9, v62, v10
	v_mul_lo_u32 v13, v8, s42
	v_mul_lo_u32 v8, v8, s43
	v_add3_u32 v5, v11, v6, v5
	s_delay_alu instid0(VALU_DEP_3) | instskip(NEXT) | instid1(VALU_DEP_2)
	v_add3_u32 v62, v12, v9, v13
	v_add3_u32 v6, v7, v5, v8
	s_cbranch_scc1 .LBB56_1114
; %bb.1115:
	s_and_b32 s5, s5, 3
	s_delay_alu instid0(SALU_CYCLE_1)
	s_cmp_eq_u32 s5, 0
	s_cbranch_scc0 .LBB56_1118
	s_branch .LBB56_1120
.LBB56_1116:
	s_mov_b32 s4, -1
                                        ; implicit-def: $vgpr62
                                        ; implicit-def: $vgpr6
	s_branch .LBB56_1120
.LBB56_1117:
	v_mov_b32_e32 v4, v3
	v_mov_b32_e32 v6, 0
	s_and_b32 s5, s5, 3
	s_delay_alu instid0(SALU_CYCLE_1)
	s_cmp_eq_u32 s5, 0
	s_cbranch_scc1 .LBB56_1120
.LBB56_1118:
	s_lshl_b32 s0, s6, 3
	s_mul_i32 s2, s6, 12
	s_add_u32 s0, s0, s14
	s_addc_u32 s1, 0, s15
	s_add_u32 s0, s0, 0xc4
	s_addc_u32 s1, s1, 0
	;; [unrolled: 2-line block ×3, first 2 shown]
	.p2align	6
.LBB56_1119:                            ; =>This Inner Loop Header: Depth=1
	s_clause 0x1
	s_load_b64 s[6:7], s[2:3], 0x4
	s_load_b32 s10, s[2:3], 0xc
	s_load_b64 s[8:9], s[0:1], 0x0
	s_add_u32 s2, s2, 12
	s_addc_u32 s3, s3, 0
	s_add_u32 s0, s0, 8
	s_addc_u32 s1, s1, 0
	s_add_i32 s5, s5, -1
	s_delay_alu instid0(SALU_CYCLE_1) | instskip(SKIP_2) | instid1(VALU_DEP_1)
	s_cmp_lg_u32 s5, 0
	s_waitcnt lgkmcnt(0)
	v_mul_hi_u32 v5, s7, v4
	v_add_nc_u32_e32 v5, v4, v5
	s_delay_alu instid0(VALU_DEP_1) | instskip(NEXT) | instid1(VALU_DEP_1)
	v_lshrrev_b32_e32 v5, s10, v5
	v_mul_lo_u32 v7, v5, s6
	s_delay_alu instid0(VALU_DEP_1) | instskip(NEXT) | instid1(VALU_DEP_1)
	v_sub_nc_u32_e32 v4, v4, v7
	v_mad_u64_u32 v[7:8], null, v4, s8, v[62:63]
	s_delay_alu instid0(VALU_DEP_1) | instskip(SKIP_2) | instid1(VALU_DEP_2)
	v_mov_b32_e32 v62, v7
	v_mad_u64_u32 v[8:9], null, v4, s9, v[6:7]
	v_mov_b32_e32 v4, v5
	v_mov_b32_e32 v6, v8
	s_cbranch_scc1 .LBB56_1119
.LBB56_1120:
	s_and_not1_b32 vcc_lo, exec_lo, s4
	s_cbranch_vccnz .LBB56_1123
; %bb.1121:
	s_clause 0x1
	s_load_b128 s[0:3], s[14:15], 0x4
	s_load_b64 s[4:5], s[14:15], 0xc4
	s_cmp_lt_u32 s33, 2
	s_waitcnt lgkmcnt(0)
	v_mul_hi_u32 v4, s1, v3
	s_delay_alu instid0(VALU_DEP_1) | instskip(NEXT) | instid1(VALU_DEP_1)
	v_add_nc_u32_e32 v4, v3, v4
	v_lshrrev_b32_e32 v4, s2, v4
	s_delay_alu instid0(VALU_DEP_1) | instskip(NEXT) | instid1(VALU_DEP_1)
	v_mul_lo_u32 v5, v4, s0
	v_sub_nc_u32_e32 v3, v3, v5
	s_delay_alu instid0(VALU_DEP_1)
	v_mul_lo_u32 v62, v3, s4
	v_mul_lo_u32 v6, v3, s5
	s_cbranch_scc1 .LBB56_1123
; %bb.1122:
	s_clause 0x1
	s_load_b128 s[0:3], s[14:15], 0x10
	s_load_b64 s[4:5], s[14:15], 0xcc
	s_waitcnt lgkmcnt(0)
	v_mul_hi_u32 v3, s1, v4
	s_delay_alu instid0(VALU_DEP_1) | instskip(NEXT) | instid1(VALU_DEP_1)
	v_add_nc_u32_e32 v3, v4, v3
	v_lshrrev_b32_e32 v3, s2, v3
	s_delay_alu instid0(VALU_DEP_1) | instskip(NEXT) | instid1(VALU_DEP_1)
	v_mul_lo_u32 v3, v3, s0
	v_sub_nc_u32_e32 v7, v4, v3
	s_delay_alu instid0(VALU_DEP_1) | instskip(SKIP_1) | instid1(VALU_DEP_2)
	v_mad_u64_u32 v[3:4], null, v7, s4, v[62:63]
	v_mad_u64_u32 v[4:5], null, v7, s5, v[6:7]
	v_mov_b32_e32 v62, v3
	s_delay_alu instid0(VALU_DEP_2)
	v_mov_b32_e32 v6, v4
.LBB56_1123:
	v_cmp_ne_u32_e32 vcc_lo, 1, v2
	v_add_nc_u32_e32 v3, 0x100, v43
	s_cbranch_vccnz .LBB56_1129
; %bb.1124:
	v_mov_b32_e32 v61, 0
	v_mov_b32_e32 v5, 0
	s_cmp_lg_u32 s33, 0
	s_mov_b32 s4, 0
	s_cbranch_scc0 .LBB56_1133
; %bb.1125:
	s_min_u32 s5, s34, 15
	v_mov_b32_e32 v61, 0
	s_add_i32 s5, s5, 1
	s_cmp_eq_u32 s34, 2
	s_mov_b32 s6, 0
	s_cbranch_scc1 .LBB56_1130
; %bb.1126:
	v_dual_mov_b32 v5, 0 :: v_dual_mov_b32 v4, v3
	v_mov_b32_e32 v61, 0
	s_add_u32 s0, s14, 0xc4
	s_addc_u32 s1, s15, 0
	s_and_b32 s6, s5, 28
	s_mov_b32 s7, 0
	s_mov_b64 s[2:3], s[14:15]
.LBB56_1127:                            ; =>This Inner Loop Header: Depth=1
	s_clause 0x1
	s_load_b256 s[24:31], s[2:3], 0x4
	s_load_b128 s[8:11], s[2:3], 0x24
	s_load_b256 s[36:43], s[0:1], 0x0
	s_add_u32 s2, s2, 48
	s_addc_u32 s3, s3, 0
	s_add_i32 s7, s7, 4
	s_add_u32 s0, s0, 32
	s_addc_u32 s1, s1, 0
	s_cmp_lg_u32 s6, s7
	s_waitcnt lgkmcnt(0)
	v_mul_hi_u32 v7, s25, v4
	s_delay_alu instid0(VALU_DEP_1) | instskip(NEXT) | instid1(VALU_DEP_1)
	v_add_nc_u32_e32 v7, v4, v7
	v_lshrrev_b32_e32 v7, s26, v7
	s_delay_alu instid0(VALU_DEP_1) | instskip(SKIP_1) | instid1(VALU_DEP_2)
	v_mul_hi_u32 v8, s28, v7
	v_mul_lo_u32 v10, v7, s24
	v_add_nc_u32_e32 v8, v7, v8
	s_delay_alu instid0(VALU_DEP_2) | instskip(NEXT) | instid1(VALU_DEP_2)
	v_sub_nc_u32_e32 v4, v4, v10
	v_lshrrev_b32_e32 v8, s29, v8
	s_delay_alu instid0(VALU_DEP_2) | instskip(SKIP_1) | instid1(VALU_DEP_3)
	v_mul_lo_u32 v10, v4, s36
	v_mul_lo_u32 v12, v4, s37
	v_mul_hi_u32 v9, s31, v8
	s_delay_alu instid0(VALU_DEP_1) | instskip(NEXT) | instid1(VALU_DEP_1)
	v_add_nc_u32_e32 v9, v8, v9
	v_lshrrev_b32_e32 v9, s8, v9
	s_delay_alu instid0(VALU_DEP_1) | instskip(SKIP_1) | instid1(VALU_DEP_2)
	v_mul_hi_u32 v11, s10, v9
	v_mul_lo_u32 v13, v9, s30
	v_add_nc_u32_e32 v4, v9, v11
	v_mul_lo_u32 v11, v8, s27
	s_delay_alu instid0(VALU_DEP_3) | instskip(NEXT) | instid1(VALU_DEP_3)
	v_sub_nc_u32_e32 v8, v8, v13
	v_lshrrev_b32_e32 v4, s11, v4
	s_delay_alu instid0(VALU_DEP_2) | instskip(SKIP_2) | instid1(VALU_DEP_4)
	v_mul_lo_u32 v13, v8, s40
	v_mul_lo_u32 v8, v8, s41
	v_sub_nc_u32_e32 v7, v7, v11
	v_mul_lo_u32 v14, v4, s9
	s_delay_alu instid0(VALU_DEP_2) | instskip(SKIP_1) | instid1(VALU_DEP_3)
	v_mul_lo_u32 v11, v7, s38
	v_mul_lo_u32 v7, v7, s39
	v_sub_nc_u32_e32 v9, v9, v14
	s_delay_alu instid0(VALU_DEP_3) | instskip(NEXT) | instid1(VALU_DEP_2)
	v_add3_u32 v10, v10, v61, v11
	v_mul_lo_u32 v14, v9, s42
	v_mul_lo_u32 v9, v9, s43
	v_add3_u32 v5, v12, v5, v7
	s_delay_alu instid0(VALU_DEP_3) | instskip(NEXT) | instid1(VALU_DEP_2)
	v_add3_u32 v61, v13, v10, v14
	v_add3_u32 v5, v8, v5, v9
	s_cbranch_scc1 .LBB56_1127
; %bb.1128:
	s_and_b32 s5, s5, 3
	s_delay_alu instid0(SALU_CYCLE_1)
	s_cmp_eq_u32 s5, 0
	s_cbranch_scc0 .LBB56_1131
	s_branch .LBB56_1133
.LBB56_1129:
	s_mov_b32 s4, -1
                                        ; implicit-def: $vgpr61
                                        ; implicit-def: $vgpr5
	s_branch .LBB56_1133
.LBB56_1130:
	v_dual_mov_b32 v4, v3 :: v_dual_mov_b32 v5, 0
	s_and_b32 s5, s5, 3
	s_delay_alu instid0(SALU_CYCLE_1)
	s_cmp_eq_u32 s5, 0
	s_cbranch_scc1 .LBB56_1133
.LBB56_1131:
	s_lshl_b32 s0, s6, 3
	s_mul_i32 s2, s6, 12
	s_add_u32 s0, s0, s14
	s_addc_u32 s1, 0, s15
	s_add_u32 s0, s0, 0xc4
	s_addc_u32 s1, s1, 0
	;; [unrolled: 2-line block ×3, first 2 shown]
	.p2align	6
.LBB56_1132:                            ; =>This Inner Loop Header: Depth=1
	s_clause 0x1
	s_load_b64 s[6:7], s[2:3], 0x4
	s_load_b32 s10, s[2:3], 0xc
	s_load_b64 s[8:9], s[0:1], 0x0
	s_add_u32 s2, s2, 12
	s_addc_u32 s3, s3, 0
	s_add_u32 s0, s0, 8
	s_addc_u32 s1, s1, 0
	s_add_i32 s5, s5, -1
	s_delay_alu instid0(SALU_CYCLE_1) | instskip(SKIP_2) | instid1(VALU_DEP_1)
	s_cmp_lg_u32 s5, 0
	s_waitcnt lgkmcnt(0)
	v_mul_hi_u32 v7, s7, v4
	v_add_nc_u32_e32 v7, v4, v7
	s_delay_alu instid0(VALU_DEP_1) | instskip(NEXT) | instid1(VALU_DEP_1)
	v_lshrrev_b32_e32 v10, s10, v7
	v_mul_lo_u32 v7, v10, s6
	s_delay_alu instid0(VALU_DEP_1) | instskip(NEXT) | instid1(VALU_DEP_1)
	v_sub_nc_u32_e32 v4, v4, v7
	v_mad_u64_u32 v[7:8], null, v4, s8, v[61:62]
	v_mad_u64_u32 v[8:9], null, v4, s9, v[5:6]
	s_delay_alu instid0(VALU_DEP_2) | instskip(NEXT) | instid1(VALU_DEP_2)
	v_dual_mov_b32 v4, v10 :: v_dual_mov_b32 v61, v7
	v_mov_b32_e32 v5, v8
	s_cbranch_scc1 .LBB56_1132
.LBB56_1133:
	s_and_not1_b32 vcc_lo, exec_lo, s4
	s_cbranch_vccnz .LBB56_1136
; %bb.1134:
	s_clause 0x1
	s_load_b128 s[0:3], s[14:15], 0x4
	s_load_b64 s[4:5], s[14:15], 0xc4
	s_cmp_lt_u32 s33, 2
	s_waitcnt lgkmcnt(0)
	v_mul_hi_u32 v4, s1, v3
	s_delay_alu instid0(VALU_DEP_1) | instskip(NEXT) | instid1(VALU_DEP_1)
	v_add_nc_u32_e32 v4, v3, v4
	v_lshrrev_b32_e32 v4, s2, v4
	s_delay_alu instid0(VALU_DEP_1) | instskip(NEXT) | instid1(VALU_DEP_1)
	v_mul_lo_u32 v5, v4, s0
	v_sub_nc_u32_e32 v3, v3, v5
	s_delay_alu instid0(VALU_DEP_1)
	v_mul_lo_u32 v61, v3, s4
	v_mul_lo_u32 v5, v3, s5
	s_cbranch_scc1 .LBB56_1136
; %bb.1135:
	s_clause 0x1
	s_load_b128 s[0:3], s[14:15], 0x10
	s_load_b64 s[4:5], s[14:15], 0xcc
	s_waitcnt lgkmcnt(0)
	v_mul_hi_u32 v3, s1, v4
	s_delay_alu instid0(VALU_DEP_1) | instskip(NEXT) | instid1(VALU_DEP_1)
	v_add_nc_u32_e32 v3, v4, v3
	v_lshrrev_b32_e32 v3, s2, v3
	s_delay_alu instid0(VALU_DEP_1) | instskip(NEXT) | instid1(VALU_DEP_1)
	v_mul_lo_u32 v3, v3, s0
	v_sub_nc_u32_e32 v9, v4, v3
	s_delay_alu instid0(VALU_DEP_1) | instskip(SKIP_1) | instid1(VALU_DEP_2)
	v_mad_u64_u32 v[3:4], null, v9, s4, v[61:62]
	v_mad_u64_u32 v[7:8], null, v9, s5, v[5:6]
	v_mov_b32_e32 v61, v3
	s_delay_alu instid0(VALU_DEP_2)
	v_mov_b32_e32 v5, v7
.LBB56_1136:
	v_cmp_ne_u32_e32 vcc_lo, 1, v2
	s_cbranch_vccnz .LBB56_1142
; %bb.1137:
	v_mov_b32_e32 v60, 0
	v_mov_b32_e32 v4, 0
	s_cmp_lg_u32 s33, 0
	s_mov_b32 s4, 0
	s_cbranch_scc0 .LBB56_1146
; %bb.1138:
	s_min_u32 s5, s34, 15
	v_mov_b32_e32 v60, 0
	s_add_i32 s5, s5, 1
	s_cmp_eq_u32 s34, 2
	s_mov_b32 s6, 0
	s_cbranch_scc1 .LBB56_1143
; %bb.1139:
	v_mov_b32_e32 v4, 0
	v_mov_b32_e32 v60, 0
	;; [unrolled: 1-line block ×3, first 2 shown]
	s_add_u32 s0, s14, 0xc4
	s_addc_u32 s1, s15, 0
	s_and_b32 s6, s5, 28
	s_mov_b32 s7, 0
	s_mov_b64 s[2:3], s[14:15]
.LBB56_1140:                            ; =>This Inner Loop Header: Depth=1
	s_clause 0x1
	s_load_b256 s[24:31], s[2:3], 0x4
	s_load_b128 s[8:11], s[2:3], 0x24
	s_load_b256 s[36:43], s[0:1], 0x0
	s_add_u32 s2, s2, 48
	s_addc_u32 s3, s3, 0
	s_add_i32 s7, s7, 4
	s_add_u32 s0, s0, 32
	s_addc_u32 s1, s1, 0
	s_cmp_lg_u32 s6, s7
	s_waitcnt lgkmcnt(0)
	v_mul_hi_u32 v3, s25, v2
	s_delay_alu instid0(VALU_DEP_1) | instskip(NEXT) | instid1(VALU_DEP_1)
	v_add_nc_u32_e32 v3, v2, v3
	v_lshrrev_b32_e32 v3, s26, v3
	s_delay_alu instid0(VALU_DEP_1) | instskip(SKIP_1) | instid1(VALU_DEP_2)
	v_mul_hi_u32 v7, s28, v3
	v_mul_lo_u32 v9, v3, s24
	v_add_nc_u32_e32 v7, v3, v7
	s_delay_alu instid0(VALU_DEP_2) | instskip(NEXT) | instid1(VALU_DEP_2)
	v_sub_nc_u32_e32 v2, v2, v9
	v_lshrrev_b32_e32 v7, s29, v7
	s_delay_alu instid0(VALU_DEP_2) | instskip(SKIP_1) | instid1(VALU_DEP_3)
	v_mul_lo_u32 v9, v2, s36
	v_mul_lo_u32 v11, v2, s37
	v_mul_hi_u32 v8, s31, v7
	s_delay_alu instid0(VALU_DEP_1) | instskip(NEXT) | instid1(VALU_DEP_1)
	v_add_nc_u32_e32 v8, v7, v8
	v_lshrrev_b32_e32 v8, s8, v8
	s_delay_alu instid0(VALU_DEP_1) | instskip(SKIP_1) | instid1(VALU_DEP_2)
	v_mul_hi_u32 v10, s10, v8
	v_mul_lo_u32 v12, v8, s30
	v_add_nc_u32_e32 v2, v8, v10
	v_mul_lo_u32 v10, v7, s27
	s_delay_alu instid0(VALU_DEP_3) | instskip(NEXT) | instid1(VALU_DEP_3)
	v_sub_nc_u32_e32 v7, v7, v12
	v_lshrrev_b32_e32 v2, s11, v2
	s_delay_alu instid0(VALU_DEP_2) | instskip(SKIP_2) | instid1(VALU_DEP_4)
	v_mul_lo_u32 v12, v7, s40
	v_mul_lo_u32 v7, v7, s41
	v_sub_nc_u32_e32 v3, v3, v10
	v_mul_lo_u32 v13, v2, s9
	s_delay_alu instid0(VALU_DEP_2) | instskip(SKIP_1) | instid1(VALU_DEP_3)
	v_mul_lo_u32 v10, v3, s38
	v_mul_lo_u32 v3, v3, s39
	v_sub_nc_u32_e32 v8, v8, v13
	s_delay_alu instid0(VALU_DEP_3) | instskip(NEXT) | instid1(VALU_DEP_2)
	v_add3_u32 v9, v9, v60, v10
	v_mul_lo_u32 v13, v8, s42
	v_mul_lo_u32 v8, v8, s43
	v_add3_u32 v3, v11, v4, v3
	s_delay_alu instid0(VALU_DEP_3) | instskip(NEXT) | instid1(VALU_DEP_2)
	v_add3_u32 v60, v12, v9, v13
	v_add3_u32 v4, v7, v3, v8
	s_cbranch_scc1 .LBB56_1140
; %bb.1141:
	s_and_b32 s5, s5, 3
	s_delay_alu instid0(SALU_CYCLE_1)
	s_cmp_eq_u32 s5, 0
	s_cbranch_scc0 .LBB56_1144
	s_branch .LBB56_1146
.LBB56_1142:
	s_mov_b32 s4, -1
                                        ; implicit-def: $vgpr60
                                        ; implicit-def: $vgpr4
	s_branch .LBB56_1146
.LBB56_1143:
	v_mov_b32_e32 v2, v1
	v_mov_b32_e32 v4, 0
	s_and_b32 s5, s5, 3
	s_delay_alu instid0(SALU_CYCLE_1)
	s_cmp_eq_u32 s5, 0
	s_cbranch_scc1 .LBB56_1146
.LBB56_1144:
	s_lshl_b32 s0, s6, 3
	s_mul_i32 s2, s6, 12
	s_add_u32 s0, s0, s14
	s_addc_u32 s1, 0, s15
	s_add_u32 s0, s0, 0xc4
	s_addc_u32 s1, s1, 0
	;; [unrolled: 2-line block ×3, first 2 shown]
	.p2align	6
.LBB56_1145:                            ; =>This Inner Loop Header: Depth=1
	s_clause 0x1
	s_load_b64 s[6:7], s[2:3], 0x4
	s_load_b32 s10, s[2:3], 0xc
	s_load_b64 s[8:9], s[0:1], 0x0
	s_add_u32 s2, s2, 12
	s_addc_u32 s3, s3, 0
	s_add_u32 s0, s0, 8
	s_addc_u32 s1, s1, 0
	s_add_i32 s5, s5, -1
	s_delay_alu instid0(SALU_CYCLE_1) | instskip(SKIP_2) | instid1(VALU_DEP_1)
	s_cmp_lg_u32 s5, 0
	s_waitcnt lgkmcnt(0)
	v_mul_hi_u32 v3, s7, v2
	v_add_nc_u32_e32 v3, v2, v3
	s_delay_alu instid0(VALU_DEP_1) | instskip(NEXT) | instid1(VALU_DEP_1)
	v_lshrrev_b32_e32 v3, s10, v3
	v_mul_lo_u32 v7, v3, s6
	s_delay_alu instid0(VALU_DEP_1) | instskip(NEXT) | instid1(VALU_DEP_1)
	v_sub_nc_u32_e32 v2, v2, v7
	v_mad_u64_u32 v[7:8], null, v2, s8, v[60:61]
	v_mad_u64_u32 v[8:9], null, v2, s9, v[4:5]
	v_mov_b32_e32 v2, v3
	s_delay_alu instid0(VALU_DEP_3) | instskip(NEXT) | instid1(VALU_DEP_3)
	v_mov_b32_e32 v60, v7
	v_mov_b32_e32 v4, v8
	s_cbranch_scc1 .LBB56_1145
.LBB56_1146:
	s_and_not1_b32 vcc_lo, exec_lo, s4
	s_cbranch_vccnz .LBB56_1149
; %bb.1147:
	s_clause 0x1
	s_load_b128 s[0:3], s[14:15], 0x4
	s_load_b64 s[4:5], s[14:15], 0xc4
	s_cmp_lt_u32 s33, 2
	s_waitcnt lgkmcnt(0)
	v_mul_hi_u32 v2, s1, v1
	s_delay_alu instid0(VALU_DEP_1) | instskip(NEXT) | instid1(VALU_DEP_1)
	v_add_nc_u32_e32 v2, v1, v2
	v_lshrrev_b32_e32 v2, s2, v2
	s_delay_alu instid0(VALU_DEP_1) | instskip(NEXT) | instid1(VALU_DEP_1)
	v_mul_lo_u32 v3, v2, s0
	v_sub_nc_u32_e32 v1, v1, v3
	s_delay_alu instid0(VALU_DEP_1)
	v_mul_lo_u32 v60, v1, s4
	v_mul_lo_u32 v4, v1, s5
	s_cbranch_scc1 .LBB56_1149
; %bb.1148:
	s_clause 0x1
	s_load_b128 s[0:3], s[14:15], 0x10
	s_load_b64 s[4:5], s[14:15], 0xcc
	s_waitcnt lgkmcnt(0)
	v_mul_hi_u32 v1, s1, v2
	s_delay_alu instid0(VALU_DEP_1) | instskip(NEXT) | instid1(VALU_DEP_1)
	v_add_nc_u32_e32 v1, v2, v1
	v_lshrrev_b32_e32 v1, s2, v1
	s_delay_alu instid0(VALU_DEP_1) | instskip(NEXT) | instid1(VALU_DEP_1)
	v_mul_lo_u32 v1, v1, s0
	v_sub_nc_u32_e32 v7, v2, v1
	s_delay_alu instid0(VALU_DEP_1) | instskip(SKIP_1) | instid1(VALU_DEP_2)
	v_mad_u64_u32 v[1:2], null, v7, s4, v[60:61]
	v_mad_u64_u32 v[2:3], null, v7, s5, v[4:5]
	v_mov_b32_e32 v60, v1
	s_delay_alu instid0(VALU_DEP_2)
	v_mov_b32_e32 v4, v2
.LBB56_1149:
	s_clause 0x1
	s_load_b32 s4, s[16:17], 0x160
	s_load_b128 s[16:19], s[14:15], 0x148
	s_mov_b32 s2, 0
	s_waitcnt lgkmcnt(0)
	s_lshr_b32 s0, s4, 16
	s_delay_alu instid0(SALU_CYCLE_1) | instskip(SKIP_1) | instid1(VALU_DEP_1)
	v_and_b32_e64 v9, 0xff, s0
	v_add_co_u32 v7, s0, s18, v0
	v_add_co_ci_u32_e64 v8, null, s19, 0, s0
	s_delay_alu instid0(VALU_DEP_3)
	v_cmp_gt_i16_e32 vcc_lo, 11, v9
	s_cbranch_vccnz .LBB56_1156
; %bb.1150:
	v_cmp_lt_i16_e32 vcc_lo, 25, v9
	s_mov_b32 s6, 0
	s_cbranch_vccz .LBB56_1162
; %bb.1151:
	v_cmp_lt_i16_e32 vcc_lo, 28, v9
	s_cbranch_vccz .LBB56_1165
; %bb.1152:
	v_cmp_lt_i16_e32 vcc_lo, 43, v9
	;; [unrolled: 3-line block ×3, first 2 shown]
	s_cbranch_vccz .LBB56_1171
; %bb.1154:
	v_cmp_eq_u16_e32 vcc_lo, 46, v9
	s_mov_b32 s0, 0
	s_cbranch_vccz .LBB56_1214
; %bb.1155:
	global_load_b32 v0, v[7:8], off
	s_mov_b32 s5, 0
	s_mov_b32 s2, -1
	s_waitcnt vmcnt(0)
	v_lshlrev_b32_e32 v1, 16, v0
	v_and_b32_e32 v2, 0xffff0000, v0
	s_delay_alu instid0(VALU_DEP_2) | instskip(NEXT) | instid1(VALU_DEP_2)
	v_cvt_f64_f32_e32 v[0:1], v1
	v_cvt_f64_f32_e32 v[2:3], v2
	s_branch .LBB56_1216
.LBB56_1156:
	s_mov_b32 s14, s20
                                        ; implicit-def: $vgpr2_vgpr3
	s_cbranch_execz .LBB56_1282
; %bb.1157:
	v_cmp_gt_i16_e32 vcc_lo, 5, v9
	s_cbranch_vccnz .LBB56_1163
; %bb.1158:
	v_cmp_gt_i16_e32 vcc_lo, 8, v9
	s_cbranch_vccnz .LBB56_1166
; %bb.1159:
	v_cmp_gt_i16_e32 vcc_lo, 9, v9
	s_cbranch_vccnz .LBB56_1168
; %bb.1160:
	v_cmp_lt_i16_e32 vcc_lo, 9, v9
	s_cbranch_vccz .LBB56_1172
; %bb.1161:
	global_load_b128 v[0:3], v[7:8], off
	s_mov_b32 s0, 0
	s_branch .LBB56_1173
.LBB56_1162:
	s_mov_b32 s5, 0
                                        ; implicit-def: $vgpr2_vgpr3
	s_cbranch_execnz .LBB56_1248
	s_branch .LBB56_1278
.LBB56_1163:
                                        ; implicit-def: $vgpr2_vgpr3
	s_branch .LBB56_1191
.LBB56_1164:
	s_branch .LBB56_1283
.LBB56_1165:
	s_mov_b32 s5, 0
                                        ; implicit-def: $vgpr2_vgpr3
	s_cbranch_execnz .LBB56_1228
	s_branch .LBB56_1247
.LBB56_1166:
                                        ; implicit-def: $vgpr2_vgpr3
	s_branch .LBB56_1179
.LBB56_1167:
	s_mov_b32 s0, -1
	s_mov_b32 s5, 0
                                        ; implicit-def: $vgpr2_vgpr3
	s_branch .LBB56_1222
.LBB56_1168:
	s_mov_b32 s0, -1
                                        ; implicit-def: $vgpr2_vgpr3
	s_branch .LBB56_1176
.LBB56_1169:
	s_cbranch_execnz .LBB56_1212
; %bb.1170:
	s_or_b32 s18, s18, exec_lo
	s_and_not1_b32 s0, s0, exec_lo
	s_or_b32 exec_lo, exec_lo, s2
	s_and_saveexec_b32 s2, s0
	s_delay_alu instid0(SALU_CYCLE_1)
	s_xor_b32 s2, exec_lo, s2
	s_cbranch_execnz .LBB56_1056
	s_branch .LBB56_1057
.LBB56_1171:
	s_mov_b32 s0, -1
	s_mov_b32 s5, 0
	s_branch .LBB56_1215
.LBB56_1172:
	s_mov_b32 s0, -1
                                        ; implicit-def: $vgpr2_vgpr3
.LBB56_1173:
	s_delay_alu instid0(SALU_CYCLE_1)
	s_and_not1_b32 vcc_lo, exec_lo, s0
	s_cbranch_vccnz .LBB56_1175
; %bb.1174:
	global_load_b64 v[1:2], v[7:8], off
	s_waitcnt vmcnt(0)
	v_cvt_f64_f32_e32 v[0:1], v1
	v_cvt_f64_f32_e32 v[2:3], v2
.LBB56_1175:
	s_mov_b32 s0, 0
.LBB56_1176:
	s_delay_alu instid0(SALU_CYCLE_1)
	s_and_not1_b32 vcc_lo, exec_lo, s0
	s_cbranch_vccnz .LBB56_1178
; %bb.1177:
	global_load_b32 v0, v[7:8], off
	s_waitcnt vmcnt(0)
	v_lshrrev_b32_e32 v1, 16, v0
	v_cvt_f32_f16_e32 v0, v0
	s_delay_alu instid0(VALU_DEP_2) | instskip(NEXT) | instid1(VALU_DEP_2)
	v_cvt_f32_f16_e32 v2, v1
	v_cvt_f64_f32_e32 v[0:1], v0
	s_delay_alu instid0(VALU_DEP_2)
	v_cvt_f64_f32_e32 v[2:3], v2
.LBB56_1178:
	s_cbranch_execnz .LBB56_1190
.LBB56_1179:
	v_cmp_gt_i16_e32 vcc_lo, 6, v9
	s_cbranch_vccnz .LBB56_1182
; %bb.1180:
	v_cmp_lt_i16_e32 vcc_lo, 6, v9
	s_cbranch_vccz .LBB56_1183
; %bb.1181:
	global_load_b64 v[0:1], v[7:8], off
	s_mov_b32 s2, 0
	s_mov_b64 s[0:1], 0
	s_branch .LBB56_1184
.LBB56_1182:
	s_mov_b32 s2, -1
                                        ; implicit-def: $sgpr0_sgpr1
                                        ; implicit-def: $vgpr0_vgpr1
	s_branch .LBB56_1187
.LBB56_1183:
	s_mov_b32 s2, -1
                                        ; implicit-def: $sgpr0_sgpr1
                                        ; implicit-def: $vgpr0_vgpr1
.LBB56_1184:
	s_delay_alu instid0(SALU_CYCLE_1)
	s_and_not1_b32 vcc_lo, exec_lo, s2
	s_cbranch_vccnz .LBB56_1186
; %bb.1185:
	global_load_b32 v0, v[7:8], off
	s_mov_b64 s[0:1], 0
	s_waitcnt vmcnt(0)
	v_cvt_f64_f32_e32 v[0:1], v0
.LBB56_1186:
	s_mov_b32 s2, 0
.LBB56_1187:
	s_delay_alu instid0(SALU_CYCLE_1)
	s_and_not1_b32 vcc_lo, exec_lo, s2
	s_cbranch_vccnz .LBB56_1189
; %bb.1188:
	global_load_u16 v0, v[7:8], off
	s_mov_b64 s[0:1], 0
	s_waitcnt vmcnt(0)
	v_cvt_f32_f16_e32 v0, v0
	s_delay_alu instid0(VALU_DEP_1)
	v_cvt_f64_f32_e32 v[0:1], v0
.LBB56_1189:
	s_waitcnt vmcnt(0)
	v_dual_mov_b32 v3, s1 :: v_dual_mov_b32 v2, s0
.LBB56_1190:
	s_cbranch_execnz .LBB56_1164
.LBB56_1191:
	v_cmp_gt_i16_e32 vcc_lo, 2, v9
	s_cbranch_vccnz .LBB56_1195
; %bb.1192:
	v_cmp_gt_i16_e32 vcc_lo, 3, v9
	s_cbranch_vccnz .LBB56_1196
; %bb.1193:
	v_cmp_lt_i16_e32 vcc_lo, 3, v9
	s_cbranch_vccz .LBB56_1197
; %bb.1194:
	global_load_b64 v[0:1], v[7:8], off
	s_mov_b32 s2, 0
	s_mov_b64 s[0:1], 0
	s_waitcnt vmcnt(0)
	v_cvt_f64_i32_e32 v[1:2], v1
	v_cvt_f64_u32_e32 v[10:11], v0
	s_delay_alu instid0(VALU_DEP_2) | instskip(NEXT) | instid1(VALU_DEP_1)
	v_ldexp_f64 v[1:2], v[1:2], 32
	v_add_f64 v[0:1], v[1:2], v[10:11]
	s_branch .LBB56_1198
.LBB56_1195:
                                        ; implicit-def: $sgpr0_sgpr1
                                        ; implicit-def: $vgpr0_vgpr1
	s_branch .LBB56_1204
.LBB56_1196:
	s_mov_b32 s2, -1
                                        ; implicit-def: $sgpr0_sgpr1
                                        ; implicit-def: $vgpr0_vgpr1
	s_branch .LBB56_1201
.LBB56_1197:
	s_mov_b32 s2, -1
                                        ; implicit-def: $sgpr0_sgpr1
                                        ; implicit-def: $vgpr0_vgpr1
.LBB56_1198:
	s_delay_alu instid0(SALU_CYCLE_1)
	s_and_not1_b32 vcc_lo, exec_lo, s2
	s_cbranch_vccnz .LBB56_1200
; %bb.1199:
	global_load_b32 v0, v[7:8], off
	s_mov_b64 s[0:1], 0
	s_waitcnt vmcnt(0)
	v_cvt_f64_i32_e32 v[0:1], v0
.LBB56_1200:
	s_mov_b32 s2, 0
.LBB56_1201:
	s_delay_alu instid0(SALU_CYCLE_1)
	s_and_not1_b32 vcc_lo, exec_lo, s2
	s_cbranch_vccnz .LBB56_1203
; %bb.1202:
	global_load_i16 v0, v[7:8], off
	s_mov_b64 s[0:1], 0
	s_waitcnt vmcnt(0)
	v_cvt_f64_i32_e32 v[0:1], v0
.LBB56_1203:
	s_cbranch_execnz .LBB56_1209
.LBB56_1204:
	v_cmp_lt_i16_e32 vcc_lo, 0, v9
	s_mov_b32 s2, 0
	s_cbranch_vccz .LBB56_1206
; %bb.1205:
	global_load_i8 v0, v[7:8], off
	s_mov_b64 s[0:1], 0
	s_waitcnt vmcnt(0)
	v_cvt_f64_i32_e32 v[0:1], v0
	s_branch .LBB56_1207
.LBB56_1206:
	s_mov_b32 s2, -1
                                        ; implicit-def: $sgpr0_sgpr1
                                        ; implicit-def: $vgpr0_vgpr1
.LBB56_1207:
	s_delay_alu instid0(SALU_CYCLE_1)
	s_and_not1_b32 vcc_lo, exec_lo, s2
	s_cbranch_vccnz .LBB56_1209
; %bb.1208:
	global_load_u8 v0, v[7:8], off
	s_mov_b64 s[0:1], 0
	s_waitcnt vmcnt(0)
	v_cvt_f64_u32_e32 v[0:1], v0
.LBB56_1209:
	s_waitcnt vmcnt(0)
	v_dual_mov_b32 v3, s1 :: v_dual_mov_b32 v2, s0
	s_branch .LBB56_1283
.LBB56_1210:
	s_trap 2
	s_sendmsg_rtn_b32 s0, sendmsg(MSG_RTN_GET_DOORBELL)
	s_mov_b32 ttmp2, m0
	s_waitcnt lgkmcnt(0)
	s_and_b32 s0, s0, 0x3ff
	s_delay_alu instid0(SALU_CYCLE_1) | instskip(NEXT) | instid1(SALU_CYCLE_1)
	s_bitset1_b32 s0, 10
	s_mov_b32 m0, s0
	s_sendmsg sendmsg(MSG_INTERRUPT)
	s_mov_b32 m0, ttmp2
.LBB56_1211:                            ; =>This Inner Loop Header: Depth=1
	s_sethalt 5
	s_branch .LBB56_1211
.LBB56_1212:
	s_trap 2
	s_sendmsg_rtn_b32 s0, sendmsg(MSG_RTN_GET_DOORBELL)
	s_mov_b32 ttmp2, m0
	s_waitcnt lgkmcnt(0)
	s_and_b32 s0, s0, 0x3ff
	s_delay_alu instid0(SALU_CYCLE_1) | instskip(NEXT) | instid1(SALU_CYCLE_1)
	s_bitset1_b32 s0, 10
	s_mov_b32 m0, s0
	s_sendmsg sendmsg(MSG_INTERRUPT)
	s_mov_b32 m0, ttmp2
.LBB56_1213:                            ; =>This Inner Loop Header: Depth=1
	s_sethalt 5
	s_branch .LBB56_1213
.LBB56_1214:
	s_mov_b32 s5, -1
.LBB56_1215:
                                        ; implicit-def: $vgpr2_vgpr3
.LBB56_1216:
	s_and_b32 vcc_lo, exec_lo, s0
	s_cbranch_vccz .LBB56_1221
; %bb.1217:
	v_cmp_eq_u16_e32 vcc_lo, 44, v9
	s_cbranch_vccz .LBB56_1219
; %bb.1218:
	global_load_u8 v2, v[7:8], off
	s_mov_b32 s5, 0
	s_mov_b32 s2, -1
	s_mov_b64 s[0:1], 0
	s_waitcnt vmcnt(0)
	v_cmp_ne_u32_e32 vcc_lo, 0xff, v2
	v_lshlrev_b32_e32 v0, 23, v2
	s_delay_alu instid0(VALU_DEP_1) | instskip(NEXT) | instid1(VALU_DEP_1)
	v_cvt_f64_f32_e32 v[0:1], v0
	v_cndmask_b32_e32 v1, 0x7ff80000, v1, vcc_lo
	s_delay_alu instid0(VALU_DEP_2) | instskip(SKIP_1) | instid1(VALU_DEP_3)
	v_cndmask_b32_e32 v0, 0x20000000, v0, vcc_lo
	v_cmp_ne_u32_e32 vcc_lo, 0, v2
	v_cndmask_b32_e32 v1, 0x38000000, v1, vcc_lo
	s_delay_alu instid0(VALU_DEP_3)
	v_cndmask_b32_e32 v0, 0, v0, vcc_lo
	s_branch .LBB56_1220
.LBB56_1219:
	s_mov_b32 s5, -1
                                        ; implicit-def: $sgpr0_sgpr1
                                        ; implicit-def: $vgpr0_vgpr1
.LBB56_1220:
	v_dual_mov_b32 v3, s1 :: v_dual_mov_b32 v2, s0
.LBB56_1221:
	s_mov_b32 s0, 0
.LBB56_1222:
	s_delay_alu instid0(SALU_CYCLE_1)
	s_and_b32 vcc_lo, exec_lo, s0
	s_cbranch_vccz .LBB56_1227
; %bb.1223:
	v_cmp_eq_u16_e32 vcc_lo, 29, v9
	s_cbranch_vccz .LBB56_1225
; %bb.1224:
	global_load_b64 v[0:1], v[7:8], off
	s_mov_b32 s5, 0
	s_mov_b32 s2, -1
	s_mov_b64 s[0:1], 0
	s_waitcnt vmcnt(0)
	v_cvt_f64_u32_e32 v[1:2], v1
	v_cvt_f64_u32_e32 v[10:11], v0
	s_delay_alu instid0(VALU_DEP_2) | instskip(NEXT) | instid1(VALU_DEP_1)
	v_ldexp_f64 v[1:2], v[1:2], 32
	v_add_f64 v[0:1], v[1:2], v[10:11]
	s_branch .LBB56_1226
.LBB56_1225:
	s_mov_b32 s5, -1
                                        ; implicit-def: $sgpr0_sgpr1
                                        ; implicit-def: $vgpr0_vgpr1
.LBB56_1226:
	v_dual_mov_b32 v3, s1 :: v_dual_mov_b32 v2, s0
.LBB56_1227:
	s_branch .LBB56_1247
.LBB56_1228:
	v_cmp_gt_i16_e32 vcc_lo, 27, v9
	s_cbranch_vccnz .LBB56_1231
; %bb.1229:
	v_cmp_lt_i16_e32 vcc_lo, 27, v9
	s_cbranch_vccz .LBB56_1232
; %bb.1230:
	global_load_b32 v0, v[7:8], off
	s_mov_b32 s2, 0
	s_mov_b64 s[0:1], 0
	s_waitcnt vmcnt(0)
	v_cvt_f64_u32_e32 v[0:1], v0
	s_branch .LBB56_1233
.LBB56_1231:
	s_mov_b32 s2, -1
                                        ; implicit-def: $sgpr0_sgpr1
                                        ; implicit-def: $vgpr0_vgpr1
	s_branch .LBB56_1236
.LBB56_1232:
	s_mov_b32 s2, -1
                                        ; implicit-def: $sgpr0_sgpr1
                                        ; implicit-def: $vgpr0_vgpr1
.LBB56_1233:
	s_delay_alu instid0(SALU_CYCLE_1)
	s_and_not1_b32 vcc_lo, exec_lo, s2
	s_cbranch_vccnz .LBB56_1235
; %bb.1234:
	global_load_u16 v0, v[7:8], off
	s_mov_b64 s[0:1], 0
	s_waitcnt vmcnt(0)
	v_cvt_f64_u32_e32 v[0:1], v0
.LBB56_1235:
	s_mov_b32 s2, 0
.LBB56_1236:
	v_dual_mov_b32 v3, s1 :: v_dual_mov_b32 v2, s0
	s_and_not1_b32 vcc_lo, exec_lo, s2
	s_cbranch_vccnz .LBB56_1246
; %bb.1237:
	global_load_u8 v10, v[7:8], off
	s_mov_b32 s7, 0
	s_mov_b32 s8, exec_lo
                                        ; implicit-def: $sgpr0_sgpr1
                                        ; implicit-def: $sgpr2_sgpr3
	s_waitcnt vmcnt(0)
	v_cmpx_lt_i16_e32 0x7f, v10
	s_xor_b32 s8, exec_lo, s8
	s_cbranch_execz .LBB56_1241
; %bb.1238:
	s_mov_b32 s7, -1
	s_mov_b32 s9, exec_lo
                                        ; implicit-def: $sgpr0_sgpr1
                                        ; implicit-def: $sgpr2_sgpr3
	v_cmpx_eq_u16_e32 0x80, v10
; %bb.1239:
	s_mov_b64 s[0:1], 0
	s_mov_b32 s3, 0x7ff80000
	s_brev_b32 s2, 4
	s_xor_b32 s7, exec_lo, -1
; %bb.1240:
	s_or_b32 exec_lo, exec_lo, s9
	s_delay_alu instid0(SALU_CYCLE_1)
	s_and_b32 s7, s7, exec_lo
.LBB56_1241:
	s_or_saveexec_b32 s8, s8
	v_dual_mov_b32 v3, s1 :: v_dual_mov_b32 v2, s0
	v_dual_mov_b32 v0, s2 :: v_dual_mov_b32 v1, s3
	s_xor_b32 exec_lo, exec_lo, s8
; %bb.1242:
	v_mov_b32_e32 v2, 0
	v_mov_b32_e32 v3, 0
	v_cmp_ne_u16_e32 vcc_lo, 0, v10
	s_delay_alu instid0(VALU_DEP_3) | instskip(SKIP_1) | instid1(VALU_DEP_3)
	v_mov_b32_e32 v0, v2
	s_and_not1_b32 s0, s7, exec_lo
	v_mov_b32_e32 v1, v3
	s_and_b32 s1, vcc_lo, exec_lo
	s_delay_alu instid0(SALU_CYCLE_1)
	s_or_b32 s7, s0, s1
; %bb.1243:
	s_or_b32 exec_lo, exec_lo, s8
	s_and_saveexec_b32 s0, s7
	s_cbranch_execz .LBB56_1245
; %bb.1244:
	v_and_b32_e32 v0, 0xffff, v10
	v_lshlrev_b32_e32 v10, 24, v10
	s_delay_alu instid0(VALU_DEP_2) | instskip(NEXT) | instid1(VALU_DEP_1)
	v_and_b32_e32 v1, 7, v0
	v_clz_i32_u32_e32 v2, v1
	s_delay_alu instid0(VALU_DEP_1) | instskip(NEXT) | instid1(VALU_DEP_1)
	v_min_u32_e32 v2, 32, v2
	v_subrev_nc_u32_e32 v3, 28, v2
	v_sub_nc_u32_e32 v2, 29, v2
	s_delay_alu instid0(VALU_DEP_2) | instskip(SKIP_1) | instid1(VALU_DEP_2)
	v_lshlrev_b32_e32 v3, v3, v0
	v_bfe_u32 v0, v0, 3, 4
	v_and_b32_e32 v3, 7, v3
	s_delay_alu instid0(VALU_DEP_2) | instskip(NEXT) | instid1(VALU_DEP_2)
	v_cmp_eq_u32_e32 vcc_lo, 0, v0
	v_dual_cndmask_b32 v0, v0, v2 :: v_dual_cndmask_b32 v1, v1, v3
	v_and_b32_e32 v2, 0x80000000, v10
	s_delay_alu instid0(VALU_DEP_2) | instskip(NEXT) | instid1(VALU_DEP_3)
	v_lshl_add_u32 v0, v0, 23, 0x3b800000
	v_lshlrev_b32_e32 v1, 20, v1
	s_delay_alu instid0(VALU_DEP_1) | instskip(SKIP_2) | instid1(VALU_DEP_3)
	v_or3_b32 v0, v2, v0, v1
	v_mov_b32_e32 v2, 0
	v_mov_b32_e32 v3, 0
	v_cvt_f64_f32_e32 v[0:1], v0
.LBB56_1245:
	s_or_b32 exec_lo, exec_lo, s0
.LBB56_1246:
	s_mov_b32 s2, -1
.LBB56_1247:
	s_branch .LBB56_1278
.LBB56_1248:
	v_cmp_lt_i16_e32 vcc_lo, 22, v9
	s_cbranch_vccz .LBB56_1260
; %bb.1249:
	v_cmp_gt_i16_e32 vcc_lo, 24, v9
	s_cbranch_vccnz .LBB56_1261
; %bb.1250:
	v_cmp_lt_i16_e32 vcc_lo, 24, v9
	s_cbranch_vccz .LBB56_1262
; %bb.1251:
	global_load_u8 v10, v[7:8], off
	s_mov_b32 s7, exec_lo
                                        ; implicit-def: $sgpr0_sgpr1
                                        ; implicit-def: $sgpr2_sgpr3
	s_waitcnt vmcnt(0)
	v_cmpx_lt_i16_e32 0x7f, v10
	s_xor_b32 s7, exec_lo, s7
	s_cbranch_execz .LBB56_1255
; %bb.1252:
	s_mov_b32 s6, -1
	s_mov_b32 s8, exec_lo
                                        ; implicit-def: $sgpr0_sgpr1
                                        ; implicit-def: $sgpr2_sgpr3
	v_cmpx_eq_u16_e32 0x80, v10
; %bb.1253:
	s_mov_b64 s[0:1], 0
	s_mov_b32 s3, 0x7ff80000
	s_brev_b32 s2, 4
	s_xor_b32 s6, exec_lo, -1
; %bb.1254:
	s_or_b32 exec_lo, exec_lo, s8
	s_delay_alu instid0(SALU_CYCLE_1)
	s_and_b32 s6, s6, exec_lo
.LBB56_1255:
	s_or_saveexec_b32 s7, s7
	v_dual_mov_b32 v3, s1 :: v_dual_mov_b32 v2, s0
	v_dual_mov_b32 v0, s2 :: v_dual_mov_b32 v1, s3
	s_xor_b32 exec_lo, exec_lo, s7
; %bb.1256:
	v_mov_b32_e32 v2, 0
	v_mov_b32_e32 v3, 0
	v_cmp_ne_u16_e32 vcc_lo, 0, v10
	s_delay_alu instid0(VALU_DEP_3) | instskip(SKIP_1) | instid1(VALU_DEP_3)
	v_mov_b32_e32 v0, v2
	s_and_not1_b32 s0, s6, exec_lo
	v_mov_b32_e32 v1, v3
	s_and_b32 s1, vcc_lo, exec_lo
	s_delay_alu instid0(SALU_CYCLE_1)
	s_or_b32 s6, s0, s1
; %bb.1257:
	s_or_b32 exec_lo, exec_lo, s7
	s_and_saveexec_b32 s0, s6
	s_cbranch_execz .LBB56_1259
; %bb.1258:
	v_and_b32_e32 v0, 0xffff, v10
	v_lshlrev_b32_e32 v10, 24, v10
	s_delay_alu instid0(VALU_DEP_2) | instskip(NEXT) | instid1(VALU_DEP_1)
	v_and_b32_e32 v1, 3, v0
	v_clz_i32_u32_e32 v2, v1
	s_delay_alu instid0(VALU_DEP_1) | instskip(NEXT) | instid1(VALU_DEP_1)
	v_min_u32_e32 v2, 32, v2
	v_subrev_nc_u32_e32 v3, 29, v2
	v_sub_nc_u32_e32 v2, 30, v2
	s_delay_alu instid0(VALU_DEP_2) | instskip(SKIP_1) | instid1(VALU_DEP_2)
	v_lshlrev_b32_e32 v3, v3, v0
	v_bfe_u32 v0, v0, 2, 5
	v_and_b32_e32 v3, 3, v3
	s_delay_alu instid0(VALU_DEP_2) | instskip(NEXT) | instid1(VALU_DEP_2)
	v_cmp_eq_u32_e32 vcc_lo, 0, v0
	v_dual_cndmask_b32 v0, v0, v2 :: v_dual_cndmask_b32 v1, v1, v3
	v_and_b32_e32 v2, 0x80000000, v10
	s_delay_alu instid0(VALU_DEP_2) | instskip(NEXT) | instid1(VALU_DEP_3)
	v_lshl_add_u32 v0, v0, 23, 0x37800000
	v_lshlrev_b32_e32 v1, 21, v1
	s_delay_alu instid0(VALU_DEP_1) | instskip(SKIP_2) | instid1(VALU_DEP_3)
	v_or3_b32 v0, v2, v0, v1
	v_mov_b32_e32 v2, 0
	v_mov_b32_e32 v3, 0
	v_cvt_f64_f32_e32 v[0:1], v0
.LBB56_1259:
	s_or_b32 exec_lo, exec_lo, s0
	s_mov_b32 s0, 0
	s_branch .LBB56_1263
.LBB56_1260:
                                        ; implicit-def: $vgpr2_vgpr3
	s_mov_b32 s6, 0
	s_branch .LBB56_1269
.LBB56_1261:
	s_mov_b32 s0, -1
                                        ; implicit-def: $vgpr2_vgpr3
	s_branch .LBB56_1266
.LBB56_1262:
	s_mov_b32 s0, -1
                                        ; implicit-def: $vgpr2_vgpr3
.LBB56_1263:
	s_delay_alu instid0(SALU_CYCLE_1)
	s_and_b32 vcc_lo, exec_lo, s0
	s_cbranch_vccz .LBB56_1265
; %bb.1264:
	global_load_u8 v0, v[7:8], off
	s_waitcnt vmcnt(0)
	v_lshlrev_b32_e32 v0, 24, v0
	s_delay_alu instid0(VALU_DEP_1) | instskip(NEXT) | instid1(VALU_DEP_1)
	v_and_b32_e32 v1, 0x7f000000, v0
	v_clz_i32_u32_e32 v2, v1
	v_add_nc_u32_e32 v10, 0x1000000, v1
	v_cmp_ne_u32_e32 vcc_lo, 0, v1
	s_delay_alu instid0(VALU_DEP_3) | instskip(NEXT) | instid1(VALU_DEP_1)
	v_min_u32_e32 v2, 32, v2
	v_sub_nc_u32_e64 v2, v2, 4 clamp
	s_delay_alu instid0(VALU_DEP_1) | instskip(SKIP_1) | instid1(VALU_DEP_2)
	v_lshlrev_b32_e32 v3, v2, v1
	v_lshlrev_b32_e32 v2, 23, v2
	v_lshrrev_b32_e32 v3, 4, v3
	s_delay_alu instid0(VALU_DEP_1) | instskip(SKIP_1) | instid1(VALU_DEP_2)
	v_sub_nc_u32_e32 v2, v3, v2
	v_ashrrev_i32_e32 v3, 8, v10
	v_add_nc_u32_e32 v2, 0x3c000000, v2
	s_delay_alu instid0(VALU_DEP_1) | instskip(NEXT) | instid1(VALU_DEP_1)
	v_and_or_b32 v2, 0x7f800000, v3, v2
	v_dual_cndmask_b32 v1, 0, v2 :: v_dual_mov_b32 v2, 0
	v_mov_b32_e32 v3, 0
	s_delay_alu instid0(VALU_DEP_2) | instskip(NEXT) | instid1(VALU_DEP_1)
	v_and_or_b32 v0, 0x80000000, v0, v1
	v_cvt_f64_f32_e32 v[0:1], v0
.LBB56_1265:
	s_mov_b32 s0, 0
.LBB56_1266:
	s_delay_alu instid0(SALU_CYCLE_1)
	s_and_not1_b32 vcc_lo, exec_lo, s0
	s_cbranch_vccnz .LBB56_1268
; %bb.1267:
	global_load_u8 v0, v[7:8], off
	s_waitcnt vmcnt(0)
	v_lshlrev_b32_e32 v1, 25, v0
	v_lshlrev_b16 v0, 8, v0
	s_delay_alu instid0(VALU_DEP_2) | instskip(NEXT) | instid1(VALU_DEP_2)
	v_lshrrev_b32_e32 v2, 4, v1
	v_and_or_b32 v3, 0x7f00, v0, 0.5
	v_bfe_i32 v0, v0, 0, 16
	s_delay_alu instid0(VALU_DEP_3) | instskip(NEXT) | instid1(VALU_DEP_1)
	v_or_b32_e32 v2, 0x70000000, v2
	v_dual_add_f32 v3, -0.5, v3 :: v_dual_mul_f32 v2, 0x7800000, v2
	v_cmp_gt_u32_e32 vcc_lo, 0x8000000, v1
	s_delay_alu instid0(VALU_DEP_2) | instskip(SKIP_1) | instid1(VALU_DEP_2)
	v_dual_cndmask_b32 v1, v2, v3 :: v_dual_mov_b32 v2, 0
	v_mov_b32_e32 v3, 0
	v_and_or_b32 v0, 0x80000000, v0, v1
	s_delay_alu instid0(VALU_DEP_1)
	v_cvt_f64_f32_e32 v[0:1], v0
.LBB56_1268:
	s_mov_b32 s2, -1
	s_mov_b32 s6, 0
	s_cbranch_execnz .LBB56_1278
.LBB56_1269:
	v_cmp_lt_i16_e32 vcc_lo, 14, v9
	s_cbranch_vccz .LBB56_1272
; %bb.1270:
	v_cmp_eq_u16_e32 vcc_lo, 15, v9
	s_cbranch_vccz .LBB56_1273
; %bb.1271:
	global_load_u16 v0, v[7:8], off
	s_mov_b32 s5, 0
	s_mov_b32 s2, -1
	s_mov_b64 s[0:1], 0
	s_waitcnt vmcnt(0)
	v_lshlrev_b32_e32 v0, 16, v0
	s_delay_alu instid0(VALU_DEP_1)
	v_cvt_f64_f32_e32 v[0:1], v0
	s_branch .LBB56_1274
.LBB56_1272:
	s_mov_b32 s3, -1
                                        ; implicit-def: $sgpr0_sgpr1
                                        ; implicit-def: $vgpr0_vgpr1
	s_branch .LBB56_1275
.LBB56_1273:
	s_mov_b32 s5, -1
                                        ; implicit-def: $sgpr0_sgpr1
                                        ; implicit-def: $vgpr0_vgpr1
.LBB56_1274:
	s_mov_b32 s3, 0
.LBB56_1275:
	s_delay_alu instid0(SALU_CYCLE_1)
	s_and_b32 vcc_lo, exec_lo, s3
	s_cbranch_vccz .LBB56_1277
; %bb.1276:
	v_cmp_ne_u16_e64 s5, 11, v9
	s_mov_b32 s6, -1
                                        ; implicit-def: $sgpr0_sgpr1
                                        ; implicit-def: $vgpr0_vgpr1
.LBB56_1277:
	v_dual_mov_b32 v3, s1 :: v_dual_mov_b32 v2, s0
.LBB56_1278:
	s_delay_alu instid0(VALU_DEP_2)
	s_and_b32 vcc_lo, exec_lo, s5
	s_mov_b32 s14, s20
	s_cbranch_vccnz .LBB56_1303
; %bb.1279:
	s_and_not1_b32 vcc_lo, exec_lo, s6
	s_cbranch_vccnz .LBB56_1281
.LBB56_1280:
	global_load_u8 v0, v[7:8], off
	v_mov_b32_e32 v2, 0
	v_mov_b32_e32 v3, 0
	s_mov_b32 s2, -1
	s_waitcnt vmcnt(0)
	v_cmp_ne_u16_e32 vcc_lo, 0, v0
	v_mov_b32_e32 v0, 0
	v_cndmask_b32_e64 v1, 0, 0x3ff00000, vcc_lo
.LBB56_1281:
.LBB56_1282:
	s_and_not1_b32 vcc_lo, exec_lo, s2
	s_cbranch_vccnz .LBB56_2130
.LBB56_1283:
	v_cmp_gt_i16_e32 vcc_lo, 11, v9
	v_add_co_u32 v6, s0, s18, v6
	s_delay_alu instid0(VALU_DEP_1)
	v_add_co_ci_u32_e64 v7, null, s19, 0, s0
	s_mov_b32 s2, 0
	s_cbranch_vccnz .LBB56_1290
; %bb.1284:
	v_cmp_lt_i16_e32 vcc_lo, 25, v9
	s_mov_b32 s6, 0
	s_cbranch_vccz .LBB56_1296
; %bb.1285:
	v_cmp_lt_i16_e32 vcc_lo, 28, v9
	s_cbranch_vccz .LBB56_1299
; %bb.1286:
	v_cmp_lt_i16_e32 vcc_lo, 43, v9
	;; [unrolled: 3-line block ×3, first 2 shown]
	s_cbranch_vccz .LBB56_1307
; %bb.1288:
	v_cmp_eq_u16_e32 vcc_lo, 46, v9
	s_mov_b32 s0, 0
	s_cbranch_vccz .LBB56_1352
; %bb.1289:
	global_load_b32 v8, v[6:7], off
	s_mov_b32 s5, 0
	s_mov_b32 s2, -1
	s_waitcnt vmcnt(0)
	v_lshlrev_b32_e32 v10, 16, v8
	v_and_b32_e32 v8, 0xffff0000, v8
	s_delay_alu instid0(VALU_DEP_2) | instskip(NEXT) | instid1(VALU_DEP_2)
	v_cvt_f64_f32_e32 v[40:41], v10
	v_cvt_f64_f32_e32 v[42:43], v8
	s_branch .LBB56_1354
.LBB56_1290:
                                        ; implicit-def: $vgpr42_vgpr43
	s_cbranch_execz .LBB56_1422
; %bb.1291:
	v_cmp_gt_i16_e32 vcc_lo, 5, v9
	s_cbranch_vccnz .LBB56_1297
; %bb.1292:
	v_cmp_gt_i16_e32 vcc_lo, 8, v9
	s_cbranch_vccnz .LBB56_1300
	;; [unrolled: 3-line block ×3, first 2 shown]
; %bb.1294:
	v_cmp_lt_i16_e32 vcc_lo, 9, v9
	s_cbranch_vccz .LBB56_1308
; %bb.1295:
	global_load_b128 v[40:43], v[6:7], off
	s_mov_b32 s0, 0
	s_branch .LBB56_1309
.LBB56_1296:
	s_mov_b32 s5, 0
                                        ; implicit-def: $vgpr42_vgpr43
	s_cbranch_execnz .LBB56_1387
	s_branch .LBB56_1418
.LBB56_1297:
                                        ; implicit-def: $vgpr42_vgpr43
	s_branch .LBB56_1328
.LBB56_1298:
	s_branch .LBB56_1423
.LBB56_1299:
	s_mov_b32 s0, -1
	s_mov_b32 s5, 0
                                        ; implicit-def: $vgpr42_vgpr43
	s_branch .LBB56_1366
.LBB56_1300:
	s_mov_b32 s0, -1
                                        ; implicit-def: $vgpr42_vgpr43
	s_branch .LBB56_1315
.LBB56_1301:
	s_mov_b32 s0, -1
	s_mov_b32 s5, 0
                                        ; implicit-def: $vgpr42_vgpr43
	s_branch .LBB56_1360
.LBB56_1302:
	s_mov_b32 s0, -1
                                        ; implicit-def: $vgpr42_vgpr43
	s_branch .LBB56_1312
.LBB56_1303:
	s_cbranch_execnz .LBB56_1348
; %bb.1304:
	s_or_b32 s14, s20, exec_lo
                                        ; implicit-def: $vgpr2_vgpr3
	s_cbranch_execz .LBB56_1280
	s_branch .LBB56_1281
.LBB56_1305:
	s_or_saveexec_b32 s3, s3
                                        ; implicit-def: $sgpr4
	s_delay_alu instid0(SALU_CYCLE_1)
	s_xor_b32 exec_lo, exec_lo, s3
	s_cbranch_execz .LBB56_1007
.LBB56_1306:
	v_add_f32_e64 v5, 0x46000000, |v4|
	s_and_not1_b32 s2, s2, exec_lo
	s_mov_b32 s4, 0
	s_delay_alu instid0(VALU_DEP_1) | instskip(NEXT) | instid1(VALU_DEP_1)
	v_and_b32_e32 v5, 0xff, v5
	v_cmp_ne_u32_e32 vcc_lo, 0, v5
	s_and_b32 s5, vcc_lo, exec_lo
	s_delay_alu instid0(SALU_CYCLE_1)
	s_or_b32 s2, s2, s5
	s_or_b32 exec_lo, exec_lo, s3
	v_mov_b32_e32 v6, s4
	s_and_saveexec_b32 s3, s2
	s_cbranch_execnz .LBB56_1008
	s_branch .LBB56_1009
.LBB56_1307:
	s_mov_b32 s0, -1
	s_mov_b32 s5, 0
	s_branch .LBB56_1353
.LBB56_1308:
	s_mov_b32 s0, -1
                                        ; implicit-def: $vgpr42_vgpr43
.LBB56_1309:
	s_delay_alu instid0(SALU_CYCLE_1)
	s_and_not1_b32 vcc_lo, exec_lo, s0
	s_cbranch_vccnz .LBB56_1311
; %bb.1310:
	global_load_b64 v[10:11], v[6:7], off
	s_waitcnt vmcnt(0)
	v_cvt_f64_f32_e32 v[40:41], v10
	v_cvt_f64_f32_e32 v[42:43], v11
.LBB56_1311:
	s_mov_b32 s0, 0
.LBB56_1312:
	s_delay_alu instid0(SALU_CYCLE_1)
	s_and_not1_b32 vcc_lo, exec_lo, s0
	s_cbranch_vccnz .LBB56_1314
; %bb.1313:
	global_load_b32 v8, v[6:7], off
	s_waitcnt vmcnt(0)
	v_lshrrev_b32_e32 v10, 16, v8
	v_cvt_f32_f16_e32 v8, v8
	s_delay_alu instid0(VALU_DEP_2) | instskip(NEXT) | instid1(VALU_DEP_2)
	v_cvt_f32_f16_e32 v10, v10
	v_cvt_f64_f32_e32 v[40:41], v8
	s_delay_alu instid0(VALU_DEP_2)
	v_cvt_f64_f32_e32 v[42:43], v10
.LBB56_1314:
	s_mov_b32 s0, 0
.LBB56_1315:
	s_delay_alu instid0(SALU_CYCLE_1)
	s_and_not1_b32 vcc_lo, exec_lo, s0
	s_cbranch_vccnz .LBB56_1327
; %bb.1316:
	v_cmp_gt_i16_e32 vcc_lo, 6, v9
	s_cbranch_vccnz .LBB56_1319
; %bb.1317:
	v_cmp_lt_i16_e32 vcc_lo, 6, v9
	s_cbranch_vccz .LBB56_1320
; %bb.1318:
	global_load_b64 v[40:41], v[6:7], off
	s_mov_b32 s2, 0
	s_mov_b64 s[0:1], 0
	s_branch .LBB56_1321
.LBB56_1319:
	s_mov_b32 s2, -1
                                        ; implicit-def: $sgpr0_sgpr1
                                        ; implicit-def: $vgpr40_vgpr41
	s_branch .LBB56_1324
.LBB56_1320:
	s_mov_b32 s2, -1
                                        ; implicit-def: $sgpr0_sgpr1
                                        ; implicit-def: $vgpr40_vgpr41
.LBB56_1321:
	s_delay_alu instid0(SALU_CYCLE_1)
	s_and_not1_b32 vcc_lo, exec_lo, s2
	s_cbranch_vccnz .LBB56_1323
; %bb.1322:
	global_load_b32 v8, v[6:7], off
	s_mov_b64 s[0:1], 0
	s_waitcnt vmcnt(0)
	v_cvt_f64_f32_e32 v[40:41], v8
.LBB56_1323:
	s_mov_b32 s2, 0
.LBB56_1324:
	s_delay_alu instid0(SALU_CYCLE_1)
	s_and_not1_b32 vcc_lo, exec_lo, s2
	s_cbranch_vccnz .LBB56_1326
; %bb.1325:
	global_load_u16 v8, v[6:7], off
	s_mov_b64 s[0:1], 0
	s_waitcnt vmcnt(0)
	v_cvt_f32_f16_e32 v8, v8
	s_delay_alu instid0(VALU_DEP_1)
	v_cvt_f64_f32_e32 v[40:41], v8
.LBB56_1326:
	s_waitcnt vmcnt(0)
	v_dual_mov_b32 v43, s1 :: v_dual_mov_b32 v42, s0
.LBB56_1327:
	s_cbranch_execnz .LBB56_1298
.LBB56_1328:
	v_cmp_gt_i16_e32 vcc_lo, 2, v9
	s_cbranch_vccnz .LBB56_1332
; %bb.1329:
	v_cmp_gt_i16_e32 vcc_lo, 3, v9
	s_cbranch_vccnz .LBB56_1333
; %bb.1330:
	v_cmp_lt_i16_e32 vcc_lo, 3, v9
	s_cbranch_vccz .LBB56_1334
; %bb.1331:
	global_load_b64 v[10:11], v[6:7], off
	s_mov_b32 s2, 0
	s_mov_b64 s[0:1], 0
	s_waitcnt vmcnt(0)
	v_cvt_f64_i32_e32 v[11:12], v11
	v_cvt_f64_u32_e32 v[13:14], v10
	s_delay_alu instid0(VALU_DEP_2) | instskip(NEXT) | instid1(VALU_DEP_1)
	v_ldexp_f64 v[11:12], v[11:12], 32
	v_add_f64 v[40:41], v[11:12], v[13:14]
	s_branch .LBB56_1335
.LBB56_1332:
	s_mov_b32 s2, -1
                                        ; implicit-def: $sgpr0_sgpr1
                                        ; implicit-def: $vgpr40_vgpr41
	s_branch .LBB56_1341
.LBB56_1333:
	s_mov_b32 s2, -1
                                        ; implicit-def: $sgpr0_sgpr1
                                        ; implicit-def: $vgpr40_vgpr41
	s_branch .LBB56_1338
.LBB56_1334:
	s_mov_b32 s2, -1
                                        ; implicit-def: $sgpr0_sgpr1
                                        ; implicit-def: $vgpr40_vgpr41
.LBB56_1335:
	s_delay_alu instid0(SALU_CYCLE_1)
	s_and_not1_b32 vcc_lo, exec_lo, s2
	s_cbranch_vccnz .LBB56_1337
; %bb.1336:
	global_load_b32 v8, v[6:7], off
	s_mov_b64 s[0:1], 0
	s_waitcnt vmcnt(0)
	v_cvt_f64_i32_e32 v[40:41], v8
.LBB56_1337:
	s_mov_b32 s2, 0
.LBB56_1338:
	s_delay_alu instid0(SALU_CYCLE_1)
	s_and_not1_b32 vcc_lo, exec_lo, s2
	s_cbranch_vccnz .LBB56_1340
; %bb.1339:
	global_load_i16 v8, v[6:7], off
	s_mov_b64 s[0:1], 0
	s_waitcnt vmcnt(0)
	v_cvt_f64_i32_e32 v[40:41], v8
.LBB56_1340:
	s_mov_b32 s2, 0
.LBB56_1341:
	s_delay_alu instid0(SALU_CYCLE_1)
	s_and_not1_b32 vcc_lo, exec_lo, s2
	s_cbranch_vccnz .LBB56_1347
; %bb.1342:
	v_cmp_lt_i16_e32 vcc_lo, 0, v9
	s_mov_b32 s2, 0
	s_cbranch_vccz .LBB56_1344
; %bb.1343:
	global_load_i8 v8, v[6:7], off
	s_mov_b64 s[0:1], 0
	s_waitcnt vmcnt(0)
	v_cvt_f64_i32_e32 v[40:41], v8
	s_branch .LBB56_1345
.LBB56_1344:
	s_mov_b32 s2, -1
                                        ; implicit-def: $sgpr0_sgpr1
                                        ; implicit-def: $vgpr40_vgpr41
.LBB56_1345:
	s_delay_alu instid0(SALU_CYCLE_1)
	s_and_not1_b32 vcc_lo, exec_lo, s2
	s_cbranch_vccnz .LBB56_1347
; %bb.1346:
	global_load_u8 v6, v[6:7], off
	s_mov_b64 s[0:1], 0
	s_waitcnt vmcnt(0)
	v_cvt_f64_u32_e32 v[40:41], v6
.LBB56_1347:
	s_waitcnt vmcnt(0)
	v_dual_mov_b32 v43, s1 :: v_dual_mov_b32 v42, s0
	s_branch .LBB56_1423
.LBB56_1348:
	s_trap 2
	s_sendmsg_rtn_b32 s0, sendmsg(MSG_RTN_GET_DOORBELL)
	s_mov_b32 ttmp2, m0
	s_waitcnt lgkmcnt(0)
	s_and_b32 s0, s0, 0x3ff
	s_delay_alu instid0(SALU_CYCLE_1) | instskip(NEXT) | instid1(SALU_CYCLE_1)
	s_bitset1_b32 s0, 10
	s_mov_b32 m0, s0
	s_sendmsg sendmsg(MSG_INTERRUPT)
	s_mov_b32 m0, ttmp2
.LBB56_1349:                            ; =>This Inner Loop Header: Depth=1
	s_sethalt 5
	s_branch .LBB56_1349
.LBB56_1350:
	s_or_saveexec_b32 s4, s4
                                        ; implicit-def: $sgpr5
	s_delay_alu instid0(SALU_CYCLE_1)
	s_xor_b32 exec_lo, exec_lo, s4
	s_cbranch_execz .LBB56_1019
.LBB56_1351:
	v_add_f32_e64 v5, 0x42800000, |v4|
	s_and_not1_b32 s3, s3, exec_lo
	s_mov_b32 s5, 0
	s_delay_alu instid0(VALU_DEP_1) | instskip(NEXT) | instid1(VALU_DEP_1)
	v_and_b32_e32 v5, 0xff, v5
	v_cmp_ne_u32_e32 vcc_lo, 0, v5
	s_and_b32 s6, vcc_lo, exec_lo
	s_delay_alu instid0(SALU_CYCLE_1)
	s_or_b32 s3, s3, s6
	s_or_b32 exec_lo, exec_lo, s4
	v_mov_b32_e32 v6, s5
	s_and_saveexec_b32 s4, s3
	s_cbranch_execnz .LBB56_1020
	s_branch .LBB56_1021
.LBB56_1352:
	s_mov_b32 s5, -1
.LBB56_1353:
                                        ; implicit-def: $vgpr42_vgpr43
.LBB56_1354:
	s_and_b32 vcc_lo, exec_lo, s0
	s_cbranch_vccz .LBB56_1359
; %bb.1355:
	v_cmp_eq_u16_e32 vcc_lo, 44, v9
	s_cbranch_vccz .LBB56_1357
; %bb.1356:
	global_load_u8 v8, v[6:7], off
	s_mov_b32 s5, 0
	s_mov_b32 s2, -1
	s_mov_b64 s[0:1], 0
	s_waitcnt vmcnt(0)
	v_cmp_ne_u32_e32 vcc_lo, 0xff, v8
	v_lshlrev_b32_e32 v10, 23, v8
	s_delay_alu instid0(VALU_DEP_1) | instskip(NEXT) | instid1(VALU_DEP_1)
	v_cvt_f64_f32_e32 v[10:11], v10
	v_cndmask_b32_e32 v11, 0x7ff80000, v11, vcc_lo
	s_delay_alu instid0(VALU_DEP_2) | instskip(SKIP_1) | instid1(VALU_DEP_3)
	v_cndmask_b32_e32 v10, 0x20000000, v10, vcc_lo
	v_cmp_ne_u32_e32 vcc_lo, 0, v8
	v_cndmask_b32_e32 v41, 0x38000000, v11, vcc_lo
	s_delay_alu instid0(VALU_DEP_3)
	v_cndmask_b32_e32 v40, 0, v10, vcc_lo
	s_branch .LBB56_1358
.LBB56_1357:
	s_mov_b32 s5, -1
                                        ; implicit-def: $sgpr0_sgpr1
                                        ; implicit-def: $vgpr40_vgpr41
.LBB56_1358:
	v_dual_mov_b32 v43, s1 :: v_dual_mov_b32 v42, s0
.LBB56_1359:
	s_mov_b32 s0, 0
.LBB56_1360:
	s_delay_alu instid0(SALU_CYCLE_1)
	s_and_b32 vcc_lo, exec_lo, s0
	s_cbranch_vccz .LBB56_1365
; %bb.1361:
	v_cmp_eq_u16_e32 vcc_lo, 29, v9
	s_cbranch_vccz .LBB56_1363
; %bb.1362:
	global_load_b64 v[10:11], v[6:7], off
	s_mov_b32 s5, 0
	s_mov_b32 s2, -1
	s_mov_b64 s[0:1], 0
	s_waitcnt vmcnt(0)
	v_cvt_f64_u32_e32 v[11:12], v11
	v_cvt_f64_u32_e32 v[13:14], v10
	s_delay_alu instid0(VALU_DEP_2) | instskip(NEXT) | instid1(VALU_DEP_1)
	v_ldexp_f64 v[11:12], v[11:12], 32
	v_add_f64 v[40:41], v[11:12], v[13:14]
	s_branch .LBB56_1364
.LBB56_1363:
	s_mov_b32 s5, -1
                                        ; implicit-def: $sgpr0_sgpr1
                                        ; implicit-def: $vgpr40_vgpr41
.LBB56_1364:
	v_dual_mov_b32 v43, s1 :: v_dual_mov_b32 v42, s0
.LBB56_1365:
	s_mov_b32 s0, 0
.LBB56_1366:
	s_delay_alu instid0(SALU_CYCLE_1)
	s_and_b32 vcc_lo, exec_lo, s0
	s_cbranch_vccz .LBB56_1386
; %bb.1367:
	v_cmp_gt_i16_e32 vcc_lo, 27, v9
	s_cbranch_vccnz .LBB56_1370
; %bb.1368:
	v_cmp_lt_i16_e32 vcc_lo, 27, v9
	s_cbranch_vccz .LBB56_1371
; %bb.1369:
	global_load_b32 v8, v[6:7], off
	s_mov_b32 s2, 0
	s_mov_b64 s[0:1], 0
	s_waitcnt vmcnt(0)
	v_cvt_f64_u32_e32 v[40:41], v8
	s_branch .LBB56_1372
.LBB56_1370:
	s_mov_b32 s2, -1
                                        ; implicit-def: $sgpr0_sgpr1
                                        ; implicit-def: $vgpr40_vgpr41
	s_branch .LBB56_1375
.LBB56_1371:
	s_mov_b32 s2, -1
                                        ; implicit-def: $sgpr0_sgpr1
                                        ; implicit-def: $vgpr40_vgpr41
.LBB56_1372:
	s_delay_alu instid0(SALU_CYCLE_1)
	s_and_not1_b32 vcc_lo, exec_lo, s2
	s_cbranch_vccnz .LBB56_1374
; %bb.1373:
	global_load_u16 v8, v[6:7], off
	s_mov_b64 s[0:1], 0
	s_waitcnt vmcnt(0)
	v_cvt_f64_u32_e32 v[40:41], v8
.LBB56_1374:
	s_mov_b32 s2, 0
.LBB56_1375:
	v_dual_mov_b32 v43, s1 :: v_dual_mov_b32 v42, s0
	s_and_not1_b32 vcc_lo, exec_lo, s2
	s_cbranch_vccnz .LBB56_1385
; %bb.1376:
	global_load_u8 v8, v[6:7], off
	s_mov_b32 s7, 0
	s_mov_b32 s8, exec_lo
                                        ; implicit-def: $sgpr0_sgpr1
                                        ; implicit-def: $sgpr2_sgpr3
	s_waitcnt vmcnt(0)
	v_cmpx_lt_i16_e32 0x7f, v8
	s_xor_b32 s8, exec_lo, s8
	s_cbranch_execz .LBB56_1380
; %bb.1377:
	s_mov_b32 s7, -1
	s_mov_b32 s9, exec_lo
                                        ; implicit-def: $sgpr0_sgpr1
                                        ; implicit-def: $sgpr2_sgpr3
	v_cmpx_eq_u16_e32 0x80, v8
; %bb.1378:
	s_mov_b64 s[0:1], 0
	s_mov_b32 s3, 0x7ff80000
	s_brev_b32 s2, 4
	s_xor_b32 s7, exec_lo, -1
; %bb.1379:
	s_or_b32 exec_lo, exec_lo, s9
	s_delay_alu instid0(SALU_CYCLE_1)
	s_and_b32 s7, s7, exec_lo
.LBB56_1380:
	s_or_saveexec_b32 s8, s8
	v_dual_mov_b32 v43, s1 :: v_dual_mov_b32 v42, s0
	v_dual_mov_b32 v41, s3 :: v_dual_mov_b32 v40, s2
	s_xor_b32 exec_lo, exec_lo, s8
; %bb.1381:
	v_mov_b32_e32 v42, 0
	v_mov_b32_e32 v43, 0
	v_cmp_ne_u16_e32 vcc_lo, 0, v8
	s_delay_alu instid0(VALU_DEP_3) | instskip(SKIP_1) | instid1(VALU_DEP_3)
	v_mov_b32_e32 v40, v42
	s_and_not1_b32 s0, s7, exec_lo
	v_mov_b32_e32 v41, v43
	s_and_b32 s1, vcc_lo, exec_lo
	s_delay_alu instid0(SALU_CYCLE_1)
	s_or_b32 s7, s0, s1
; %bb.1382:
	s_or_b32 exec_lo, exec_lo, s8
	s_and_saveexec_b32 s0, s7
	s_cbranch_execz .LBB56_1384
; %bb.1383:
	v_and_b32_e32 v10, 0xffff, v8
	v_lshlrev_b32_e32 v8, 24, v8
	v_mov_b32_e32 v42, 0
	v_mov_b32_e32 v43, 0
	s_delay_alu instid0(VALU_DEP_4) | instskip(NEXT) | instid1(VALU_DEP_4)
	v_and_b32_e32 v11, 7, v10
	v_and_b32_e32 v8, 0x80000000, v8
	s_delay_alu instid0(VALU_DEP_2) | instskip(NEXT) | instid1(VALU_DEP_1)
	v_clz_i32_u32_e32 v12, v11
	v_min_u32_e32 v12, 32, v12
	s_delay_alu instid0(VALU_DEP_1) | instskip(SKIP_1) | instid1(VALU_DEP_2)
	v_subrev_nc_u32_e32 v13, 28, v12
	v_sub_nc_u32_e32 v12, 29, v12
	v_lshlrev_b32_e32 v13, v13, v10
	v_bfe_u32 v10, v10, 3, 4
	s_delay_alu instid0(VALU_DEP_2) | instskip(NEXT) | instid1(VALU_DEP_2)
	v_and_b32_e32 v13, 7, v13
	v_cmp_eq_u32_e32 vcc_lo, 0, v10
	s_delay_alu instid0(VALU_DEP_2) | instskip(NEXT) | instid1(VALU_DEP_1)
	v_dual_cndmask_b32 v10, v10, v12 :: v_dual_cndmask_b32 v11, v11, v13
	v_lshl_add_u32 v10, v10, 23, 0x3b800000
	s_delay_alu instid0(VALU_DEP_2) | instskip(NEXT) | instid1(VALU_DEP_1)
	v_lshlrev_b32_e32 v11, 20, v11
	v_or3_b32 v8, v8, v10, v11
	s_delay_alu instid0(VALU_DEP_1)
	v_cvt_f64_f32_e32 v[40:41], v8
.LBB56_1384:
	s_or_b32 exec_lo, exec_lo, s0
.LBB56_1385:
	s_mov_b32 s2, -1
.LBB56_1386:
	s_branch .LBB56_1418
.LBB56_1387:
	v_cmp_lt_i16_e32 vcc_lo, 22, v9
	s_cbranch_vccz .LBB56_1399
; %bb.1388:
	v_cmp_gt_i16_e32 vcc_lo, 24, v9
	s_cbranch_vccnz .LBB56_1400
; %bb.1389:
	v_cmp_lt_i16_e32 vcc_lo, 24, v9
	s_cbranch_vccz .LBB56_1401
; %bb.1390:
	global_load_u8 v8, v[6:7], off
	s_mov_b32 s7, exec_lo
                                        ; implicit-def: $sgpr0_sgpr1
                                        ; implicit-def: $sgpr2_sgpr3
	s_waitcnt vmcnt(0)
	v_cmpx_lt_i16_e32 0x7f, v8
	s_xor_b32 s7, exec_lo, s7
	s_cbranch_execz .LBB56_1394
; %bb.1391:
	s_mov_b32 s6, -1
	s_mov_b32 s8, exec_lo
                                        ; implicit-def: $sgpr0_sgpr1
                                        ; implicit-def: $sgpr2_sgpr3
	v_cmpx_eq_u16_e32 0x80, v8
; %bb.1392:
	s_mov_b64 s[0:1], 0
	s_mov_b32 s3, 0x7ff80000
	s_brev_b32 s2, 4
	s_xor_b32 s6, exec_lo, -1
; %bb.1393:
	s_or_b32 exec_lo, exec_lo, s8
	s_delay_alu instid0(SALU_CYCLE_1)
	s_and_b32 s6, s6, exec_lo
.LBB56_1394:
	s_or_saveexec_b32 s7, s7
	v_dual_mov_b32 v43, s1 :: v_dual_mov_b32 v42, s0
	v_dual_mov_b32 v41, s3 :: v_dual_mov_b32 v40, s2
	s_xor_b32 exec_lo, exec_lo, s7
; %bb.1395:
	v_mov_b32_e32 v42, 0
	v_mov_b32_e32 v43, 0
	v_cmp_ne_u16_e32 vcc_lo, 0, v8
	s_delay_alu instid0(VALU_DEP_3) | instskip(SKIP_1) | instid1(VALU_DEP_3)
	v_mov_b32_e32 v40, v42
	s_and_not1_b32 s0, s6, exec_lo
	v_mov_b32_e32 v41, v43
	s_and_b32 s1, vcc_lo, exec_lo
	s_delay_alu instid0(SALU_CYCLE_1)
	s_or_b32 s6, s0, s1
; %bb.1396:
	s_or_b32 exec_lo, exec_lo, s7
	s_and_saveexec_b32 s0, s6
	s_cbranch_execz .LBB56_1398
; %bb.1397:
	v_and_b32_e32 v10, 0xffff, v8
	v_lshlrev_b32_e32 v8, 24, v8
	v_mov_b32_e32 v42, 0
	v_mov_b32_e32 v43, 0
	s_delay_alu instid0(VALU_DEP_4) | instskip(NEXT) | instid1(VALU_DEP_4)
	v_and_b32_e32 v11, 3, v10
	v_and_b32_e32 v8, 0x80000000, v8
	s_delay_alu instid0(VALU_DEP_2) | instskip(NEXT) | instid1(VALU_DEP_1)
	v_clz_i32_u32_e32 v12, v11
	v_min_u32_e32 v12, 32, v12
	s_delay_alu instid0(VALU_DEP_1) | instskip(SKIP_1) | instid1(VALU_DEP_2)
	v_subrev_nc_u32_e32 v13, 29, v12
	v_sub_nc_u32_e32 v12, 30, v12
	v_lshlrev_b32_e32 v13, v13, v10
	v_bfe_u32 v10, v10, 2, 5
	s_delay_alu instid0(VALU_DEP_2) | instskip(NEXT) | instid1(VALU_DEP_2)
	v_and_b32_e32 v13, 3, v13
	v_cmp_eq_u32_e32 vcc_lo, 0, v10
	s_delay_alu instid0(VALU_DEP_2) | instskip(NEXT) | instid1(VALU_DEP_1)
	v_dual_cndmask_b32 v10, v10, v12 :: v_dual_cndmask_b32 v11, v11, v13
	v_lshl_add_u32 v10, v10, 23, 0x37800000
	s_delay_alu instid0(VALU_DEP_2) | instskip(NEXT) | instid1(VALU_DEP_1)
	v_lshlrev_b32_e32 v11, 21, v11
	v_or3_b32 v8, v8, v10, v11
	s_delay_alu instid0(VALU_DEP_1)
	v_cvt_f64_f32_e32 v[40:41], v8
.LBB56_1398:
	s_or_b32 exec_lo, exec_lo, s0
	s_mov_b32 s0, 0
	s_branch .LBB56_1402
.LBB56_1399:
	s_mov_b32 s0, -1
                                        ; implicit-def: $vgpr42_vgpr43
	s_branch .LBB56_1408
.LBB56_1400:
	s_mov_b32 s0, -1
                                        ; implicit-def: $vgpr42_vgpr43
	s_branch .LBB56_1405
.LBB56_1401:
	s_mov_b32 s0, -1
                                        ; implicit-def: $vgpr42_vgpr43
.LBB56_1402:
	s_delay_alu instid0(SALU_CYCLE_1)
	s_and_b32 vcc_lo, exec_lo, s0
	s_cbranch_vccz .LBB56_1404
; %bb.1403:
	global_load_u8 v8, v[6:7], off
	v_mov_b32_e32 v42, 0
	s_waitcnt vmcnt(0)
	v_dual_mov_b32 v43, 0 :: v_dual_lshlrev_b32 v8, 24, v8
	s_delay_alu instid0(VALU_DEP_1) | instskip(NEXT) | instid1(VALU_DEP_1)
	v_and_b32_e32 v10, 0x7f000000, v8
	v_clz_i32_u32_e32 v11, v10
	v_cmp_ne_u32_e32 vcc_lo, 0, v10
	v_add_nc_u32_e32 v13, 0x1000000, v10
	s_delay_alu instid0(VALU_DEP_3) | instskip(NEXT) | instid1(VALU_DEP_1)
	v_min_u32_e32 v11, 32, v11
	v_sub_nc_u32_e64 v11, v11, 4 clamp
	s_delay_alu instid0(VALU_DEP_1) | instskip(SKIP_1) | instid1(VALU_DEP_2)
	v_lshlrev_b32_e32 v12, v11, v10
	v_lshlrev_b32_e32 v11, 23, v11
	v_lshrrev_b32_e32 v12, 4, v12
	s_delay_alu instid0(VALU_DEP_1) | instskip(SKIP_1) | instid1(VALU_DEP_2)
	v_sub_nc_u32_e32 v11, v12, v11
	v_ashrrev_i32_e32 v12, 8, v13
	v_add_nc_u32_e32 v11, 0x3c000000, v11
	s_delay_alu instid0(VALU_DEP_1) | instskip(NEXT) | instid1(VALU_DEP_1)
	v_and_or_b32 v11, 0x7f800000, v12, v11
	v_cndmask_b32_e32 v10, 0, v11, vcc_lo
	s_delay_alu instid0(VALU_DEP_1) | instskip(NEXT) | instid1(VALU_DEP_1)
	v_and_or_b32 v8, 0x80000000, v8, v10
	v_cvt_f64_f32_e32 v[40:41], v8
.LBB56_1404:
	s_mov_b32 s0, 0
.LBB56_1405:
	s_delay_alu instid0(SALU_CYCLE_1)
	s_and_not1_b32 vcc_lo, exec_lo, s0
	s_cbranch_vccnz .LBB56_1407
; %bb.1406:
	global_load_u8 v8, v[6:7], off
	v_mov_b32_e32 v42, 0
	s_waitcnt vmcnt(0)
	v_dual_mov_b32 v43, 0 :: v_dual_lshlrev_b32 v10, 25, v8
	v_lshlrev_b16 v8, 8, v8
	s_delay_alu instid0(VALU_DEP_2) | instskip(NEXT) | instid1(VALU_DEP_2)
	v_lshrrev_b32_e32 v11, 4, v10
	v_and_or_b32 v12, 0x7f00, v8, 0.5
	v_bfe_i32 v8, v8, 0, 16
	s_delay_alu instid0(VALU_DEP_3) | instskip(NEXT) | instid1(VALU_DEP_1)
	v_or_b32_e32 v11, 0x70000000, v11
	v_dual_add_f32 v12, -0.5, v12 :: v_dual_mul_f32 v11, 0x7800000, v11
	v_cmp_gt_u32_e32 vcc_lo, 0x8000000, v10
	s_delay_alu instid0(VALU_DEP_2) | instskip(NEXT) | instid1(VALU_DEP_1)
	v_cndmask_b32_e32 v10, v11, v12, vcc_lo
	v_and_or_b32 v8, 0x80000000, v8, v10
	s_delay_alu instid0(VALU_DEP_1)
	v_cvt_f64_f32_e32 v[40:41], v8
.LBB56_1407:
	s_mov_b32 s0, 0
	s_mov_b32 s2, -1
.LBB56_1408:
	s_and_not1_b32 vcc_lo, exec_lo, s0
	s_mov_b32 s6, 0
	s_cbranch_vccnz .LBB56_1418
; %bb.1409:
	v_cmp_lt_i16_e32 vcc_lo, 14, v9
	s_cbranch_vccz .LBB56_1412
; %bb.1410:
	v_cmp_eq_u16_e32 vcc_lo, 15, v9
	s_cbranch_vccz .LBB56_1413
; %bb.1411:
	global_load_u16 v8, v[6:7], off
	s_mov_b32 s5, 0
	s_mov_b32 s2, -1
	s_mov_b64 s[0:1], 0
	s_waitcnt vmcnt(0)
	v_lshlrev_b32_e32 v8, 16, v8
	s_delay_alu instid0(VALU_DEP_1)
	v_cvt_f64_f32_e32 v[40:41], v8
	s_branch .LBB56_1414
.LBB56_1412:
	s_mov_b32 s3, -1
                                        ; implicit-def: $sgpr0_sgpr1
                                        ; implicit-def: $vgpr40_vgpr41
	s_branch .LBB56_1415
.LBB56_1413:
	s_mov_b32 s5, -1
                                        ; implicit-def: $sgpr0_sgpr1
                                        ; implicit-def: $vgpr40_vgpr41
.LBB56_1414:
	s_mov_b32 s3, 0
.LBB56_1415:
	s_delay_alu instid0(SALU_CYCLE_1)
	s_and_b32 vcc_lo, exec_lo, s3
	s_cbranch_vccz .LBB56_1417
; %bb.1416:
	v_cmp_ne_u16_e64 s5, 11, v9
	s_mov_b32 s6, -1
                                        ; implicit-def: $sgpr0_sgpr1
                                        ; implicit-def: $vgpr40_vgpr41
.LBB56_1417:
	v_dual_mov_b32 v43, s1 :: v_dual_mov_b32 v42, s0
.LBB56_1418:
	s_delay_alu instid0(VALU_DEP_2)
	s_and_b32 vcc_lo, exec_lo, s5
	s_cbranch_vccnz .LBB56_1442
; %bb.1419:
	s_and_not1_b32 vcc_lo, exec_lo, s6
	s_cbranch_vccnz .LBB56_1421
.LBB56_1420:
	global_load_u8 v8, v[6:7], off
	v_mov_b32_e32 v42, 0
	v_dual_mov_b32 v43, 0 :: v_dual_mov_b32 v40, 0
	s_mov_b32 s2, -1
	s_waitcnt vmcnt(0)
	v_cmp_ne_u16_e32 vcc_lo, 0, v8
	v_cndmask_b32_e64 v41, 0, 0x3ff00000, vcc_lo
.LBB56_1421:
.LBB56_1422:
	s_and_not1_b32 vcc_lo, exec_lo, s2
	s_cbranch_vccnz .LBB56_2130
.LBB56_1423:
	v_cmp_gt_i16_e32 vcc_lo, 11, v9
	v_add_co_u32 v5, s0, s18, v5
	s_delay_alu instid0(VALU_DEP_1)
	v_add_co_ci_u32_e64 v6, null, s19, 0, s0
	s_mov_b32 s2, 0
	s_cbranch_vccnz .LBB56_1430
; %bb.1424:
	v_cmp_lt_i16_e32 vcc_lo, 25, v9
	s_mov_b32 s6, 0
	s_cbranch_vccz .LBB56_1436
; %bb.1425:
	v_cmp_lt_i16_e32 vcc_lo, 28, v9
	s_cbranch_vccz .LBB56_1438
; %bb.1426:
	v_cmp_lt_i16_e32 vcc_lo, 43, v9
	;; [unrolled: 3-line block ×3, first 2 shown]
	s_cbranch_vccz .LBB56_1444
; %bb.1428:
	v_cmp_eq_u16_e32 vcc_lo, 46, v9
	s_mov_b32 s0, 0
	s_cbranch_vccz .LBB56_1489
; %bb.1429:
	global_load_b32 v7, v[5:6], off
	s_mov_b32 s5, 0
	s_mov_b32 s2, -1
	s_waitcnt vmcnt(0)
	v_lshlrev_b32_e32 v8, 16, v7
	v_and_b32_e32 v7, 0xffff0000, v7
	s_delay_alu instid0(VALU_DEP_2) | instskip(NEXT) | instid1(VALU_DEP_2)
	v_cvt_f64_f32_e32 v[44:45], v8
	v_cvt_f64_f32_e32 v[46:47], v7
	s_branch .LBB56_1491
.LBB56_1430:
                                        ; implicit-def: $vgpr46_vgpr47
	s_cbranch_execz .LBB56_1560
; %bb.1431:
	v_cmp_gt_i16_e32 vcc_lo, 5, v9
	s_cbranch_vccnz .LBB56_1437
; %bb.1432:
	v_cmp_gt_i16_e32 vcc_lo, 8, v9
	s_cbranch_vccnz .LBB56_1439
	;; [unrolled: 3-line block ×3, first 2 shown]
; %bb.1434:
	v_cmp_lt_i16_e32 vcc_lo, 9, v9
	s_cbranch_vccz .LBB56_1445
; %bb.1435:
	global_load_b128 v[44:47], v[5:6], off
	s_mov_b32 s0, 0
	s_branch .LBB56_1446
.LBB56_1436:
	s_mov_b32 s0, -1
	s_mov_b32 s5, 0
                                        ; implicit-def: $vgpr46_vgpr47
	s_branch .LBB56_1524
.LBB56_1437:
	s_mov_b32 s0, -1
                                        ; implicit-def: $vgpr46_vgpr47
	s_branch .LBB56_1465
.LBB56_1438:
	s_mov_b32 s0, -1
	s_mov_b32 s5, 0
                                        ; implicit-def: $vgpr46_vgpr47
	s_branch .LBB56_1503
.LBB56_1439:
	s_mov_b32 s0, -1
                                        ; implicit-def: $vgpr46_vgpr47
	s_branch .LBB56_1452
.LBB56_1440:
	s_mov_b32 s0, -1
	s_mov_b32 s5, 0
                                        ; implicit-def: $vgpr46_vgpr47
	s_branch .LBB56_1497
.LBB56_1441:
	s_mov_b32 s0, -1
                                        ; implicit-def: $vgpr46_vgpr47
	s_branch .LBB56_1449
.LBB56_1442:
	s_cbranch_execnz .LBB56_1487
; %bb.1443:
	s_or_b32 s14, s14, exec_lo
                                        ; implicit-def: $vgpr42_vgpr43
	s_cbranch_execz .LBB56_1420
	s_branch .LBB56_1421
.LBB56_1444:
	s_mov_b32 s0, -1
	s_mov_b32 s5, 0
	s_branch .LBB56_1490
.LBB56_1445:
	s_mov_b32 s0, -1
                                        ; implicit-def: $vgpr46_vgpr47
.LBB56_1446:
	s_delay_alu instid0(SALU_CYCLE_1)
	s_and_not1_b32 vcc_lo, exec_lo, s0
	s_cbranch_vccnz .LBB56_1448
; %bb.1447:
	global_load_b64 v[7:8], v[5:6], off
	s_waitcnt vmcnt(0)
	v_cvt_f64_f32_e32 v[44:45], v7
	v_cvt_f64_f32_e32 v[46:47], v8
.LBB56_1448:
	s_mov_b32 s0, 0
.LBB56_1449:
	s_delay_alu instid0(SALU_CYCLE_1)
	s_and_not1_b32 vcc_lo, exec_lo, s0
	s_cbranch_vccnz .LBB56_1451
; %bb.1450:
	global_load_b32 v7, v[5:6], off
	s_waitcnt vmcnt(0)
	v_lshrrev_b32_e32 v8, 16, v7
	v_cvt_f32_f16_e32 v7, v7
	s_delay_alu instid0(VALU_DEP_2) | instskip(NEXT) | instid1(VALU_DEP_2)
	v_cvt_f32_f16_e32 v8, v8
	v_cvt_f64_f32_e32 v[44:45], v7
	s_delay_alu instid0(VALU_DEP_2)
	v_cvt_f64_f32_e32 v[46:47], v8
.LBB56_1451:
	s_mov_b32 s0, 0
.LBB56_1452:
	s_delay_alu instid0(SALU_CYCLE_1)
	s_and_not1_b32 vcc_lo, exec_lo, s0
	s_cbranch_vccnz .LBB56_1464
; %bb.1453:
	v_cmp_gt_i16_e32 vcc_lo, 6, v9
	s_cbranch_vccnz .LBB56_1456
; %bb.1454:
	v_cmp_lt_i16_e32 vcc_lo, 6, v9
	s_cbranch_vccz .LBB56_1457
; %bb.1455:
	global_load_b64 v[44:45], v[5:6], off
	s_mov_b32 s2, 0
	s_mov_b64 s[0:1], 0
	s_branch .LBB56_1458
.LBB56_1456:
	s_mov_b32 s2, -1
                                        ; implicit-def: $sgpr0_sgpr1
                                        ; implicit-def: $vgpr44_vgpr45
	s_branch .LBB56_1461
.LBB56_1457:
	s_mov_b32 s2, -1
                                        ; implicit-def: $sgpr0_sgpr1
                                        ; implicit-def: $vgpr44_vgpr45
.LBB56_1458:
	s_delay_alu instid0(SALU_CYCLE_1)
	s_and_not1_b32 vcc_lo, exec_lo, s2
	s_cbranch_vccnz .LBB56_1460
; %bb.1459:
	global_load_b32 v7, v[5:6], off
	s_mov_b64 s[0:1], 0
	s_waitcnt vmcnt(0)
	v_cvt_f64_f32_e32 v[44:45], v7
.LBB56_1460:
	s_mov_b32 s2, 0
.LBB56_1461:
	s_delay_alu instid0(SALU_CYCLE_1)
	s_and_not1_b32 vcc_lo, exec_lo, s2
	s_cbranch_vccnz .LBB56_1463
; %bb.1462:
	global_load_u16 v7, v[5:6], off
	s_mov_b64 s[0:1], 0
	s_waitcnt vmcnt(0)
	v_cvt_f32_f16_e32 v7, v7
	s_delay_alu instid0(VALU_DEP_1)
	v_cvt_f64_f32_e32 v[44:45], v7
.LBB56_1463:
	s_waitcnt vmcnt(0)
	v_dual_mov_b32 v47, s1 :: v_dual_mov_b32 v46, s0
.LBB56_1464:
	s_mov_b32 s0, 0
.LBB56_1465:
	s_delay_alu instid0(SALU_CYCLE_1)
	s_and_not1_b32 vcc_lo, exec_lo, s0
	s_cbranch_vccnz .LBB56_1486
; %bb.1466:
	v_cmp_gt_i16_e32 vcc_lo, 2, v9
	s_cbranch_vccnz .LBB56_1470
; %bb.1467:
	v_cmp_gt_i16_e32 vcc_lo, 3, v9
	s_cbranch_vccnz .LBB56_1471
; %bb.1468:
	v_cmp_lt_i16_e32 vcc_lo, 3, v9
	s_cbranch_vccz .LBB56_1472
; %bb.1469:
	global_load_b64 v[7:8], v[5:6], off
	s_mov_b32 s2, 0
	s_mov_b64 s[0:1], 0
	s_waitcnt vmcnt(0)
	v_cvt_f64_i32_e32 v[10:11], v8
	v_cvt_f64_u32_e32 v[7:8], v7
	s_delay_alu instid0(VALU_DEP_2) | instskip(NEXT) | instid1(VALU_DEP_1)
	v_ldexp_f64 v[10:11], v[10:11], 32
	v_add_f64 v[44:45], v[10:11], v[7:8]
	s_branch .LBB56_1473
.LBB56_1470:
	s_mov_b32 s2, -1
                                        ; implicit-def: $sgpr0_sgpr1
                                        ; implicit-def: $vgpr44_vgpr45
	s_branch .LBB56_1479
.LBB56_1471:
	s_mov_b32 s2, -1
                                        ; implicit-def: $sgpr0_sgpr1
                                        ; implicit-def: $vgpr44_vgpr45
	s_branch .LBB56_1476
.LBB56_1472:
	s_mov_b32 s2, -1
                                        ; implicit-def: $sgpr0_sgpr1
                                        ; implicit-def: $vgpr44_vgpr45
.LBB56_1473:
	s_delay_alu instid0(SALU_CYCLE_1)
	s_and_not1_b32 vcc_lo, exec_lo, s2
	s_cbranch_vccnz .LBB56_1475
; %bb.1474:
	global_load_b32 v7, v[5:6], off
	s_mov_b64 s[0:1], 0
	s_waitcnt vmcnt(0)
	v_cvt_f64_i32_e32 v[44:45], v7
.LBB56_1475:
	s_mov_b32 s2, 0
.LBB56_1476:
	s_delay_alu instid0(SALU_CYCLE_1)
	s_and_not1_b32 vcc_lo, exec_lo, s2
	s_cbranch_vccnz .LBB56_1478
; %bb.1477:
	global_load_i16 v7, v[5:6], off
	s_mov_b64 s[0:1], 0
	s_waitcnt vmcnt(0)
	v_cvt_f64_i32_e32 v[44:45], v7
.LBB56_1478:
	s_mov_b32 s2, 0
.LBB56_1479:
	s_delay_alu instid0(SALU_CYCLE_1)
	s_and_not1_b32 vcc_lo, exec_lo, s2
	s_cbranch_vccnz .LBB56_1485
; %bb.1480:
	v_cmp_lt_i16_e32 vcc_lo, 0, v9
	s_mov_b32 s2, 0
	s_cbranch_vccz .LBB56_1482
; %bb.1481:
	global_load_i8 v7, v[5:6], off
	s_mov_b64 s[0:1], 0
	s_waitcnt vmcnt(0)
	v_cvt_f64_i32_e32 v[44:45], v7
	s_branch .LBB56_1483
.LBB56_1482:
	s_mov_b32 s2, -1
                                        ; implicit-def: $sgpr0_sgpr1
                                        ; implicit-def: $vgpr44_vgpr45
.LBB56_1483:
	s_delay_alu instid0(SALU_CYCLE_1)
	s_and_not1_b32 vcc_lo, exec_lo, s2
	s_cbranch_vccnz .LBB56_1485
; %bb.1484:
	global_load_u8 v5, v[5:6], off
	s_mov_b64 s[0:1], 0
	s_waitcnt vmcnt(0)
	v_cvt_f64_u32_e32 v[44:45], v5
.LBB56_1485:
	s_waitcnt vmcnt(0)
	v_dual_mov_b32 v47, s1 :: v_dual_mov_b32 v46, s0
.LBB56_1486:
	s_branch .LBB56_1561
.LBB56_1487:
	s_trap 2
	s_sendmsg_rtn_b32 s0, sendmsg(MSG_RTN_GET_DOORBELL)
	s_mov_b32 ttmp2, m0
	s_waitcnt lgkmcnt(0)
	s_and_b32 s0, s0, 0x3ff
	s_delay_alu instid0(SALU_CYCLE_1) | instskip(NEXT) | instid1(SALU_CYCLE_1)
	s_bitset1_b32 s0, 10
	s_mov_b32 m0, s0
	s_sendmsg sendmsg(MSG_INTERRUPT)
	s_mov_b32 m0, ttmp2
.LBB56_1488:                            ; =>This Inner Loop Header: Depth=1
	s_sethalt 5
	s_branch .LBB56_1488
.LBB56_1489:
	s_mov_b32 s5, -1
.LBB56_1490:
                                        ; implicit-def: $vgpr46_vgpr47
.LBB56_1491:
	s_and_b32 vcc_lo, exec_lo, s0
	s_cbranch_vccz .LBB56_1496
; %bb.1492:
	v_cmp_eq_u16_e32 vcc_lo, 44, v9
	s_cbranch_vccz .LBB56_1494
; %bb.1493:
	global_load_u8 v10, v[5:6], off
	s_mov_b32 s5, 0
	s_mov_b32 s2, -1
	s_mov_b64 s[0:1], 0
	s_waitcnt vmcnt(0)
	v_cmp_ne_u32_e32 vcc_lo, 0xff, v10
	v_lshlrev_b32_e32 v7, 23, v10
	s_delay_alu instid0(VALU_DEP_1) | instskip(NEXT) | instid1(VALU_DEP_1)
	v_cvt_f64_f32_e32 v[7:8], v7
	v_cndmask_b32_e32 v8, 0x7ff80000, v8, vcc_lo
	s_delay_alu instid0(VALU_DEP_2) | instskip(SKIP_1) | instid1(VALU_DEP_3)
	v_cndmask_b32_e32 v7, 0x20000000, v7, vcc_lo
	v_cmp_ne_u32_e32 vcc_lo, 0, v10
	v_cndmask_b32_e32 v45, 0x38000000, v8, vcc_lo
	s_delay_alu instid0(VALU_DEP_3)
	v_cndmask_b32_e32 v44, 0, v7, vcc_lo
	s_branch .LBB56_1495
.LBB56_1494:
	s_mov_b32 s5, -1
                                        ; implicit-def: $sgpr0_sgpr1
                                        ; implicit-def: $vgpr44_vgpr45
.LBB56_1495:
	v_dual_mov_b32 v47, s1 :: v_dual_mov_b32 v46, s0
.LBB56_1496:
	s_mov_b32 s0, 0
.LBB56_1497:
	s_delay_alu instid0(SALU_CYCLE_1)
	s_and_b32 vcc_lo, exec_lo, s0
	s_cbranch_vccz .LBB56_1502
; %bb.1498:
	v_cmp_eq_u16_e32 vcc_lo, 29, v9
	s_cbranch_vccz .LBB56_1500
; %bb.1499:
	global_load_b64 v[7:8], v[5:6], off
	s_mov_b32 s5, 0
	s_mov_b32 s2, -1
	s_mov_b64 s[0:1], 0
	s_waitcnt vmcnt(0)
	v_cvt_f64_u32_e32 v[10:11], v8
	v_cvt_f64_u32_e32 v[7:8], v7
	s_delay_alu instid0(VALU_DEP_2) | instskip(NEXT) | instid1(VALU_DEP_1)
	v_ldexp_f64 v[10:11], v[10:11], 32
	v_add_f64 v[44:45], v[10:11], v[7:8]
	s_branch .LBB56_1501
.LBB56_1500:
	s_mov_b32 s5, -1
                                        ; implicit-def: $sgpr0_sgpr1
                                        ; implicit-def: $vgpr44_vgpr45
.LBB56_1501:
	v_dual_mov_b32 v47, s1 :: v_dual_mov_b32 v46, s0
.LBB56_1502:
	s_mov_b32 s0, 0
.LBB56_1503:
	s_delay_alu instid0(SALU_CYCLE_1)
	s_and_b32 vcc_lo, exec_lo, s0
	s_cbranch_vccz .LBB56_1523
; %bb.1504:
	v_cmp_gt_i16_e32 vcc_lo, 27, v9
	s_cbranch_vccnz .LBB56_1507
; %bb.1505:
	v_cmp_lt_i16_e32 vcc_lo, 27, v9
	s_cbranch_vccz .LBB56_1508
; %bb.1506:
	global_load_b32 v7, v[5:6], off
	s_mov_b32 s2, 0
	s_mov_b64 s[0:1], 0
	s_waitcnt vmcnt(0)
	v_cvt_f64_u32_e32 v[44:45], v7
	s_branch .LBB56_1509
.LBB56_1507:
	s_mov_b32 s2, -1
                                        ; implicit-def: $sgpr0_sgpr1
                                        ; implicit-def: $vgpr44_vgpr45
	s_branch .LBB56_1512
.LBB56_1508:
	s_mov_b32 s2, -1
                                        ; implicit-def: $sgpr0_sgpr1
                                        ; implicit-def: $vgpr44_vgpr45
.LBB56_1509:
	s_delay_alu instid0(SALU_CYCLE_1)
	s_and_not1_b32 vcc_lo, exec_lo, s2
	s_cbranch_vccnz .LBB56_1511
; %bb.1510:
	global_load_u16 v7, v[5:6], off
	s_mov_b64 s[0:1], 0
	s_waitcnt vmcnt(0)
	v_cvt_f64_u32_e32 v[44:45], v7
.LBB56_1511:
	s_mov_b32 s2, 0
.LBB56_1512:
	v_dual_mov_b32 v47, s1 :: v_dual_mov_b32 v46, s0
	s_and_not1_b32 vcc_lo, exec_lo, s2
	s_cbranch_vccnz .LBB56_1522
; %bb.1513:
	global_load_u8 v7, v[5:6], off
	s_mov_b32 s7, 0
	s_mov_b32 s8, exec_lo
                                        ; implicit-def: $sgpr0_sgpr1
                                        ; implicit-def: $sgpr2_sgpr3
	s_waitcnt vmcnt(0)
	v_cmpx_lt_i16_e32 0x7f, v7
	s_xor_b32 s8, exec_lo, s8
	s_cbranch_execz .LBB56_1517
; %bb.1514:
	s_mov_b32 s7, -1
	s_mov_b32 s9, exec_lo
                                        ; implicit-def: $sgpr0_sgpr1
                                        ; implicit-def: $sgpr2_sgpr3
	v_cmpx_eq_u16_e32 0x80, v7
; %bb.1515:
	s_mov_b64 s[0:1], 0
	s_mov_b32 s3, 0x7ff80000
	s_brev_b32 s2, 4
	s_xor_b32 s7, exec_lo, -1
; %bb.1516:
	s_or_b32 exec_lo, exec_lo, s9
	s_delay_alu instid0(SALU_CYCLE_1)
	s_and_b32 s7, s7, exec_lo
.LBB56_1517:
	s_or_saveexec_b32 s8, s8
	v_dual_mov_b32 v47, s1 :: v_dual_mov_b32 v46, s0
	v_dual_mov_b32 v45, s3 :: v_dual_mov_b32 v44, s2
	s_xor_b32 exec_lo, exec_lo, s8
; %bb.1518:
	v_mov_b32_e32 v46, 0
	v_mov_b32_e32 v47, 0
	v_cmp_ne_u16_e32 vcc_lo, 0, v7
	s_delay_alu instid0(VALU_DEP_3) | instskip(SKIP_1) | instid1(VALU_DEP_3)
	v_mov_b32_e32 v44, v46
	s_and_not1_b32 s0, s7, exec_lo
	v_mov_b32_e32 v45, v47
	s_and_b32 s1, vcc_lo, exec_lo
	s_delay_alu instid0(SALU_CYCLE_1)
	s_or_b32 s7, s0, s1
; %bb.1519:
	s_or_b32 exec_lo, exec_lo, s8
	s_and_saveexec_b32 s0, s7
	s_cbranch_execz .LBB56_1521
; %bb.1520:
	v_and_b32_e32 v8, 0xffff, v7
	v_mov_b32_e32 v46, 0
	s_delay_alu instid0(VALU_DEP_2) | instskip(NEXT) | instid1(VALU_DEP_1)
	v_dual_mov_b32 v47, 0 :: v_dual_and_b32 v10, 7, v8
	v_clz_i32_u32_e32 v11, v10
	s_delay_alu instid0(VALU_DEP_1) | instskip(NEXT) | instid1(VALU_DEP_1)
	v_min_u32_e32 v11, 32, v11
	v_subrev_nc_u32_e32 v12, 28, v11
	v_sub_nc_u32_e32 v11, 29, v11
	s_delay_alu instid0(VALU_DEP_2) | instskip(SKIP_1) | instid1(VALU_DEP_2)
	v_lshlrev_b32_e32 v12, v12, v8
	v_bfe_u32 v8, v8, 3, 4
	v_and_b32_e32 v12, 7, v12
	s_delay_alu instid0(VALU_DEP_2) | instskip(NEXT) | instid1(VALU_DEP_2)
	v_cmp_eq_u32_e32 vcc_lo, 0, v8
	v_dual_cndmask_b32 v10, v10, v12 :: v_dual_lshlrev_b32 v7, 24, v7
	v_cndmask_b32_e32 v8, v8, v11, vcc_lo
	s_delay_alu instid0(VALU_DEP_2) | instskip(NEXT) | instid1(VALU_DEP_3)
	v_and_b32_e32 v7, 0x80000000, v7
	v_lshlrev_b32_e32 v10, 20, v10
	s_delay_alu instid0(VALU_DEP_3) | instskip(NEXT) | instid1(VALU_DEP_1)
	v_lshl_add_u32 v8, v8, 23, 0x3b800000
	v_or3_b32 v7, v7, v8, v10
	s_delay_alu instid0(VALU_DEP_1)
	v_cvt_f64_f32_e32 v[44:45], v7
.LBB56_1521:
	s_or_b32 exec_lo, exec_lo, s0
.LBB56_1522:
	s_mov_b32 s2, -1
.LBB56_1523:
	s_mov_b32 s0, 0
.LBB56_1524:
	s_delay_alu instid0(SALU_CYCLE_1)
	s_and_b32 vcc_lo, exec_lo, s0
	s_cbranch_vccz .LBB56_1556
; %bb.1525:
	v_cmp_lt_i16_e32 vcc_lo, 22, v9
	s_cbranch_vccz .LBB56_1537
; %bb.1526:
	v_cmp_gt_i16_e32 vcc_lo, 24, v9
	s_cbranch_vccnz .LBB56_1538
; %bb.1527:
	v_cmp_lt_i16_e32 vcc_lo, 24, v9
	s_cbranch_vccz .LBB56_1539
; %bb.1528:
	global_load_u8 v7, v[5:6], off
	s_mov_b32 s7, exec_lo
                                        ; implicit-def: $sgpr0_sgpr1
                                        ; implicit-def: $sgpr2_sgpr3
	s_waitcnt vmcnt(0)
	v_cmpx_lt_i16_e32 0x7f, v7
	s_xor_b32 s7, exec_lo, s7
	s_cbranch_execz .LBB56_1532
; %bb.1529:
	s_mov_b32 s6, -1
	s_mov_b32 s8, exec_lo
                                        ; implicit-def: $sgpr0_sgpr1
                                        ; implicit-def: $sgpr2_sgpr3
	v_cmpx_eq_u16_e32 0x80, v7
; %bb.1530:
	s_mov_b64 s[0:1], 0
	s_mov_b32 s3, 0x7ff80000
	s_brev_b32 s2, 4
	s_xor_b32 s6, exec_lo, -1
; %bb.1531:
	s_or_b32 exec_lo, exec_lo, s8
	s_delay_alu instid0(SALU_CYCLE_1)
	s_and_b32 s6, s6, exec_lo
.LBB56_1532:
	s_or_saveexec_b32 s7, s7
	v_dual_mov_b32 v47, s1 :: v_dual_mov_b32 v46, s0
	v_dual_mov_b32 v45, s3 :: v_dual_mov_b32 v44, s2
	s_xor_b32 exec_lo, exec_lo, s7
; %bb.1533:
	v_mov_b32_e32 v46, 0
	v_mov_b32_e32 v47, 0
	v_cmp_ne_u16_e32 vcc_lo, 0, v7
	s_delay_alu instid0(VALU_DEP_3) | instskip(SKIP_1) | instid1(VALU_DEP_3)
	v_mov_b32_e32 v44, v46
	s_and_not1_b32 s0, s6, exec_lo
	v_mov_b32_e32 v45, v47
	s_and_b32 s1, vcc_lo, exec_lo
	s_delay_alu instid0(SALU_CYCLE_1)
	s_or_b32 s6, s0, s1
; %bb.1534:
	s_or_b32 exec_lo, exec_lo, s7
	s_and_saveexec_b32 s0, s6
	s_cbranch_execz .LBB56_1536
; %bb.1535:
	v_and_b32_e32 v8, 0xffff, v7
	v_mov_b32_e32 v46, 0
	s_delay_alu instid0(VALU_DEP_2) | instskip(NEXT) | instid1(VALU_DEP_1)
	v_dual_mov_b32 v47, 0 :: v_dual_and_b32 v10, 3, v8
	v_clz_i32_u32_e32 v11, v10
	s_delay_alu instid0(VALU_DEP_1) | instskip(NEXT) | instid1(VALU_DEP_1)
	v_min_u32_e32 v11, 32, v11
	v_subrev_nc_u32_e32 v12, 29, v11
	v_sub_nc_u32_e32 v11, 30, v11
	s_delay_alu instid0(VALU_DEP_2) | instskip(SKIP_1) | instid1(VALU_DEP_2)
	v_lshlrev_b32_e32 v12, v12, v8
	v_bfe_u32 v8, v8, 2, 5
	v_and_b32_e32 v12, 3, v12
	s_delay_alu instid0(VALU_DEP_2) | instskip(NEXT) | instid1(VALU_DEP_2)
	v_cmp_eq_u32_e32 vcc_lo, 0, v8
	v_dual_cndmask_b32 v10, v10, v12 :: v_dual_lshlrev_b32 v7, 24, v7
	v_cndmask_b32_e32 v8, v8, v11, vcc_lo
	s_delay_alu instid0(VALU_DEP_2) | instskip(NEXT) | instid1(VALU_DEP_3)
	v_and_b32_e32 v7, 0x80000000, v7
	v_lshlrev_b32_e32 v10, 21, v10
	s_delay_alu instid0(VALU_DEP_3) | instskip(NEXT) | instid1(VALU_DEP_1)
	v_lshl_add_u32 v8, v8, 23, 0x37800000
	v_or3_b32 v7, v7, v8, v10
	s_delay_alu instid0(VALU_DEP_1)
	v_cvt_f64_f32_e32 v[44:45], v7
.LBB56_1536:
	s_or_b32 exec_lo, exec_lo, s0
	s_mov_b32 s0, 0
	s_branch .LBB56_1540
.LBB56_1537:
	s_mov_b32 s0, -1
                                        ; implicit-def: $vgpr46_vgpr47
	s_branch .LBB56_1546
.LBB56_1538:
	s_mov_b32 s0, -1
                                        ; implicit-def: $vgpr46_vgpr47
	s_branch .LBB56_1543
.LBB56_1539:
	s_mov_b32 s0, -1
                                        ; implicit-def: $vgpr46_vgpr47
.LBB56_1540:
	s_delay_alu instid0(SALU_CYCLE_1)
	s_and_b32 vcc_lo, exec_lo, s0
	s_cbranch_vccz .LBB56_1542
; %bb.1541:
	global_load_u8 v7, v[5:6], off
	v_mov_b32_e32 v46, 0
	v_mov_b32_e32 v47, 0
	s_waitcnt vmcnt(0)
	v_lshlrev_b32_e32 v7, 24, v7
	s_delay_alu instid0(VALU_DEP_1) | instskip(NEXT) | instid1(VALU_DEP_1)
	v_and_b32_e32 v8, 0x7f000000, v7
	v_clz_i32_u32_e32 v10, v8
	v_add_nc_u32_e32 v12, 0x1000000, v8
	v_cmp_ne_u32_e32 vcc_lo, 0, v8
	s_delay_alu instid0(VALU_DEP_3) | instskip(NEXT) | instid1(VALU_DEP_1)
	v_min_u32_e32 v10, 32, v10
	v_sub_nc_u32_e64 v10, v10, 4 clamp
	s_delay_alu instid0(VALU_DEP_1) | instskip(SKIP_1) | instid1(VALU_DEP_2)
	v_lshlrev_b32_e32 v11, v10, v8
	v_lshlrev_b32_e32 v10, 23, v10
	v_lshrrev_b32_e32 v11, 4, v11
	s_delay_alu instid0(VALU_DEP_1) | instskip(SKIP_1) | instid1(VALU_DEP_2)
	v_sub_nc_u32_e32 v10, v11, v10
	v_ashrrev_i32_e32 v11, 8, v12
	v_add_nc_u32_e32 v10, 0x3c000000, v10
	s_delay_alu instid0(VALU_DEP_1) | instskip(NEXT) | instid1(VALU_DEP_1)
	v_and_or_b32 v10, 0x7f800000, v11, v10
	v_cndmask_b32_e32 v8, 0, v10, vcc_lo
	s_delay_alu instid0(VALU_DEP_1) | instskip(NEXT) | instid1(VALU_DEP_1)
	v_and_or_b32 v7, 0x80000000, v7, v8
	v_cvt_f64_f32_e32 v[44:45], v7
.LBB56_1542:
	s_mov_b32 s0, 0
.LBB56_1543:
	s_delay_alu instid0(SALU_CYCLE_1)
	s_and_not1_b32 vcc_lo, exec_lo, s0
	s_cbranch_vccnz .LBB56_1545
; %bb.1544:
	global_load_u8 v7, v[5:6], off
	v_mov_b32_e32 v46, 0
	s_waitcnt vmcnt(0)
	v_dual_mov_b32 v47, 0 :: v_dual_lshlrev_b32 v8, 25, v7
	v_lshlrev_b16 v7, 8, v7
	s_delay_alu instid0(VALU_DEP_2) | instskip(NEXT) | instid1(VALU_DEP_2)
	v_lshrrev_b32_e32 v10, 4, v8
	v_and_or_b32 v11, 0x7f00, v7, 0.5
	v_cmp_gt_u32_e32 vcc_lo, 0x8000000, v8
	v_bfe_i32 v7, v7, 0, 16
	s_delay_alu instid0(VALU_DEP_4) | instskip(NEXT) | instid1(VALU_DEP_1)
	v_or_b32_e32 v10, 0x70000000, v10
	v_dual_add_f32 v11, -0.5, v11 :: v_dual_mul_f32 v10, 0x7800000, v10
	s_delay_alu instid0(VALU_DEP_1) | instskip(NEXT) | instid1(VALU_DEP_1)
	v_cndmask_b32_e32 v8, v10, v11, vcc_lo
	v_and_or_b32 v7, 0x80000000, v7, v8
	s_delay_alu instid0(VALU_DEP_1)
	v_cvt_f64_f32_e32 v[44:45], v7
.LBB56_1545:
	s_mov_b32 s0, 0
	s_mov_b32 s2, -1
.LBB56_1546:
	s_and_not1_b32 vcc_lo, exec_lo, s0
	s_mov_b32 s6, 0
	s_cbranch_vccnz .LBB56_1556
; %bb.1547:
	v_cmp_lt_i16_e32 vcc_lo, 14, v9
	s_cbranch_vccz .LBB56_1550
; %bb.1548:
	v_cmp_eq_u16_e32 vcc_lo, 15, v9
	s_cbranch_vccz .LBB56_1551
; %bb.1549:
	global_load_u16 v7, v[5:6], off
	s_mov_b32 s5, 0
	s_mov_b32 s2, -1
	s_mov_b64 s[0:1], 0
	s_waitcnt vmcnt(0)
	v_lshlrev_b32_e32 v7, 16, v7
	s_delay_alu instid0(VALU_DEP_1)
	v_cvt_f64_f32_e32 v[44:45], v7
	s_branch .LBB56_1552
.LBB56_1550:
	s_mov_b32 s3, -1
                                        ; implicit-def: $sgpr0_sgpr1
                                        ; implicit-def: $vgpr44_vgpr45
	s_branch .LBB56_1553
.LBB56_1551:
	s_mov_b32 s5, -1
                                        ; implicit-def: $sgpr0_sgpr1
                                        ; implicit-def: $vgpr44_vgpr45
.LBB56_1552:
	s_mov_b32 s3, 0
.LBB56_1553:
	s_delay_alu instid0(SALU_CYCLE_1)
	s_and_b32 vcc_lo, exec_lo, s3
	s_cbranch_vccz .LBB56_1555
; %bb.1554:
	v_cmp_ne_u16_e64 s5, 11, v9
	s_mov_b32 s6, -1
                                        ; implicit-def: $sgpr0_sgpr1
                                        ; implicit-def: $vgpr44_vgpr45
.LBB56_1555:
	v_dual_mov_b32 v47, s1 :: v_dual_mov_b32 v46, s0
.LBB56_1556:
	s_delay_alu instid0(VALU_DEP_2)
	s_and_b32 vcc_lo, exec_lo, s5
	s_cbranch_vccnz .LBB56_1572
; %bb.1557:
	s_and_not1_b32 vcc_lo, exec_lo, s6
	s_cbranch_vccnz .LBB56_1559
.LBB56_1558:
	global_load_u8 v7, v[5:6], off
	v_mov_b32_e32 v46, 0
	v_dual_mov_b32 v47, 0 :: v_dual_mov_b32 v44, 0
	s_mov_b32 s2, -1
	s_waitcnt vmcnt(0)
	v_cmp_ne_u16_e32 vcc_lo, 0, v7
	v_cndmask_b32_e64 v45, 0, 0x3ff00000, vcc_lo
.LBB56_1559:
.LBB56_1560:
	s_and_not1_b32 vcc_lo, exec_lo, s2
	s_cbranch_vccnz .LBB56_2130
.LBB56_1561:
	v_cmp_gt_i16_e32 vcc_lo, 11, v9
	v_add_co_u32 v4, s0, s18, v4
	s_delay_alu instid0(VALU_DEP_1)
	v_add_co_ci_u32_e64 v5, null, s19, 0, s0
	s_mov_b32 s2, 0
	s_cbranch_vccnz .LBB56_1568
; %bb.1562:
	v_cmp_lt_i16_e32 vcc_lo, 25, v9
	s_mov_b32 s6, 0
	s_cbranch_vccz .LBB56_1569
; %bb.1563:
	v_cmp_lt_i16_e32 vcc_lo, 28, v9
	s_cbranch_vccz .LBB56_1570
; %bb.1564:
	v_cmp_lt_i16_e32 vcc_lo, 43, v9
	;; [unrolled: 3-line block ×3, first 2 shown]
	s_cbranch_vccz .LBB56_1574
; %bb.1566:
	v_cmp_eq_u16_e32 vcc_lo, 46, v9
	s_mov_b32 s0, 0
	s_cbranch_vccz .LBB56_1577
; %bb.1567:
	global_load_b32 v6, v[4:5], off
	s_mov_b32 s5, 0
	s_mov_b32 s2, -1
	s_waitcnt vmcnt(0)
	v_lshlrev_b32_e32 v7, 16, v6
	v_and_b32_e32 v6, 0xffff0000, v6
	s_delay_alu instid0(VALU_DEP_2) | instskip(NEXT) | instid1(VALU_DEP_2)
	v_cvt_f64_f32_e32 v[56:57], v7
	v_cvt_f64_f32_e32 v[58:59], v6
	s_branch .LBB56_1579
.LBB56_1568:
	s_mov_b32 s0, -1
                                        ; implicit-def: $vgpr58_vgpr59
	s_branch .LBB56_1648
.LBB56_1569:
	s_mov_b32 s0, -1
	s_mov_b32 s5, 0
                                        ; implicit-def: $vgpr58_vgpr59
	s_branch .LBB56_1612
.LBB56_1570:
	s_mov_b32 s0, -1
	s_mov_b32 s5, 0
                                        ; implicit-def: $vgpr58_vgpr59
	s_branch .LBB56_1591
.LBB56_1571:
	s_mov_b32 s0, -1
	s_mov_b32 s5, 0
                                        ; implicit-def: $vgpr58_vgpr59
	s_branch .LBB56_1585
.LBB56_1572:
	s_cbranch_execnz .LBB56_1575
; %bb.1573:
	s_or_b32 s14, s14, exec_lo
                                        ; implicit-def: $vgpr46_vgpr47
	s_cbranch_execz .LBB56_1558
	s_branch .LBB56_1559
.LBB56_1574:
	s_mov_b32 s0, -1
	s_mov_b32 s5, 0
	s_branch .LBB56_1578
.LBB56_1575:
	s_trap 2
	s_sendmsg_rtn_b32 s0, sendmsg(MSG_RTN_GET_DOORBELL)
	s_mov_b32 ttmp2, m0
	s_waitcnt lgkmcnt(0)
	s_and_b32 s0, s0, 0x3ff
	s_delay_alu instid0(SALU_CYCLE_1) | instskip(NEXT) | instid1(SALU_CYCLE_1)
	s_bitset1_b32 s0, 10
	s_mov_b32 m0, s0
	s_sendmsg sendmsg(MSG_INTERRUPT)
	s_mov_b32 m0, ttmp2
.LBB56_1576:                            ; =>This Inner Loop Header: Depth=1
	s_sethalt 5
	s_branch .LBB56_1576
.LBB56_1577:
	s_mov_b32 s5, -1
.LBB56_1578:
                                        ; implicit-def: $vgpr58_vgpr59
.LBB56_1579:
	s_and_b32 vcc_lo, exec_lo, s0
	s_cbranch_vccz .LBB56_1584
; %bb.1580:
	v_cmp_eq_u16_e32 vcc_lo, 44, v9
	s_cbranch_vccz .LBB56_1582
; %bb.1581:
	global_load_u8 v8, v[4:5], off
	s_mov_b32 s5, 0
	s_mov_b32 s2, -1
	s_mov_b64 s[0:1], 0
	s_waitcnt vmcnt(0)
	v_cmp_ne_u32_e32 vcc_lo, 0xff, v8
	v_lshlrev_b32_e32 v6, 23, v8
	s_delay_alu instid0(VALU_DEP_1) | instskip(NEXT) | instid1(VALU_DEP_1)
	v_cvt_f64_f32_e32 v[6:7], v6
	v_cndmask_b32_e32 v7, 0x7ff80000, v7, vcc_lo
	s_delay_alu instid0(VALU_DEP_2) | instskip(SKIP_1) | instid1(VALU_DEP_3)
	v_cndmask_b32_e32 v6, 0x20000000, v6, vcc_lo
	v_cmp_ne_u32_e32 vcc_lo, 0, v8
	v_cndmask_b32_e32 v57, 0x38000000, v7, vcc_lo
	s_delay_alu instid0(VALU_DEP_3)
	v_cndmask_b32_e32 v56, 0, v6, vcc_lo
	s_branch .LBB56_1583
.LBB56_1582:
	s_mov_b32 s5, -1
                                        ; implicit-def: $sgpr0_sgpr1
                                        ; implicit-def: $vgpr56_vgpr57
.LBB56_1583:
	v_dual_mov_b32 v59, s1 :: v_dual_mov_b32 v58, s0
.LBB56_1584:
	s_mov_b32 s0, 0
.LBB56_1585:
	s_delay_alu instid0(SALU_CYCLE_1)
	s_and_b32 vcc_lo, exec_lo, s0
	s_cbranch_vccz .LBB56_1590
; %bb.1586:
	v_cmp_eq_u16_e32 vcc_lo, 29, v9
	s_cbranch_vccz .LBB56_1588
; %bb.1587:
	global_load_b64 v[6:7], v[4:5], off
	s_mov_b32 s5, 0
	s_mov_b32 s2, -1
	s_mov_b64 s[0:1], 0
	s_waitcnt vmcnt(0)
	v_cvt_f64_u32_e32 v[7:8], v7
	v_cvt_f64_u32_e32 v[10:11], v6
	s_delay_alu instid0(VALU_DEP_2) | instskip(NEXT) | instid1(VALU_DEP_1)
	v_ldexp_f64 v[7:8], v[7:8], 32
	v_add_f64 v[56:57], v[7:8], v[10:11]
	s_branch .LBB56_1589
.LBB56_1588:
	s_mov_b32 s5, -1
                                        ; implicit-def: $sgpr0_sgpr1
                                        ; implicit-def: $vgpr56_vgpr57
.LBB56_1589:
	v_dual_mov_b32 v59, s1 :: v_dual_mov_b32 v58, s0
.LBB56_1590:
	s_mov_b32 s0, 0
.LBB56_1591:
	s_delay_alu instid0(SALU_CYCLE_1)
	s_and_b32 vcc_lo, exec_lo, s0
	s_cbranch_vccz .LBB56_1611
; %bb.1592:
	v_cmp_gt_i16_e32 vcc_lo, 27, v9
	s_cbranch_vccnz .LBB56_1595
; %bb.1593:
	v_cmp_lt_i16_e32 vcc_lo, 27, v9
	s_cbranch_vccz .LBB56_1596
; %bb.1594:
	global_load_b32 v6, v[4:5], off
	s_mov_b32 s2, 0
	s_mov_b64 s[0:1], 0
	s_waitcnt vmcnt(0)
	v_cvt_f64_u32_e32 v[56:57], v6
	s_branch .LBB56_1597
.LBB56_1595:
	s_mov_b32 s2, -1
                                        ; implicit-def: $sgpr0_sgpr1
                                        ; implicit-def: $vgpr56_vgpr57
	s_branch .LBB56_1600
.LBB56_1596:
	s_mov_b32 s2, -1
                                        ; implicit-def: $sgpr0_sgpr1
                                        ; implicit-def: $vgpr56_vgpr57
.LBB56_1597:
	s_delay_alu instid0(SALU_CYCLE_1)
	s_and_not1_b32 vcc_lo, exec_lo, s2
	s_cbranch_vccnz .LBB56_1599
; %bb.1598:
	global_load_u16 v6, v[4:5], off
	s_mov_b64 s[0:1], 0
	s_waitcnt vmcnt(0)
	v_cvt_f64_u32_e32 v[56:57], v6
.LBB56_1599:
	s_mov_b32 s2, 0
.LBB56_1600:
	v_dual_mov_b32 v59, s1 :: v_dual_mov_b32 v58, s0
	s_and_not1_b32 vcc_lo, exec_lo, s2
	s_cbranch_vccnz .LBB56_1610
; %bb.1601:
	global_load_u8 v6, v[4:5], off
	s_mov_b32 s7, 0
	s_mov_b32 s8, exec_lo
                                        ; implicit-def: $sgpr0_sgpr1
                                        ; implicit-def: $sgpr2_sgpr3
	s_waitcnt vmcnt(0)
	v_cmpx_lt_i16_e32 0x7f, v6
	s_xor_b32 s8, exec_lo, s8
	s_cbranch_execz .LBB56_1605
; %bb.1602:
	s_mov_b32 s7, -1
	s_mov_b32 s9, exec_lo
                                        ; implicit-def: $sgpr0_sgpr1
                                        ; implicit-def: $sgpr2_sgpr3
	v_cmpx_eq_u16_e32 0x80, v6
; %bb.1603:
	s_mov_b64 s[0:1], 0
	s_mov_b32 s3, 0x7ff80000
	s_brev_b32 s2, 4
	s_xor_b32 s7, exec_lo, -1
; %bb.1604:
	s_or_b32 exec_lo, exec_lo, s9
	s_delay_alu instid0(SALU_CYCLE_1)
	s_and_b32 s7, s7, exec_lo
.LBB56_1605:
	s_or_saveexec_b32 s8, s8
	v_dual_mov_b32 v59, s1 :: v_dual_mov_b32 v58, s0
	v_dual_mov_b32 v57, s3 :: v_dual_mov_b32 v56, s2
	s_xor_b32 exec_lo, exec_lo, s8
; %bb.1606:
	v_mov_b32_e32 v58, 0
	v_mov_b32_e32 v59, 0
	v_cmp_ne_u16_e32 vcc_lo, 0, v6
	s_delay_alu instid0(VALU_DEP_3) | instskip(SKIP_1) | instid1(VALU_DEP_3)
	v_mov_b32_e32 v56, v58
	s_and_not1_b32 s0, s7, exec_lo
	v_mov_b32_e32 v57, v59
	s_and_b32 s1, vcc_lo, exec_lo
	s_delay_alu instid0(SALU_CYCLE_1)
	s_or_b32 s7, s0, s1
; %bb.1607:
	s_or_b32 exec_lo, exec_lo, s8
	s_and_saveexec_b32 s0, s7
	s_cbranch_execz .LBB56_1609
; %bb.1608:
	v_and_b32_e32 v7, 0xffff, v6
	v_lshlrev_b32_e32 v6, 24, v6
	v_mov_b32_e32 v58, 0
	s_delay_alu instid0(VALU_DEP_3) | instskip(NEXT) | instid1(VALU_DEP_3)
	v_dual_mov_b32 v59, 0 :: v_dual_and_b32 v8, 7, v7
	v_and_b32_e32 v6, 0x80000000, v6
	s_delay_alu instid0(VALU_DEP_2) | instskip(NEXT) | instid1(VALU_DEP_1)
	v_clz_i32_u32_e32 v10, v8
	v_min_u32_e32 v10, 32, v10
	s_delay_alu instid0(VALU_DEP_1) | instskip(SKIP_1) | instid1(VALU_DEP_2)
	v_subrev_nc_u32_e32 v11, 28, v10
	v_sub_nc_u32_e32 v10, 29, v10
	v_lshlrev_b32_e32 v11, v11, v7
	v_bfe_u32 v7, v7, 3, 4
	s_delay_alu instid0(VALU_DEP_2) | instskip(NEXT) | instid1(VALU_DEP_2)
	v_and_b32_e32 v11, 7, v11
	v_cmp_eq_u32_e32 vcc_lo, 0, v7
	s_delay_alu instid0(VALU_DEP_2) | instskip(NEXT) | instid1(VALU_DEP_1)
	v_dual_cndmask_b32 v7, v7, v10 :: v_dual_cndmask_b32 v8, v8, v11
	v_lshl_add_u32 v7, v7, 23, 0x3b800000
	s_delay_alu instid0(VALU_DEP_2) | instskip(NEXT) | instid1(VALU_DEP_1)
	v_lshlrev_b32_e32 v8, 20, v8
	v_or3_b32 v6, v6, v7, v8
	s_delay_alu instid0(VALU_DEP_1)
	v_cvt_f64_f32_e32 v[56:57], v6
.LBB56_1609:
	s_or_b32 exec_lo, exec_lo, s0
.LBB56_1610:
	s_mov_b32 s2, -1
.LBB56_1611:
	s_mov_b32 s0, 0
.LBB56_1612:
	s_delay_alu instid0(SALU_CYCLE_1)
	s_and_b32 vcc_lo, exec_lo, s0
	s_cbranch_vccz .LBB56_1644
; %bb.1613:
	v_cmp_lt_i16_e32 vcc_lo, 22, v9
	s_cbranch_vccz .LBB56_1625
; %bb.1614:
	v_cmp_gt_i16_e32 vcc_lo, 24, v9
	s_cbranch_vccnz .LBB56_1626
; %bb.1615:
	v_cmp_lt_i16_e32 vcc_lo, 24, v9
	s_cbranch_vccz .LBB56_1627
; %bb.1616:
	global_load_u8 v6, v[4:5], off
	s_mov_b32 s7, exec_lo
                                        ; implicit-def: $sgpr0_sgpr1
                                        ; implicit-def: $sgpr2_sgpr3
	s_waitcnt vmcnt(0)
	v_cmpx_lt_i16_e32 0x7f, v6
	s_xor_b32 s7, exec_lo, s7
	s_cbranch_execz .LBB56_1620
; %bb.1617:
	s_mov_b32 s6, -1
	s_mov_b32 s8, exec_lo
                                        ; implicit-def: $sgpr0_sgpr1
                                        ; implicit-def: $sgpr2_sgpr3
	v_cmpx_eq_u16_e32 0x80, v6
; %bb.1618:
	s_mov_b64 s[0:1], 0
	s_mov_b32 s3, 0x7ff80000
	s_brev_b32 s2, 4
	s_xor_b32 s6, exec_lo, -1
; %bb.1619:
	s_or_b32 exec_lo, exec_lo, s8
	s_delay_alu instid0(SALU_CYCLE_1)
	s_and_b32 s6, s6, exec_lo
.LBB56_1620:
	s_or_saveexec_b32 s7, s7
	v_dual_mov_b32 v59, s1 :: v_dual_mov_b32 v58, s0
	v_dual_mov_b32 v57, s3 :: v_dual_mov_b32 v56, s2
	s_xor_b32 exec_lo, exec_lo, s7
; %bb.1621:
	v_mov_b32_e32 v58, 0
	v_mov_b32_e32 v59, 0
	v_cmp_ne_u16_e32 vcc_lo, 0, v6
	s_delay_alu instid0(VALU_DEP_3) | instskip(SKIP_1) | instid1(VALU_DEP_3)
	v_mov_b32_e32 v56, v58
	s_and_not1_b32 s0, s6, exec_lo
	v_mov_b32_e32 v57, v59
	s_and_b32 s1, vcc_lo, exec_lo
	s_delay_alu instid0(SALU_CYCLE_1)
	s_or_b32 s6, s0, s1
; %bb.1622:
	s_or_b32 exec_lo, exec_lo, s7
	s_and_saveexec_b32 s0, s6
	s_cbranch_execz .LBB56_1624
; %bb.1623:
	v_and_b32_e32 v7, 0xffff, v6
	v_lshlrev_b32_e32 v6, 24, v6
	v_mov_b32_e32 v58, 0
	s_delay_alu instid0(VALU_DEP_3) | instskip(NEXT) | instid1(VALU_DEP_3)
	v_dual_mov_b32 v59, 0 :: v_dual_and_b32 v8, 3, v7
	v_and_b32_e32 v6, 0x80000000, v6
	s_delay_alu instid0(VALU_DEP_2) | instskip(NEXT) | instid1(VALU_DEP_1)
	v_clz_i32_u32_e32 v10, v8
	v_min_u32_e32 v10, 32, v10
	s_delay_alu instid0(VALU_DEP_1) | instskip(SKIP_1) | instid1(VALU_DEP_2)
	v_subrev_nc_u32_e32 v11, 29, v10
	v_sub_nc_u32_e32 v10, 30, v10
	v_lshlrev_b32_e32 v11, v11, v7
	v_bfe_u32 v7, v7, 2, 5
	s_delay_alu instid0(VALU_DEP_2) | instskip(NEXT) | instid1(VALU_DEP_2)
	v_and_b32_e32 v11, 3, v11
	v_cmp_eq_u32_e32 vcc_lo, 0, v7
	s_delay_alu instid0(VALU_DEP_2) | instskip(NEXT) | instid1(VALU_DEP_1)
	v_dual_cndmask_b32 v7, v7, v10 :: v_dual_cndmask_b32 v8, v8, v11
	v_lshl_add_u32 v7, v7, 23, 0x37800000
	s_delay_alu instid0(VALU_DEP_2) | instskip(NEXT) | instid1(VALU_DEP_1)
	v_lshlrev_b32_e32 v8, 21, v8
	v_or3_b32 v6, v6, v7, v8
	s_delay_alu instid0(VALU_DEP_1)
	v_cvt_f64_f32_e32 v[56:57], v6
.LBB56_1624:
	s_or_b32 exec_lo, exec_lo, s0
	s_mov_b32 s0, 0
	s_branch .LBB56_1628
.LBB56_1625:
	s_mov_b32 s0, -1
                                        ; implicit-def: $vgpr58_vgpr59
	s_branch .LBB56_1634
.LBB56_1626:
	s_mov_b32 s0, -1
                                        ; implicit-def: $vgpr58_vgpr59
	s_branch .LBB56_1631
.LBB56_1627:
	s_mov_b32 s0, -1
                                        ; implicit-def: $vgpr58_vgpr59
.LBB56_1628:
	s_delay_alu instid0(SALU_CYCLE_1)
	s_and_b32 vcc_lo, exec_lo, s0
	s_cbranch_vccz .LBB56_1630
; %bb.1629:
	global_load_u8 v6, v[4:5], off
	v_mov_b32_e32 v58, 0
	s_waitcnt vmcnt(0)
	v_dual_mov_b32 v59, 0 :: v_dual_lshlrev_b32 v6, 24, v6
	s_delay_alu instid0(VALU_DEP_1) | instskip(NEXT) | instid1(VALU_DEP_1)
	v_and_b32_e32 v7, 0x7f000000, v6
	v_clz_i32_u32_e32 v8, v7
	v_add_nc_u32_e32 v11, 0x1000000, v7
	v_cmp_ne_u32_e32 vcc_lo, 0, v7
	s_delay_alu instid0(VALU_DEP_3) | instskip(NEXT) | instid1(VALU_DEP_1)
	v_min_u32_e32 v8, 32, v8
	v_sub_nc_u32_e64 v8, v8, 4 clamp
	s_delay_alu instid0(VALU_DEP_1) | instskip(SKIP_1) | instid1(VALU_DEP_2)
	v_lshlrev_b32_e32 v10, v8, v7
	v_lshlrev_b32_e32 v8, 23, v8
	v_lshrrev_b32_e32 v10, 4, v10
	s_delay_alu instid0(VALU_DEP_1) | instskip(SKIP_1) | instid1(VALU_DEP_2)
	v_sub_nc_u32_e32 v8, v10, v8
	v_ashrrev_i32_e32 v10, 8, v11
	v_add_nc_u32_e32 v8, 0x3c000000, v8
	s_delay_alu instid0(VALU_DEP_1) | instskip(NEXT) | instid1(VALU_DEP_1)
	v_and_or_b32 v8, 0x7f800000, v10, v8
	v_cndmask_b32_e32 v7, 0, v8, vcc_lo
	s_delay_alu instid0(VALU_DEP_1) | instskip(NEXT) | instid1(VALU_DEP_1)
	v_and_or_b32 v6, 0x80000000, v6, v7
	v_cvt_f64_f32_e32 v[56:57], v6
.LBB56_1630:
	s_mov_b32 s0, 0
.LBB56_1631:
	s_delay_alu instid0(SALU_CYCLE_1)
	s_and_not1_b32 vcc_lo, exec_lo, s0
	s_cbranch_vccnz .LBB56_1633
; %bb.1632:
	global_load_u8 v6, v[4:5], off
	v_mov_b32_e32 v58, 0
	v_mov_b32_e32 v59, 0
	s_waitcnt vmcnt(0)
	v_lshlrev_b32_e32 v7, 25, v6
	v_lshlrev_b16 v6, 8, v6
	s_delay_alu instid0(VALU_DEP_2) | instskip(NEXT) | instid1(VALU_DEP_2)
	v_lshrrev_b32_e32 v8, 4, v7
	v_and_or_b32 v10, 0x7f00, v6, 0.5
	v_bfe_i32 v6, v6, 0, 16
	s_delay_alu instid0(VALU_DEP_3) | instskip(NEXT) | instid1(VALU_DEP_3)
	v_or_b32_e32 v8, 0x70000000, v8
	v_add_f32_e32 v10, -0.5, v10
	s_delay_alu instid0(VALU_DEP_2) | instskip(SKIP_1) | instid1(VALU_DEP_2)
	v_mul_f32_e32 v8, 0x7800000, v8
	v_cmp_gt_u32_e32 vcc_lo, 0x8000000, v7
	v_cndmask_b32_e32 v7, v8, v10, vcc_lo
	s_delay_alu instid0(VALU_DEP_1) | instskip(NEXT) | instid1(VALU_DEP_1)
	v_and_or_b32 v6, 0x80000000, v6, v7
	v_cvt_f64_f32_e32 v[56:57], v6
.LBB56_1633:
	s_mov_b32 s0, 0
	s_mov_b32 s2, -1
.LBB56_1634:
	s_and_not1_b32 vcc_lo, exec_lo, s0
	s_mov_b32 s6, 0
	s_cbranch_vccnz .LBB56_1644
; %bb.1635:
	v_cmp_lt_i16_e32 vcc_lo, 14, v9
	s_cbranch_vccz .LBB56_1638
; %bb.1636:
	v_cmp_eq_u16_e32 vcc_lo, 15, v9
	s_cbranch_vccz .LBB56_1639
; %bb.1637:
	global_load_u16 v6, v[4:5], off
	s_mov_b32 s5, 0
	s_mov_b32 s2, -1
	s_mov_b64 s[0:1], 0
	s_waitcnt vmcnt(0)
	v_lshlrev_b32_e32 v6, 16, v6
	s_delay_alu instid0(VALU_DEP_1)
	v_cvt_f64_f32_e32 v[56:57], v6
	s_branch .LBB56_1640
.LBB56_1638:
	s_mov_b32 s3, -1
                                        ; implicit-def: $sgpr0_sgpr1
                                        ; implicit-def: $vgpr56_vgpr57
	s_branch .LBB56_1641
.LBB56_1639:
	s_mov_b32 s5, -1
                                        ; implicit-def: $sgpr0_sgpr1
                                        ; implicit-def: $vgpr56_vgpr57
.LBB56_1640:
	s_mov_b32 s3, 0
.LBB56_1641:
	s_delay_alu instid0(SALU_CYCLE_1)
	s_and_b32 vcc_lo, exec_lo, s3
	s_cbranch_vccz .LBB56_1643
; %bb.1642:
	v_cmp_ne_u16_e64 s5, 11, v9
	s_mov_b32 s6, -1
                                        ; implicit-def: $sgpr0_sgpr1
                                        ; implicit-def: $vgpr56_vgpr57
.LBB56_1643:
	v_dual_mov_b32 v59, s1 :: v_dual_mov_b32 v58, s0
.LBB56_1644:
	s_delay_alu instid0(VALU_DEP_2)
	s_and_b32 vcc_lo, exec_lo, s5
	s_cbranch_vccnz .LBB56_2175
; %bb.1645:
	s_and_not1_b32 vcc_lo, exec_lo, s6
	s_cbranch_vccnz .LBB56_1647
.LBB56_1646:
	global_load_u8 v6, v[4:5], off
	v_mov_b32_e32 v58, 0
	v_dual_mov_b32 v59, 0 :: v_dual_mov_b32 v56, 0
	s_mov_b32 s2, -1
	s_waitcnt vmcnt(0)
	v_cmp_ne_u16_e32 vcc_lo, 0, v6
	v_cndmask_b32_e64 v57, 0, 0x3ff00000, vcc_lo
.LBB56_1647:
	s_mov_b32 s0, 0
.LBB56_1648:
	s_delay_alu instid0(SALU_CYCLE_1)
	s_and_b32 vcc_lo, exec_lo, s0
	s_cbranch_vccz .LBB56_1699
; %bb.1649:
	v_cmp_gt_i16_e32 vcc_lo, 5, v9
	s_cbranch_vccnz .LBB56_1654
; %bb.1650:
	v_cmp_gt_i16_e32 vcc_lo, 8, v9
	s_cbranch_vccnz .LBB56_1655
	;; [unrolled: 3-line block ×3, first 2 shown]
; %bb.1652:
	v_cmp_lt_i16_e32 vcc_lo, 9, v9
	s_cbranch_vccz .LBB56_1657
; %bb.1653:
	global_load_b128 v[56:59], v[4:5], off
	s_mov_b32 s0, 0
	s_branch .LBB56_1658
.LBB56_1654:
	s_mov_b32 s0, -1
                                        ; implicit-def: $vgpr58_vgpr59
	s_branch .LBB56_1677
.LBB56_1655:
	s_mov_b32 s0, -1
                                        ; implicit-def: $vgpr58_vgpr59
	s_branch .LBB56_1664
.LBB56_1656:
	s_mov_b32 s0, -1
                                        ; implicit-def: $vgpr58_vgpr59
	s_branch .LBB56_1661
.LBB56_1657:
	s_mov_b32 s0, -1
                                        ; implicit-def: $vgpr58_vgpr59
.LBB56_1658:
	s_delay_alu instid0(SALU_CYCLE_1)
	s_and_not1_b32 vcc_lo, exec_lo, s0
	s_cbranch_vccnz .LBB56_1660
; %bb.1659:
	global_load_b64 v[6:7], v[4:5], off
	s_waitcnt vmcnt(0)
	v_cvt_f64_f32_e32 v[56:57], v6
	v_cvt_f64_f32_e32 v[58:59], v7
.LBB56_1660:
	s_mov_b32 s0, 0
.LBB56_1661:
	s_delay_alu instid0(SALU_CYCLE_1)
	s_and_not1_b32 vcc_lo, exec_lo, s0
	s_cbranch_vccnz .LBB56_1663
; %bb.1662:
	global_load_b32 v6, v[4:5], off
	s_waitcnt vmcnt(0)
	v_lshrrev_b32_e32 v7, 16, v6
	v_cvt_f32_f16_e32 v6, v6
	s_delay_alu instid0(VALU_DEP_2) | instskip(NEXT) | instid1(VALU_DEP_2)
	v_cvt_f32_f16_e32 v7, v7
	v_cvt_f64_f32_e32 v[56:57], v6
	s_delay_alu instid0(VALU_DEP_2)
	v_cvt_f64_f32_e32 v[58:59], v7
.LBB56_1663:
	s_mov_b32 s0, 0
.LBB56_1664:
	s_delay_alu instid0(SALU_CYCLE_1)
	s_and_not1_b32 vcc_lo, exec_lo, s0
	s_cbranch_vccnz .LBB56_1676
; %bb.1665:
	v_cmp_gt_i16_e32 vcc_lo, 6, v9
	s_cbranch_vccnz .LBB56_1668
; %bb.1666:
	v_cmp_lt_i16_e32 vcc_lo, 6, v9
	s_cbranch_vccz .LBB56_1669
; %bb.1667:
	global_load_b64 v[56:57], v[4:5], off
	s_mov_b32 s2, 0
	s_mov_b64 s[0:1], 0
	s_branch .LBB56_1670
.LBB56_1668:
	s_mov_b32 s2, -1
                                        ; implicit-def: $sgpr0_sgpr1
                                        ; implicit-def: $vgpr56_vgpr57
	s_branch .LBB56_1673
.LBB56_1669:
	s_mov_b32 s2, -1
                                        ; implicit-def: $sgpr0_sgpr1
                                        ; implicit-def: $vgpr56_vgpr57
.LBB56_1670:
	s_delay_alu instid0(SALU_CYCLE_1)
	s_and_not1_b32 vcc_lo, exec_lo, s2
	s_cbranch_vccnz .LBB56_1672
; %bb.1671:
	global_load_b32 v6, v[4:5], off
	s_mov_b64 s[0:1], 0
	s_waitcnt vmcnt(0)
	v_cvt_f64_f32_e32 v[56:57], v6
.LBB56_1672:
	s_mov_b32 s2, 0
.LBB56_1673:
	s_delay_alu instid0(SALU_CYCLE_1)
	s_and_not1_b32 vcc_lo, exec_lo, s2
	s_cbranch_vccnz .LBB56_1675
; %bb.1674:
	global_load_u16 v6, v[4:5], off
	s_mov_b64 s[0:1], 0
	s_waitcnt vmcnt(0)
	v_cvt_f32_f16_e32 v6, v6
	s_delay_alu instid0(VALU_DEP_1)
	v_cvt_f64_f32_e32 v[56:57], v6
.LBB56_1675:
	s_waitcnt vmcnt(0)
	v_dual_mov_b32 v59, s1 :: v_dual_mov_b32 v58, s0
.LBB56_1676:
	s_mov_b32 s0, 0
.LBB56_1677:
	s_delay_alu instid0(SALU_CYCLE_1)
	s_and_not1_b32 vcc_lo, exec_lo, s0
	s_cbranch_vccnz .LBB56_1698
; %bb.1678:
	v_cmp_gt_i16_e32 vcc_lo, 2, v9
	s_cbranch_vccnz .LBB56_1682
; %bb.1679:
	v_cmp_gt_i16_e32 vcc_lo, 3, v9
	s_cbranch_vccnz .LBB56_1683
; %bb.1680:
	v_cmp_lt_i16_e32 vcc_lo, 3, v9
	s_cbranch_vccz .LBB56_1684
; %bb.1681:
	global_load_b64 v[6:7], v[4:5], off
	s_mov_b32 s2, 0
	s_mov_b64 s[0:1], 0
	s_waitcnt vmcnt(0)
	v_cvt_f64_i32_e32 v[7:8], v7
	v_cvt_f64_u32_e32 v[10:11], v6
	s_delay_alu instid0(VALU_DEP_2) | instskip(NEXT) | instid1(VALU_DEP_1)
	v_ldexp_f64 v[7:8], v[7:8], 32
	v_add_f64 v[56:57], v[7:8], v[10:11]
	s_branch .LBB56_1685
.LBB56_1682:
	s_mov_b32 s2, -1
                                        ; implicit-def: $sgpr0_sgpr1
                                        ; implicit-def: $vgpr56_vgpr57
	s_branch .LBB56_1691
.LBB56_1683:
	s_mov_b32 s2, -1
                                        ; implicit-def: $sgpr0_sgpr1
                                        ; implicit-def: $vgpr56_vgpr57
	s_branch .LBB56_1688
.LBB56_1684:
	s_mov_b32 s2, -1
                                        ; implicit-def: $sgpr0_sgpr1
                                        ; implicit-def: $vgpr56_vgpr57
.LBB56_1685:
	s_delay_alu instid0(SALU_CYCLE_1)
	s_and_not1_b32 vcc_lo, exec_lo, s2
	s_cbranch_vccnz .LBB56_1687
; %bb.1686:
	global_load_b32 v6, v[4:5], off
	s_mov_b64 s[0:1], 0
	s_waitcnt vmcnt(0)
	v_cvt_f64_i32_e32 v[56:57], v6
.LBB56_1687:
	s_mov_b32 s2, 0
.LBB56_1688:
	s_delay_alu instid0(SALU_CYCLE_1)
	s_and_not1_b32 vcc_lo, exec_lo, s2
	s_cbranch_vccnz .LBB56_1690
; %bb.1689:
	global_load_i16 v6, v[4:5], off
	s_mov_b64 s[0:1], 0
	s_waitcnt vmcnt(0)
	v_cvt_f64_i32_e32 v[56:57], v6
.LBB56_1690:
	s_mov_b32 s2, 0
.LBB56_1691:
	s_delay_alu instid0(SALU_CYCLE_1)
	s_and_not1_b32 vcc_lo, exec_lo, s2
	s_cbranch_vccnz .LBB56_1697
; %bb.1692:
	v_cmp_lt_i16_e32 vcc_lo, 0, v9
	s_mov_b32 s2, 0
	s_cbranch_vccz .LBB56_1694
; %bb.1693:
	global_load_i8 v6, v[4:5], off
	s_mov_b64 s[0:1], 0
	s_waitcnt vmcnt(0)
	v_cvt_f64_i32_e32 v[56:57], v6
	s_branch .LBB56_1695
.LBB56_1694:
	s_mov_b32 s2, -1
                                        ; implicit-def: $sgpr0_sgpr1
                                        ; implicit-def: $vgpr56_vgpr57
.LBB56_1695:
	s_delay_alu instid0(SALU_CYCLE_1)
	s_and_not1_b32 vcc_lo, exec_lo, s2
	s_cbranch_vccnz .LBB56_1697
; %bb.1696:
	global_load_u8 v4, v[4:5], off
	s_mov_b64 s[0:1], 0
	s_waitcnt vmcnt(0)
	v_cvt_f64_u32_e32 v[56:57], v4
.LBB56_1697:
	s_waitcnt vmcnt(0)
	v_dual_mov_b32 v59, s1 :: v_dual_mov_b32 v58, s0
.LBB56_1698:
	s_mov_b32 s2, -1
.LBB56_1699:
	s_delay_alu instid0(SALU_CYCLE_1)
	s_and_not1_b32 vcc_lo, exec_lo, s2
	s_cbranch_vccnz .LBB56_2130
; %bb.1700:
	s_lshr_b32 s0, s4, 8
	s_delay_alu instid0(SALU_CYCLE_1) | instskip(SKIP_3) | instid1(SALU_CYCLE_1)
	v_and_b32_e64 v63, 0xff, s0
	s_getpc_b64 s[0:1]
	s_add_u32 s0, s0, _ZZZZN2at6native15exp_kernel_cudaERNS_18TensorIteratorBaseEENKUlvE_clEvENKUlvE_clEvENKUlN3c107complexIdEEE_clES7_@rel32@lo+4
	s_addc_u32 s1, s1, _ZZZZN2at6native15exp_kernel_cudaERNS_18TensorIteratorBaseEENKUlvE_clEvENKUlvE_clEvENKUlN3c107complexIdEEE_clES7_@rel32@hi+12
	s_swappc_b64 s[30:31], s[0:1]
	v_cmp_gt_i16_e32 vcc_lo, 11, v63
	v_add_co_u32 v4, s0, s16, v68
	s_delay_alu instid0(VALU_DEP_1)
	v_add_co_ci_u32_e64 v5, null, s17, 0, s0
	s_mov_b32 s2, 0
	s_mov_b32 s0, -1
	s_cbranch_vccnz .LBB56_1778
; %bb.1701:
	v_cmp_lt_i16_e32 vcc_lo, 25, v63
	s_mov_b32 s3, -1
	s_mov_b32 s1, 0
	s_mov_b32 s0, 0
	s_cbranch_vccz .LBB56_1734
; %bb.1702:
	v_cmp_lt_i16_e32 vcc_lo, 28, v63
	s_cbranch_vccz .LBB56_1717
; %bb.1703:
	v_cmp_lt_i16_e32 vcc_lo, 43, v63
	;; [unrolled: 3-line block ×3, first 2 shown]
	s_cbranch_vccz .LBB56_1707
; %bb.1705:
	v_cmp_eq_u16_e32 vcc_lo, 46, v63
	s_mov_b32 s0, -1
	s_mov_b32 s3, 0
	s_cbranch_vccz .LBB56_1707
; %bb.1706:
	v_cvt_f32_f64_e32 v6, v[2:3]
	v_cvt_f32_f64_e32 v7, v[0:1]
	s_mov_b32 s0, 0
	s_mov_b32 s2, -1
	s_delay_alu instid0(VALU_DEP_2) | instskip(NEXT) | instid1(VALU_DEP_2)
	v_bfe_u32 v8, v6, 16, 1
	v_bfe_u32 v9, v7, 16, 1
	v_cmp_o_f32_e32 vcc_lo, v6, v6
	s_delay_alu instid0(VALU_DEP_3) | instskip(NEXT) | instid1(VALU_DEP_3)
	v_add3_u32 v8, v6, v8, 0x7fff
	v_add3_u32 v9, v7, v9, 0x7fff
	s_delay_alu instid0(VALU_DEP_2) | instskip(NEXT) | instid1(VALU_DEP_2)
	v_and_b32_e32 v8, 0xffff0000, v8
	v_lshrrev_b32_e32 v9, 16, v9
	s_delay_alu instid0(VALU_DEP_2) | instskip(SKIP_1) | instid1(VALU_DEP_3)
	v_cndmask_b32_e32 v6, 0x7fc00000, v8, vcc_lo
	v_cmp_o_f32_e32 vcc_lo, v7, v7
	v_cndmask_b32_e32 v7, 0x7fc0, v9, vcc_lo
	s_delay_alu instid0(VALU_DEP_1)
	v_or_b32_e32 v6, v6, v7
	global_store_b32 v[4:5], v6, off
.LBB56_1707:
	s_and_b32 vcc_lo, exec_lo, s3
	s_cbranch_vccz .LBB56_1712
; %bb.1708:
	v_cmp_eq_u16_e32 vcc_lo, 44, v63
	s_mov_b32 s0, -1
	s_cbranch_vccz .LBB56_1712
; %bb.1709:
	v_cvt_f32_f64_e32 v6, v[0:1]
	v_mov_b32_e32 v7, 0xff
	s_mov_b32 s2, exec_lo
	s_delay_alu instid0(VALU_DEP_2) | instskip(NEXT) | instid1(VALU_DEP_1)
	v_bfe_u32 v8, v6, 23, 8
	v_cmpx_ne_u32_e32 0xff, v8
; %bb.1710:
	v_and_b32_e32 v7, 0x400000, v6
	v_and_or_b32 v8, 0x3fffff, v6, v8
	v_lshrrev_b32_e32 v6, 23, v6
	s_delay_alu instid0(VALU_DEP_3) | instskip(NEXT) | instid1(VALU_DEP_3)
	v_cmp_ne_u32_e32 vcc_lo, 0, v7
	v_cmp_ne_u32_e64 s0, 0, v8
	s_delay_alu instid0(VALU_DEP_1) | instskip(NEXT) | instid1(SALU_CYCLE_1)
	s_and_b32 s0, vcc_lo, s0
	v_cndmask_b32_e64 v7, 0, 1, s0
	s_delay_alu instid0(VALU_DEP_1)
	v_add_nc_u32_e32 v7, v6, v7
; %bb.1711:
	s_or_b32 exec_lo, exec_lo, s2
	s_mov_b32 s0, 0
	s_mov_b32 s2, -1
	global_store_b8 v[4:5], v7, off
.LBB56_1712:
	s_mov_b32 s3, 0
.LBB56_1713:
	s_delay_alu instid0(SALU_CYCLE_1)
	s_and_b32 vcc_lo, exec_lo, s3
	s_cbranch_vccz .LBB56_1716
; %bb.1714:
	v_cmp_eq_u16_e32 vcc_lo, 29, v63
	s_mov_b32 s0, -1
	s_cbranch_vccz .LBB56_1716
; %bb.1715:
	v_trunc_f64_e32 v[6:7], v[0:1]
	s_mov_b32 s0, 0
	s_mov_b32 s2, -1
	s_delay_alu instid0(VALU_DEP_1) | instskip(NEXT) | instid1(VALU_DEP_1)
	v_ldexp_f64 v[8:9], v[6:7], 0xffffffe0
	v_floor_f64_e32 v[8:9], v[8:9]
	s_delay_alu instid0(VALU_DEP_1) | instskip(SKIP_1) | instid1(VALU_DEP_2)
	v_fma_f64 v[6:7], 0xc1f00000, v[8:9], v[6:7]
	v_cvt_u32_f64_e32 v8, v[8:9]
	v_cvt_u32_f64_e32 v7, v[6:7]
	global_store_b64 v[4:5], v[7:8], off
.LBB56_1716:
	s_mov_b32 s3, 0
.LBB56_1717:
	s_delay_alu instid0(SALU_CYCLE_1)
	s_and_b32 vcc_lo, exec_lo, s3
	s_cbranch_vccz .LBB56_1733
; %bb.1718:
	v_cmp_gt_i16_e32 vcc_lo, 27, v63
	s_mov_b32 s2, -1
	s_cbranch_vccnz .LBB56_1724
; %bb.1719:
	v_cvt_u32_f64_e32 v6, v[0:1]
	v_cmp_lt_i16_e32 vcc_lo, 27, v63
	s_cbranch_vccz .LBB56_1721
; %bb.1720:
	s_mov_b32 s2, 0
	global_store_b32 v[4:5], v6, off
.LBB56_1721:
	s_and_not1_b32 vcc_lo, exec_lo, s2
	s_cbranch_vccnz .LBB56_1723
; %bb.1722:
	global_store_b16 v[4:5], v6, off
.LBB56_1723:
	s_mov_b32 s2, 0
.LBB56_1724:
	s_delay_alu instid0(SALU_CYCLE_1)
	s_and_not1_b32 vcc_lo, exec_lo, s2
	s_cbranch_vccnz .LBB56_1732
; %bb.1725:
	v_cvt_f32_f64_e32 v6, v[0:1]
	v_mov_b32_e32 v8, 0x80
	s_mov_b32 s2, exec_lo
	s_delay_alu instid0(VALU_DEP_2) | instskip(NEXT) | instid1(VALU_DEP_1)
	v_and_b32_e32 v7, 0x7fffffff, v6
	v_cmpx_gt_u32_e32 0x43800000, v7
	s_cbranch_execz .LBB56_1731
; %bb.1726:
	v_cmp_lt_u32_e32 vcc_lo, 0x3bffffff, v7
	s_mov_b32 s3, 0
                                        ; implicit-def: $vgpr7
	s_and_saveexec_b32 s4, vcc_lo
	s_delay_alu instid0(SALU_CYCLE_1)
	s_xor_b32 s4, exec_lo, s4
	s_cbranch_execz .LBB56_2177
; %bb.1727:
	v_bfe_u32 v7, v6, 20, 1
	s_mov_b32 s3, exec_lo
	s_delay_alu instid0(VALU_DEP_1) | instskip(NEXT) | instid1(VALU_DEP_1)
	v_add3_u32 v7, v6, v7, 0x487ffff
	v_lshrrev_b32_e32 v7, 20, v7
	s_or_saveexec_b32 s4, s4
                                        ; implicit-def: $sgpr5
	s_delay_alu instid0(SALU_CYCLE_1)
	s_xor_b32 exec_lo, exec_lo, s4
	s_cbranch_execnz .LBB56_2178
.LBB56_1728:
	s_or_b32 exec_lo, exec_lo, s4
	v_mov_b32_e32 v8, s5
	s_and_saveexec_b32 s4, s3
.LBB56_1729:
	v_lshrrev_b32_e32 v6, 24, v6
	s_delay_alu instid0(VALU_DEP_1)
	v_and_or_b32 v8, 0x80, v6, v7
.LBB56_1730:
	s_or_b32 exec_lo, exec_lo, s4
.LBB56_1731:
	s_delay_alu instid0(SALU_CYCLE_1)
	s_or_b32 exec_lo, exec_lo, s2
	global_store_b8 v[4:5], v8, off
.LBB56_1732:
	s_mov_b32 s2, -1
.LBB56_1733:
	s_mov_b32 s3, 0
.LBB56_1734:
	s_delay_alu instid0(SALU_CYCLE_1)
	s_and_b32 vcc_lo, exec_lo, s3
	s_cbranch_vccz .LBB56_1774
; %bb.1735:
	v_cmp_lt_i16_e32 vcc_lo, 22, v63
	s_mov_b32 s1, -1
	s_cbranch_vccz .LBB56_1767
; %bb.1736:
	v_cmp_gt_i16_e32 vcc_lo, 24, v63
	s_cbranch_vccnz .LBB56_1756
; %bb.1737:
	v_cmp_lt_i16_e32 vcc_lo, 24, v63
	s_cbranch_vccz .LBB56_1745
; %bb.1738:
	v_cvt_f32_f64_e32 v6, v[0:1]
	v_mov_b32_e32 v8, 0x80
	s_mov_b32 s1, exec_lo
	s_delay_alu instid0(VALU_DEP_2) | instskip(NEXT) | instid1(VALU_DEP_1)
	v_and_b32_e32 v7, 0x7fffffff, v6
	v_cmpx_gt_u32_e32 0x47800000, v7
	s_cbranch_execz .LBB56_1744
; %bb.1739:
	v_cmp_lt_u32_e32 vcc_lo, 0x37ffffff, v7
	s_mov_b32 s2, 0
                                        ; implicit-def: $vgpr7
	s_and_saveexec_b32 s3, vcc_lo
	s_delay_alu instid0(SALU_CYCLE_1)
	s_xor_b32 s3, exec_lo, s3
	s_cbranch_execz .LBB56_2183
; %bb.1740:
	v_bfe_u32 v7, v6, 21, 1
	s_mov_b32 s2, exec_lo
	s_delay_alu instid0(VALU_DEP_1) | instskip(NEXT) | instid1(VALU_DEP_1)
	v_add3_u32 v7, v6, v7, 0x88fffff
	v_lshrrev_b32_e32 v7, 21, v7
	s_or_saveexec_b32 s3, s3
                                        ; implicit-def: $sgpr4
	s_delay_alu instid0(SALU_CYCLE_1)
	s_xor_b32 exec_lo, exec_lo, s3
	s_cbranch_execnz .LBB56_2184
.LBB56_1741:
	s_or_b32 exec_lo, exec_lo, s3
	v_mov_b32_e32 v8, s4
	s_and_saveexec_b32 s3, s2
.LBB56_1742:
	v_lshrrev_b32_e32 v6, 24, v6
	s_delay_alu instid0(VALU_DEP_1)
	v_and_or_b32 v8, 0x80, v6, v7
.LBB56_1743:
	s_or_b32 exec_lo, exec_lo, s3
.LBB56_1744:
	s_delay_alu instid0(SALU_CYCLE_1)
	s_or_b32 exec_lo, exec_lo, s1
	s_mov_b32 s1, 0
	global_store_b8 v[4:5], v8, off
.LBB56_1745:
	s_and_b32 vcc_lo, exec_lo, s1
	s_cbranch_vccz .LBB56_1755
; %bb.1746:
	v_cvt_f32_f64_e32 v6, v[0:1]
	s_mov_b32 s1, exec_lo
                                        ; implicit-def: $vgpr7
	s_delay_alu instid0(VALU_DEP_1) | instskip(NEXT) | instid1(VALU_DEP_1)
	v_and_b32_e32 v8, 0x7fffffff, v6
	v_cmpx_gt_u32_e32 0x43f00000, v8
	s_xor_b32 s1, exec_lo, s1
	s_cbranch_execz .LBB56_1752
; %bb.1747:
	s_mov_b32 s2, exec_lo
                                        ; implicit-def: $vgpr7
	v_cmpx_lt_u32_e32 0x3c7fffff, v8
	s_xor_b32 s2, exec_lo, s2
; %bb.1748:
	v_bfe_u32 v7, v6, 20, 1
	s_delay_alu instid0(VALU_DEP_1) | instskip(NEXT) | instid1(VALU_DEP_1)
	v_add3_u32 v7, v6, v7, 0x407ffff
	v_and_b32_e32 v8, 0xff00000, v7
	v_lshrrev_b32_e32 v7, 20, v7
	s_delay_alu instid0(VALU_DEP_2) | instskip(NEXT) | instid1(VALU_DEP_2)
	v_cmp_ne_u32_e32 vcc_lo, 0x7f00000, v8
	v_cndmask_b32_e32 v7, 0x7e, v7, vcc_lo
; %bb.1749:
	s_and_not1_saveexec_b32 s2, s2
; %bb.1750:
	v_add_f32_e64 v7, 0x46800000, |v6|
; %bb.1751:
	s_or_b32 exec_lo, exec_lo, s2
                                        ; implicit-def: $vgpr8
.LBB56_1752:
	s_and_not1_saveexec_b32 s1, s1
; %bb.1753:
	v_mov_b32_e32 v7, 0x7f
	v_cmp_lt_u32_e32 vcc_lo, 0x7f800000, v8
	s_delay_alu instid0(VALU_DEP_2)
	v_cndmask_b32_e32 v7, 0x7e, v7, vcc_lo
; %bb.1754:
	s_or_b32 exec_lo, exec_lo, s1
	v_lshrrev_b32_e32 v6, 24, v6
	s_delay_alu instid0(VALU_DEP_1)
	v_and_or_b32 v6, 0x80, v6, v7
	global_store_b8 v[4:5], v6, off
.LBB56_1755:
	s_mov_b32 s1, 0
.LBB56_1756:
	s_delay_alu instid0(SALU_CYCLE_1)
	s_and_not1_b32 vcc_lo, exec_lo, s1
	s_cbranch_vccnz .LBB56_1766
; %bb.1757:
	v_cvt_f32_f64_e32 v6, v[0:1]
	s_mov_b32 s1, exec_lo
                                        ; implicit-def: $vgpr7
	s_delay_alu instid0(VALU_DEP_1) | instskip(NEXT) | instid1(VALU_DEP_1)
	v_and_b32_e32 v8, 0x7fffffff, v6
	v_cmpx_gt_u32_e32 0x47800000, v8
	s_xor_b32 s1, exec_lo, s1
	s_cbranch_execz .LBB56_1763
; %bb.1758:
	s_mov_b32 s2, exec_lo
                                        ; implicit-def: $vgpr7
	v_cmpx_lt_u32_e32 0x387fffff, v8
	s_xor_b32 s2, exec_lo, s2
; %bb.1759:
	v_bfe_u32 v7, v6, 21, 1
	s_delay_alu instid0(VALU_DEP_1) | instskip(NEXT) | instid1(VALU_DEP_1)
	v_add3_u32 v7, v6, v7, 0x80fffff
	v_lshrrev_b32_e32 v7, 21, v7
; %bb.1760:
	s_and_not1_saveexec_b32 s2, s2
; %bb.1761:
	v_add_f32_e64 v7, 0x43000000, |v6|
; %bb.1762:
	s_or_b32 exec_lo, exec_lo, s2
                                        ; implicit-def: $vgpr8
.LBB56_1763:
	s_and_not1_saveexec_b32 s1, s1
; %bb.1764:
	v_mov_b32_e32 v7, 0x7f
	v_cmp_lt_u32_e32 vcc_lo, 0x7f800000, v8
	s_delay_alu instid0(VALU_DEP_2)
	v_cndmask_b32_e32 v7, 0x7c, v7, vcc_lo
; %bb.1765:
	s_or_b32 exec_lo, exec_lo, s1
	v_lshrrev_b32_e32 v6, 24, v6
	s_delay_alu instid0(VALU_DEP_1)
	v_and_or_b32 v6, 0x80, v6, v7
	global_store_b8 v[4:5], v6, off
.LBB56_1766:
	s_mov_b32 s1, 0
	s_mov_b32 s2, -1
.LBB56_1767:
	s_and_not1_b32 vcc_lo, exec_lo, s1
	s_mov_b32 s1, 0
	s_cbranch_vccnz .LBB56_1774
; %bb.1768:
	v_cmp_lt_i16_e32 vcc_lo, 14, v63
	s_mov_b32 s1, -1
	s_cbranch_vccz .LBB56_1772
; %bb.1769:
	v_cmp_eq_u16_e32 vcc_lo, 15, v63
	s_mov_b32 s0, -1
	s_cbranch_vccz .LBB56_1771
; %bb.1770:
	v_cvt_f32_f64_e32 v6, v[0:1]
	s_mov_b32 s0, 0
	s_mov_b32 s2, -1
	s_delay_alu instid0(VALU_DEP_1) | instskip(SKIP_1) | instid1(VALU_DEP_2)
	v_bfe_u32 v7, v6, 16, 1
	v_cmp_o_f32_e32 vcc_lo, v6, v6
	v_add3_u32 v7, v6, v7, 0x7fff
	s_delay_alu instid0(VALU_DEP_1) | instskip(NEXT) | instid1(VALU_DEP_1)
	v_lshrrev_b32_e32 v7, 16, v7
	v_cndmask_b32_e32 v6, 0x7fc0, v7, vcc_lo
	global_store_b16 v[4:5], v6, off
.LBB56_1771:
	s_mov_b32 s1, 0
.LBB56_1772:
	s_delay_alu instid0(SALU_CYCLE_1)
	s_and_b32 vcc_lo, exec_lo, s1
	s_mov_b32 s1, 0
	s_cbranch_vccz .LBB56_1774
; %bb.1773:
	v_cmp_ne_u16_e64 s0, 11, v63
	s_mov_b32 s1, -1
.LBB56_1774:
	s_delay_alu instid0(VALU_DEP_1)
	s_and_b32 vcc_lo, exec_lo, s0
	s_cbranch_vccnz .LBB56_2181
; %bb.1775:
	s_and_not1_b32 vcc_lo, exec_lo, s1
	s_cbranch_vccnz .LBB56_1777
.LBB56_1776:
	v_cmp_neq_f64_e32 vcc_lo, 0, v[0:1]
	v_cmp_neq_f64_e64 s0, 0, v[2:3]
	s_mov_b32 s2, -1
	s_delay_alu instid0(VALU_DEP_1) | instskip(NEXT) | instid1(SALU_CYCLE_1)
	s_or_b32 s0, vcc_lo, s0
	v_cndmask_b32_e64 v6, 0, 1, s0
	global_store_b8 v[4:5], v6, off
.LBB56_1777:
	s_mov_b32 s0, 0
.LBB56_1778:
	s_delay_alu instid0(SALU_CYCLE_1)
	s_and_b32 vcc_lo, exec_lo, s0
	s_cbranch_vccz .LBB56_1817
; %bb.1779:
	v_cmp_gt_i16_e32 vcc_lo, 5, v63
	s_mov_b32 s0, -1
	s_cbranch_vccnz .LBB56_1800
; %bb.1780:
	v_cmp_gt_i16_e32 vcc_lo, 8, v63
	s_cbranch_vccnz .LBB56_1790
; %bb.1781:
	v_cmp_gt_i16_e32 vcc_lo, 9, v63
	s_cbranch_vccnz .LBB56_1787
; %bb.1782:
	v_cmp_lt_i16_e32 vcc_lo, 9, v63
	s_cbranch_vccz .LBB56_1784
; %bb.1783:
	s_mov_b32 s0, 0
	global_store_b128 v[4:5], v[0:3], off
.LBB56_1784:
	s_and_not1_b32 vcc_lo, exec_lo, s0
	s_cbranch_vccnz .LBB56_1786
; %bb.1785:
	v_cvt_f32_f64_e32 v6, v[0:1]
	v_cvt_f32_f64_e32 v7, v[2:3]
	global_store_b64 v[4:5], v[6:7], off
.LBB56_1786:
	s_mov_b32 s0, 0
.LBB56_1787:
	s_delay_alu instid0(SALU_CYCLE_1)
	s_and_not1_b32 vcc_lo, exec_lo, s0
	s_cbranch_vccnz .LBB56_1789
; %bb.1788:
	v_cvt_f32_f64_e32 v2, v[2:3]
	v_cvt_f32_f64_e32 v3, v[0:1]
	s_delay_alu instid0(VALU_DEP_2) | instskip(NEXT) | instid1(VALU_DEP_2)
	v_cvt_f16_f32_e32 v2, v2
	v_cvt_f16_f32_e32 v3, v3
	s_delay_alu instid0(VALU_DEP_2) | instskip(NEXT) | instid1(VALU_DEP_2)
	v_lshlrev_b32_e32 v2, 16, v2
	v_and_b32_e32 v3, 0xffff, v3
	s_delay_alu instid0(VALU_DEP_1)
	v_or_b32_e32 v2, v2, v3
	global_store_b32 v[4:5], v2, off
.LBB56_1789:
	s_mov_b32 s0, 0
.LBB56_1790:
	s_delay_alu instid0(SALU_CYCLE_1)
	s_and_not1_b32 vcc_lo, exec_lo, s0
	s_cbranch_vccnz .LBB56_1799
; %bb.1791:
	v_cmp_gt_i16_e32 vcc_lo, 6, v63
	s_mov_b32 s0, -1
	s_cbranch_vccnz .LBB56_1797
; %bb.1792:
	v_cmp_lt_i16_e32 vcc_lo, 6, v63
	s_cbranch_vccz .LBB56_1794
; %bb.1793:
	s_mov_b32 s0, 0
	global_store_b64 v[4:5], v[0:1], off
.LBB56_1794:
	s_and_not1_b32 vcc_lo, exec_lo, s0
	s_cbranch_vccnz .LBB56_1796
; %bb.1795:
	v_cvt_f32_f64_e32 v2, v[0:1]
	global_store_b32 v[4:5], v2, off
.LBB56_1796:
	s_mov_b32 s0, 0
.LBB56_1797:
	s_delay_alu instid0(SALU_CYCLE_1)
	s_and_not1_b32 vcc_lo, exec_lo, s0
	s_cbranch_vccnz .LBB56_1799
; %bb.1798:
	v_cvt_f32_f64_e32 v2, v[0:1]
	s_delay_alu instid0(VALU_DEP_1)
	v_cvt_f16_f32_e32 v2, v2
	global_store_b16 v[4:5], v2, off
.LBB56_1799:
	s_mov_b32 s0, 0
.LBB56_1800:
	s_delay_alu instid0(SALU_CYCLE_1)
	s_and_not1_b32 vcc_lo, exec_lo, s0
	s_cbranch_vccnz .LBB56_1816
; %bb.1801:
	v_cmp_gt_i16_e32 vcc_lo, 2, v63
	s_mov_b32 s0, -1
	s_cbranch_vccnz .LBB56_1811
; %bb.1802:
	v_cmp_gt_i16_e32 vcc_lo, 3, v63
	s_cbranch_vccnz .LBB56_1808
; %bb.1803:
	v_cmp_lt_i16_e32 vcc_lo, 3, v63
	s_cbranch_vccz .LBB56_1805
; %bb.1804:
	v_trunc_f64_e32 v[2:3], v[0:1]
	s_mov_b32 s0, 0
	s_delay_alu instid0(VALU_DEP_1) | instskip(NEXT) | instid1(VALU_DEP_1)
	v_ldexp_f64 v[6:7], v[2:3], 0xffffffe0
	v_floor_f64_e32 v[6:7], v[6:7]
	s_delay_alu instid0(VALU_DEP_1) | instskip(SKIP_1) | instid1(VALU_DEP_2)
	v_fma_f64 v[2:3], 0xc1f00000, v[6:7], v[2:3]
	v_cvt_i32_f64_e32 v7, v[6:7]
	v_cvt_u32_f64_e32 v6, v[2:3]
	global_store_b64 v[4:5], v[6:7], off
.LBB56_1805:
	s_and_not1_b32 vcc_lo, exec_lo, s0
	s_cbranch_vccnz .LBB56_1807
; %bb.1806:
	v_cvt_i32_f64_e32 v2, v[0:1]
	global_store_b32 v[4:5], v2, off
.LBB56_1807:
	s_mov_b32 s0, 0
.LBB56_1808:
	s_delay_alu instid0(SALU_CYCLE_1)
	s_and_not1_b32 vcc_lo, exec_lo, s0
	s_cbranch_vccnz .LBB56_1810
; %bb.1809:
	v_cvt_i32_f64_e32 v2, v[0:1]
	global_store_b16 v[4:5], v2, off
.LBB56_1810:
	s_mov_b32 s0, 0
.LBB56_1811:
	s_delay_alu instid0(SALU_CYCLE_1)
	s_and_not1_b32 vcc_lo, exec_lo, s0
	s_cbranch_vccnz .LBB56_1816
; %bb.1812:
	v_cmp_lt_i16_e32 vcc_lo, 0, v63
	s_mov_b32 s0, -1
	s_cbranch_vccz .LBB56_1814
; %bb.1813:
	v_cvt_i32_f64_e32 v2, v[0:1]
	s_mov_b32 s0, 0
	global_store_b8 v[4:5], v2, off
.LBB56_1814:
	s_and_not1_b32 vcc_lo, exec_lo, s0
	s_cbranch_vccnz .LBB56_1816
; %bb.1815:
	v_trunc_f64_e32 v[0:1], v[0:1]
	s_delay_alu instid0(VALU_DEP_1) | instskip(NEXT) | instid1(VALU_DEP_1)
	v_ldexp_f64 v[2:3], v[0:1], 0xffffffe0
	v_floor_f64_e32 v[2:3], v[2:3]
	s_delay_alu instid0(VALU_DEP_1) | instskip(NEXT) | instid1(VALU_DEP_1)
	v_fma_f64 v[0:1], 0xc1f00000, v[2:3], v[0:1]
	v_cvt_u32_f64_e32 v0, v[0:1]
	global_store_b8 v[4:5], v0, off
.LBB56_1816:
	s_mov_b32 s2, -1
.LBB56_1817:
	s_delay_alu instid0(SALU_CYCLE_1)
	s_and_not1_b32 vcc_lo, exec_lo, s2
	s_cbranch_vccnz .LBB56_2130
; %bb.1818:
	v_dual_mov_b32 v0, v40 :: v_dual_mov_b32 v1, v41
	v_dual_mov_b32 v2, v42 :: v_dual_mov_b32 v3, v43
	s_getpc_b64 s[0:1]
	s_add_u32 s0, s0, _ZZZZN2at6native15exp_kernel_cudaERNS_18TensorIteratorBaseEENKUlvE_clEvENKUlvE_clEvENKUlN3c107complexIdEEE_clES7_@rel32@lo+4
	s_addc_u32 s1, s1, _ZZZZN2at6native15exp_kernel_cudaERNS_18TensorIteratorBaseEENKUlvE_clEvENKUlvE_clEvENKUlN3c107complexIdEEE_clES7_@rel32@hi+12
	s_delay_alu instid0(SALU_CYCLE_1) | instskip(SKIP_2) | instid1(VALU_DEP_1)
	s_swappc_b64 s[30:31], s[0:1]
	v_cmp_gt_i16_e32 vcc_lo, 11, v63
	v_add_co_u32 v4, s0, s16, v62
	v_add_co_ci_u32_e64 v5, null, s17, 0, s0
	s_mov_b32 s2, 0
	s_mov_b32 s0, -1
	s_cbranch_vccnz .LBB56_1896
; %bb.1819:
	v_cmp_lt_i16_e32 vcc_lo, 25, v63
	s_mov_b32 s3, -1
	s_mov_b32 s1, 0
	s_mov_b32 s0, 0
	s_cbranch_vccz .LBB56_1852
; %bb.1820:
	v_cmp_lt_i16_e32 vcc_lo, 28, v63
	s_cbranch_vccz .LBB56_1835
; %bb.1821:
	v_cmp_lt_i16_e32 vcc_lo, 43, v63
	;; [unrolled: 3-line block ×3, first 2 shown]
	s_cbranch_vccz .LBB56_1825
; %bb.1823:
	v_cmp_eq_u16_e32 vcc_lo, 46, v63
	s_mov_b32 s0, -1
	s_mov_b32 s3, 0
	s_cbranch_vccz .LBB56_1825
; %bb.1824:
	v_cvt_f32_f64_e32 v6, v[2:3]
	v_cvt_f32_f64_e32 v7, v[0:1]
	s_mov_b32 s0, 0
	s_mov_b32 s2, -1
	s_delay_alu instid0(VALU_DEP_2) | instskip(NEXT) | instid1(VALU_DEP_2)
	v_bfe_u32 v8, v6, 16, 1
	v_bfe_u32 v9, v7, 16, 1
	v_cmp_o_f32_e32 vcc_lo, v6, v6
	s_delay_alu instid0(VALU_DEP_3) | instskip(NEXT) | instid1(VALU_DEP_3)
	v_add3_u32 v8, v6, v8, 0x7fff
	v_add3_u32 v9, v7, v9, 0x7fff
	s_delay_alu instid0(VALU_DEP_2) | instskip(NEXT) | instid1(VALU_DEP_2)
	v_and_b32_e32 v8, 0xffff0000, v8
	v_lshrrev_b32_e32 v9, 16, v9
	s_delay_alu instid0(VALU_DEP_2) | instskip(SKIP_1) | instid1(VALU_DEP_3)
	v_cndmask_b32_e32 v6, 0x7fc00000, v8, vcc_lo
	v_cmp_o_f32_e32 vcc_lo, v7, v7
	v_cndmask_b32_e32 v7, 0x7fc0, v9, vcc_lo
	s_delay_alu instid0(VALU_DEP_1)
	v_or_b32_e32 v6, v6, v7
	global_store_b32 v[4:5], v6, off
.LBB56_1825:
	s_and_b32 vcc_lo, exec_lo, s3
	s_cbranch_vccz .LBB56_1830
; %bb.1826:
	v_cmp_eq_u16_e32 vcc_lo, 44, v63
	s_mov_b32 s0, -1
	s_cbranch_vccz .LBB56_1830
; %bb.1827:
	v_cvt_f32_f64_e32 v6, v[0:1]
	v_mov_b32_e32 v7, 0xff
	s_mov_b32 s2, exec_lo
	s_delay_alu instid0(VALU_DEP_2) | instskip(NEXT) | instid1(VALU_DEP_1)
	v_bfe_u32 v8, v6, 23, 8
	v_cmpx_ne_u32_e32 0xff, v8
; %bb.1828:
	v_and_b32_e32 v7, 0x400000, v6
	v_and_or_b32 v8, 0x3fffff, v6, v8
	v_lshrrev_b32_e32 v6, 23, v6
	s_delay_alu instid0(VALU_DEP_3) | instskip(NEXT) | instid1(VALU_DEP_3)
	v_cmp_ne_u32_e32 vcc_lo, 0, v7
	v_cmp_ne_u32_e64 s0, 0, v8
	s_delay_alu instid0(VALU_DEP_1) | instskip(NEXT) | instid1(SALU_CYCLE_1)
	s_and_b32 s0, vcc_lo, s0
	v_cndmask_b32_e64 v7, 0, 1, s0
	s_delay_alu instid0(VALU_DEP_1)
	v_add_nc_u32_e32 v7, v6, v7
; %bb.1829:
	s_or_b32 exec_lo, exec_lo, s2
	s_mov_b32 s0, 0
	s_mov_b32 s2, -1
	global_store_b8 v[4:5], v7, off
.LBB56_1830:
	s_mov_b32 s3, 0
.LBB56_1831:
	s_delay_alu instid0(SALU_CYCLE_1)
	s_and_b32 vcc_lo, exec_lo, s3
	s_cbranch_vccz .LBB56_1834
; %bb.1832:
	v_cmp_eq_u16_e32 vcc_lo, 29, v63
	s_mov_b32 s0, -1
	s_cbranch_vccz .LBB56_1834
; %bb.1833:
	v_trunc_f64_e32 v[6:7], v[0:1]
	s_mov_b32 s0, 0
	s_mov_b32 s2, -1
	s_delay_alu instid0(VALU_DEP_1) | instskip(NEXT) | instid1(VALU_DEP_1)
	v_ldexp_f64 v[8:9], v[6:7], 0xffffffe0
	v_floor_f64_e32 v[8:9], v[8:9]
	s_delay_alu instid0(VALU_DEP_1) | instskip(SKIP_1) | instid1(VALU_DEP_2)
	v_fma_f64 v[6:7], 0xc1f00000, v[8:9], v[6:7]
	v_cvt_u32_f64_e32 v8, v[8:9]
	v_cvt_u32_f64_e32 v7, v[6:7]
	global_store_b64 v[4:5], v[7:8], off
.LBB56_1834:
	s_mov_b32 s3, 0
.LBB56_1835:
	s_delay_alu instid0(SALU_CYCLE_1)
	s_and_b32 vcc_lo, exec_lo, s3
	s_cbranch_vccz .LBB56_1851
; %bb.1836:
	v_cmp_gt_i16_e32 vcc_lo, 27, v63
	s_mov_b32 s2, -1
	s_cbranch_vccnz .LBB56_1842
; %bb.1837:
	v_cvt_u32_f64_e32 v6, v[0:1]
	v_cmp_lt_i16_e32 vcc_lo, 27, v63
	s_cbranch_vccz .LBB56_1839
; %bb.1838:
	s_mov_b32 s2, 0
	global_store_b32 v[4:5], v6, off
.LBB56_1839:
	s_and_not1_b32 vcc_lo, exec_lo, s2
	s_cbranch_vccnz .LBB56_1841
; %bb.1840:
	global_store_b16 v[4:5], v6, off
.LBB56_1841:
	s_mov_b32 s2, 0
.LBB56_1842:
	s_delay_alu instid0(SALU_CYCLE_1)
	s_and_not1_b32 vcc_lo, exec_lo, s2
	s_cbranch_vccnz .LBB56_1850
; %bb.1843:
	v_cvt_f32_f64_e32 v6, v[0:1]
	v_mov_b32_e32 v8, 0x80
	s_mov_b32 s2, exec_lo
	s_delay_alu instid0(VALU_DEP_2) | instskip(NEXT) | instid1(VALU_DEP_1)
	v_and_b32_e32 v7, 0x7fffffff, v6
	v_cmpx_gt_u32_e32 0x43800000, v7
	s_cbranch_execz .LBB56_1849
; %bb.1844:
	v_cmp_lt_u32_e32 vcc_lo, 0x3bffffff, v7
	s_mov_b32 s3, 0
                                        ; implicit-def: $vgpr7
	s_and_saveexec_b32 s4, vcc_lo
	s_delay_alu instid0(SALU_CYCLE_1)
	s_xor_b32 s4, exec_lo, s4
	s_cbranch_execz .LBB56_2185
; %bb.1845:
	v_bfe_u32 v7, v6, 20, 1
	s_mov_b32 s3, exec_lo
	s_delay_alu instid0(VALU_DEP_1) | instskip(NEXT) | instid1(VALU_DEP_1)
	v_add3_u32 v7, v6, v7, 0x487ffff
	v_lshrrev_b32_e32 v7, 20, v7
	s_or_saveexec_b32 s4, s4
                                        ; implicit-def: $sgpr5
	s_delay_alu instid0(SALU_CYCLE_1)
	s_xor_b32 exec_lo, exec_lo, s4
	s_cbranch_execnz .LBB56_2186
.LBB56_1846:
	s_or_b32 exec_lo, exec_lo, s4
	v_mov_b32_e32 v8, s5
	s_and_saveexec_b32 s4, s3
.LBB56_1847:
	v_lshrrev_b32_e32 v6, 24, v6
	s_delay_alu instid0(VALU_DEP_1)
	v_and_or_b32 v8, 0x80, v6, v7
.LBB56_1848:
	s_or_b32 exec_lo, exec_lo, s4
.LBB56_1849:
	s_delay_alu instid0(SALU_CYCLE_1)
	s_or_b32 exec_lo, exec_lo, s2
	global_store_b8 v[4:5], v8, off
.LBB56_1850:
	s_mov_b32 s2, -1
.LBB56_1851:
	s_mov_b32 s3, 0
.LBB56_1852:
	s_delay_alu instid0(SALU_CYCLE_1)
	s_and_b32 vcc_lo, exec_lo, s3
	s_cbranch_vccz .LBB56_1892
; %bb.1853:
	v_cmp_lt_i16_e32 vcc_lo, 22, v63
	s_mov_b32 s1, -1
	s_cbranch_vccz .LBB56_1885
; %bb.1854:
	v_cmp_gt_i16_e32 vcc_lo, 24, v63
	s_cbranch_vccnz .LBB56_1874
; %bb.1855:
	v_cmp_lt_i16_e32 vcc_lo, 24, v63
	s_cbranch_vccz .LBB56_1863
; %bb.1856:
	v_cvt_f32_f64_e32 v6, v[0:1]
	v_mov_b32_e32 v8, 0x80
	s_mov_b32 s1, exec_lo
	s_delay_alu instid0(VALU_DEP_2) | instskip(NEXT) | instid1(VALU_DEP_1)
	v_and_b32_e32 v7, 0x7fffffff, v6
	v_cmpx_gt_u32_e32 0x47800000, v7
	s_cbranch_execz .LBB56_1862
; %bb.1857:
	v_cmp_lt_u32_e32 vcc_lo, 0x37ffffff, v7
	s_mov_b32 s2, 0
                                        ; implicit-def: $vgpr7
	s_and_saveexec_b32 s3, vcc_lo
	s_delay_alu instid0(SALU_CYCLE_1)
	s_xor_b32 s3, exec_lo, s3
	s_cbranch_execz .LBB56_2191
; %bb.1858:
	v_bfe_u32 v7, v6, 21, 1
	s_mov_b32 s2, exec_lo
	s_delay_alu instid0(VALU_DEP_1) | instskip(NEXT) | instid1(VALU_DEP_1)
	v_add3_u32 v7, v6, v7, 0x88fffff
	v_lshrrev_b32_e32 v7, 21, v7
	s_or_saveexec_b32 s3, s3
                                        ; implicit-def: $sgpr4
	s_delay_alu instid0(SALU_CYCLE_1)
	s_xor_b32 exec_lo, exec_lo, s3
	s_cbranch_execnz .LBB56_2192
.LBB56_1859:
	s_or_b32 exec_lo, exec_lo, s3
	v_mov_b32_e32 v8, s4
	s_and_saveexec_b32 s3, s2
.LBB56_1860:
	v_lshrrev_b32_e32 v6, 24, v6
	s_delay_alu instid0(VALU_DEP_1)
	v_and_or_b32 v8, 0x80, v6, v7
.LBB56_1861:
	s_or_b32 exec_lo, exec_lo, s3
.LBB56_1862:
	s_delay_alu instid0(SALU_CYCLE_1)
	s_or_b32 exec_lo, exec_lo, s1
	s_mov_b32 s1, 0
	global_store_b8 v[4:5], v8, off
.LBB56_1863:
	s_and_b32 vcc_lo, exec_lo, s1
	s_cbranch_vccz .LBB56_1873
; %bb.1864:
	v_cvt_f32_f64_e32 v6, v[0:1]
	s_mov_b32 s1, exec_lo
                                        ; implicit-def: $vgpr7
	s_delay_alu instid0(VALU_DEP_1) | instskip(NEXT) | instid1(VALU_DEP_1)
	v_and_b32_e32 v8, 0x7fffffff, v6
	v_cmpx_gt_u32_e32 0x43f00000, v8
	s_xor_b32 s1, exec_lo, s1
	s_cbranch_execz .LBB56_1870
; %bb.1865:
	s_mov_b32 s2, exec_lo
                                        ; implicit-def: $vgpr7
	v_cmpx_lt_u32_e32 0x3c7fffff, v8
	s_xor_b32 s2, exec_lo, s2
; %bb.1866:
	v_bfe_u32 v7, v6, 20, 1
	s_delay_alu instid0(VALU_DEP_1) | instskip(NEXT) | instid1(VALU_DEP_1)
	v_add3_u32 v7, v6, v7, 0x407ffff
	v_and_b32_e32 v8, 0xff00000, v7
	v_lshrrev_b32_e32 v7, 20, v7
	s_delay_alu instid0(VALU_DEP_2) | instskip(NEXT) | instid1(VALU_DEP_2)
	v_cmp_ne_u32_e32 vcc_lo, 0x7f00000, v8
	v_cndmask_b32_e32 v7, 0x7e, v7, vcc_lo
; %bb.1867:
	s_and_not1_saveexec_b32 s2, s2
; %bb.1868:
	v_add_f32_e64 v7, 0x46800000, |v6|
; %bb.1869:
	s_or_b32 exec_lo, exec_lo, s2
                                        ; implicit-def: $vgpr8
.LBB56_1870:
	s_and_not1_saveexec_b32 s1, s1
; %bb.1871:
	v_mov_b32_e32 v7, 0x7f
	v_cmp_lt_u32_e32 vcc_lo, 0x7f800000, v8
	s_delay_alu instid0(VALU_DEP_2)
	v_cndmask_b32_e32 v7, 0x7e, v7, vcc_lo
; %bb.1872:
	s_or_b32 exec_lo, exec_lo, s1
	v_lshrrev_b32_e32 v6, 24, v6
	s_delay_alu instid0(VALU_DEP_1)
	v_and_or_b32 v6, 0x80, v6, v7
	global_store_b8 v[4:5], v6, off
.LBB56_1873:
	s_mov_b32 s1, 0
.LBB56_1874:
	s_delay_alu instid0(SALU_CYCLE_1)
	s_and_not1_b32 vcc_lo, exec_lo, s1
	s_cbranch_vccnz .LBB56_1884
; %bb.1875:
	v_cvt_f32_f64_e32 v6, v[0:1]
	s_mov_b32 s1, exec_lo
                                        ; implicit-def: $vgpr7
	s_delay_alu instid0(VALU_DEP_1) | instskip(NEXT) | instid1(VALU_DEP_1)
	v_and_b32_e32 v8, 0x7fffffff, v6
	v_cmpx_gt_u32_e32 0x47800000, v8
	s_xor_b32 s1, exec_lo, s1
	s_cbranch_execz .LBB56_1881
; %bb.1876:
	s_mov_b32 s2, exec_lo
                                        ; implicit-def: $vgpr7
	v_cmpx_lt_u32_e32 0x387fffff, v8
	s_xor_b32 s2, exec_lo, s2
; %bb.1877:
	v_bfe_u32 v7, v6, 21, 1
	s_delay_alu instid0(VALU_DEP_1) | instskip(NEXT) | instid1(VALU_DEP_1)
	v_add3_u32 v7, v6, v7, 0x80fffff
	v_lshrrev_b32_e32 v7, 21, v7
; %bb.1878:
	s_and_not1_saveexec_b32 s2, s2
; %bb.1879:
	v_add_f32_e64 v7, 0x43000000, |v6|
; %bb.1880:
	s_or_b32 exec_lo, exec_lo, s2
                                        ; implicit-def: $vgpr8
.LBB56_1881:
	s_and_not1_saveexec_b32 s1, s1
; %bb.1882:
	v_mov_b32_e32 v7, 0x7f
	v_cmp_lt_u32_e32 vcc_lo, 0x7f800000, v8
	s_delay_alu instid0(VALU_DEP_2)
	v_cndmask_b32_e32 v7, 0x7c, v7, vcc_lo
; %bb.1883:
	s_or_b32 exec_lo, exec_lo, s1
	v_lshrrev_b32_e32 v6, 24, v6
	s_delay_alu instid0(VALU_DEP_1)
	v_and_or_b32 v6, 0x80, v6, v7
	global_store_b8 v[4:5], v6, off
.LBB56_1884:
	s_mov_b32 s1, 0
	s_mov_b32 s2, -1
.LBB56_1885:
	s_and_not1_b32 vcc_lo, exec_lo, s1
	s_mov_b32 s1, 0
	s_cbranch_vccnz .LBB56_1892
; %bb.1886:
	v_cmp_lt_i16_e32 vcc_lo, 14, v63
	s_mov_b32 s1, -1
	s_cbranch_vccz .LBB56_1890
; %bb.1887:
	v_cmp_eq_u16_e32 vcc_lo, 15, v63
	s_mov_b32 s0, -1
	s_cbranch_vccz .LBB56_1889
; %bb.1888:
	v_cvt_f32_f64_e32 v6, v[0:1]
	s_mov_b32 s0, 0
	s_mov_b32 s2, -1
	s_delay_alu instid0(VALU_DEP_1) | instskip(SKIP_1) | instid1(VALU_DEP_2)
	v_bfe_u32 v7, v6, 16, 1
	v_cmp_o_f32_e32 vcc_lo, v6, v6
	v_add3_u32 v7, v6, v7, 0x7fff
	s_delay_alu instid0(VALU_DEP_1) | instskip(NEXT) | instid1(VALU_DEP_1)
	v_lshrrev_b32_e32 v7, 16, v7
	v_cndmask_b32_e32 v6, 0x7fc0, v7, vcc_lo
	global_store_b16 v[4:5], v6, off
.LBB56_1889:
	s_mov_b32 s1, 0
.LBB56_1890:
	s_delay_alu instid0(SALU_CYCLE_1)
	s_and_b32 vcc_lo, exec_lo, s1
	s_mov_b32 s1, 0
	s_cbranch_vccz .LBB56_1892
; %bb.1891:
	v_cmp_ne_u16_e64 s0, 11, v63
	s_mov_b32 s1, -1
.LBB56_1892:
	s_delay_alu instid0(VALU_DEP_1)
	s_and_b32 vcc_lo, exec_lo, s0
	s_cbranch_vccnz .LBB56_2189
; %bb.1893:
	s_and_not1_b32 vcc_lo, exec_lo, s1
	s_cbranch_vccnz .LBB56_1895
.LBB56_1894:
	v_cmp_neq_f64_e32 vcc_lo, 0, v[0:1]
	v_cmp_neq_f64_e64 s0, 0, v[2:3]
	s_mov_b32 s2, -1
	s_delay_alu instid0(VALU_DEP_1) | instskip(NEXT) | instid1(SALU_CYCLE_1)
	s_or_b32 s0, vcc_lo, s0
	v_cndmask_b32_e64 v6, 0, 1, s0
	global_store_b8 v[4:5], v6, off
.LBB56_1895:
	s_mov_b32 s0, 0
.LBB56_1896:
	s_delay_alu instid0(SALU_CYCLE_1)
	s_and_b32 vcc_lo, exec_lo, s0
	s_cbranch_vccz .LBB56_1935
; %bb.1897:
	v_cmp_gt_i16_e32 vcc_lo, 5, v63
	s_mov_b32 s0, -1
	s_cbranch_vccnz .LBB56_1918
; %bb.1898:
	v_cmp_gt_i16_e32 vcc_lo, 8, v63
	s_cbranch_vccnz .LBB56_1908
; %bb.1899:
	v_cmp_gt_i16_e32 vcc_lo, 9, v63
	s_cbranch_vccnz .LBB56_1905
; %bb.1900:
	v_cmp_lt_i16_e32 vcc_lo, 9, v63
	s_cbranch_vccz .LBB56_1902
; %bb.1901:
	s_mov_b32 s0, 0
	global_store_b128 v[4:5], v[0:3], off
.LBB56_1902:
	s_and_not1_b32 vcc_lo, exec_lo, s0
	s_cbranch_vccnz .LBB56_1904
; %bb.1903:
	v_cvt_f32_f64_e32 v6, v[0:1]
	v_cvt_f32_f64_e32 v7, v[2:3]
	global_store_b64 v[4:5], v[6:7], off
.LBB56_1904:
	s_mov_b32 s0, 0
.LBB56_1905:
	s_delay_alu instid0(SALU_CYCLE_1)
	s_and_not1_b32 vcc_lo, exec_lo, s0
	s_cbranch_vccnz .LBB56_1907
; %bb.1906:
	v_cvt_f32_f64_e32 v2, v[2:3]
	v_cvt_f32_f64_e32 v3, v[0:1]
	s_delay_alu instid0(VALU_DEP_2) | instskip(NEXT) | instid1(VALU_DEP_2)
	v_cvt_f16_f32_e32 v2, v2
	v_cvt_f16_f32_e32 v3, v3
	s_delay_alu instid0(VALU_DEP_2) | instskip(NEXT) | instid1(VALU_DEP_2)
	v_lshlrev_b32_e32 v2, 16, v2
	v_and_b32_e32 v3, 0xffff, v3
	s_delay_alu instid0(VALU_DEP_1)
	v_or_b32_e32 v2, v2, v3
	global_store_b32 v[4:5], v2, off
.LBB56_1907:
	s_mov_b32 s0, 0
.LBB56_1908:
	s_delay_alu instid0(SALU_CYCLE_1)
	s_and_not1_b32 vcc_lo, exec_lo, s0
	s_cbranch_vccnz .LBB56_1917
; %bb.1909:
	v_cmp_gt_i16_e32 vcc_lo, 6, v63
	s_mov_b32 s0, -1
	s_cbranch_vccnz .LBB56_1915
; %bb.1910:
	v_cmp_lt_i16_e32 vcc_lo, 6, v63
	s_cbranch_vccz .LBB56_1912
; %bb.1911:
	s_mov_b32 s0, 0
	global_store_b64 v[4:5], v[0:1], off
.LBB56_1912:
	s_and_not1_b32 vcc_lo, exec_lo, s0
	s_cbranch_vccnz .LBB56_1914
; %bb.1913:
	v_cvt_f32_f64_e32 v2, v[0:1]
	global_store_b32 v[4:5], v2, off
.LBB56_1914:
	s_mov_b32 s0, 0
.LBB56_1915:
	s_delay_alu instid0(SALU_CYCLE_1)
	s_and_not1_b32 vcc_lo, exec_lo, s0
	s_cbranch_vccnz .LBB56_1917
; %bb.1916:
	v_cvt_f32_f64_e32 v2, v[0:1]
	s_delay_alu instid0(VALU_DEP_1)
	v_cvt_f16_f32_e32 v2, v2
	global_store_b16 v[4:5], v2, off
.LBB56_1917:
	s_mov_b32 s0, 0
.LBB56_1918:
	s_delay_alu instid0(SALU_CYCLE_1)
	s_and_not1_b32 vcc_lo, exec_lo, s0
	s_cbranch_vccnz .LBB56_1934
; %bb.1919:
	v_cmp_gt_i16_e32 vcc_lo, 2, v63
	s_mov_b32 s0, -1
	s_cbranch_vccnz .LBB56_1929
; %bb.1920:
	v_cmp_gt_i16_e32 vcc_lo, 3, v63
	s_cbranch_vccnz .LBB56_1926
; %bb.1921:
	v_cmp_lt_i16_e32 vcc_lo, 3, v63
	s_cbranch_vccz .LBB56_1923
; %bb.1922:
	v_trunc_f64_e32 v[2:3], v[0:1]
	s_mov_b32 s0, 0
	s_delay_alu instid0(VALU_DEP_1) | instskip(NEXT) | instid1(VALU_DEP_1)
	v_ldexp_f64 v[6:7], v[2:3], 0xffffffe0
	v_floor_f64_e32 v[6:7], v[6:7]
	s_delay_alu instid0(VALU_DEP_1) | instskip(SKIP_1) | instid1(VALU_DEP_2)
	v_fma_f64 v[2:3], 0xc1f00000, v[6:7], v[2:3]
	v_cvt_i32_f64_e32 v7, v[6:7]
	v_cvt_u32_f64_e32 v6, v[2:3]
	global_store_b64 v[4:5], v[6:7], off
.LBB56_1923:
	s_and_not1_b32 vcc_lo, exec_lo, s0
	s_cbranch_vccnz .LBB56_1925
; %bb.1924:
	v_cvt_i32_f64_e32 v2, v[0:1]
	global_store_b32 v[4:5], v2, off
.LBB56_1925:
	s_mov_b32 s0, 0
.LBB56_1926:
	s_delay_alu instid0(SALU_CYCLE_1)
	s_and_not1_b32 vcc_lo, exec_lo, s0
	s_cbranch_vccnz .LBB56_1928
; %bb.1927:
	v_cvt_i32_f64_e32 v2, v[0:1]
	global_store_b16 v[4:5], v2, off
.LBB56_1928:
	s_mov_b32 s0, 0
.LBB56_1929:
	s_delay_alu instid0(SALU_CYCLE_1)
	s_and_not1_b32 vcc_lo, exec_lo, s0
	s_cbranch_vccnz .LBB56_1934
; %bb.1930:
	v_cmp_lt_i16_e32 vcc_lo, 0, v63
	s_mov_b32 s0, -1
	s_cbranch_vccz .LBB56_1932
; %bb.1931:
	v_cvt_i32_f64_e32 v2, v[0:1]
	s_mov_b32 s0, 0
	global_store_b8 v[4:5], v2, off
.LBB56_1932:
	s_and_not1_b32 vcc_lo, exec_lo, s0
	s_cbranch_vccnz .LBB56_1934
; %bb.1933:
	v_trunc_f64_e32 v[0:1], v[0:1]
	s_delay_alu instid0(VALU_DEP_1) | instskip(NEXT) | instid1(VALU_DEP_1)
	v_ldexp_f64 v[2:3], v[0:1], 0xffffffe0
	v_floor_f64_e32 v[2:3], v[2:3]
	s_delay_alu instid0(VALU_DEP_1) | instskip(NEXT) | instid1(VALU_DEP_1)
	v_fma_f64 v[0:1], 0xc1f00000, v[2:3], v[0:1]
	v_cvt_u32_f64_e32 v0, v[0:1]
	global_store_b8 v[4:5], v0, off
.LBB56_1934:
	s_mov_b32 s2, -1
.LBB56_1935:
	s_delay_alu instid0(SALU_CYCLE_1)
	s_and_not1_b32 vcc_lo, exec_lo, s2
	s_cbranch_vccnz .LBB56_2130
; %bb.1936:
	v_dual_mov_b32 v0, v44 :: v_dual_mov_b32 v1, v45
	v_dual_mov_b32 v2, v46 :: v_dual_mov_b32 v3, v47
	s_getpc_b64 s[0:1]
	s_add_u32 s0, s0, _ZZZZN2at6native15exp_kernel_cudaERNS_18TensorIteratorBaseEENKUlvE_clEvENKUlvE_clEvENKUlN3c107complexIdEEE_clES7_@rel32@lo+4
	s_addc_u32 s1, s1, _ZZZZN2at6native15exp_kernel_cudaERNS_18TensorIteratorBaseEENKUlvE_clEvENKUlvE_clEvENKUlN3c107complexIdEEE_clES7_@rel32@hi+12
	s_delay_alu instid0(SALU_CYCLE_1) | instskip(SKIP_2) | instid1(VALU_DEP_1)
	s_swappc_b64 s[30:31], s[0:1]
	v_cmp_gt_i16_e32 vcc_lo, 11, v63
	v_add_co_u32 v4, s0, s16, v61
	v_add_co_ci_u32_e64 v5, null, s17, 0, s0
	s_mov_b32 s2, 0
	s_mov_b32 s0, -1
	s_cbranch_vccnz .LBB56_2014
; %bb.1937:
	v_cmp_lt_i16_e32 vcc_lo, 25, v63
	s_mov_b32 s3, -1
	s_mov_b32 s1, 0
	s_mov_b32 s0, 0
	s_cbranch_vccz .LBB56_1970
; %bb.1938:
	v_cmp_lt_i16_e32 vcc_lo, 28, v63
	s_cbranch_vccz .LBB56_1953
; %bb.1939:
	v_cmp_lt_i16_e32 vcc_lo, 43, v63
	;; [unrolled: 3-line block ×3, first 2 shown]
	s_cbranch_vccz .LBB56_1943
; %bb.1941:
	v_cmp_eq_u16_e32 vcc_lo, 46, v63
	s_mov_b32 s0, -1
	s_mov_b32 s3, 0
	s_cbranch_vccz .LBB56_1943
; %bb.1942:
	v_cvt_f32_f64_e32 v6, v[2:3]
	v_cvt_f32_f64_e32 v7, v[0:1]
	s_mov_b32 s0, 0
	s_mov_b32 s2, -1
	s_delay_alu instid0(VALU_DEP_2) | instskip(NEXT) | instid1(VALU_DEP_2)
	v_bfe_u32 v8, v6, 16, 1
	v_bfe_u32 v9, v7, 16, 1
	v_cmp_o_f32_e32 vcc_lo, v6, v6
	s_delay_alu instid0(VALU_DEP_3) | instskip(NEXT) | instid1(VALU_DEP_3)
	v_add3_u32 v8, v6, v8, 0x7fff
	v_add3_u32 v9, v7, v9, 0x7fff
	s_delay_alu instid0(VALU_DEP_2) | instskip(NEXT) | instid1(VALU_DEP_2)
	v_and_b32_e32 v8, 0xffff0000, v8
	v_lshrrev_b32_e32 v9, 16, v9
	s_delay_alu instid0(VALU_DEP_2) | instskip(SKIP_1) | instid1(VALU_DEP_3)
	v_cndmask_b32_e32 v6, 0x7fc00000, v8, vcc_lo
	v_cmp_o_f32_e32 vcc_lo, v7, v7
	v_cndmask_b32_e32 v7, 0x7fc0, v9, vcc_lo
	s_delay_alu instid0(VALU_DEP_1)
	v_or_b32_e32 v6, v6, v7
	global_store_b32 v[4:5], v6, off
.LBB56_1943:
	s_and_b32 vcc_lo, exec_lo, s3
	s_cbranch_vccz .LBB56_1948
; %bb.1944:
	v_cmp_eq_u16_e32 vcc_lo, 44, v63
	s_mov_b32 s0, -1
	s_cbranch_vccz .LBB56_1948
; %bb.1945:
	v_cvt_f32_f64_e32 v6, v[0:1]
	v_mov_b32_e32 v7, 0xff
	s_mov_b32 s2, exec_lo
	s_delay_alu instid0(VALU_DEP_2) | instskip(NEXT) | instid1(VALU_DEP_1)
	v_bfe_u32 v8, v6, 23, 8
	v_cmpx_ne_u32_e32 0xff, v8
; %bb.1946:
	v_and_b32_e32 v7, 0x400000, v6
	v_and_or_b32 v8, 0x3fffff, v6, v8
	v_lshrrev_b32_e32 v6, 23, v6
	s_delay_alu instid0(VALU_DEP_3) | instskip(NEXT) | instid1(VALU_DEP_3)
	v_cmp_ne_u32_e32 vcc_lo, 0, v7
	v_cmp_ne_u32_e64 s0, 0, v8
	s_delay_alu instid0(VALU_DEP_1) | instskip(NEXT) | instid1(SALU_CYCLE_1)
	s_and_b32 s0, vcc_lo, s0
	v_cndmask_b32_e64 v7, 0, 1, s0
	s_delay_alu instid0(VALU_DEP_1)
	v_add_nc_u32_e32 v7, v6, v7
; %bb.1947:
	s_or_b32 exec_lo, exec_lo, s2
	s_mov_b32 s0, 0
	s_mov_b32 s2, -1
	global_store_b8 v[4:5], v7, off
.LBB56_1948:
	s_mov_b32 s3, 0
.LBB56_1949:
	s_delay_alu instid0(SALU_CYCLE_1)
	s_and_b32 vcc_lo, exec_lo, s3
	s_cbranch_vccz .LBB56_1952
; %bb.1950:
	v_cmp_eq_u16_e32 vcc_lo, 29, v63
	s_mov_b32 s0, -1
	s_cbranch_vccz .LBB56_1952
; %bb.1951:
	v_trunc_f64_e32 v[6:7], v[0:1]
	s_mov_b32 s0, 0
	s_mov_b32 s2, -1
	s_delay_alu instid0(VALU_DEP_1) | instskip(NEXT) | instid1(VALU_DEP_1)
	v_ldexp_f64 v[8:9], v[6:7], 0xffffffe0
	v_floor_f64_e32 v[8:9], v[8:9]
	s_delay_alu instid0(VALU_DEP_1) | instskip(SKIP_1) | instid1(VALU_DEP_2)
	v_fma_f64 v[6:7], 0xc1f00000, v[8:9], v[6:7]
	v_cvt_u32_f64_e32 v8, v[8:9]
	v_cvt_u32_f64_e32 v7, v[6:7]
	global_store_b64 v[4:5], v[7:8], off
.LBB56_1952:
	s_mov_b32 s3, 0
.LBB56_1953:
	s_delay_alu instid0(SALU_CYCLE_1)
	s_and_b32 vcc_lo, exec_lo, s3
	s_cbranch_vccz .LBB56_1969
; %bb.1954:
	v_cmp_gt_i16_e32 vcc_lo, 27, v63
	s_mov_b32 s2, -1
	s_cbranch_vccnz .LBB56_1960
; %bb.1955:
	v_cvt_u32_f64_e32 v6, v[0:1]
	v_cmp_lt_i16_e32 vcc_lo, 27, v63
	s_cbranch_vccz .LBB56_1957
; %bb.1956:
	s_mov_b32 s2, 0
	global_store_b32 v[4:5], v6, off
.LBB56_1957:
	s_and_not1_b32 vcc_lo, exec_lo, s2
	s_cbranch_vccnz .LBB56_1959
; %bb.1958:
	global_store_b16 v[4:5], v6, off
.LBB56_1959:
	s_mov_b32 s2, 0
.LBB56_1960:
	s_delay_alu instid0(SALU_CYCLE_1)
	s_and_not1_b32 vcc_lo, exec_lo, s2
	s_cbranch_vccnz .LBB56_1968
; %bb.1961:
	v_cvt_f32_f64_e32 v6, v[0:1]
	v_mov_b32_e32 v8, 0x80
	s_mov_b32 s2, exec_lo
	s_delay_alu instid0(VALU_DEP_2) | instskip(NEXT) | instid1(VALU_DEP_1)
	v_and_b32_e32 v7, 0x7fffffff, v6
	v_cmpx_gt_u32_e32 0x43800000, v7
	s_cbranch_execz .LBB56_1967
; %bb.1962:
	v_cmp_lt_u32_e32 vcc_lo, 0x3bffffff, v7
	s_mov_b32 s3, 0
                                        ; implicit-def: $vgpr7
	s_and_saveexec_b32 s4, vcc_lo
	s_delay_alu instid0(SALU_CYCLE_1)
	s_xor_b32 s4, exec_lo, s4
	s_cbranch_execz .LBB56_2193
; %bb.1963:
	v_bfe_u32 v7, v6, 20, 1
	s_mov_b32 s3, exec_lo
	s_delay_alu instid0(VALU_DEP_1) | instskip(NEXT) | instid1(VALU_DEP_1)
	v_add3_u32 v7, v6, v7, 0x487ffff
	v_lshrrev_b32_e32 v7, 20, v7
	s_or_saveexec_b32 s4, s4
                                        ; implicit-def: $sgpr5
	s_delay_alu instid0(SALU_CYCLE_1)
	s_xor_b32 exec_lo, exec_lo, s4
	s_cbranch_execnz .LBB56_2194
.LBB56_1964:
	s_or_b32 exec_lo, exec_lo, s4
	v_mov_b32_e32 v8, s5
	s_and_saveexec_b32 s4, s3
.LBB56_1965:
	v_lshrrev_b32_e32 v6, 24, v6
	s_delay_alu instid0(VALU_DEP_1)
	v_and_or_b32 v8, 0x80, v6, v7
.LBB56_1966:
	s_or_b32 exec_lo, exec_lo, s4
.LBB56_1967:
	s_delay_alu instid0(SALU_CYCLE_1)
	s_or_b32 exec_lo, exec_lo, s2
	global_store_b8 v[4:5], v8, off
.LBB56_1968:
	s_mov_b32 s2, -1
.LBB56_1969:
	s_mov_b32 s3, 0
.LBB56_1970:
	s_delay_alu instid0(SALU_CYCLE_1)
	s_and_b32 vcc_lo, exec_lo, s3
	s_cbranch_vccz .LBB56_2010
; %bb.1971:
	v_cmp_lt_i16_e32 vcc_lo, 22, v63
	s_mov_b32 s1, -1
	s_cbranch_vccz .LBB56_2003
; %bb.1972:
	v_cmp_gt_i16_e32 vcc_lo, 24, v63
	s_cbranch_vccnz .LBB56_1992
; %bb.1973:
	v_cmp_lt_i16_e32 vcc_lo, 24, v63
	s_cbranch_vccz .LBB56_1981
; %bb.1974:
	v_cvt_f32_f64_e32 v6, v[0:1]
	v_mov_b32_e32 v8, 0x80
	s_mov_b32 s1, exec_lo
	s_delay_alu instid0(VALU_DEP_2) | instskip(NEXT) | instid1(VALU_DEP_1)
	v_and_b32_e32 v7, 0x7fffffff, v6
	v_cmpx_gt_u32_e32 0x47800000, v7
	s_cbranch_execz .LBB56_1980
; %bb.1975:
	v_cmp_lt_u32_e32 vcc_lo, 0x37ffffff, v7
	s_mov_b32 s2, 0
                                        ; implicit-def: $vgpr7
	s_and_saveexec_b32 s3, vcc_lo
	s_delay_alu instid0(SALU_CYCLE_1)
	s_xor_b32 s3, exec_lo, s3
	s_cbranch_execz .LBB56_2199
; %bb.1976:
	v_bfe_u32 v7, v6, 21, 1
	s_mov_b32 s2, exec_lo
	s_delay_alu instid0(VALU_DEP_1) | instskip(NEXT) | instid1(VALU_DEP_1)
	v_add3_u32 v7, v6, v7, 0x88fffff
	v_lshrrev_b32_e32 v7, 21, v7
	s_or_saveexec_b32 s3, s3
                                        ; implicit-def: $sgpr4
	s_delay_alu instid0(SALU_CYCLE_1)
	s_xor_b32 exec_lo, exec_lo, s3
	s_cbranch_execnz .LBB56_2200
.LBB56_1977:
	s_or_b32 exec_lo, exec_lo, s3
	v_mov_b32_e32 v8, s4
	s_and_saveexec_b32 s3, s2
.LBB56_1978:
	v_lshrrev_b32_e32 v6, 24, v6
	s_delay_alu instid0(VALU_DEP_1)
	v_and_or_b32 v8, 0x80, v6, v7
.LBB56_1979:
	s_or_b32 exec_lo, exec_lo, s3
.LBB56_1980:
	s_delay_alu instid0(SALU_CYCLE_1)
	s_or_b32 exec_lo, exec_lo, s1
	s_mov_b32 s1, 0
	global_store_b8 v[4:5], v8, off
.LBB56_1981:
	s_and_b32 vcc_lo, exec_lo, s1
	s_cbranch_vccz .LBB56_1991
; %bb.1982:
	v_cvt_f32_f64_e32 v6, v[0:1]
	s_mov_b32 s1, exec_lo
                                        ; implicit-def: $vgpr7
	s_delay_alu instid0(VALU_DEP_1) | instskip(NEXT) | instid1(VALU_DEP_1)
	v_and_b32_e32 v8, 0x7fffffff, v6
	v_cmpx_gt_u32_e32 0x43f00000, v8
	s_xor_b32 s1, exec_lo, s1
	s_cbranch_execz .LBB56_1988
; %bb.1983:
	s_mov_b32 s2, exec_lo
                                        ; implicit-def: $vgpr7
	v_cmpx_lt_u32_e32 0x3c7fffff, v8
	s_xor_b32 s2, exec_lo, s2
; %bb.1984:
	v_bfe_u32 v7, v6, 20, 1
	s_delay_alu instid0(VALU_DEP_1) | instskip(NEXT) | instid1(VALU_DEP_1)
	v_add3_u32 v7, v6, v7, 0x407ffff
	v_and_b32_e32 v8, 0xff00000, v7
	v_lshrrev_b32_e32 v7, 20, v7
	s_delay_alu instid0(VALU_DEP_2) | instskip(NEXT) | instid1(VALU_DEP_2)
	v_cmp_ne_u32_e32 vcc_lo, 0x7f00000, v8
	v_cndmask_b32_e32 v7, 0x7e, v7, vcc_lo
; %bb.1985:
	s_and_not1_saveexec_b32 s2, s2
; %bb.1986:
	v_add_f32_e64 v7, 0x46800000, |v6|
; %bb.1987:
	s_or_b32 exec_lo, exec_lo, s2
                                        ; implicit-def: $vgpr8
.LBB56_1988:
	s_and_not1_saveexec_b32 s1, s1
; %bb.1989:
	v_mov_b32_e32 v7, 0x7f
	v_cmp_lt_u32_e32 vcc_lo, 0x7f800000, v8
	s_delay_alu instid0(VALU_DEP_2)
	v_cndmask_b32_e32 v7, 0x7e, v7, vcc_lo
; %bb.1990:
	s_or_b32 exec_lo, exec_lo, s1
	v_lshrrev_b32_e32 v6, 24, v6
	s_delay_alu instid0(VALU_DEP_1)
	v_and_or_b32 v6, 0x80, v6, v7
	global_store_b8 v[4:5], v6, off
.LBB56_1991:
	s_mov_b32 s1, 0
.LBB56_1992:
	s_delay_alu instid0(SALU_CYCLE_1)
	s_and_not1_b32 vcc_lo, exec_lo, s1
	s_cbranch_vccnz .LBB56_2002
; %bb.1993:
	v_cvt_f32_f64_e32 v6, v[0:1]
	s_mov_b32 s1, exec_lo
                                        ; implicit-def: $vgpr7
	s_delay_alu instid0(VALU_DEP_1) | instskip(NEXT) | instid1(VALU_DEP_1)
	v_and_b32_e32 v8, 0x7fffffff, v6
	v_cmpx_gt_u32_e32 0x47800000, v8
	s_xor_b32 s1, exec_lo, s1
	s_cbranch_execz .LBB56_1999
; %bb.1994:
	s_mov_b32 s2, exec_lo
                                        ; implicit-def: $vgpr7
	v_cmpx_lt_u32_e32 0x387fffff, v8
	s_xor_b32 s2, exec_lo, s2
; %bb.1995:
	v_bfe_u32 v7, v6, 21, 1
	s_delay_alu instid0(VALU_DEP_1) | instskip(NEXT) | instid1(VALU_DEP_1)
	v_add3_u32 v7, v6, v7, 0x80fffff
	v_lshrrev_b32_e32 v7, 21, v7
; %bb.1996:
	s_and_not1_saveexec_b32 s2, s2
; %bb.1997:
	v_add_f32_e64 v7, 0x43000000, |v6|
; %bb.1998:
	s_or_b32 exec_lo, exec_lo, s2
                                        ; implicit-def: $vgpr8
.LBB56_1999:
	s_and_not1_saveexec_b32 s1, s1
; %bb.2000:
	v_mov_b32_e32 v7, 0x7f
	v_cmp_lt_u32_e32 vcc_lo, 0x7f800000, v8
	s_delay_alu instid0(VALU_DEP_2)
	v_cndmask_b32_e32 v7, 0x7c, v7, vcc_lo
; %bb.2001:
	s_or_b32 exec_lo, exec_lo, s1
	v_lshrrev_b32_e32 v6, 24, v6
	s_delay_alu instid0(VALU_DEP_1)
	v_and_or_b32 v6, 0x80, v6, v7
	global_store_b8 v[4:5], v6, off
.LBB56_2002:
	s_mov_b32 s1, 0
	s_mov_b32 s2, -1
.LBB56_2003:
	s_and_not1_b32 vcc_lo, exec_lo, s1
	s_mov_b32 s1, 0
	s_cbranch_vccnz .LBB56_2010
; %bb.2004:
	v_cmp_lt_i16_e32 vcc_lo, 14, v63
	s_mov_b32 s1, -1
	s_cbranch_vccz .LBB56_2008
; %bb.2005:
	v_cmp_eq_u16_e32 vcc_lo, 15, v63
	s_mov_b32 s0, -1
	s_cbranch_vccz .LBB56_2007
; %bb.2006:
	v_cvt_f32_f64_e32 v6, v[0:1]
	s_mov_b32 s0, 0
	s_mov_b32 s2, -1
	s_delay_alu instid0(VALU_DEP_1) | instskip(SKIP_1) | instid1(VALU_DEP_2)
	v_bfe_u32 v7, v6, 16, 1
	v_cmp_o_f32_e32 vcc_lo, v6, v6
	v_add3_u32 v7, v6, v7, 0x7fff
	s_delay_alu instid0(VALU_DEP_1) | instskip(NEXT) | instid1(VALU_DEP_1)
	v_lshrrev_b32_e32 v7, 16, v7
	v_cndmask_b32_e32 v6, 0x7fc0, v7, vcc_lo
	global_store_b16 v[4:5], v6, off
.LBB56_2007:
	s_mov_b32 s1, 0
.LBB56_2008:
	s_delay_alu instid0(SALU_CYCLE_1)
	s_and_b32 vcc_lo, exec_lo, s1
	s_mov_b32 s1, 0
	s_cbranch_vccz .LBB56_2010
; %bb.2009:
	v_cmp_ne_u16_e64 s0, 11, v63
	s_mov_b32 s1, -1
.LBB56_2010:
	s_delay_alu instid0(VALU_DEP_1)
	s_and_b32 vcc_lo, exec_lo, s0
	s_cbranch_vccnz .LBB56_2197
; %bb.2011:
	s_and_not1_b32 vcc_lo, exec_lo, s1
	s_cbranch_vccnz .LBB56_2013
.LBB56_2012:
	v_cmp_neq_f64_e32 vcc_lo, 0, v[0:1]
	v_cmp_neq_f64_e64 s0, 0, v[2:3]
	s_mov_b32 s2, -1
	s_delay_alu instid0(VALU_DEP_1) | instskip(NEXT) | instid1(SALU_CYCLE_1)
	s_or_b32 s0, vcc_lo, s0
	v_cndmask_b32_e64 v6, 0, 1, s0
	global_store_b8 v[4:5], v6, off
.LBB56_2013:
	s_mov_b32 s0, 0
.LBB56_2014:
	s_delay_alu instid0(SALU_CYCLE_1)
	s_and_b32 vcc_lo, exec_lo, s0
	s_cbranch_vccz .LBB56_2053
; %bb.2015:
	v_cmp_gt_i16_e32 vcc_lo, 5, v63
	s_mov_b32 s0, -1
	s_cbranch_vccnz .LBB56_2036
; %bb.2016:
	v_cmp_gt_i16_e32 vcc_lo, 8, v63
	s_cbranch_vccnz .LBB56_2026
; %bb.2017:
	v_cmp_gt_i16_e32 vcc_lo, 9, v63
	s_cbranch_vccnz .LBB56_2023
; %bb.2018:
	v_cmp_lt_i16_e32 vcc_lo, 9, v63
	s_cbranch_vccz .LBB56_2020
; %bb.2019:
	s_mov_b32 s0, 0
	global_store_b128 v[4:5], v[0:3], off
.LBB56_2020:
	s_and_not1_b32 vcc_lo, exec_lo, s0
	s_cbranch_vccnz .LBB56_2022
; %bb.2021:
	v_cvt_f32_f64_e32 v6, v[0:1]
	v_cvt_f32_f64_e32 v7, v[2:3]
	global_store_b64 v[4:5], v[6:7], off
.LBB56_2022:
	s_mov_b32 s0, 0
.LBB56_2023:
	s_delay_alu instid0(SALU_CYCLE_1)
	s_and_not1_b32 vcc_lo, exec_lo, s0
	s_cbranch_vccnz .LBB56_2025
; %bb.2024:
	v_cvt_f32_f64_e32 v2, v[2:3]
	v_cvt_f32_f64_e32 v3, v[0:1]
	s_delay_alu instid0(VALU_DEP_2) | instskip(NEXT) | instid1(VALU_DEP_2)
	v_cvt_f16_f32_e32 v2, v2
	v_cvt_f16_f32_e32 v3, v3
	s_delay_alu instid0(VALU_DEP_2) | instskip(NEXT) | instid1(VALU_DEP_2)
	v_lshlrev_b32_e32 v2, 16, v2
	v_and_b32_e32 v3, 0xffff, v3
	s_delay_alu instid0(VALU_DEP_1)
	v_or_b32_e32 v2, v2, v3
	global_store_b32 v[4:5], v2, off
.LBB56_2025:
	s_mov_b32 s0, 0
.LBB56_2026:
	s_delay_alu instid0(SALU_CYCLE_1)
	s_and_not1_b32 vcc_lo, exec_lo, s0
	s_cbranch_vccnz .LBB56_2035
; %bb.2027:
	v_cmp_gt_i16_e32 vcc_lo, 6, v63
	s_mov_b32 s0, -1
	s_cbranch_vccnz .LBB56_2033
; %bb.2028:
	v_cmp_lt_i16_e32 vcc_lo, 6, v63
	s_cbranch_vccz .LBB56_2030
; %bb.2029:
	s_mov_b32 s0, 0
	global_store_b64 v[4:5], v[0:1], off
.LBB56_2030:
	s_and_not1_b32 vcc_lo, exec_lo, s0
	s_cbranch_vccnz .LBB56_2032
; %bb.2031:
	v_cvt_f32_f64_e32 v2, v[0:1]
	global_store_b32 v[4:5], v2, off
.LBB56_2032:
	s_mov_b32 s0, 0
.LBB56_2033:
	s_delay_alu instid0(SALU_CYCLE_1)
	s_and_not1_b32 vcc_lo, exec_lo, s0
	s_cbranch_vccnz .LBB56_2035
; %bb.2034:
	v_cvt_f32_f64_e32 v2, v[0:1]
	s_delay_alu instid0(VALU_DEP_1)
	v_cvt_f16_f32_e32 v2, v2
	global_store_b16 v[4:5], v2, off
.LBB56_2035:
	s_mov_b32 s0, 0
.LBB56_2036:
	s_delay_alu instid0(SALU_CYCLE_1)
	s_and_not1_b32 vcc_lo, exec_lo, s0
	s_cbranch_vccnz .LBB56_2052
; %bb.2037:
	v_cmp_gt_i16_e32 vcc_lo, 2, v63
	s_mov_b32 s0, -1
	s_cbranch_vccnz .LBB56_2047
; %bb.2038:
	v_cmp_gt_i16_e32 vcc_lo, 3, v63
	s_cbranch_vccnz .LBB56_2044
; %bb.2039:
	v_cmp_lt_i16_e32 vcc_lo, 3, v63
	s_cbranch_vccz .LBB56_2041
; %bb.2040:
	v_trunc_f64_e32 v[2:3], v[0:1]
	s_mov_b32 s0, 0
	s_delay_alu instid0(VALU_DEP_1) | instskip(NEXT) | instid1(VALU_DEP_1)
	v_ldexp_f64 v[6:7], v[2:3], 0xffffffe0
	v_floor_f64_e32 v[6:7], v[6:7]
	s_delay_alu instid0(VALU_DEP_1) | instskip(SKIP_1) | instid1(VALU_DEP_2)
	v_fma_f64 v[2:3], 0xc1f00000, v[6:7], v[2:3]
	v_cvt_i32_f64_e32 v7, v[6:7]
	v_cvt_u32_f64_e32 v6, v[2:3]
	global_store_b64 v[4:5], v[6:7], off
.LBB56_2041:
	s_and_not1_b32 vcc_lo, exec_lo, s0
	s_cbranch_vccnz .LBB56_2043
; %bb.2042:
	v_cvt_i32_f64_e32 v2, v[0:1]
	global_store_b32 v[4:5], v2, off
.LBB56_2043:
	s_mov_b32 s0, 0
.LBB56_2044:
	s_delay_alu instid0(SALU_CYCLE_1)
	s_and_not1_b32 vcc_lo, exec_lo, s0
	s_cbranch_vccnz .LBB56_2046
; %bb.2045:
	v_cvt_i32_f64_e32 v2, v[0:1]
	global_store_b16 v[4:5], v2, off
.LBB56_2046:
	s_mov_b32 s0, 0
.LBB56_2047:
	s_delay_alu instid0(SALU_CYCLE_1)
	s_and_not1_b32 vcc_lo, exec_lo, s0
	s_cbranch_vccnz .LBB56_2052
; %bb.2048:
	v_cmp_lt_i16_e32 vcc_lo, 0, v63
	s_mov_b32 s0, -1
	s_cbranch_vccz .LBB56_2050
; %bb.2049:
	v_cvt_i32_f64_e32 v2, v[0:1]
	s_mov_b32 s0, 0
	global_store_b8 v[4:5], v2, off
.LBB56_2050:
	s_and_not1_b32 vcc_lo, exec_lo, s0
	s_cbranch_vccnz .LBB56_2052
; %bb.2051:
	v_trunc_f64_e32 v[0:1], v[0:1]
	s_delay_alu instid0(VALU_DEP_1) | instskip(NEXT) | instid1(VALU_DEP_1)
	v_ldexp_f64 v[2:3], v[0:1], 0xffffffe0
	v_floor_f64_e32 v[2:3], v[2:3]
	s_delay_alu instid0(VALU_DEP_1) | instskip(NEXT) | instid1(VALU_DEP_1)
	v_fma_f64 v[0:1], 0xc1f00000, v[2:3], v[0:1]
	v_cvt_u32_f64_e32 v0, v[0:1]
	global_store_b8 v[4:5], v0, off
.LBB56_2052:
	s_mov_b32 s2, -1
.LBB56_2053:
	s_delay_alu instid0(SALU_CYCLE_1)
	s_and_not1_b32 vcc_lo, exec_lo, s2
	s_cbranch_vccnz .LBB56_2130
; %bb.2054:
	v_dual_mov_b32 v0, v56 :: v_dual_mov_b32 v1, v57
	v_dual_mov_b32 v2, v58 :: v_dual_mov_b32 v3, v59
	s_getpc_b64 s[0:1]
	s_add_u32 s0, s0, _ZZZZN2at6native15exp_kernel_cudaERNS_18TensorIteratorBaseEENKUlvE_clEvENKUlvE_clEvENKUlN3c107complexIdEEE_clES7_@rel32@lo+4
	s_addc_u32 s1, s1, _ZZZZN2at6native15exp_kernel_cudaERNS_18TensorIteratorBaseEENKUlvE_clEvENKUlvE_clEvENKUlN3c107complexIdEEE_clES7_@rel32@hi+12
	s_delay_alu instid0(SALU_CYCLE_1) | instskip(SKIP_2) | instid1(VALU_DEP_1)
	s_swappc_b64 s[30:31], s[0:1]
	v_cmp_gt_i16_e32 vcc_lo, 11, v63
	v_add_co_u32 v4, s0, s16, v60
	v_add_co_ci_u32_e64 v5, null, s17, 0, s0
	s_mov_b32 s1, 0
	s_mov_b32 s0, -1
	s_cbranch_vccnz .LBB56_2131
; %bb.2055:
	v_cmp_lt_i16_e32 vcc_lo, 25, v63
	s_mov_b32 s2, -1
	s_mov_b32 s0, 0
	s_cbranch_vccz .LBB56_2088
; %bb.2056:
	v_cmp_lt_i16_e32 vcc_lo, 28, v63
	s_cbranch_vccz .LBB56_2072
; %bb.2057:
	v_cmp_lt_i16_e32 vcc_lo, 43, v63
	;; [unrolled: 3-line block ×3, first 2 shown]
	s_cbranch_vccz .LBB56_2062
; %bb.2059:
	v_cmp_eq_u16_e32 vcc_lo, 46, v63
	s_mov_b32 s0, -1
	s_cbranch_vccz .LBB56_2061
; %bb.2060:
	v_cvt_f32_f64_e32 v6, v[2:3]
	v_cvt_f32_f64_e32 v7, v[0:1]
	s_mov_b32 s0, 0
	s_delay_alu instid0(VALU_DEP_2) | instskip(NEXT) | instid1(VALU_DEP_2)
	v_bfe_u32 v8, v6, 16, 1
	v_bfe_u32 v9, v7, 16, 1
	v_cmp_o_f32_e32 vcc_lo, v6, v6
	s_delay_alu instid0(VALU_DEP_3) | instskip(NEXT) | instid1(VALU_DEP_3)
	v_add3_u32 v8, v6, v8, 0x7fff
	v_add3_u32 v9, v7, v9, 0x7fff
	s_delay_alu instid0(VALU_DEP_2) | instskip(NEXT) | instid1(VALU_DEP_2)
	v_and_b32_e32 v8, 0xffff0000, v8
	v_lshrrev_b32_e32 v9, 16, v9
	s_delay_alu instid0(VALU_DEP_2) | instskip(SKIP_1) | instid1(VALU_DEP_3)
	v_cndmask_b32_e32 v6, 0x7fc00000, v8, vcc_lo
	v_cmp_o_f32_e32 vcc_lo, v7, v7
	v_cndmask_b32_e32 v7, 0x7fc0, v9, vcc_lo
	s_delay_alu instid0(VALU_DEP_1)
	v_or_b32_e32 v6, v6, v7
	global_store_b32 v[4:5], v6, off
.LBB56_2061:
	s_mov_b32 s2, 0
.LBB56_2062:
	s_delay_alu instid0(SALU_CYCLE_1)
	s_and_b32 vcc_lo, exec_lo, s2
	s_cbranch_vccz .LBB56_2067
; %bb.2063:
	v_cmp_eq_u16_e32 vcc_lo, 44, v63
	s_mov_b32 s0, -1
	s_cbranch_vccz .LBB56_2067
; %bb.2064:
	v_cvt_f32_f64_e32 v6, v[0:1]
	v_mov_b32_e32 v7, 0xff
	s_mov_b32 s2, exec_lo
	s_delay_alu instid0(VALU_DEP_2) | instskip(NEXT) | instid1(VALU_DEP_1)
	v_bfe_u32 v8, v6, 23, 8
	v_cmpx_ne_u32_e32 0xff, v8
; %bb.2065:
	v_and_b32_e32 v7, 0x400000, v6
	v_and_or_b32 v8, 0x3fffff, v6, v8
	v_lshrrev_b32_e32 v6, 23, v6
	s_delay_alu instid0(VALU_DEP_3) | instskip(NEXT) | instid1(VALU_DEP_3)
	v_cmp_ne_u32_e32 vcc_lo, 0, v7
	v_cmp_ne_u32_e64 s0, 0, v8
	s_delay_alu instid0(VALU_DEP_1) | instskip(NEXT) | instid1(SALU_CYCLE_1)
	s_and_b32 s0, vcc_lo, s0
	v_cndmask_b32_e64 v7, 0, 1, s0
	s_delay_alu instid0(VALU_DEP_1)
	v_add_nc_u32_e32 v7, v6, v7
; %bb.2066:
	s_or_b32 exec_lo, exec_lo, s2
	s_mov_b32 s0, 0
	global_store_b8 v[4:5], v7, off
.LBB56_2067:
	s_mov_b32 s2, 0
.LBB56_2068:
	s_delay_alu instid0(SALU_CYCLE_1)
	s_and_b32 vcc_lo, exec_lo, s2
	s_cbranch_vccz .LBB56_2071
; %bb.2069:
	v_cmp_eq_u16_e32 vcc_lo, 29, v63
	s_mov_b32 s0, -1
	s_cbranch_vccz .LBB56_2071
; %bb.2070:
	v_trunc_f64_e32 v[6:7], v[0:1]
	s_mov_b32 s0, 0
	s_delay_alu instid0(VALU_DEP_1) | instskip(NEXT) | instid1(VALU_DEP_1)
	v_ldexp_f64 v[8:9], v[6:7], 0xffffffe0
	v_floor_f64_e32 v[8:9], v[8:9]
	s_delay_alu instid0(VALU_DEP_1) | instskip(SKIP_1) | instid1(VALU_DEP_2)
	v_fma_f64 v[6:7], 0xc1f00000, v[8:9], v[6:7]
	v_cvt_u32_f64_e32 v8, v[8:9]
	v_cvt_u32_f64_e32 v7, v[6:7]
	global_store_b64 v[4:5], v[7:8], off
.LBB56_2071:
	s_mov_b32 s2, 0
.LBB56_2072:
	s_delay_alu instid0(SALU_CYCLE_1)
	s_and_b32 vcc_lo, exec_lo, s2
	s_cbranch_vccz .LBB56_2087
; %bb.2073:
	v_cmp_gt_i16_e32 vcc_lo, 27, v63
	s_mov_b32 s2, -1
	s_cbranch_vccnz .LBB56_2079
; %bb.2074:
	v_cvt_u32_f64_e32 v6, v[0:1]
	v_cmp_lt_i16_e32 vcc_lo, 27, v63
	s_cbranch_vccz .LBB56_2076
; %bb.2075:
	s_mov_b32 s2, 0
	global_store_b32 v[4:5], v6, off
.LBB56_2076:
	s_and_not1_b32 vcc_lo, exec_lo, s2
	s_cbranch_vccnz .LBB56_2078
; %bb.2077:
	global_store_b16 v[4:5], v6, off
.LBB56_2078:
	s_mov_b32 s2, 0
.LBB56_2079:
	s_delay_alu instid0(SALU_CYCLE_1)
	s_and_not1_b32 vcc_lo, exec_lo, s2
	s_cbranch_vccnz .LBB56_2087
; %bb.2080:
	v_cvt_f32_f64_e32 v6, v[0:1]
	v_mov_b32_e32 v8, 0x80
	s_mov_b32 s2, exec_lo
	s_delay_alu instid0(VALU_DEP_2) | instskip(NEXT) | instid1(VALU_DEP_1)
	v_and_b32_e32 v7, 0x7fffffff, v6
	v_cmpx_gt_u32_e32 0x43800000, v7
	s_cbranch_execz .LBB56_2086
; %bb.2081:
	v_cmp_lt_u32_e32 vcc_lo, 0x3bffffff, v7
	s_mov_b32 s3, 0
                                        ; implicit-def: $vgpr7
	s_and_saveexec_b32 s4, vcc_lo
	s_delay_alu instid0(SALU_CYCLE_1)
	s_xor_b32 s4, exec_lo, s4
	s_cbranch_execz .LBB56_2201
; %bb.2082:
	v_bfe_u32 v7, v6, 20, 1
	s_mov_b32 s3, exec_lo
	s_delay_alu instid0(VALU_DEP_1) | instskip(NEXT) | instid1(VALU_DEP_1)
	v_add3_u32 v7, v6, v7, 0x487ffff
	v_lshrrev_b32_e32 v7, 20, v7
	s_or_saveexec_b32 s4, s4
                                        ; implicit-def: $sgpr5
	s_delay_alu instid0(SALU_CYCLE_1)
	s_xor_b32 exec_lo, exec_lo, s4
	s_cbranch_execnz .LBB56_2202
.LBB56_2083:
	s_or_b32 exec_lo, exec_lo, s4
	v_mov_b32_e32 v8, s5
	s_and_saveexec_b32 s4, s3
.LBB56_2084:
	v_lshrrev_b32_e32 v6, 24, v6
	s_delay_alu instid0(VALU_DEP_1)
	v_and_or_b32 v8, 0x80, v6, v7
.LBB56_2085:
	s_or_b32 exec_lo, exec_lo, s4
.LBB56_2086:
	s_delay_alu instid0(SALU_CYCLE_1)
	s_or_b32 exec_lo, exec_lo, s2
	global_store_b8 v[4:5], v8, off
.LBB56_2087:
	s_mov_b32 s2, 0
.LBB56_2088:
	s_delay_alu instid0(SALU_CYCLE_1)
	s_and_b32 vcc_lo, exec_lo, s2
	s_cbranch_vccz .LBB56_2128
; %bb.2089:
	v_cmp_lt_i16_e32 vcc_lo, 22, v63
	s_mov_b32 s1, -1
	s_cbranch_vccz .LBB56_2121
; %bb.2090:
	v_cmp_gt_i16_e32 vcc_lo, 24, v63
	s_cbranch_vccnz .LBB56_2110
; %bb.2091:
	v_cmp_lt_i16_e32 vcc_lo, 24, v63
	s_cbranch_vccz .LBB56_2099
; %bb.2092:
	v_cvt_f32_f64_e32 v6, v[0:1]
	v_mov_b32_e32 v8, 0x80
	s_mov_b32 s1, exec_lo
	s_delay_alu instid0(VALU_DEP_2) | instskip(NEXT) | instid1(VALU_DEP_1)
	v_and_b32_e32 v7, 0x7fffffff, v6
	v_cmpx_gt_u32_e32 0x47800000, v7
	s_cbranch_execz .LBB56_2098
; %bb.2093:
	v_cmp_lt_u32_e32 vcc_lo, 0x37ffffff, v7
	s_mov_b32 s2, 0
                                        ; implicit-def: $vgpr7
	s_and_saveexec_b32 s3, vcc_lo
	s_delay_alu instid0(SALU_CYCLE_1)
	s_xor_b32 s3, exec_lo, s3
	s_cbranch_execz .LBB56_2207
; %bb.2094:
	v_bfe_u32 v7, v6, 21, 1
	s_mov_b32 s2, exec_lo
	s_delay_alu instid0(VALU_DEP_1) | instskip(NEXT) | instid1(VALU_DEP_1)
	v_add3_u32 v7, v6, v7, 0x88fffff
	v_lshrrev_b32_e32 v7, 21, v7
	s_or_saveexec_b32 s3, s3
                                        ; implicit-def: $sgpr4
	s_delay_alu instid0(SALU_CYCLE_1)
	s_xor_b32 exec_lo, exec_lo, s3
	s_cbranch_execnz .LBB56_2208
.LBB56_2095:
	s_or_b32 exec_lo, exec_lo, s3
	v_mov_b32_e32 v8, s4
	s_and_saveexec_b32 s3, s2
.LBB56_2096:
	v_lshrrev_b32_e32 v6, 24, v6
	s_delay_alu instid0(VALU_DEP_1)
	v_and_or_b32 v8, 0x80, v6, v7
.LBB56_2097:
	s_or_b32 exec_lo, exec_lo, s3
.LBB56_2098:
	s_delay_alu instid0(SALU_CYCLE_1)
	s_or_b32 exec_lo, exec_lo, s1
	s_mov_b32 s1, 0
	global_store_b8 v[4:5], v8, off
.LBB56_2099:
	s_and_b32 vcc_lo, exec_lo, s1
	s_cbranch_vccz .LBB56_2109
; %bb.2100:
	v_cvt_f32_f64_e32 v6, v[0:1]
	s_mov_b32 s1, exec_lo
                                        ; implicit-def: $vgpr7
	s_delay_alu instid0(VALU_DEP_1) | instskip(NEXT) | instid1(VALU_DEP_1)
	v_and_b32_e32 v8, 0x7fffffff, v6
	v_cmpx_gt_u32_e32 0x43f00000, v8
	s_xor_b32 s1, exec_lo, s1
	s_cbranch_execz .LBB56_2106
; %bb.2101:
	s_mov_b32 s2, exec_lo
                                        ; implicit-def: $vgpr7
	v_cmpx_lt_u32_e32 0x3c7fffff, v8
	s_xor_b32 s2, exec_lo, s2
; %bb.2102:
	v_bfe_u32 v7, v6, 20, 1
	s_delay_alu instid0(VALU_DEP_1) | instskip(NEXT) | instid1(VALU_DEP_1)
	v_add3_u32 v7, v6, v7, 0x407ffff
	v_and_b32_e32 v8, 0xff00000, v7
	v_lshrrev_b32_e32 v7, 20, v7
	s_delay_alu instid0(VALU_DEP_2) | instskip(NEXT) | instid1(VALU_DEP_2)
	v_cmp_ne_u32_e32 vcc_lo, 0x7f00000, v8
	v_cndmask_b32_e32 v7, 0x7e, v7, vcc_lo
; %bb.2103:
	s_and_not1_saveexec_b32 s2, s2
; %bb.2104:
	v_add_f32_e64 v7, 0x46800000, |v6|
; %bb.2105:
	s_or_b32 exec_lo, exec_lo, s2
                                        ; implicit-def: $vgpr8
.LBB56_2106:
	s_and_not1_saveexec_b32 s1, s1
; %bb.2107:
	v_mov_b32_e32 v7, 0x7f
	v_cmp_lt_u32_e32 vcc_lo, 0x7f800000, v8
	s_delay_alu instid0(VALU_DEP_2)
	v_cndmask_b32_e32 v7, 0x7e, v7, vcc_lo
; %bb.2108:
	s_or_b32 exec_lo, exec_lo, s1
	v_lshrrev_b32_e32 v6, 24, v6
	s_delay_alu instid0(VALU_DEP_1)
	v_and_or_b32 v6, 0x80, v6, v7
	global_store_b8 v[4:5], v6, off
.LBB56_2109:
	s_mov_b32 s1, 0
.LBB56_2110:
	s_delay_alu instid0(SALU_CYCLE_1)
	s_and_not1_b32 vcc_lo, exec_lo, s1
	s_cbranch_vccnz .LBB56_2120
; %bb.2111:
	v_cvt_f32_f64_e32 v6, v[0:1]
	s_mov_b32 s1, exec_lo
                                        ; implicit-def: $vgpr7
	s_delay_alu instid0(VALU_DEP_1) | instskip(NEXT) | instid1(VALU_DEP_1)
	v_and_b32_e32 v8, 0x7fffffff, v6
	v_cmpx_gt_u32_e32 0x47800000, v8
	s_xor_b32 s1, exec_lo, s1
	s_cbranch_execz .LBB56_2117
; %bb.2112:
	s_mov_b32 s2, exec_lo
                                        ; implicit-def: $vgpr7
	v_cmpx_lt_u32_e32 0x387fffff, v8
	s_xor_b32 s2, exec_lo, s2
; %bb.2113:
	v_bfe_u32 v7, v6, 21, 1
	s_delay_alu instid0(VALU_DEP_1) | instskip(NEXT) | instid1(VALU_DEP_1)
	v_add3_u32 v7, v6, v7, 0x80fffff
	v_lshrrev_b32_e32 v7, 21, v7
; %bb.2114:
	s_and_not1_saveexec_b32 s2, s2
; %bb.2115:
	v_add_f32_e64 v7, 0x43000000, |v6|
; %bb.2116:
	s_or_b32 exec_lo, exec_lo, s2
                                        ; implicit-def: $vgpr8
.LBB56_2117:
	s_and_not1_saveexec_b32 s1, s1
; %bb.2118:
	v_mov_b32_e32 v7, 0x7f
	v_cmp_lt_u32_e32 vcc_lo, 0x7f800000, v8
	s_delay_alu instid0(VALU_DEP_2)
	v_cndmask_b32_e32 v7, 0x7c, v7, vcc_lo
; %bb.2119:
	s_or_b32 exec_lo, exec_lo, s1
	v_lshrrev_b32_e32 v6, 24, v6
	s_delay_alu instid0(VALU_DEP_1)
	v_and_or_b32 v6, 0x80, v6, v7
	global_store_b8 v[4:5], v6, off
.LBB56_2120:
	s_mov_b32 s1, 0
.LBB56_2121:
	s_delay_alu instid0(SALU_CYCLE_1)
	s_and_not1_b32 vcc_lo, exec_lo, s1
	s_mov_b32 s1, 0
	s_cbranch_vccnz .LBB56_2128
; %bb.2122:
	v_cmp_lt_i16_e32 vcc_lo, 14, v63
	s_mov_b32 s1, -1
	s_cbranch_vccz .LBB56_2126
; %bb.2123:
	v_cmp_eq_u16_e32 vcc_lo, 15, v63
	s_mov_b32 s0, -1
	s_cbranch_vccz .LBB56_2125
; %bb.2124:
	v_cvt_f32_f64_e32 v6, v[0:1]
	s_mov_b32 s0, 0
	s_delay_alu instid0(VALU_DEP_1) | instskip(SKIP_1) | instid1(VALU_DEP_2)
	v_bfe_u32 v7, v6, 16, 1
	v_cmp_o_f32_e32 vcc_lo, v6, v6
	v_add3_u32 v7, v6, v7, 0x7fff
	s_delay_alu instid0(VALU_DEP_1) | instskip(NEXT) | instid1(VALU_DEP_1)
	v_lshrrev_b32_e32 v7, 16, v7
	v_cndmask_b32_e32 v6, 0x7fc0, v7, vcc_lo
	global_store_b16 v[4:5], v6, off
.LBB56_2125:
	s_mov_b32 s1, 0
.LBB56_2126:
	s_delay_alu instid0(SALU_CYCLE_1)
	s_and_b32 vcc_lo, exec_lo, s1
	s_mov_b32 s1, 0
	s_cbranch_vccz .LBB56_2128
; %bb.2127:
	v_cmp_ne_u16_e64 s0, 11, v63
	s_mov_b32 s1, -1
.LBB56_2128:
	s_delay_alu instid0(VALU_DEP_1)
	s_and_b32 vcc_lo, exec_lo, s0
	s_cbranch_vccnz .LBB56_2205
.LBB56_2129:
	s_mov_b32 s0, 0
	s_branch .LBB56_2131
.LBB56_2130:
	s_mov_b32 s0, 0
	s_mov_b32 s1, 0
                                        ; implicit-def: $vgpr4_vgpr5
                                        ; implicit-def: $vgpr63
                                        ; implicit-def: $vgpr2_vgpr3
.LBB56_2131:
	s_and_b32 s2, s0, exec_lo
	s_and_not1_b32 s0, s20, exec_lo
	s_and_b32 s3, s14, exec_lo
	s_and_b32 s35, s1, exec_lo
	s_or_b32 s20, s0, s3
.LBB56_2132:
	s_or_b32 exec_lo, exec_lo, s21
	s_and_saveexec_b32 s0, s20
	s_cbranch_execz .LBB56_2135
; %bb.2133:
	; divergent unreachable
	s_or_b32 exec_lo, exec_lo, s0
	s_and_saveexec_b32 s0, s35
	s_delay_alu instid0(SALU_CYCLE_1)
	s_xor_b32 s1, exec_lo, s0
	s_cbranch_execnz .LBB56_2136
.LBB56_2134:
	s_or_b32 exec_lo, exec_lo, s1
	s_and_saveexec_b32 s0, s2
	s_cbranch_execnz .LBB56_2137
	s_branch .LBB56_2174
.LBB56_2135:
	s_or_b32 exec_lo, exec_lo, s0
	s_and_saveexec_b32 s0, s35
	s_delay_alu instid0(SALU_CYCLE_1)
	s_xor_b32 s1, exec_lo, s0
	s_cbranch_execz .LBB56_2134
.LBB56_2136:
	s_waitcnt vmcnt(0)
	s_delay_alu instid0(VALU_DEP_1) | instskip(NEXT) | instid1(VALU_DEP_2)
	v_cmp_neq_f64_e32 vcc_lo, 0, v[0:1]
	v_cmp_neq_f64_e64 s0, 0, v[2:3]
	s_delay_alu instid0(VALU_DEP_1) | instskip(NEXT) | instid1(SALU_CYCLE_1)
	s_or_b32 s0, vcc_lo, s0
	v_cndmask_b32_e64 v6, 0, 1, s0
	global_store_b8 v[4:5], v6, off
	s_or_b32 exec_lo, exec_lo, s1
	s_and_saveexec_b32 s0, s2
	s_cbranch_execz .LBB56_2174
.LBB56_2137:
	v_cmp_gt_i16_e32 vcc_lo, 5, v63
	s_mov_b32 s0, -1
	s_cbranch_vccnz .LBB56_2158
; %bb.2138:
	v_cmp_gt_i16_e32 vcc_lo, 8, v63
	s_cbranch_vccnz .LBB56_2148
; %bb.2139:
	v_cmp_gt_i16_e32 vcc_lo, 9, v63
	s_cbranch_vccnz .LBB56_2145
; %bb.2140:
	v_cmp_lt_i16_e32 vcc_lo, 9, v63
	s_cbranch_vccz .LBB56_2142
; %bb.2141:
	s_mov_b32 s0, 0
	s_waitcnt vmcnt(0)
	global_store_b128 v[4:5], v[0:3], off
.LBB56_2142:
	s_and_not1_b32 vcc_lo, exec_lo, s0
	s_cbranch_vccnz .LBB56_2144
; %bb.2143:
	s_waitcnt vmcnt(0)
	v_cvt_f32_f64_e32 v6, v[0:1]
	v_cvt_f32_f64_e32 v7, v[2:3]
	global_store_b64 v[4:5], v[6:7], off
.LBB56_2144:
	s_mov_b32 s0, 0
.LBB56_2145:
	s_delay_alu instid0(SALU_CYCLE_1)
	s_and_not1_b32 vcc_lo, exec_lo, s0
	s_cbranch_vccnz .LBB56_2147
; %bb.2146:
	s_waitcnt vmcnt(0)
	v_cvt_f32_f64_e32 v2, v[2:3]
	v_cvt_f32_f64_e32 v3, v[0:1]
	s_delay_alu instid0(VALU_DEP_2) | instskip(NEXT) | instid1(VALU_DEP_2)
	v_cvt_f16_f32_e32 v2, v2
	v_cvt_f16_f32_e32 v3, v3
	s_delay_alu instid0(VALU_DEP_2) | instskip(NEXT) | instid1(VALU_DEP_2)
	v_lshlrev_b32_e32 v2, 16, v2
	v_and_b32_e32 v3, 0xffff, v3
	s_delay_alu instid0(VALU_DEP_1)
	v_or_b32_e32 v2, v2, v3
	global_store_b32 v[4:5], v2, off
.LBB56_2147:
	s_mov_b32 s0, 0
.LBB56_2148:
	s_delay_alu instid0(SALU_CYCLE_1)
	s_and_not1_b32 vcc_lo, exec_lo, s0
	s_cbranch_vccnz .LBB56_2157
; %bb.2149:
	v_cmp_gt_i16_e32 vcc_lo, 6, v63
	s_mov_b32 s0, -1
	s_cbranch_vccnz .LBB56_2155
; %bb.2150:
	v_cmp_lt_i16_e32 vcc_lo, 6, v63
	s_cbranch_vccz .LBB56_2152
; %bb.2151:
	s_mov_b32 s0, 0
	s_waitcnt vmcnt(0)
	global_store_b64 v[4:5], v[0:1], off
.LBB56_2152:
	s_and_not1_b32 vcc_lo, exec_lo, s0
	s_cbranch_vccnz .LBB56_2154
; %bb.2153:
	s_waitcnt vmcnt(0)
	v_cvt_f32_f64_e32 v2, v[0:1]
	global_store_b32 v[4:5], v2, off
.LBB56_2154:
	s_mov_b32 s0, 0
.LBB56_2155:
	s_delay_alu instid0(SALU_CYCLE_1)
	s_and_not1_b32 vcc_lo, exec_lo, s0
	s_cbranch_vccnz .LBB56_2157
; %bb.2156:
	s_waitcnt vmcnt(0)
	v_cvt_f32_f64_e32 v2, v[0:1]
	s_delay_alu instid0(VALU_DEP_1)
	v_cvt_f16_f32_e32 v2, v2
	global_store_b16 v[4:5], v2, off
.LBB56_2157:
	s_mov_b32 s0, 0
.LBB56_2158:
	s_delay_alu instid0(SALU_CYCLE_1)
	s_and_not1_b32 vcc_lo, exec_lo, s0
	s_cbranch_vccnz .LBB56_2174
; %bb.2159:
	v_cmp_gt_i16_e32 vcc_lo, 2, v63
	s_mov_b32 s0, -1
	s_cbranch_vccnz .LBB56_2169
; %bb.2160:
	v_cmp_gt_i16_e32 vcc_lo, 3, v63
	s_cbranch_vccnz .LBB56_2166
; %bb.2161:
	v_cmp_lt_i16_e32 vcc_lo, 3, v63
	s_cbranch_vccz .LBB56_2163
; %bb.2162:
	s_waitcnt vmcnt(0)
	v_trunc_f64_e32 v[2:3], v[0:1]
	s_mov_b32 s0, 0
	s_delay_alu instid0(VALU_DEP_1) | instskip(NEXT) | instid1(VALU_DEP_1)
	v_ldexp_f64 v[6:7], v[2:3], 0xffffffe0
	v_floor_f64_e32 v[6:7], v[6:7]
	s_delay_alu instid0(VALU_DEP_1) | instskip(SKIP_1) | instid1(VALU_DEP_2)
	v_fma_f64 v[2:3], 0xc1f00000, v[6:7], v[2:3]
	v_cvt_i32_f64_e32 v7, v[6:7]
	v_cvt_u32_f64_e32 v6, v[2:3]
	global_store_b64 v[4:5], v[6:7], off
.LBB56_2163:
	s_and_not1_b32 vcc_lo, exec_lo, s0
	s_cbranch_vccnz .LBB56_2165
; %bb.2164:
	s_waitcnt vmcnt(0)
	v_cvt_i32_f64_e32 v2, v[0:1]
	global_store_b32 v[4:5], v2, off
.LBB56_2165:
	s_mov_b32 s0, 0
.LBB56_2166:
	s_delay_alu instid0(SALU_CYCLE_1)
	s_and_not1_b32 vcc_lo, exec_lo, s0
	s_cbranch_vccnz .LBB56_2168
; %bb.2167:
	s_waitcnt vmcnt(0)
	v_cvt_i32_f64_e32 v2, v[0:1]
	global_store_b16 v[4:5], v2, off
.LBB56_2168:
	s_mov_b32 s0, 0
.LBB56_2169:
	s_delay_alu instid0(SALU_CYCLE_1)
	s_and_not1_b32 vcc_lo, exec_lo, s0
	s_cbranch_vccnz .LBB56_2174
; %bb.2170:
	v_cmp_lt_i16_e32 vcc_lo, 0, v63
	s_mov_b32 s0, -1
	s_cbranch_vccz .LBB56_2172
; %bb.2171:
	s_waitcnt vmcnt(0)
	v_cvt_i32_f64_e32 v2, v[0:1]
	s_mov_b32 s0, 0
	global_store_b8 v[4:5], v2, off
.LBB56_2172:
	s_and_not1_b32 vcc_lo, exec_lo, s0
	s_cbranch_vccnz .LBB56_2174
; %bb.2173:
	s_waitcnt vmcnt(0)
	v_trunc_f64_e32 v[0:1], v[0:1]
	s_delay_alu instid0(VALU_DEP_1) | instskip(NEXT) | instid1(VALU_DEP_1)
	v_ldexp_f64 v[2:3], v[0:1], 0xffffffe0
	v_floor_f64_e32 v[2:3], v[2:3]
	s_delay_alu instid0(VALU_DEP_1) | instskip(NEXT) | instid1(VALU_DEP_1)
	v_fma_f64 v[0:1], 0xc1f00000, v[2:3], v[0:1]
	v_cvt_u32_f64_e32 v0, v[0:1]
	global_store_b8 v[4:5], v0, off
	s_endpgm
.LBB56_2174:
	s_endpgm
.LBB56_2175:
	s_cbranch_execnz .LBB56_2179
; %bb.2176:
	s_or_b32 s14, s14, exec_lo
                                        ; implicit-def: $vgpr58_vgpr59
	s_cbranch_execz .LBB56_1646
	s_branch .LBB56_1647
.LBB56_2177:
	s_or_saveexec_b32 s4, s4
                                        ; implicit-def: $sgpr5
	s_delay_alu instid0(SALU_CYCLE_1)
	s_xor_b32 exec_lo, exec_lo, s4
	s_cbranch_execz .LBB56_1728
.LBB56_2178:
	v_add_f32_e64 v7, 0x46000000, |v6|
	s_and_not1_b32 s3, s3, exec_lo
	s_mov_b32 s5, 0
	s_delay_alu instid0(VALU_DEP_1) | instskip(NEXT) | instid1(VALU_DEP_1)
	v_and_b32_e32 v7, 0xff, v7
	v_cmp_ne_u32_e32 vcc_lo, 0, v7
	s_and_b32 s6, vcc_lo, exec_lo
	s_delay_alu instid0(SALU_CYCLE_1)
	s_or_b32 s3, s3, s6
	s_or_b32 exec_lo, exec_lo, s4
	v_mov_b32_e32 v8, s5
	s_and_saveexec_b32 s4, s3
	s_cbranch_execnz .LBB56_1729
	s_branch .LBB56_1730
.LBB56_2179:
	s_trap 2
	s_sendmsg_rtn_b32 s0, sendmsg(MSG_RTN_GET_DOORBELL)
	s_mov_b32 ttmp2, m0
	s_waitcnt lgkmcnt(0)
	s_and_b32 s0, s0, 0x3ff
	s_delay_alu instid0(SALU_CYCLE_1) | instskip(NEXT) | instid1(SALU_CYCLE_1)
	s_bitset1_b32 s0, 10
	s_mov_b32 m0, s0
	s_sendmsg sendmsg(MSG_INTERRUPT)
	s_mov_b32 m0, ttmp2
.LBB56_2180:                            ; =>This Inner Loop Header: Depth=1
	s_sethalt 5
	s_branch .LBB56_2180
.LBB56_2181:
	s_cbranch_execnz .LBB56_2187
; %bb.2182:
	s_or_b32 s14, s14, exec_lo
	s_cbranch_execz .LBB56_1776
	s_branch .LBB56_1777
.LBB56_2183:
	s_or_saveexec_b32 s3, s3
                                        ; implicit-def: $sgpr4
	s_delay_alu instid0(SALU_CYCLE_1)
	s_xor_b32 exec_lo, exec_lo, s3
	s_cbranch_execz .LBB56_1741
.LBB56_2184:
	v_add_f32_e64 v7, 0x42800000, |v6|
	s_and_not1_b32 s2, s2, exec_lo
	s_mov_b32 s4, 0
	s_delay_alu instid0(VALU_DEP_1) | instskip(NEXT) | instid1(VALU_DEP_1)
	v_and_b32_e32 v7, 0xff, v7
	v_cmp_ne_u32_e32 vcc_lo, 0, v7
	s_and_b32 s5, vcc_lo, exec_lo
	s_delay_alu instid0(SALU_CYCLE_1)
	s_or_b32 s2, s2, s5
	s_or_b32 exec_lo, exec_lo, s3
	v_mov_b32_e32 v8, s4
	s_and_saveexec_b32 s3, s2
	s_cbranch_execnz .LBB56_1742
	s_branch .LBB56_1743
.LBB56_2185:
	s_or_saveexec_b32 s4, s4
                                        ; implicit-def: $sgpr5
	s_delay_alu instid0(SALU_CYCLE_1)
	s_xor_b32 exec_lo, exec_lo, s4
	s_cbranch_execz .LBB56_1846
.LBB56_2186:
	v_add_f32_e64 v7, 0x46000000, |v6|
	s_and_not1_b32 s3, s3, exec_lo
	s_mov_b32 s5, 0
	s_delay_alu instid0(VALU_DEP_1) | instskip(NEXT) | instid1(VALU_DEP_1)
	v_and_b32_e32 v7, 0xff, v7
	v_cmp_ne_u32_e32 vcc_lo, 0, v7
	s_and_b32 s6, vcc_lo, exec_lo
	s_delay_alu instid0(SALU_CYCLE_1)
	s_or_b32 s3, s3, s6
	s_or_b32 exec_lo, exec_lo, s4
	v_mov_b32_e32 v8, s5
	s_and_saveexec_b32 s4, s3
	s_cbranch_execnz .LBB56_1847
	s_branch .LBB56_1848
.LBB56_2187:
	s_trap 2
	s_sendmsg_rtn_b32 s0, sendmsg(MSG_RTN_GET_DOORBELL)
	s_mov_b32 ttmp2, m0
	s_waitcnt lgkmcnt(0)
	s_and_b32 s0, s0, 0x3ff
	s_delay_alu instid0(SALU_CYCLE_1) | instskip(NEXT) | instid1(SALU_CYCLE_1)
	s_bitset1_b32 s0, 10
	s_mov_b32 m0, s0
	s_sendmsg sendmsg(MSG_INTERRUPT)
	s_mov_b32 m0, ttmp2
.LBB56_2188:                            ; =>This Inner Loop Header: Depth=1
	s_sethalt 5
	s_branch .LBB56_2188
.LBB56_2189:
	s_cbranch_execnz .LBB56_2195
; %bb.2190:
	s_or_b32 s14, s14, exec_lo
	s_cbranch_execz .LBB56_1894
	s_branch .LBB56_1895
.LBB56_2191:
	s_or_saveexec_b32 s3, s3
                                        ; implicit-def: $sgpr4
	s_delay_alu instid0(SALU_CYCLE_1)
	s_xor_b32 exec_lo, exec_lo, s3
	s_cbranch_execz .LBB56_1859
.LBB56_2192:
	v_add_f32_e64 v7, 0x42800000, |v6|
	s_and_not1_b32 s2, s2, exec_lo
	s_mov_b32 s4, 0
	s_delay_alu instid0(VALU_DEP_1) | instskip(NEXT) | instid1(VALU_DEP_1)
	v_and_b32_e32 v7, 0xff, v7
	v_cmp_ne_u32_e32 vcc_lo, 0, v7
	s_and_b32 s5, vcc_lo, exec_lo
	s_delay_alu instid0(SALU_CYCLE_1)
	s_or_b32 s2, s2, s5
	s_or_b32 exec_lo, exec_lo, s3
	v_mov_b32_e32 v8, s4
	s_and_saveexec_b32 s3, s2
	s_cbranch_execnz .LBB56_1860
	s_branch .LBB56_1861
.LBB56_2193:
	s_or_saveexec_b32 s4, s4
                                        ; implicit-def: $sgpr5
	s_delay_alu instid0(SALU_CYCLE_1)
	s_xor_b32 exec_lo, exec_lo, s4
	s_cbranch_execz .LBB56_1964
.LBB56_2194:
	v_add_f32_e64 v7, 0x46000000, |v6|
	s_and_not1_b32 s3, s3, exec_lo
	s_mov_b32 s5, 0
	s_delay_alu instid0(VALU_DEP_1) | instskip(NEXT) | instid1(VALU_DEP_1)
	v_and_b32_e32 v7, 0xff, v7
	v_cmp_ne_u32_e32 vcc_lo, 0, v7
	s_and_b32 s6, vcc_lo, exec_lo
	s_delay_alu instid0(SALU_CYCLE_1)
	s_or_b32 s3, s3, s6
	s_or_b32 exec_lo, exec_lo, s4
	v_mov_b32_e32 v8, s5
	s_and_saveexec_b32 s4, s3
	s_cbranch_execnz .LBB56_1965
	s_branch .LBB56_1966
.LBB56_2195:
	s_trap 2
	s_sendmsg_rtn_b32 s0, sendmsg(MSG_RTN_GET_DOORBELL)
	s_mov_b32 ttmp2, m0
	s_waitcnt lgkmcnt(0)
	s_and_b32 s0, s0, 0x3ff
	s_delay_alu instid0(SALU_CYCLE_1) | instskip(NEXT) | instid1(SALU_CYCLE_1)
	s_bitset1_b32 s0, 10
	s_mov_b32 m0, s0
	s_sendmsg sendmsg(MSG_INTERRUPT)
	s_mov_b32 m0, ttmp2
.LBB56_2196:                            ; =>This Inner Loop Header: Depth=1
	s_sethalt 5
	s_branch .LBB56_2196
.LBB56_2197:
	s_cbranch_execnz .LBB56_2203
; %bb.2198:
	s_or_b32 s14, s14, exec_lo
	s_cbranch_execz .LBB56_2012
	s_branch .LBB56_2013
.LBB56_2199:
	s_or_saveexec_b32 s3, s3
                                        ; implicit-def: $sgpr4
	s_delay_alu instid0(SALU_CYCLE_1)
	s_xor_b32 exec_lo, exec_lo, s3
	s_cbranch_execz .LBB56_1977
.LBB56_2200:
	v_add_f32_e64 v7, 0x42800000, |v6|
	s_and_not1_b32 s2, s2, exec_lo
	s_mov_b32 s4, 0
	s_delay_alu instid0(VALU_DEP_1) | instskip(NEXT) | instid1(VALU_DEP_1)
	v_and_b32_e32 v7, 0xff, v7
	v_cmp_ne_u32_e32 vcc_lo, 0, v7
	s_and_b32 s5, vcc_lo, exec_lo
	s_delay_alu instid0(SALU_CYCLE_1)
	s_or_b32 s2, s2, s5
	s_or_b32 exec_lo, exec_lo, s3
	v_mov_b32_e32 v8, s4
	s_and_saveexec_b32 s3, s2
	s_cbranch_execnz .LBB56_1978
	s_branch .LBB56_1979
.LBB56_2201:
	s_or_saveexec_b32 s4, s4
                                        ; implicit-def: $sgpr5
	s_delay_alu instid0(SALU_CYCLE_1)
	s_xor_b32 exec_lo, exec_lo, s4
	s_cbranch_execz .LBB56_2083
.LBB56_2202:
	v_add_f32_e64 v7, 0x46000000, |v6|
	s_and_not1_b32 s3, s3, exec_lo
	s_mov_b32 s5, 0
	s_delay_alu instid0(VALU_DEP_1) | instskip(NEXT) | instid1(VALU_DEP_1)
	v_and_b32_e32 v7, 0xff, v7
	v_cmp_ne_u32_e32 vcc_lo, 0, v7
	s_and_b32 s6, vcc_lo, exec_lo
	s_delay_alu instid0(SALU_CYCLE_1)
	s_or_b32 s3, s3, s6
	s_or_b32 exec_lo, exec_lo, s4
	v_mov_b32_e32 v8, s5
	s_and_saveexec_b32 s4, s3
	s_cbranch_execnz .LBB56_2084
	s_branch .LBB56_2085
.LBB56_2203:
	s_trap 2
	s_sendmsg_rtn_b32 s0, sendmsg(MSG_RTN_GET_DOORBELL)
	s_mov_b32 ttmp2, m0
	s_waitcnt lgkmcnt(0)
	s_and_b32 s0, s0, 0x3ff
	s_delay_alu instid0(SALU_CYCLE_1) | instskip(NEXT) | instid1(SALU_CYCLE_1)
	s_bitset1_b32 s0, 10
	s_mov_b32 m0, s0
	s_sendmsg sendmsg(MSG_INTERRUPT)
	s_mov_b32 m0, ttmp2
.LBB56_2204:                            ; =>This Inner Loop Header: Depth=1
	s_sethalt 5
	s_branch .LBB56_2204
.LBB56_2205:
	s_cbranch_execnz .LBB56_2209
; %bb.2206:
	s_mov_b32 s1, 0
	s_or_b32 s14, s14, exec_lo
	s_branch .LBB56_2129
.LBB56_2207:
	s_or_saveexec_b32 s3, s3
                                        ; implicit-def: $sgpr4
	s_delay_alu instid0(SALU_CYCLE_1)
	s_xor_b32 exec_lo, exec_lo, s3
	s_cbranch_execz .LBB56_2095
.LBB56_2208:
	v_add_f32_e64 v7, 0x42800000, |v6|
	s_and_not1_b32 s2, s2, exec_lo
	s_mov_b32 s4, 0
	s_delay_alu instid0(VALU_DEP_1) | instskip(NEXT) | instid1(VALU_DEP_1)
	v_and_b32_e32 v7, 0xff, v7
	v_cmp_ne_u32_e32 vcc_lo, 0, v7
	s_and_b32 s5, vcc_lo, exec_lo
	s_delay_alu instid0(SALU_CYCLE_1)
	s_or_b32 s2, s2, s5
	s_or_b32 exec_lo, exec_lo, s3
	v_mov_b32_e32 v8, s4
	s_and_saveexec_b32 s3, s2
	s_cbranch_execnz .LBB56_2096
	s_branch .LBB56_2097
.LBB56_2209:
	s_trap 2
	s_sendmsg_rtn_b32 s0, sendmsg(MSG_RTN_GET_DOORBELL)
	s_mov_b32 ttmp2, m0
	s_waitcnt lgkmcnt(0)
	s_and_b32 s0, s0, 0x3ff
	s_delay_alu instid0(SALU_CYCLE_1) | instskip(NEXT) | instid1(SALU_CYCLE_1)
	s_bitset1_b32 s0, 10
	s_mov_b32 m0, s0
	s_sendmsg sendmsg(MSG_INTERRUPT)
	s_mov_b32 m0, ttmp2
.LBB56_2210:                            ; =>This Inner Loop Header: Depth=1
	s_sethalt 5
	s_branch .LBB56_2210
	.section	.rodata,"a",@progbits
	.p2align	6, 0x0
	.amdhsa_kernel _ZN2at6native32elementwise_kernel_manual_unrollILi128ELi4EZNS0_15gpu_kernel_implIZZZNS0_15exp_kernel_cudaERNS_18TensorIteratorBaseEENKUlvE_clEvENKUlvE_clEvEUlN3c107complexIdEEE_EEvS4_RKT_EUlibE0_EEviT1_
		.amdhsa_group_segment_fixed_size 0
		.amdhsa_private_segment_fixed_size 0
		.amdhsa_kernarg_size 360
		.amdhsa_user_sgpr_count 15
		.amdhsa_user_sgpr_dispatch_ptr 0
		.amdhsa_user_sgpr_queue_ptr 0
		.amdhsa_user_sgpr_kernarg_segment_ptr 1
		.amdhsa_user_sgpr_dispatch_id 0
		.amdhsa_user_sgpr_private_segment_size 0
		.amdhsa_wavefront_size32 1
		.amdhsa_uses_dynamic_stack 0
		.amdhsa_enable_private_segment 0
		.amdhsa_system_sgpr_workgroup_id_x 1
		.amdhsa_system_sgpr_workgroup_id_y 0
		.amdhsa_system_sgpr_workgroup_id_z 0
		.amdhsa_system_sgpr_workgroup_info 0
		.amdhsa_system_vgpr_workitem_id 0
		.amdhsa_next_free_vgpr 70
		.amdhsa_next_free_sgpr 72
		.amdhsa_reserve_vcc 1
		.amdhsa_float_round_mode_32 0
		.amdhsa_float_round_mode_16_64 0
		.amdhsa_float_denorm_mode_32 3
		.amdhsa_float_denorm_mode_16_64 3
		.amdhsa_dx10_clamp 1
		.amdhsa_ieee_mode 1
		.amdhsa_fp16_overflow 0
		.amdhsa_workgroup_processor_mode 1
		.amdhsa_memory_ordered 1
		.amdhsa_forward_progress 0
		.amdhsa_shared_vgpr_count 0
		.amdhsa_exception_fp_ieee_invalid_op 0
		.amdhsa_exception_fp_denorm_src 0
		.amdhsa_exception_fp_ieee_div_zero 0
		.amdhsa_exception_fp_ieee_overflow 0
		.amdhsa_exception_fp_ieee_underflow 0
		.amdhsa_exception_fp_ieee_inexact 0
		.amdhsa_exception_int_div_zero 0
	.end_amdhsa_kernel
	.section	.text._ZN2at6native32elementwise_kernel_manual_unrollILi128ELi4EZNS0_15gpu_kernel_implIZZZNS0_15exp_kernel_cudaERNS_18TensorIteratorBaseEENKUlvE_clEvENKUlvE_clEvEUlN3c107complexIdEEE_EEvS4_RKT_EUlibE0_EEviT1_,"axG",@progbits,_ZN2at6native32elementwise_kernel_manual_unrollILi128ELi4EZNS0_15gpu_kernel_implIZZZNS0_15exp_kernel_cudaERNS_18TensorIteratorBaseEENKUlvE_clEvENKUlvE_clEvEUlN3c107complexIdEEE_EEvS4_RKT_EUlibE0_EEviT1_,comdat
.Lfunc_end56:
	.size	_ZN2at6native32elementwise_kernel_manual_unrollILi128ELi4EZNS0_15gpu_kernel_implIZZZNS0_15exp_kernel_cudaERNS_18TensorIteratorBaseEENKUlvE_clEvENKUlvE_clEvEUlN3c107complexIdEEE_EEvS4_RKT_EUlibE0_EEviT1_, .Lfunc_end56-_ZN2at6native32elementwise_kernel_manual_unrollILi128ELi4EZNS0_15gpu_kernel_implIZZZNS0_15exp_kernel_cudaERNS_18TensorIteratorBaseEENKUlvE_clEvENKUlvE_clEvEUlN3c107complexIdEEE_EEvS4_RKT_EUlibE0_EEviT1_
                                        ; -- End function
	.section	.AMDGPU.csdata,"",@progbits
; Kernel info:
; codeLenInByte = 43836
; NumSgprs: 74
; NumVgprs: 70
; ScratchSize: 0
; MemoryBound: 1
; FloatMode: 240
; IeeeMode: 1
; LDSByteSize: 0 bytes/workgroup (compile time only)
; SGPRBlocks: 9
; VGPRBlocks: 8
; NumSGPRsForWavesPerEU: 74
; NumVGPRsForWavesPerEU: 70
; Occupancy: 16
; WaveLimiterHint : 1
; COMPUTE_PGM_RSRC2:SCRATCH_EN: 0
; COMPUTE_PGM_RSRC2:USER_SGPR: 15
; COMPUTE_PGM_RSRC2:TRAP_HANDLER: 0
; COMPUTE_PGM_RSRC2:TGID_X_EN: 1
; COMPUTE_PGM_RSRC2:TGID_Y_EN: 0
; COMPUTE_PGM_RSRC2:TGID_Z_EN: 0
; COMPUTE_PGM_RSRC2:TIDIG_COMP_CNT: 0
	.text
	.p2align	2                               ; -- Begin function _ZN16c10_complex_math3expIfEEN3c107complexIT_EERKS4_
	.type	_ZN16c10_complex_math3expIfEEN3c107complexIT_EERKS4_,@function
_ZN16c10_complex_math3expIfEEN3c107complexIT_EERKS4_: ; @_ZN16c10_complex_math3expIfEEN3c107complexIT_EERKS4_
; %bb.0:
	s_waitcnt vmcnt(0) expcnt(0) lgkmcnt(0)
	v_and_b32_e32 v3, 0x7fffffff, v1
                                        ; implicit-def: $vgpr2
	s_mov_b32 s0, exec_lo
	s_delay_alu instid0(VALU_DEP_1)
	v_cmpx_ne_u32_e32 0, v3
	s_xor_b32 s3, exec_lo, s0
	s_cbranch_execz .LBB57_6
; %bb.1:
	v_and_b32_e32 v4, 0x7fffffff, v0
                                        ; implicit-def: $vgpr2
	s_mov_b32 s0, exec_lo
	s_delay_alu instid0(VALU_DEP_1)
	v_cmpx_ne_u32_e32 0, v4
	s_xor_b32 s4, exec_lo, s0
	s_cbranch_execz .LBB57_33
; %bb.2:
                                        ; implicit-def: $vgpr2
	s_mov_b32 s0, exec_lo
	v_cmpx_gt_u32_e32 0x7f800000, v3
	s_xor_b32 s5, exec_lo, s0
	s_cbranch_execz .LBB57_26
; %bb.3:
	v_add_nc_u32_e32 v2, 0xbd4e8de8, v0
	s_delay_alu instid0(VALU_DEP_1) | instskip(SKIP_1) | instid1(SALU_CYCLE_1)
	v_cmp_lt_u32_e32 vcc_lo, 0x8e8e5c, v2
                                        ; implicit-def: $vgpr2
	s_and_saveexec_b32 s0, vcc_lo
	s_xor_b32 s6, exec_lo, s0
	s_cbranch_execz .LBB57_15
; %bb.4:
	v_cmp_ngt_f32_e64 s7, 0x48000000, |v1|
                                        ; implicit-def: $vgpr4
                                        ; implicit-def: $vgpr2
	s_delay_alu instid0(VALU_DEP_1) | instskip(NEXT) | instid1(SALU_CYCLE_1)
	s_and_saveexec_b32 s0, s7
	s_xor_b32 s8, exec_lo, s0
	s_cbranch_execz .LBB57_8
; %bb.5:
	s_mov_b32 s0, 0x7fffff
	v_mov_b32_e32 v6, 0
	v_and_or_b32 v2, v3, s0, 0x800000
	v_lshrrev_b32_e32 v11, 23, v3
	s_delay_alu instid0(VALU_DEP_2) | instskip(NEXT) | instid1(VALU_DEP_2)
	v_mad_u64_u32 v[4:5], null, 0xfe5163ab, v2, 0
	v_add_nc_u32_e32 v12, 0xffffff88, v11
	s_delay_alu instid0(VALU_DEP_1) | instskip(NEXT) | instid1(VALU_DEP_3)
	v_cmp_lt_u32_e32 vcc_lo, 63, v12
	v_mad_u64_u32 v[7:8], null, 0x3c439041, v2, v[5:6]
	v_cndmask_b32_e64 v13, 0, 0xffffffc0, vcc_lo
	s_delay_alu instid0(VALU_DEP_2) | instskip(NEXT) | instid1(VALU_DEP_2)
	v_mov_b32_e32 v5, v8
	v_add_nc_u32_e32 v13, v13, v12
	s_delay_alu instid0(VALU_DEP_2) | instskip(NEXT) | instid1(VALU_DEP_2)
	v_mad_u64_u32 v[8:9], null, 0xdb629599, v2, v[5:6]
	v_cmp_lt_u32_e64 s0, 31, v13
	s_delay_alu instid0(VALU_DEP_1) | instskip(NEXT) | instid1(VALU_DEP_3)
	v_cndmask_b32_e64 v14, 0, 0xffffffe0, s0
	v_dual_mov_b32 v5, v9 :: v_dual_cndmask_b32 v4, v8, v4
	s_delay_alu instid0(VALU_DEP_2) | instskip(NEXT) | instid1(VALU_DEP_2)
	v_add_nc_u32_e32 v14, v14, v13
	v_mad_u64_u32 v[9:10], null, 0xf534ddc0, v2, v[5:6]
	s_delay_alu instid0(VALU_DEP_2) | instskip(NEXT) | instid1(VALU_DEP_2)
	v_cmp_lt_u32_e64 s1, 31, v14
	v_mov_b32_e32 v5, v10
	s_delay_alu instid0(VALU_DEP_3) | instskip(NEXT) | instid1(VALU_DEP_2)
	v_cndmask_b32_e32 v7, v9, v7, vcc_lo
	v_mad_u64_u32 v[10:11], null, 0xfc2757d1, v2, v[5:6]
	s_delay_alu instid0(VALU_DEP_2) | instskip(NEXT) | instid1(VALU_DEP_2)
	v_cndmask_b32_e64 v4, v7, v4, s0
	v_mov_b32_e32 v5, v11
	s_delay_alu instid0(VALU_DEP_1) | instskip(NEXT) | instid1(VALU_DEP_1)
	v_mad_u64_u32 v[11:12], null, 0x4e441529, v2, v[5:6]
	v_mov_b32_e32 v5, v12
	s_delay_alu instid0(VALU_DEP_1) | instskip(SKIP_1) | instid1(VALU_DEP_1)
	v_mad_u64_u32 v[12:13], null, 0xa2f9836e, v2, v[5:6]
	v_cndmask_b32_e64 v2, 0, 0xffffffe0, s1
	v_dual_cndmask_b32 v5, v11, v9 :: v_dual_add_nc_u32 v2, v2, v14
	s_delay_alu instid0(VALU_DEP_3) | instskip(SKIP_1) | instid1(VALU_DEP_3)
	v_dual_cndmask_b32 v6, v12, v10 :: v_dual_cndmask_b32 v11, v13, v11
	v_cndmask_b32_e32 v10, v10, v8, vcc_lo
	v_cmp_eq_u32_e64 s2, 0, v2
	s_delay_alu instid0(VALU_DEP_3) | instskip(NEXT) | instid1(VALU_DEP_4)
	v_cndmask_b32_e64 v9, v6, v5, s0
	v_cndmask_b32_e64 v6, v11, v6, s0
	s_delay_alu instid0(VALU_DEP_4) | instskip(SKIP_2) | instid1(VALU_DEP_4)
	v_cndmask_b32_e64 v5, v5, v10, s0
	v_sub_nc_u32_e32 v11, 32, v2
	v_cndmask_b32_e64 v10, v10, v7, s0
	v_cndmask_b32_e64 v6, v6, v9, s1
	s_delay_alu instid0(VALU_DEP_4) | instskip(NEXT) | instid1(VALU_DEP_3)
	v_cndmask_b32_e64 v9, v9, v5, s1
	v_cndmask_b32_e64 v5, v5, v10, s1
	;; [unrolled: 1-line block ×3, first 2 shown]
	s_delay_alu instid0(VALU_DEP_3) | instskip(NEXT) | instid1(VALU_DEP_3)
	v_alignbit_b32 v12, v6, v9, v11
	v_alignbit_b32 v13, v9, v5, v11
	s_delay_alu instid0(VALU_DEP_3) | instskip(NEXT) | instid1(VALU_DEP_3)
	v_alignbit_b32 v11, v5, v4, v11
	v_cndmask_b32_e64 v2, v12, v6, s2
	s_delay_alu instid0(VALU_DEP_3) | instskip(NEXT) | instid1(VALU_DEP_3)
	v_cndmask_b32_e64 v6, v13, v9, s2
	v_cndmask_b32_e64 v5, v11, v5, s2
	s_delay_alu instid0(VALU_DEP_3) | instskip(NEXT) | instid1(VALU_DEP_3)
	v_bfe_u32 v8, v2, 29, 1
	v_alignbit_b32 v7, v2, v6, 30
	s_delay_alu instid0(VALU_DEP_3) | instskip(SKIP_1) | instid1(VALU_DEP_4)
	v_alignbit_b32 v6, v6, v5, 30
	v_alignbit_b32 v4, v5, v4, 30
	v_sub_nc_u32_e32 v9, 0, v8
	s_delay_alu instid0(VALU_DEP_1) | instskip(SKIP_3) | instid1(VALU_DEP_4)
	v_xor_b32_e32 v10, v7, v9
	v_cmp_ne_u32_e32 vcc_lo, v7, v9
	v_xor_b32_e32 v5, v6, v9
	v_xor_b32_e32 v4, v4, v9
	v_clz_i32_u32_e32 v12, v10
	s_delay_alu instid0(VALU_DEP_1) | instskip(NEXT) | instid1(VALU_DEP_1)
	v_add_nc_u32_e32 v11, 1, v12
	v_cndmask_b32_e32 v7, 33, v11, vcc_lo
	s_delay_alu instid0(VALU_DEP_1) | instskip(NEXT) | instid1(VALU_DEP_1)
	v_sub_nc_u32_e32 v6, 32, v7
	v_alignbit_b32 v9, v10, v5, v6
	v_alignbit_b32 v4, v5, v4, v6
	v_lshrrev_b32_e32 v5, 29, v2
	s_delay_alu instid0(VALU_DEP_2) | instskip(NEXT) | instid1(VALU_DEP_2)
	v_alignbit_b32 v6, v9, v4, 9
	v_lshlrev_b32_e32 v5, 31, v5
	v_alignbit_b32 v9, v7, v9, 9
	s_delay_alu instid0(VALU_DEP_3) | instskip(NEXT) | instid1(VALU_DEP_2)
	v_clz_i32_u32_e32 v10, v6
	v_or_b32_e32 v9, v9, v5
	v_or_b32_e32 v5, 0x33800000, v5
	s_delay_alu instid0(VALU_DEP_3) | instskip(NEXT) | instid1(VALU_DEP_3)
	v_min_u32_e32 v10, 32, v10
	v_xor_b32_e32 v9, 1.0, v9
	s_delay_alu instid0(VALU_DEP_2) | instskip(SKIP_1) | instid1(VALU_DEP_3)
	v_sub_nc_u32_e32 v11, 31, v10
	v_add_lshl_u32 v7, v10, v7, 23
	v_mul_f32_e32 v10, 0x3fc90fda, v9
	s_delay_alu instid0(VALU_DEP_3) | instskip(NEXT) | instid1(VALU_DEP_3)
	v_alignbit_b32 v4, v6, v4, v11
	v_sub_nc_u32_e32 v5, v5, v7
	s_delay_alu instid0(VALU_DEP_3) | instskip(NEXT) | instid1(VALU_DEP_3)
	v_fma_f32 v6, 0x3fc90fda, v9, -v10
	v_lshrrev_b32_e32 v4, 9, v4
	s_delay_alu instid0(VALU_DEP_2) | instskip(NEXT) | instid1(VALU_DEP_2)
	v_fmamk_f32 v6, v9, 0x33a22168, v6
	v_or_b32_e32 v4, v5, v4
	s_delay_alu instid0(VALU_DEP_1) | instskip(SKIP_1) | instid1(VALU_DEP_2)
	v_fmac_f32_e32 v6, 0x3fc90fda, v4
	v_lshrrev_b32_e32 v4, 30, v2
	v_add_f32_e32 v2, v10, v6
	s_delay_alu instid0(VALU_DEP_2)
	v_add_nc_u32_e32 v4, v8, v4
	s_and_not1_saveexec_b32 s0, s8
	s_branch .LBB57_9
.LBB57_6:
	s_and_not1_saveexec_b32 s0, s3
	s_cbranch_execz .LBB57_44
.LBB57_7:
	v_mul_f32_e32 v2, 0x3fb8aa3b, v0
	v_cmp_ngt_f32_e32 vcc_lo, 0xc2ce8ed0, v0
	s_delay_alu instid0(VALU_DEP_2) | instskip(SKIP_1) | instid1(VALU_DEP_2)
	v_rndne_f32_e32 v3, v2
	v_fma_f32 v4, 0x3fb8aa3b, v0, -v2
	v_sub_f32_e32 v2, v2, v3
	s_delay_alu instid0(VALU_DEP_2) | instskip(SKIP_1) | instid1(VALU_DEP_2)
	v_fmamk_f32 v4, v0, 0x32a5705f, v4
	v_cvt_i32_f32_e32 v3, v3
	v_add_f32_e32 v2, v2, v4
	s_delay_alu instid0(VALU_DEP_1) | instskip(SKIP_2) | instid1(VALU_DEP_1)
	v_exp_f32_e32 v2, v2
	s_waitcnt_depctr 0xfff
	v_ldexp_f32 v2, v2, v3
	v_cndmask_b32_e32 v2, 0, v2, vcc_lo
	v_cmp_nlt_f32_e32 vcc_lo, 0x42b17218, v0
	s_delay_alu instid0(VALU_DEP_2) | instskip(SKIP_1) | instid1(VALU_DEP_1)
	v_cndmask_b32_e32 v2, 0x7f800000, v2, vcc_lo
	s_or_b32 exec_lo, exec_lo, s0
	v_mov_b32_e32 v0, v2
	s_setpc_b64 s[30:31]
.LBB57_8:
	s_and_not1_saveexec_b32 s0, s8
.LBB57_9:
	v_mul_f32_e64 v2, 0x3f22f983, |v1|
	s_delay_alu instid0(VALU_DEP_1) | instskip(NEXT) | instid1(VALU_DEP_1)
	v_rndne_f32_e32 v4, v2
	v_fma_f32 v2, 0xbfc90fda, v4, |v1|
	s_delay_alu instid0(VALU_DEP_1) | instskip(NEXT) | instid1(VALU_DEP_1)
	v_fmamk_f32 v2, v4, 0xb3a22168, v2
	v_fmamk_f32 v2, v4, 0xa7c234c4, v2
	v_cvt_i32_f32_e32 v4, v4
; %bb.10:
	s_or_b32 exec_lo, exec_lo, s0
                                        ; implicit-def: $vgpr6
                                        ; implicit-def: $vgpr5
	s_and_saveexec_b32 s0, s7
	s_delay_alu instid0(SALU_CYCLE_1)
	s_xor_b32 s7, exec_lo, s0
	s_cbranch_execz .LBB57_12
; %bb.11:
	s_mov_b32 s0, 0x7fffff
	v_mov_b32_e32 v7, 0
	v_and_or_b32 v15, v3, s0, 0x800000
	v_lshrrev_b32_e32 v12, 23, v3
	s_delay_alu instid0(VALU_DEP_2) | instskip(NEXT) | instid1(VALU_DEP_2)
	v_mad_u64_u32 v[5:6], null, 0xfe5163ab, v15, 0
	v_add_nc_u32_e32 v13, 0xffffff88, v12
	s_delay_alu instid0(VALU_DEP_1) | instskip(NEXT) | instid1(VALU_DEP_3)
	v_cmp_lt_u32_e32 vcc_lo, 63, v13
	v_mad_u64_u32 v[8:9], null, 0x3c439041, v15, v[6:7]
	v_cndmask_b32_e64 v14, 0, 0xffffffc0, vcc_lo
	s_delay_alu instid0(VALU_DEP_2) | instskip(NEXT) | instid1(VALU_DEP_2)
	v_mov_b32_e32 v6, v9
	v_add_nc_u32_e32 v14, v14, v13
	s_delay_alu instid0(VALU_DEP_2) | instskip(NEXT) | instid1(VALU_DEP_2)
	v_mad_u64_u32 v[9:10], null, 0xdb629599, v15, v[6:7]
	v_cmp_lt_u32_e64 s0, 31, v14
	s_delay_alu instid0(VALU_DEP_1) | instskip(NEXT) | instid1(VALU_DEP_3)
	v_cndmask_b32_e64 v16, 0, 0xffffffe0, s0
	v_dual_mov_b32 v6, v10 :: v_dual_cndmask_b32 v5, v9, v5
	s_delay_alu instid0(VALU_DEP_2) | instskip(NEXT) | instid1(VALU_DEP_2)
	v_add_nc_u32_e32 v16, v16, v14
	v_mad_u64_u32 v[10:11], null, 0xf534ddc0, v15, v[6:7]
	s_delay_alu instid0(VALU_DEP_2) | instskip(NEXT) | instid1(VALU_DEP_2)
	v_cmp_lt_u32_e64 s1, 31, v16
	v_mov_b32_e32 v6, v11
	s_delay_alu instid0(VALU_DEP_3) | instskip(NEXT) | instid1(VALU_DEP_2)
	v_cndmask_b32_e32 v8, v10, v8, vcc_lo
	v_mad_u64_u32 v[11:12], null, 0xfc2757d1, v15, v[6:7]
	s_delay_alu instid0(VALU_DEP_2) | instskip(NEXT) | instid1(VALU_DEP_2)
	v_cndmask_b32_e64 v5, v8, v5, s0
	v_mov_b32_e32 v6, v12
	s_delay_alu instid0(VALU_DEP_1) | instskip(NEXT) | instid1(VALU_DEP_1)
	v_mad_u64_u32 v[12:13], null, 0x4e441529, v15, v[6:7]
	v_mov_b32_e32 v6, v13
	s_delay_alu instid0(VALU_DEP_1) | instskip(SKIP_1) | instid1(VALU_DEP_1)
	v_mad_u64_u32 v[13:14], null, 0xa2f9836e, v15, v[6:7]
	v_cndmask_b32_e64 v6, 0, 0xffffffe0, s1
	v_dual_cndmask_b32 v7, v12, v10 :: v_dual_add_nc_u32 v6, v6, v16
	s_delay_alu instid0(VALU_DEP_3) | instskip(NEXT) | instid1(VALU_DEP_4)
	v_cndmask_b32_e32 v13, v13, v11, vcc_lo
	v_dual_cndmask_b32 v11, v11, v9 :: v_dual_cndmask_b32 v12, v14, v12
	s_delay_alu instid0(VALU_DEP_3) | instskip(NEXT) | instid1(VALU_DEP_3)
	v_cmp_eq_u32_e64 s2, 0, v6
	v_cndmask_b32_e64 v10, v13, v7, s0
	s_delay_alu instid0(VALU_DEP_3) | instskip(NEXT) | instid1(VALU_DEP_4)
	v_cndmask_b32_e64 v7, v7, v11, s0
	v_cndmask_b32_e64 v12, v12, v13, s0
	v_sub_nc_u32_e32 v13, 32, v6
	v_cndmask_b32_e64 v11, v11, v8, s0
	s_delay_alu instid0(VALU_DEP_3) | instskip(SKIP_1) | instid1(VALU_DEP_3)
	v_cndmask_b32_e64 v12, v12, v10, s1
	v_cndmask_b32_e64 v10, v10, v7, s1
	;; [unrolled: 1-line block ×4, first 2 shown]
	s_delay_alu instid0(VALU_DEP_3) | instskip(NEXT) | instid1(VALU_DEP_3)
	v_alignbit_b32 v14, v12, v10, v13
	v_alignbit_b32 v15, v10, v7, v13
	s_delay_alu instid0(VALU_DEP_3) | instskip(NEXT) | instid1(VALU_DEP_3)
	v_alignbit_b32 v13, v7, v5, v13
	v_cndmask_b32_e64 v6, v14, v12, s2
	s_delay_alu instid0(VALU_DEP_3) | instskip(NEXT) | instid1(VALU_DEP_3)
	v_cndmask_b32_e64 v9, v15, v10, s2
	v_cndmask_b32_e64 v7, v13, v7, s2
	s_delay_alu instid0(VALU_DEP_3) | instskip(NEXT) | instid1(VALU_DEP_3)
	v_bfe_u32 v10, v6, 29, 1
	v_alignbit_b32 v8, v6, v9, 30
	s_delay_alu instid0(VALU_DEP_3) | instskip(SKIP_1) | instid1(VALU_DEP_4)
	v_alignbit_b32 v9, v9, v7, 30
	v_alignbit_b32 v5, v7, v5, 30
	v_sub_nc_u32_e32 v12, 0, v10
	s_delay_alu instid0(VALU_DEP_1) | instskip(SKIP_3) | instid1(VALU_DEP_4)
	v_xor_b32_e32 v11, v8, v12
	v_cmp_ne_u32_e32 vcc_lo, v8, v12
	v_xor_b32_e32 v7, v9, v12
	v_xor_b32_e32 v5, v5, v12
	v_clz_i32_u32_e32 v14, v11
	s_delay_alu instid0(VALU_DEP_1) | instskip(NEXT) | instid1(VALU_DEP_1)
	v_add_nc_u32_e32 v13, 1, v14
	v_cndmask_b32_e32 v8, 33, v13, vcc_lo
	s_delay_alu instid0(VALU_DEP_1) | instskip(NEXT) | instid1(VALU_DEP_1)
	v_sub_nc_u32_e32 v9, 32, v8
	v_alignbit_b32 v11, v11, v7, v9
	v_alignbit_b32 v5, v7, v5, v9
	v_lshrrev_b32_e32 v7, 29, v6
	v_lshrrev_b32_e32 v6, 30, v6
	s_delay_alu instid0(VALU_DEP_3) | instskip(NEXT) | instid1(VALU_DEP_3)
	v_alignbit_b32 v9, v11, v5, 9
	v_lshlrev_b32_e32 v7, 31, v7
	v_alignbit_b32 v11, v8, v11, 9
	s_delay_alu instid0(VALU_DEP_4) | instskip(NEXT) | instid1(VALU_DEP_4)
	v_add_nc_u32_e32 v6, v10, v6
	v_clz_i32_u32_e32 v12, v9
	s_delay_alu instid0(VALU_DEP_3) | instskip(SKIP_1) | instid1(VALU_DEP_3)
	v_or_b32_e32 v11, v11, v7
	v_or_b32_e32 v7, 0x33800000, v7
	v_min_u32_e32 v12, 32, v12
	s_delay_alu instid0(VALU_DEP_3) | instskip(NEXT) | instid1(VALU_DEP_2)
	v_xor_b32_e32 v11, 1.0, v11
	v_sub_nc_u32_e32 v13, 31, v12
	v_add_lshl_u32 v8, v12, v8, 23
	s_delay_alu instid0(VALU_DEP_3) | instskip(NEXT) | instid1(VALU_DEP_3)
	v_mul_f32_e32 v12, 0x3fc90fda, v11
	v_alignbit_b32 v5, v9, v5, v13
	s_delay_alu instid0(VALU_DEP_3) | instskip(NEXT) | instid1(VALU_DEP_3)
	v_sub_nc_u32_e32 v7, v7, v8
	v_fma_f32 v8, 0x3fc90fda, v11, -v12
	s_delay_alu instid0(VALU_DEP_3) | instskip(NEXT) | instid1(VALU_DEP_2)
	v_lshrrev_b32_e32 v5, 9, v5
	v_fmamk_f32 v8, v11, 0x33a22168, v8
	s_delay_alu instid0(VALU_DEP_2) | instskip(NEXT) | instid1(VALU_DEP_1)
	v_or_b32_e32 v5, v7, v5
	v_fmac_f32_e32 v8, 0x3fc90fda, v5
	s_delay_alu instid0(VALU_DEP_1)
	v_add_f32_e32 v5, v12, v8
	s_and_not1_saveexec_b32 s0, s7
	s_cbranch_execnz .LBB57_13
	s_branch .LBB57_14
.LBB57_12:
	s_and_not1_saveexec_b32 s0, s7
.LBB57_13:
	v_mul_f32_e64 v5, 0x3f22f983, |v1|
	s_delay_alu instid0(VALU_DEP_1) | instskip(NEXT) | instid1(VALU_DEP_1)
	v_rndne_f32_e32 v6, v5
	v_fma_f32 v5, 0xbfc90fda, v6, |v1|
	s_delay_alu instid0(VALU_DEP_1) | instskip(NEXT) | instid1(VALU_DEP_1)
	v_fmamk_f32 v5, v6, 0xb3a22168, v5
	v_fmamk_f32 v5, v6, 0xa7c234c4, v5
	v_cvt_i32_f32_e32 v6, v6
.LBB57_14:
	s_or_b32 exec_lo, exec_lo, s0
	v_dual_mul_f32 v7, 0x3fb8aa3b, v0 :: v_dual_mul_f32 v8, v2, v2
	s_delay_alu instid0(VALU_DEP_2) | instskip(SKIP_1) | instid1(VALU_DEP_2)
	v_dual_mul_f32 v12, v5, v5 :: v_dual_and_b32 v11, 1, v4
	s_mov_b32 s1, 0x37d75334
	v_rndne_f32_e32 v9, v7
	v_fma_f32 v10, 0x3fb8aa3b, v0, -v7
	v_lshlrev_b32_e32 v4, 30, v4
	s_mov_b32 s0, 0xb94c1982
	s_delay_alu instid0(VALU_DEP_3) | instskip(NEXT) | instid1(VALU_DEP_3)
	v_dual_fmaak_f32 v16, s1, v12, 0xbab64f3b :: v_dual_sub_f32 v7, v7, v9
	v_fmamk_f32 v10, v0, 0x32a5705f, v10
	v_fmaak_f32 v14, s1, v8, 0xbab64f3b
	v_fmaak_f32 v13, s0, v8, 0x3c0881c4
	v_cvt_i32_f32_e32 v9, v9
	v_fmaak_f32 v15, s0, v12, 0x3c0881c4
	v_add_f32_e32 v7, v7, v10
	v_cmp_eq_u32_e32 vcc_lo, 0, v11
	v_fmaak_f32 v10, v8, v13, 0xbe2aaa9d
	v_cmp_nlt_f32_e64 s0, 0x42b17218, v0
	s_delay_alu instid0(VALU_DEP_4) | instskip(NEXT) | instid1(VALU_DEP_2)
	v_exp_f32_e32 v7, v7
	v_mul_f32_e32 v10, v8, v10
	s_delay_alu instid0(VALU_DEP_1) | instskip(SKIP_4) | instid1(VALU_DEP_2)
	v_fmac_f32_e32 v2, v2, v10
	s_waitcnt_depctr 0xfff
	v_ldexp_f32 v7, v7, v9
	v_fmaak_f32 v13, v8, v14, 0x3d2aabf7
	v_and_b32_e32 v9, 1, v6
	v_dual_fmaak_f32 v13, v8, v13, 0xbf000004 :: v_dual_lshlrev_b32 v6, 30, v6
	s_delay_alu instid0(VALU_DEP_1) | instskip(NEXT) | instid1(VALU_DEP_2)
	v_and_or_b32 v3, 0x80000000, v6, v3
	v_fma_f32 v8, v8, v13, 1.0
	s_delay_alu instid0(VALU_DEP_1) | instskip(SKIP_3) | instid1(VALU_DEP_2)
	v_cndmask_b32_e64 v2, -v2, v8, vcc_lo
	v_cmp_eq_u32_e32 vcc_lo, 0, v9
	v_fmaak_f32 v14, v12, v15, 0xbe2aaa9d
	v_fmaak_f32 v15, v12, v16, 0x3d2aabf7
	v_mul_f32_e32 v14, v12, v14
	s_delay_alu instid0(VALU_DEP_2) | instskip(NEXT) | instid1(VALU_DEP_2)
	v_fmaak_f32 v15, v12, v15, 0xbf000004
	v_fmac_f32_e32 v5, v5, v14
	s_delay_alu instid0(VALU_DEP_2) | instskip(NEXT) | instid1(VALU_DEP_1)
	v_fma_f32 v10, v12, v15, 1.0
	v_cndmask_b32_e32 v5, v10, v5, vcc_lo
	v_cmp_ngt_f32_e32 vcc_lo, 0xc2ce8ed0, v0
	v_cndmask_b32_e32 v6, 0, v7, vcc_lo
	v_cmp_class_f32_e64 vcc_lo, v1, 0x1f8
	s_delay_alu instid0(VALU_DEP_4) | instskip(NEXT) | instid1(VALU_DEP_3)
	v_xor3_b32 v1, v3, v5, v1
                                        ; implicit-def: $vgpr3
	v_cndmask_b32_e64 v0, 0x7f800000, v6, s0
	s_delay_alu instid0(VALU_DEP_2) | instskip(NEXT) | instid1(VALU_DEP_1)
	v_cndmask_b32_e32 v1, 0x7fc00000, v1, vcc_lo
	v_dual_mul_f32 v1, v0, v1 :: v_dual_and_b32 v4, 0x80000000, v4
	s_delay_alu instid0(VALU_DEP_1) | instskip(NEXT) | instid1(VALU_DEP_1)
	v_xor_b32_e32 v2, v4, v2
	v_cndmask_b32_e32 v2, 0x7fc00000, v2, vcc_lo
	s_delay_alu instid0(VALU_DEP_1)
	v_mul_f32_e32 v2, v0, v2
                                        ; implicit-def: $vgpr0
.LBB57_15:
	s_and_not1_saveexec_b32 s6, s6
	s_cbranch_execz .LBB57_18
; %bb.16:
	v_cmp_ngt_f32_e64 s7, 0x48000000, |v1|
                                        ; implicit-def: $vgpr4
                                        ; implicit-def: $vgpr2
	s_delay_alu instid0(VALU_DEP_1) | instskip(NEXT) | instid1(SALU_CYCLE_1)
	s_and_saveexec_b32 s0, s7
	s_xor_b32 s8, exec_lo, s0
	s_cbranch_execz .LBB57_19
; %bb.17:
	s_mov_b32 s0, 0x7fffff
	v_mov_b32_e32 v6, 0
	v_and_or_b32 v2, v3, s0, 0x800000
	v_lshrrev_b32_e32 v11, 23, v3
	s_delay_alu instid0(VALU_DEP_2) | instskip(NEXT) | instid1(VALU_DEP_2)
	v_mad_u64_u32 v[4:5], null, 0xfe5163ab, v2, 0
	v_add_nc_u32_e32 v12, 0xffffff88, v11
	s_delay_alu instid0(VALU_DEP_1) | instskip(NEXT) | instid1(VALU_DEP_3)
	v_cmp_lt_u32_e32 vcc_lo, 63, v12
	v_mad_u64_u32 v[7:8], null, 0x3c439041, v2, v[5:6]
	v_cndmask_b32_e64 v13, 0, 0xffffffc0, vcc_lo
	s_delay_alu instid0(VALU_DEP_2) | instskip(NEXT) | instid1(VALU_DEP_2)
	v_mov_b32_e32 v5, v8
	v_add_nc_u32_e32 v13, v13, v12
	s_delay_alu instid0(VALU_DEP_2) | instskip(NEXT) | instid1(VALU_DEP_2)
	v_mad_u64_u32 v[8:9], null, 0xdb629599, v2, v[5:6]
	v_cmp_lt_u32_e64 s0, 31, v13
	s_delay_alu instid0(VALU_DEP_1) | instskip(NEXT) | instid1(VALU_DEP_3)
	v_cndmask_b32_e64 v14, 0, 0xffffffe0, s0
	v_dual_mov_b32 v5, v9 :: v_dual_cndmask_b32 v4, v8, v4
	s_delay_alu instid0(VALU_DEP_2) | instskip(NEXT) | instid1(VALU_DEP_2)
	v_add_nc_u32_e32 v14, v14, v13
	v_mad_u64_u32 v[9:10], null, 0xf534ddc0, v2, v[5:6]
	s_delay_alu instid0(VALU_DEP_2) | instskip(NEXT) | instid1(VALU_DEP_2)
	v_cmp_lt_u32_e64 s1, 31, v14
	v_mov_b32_e32 v5, v10
	s_delay_alu instid0(VALU_DEP_3) | instskip(NEXT) | instid1(VALU_DEP_2)
	v_cndmask_b32_e32 v7, v9, v7, vcc_lo
	v_mad_u64_u32 v[10:11], null, 0xfc2757d1, v2, v[5:6]
	s_delay_alu instid0(VALU_DEP_2) | instskip(NEXT) | instid1(VALU_DEP_2)
	v_cndmask_b32_e64 v4, v7, v4, s0
	v_mov_b32_e32 v5, v11
	s_delay_alu instid0(VALU_DEP_1) | instskip(NEXT) | instid1(VALU_DEP_1)
	v_mad_u64_u32 v[11:12], null, 0x4e441529, v2, v[5:6]
	v_mov_b32_e32 v5, v12
	s_delay_alu instid0(VALU_DEP_1) | instskip(SKIP_1) | instid1(VALU_DEP_1)
	v_mad_u64_u32 v[12:13], null, 0xa2f9836e, v2, v[5:6]
	v_cndmask_b32_e64 v2, 0, 0xffffffe0, s1
	v_dual_cndmask_b32 v5, v11, v9 :: v_dual_add_nc_u32 v2, v2, v14
	s_delay_alu instid0(VALU_DEP_3) | instskip(SKIP_1) | instid1(VALU_DEP_3)
	v_dual_cndmask_b32 v6, v12, v10 :: v_dual_cndmask_b32 v11, v13, v11
	v_cndmask_b32_e32 v10, v10, v8, vcc_lo
	v_cmp_eq_u32_e64 s2, 0, v2
	s_delay_alu instid0(VALU_DEP_3) | instskip(NEXT) | instid1(VALU_DEP_4)
	v_cndmask_b32_e64 v9, v6, v5, s0
	v_cndmask_b32_e64 v6, v11, v6, s0
	s_delay_alu instid0(VALU_DEP_4) | instskip(SKIP_2) | instid1(VALU_DEP_4)
	v_cndmask_b32_e64 v5, v5, v10, s0
	v_sub_nc_u32_e32 v11, 32, v2
	v_cndmask_b32_e64 v10, v10, v7, s0
	v_cndmask_b32_e64 v6, v6, v9, s1
	s_delay_alu instid0(VALU_DEP_4) | instskip(NEXT) | instid1(VALU_DEP_3)
	v_cndmask_b32_e64 v9, v9, v5, s1
	v_cndmask_b32_e64 v5, v5, v10, s1
	;; [unrolled: 1-line block ×3, first 2 shown]
	s_delay_alu instid0(VALU_DEP_3) | instskip(NEXT) | instid1(VALU_DEP_3)
	v_alignbit_b32 v12, v6, v9, v11
	v_alignbit_b32 v13, v9, v5, v11
	s_delay_alu instid0(VALU_DEP_3) | instskip(NEXT) | instid1(VALU_DEP_3)
	v_alignbit_b32 v11, v5, v4, v11
	v_cndmask_b32_e64 v2, v12, v6, s2
	s_delay_alu instid0(VALU_DEP_3) | instskip(NEXT) | instid1(VALU_DEP_3)
	v_cndmask_b32_e64 v6, v13, v9, s2
	v_cndmask_b32_e64 v5, v11, v5, s2
	s_delay_alu instid0(VALU_DEP_3) | instskip(NEXT) | instid1(VALU_DEP_3)
	v_bfe_u32 v8, v2, 29, 1
	v_alignbit_b32 v7, v2, v6, 30
	s_delay_alu instid0(VALU_DEP_3) | instskip(SKIP_1) | instid1(VALU_DEP_4)
	v_alignbit_b32 v6, v6, v5, 30
	v_alignbit_b32 v4, v5, v4, 30
	v_sub_nc_u32_e32 v9, 0, v8
	s_delay_alu instid0(VALU_DEP_1) | instskip(SKIP_3) | instid1(VALU_DEP_4)
	v_xor_b32_e32 v10, v7, v9
	v_cmp_ne_u32_e32 vcc_lo, v7, v9
	v_xor_b32_e32 v5, v6, v9
	v_xor_b32_e32 v4, v4, v9
	v_clz_i32_u32_e32 v12, v10
	s_delay_alu instid0(VALU_DEP_1) | instskip(NEXT) | instid1(VALU_DEP_1)
	v_add_nc_u32_e32 v11, 1, v12
	v_cndmask_b32_e32 v7, 33, v11, vcc_lo
	s_delay_alu instid0(VALU_DEP_1) | instskip(NEXT) | instid1(VALU_DEP_1)
	v_sub_nc_u32_e32 v6, 32, v7
	v_alignbit_b32 v9, v10, v5, v6
	v_alignbit_b32 v4, v5, v4, v6
	v_lshrrev_b32_e32 v5, 29, v2
	s_delay_alu instid0(VALU_DEP_2) | instskip(NEXT) | instid1(VALU_DEP_2)
	v_alignbit_b32 v6, v9, v4, 9
	v_lshlrev_b32_e32 v5, 31, v5
	v_alignbit_b32 v9, v7, v9, 9
	s_delay_alu instid0(VALU_DEP_3) | instskip(NEXT) | instid1(VALU_DEP_2)
	v_clz_i32_u32_e32 v10, v6
	v_or_b32_e32 v9, v9, v5
	v_or_b32_e32 v5, 0x33800000, v5
	s_delay_alu instid0(VALU_DEP_3) | instskip(NEXT) | instid1(VALU_DEP_3)
	v_min_u32_e32 v10, 32, v10
	v_xor_b32_e32 v9, 1.0, v9
	s_delay_alu instid0(VALU_DEP_2) | instskip(SKIP_1) | instid1(VALU_DEP_3)
	v_sub_nc_u32_e32 v11, 31, v10
	v_add_lshl_u32 v7, v10, v7, 23
	v_mul_f32_e32 v10, 0x3fc90fda, v9
	s_delay_alu instid0(VALU_DEP_3) | instskip(NEXT) | instid1(VALU_DEP_3)
	v_alignbit_b32 v4, v6, v4, v11
	v_sub_nc_u32_e32 v5, v5, v7
	s_delay_alu instid0(VALU_DEP_3) | instskip(NEXT) | instid1(VALU_DEP_3)
	v_fma_f32 v6, 0x3fc90fda, v9, -v10
	v_lshrrev_b32_e32 v4, 9, v4
	s_delay_alu instid0(VALU_DEP_2) | instskip(NEXT) | instid1(VALU_DEP_2)
	v_fmamk_f32 v6, v9, 0x33a22168, v6
	v_or_b32_e32 v4, v5, v4
	s_delay_alu instid0(VALU_DEP_1) | instskip(SKIP_1) | instid1(VALU_DEP_2)
	v_fmac_f32_e32 v6, 0x3fc90fda, v4
	v_lshrrev_b32_e32 v4, 30, v2
	v_add_f32_e32 v2, v10, v6
	s_delay_alu instid0(VALU_DEP_2)
	v_add_nc_u32_e32 v4, v8, v4
	s_and_not1_saveexec_b32 s0, s8
	s_branch .LBB57_20
.LBB57_18:
	s_or_b32 exec_lo, exec_lo, s6
                                        ; implicit-def: $vgpr0
                                        ; implicit-def: $vgpr4
	s_and_not1_saveexec_b32 s0, s5
	s_cbranch_execnz .LBB57_27
	s_branch .LBB57_32
.LBB57_19:
	s_and_not1_saveexec_b32 s0, s8
.LBB57_20:
	v_mul_f32_e64 v2, 0x3f22f983, |v1|
	s_delay_alu instid0(VALU_DEP_1) | instskip(NEXT) | instid1(VALU_DEP_1)
	v_rndne_f32_e32 v4, v2
	v_fma_f32 v2, 0xbfc90fda, v4, |v1|
	s_delay_alu instid0(VALU_DEP_1) | instskip(NEXT) | instid1(VALU_DEP_1)
	v_fmamk_f32 v2, v4, 0xb3a22168, v2
	v_fmamk_f32 v2, v4, 0xa7c234c4, v2
	v_cvt_i32_f32_e32 v4, v4
; %bb.21:
	s_or_b32 exec_lo, exec_lo, s0
                                        ; implicit-def: $vgpr6
                                        ; implicit-def: $vgpr5
	s_and_saveexec_b32 s0, s7
	s_delay_alu instid0(SALU_CYCLE_1)
	s_xor_b32 s7, exec_lo, s0
	s_cbranch_execz .LBB57_23
; %bb.22:
	s_mov_b32 s0, 0x7fffff
	v_mov_b32_e32 v7, 0
	v_and_or_b32 v15, v3, s0, 0x800000
	v_lshrrev_b32_e32 v12, 23, v3
	s_delay_alu instid0(VALU_DEP_2) | instskip(NEXT) | instid1(VALU_DEP_2)
	v_mad_u64_u32 v[5:6], null, 0xfe5163ab, v15, 0
	v_add_nc_u32_e32 v13, 0xffffff88, v12
	s_delay_alu instid0(VALU_DEP_1) | instskip(NEXT) | instid1(VALU_DEP_3)
	v_cmp_lt_u32_e32 vcc_lo, 63, v13
	v_mad_u64_u32 v[8:9], null, 0x3c439041, v15, v[6:7]
	v_cndmask_b32_e64 v14, 0, 0xffffffc0, vcc_lo
	s_delay_alu instid0(VALU_DEP_2) | instskip(NEXT) | instid1(VALU_DEP_2)
	v_mov_b32_e32 v6, v9
	v_add_nc_u32_e32 v14, v14, v13
	s_delay_alu instid0(VALU_DEP_2) | instskip(NEXT) | instid1(VALU_DEP_2)
	v_mad_u64_u32 v[9:10], null, 0xdb629599, v15, v[6:7]
	v_cmp_lt_u32_e64 s0, 31, v14
	s_delay_alu instid0(VALU_DEP_1) | instskip(NEXT) | instid1(VALU_DEP_3)
	v_cndmask_b32_e64 v16, 0, 0xffffffe0, s0
	v_dual_mov_b32 v6, v10 :: v_dual_cndmask_b32 v5, v9, v5
	s_delay_alu instid0(VALU_DEP_2) | instskip(NEXT) | instid1(VALU_DEP_2)
	v_add_nc_u32_e32 v16, v16, v14
	v_mad_u64_u32 v[10:11], null, 0xf534ddc0, v15, v[6:7]
	s_delay_alu instid0(VALU_DEP_2) | instskip(NEXT) | instid1(VALU_DEP_2)
	v_cmp_lt_u32_e64 s1, 31, v16
	v_mov_b32_e32 v6, v11
	s_delay_alu instid0(VALU_DEP_3) | instskip(NEXT) | instid1(VALU_DEP_2)
	v_cndmask_b32_e32 v8, v10, v8, vcc_lo
	v_mad_u64_u32 v[11:12], null, 0xfc2757d1, v15, v[6:7]
	s_delay_alu instid0(VALU_DEP_2) | instskip(NEXT) | instid1(VALU_DEP_2)
	v_cndmask_b32_e64 v5, v8, v5, s0
	v_mov_b32_e32 v6, v12
	s_delay_alu instid0(VALU_DEP_1) | instskip(NEXT) | instid1(VALU_DEP_1)
	v_mad_u64_u32 v[12:13], null, 0x4e441529, v15, v[6:7]
	v_mov_b32_e32 v6, v13
	s_delay_alu instid0(VALU_DEP_1) | instskip(SKIP_1) | instid1(VALU_DEP_1)
	v_mad_u64_u32 v[13:14], null, 0xa2f9836e, v15, v[6:7]
	v_cndmask_b32_e64 v6, 0, 0xffffffe0, s1
	v_dual_cndmask_b32 v7, v12, v10 :: v_dual_add_nc_u32 v6, v6, v16
	s_delay_alu instid0(VALU_DEP_3) | instskip(NEXT) | instid1(VALU_DEP_4)
	v_cndmask_b32_e32 v13, v13, v11, vcc_lo
	v_dual_cndmask_b32 v11, v11, v9 :: v_dual_cndmask_b32 v12, v14, v12
	s_delay_alu instid0(VALU_DEP_3) | instskip(NEXT) | instid1(VALU_DEP_3)
	v_cmp_eq_u32_e64 s2, 0, v6
	v_cndmask_b32_e64 v10, v13, v7, s0
	s_delay_alu instid0(VALU_DEP_3) | instskip(NEXT) | instid1(VALU_DEP_4)
	v_cndmask_b32_e64 v7, v7, v11, s0
	v_cndmask_b32_e64 v12, v12, v13, s0
	v_sub_nc_u32_e32 v13, 32, v6
	v_cndmask_b32_e64 v11, v11, v8, s0
	s_delay_alu instid0(VALU_DEP_3) | instskip(SKIP_1) | instid1(VALU_DEP_3)
	v_cndmask_b32_e64 v12, v12, v10, s1
	v_cndmask_b32_e64 v10, v10, v7, s1
	;; [unrolled: 1-line block ×4, first 2 shown]
	s_delay_alu instid0(VALU_DEP_3) | instskip(NEXT) | instid1(VALU_DEP_3)
	v_alignbit_b32 v14, v12, v10, v13
	v_alignbit_b32 v15, v10, v7, v13
	s_delay_alu instid0(VALU_DEP_3) | instskip(NEXT) | instid1(VALU_DEP_3)
	v_alignbit_b32 v13, v7, v5, v13
	v_cndmask_b32_e64 v6, v14, v12, s2
	s_delay_alu instid0(VALU_DEP_3) | instskip(NEXT) | instid1(VALU_DEP_3)
	v_cndmask_b32_e64 v9, v15, v10, s2
	v_cndmask_b32_e64 v7, v13, v7, s2
	s_delay_alu instid0(VALU_DEP_3) | instskip(NEXT) | instid1(VALU_DEP_3)
	v_bfe_u32 v10, v6, 29, 1
	v_alignbit_b32 v8, v6, v9, 30
	s_delay_alu instid0(VALU_DEP_3) | instskip(SKIP_1) | instid1(VALU_DEP_4)
	v_alignbit_b32 v9, v9, v7, 30
	v_alignbit_b32 v5, v7, v5, 30
	v_sub_nc_u32_e32 v12, 0, v10
	s_delay_alu instid0(VALU_DEP_1) | instskip(SKIP_3) | instid1(VALU_DEP_4)
	v_xor_b32_e32 v11, v8, v12
	v_cmp_ne_u32_e32 vcc_lo, v8, v12
	v_xor_b32_e32 v7, v9, v12
	v_xor_b32_e32 v5, v5, v12
	v_clz_i32_u32_e32 v14, v11
	s_delay_alu instid0(VALU_DEP_1) | instskip(NEXT) | instid1(VALU_DEP_1)
	v_add_nc_u32_e32 v13, 1, v14
	v_cndmask_b32_e32 v8, 33, v13, vcc_lo
	s_delay_alu instid0(VALU_DEP_1) | instskip(NEXT) | instid1(VALU_DEP_1)
	v_sub_nc_u32_e32 v9, 32, v8
	v_alignbit_b32 v11, v11, v7, v9
	v_alignbit_b32 v5, v7, v5, v9
	v_lshrrev_b32_e32 v7, 29, v6
	v_lshrrev_b32_e32 v6, 30, v6
	s_delay_alu instid0(VALU_DEP_3) | instskip(NEXT) | instid1(VALU_DEP_3)
	v_alignbit_b32 v9, v11, v5, 9
	v_lshlrev_b32_e32 v7, 31, v7
	v_alignbit_b32 v11, v8, v11, 9
	s_delay_alu instid0(VALU_DEP_4) | instskip(NEXT) | instid1(VALU_DEP_4)
	v_add_nc_u32_e32 v6, v10, v6
	v_clz_i32_u32_e32 v12, v9
	s_delay_alu instid0(VALU_DEP_3) | instskip(SKIP_1) | instid1(VALU_DEP_3)
	v_or_b32_e32 v11, v11, v7
	v_or_b32_e32 v7, 0x33800000, v7
	v_min_u32_e32 v12, 32, v12
	s_delay_alu instid0(VALU_DEP_3) | instskip(NEXT) | instid1(VALU_DEP_2)
	v_xor_b32_e32 v11, 1.0, v11
	v_sub_nc_u32_e32 v13, 31, v12
	v_add_lshl_u32 v8, v12, v8, 23
	s_delay_alu instid0(VALU_DEP_3) | instskip(NEXT) | instid1(VALU_DEP_3)
	v_mul_f32_e32 v12, 0x3fc90fda, v11
	v_alignbit_b32 v5, v9, v5, v13
	s_delay_alu instid0(VALU_DEP_3) | instskip(NEXT) | instid1(VALU_DEP_3)
	v_sub_nc_u32_e32 v7, v7, v8
	v_fma_f32 v8, 0x3fc90fda, v11, -v12
	s_delay_alu instid0(VALU_DEP_3) | instskip(NEXT) | instid1(VALU_DEP_2)
	v_lshrrev_b32_e32 v5, 9, v5
	v_fmamk_f32 v8, v11, 0x33a22168, v8
	s_delay_alu instid0(VALU_DEP_2) | instskip(NEXT) | instid1(VALU_DEP_1)
	v_or_b32_e32 v5, v7, v5
	v_fmac_f32_e32 v8, 0x3fc90fda, v5
	s_delay_alu instid0(VALU_DEP_1)
	v_add_f32_e32 v5, v12, v8
	s_and_not1_saveexec_b32 s0, s7
	s_cbranch_execnz .LBB57_24
	s_branch .LBB57_25
.LBB57_23:
	s_and_not1_saveexec_b32 s0, s7
.LBB57_24:
	v_mul_f32_e64 v5, 0x3f22f983, |v1|
	s_delay_alu instid0(VALU_DEP_1) | instskip(NEXT) | instid1(VALU_DEP_1)
	v_rndne_f32_e32 v6, v5
	v_fma_f32 v5, 0xbfc90fda, v6, |v1|
	s_delay_alu instid0(VALU_DEP_1) | instskip(NEXT) | instid1(VALU_DEP_1)
	v_fmamk_f32 v5, v6, 0xb3a22168, v5
	v_fmamk_f32 v5, v6, 0xa7c234c4, v5
	v_cvt_i32_f32_e32 v6, v6
.LBB57_25:
	s_or_b32 exec_lo, exec_lo, s0
	v_add_f32_e32 v0, 0xc322e3bc, v0
	s_mov_b32 s0, 0x37d75334
	s_mov_b32 s1, 0xb94c1982
	v_dual_mul_f32 v10, v2, v2 :: v_dual_mul_f32 v11, v5, v5
	s_delay_alu instid0(VALU_DEP_2) | instskip(NEXT) | instid1(VALU_DEP_2)
	v_mul_f32_e32 v7, 0x3fb8aa3b, v0
	v_fmaak_f32 v12, s0, v10, 0xbab64f3b
	s_delay_alu instid0(VALU_DEP_3) | instskip(NEXT) | instid1(VALU_DEP_3)
	v_fmaak_f32 v14, s1, v11, 0x3c0881c4
	v_fma_f32 v8, 0x3fb8aa3b, v0, -v7
	v_rndne_f32_e32 v9, v7
	v_fmaak_f32 v13, s1, v10, 0x3c0881c4
	s_delay_alu instid0(VALU_DEP_4) | instskip(NEXT) | instid1(VALU_DEP_3)
	v_fmaak_f32 v14, v11, v14, 0xbe2aaa9d
	v_dual_sub_f32 v7, v7, v9 :: v_dual_fmamk_f32 v8, v0, 0x32a5705f, v8
	v_cvt_i32_f32_e32 v9, v9
	v_cmp_ngt_f32_e32 vcc_lo, 0xc2ce8ed0, v0
	s_delay_alu instid0(VALU_DEP_4) | instskip(NEXT) | instid1(VALU_DEP_4)
	v_mul_f32_e32 v14, v11, v14
	v_add_f32_e32 v7, v7, v8
	s_delay_alu instid0(VALU_DEP_2) | instskip(NEXT) | instid1(VALU_DEP_2)
	v_fmac_f32_e32 v5, v5, v14
	v_exp_f32_e32 v7, v7
	s_waitcnt_depctr 0xfff
	v_ldexp_f32 v7, v7, v9
	v_lshlrev_b32_e32 v8, 30, v4
	v_and_b32_e32 v9, 1, v6
	v_lshlrev_b32_e32 v6, 30, v6
	s_delay_alu instid0(VALU_DEP_4) | instskip(SKIP_2) | instid1(VALU_DEP_4)
	v_dual_cndmask_b32 v7, 0, v7 :: v_dual_and_b32 v4, 1, v4
	v_cmp_nlt_f32_e32 vcc_lo, 0x42b17218, v0
	v_and_b32_e32 v8, 0x80000000, v8
	v_and_or_b32 v3, 0x80000000, v6, v3
	s_delay_alu instid0(VALU_DEP_4)
	v_cndmask_b32_e32 v0, 0x7f800000, v7, vcc_lo
	v_fmaak_f32 v7, s0, v11, 0xbab64f3b
	v_fmaak_f32 v6, v10, v12, 0x3d2aabf7
	;; [unrolled: 1-line block ×3, first 2 shown]
	v_cmp_eq_u32_e32 vcc_lo, 0, v4
	v_lshrrev_b32_e32 v13, 23, v0
	v_fmaak_f32 v7, v11, v7, 0x3d2aabf7
	v_fmaak_f32 v6, v10, v6, 0xbf000004
	s_mov_b32 s0, 0x7fffff
	s_delay_alu instid0(VALU_DEP_3) | instskip(NEXT) | instid1(VALU_DEP_3)
	v_subrev_nc_u32_e32 v13, 19, v13
	v_fmaak_f32 v7, v11, v7, 0xbf000004
	s_delay_alu instid0(VALU_DEP_3) | instskip(SKIP_1) | instid1(VALU_DEP_3)
	v_fma_f32 v6, v10, v6, 1.0
	v_and_or_b32 v0, v0, s0, 0x7f000000
	v_fma_f32 v7, v11, v7, 1.0
	v_mul_f32_e32 v12, v10, v12
	v_lshrrev_b16 v10, 15, v13
	s_delay_alu instid0(VALU_DEP_2) | instskip(NEXT) | instid1(VALU_DEP_2)
	v_fmac_f32_e32 v2, v2, v12
	v_add_nc_u16 v4, v13, v10
	s_delay_alu instid0(VALU_DEP_2) | instskip(SKIP_1) | instid1(VALU_DEP_3)
	v_cndmask_b32_e64 v2, -v2, v6, vcc_lo
	v_cmp_eq_u32_e32 vcc_lo, 0, v9
	v_ashrrev_i16 v4, 1, v4
	s_delay_alu instid0(VALU_DEP_3) | instskip(SKIP_2) | instid1(VALU_DEP_2)
	v_xor_b32_e32 v2, v8, v2
	v_cndmask_b32_e32 v5, v7, v5, vcc_lo
	v_cmp_class_f32_e64 vcc_lo, v1, 0x1f8
	v_xor3_b32 v3, v3, v5, v1
	s_delay_alu instid0(VALU_DEP_1) | instskip(SKIP_2) | instid1(VALU_DEP_2)
	v_cndmask_b32_e32 v3, 0x7fc00000, v3, vcc_lo
	v_cndmask_b32_e32 v1, 0x7fc00000, v2, vcc_lo
	v_bfe_i32 v2, v4, 0, 16
	v_mul_f32_e32 v1, v1, v0
	s_delay_alu instid0(VALU_DEP_4) | instskip(NEXT) | instid1(VALU_DEP_3)
	v_mul_f32_e32 v0, v3, v0
	v_lshl_add_u32 v4, v2, 23, 1.0
	v_sub_nc_u32_e32 v2, v13, v2
	s_delay_alu instid0(VALU_DEP_2) | instskip(NEXT) | instid1(VALU_DEP_2)
	v_mul_f32_e32 v1, v1, v4
	v_lshl_add_u32 v3, v2, 23, 1.0
	v_mul_f32_e32 v0, v0, v4
	s_delay_alu instid0(VALU_DEP_2) | instskip(NEXT) | instid1(VALU_DEP_2)
	v_mul_f32_e32 v2, v1, v3
	v_mul_f32_e32 v1, v0, v3
	s_or_b32 exec_lo, exec_lo, s6
                                        ; implicit-def: $vgpr0
                                        ; implicit-def: $vgpr4
.LBB57_26:
	s_and_not1_saveexec_b32 s0, s5
	s_cbranch_execz .LBB57_32
.LBB57_27:
	s_delay_alu instid0(VALU_DEP_1)
	v_sub_f32_e32 v1, v1, v1
	s_mov_b32 s1, exec_lo
	v_cmpx_ne_u32_e32 0x7f800000, v4
	s_xor_b32 s1, exec_lo, s1
; %bb.28:
                                        ; implicit-def: $vgpr0
; %bb.29:
	s_delay_alu instid0(SALU_CYCLE_1)
	s_or_saveexec_b32 s1, s1
	v_mov_b32_e32 v2, v1
	s_xor_b32 exec_lo, exec_lo, s1
; %bb.30:
	v_cmp_lt_i32_e32 vcc_lo, -1, v0
	v_dual_cndmask_b32 v2, 0, v0 :: v_dual_cndmask_b32 v1, 0, v1
; %bb.31:
	s_or_b32 exec_lo, exec_lo, s1
.LBB57_32:
	s_delay_alu instid0(SALU_CYCLE_1)
	s_or_b32 exec_lo, exec_lo, s0
                                        ; implicit-def: $vgpr3
.LBB57_33:
	s_and_not1_saveexec_b32 s4, s4
	s_cbranch_execz .LBB57_43
; %bb.34:
	v_cmp_ngt_f32_e64 s5, 0x48000000, |v1|
	v_lshrrev_b32_e32 v4, 23, v3
                                        ; implicit-def: $vgpr2
                                        ; implicit-def: $vgpr0
	s_delay_alu instid0(VALU_DEP_2) | instskip(NEXT) | instid1(SALU_CYCLE_1)
	s_and_saveexec_b32 s0, s5
	s_xor_b32 s6, exec_lo, s0
	s_cbranch_execz .LBB57_36
; %bb.35:
	s_mov_b32 s0, 0x7fffff
	v_mov_b32_e32 v7, 0
	v_and_or_b32 v0, v3, s0, 0x800000
	s_delay_alu instid0(VALU_DEP_1) | instskip(NEXT) | instid1(VALU_DEP_1)
	v_mad_u64_u32 v[5:6], null, 0xfe5163ab, v0, 0
	v_mad_u64_u32 v[8:9], null, 0x3c439041, v0, v[6:7]
	s_delay_alu instid0(VALU_DEP_1) | instskip(NEXT) | instid1(VALU_DEP_1)
	v_mov_b32_e32 v6, v9
	v_mad_u64_u32 v[9:10], null, 0xdb629599, v0, v[6:7]
	v_add_nc_u32_e32 v2, 0xffffff88, v4
	s_delay_alu instid0(VALU_DEP_1) | instskip(NEXT) | instid1(VALU_DEP_3)
	v_cmp_lt_u32_e32 vcc_lo, 63, v2
	v_mov_b32_e32 v6, v10
	v_cndmask_b32_e64 v13, 0, 0xffffffc0, vcc_lo
	s_delay_alu instid0(VALU_DEP_2) | instskip(SKIP_1) | instid1(VALU_DEP_3)
	v_mad_u64_u32 v[10:11], null, 0xf534ddc0, v0, v[6:7]
	v_cndmask_b32_e32 v5, v9, v5, vcc_lo
	v_add_nc_u32_e32 v2, v13, v2
	s_delay_alu instid0(VALU_DEP_3) | instskip(NEXT) | instid1(VALU_DEP_2)
	v_mov_b32_e32 v6, v11
	v_cmp_lt_u32_e64 s0, 31, v2
	s_delay_alu instid0(VALU_DEP_2) | instskip(NEXT) | instid1(VALU_DEP_2)
	v_mad_u64_u32 v[11:12], null, 0xfc2757d1, v0, v[6:7]
	v_cndmask_b32_e64 v14, 0, 0xffffffe0, s0
	s_delay_alu instid0(VALU_DEP_1) | instskip(NEXT) | instid1(VALU_DEP_3)
	v_add_nc_u32_e32 v2, v14, v2
	v_mov_b32_e32 v6, v12
	s_delay_alu instid0(VALU_DEP_2) | instskip(NEXT) | instid1(VALU_DEP_2)
	v_cmp_lt_u32_e64 s1, 31, v2
	v_mad_u64_u32 v[12:13], null, 0x4e441529, v0, v[6:7]
	s_delay_alu instid0(VALU_DEP_1) | instskip(NEXT) | instid1(VALU_DEP_1)
	v_mov_b32_e32 v6, v13
	v_mad_u64_u32 v[13:14], null, 0xa2f9836e, v0, v[6:7]
	s_delay_alu instid0(VALU_DEP_4) | instskip(NEXT) | instid1(VALU_DEP_4)
	v_cndmask_b32_e64 v0, 0, 0xffffffe0, s1
	v_cndmask_b32_e32 v6, v12, v10, vcc_lo
	s_delay_alu instid0(VALU_DEP_2) | instskip(NEXT) | instid1(VALU_DEP_4)
	v_dual_cndmask_b32 v7, v13, v11 :: v_dual_add_nc_u32 v0, v0, v2
	v_dual_cndmask_b32 v12, v14, v12 :: v_dual_cndmask_b32 v11, v11, v9
	v_cndmask_b32_e32 v2, v10, v8, vcc_lo
	s_delay_alu instid0(VALU_DEP_3) | instskip(NEXT) | instid1(VALU_DEP_4)
	v_sub_nc_u32_e32 v10, 32, v0
	v_cndmask_b32_e64 v8, v7, v6, s0
	s_delay_alu instid0(VALU_DEP_4)
	v_cndmask_b32_e64 v7, v12, v7, s0
	v_cndmask_b32_e64 v6, v6, v11, s0
	;; [unrolled: 1-line block ×3, first 2 shown]
	v_cmp_eq_u32_e64 s2, 0, v0
	v_cndmask_b32_e64 v2, v2, v5, s0
	v_cndmask_b32_e64 v7, v7, v8, s1
	v_cndmask_b32_e64 v8, v8, v6, s1
	v_cndmask_b32_e64 v6, v6, v11, s1
	s_delay_alu instid0(VALU_DEP_4) | instskip(NEXT) | instid1(VALU_DEP_3)
	v_cndmask_b32_e64 v2, v11, v2, s1
	v_alignbit_b32 v12, v7, v8, v10
	s_delay_alu instid0(VALU_DEP_3) | instskip(NEXT) | instid1(VALU_DEP_3)
	v_alignbit_b32 v13, v8, v6, v10
	v_alignbit_b32 v10, v6, v2, v10
	s_delay_alu instid0(VALU_DEP_3) | instskip(NEXT) | instid1(VALU_DEP_3)
	v_cndmask_b32_e64 v0, v12, v7, s2
	v_cndmask_b32_e64 v7, v13, v8, s2
	s_delay_alu instid0(VALU_DEP_3) | instskip(NEXT) | instid1(VALU_DEP_3)
	v_cndmask_b32_e64 v6, v10, v6, s2
	v_bfe_u32 v8, v0, 29, 1
	s_delay_alu instid0(VALU_DEP_3) | instskip(NEXT) | instid1(VALU_DEP_3)
	v_alignbit_b32 v5, v0, v7, 30
	v_alignbit_b32 v7, v7, v6, 30
	v_alignbit_b32 v2, v6, v2, 30
	s_delay_alu instid0(VALU_DEP_4) | instskip(NEXT) | instid1(VALU_DEP_1)
	v_sub_nc_u32_e32 v9, 0, v8
	v_xor_b32_e32 v11, v5, v9
	v_cmp_ne_u32_e32 vcc_lo, v5, v9
	v_xor_b32_e32 v6, v7, v9
	v_xor_b32_e32 v2, v2, v9
	s_delay_alu instid0(VALU_DEP_4) | instskip(NEXT) | instid1(VALU_DEP_1)
	v_clz_i32_u32_e32 v12, v11
	v_add_nc_u32_e32 v10, 1, v12
	s_delay_alu instid0(VALU_DEP_1) | instskip(NEXT) | instid1(VALU_DEP_1)
	v_cndmask_b32_e32 v5, 33, v10, vcc_lo
	v_sub_nc_u32_e32 v7, 32, v5
	s_delay_alu instid0(VALU_DEP_1) | instskip(SKIP_2) | instid1(VALU_DEP_2)
	v_alignbit_b32 v9, v11, v6, v7
	v_alignbit_b32 v2, v6, v2, v7
	v_lshrrev_b32_e32 v6, 29, v0
	v_alignbit_b32 v7, v9, v2, 9
	s_delay_alu instid0(VALU_DEP_2) | instskip(SKIP_1) | instid1(VALU_DEP_3)
	v_lshlrev_b32_e32 v6, 31, v6
	v_alignbit_b32 v9, v5, v9, 9
	v_clz_i32_u32_e32 v10, v7
	s_delay_alu instid0(VALU_DEP_2) | instskip(SKIP_1) | instid1(VALU_DEP_3)
	v_or_b32_e32 v9, v9, v6
	v_or_b32_e32 v6, 0x33800000, v6
	v_min_u32_e32 v10, 32, v10
	s_delay_alu instid0(VALU_DEP_3) | instskip(NEXT) | instid1(VALU_DEP_2)
	v_xor_b32_e32 v9, 1.0, v9
	v_sub_nc_u32_e32 v11, 31, v10
	v_add_lshl_u32 v5, v10, v5, 23
	s_delay_alu instid0(VALU_DEP_3) | instskip(NEXT) | instid1(VALU_DEP_3)
	v_mul_f32_e32 v10, 0x3fc90fda, v9
	v_alignbit_b32 v2, v7, v2, v11
	s_delay_alu instid0(VALU_DEP_3) | instskip(NEXT) | instid1(VALU_DEP_3)
	v_sub_nc_u32_e32 v5, v6, v5
	v_fma_f32 v6, 0x3fc90fda, v9, -v10
	s_delay_alu instid0(VALU_DEP_3) | instskip(NEXT) | instid1(VALU_DEP_2)
	v_lshrrev_b32_e32 v2, 9, v2
	v_fmamk_f32 v6, v9, 0x33a22168, v6
	s_delay_alu instid0(VALU_DEP_2) | instskip(NEXT) | instid1(VALU_DEP_1)
	v_or_b32_e32 v2, v5, v2
	v_fmac_f32_e32 v6, 0x3fc90fda, v2
	v_lshrrev_b32_e32 v2, 30, v0
	s_delay_alu instid0(VALU_DEP_2) | instskip(NEXT) | instid1(VALU_DEP_2)
	v_add_f32_e32 v0, v10, v6
	v_add_nc_u32_e32 v2, v8, v2
	s_or_saveexec_b32 s0, s6
	v_mul_f32_e64 v7, 0x3f22f983, |v1|
	s_xor_b32 exec_lo, exec_lo, s0
	s_branch .LBB57_37
.LBB57_36:
	s_or_saveexec_b32 s0, s6
	v_mul_f32_e64 v7, 0x3f22f983, |v1|
	s_xor_b32 exec_lo, exec_lo, s0
.LBB57_37:
	s_delay_alu instid0(VALU_DEP_1) | instskip(NEXT) | instid1(VALU_DEP_1)
	v_rndne_f32_e32 v2, v7
	v_fma_f32 v0, 0xbfc90fda, v2, |v1|
	s_delay_alu instid0(VALU_DEP_1) | instskip(NEXT) | instid1(VALU_DEP_1)
	v_fmamk_f32 v0, v2, 0xb3a22168, v0
	v_fmamk_f32 v0, v2, 0xa7c234c4, v0
	v_cvt_i32_f32_e32 v2, v2
; %bb.38:
	s_or_b32 exec_lo, exec_lo, s0
                                        ; implicit-def: $vgpr6
                                        ; implicit-def: $vgpr5
	s_and_saveexec_b32 s0, s5
	s_delay_alu instid0(SALU_CYCLE_1)
	s_xor_b32 s5, exec_lo, s0
	s_cbranch_execz .LBB57_40
; %bb.39:
	s_mov_b32 s0, 0x7fffff
	v_mov_b32_e32 v7, 0
	v_and_or_b32 v15, v3, s0, 0x800000
	s_delay_alu instid0(VALU_DEP_1) | instskip(NEXT) | instid1(VALU_DEP_1)
	v_mad_u64_u32 v[5:6], null, 0xfe5163ab, v15, 0
	v_mad_u64_u32 v[8:9], null, 0x3c439041, v15, v[6:7]
	s_delay_alu instid0(VALU_DEP_1) | instskip(NEXT) | instid1(VALU_DEP_1)
	v_mov_b32_e32 v6, v9
	v_mad_u64_u32 v[9:10], null, 0xdb629599, v15, v[6:7]
	v_add_nc_u32_e32 v4, 0xffffff88, v4
	s_delay_alu instid0(VALU_DEP_1) | instskip(NEXT) | instid1(VALU_DEP_3)
	v_cmp_lt_u32_e32 vcc_lo, 63, v4
	v_mov_b32_e32 v6, v10
	v_cndmask_b32_e64 v13, 0, 0xffffffc0, vcc_lo
	s_delay_alu instid0(VALU_DEP_2) | instskip(SKIP_1) | instid1(VALU_DEP_3)
	v_mad_u64_u32 v[10:11], null, 0xf534ddc0, v15, v[6:7]
	v_cndmask_b32_e32 v5, v9, v5, vcc_lo
	v_add_nc_u32_e32 v4, v13, v4
	s_delay_alu instid0(VALU_DEP_3) | instskip(NEXT) | instid1(VALU_DEP_2)
	v_mov_b32_e32 v6, v11
	v_cmp_lt_u32_e64 s0, 31, v4
	s_delay_alu instid0(VALU_DEP_2) | instskip(NEXT) | instid1(VALU_DEP_2)
	v_mad_u64_u32 v[11:12], null, 0xfc2757d1, v15, v[6:7]
	v_cndmask_b32_e64 v14, 0, 0xffffffe0, s0
	s_delay_alu instid0(VALU_DEP_1) | instskip(NEXT) | instid1(VALU_DEP_3)
	v_add_nc_u32_e32 v4, v14, v4
	v_mov_b32_e32 v6, v12
	s_delay_alu instid0(VALU_DEP_2) | instskip(NEXT) | instid1(VALU_DEP_2)
	v_cmp_lt_u32_e64 s1, 31, v4
	v_mad_u64_u32 v[12:13], null, 0x4e441529, v15, v[6:7]
	s_delay_alu instid0(VALU_DEP_1) | instskip(NEXT) | instid1(VALU_DEP_1)
	v_mov_b32_e32 v6, v13
	v_mad_u64_u32 v[13:14], null, 0xa2f9836e, v15, v[6:7]
	s_delay_alu instid0(VALU_DEP_4) | instskip(NEXT) | instid1(VALU_DEP_1)
	v_cndmask_b32_e64 v6, 0, 0xffffffe0, s1
	v_dual_cndmask_b32 v7, v12, v10 :: v_dual_add_nc_u32 v4, v6, v4
	s_delay_alu instid0(VALU_DEP_3) | instskip(SKIP_1) | instid1(VALU_DEP_3)
	v_dual_cndmask_b32 v13, v13, v11 :: v_dual_cndmask_b32 v12, v14, v12
	v_dual_cndmask_b32 v11, v11, v9 :: v_dual_cndmask_b32 v6, v10, v8
	v_cmp_eq_u32_e64 s2, 0, v4
	s_delay_alu instid0(VALU_DEP_3) | instskip(NEXT) | instid1(VALU_DEP_4)
	v_cndmask_b32_e64 v8, v13, v7, s0
	v_cndmask_b32_e64 v10, v12, v13, s0
	s_delay_alu instid0(VALU_DEP_4)
	v_cndmask_b32_e64 v7, v7, v11, s0
	v_sub_nc_u32_e32 v12, 32, v4
	v_cndmask_b32_e64 v11, v11, v6, s0
	v_cndmask_b32_e64 v5, v6, v5, s0
	;; [unrolled: 1-line block ×4, first 2 shown]
	s_delay_alu instid0(VALU_DEP_4) | instskip(NEXT) | instid1(VALU_DEP_4)
	v_cndmask_b32_e64 v7, v7, v11, s1
	v_cndmask_b32_e64 v5, v11, v5, s1
	s_delay_alu instid0(VALU_DEP_3) | instskip(NEXT) | instid1(VALU_DEP_3)
	v_alignbit_b32 v13, v10, v8, v12
	v_alignbit_b32 v14, v8, v7, v12
	s_delay_alu instid0(VALU_DEP_3) | instskip(NEXT) | instid1(VALU_DEP_3)
	v_alignbit_b32 v12, v7, v5, v12
	v_cndmask_b32_e64 v4, v13, v10, s2
	s_delay_alu instid0(VALU_DEP_3) | instskip(NEXT) | instid1(VALU_DEP_3)
	v_cndmask_b32_e64 v8, v14, v8, s2
	v_cndmask_b32_e64 v7, v12, v7, s2
	s_delay_alu instid0(VALU_DEP_3) | instskip(NEXT) | instid1(VALU_DEP_3)
	v_bfe_u32 v9, v4, 29, 1
	v_alignbit_b32 v6, v4, v8, 30
	s_delay_alu instid0(VALU_DEP_3) | instskip(SKIP_1) | instid1(VALU_DEP_4)
	v_alignbit_b32 v8, v8, v7, 30
	v_alignbit_b32 v5, v7, v5, 30
	v_sub_nc_u32_e32 v10, 0, v9
	s_delay_alu instid0(VALU_DEP_1) | instskip(SKIP_3) | instid1(VALU_DEP_4)
	v_xor_b32_e32 v11, v6, v10
	v_cmp_ne_u32_e32 vcc_lo, v6, v10
	v_xor_b32_e32 v7, v8, v10
	v_xor_b32_e32 v5, v5, v10
	v_clz_i32_u32_e32 v13, v11
	s_delay_alu instid0(VALU_DEP_1) | instskip(NEXT) | instid1(VALU_DEP_1)
	v_add_nc_u32_e32 v12, 1, v13
	v_cndmask_b32_e32 v6, 33, v12, vcc_lo
	s_delay_alu instid0(VALU_DEP_1) | instskip(NEXT) | instid1(VALU_DEP_1)
	v_sub_nc_u32_e32 v8, 32, v6
	v_alignbit_b32 v10, v11, v7, v8
	v_alignbit_b32 v5, v7, v5, v8
	v_lshrrev_b32_e32 v7, 29, v4
	v_lshrrev_b32_e32 v4, 30, v4
	s_delay_alu instid0(VALU_DEP_3) | instskip(NEXT) | instid1(VALU_DEP_3)
	v_alignbit_b32 v8, v10, v5, 9
	v_lshlrev_b32_e32 v7, 31, v7
	v_alignbit_b32 v10, v6, v10, 9
	s_delay_alu instid0(VALU_DEP_3) | instskip(NEXT) | instid1(VALU_DEP_2)
	v_clz_i32_u32_e32 v11, v8
	v_or_b32_e32 v10, v10, v7
	v_or_b32_e32 v7, 0x33800000, v7
	s_delay_alu instid0(VALU_DEP_3) | instskip(NEXT) | instid1(VALU_DEP_3)
	v_min_u32_e32 v11, 32, v11
	v_xor_b32_e32 v10, 1.0, v10
	s_delay_alu instid0(VALU_DEP_2) | instskip(SKIP_1) | instid1(VALU_DEP_3)
	v_sub_nc_u32_e32 v12, 31, v11
	v_add_lshl_u32 v6, v11, v6, 23
	v_mul_f32_e32 v11, 0x3fc90fda, v10
	s_delay_alu instid0(VALU_DEP_3) | instskip(NEXT) | instid1(VALU_DEP_3)
	v_alignbit_b32 v5, v8, v5, v12
	v_sub_nc_u32_e32 v6, v7, v6
	s_delay_alu instid0(VALU_DEP_3) | instskip(NEXT) | instid1(VALU_DEP_3)
	v_fma_f32 v7, 0x3fc90fda, v10, -v11
	v_lshrrev_b32_e32 v5, 9, v5
	s_delay_alu instid0(VALU_DEP_2) | instskip(NEXT) | instid1(VALU_DEP_2)
	v_fmamk_f32 v7, v10, 0x33a22168, v7
	v_or_b32_e32 v5, v6, v5
	s_delay_alu instid0(VALU_DEP_1) | instskip(NEXT) | instid1(VALU_DEP_1)
	v_dual_fmac_f32 v7, 0x3fc90fda, v5 :: v_dual_add_nc_u32 v6, v9, v4
	v_add_f32_e32 v5, v11, v7
                                        ; implicit-def: $vgpr7
	s_and_not1_saveexec_b32 s0, s5
	s_cbranch_execnz .LBB57_41
	s_branch .LBB57_42
.LBB57_40:
	s_and_not1_saveexec_b32 s0, s5
.LBB57_41:
	v_rndne_f32_e32 v4, v7
	s_delay_alu instid0(VALU_DEP_1) | instskip(SKIP_1) | instid1(VALU_DEP_2)
	v_fma_f32 v5, 0xbfc90fda, v4, |v1|
	v_cvt_i32_f32_e32 v6, v4
	v_fmamk_f32 v5, v4, 0xb3a22168, v5
	s_delay_alu instid0(VALU_DEP_1)
	v_fmamk_f32 v5, v4, 0xa7c234c4, v5
.LBB57_42:
	s_or_b32 exec_lo, exec_lo, s0
	s_delay_alu instid0(VALU_DEP_1) | instskip(SKIP_3) | instid1(VALU_DEP_2)
	v_dual_mul_f32 v4, v0, v0 :: v_dual_mul_f32 v7, v5, v5
	s_mov_b32 s0, 0xb94c1982
	s_mov_b32 s1, 0x37d75334
	v_and_b32_e32 v10, 1, v2
	v_dual_fmaak_f32 v8, s0, v4, 0x3c0881c4 :: v_dual_fmaak_f32 v11, s0, v7, 0x3c0881c4
	v_dual_fmaak_f32 v9, s1, v4, 0xbab64f3b :: v_dual_fmaak_f32 v12, s1, v7, 0xbab64f3b
	s_delay_alu instid0(VALU_DEP_2) | instskip(NEXT) | instid1(VALU_DEP_3)
	v_dual_fmaak_f32 v8, v4, v8, 0xbe2aaa9d :: v_dual_and_b32 v13, 1, v6
	v_fmaak_f32 v11, v7, v11, 0xbe2aaa9d
	s_delay_alu instid0(VALU_DEP_3) | instskip(SKIP_1) | instid1(VALU_DEP_3)
	v_dual_fmaak_f32 v9, v4, v9, 0x3d2aabf7 :: v_dual_lshlrev_b32 v2, 30, v2
	v_cmp_eq_u32_e32 vcc_lo, 0, v10
	v_dual_mul_f32 v8, v4, v8 :: v_dual_mul_f32 v11, v7, v11
	v_fmaak_f32 v12, v7, v12, 0x3d2aabf7
	v_lshlrev_b32_e32 v6, 30, v6
	v_and_b32_e32 v2, 0x80000000, v2
	s_delay_alu instid0(VALU_DEP_4) | instskip(NEXT) | instid1(VALU_DEP_4)
	v_dual_fmac_f32 v0, v0, v8 :: v_dual_fmac_f32 v5, v5, v11
	v_dual_fmaak_f32 v9, v4, v9, 0xbf000004 :: v_dual_fmaak_f32 v12, v7, v12, 0xbf000004
	s_delay_alu instid0(VALU_DEP_4) | instskip(NEXT) | instid1(VALU_DEP_2)
	v_and_or_b32 v3, 0x80000000, v6, v3
	v_fma_f32 v4, v4, v9, 1.0
	s_delay_alu instid0(VALU_DEP_3) | instskip(NEXT) | instid1(VALU_DEP_2)
	v_fma_f32 v7, v7, v12, 1.0
	v_cndmask_b32_e64 v0, -v0, v4, vcc_lo
	v_cmp_eq_u32_e32 vcc_lo, 0, v13
	s_delay_alu instid0(VALU_DEP_2) | instskip(NEXT) | instid1(VALU_DEP_4)
	v_xor_b32_e32 v0, v2, v0
	v_cndmask_b32_e32 v4, v7, v5, vcc_lo
	v_cmp_class_f32_e64 vcc_lo, v1, 0x1f8
	s_delay_alu instid0(VALU_DEP_2) | instskip(NEXT) | instid1(VALU_DEP_4)
	v_xor3_b32 v3, v3, v4, v1
	v_cndmask_b32_e32 v2, 0x7fc00000, v0, vcc_lo
	s_delay_alu instid0(VALU_DEP_2)
	v_cndmask_b32_e32 v1, 0x7fc00000, v3, vcc_lo
.LBB57_43:
	s_or_b32 exec_lo, exec_lo, s4
                                        ; implicit-def: $vgpr0
	s_and_not1_saveexec_b32 s0, s3
	s_cbranch_execnz .LBB57_7
.LBB57_44:
	s_or_b32 exec_lo, exec_lo, s0
	v_mov_b32_e32 v0, v2
	s_setpc_b64 s[30:31]
.Lfunc_end57:
	.size	_ZN16c10_complex_math3expIfEEN3c107complexIT_EERKS4_, .Lfunc_end57-_ZN16c10_complex_math3expIfEEN3c107complexIT_EERKS4_
                                        ; -- End function
	.section	.AMDGPU.csdata,"",@progbits
; Function info:
; codeLenInByte = 6292
; NumSgprs: 34
; NumVgprs: 17
; ScratchSize: 0
; MemoryBound: 0
	.section	.text._ZN2at6native29vectorized_elementwise_kernelILi16EZZZNS0_15exp_kernel_cudaERNS_18TensorIteratorBaseEENKUlvE_clEvENKUlvE0_clEvEUlN3c107complexIfEEE_St5arrayIPcLm2EEEEviT0_T1_,"axG",@progbits,_ZN2at6native29vectorized_elementwise_kernelILi16EZZZNS0_15exp_kernel_cudaERNS_18TensorIteratorBaseEENKUlvE_clEvENKUlvE0_clEvEUlN3c107complexIfEEE_St5arrayIPcLm2EEEEviT0_T1_,comdat
	.globl	_ZN2at6native29vectorized_elementwise_kernelILi16EZZZNS0_15exp_kernel_cudaERNS_18TensorIteratorBaseEENKUlvE_clEvENKUlvE0_clEvEUlN3c107complexIfEEE_St5arrayIPcLm2EEEEviT0_T1_ ; -- Begin function _ZN2at6native29vectorized_elementwise_kernelILi16EZZZNS0_15exp_kernel_cudaERNS_18TensorIteratorBaseEENKUlvE_clEvENKUlvE0_clEvEUlN3c107complexIfEEE_St5arrayIPcLm2EEEEviT0_T1_
	.p2align	8
	.type	_ZN2at6native29vectorized_elementwise_kernelILi16EZZZNS0_15exp_kernel_cudaERNS_18TensorIteratorBaseEENKUlvE_clEvENKUlvE0_clEvEUlN3c107complexIfEEE_St5arrayIPcLm2EEEEviT0_T1_,@function
_ZN2at6native29vectorized_elementwise_kernelILi16EZZZNS0_15exp_kernel_cudaERNS_18TensorIteratorBaseEENKUlvE_clEvENKUlvE0_clEvEUlN3c107complexIfEEE_St5arrayIPcLm2EEEEviT0_T1_: ; @_ZN2at6native29vectorized_elementwise_kernelILi16EZZZNS0_15exp_kernel_cudaERNS_18TensorIteratorBaseEENKUlvE_clEvENKUlvE0_clEvEUlN3c107complexIfEEE_St5arrayIPcLm2EEEEviT0_T1_
; %bb.0:
	s_clause 0x1
	s_load_b32 s2, s[0:1], 0x0
	s_load_b128 s[16:19], s[0:1], 0x8
	s_lshl_b32 s10, s15, 10
	v_mov_b32_e32 v29, v0
	s_mov_b32 s0, -1
	s_mov_b32 s32, 0
	s_waitcnt lgkmcnt(0)
	s_sub_i32 s12, s2, s10
	s_delay_alu instid0(SALU_CYCLE_1)
	s_cmpk_gt_i32 s12, 0x3ff
	s_cbranch_scc0 .LBB58_2
; %bb.1:
	s_ashr_i32 s11, s10, 31
	v_lshlrev_b32_e32 v25, 5, v29
	s_lshl_b64 s[14:15], s[10:11], 3
	s_delay_alu instid0(SALU_CYCLE_1)
	s_add_u32 s0, s18, s14
	s_addc_u32 s1, s19, s15
	s_getpc_b64 s[20:21]
	s_add_u32 s20, s20, _ZN16c10_complex_math3expIfEEN3c107complexIT_EERKS4_@rel32@lo+4
	s_addc_u32 s21, s21, _ZN16c10_complex_math3expIfEEN3c107complexIT_EERKS4_@rel32@hi+12
	s_clause 0x1
	global_load_b128 v[17:20], v25, s[0:1]
	global_load_b128 v[21:24], v25, s[0:1] offset:16
	s_waitcnt vmcnt(1)
	v_dual_mov_b32 v0, v17 :: v_dual_mov_b32 v1, v18
	s_swappc_b64 s[30:31], s[20:21]
	s_delay_alu instid0(VALU_DEP_1) | instskip(SKIP_2) | instid1(VALU_DEP_1)
	v_dual_mov_b32 v17, v0 :: v_dual_mov_b32 v18, v1
	v_dual_mov_b32 v0, v19 :: v_dual_mov_b32 v1, v20
	s_swappc_b64 s[30:31], s[20:21]
	v_dual_mov_b32 v19, v0 :: v_dual_mov_b32 v20, v1
	v_dual_mov_b32 v0, v21 :: v_dual_mov_b32 v1, v22
	s_swappc_b64 s[30:31], s[20:21]
	s_delay_alu instid0(VALU_DEP_1) | instskip(SKIP_2) | instid1(VALU_DEP_1)
	v_dual_mov_b32 v21, v0 :: v_dual_mov_b32 v22, v1
	v_dual_mov_b32 v0, v23 :: v_dual_mov_b32 v1, v24
	s_swappc_b64 s[30:31], s[20:21]
	v_dual_mov_b32 v23, v0 :: v_dual_mov_b32 v24, v1
	s_add_u32 s2, s16, s14
	s_addc_u32 s3, s17, s15
	s_mov_b32 s0, 0
	s_clause 0x1
	global_store_b128 v25, v[17:20], s[2:3]
	global_store_b128 v25, v[21:24], s[2:3] offset:16
.LBB58_2:
	s_and_not1_b32 vcc_lo, exec_lo, s0
	s_cbranch_vccnz .LBB58_23
; %bb.3:
	v_cmp_gt_i32_e64 s9, s12, v29
	v_dual_mov_b32 v18, 0 :: v_dual_mov_b32 v1, 0
	v_or_b32_e32 v30, s10, v29
	v_or_b32_e32 v32, 0x100, v29
	v_mov_b32_e32 v0, 0
	v_mov_b32_e32 v2, v29
	s_and_saveexec_b32 s0, s9
	s_cbranch_execz .LBB58_5
; %bb.4:
	v_mov_b32_e32 v31, 0
	v_or_b32_e32 v2, 0x100, v29
	s_delay_alu instid0(VALU_DEP_2) | instskip(NEXT) | instid1(VALU_DEP_1)
	v_lshlrev_b64 v[0:1], 3, v[30:31]
	v_add_co_u32 v0, vcc_lo, s18, v0
	s_delay_alu instid0(VALU_DEP_2)
	v_add_co_ci_u32_e32 v1, vcc_lo, s19, v1, vcc_lo
	global_load_b64 v[0:1], v[0:1], off
.LBB58_5:
	s_or_b32 exec_lo, exec_lo, s0
	v_mov_b32_e32 v17, 0
	s_mov_b32 s0, exec_lo
	v_cmpx_gt_i32_e64 s12, v2
	s_cbranch_execz .LBB58_7
; %bb.6:
	v_dual_mov_b32 v4, 0 :: v_dual_add_nc_u32 v3, s10, v2
	v_add_nc_u32_e32 v2, 0x100, v2
	s_delay_alu instid0(VALU_DEP_2) | instskip(NEXT) | instid1(VALU_DEP_1)
	v_lshlrev_b64 v[3:4], 3, v[3:4]
	v_add_co_u32 v3, vcc_lo, s18, v3
	s_delay_alu instid0(VALU_DEP_2)
	v_add_co_ci_u32_e32 v4, vcc_lo, s19, v4, vcc_lo
	global_load_b64 v[17:18], v[3:4], off
.LBB58_7:
	s_or_b32 exec_lo, exec_lo, s0
	v_dual_mov_b32 v22, 0 :: v_dual_mov_b32 v27, 0
	v_mov_b32_e32 v28, 0
	s_mov_b32 s0, exec_lo
	v_cmpx_gt_i32_e64 s12, v2
	s_cbranch_execz .LBB58_9
; %bb.8:
	v_dual_mov_b32 v4, 0 :: v_dual_add_nc_u32 v3, s10, v2
	v_add_nc_u32_e32 v2, 0x100, v2
	s_delay_alu instid0(VALU_DEP_2) | instskip(NEXT) | instid1(VALU_DEP_1)
	v_lshlrev_b64 v[3:4], 3, v[3:4]
	v_add_co_u32 v3, vcc_lo, s18, v3
	s_delay_alu instid0(VALU_DEP_2)
	v_add_co_ci_u32_e32 v4, vcc_lo, s19, v4, vcc_lo
	global_load_b64 v[27:28], v[3:4], off
.LBB58_9:
	s_or_b32 exec_lo, exec_lo, s0
	v_mov_b32_e32 v21, 0
	s_mov_b32 s0, exec_lo
	v_cmpx_gt_i32_e64 s12, v2
	s_cbranch_execz .LBB58_11
; %bb.10:
	v_dual_mov_b32 v3, 0 :: v_dual_add_nc_u32 v2, s10, v2
	s_delay_alu instid0(VALU_DEP_1) | instskip(NEXT) | instid1(VALU_DEP_1)
	v_lshlrev_b64 v[2:3], 3, v[2:3]
	v_add_co_u32 v2, vcc_lo, s18, v2
	s_delay_alu instid0(VALU_DEP_2)
	v_add_co_ci_u32_e32 v3, vcc_lo, s19, v3, vcc_lo
	global_load_b64 v[21:22], v[2:3], off
.LBB58_11:
	s_or_b32 exec_lo, exec_lo, s0
	v_dual_mov_b32 v20, 0 :: v_dual_mov_b32 v23, 0
	v_mov_b32_e32 v24, 0
	s_and_saveexec_b32 s11, s9
	s_cbranch_execz .LBB58_13
; %bb.12:
	s_getpc_b64 s[0:1]
	s_add_u32 s0, s0, _ZN16c10_complex_math3expIfEEN3c107complexIT_EERKS4_@rel32@lo+4
	s_addc_u32 s1, s1, _ZN16c10_complex_math3expIfEEN3c107complexIT_EERKS4_@rel32@hi+12
	s_delay_alu instid0(SALU_CYCLE_1)
	s_swappc_b64 s[30:31], s[0:1]
	v_dual_mov_b32 v23, v0 :: v_dual_mov_b32 v24, v1
.LBB58_13:
	s_or_b32 exec_lo, exec_lo, s11
	v_mov_b32_e32 v19, 0
	s_mov_b32 s11, exec_lo
	v_cmpx_gt_i32_e64 s12, v32
	s_cbranch_execz .LBB58_15
; %bb.14:
	s_waitcnt vmcnt(0)
	v_dual_mov_b32 v0, v17 :: v_dual_mov_b32 v1, v18
	s_getpc_b64 s[0:1]
	s_add_u32 s0, s0, _ZN16c10_complex_math3expIfEEN3c107complexIT_EERKS4_@rel32@lo+4
	s_addc_u32 s1, s1, _ZN16c10_complex_math3expIfEEN3c107complexIT_EERKS4_@rel32@hi+12
	s_delay_alu instid0(SALU_CYCLE_1)
	s_swappc_b64 s[30:31], s[0:1]
	v_dual_mov_b32 v19, v0 :: v_dual_mov_b32 v20, v1
.LBB58_15:
	s_or_b32 exec_lo, exec_lo, s11
	s_waitcnt vmcnt(0)
	v_or_b32_e32 v0, 0x200, v29
	v_dual_mov_b32 v18, 0 :: v_dual_mov_b32 v25, 0
	v_mov_b32_e32 v26, 0
	s_mov_b32 s11, exec_lo
	s_delay_alu instid0(VALU_DEP_3)
	v_cmpx_gt_i32_e64 s12, v0
	s_cbranch_execz .LBB58_17
; %bb.16:
	v_dual_mov_b32 v0, v27 :: v_dual_mov_b32 v1, v28
	s_getpc_b64 s[0:1]
	s_add_u32 s0, s0, _ZN16c10_complex_math3expIfEEN3c107complexIT_EERKS4_@rel32@lo+4
	s_addc_u32 s1, s1, _ZN16c10_complex_math3expIfEEN3c107complexIT_EERKS4_@rel32@hi+12
	s_delay_alu instid0(SALU_CYCLE_1)
	s_swappc_b64 s[30:31], s[0:1]
	v_dual_mov_b32 v25, v0 :: v_dual_mov_b32 v26, v1
.LBB58_17:
	s_or_b32 exec_lo, exec_lo, s11
	v_or_b32_e32 v0, 0x300, v29
	v_mov_b32_e32 v17, 0
	s_mov_b32 s11, exec_lo
	s_delay_alu instid0(VALU_DEP_2)
	v_cmpx_gt_i32_e64 s12, v0
	s_cbranch_execnz .LBB58_24
; %bb.18:
	s_or_b32 exec_lo, exec_lo, s11
	s_and_saveexec_b32 s0, s9
	s_delay_alu instid0(SALU_CYCLE_1)
	s_xor_b32 s0, exec_lo, s0
	s_cbranch_execnz .LBB58_25
.LBB58_19:
	s_or_b32 exec_lo, exec_lo, s0
	s_delay_alu instid0(SALU_CYCLE_1)
	s_mov_b32 s0, exec_lo
	v_cmpx_gt_i32_e64 s12, v29
	s_cbranch_execnz .LBB58_26
.LBB58_20:
	s_or_b32 exec_lo, exec_lo, s0
	s_delay_alu instid0(SALU_CYCLE_1)
	s_mov_b32 s0, exec_lo
	v_cmpx_gt_i32_e64 s12, v29
	s_cbranch_execnz .LBB58_27
.LBB58_21:
	s_or_b32 exec_lo, exec_lo, s0
	s_delay_alu instid0(SALU_CYCLE_1)
	s_mov_b32 s0, exec_lo
	v_cmpx_gt_i32_e64 s12, v29
	s_cbranch_execz .LBB58_23
.LBB58_22:
	v_dual_mov_b32 v1, 0 :: v_dual_add_nc_u32 v0, s10, v29
	s_delay_alu instid0(VALU_DEP_1) | instskip(NEXT) | instid1(VALU_DEP_1)
	v_lshlrev_b64 v[0:1], 3, v[0:1]
	v_add_co_u32 v0, vcc_lo, s16, v0
	s_delay_alu instid0(VALU_DEP_2)
	v_add_co_ci_u32_e32 v1, vcc_lo, s17, v1, vcc_lo
	global_store_b64 v[0:1], v[17:18], off
.LBB58_23:
	s_endpgm
.LBB58_24:
	v_dual_mov_b32 v0, v21 :: v_dual_mov_b32 v1, v22
	s_getpc_b64 s[0:1]
	s_add_u32 s0, s0, _ZN16c10_complex_math3expIfEEN3c107complexIT_EERKS4_@rel32@lo+4
	s_addc_u32 s1, s1, _ZN16c10_complex_math3expIfEEN3c107complexIT_EERKS4_@rel32@hi+12
	s_delay_alu instid0(SALU_CYCLE_1) | instskip(SKIP_3) | instid1(SALU_CYCLE_1)
	s_swappc_b64 s[30:31], s[0:1]
	v_dual_mov_b32 v17, v0 :: v_dual_mov_b32 v18, v1
	s_or_b32 exec_lo, exec_lo, s11
	s_and_saveexec_b32 s0, s9
	s_xor_b32 s0, exec_lo, s0
	s_cbranch_execz .LBB58_19
.LBB58_25:
	v_mov_b32_e32 v31, 0
	v_mov_b32_e32 v29, v32
	s_delay_alu instid0(VALU_DEP_2) | instskip(NEXT) | instid1(VALU_DEP_1)
	v_lshlrev_b64 v[0:1], 3, v[30:31]
	v_add_co_u32 v0, vcc_lo, s16, v0
	s_delay_alu instid0(VALU_DEP_2) | instskip(SKIP_2) | instid1(SALU_CYCLE_1)
	v_add_co_ci_u32_e32 v1, vcc_lo, s17, v1, vcc_lo
	global_store_b64 v[0:1], v[23:24], off
	s_or_b32 exec_lo, exec_lo, s0
	s_mov_b32 s0, exec_lo
	v_cmpx_gt_i32_e64 s12, v29
	s_cbranch_execz .LBB58_20
.LBB58_26:
	v_dual_mov_b32 v1, 0 :: v_dual_add_nc_u32 v0, s10, v29
	v_add_nc_u32_e32 v29, 0x100, v29
	s_delay_alu instid0(VALU_DEP_2) | instskip(NEXT) | instid1(VALU_DEP_1)
	v_lshlrev_b64 v[0:1], 3, v[0:1]
	v_add_co_u32 v0, vcc_lo, s16, v0
	s_delay_alu instid0(VALU_DEP_2) | instskip(SKIP_2) | instid1(SALU_CYCLE_1)
	v_add_co_ci_u32_e32 v1, vcc_lo, s17, v1, vcc_lo
	global_store_b64 v[0:1], v[19:20], off
	s_or_b32 exec_lo, exec_lo, s0
	s_mov_b32 s0, exec_lo
	v_cmpx_gt_i32_e64 s12, v29
	s_cbranch_execz .LBB58_21
.LBB58_27:
	v_dual_mov_b32 v1, 0 :: v_dual_add_nc_u32 v0, s10, v29
	v_add_nc_u32_e32 v29, 0x100, v29
	s_delay_alu instid0(VALU_DEP_2) | instskip(NEXT) | instid1(VALU_DEP_1)
	v_lshlrev_b64 v[0:1], 3, v[0:1]
	v_add_co_u32 v0, vcc_lo, s16, v0
	s_delay_alu instid0(VALU_DEP_2) | instskip(SKIP_2) | instid1(SALU_CYCLE_1)
	v_add_co_ci_u32_e32 v1, vcc_lo, s17, v1, vcc_lo
	global_store_b64 v[0:1], v[25:26], off
	s_or_b32 exec_lo, exec_lo, s0
	s_mov_b32 s0, exec_lo
	v_cmpx_gt_i32_e64 s12, v29
	s_cbranch_execnz .LBB58_22
	s_branch .LBB58_23
	.section	.rodata,"a",@progbits
	.p2align	6, 0x0
	.amdhsa_kernel _ZN2at6native29vectorized_elementwise_kernelILi16EZZZNS0_15exp_kernel_cudaERNS_18TensorIteratorBaseEENKUlvE_clEvENKUlvE0_clEvEUlN3c107complexIfEEE_St5arrayIPcLm2EEEEviT0_T1_
		.amdhsa_group_segment_fixed_size 0
		.amdhsa_private_segment_fixed_size 0
		.amdhsa_kernarg_size 24
		.amdhsa_user_sgpr_count 15
		.amdhsa_user_sgpr_dispatch_ptr 0
		.amdhsa_user_sgpr_queue_ptr 0
		.amdhsa_user_sgpr_kernarg_segment_ptr 1
		.amdhsa_user_sgpr_dispatch_id 0
		.amdhsa_user_sgpr_private_segment_size 0
		.amdhsa_wavefront_size32 1
		.amdhsa_uses_dynamic_stack 0
		.amdhsa_enable_private_segment 0
		.amdhsa_system_sgpr_workgroup_id_x 1
		.amdhsa_system_sgpr_workgroup_id_y 0
		.amdhsa_system_sgpr_workgroup_id_z 0
		.amdhsa_system_sgpr_workgroup_info 0
		.amdhsa_system_vgpr_workitem_id 0
		.amdhsa_next_free_vgpr 33
		.amdhsa_next_free_sgpr 33
		.amdhsa_reserve_vcc 1
		.amdhsa_float_round_mode_32 0
		.amdhsa_float_round_mode_16_64 0
		.amdhsa_float_denorm_mode_32 3
		.amdhsa_float_denorm_mode_16_64 3
		.amdhsa_dx10_clamp 1
		.amdhsa_ieee_mode 1
		.amdhsa_fp16_overflow 0
		.amdhsa_workgroup_processor_mode 1
		.amdhsa_memory_ordered 1
		.amdhsa_forward_progress 0
		.amdhsa_shared_vgpr_count 0
		.amdhsa_exception_fp_ieee_invalid_op 0
		.amdhsa_exception_fp_denorm_src 0
		.amdhsa_exception_fp_ieee_div_zero 0
		.amdhsa_exception_fp_ieee_overflow 0
		.amdhsa_exception_fp_ieee_underflow 0
		.amdhsa_exception_fp_ieee_inexact 0
		.amdhsa_exception_int_div_zero 0
	.end_amdhsa_kernel
	.section	.text._ZN2at6native29vectorized_elementwise_kernelILi16EZZZNS0_15exp_kernel_cudaERNS_18TensorIteratorBaseEENKUlvE_clEvENKUlvE0_clEvEUlN3c107complexIfEEE_St5arrayIPcLm2EEEEviT0_T1_,"axG",@progbits,_ZN2at6native29vectorized_elementwise_kernelILi16EZZZNS0_15exp_kernel_cudaERNS_18TensorIteratorBaseEENKUlvE_clEvENKUlvE0_clEvEUlN3c107complexIfEEE_St5arrayIPcLm2EEEEviT0_T1_,comdat
.Lfunc_end58:
	.size	_ZN2at6native29vectorized_elementwise_kernelILi16EZZZNS0_15exp_kernel_cudaERNS_18TensorIteratorBaseEENKUlvE_clEvENKUlvE0_clEvEUlN3c107complexIfEEE_St5arrayIPcLm2EEEEviT0_T1_, .Lfunc_end58-_ZN2at6native29vectorized_elementwise_kernelILi16EZZZNS0_15exp_kernel_cudaERNS_18TensorIteratorBaseEENKUlvE_clEvENKUlvE0_clEvEUlN3c107complexIfEEE_St5arrayIPcLm2EEEEviT0_T1_
                                        ; -- End function
	.section	.AMDGPU.csdata,"",@progbits
; Kernel info:
; codeLenInByte = 1244
; NumSgprs: 35
; NumVgprs: 33
; ScratchSize: 0
; MemoryBound: 0
; FloatMode: 240
; IeeeMode: 1
; LDSByteSize: 0 bytes/workgroup (compile time only)
; SGPRBlocks: 4
; VGPRBlocks: 4
; NumSGPRsForWavesPerEU: 35
; NumVGPRsForWavesPerEU: 33
; Occupancy: 16
; WaveLimiterHint : 0
; COMPUTE_PGM_RSRC2:SCRATCH_EN: 0
; COMPUTE_PGM_RSRC2:USER_SGPR: 15
; COMPUTE_PGM_RSRC2:TRAP_HANDLER: 0
; COMPUTE_PGM_RSRC2:TGID_X_EN: 1
; COMPUTE_PGM_RSRC2:TGID_Y_EN: 0
; COMPUTE_PGM_RSRC2:TGID_Z_EN: 0
; COMPUTE_PGM_RSRC2:TIDIG_COMP_CNT: 0
	.section	.text._ZN2at6native29vectorized_elementwise_kernelILi8EZZZNS0_15exp_kernel_cudaERNS_18TensorIteratorBaseEENKUlvE_clEvENKUlvE0_clEvEUlN3c107complexIfEEE_St5arrayIPcLm2EEEEviT0_T1_,"axG",@progbits,_ZN2at6native29vectorized_elementwise_kernelILi8EZZZNS0_15exp_kernel_cudaERNS_18TensorIteratorBaseEENKUlvE_clEvENKUlvE0_clEvEUlN3c107complexIfEEE_St5arrayIPcLm2EEEEviT0_T1_,comdat
	.globl	_ZN2at6native29vectorized_elementwise_kernelILi8EZZZNS0_15exp_kernel_cudaERNS_18TensorIteratorBaseEENKUlvE_clEvENKUlvE0_clEvEUlN3c107complexIfEEE_St5arrayIPcLm2EEEEviT0_T1_ ; -- Begin function _ZN2at6native29vectorized_elementwise_kernelILi8EZZZNS0_15exp_kernel_cudaERNS_18TensorIteratorBaseEENKUlvE_clEvENKUlvE0_clEvEUlN3c107complexIfEEE_St5arrayIPcLm2EEEEviT0_T1_
	.p2align	8
	.type	_ZN2at6native29vectorized_elementwise_kernelILi8EZZZNS0_15exp_kernel_cudaERNS_18TensorIteratorBaseEENKUlvE_clEvENKUlvE0_clEvEUlN3c107complexIfEEE_St5arrayIPcLm2EEEEviT0_T1_,@function
_ZN2at6native29vectorized_elementwise_kernelILi8EZZZNS0_15exp_kernel_cudaERNS_18TensorIteratorBaseEENKUlvE_clEvENKUlvE0_clEvEUlN3c107complexIfEEE_St5arrayIPcLm2EEEEviT0_T1_: ; @_ZN2at6native29vectorized_elementwise_kernelILi8EZZZNS0_15exp_kernel_cudaERNS_18TensorIteratorBaseEENKUlvE_clEvENKUlvE0_clEvEUlN3c107complexIfEEE_St5arrayIPcLm2EEEEviT0_T1_
; %bb.0:
	s_clause 0x1
	s_load_b32 s2, s[0:1], 0x0
	s_load_b128 s[16:19], s[0:1], 0x8
	s_lshl_b32 s10, s15, 10
	v_mov_b32_e32 v29, v0
	s_mov_b32 s0, -1
	s_mov_b32 s32, 0
	s_waitcnt lgkmcnt(0)
	s_sub_i32 s12, s2, s10
	s_delay_alu instid0(SALU_CYCLE_1)
	s_cmpk_gt_i32 s12, 0x3ff
	s_cbranch_scc0 .LBB59_2
; %bb.1:
	s_ashr_i32 s11, s10, 31
	v_lshlrev_b32_e32 v25, 5, v29
	s_lshl_b64 s[14:15], s[10:11], 3
	s_delay_alu instid0(SALU_CYCLE_1)
	s_add_u32 s0, s18, s14
	s_addc_u32 s1, s19, s15
	s_getpc_b64 s[20:21]
	s_add_u32 s20, s20, _ZN16c10_complex_math3expIfEEN3c107complexIT_EERKS4_@rel32@lo+4
	s_addc_u32 s21, s21, _ZN16c10_complex_math3expIfEEN3c107complexIT_EERKS4_@rel32@hi+12
	s_clause 0x1
	global_load_b128 v[17:20], v25, s[0:1]
	global_load_b128 v[21:24], v25, s[0:1] offset:16
	s_waitcnt vmcnt(1)
	v_dual_mov_b32 v0, v17 :: v_dual_mov_b32 v1, v18
	s_swappc_b64 s[30:31], s[20:21]
	s_delay_alu instid0(VALU_DEP_1) | instskip(SKIP_2) | instid1(VALU_DEP_1)
	v_dual_mov_b32 v17, v0 :: v_dual_mov_b32 v18, v1
	v_dual_mov_b32 v0, v19 :: v_dual_mov_b32 v1, v20
	s_swappc_b64 s[30:31], s[20:21]
	v_dual_mov_b32 v19, v0 :: v_dual_mov_b32 v20, v1
	v_dual_mov_b32 v0, v21 :: v_dual_mov_b32 v1, v22
	s_swappc_b64 s[30:31], s[20:21]
	s_delay_alu instid0(VALU_DEP_1) | instskip(SKIP_2) | instid1(VALU_DEP_1)
	v_dual_mov_b32 v21, v0 :: v_dual_mov_b32 v22, v1
	v_dual_mov_b32 v0, v23 :: v_dual_mov_b32 v1, v24
	s_swappc_b64 s[30:31], s[20:21]
	v_dual_mov_b32 v23, v0 :: v_dual_mov_b32 v24, v1
	s_add_u32 s2, s16, s14
	s_addc_u32 s3, s17, s15
	s_mov_b32 s0, 0
	s_clause 0x1
	global_store_b128 v25, v[17:20], s[2:3]
	global_store_b128 v25, v[21:24], s[2:3] offset:16
.LBB59_2:
	s_and_not1_b32 vcc_lo, exec_lo, s0
	s_cbranch_vccnz .LBB59_23
; %bb.3:
	v_cmp_gt_i32_e64 s9, s12, v29
	v_dual_mov_b32 v18, 0 :: v_dual_mov_b32 v1, 0
	v_or_b32_e32 v30, s10, v29
	v_or_b32_e32 v32, 0x100, v29
	v_mov_b32_e32 v0, 0
	v_mov_b32_e32 v2, v29
	s_and_saveexec_b32 s0, s9
	s_cbranch_execz .LBB59_5
; %bb.4:
	v_mov_b32_e32 v31, 0
	v_or_b32_e32 v2, 0x100, v29
	s_delay_alu instid0(VALU_DEP_2) | instskip(NEXT) | instid1(VALU_DEP_1)
	v_lshlrev_b64 v[0:1], 3, v[30:31]
	v_add_co_u32 v0, vcc_lo, s18, v0
	s_delay_alu instid0(VALU_DEP_2)
	v_add_co_ci_u32_e32 v1, vcc_lo, s19, v1, vcc_lo
	global_load_b64 v[0:1], v[0:1], off
.LBB59_5:
	s_or_b32 exec_lo, exec_lo, s0
	v_mov_b32_e32 v17, 0
	s_mov_b32 s0, exec_lo
	v_cmpx_gt_i32_e64 s12, v2
	s_cbranch_execz .LBB59_7
; %bb.6:
	v_dual_mov_b32 v4, 0 :: v_dual_add_nc_u32 v3, s10, v2
	v_add_nc_u32_e32 v2, 0x100, v2
	s_delay_alu instid0(VALU_DEP_2) | instskip(NEXT) | instid1(VALU_DEP_1)
	v_lshlrev_b64 v[3:4], 3, v[3:4]
	v_add_co_u32 v3, vcc_lo, s18, v3
	s_delay_alu instid0(VALU_DEP_2)
	v_add_co_ci_u32_e32 v4, vcc_lo, s19, v4, vcc_lo
	global_load_b64 v[17:18], v[3:4], off
.LBB59_7:
	s_or_b32 exec_lo, exec_lo, s0
	v_dual_mov_b32 v22, 0 :: v_dual_mov_b32 v27, 0
	v_mov_b32_e32 v28, 0
	s_mov_b32 s0, exec_lo
	v_cmpx_gt_i32_e64 s12, v2
	s_cbranch_execz .LBB59_9
; %bb.8:
	v_dual_mov_b32 v4, 0 :: v_dual_add_nc_u32 v3, s10, v2
	v_add_nc_u32_e32 v2, 0x100, v2
	s_delay_alu instid0(VALU_DEP_2) | instskip(NEXT) | instid1(VALU_DEP_1)
	v_lshlrev_b64 v[3:4], 3, v[3:4]
	v_add_co_u32 v3, vcc_lo, s18, v3
	s_delay_alu instid0(VALU_DEP_2)
	v_add_co_ci_u32_e32 v4, vcc_lo, s19, v4, vcc_lo
	global_load_b64 v[27:28], v[3:4], off
.LBB59_9:
	s_or_b32 exec_lo, exec_lo, s0
	v_mov_b32_e32 v21, 0
	s_mov_b32 s0, exec_lo
	v_cmpx_gt_i32_e64 s12, v2
	s_cbranch_execz .LBB59_11
; %bb.10:
	v_dual_mov_b32 v3, 0 :: v_dual_add_nc_u32 v2, s10, v2
	s_delay_alu instid0(VALU_DEP_1) | instskip(NEXT) | instid1(VALU_DEP_1)
	v_lshlrev_b64 v[2:3], 3, v[2:3]
	v_add_co_u32 v2, vcc_lo, s18, v2
	s_delay_alu instid0(VALU_DEP_2)
	v_add_co_ci_u32_e32 v3, vcc_lo, s19, v3, vcc_lo
	global_load_b64 v[21:22], v[2:3], off
.LBB59_11:
	s_or_b32 exec_lo, exec_lo, s0
	v_dual_mov_b32 v20, 0 :: v_dual_mov_b32 v23, 0
	v_mov_b32_e32 v24, 0
	s_and_saveexec_b32 s11, s9
	s_cbranch_execz .LBB59_13
; %bb.12:
	s_getpc_b64 s[0:1]
	s_add_u32 s0, s0, _ZN16c10_complex_math3expIfEEN3c107complexIT_EERKS4_@rel32@lo+4
	s_addc_u32 s1, s1, _ZN16c10_complex_math3expIfEEN3c107complexIT_EERKS4_@rel32@hi+12
	s_delay_alu instid0(SALU_CYCLE_1)
	s_swappc_b64 s[30:31], s[0:1]
	v_dual_mov_b32 v23, v0 :: v_dual_mov_b32 v24, v1
.LBB59_13:
	s_or_b32 exec_lo, exec_lo, s11
	v_mov_b32_e32 v19, 0
	s_mov_b32 s11, exec_lo
	v_cmpx_gt_i32_e64 s12, v32
	s_cbranch_execz .LBB59_15
; %bb.14:
	s_waitcnt vmcnt(0)
	v_dual_mov_b32 v0, v17 :: v_dual_mov_b32 v1, v18
	s_getpc_b64 s[0:1]
	s_add_u32 s0, s0, _ZN16c10_complex_math3expIfEEN3c107complexIT_EERKS4_@rel32@lo+4
	s_addc_u32 s1, s1, _ZN16c10_complex_math3expIfEEN3c107complexIT_EERKS4_@rel32@hi+12
	s_delay_alu instid0(SALU_CYCLE_1)
	s_swappc_b64 s[30:31], s[0:1]
	v_dual_mov_b32 v19, v0 :: v_dual_mov_b32 v20, v1
.LBB59_15:
	s_or_b32 exec_lo, exec_lo, s11
	s_waitcnt vmcnt(0)
	v_or_b32_e32 v0, 0x200, v29
	v_dual_mov_b32 v18, 0 :: v_dual_mov_b32 v25, 0
	v_mov_b32_e32 v26, 0
	s_mov_b32 s11, exec_lo
	s_delay_alu instid0(VALU_DEP_3)
	v_cmpx_gt_i32_e64 s12, v0
	s_cbranch_execz .LBB59_17
; %bb.16:
	v_dual_mov_b32 v0, v27 :: v_dual_mov_b32 v1, v28
	s_getpc_b64 s[0:1]
	s_add_u32 s0, s0, _ZN16c10_complex_math3expIfEEN3c107complexIT_EERKS4_@rel32@lo+4
	s_addc_u32 s1, s1, _ZN16c10_complex_math3expIfEEN3c107complexIT_EERKS4_@rel32@hi+12
	s_delay_alu instid0(SALU_CYCLE_1)
	s_swappc_b64 s[30:31], s[0:1]
	v_dual_mov_b32 v25, v0 :: v_dual_mov_b32 v26, v1
.LBB59_17:
	s_or_b32 exec_lo, exec_lo, s11
	v_or_b32_e32 v0, 0x300, v29
	v_mov_b32_e32 v17, 0
	s_mov_b32 s11, exec_lo
	s_delay_alu instid0(VALU_DEP_2)
	v_cmpx_gt_i32_e64 s12, v0
	s_cbranch_execnz .LBB59_24
; %bb.18:
	s_or_b32 exec_lo, exec_lo, s11
	s_and_saveexec_b32 s0, s9
	s_delay_alu instid0(SALU_CYCLE_1)
	s_xor_b32 s0, exec_lo, s0
	s_cbranch_execnz .LBB59_25
.LBB59_19:
	s_or_b32 exec_lo, exec_lo, s0
	s_delay_alu instid0(SALU_CYCLE_1)
	s_mov_b32 s0, exec_lo
	v_cmpx_gt_i32_e64 s12, v29
	s_cbranch_execnz .LBB59_26
.LBB59_20:
	s_or_b32 exec_lo, exec_lo, s0
	s_delay_alu instid0(SALU_CYCLE_1)
	s_mov_b32 s0, exec_lo
	v_cmpx_gt_i32_e64 s12, v29
	s_cbranch_execnz .LBB59_27
.LBB59_21:
	s_or_b32 exec_lo, exec_lo, s0
	s_delay_alu instid0(SALU_CYCLE_1)
	s_mov_b32 s0, exec_lo
	v_cmpx_gt_i32_e64 s12, v29
	s_cbranch_execz .LBB59_23
.LBB59_22:
	v_dual_mov_b32 v1, 0 :: v_dual_add_nc_u32 v0, s10, v29
	s_delay_alu instid0(VALU_DEP_1) | instskip(NEXT) | instid1(VALU_DEP_1)
	v_lshlrev_b64 v[0:1], 3, v[0:1]
	v_add_co_u32 v0, vcc_lo, s16, v0
	s_delay_alu instid0(VALU_DEP_2)
	v_add_co_ci_u32_e32 v1, vcc_lo, s17, v1, vcc_lo
	global_store_b64 v[0:1], v[17:18], off
.LBB59_23:
	s_endpgm
.LBB59_24:
	v_dual_mov_b32 v0, v21 :: v_dual_mov_b32 v1, v22
	s_getpc_b64 s[0:1]
	s_add_u32 s0, s0, _ZN16c10_complex_math3expIfEEN3c107complexIT_EERKS4_@rel32@lo+4
	s_addc_u32 s1, s1, _ZN16c10_complex_math3expIfEEN3c107complexIT_EERKS4_@rel32@hi+12
	s_delay_alu instid0(SALU_CYCLE_1) | instskip(SKIP_3) | instid1(SALU_CYCLE_1)
	s_swappc_b64 s[30:31], s[0:1]
	v_dual_mov_b32 v17, v0 :: v_dual_mov_b32 v18, v1
	s_or_b32 exec_lo, exec_lo, s11
	s_and_saveexec_b32 s0, s9
	s_xor_b32 s0, exec_lo, s0
	s_cbranch_execz .LBB59_19
.LBB59_25:
	v_mov_b32_e32 v31, 0
	v_mov_b32_e32 v29, v32
	s_delay_alu instid0(VALU_DEP_2) | instskip(NEXT) | instid1(VALU_DEP_1)
	v_lshlrev_b64 v[0:1], 3, v[30:31]
	v_add_co_u32 v0, vcc_lo, s16, v0
	s_delay_alu instid0(VALU_DEP_2) | instskip(SKIP_2) | instid1(SALU_CYCLE_1)
	v_add_co_ci_u32_e32 v1, vcc_lo, s17, v1, vcc_lo
	global_store_b64 v[0:1], v[23:24], off
	s_or_b32 exec_lo, exec_lo, s0
	s_mov_b32 s0, exec_lo
	v_cmpx_gt_i32_e64 s12, v29
	s_cbranch_execz .LBB59_20
.LBB59_26:
	v_dual_mov_b32 v1, 0 :: v_dual_add_nc_u32 v0, s10, v29
	v_add_nc_u32_e32 v29, 0x100, v29
	s_delay_alu instid0(VALU_DEP_2) | instskip(NEXT) | instid1(VALU_DEP_1)
	v_lshlrev_b64 v[0:1], 3, v[0:1]
	v_add_co_u32 v0, vcc_lo, s16, v0
	s_delay_alu instid0(VALU_DEP_2) | instskip(SKIP_2) | instid1(SALU_CYCLE_1)
	v_add_co_ci_u32_e32 v1, vcc_lo, s17, v1, vcc_lo
	global_store_b64 v[0:1], v[19:20], off
	s_or_b32 exec_lo, exec_lo, s0
	s_mov_b32 s0, exec_lo
	v_cmpx_gt_i32_e64 s12, v29
	s_cbranch_execz .LBB59_21
.LBB59_27:
	v_dual_mov_b32 v1, 0 :: v_dual_add_nc_u32 v0, s10, v29
	v_add_nc_u32_e32 v29, 0x100, v29
	s_delay_alu instid0(VALU_DEP_2) | instskip(NEXT) | instid1(VALU_DEP_1)
	v_lshlrev_b64 v[0:1], 3, v[0:1]
	v_add_co_u32 v0, vcc_lo, s16, v0
	s_delay_alu instid0(VALU_DEP_2) | instskip(SKIP_2) | instid1(SALU_CYCLE_1)
	v_add_co_ci_u32_e32 v1, vcc_lo, s17, v1, vcc_lo
	global_store_b64 v[0:1], v[25:26], off
	s_or_b32 exec_lo, exec_lo, s0
	s_mov_b32 s0, exec_lo
	v_cmpx_gt_i32_e64 s12, v29
	s_cbranch_execnz .LBB59_22
	s_branch .LBB59_23
	.section	.rodata,"a",@progbits
	.p2align	6, 0x0
	.amdhsa_kernel _ZN2at6native29vectorized_elementwise_kernelILi8EZZZNS0_15exp_kernel_cudaERNS_18TensorIteratorBaseEENKUlvE_clEvENKUlvE0_clEvEUlN3c107complexIfEEE_St5arrayIPcLm2EEEEviT0_T1_
		.amdhsa_group_segment_fixed_size 0
		.amdhsa_private_segment_fixed_size 0
		.amdhsa_kernarg_size 24
		.amdhsa_user_sgpr_count 15
		.amdhsa_user_sgpr_dispatch_ptr 0
		.amdhsa_user_sgpr_queue_ptr 0
		.amdhsa_user_sgpr_kernarg_segment_ptr 1
		.amdhsa_user_sgpr_dispatch_id 0
		.amdhsa_user_sgpr_private_segment_size 0
		.amdhsa_wavefront_size32 1
		.amdhsa_uses_dynamic_stack 0
		.amdhsa_enable_private_segment 0
		.amdhsa_system_sgpr_workgroup_id_x 1
		.amdhsa_system_sgpr_workgroup_id_y 0
		.amdhsa_system_sgpr_workgroup_id_z 0
		.amdhsa_system_sgpr_workgroup_info 0
		.amdhsa_system_vgpr_workitem_id 0
		.amdhsa_next_free_vgpr 33
		.amdhsa_next_free_sgpr 33
		.amdhsa_reserve_vcc 1
		.amdhsa_float_round_mode_32 0
		.amdhsa_float_round_mode_16_64 0
		.amdhsa_float_denorm_mode_32 3
		.amdhsa_float_denorm_mode_16_64 3
		.amdhsa_dx10_clamp 1
		.amdhsa_ieee_mode 1
		.amdhsa_fp16_overflow 0
		.amdhsa_workgroup_processor_mode 1
		.amdhsa_memory_ordered 1
		.amdhsa_forward_progress 0
		.amdhsa_shared_vgpr_count 0
		.amdhsa_exception_fp_ieee_invalid_op 0
		.amdhsa_exception_fp_denorm_src 0
		.amdhsa_exception_fp_ieee_div_zero 0
		.amdhsa_exception_fp_ieee_overflow 0
		.amdhsa_exception_fp_ieee_underflow 0
		.amdhsa_exception_fp_ieee_inexact 0
		.amdhsa_exception_int_div_zero 0
	.end_amdhsa_kernel
	.section	.text._ZN2at6native29vectorized_elementwise_kernelILi8EZZZNS0_15exp_kernel_cudaERNS_18TensorIteratorBaseEENKUlvE_clEvENKUlvE0_clEvEUlN3c107complexIfEEE_St5arrayIPcLm2EEEEviT0_T1_,"axG",@progbits,_ZN2at6native29vectorized_elementwise_kernelILi8EZZZNS0_15exp_kernel_cudaERNS_18TensorIteratorBaseEENKUlvE_clEvENKUlvE0_clEvEUlN3c107complexIfEEE_St5arrayIPcLm2EEEEviT0_T1_,comdat
.Lfunc_end59:
	.size	_ZN2at6native29vectorized_elementwise_kernelILi8EZZZNS0_15exp_kernel_cudaERNS_18TensorIteratorBaseEENKUlvE_clEvENKUlvE0_clEvEUlN3c107complexIfEEE_St5arrayIPcLm2EEEEviT0_T1_, .Lfunc_end59-_ZN2at6native29vectorized_elementwise_kernelILi8EZZZNS0_15exp_kernel_cudaERNS_18TensorIteratorBaseEENKUlvE_clEvENKUlvE0_clEvEUlN3c107complexIfEEE_St5arrayIPcLm2EEEEviT0_T1_
                                        ; -- End function
	.section	.AMDGPU.csdata,"",@progbits
; Kernel info:
; codeLenInByte = 1244
; NumSgprs: 35
; NumVgprs: 33
; ScratchSize: 0
; MemoryBound: 0
; FloatMode: 240
; IeeeMode: 1
; LDSByteSize: 0 bytes/workgroup (compile time only)
; SGPRBlocks: 4
; VGPRBlocks: 4
; NumSGPRsForWavesPerEU: 35
; NumVGPRsForWavesPerEU: 33
; Occupancy: 16
; WaveLimiterHint : 0
; COMPUTE_PGM_RSRC2:SCRATCH_EN: 0
; COMPUTE_PGM_RSRC2:USER_SGPR: 15
; COMPUTE_PGM_RSRC2:TRAP_HANDLER: 0
; COMPUTE_PGM_RSRC2:TGID_X_EN: 1
; COMPUTE_PGM_RSRC2:TGID_Y_EN: 0
; COMPUTE_PGM_RSRC2:TGID_Z_EN: 0
; COMPUTE_PGM_RSRC2:TIDIG_COMP_CNT: 0
	.section	.text._ZN2at6native29vectorized_elementwise_kernelILi4EZZZNS0_15exp_kernel_cudaERNS_18TensorIteratorBaseEENKUlvE_clEvENKUlvE0_clEvEUlN3c107complexIfEEE_St5arrayIPcLm2EEEEviT0_T1_,"axG",@progbits,_ZN2at6native29vectorized_elementwise_kernelILi4EZZZNS0_15exp_kernel_cudaERNS_18TensorIteratorBaseEENKUlvE_clEvENKUlvE0_clEvEUlN3c107complexIfEEE_St5arrayIPcLm2EEEEviT0_T1_,comdat
	.globl	_ZN2at6native29vectorized_elementwise_kernelILi4EZZZNS0_15exp_kernel_cudaERNS_18TensorIteratorBaseEENKUlvE_clEvENKUlvE0_clEvEUlN3c107complexIfEEE_St5arrayIPcLm2EEEEviT0_T1_ ; -- Begin function _ZN2at6native29vectorized_elementwise_kernelILi4EZZZNS0_15exp_kernel_cudaERNS_18TensorIteratorBaseEENKUlvE_clEvENKUlvE0_clEvEUlN3c107complexIfEEE_St5arrayIPcLm2EEEEviT0_T1_
	.p2align	8
	.type	_ZN2at6native29vectorized_elementwise_kernelILi4EZZZNS0_15exp_kernel_cudaERNS_18TensorIteratorBaseEENKUlvE_clEvENKUlvE0_clEvEUlN3c107complexIfEEE_St5arrayIPcLm2EEEEviT0_T1_,@function
_ZN2at6native29vectorized_elementwise_kernelILi4EZZZNS0_15exp_kernel_cudaERNS_18TensorIteratorBaseEENKUlvE_clEvENKUlvE0_clEvEUlN3c107complexIfEEE_St5arrayIPcLm2EEEEviT0_T1_: ; @_ZN2at6native29vectorized_elementwise_kernelILi4EZZZNS0_15exp_kernel_cudaERNS_18TensorIteratorBaseEENKUlvE_clEvENKUlvE0_clEvEUlN3c107complexIfEEE_St5arrayIPcLm2EEEEviT0_T1_
; %bb.0:
	s_clause 0x1
	s_load_b32 s2, s[0:1], 0x0
	s_load_b128 s[16:19], s[0:1], 0x8
	s_lshl_b32 s10, s15, 10
	v_mov_b32_e32 v29, v0
	s_mov_b32 s0, -1
	s_mov_b32 s32, 0
	s_waitcnt lgkmcnt(0)
	s_sub_i32 s12, s2, s10
	s_delay_alu instid0(SALU_CYCLE_1)
	s_cmpk_gt_i32 s12, 0x3ff
	s_cbranch_scc0 .LBB60_2
; %bb.1:
	s_ashr_i32 s11, s10, 31
	v_lshlrev_b32_e32 v25, 5, v29
	s_lshl_b64 s[14:15], s[10:11], 3
	s_delay_alu instid0(SALU_CYCLE_1)
	s_add_u32 s0, s18, s14
	s_addc_u32 s1, s19, s15
	s_getpc_b64 s[20:21]
	s_add_u32 s20, s20, _ZN16c10_complex_math3expIfEEN3c107complexIT_EERKS4_@rel32@lo+4
	s_addc_u32 s21, s21, _ZN16c10_complex_math3expIfEEN3c107complexIT_EERKS4_@rel32@hi+12
	s_clause 0x1
	global_load_b128 v[17:20], v25, s[0:1]
	global_load_b128 v[21:24], v25, s[0:1] offset:16
	s_waitcnt vmcnt(1)
	v_dual_mov_b32 v0, v17 :: v_dual_mov_b32 v1, v18
	s_swappc_b64 s[30:31], s[20:21]
	s_delay_alu instid0(VALU_DEP_1) | instskip(SKIP_2) | instid1(VALU_DEP_1)
	v_dual_mov_b32 v17, v0 :: v_dual_mov_b32 v18, v1
	v_dual_mov_b32 v0, v19 :: v_dual_mov_b32 v1, v20
	s_swappc_b64 s[30:31], s[20:21]
	v_dual_mov_b32 v19, v0 :: v_dual_mov_b32 v20, v1
	v_dual_mov_b32 v0, v21 :: v_dual_mov_b32 v1, v22
	s_swappc_b64 s[30:31], s[20:21]
	s_delay_alu instid0(VALU_DEP_1) | instskip(SKIP_2) | instid1(VALU_DEP_1)
	v_dual_mov_b32 v21, v0 :: v_dual_mov_b32 v22, v1
	v_dual_mov_b32 v0, v23 :: v_dual_mov_b32 v1, v24
	s_swappc_b64 s[30:31], s[20:21]
	v_dual_mov_b32 v23, v0 :: v_dual_mov_b32 v24, v1
	s_add_u32 s2, s16, s14
	s_addc_u32 s3, s17, s15
	s_mov_b32 s0, 0
	s_clause 0x1
	global_store_b128 v25, v[17:20], s[2:3]
	global_store_b128 v25, v[21:24], s[2:3] offset:16
.LBB60_2:
	s_and_not1_b32 vcc_lo, exec_lo, s0
	s_cbranch_vccnz .LBB60_23
; %bb.3:
	v_cmp_gt_i32_e64 s9, s12, v29
	v_dual_mov_b32 v18, 0 :: v_dual_mov_b32 v1, 0
	v_or_b32_e32 v30, s10, v29
	v_or_b32_e32 v32, 0x100, v29
	v_mov_b32_e32 v0, 0
	v_mov_b32_e32 v2, v29
	s_and_saveexec_b32 s0, s9
	s_cbranch_execz .LBB60_5
; %bb.4:
	v_mov_b32_e32 v31, 0
	v_or_b32_e32 v2, 0x100, v29
	s_delay_alu instid0(VALU_DEP_2) | instskip(NEXT) | instid1(VALU_DEP_1)
	v_lshlrev_b64 v[0:1], 3, v[30:31]
	v_add_co_u32 v0, vcc_lo, s18, v0
	s_delay_alu instid0(VALU_DEP_2)
	v_add_co_ci_u32_e32 v1, vcc_lo, s19, v1, vcc_lo
	global_load_b64 v[0:1], v[0:1], off
.LBB60_5:
	s_or_b32 exec_lo, exec_lo, s0
	v_mov_b32_e32 v17, 0
	s_mov_b32 s0, exec_lo
	v_cmpx_gt_i32_e64 s12, v2
	s_cbranch_execz .LBB60_7
; %bb.6:
	v_dual_mov_b32 v4, 0 :: v_dual_add_nc_u32 v3, s10, v2
	v_add_nc_u32_e32 v2, 0x100, v2
	s_delay_alu instid0(VALU_DEP_2) | instskip(NEXT) | instid1(VALU_DEP_1)
	v_lshlrev_b64 v[3:4], 3, v[3:4]
	v_add_co_u32 v3, vcc_lo, s18, v3
	s_delay_alu instid0(VALU_DEP_2)
	v_add_co_ci_u32_e32 v4, vcc_lo, s19, v4, vcc_lo
	global_load_b64 v[17:18], v[3:4], off
.LBB60_7:
	s_or_b32 exec_lo, exec_lo, s0
	v_dual_mov_b32 v22, 0 :: v_dual_mov_b32 v27, 0
	v_mov_b32_e32 v28, 0
	s_mov_b32 s0, exec_lo
	v_cmpx_gt_i32_e64 s12, v2
	s_cbranch_execz .LBB60_9
; %bb.8:
	v_dual_mov_b32 v4, 0 :: v_dual_add_nc_u32 v3, s10, v2
	v_add_nc_u32_e32 v2, 0x100, v2
	s_delay_alu instid0(VALU_DEP_2) | instskip(NEXT) | instid1(VALU_DEP_1)
	v_lshlrev_b64 v[3:4], 3, v[3:4]
	v_add_co_u32 v3, vcc_lo, s18, v3
	s_delay_alu instid0(VALU_DEP_2)
	v_add_co_ci_u32_e32 v4, vcc_lo, s19, v4, vcc_lo
	global_load_b64 v[27:28], v[3:4], off
.LBB60_9:
	s_or_b32 exec_lo, exec_lo, s0
	v_mov_b32_e32 v21, 0
	s_mov_b32 s0, exec_lo
	v_cmpx_gt_i32_e64 s12, v2
	s_cbranch_execz .LBB60_11
; %bb.10:
	v_dual_mov_b32 v3, 0 :: v_dual_add_nc_u32 v2, s10, v2
	s_delay_alu instid0(VALU_DEP_1) | instskip(NEXT) | instid1(VALU_DEP_1)
	v_lshlrev_b64 v[2:3], 3, v[2:3]
	v_add_co_u32 v2, vcc_lo, s18, v2
	s_delay_alu instid0(VALU_DEP_2)
	v_add_co_ci_u32_e32 v3, vcc_lo, s19, v3, vcc_lo
	global_load_b64 v[21:22], v[2:3], off
.LBB60_11:
	s_or_b32 exec_lo, exec_lo, s0
	v_dual_mov_b32 v20, 0 :: v_dual_mov_b32 v23, 0
	v_mov_b32_e32 v24, 0
	s_and_saveexec_b32 s11, s9
	s_cbranch_execz .LBB60_13
; %bb.12:
	s_getpc_b64 s[0:1]
	s_add_u32 s0, s0, _ZN16c10_complex_math3expIfEEN3c107complexIT_EERKS4_@rel32@lo+4
	s_addc_u32 s1, s1, _ZN16c10_complex_math3expIfEEN3c107complexIT_EERKS4_@rel32@hi+12
	s_delay_alu instid0(SALU_CYCLE_1)
	s_swappc_b64 s[30:31], s[0:1]
	v_dual_mov_b32 v23, v0 :: v_dual_mov_b32 v24, v1
.LBB60_13:
	s_or_b32 exec_lo, exec_lo, s11
	v_mov_b32_e32 v19, 0
	s_mov_b32 s11, exec_lo
	v_cmpx_gt_i32_e64 s12, v32
	s_cbranch_execz .LBB60_15
; %bb.14:
	s_waitcnt vmcnt(0)
	v_dual_mov_b32 v0, v17 :: v_dual_mov_b32 v1, v18
	s_getpc_b64 s[0:1]
	s_add_u32 s0, s0, _ZN16c10_complex_math3expIfEEN3c107complexIT_EERKS4_@rel32@lo+4
	s_addc_u32 s1, s1, _ZN16c10_complex_math3expIfEEN3c107complexIT_EERKS4_@rel32@hi+12
	s_delay_alu instid0(SALU_CYCLE_1)
	s_swappc_b64 s[30:31], s[0:1]
	v_dual_mov_b32 v19, v0 :: v_dual_mov_b32 v20, v1
.LBB60_15:
	s_or_b32 exec_lo, exec_lo, s11
	s_waitcnt vmcnt(0)
	v_or_b32_e32 v0, 0x200, v29
	v_dual_mov_b32 v18, 0 :: v_dual_mov_b32 v25, 0
	v_mov_b32_e32 v26, 0
	s_mov_b32 s11, exec_lo
	s_delay_alu instid0(VALU_DEP_3)
	v_cmpx_gt_i32_e64 s12, v0
	s_cbranch_execz .LBB60_17
; %bb.16:
	v_dual_mov_b32 v0, v27 :: v_dual_mov_b32 v1, v28
	s_getpc_b64 s[0:1]
	s_add_u32 s0, s0, _ZN16c10_complex_math3expIfEEN3c107complexIT_EERKS4_@rel32@lo+4
	s_addc_u32 s1, s1, _ZN16c10_complex_math3expIfEEN3c107complexIT_EERKS4_@rel32@hi+12
	s_delay_alu instid0(SALU_CYCLE_1)
	s_swappc_b64 s[30:31], s[0:1]
	v_dual_mov_b32 v25, v0 :: v_dual_mov_b32 v26, v1
.LBB60_17:
	s_or_b32 exec_lo, exec_lo, s11
	v_or_b32_e32 v0, 0x300, v29
	v_mov_b32_e32 v17, 0
	s_mov_b32 s11, exec_lo
	s_delay_alu instid0(VALU_DEP_2)
	v_cmpx_gt_i32_e64 s12, v0
	s_cbranch_execnz .LBB60_24
; %bb.18:
	s_or_b32 exec_lo, exec_lo, s11
	s_and_saveexec_b32 s0, s9
	s_delay_alu instid0(SALU_CYCLE_1)
	s_xor_b32 s0, exec_lo, s0
	s_cbranch_execnz .LBB60_25
.LBB60_19:
	s_or_b32 exec_lo, exec_lo, s0
	s_delay_alu instid0(SALU_CYCLE_1)
	s_mov_b32 s0, exec_lo
	v_cmpx_gt_i32_e64 s12, v29
	s_cbranch_execnz .LBB60_26
.LBB60_20:
	s_or_b32 exec_lo, exec_lo, s0
	s_delay_alu instid0(SALU_CYCLE_1)
	s_mov_b32 s0, exec_lo
	v_cmpx_gt_i32_e64 s12, v29
	s_cbranch_execnz .LBB60_27
.LBB60_21:
	s_or_b32 exec_lo, exec_lo, s0
	s_delay_alu instid0(SALU_CYCLE_1)
	s_mov_b32 s0, exec_lo
	v_cmpx_gt_i32_e64 s12, v29
	s_cbranch_execz .LBB60_23
.LBB60_22:
	v_dual_mov_b32 v1, 0 :: v_dual_add_nc_u32 v0, s10, v29
	s_delay_alu instid0(VALU_DEP_1) | instskip(NEXT) | instid1(VALU_DEP_1)
	v_lshlrev_b64 v[0:1], 3, v[0:1]
	v_add_co_u32 v0, vcc_lo, s16, v0
	s_delay_alu instid0(VALU_DEP_2)
	v_add_co_ci_u32_e32 v1, vcc_lo, s17, v1, vcc_lo
	global_store_b64 v[0:1], v[17:18], off
.LBB60_23:
	s_endpgm
.LBB60_24:
	v_dual_mov_b32 v0, v21 :: v_dual_mov_b32 v1, v22
	s_getpc_b64 s[0:1]
	s_add_u32 s0, s0, _ZN16c10_complex_math3expIfEEN3c107complexIT_EERKS4_@rel32@lo+4
	s_addc_u32 s1, s1, _ZN16c10_complex_math3expIfEEN3c107complexIT_EERKS4_@rel32@hi+12
	s_delay_alu instid0(SALU_CYCLE_1) | instskip(SKIP_3) | instid1(SALU_CYCLE_1)
	s_swappc_b64 s[30:31], s[0:1]
	v_dual_mov_b32 v17, v0 :: v_dual_mov_b32 v18, v1
	s_or_b32 exec_lo, exec_lo, s11
	s_and_saveexec_b32 s0, s9
	s_xor_b32 s0, exec_lo, s0
	s_cbranch_execz .LBB60_19
.LBB60_25:
	v_mov_b32_e32 v31, 0
	v_mov_b32_e32 v29, v32
	s_delay_alu instid0(VALU_DEP_2) | instskip(NEXT) | instid1(VALU_DEP_1)
	v_lshlrev_b64 v[0:1], 3, v[30:31]
	v_add_co_u32 v0, vcc_lo, s16, v0
	s_delay_alu instid0(VALU_DEP_2) | instskip(SKIP_2) | instid1(SALU_CYCLE_1)
	v_add_co_ci_u32_e32 v1, vcc_lo, s17, v1, vcc_lo
	global_store_b64 v[0:1], v[23:24], off
	s_or_b32 exec_lo, exec_lo, s0
	s_mov_b32 s0, exec_lo
	v_cmpx_gt_i32_e64 s12, v29
	s_cbranch_execz .LBB60_20
.LBB60_26:
	v_dual_mov_b32 v1, 0 :: v_dual_add_nc_u32 v0, s10, v29
	v_add_nc_u32_e32 v29, 0x100, v29
	s_delay_alu instid0(VALU_DEP_2) | instskip(NEXT) | instid1(VALU_DEP_1)
	v_lshlrev_b64 v[0:1], 3, v[0:1]
	v_add_co_u32 v0, vcc_lo, s16, v0
	s_delay_alu instid0(VALU_DEP_2) | instskip(SKIP_2) | instid1(SALU_CYCLE_1)
	v_add_co_ci_u32_e32 v1, vcc_lo, s17, v1, vcc_lo
	global_store_b64 v[0:1], v[19:20], off
	s_or_b32 exec_lo, exec_lo, s0
	s_mov_b32 s0, exec_lo
	v_cmpx_gt_i32_e64 s12, v29
	s_cbranch_execz .LBB60_21
.LBB60_27:
	v_dual_mov_b32 v1, 0 :: v_dual_add_nc_u32 v0, s10, v29
	v_add_nc_u32_e32 v29, 0x100, v29
	s_delay_alu instid0(VALU_DEP_2) | instskip(NEXT) | instid1(VALU_DEP_1)
	v_lshlrev_b64 v[0:1], 3, v[0:1]
	v_add_co_u32 v0, vcc_lo, s16, v0
	s_delay_alu instid0(VALU_DEP_2) | instskip(SKIP_2) | instid1(SALU_CYCLE_1)
	v_add_co_ci_u32_e32 v1, vcc_lo, s17, v1, vcc_lo
	global_store_b64 v[0:1], v[25:26], off
	s_or_b32 exec_lo, exec_lo, s0
	s_mov_b32 s0, exec_lo
	v_cmpx_gt_i32_e64 s12, v29
	s_cbranch_execnz .LBB60_22
	s_branch .LBB60_23
	.section	.rodata,"a",@progbits
	.p2align	6, 0x0
	.amdhsa_kernel _ZN2at6native29vectorized_elementwise_kernelILi4EZZZNS0_15exp_kernel_cudaERNS_18TensorIteratorBaseEENKUlvE_clEvENKUlvE0_clEvEUlN3c107complexIfEEE_St5arrayIPcLm2EEEEviT0_T1_
		.amdhsa_group_segment_fixed_size 0
		.amdhsa_private_segment_fixed_size 0
		.amdhsa_kernarg_size 24
		.amdhsa_user_sgpr_count 15
		.amdhsa_user_sgpr_dispatch_ptr 0
		.amdhsa_user_sgpr_queue_ptr 0
		.amdhsa_user_sgpr_kernarg_segment_ptr 1
		.amdhsa_user_sgpr_dispatch_id 0
		.amdhsa_user_sgpr_private_segment_size 0
		.amdhsa_wavefront_size32 1
		.amdhsa_uses_dynamic_stack 0
		.amdhsa_enable_private_segment 0
		.amdhsa_system_sgpr_workgroup_id_x 1
		.amdhsa_system_sgpr_workgroup_id_y 0
		.amdhsa_system_sgpr_workgroup_id_z 0
		.amdhsa_system_sgpr_workgroup_info 0
		.amdhsa_system_vgpr_workitem_id 0
		.amdhsa_next_free_vgpr 33
		.amdhsa_next_free_sgpr 33
		.amdhsa_reserve_vcc 1
		.amdhsa_float_round_mode_32 0
		.amdhsa_float_round_mode_16_64 0
		.amdhsa_float_denorm_mode_32 3
		.amdhsa_float_denorm_mode_16_64 3
		.amdhsa_dx10_clamp 1
		.amdhsa_ieee_mode 1
		.amdhsa_fp16_overflow 0
		.amdhsa_workgroup_processor_mode 1
		.amdhsa_memory_ordered 1
		.amdhsa_forward_progress 0
		.amdhsa_shared_vgpr_count 0
		.amdhsa_exception_fp_ieee_invalid_op 0
		.amdhsa_exception_fp_denorm_src 0
		.amdhsa_exception_fp_ieee_div_zero 0
		.amdhsa_exception_fp_ieee_overflow 0
		.amdhsa_exception_fp_ieee_underflow 0
		.amdhsa_exception_fp_ieee_inexact 0
		.amdhsa_exception_int_div_zero 0
	.end_amdhsa_kernel
	.section	.text._ZN2at6native29vectorized_elementwise_kernelILi4EZZZNS0_15exp_kernel_cudaERNS_18TensorIteratorBaseEENKUlvE_clEvENKUlvE0_clEvEUlN3c107complexIfEEE_St5arrayIPcLm2EEEEviT0_T1_,"axG",@progbits,_ZN2at6native29vectorized_elementwise_kernelILi4EZZZNS0_15exp_kernel_cudaERNS_18TensorIteratorBaseEENKUlvE_clEvENKUlvE0_clEvEUlN3c107complexIfEEE_St5arrayIPcLm2EEEEviT0_T1_,comdat
.Lfunc_end60:
	.size	_ZN2at6native29vectorized_elementwise_kernelILi4EZZZNS0_15exp_kernel_cudaERNS_18TensorIteratorBaseEENKUlvE_clEvENKUlvE0_clEvEUlN3c107complexIfEEE_St5arrayIPcLm2EEEEviT0_T1_, .Lfunc_end60-_ZN2at6native29vectorized_elementwise_kernelILi4EZZZNS0_15exp_kernel_cudaERNS_18TensorIteratorBaseEENKUlvE_clEvENKUlvE0_clEvEUlN3c107complexIfEEE_St5arrayIPcLm2EEEEviT0_T1_
                                        ; -- End function
	.section	.AMDGPU.csdata,"",@progbits
; Kernel info:
; codeLenInByte = 1244
; NumSgprs: 35
; NumVgprs: 33
; ScratchSize: 0
; MemoryBound: 0
; FloatMode: 240
; IeeeMode: 1
; LDSByteSize: 0 bytes/workgroup (compile time only)
; SGPRBlocks: 4
; VGPRBlocks: 4
; NumSGPRsForWavesPerEU: 35
; NumVGPRsForWavesPerEU: 33
; Occupancy: 16
; WaveLimiterHint : 0
; COMPUTE_PGM_RSRC2:SCRATCH_EN: 0
; COMPUTE_PGM_RSRC2:USER_SGPR: 15
; COMPUTE_PGM_RSRC2:TRAP_HANDLER: 0
; COMPUTE_PGM_RSRC2:TGID_X_EN: 1
; COMPUTE_PGM_RSRC2:TGID_Y_EN: 0
; COMPUTE_PGM_RSRC2:TGID_Z_EN: 0
; COMPUTE_PGM_RSRC2:TIDIG_COMP_CNT: 0
	.section	.text._ZN2at6native29vectorized_elementwise_kernelILi2EZZZNS0_15exp_kernel_cudaERNS_18TensorIteratorBaseEENKUlvE_clEvENKUlvE0_clEvEUlN3c107complexIfEEE_St5arrayIPcLm2EEEEviT0_T1_,"axG",@progbits,_ZN2at6native29vectorized_elementwise_kernelILi2EZZZNS0_15exp_kernel_cudaERNS_18TensorIteratorBaseEENKUlvE_clEvENKUlvE0_clEvEUlN3c107complexIfEEE_St5arrayIPcLm2EEEEviT0_T1_,comdat
	.globl	_ZN2at6native29vectorized_elementwise_kernelILi2EZZZNS0_15exp_kernel_cudaERNS_18TensorIteratorBaseEENKUlvE_clEvENKUlvE0_clEvEUlN3c107complexIfEEE_St5arrayIPcLm2EEEEviT0_T1_ ; -- Begin function _ZN2at6native29vectorized_elementwise_kernelILi2EZZZNS0_15exp_kernel_cudaERNS_18TensorIteratorBaseEENKUlvE_clEvENKUlvE0_clEvEUlN3c107complexIfEEE_St5arrayIPcLm2EEEEviT0_T1_
	.p2align	8
	.type	_ZN2at6native29vectorized_elementwise_kernelILi2EZZZNS0_15exp_kernel_cudaERNS_18TensorIteratorBaseEENKUlvE_clEvENKUlvE0_clEvEUlN3c107complexIfEEE_St5arrayIPcLm2EEEEviT0_T1_,@function
_ZN2at6native29vectorized_elementwise_kernelILi2EZZZNS0_15exp_kernel_cudaERNS_18TensorIteratorBaseEENKUlvE_clEvENKUlvE0_clEvEUlN3c107complexIfEEE_St5arrayIPcLm2EEEEviT0_T1_: ; @_ZN2at6native29vectorized_elementwise_kernelILi2EZZZNS0_15exp_kernel_cudaERNS_18TensorIteratorBaseEENKUlvE_clEvENKUlvE0_clEvEUlN3c107complexIfEEE_St5arrayIPcLm2EEEEviT0_T1_
; %bb.0:
	s_clause 0x1
	s_load_b32 s2, s[0:1], 0x0
	s_load_b128 s[16:19], s[0:1], 0x8
	s_lshl_b32 s10, s15, 10
	v_mov_b32_e32 v29, v0
	s_mov_b32 s9, -1
	s_mov_b32 s32, 0
	s_waitcnt lgkmcnt(0)
	s_sub_i32 s12, s2, s10
	s_delay_alu instid0(SALU_CYCLE_1)
	s_cmpk_gt_i32 s12, 0x3ff
	s_cbranch_scc0 .LBB61_2
; %bb.1:
	s_ashr_i32 s11, s10, 31
	v_lshlrev_b32_e32 v25, 4, v29
	s_lshl_b64 s[14:15], s[10:11], 3
	s_mov_b32 s9, 0
	s_add_u32 s0, s18, s14
	s_addc_u32 s1, s19, s15
	v_add_co_u32 v0, s2, s0, v25
	s_delay_alu instid0(VALU_DEP_1)
	v_add_co_ci_u32_e64 v1, null, s1, 0, s2
	global_load_b128 v[17:20], v25, s[0:1]
	v_add_co_u32 v0, vcc_lo, 0x1000, v0
	v_add_co_ci_u32_e32 v1, vcc_lo, 0, v1, vcc_lo
	s_getpc_b64 s[20:21]
	s_add_u32 s20, s20, _ZN16c10_complex_math3expIfEEN3c107complexIT_EERKS4_@rel32@lo+4
	s_addc_u32 s21, s21, _ZN16c10_complex_math3expIfEEN3c107complexIT_EERKS4_@rel32@hi+12
	global_load_b128 v[21:24], v[0:1], off
	s_waitcnt vmcnt(1)
	v_dual_mov_b32 v0, v17 :: v_dual_mov_b32 v1, v18
	s_swappc_b64 s[30:31], s[20:21]
	s_delay_alu instid0(VALU_DEP_1) | instskip(SKIP_2) | instid1(VALU_DEP_1)
	v_dual_mov_b32 v17, v0 :: v_dual_mov_b32 v18, v1
	v_dual_mov_b32 v0, v19 :: v_dual_mov_b32 v1, v20
	s_swappc_b64 s[30:31], s[20:21]
	v_dual_mov_b32 v19, v0 :: v_dual_mov_b32 v20, v1
	v_dual_mov_b32 v0, v21 :: v_dual_mov_b32 v1, v22
	s_swappc_b64 s[30:31], s[20:21]
	s_delay_alu instid0(VALU_DEP_1) | instskip(SKIP_3) | instid1(VALU_DEP_1)
	v_dual_mov_b32 v21, v0 :: v_dual_mov_b32 v22, v1
	v_dual_mov_b32 v0, v23 :: v_dual_mov_b32 v1, v24
	s_swappc_b64 s[30:31], s[20:21]
	s_add_u32 s0, s16, s14
	v_dual_mov_b32 v23, v0 :: v_dual_mov_b32 v24, v1
	s_addc_u32 s1, s17, s15
	v_add_co_u32 v0, s2, s0, v25
	s_delay_alu instid0(VALU_DEP_1) | instskip(NEXT) | instid1(VALU_DEP_2)
	v_add_co_ci_u32_e64 v1, null, s1, 0, s2
	v_add_co_u32 v0, vcc_lo, 0x1000, v0
	s_delay_alu instid0(VALU_DEP_2)
	v_add_co_ci_u32_e32 v1, vcc_lo, 0, v1, vcc_lo
	s_clause 0x1
	global_store_b128 v25, v[17:20], s[0:1]
	global_store_b128 v[0:1], v[21:24], off
.LBB61_2:
	s_and_not1_b32 vcc_lo, exec_lo, s9
	s_cbranch_vccnz .LBB61_23
; %bb.3:
	v_cmp_gt_i32_e64 s9, s12, v29
	v_dual_mov_b32 v18, 0 :: v_dual_mov_b32 v1, 0
	v_or_b32_e32 v30, s10, v29
	v_or_b32_e32 v32, 0x100, v29
	v_mov_b32_e32 v0, 0
	v_mov_b32_e32 v2, v29
	s_and_saveexec_b32 s0, s9
	s_cbranch_execz .LBB61_5
; %bb.4:
	v_mov_b32_e32 v31, 0
	v_or_b32_e32 v2, 0x100, v29
	s_delay_alu instid0(VALU_DEP_2) | instskip(NEXT) | instid1(VALU_DEP_1)
	v_lshlrev_b64 v[0:1], 3, v[30:31]
	v_add_co_u32 v0, vcc_lo, s18, v0
	s_delay_alu instid0(VALU_DEP_2)
	v_add_co_ci_u32_e32 v1, vcc_lo, s19, v1, vcc_lo
	global_load_b64 v[0:1], v[0:1], off
.LBB61_5:
	s_or_b32 exec_lo, exec_lo, s0
	v_mov_b32_e32 v17, 0
	s_mov_b32 s0, exec_lo
	v_cmpx_gt_i32_e64 s12, v2
	s_cbranch_execz .LBB61_7
; %bb.6:
	v_dual_mov_b32 v4, 0 :: v_dual_add_nc_u32 v3, s10, v2
	v_add_nc_u32_e32 v2, 0x100, v2
	s_delay_alu instid0(VALU_DEP_2) | instskip(NEXT) | instid1(VALU_DEP_1)
	v_lshlrev_b64 v[3:4], 3, v[3:4]
	v_add_co_u32 v3, vcc_lo, s18, v3
	s_delay_alu instid0(VALU_DEP_2)
	v_add_co_ci_u32_e32 v4, vcc_lo, s19, v4, vcc_lo
	global_load_b64 v[17:18], v[3:4], off
.LBB61_7:
	s_or_b32 exec_lo, exec_lo, s0
	v_dual_mov_b32 v22, 0 :: v_dual_mov_b32 v27, 0
	v_mov_b32_e32 v28, 0
	s_mov_b32 s0, exec_lo
	v_cmpx_gt_i32_e64 s12, v2
	s_cbranch_execz .LBB61_9
; %bb.8:
	v_dual_mov_b32 v4, 0 :: v_dual_add_nc_u32 v3, s10, v2
	v_add_nc_u32_e32 v2, 0x100, v2
	s_delay_alu instid0(VALU_DEP_2) | instskip(NEXT) | instid1(VALU_DEP_1)
	v_lshlrev_b64 v[3:4], 3, v[3:4]
	v_add_co_u32 v3, vcc_lo, s18, v3
	s_delay_alu instid0(VALU_DEP_2)
	v_add_co_ci_u32_e32 v4, vcc_lo, s19, v4, vcc_lo
	global_load_b64 v[27:28], v[3:4], off
.LBB61_9:
	s_or_b32 exec_lo, exec_lo, s0
	v_mov_b32_e32 v21, 0
	s_mov_b32 s0, exec_lo
	v_cmpx_gt_i32_e64 s12, v2
	s_cbranch_execz .LBB61_11
; %bb.10:
	v_dual_mov_b32 v3, 0 :: v_dual_add_nc_u32 v2, s10, v2
	s_delay_alu instid0(VALU_DEP_1) | instskip(NEXT) | instid1(VALU_DEP_1)
	v_lshlrev_b64 v[2:3], 3, v[2:3]
	v_add_co_u32 v2, vcc_lo, s18, v2
	s_delay_alu instid0(VALU_DEP_2)
	v_add_co_ci_u32_e32 v3, vcc_lo, s19, v3, vcc_lo
	global_load_b64 v[21:22], v[2:3], off
.LBB61_11:
	s_or_b32 exec_lo, exec_lo, s0
	v_dual_mov_b32 v20, 0 :: v_dual_mov_b32 v23, 0
	v_mov_b32_e32 v24, 0
	s_and_saveexec_b32 s11, s9
	s_cbranch_execz .LBB61_13
; %bb.12:
	s_getpc_b64 s[0:1]
	s_add_u32 s0, s0, _ZN16c10_complex_math3expIfEEN3c107complexIT_EERKS4_@rel32@lo+4
	s_addc_u32 s1, s1, _ZN16c10_complex_math3expIfEEN3c107complexIT_EERKS4_@rel32@hi+12
	s_delay_alu instid0(SALU_CYCLE_1)
	s_swappc_b64 s[30:31], s[0:1]
	v_dual_mov_b32 v23, v0 :: v_dual_mov_b32 v24, v1
.LBB61_13:
	s_or_b32 exec_lo, exec_lo, s11
	v_mov_b32_e32 v19, 0
	s_mov_b32 s11, exec_lo
	v_cmpx_gt_i32_e64 s12, v32
	s_cbranch_execz .LBB61_15
; %bb.14:
	s_waitcnt vmcnt(0)
	v_dual_mov_b32 v0, v17 :: v_dual_mov_b32 v1, v18
	s_getpc_b64 s[0:1]
	s_add_u32 s0, s0, _ZN16c10_complex_math3expIfEEN3c107complexIT_EERKS4_@rel32@lo+4
	s_addc_u32 s1, s1, _ZN16c10_complex_math3expIfEEN3c107complexIT_EERKS4_@rel32@hi+12
	s_delay_alu instid0(SALU_CYCLE_1)
	s_swappc_b64 s[30:31], s[0:1]
	v_dual_mov_b32 v19, v0 :: v_dual_mov_b32 v20, v1
.LBB61_15:
	s_or_b32 exec_lo, exec_lo, s11
	s_waitcnt vmcnt(0)
	v_or_b32_e32 v0, 0x200, v29
	v_dual_mov_b32 v18, 0 :: v_dual_mov_b32 v25, 0
	v_mov_b32_e32 v26, 0
	s_mov_b32 s11, exec_lo
	s_delay_alu instid0(VALU_DEP_3)
	v_cmpx_gt_i32_e64 s12, v0
	s_cbranch_execz .LBB61_17
; %bb.16:
	v_dual_mov_b32 v0, v27 :: v_dual_mov_b32 v1, v28
	s_getpc_b64 s[0:1]
	s_add_u32 s0, s0, _ZN16c10_complex_math3expIfEEN3c107complexIT_EERKS4_@rel32@lo+4
	s_addc_u32 s1, s1, _ZN16c10_complex_math3expIfEEN3c107complexIT_EERKS4_@rel32@hi+12
	s_delay_alu instid0(SALU_CYCLE_1)
	s_swappc_b64 s[30:31], s[0:1]
	v_dual_mov_b32 v25, v0 :: v_dual_mov_b32 v26, v1
.LBB61_17:
	s_or_b32 exec_lo, exec_lo, s11
	v_or_b32_e32 v0, 0x300, v29
	v_mov_b32_e32 v17, 0
	s_mov_b32 s11, exec_lo
	s_delay_alu instid0(VALU_DEP_2)
	v_cmpx_gt_i32_e64 s12, v0
	s_cbranch_execnz .LBB61_24
; %bb.18:
	s_or_b32 exec_lo, exec_lo, s11
	s_and_saveexec_b32 s0, s9
	s_delay_alu instid0(SALU_CYCLE_1)
	s_xor_b32 s0, exec_lo, s0
	s_cbranch_execnz .LBB61_25
.LBB61_19:
	s_or_b32 exec_lo, exec_lo, s0
	s_delay_alu instid0(SALU_CYCLE_1)
	s_mov_b32 s0, exec_lo
	v_cmpx_gt_i32_e64 s12, v29
	s_cbranch_execnz .LBB61_26
.LBB61_20:
	s_or_b32 exec_lo, exec_lo, s0
	s_delay_alu instid0(SALU_CYCLE_1)
	s_mov_b32 s0, exec_lo
	v_cmpx_gt_i32_e64 s12, v29
	s_cbranch_execnz .LBB61_27
.LBB61_21:
	s_or_b32 exec_lo, exec_lo, s0
	s_delay_alu instid0(SALU_CYCLE_1)
	s_mov_b32 s0, exec_lo
	v_cmpx_gt_i32_e64 s12, v29
	s_cbranch_execz .LBB61_23
.LBB61_22:
	v_dual_mov_b32 v1, 0 :: v_dual_add_nc_u32 v0, s10, v29
	s_delay_alu instid0(VALU_DEP_1) | instskip(NEXT) | instid1(VALU_DEP_1)
	v_lshlrev_b64 v[0:1], 3, v[0:1]
	v_add_co_u32 v0, vcc_lo, s16, v0
	s_delay_alu instid0(VALU_DEP_2)
	v_add_co_ci_u32_e32 v1, vcc_lo, s17, v1, vcc_lo
	global_store_b64 v[0:1], v[17:18], off
.LBB61_23:
	s_endpgm
.LBB61_24:
	v_dual_mov_b32 v0, v21 :: v_dual_mov_b32 v1, v22
	s_getpc_b64 s[0:1]
	s_add_u32 s0, s0, _ZN16c10_complex_math3expIfEEN3c107complexIT_EERKS4_@rel32@lo+4
	s_addc_u32 s1, s1, _ZN16c10_complex_math3expIfEEN3c107complexIT_EERKS4_@rel32@hi+12
	s_delay_alu instid0(SALU_CYCLE_1) | instskip(SKIP_3) | instid1(SALU_CYCLE_1)
	s_swappc_b64 s[30:31], s[0:1]
	v_dual_mov_b32 v17, v0 :: v_dual_mov_b32 v18, v1
	s_or_b32 exec_lo, exec_lo, s11
	s_and_saveexec_b32 s0, s9
	s_xor_b32 s0, exec_lo, s0
	s_cbranch_execz .LBB61_19
.LBB61_25:
	v_mov_b32_e32 v31, 0
	v_mov_b32_e32 v29, v32
	s_delay_alu instid0(VALU_DEP_2) | instskip(NEXT) | instid1(VALU_DEP_1)
	v_lshlrev_b64 v[0:1], 3, v[30:31]
	v_add_co_u32 v0, vcc_lo, s16, v0
	s_delay_alu instid0(VALU_DEP_2) | instskip(SKIP_2) | instid1(SALU_CYCLE_1)
	v_add_co_ci_u32_e32 v1, vcc_lo, s17, v1, vcc_lo
	global_store_b64 v[0:1], v[23:24], off
	s_or_b32 exec_lo, exec_lo, s0
	s_mov_b32 s0, exec_lo
	v_cmpx_gt_i32_e64 s12, v29
	s_cbranch_execz .LBB61_20
.LBB61_26:
	v_dual_mov_b32 v1, 0 :: v_dual_add_nc_u32 v0, s10, v29
	v_add_nc_u32_e32 v29, 0x100, v29
	s_delay_alu instid0(VALU_DEP_2) | instskip(NEXT) | instid1(VALU_DEP_1)
	v_lshlrev_b64 v[0:1], 3, v[0:1]
	v_add_co_u32 v0, vcc_lo, s16, v0
	s_delay_alu instid0(VALU_DEP_2) | instskip(SKIP_2) | instid1(SALU_CYCLE_1)
	v_add_co_ci_u32_e32 v1, vcc_lo, s17, v1, vcc_lo
	global_store_b64 v[0:1], v[19:20], off
	s_or_b32 exec_lo, exec_lo, s0
	s_mov_b32 s0, exec_lo
	v_cmpx_gt_i32_e64 s12, v29
	s_cbranch_execz .LBB61_21
.LBB61_27:
	v_dual_mov_b32 v1, 0 :: v_dual_add_nc_u32 v0, s10, v29
	v_add_nc_u32_e32 v29, 0x100, v29
	s_delay_alu instid0(VALU_DEP_2) | instskip(NEXT) | instid1(VALU_DEP_1)
	v_lshlrev_b64 v[0:1], 3, v[0:1]
	v_add_co_u32 v0, vcc_lo, s16, v0
	s_delay_alu instid0(VALU_DEP_2) | instskip(SKIP_2) | instid1(SALU_CYCLE_1)
	v_add_co_ci_u32_e32 v1, vcc_lo, s17, v1, vcc_lo
	global_store_b64 v[0:1], v[25:26], off
	s_or_b32 exec_lo, exec_lo, s0
	s_mov_b32 s0, exec_lo
	v_cmpx_gt_i32_e64 s12, v29
	s_cbranch_execnz .LBB61_22
	s_branch .LBB61_23
	.section	.rodata,"a",@progbits
	.p2align	6, 0x0
	.amdhsa_kernel _ZN2at6native29vectorized_elementwise_kernelILi2EZZZNS0_15exp_kernel_cudaERNS_18TensorIteratorBaseEENKUlvE_clEvENKUlvE0_clEvEUlN3c107complexIfEEE_St5arrayIPcLm2EEEEviT0_T1_
		.amdhsa_group_segment_fixed_size 0
		.amdhsa_private_segment_fixed_size 0
		.amdhsa_kernarg_size 24
		.amdhsa_user_sgpr_count 15
		.amdhsa_user_sgpr_dispatch_ptr 0
		.amdhsa_user_sgpr_queue_ptr 0
		.amdhsa_user_sgpr_kernarg_segment_ptr 1
		.amdhsa_user_sgpr_dispatch_id 0
		.amdhsa_user_sgpr_private_segment_size 0
		.amdhsa_wavefront_size32 1
		.amdhsa_uses_dynamic_stack 0
		.amdhsa_enable_private_segment 0
		.amdhsa_system_sgpr_workgroup_id_x 1
		.amdhsa_system_sgpr_workgroup_id_y 0
		.amdhsa_system_sgpr_workgroup_id_z 0
		.amdhsa_system_sgpr_workgroup_info 0
		.amdhsa_system_vgpr_workitem_id 0
		.amdhsa_next_free_vgpr 33
		.amdhsa_next_free_sgpr 33
		.amdhsa_reserve_vcc 1
		.amdhsa_float_round_mode_32 0
		.amdhsa_float_round_mode_16_64 0
		.amdhsa_float_denorm_mode_32 3
		.amdhsa_float_denorm_mode_16_64 3
		.amdhsa_dx10_clamp 1
		.amdhsa_ieee_mode 1
		.amdhsa_fp16_overflow 0
		.amdhsa_workgroup_processor_mode 1
		.amdhsa_memory_ordered 1
		.amdhsa_forward_progress 0
		.amdhsa_shared_vgpr_count 0
		.amdhsa_exception_fp_ieee_invalid_op 0
		.amdhsa_exception_fp_denorm_src 0
		.amdhsa_exception_fp_ieee_div_zero 0
		.amdhsa_exception_fp_ieee_overflow 0
		.amdhsa_exception_fp_ieee_underflow 0
		.amdhsa_exception_fp_ieee_inexact 0
		.amdhsa_exception_int_div_zero 0
	.end_amdhsa_kernel
	.section	.text._ZN2at6native29vectorized_elementwise_kernelILi2EZZZNS0_15exp_kernel_cudaERNS_18TensorIteratorBaseEENKUlvE_clEvENKUlvE0_clEvEUlN3c107complexIfEEE_St5arrayIPcLm2EEEEviT0_T1_,"axG",@progbits,_ZN2at6native29vectorized_elementwise_kernelILi2EZZZNS0_15exp_kernel_cudaERNS_18TensorIteratorBaseEENKUlvE_clEvENKUlvE0_clEvEUlN3c107complexIfEEE_St5arrayIPcLm2EEEEviT0_T1_,comdat
.Lfunc_end61:
	.size	_ZN2at6native29vectorized_elementwise_kernelILi2EZZZNS0_15exp_kernel_cudaERNS_18TensorIteratorBaseEENKUlvE_clEvENKUlvE0_clEvEUlN3c107complexIfEEE_St5arrayIPcLm2EEEEviT0_T1_, .Lfunc_end61-_ZN2at6native29vectorized_elementwise_kernelILi2EZZZNS0_15exp_kernel_cudaERNS_18TensorIteratorBaseEENKUlvE_clEvENKUlvE0_clEvEUlN3c107complexIfEEE_St5arrayIPcLm2EEEEviT0_T1_
                                        ; -- End function
	.section	.AMDGPU.csdata,"",@progbits
; Kernel info:
; codeLenInByte = 1312
; NumSgprs: 35
; NumVgprs: 33
; ScratchSize: 0
; MemoryBound: 0
; FloatMode: 240
; IeeeMode: 1
; LDSByteSize: 0 bytes/workgroup (compile time only)
; SGPRBlocks: 4
; VGPRBlocks: 4
; NumSGPRsForWavesPerEU: 35
; NumVGPRsForWavesPerEU: 33
; Occupancy: 16
; WaveLimiterHint : 1
; COMPUTE_PGM_RSRC2:SCRATCH_EN: 0
; COMPUTE_PGM_RSRC2:USER_SGPR: 15
; COMPUTE_PGM_RSRC2:TRAP_HANDLER: 0
; COMPUTE_PGM_RSRC2:TGID_X_EN: 1
; COMPUTE_PGM_RSRC2:TGID_Y_EN: 0
; COMPUTE_PGM_RSRC2:TGID_Z_EN: 0
; COMPUTE_PGM_RSRC2:TIDIG_COMP_CNT: 0
	.section	.text._ZN2at6native27unrolled_elementwise_kernelIZZZNS0_15exp_kernel_cudaERNS_18TensorIteratorBaseEENKUlvE_clEvENKUlvE0_clEvEUlN3c107complexIfEEE_St5arrayIPcLm2EELi4E23TrivialOffsetCalculatorILi1EjESE_NS0_6memory15LoadWithoutCastENSF_16StoreWithoutCastEEEviT_T0_T2_T3_T4_T5_,"axG",@progbits,_ZN2at6native27unrolled_elementwise_kernelIZZZNS0_15exp_kernel_cudaERNS_18TensorIteratorBaseEENKUlvE_clEvENKUlvE0_clEvEUlN3c107complexIfEEE_St5arrayIPcLm2EELi4E23TrivialOffsetCalculatorILi1EjESE_NS0_6memory15LoadWithoutCastENSF_16StoreWithoutCastEEEviT_T0_T2_T3_T4_T5_,comdat
	.globl	_ZN2at6native27unrolled_elementwise_kernelIZZZNS0_15exp_kernel_cudaERNS_18TensorIteratorBaseEENKUlvE_clEvENKUlvE0_clEvEUlN3c107complexIfEEE_St5arrayIPcLm2EELi4E23TrivialOffsetCalculatorILi1EjESE_NS0_6memory15LoadWithoutCastENSF_16StoreWithoutCastEEEviT_T0_T2_T3_T4_T5_ ; -- Begin function _ZN2at6native27unrolled_elementwise_kernelIZZZNS0_15exp_kernel_cudaERNS_18TensorIteratorBaseEENKUlvE_clEvENKUlvE0_clEvEUlN3c107complexIfEEE_St5arrayIPcLm2EELi4E23TrivialOffsetCalculatorILi1EjESE_NS0_6memory15LoadWithoutCastENSF_16StoreWithoutCastEEEviT_T0_T2_T3_T4_T5_
	.p2align	8
	.type	_ZN2at6native27unrolled_elementwise_kernelIZZZNS0_15exp_kernel_cudaERNS_18TensorIteratorBaseEENKUlvE_clEvENKUlvE0_clEvEUlN3c107complexIfEEE_St5arrayIPcLm2EELi4E23TrivialOffsetCalculatorILi1EjESE_NS0_6memory15LoadWithoutCastENSF_16StoreWithoutCastEEEviT_T0_T2_T3_T4_T5_,@function
_ZN2at6native27unrolled_elementwise_kernelIZZZNS0_15exp_kernel_cudaERNS_18TensorIteratorBaseEENKUlvE_clEvENKUlvE0_clEvEUlN3c107complexIfEEE_St5arrayIPcLm2EELi4E23TrivialOffsetCalculatorILi1EjESE_NS0_6memory15LoadWithoutCastENSF_16StoreWithoutCastEEEviT_T0_T2_T3_T4_T5_: ; @_ZN2at6native27unrolled_elementwise_kernelIZZZNS0_15exp_kernel_cudaERNS_18TensorIteratorBaseEENKUlvE_clEvENKUlvE0_clEvEUlN3c107complexIfEEE_St5arrayIPcLm2EELi4E23TrivialOffsetCalculatorILi1EjESE_NS0_6memory15LoadWithoutCastENSF_16StoreWithoutCastEEEviT_T0_T2_T3_T4_T5_
; %bb.0:
	s_clause 0x1
	s_load_b32 s2, s[0:1], 0x0
	s_load_b128 s[16:19], s[0:1], 0x8
	v_dual_mov_b32 v29, v0 :: v_dual_mov_b32 v18, 0
	s_lshl_b32 s10, s15, 10
	v_dual_mov_b32 v1, 0 :: v_dual_mov_b32 v0, 0
	s_delay_alu instid0(VALU_DEP_2)
	v_or_b32_e32 v30, s10, v29
	v_or_b32_e32 v32, 0x100, v29
	v_mov_b32_e32 v2, v29
	s_mov_b32 s32, 0
	s_waitcnt lgkmcnt(0)
	s_sub_i32 s11, s2, s10
	s_delay_alu instid0(SALU_CYCLE_1) | instskip(NEXT) | instid1(VALU_DEP_1)
	v_cmp_gt_i32_e64 s9, s11, v29
	s_and_saveexec_b32 s0, s9
	s_cbranch_execz .LBB62_2
; %bb.1:
	v_mov_b32_e32 v31, 0
	v_or_b32_e32 v2, 0x100, v29
	s_delay_alu instid0(VALU_DEP_2) | instskip(NEXT) | instid1(VALU_DEP_1)
	v_lshlrev_b64 v[0:1], 3, v[30:31]
	v_add_co_u32 v0, vcc_lo, s18, v0
	s_delay_alu instid0(VALU_DEP_2)
	v_add_co_ci_u32_e32 v1, vcc_lo, s19, v1, vcc_lo
	global_load_b64 v[0:1], v[0:1], off
.LBB62_2:
	s_or_b32 exec_lo, exec_lo, s0
	v_mov_b32_e32 v17, 0
	s_mov_b32 s0, exec_lo
	v_cmpx_gt_i32_e64 s11, v2
	s_cbranch_execz .LBB62_4
; %bb.3:
	v_dual_mov_b32 v4, 0 :: v_dual_add_nc_u32 v3, s10, v2
	v_add_nc_u32_e32 v2, 0x100, v2
	s_delay_alu instid0(VALU_DEP_2) | instskip(NEXT) | instid1(VALU_DEP_1)
	v_lshlrev_b64 v[3:4], 3, v[3:4]
	v_add_co_u32 v3, vcc_lo, s18, v3
	s_delay_alu instid0(VALU_DEP_2)
	v_add_co_ci_u32_e32 v4, vcc_lo, s19, v4, vcc_lo
	global_load_b64 v[17:18], v[3:4], off
.LBB62_4:
	s_or_b32 exec_lo, exec_lo, s0
	v_dual_mov_b32 v22, 0 :: v_dual_mov_b32 v27, 0
	v_mov_b32_e32 v28, 0
	s_mov_b32 s0, exec_lo
	v_cmpx_gt_i32_e64 s11, v2
	s_cbranch_execz .LBB62_6
; %bb.5:
	v_dual_mov_b32 v4, 0 :: v_dual_add_nc_u32 v3, s10, v2
	v_add_nc_u32_e32 v2, 0x100, v2
	s_delay_alu instid0(VALU_DEP_2) | instskip(NEXT) | instid1(VALU_DEP_1)
	v_lshlrev_b64 v[3:4], 3, v[3:4]
	v_add_co_u32 v3, vcc_lo, s18, v3
	s_delay_alu instid0(VALU_DEP_2)
	v_add_co_ci_u32_e32 v4, vcc_lo, s19, v4, vcc_lo
	global_load_b64 v[27:28], v[3:4], off
.LBB62_6:
	s_or_b32 exec_lo, exec_lo, s0
	v_mov_b32_e32 v21, 0
	s_mov_b32 s0, exec_lo
	v_cmpx_gt_i32_e64 s11, v2
	s_cbranch_execz .LBB62_8
; %bb.7:
	v_dual_mov_b32 v3, 0 :: v_dual_add_nc_u32 v2, s10, v2
	s_delay_alu instid0(VALU_DEP_1) | instskip(NEXT) | instid1(VALU_DEP_1)
	v_lshlrev_b64 v[2:3], 3, v[2:3]
	v_add_co_u32 v2, vcc_lo, s18, v2
	s_delay_alu instid0(VALU_DEP_2)
	v_add_co_ci_u32_e32 v3, vcc_lo, s19, v3, vcc_lo
	global_load_b64 v[21:22], v[2:3], off
.LBB62_8:
	s_or_b32 exec_lo, exec_lo, s0
	v_dual_mov_b32 v20, 0 :: v_dual_mov_b32 v23, 0
	v_mov_b32_e32 v24, 0
	s_and_saveexec_b32 s12, s9
	s_cbranch_execz .LBB62_10
; %bb.9:
	s_getpc_b64 s[0:1]
	s_add_u32 s0, s0, _ZN16c10_complex_math3expIfEEN3c107complexIT_EERKS4_@rel32@lo+4
	s_addc_u32 s1, s1, _ZN16c10_complex_math3expIfEEN3c107complexIT_EERKS4_@rel32@hi+12
	s_delay_alu instid0(SALU_CYCLE_1)
	s_swappc_b64 s[30:31], s[0:1]
	v_dual_mov_b32 v23, v0 :: v_dual_mov_b32 v24, v1
.LBB62_10:
	s_or_b32 exec_lo, exec_lo, s12
	v_mov_b32_e32 v19, 0
	s_mov_b32 s12, exec_lo
	v_cmpx_gt_i32_e64 s11, v32
	s_cbranch_execz .LBB62_12
; %bb.11:
	s_waitcnt vmcnt(0)
	v_dual_mov_b32 v0, v17 :: v_dual_mov_b32 v1, v18
	s_getpc_b64 s[0:1]
	s_add_u32 s0, s0, _ZN16c10_complex_math3expIfEEN3c107complexIT_EERKS4_@rel32@lo+4
	s_addc_u32 s1, s1, _ZN16c10_complex_math3expIfEEN3c107complexIT_EERKS4_@rel32@hi+12
	s_delay_alu instid0(SALU_CYCLE_1)
	s_swappc_b64 s[30:31], s[0:1]
	v_dual_mov_b32 v19, v0 :: v_dual_mov_b32 v20, v1
.LBB62_12:
	s_or_b32 exec_lo, exec_lo, s12
	s_waitcnt vmcnt(0)
	v_or_b32_e32 v0, 0x200, v29
	v_dual_mov_b32 v18, 0 :: v_dual_mov_b32 v25, 0
	v_mov_b32_e32 v26, 0
	s_mov_b32 s12, exec_lo
	s_delay_alu instid0(VALU_DEP_3)
	v_cmpx_gt_i32_e64 s11, v0
	s_cbranch_execz .LBB62_14
; %bb.13:
	v_dual_mov_b32 v0, v27 :: v_dual_mov_b32 v1, v28
	s_getpc_b64 s[0:1]
	s_add_u32 s0, s0, _ZN16c10_complex_math3expIfEEN3c107complexIT_EERKS4_@rel32@lo+4
	s_addc_u32 s1, s1, _ZN16c10_complex_math3expIfEEN3c107complexIT_EERKS4_@rel32@hi+12
	s_delay_alu instid0(SALU_CYCLE_1)
	s_swappc_b64 s[30:31], s[0:1]
	v_dual_mov_b32 v25, v0 :: v_dual_mov_b32 v26, v1
.LBB62_14:
	s_or_b32 exec_lo, exec_lo, s12
	v_or_b32_e32 v0, 0x300, v29
	v_mov_b32_e32 v17, 0
	s_mov_b32 s12, exec_lo
	s_delay_alu instid0(VALU_DEP_2)
	v_cmpx_gt_i32_e64 s11, v0
	s_cbranch_execnz .LBB62_20
; %bb.15:
	s_or_b32 exec_lo, exec_lo, s12
	s_and_saveexec_b32 s0, s9
	s_delay_alu instid0(SALU_CYCLE_1)
	s_xor_b32 s0, exec_lo, s0
	s_cbranch_execnz .LBB62_21
.LBB62_16:
	s_or_b32 exec_lo, exec_lo, s0
	s_delay_alu instid0(SALU_CYCLE_1)
	s_mov_b32 s0, exec_lo
	v_cmpx_gt_i32_e64 s11, v29
	s_cbranch_execnz .LBB62_22
.LBB62_17:
	s_or_b32 exec_lo, exec_lo, s0
	s_delay_alu instid0(SALU_CYCLE_1)
	s_mov_b32 s0, exec_lo
	v_cmpx_gt_i32_e64 s11, v29
	s_cbranch_execnz .LBB62_23
.LBB62_18:
	s_or_b32 exec_lo, exec_lo, s0
	s_delay_alu instid0(SALU_CYCLE_1)
	s_mov_b32 s0, exec_lo
	v_cmpx_gt_i32_e64 s11, v29
	s_cbranch_execnz .LBB62_24
.LBB62_19:
	s_endpgm
.LBB62_20:
	v_dual_mov_b32 v0, v21 :: v_dual_mov_b32 v1, v22
	s_getpc_b64 s[0:1]
	s_add_u32 s0, s0, _ZN16c10_complex_math3expIfEEN3c107complexIT_EERKS4_@rel32@lo+4
	s_addc_u32 s1, s1, _ZN16c10_complex_math3expIfEEN3c107complexIT_EERKS4_@rel32@hi+12
	s_delay_alu instid0(SALU_CYCLE_1) | instskip(SKIP_3) | instid1(SALU_CYCLE_1)
	s_swappc_b64 s[30:31], s[0:1]
	v_dual_mov_b32 v17, v0 :: v_dual_mov_b32 v18, v1
	s_or_b32 exec_lo, exec_lo, s12
	s_and_saveexec_b32 s0, s9
	s_xor_b32 s0, exec_lo, s0
	s_cbranch_execz .LBB62_16
.LBB62_21:
	v_mov_b32_e32 v31, 0
	v_mov_b32_e32 v29, v32
	s_delay_alu instid0(VALU_DEP_2) | instskip(NEXT) | instid1(VALU_DEP_1)
	v_lshlrev_b64 v[0:1], 3, v[30:31]
	v_add_co_u32 v0, vcc_lo, s16, v0
	s_delay_alu instid0(VALU_DEP_2) | instskip(SKIP_2) | instid1(SALU_CYCLE_1)
	v_add_co_ci_u32_e32 v1, vcc_lo, s17, v1, vcc_lo
	global_store_b64 v[0:1], v[23:24], off
	s_or_b32 exec_lo, exec_lo, s0
	s_mov_b32 s0, exec_lo
	v_cmpx_gt_i32_e64 s11, v29
	s_cbranch_execz .LBB62_17
.LBB62_22:
	v_dual_mov_b32 v1, 0 :: v_dual_add_nc_u32 v0, s10, v29
	v_add_nc_u32_e32 v29, 0x100, v29
	s_delay_alu instid0(VALU_DEP_2) | instskip(NEXT) | instid1(VALU_DEP_1)
	v_lshlrev_b64 v[0:1], 3, v[0:1]
	v_add_co_u32 v0, vcc_lo, s16, v0
	s_delay_alu instid0(VALU_DEP_2) | instskip(SKIP_2) | instid1(SALU_CYCLE_1)
	v_add_co_ci_u32_e32 v1, vcc_lo, s17, v1, vcc_lo
	global_store_b64 v[0:1], v[19:20], off
	s_or_b32 exec_lo, exec_lo, s0
	s_mov_b32 s0, exec_lo
	v_cmpx_gt_i32_e64 s11, v29
	s_cbranch_execz .LBB62_18
.LBB62_23:
	v_dual_mov_b32 v1, 0 :: v_dual_add_nc_u32 v0, s10, v29
	v_add_nc_u32_e32 v29, 0x100, v29
	s_delay_alu instid0(VALU_DEP_2) | instskip(NEXT) | instid1(VALU_DEP_1)
	v_lshlrev_b64 v[0:1], 3, v[0:1]
	v_add_co_u32 v0, vcc_lo, s16, v0
	s_delay_alu instid0(VALU_DEP_2) | instskip(SKIP_2) | instid1(SALU_CYCLE_1)
	v_add_co_ci_u32_e32 v1, vcc_lo, s17, v1, vcc_lo
	global_store_b64 v[0:1], v[25:26], off
	s_or_b32 exec_lo, exec_lo, s0
	s_mov_b32 s0, exec_lo
	v_cmpx_gt_i32_e64 s11, v29
	s_cbranch_execz .LBB62_19
.LBB62_24:
	v_dual_mov_b32 v1, 0 :: v_dual_add_nc_u32 v0, s10, v29
	s_delay_alu instid0(VALU_DEP_1) | instskip(NEXT) | instid1(VALU_DEP_1)
	v_lshlrev_b64 v[0:1], 3, v[0:1]
	v_add_co_u32 v0, vcc_lo, s16, v0
	s_delay_alu instid0(VALU_DEP_2)
	v_add_co_ci_u32_e32 v1, vcc_lo, s17, v1, vcc_lo
	global_store_b64 v[0:1], v[17:18], off
	s_endpgm
	.section	.rodata,"a",@progbits
	.p2align	6, 0x0
	.amdhsa_kernel _ZN2at6native27unrolled_elementwise_kernelIZZZNS0_15exp_kernel_cudaERNS_18TensorIteratorBaseEENKUlvE_clEvENKUlvE0_clEvEUlN3c107complexIfEEE_St5arrayIPcLm2EELi4E23TrivialOffsetCalculatorILi1EjESE_NS0_6memory15LoadWithoutCastENSF_16StoreWithoutCastEEEviT_T0_T2_T3_T4_T5_
		.amdhsa_group_segment_fixed_size 0
		.amdhsa_private_segment_fixed_size 0
		.amdhsa_kernarg_size 28
		.amdhsa_user_sgpr_count 15
		.amdhsa_user_sgpr_dispatch_ptr 0
		.amdhsa_user_sgpr_queue_ptr 0
		.amdhsa_user_sgpr_kernarg_segment_ptr 1
		.amdhsa_user_sgpr_dispatch_id 0
		.amdhsa_user_sgpr_private_segment_size 0
		.amdhsa_wavefront_size32 1
		.amdhsa_uses_dynamic_stack 0
		.amdhsa_enable_private_segment 0
		.amdhsa_system_sgpr_workgroup_id_x 1
		.amdhsa_system_sgpr_workgroup_id_y 0
		.amdhsa_system_sgpr_workgroup_id_z 0
		.amdhsa_system_sgpr_workgroup_info 0
		.amdhsa_system_vgpr_workitem_id 0
		.amdhsa_next_free_vgpr 33
		.amdhsa_next_free_sgpr 33
		.amdhsa_reserve_vcc 1
		.amdhsa_float_round_mode_32 0
		.amdhsa_float_round_mode_16_64 0
		.amdhsa_float_denorm_mode_32 3
		.amdhsa_float_denorm_mode_16_64 3
		.amdhsa_dx10_clamp 1
		.amdhsa_ieee_mode 1
		.amdhsa_fp16_overflow 0
		.amdhsa_workgroup_processor_mode 1
		.amdhsa_memory_ordered 1
		.amdhsa_forward_progress 0
		.amdhsa_shared_vgpr_count 0
		.amdhsa_exception_fp_ieee_invalid_op 0
		.amdhsa_exception_fp_denorm_src 0
		.amdhsa_exception_fp_ieee_div_zero 0
		.amdhsa_exception_fp_ieee_overflow 0
		.amdhsa_exception_fp_ieee_underflow 0
		.amdhsa_exception_fp_ieee_inexact 0
		.amdhsa_exception_int_div_zero 0
	.end_amdhsa_kernel
	.section	.text._ZN2at6native27unrolled_elementwise_kernelIZZZNS0_15exp_kernel_cudaERNS_18TensorIteratorBaseEENKUlvE_clEvENKUlvE0_clEvEUlN3c107complexIfEEE_St5arrayIPcLm2EELi4E23TrivialOffsetCalculatorILi1EjESE_NS0_6memory15LoadWithoutCastENSF_16StoreWithoutCastEEEviT_T0_T2_T3_T4_T5_,"axG",@progbits,_ZN2at6native27unrolled_elementwise_kernelIZZZNS0_15exp_kernel_cudaERNS_18TensorIteratorBaseEENKUlvE_clEvENKUlvE0_clEvEUlN3c107complexIfEEE_St5arrayIPcLm2EELi4E23TrivialOffsetCalculatorILi1EjESE_NS0_6memory15LoadWithoutCastENSF_16StoreWithoutCastEEEviT_T0_T2_T3_T4_T5_,comdat
.Lfunc_end62:
	.size	_ZN2at6native27unrolled_elementwise_kernelIZZZNS0_15exp_kernel_cudaERNS_18TensorIteratorBaseEENKUlvE_clEvENKUlvE0_clEvEUlN3c107complexIfEEE_St5arrayIPcLm2EELi4E23TrivialOffsetCalculatorILi1EjESE_NS0_6memory15LoadWithoutCastENSF_16StoreWithoutCastEEEviT_T0_T2_T3_T4_T5_, .Lfunc_end62-_ZN2at6native27unrolled_elementwise_kernelIZZZNS0_15exp_kernel_cudaERNS_18TensorIteratorBaseEENKUlvE_clEvENKUlvE0_clEvEUlN3c107complexIfEEE_St5arrayIPcLm2EELi4E23TrivialOffsetCalculatorILi1EjESE_NS0_6memory15LoadWithoutCastENSF_16StoreWithoutCastEEEviT_T0_T2_T3_T4_T5_
                                        ; -- End function
	.section	.AMDGPU.csdata,"",@progbits
; Kernel info:
; codeLenInByte = 1040
; NumSgprs: 35
; NumVgprs: 33
; ScratchSize: 0
; MemoryBound: 0
; FloatMode: 240
; IeeeMode: 1
; LDSByteSize: 0 bytes/workgroup (compile time only)
; SGPRBlocks: 4
; VGPRBlocks: 4
; NumSGPRsForWavesPerEU: 35
; NumVGPRsForWavesPerEU: 33
; Occupancy: 16
; WaveLimiterHint : 0
; COMPUTE_PGM_RSRC2:SCRATCH_EN: 0
; COMPUTE_PGM_RSRC2:USER_SGPR: 15
; COMPUTE_PGM_RSRC2:TRAP_HANDLER: 0
; COMPUTE_PGM_RSRC2:TGID_X_EN: 1
; COMPUTE_PGM_RSRC2:TGID_Y_EN: 0
; COMPUTE_PGM_RSRC2:TGID_Z_EN: 0
; COMPUTE_PGM_RSRC2:TIDIG_COMP_CNT: 0
	.section	.text._ZN2at6native32elementwise_kernel_manual_unrollILi128ELi4EZNS0_22gpu_kernel_impl_nocastIZZZNS0_15exp_kernel_cudaERNS_18TensorIteratorBaseEENKUlvE_clEvENKUlvE0_clEvEUlN3c107complexIfEEE_EEvS4_RKT_EUlibE_EEviT1_,"axG",@progbits,_ZN2at6native32elementwise_kernel_manual_unrollILi128ELi4EZNS0_22gpu_kernel_impl_nocastIZZZNS0_15exp_kernel_cudaERNS_18TensorIteratorBaseEENKUlvE_clEvENKUlvE0_clEvEUlN3c107complexIfEEE_EEvS4_RKT_EUlibE_EEviT1_,comdat
	.globl	_ZN2at6native32elementwise_kernel_manual_unrollILi128ELi4EZNS0_22gpu_kernel_impl_nocastIZZZNS0_15exp_kernel_cudaERNS_18TensorIteratorBaseEENKUlvE_clEvENKUlvE0_clEvEUlN3c107complexIfEEE_EEvS4_RKT_EUlibE_EEviT1_ ; -- Begin function _ZN2at6native32elementwise_kernel_manual_unrollILi128ELi4EZNS0_22gpu_kernel_impl_nocastIZZZNS0_15exp_kernel_cudaERNS_18TensorIteratorBaseEENKUlvE_clEvENKUlvE0_clEvEUlN3c107complexIfEEE_EEvS4_RKT_EUlibE_EEviT1_
	.p2align	8
	.type	_ZN2at6native32elementwise_kernel_manual_unrollILi128ELi4EZNS0_22gpu_kernel_impl_nocastIZZZNS0_15exp_kernel_cudaERNS_18TensorIteratorBaseEENKUlvE_clEvENKUlvE0_clEvEUlN3c107complexIfEEE_EEvS4_RKT_EUlibE_EEviT1_,@function
_ZN2at6native32elementwise_kernel_manual_unrollILi128ELi4EZNS0_22gpu_kernel_impl_nocastIZZZNS0_15exp_kernel_cudaERNS_18TensorIteratorBaseEENKUlvE_clEvENKUlvE0_clEvEUlN3c107complexIfEEE_EEvS4_RKT_EUlibE_EEviT1_: ; @_ZN2at6native32elementwise_kernel_manual_unrollILi128ELi4EZNS0_22gpu_kernel_impl_nocastIZZZNS0_15exp_kernel_cudaERNS_18TensorIteratorBaseEENKUlvE_clEvENKUlvE0_clEvEUlN3c107complexIfEEE_EEvS4_RKT_EUlibE_EEviT1_
; %bb.0:
	s_clause 0x1
	s_load_b32 s9, s[0:1], 0x8
	s_load_b32 s35, s[0:1], 0x0
	v_lshl_or_b32 v18, s15, 9, v0
	s_mov_b64 s[10:11], s[0:1]
	s_mov_b32 s16, 0
	s_or_b32 s10, s10, 8
	s_mov_b32 s32, 0
	v_or_b32_e32 v2, 0x180, v18
                                        ; implicit-def: $vgpr28_vgpr29
                                        ; implicit-def: $vgpr1
	s_mov_b32 s0, exec_lo
	s_waitcnt lgkmcnt(0)
	s_add_i32 s28, s9, -1
	s_delay_alu instid0(SALU_CYCLE_1)
	s_cmp_gt_u32 s28, 1
	s_cselect_b32 s29, -1, 0
	v_cmpx_le_i32_e64 s35, v2
	s_xor_b32 s33, exec_lo, s0
	s_cbranch_execnz .LBB63_4
; %bb.1:
	s_and_not1_saveexec_b32 s17, s33
	s_cbranch_execnz .LBB63_65
.LBB63_2:
	s_or_b32 exec_lo, exec_lo, s17
	s_and_saveexec_b32 s0, s16
	s_cbranch_execnz .LBB63_118
.LBB63_3:
	s_endpgm
.LBB63_4:
	s_clause 0x3
	s_load_b128 s[20:23], s[10:11], 0x4
	s_load_b64 s[24:25], s[10:11], 0x14
	s_load_b128 s[16:19], s[10:11], 0xc4
	s_load_b128 s[12:15], s[10:11], 0x148
	s_cmp_lg_u32 s9, 0
	s_mov_b32 s38, exec_lo
	s_cselect_b32 s37, -1, 0
	s_add_u32 s26, s10, 0xc4
	s_addc_u32 s27, s11, 0
	s_min_u32 s36, s28, 15
	s_cmp_gt_u32 s9, 1
	s_cselect_b32 s34, -1, 0
	v_cmpx_gt_i32_e64 s35, v18
	s_cbranch_execnz .LBB63_7
; %bb.5:
	s_or_b32 exec_lo, exec_lo, s38
	s_delay_alu instid0(SALU_CYCLE_1)
	s_mov_b32 s38, exec_lo
	v_cmpx_gt_i32_e64 s35, v18
	s_cbranch_execnz .LBB63_21
.LBB63_6:
	s_or_b32 exec_lo, exec_lo, s38
	s_delay_alu instid0(SALU_CYCLE_1)
	s_mov_b32 s38, exec_lo
	v_cmpx_gt_i32_e64 s35, v18
	s_cbranch_execnz .LBB63_35
	s_branch .LBB63_49
.LBB63_7:
	s_and_not1_b32 vcc_lo, exec_lo, s29
	s_cbranch_vccnz .LBB63_12
; %bb.8:
	v_dual_mov_b32 v17, 0 :: v_dual_mov_b32 v0, 0
	s_and_not1_b32 vcc_lo, exec_lo, s37
	s_mov_b32 s4, 0
	s_cbranch_vccnz .LBB63_17
; %bb.9:
	v_mov_b32_e32 v17, 0
	s_add_i32 s6, s36, 1
	s_cmp_eq_u32 s28, 2
	s_mov_b32 s5, 0
	s_cbranch_scc1 .LBB63_13
; %bb.10:
	v_dual_mov_b32 v0, 0 :: v_dual_mov_b32 v17, 0
	v_mov_b32_e32 v1, v18
	s_and_b32 s5, s6, 28
	s_mov_b32 s7, 0
	s_mov_b64 s[0:1], s[26:27]
	s_mov_b64 s[2:3], s[10:11]
.LBB63_11:                              ; =>This Inner Loop Header: Depth=1
	s_clause 0x1
	s_load_b256 s[40:47], s[2:3], 0x4
	s_load_b128 s[56:59], s[2:3], 0x24
	s_load_b256 s[48:55], s[0:1], 0x0
	s_add_u32 s2, s2, 48
	s_addc_u32 s3, s3, 0
	s_add_i32 s7, s7, 4
	s_add_u32 s0, s0, 32
	s_addc_u32 s1, s1, 0
	s_cmp_lg_u32 s5, s7
	s_waitcnt lgkmcnt(0)
	v_mul_hi_u32 v2, s41, v1
	s_delay_alu instid0(VALU_DEP_1) | instskip(NEXT) | instid1(VALU_DEP_1)
	v_add_nc_u32_e32 v2, v1, v2
	v_lshrrev_b32_e32 v2, s42, v2
	s_delay_alu instid0(VALU_DEP_1) | instskip(SKIP_1) | instid1(VALU_DEP_2)
	v_mul_hi_u32 v3, s44, v2
	v_mul_lo_u32 v5, v2, s40
	v_add_nc_u32_e32 v3, v2, v3
	s_delay_alu instid0(VALU_DEP_2) | instskip(NEXT) | instid1(VALU_DEP_2)
	v_sub_nc_u32_e32 v1, v1, v5
	v_lshrrev_b32_e32 v3, s45, v3
	s_delay_alu instid0(VALU_DEP_2) | instskip(SKIP_1) | instid1(VALU_DEP_3)
	v_mul_lo_u32 v5, v1, s48
	v_mul_lo_u32 v7, v1, s49
	v_mul_hi_u32 v4, s47, v3
	s_delay_alu instid0(VALU_DEP_1) | instskip(NEXT) | instid1(VALU_DEP_1)
	v_add_nc_u32_e32 v4, v3, v4
	v_lshrrev_b32_e32 v4, s56, v4
	s_delay_alu instid0(VALU_DEP_1) | instskip(SKIP_1) | instid1(VALU_DEP_2)
	v_mul_hi_u32 v6, s58, v4
	v_mul_lo_u32 v8, v4, s46
	v_add_nc_u32_e32 v1, v4, v6
	v_mul_lo_u32 v6, v3, s43
	s_delay_alu instid0(VALU_DEP_3) | instskip(NEXT) | instid1(VALU_DEP_3)
	v_sub_nc_u32_e32 v3, v3, v8
	v_lshrrev_b32_e32 v1, s59, v1
	s_delay_alu instid0(VALU_DEP_2) | instskip(SKIP_2) | instid1(VALU_DEP_4)
	v_mul_lo_u32 v8, v3, s52
	v_mul_lo_u32 v3, v3, s53
	v_sub_nc_u32_e32 v2, v2, v6
	v_mul_lo_u32 v9, v1, s57
	s_delay_alu instid0(VALU_DEP_2) | instskip(SKIP_1) | instid1(VALU_DEP_3)
	v_mul_lo_u32 v6, v2, s50
	v_mul_lo_u32 v2, v2, s51
	v_sub_nc_u32_e32 v4, v4, v9
	s_delay_alu instid0(VALU_DEP_3) | instskip(NEXT) | instid1(VALU_DEP_2)
	v_add3_u32 v5, v5, v17, v6
	v_mul_lo_u32 v9, v4, s54
	v_mul_lo_u32 v4, v4, s55
	v_add3_u32 v0, v7, v0, v2
	s_delay_alu instid0(VALU_DEP_3) | instskip(NEXT) | instid1(VALU_DEP_2)
	v_add3_u32 v17, v8, v5, v9
	v_add3_u32 v0, v3, v0, v4
	s_cbranch_scc1 .LBB63_11
	s_branch .LBB63_14
.LBB63_12:
	s_mov_b32 s4, -1
                                        ; implicit-def: $vgpr17
                                        ; implicit-def: $vgpr0
	s_branch .LBB63_17
.LBB63_13:
	v_dual_mov_b32 v1, v18 :: v_dual_mov_b32 v0, 0
.LBB63_14:
	s_and_b32 s6, s6, 3
	s_delay_alu instid0(SALU_CYCLE_1)
	s_cmp_eq_u32 s6, 0
	s_cbranch_scc1 .LBB63_17
; %bb.15:
	s_lshl_b32 s0, s5, 3
	s_mul_i32 s2, s5, 12
	s_add_u32 s0, s0, s10
	s_addc_u32 s1, s11, 0
	s_add_u32 s0, s0, 0xc4
	s_addc_u32 s1, s1, 0
	;; [unrolled: 2-line block ×3, first 2 shown]
	.p2align	6
.LBB63_16:                              ; =>This Inner Loop Header: Depth=1
	s_clause 0x1
	s_load_b64 s[30:31], s[2:3], 0x4
	s_load_b32 s5, s[2:3], 0xc
	s_load_b64 s[40:41], s[0:1], 0x0
	s_add_u32 s2, s2, 12
	s_addc_u32 s3, s3, 0
	s_add_u32 s0, s0, 8
	s_addc_u32 s1, s1, 0
	s_add_i32 s6, s6, -1
	s_delay_alu instid0(SALU_CYCLE_1) | instskip(SKIP_2) | instid1(VALU_DEP_1)
	s_cmp_lg_u32 s6, 0
	s_waitcnt lgkmcnt(0)
	v_mul_hi_u32 v2, s31, v1
	v_add_nc_u32_e32 v2, v1, v2
	s_delay_alu instid0(VALU_DEP_1) | instskip(NEXT) | instid1(VALU_DEP_1)
	v_lshrrev_b32_e32 v5, s5, v2
	v_mul_lo_u32 v2, v5, s30
	s_delay_alu instid0(VALU_DEP_1) | instskip(NEXT) | instid1(VALU_DEP_1)
	v_sub_nc_u32_e32 v1, v1, v2
	v_mad_u64_u32 v[2:3], null, v1, s40, v[17:18]
	v_mad_u64_u32 v[3:4], null, v1, s41, v[0:1]
	v_mov_b32_e32 v1, v5
	s_delay_alu instid0(VALU_DEP_2)
	v_dual_mov_b32 v17, v2 :: v_dual_mov_b32 v0, v3
	s_cbranch_scc1 .LBB63_16
.LBB63_17:
	s_and_not1_b32 vcc_lo, exec_lo, s4
	s_cbranch_vccnz .LBB63_20
; %bb.18:
	s_waitcnt lgkmcnt(0)
	v_mul_hi_u32 v0, s21, v18
	s_and_not1_b32 vcc_lo, exec_lo, s34
	s_delay_alu instid0(VALU_DEP_1) | instskip(NEXT) | instid1(VALU_DEP_1)
	v_add_nc_u32_e32 v0, v18, v0
	v_lshrrev_b32_e32 v1, s22, v0
	s_delay_alu instid0(VALU_DEP_1) | instskip(NEXT) | instid1(VALU_DEP_1)
	v_mul_lo_u32 v0, v1, s20
	v_sub_nc_u32_e32 v0, v18, v0
	s_delay_alu instid0(VALU_DEP_1)
	v_mul_lo_u32 v17, v0, s16
	v_mul_lo_u32 v0, v0, s17
	s_cbranch_vccnz .LBB63_20
; %bb.19:
	v_mul_hi_u32 v2, s24, v1
	s_delay_alu instid0(VALU_DEP_1) | instskip(NEXT) | instid1(VALU_DEP_1)
	v_add_nc_u32_e32 v2, v1, v2
	v_lshrrev_b32_e32 v2, s25, v2
	s_delay_alu instid0(VALU_DEP_1) | instskip(NEXT) | instid1(VALU_DEP_1)
	v_mul_lo_u32 v2, v2, s23
	v_sub_nc_u32_e32 v4, v1, v2
	s_delay_alu instid0(VALU_DEP_1) | instskip(NEXT) | instid1(VALU_DEP_1)
	v_mad_u64_u32 v[1:2], null, v4, s18, v[17:18]
	v_mad_u64_u32 v[2:3], null, v4, s19, v[0:1]
	s_delay_alu instid0(VALU_DEP_1)
	v_dual_mov_b32 v17, v1 :: v_dual_mov_b32 v0, v2
.LBB63_20:
	s_waitcnt lgkmcnt(0)
	global_load_b64 v[0:1], v0, s[14:15]
	s_getpc_b64 s[0:1]
	s_add_u32 s0, s0, _ZN16c10_complex_math3expIfEEN3c107complexIT_EERKS4_@rel32@lo+4
	s_addc_u32 s1, s1, _ZN16c10_complex_math3expIfEEN3c107complexIT_EERKS4_@rel32@hi+12
	s_delay_alu instid0(SALU_CYCLE_1) | instskip(SKIP_3) | instid1(SALU_CYCLE_1)
	s_swappc_b64 s[30:31], s[0:1]
	v_add_nc_u32_e32 v18, 0x80, v18
	global_store_b64 v17, v[0:1], s[12:13]
	s_or_b32 exec_lo, exec_lo, s38
	s_mov_b32 s38, exec_lo
	v_cmpx_gt_i32_e64 s35, v18
	s_cbranch_execz .LBB63_6
.LBB63_21:
	s_and_not1_b32 vcc_lo, exec_lo, s29
	s_cbranch_vccnz .LBB63_26
; %bb.22:
	v_dual_mov_b32 v17, 0 :: v_dual_mov_b32 v0, 0
	s_and_not1_b32 vcc_lo, exec_lo, s37
	s_mov_b32 s4, 0
	s_cbranch_vccnz .LBB63_31
; %bb.23:
	v_mov_b32_e32 v17, 0
	s_add_i32 s6, s36, 1
	s_cmp_eq_u32 s28, 2
	s_mov_b32 s5, 0
	s_cbranch_scc1 .LBB63_27
; %bb.24:
	v_dual_mov_b32 v0, 0 :: v_dual_mov_b32 v17, 0
	v_mov_b32_e32 v1, v18
	s_and_b32 s5, s6, 28
	s_mov_b32 s7, 0
	s_mov_b64 s[0:1], s[26:27]
	s_mov_b64 s[2:3], s[10:11]
.LBB63_25:                              ; =>This Inner Loop Header: Depth=1
	s_clause 0x1
	s_load_b256 s[40:47], s[2:3], 0x4
	s_load_b128 s[56:59], s[2:3], 0x24
	s_load_b256 s[48:55], s[0:1], 0x0
	s_add_u32 s2, s2, 48
	s_addc_u32 s3, s3, 0
	s_add_i32 s7, s7, 4
	s_add_u32 s0, s0, 32
	s_addc_u32 s1, s1, 0
	s_cmp_eq_u32 s5, s7
	s_waitcnt lgkmcnt(0)
	v_mul_hi_u32 v2, s41, v1
	s_delay_alu instid0(VALU_DEP_1) | instskip(NEXT) | instid1(VALU_DEP_1)
	v_add_nc_u32_e32 v2, v1, v2
	v_lshrrev_b32_e32 v2, s42, v2
	s_delay_alu instid0(VALU_DEP_1) | instskip(SKIP_1) | instid1(VALU_DEP_2)
	v_mul_hi_u32 v3, s44, v2
	v_mul_lo_u32 v5, v2, s40
	v_add_nc_u32_e32 v3, v2, v3
	s_delay_alu instid0(VALU_DEP_2) | instskip(NEXT) | instid1(VALU_DEP_2)
	v_sub_nc_u32_e32 v1, v1, v5
	v_lshrrev_b32_e32 v3, s45, v3
	s_delay_alu instid0(VALU_DEP_2) | instskip(SKIP_1) | instid1(VALU_DEP_3)
	v_mul_lo_u32 v5, v1, s48
	v_mul_lo_u32 v7, v1, s49
	v_mul_hi_u32 v4, s47, v3
	s_delay_alu instid0(VALU_DEP_1) | instskip(NEXT) | instid1(VALU_DEP_1)
	v_add_nc_u32_e32 v4, v3, v4
	v_lshrrev_b32_e32 v4, s56, v4
	s_delay_alu instid0(VALU_DEP_1) | instskip(SKIP_1) | instid1(VALU_DEP_2)
	v_mul_hi_u32 v6, s58, v4
	v_mul_lo_u32 v8, v4, s46
	v_add_nc_u32_e32 v1, v4, v6
	v_mul_lo_u32 v6, v3, s43
	s_delay_alu instid0(VALU_DEP_3) | instskip(NEXT) | instid1(VALU_DEP_3)
	v_sub_nc_u32_e32 v3, v3, v8
	v_lshrrev_b32_e32 v1, s59, v1
	s_delay_alu instid0(VALU_DEP_2) | instskip(SKIP_2) | instid1(VALU_DEP_4)
	v_mul_lo_u32 v8, v3, s52
	v_mul_lo_u32 v3, v3, s53
	v_sub_nc_u32_e32 v2, v2, v6
	v_mul_lo_u32 v9, v1, s57
	s_delay_alu instid0(VALU_DEP_2) | instskip(SKIP_1) | instid1(VALU_DEP_3)
	v_mul_lo_u32 v6, v2, s50
	v_mul_lo_u32 v2, v2, s51
	v_sub_nc_u32_e32 v4, v4, v9
	s_delay_alu instid0(VALU_DEP_3) | instskip(NEXT) | instid1(VALU_DEP_2)
	v_add3_u32 v5, v5, v17, v6
	v_mul_lo_u32 v9, v4, s54
	v_mul_lo_u32 v4, v4, s55
	v_add3_u32 v0, v7, v0, v2
	s_delay_alu instid0(VALU_DEP_3) | instskip(NEXT) | instid1(VALU_DEP_2)
	v_add3_u32 v17, v8, v5, v9
	v_add3_u32 v0, v3, v0, v4
	s_cbranch_scc0 .LBB63_25
	s_branch .LBB63_28
.LBB63_26:
	s_mov_b32 s4, -1
                                        ; implicit-def: $vgpr17
                                        ; implicit-def: $vgpr0
	s_branch .LBB63_31
.LBB63_27:
	v_dual_mov_b32 v1, v18 :: v_dual_mov_b32 v0, 0
.LBB63_28:
	s_and_b32 s6, s6, 3
	s_delay_alu instid0(SALU_CYCLE_1)
	s_cmp_eq_u32 s6, 0
	s_cbranch_scc1 .LBB63_31
; %bb.29:
	s_lshl_b32 s0, s5, 3
	s_mul_i32 s2, s5, 12
	s_add_u32 s0, s0, s10
	s_addc_u32 s1, s11, 0
	s_add_u32 s0, s0, 0xc4
	s_addc_u32 s1, s1, 0
	;; [unrolled: 2-line block ×3, first 2 shown]
	.p2align	6
.LBB63_30:                              ; =>This Inner Loop Header: Depth=1
	s_clause 0x1
	s_load_b64 s[30:31], s[2:3], 0x4
	s_load_b32 s5, s[2:3], 0xc
	s_load_b64 s[40:41], s[0:1], 0x0
	s_add_u32 s2, s2, 12
	s_addc_u32 s3, s3, 0
	s_add_u32 s0, s0, 8
	s_addc_u32 s1, s1, 0
	s_add_i32 s6, s6, -1
	s_delay_alu instid0(SALU_CYCLE_1) | instskip(SKIP_2) | instid1(VALU_DEP_1)
	s_cmp_lg_u32 s6, 0
	s_waitcnt lgkmcnt(0)
	v_mul_hi_u32 v2, s31, v1
	v_add_nc_u32_e32 v2, v1, v2
	s_delay_alu instid0(VALU_DEP_1) | instskip(NEXT) | instid1(VALU_DEP_1)
	v_lshrrev_b32_e32 v5, s5, v2
	v_mul_lo_u32 v2, v5, s30
	s_delay_alu instid0(VALU_DEP_1) | instskip(NEXT) | instid1(VALU_DEP_1)
	v_sub_nc_u32_e32 v1, v1, v2
	v_mad_u64_u32 v[2:3], null, v1, s40, v[17:18]
	v_mad_u64_u32 v[3:4], null, v1, s41, v[0:1]
	v_mov_b32_e32 v1, v5
	s_delay_alu instid0(VALU_DEP_2)
	v_dual_mov_b32 v17, v2 :: v_dual_mov_b32 v0, v3
	s_cbranch_scc1 .LBB63_30
.LBB63_31:
	s_and_not1_b32 vcc_lo, exec_lo, s4
	s_cbranch_vccnz .LBB63_34
; %bb.32:
	s_waitcnt lgkmcnt(0)
	v_mul_hi_u32 v0, s21, v18
	s_and_not1_b32 vcc_lo, exec_lo, s34
	s_delay_alu instid0(VALU_DEP_1) | instskip(NEXT) | instid1(VALU_DEP_1)
	v_add_nc_u32_e32 v0, v18, v0
	v_lshrrev_b32_e32 v1, s22, v0
	s_delay_alu instid0(VALU_DEP_1) | instskip(NEXT) | instid1(VALU_DEP_1)
	v_mul_lo_u32 v0, v1, s20
	v_sub_nc_u32_e32 v0, v18, v0
	s_delay_alu instid0(VALU_DEP_1)
	v_mul_lo_u32 v17, v0, s16
	v_mul_lo_u32 v0, v0, s17
	s_cbranch_vccnz .LBB63_34
; %bb.33:
	v_mul_hi_u32 v2, s24, v1
	s_delay_alu instid0(VALU_DEP_1) | instskip(NEXT) | instid1(VALU_DEP_1)
	v_add_nc_u32_e32 v2, v1, v2
	v_lshrrev_b32_e32 v2, s25, v2
	s_delay_alu instid0(VALU_DEP_1) | instskip(NEXT) | instid1(VALU_DEP_1)
	v_mul_lo_u32 v2, v2, s23
	v_sub_nc_u32_e32 v4, v1, v2
	s_delay_alu instid0(VALU_DEP_1) | instskip(NEXT) | instid1(VALU_DEP_1)
	v_mad_u64_u32 v[1:2], null, v4, s18, v[17:18]
	v_mad_u64_u32 v[2:3], null, v4, s19, v[0:1]
	s_delay_alu instid0(VALU_DEP_1)
	v_dual_mov_b32 v17, v1 :: v_dual_mov_b32 v0, v2
.LBB63_34:
	s_waitcnt lgkmcnt(0)
	global_load_b64 v[0:1], v0, s[14:15]
	s_getpc_b64 s[0:1]
	s_add_u32 s0, s0, _ZN16c10_complex_math3expIfEEN3c107complexIT_EERKS4_@rel32@lo+4
	s_addc_u32 s1, s1, _ZN16c10_complex_math3expIfEEN3c107complexIT_EERKS4_@rel32@hi+12
	s_delay_alu instid0(SALU_CYCLE_1) | instskip(SKIP_3) | instid1(SALU_CYCLE_1)
	s_swappc_b64 s[30:31], s[0:1]
	v_add_nc_u32_e32 v18, 0x80, v18
	global_store_b64 v17, v[0:1], s[12:13]
	s_or_b32 exec_lo, exec_lo, s38
	s_mov_b32 s38, exec_lo
	v_cmpx_gt_i32_e64 s35, v18
	s_cbranch_execz .LBB63_49
.LBB63_35:
	s_and_not1_b32 vcc_lo, exec_lo, s29
	s_cbranch_vccnz .LBB63_40
; %bb.36:
	v_dual_mov_b32 v17, 0 :: v_dual_mov_b32 v0, 0
	s_and_not1_b32 vcc_lo, exec_lo, s37
	s_mov_b32 s4, 0
	s_cbranch_vccnz .LBB63_45
; %bb.37:
	v_mov_b32_e32 v17, 0
	s_add_i32 s6, s36, 1
	s_cmp_eq_u32 s28, 2
	s_mov_b32 s5, 0
	s_cbranch_scc1 .LBB63_41
; %bb.38:
	v_dual_mov_b32 v0, 0 :: v_dual_mov_b32 v17, 0
	v_mov_b32_e32 v1, v18
	s_and_b32 s5, s6, 28
	s_mov_b32 s7, 0
	s_mov_b64 s[0:1], s[26:27]
	s_mov_b64 s[2:3], s[10:11]
.LBB63_39:                              ; =>This Inner Loop Header: Depth=1
	s_clause 0x1
	s_load_b256 s[40:47], s[2:3], 0x4
	s_load_b128 s[56:59], s[2:3], 0x24
	s_load_b256 s[48:55], s[0:1], 0x0
	s_add_u32 s2, s2, 48
	s_addc_u32 s3, s3, 0
	s_add_i32 s7, s7, 4
	s_add_u32 s0, s0, 32
	s_addc_u32 s1, s1, 0
	s_cmp_eq_u32 s5, s7
	s_waitcnt lgkmcnt(0)
	v_mul_hi_u32 v2, s41, v1
	s_delay_alu instid0(VALU_DEP_1) | instskip(NEXT) | instid1(VALU_DEP_1)
	v_add_nc_u32_e32 v2, v1, v2
	v_lshrrev_b32_e32 v2, s42, v2
	s_delay_alu instid0(VALU_DEP_1) | instskip(SKIP_1) | instid1(VALU_DEP_2)
	v_mul_hi_u32 v3, s44, v2
	v_mul_lo_u32 v5, v2, s40
	v_add_nc_u32_e32 v3, v2, v3
	s_delay_alu instid0(VALU_DEP_2) | instskip(NEXT) | instid1(VALU_DEP_2)
	v_sub_nc_u32_e32 v1, v1, v5
	v_lshrrev_b32_e32 v3, s45, v3
	s_delay_alu instid0(VALU_DEP_2) | instskip(SKIP_1) | instid1(VALU_DEP_3)
	v_mul_lo_u32 v5, v1, s48
	v_mul_lo_u32 v7, v1, s49
	v_mul_hi_u32 v4, s47, v3
	s_delay_alu instid0(VALU_DEP_1) | instskip(NEXT) | instid1(VALU_DEP_1)
	v_add_nc_u32_e32 v4, v3, v4
	v_lshrrev_b32_e32 v4, s56, v4
	s_delay_alu instid0(VALU_DEP_1) | instskip(SKIP_1) | instid1(VALU_DEP_2)
	v_mul_hi_u32 v6, s58, v4
	v_mul_lo_u32 v8, v4, s46
	v_add_nc_u32_e32 v1, v4, v6
	v_mul_lo_u32 v6, v3, s43
	s_delay_alu instid0(VALU_DEP_3) | instskip(NEXT) | instid1(VALU_DEP_3)
	v_sub_nc_u32_e32 v3, v3, v8
	v_lshrrev_b32_e32 v1, s59, v1
	s_delay_alu instid0(VALU_DEP_2) | instskip(SKIP_2) | instid1(VALU_DEP_4)
	v_mul_lo_u32 v8, v3, s52
	v_mul_lo_u32 v3, v3, s53
	v_sub_nc_u32_e32 v2, v2, v6
	v_mul_lo_u32 v9, v1, s57
	s_delay_alu instid0(VALU_DEP_2) | instskip(SKIP_1) | instid1(VALU_DEP_3)
	v_mul_lo_u32 v6, v2, s50
	v_mul_lo_u32 v2, v2, s51
	v_sub_nc_u32_e32 v4, v4, v9
	s_delay_alu instid0(VALU_DEP_3) | instskip(NEXT) | instid1(VALU_DEP_2)
	v_add3_u32 v5, v5, v17, v6
	v_mul_lo_u32 v9, v4, s54
	v_mul_lo_u32 v4, v4, s55
	v_add3_u32 v0, v7, v0, v2
	s_delay_alu instid0(VALU_DEP_3) | instskip(NEXT) | instid1(VALU_DEP_2)
	v_add3_u32 v17, v8, v5, v9
	v_add3_u32 v0, v3, v0, v4
	s_cbranch_scc0 .LBB63_39
	s_branch .LBB63_42
.LBB63_40:
	s_mov_b32 s4, -1
                                        ; implicit-def: $vgpr17
                                        ; implicit-def: $vgpr0
	s_branch .LBB63_45
.LBB63_41:
	v_dual_mov_b32 v1, v18 :: v_dual_mov_b32 v0, 0
.LBB63_42:
	s_and_b32 s6, s6, 3
	s_delay_alu instid0(SALU_CYCLE_1)
	s_cmp_eq_u32 s6, 0
	s_cbranch_scc1 .LBB63_45
; %bb.43:
	s_lshl_b32 s0, s5, 3
	s_mul_i32 s2, s5, 12
	s_add_u32 s0, s0, s10
	s_addc_u32 s1, s11, 0
	s_add_u32 s0, s0, 0xc4
	s_addc_u32 s1, s1, 0
	s_add_u32 s2, s10, s2
	s_addc_u32 s3, s11, 0
	.p2align	6
.LBB63_44:                              ; =>This Inner Loop Header: Depth=1
	s_clause 0x1
	s_load_b64 s[30:31], s[2:3], 0x4
	s_load_b32 s5, s[2:3], 0xc
	s_load_b64 s[40:41], s[0:1], 0x0
	s_add_u32 s2, s2, 12
	s_addc_u32 s3, s3, 0
	s_add_u32 s0, s0, 8
	s_addc_u32 s1, s1, 0
	s_add_i32 s6, s6, -1
	s_delay_alu instid0(SALU_CYCLE_1) | instskip(SKIP_2) | instid1(VALU_DEP_1)
	s_cmp_lg_u32 s6, 0
	s_waitcnt lgkmcnt(0)
	v_mul_hi_u32 v2, s31, v1
	v_add_nc_u32_e32 v2, v1, v2
	s_delay_alu instid0(VALU_DEP_1) | instskip(NEXT) | instid1(VALU_DEP_1)
	v_lshrrev_b32_e32 v5, s5, v2
	v_mul_lo_u32 v2, v5, s30
	s_delay_alu instid0(VALU_DEP_1) | instskip(NEXT) | instid1(VALU_DEP_1)
	v_sub_nc_u32_e32 v1, v1, v2
	v_mad_u64_u32 v[2:3], null, v1, s40, v[17:18]
	v_mad_u64_u32 v[3:4], null, v1, s41, v[0:1]
	v_mov_b32_e32 v1, v5
	s_delay_alu instid0(VALU_DEP_2)
	v_dual_mov_b32 v17, v2 :: v_dual_mov_b32 v0, v3
	s_cbranch_scc1 .LBB63_44
.LBB63_45:
	s_and_not1_b32 vcc_lo, exec_lo, s4
	s_cbranch_vccnz .LBB63_48
; %bb.46:
	s_waitcnt lgkmcnt(0)
	v_mul_hi_u32 v0, s21, v18
	s_and_not1_b32 vcc_lo, exec_lo, s34
	s_delay_alu instid0(VALU_DEP_1) | instskip(NEXT) | instid1(VALU_DEP_1)
	v_add_nc_u32_e32 v0, v18, v0
	v_lshrrev_b32_e32 v1, s22, v0
	s_delay_alu instid0(VALU_DEP_1) | instskip(NEXT) | instid1(VALU_DEP_1)
	v_mul_lo_u32 v0, v1, s20
	v_sub_nc_u32_e32 v0, v18, v0
	s_delay_alu instid0(VALU_DEP_1)
	v_mul_lo_u32 v17, v0, s16
	v_mul_lo_u32 v0, v0, s17
	s_cbranch_vccnz .LBB63_48
; %bb.47:
	v_mul_hi_u32 v2, s24, v1
	s_delay_alu instid0(VALU_DEP_1) | instskip(NEXT) | instid1(VALU_DEP_1)
	v_add_nc_u32_e32 v2, v1, v2
	v_lshrrev_b32_e32 v2, s25, v2
	s_delay_alu instid0(VALU_DEP_1) | instskip(NEXT) | instid1(VALU_DEP_1)
	v_mul_lo_u32 v2, v2, s23
	v_sub_nc_u32_e32 v4, v1, v2
	s_delay_alu instid0(VALU_DEP_1) | instskip(NEXT) | instid1(VALU_DEP_1)
	v_mad_u64_u32 v[1:2], null, v4, s18, v[17:18]
	v_mad_u64_u32 v[2:3], null, v4, s19, v[0:1]
	s_delay_alu instid0(VALU_DEP_1)
	v_dual_mov_b32 v17, v1 :: v_dual_mov_b32 v0, v2
.LBB63_48:
	s_waitcnt lgkmcnt(0)
	global_load_b64 v[0:1], v0, s[14:15]
	s_getpc_b64 s[0:1]
	s_add_u32 s0, s0, _ZN16c10_complex_math3expIfEEN3c107complexIT_EERKS4_@rel32@lo+4
	s_addc_u32 s1, s1, _ZN16c10_complex_math3expIfEEN3c107complexIT_EERKS4_@rel32@hi+12
	s_delay_alu instid0(SALU_CYCLE_1)
	s_swappc_b64 s[30:31], s[0:1]
	v_add_nc_u32_e32 v18, 0x80, v18
	global_store_b64 v17, v[0:1], s[12:13]
.LBB63_49:
	s_or_b32 exec_lo, exec_lo, s38
	v_cmp_gt_i32_e32 vcc_lo, s35, v18
	s_mov_b32 s0, 0
                                        ; implicit-def: $vgpr28_vgpr29
                                        ; implicit-def: $vgpr1
	s_and_saveexec_b32 s35, vcc_lo
	s_cbranch_execz .LBB63_64
; %bb.50:
	s_and_not1_b32 vcc_lo, exec_lo, s29
	s_cbranch_vccnz .LBB63_55
; %bb.51:
	v_dual_mov_b32 v17, 0 :: v_dual_mov_b32 v0, 0
	s_and_not1_b32 vcc_lo, exec_lo, s37
	s_mov_b32 s4, 0
	s_cbranch_vccnz .LBB63_60
; %bb.52:
	v_mov_b32_e32 v17, 0
	s_add_i32 s36, s36, 1
	s_cmp_eq_u32 s28, 2
	s_mov_b32 s2, 0
	s_cbranch_scc1 .LBB63_56
; %bb.53:
	v_dual_mov_b32 v0, 0 :: v_dual_mov_b32 v17, 0
	v_mov_b32_e32 v1, v18
	s_and_b32 s2, s36, 28
	s_mov_b32 s3, 0
	s_mov_b64 s[0:1], s[10:11]
.LBB63_54:                              ; =>This Inner Loop Header: Depth=1
	s_clause 0x1
	s_load_b256 s[40:47], s[0:1], 0x4
	s_load_b128 s[56:59], s[0:1], 0x24
	s_load_b256 s[48:55], s[26:27], 0x0
	s_add_u32 s0, s0, 48
	s_addc_u32 s1, s1, 0
	s_add_i32 s3, s3, 4
	s_add_u32 s26, s26, 32
	s_addc_u32 s27, s27, 0
	s_cmp_eq_u32 s2, s3
	s_waitcnt lgkmcnt(0)
	v_mul_hi_u32 v2, s41, v1
	s_delay_alu instid0(VALU_DEP_1) | instskip(NEXT) | instid1(VALU_DEP_1)
	v_add_nc_u32_e32 v2, v1, v2
	v_lshrrev_b32_e32 v2, s42, v2
	s_delay_alu instid0(VALU_DEP_1) | instskip(SKIP_1) | instid1(VALU_DEP_2)
	v_mul_hi_u32 v3, s44, v2
	v_mul_lo_u32 v5, v2, s40
	v_add_nc_u32_e32 v3, v2, v3
	s_delay_alu instid0(VALU_DEP_2) | instskip(NEXT) | instid1(VALU_DEP_2)
	v_sub_nc_u32_e32 v1, v1, v5
	v_lshrrev_b32_e32 v3, s45, v3
	s_delay_alu instid0(VALU_DEP_2) | instskip(SKIP_1) | instid1(VALU_DEP_3)
	v_mul_lo_u32 v5, v1, s48
	v_mul_lo_u32 v7, v1, s49
	v_mul_hi_u32 v4, s47, v3
	s_delay_alu instid0(VALU_DEP_1) | instskip(NEXT) | instid1(VALU_DEP_1)
	v_add_nc_u32_e32 v4, v3, v4
	v_lshrrev_b32_e32 v4, s56, v4
	s_delay_alu instid0(VALU_DEP_1) | instskip(SKIP_1) | instid1(VALU_DEP_2)
	v_mul_hi_u32 v6, s58, v4
	v_mul_lo_u32 v8, v4, s46
	v_add_nc_u32_e32 v1, v4, v6
	v_mul_lo_u32 v6, v3, s43
	s_delay_alu instid0(VALU_DEP_3) | instskip(NEXT) | instid1(VALU_DEP_3)
	v_sub_nc_u32_e32 v3, v3, v8
	v_lshrrev_b32_e32 v1, s59, v1
	s_delay_alu instid0(VALU_DEP_2) | instskip(SKIP_2) | instid1(VALU_DEP_4)
	v_mul_lo_u32 v8, v3, s52
	v_mul_lo_u32 v3, v3, s53
	v_sub_nc_u32_e32 v2, v2, v6
	v_mul_lo_u32 v9, v1, s57
	s_delay_alu instid0(VALU_DEP_2) | instskip(SKIP_1) | instid1(VALU_DEP_3)
	v_mul_lo_u32 v6, v2, s50
	v_mul_lo_u32 v2, v2, s51
	v_sub_nc_u32_e32 v4, v4, v9
	s_delay_alu instid0(VALU_DEP_3) | instskip(NEXT) | instid1(VALU_DEP_2)
	v_add3_u32 v5, v5, v17, v6
	v_mul_lo_u32 v9, v4, s54
	v_mul_lo_u32 v4, v4, s55
	v_add3_u32 v0, v7, v0, v2
	s_delay_alu instid0(VALU_DEP_3) | instskip(NEXT) | instid1(VALU_DEP_2)
	v_add3_u32 v17, v8, v5, v9
	v_add3_u32 v0, v3, v0, v4
	s_cbranch_scc0 .LBB63_54
	s_branch .LBB63_57
.LBB63_55:
	s_mov_b32 s4, -1
                                        ; implicit-def: $vgpr17
                                        ; implicit-def: $vgpr0
	s_branch .LBB63_60
.LBB63_56:
	v_dual_mov_b32 v1, v18 :: v_dual_mov_b32 v0, 0
.LBB63_57:
	s_and_b32 s5, s36, 3
	s_delay_alu instid0(SALU_CYCLE_1)
	s_cmp_eq_u32 s5, 0
	s_cbranch_scc1 .LBB63_60
; %bb.58:
	s_lshl_b32 s0, s2, 3
	s_mul_i32 s2, s2, 12
	s_add_u32 s0, s0, s10
	s_addc_u32 s1, s11, 0
	s_add_u32 s0, s0, 0xc4
	s_addc_u32 s1, s1, 0
	;; [unrolled: 2-line block ×3, first 2 shown]
	.p2align	6
.LBB63_59:                              ; =>This Inner Loop Header: Depth=1
	s_clause 0x1
	s_load_b64 s[6:7], s[2:3], 0x4
	s_load_b32 s8, s[2:3], 0xc
	s_load_b64 s[26:27], s[0:1], 0x0
	s_add_u32 s2, s2, 12
	s_addc_u32 s3, s3, 0
	s_add_u32 s0, s0, 8
	s_addc_u32 s1, s1, 0
	s_add_i32 s5, s5, -1
	s_delay_alu instid0(SALU_CYCLE_1) | instskip(SKIP_2) | instid1(VALU_DEP_1)
	s_cmp_lg_u32 s5, 0
	s_waitcnt lgkmcnt(0)
	v_mul_hi_u32 v2, s7, v1
	v_add_nc_u32_e32 v2, v1, v2
	s_delay_alu instid0(VALU_DEP_1) | instskip(NEXT) | instid1(VALU_DEP_1)
	v_lshrrev_b32_e32 v5, s8, v2
	v_mul_lo_u32 v2, v5, s6
	s_delay_alu instid0(VALU_DEP_1) | instskip(NEXT) | instid1(VALU_DEP_1)
	v_sub_nc_u32_e32 v1, v1, v2
	v_mad_u64_u32 v[2:3], null, v1, s26, v[17:18]
	v_mad_u64_u32 v[3:4], null, v1, s27, v[0:1]
	v_mov_b32_e32 v1, v5
	s_delay_alu instid0(VALU_DEP_2)
	v_dual_mov_b32 v17, v2 :: v_dual_mov_b32 v0, v3
	s_cbranch_scc1 .LBB63_59
.LBB63_60:
	s_and_not1_b32 vcc_lo, exec_lo, s4
	s_cbranch_vccnz .LBB63_63
; %bb.61:
	s_waitcnt lgkmcnt(0)
	v_mul_hi_u32 v0, s21, v18
	s_and_not1_b32 vcc_lo, exec_lo, s34
	s_delay_alu instid0(VALU_DEP_1) | instskip(NEXT) | instid1(VALU_DEP_1)
	v_add_nc_u32_e32 v0, v18, v0
	v_lshrrev_b32_e32 v1, s22, v0
	s_delay_alu instid0(VALU_DEP_1) | instskip(NEXT) | instid1(VALU_DEP_1)
	v_mul_lo_u32 v0, v1, s20
	v_sub_nc_u32_e32 v0, v18, v0
	s_delay_alu instid0(VALU_DEP_1)
	v_mul_lo_u32 v17, v0, s16
	v_mul_lo_u32 v0, v0, s17
	s_cbranch_vccnz .LBB63_63
; %bb.62:
	v_mul_hi_u32 v2, s24, v1
	s_delay_alu instid0(VALU_DEP_1) | instskip(NEXT) | instid1(VALU_DEP_1)
	v_add_nc_u32_e32 v2, v1, v2
	v_lshrrev_b32_e32 v2, s25, v2
	s_delay_alu instid0(VALU_DEP_1) | instskip(NEXT) | instid1(VALU_DEP_1)
	v_mul_lo_u32 v2, v2, s23
	v_sub_nc_u32_e32 v4, v1, v2
	s_delay_alu instid0(VALU_DEP_1) | instskip(NEXT) | instid1(VALU_DEP_1)
	v_mad_u64_u32 v[1:2], null, v4, s18, v[17:18]
	v_mad_u64_u32 v[2:3], null, v4, s19, v[0:1]
	s_delay_alu instid0(VALU_DEP_1)
	v_dual_mov_b32 v17, v1 :: v_dual_mov_b32 v0, v2
.LBB63_63:
	s_waitcnt lgkmcnt(0)
	global_load_b64 v[0:1], v0, s[14:15]
	v_add_co_u32 v28, s0, s12, v17
	s_delay_alu instid0(VALU_DEP_1) | instskip(SKIP_3) | instid1(SALU_CYCLE_1)
	v_add_co_ci_u32_e64 v29, null, s13, 0, s0
	s_getpc_b64 s[0:1]
	s_add_u32 s0, s0, _ZN16c10_complex_math3expIfEEN3c107complexIT_EERKS4_@rel32@lo+4
	s_addc_u32 s1, s1, _ZN16c10_complex_math3expIfEEN3c107complexIT_EERKS4_@rel32@hi+12
	s_swappc_b64 s[30:31], s[0:1]
	s_mov_b32 s0, exec_lo
	global_store_b32 v17, v0, s[12:13]
.LBB63_64:
	s_or_b32 exec_lo, exec_lo, s35
	s_waitcnt lgkmcnt(0)
	s_and_b32 s16, s0, exec_lo
                                        ; implicit-def: $vgpr2
                                        ; implicit-def: $vgpr18
	s_and_not1_saveexec_b32 s17, s33
	s_cbranch_execz .LBB63_2
.LBB63_65:
	v_cndmask_b32_e64 v1, 0, 1, s29
	s_and_not1_b32 vcc_lo, exec_lo, s29
	s_cbranch_vccnz .LBB63_71
; %bb.66:
	v_dual_mov_b32 v23, 0 :: v_dual_mov_b32 v0, 0
	s_cmp_lg_u32 s9, 0
	s_mov_b32 s4, 0
	s_cbranch_scc0 .LBB63_75
; %bb.67:
	s_min_u32 s5, s28, 15
	v_mov_b32_e32 v23, 0
	s_add_i32 s5, s5, 1
	s_cmp_eq_u32 s28, 2
	s_mov_b32 s6, 0
	s_cbranch_scc1 .LBB63_72
; %bb.68:
	v_dual_mov_b32 v0, 0 :: v_dual_mov_b32 v23, 0
	v_mov_b32_e32 v3, v18
	s_add_u32 s0, s10, 0xc4
	s_addc_u32 s1, s11, 0
	s_and_b32 s6, s5, 28
	s_mov_b32 s7, 0
	s_mov_b64 s[2:3], s[10:11]
.LBB63_69:                              ; =>This Inner Loop Header: Depth=1
	s_clause 0x1
	s_load_b256 s[20:27], s[2:3], 0x4
	s_load_b128 s[12:15], s[2:3], 0x24
	s_load_b256 s[36:43], s[0:1], 0x0
	s_add_u32 s2, s2, 48
	s_addc_u32 s3, s3, 0
	s_add_i32 s7, s7, 4
	s_add_u32 s0, s0, 32
	s_addc_u32 s1, s1, 0
	s_cmp_lg_u32 s6, s7
	s_waitcnt lgkmcnt(0)
	v_mul_hi_u32 v4, s21, v3
	s_delay_alu instid0(VALU_DEP_1) | instskip(NEXT) | instid1(VALU_DEP_1)
	v_add_nc_u32_e32 v4, v3, v4
	v_lshrrev_b32_e32 v4, s22, v4
	s_delay_alu instid0(VALU_DEP_1) | instskip(SKIP_1) | instid1(VALU_DEP_2)
	v_mul_hi_u32 v5, s24, v4
	v_mul_lo_u32 v7, v4, s20
	v_add_nc_u32_e32 v5, v4, v5
	s_delay_alu instid0(VALU_DEP_2) | instskip(NEXT) | instid1(VALU_DEP_2)
	v_sub_nc_u32_e32 v3, v3, v7
	v_lshrrev_b32_e32 v5, s25, v5
	s_delay_alu instid0(VALU_DEP_2) | instskip(SKIP_1) | instid1(VALU_DEP_3)
	v_mul_lo_u32 v7, v3, s36
	v_mul_lo_u32 v9, v3, s37
	v_mul_hi_u32 v6, s27, v5
	s_delay_alu instid0(VALU_DEP_1) | instskip(NEXT) | instid1(VALU_DEP_1)
	v_add_nc_u32_e32 v6, v5, v6
	v_lshrrev_b32_e32 v6, s12, v6
	s_delay_alu instid0(VALU_DEP_1) | instskip(SKIP_1) | instid1(VALU_DEP_2)
	v_mul_hi_u32 v8, s14, v6
	v_mul_lo_u32 v10, v6, s26
	v_add_nc_u32_e32 v3, v6, v8
	v_mul_lo_u32 v8, v5, s23
	s_delay_alu instid0(VALU_DEP_3) | instskip(NEXT) | instid1(VALU_DEP_3)
	v_sub_nc_u32_e32 v5, v5, v10
	v_lshrrev_b32_e32 v3, s15, v3
	s_delay_alu instid0(VALU_DEP_2) | instskip(SKIP_2) | instid1(VALU_DEP_4)
	v_mul_lo_u32 v10, v5, s40
	v_mul_lo_u32 v5, v5, s41
	v_sub_nc_u32_e32 v4, v4, v8
	v_mul_lo_u32 v11, v3, s13
	s_delay_alu instid0(VALU_DEP_2) | instskip(SKIP_1) | instid1(VALU_DEP_3)
	v_mul_lo_u32 v8, v4, s38
	v_mul_lo_u32 v4, v4, s39
	v_sub_nc_u32_e32 v6, v6, v11
	s_delay_alu instid0(VALU_DEP_3) | instskip(NEXT) | instid1(VALU_DEP_2)
	v_add3_u32 v7, v7, v23, v8
	v_mul_lo_u32 v11, v6, s42
	v_mul_lo_u32 v6, v6, s43
	v_add3_u32 v0, v9, v0, v4
	s_delay_alu instid0(VALU_DEP_3) | instskip(NEXT) | instid1(VALU_DEP_2)
	v_add3_u32 v23, v10, v7, v11
	v_add3_u32 v0, v5, v0, v6
	s_cbranch_scc1 .LBB63_69
; %bb.70:
	s_and_b32 s5, s5, 3
	s_delay_alu instid0(SALU_CYCLE_1)
	s_cmp_eq_u32 s5, 0
	s_cbranch_scc0 .LBB63_73
	s_branch .LBB63_75
.LBB63_71:
	s_mov_b32 s4, -1
                                        ; implicit-def: $vgpr23
                                        ; implicit-def: $vgpr0
	s_branch .LBB63_75
.LBB63_72:
	v_dual_mov_b32 v3, v18 :: v_dual_mov_b32 v0, 0
	s_and_b32 s5, s5, 3
	s_delay_alu instid0(SALU_CYCLE_1)
	s_cmp_eq_u32 s5, 0
	s_cbranch_scc1 .LBB63_75
.LBB63_73:
	s_lshl_b32 s0, s6, 3
	s_mul_i32 s2, s6, 12
	s_add_u32 s0, s0, s10
	s_addc_u32 s1, 0, s11
	s_add_u32 s0, s0, 0xc4
	s_addc_u32 s1, s1, 0
	;; [unrolled: 2-line block ×3, first 2 shown]
	.p2align	6
.LBB63_74:                              ; =>This Inner Loop Header: Depth=1
	s_clause 0x1
	s_load_b64 s[6:7], s[2:3], 0x4
	s_load_b32 s8, s[2:3], 0xc
	s_load_b64 s[12:13], s[0:1], 0x0
	s_add_u32 s2, s2, 12
	s_addc_u32 s3, s3, 0
	s_add_u32 s0, s0, 8
	s_addc_u32 s1, s1, 0
	s_add_i32 s5, s5, -1
	s_delay_alu instid0(SALU_CYCLE_1) | instskip(SKIP_2) | instid1(VALU_DEP_1)
	s_cmp_lg_u32 s5, 0
	s_waitcnt lgkmcnt(0)
	v_mul_hi_u32 v4, s7, v3
	v_add_nc_u32_e32 v4, v3, v4
	s_delay_alu instid0(VALU_DEP_1) | instskip(NEXT) | instid1(VALU_DEP_1)
	v_lshrrev_b32_e32 v7, s8, v4
	v_mul_lo_u32 v4, v7, s6
	s_delay_alu instid0(VALU_DEP_1) | instskip(NEXT) | instid1(VALU_DEP_1)
	v_sub_nc_u32_e32 v3, v3, v4
	v_mad_u64_u32 v[4:5], null, v3, s12, v[23:24]
	v_mad_u64_u32 v[5:6], null, v3, s13, v[0:1]
	v_mov_b32_e32 v3, v7
	s_delay_alu instid0(VALU_DEP_2)
	v_dual_mov_b32 v23, v4 :: v_dual_mov_b32 v0, v5
	s_cbranch_scc1 .LBB63_74
.LBB63_75:
	s_and_not1_b32 vcc_lo, exec_lo, s4
	s_cbranch_vccnz .LBB63_78
; %bb.76:
	s_clause 0x1
	s_load_b128 s[0:3], s[10:11], 0x4
	s_load_b64 s[4:5], s[10:11], 0xc4
	s_cmp_lt_u32 s9, 2
	s_waitcnt lgkmcnt(0)
	v_mul_hi_u32 v0, s1, v18
	s_delay_alu instid0(VALU_DEP_1) | instskip(NEXT) | instid1(VALU_DEP_1)
	v_add_nc_u32_e32 v0, v18, v0
	v_lshrrev_b32_e32 v3, s2, v0
	s_delay_alu instid0(VALU_DEP_1) | instskip(NEXT) | instid1(VALU_DEP_1)
	v_mul_lo_u32 v0, v3, s0
	v_sub_nc_u32_e32 v0, v18, v0
	s_delay_alu instid0(VALU_DEP_1)
	v_mul_lo_u32 v23, v0, s4
	v_mul_lo_u32 v0, v0, s5
	s_cbranch_scc1 .LBB63_78
; %bb.77:
	s_clause 0x1
	s_load_b128 s[0:3], s[10:11], 0x10
	s_load_b64 s[4:5], s[10:11], 0xcc
	s_waitcnt lgkmcnt(0)
	v_mul_hi_u32 v4, s1, v3
	s_delay_alu instid0(VALU_DEP_1) | instskip(NEXT) | instid1(VALU_DEP_1)
	v_add_nc_u32_e32 v4, v3, v4
	v_lshrrev_b32_e32 v4, s2, v4
	s_delay_alu instid0(VALU_DEP_1) | instskip(NEXT) | instid1(VALU_DEP_1)
	v_mul_lo_u32 v4, v4, s0
	v_sub_nc_u32_e32 v6, v3, v4
	s_delay_alu instid0(VALU_DEP_1) | instskip(SKIP_1) | instid1(VALU_DEP_1)
	v_mad_u64_u32 v[3:4], null, v6, s4, v[23:24]
	v_mad_u64_u32 v[4:5], null, v6, s5, v[0:1]
	v_dual_mov_b32 v23, v3 :: v_dual_mov_b32 v0, v4
.LBB63_78:
	v_cmp_ne_u32_e32 vcc_lo, 1, v1
	v_add_nc_u32_e32 v3, 0x80, v18
	s_cbranch_vccnz .LBB63_84
; %bb.79:
	v_dual_mov_b32 v24, 0 :: v_dual_mov_b32 v19, 0
	s_cmp_lg_u32 s9, 0
	s_mov_b32 s4, 0
	s_cbranch_scc0 .LBB63_88
; %bb.80:
	s_min_u32 s5, s28, 15
	v_mov_b32_e32 v24, 0
	s_add_i32 s5, s5, 1
	s_cmp_eq_u32 s28, 2
	s_mov_b32 s6, 0
	s_cbranch_scc1 .LBB63_85
; %bb.81:
	v_dual_mov_b32 v19, 0 :: v_dual_mov_b32 v24, 0
	v_mov_b32_e32 v4, v3
	s_add_u32 s0, s10, 0xc4
	s_addc_u32 s1, s11, 0
	s_and_b32 s6, s5, 28
	s_mov_b32 s7, 0
	s_mov_b64 s[2:3], s[10:11]
.LBB63_82:                              ; =>This Inner Loop Header: Depth=1
	s_clause 0x1
	s_load_b256 s[20:27], s[2:3], 0x4
	s_load_b128 s[12:15], s[2:3], 0x24
	s_load_b256 s[36:43], s[0:1], 0x0
	s_add_u32 s2, s2, 48
	s_addc_u32 s3, s3, 0
	s_add_i32 s7, s7, 4
	s_add_u32 s0, s0, 32
	s_addc_u32 s1, s1, 0
	s_cmp_lg_u32 s6, s7
	s_waitcnt lgkmcnt(0)
	v_mul_hi_u32 v5, s21, v4
	s_delay_alu instid0(VALU_DEP_1) | instskip(NEXT) | instid1(VALU_DEP_1)
	v_add_nc_u32_e32 v5, v4, v5
	v_lshrrev_b32_e32 v5, s22, v5
	s_delay_alu instid0(VALU_DEP_1) | instskip(SKIP_1) | instid1(VALU_DEP_2)
	v_mul_hi_u32 v6, s24, v5
	v_mul_lo_u32 v8, v5, s20
	v_add_nc_u32_e32 v6, v5, v6
	s_delay_alu instid0(VALU_DEP_2) | instskip(NEXT) | instid1(VALU_DEP_2)
	v_sub_nc_u32_e32 v4, v4, v8
	v_lshrrev_b32_e32 v6, s25, v6
	s_delay_alu instid0(VALU_DEP_2) | instskip(SKIP_1) | instid1(VALU_DEP_3)
	v_mul_lo_u32 v8, v4, s36
	v_mul_lo_u32 v10, v4, s37
	v_mul_hi_u32 v7, s27, v6
	s_delay_alu instid0(VALU_DEP_1) | instskip(NEXT) | instid1(VALU_DEP_1)
	v_add_nc_u32_e32 v7, v6, v7
	v_lshrrev_b32_e32 v7, s12, v7
	s_delay_alu instid0(VALU_DEP_1) | instskip(SKIP_1) | instid1(VALU_DEP_2)
	v_mul_hi_u32 v9, s14, v7
	v_mul_lo_u32 v11, v7, s26
	v_add_nc_u32_e32 v4, v7, v9
	v_mul_lo_u32 v9, v6, s23
	s_delay_alu instid0(VALU_DEP_3) | instskip(NEXT) | instid1(VALU_DEP_3)
	v_sub_nc_u32_e32 v6, v6, v11
	v_lshrrev_b32_e32 v4, s15, v4
	s_delay_alu instid0(VALU_DEP_2) | instskip(SKIP_2) | instid1(VALU_DEP_4)
	v_mul_lo_u32 v11, v6, s40
	v_mul_lo_u32 v6, v6, s41
	v_sub_nc_u32_e32 v5, v5, v9
	v_mul_lo_u32 v12, v4, s13
	s_delay_alu instid0(VALU_DEP_2) | instskip(SKIP_1) | instid1(VALU_DEP_3)
	v_mul_lo_u32 v9, v5, s38
	v_mul_lo_u32 v5, v5, s39
	v_sub_nc_u32_e32 v7, v7, v12
	s_delay_alu instid0(VALU_DEP_3) | instskip(NEXT) | instid1(VALU_DEP_2)
	v_add3_u32 v8, v8, v24, v9
	v_mul_lo_u32 v12, v7, s42
	v_mul_lo_u32 v7, v7, s43
	v_add3_u32 v5, v10, v19, v5
	s_delay_alu instid0(VALU_DEP_3) | instskip(NEXT) | instid1(VALU_DEP_2)
	v_add3_u32 v24, v11, v8, v12
	v_add3_u32 v19, v6, v5, v7
	s_cbranch_scc1 .LBB63_82
; %bb.83:
	s_and_b32 s5, s5, 3
	s_delay_alu instid0(SALU_CYCLE_1)
	s_cmp_eq_u32 s5, 0
	s_cbranch_scc0 .LBB63_86
	s_branch .LBB63_88
.LBB63_84:
	s_mov_b32 s4, -1
                                        ; implicit-def: $vgpr24
                                        ; implicit-def: $vgpr19
	s_branch .LBB63_88
.LBB63_85:
	v_dual_mov_b32 v4, v3 :: v_dual_mov_b32 v19, 0
	s_and_b32 s5, s5, 3
	s_delay_alu instid0(SALU_CYCLE_1)
	s_cmp_eq_u32 s5, 0
	s_cbranch_scc1 .LBB63_88
.LBB63_86:
	s_lshl_b32 s0, s6, 3
	s_mul_i32 s2, s6, 12
	s_add_u32 s0, s0, s10
	s_addc_u32 s1, 0, s11
	s_add_u32 s0, s0, 0xc4
	s_addc_u32 s1, s1, 0
	;; [unrolled: 2-line block ×3, first 2 shown]
	.p2align	6
.LBB63_87:                              ; =>This Inner Loop Header: Depth=1
	s_clause 0x1
	s_load_b64 s[6:7], s[2:3], 0x4
	s_load_b32 s8, s[2:3], 0xc
	s_load_b64 s[12:13], s[0:1], 0x0
	s_add_u32 s2, s2, 12
	s_addc_u32 s3, s3, 0
	s_add_u32 s0, s0, 8
	s_addc_u32 s1, s1, 0
	s_add_i32 s5, s5, -1
	s_delay_alu instid0(SALU_CYCLE_1) | instskip(SKIP_2) | instid1(VALU_DEP_1)
	s_cmp_lg_u32 s5, 0
	s_waitcnt lgkmcnt(0)
	v_mul_hi_u32 v5, s7, v4
	v_add_nc_u32_e32 v5, v4, v5
	s_delay_alu instid0(VALU_DEP_1) | instskip(NEXT) | instid1(VALU_DEP_1)
	v_lshrrev_b32_e32 v8, s8, v5
	v_mul_lo_u32 v5, v8, s6
	s_delay_alu instid0(VALU_DEP_1) | instskip(NEXT) | instid1(VALU_DEP_1)
	v_sub_nc_u32_e32 v4, v4, v5
	v_mad_u64_u32 v[5:6], null, v4, s12, v[24:25]
	v_mad_u64_u32 v[6:7], null, v4, s13, v[19:20]
	v_mov_b32_e32 v4, v8
	s_delay_alu instid0(VALU_DEP_2)
	v_dual_mov_b32 v24, v5 :: v_dual_mov_b32 v19, v6
	s_cbranch_scc1 .LBB63_87
.LBB63_88:
	s_and_not1_b32 vcc_lo, exec_lo, s4
	s_cbranch_vccnz .LBB63_91
; %bb.89:
	s_clause 0x1
	s_load_b128 s[0:3], s[10:11], 0x4
	s_load_b64 s[4:5], s[10:11], 0xc4
	s_cmp_lt_u32 s9, 2
	s_waitcnt lgkmcnt(0)
	v_mul_hi_u32 v4, s1, v3
	s_delay_alu instid0(VALU_DEP_1) | instskip(NEXT) | instid1(VALU_DEP_1)
	v_add_nc_u32_e32 v4, v3, v4
	v_lshrrev_b32_e32 v4, s2, v4
	s_delay_alu instid0(VALU_DEP_1) | instskip(NEXT) | instid1(VALU_DEP_1)
	v_mul_lo_u32 v5, v4, s0
	v_sub_nc_u32_e32 v3, v3, v5
	s_delay_alu instid0(VALU_DEP_1)
	v_mul_lo_u32 v24, v3, s4
	v_mul_lo_u32 v19, v3, s5
	s_cbranch_scc1 .LBB63_91
; %bb.90:
	s_clause 0x1
	s_load_b128 s[0:3], s[10:11], 0x10
	s_load_b64 s[4:5], s[10:11], 0xcc
	s_waitcnt lgkmcnt(0)
	v_mul_hi_u32 v3, s1, v4
	s_delay_alu instid0(VALU_DEP_1) | instskip(NEXT) | instid1(VALU_DEP_1)
	v_add_nc_u32_e32 v3, v4, v3
	v_lshrrev_b32_e32 v3, s2, v3
	s_delay_alu instid0(VALU_DEP_1) | instskip(NEXT) | instid1(VALU_DEP_1)
	v_mul_lo_u32 v3, v3, s0
	v_sub_nc_u32_e32 v6, v4, v3
	s_delay_alu instid0(VALU_DEP_1) | instskip(SKIP_1) | instid1(VALU_DEP_1)
	v_mad_u64_u32 v[3:4], null, v6, s4, v[24:25]
	v_mad_u64_u32 v[4:5], null, v6, s5, v[19:20]
	v_dual_mov_b32 v24, v3 :: v_dual_mov_b32 v19, v4
.LBB63_91:
	v_cmp_ne_u32_e32 vcc_lo, 1, v1
	v_add_nc_u32_e32 v3, 0x100, v18
	s_cbranch_vccnz .LBB63_97
; %bb.92:
	v_mov_b32_e32 v25, 0
	v_mov_b32_e32 v21, 0
	s_cmp_lg_u32 s9, 0
	s_mov_b32 s4, 0
	s_cbranch_scc0 .LBB63_101
; %bb.93:
	s_min_u32 s5, s28, 15
	v_mov_b32_e32 v25, 0
	s_add_i32 s5, s5, 1
	s_cmp_eq_u32 s28, 2
	s_mov_b32 s6, 0
	s_cbranch_scc1 .LBB63_98
; %bb.94:
	v_dual_mov_b32 v21, 0 :: v_dual_mov_b32 v4, v3
	v_mov_b32_e32 v25, 0
	s_add_u32 s0, s10, 0xc4
	s_addc_u32 s1, s11, 0
	s_and_b32 s6, s5, 28
	s_mov_b32 s7, 0
	s_mov_b64 s[2:3], s[10:11]
.LBB63_95:                              ; =>This Inner Loop Header: Depth=1
	s_clause 0x1
	s_load_b256 s[20:27], s[2:3], 0x4
	s_load_b128 s[12:15], s[2:3], 0x24
	s_load_b256 s[36:43], s[0:1], 0x0
	s_add_u32 s2, s2, 48
	s_addc_u32 s3, s3, 0
	s_add_i32 s7, s7, 4
	s_add_u32 s0, s0, 32
	s_addc_u32 s1, s1, 0
	s_cmp_lg_u32 s6, s7
	s_waitcnt lgkmcnt(0)
	v_mul_hi_u32 v5, s21, v4
	s_delay_alu instid0(VALU_DEP_1) | instskip(NEXT) | instid1(VALU_DEP_1)
	v_add_nc_u32_e32 v5, v4, v5
	v_lshrrev_b32_e32 v5, s22, v5
	s_delay_alu instid0(VALU_DEP_1) | instskip(SKIP_1) | instid1(VALU_DEP_2)
	v_mul_hi_u32 v6, s24, v5
	v_mul_lo_u32 v8, v5, s20
	v_add_nc_u32_e32 v6, v5, v6
	s_delay_alu instid0(VALU_DEP_2) | instskip(NEXT) | instid1(VALU_DEP_2)
	v_sub_nc_u32_e32 v4, v4, v8
	v_lshrrev_b32_e32 v6, s25, v6
	s_delay_alu instid0(VALU_DEP_2) | instskip(SKIP_1) | instid1(VALU_DEP_3)
	v_mul_lo_u32 v8, v4, s36
	v_mul_lo_u32 v10, v4, s37
	v_mul_hi_u32 v7, s27, v6
	s_delay_alu instid0(VALU_DEP_1) | instskip(NEXT) | instid1(VALU_DEP_1)
	v_add_nc_u32_e32 v7, v6, v7
	v_lshrrev_b32_e32 v7, s12, v7
	s_delay_alu instid0(VALU_DEP_1) | instskip(SKIP_1) | instid1(VALU_DEP_2)
	v_mul_hi_u32 v9, s14, v7
	v_mul_lo_u32 v11, v7, s26
	v_add_nc_u32_e32 v4, v7, v9
	v_mul_lo_u32 v9, v6, s23
	s_delay_alu instid0(VALU_DEP_3) | instskip(NEXT) | instid1(VALU_DEP_3)
	v_sub_nc_u32_e32 v6, v6, v11
	v_lshrrev_b32_e32 v4, s15, v4
	s_delay_alu instid0(VALU_DEP_2) | instskip(SKIP_2) | instid1(VALU_DEP_4)
	v_mul_lo_u32 v11, v6, s40
	v_mul_lo_u32 v6, v6, s41
	v_sub_nc_u32_e32 v5, v5, v9
	v_mul_lo_u32 v12, v4, s13
	s_delay_alu instid0(VALU_DEP_2) | instskip(SKIP_1) | instid1(VALU_DEP_3)
	v_mul_lo_u32 v9, v5, s38
	v_mul_lo_u32 v5, v5, s39
	v_sub_nc_u32_e32 v7, v7, v12
	s_delay_alu instid0(VALU_DEP_3) | instskip(NEXT) | instid1(VALU_DEP_2)
	v_add3_u32 v8, v8, v25, v9
	v_mul_lo_u32 v12, v7, s42
	v_mul_lo_u32 v7, v7, s43
	v_add3_u32 v5, v10, v21, v5
	s_delay_alu instid0(VALU_DEP_3) | instskip(NEXT) | instid1(VALU_DEP_2)
	v_add3_u32 v25, v11, v8, v12
	v_add3_u32 v21, v6, v5, v7
	s_cbranch_scc1 .LBB63_95
; %bb.96:
	s_and_b32 s5, s5, 3
	s_delay_alu instid0(SALU_CYCLE_1)
	s_cmp_eq_u32 s5, 0
	s_cbranch_scc0 .LBB63_99
	s_branch .LBB63_101
.LBB63_97:
	s_mov_b32 s4, -1
                                        ; implicit-def: $vgpr25
                                        ; implicit-def: $vgpr21
	s_branch .LBB63_101
.LBB63_98:
	v_dual_mov_b32 v4, v3 :: v_dual_mov_b32 v21, 0
	s_and_b32 s5, s5, 3
	s_delay_alu instid0(SALU_CYCLE_1)
	s_cmp_eq_u32 s5, 0
	s_cbranch_scc1 .LBB63_101
.LBB63_99:
	s_lshl_b32 s0, s6, 3
	s_mul_i32 s2, s6, 12
	s_add_u32 s0, s0, s10
	s_addc_u32 s1, 0, s11
	s_add_u32 s0, s0, 0xc4
	s_addc_u32 s1, s1, 0
	;; [unrolled: 2-line block ×3, first 2 shown]
	.p2align	6
.LBB63_100:                             ; =>This Inner Loop Header: Depth=1
	s_clause 0x1
	s_load_b64 s[6:7], s[2:3], 0x4
	s_load_b32 s8, s[2:3], 0xc
	s_load_b64 s[12:13], s[0:1], 0x0
	s_add_u32 s2, s2, 12
	s_addc_u32 s3, s3, 0
	s_add_u32 s0, s0, 8
	s_addc_u32 s1, s1, 0
	s_add_i32 s5, s5, -1
	s_delay_alu instid0(SALU_CYCLE_1) | instskip(SKIP_2) | instid1(VALU_DEP_1)
	s_cmp_lg_u32 s5, 0
	s_waitcnt lgkmcnt(0)
	v_mul_hi_u32 v5, s7, v4
	v_add_nc_u32_e32 v5, v4, v5
	s_delay_alu instid0(VALU_DEP_1) | instskip(NEXT) | instid1(VALU_DEP_1)
	v_lshrrev_b32_e32 v8, s8, v5
	v_mul_lo_u32 v5, v8, s6
	s_delay_alu instid0(VALU_DEP_1) | instskip(NEXT) | instid1(VALU_DEP_1)
	v_sub_nc_u32_e32 v4, v4, v5
	v_mad_u64_u32 v[5:6], null, v4, s12, v[25:26]
	v_mad_u64_u32 v[6:7], null, v4, s13, v[21:22]
	s_delay_alu instid0(VALU_DEP_2) | instskip(NEXT) | instid1(VALU_DEP_2)
	v_dual_mov_b32 v4, v8 :: v_dual_mov_b32 v25, v5
	v_mov_b32_e32 v21, v6
	s_cbranch_scc1 .LBB63_100
.LBB63_101:
	s_and_not1_b32 vcc_lo, exec_lo, s4
	s_cbranch_vccnz .LBB63_104
; %bb.102:
	s_clause 0x1
	s_load_b128 s[0:3], s[10:11], 0x4
	s_load_b64 s[4:5], s[10:11], 0xc4
	s_cmp_lt_u32 s9, 2
	s_waitcnt lgkmcnt(0)
	v_mul_hi_u32 v4, s1, v3
	s_delay_alu instid0(VALU_DEP_1) | instskip(NEXT) | instid1(VALU_DEP_1)
	v_add_nc_u32_e32 v4, v3, v4
	v_lshrrev_b32_e32 v4, s2, v4
	s_delay_alu instid0(VALU_DEP_1) | instskip(NEXT) | instid1(VALU_DEP_1)
	v_mul_lo_u32 v5, v4, s0
	v_sub_nc_u32_e32 v3, v3, v5
	s_delay_alu instid0(VALU_DEP_1)
	v_mul_lo_u32 v25, v3, s4
	v_mul_lo_u32 v21, v3, s5
	s_cbranch_scc1 .LBB63_104
; %bb.103:
	s_clause 0x1
	s_load_b128 s[0:3], s[10:11], 0x10
	s_load_b64 s[4:5], s[10:11], 0xcc
	s_waitcnt lgkmcnt(0)
	v_mul_hi_u32 v3, s1, v4
	s_delay_alu instid0(VALU_DEP_1) | instskip(NEXT) | instid1(VALU_DEP_1)
	v_add_nc_u32_e32 v3, v4, v3
	v_lshrrev_b32_e32 v3, s2, v3
	s_delay_alu instid0(VALU_DEP_1) | instskip(NEXT) | instid1(VALU_DEP_1)
	v_mul_lo_u32 v3, v3, s0
	v_sub_nc_u32_e32 v6, v4, v3
	s_delay_alu instid0(VALU_DEP_1) | instskip(SKIP_1) | instid1(VALU_DEP_2)
	v_mad_u64_u32 v[3:4], null, v6, s4, v[25:26]
	v_mad_u64_u32 v[4:5], null, v6, s5, v[21:22]
	v_mov_b32_e32 v25, v3
	s_delay_alu instid0(VALU_DEP_2)
	v_mov_b32_e32 v21, v4
.LBB63_104:
	v_cmp_ne_u32_e32 vcc_lo, 1, v1
	s_cbranch_vccnz .LBB63_110
; %bb.105:
	v_dual_mov_b32 v26, 0 :: v_dual_mov_b32 v27, 0
	s_cmp_lg_u32 s9, 0
	s_mov_b32 s4, 0
	s_cbranch_scc0 .LBB63_114
; %bb.106:
	s_min_u32 s5, s28, 15
	v_mov_b32_e32 v26, 0
	s_add_i32 s5, s5, 1
	s_cmp_eq_u32 s28, 2
	s_mov_b32 s6, 0
	s_cbranch_scc1 .LBB63_111
; %bb.107:
	v_dual_mov_b32 v27, 0 :: v_dual_mov_b32 v26, 0
	v_mov_b32_e32 v1, v2
	s_add_u32 s0, s10, 0xc4
	s_addc_u32 s1, s11, 0
	s_and_b32 s6, s5, 28
	s_mov_b32 s7, 0
	s_mov_b64 s[2:3], s[10:11]
.LBB63_108:                             ; =>This Inner Loop Header: Depth=1
	s_clause 0x1
	s_load_b256 s[20:27], s[2:3], 0x4
	s_load_b128 s[12:15], s[2:3], 0x24
	s_load_b256 s[36:43], s[0:1], 0x0
	s_add_u32 s2, s2, 48
	s_addc_u32 s3, s3, 0
	s_add_i32 s7, s7, 4
	s_add_u32 s0, s0, 32
	s_addc_u32 s1, s1, 0
	s_cmp_lg_u32 s6, s7
	s_waitcnt lgkmcnt(0)
	v_mul_hi_u32 v3, s21, v1
	s_delay_alu instid0(VALU_DEP_1) | instskip(NEXT) | instid1(VALU_DEP_1)
	v_add_nc_u32_e32 v3, v1, v3
	v_lshrrev_b32_e32 v3, s22, v3
	s_delay_alu instid0(VALU_DEP_1) | instskip(SKIP_1) | instid1(VALU_DEP_2)
	v_mul_hi_u32 v4, s24, v3
	v_mul_lo_u32 v6, v3, s20
	v_add_nc_u32_e32 v4, v3, v4
	s_delay_alu instid0(VALU_DEP_2) | instskip(NEXT) | instid1(VALU_DEP_2)
	v_sub_nc_u32_e32 v1, v1, v6
	v_lshrrev_b32_e32 v4, s25, v4
	s_delay_alu instid0(VALU_DEP_2) | instskip(SKIP_1) | instid1(VALU_DEP_3)
	v_mul_lo_u32 v6, v1, s36
	v_mul_lo_u32 v8, v1, s37
	v_mul_hi_u32 v5, s27, v4
	s_delay_alu instid0(VALU_DEP_1) | instskip(NEXT) | instid1(VALU_DEP_1)
	v_add_nc_u32_e32 v5, v4, v5
	v_lshrrev_b32_e32 v5, s12, v5
	s_delay_alu instid0(VALU_DEP_1) | instskip(SKIP_1) | instid1(VALU_DEP_2)
	v_mul_hi_u32 v7, s14, v5
	v_mul_lo_u32 v9, v5, s26
	v_add_nc_u32_e32 v1, v5, v7
	v_mul_lo_u32 v7, v4, s23
	s_delay_alu instid0(VALU_DEP_3) | instskip(NEXT) | instid1(VALU_DEP_3)
	v_sub_nc_u32_e32 v4, v4, v9
	v_lshrrev_b32_e32 v1, s15, v1
	s_delay_alu instid0(VALU_DEP_2) | instskip(SKIP_2) | instid1(VALU_DEP_4)
	v_mul_lo_u32 v9, v4, s40
	v_mul_lo_u32 v4, v4, s41
	v_sub_nc_u32_e32 v3, v3, v7
	v_mul_lo_u32 v10, v1, s13
	s_delay_alu instid0(VALU_DEP_2) | instskip(SKIP_1) | instid1(VALU_DEP_3)
	v_mul_lo_u32 v7, v3, s38
	v_mul_lo_u32 v3, v3, s39
	v_sub_nc_u32_e32 v5, v5, v10
	s_delay_alu instid0(VALU_DEP_3) | instskip(NEXT) | instid1(VALU_DEP_2)
	v_add3_u32 v6, v6, v26, v7
	v_mul_lo_u32 v10, v5, s42
	v_mul_lo_u32 v5, v5, s43
	v_add3_u32 v3, v8, v27, v3
	s_delay_alu instid0(VALU_DEP_3) | instskip(NEXT) | instid1(VALU_DEP_2)
	v_add3_u32 v26, v9, v6, v10
	v_add3_u32 v27, v4, v3, v5
	s_cbranch_scc1 .LBB63_108
; %bb.109:
	s_and_b32 s5, s5, 3
	s_delay_alu instid0(SALU_CYCLE_1)
	s_cmp_eq_u32 s5, 0
	s_cbranch_scc0 .LBB63_112
	s_branch .LBB63_114
.LBB63_110:
	s_mov_b32 s4, -1
                                        ; implicit-def: $vgpr26
                                        ; implicit-def: $vgpr27
	s_branch .LBB63_114
.LBB63_111:
	v_mov_b32_e32 v1, v2
	v_mov_b32_e32 v27, 0
	s_and_b32 s5, s5, 3
	s_delay_alu instid0(SALU_CYCLE_1)
	s_cmp_eq_u32 s5, 0
	s_cbranch_scc1 .LBB63_114
.LBB63_112:
	s_lshl_b32 s0, s6, 3
	s_mul_i32 s2, s6, 12
	s_add_u32 s0, s0, s10
	s_addc_u32 s1, 0, s11
	s_add_u32 s0, s0, 0xc4
	s_addc_u32 s1, s1, 0
	;; [unrolled: 2-line block ×3, first 2 shown]
	.p2align	6
.LBB63_113:                             ; =>This Inner Loop Header: Depth=1
	s_clause 0x1
	s_load_b64 s[6:7], s[2:3], 0x4
	s_load_b32 s8, s[2:3], 0xc
	s_load_b64 s[12:13], s[0:1], 0x0
	s_add_u32 s2, s2, 12
	s_addc_u32 s3, s3, 0
	s_add_u32 s0, s0, 8
	s_addc_u32 s1, s1, 0
	s_add_i32 s5, s5, -1
	s_delay_alu instid0(SALU_CYCLE_1) | instskip(SKIP_2) | instid1(VALU_DEP_1)
	s_cmp_lg_u32 s5, 0
	s_waitcnt lgkmcnt(0)
	v_mul_hi_u32 v3, s7, v1
	v_add_nc_u32_e32 v3, v1, v3
	s_delay_alu instid0(VALU_DEP_1) | instskip(NEXT) | instid1(VALU_DEP_1)
	v_lshrrev_b32_e32 v6, s8, v3
	v_mul_lo_u32 v3, v6, s6
	s_delay_alu instid0(VALU_DEP_1) | instskip(NEXT) | instid1(VALU_DEP_1)
	v_sub_nc_u32_e32 v1, v1, v3
	v_mad_u64_u32 v[3:4], null, v1, s12, v[26:27]
	v_mad_u64_u32 v[4:5], null, v1, s13, v[27:28]
	s_delay_alu instid0(VALU_DEP_2) | instskip(NEXT) | instid1(VALU_DEP_2)
	v_dual_mov_b32 v1, v6 :: v_dual_mov_b32 v26, v3
	v_mov_b32_e32 v27, v4
	s_cbranch_scc1 .LBB63_113
.LBB63_114:
	s_and_not1_b32 vcc_lo, exec_lo, s4
	s_cbranch_vccnz .LBB63_117
; %bb.115:
	s_clause 0x1
	s_load_b128 s[0:3], s[10:11], 0x4
	s_load_b64 s[4:5], s[10:11], 0xc4
	s_cmp_lt_u32 s9, 2
	s_waitcnt lgkmcnt(0)
	v_mul_hi_u32 v1, s1, v2
	s_delay_alu instid0(VALU_DEP_1) | instskip(NEXT) | instid1(VALU_DEP_1)
	v_add_nc_u32_e32 v1, v2, v1
	v_lshrrev_b32_e32 v1, s2, v1
	s_delay_alu instid0(VALU_DEP_1) | instskip(NEXT) | instid1(VALU_DEP_1)
	v_mul_lo_u32 v3, v1, s0
	v_sub_nc_u32_e32 v2, v2, v3
	s_delay_alu instid0(VALU_DEP_1)
	v_mul_lo_u32 v26, v2, s4
	v_mul_lo_u32 v27, v2, s5
	s_cbranch_scc1 .LBB63_117
; %bb.116:
	s_clause 0x1
	s_load_b128 s[0:3], s[10:11], 0x10
	s_load_b64 s[4:5], s[10:11], 0xcc
	s_waitcnt lgkmcnt(0)
	v_mul_hi_u32 v2, s1, v1
	s_delay_alu instid0(VALU_DEP_1) | instskip(NEXT) | instid1(VALU_DEP_1)
	v_add_nc_u32_e32 v2, v1, v2
	v_lshrrev_b32_e32 v2, s2, v2
	s_delay_alu instid0(VALU_DEP_1) | instskip(NEXT) | instid1(VALU_DEP_1)
	v_mul_lo_u32 v2, v2, s0
	v_sub_nc_u32_e32 v4, v1, v2
	s_delay_alu instid0(VALU_DEP_1) | instskip(SKIP_1) | instid1(VALU_DEP_1)
	v_mad_u64_u32 v[1:2], null, v4, s4, v[26:27]
	v_mad_u64_u32 v[2:3], null, v4, s5, v[27:28]
	v_dual_mov_b32 v26, v1 :: v_dual_mov_b32 v27, v2
.LBB63_117:
	s_load_b128 s[12:15], s[10:11], 0x148
	s_getpc_b64 s[10:11]
	s_add_u32 s10, s10, _ZN16c10_complex_math3expIfEEN3c107complexIT_EERKS4_@rel32@lo+4
	s_addc_u32 s11, s11, _ZN16c10_complex_math3expIfEEN3c107complexIT_EERKS4_@rel32@hi+12
	s_waitcnt lgkmcnt(0)
	global_load_b64 v[0:1], v0, s[14:15]
	v_add_co_u32 v28, s0, s12, v26
	s_delay_alu instid0(VALU_DEP_1)
	v_add_co_ci_u32_e64 v29, null, s13, 0, s0
	s_swappc_b64 s[30:31], s[10:11]
	v_dual_mov_b32 v17, v0 :: v_dual_mov_b32 v18, v1
	global_load_b64 v[0:1], v19, s[14:15]
	s_swappc_b64 s[30:31], s[10:11]
	v_dual_mov_b32 v19, v0 :: v_dual_mov_b32 v20, v1
	global_load_b64 v[0:1], v21, s[14:15]
	;; [unrolled: 3-line block ×3, first 2 shown]
	s_swappc_b64 s[30:31], s[10:11]
	s_or_b32 s16, s16, exec_lo
	s_clause 0x3
	global_store_b64 v23, v[17:18], s[12:13]
	global_store_b64 v24, v[19:20], s[12:13]
	;; [unrolled: 1-line block ×3, first 2 shown]
	global_store_b32 v26, v0, s[12:13]
	s_or_b32 exec_lo, exec_lo, s17
	s_and_saveexec_b32 s0, s16
	s_cbranch_execz .LBB63_3
.LBB63_118:
	global_store_b32 v[28:29], v1, off offset:4
	s_endpgm
	.section	.rodata,"a",@progbits
	.p2align	6, 0x0
	.amdhsa_kernel _ZN2at6native32elementwise_kernel_manual_unrollILi128ELi4EZNS0_22gpu_kernel_impl_nocastIZZZNS0_15exp_kernel_cudaERNS_18TensorIteratorBaseEENKUlvE_clEvENKUlvE0_clEvEUlN3c107complexIfEEE_EEvS4_RKT_EUlibE_EEviT1_
		.amdhsa_group_segment_fixed_size 0
		.amdhsa_private_segment_fixed_size 0
		.amdhsa_kernarg_size 360
		.amdhsa_user_sgpr_count 15
		.amdhsa_user_sgpr_dispatch_ptr 0
		.amdhsa_user_sgpr_queue_ptr 0
		.amdhsa_user_sgpr_kernarg_segment_ptr 1
		.amdhsa_user_sgpr_dispatch_id 0
		.amdhsa_user_sgpr_private_segment_size 0
		.amdhsa_wavefront_size32 1
		.amdhsa_uses_dynamic_stack 0
		.amdhsa_enable_private_segment 0
		.amdhsa_system_sgpr_workgroup_id_x 1
		.amdhsa_system_sgpr_workgroup_id_y 0
		.amdhsa_system_sgpr_workgroup_id_z 0
		.amdhsa_system_sgpr_workgroup_info 0
		.amdhsa_system_vgpr_workitem_id 0
		.amdhsa_next_free_vgpr 30
		.amdhsa_next_free_sgpr 60
		.amdhsa_reserve_vcc 1
		.amdhsa_float_round_mode_32 0
		.amdhsa_float_round_mode_16_64 0
		.amdhsa_float_denorm_mode_32 3
		.amdhsa_float_denorm_mode_16_64 3
		.amdhsa_dx10_clamp 1
		.amdhsa_ieee_mode 1
		.amdhsa_fp16_overflow 0
		.amdhsa_workgroup_processor_mode 1
		.amdhsa_memory_ordered 1
		.amdhsa_forward_progress 0
		.amdhsa_shared_vgpr_count 0
		.amdhsa_exception_fp_ieee_invalid_op 0
		.amdhsa_exception_fp_denorm_src 0
		.amdhsa_exception_fp_ieee_div_zero 0
		.amdhsa_exception_fp_ieee_overflow 0
		.amdhsa_exception_fp_ieee_underflow 0
		.amdhsa_exception_fp_ieee_inexact 0
		.amdhsa_exception_int_div_zero 0
	.end_amdhsa_kernel
	.section	.text._ZN2at6native32elementwise_kernel_manual_unrollILi128ELi4EZNS0_22gpu_kernel_impl_nocastIZZZNS0_15exp_kernel_cudaERNS_18TensorIteratorBaseEENKUlvE_clEvENKUlvE0_clEvEUlN3c107complexIfEEE_EEvS4_RKT_EUlibE_EEviT1_,"axG",@progbits,_ZN2at6native32elementwise_kernel_manual_unrollILi128ELi4EZNS0_22gpu_kernel_impl_nocastIZZZNS0_15exp_kernel_cudaERNS_18TensorIteratorBaseEENKUlvE_clEvENKUlvE0_clEvEUlN3c107complexIfEEE_EEvS4_RKT_EUlibE_EEviT1_,comdat
.Lfunc_end63:
	.size	_ZN2at6native32elementwise_kernel_manual_unrollILi128ELi4EZNS0_22gpu_kernel_impl_nocastIZZZNS0_15exp_kernel_cudaERNS_18TensorIteratorBaseEENKUlvE_clEvENKUlvE0_clEvEUlN3c107complexIfEEE_EEvS4_RKT_EUlibE_EEviT1_, .Lfunc_end63-_ZN2at6native32elementwise_kernel_manual_unrollILi128ELi4EZNS0_22gpu_kernel_impl_nocastIZZZNS0_15exp_kernel_cudaERNS_18TensorIteratorBaseEENKUlvE_clEvENKUlvE0_clEvEUlN3c107complexIfEEE_EEvS4_RKT_EUlibE_EEviT1_
                                        ; -- End function
	.section	.AMDGPU.csdata,"",@progbits
; Kernel info:
; codeLenInByte = 6940
; NumSgprs: 62
; NumVgprs: 30
; ScratchSize: 0
; MemoryBound: 0
; FloatMode: 240
; IeeeMode: 1
; LDSByteSize: 0 bytes/workgroup (compile time only)
; SGPRBlocks: 7
; VGPRBlocks: 3
; NumSGPRsForWavesPerEU: 62
; NumVGPRsForWavesPerEU: 30
; Occupancy: 16
; WaveLimiterHint : 1
; COMPUTE_PGM_RSRC2:SCRATCH_EN: 0
; COMPUTE_PGM_RSRC2:USER_SGPR: 15
; COMPUTE_PGM_RSRC2:TRAP_HANDLER: 0
; COMPUTE_PGM_RSRC2:TGID_X_EN: 1
; COMPUTE_PGM_RSRC2:TGID_Y_EN: 0
; COMPUTE_PGM_RSRC2:TGID_Z_EN: 0
; COMPUTE_PGM_RSRC2:TIDIG_COMP_CNT: 0
	.section	.text._ZN2at6native32elementwise_kernel_manual_unrollILi128ELi4EZNS0_15gpu_kernel_implIZZZNS0_15exp_kernel_cudaERNS_18TensorIteratorBaseEENKUlvE_clEvENKUlvE0_clEvEUlN3c107complexIfEEE_EEvS4_RKT_EUlibE_EEviT1_,"axG",@progbits,_ZN2at6native32elementwise_kernel_manual_unrollILi128ELi4EZNS0_15gpu_kernel_implIZZZNS0_15exp_kernel_cudaERNS_18TensorIteratorBaseEENKUlvE_clEvENKUlvE0_clEvEUlN3c107complexIfEEE_EEvS4_RKT_EUlibE_EEviT1_,comdat
	.globl	_ZN2at6native32elementwise_kernel_manual_unrollILi128ELi4EZNS0_15gpu_kernel_implIZZZNS0_15exp_kernel_cudaERNS_18TensorIteratorBaseEENKUlvE_clEvENKUlvE0_clEvEUlN3c107complexIfEEE_EEvS4_RKT_EUlibE_EEviT1_ ; -- Begin function _ZN2at6native32elementwise_kernel_manual_unrollILi128ELi4EZNS0_15gpu_kernel_implIZZZNS0_15exp_kernel_cudaERNS_18TensorIteratorBaseEENKUlvE_clEvENKUlvE0_clEvEUlN3c107complexIfEEE_EEvS4_RKT_EUlibE_EEviT1_
	.p2align	8
	.type	_ZN2at6native32elementwise_kernel_manual_unrollILi128ELi4EZNS0_15gpu_kernel_implIZZZNS0_15exp_kernel_cudaERNS_18TensorIteratorBaseEENKUlvE_clEvENKUlvE0_clEvEUlN3c107complexIfEEE_EEvS4_RKT_EUlibE_EEviT1_,@function
_ZN2at6native32elementwise_kernel_manual_unrollILi128ELi4EZNS0_15gpu_kernel_implIZZZNS0_15exp_kernel_cudaERNS_18TensorIteratorBaseEENKUlvE_clEvENKUlvE0_clEvEUlN3c107complexIfEEE_EEvS4_RKT_EUlibE_EEviT1_: ; @_ZN2at6native32elementwise_kernel_manual_unrollILi128ELi4EZNS0_15gpu_kernel_implIZZZNS0_15exp_kernel_cudaERNS_18TensorIteratorBaseEENKUlvE_clEvENKUlvE0_clEvEUlN3c107complexIfEEE_EEvS4_RKT_EUlibE_EEviT1_
; %bb.0:
	v_mov_b32_e32 v1, 0
	s_clause 0x2
	s_load_b32 s14, s[0:1], 0x0
	s_load_b64 s[10:11], s[0:1], 0x18
	s_load_b128 s[16:19], s[0:1], 0x8
	v_lshl_or_b32 v24, s15, 9, v0
	s_mov_b32 s9, 0
	s_mov_b32 s13, 0
	global_load_u16 v23, v1, s[0:1] offset:33
	s_mov_b32 s32, 0
	v_or_b32_e32 v0, 0x180, v24
	s_mov_b32 s0, exec_lo
	s_waitcnt vmcnt(0)
	v_lshrrev_b16 v25, 8, v23
	s_waitcnt lgkmcnt(0)
	v_cmpx_le_i32_e64 s14, v0
	s_xor_b32 s12, exec_lo, s0
	s_cbranch_execz .LBB64_1052
; %bb.1:
	s_mov_b32 s1, -1
	s_mov_b32 s21, 0
	s_mov_b32 s15, 0
	s_mov_b32 s20, exec_lo
	v_cmpx_gt_i32_e64 s14, v24
	s_cbranch_execz .LBB64_256
; %bb.2:
	v_mul_lo_u32 v0, v24, s11
	v_cmp_gt_i16_e32 vcc_lo, 11, v25
	s_delay_alu instid0(VALU_DEP_2) | instskip(SKIP_1) | instid1(VALU_DEP_1)
	v_ashrrev_i32_e32 v1, 31, v0
	v_add_co_u32 v2, s0, s18, v0
	v_add_co_ci_u32_e64 v3, s0, s19, v1, s0
	s_cbranch_vccnz .LBB64_9
; %bb.3:
	v_cmp_lt_i16_e32 vcc_lo, 25, v25
	s_cbranch_vccz .LBB64_18
; %bb.4:
	v_cmp_lt_i16_e32 vcc_lo, 28, v25
	s_cbranch_vccz .LBB64_21
	;; [unrolled: 3-line block ×3, first 2 shown]
; %bb.6:
	v_cmp_lt_i16_e32 vcc_lo, 45, v25
                                        ; implicit-def: $vgpr0
	s_cbranch_vccz .LBB64_27
; %bb.7:
	v_cmp_eq_u16_e32 vcc_lo, 46, v25
	s_mov_b32 s1, 0
	s_cbranch_vccz .LBB64_26
; %bb.8:
	global_load_b32 v0, v[2:3], off
	s_mov_b32 s0, -1
	s_waitcnt vmcnt(0)
	v_and_b32_e32 v1, 0xffff0000, v0
	v_lshlrev_b32_e32 v0, 16, v0
	s_branch .LBB64_28
.LBB64_9:
	s_mov_b32 s0, 0
                                        ; implicit-def: $vgpr1
	s_and_b32 vcc_lo, exec_lo, s1
	s_cbranch_vccnz .LBB64_204
.LBB64_10:
	s_and_not1_b32 vcc_lo, exec_lo, s0
	s_cbranch_vccnz .LBB64_253
.LBB64_11:
	s_getpc_b64 s[0:1]
	s_add_u32 s0, s0, _ZN16c10_complex_math3expIfEEN3c107complexIT_EERKS4_@rel32@lo+4
	s_addc_u32 s1, s1, _ZN16c10_complex_math3expIfEEN3c107complexIT_EERKS4_@rel32@hi+12
	s_delay_alu instid0(SALU_CYCLE_1) | instskip(SKIP_2) | instid1(VALU_DEP_1)
	s_swappc_b64 s[30:31], s[0:1]
	v_mul_lo_u32 v2, v24, s10
	v_and_b32_e32 v4, 0xff, v23
	v_cmp_gt_i16_e32 vcc_lo, 11, v4
	s_delay_alu instid0(VALU_DEP_3) | instskip(SKIP_1) | instid1(VALU_DEP_1)
	v_ashrrev_i32_e32 v3, 31, v2
	v_add_co_u32 v2, s0, s16, v2
	v_add_co_ci_u32_e64 v3, s0, s17, v3, s0
	s_cbranch_vccnz .LBB64_19
; %bb.12:
	v_cmp_lt_i16_e32 vcc_lo, 25, v4
	s_cbranch_vccz .LBB64_22
; %bb.13:
	v_cmp_lt_i16_e32 vcc_lo, 28, v4
	s_cbranch_vccz .LBB64_24
; %bb.14:
	v_cmp_lt_i16_e32 vcc_lo, 43, v4
	s_cbranch_vccz .LBB64_25
; %bb.15:
	v_cmp_lt_i16_e32 vcc_lo, 45, v4
	s_cbranch_vccz .LBB64_31
; %bb.16:
	v_cmp_eq_u16_e32 vcc_lo, 46, v4
	s_mov_b32 s2, 0
	s_mov_b32 s0, -1
	s_mov_b32 s1, 0
	s_cbranch_vccz .LBB64_32
; %bb.17:
	v_bfe_u32 v5, v1, 16, 1
	v_bfe_u32 v6, v0, 16, 1
	v_cmp_o_f32_e32 vcc_lo, v1, v1
	s_mov_b32 s1, -1
	s_mov_b32 s0, 0
	v_add3_u32 v5, v1, v5, 0x7fff
	v_add3_u32 v6, v0, v6, 0x7fff
	s_delay_alu instid0(VALU_DEP_2) | instskip(NEXT) | instid1(VALU_DEP_2)
	v_and_b32_e32 v5, 0xffff0000, v5
	v_lshrrev_b32_e32 v6, 16, v6
	s_delay_alu instid0(VALU_DEP_2) | instskip(SKIP_1) | instid1(VALU_DEP_3)
	v_cndmask_b32_e32 v5, 0x7fc00000, v5, vcc_lo
	v_cmp_o_f32_e32 vcc_lo, v0, v0
	v_cndmask_b32_e32 v6, 0x7fc0, v6, vcc_lo
	s_delay_alu instid0(VALU_DEP_1)
	v_or_b32_e32 v5, v5, v6
	global_store_b32 v[2:3], v5, off
	s_branch .LBB64_32
.LBB64_18:
	s_mov_b32 s0, 0
                                        ; implicit-def: $vgpr1
	s_and_b32 vcc_lo, exec_lo, s1
	s_cbranch_vccnz .LBB64_170
	s_branch .LBB64_203
.LBB64_19:
	s_mov_b32 s0, 0
	s_mov_b32 s1, 0
	s_cbranch_execnz .LBB64_101
.LBB64_20:
	s_and_not1_b32 vcc_lo, exec_lo, s1
	s_cbranch_vccnz .LBB64_254
	s_branch .LBB64_139
.LBB64_21:
	s_mov_b32 s0, 0
                                        ; implicit-def: $vgpr1
	s_branch .LBB64_149
.LBB64_22:
	s_mov_b32 s2, -1
	s_mov_b32 s0, 0
	s_mov_b32 s1, 0
	s_branch .LBB64_59
.LBB64_23:
	s_mov_b32 s0, 0
                                        ; implicit-def: $vgpr1
	s_branch .LBB64_143
.LBB64_24:
	s_mov_b32 s2, -1
	s_mov_b32 s0, 0
	s_mov_b32 s1, 0
	s_branch .LBB64_42
.LBB64_25:
	s_mov_b32 s2, -1
	s_mov_b32 s0, 0
	s_mov_b32 s1, 0
	s_branch .LBB64_38
.LBB64_26:
	s_mov_b32 s15, -1
.LBB64_27:
	s_mov_b32 s0, 0
                                        ; implicit-def: $vgpr1
.LBB64_28:
	s_and_b32 vcc_lo, exec_lo, s1
	s_cbranch_vccz .LBB64_142
; %bb.29:
	v_cmp_eq_u16_e32 vcc_lo, 44, v25
	s_cbranch_vccz .LBB64_140
; %bb.30:
	global_load_u8 v0, v[2:3], off
	s_mov_b32 s15, 0
	s_mov_b32 s0, -1
	s_waitcnt vmcnt(0)
	v_lshlrev_b32_e32 v1, 23, v0
	v_cmp_ne_u32_e32 vcc_lo, 0xff, v0
	s_delay_alu instid0(VALU_DEP_2) | instskip(SKIP_1) | instid1(VALU_DEP_2)
	v_cndmask_b32_e32 v1, 0x7f800001, v1, vcc_lo
	v_cmp_ne_u32_e32 vcc_lo, 0, v0
	v_cndmask_b32_e32 v0, 0x400000, v1, vcc_lo
	s_branch .LBB64_141
.LBB64_31:
	s_mov_b32 s2, -1
	s_mov_b32 s0, 0
	s_mov_b32 s1, 0
.LBB64_32:
	s_and_b32 vcc_lo, exec_lo, s2
	s_cbranch_vccz .LBB64_37
; %bb.33:
	v_cmp_eq_u16_e32 vcc_lo, 44, v4
	s_mov_b32 s0, -1
	s_cbranch_vccz .LBB64_37
; %bb.34:
	v_bfe_u32 v6, v0, 23, 8
	v_mov_b32_e32 v5, 0xff
	s_mov_b32 s1, exec_lo
	s_delay_alu instid0(VALU_DEP_2)
	v_cmpx_ne_u32_e32 0xff, v6
; %bb.35:
	v_and_b32_e32 v5, 0x400000, v0
	v_and_or_b32 v6, 0x3fffff, v0, v6
	s_delay_alu instid0(VALU_DEP_2) | instskip(NEXT) | instid1(VALU_DEP_2)
	v_cmp_ne_u32_e32 vcc_lo, 0, v5
	v_cmp_ne_u32_e64 s0, 0, v6
	v_lshrrev_b32_e32 v5, 23, v0
	s_delay_alu instid0(VALU_DEP_2) | instskip(NEXT) | instid1(SALU_CYCLE_1)
	s_and_b32 s0, vcc_lo, s0
	v_cndmask_b32_e64 v6, 0, 1, s0
	s_delay_alu instid0(VALU_DEP_1)
	v_add_nc_u32_e32 v5, v5, v6
; %bb.36:
	s_or_b32 exec_lo, exec_lo, s1
	s_mov_b32 s1, -1
	s_mov_b32 s0, 0
	global_store_b8 v[2:3], v5, off
.LBB64_37:
	s_mov_b32 s2, 0
.LBB64_38:
	s_delay_alu instid0(SALU_CYCLE_1)
	s_and_b32 vcc_lo, exec_lo, s2
	s_cbranch_vccz .LBB64_41
; %bb.39:
	v_cmp_eq_u16_e32 vcc_lo, 29, v4
	s_mov_b32 s0, -1
	s_cbranch_vccz .LBB64_41
; %bb.40:
	v_trunc_f32_e32 v5, v0
	s_mov_b32 s1, -1
	s_mov_b32 s0, 0
	s_mov_b32 s2, 0
	s_delay_alu instid0(VALU_DEP_1) | instskip(NEXT) | instid1(VALU_DEP_1)
	v_mul_f32_e32 v6, 0x2f800000, v5
	v_floor_f32_e32 v6, v6
	s_delay_alu instid0(VALU_DEP_1) | instskip(SKIP_1) | instid1(VALU_DEP_2)
	v_fmamk_f32 v5, v6, 0xcf800000, v5
	v_cvt_u32_f32_e32 v6, v6
	v_cvt_u32_f32_e32 v5, v5
	global_store_b64 v[2:3], v[5:6], off
	s_branch .LBB64_42
.LBB64_41:
	s_mov_b32 s2, 0
.LBB64_42:
	s_delay_alu instid0(SALU_CYCLE_1)
	s_and_b32 vcc_lo, exec_lo, s2
	s_cbranch_vccz .LBB64_58
; %bb.43:
	v_cmp_gt_i16_e32 vcc_lo, 27, v4
	s_mov_b32 s1, -1
	s_cbranch_vccnz .LBB64_49
; %bb.44:
	v_cmp_lt_i16_e32 vcc_lo, 27, v4
	s_cbranch_vccz .LBB64_46
; %bb.45:
	v_cvt_u32_f32_e32 v5, v0
	s_mov_b32 s1, 0
	global_store_b32 v[2:3], v5, off
.LBB64_46:
	s_and_not1_b32 vcc_lo, exec_lo, s1
	s_cbranch_vccnz .LBB64_48
; %bb.47:
	v_cvt_u32_f32_e32 v5, v0
	global_store_b16 v[2:3], v5, off
.LBB64_48:
	s_mov_b32 s1, 0
.LBB64_49:
	s_delay_alu instid0(SALU_CYCLE_1)
	s_and_not1_b32 vcc_lo, exec_lo, s1
	s_cbranch_vccnz .LBB64_57
; %bb.50:
	v_and_b32_e32 v5, 0x7fffffff, v0
	v_mov_b32_e32 v6, 0x80
	s_mov_b32 s1, exec_lo
	s_delay_alu instid0(VALU_DEP_2)
	v_cmpx_gt_u32_e32 0x43800000, v5
	s_cbranch_execz .LBB64_56
; %bb.51:
	v_cmp_lt_u32_e32 vcc_lo, 0x3bffffff, v5
	s_mov_b32 s2, 0
                                        ; implicit-def: $vgpr5
	s_and_saveexec_b32 s3, vcc_lo
	s_delay_alu instid0(SALU_CYCLE_1)
	s_xor_b32 s3, exec_lo, s3
	s_cbranch_execz .LBB64_280
; %bb.52:
	v_bfe_u32 v5, v0, 20, 1
	s_mov_b32 s2, exec_lo
	s_delay_alu instid0(VALU_DEP_1) | instskip(NEXT) | instid1(VALU_DEP_1)
	v_add3_u32 v5, v0, v5, 0x487ffff
	v_lshrrev_b32_e32 v5, 20, v5
	s_or_saveexec_b32 s3, s3
                                        ; implicit-def: $sgpr4
	s_delay_alu instid0(SALU_CYCLE_1)
	s_xor_b32 exec_lo, exec_lo, s3
	s_cbranch_execnz .LBB64_281
.LBB64_53:
	s_or_b32 exec_lo, exec_lo, s3
	v_mov_b32_e32 v6, s4
	s_and_saveexec_b32 s3, s2
.LBB64_54:
	v_lshrrev_b32_e32 v6, 24, v0
	s_delay_alu instid0(VALU_DEP_1)
	v_and_or_b32 v6, 0x80, v6, v5
.LBB64_55:
	s_or_b32 exec_lo, exec_lo, s3
.LBB64_56:
	s_delay_alu instid0(SALU_CYCLE_1)
	s_or_b32 exec_lo, exec_lo, s1
	global_store_b8 v[2:3], v6, off
.LBB64_57:
	s_mov_b32 s1, -1
.LBB64_58:
	s_mov_b32 s2, 0
.LBB64_59:
	s_delay_alu instid0(SALU_CYCLE_1)
	s_and_b32 vcc_lo, exec_lo, s2
	s_cbranch_vccz .LBB64_100
; %bb.60:
	v_cmp_lt_i16_e32 vcc_lo, 22, v4
	s_mov_b32 s2, -1
	s_cbranch_vccz .LBB64_92
; %bb.61:
	v_cmp_gt_i16_e32 vcc_lo, 24, v4
	s_mov_b32 s1, -1
	s_cbranch_vccnz .LBB64_81
; %bb.62:
	v_cmp_lt_i16_e32 vcc_lo, 24, v4
	s_cbranch_vccz .LBB64_70
; %bb.63:
	v_and_b32_e32 v5, 0x7fffffff, v0
	v_mov_b32_e32 v6, 0x80
	s_mov_b32 s1, exec_lo
	s_delay_alu instid0(VALU_DEP_2)
	v_cmpx_gt_u32_e32 0x47800000, v5
	s_cbranch_execz .LBB64_69
; %bb.64:
	v_cmp_lt_u32_e32 vcc_lo, 0x37ffffff, v5
	s_mov_b32 s2, 0
                                        ; implicit-def: $vgpr5
	s_and_saveexec_b32 s3, vcc_lo
	s_delay_alu instid0(SALU_CYCLE_1)
	s_xor_b32 s3, exec_lo, s3
	s_cbranch_execz .LBB64_284
; %bb.65:
	v_bfe_u32 v5, v0, 21, 1
	s_mov_b32 s2, exec_lo
	s_delay_alu instid0(VALU_DEP_1) | instskip(NEXT) | instid1(VALU_DEP_1)
	v_add3_u32 v5, v0, v5, 0x88fffff
	v_lshrrev_b32_e32 v5, 21, v5
	s_or_saveexec_b32 s3, s3
                                        ; implicit-def: $sgpr4
	s_delay_alu instid0(SALU_CYCLE_1)
	s_xor_b32 exec_lo, exec_lo, s3
	s_cbranch_execnz .LBB64_285
.LBB64_66:
	s_or_b32 exec_lo, exec_lo, s3
	v_mov_b32_e32 v6, s4
	s_and_saveexec_b32 s3, s2
.LBB64_67:
	v_lshrrev_b32_e32 v6, 24, v0
	s_delay_alu instid0(VALU_DEP_1)
	v_and_or_b32 v6, 0x80, v6, v5
.LBB64_68:
	s_or_b32 exec_lo, exec_lo, s3
.LBB64_69:
	s_delay_alu instid0(SALU_CYCLE_1)
	s_or_b32 exec_lo, exec_lo, s1
	s_mov_b32 s1, 0
	global_store_b8 v[2:3], v6, off
.LBB64_70:
	s_and_b32 vcc_lo, exec_lo, s1
	s_cbranch_vccz .LBB64_80
; %bb.71:
	v_and_b32_e32 v6, 0x7fffffff, v0
	s_mov_b32 s1, exec_lo
                                        ; implicit-def: $vgpr5
	s_delay_alu instid0(VALU_DEP_1)
	v_cmpx_gt_u32_e32 0x43f00000, v6
	s_xor_b32 s1, exec_lo, s1
	s_cbranch_execz .LBB64_77
; %bb.72:
	s_mov_b32 s2, exec_lo
                                        ; implicit-def: $vgpr5
	v_cmpx_lt_u32_e32 0x3c7fffff, v6
	s_xor_b32 s2, exec_lo, s2
; %bb.73:
	v_bfe_u32 v5, v0, 20, 1
	s_delay_alu instid0(VALU_DEP_1) | instskip(NEXT) | instid1(VALU_DEP_1)
	v_add3_u32 v5, v0, v5, 0x407ffff
	v_and_b32_e32 v6, 0xff00000, v5
	v_lshrrev_b32_e32 v5, 20, v5
	s_delay_alu instid0(VALU_DEP_2) | instskip(NEXT) | instid1(VALU_DEP_2)
	v_cmp_ne_u32_e32 vcc_lo, 0x7f00000, v6
	v_cndmask_b32_e32 v5, 0x7e, v5, vcc_lo
; %bb.74:
	s_and_not1_saveexec_b32 s2, s2
; %bb.75:
	v_add_f32_e64 v5, 0x46800000, |v0|
; %bb.76:
	s_or_b32 exec_lo, exec_lo, s2
                                        ; implicit-def: $vgpr6
.LBB64_77:
	s_and_not1_saveexec_b32 s1, s1
; %bb.78:
	v_mov_b32_e32 v5, 0x7f
	v_cmp_lt_u32_e32 vcc_lo, 0x7f800000, v6
	s_delay_alu instid0(VALU_DEP_2)
	v_cndmask_b32_e32 v5, 0x7e, v5, vcc_lo
; %bb.79:
	s_or_b32 exec_lo, exec_lo, s1
	v_lshrrev_b32_e32 v6, 24, v0
	s_delay_alu instid0(VALU_DEP_1)
	v_and_or_b32 v5, 0x80, v6, v5
	global_store_b8 v[2:3], v5, off
.LBB64_80:
	s_mov_b32 s1, 0
.LBB64_81:
	s_delay_alu instid0(SALU_CYCLE_1)
	s_and_not1_b32 vcc_lo, exec_lo, s1
	s_cbranch_vccnz .LBB64_91
; %bb.82:
	v_and_b32_e32 v6, 0x7fffffff, v0
	s_mov_b32 s1, exec_lo
                                        ; implicit-def: $vgpr5
	s_delay_alu instid0(VALU_DEP_1)
	v_cmpx_gt_u32_e32 0x47800000, v6
	s_xor_b32 s1, exec_lo, s1
	s_cbranch_execz .LBB64_88
; %bb.83:
	s_mov_b32 s2, exec_lo
                                        ; implicit-def: $vgpr5
	v_cmpx_lt_u32_e32 0x387fffff, v6
	s_xor_b32 s2, exec_lo, s2
; %bb.84:
	v_bfe_u32 v5, v0, 21, 1
	s_delay_alu instid0(VALU_DEP_1) | instskip(NEXT) | instid1(VALU_DEP_1)
	v_add3_u32 v5, v0, v5, 0x80fffff
	v_lshrrev_b32_e32 v5, 21, v5
; %bb.85:
	s_and_not1_saveexec_b32 s2, s2
; %bb.86:
	v_add_f32_e64 v5, 0x43000000, |v0|
; %bb.87:
	s_or_b32 exec_lo, exec_lo, s2
                                        ; implicit-def: $vgpr6
.LBB64_88:
	s_and_not1_saveexec_b32 s1, s1
; %bb.89:
	v_mov_b32_e32 v5, 0x7f
	v_cmp_lt_u32_e32 vcc_lo, 0x7f800000, v6
	s_delay_alu instid0(VALU_DEP_2)
	v_cndmask_b32_e32 v5, 0x7c, v5, vcc_lo
; %bb.90:
	s_or_b32 exec_lo, exec_lo, s1
	v_lshrrev_b32_e32 v6, 24, v0
	s_delay_alu instid0(VALU_DEP_1)
	v_and_or_b32 v5, 0x80, v6, v5
	global_store_b8 v[2:3], v5, off
.LBB64_91:
	s_mov_b32 s2, 0
	s_mov_b32 s1, -1
.LBB64_92:
	s_and_not1_b32 vcc_lo, exec_lo, s2
	s_cbranch_vccnz .LBB64_100
; %bb.93:
	v_cmp_lt_i16_e32 vcc_lo, 14, v4
	s_mov_b32 s2, -1
	s_cbranch_vccz .LBB64_97
; %bb.94:
	v_cmp_eq_u16_e32 vcc_lo, 15, v4
	s_mov_b32 s0, -1
	s_cbranch_vccz .LBB64_96
; %bb.95:
	v_bfe_u32 v5, v0, 16, 1
	v_cmp_o_f32_e32 vcc_lo, v0, v0
	s_mov_b32 s1, -1
	s_mov_b32 s0, 0
	s_delay_alu instid0(VALU_DEP_2) | instskip(NEXT) | instid1(VALU_DEP_1)
	v_add3_u32 v5, v0, v5, 0x7fff
	v_lshrrev_b32_e32 v5, 16, v5
	s_delay_alu instid0(VALU_DEP_1)
	v_cndmask_b32_e32 v5, 0x7fc0, v5, vcc_lo
	global_store_b16 v[2:3], v5, off
.LBB64_96:
	s_mov_b32 s2, 0
.LBB64_97:
	s_delay_alu instid0(SALU_CYCLE_1)
	s_and_b32 vcc_lo, exec_lo, s2
	s_cbranch_vccz .LBB64_100
; %bb.98:
	v_cmp_eq_u16_e32 vcc_lo, 11, v4
	s_mov_b32 s0, -1
	s_cbranch_vccz .LBB64_100
; %bb.99:
	v_or_b32_e32 v5, v0, v1
	s_mov_b32 s0, 0
	s_mov_b32 s1, -1
	s_delay_alu instid0(VALU_DEP_1) | instskip(NEXT) | instid1(VALU_DEP_1)
	v_and_b32_e32 v5, 0x7fffffff, v5
	v_cmp_ne_u32_e32 vcc_lo, 0, v5
	v_cndmask_b32_e64 v5, 0, 1, vcc_lo
	global_store_b8 v[2:3], v5, off
.LBB64_100:
	s_branch .LBB64_20
.LBB64_101:
	v_cmp_gt_i16_e32 vcc_lo, 5, v4
	s_mov_b32 s1, -1
	s_cbranch_vccnz .LBB64_122
; %bb.102:
	v_cmp_gt_i16_e32 vcc_lo, 8, v4
	s_cbranch_vccnz .LBB64_112
; %bb.103:
	v_cmp_gt_i16_e32 vcc_lo, 9, v4
	s_cbranch_vccnz .LBB64_109
; %bb.104:
	v_cmp_lt_i16_e32 vcc_lo, 9, v4
	s_cbranch_vccz .LBB64_106
; %bb.105:
	v_cvt_f64_f32_e32 v[5:6], v0
	v_cvt_f64_f32_e32 v[7:8], v1
	s_mov_b32 s1, 0
	global_store_b128 v[2:3], v[5:8], off
.LBB64_106:
	s_and_not1_b32 vcc_lo, exec_lo, s1
	s_cbranch_vccnz .LBB64_108
; %bb.107:
	global_store_b64 v[2:3], v[0:1], off
.LBB64_108:
	s_mov_b32 s1, 0
.LBB64_109:
	s_delay_alu instid0(SALU_CYCLE_1)
	s_and_not1_b32 vcc_lo, exec_lo, s1
	s_cbranch_vccnz .LBB64_111
; %bb.110:
	v_cvt_f16_f32_e32 v1, v1
	v_cvt_f16_f32_e32 v5, v0
	s_delay_alu instid0(VALU_DEP_2) | instskip(NEXT) | instid1(VALU_DEP_2)
	v_lshlrev_b32_e32 v1, 16, v1
	v_and_b32_e32 v5, 0xffff, v5
	s_delay_alu instid0(VALU_DEP_1)
	v_or_b32_e32 v1, v1, v5
	global_store_b32 v[2:3], v1, off
.LBB64_111:
	s_mov_b32 s1, 0
.LBB64_112:
	s_delay_alu instid0(SALU_CYCLE_1)
	s_and_not1_b32 vcc_lo, exec_lo, s1
	s_cbranch_vccnz .LBB64_121
; %bb.113:
	v_cmp_gt_i16_e32 vcc_lo, 6, v4
	s_mov_b32 s1, -1
	s_cbranch_vccnz .LBB64_119
; %bb.114:
	v_cmp_lt_i16_e32 vcc_lo, 6, v4
	s_cbranch_vccz .LBB64_116
; %bb.115:
	v_cvt_f64_f32_e32 v[5:6], v0
	s_mov_b32 s1, 0
	global_store_b64 v[2:3], v[5:6], off
.LBB64_116:
	s_and_not1_b32 vcc_lo, exec_lo, s1
	s_cbranch_vccnz .LBB64_118
; %bb.117:
	global_store_b32 v[2:3], v0, off
.LBB64_118:
	s_mov_b32 s1, 0
.LBB64_119:
	s_delay_alu instid0(SALU_CYCLE_1)
	s_and_not1_b32 vcc_lo, exec_lo, s1
	s_cbranch_vccnz .LBB64_121
; %bb.120:
	v_cvt_f16_f32_e32 v1, v0
	global_store_b16 v[2:3], v1, off
.LBB64_121:
	s_mov_b32 s1, 0
.LBB64_122:
	s_delay_alu instid0(SALU_CYCLE_1)
	s_and_not1_b32 vcc_lo, exec_lo, s1
	s_cbranch_vccnz .LBB64_138
; %bb.123:
	v_cmp_gt_i16_e32 vcc_lo, 2, v4
	s_mov_b32 s1, -1
	s_cbranch_vccnz .LBB64_133
; %bb.124:
	v_cmp_gt_i16_e32 vcc_lo, 3, v4
	s_cbranch_vccnz .LBB64_130
; %bb.125:
	v_cmp_lt_i16_e32 vcc_lo, 3, v4
	s_cbranch_vccz .LBB64_127
; %bb.126:
	v_trunc_f32_e32 v1, v0
	s_mov_b32 s1, 0
	s_delay_alu instid0(VALU_DEP_1) | instskip(NEXT) | instid1(VALU_DEP_1)
	v_mul_f32_e64 v5, 0x2f800000, |v1|
	v_floor_f32_e32 v5, v5
	s_delay_alu instid0(VALU_DEP_1) | instskip(SKIP_2) | instid1(VALU_DEP_3)
	v_fma_f32 v6, 0xcf800000, v5, |v1|
	v_ashrrev_i32_e32 v1, 31, v1
	v_cvt_u32_f32_e32 v5, v5
	v_cvt_u32_f32_e32 v6, v6
	s_delay_alu instid0(VALU_DEP_2) | instskip(NEXT) | instid1(VALU_DEP_2)
	v_xor_b32_e32 v7, v5, v1
	v_xor_b32_e32 v6, v6, v1
	s_delay_alu instid0(VALU_DEP_1) | instskip(NEXT) | instid1(VALU_DEP_3)
	v_sub_co_u32 v5, vcc_lo, v6, v1
	v_sub_co_ci_u32_e32 v6, vcc_lo, v7, v1, vcc_lo
	global_store_b64 v[2:3], v[5:6], off
.LBB64_127:
	s_and_not1_b32 vcc_lo, exec_lo, s1
	s_cbranch_vccnz .LBB64_129
; %bb.128:
	v_cvt_i32_f32_e32 v1, v0
	global_store_b32 v[2:3], v1, off
.LBB64_129:
	s_mov_b32 s1, 0
.LBB64_130:
	s_delay_alu instid0(SALU_CYCLE_1)
	s_and_not1_b32 vcc_lo, exec_lo, s1
	s_cbranch_vccnz .LBB64_132
; %bb.131:
	v_cvt_i32_f32_e32 v1, v0
	global_store_b16 v[2:3], v1, off
.LBB64_132:
	s_mov_b32 s1, 0
.LBB64_133:
	s_delay_alu instid0(SALU_CYCLE_1)
	s_and_not1_b32 vcc_lo, exec_lo, s1
	s_cbranch_vccnz .LBB64_138
; %bb.134:
	v_cmp_lt_i16_e32 vcc_lo, 0, v4
	s_mov_b32 s1, -1
	s_cbranch_vccz .LBB64_136
; %bb.135:
	v_cvt_i32_f32_e32 v1, v0
	s_mov_b32 s1, 0
	global_store_b8 v[2:3], v1, off
.LBB64_136:
	s_and_not1_b32 vcc_lo, exec_lo, s1
	s_cbranch_vccnz .LBB64_138
; %bb.137:
	v_trunc_f32_e32 v0, v0
	s_delay_alu instid0(VALU_DEP_1) | instskip(NEXT) | instid1(VALU_DEP_1)
	v_mul_f32_e64 v1, 0x2f800000, |v0|
	v_floor_f32_e32 v1, v1
	s_delay_alu instid0(VALU_DEP_1) | instskip(SKIP_1) | instid1(VALU_DEP_2)
	v_fma_f32 v1, 0xcf800000, v1, |v0|
	v_ashrrev_i32_e32 v0, 31, v0
	v_cvt_u32_f32_e32 v1, v1
	s_delay_alu instid0(VALU_DEP_1) | instskip(NEXT) | instid1(VALU_DEP_1)
	v_xor_b32_e32 v1, v1, v0
	v_sub_nc_u32_e32 v0, v1, v0
	global_store_b8 v[2:3], v0, off
.LBB64_138:
.LBB64_139:
	v_add_nc_u32_e32 v24, 0x80, v24
	s_mov_b32 s1, -1
	s_branch .LBB64_255
.LBB64_140:
	s_mov_b32 s15, -1
                                        ; implicit-def: $vgpr0
.LBB64_141:
	s_delay_alu instid0(SALU_CYCLE_1)
	v_mov_b32_e32 v1, s15
.LBB64_142:
	s_mov_b32 s1, 0
.LBB64_143:
	s_delay_alu instid0(SALU_CYCLE_1)
	s_and_b32 vcc_lo, exec_lo, s1
	s_cbranch_vccz .LBB64_148
; %bb.144:
	v_cmp_eq_u16_e32 vcc_lo, 29, v25
	s_cbranch_vccz .LBB64_146
; %bb.145:
	global_load_b64 v[0:1], v[2:3], off
	s_mov_b32 s0, -1
	s_mov_b32 s15, 0
	s_mov_b32 s1, 0
	s_waitcnt vmcnt(0)
	v_clz_i32_u32_e32 v4, v1
	s_delay_alu instid0(VALU_DEP_1) | instskip(NEXT) | instid1(VALU_DEP_1)
	v_min_u32_e32 v4, 32, v4
	v_lshlrev_b64 v[0:1], v4, v[0:1]
	s_delay_alu instid0(VALU_DEP_1) | instskip(NEXT) | instid1(VALU_DEP_1)
	v_min_u32_e32 v0, 1, v0
	v_or_b32_e32 v0, v1, v0
	v_sub_nc_u32_e32 v1, 32, v4
	s_delay_alu instid0(VALU_DEP_2) | instskip(NEXT) | instid1(VALU_DEP_1)
	v_cvt_f32_u32_e32 v0, v0
	v_ldexp_f32 v0, v0, v1
	s_branch .LBB64_147
.LBB64_146:
	s_mov_b32 s15, -1
                                        ; implicit-def: $sgpr1
                                        ; implicit-def: $vgpr0
.LBB64_147:
	v_mov_b32_e32 v1, s1
.LBB64_148:
	s_mov_b32 s1, 0
.LBB64_149:
	s_delay_alu instid0(SALU_CYCLE_1)
	s_and_b32 vcc_lo, exec_lo, s1
	s_cbranch_vccz .LBB64_169
; %bb.150:
	v_cmp_gt_i16_e32 vcc_lo, 27, v25
	s_cbranch_vccnz .LBB64_153
; %bb.151:
	v_cmp_lt_i16_e32 vcc_lo, 27, v25
	s_cbranch_vccz .LBB64_154
; %bb.152:
	global_load_b32 v0, v[2:3], off
	s_mov_b32 s1, 0
	s_mov_b32 s0, 0
	s_waitcnt vmcnt(0)
	v_cvt_f32_u32_e32 v0, v0
	s_branch .LBB64_155
.LBB64_153:
	s_mov_b32 s1, -1
                                        ; implicit-def: $sgpr0
                                        ; implicit-def: $vgpr0
	s_branch .LBB64_158
.LBB64_154:
	s_mov_b32 s1, -1
                                        ; implicit-def: $sgpr0
                                        ; implicit-def: $vgpr0
.LBB64_155:
	s_delay_alu instid0(SALU_CYCLE_1)
	s_and_not1_b32 vcc_lo, exec_lo, s1
	s_cbranch_vccnz .LBB64_157
; %bb.156:
	global_load_u16 v0, v[2:3], off
	s_mov_b32 s0, 0
	s_waitcnt vmcnt(0)
	v_cvt_f32_u32_e32 v0, v0
.LBB64_157:
	s_mov_b32 s1, 0
.LBB64_158:
	v_mov_b32_e32 v1, s0
	s_and_not1_b32 vcc_lo, exec_lo, s1
	s_cbranch_vccnz .LBB64_168
; %bb.159:
	global_load_u8 v4, v[2:3], off
	s_mov_b32 s0, 0
	s_mov_b32 s3, exec_lo
                                        ; implicit-def: $sgpr2
                                        ; implicit-def: $sgpr1
	s_waitcnt vmcnt(0)
	v_cmpx_lt_i16_e32 0x7f, v4
	s_xor_b32 s3, exec_lo, s3
	s_cbranch_execz .LBB64_163
; %bb.160:
	s_mov_b32 s0, -1
	s_mov_b32 s4, exec_lo
                                        ; implicit-def: $sgpr2
                                        ; implicit-def: $sgpr1
	v_cmpx_eq_u16_e32 0x80, v4
; %bb.161:
	s_mov_b32 s1, 0x7f800001
	s_mov_b32 s2, 0
	s_xor_b32 s0, exec_lo, -1
; %bb.162:
	s_or_b32 exec_lo, exec_lo, s4
	s_delay_alu instid0(SALU_CYCLE_1)
	s_and_b32 s0, s0, exec_lo
.LBB64_163:
	s_or_saveexec_b32 s3, s3
	v_dual_mov_b32 v1, s2 :: v_dual_mov_b32 v0, s1
	s_xor_b32 exec_lo, exec_lo, s3
; %bb.164:
	v_mov_b32_e32 v1, 0
	v_cmp_ne_u16_e32 vcc_lo, 0, v4
	s_and_not1_b32 s0, s0, exec_lo
	s_delay_alu instid0(VALU_DEP_2) | instskip(SKIP_1) | instid1(SALU_CYCLE_1)
	v_mov_b32_e32 v0, v1
	s_and_b32 s1, vcc_lo, exec_lo
	s_or_b32 s0, s0, s1
; %bb.165:
	s_or_b32 exec_lo, exec_lo, s3
	s_and_saveexec_b32 s1, s0
	s_cbranch_execz .LBB64_167
; %bb.166:
	v_and_b32_e32 v0, 0xffff, v4
	v_lshlrev_b32_e32 v4, 24, v4
	s_delay_alu instid0(VALU_DEP_2) | instskip(NEXT) | instid1(VALU_DEP_2)
	v_and_b32_e32 v1, 7, v0
	v_and_b32_e32 v4, 0x80000000, v4
	s_delay_alu instid0(VALU_DEP_2) | instskip(NEXT) | instid1(VALU_DEP_1)
	v_clz_i32_u32_e32 v5, v1
	v_min_u32_e32 v5, 32, v5
	s_delay_alu instid0(VALU_DEP_1) | instskip(SKIP_1) | instid1(VALU_DEP_2)
	v_subrev_nc_u32_e32 v6, 28, v5
	v_sub_nc_u32_e32 v5, 29, v5
	v_lshlrev_b32_e32 v6, v6, v0
	v_bfe_u32 v0, v0, 3, 4
	s_delay_alu instid0(VALU_DEP_2) | instskip(NEXT) | instid1(VALU_DEP_2)
	v_and_b32_e32 v6, 7, v6
	v_cmp_eq_u32_e32 vcc_lo, 0, v0
	s_delay_alu instid0(VALU_DEP_2) | instskip(NEXT) | instid1(VALU_DEP_1)
	v_dual_cndmask_b32 v0, v0, v5 :: v_dual_cndmask_b32 v1, v1, v6
	v_lshl_add_u32 v0, v0, 23, 0x3b800000
	s_delay_alu instid0(VALU_DEP_2) | instskip(NEXT) | instid1(VALU_DEP_1)
	v_lshlrev_b32_e32 v1, 20, v1
	v_or3_b32 v0, v4, v0, v1
	v_mov_b32_e32 v1, 0
.LBB64_167:
	s_or_b32 exec_lo, exec_lo, s1
.LBB64_168:
	s_mov_b32 s0, -1
.LBB64_169:
	s_branch .LBB64_203
.LBB64_170:
	v_cmp_lt_i16_e32 vcc_lo, 22, v25
	s_cbranch_vccz .LBB64_182
; %bb.171:
	v_cmp_gt_i16_e32 vcc_lo, 24, v25
	s_cbranch_vccnz .LBB64_183
; %bb.172:
	v_cmp_lt_i16_e32 vcc_lo, 24, v25
	s_cbranch_vccz .LBB64_184
; %bb.173:
	global_load_u8 v4, v[2:3], off
	s_mov_b32 s0, 0
	s_mov_b32 s3, exec_lo
                                        ; implicit-def: $sgpr2
                                        ; implicit-def: $sgpr1
	s_waitcnt vmcnt(0)
	v_cmpx_lt_i16_e32 0x7f, v4
	s_xor_b32 s3, exec_lo, s3
	s_cbranch_execz .LBB64_177
; %bb.174:
	s_mov_b32 s0, -1
	s_mov_b32 s4, exec_lo
                                        ; implicit-def: $sgpr2
                                        ; implicit-def: $sgpr1
	v_cmpx_eq_u16_e32 0x80, v4
; %bb.175:
	s_mov_b32 s1, 0x7f800001
	s_mov_b32 s2, 0
	s_xor_b32 s0, exec_lo, -1
; %bb.176:
	s_or_b32 exec_lo, exec_lo, s4
	s_delay_alu instid0(SALU_CYCLE_1)
	s_and_b32 s0, s0, exec_lo
.LBB64_177:
	s_or_saveexec_b32 s3, s3
	v_dual_mov_b32 v1, s2 :: v_dual_mov_b32 v0, s1
	s_xor_b32 exec_lo, exec_lo, s3
; %bb.178:
	v_mov_b32_e32 v1, 0
	v_cmp_ne_u16_e32 vcc_lo, 0, v4
	s_and_not1_b32 s0, s0, exec_lo
	s_delay_alu instid0(VALU_DEP_2) | instskip(SKIP_1) | instid1(SALU_CYCLE_1)
	v_mov_b32_e32 v0, v1
	s_and_b32 s1, vcc_lo, exec_lo
	s_or_b32 s0, s0, s1
; %bb.179:
	s_or_b32 exec_lo, exec_lo, s3
	s_and_saveexec_b32 s1, s0
	s_cbranch_execz .LBB64_181
; %bb.180:
	v_and_b32_e32 v0, 0xffff, v4
	v_lshlrev_b32_e32 v4, 24, v4
	s_delay_alu instid0(VALU_DEP_2) | instskip(NEXT) | instid1(VALU_DEP_2)
	v_and_b32_e32 v1, 3, v0
	v_and_b32_e32 v4, 0x80000000, v4
	s_delay_alu instid0(VALU_DEP_2) | instskip(NEXT) | instid1(VALU_DEP_1)
	v_clz_i32_u32_e32 v5, v1
	v_min_u32_e32 v5, 32, v5
	s_delay_alu instid0(VALU_DEP_1) | instskip(SKIP_1) | instid1(VALU_DEP_2)
	v_subrev_nc_u32_e32 v6, 29, v5
	v_sub_nc_u32_e32 v5, 30, v5
	v_lshlrev_b32_e32 v6, v6, v0
	v_bfe_u32 v0, v0, 2, 5
	s_delay_alu instid0(VALU_DEP_2) | instskip(NEXT) | instid1(VALU_DEP_2)
	v_and_b32_e32 v6, 3, v6
	v_cmp_eq_u32_e32 vcc_lo, 0, v0
	s_delay_alu instid0(VALU_DEP_2) | instskip(NEXT) | instid1(VALU_DEP_1)
	v_dual_cndmask_b32 v0, v0, v5 :: v_dual_cndmask_b32 v1, v1, v6
	v_lshl_add_u32 v0, v0, 23, 0x37800000
	s_delay_alu instid0(VALU_DEP_2) | instskip(NEXT) | instid1(VALU_DEP_1)
	v_lshlrev_b32_e32 v1, 21, v1
	v_or3_b32 v0, v4, v0, v1
	v_mov_b32_e32 v1, 0
.LBB64_181:
	s_or_b32 exec_lo, exec_lo, s1
	s_mov_b32 s0, 0
	s_branch .LBB64_185
.LBB64_182:
	s_mov_b32 s1, -1
                                        ; implicit-def: $vgpr1
	s_branch .LBB64_191
.LBB64_183:
	s_mov_b32 s0, -1
                                        ; implicit-def: $vgpr1
	s_branch .LBB64_188
.LBB64_184:
	s_mov_b32 s0, -1
                                        ; implicit-def: $vgpr1
.LBB64_185:
	s_delay_alu instid0(SALU_CYCLE_1)
	s_and_b32 vcc_lo, exec_lo, s0
	s_cbranch_vccz .LBB64_187
; %bb.186:
	global_load_u8 v0, v[2:3], off
	s_waitcnt vmcnt(0)
	v_lshlrev_b32_e32 v0, 24, v0
	s_delay_alu instid0(VALU_DEP_1) | instskip(NEXT) | instid1(VALU_DEP_1)
	v_and_b32_e32 v1, 0x7f000000, v0
	v_clz_i32_u32_e32 v4, v1
	v_cmp_ne_u32_e32 vcc_lo, 0, v1
	v_add_nc_u32_e32 v6, 0x1000000, v1
	s_delay_alu instid0(VALU_DEP_3) | instskip(NEXT) | instid1(VALU_DEP_1)
	v_min_u32_e32 v4, 32, v4
	v_sub_nc_u32_e64 v4, v4, 4 clamp
	s_delay_alu instid0(VALU_DEP_1) | instskip(SKIP_1) | instid1(VALU_DEP_2)
	v_lshlrev_b32_e32 v5, v4, v1
	v_lshlrev_b32_e32 v4, 23, v4
	v_lshrrev_b32_e32 v5, 4, v5
	s_delay_alu instid0(VALU_DEP_1) | instskip(SKIP_1) | instid1(VALU_DEP_2)
	v_sub_nc_u32_e32 v4, v5, v4
	v_ashrrev_i32_e32 v5, 8, v6
	v_add_nc_u32_e32 v4, 0x3c000000, v4
	s_delay_alu instid0(VALU_DEP_1) | instskip(NEXT) | instid1(VALU_DEP_1)
	v_and_or_b32 v4, 0x7f800000, v5, v4
	v_cndmask_b32_e32 v1, 0, v4, vcc_lo
	s_delay_alu instid0(VALU_DEP_1)
	v_and_or_b32 v0, 0x80000000, v0, v1
	v_mov_b32_e32 v1, 0
.LBB64_187:
	s_mov_b32 s0, 0
.LBB64_188:
	s_delay_alu instid0(SALU_CYCLE_1)
	s_and_not1_b32 vcc_lo, exec_lo, s0
	s_cbranch_vccnz .LBB64_190
; %bb.189:
	global_load_u8 v0, v[2:3], off
	s_waitcnt vmcnt(0)
	v_lshlrev_b32_e32 v1, 25, v0
	v_lshlrev_b16 v0, 8, v0
	s_delay_alu instid0(VALU_DEP_2) | instskip(NEXT) | instid1(VALU_DEP_2)
	v_lshrrev_b32_e32 v4, 4, v1
	v_and_or_b32 v5, 0x7f00, v0, 0.5
	v_cmp_gt_u32_e32 vcc_lo, 0x8000000, v1
	v_bfe_i32 v0, v0, 0, 16
	s_delay_alu instid0(VALU_DEP_4) | instskip(NEXT) | instid1(VALU_DEP_1)
	v_or_b32_e32 v4, 0x70000000, v4
	v_dual_add_f32 v5, -0.5, v5 :: v_dual_mul_f32 v4, 0x7800000, v4
	s_delay_alu instid0(VALU_DEP_1) | instskip(NEXT) | instid1(VALU_DEP_1)
	v_cndmask_b32_e32 v1, v4, v5, vcc_lo
	v_and_or_b32 v0, 0x80000000, v0, v1
	v_mov_b32_e32 v1, 0
.LBB64_190:
	s_mov_b32 s1, 0
	s_mov_b32 s0, -1
.LBB64_191:
	s_and_not1_b32 vcc_lo, exec_lo, s1
	s_cbranch_vccnz .LBB64_203
; %bb.192:
	v_cmp_lt_i16_e32 vcc_lo, 14, v25
	s_cbranch_vccz .LBB64_195
; %bb.193:
	v_cmp_eq_u16_e32 vcc_lo, 15, v25
	s_cbranch_vccz .LBB64_196
; %bb.194:
	global_load_u16 v0, v[2:3], off
	s_mov_b32 s0, -1
	s_mov_b32 s15, 0
	s_mov_b32 s1, 0
	s_waitcnt vmcnt(0)
	v_lshlrev_b32_e32 v0, 16, v0
	s_branch .LBB64_197
.LBB64_195:
	s_mov_b32 s2, -1
                                        ; implicit-def: $sgpr1
                                        ; implicit-def: $vgpr0
	s_branch .LBB64_198
.LBB64_196:
	s_mov_b32 s15, -1
                                        ; implicit-def: $sgpr1
                                        ; implicit-def: $vgpr0
.LBB64_197:
	s_mov_b32 s2, 0
.LBB64_198:
	s_delay_alu instid0(SALU_CYCLE_1)
	s_and_b32 vcc_lo, exec_lo, s2
	s_cbranch_vccz .LBB64_202
; %bb.199:
	v_cmp_eq_u16_e32 vcc_lo, 11, v25
	s_cbranch_vccz .LBB64_201
; %bb.200:
	global_load_u8 v0, v[2:3], off
	s_mov_b32 s1, 0
	s_mov_b32 s0, -1
	s_mov_b32 s15, 0
	s_waitcnt vmcnt(0)
	v_cmp_ne_u16_e32 vcc_lo, 0, v0
	v_cndmask_b32_e64 v0, 0, 1.0, vcc_lo
	s_branch .LBB64_202
.LBB64_201:
	s_mov_b32 s15, -1
                                        ; implicit-def: $sgpr1
                                        ; implicit-def: $vgpr0
.LBB64_202:
	v_mov_b32_e32 v1, s1
.LBB64_203:
	s_branch .LBB64_10
.LBB64_204:
	v_cmp_gt_i16_e32 vcc_lo, 5, v25
	s_cbranch_vccnz .LBB64_209
; %bb.205:
	v_cmp_gt_i16_e32 vcc_lo, 8, v25
	s_cbranch_vccnz .LBB64_210
; %bb.206:
	;; [unrolled: 3-line block ×3, first 2 shown]
	v_cmp_lt_i16_e32 vcc_lo, 9, v25
	s_cbranch_vccz .LBB64_212
; %bb.208:
	global_load_b128 v[4:7], v[2:3], off
	s_mov_b32 s0, 0
	s_waitcnt vmcnt(0)
	v_cvt_f32_f64_e32 v0, v[4:5]
	v_cvt_f32_f64_e32 v1, v[6:7]
	s_branch .LBB64_213
.LBB64_209:
                                        ; implicit-def: $vgpr1
	s_branch .LBB64_232
.LBB64_210:
	s_mov_b32 s0, -1
                                        ; implicit-def: $vgpr1
	s_branch .LBB64_219
.LBB64_211:
	s_mov_b32 s0, -1
                                        ; implicit-def: $vgpr1
	s_branch .LBB64_216
.LBB64_212:
	s_mov_b32 s0, -1
                                        ; implicit-def: $vgpr1
.LBB64_213:
	s_delay_alu instid0(SALU_CYCLE_1)
	s_and_not1_b32 vcc_lo, exec_lo, s0
	s_cbranch_vccnz .LBB64_215
; %bb.214:
	global_load_b64 v[0:1], v[2:3], off
.LBB64_215:
	s_mov_b32 s0, 0
.LBB64_216:
	s_delay_alu instid0(SALU_CYCLE_1)
	s_and_not1_b32 vcc_lo, exec_lo, s0
	s_cbranch_vccnz .LBB64_218
; %bb.217:
	global_load_b32 v0, v[2:3], off
	s_waitcnt vmcnt(0)
	v_lshrrev_b32_e32 v1, 16, v0
	v_cvt_f32_f16_e32 v0, v0
	s_delay_alu instid0(VALU_DEP_2)
	v_cvt_f32_f16_e32 v1, v1
.LBB64_218:
	s_mov_b32 s0, 0
.LBB64_219:
	s_delay_alu instid0(SALU_CYCLE_1)
	s_and_not1_b32 vcc_lo, exec_lo, s0
	s_cbranch_vccnz .LBB64_231
; %bb.220:
	v_cmp_gt_i16_e32 vcc_lo, 6, v25
	s_cbranch_vccnz .LBB64_223
; %bb.221:
	v_cmp_lt_i16_e32 vcc_lo, 6, v25
	s_cbranch_vccz .LBB64_224
; %bb.222:
	global_load_b64 v[0:1], v[2:3], off
	s_mov_b32 s1, 0
	s_mov_b32 s0, 0
	s_waitcnt vmcnt(0)
	v_cvt_f32_f64_e32 v0, v[0:1]
	s_branch .LBB64_225
.LBB64_223:
	s_mov_b32 s1, -1
                                        ; implicit-def: $sgpr0
                                        ; implicit-def: $vgpr0
	s_branch .LBB64_228
.LBB64_224:
	s_mov_b32 s1, -1
                                        ; implicit-def: $sgpr0
                                        ; implicit-def: $vgpr0
.LBB64_225:
	s_delay_alu instid0(SALU_CYCLE_1)
	s_and_not1_b32 vcc_lo, exec_lo, s1
	s_cbranch_vccnz .LBB64_227
; %bb.226:
	global_load_b32 v0, v[2:3], off
	s_mov_b32 s0, 0
.LBB64_227:
	s_mov_b32 s1, 0
.LBB64_228:
	s_delay_alu instid0(SALU_CYCLE_1)
	s_and_not1_b32 vcc_lo, exec_lo, s1
	s_cbranch_vccnz .LBB64_230
; %bb.229:
	global_load_u16 v0, v[2:3], off
	s_mov_b32 s0, 0
	s_waitcnt vmcnt(0)
	v_cvt_f32_f16_e32 v0, v0
.LBB64_230:
	s_waitcnt vmcnt(0)
	v_mov_b32_e32 v1, s0
.LBB64_231:
	s_cbranch_execnz .LBB64_252
.LBB64_232:
	v_cmp_gt_i16_e32 vcc_lo, 2, v25
	s_cbranch_vccnz .LBB64_236
; %bb.233:
	v_cmp_gt_i16_e32 vcc_lo, 3, v25
	s_cbranch_vccnz .LBB64_237
; %bb.234:
	v_cmp_lt_i16_e32 vcc_lo, 3, v25
	s_cbranch_vccz .LBB64_238
; %bb.235:
	global_load_b64 v[0:1], v[2:3], off
	s_mov_b32 s1, 0
	s_mov_b32 s0, 0
	s_waitcnt vmcnt(0)
	v_xor_b32_e32 v4, v0, v1
	v_cls_i32_e32 v5, v1
	s_delay_alu instid0(VALU_DEP_2) | instskip(NEXT) | instid1(VALU_DEP_2)
	v_ashrrev_i32_e32 v4, 31, v4
	v_add_nc_u32_e32 v5, -1, v5
	s_delay_alu instid0(VALU_DEP_2) | instskip(NEXT) | instid1(VALU_DEP_1)
	v_add_nc_u32_e32 v4, 32, v4
	v_min_u32_e32 v4, v5, v4
	s_delay_alu instid0(VALU_DEP_1) | instskip(NEXT) | instid1(VALU_DEP_1)
	v_lshlrev_b64 v[0:1], v4, v[0:1]
	v_min_u32_e32 v0, 1, v0
	s_delay_alu instid0(VALU_DEP_1) | instskip(SKIP_1) | instid1(VALU_DEP_2)
	v_or_b32_e32 v0, v1, v0
	v_sub_nc_u32_e32 v1, 32, v4
	v_cvt_f32_i32_e32 v0, v0
	s_delay_alu instid0(VALU_DEP_1)
	v_ldexp_f32 v0, v0, v1
	s_branch .LBB64_239
.LBB64_236:
	s_mov_b32 s1, -1
                                        ; implicit-def: $sgpr0
                                        ; implicit-def: $vgpr0
	s_branch .LBB64_245
.LBB64_237:
	s_mov_b32 s1, -1
                                        ; implicit-def: $sgpr0
                                        ; implicit-def: $vgpr0
	s_branch .LBB64_242
.LBB64_238:
	s_mov_b32 s1, -1
                                        ; implicit-def: $sgpr0
                                        ; implicit-def: $vgpr0
.LBB64_239:
	s_delay_alu instid0(SALU_CYCLE_1)
	s_and_not1_b32 vcc_lo, exec_lo, s1
	s_cbranch_vccnz .LBB64_241
; %bb.240:
	global_load_b32 v0, v[2:3], off
	s_mov_b32 s0, 0
	s_waitcnt vmcnt(0)
	v_cvt_f32_i32_e32 v0, v0
.LBB64_241:
	s_mov_b32 s1, 0
.LBB64_242:
	s_delay_alu instid0(SALU_CYCLE_1)
	s_and_not1_b32 vcc_lo, exec_lo, s1
	s_cbranch_vccnz .LBB64_244
; %bb.243:
	global_load_i16 v0, v[2:3], off
	s_mov_b32 s0, 0
	s_waitcnt vmcnt(0)
	v_cvt_f32_i32_e32 v0, v0
.LBB64_244:
	s_mov_b32 s1, 0
.LBB64_245:
	s_delay_alu instid0(SALU_CYCLE_1)
	s_and_not1_b32 vcc_lo, exec_lo, s1
	s_cbranch_vccnz .LBB64_251
; %bb.246:
	v_cmp_lt_i16_e32 vcc_lo, 0, v25
	s_mov_b32 s1, 0
	s_cbranch_vccz .LBB64_248
; %bb.247:
	global_load_i8 v0, v[2:3], off
	s_mov_b32 s0, 0
	s_waitcnt vmcnt(0)
	v_cvt_f32_i32_e32 v0, v0
	s_branch .LBB64_249
.LBB64_248:
	s_mov_b32 s1, -1
                                        ; implicit-def: $sgpr0
                                        ; implicit-def: $vgpr0
.LBB64_249:
	s_delay_alu instid0(SALU_CYCLE_1)
	s_and_not1_b32 vcc_lo, exec_lo, s1
	s_cbranch_vccnz .LBB64_251
; %bb.250:
	global_load_u8 v0, v[2:3], off
	s_mov_b32 s0, 0
	s_waitcnt vmcnt(0)
	v_cvt_f32_ubyte0_e32 v0, v0
.LBB64_251:
	s_waitcnt vmcnt(0)
	v_mov_b32_e32 v1, s0
.LBB64_252:
	s_branch .LBB64_11
.LBB64_253:
	s_mov_b32 s0, 0
.LBB64_254:
	s_mov_b32 s1, 0
                                        ; implicit-def: $vgpr24
.LBB64_255:
	s_and_b32 s13, s0, exec_lo
	s_and_b32 s15, s15, exec_lo
	s_or_not1_b32 s1, s1, exec_lo
.LBB64_256:
	s_or_b32 exec_lo, exec_lo, s20
	s_mov_b32 s2, 0
	s_mov_b32 s0, 0
                                        ; implicit-def: $vgpr3_vgpr4
                                        ; implicit-def: $vgpr2
	s_and_saveexec_b32 s20, s1
	s_cbranch_execz .LBB64_877
; %bb.257:
	s_mov_b32 s3, -1
	s_mov_b32 s21, s15
	s_mov_b32 s22, s13
	s_mov_b32 s23, exec_lo
	v_cmpx_gt_i32_e64 s14, v24
	s_cbranch_execz .LBB64_521
; %bb.258:
	s_waitcnt vmcnt(0)
	v_mul_lo_u32 v0, v24, s11
	v_cmp_gt_i16_e32 vcc_lo, 11, v25
	s_delay_alu instid0(VALU_DEP_2) | instskip(SKIP_1) | instid1(VALU_DEP_1)
	v_ashrrev_i32_e32 v1, 31, v0
	v_add_co_u32 v2, s0, s18, v0
	v_add_co_ci_u32_e64 v3, s0, s19, v1, s0
	s_cbranch_vccnz .LBB64_265
; %bb.259:
	v_cmp_lt_i16_e32 vcc_lo, 25, v25
	s_cbranch_vccz .LBB64_274
; %bb.260:
	v_cmp_lt_i16_e32 vcc_lo, 28, v25
	s_cbranch_vccz .LBB64_276
; %bb.261:
	v_cmp_lt_i16_e32 vcc_lo, 43, v25
	s_cbranch_vccz .LBB64_278
; %bb.262:
	v_cmp_lt_i16_e32 vcc_lo, 45, v25
	s_cbranch_vccz .LBB64_282
; %bb.263:
	v_cmp_eq_u16_e32 vcc_lo, 46, v25
	s_mov_b32 s1, 0
	s_cbranch_vccz .LBB64_286
; %bb.264:
	global_load_b32 v0, v[2:3], off
	s_mov_b32 s0, -1
	s_mov_b32 s21, 0
	s_waitcnt vmcnt(0)
	v_and_b32_e32 v1, 0xffff0000, v0
	v_lshlrev_b32_e32 v0, 16, v0
	s_branch .LBB64_288
.LBB64_265:
	s_mov_b32 s0, 0
	s_mov_b32 s21, s15
                                        ; implicit-def: $vgpr1
	s_cbranch_execnz .LBB64_468
.LBB64_266:
	s_and_not1_b32 vcc_lo, exec_lo, s0
	s_cbranch_vccnz .LBB64_518
.LBB64_267:
	s_getpc_b64 s[0:1]
	s_add_u32 s0, s0, _ZN16c10_complex_math3expIfEEN3c107complexIT_EERKS4_@rel32@lo+4
	s_addc_u32 s1, s1, _ZN16c10_complex_math3expIfEEN3c107complexIT_EERKS4_@rel32@hi+12
	s_delay_alu instid0(SALU_CYCLE_1) | instskip(SKIP_2) | instid1(VALU_DEP_1)
	s_swappc_b64 s[30:31], s[0:1]
	v_mul_lo_u32 v2, v24, s10
	v_and_b32_e32 v4, 0xff, v23
	v_cmp_gt_i16_e32 vcc_lo, 11, v4
	s_delay_alu instid0(VALU_DEP_3) | instskip(SKIP_1) | instid1(VALU_DEP_1)
	v_ashrrev_i32_e32 v3, 31, v2
	v_add_co_u32 v2, s0, s16, v2
	v_add_co_ci_u32_e64 v3, s0, s17, v3, s0
	s_cbranch_vccnz .LBB64_275
; %bb.268:
	v_cmp_lt_i16_e32 vcc_lo, 25, v4
	s_cbranch_vccz .LBB64_277
; %bb.269:
	v_cmp_lt_i16_e32 vcc_lo, 28, v4
	s_cbranch_vccz .LBB64_279
	;; [unrolled: 3-line block ×4, first 2 shown]
; %bb.272:
	v_cmp_eq_u16_e32 vcc_lo, 46, v4
	s_mov_b32 s2, 0
	s_mov_b32 s0, -1
	s_mov_b32 s1, 0
	s_cbranch_vccz .LBB64_292
; %bb.273:
	v_bfe_u32 v5, v1, 16, 1
	v_bfe_u32 v6, v0, 16, 1
	v_cmp_o_f32_e32 vcc_lo, v1, v1
	s_mov_b32 s1, -1
	s_mov_b32 s0, 0
	v_add3_u32 v5, v1, v5, 0x7fff
	v_add3_u32 v6, v0, v6, 0x7fff
	s_delay_alu instid0(VALU_DEP_2) | instskip(NEXT) | instid1(VALU_DEP_2)
	v_and_b32_e32 v5, 0xffff0000, v5
	v_lshrrev_b32_e32 v6, 16, v6
	s_delay_alu instid0(VALU_DEP_2) | instskip(SKIP_1) | instid1(VALU_DEP_3)
	v_cndmask_b32_e32 v5, 0x7fc00000, v5, vcc_lo
	v_cmp_o_f32_e32 vcc_lo, v0, v0
	v_cndmask_b32_e32 v6, 0x7fc0, v6, vcc_lo
	s_delay_alu instid0(VALU_DEP_1)
	v_or_b32_e32 v5, v5, v6
	global_store_b32 v[2:3], v5, off
	s_branch .LBB64_292
.LBB64_274:
	s_mov_b32 s1, -1
	s_mov_b32 s0, 0
	s_mov_b32 s21, s15
                                        ; implicit-def: $vgpr1
	s_branch .LBB64_433
.LBB64_275:
	s_mov_b32 s2, -1
	s_mov_b32 s1, 0
	s_mov_b32 s0, s13
	s_branch .LBB64_361
.LBB64_276:
	s_mov_b32 s1, -1
	s_mov_b32 s0, 0
	s_mov_b32 s21, s15
                                        ; implicit-def: $vgpr1
	s_branch .LBB64_412
.LBB64_277:
	s_mov_b32 s2, -1
	s_mov_b32 s1, 0
	s_mov_b32 s0, s13
	s_branch .LBB64_319
.LBB64_278:
	s_mov_b32 s1, -1
	s_mov_b32 s0, 0
	s_mov_b32 s21, s15
                                        ; implicit-def: $vgpr1
	s_branch .LBB64_406
.LBB64_279:
	s_mov_b32 s2, -1
	s_mov_b32 s1, 0
	s_mov_b32 s0, s13
	s_branch .LBB64_302
.LBB64_280:
	s_or_saveexec_b32 s3, s3
                                        ; implicit-def: $sgpr4
	s_delay_alu instid0(SALU_CYCLE_1)
	s_xor_b32 exec_lo, exec_lo, s3
	s_cbranch_execz .LBB64_53
.LBB64_281:
	v_add_f32_e64 v5, 0x46000000, |v0|
	s_and_not1_b32 s2, s2, exec_lo
	s_mov_b32 s4, 0
	s_delay_alu instid0(VALU_DEP_1) | instskip(NEXT) | instid1(VALU_DEP_1)
	v_and_b32_e32 v5, 0xff, v5
	v_cmp_ne_u32_e32 vcc_lo, 0, v5
	s_and_b32 s5, vcc_lo, exec_lo
	s_delay_alu instid0(SALU_CYCLE_1)
	s_or_b32 s2, s2, s5
	s_or_b32 exec_lo, exec_lo, s3
	v_mov_b32_e32 v6, s4
	s_and_saveexec_b32 s3, s2
	s_cbranch_execnz .LBB64_54
	s_branch .LBB64_55
.LBB64_282:
	s_mov_b32 s1, -1
	s_mov_b32 s0, 0
	s_mov_b32 s21, s15
	s_branch .LBB64_287
.LBB64_283:
	s_mov_b32 s2, -1
	s_mov_b32 s1, 0
	s_mov_b32 s0, s13
	s_branch .LBB64_298
.LBB64_284:
	s_or_saveexec_b32 s3, s3
                                        ; implicit-def: $sgpr4
	s_delay_alu instid0(SALU_CYCLE_1)
	s_xor_b32 exec_lo, exec_lo, s3
	s_cbranch_execz .LBB64_66
.LBB64_285:
	v_add_f32_e64 v5, 0x42800000, |v0|
	s_and_not1_b32 s2, s2, exec_lo
	s_mov_b32 s4, 0
	s_delay_alu instid0(VALU_DEP_1) | instskip(NEXT) | instid1(VALU_DEP_1)
	v_and_b32_e32 v5, 0xff, v5
	v_cmp_ne_u32_e32 vcc_lo, 0, v5
	s_and_b32 s5, vcc_lo, exec_lo
	s_delay_alu instid0(SALU_CYCLE_1)
	s_or_b32 s2, s2, s5
	s_or_b32 exec_lo, exec_lo, s3
	v_mov_b32_e32 v6, s4
	s_and_saveexec_b32 s3, s2
	s_cbranch_execnz .LBB64_67
	s_branch .LBB64_68
.LBB64_286:
	s_mov_b32 s21, -1
	s_mov_b32 s0, 0
.LBB64_287:
                                        ; implicit-def: $vgpr1
.LBB64_288:
	s_and_b32 vcc_lo, exec_lo, s1
	s_cbranch_vccz .LBB64_405
; %bb.289:
	v_cmp_eq_u16_e32 vcc_lo, 44, v25
	s_cbranch_vccz .LBB64_403
; %bb.290:
	global_load_u8 v0, v[2:3], off
	s_mov_b32 s21, 0
	s_mov_b32 s0, -1
	s_waitcnt vmcnt(0)
	v_lshlrev_b32_e32 v1, 23, v0
	v_cmp_ne_u32_e32 vcc_lo, 0xff, v0
	s_delay_alu instid0(VALU_DEP_2) | instskip(SKIP_1) | instid1(VALU_DEP_2)
	v_cndmask_b32_e32 v1, 0x7f800001, v1, vcc_lo
	v_cmp_ne_u32_e32 vcc_lo, 0, v0
	v_cndmask_b32_e32 v0, 0x400000, v1, vcc_lo
	s_branch .LBB64_404
.LBB64_291:
	s_mov_b32 s2, -1
	s_mov_b32 s1, 0
	s_mov_b32 s0, s13
.LBB64_292:
	s_and_b32 vcc_lo, exec_lo, s2
	s_cbranch_vccz .LBB64_297
; %bb.293:
	v_cmp_eq_u16_e32 vcc_lo, 44, v4
	s_mov_b32 s0, -1
	s_cbranch_vccz .LBB64_297
; %bb.294:
	v_bfe_u32 v6, v0, 23, 8
	v_mov_b32_e32 v5, 0xff
	s_mov_b32 s1, exec_lo
	s_delay_alu instid0(VALU_DEP_2)
	v_cmpx_ne_u32_e32 0xff, v6
; %bb.295:
	v_and_b32_e32 v5, 0x400000, v0
	v_and_or_b32 v6, 0x3fffff, v0, v6
	s_delay_alu instid0(VALU_DEP_2) | instskip(NEXT) | instid1(VALU_DEP_2)
	v_cmp_ne_u32_e32 vcc_lo, 0, v5
	v_cmp_ne_u32_e64 s0, 0, v6
	v_lshrrev_b32_e32 v5, 23, v0
	s_delay_alu instid0(VALU_DEP_2) | instskip(NEXT) | instid1(SALU_CYCLE_1)
	s_and_b32 s0, vcc_lo, s0
	v_cndmask_b32_e64 v6, 0, 1, s0
	s_delay_alu instid0(VALU_DEP_1)
	v_add_nc_u32_e32 v5, v5, v6
; %bb.296:
	s_or_b32 exec_lo, exec_lo, s1
	s_mov_b32 s1, -1
	s_mov_b32 s0, 0
	global_store_b8 v[2:3], v5, off
.LBB64_297:
	s_mov_b32 s2, 0
.LBB64_298:
	s_delay_alu instid0(SALU_CYCLE_1)
	s_and_b32 vcc_lo, exec_lo, s2
	s_cbranch_vccz .LBB64_301
; %bb.299:
	v_cmp_eq_u16_e32 vcc_lo, 29, v4
	s_mov_b32 s0, -1
	s_cbranch_vccz .LBB64_301
; %bb.300:
	v_trunc_f32_e32 v5, v0
	s_mov_b32 s1, -1
	s_mov_b32 s0, 0
	s_mov_b32 s2, 0
	s_delay_alu instid0(VALU_DEP_1) | instskip(NEXT) | instid1(VALU_DEP_1)
	v_mul_f32_e32 v6, 0x2f800000, v5
	v_floor_f32_e32 v6, v6
	s_delay_alu instid0(VALU_DEP_1) | instskip(SKIP_1) | instid1(VALU_DEP_2)
	v_fmamk_f32 v5, v6, 0xcf800000, v5
	v_cvt_u32_f32_e32 v6, v6
	v_cvt_u32_f32_e32 v5, v5
	global_store_b64 v[2:3], v[5:6], off
	s_branch .LBB64_302
.LBB64_301:
	s_mov_b32 s2, 0
.LBB64_302:
	s_delay_alu instid0(SALU_CYCLE_1)
	s_and_b32 vcc_lo, exec_lo, s2
	s_cbranch_vccz .LBB64_318
; %bb.303:
	v_cmp_gt_i16_e32 vcc_lo, 27, v4
	s_mov_b32 s1, -1
	s_cbranch_vccnz .LBB64_309
; %bb.304:
	v_cmp_lt_i16_e32 vcc_lo, 27, v4
	s_cbranch_vccz .LBB64_306
; %bb.305:
	v_cvt_u32_f32_e32 v5, v0
	s_mov_b32 s1, 0
	global_store_b32 v[2:3], v5, off
.LBB64_306:
	s_and_not1_b32 vcc_lo, exec_lo, s1
	s_cbranch_vccnz .LBB64_308
; %bb.307:
	v_cvt_u32_f32_e32 v5, v0
	global_store_b16 v[2:3], v5, off
.LBB64_308:
	s_mov_b32 s1, 0
.LBB64_309:
	s_delay_alu instid0(SALU_CYCLE_1)
	s_and_not1_b32 vcc_lo, exec_lo, s1
	s_cbranch_vccnz .LBB64_317
; %bb.310:
	v_and_b32_e32 v5, 0x7fffffff, v0
	v_mov_b32_e32 v6, 0x80
	s_mov_b32 s1, exec_lo
	s_delay_alu instid0(VALU_DEP_2)
	v_cmpx_gt_u32_e32 0x43800000, v5
	s_cbranch_execz .LBB64_316
; %bb.311:
	v_cmp_lt_u32_e32 vcc_lo, 0x3bffffff, v5
	s_mov_b32 s2, 0
                                        ; implicit-def: $vgpr5
	s_and_saveexec_b32 s3, vcc_lo
	s_delay_alu instid0(SALU_CYCLE_1)
	s_xor_b32 s3, exec_lo, s3
	s_cbranch_execz .LBB64_534
; %bb.312:
	v_bfe_u32 v5, v0, 20, 1
	s_mov_b32 s2, exec_lo
	s_delay_alu instid0(VALU_DEP_1) | instskip(NEXT) | instid1(VALU_DEP_1)
	v_add3_u32 v5, v0, v5, 0x487ffff
	v_lshrrev_b32_e32 v5, 20, v5
	s_or_saveexec_b32 s3, s3
                                        ; implicit-def: $sgpr4
	s_delay_alu instid0(SALU_CYCLE_1)
	s_xor_b32 exec_lo, exec_lo, s3
	s_cbranch_execnz .LBB64_535
.LBB64_313:
	s_or_b32 exec_lo, exec_lo, s3
	v_mov_b32_e32 v6, s4
	s_and_saveexec_b32 s3, s2
.LBB64_314:
	v_lshrrev_b32_e32 v6, 24, v0
	s_delay_alu instid0(VALU_DEP_1)
	v_and_or_b32 v6, 0x80, v6, v5
.LBB64_315:
	s_or_b32 exec_lo, exec_lo, s3
.LBB64_316:
	s_delay_alu instid0(SALU_CYCLE_1)
	s_or_b32 exec_lo, exec_lo, s1
	global_store_b8 v[2:3], v6, off
.LBB64_317:
	s_mov_b32 s1, -1
.LBB64_318:
	s_mov_b32 s2, 0
.LBB64_319:
	s_delay_alu instid0(SALU_CYCLE_1)
	s_and_b32 vcc_lo, exec_lo, s2
	s_cbranch_vccz .LBB64_360
; %bb.320:
	v_cmp_lt_i16_e32 vcc_lo, 22, v4
	s_mov_b32 s2, -1
	s_cbranch_vccz .LBB64_352
; %bb.321:
	v_cmp_gt_i16_e32 vcc_lo, 24, v4
	s_mov_b32 s1, -1
	s_cbranch_vccnz .LBB64_341
; %bb.322:
	v_cmp_lt_i16_e32 vcc_lo, 24, v4
	s_cbranch_vccz .LBB64_330
; %bb.323:
	v_and_b32_e32 v5, 0x7fffffff, v0
	v_mov_b32_e32 v6, 0x80
	s_mov_b32 s1, exec_lo
	s_delay_alu instid0(VALU_DEP_2)
	v_cmpx_gt_u32_e32 0x47800000, v5
	s_cbranch_execz .LBB64_329
; %bb.324:
	v_cmp_lt_u32_e32 vcc_lo, 0x37ffffff, v5
	s_mov_b32 s2, 0
                                        ; implicit-def: $vgpr5
	s_and_saveexec_b32 s3, vcc_lo
	s_delay_alu instid0(SALU_CYCLE_1)
	s_xor_b32 s3, exec_lo, s3
	s_cbranch_execz .LBB64_537
; %bb.325:
	v_bfe_u32 v5, v0, 21, 1
	s_mov_b32 s2, exec_lo
	s_delay_alu instid0(VALU_DEP_1) | instskip(NEXT) | instid1(VALU_DEP_1)
	v_add3_u32 v5, v0, v5, 0x88fffff
	v_lshrrev_b32_e32 v5, 21, v5
	s_or_saveexec_b32 s3, s3
                                        ; implicit-def: $sgpr4
	s_delay_alu instid0(SALU_CYCLE_1)
	s_xor_b32 exec_lo, exec_lo, s3
	s_cbranch_execnz .LBB64_538
.LBB64_326:
	s_or_b32 exec_lo, exec_lo, s3
	v_mov_b32_e32 v6, s4
	s_and_saveexec_b32 s3, s2
.LBB64_327:
	v_lshrrev_b32_e32 v6, 24, v0
	s_delay_alu instid0(VALU_DEP_1)
	v_and_or_b32 v6, 0x80, v6, v5
.LBB64_328:
	s_or_b32 exec_lo, exec_lo, s3
.LBB64_329:
	s_delay_alu instid0(SALU_CYCLE_1)
	s_or_b32 exec_lo, exec_lo, s1
	s_mov_b32 s1, 0
	global_store_b8 v[2:3], v6, off
.LBB64_330:
	s_and_b32 vcc_lo, exec_lo, s1
	s_cbranch_vccz .LBB64_340
; %bb.331:
	v_and_b32_e32 v6, 0x7fffffff, v0
	s_mov_b32 s1, exec_lo
                                        ; implicit-def: $vgpr5
	s_delay_alu instid0(VALU_DEP_1)
	v_cmpx_gt_u32_e32 0x43f00000, v6
	s_xor_b32 s1, exec_lo, s1
	s_cbranch_execz .LBB64_337
; %bb.332:
	s_mov_b32 s2, exec_lo
                                        ; implicit-def: $vgpr5
	v_cmpx_lt_u32_e32 0x3c7fffff, v6
	s_xor_b32 s2, exec_lo, s2
; %bb.333:
	v_bfe_u32 v5, v0, 20, 1
	s_delay_alu instid0(VALU_DEP_1) | instskip(NEXT) | instid1(VALU_DEP_1)
	v_add3_u32 v5, v0, v5, 0x407ffff
	v_and_b32_e32 v6, 0xff00000, v5
	v_lshrrev_b32_e32 v5, 20, v5
	s_delay_alu instid0(VALU_DEP_2) | instskip(NEXT) | instid1(VALU_DEP_2)
	v_cmp_ne_u32_e32 vcc_lo, 0x7f00000, v6
	v_cndmask_b32_e32 v5, 0x7e, v5, vcc_lo
; %bb.334:
	s_and_not1_saveexec_b32 s2, s2
; %bb.335:
	v_add_f32_e64 v5, 0x46800000, |v0|
; %bb.336:
	s_or_b32 exec_lo, exec_lo, s2
                                        ; implicit-def: $vgpr6
.LBB64_337:
	s_and_not1_saveexec_b32 s1, s1
; %bb.338:
	v_mov_b32_e32 v5, 0x7f
	v_cmp_lt_u32_e32 vcc_lo, 0x7f800000, v6
	s_delay_alu instid0(VALU_DEP_2)
	v_cndmask_b32_e32 v5, 0x7e, v5, vcc_lo
; %bb.339:
	s_or_b32 exec_lo, exec_lo, s1
	v_lshrrev_b32_e32 v6, 24, v0
	s_delay_alu instid0(VALU_DEP_1)
	v_and_or_b32 v5, 0x80, v6, v5
	global_store_b8 v[2:3], v5, off
.LBB64_340:
	s_mov_b32 s1, 0
.LBB64_341:
	s_delay_alu instid0(SALU_CYCLE_1)
	s_and_not1_b32 vcc_lo, exec_lo, s1
	s_cbranch_vccnz .LBB64_351
; %bb.342:
	v_and_b32_e32 v6, 0x7fffffff, v0
	s_mov_b32 s1, exec_lo
                                        ; implicit-def: $vgpr5
	s_delay_alu instid0(VALU_DEP_1)
	v_cmpx_gt_u32_e32 0x47800000, v6
	s_xor_b32 s1, exec_lo, s1
	s_cbranch_execz .LBB64_348
; %bb.343:
	s_mov_b32 s2, exec_lo
                                        ; implicit-def: $vgpr5
	v_cmpx_lt_u32_e32 0x387fffff, v6
	s_xor_b32 s2, exec_lo, s2
; %bb.344:
	v_bfe_u32 v5, v0, 21, 1
	s_delay_alu instid0(VALU_DEP_1) | instskip(NEXT) | instid1(VALU_DEP_1)
	v_add3_u32 v5, v0, v5, 0x80fffff
	v_lshrrev_b32_e32 v5, 21, v5
; %bb.345:
	s_and_not1_saveexec_b32 s2, s2
; %bb.346:
	v_add_f32_e64 v5, 0x43000000, |v0|
; %bb.347:
	s_or_b32 exec_lo, exec_lo, s2
                                        ; implicit-def: $vgpr6
.LBB64_348:
	s_and_not1_saveexec_b32 s1, s1
; %bb.349:
	v_mov_b32_e32 v5, 0x7f
	v_cmp_lt_u32_e32 vcc_lo, 0x7f800000, v6
	s_delay_alu instid0(VALU_DEP_2)
	v_cndmask_b32_e32 v5, 0x7c, v5, vcc_lo
; %bb.350:
	s_or_b32 exec_lo, exec_lo, s1
	v_lshrrev_b32_e32 v6, 24, v0
	s_delay_alu instid0(VALU_DEP_1)
	v_and_or_b32 v5, 0x80, v6, v5
	global_store_b8 v[2:3], v5, off
.LBB64_351:
	s_mov_b32 s2, 0
	s_mov_b32 s1, -1
.LBB64_352:
	s_and_not1_b32 vcc_lo, exec_lo, s2
	s_cbranch_vccnz .LBB64_360
; %bb.353:
	v_cmp_lt_i16_e32 vcc_lo, 14, v4
	s_mov_b32 s2, -1
	s_cbranch_vccz .LBB64_357
; %bb.354:
	v_cmp_eq_u16_e32 vcc_lo, 15, v4
	s_mov_b32 s0, -1
	s_cbranch_vccz .LBB64_356
; %bb.355:
	v_bfe_u32 v5, v0, 16, 1
	v_cmp_o_f32_e32 vcc_lo, v0, v0
	s_mov_b32 s1, -1
	s_mov_b32 s0, 0
	s_delay_alu instid0(VALU_DEP_2) | instskip(NEXT) | instid1(VALU_DEP_1)
	v_add3_u32 v5, v0, v5, 0x7fff
	v_lshrrev_b32_e32 v5, 16, v5
	s_delay_alu instid0(VALU_DEP_1)
	v_cndmask_b32_e32 v5, 0x7fc0, v5, vcc_lo
	global_store_b16 v[2:3], v5, off
.LBB64_356:
	s_mov_b32 s2, 0
.LBB64_357:
	s_delay_alu instid0(SALU_CYCLE_1)
	s_and_b32 vcc_lo, exec_lo, s2
	s_cbranch_vccz .LBB64_360
; %bb.358:
	v_cmp_eq_u16_e32 vcc_lo, 11, v4
	s_mov_b32 s0, -1
	s_cbranch_vccz .LBB64_360
; %bb.359:
	v_or_b32_e32 v5, v0, v1
	s_mov_b32 s0, 0
	s_mov_b32 s1, -1
	s_delay_alu instid0(VALU_DEP_1) | instskip(NEXT) | instid1(VALU_DEP_1)
	v_and_b32_e32 v5, 0x7fffffff, v5
	v_cmp_ne_u32_e32 vcc_lo, 0, v5
	v_cndmask_b32_e64 v5, 0, 1, vcc_lo
	global_store_b8 v[2:3], v5, off
.LBB64_360:
	s_mov_b32 s2, 0
.LBB64_361:
	s_delay_alu instid0(SALU_CYCLE_1)
	s_and_b32 vcc_lo, exec_lo, s2
	s_cbranch_vccz .LBB64_400
; %bb.362:
	v_cmp_gt_i16_e32 vcc_lo, 5, v4
	s_mov_b32 s1, -1
	s_cbranch_vccnz .LBB64_383
; %bb.363:
	v_cmp_gt_i16_e32 vcc_lo, 8, v4
	s_cbranch_vccnz .LBB64_373
; %bb.364:
	v_cmp_gt_i16_e32 vcc_lo, 9, v4
	s_cbranch_vccnz .LBB64_370
; %bb.365:
	v_cmp_lt_i16_e32 vcc_lo, 9, v4
	s_cbranch_vccz .LBB64_367
; %bb.366:
	v_cvt_f64_f32_e32 v[5:6], v0
	v_cvt_f64_f32_e32 v[7:8], v1
	s_mov_b32 s1, 0
	global_store_b128 v[2:3], v[5:8], off
.LBB64_367:
	s_and_not1_b32 vcc_lo, exec_lo, s1
	s_cbranch_vccnz .LBB64_369
; %bb.368:
	global_store_b64 v[2:3], v[0:1], off
.LBB64_369:
	s_mov_b32 s1, 0
.LBB64_370:
	s_delay_alu instid0(SALU_CYCLE_1)
	s_and_not1_b32 vcc_lo, exec_lo, s1
	s_cbranch_vccnz .LBB64_372
; %bb.371:
	v_cvt_f16_f32_e32 v1, v1
	v_cvt_f16_f32_e32 v5, v0
	s_delay_alu instid0(VALU_DEP_2) | instskip(NEXT) | instid1(VALU_DEP_2)
	v_lshlrev_b32_e32 v1, 16, v1
	v_and_b32_e32 v5, 0xffff, v5
	s_delay_alu instid0(VALU_DEP_1)
	v_or_b32_e32 v1, v1, v5
	global_store_b32 v[2:3], v1, off
.LBB64_372:
	s_mov_b32 s1, 0
.LBB64_373:
	s_delay_alu instid0(SALU_CYCLE_1)
	s_and_not1_b32 vcc_lo, exec_lo, s1
	s_cbranch_vccnz .LBB64_382
; %bb.374:
	v_cmp_gt_i16_e32 vcc_lo, 6, v4
	s_mov_b32 s1, -1
	s_cbranch_vccnz .LBB64_380
; %bb.375:
	v_cmp_lt_i16_e32 vcc_lo, 6, v4
	s_cbranch_vccz .LBB64_377
; %bb.376:
	v_cvt_f64_f32_e32 v[5:6], v0
	s_mov_b32 s1, 0
	global_store_b64 v[2:3], v[5:6], off
.LBB64_377:
	s_and_not1_b32 vcc_lo, exec_lo, s1
	s_cbranch_vccnz .LBB64_379
; %bb.378:
	global_store_b32 v[2:3], v0, off
.LBB64_379:
	s_mov_b32 s1, 0
.LBB64_380:
	s_delay_alu instid0(SALU_CYCLE_1)
	s_and_not1_b32 vcc_lo, exec_lo, s1
	s_cbranch_vccnz .LBB64_382
; %bb.381:
	v_cvt_f16_f32_e32 v1, v0
	global_store_b16 v[2:3], v1, off
.LBB64_382:
	s_mov_b32 s1, 0
.LBB64_383:
	s_delay_alu instid0(SALU_CYCLE_1)
	s_and_not1_b32 vcc_lo, exec_lo, s1
	s_cbranch_vccnz .LBB64_399
; %bb.384:
	v_cmp_gt_i16_e32 vcc_lo, 2, v4
	s_mov_b32 s1, -1
	s_cbranch_vccnz .LBB64_394
; %bb.385:
	v_cmp_gt_i16_e32 vcc_lo, 3, v4
	s_cbranch_vccnz .LBB64_391
; %bb.386:
	v_cmp_lt_i16_e32 vcc_lo, 3, v4
	s_cbranch_vccz .LBB64_388
; %bb.387:
	v_trunc_f32_e32 v1, v0
	s_mov_b32 s1, 0
	s_delay_alu instid0(VALU_DEP_1) | instskip(NEXT) | instid1(VALU_DEP_1)
	v_mul_f32_e64 v5, 0x2f800000, |v1|
	v_floor_f32_e32 v5, v5
	s_delay_alu instid0(VALU_DEP_1) | instskip(SKIP_2) | instid1(VALU_DEP_3)
	v_fma_f32 v6, 0xcf800000, v5, |v1|
	v_ashrrev_i32_e32 v1, 31, v1
	v_cvt_u32_f32_e32 v5, v5
	v_cvt_u32_f32_e32 v6, v6
	s_delay_alu instid0(VALU_DEP_2) | instskip(NEXT) | instid1(VALU_DEP_2)
	v_xor_b32_e32 v7, v5, v1
	v_xor_b32_e32 v6, v6, v1
	s_delay_alu instid0(VALU_DEP_1) | instskip(NEXT) | instid1(VALU_DEP_3)
	v_sub_co_u32 v5, vcc_lo, v6, v1
	v_sub_co_ci_u32_e32 v6, vcc_lo, v7, v1, vcc_lo
	global_store_b64 v[2:3], v[5:6], off
.LBB64_388:
	s_and_not1_b32 vcc_lo, exec_lo, s1
	s_cbranch_vccnz .LBB64_390
; %bb.389:
	v_cvt_i32_f32_e32 v1, v0
	global_store_b32 v[2:3], v1, off
.LBB64_390:
	s_mov_b32 s1, 0
.LBB64_391:
	s_delay_alu instid0(SALU_CYCLE_1)
	s_and_not1_b32 vcc_lo, exec_lo, s1
	s_cbranch_vccnz .LBB64_393
; %bb.392:
	v_cvt_i32_f32_e32 v1, v0
	global_store_b16 v[2:3], v1, off
.LBB64_393:
	s_mov_b32 s1, 0
.LBB64_394:
	s_delay_alu instid0(SALU_CYCLE_1)
	s_and_not1_b32 vcc_lo, exec_lo, s1
	s_cbranch_vccnz .LBB64_399
; %bb.395:
	v_cmp_lt_i16_e32 vcc_lo, 0, v4
	s_mov_b32 s1, -1
	s_cbranch_vccz .LBB64_397
; %bb.396:
	v_cvt_i32_f32_e32 v1, v0
	s_mov_b32 s1, 0
	global_store_b8 v[2:3], v1, off
.LBB64_397:
	s_and_not1_b32 vcc_lo, exec_lo, s1
	s_cbranch_vccnz .LBB64_399
; %bb.398:
	v_trunc_f32_e32 v0, v0
	s_delay_alu instid0(VALU_DEP_1) | instskip(NEXT) | instid1(VALU_DEP_1)
	v_mul_f32_e64 v1, 0x2f800000, |v0|
	v_floor_f32_e32 v1, v1
	s_delay_alu instid0(VALU_DEP_1) | instskip(SKIP_1) | instid1(VALU_DEP_2)
	v_fma_f32 v1, 0xcf800000, v1, |v0|
	v_ashrrev_i32_e32 v0, 31, v0
	v_cvt_u32_f32_e32 v1, v1
	s_delay_alu instid0(VALU_DEP_1) | instskip(NEXT) | instid1(VALU_DEP_1)
	v_xor_b32_e32 v1, v1, v0
	v_sub_nc_u32_e32 v0, v1, v0
	global_store_b8 v[2:3], v0, off
.LBB64_399:
	s_mov_b32 s1, -1
.LBB64_400:
	s_delay_alu instid0(SALU_CYCLE_1)
	s_and_not1_b32 vcc_lo, exec_lo, s1
	s_cbranch_vccnz .LBB64_402
; %bb.401:
	v_add_nc_u32_e32 v24, 0x80, v24
	s_mov_b32 s1, -1
	s_branch .LBB64_520
.LBB64_402:
	s_mov_b32 s1, 0
	s_branch .LBB64_519
.LBB64_403:
	s_mov_b32 s21, -1
                                        ; implicit-def: $vgpr0
.LBB64_404:
	s_delay_alu instid0(SALU_CYCLE_1)
	v_mov_b32_e32 v1, s21
.LBB64_405:
	s_mov_b32 s1, 0
.LBB64_406:
	s_delay_alu instid0(SALU_CYCLE_1)
	s_and_b32 vcc_lo, exec_lo, s1
	s_cbranch_vccz .LBB64_411
; %bb.407:
	v_cmp_eq_u16_e32 vcc_lo, 29, v25
	s_cbranch_vccz .LBB64_409
; %bb.408:
	global_load_b64 v[0:1], v[2:3], off
	s_mov_b32 s0, -1
	s_mov_b32 s21, 0
	s_mov_b32 s1, 0
	s_waitcnt vmcnt(0)
	v_clz_i32_u32_e32 v4, v1
	s_delay_alu instid0(VALU_DEP_1) | instskip(NEXT) | instid1(VALU_DEP_1)
	v_min_u32_e32 v4, 32, v4
	v_lshlrev_b64 v[0:1], v4, v[0:1]
	s_delay_alu instid0(VALU_DEP_1) | instskip(NEXT) | instid1(VALU_DEP_1)
	v_min_u32_e32 v0, 1, v0
	v_or_b32_e32 v0, v1, v0
	v_sub_nc_u32_e32 v1, 32, v4
	s_delay_alu instid0(VALU_DEP_2) | instskip(NEXT) | instid1(VALU_DEP_1)
	v_cvt_f32_u32_e32 v0, v0
	v_ldexp_f32 v0, v0, v1
	s_branch .LBB64_410
.LBB64_409:
	s_mov_b32 s21, -1
                                        ; implicit-def: $sgpr1
                                        ; implicit-def: $vgpr0
.LBB64_410:
	v_mov_b32_e32 v1, s1
.LBB64_411:
	s_mov_b32 s1, 0
.LBB64_412:
	s_delay_alu instid0(SALU_CYCLE_1)
	s_and_b32 vcc_lo, exec_lo, s1
	s_cbranch_vccz .LBB64_432
; %bb.413:
	v_cmp_gt_i16_e32 vcc_lo, 27, v25
	s_cbranch_vccnz .LBB64_416
; %bb.414:
	v_cmp_lt_i16_e32 vcc_lo, 27, v25
	s_cbranch_vccz .LBB64_417
; %bb.415:
	global_load_b32 v0, v[2:3], off
	s_mov_b32 s1, 0
	s_mov_b32 s0, 0
	s_waitcnt vmcnt(0)
	v_cvt_f32_u32_e32 v0, v0
	s_branch .LBB64_418
.LBB64_416:
	s_mov_b32 s1, -1
                                        ; implicit-def: $sgpr0
                                        ; implicit-def: $vgpr0
	s_branch .LBB64_421
.LBB64_417:
	s_mov_b32 s1, -1
                                        ; implicit-def: $sgpr0
                                        ; implicit-def: $vgpr0
.LBB64_418:
	s_delay_alu instid0(SALU_CYCLE_1)
	s_and_not1_b32 vcc_lo, exec_lo, s1
	s_cbranch_vccnz .LBB64_420
; %bb.419:
	global_load_u16 v0, v[2:3], off
	s_mov_b32 s0, 0
	s_waitcnt vmcnt(0)
	v_cvt_f32_u32_e32 v0, v0
.LBB64_420:
	s_mov_b32 s1, 0
.LBB64_421:
	v_mov_b32_e32 v1, s0
	s_and_not1_b32 vcc_lo, exec_lo, s1
	s_cbranch_vccnz .LBB64_431
; %bb.422:
	global_load_u8 v4, v[2:3], off
	s_mov_b32 s0, 0
	s_mov_b32 s3, exec_lo
                                        ; implicit-def: $sgpr2
                                        ; implicit-def: $sgpr1
	s_waitcnt vmcnt(0)
	v_cmpx_lt_i16_e32 0x7f, v4
	s_xor_b32 s3, exec_lo, s3
	s_cbranch_execz .LBB64_426
; %bb.423:
	s_mov_b32 s0, -1
	s_mov_b32 s4, exec_lo
                                        ; implicit-def: $sgpr2
                                        ; implicit-def: $sgpr1
	v_cmpx_eq_u16_e32 0x80, v4
; %bb.424:
	s_mov_b32 s1, 0x7f800001
	s_mov_b32 s2, 0
	s_xor_b32 s0, exec_lo, -1
; %bb.425:
	s_or_b32 exec_lo, exec_lo, s4
	s_delay_alu instid0(SALU_CYCLE_1)
	s_and_b32 s0, s0, exec_lo
.LBB64_426:
	s_or_saveexec_b32 s3, s3
	v_dual_mov_b32 v1, s2 :: v_dual_mov_b32 v0, s1
	s_xor_b32 exec_lo, exec_lo, s3
; %bb.427:
	v_cmp_ne_u16_e32 vcc_lo, 0, v4
	v_dual_mov_b32 v1, 0 :: v_dual_mov_b32 v0, 0
	s_and_not1_b32 s0, s0, exec_lo
	s_and_b32 s1, vcc_lo, exec_lo
	s_delay_alu instid0(SALU_CYCLE_1)
	s_or_b32 s0, s0, s1
; %bb.428:
	s_or_b32 exec_lo, exec_lo, s3
	s_and_saveexec_b32 s1, s0
	s_cbranch_execz .LBB64_430
; %bb.429:
	v_and_b32_e32 v0, 0xffff, v4
	v_lshlrev_b32_e32 v4, 24, v4
	s_delay_alu instid0(VALU_DEP_2) | instskip(NEXT) | instid1(VALU_DEP_2)
	v_and_b32_e32 v1, 7, v0
	v_and_b32_e32 v4, 0x80000000, v4
	s_delay_alu instid0(VALU_DEP_2) | instskip(NEXT) | instid1(VALU_DEP_1)
	v_clz_i32_u32_e32 v5, v1
	v_min_u32_e32 v5, 32, v5
	s_delay_alu instid0(VALU_DEP_1) | instskip(SKIP_1) | instid1(VALU_DEP_2)
	v_subrev_nc_u32_e32 v6, 28, v5
	v_sub_nc_u32_e32 v5, 29, v5
	v_lshlrev_b32_e32 v6, v6, v0
	v_bfe_u32 v0, v0, 3, 4
	s_delay_alu instid0(VALU_DEP_2) | instskip(NEXT) | instid1(VALU_DEP_2)
	v_and_b32_e32 v6, 7, v6
	v_cmp_eq_u32_e32 vcc_lo, 0, v0
	s_delay_alu instid0(VALU_DEP_2) | instskip(NEXT) | instid1(VALU_DEP_1)
	v_dual_cndmask_b32 v0, v0, v5 :: v_dual_cndmask_b32 v1, v1, v6
	v_lshl_add_u32 v0, v0, 23, 0x3b800000
	s_delay_alu instid0(VALU_DEP_2) | instskip(NEXT) | instid1(VALU_DEP_1)
	v_lshlrev_b32_e32 v1, 20, v1
	v_or3_b32 v0, v4, v0, v1
	v_mov_b32_e32 v1, 0
.LBB64_430:
	s_or_b32 exec_lo, exec_lo, s1
.LBB64_431:
	s_mov_b32 s0, -1
.LBB64_432:
	s_mov_b32 s1, 0
.LBB64_433:
	s_delay_alu instid0(SALU_CYCLE_1)
	s_and_b32 vcc_lo, exec_lo, s1
	s_cbranch_vccz .LBB64_467
; %bb.434:
	v_cmp_lt_i16_e32 vcc_lo, 22, v25
	s_cbranch_vccz .LBB64_446
; %bb.435:
	v_cmp_gt_i16_e32 vcc_lo, 24, v25
	s_cbranch_vccnz .LBB64_447
; %bb.436:
	v_cmp_lt_i16_e32 vcc_lo, 24, v25
	s_cbranch_vccz .LBB64_448
; %bb.437:
	global_load_u8 v4, v[2:3], off
	s_mov_b32 s0, 0
	s_mov_b32 s3, exec_lo
                                        ; implicit-def: $sgpr2
                                        ; implicit-def: $sgpr1
	s_waitcnt vmcnt(0)
	v_cmpx_lt_i16_e32 0x7f, v4
	s_xor_b32 s3, exec_lo, s3
	s_cbranch_execz .LBB64_441
; %bb.438:
	s_mov_b32 s0, -1
	s_mov_b32 s4, exec_lo
                                        ; implicit-def: $sgpr2
                                        ; implicit-def: $sgpr1
	v_cmpx_eq_u16_e32 0x80, v4
; %bb.439:
	s_mov_b32 s1, 0x7f800001
	s_mov_b32 s2, 0
	s_xor_b32 s0, exec_lo, -1
; %bb.440:
	s_or_b32 exec_lo, exec_lo, s4
	s_delay_alu instid0(SALU_CYCLE_1)
	s_and_b32 s0, s0, exec_lo
.LBB64_441:
	s_or_saveexec_b32 s3, s3
	v_dual_mov_b32 v1, s2 :: v_dual_mov_b32 v0, s1
	s_xor_b32 exec_lo, exec_lo, s3
; %bb.442:
	v_cmp_ne_u16_e32 vcc_lo, 0, v4
	v_dual_mov_b32 v1, 0 :: v_dual_mov_b32 v0, 0
	s_and_not1_b32 s0, s0, exec_lo
	s_and_b32 s1, vcc_lo, exec_lo
	s_delay_alu instid0(SALU_CYCLE_1)
	s_or_b32 s0, s0, s1
; %bb.443:
	s_or_b32 exec_lo, exec_lo, s3
	s_and_saveexec_b32 s1, s0
	s_cbranch_execz .LBB64_445
; %bb.444:
	v_and_b32_e32 v0, 0xffff, v4
	v_lshlrev_b32_e32 v4, 24, v4
	s_delay_alu instid0(VALU_DEP_2) | instskip(NEXT) | instid1(VALU_DEP_2)
	v_and_b32_e32 v1, 3, v0
	v_and_b32_e32 v4, 0x80000000, v4
	s_delay_alu instid0(VALU_DEP_2) | instskip(NEXT) | instid1(VALU_DEP_1)
	v_clz_i32_u32_e32 v5, v1
	v_min_u32_e32 v5, 32, v5
	s_delay_alu instid0(VALU_DEP_1) | instskip(SKIP_1) | instid1(VALU_DEP_2)
	v_subrev_nc_u32_e32 v6, 29, v5
	v_sub_nc_u32_e32 v5, 30, v5
	v_lshlrev_b32_e32 v6, v6, v0
	v_bfe_u32 v0, v0, 2, 5
	s_delay_alu instid0(VALU_DEP_2) | instskip(NEXT) | instid1(VALU_DEP_2)
	v_and_b32_e32 v6, 3, v6
	v_cmp_eq_u32_e32 vcc_lo, 0, v0
	s_delay_alu instid0(VALU_DEP_2) | instskip(NEXT) | instid1(VALU_DEP_1)
	v_dual_cndmask_b32 v0, v0, v5 :: v_dual_cndmask_b32 v1, v1, v6
	v_lshl_add_u32 v0, v0, 23, 0x37800000
	s_delay_alu instid0(VALU_DEP_2) | instskip(NEXT) | instid1(VALU_DEP_1)
	v_lshlrev_b32_e32 v1, 21, v1
	v_or3_b32 v0, v4, v0, v1
	v_mov_b32_e32 v1, 0
.LBB64_445:
	s_or_b32 exec_lo, exec_lo, s1
	s_mov_b32 s0, 0
	s_branch .LBB64_449
.LBB64_446:
	s_mov_b32 s1, -1
                                        ; implicit-def: $vgpr1
	s_branch .LBB64_455
.LBB64_447:
	s_mov_b32 s0, -1
                                        ; implicit-def: $vgpr1
	s_branch .LBB64_452
.LBB64_448:
	s_mov_b32 s0, -1
                                        ; implicit-def: $vgpr1
.LBB64_449:
	s_delay_alu instid0(SALU_CYCLE_1)
	s_and_b32 vcc_lo, exec_lo, s0
	s_cbranch_vccz .LBB64_451
; %bb.450:
	global_load_u8 v0, v[2:3], off
	s_waitcnt vmcnt(0)
	v_lshlrev_b32_e32 v0, 24, v0
	s_delay_alu instid0(VALU_DEP_1) | instskip(NEXT) | instid1(VALU_DEP_1)
	v_and_b32_e32 v1, 0x7f000000, v0
	v_clz_i32_u32_e32 v4, v1
	v_cmp_ne_u32_e32 vcc_lo, 0, v1
	v_add_nc_u32_e32 v6, 0x1000000, v1
	s_delay_alu instid0(VALU_DEP_3) | instskip(NEXT) | instid1(VALU_DEP_1)
	v_min_u32_e32 v4, 32, v4
	v_sub_nc_u32_e64 v4, v4, 4 clamp
	s_delay_alu instid0(VALU_DEP_1) | instskip(SKIP_1) | instid1(VALU_DEP_2)
	v_lshlrev_b32_e32 v5, v4, v1
	v_lshlrev_b32_e32 v4, 23, v4
	v_lshrrev_b32_e32 v5, 4, v5
	s_delay_alu instid0(VALU_DEP_1) | instskip(SKIP_1) | instid1(VALU_DEP_2)
	v_sub_nc_u32_e32 v4, v5, v4
	v_ashrrev_i32_e32 v5, 8, v6
	v_add_nc_u32_e32 v4, 0x3c000000, v4
	s_delay_alu instid0(VALU_DEP_1) | instskip(NEXT) | instid1(VALU_DEP_1)
	v_and_or_b32 v4, 0x7f800000, v5, v4
	v_cndmask_b32_e32 v1, 0, v4, vcc_lo
	s_delay_alu instid0(VALU_DEP_1)
	v_and_or_b32 v0, 0x80000000, v0, v1
	v_mov_b32_e32 v1, 0
.LBB64_451:
	s_mov_b32 s0, 0
.LBB64_452:
	s_delay_alu instid0(SALU_CYCLE_1)
	s_and_not1_b32 vcc_lo, exec_lo, s0
	s_cbranch_vccnz .LBB64_454
; %bb.453:
	global_load_u8 v0, v[2:3], off
	s_waitcnt vmcnt(0)
	v_lshlrev_b32_e32 v1, 25, v0
	v_lshlrev_b16 v0, 8, v0
	s_delay_alu instid0(VALU_DEP_2) | instskip(NEXT) | instid1(VALU_DEP_2)
	v_lshrrev_b32_e32 v4, 4, v1
	v_and_or_b32 v5, 0x7f00, v0, 0.5
	v_cmp_gt_u32_e32 vcc_lo, 0x8000000, v1
	v_bfe_i32 v0, v0, 0, 16
	s_delay_alu instid0(VALU_DEP_4) | instskip(NEXT) | instid1(VALU_DEP_1)
	v_or_b32_e32 v4, 0x70000000, v4
	v_dual_add_f32 v5, -0.5, v5 :: v_dual_mul_f32 v4, 0x7800000, v4
	s_delay_alu instid0(VALU_DEP_1) | instskip(NEXT) | instid1(VALU_DEP_1)
	v_cndmask_b32_e32 v1, v4, v5, vcc_lo
	v_and_or_b32 v0, 0x80000000, v0, v1
	v_mov_b32_e32 v1, 0
.LBB64_454:
	s_mov_b32 s1, 0
	s_mov_b32 s0, -1
.LBB64_455:
	s_and_not1_b32 vcc_lo, exec_lo, s1
	s_cbranch_vccnz .LBB64_467
; %bb.456:
	v_cmp_lt_i16_e32 vcc_lo, 14, v25
	s_cbranch_vccz .LBB64_459
; %bb.457:
	v_cmp_eq_u16_e32 vcc_lo, 15, v25
	s_cbranch_vccz .LBB64_460
; %bb.458:
	global_load_u16 v0, v[2:3], off
	s_mov_b32 s0, -1
	s_mov_b32 s21, 0
	s_mov_b32 s1, 0
	s_waitcnt vmcnt(0)
	v_lshlrev_b32_e32 v0, 16, v0
	s_branch .LBB64_461
.LBB64_459:
	s_mov_b32 s2, -1
                                        ; implicit-def: $sgpr1
                                        ; implicit-def: $vgpr0
	s_branch .LBB64_462
.LBB64_460:
	s_mov_b32 s21, -1
                                        ; implicit-def: $sgpr1
                                        ; implicit-def: $vgpr0
.LBB64_461:
	s_mov_b32 s2, 0
.LBB64_462:
	s_delay_alu instid0(SALU_CYCLE_1)
	s_and_b32 vcc_lo, exec_lo, s2
	s_cbranch_vccz .LBB64_466
; %bb.463:
	v_cmp_eq_u16_e32 vcc_lo, 11, v25
	s_cbranch_vccz .LBB64_465
; %bb.464:
	global_load_u8 v0, v[2:3], off
	s_mov_b32 s1, 0
	s_mov_b32 s0, -1
	s_mov_b32 s21, 0
	s_waitcnt vmcnt(0)
	v_cmp_ne_u16_e32 vcc_lo, 0, v0
	v_cndmask_b32_e64 v0, 0, 1.0, vcc_lo
	s_branch .LBB64_466
.LBB64_465:
	s_mov_b32 s21, -1
                                        ; implicit-def: $sgpr1
                                        ; implicit-def: $vgpr0
.LBB64_466:
	v_mov_b32_e32 v1, s1
.LBB64_467:
	s_branch .LBB64_266
.LBB64_468:
	v_cmp_gt_i16_e32 vcc_lo, 5, v25
	s_cbranch_vccnz .LBB64_473
; %bb.469:
	v_cmp_gt_i16_e32 vcc_lo, 8, v25
	s_cbranch_vccnz .LBB64_474
; %bb.470:
	;; [unrolled: 3-line block ×3, first 2 shown]
	v_cmp_lt_i16_e32 vcc_lo, 9, v25
	s_cbranch_vccz .LBB64_476
; %bb.472:
	global_load_b128 v[4:7], v[2:3], off
	s_mov_b32 s0, 0
	s_waitcnt vmcnt(0)
	v_cvt_f32_f64_e32 v0, v[4:5]
	v_cvt_f32_f64_e32 v1, v[6:7]
	s_branch .LBB64_477
.LBB64_473:
	s_mov_b32 s0, -1
                                        ; implicit-def: $vgpr1
	s_branch .LBB64_496
.LBB64_474:
	s_mov_b32 s0, -1
                                        ; implicit-def: $vgpr1
	s_branch .LBB64_483
.LBB64_475:
	s_mov_b32 s0, -1
                                        ; implicit-def: $vgpr1
	s_branch .LBB64_480
.LBB64_476:
	s_mov_b32 s0, -1
                                        ; implicit-def: $vgpr1
.LBB64_477:
	s_delay_alu instid0(SALU_CYCLE_1)
	s_and_not1_b32 vcc_lo, exec_lo, s0
	s_cbranch_vccnz .LBB64_479
; %bb.478:
	global_load_b64 v[0:1], v[2:3], off
.LBB64_479:
	s_mov_b32 s0, 0
.LBB64_480:
	s_delay_alu instid0(SALU_CYCLE_1)
	s_and_not1_b32 vcc_lo, exec_lo, s0
	s_cbranch_vccnz .LBB64_482
; %bb.481:
	global_load_b32 v0, v[2:3], off
	s_waitcnt vmcnt(0)
	v_lshrrev_b32_e32 v1, 16, v0
	v_cvt_f32_f16_e32 v0, v0
	s_delay_alu instid0(VALU_DEP_2)
	v_cvt_f32_f16_e32 v1, v1
.LBB64_482:
	s_mov_b32 s0, 0
.LBB64_483:
	s_delay_alu instid0(SALU_CYCLE_1)
	s_and_not1_b32 vcc_lo, exec_lo, s0
	s_cbranch_vccnz .LBB64_495
; %bb.484:
	v_cmp_gt_i16_e32 vcc_lo, 6, v25
	s_cbranch_vccnz .LBB64_487
; %bb.485:
	v_cmp_lt_i16_e32 vcc_lo, 6, v25
	s_cbranch_vccz .LBB64_488
; %bb.486:
	global_load_b64 v[0:1], v[2:3], off
	s_mov_b32 s1, 0
	s_mov_b32 s0, 0
	s_waitcnt vmcnt(0)
	v_cvt_f32_f64_e32 v0, v[0:1]
	s_branch .LBB64_489
.LBB64_487:
	s_mov_b32 s1, -1
                                        ; implicit-def: $sgpr0
                                        ; implicit-def: $vgpr0
	s_branch .LBB64_492
.LBB64_488:
	s_mov_b32 s1, -1
                                        ; implicit-def: $sgpr0
                                        ; implicit-def: $vgpr0
.LBB64_489:
	s_delay_alu instid0(SALU_CYCLE_1)
	s_and_not1_b32 vcc_lo, exec_lo, s1
	s_cbranch_vccnz .LBB64_491
; %bb.490:
	global_load_b32 v0, v[2:3], off
	s_mov_b32 s0, 0
.LBB64_491:
	s_mov_b32 s1, 0
.LBB64_492:
	s_delay_alu instid0(SALU_CYCLE_1)
	s_and_not1_b32 vcc_lo, exec_lo, s1
	s_cbranch_vccnz .LBB64_494
; %bb.493:
	global_load_u16 v0, v[2:3], off
	s_mov_b32 s0, 0
	s_waitcnt vmcnt(0)
	v_cvt_f32_f16_e32 v0, v0
.LBB64_494:
	s_waitcnt vmcnt(0)
	v_mov_b32_e32 v1, s0
.LBB64_495:
	s_mov_b32 s0, 0
.LBB64_496:
	s_delay_alu instid0(SALU_CYCLE_1)
	s_and_not1_b32 vcc_lo, exec_lo, s0
	s_cbranch_vccnz .LBB64_517
; %bb.497:
	v_cmp_gt_i16_e32 vcc_lo, 2, v25
	s_cbranch_vccnz .LBB64_501
; %bb.498:
	v_cmp_gt_i16_e32 vcc_lo, 3, v25
	s_cbranch_vccnz .LBB64_502
; %bb.499:
	v_cmp_lt_i16_e32 vcc_lo, 3, v25
	s_cbranch_vccz .LBB64_503
; %bb.500:
	global_load_b64 v[0:1], v[2:3], off
	s_mov_b32 s1, 0
	s_mov_b32 s0, 0
	s_waitcnt vmcnt(0)
	v_xor_b32_e32 v4, v0, v1
	v_cls_i32_e32 v5, v1
	s_delay_alu instid0(VALU_DEP_2) | instskip(NEXT) | instid1(VALU_DEP_2)
	v_ashrrev_i32_e32 v4, 31, v4
	v_add_nc_u32_e32 v5, -1, v5
	s_delay_alu instid0(VALU_DEP_2) | instskip(NEXT) | instid1(VALU_DEP_1)
	v_add_nc_u32_e32 v4, 32, v4
	v_min_u32_e32 v4, v5, v4
	s_delay_alu instid0(VALU_DEP_1) | instskip(NEXT) | instid1(VALU_DEP_1)
	v_lshlrev_b64 v[0:1], v4, v[0:1]
	v_min_u32_e32 v0, 1, v0
	s_delay_alu instid0(VALU_DEP_1) | instskip(SKIP_1) | instid1(VALU_DEP_2)
	v_or_b32_e32 v0, v1, v0
	v_sub_nc_u32_e32 v1, 32, v4
	v_cvt_f32_i32_e32 v0, v0
	s_delay_alu instid0(VALU_DEP_1)
	v_ldexp_f32 v0, v0, v1
	s_branch .LBB64_504
.LBB64_501:
	s_mov_b32 s1, -1
                                        ; implicit-def: $sgpr0
                                        ; implicit-def: $vgpr0
	s_branch .LBB64_510
.LBB64_502:
	s_mov_b32 s1, -1
                                        ; implicit-def: $sgpr0
                                        ; implicit-def: $vgpr0
	s_branch .LBB64_507
.LBB64_503:
	s_mov_b32 s1, -1
                                        ; implicit-def: $sgpr0
                                        ; implicit-def: $vgpr0
.LBB64_504:
	s_delay_alu instid0(SALU_CYCLE_1)
	s_and_not1_b32 vcc_lo, exec_lo, s1
	s_cbranch_vccnz .LBB64_506
; %bb.505:
	global_load_b32 v0, v[2:3], off
	s_mov_b32 s0, 0
	s_waitcnt vmcnt(0)
	v_cvt_f32_i32_e32 v0, v0
.LBB64_506:
	s_mov_b32 s1, 0
.LBB64_507:
	s_delay_alu instid0(SALU_CYCLE_1)
	s_and_not1_b32 vcc_lo, exec_lo, s1
	s_cbranch_vccnz .LBB64_509
; %bb.508:
	global_load_i16 v0, v[2:3], off
	s_mov_b32 s0, 0
	s_waitcnt vmcnt(0)
	v_cvt_f32_i32_e32 v0, v0
.LBB64_509:
	s_mov_b32 s1, 0
.LBB64_510:
	s_delay_alu instid0(SALU_CYCLE_1)
	s_and_not1_b32 vcc_lo, exec_lo, s1
	s_cbranch_vccnz .LBB64_516
; %bb.511:
	v_cmp_lt_i16_e32 vcc_lo, 0, v25
	s_mov_b32 s1, 0
	s_cbranch_vccz .LBB64_513
; %bb.512:
	global_load_i8 v0, v[2:3], off
	s_mov_b32 s0, 0
	s_waitcnt vmcnt(0)
	v_cvt_f32_i32_e32 v0, v0
	s_branch .LBB64_514
.LBB64_513:
	s_mov_b32 s1, -1
                                        ; implicit-def: $sgpr0
                                        ; implicit-def: $vgpr0
.LBB64_514:
	s_delay_alu instid0(SALU_CYCLE_1)
	s_and_not1_b32 vcc_lo, exec_lo, s1
	s_cbranch_vccnz .LBB64_516
; %bb.515:
	global_load_u8 v0, v[2:3], off
	s_mov_b32 s0, 0
	s_waitcnt vmcnt(0)
	v_cvt_f32_ubyte0_e32 v0, v0
.LBB64_516:
	s_waitcnt vmcnt(0)
	v_mov_b32_e32 v1, s0
.LBB64_517:
	s_branch .LBB64_267
.LBB64_518:
	s_mov_b32 s1, 0
	s_mov_b32 s0, s13
.LBB64_519:
                                        ; implicit-def: $vgpr24
.LBB64_520:
	s_and_not1_b32 s2, s13, exec_lo
	s_and_b32 s0, s0, exec_lo
	s_and_not1_b32 s3, s15, exec_lo
	s_and_b32 s4, s21, exec_lo
	s_or_b32 s22, s2, s0
	s_or_b32 s21, s3, s4
	s_or_not1_b32 s3, s1, exec_lo
.LBB64_521:
	s_or_b32 exec_lo, exec_lo, s23
	s_mov_b32 s1, 0
	s_mov_b32 s2, 0
	;; [unrolled: 1-line block ×3, first 2 shown]
                                        ; implicit-def: $vgpr3_vgpr4
                                        ; implicit-def: $vgpr2
	s_and_saveexec_b32 s23, s3
	s_cbranch_execz .LBB64_876
; %bb.522:
	s_mov_b32 s0, -1
	s_mov_b32 s1, s21
	s_mov_b32 s2, s22
	s_mov_b32 s24, exec_lo
	v_cmpx_gt_i32_e64 s14, v24
	s_cbranch_execz .LBB64_787
; %bb.523:
	s_waitcnt vmcnt(0)
	v_mul_lo_u32 v0, v24, s11
	v_cmp_gt_i16_e32 vcc_lo, 11, v25
	s_delay_alu instid0(VALU_DEP_2) | instskip(SKIP_1) | instid1(VALU_DEP_1)
	v_ashrrev_i32_e32 v1, 31, v0
	v_add_co_u32 v2, s0, s18, v0
	v_add_co_ci_u32_e64 v3, s0, s19, v1, s0
	s_cbranch_vccnz .LBB64_530
; %bb.524:
	v_cmp_lt_i16_e32 vcc_lo, 25, v25
	s_cbranch_vccz .LBB64_531
; %bb.525:
	v_cmp_lt_i16_e32 vcc_lo, 28, v25
	s_cbranch_vccz .LBB64_532
	;; [unrolled: 3-line block ×4, first 2 shown]
; %bb.528:
	v_cmp_eq_u16_e32 vcc_lo, 46, v25
	s_mov_b32 s1, 0
	s_cbranch_vccz .LBB64_539
; %bb.529:
	global_load_b32 v0, v[2:3], off
	s_mov_b32 s0, -1
	s_mov_b32 s25, 0
	s_waitcnt vmcnt(0)
	v_and_b32_e32 v1, 0xffff0000, v0
	v_lshlrev_b32_e32 v0, 16, v0
	s_branch .LBB64_541
.LBB64_530:
	s_mov_b32 s1, -1
	s_mov_b32 s0, 0
	s_mov_b32 s25, s21
                                        ; implicit-def: $vgpr1
	s_branch .LBB64_609
.LBB64_531:
	s_mov_b32 s1, -1
	s_mov_b32 s0, 0
	s_mov_b32 s25, s21
                                        ; implicit-def: $vgpr1
	s_branch .LBB64_574
.LBB64_532:
	s_mov_b32 s1, -1
	s_mov_b32 s0, 0
	s_mov_b32 s25, s21
                                        ; implicit-def: $vgpr1
	s_branch .LBB64_553
.LBB64_533:
	s_mov_b32 s1, -1
	s_mov_b32 s0, 0
	s_mov_b32 s25, s21
                                        ; implicit-def: $vgpr1
	s_branch .LBB64_547
.LBB64_534:
	s_or_saveexec_b32 s3, s3
                                        ; implicit-def: $sgpr4
	s_delay_alu instid0(SALU_CYCLE_1)
	s_xor_b32 exec_lo, exec_lo, s3
	s_cbranch_execz .LBB64_313
.LBB64_535:
	v_add_f32_e64 v5, 0x46000000, |v0|
	s_and_not1_b32 s2, s2, exec_lo
	s_mov_b32 s4, 0
	s_delay_alu instid0(VALU_DEP_1) | instskip(NEXT) | instid1(VALU_DEP_1)
	v_and_b32_e32 v5, 0xff, v5
	v_cmp_ne_u32_e32 vcc_lo, 0, v5
	s_and_b32 s5, vcc_lo, exec_lo
	s_delay_alu instid0(SALU_CYCLE_1)
	s_or_b32 s2, s2, s5
	s_or_b32 exec_lo, exec_lo, s3
	v_mov_b32_e32 v6, s4
	s_and_saveexec_b32 s3, s2
	s_cbranch_execnz .LBB64_314
	s_branch .LBB64_315
.LBB64_536:
	s_mov_b32 s1, -1
	s_mov_b32 s0, 0
	s_mov_b32 s25, s21
	s_branch .LBB64_540
.LBB64_537:
	s_or_saveexec_b32 s3, s3
                                        ; implicit-def: $sgpr4
	s_delay_alu instid0(SALU_CYCLE_1)
	s_xor_b32 exec_lo, exec_lo, s3
	s_cbranch_execz .LBB64_326
.LBB64_538:
	v_add_f32_e64 v5, 0x42800000, |v0|
	s_and_not1_b32 s2, s2, exec_lo
	s_mov_b32 s4, 0
	s_delay_alu instid0(VALU_DEP_1) | instskip(NEXT) | instid1(VALU_DEP_1)
	v_and_b32_e32 v5, 0xff, v5
	v_cmp_ne_u32_e32 vcc_lo, 0, v5
	s_and_b32 s5, vcc_lo, exec_lo
	s_delay_alu instid0(SALU_CYCLE_1)
	s_or_b32 s2, s2, s5
	s_or_b32 exec_lo, exec_lo, s3
	v_mov_b32_e32 v6, s4
	s_and_saveexec_b32 s3, s2
	s_cbranch_execnz .LBB64_327
	s_branch .LBB64_328
.LBB64_539:
	s_mov_b32 s25, -1
	s_mov_b32 s0, 0
.LBB64_540:
                                        ; implicit-def: $vgpr1
.LBB64_541:
	s_and_b32 vcc_lo, exec_lo, s1
	s_cbranch_vccz .LBB64_546
; %bb.542:
	v_cmp_eq_u16_e32 vcc_lo, 44, v25
	s_cbranch_vccz .LBB64_544
; %bb.543:
	global_load_u8 v0, v[2:3], off
	s_mov_b32 s25, 0
	s_mov_b32 s0, -1
	s_waitcnt vmcnt(0)
	v_lshlrev_b32_e32 v1, 23, v0
	v_cmp_ne_u32_e32 vcc_lo, 0xff, v0
	s_delay_alu instid0(VALU_DEP_2) | instskip(SKIP_1) | instid1(VALU_DEP_2)
	v_cndmask_b32_e32 v1, 0x7f800001, v1, vcc_lo
	v_cmp_ne_u32_e32 vcc_lo, 0, v0
	v_cndmask_b32_e32 v0, 0x400000, v1, vcc_lo
	s_branch .LBB64_545
.LBB64_544:
	s_mov_b32 s25, -1
                                        ; implicit-def: $vgpr0
.LBB64_545:
	s_delay_alu instid0(SALU_CYCLE_1)
	v_mov_b32_e32 v1, s25
.LBB64_546:
	s_mov_b32 s1, 0
.LBB64_547:
	s_delay_alu instid0(SALU_CYCLE_1)
	s_and_b32 vcc_lo, exec_lo, s1
	s_cbranch_vccz .LBB64_552
; %bb.548:
	v_cmp_eq_u16_e32 vcc_lo, 29, v25
	s_cbranch_vccz .LBB64_550
; %bb.549:
	global_load_b64 v[0:1], v[2:3], off
	s_mov_b32 s0, -1
	s_mov_b32 s25, 0
	s_mov_b32 s1, 0
	s_waitcnt vmcnt(0)
	v_clz_i32_u32_e32 v4, v1
	s_delay_alu instid0(VALU_DEP_1) | instskip(NEXT) | instid1(VALU_DEP_1)
	v_min_u32_e32 v4, 32, v4
	v_lshlrev_b64 v[0:1], v4, v[0:1]
	s_delay_alu instid0(VALU_DEP_1) | instskip(NEXT) | instid1(VALU_DEP_1)
	v_min_u32_e32 v0, 1, v0
	v_or_b32_e32 v0, v1, v0
	v_sub_nc_u32_e32 v1, 32, v4
	s_delay_alu instid0(VALU_DEP_2) | instskip(NEXT) | instid1(VALU_DEP_1)
	v_cvt_f32_u32_e32 v0, v0
	v_ldexp_f32 v0, v0, v1
	s_branch .LBB64_551
.LBB64_550:
	s_mov_b32 s25, -1
                                        ; implicit-def: $sgpr1
                                        ; implicit-def: $vgpr0
.LBB64_551:
	v_mov_b32_e32 v1, s1
.LBB64_552:
	s_mov_b32 s1, 0
.LBB64_553:
	s_delay_alu instid0(SALU_CYCLE_1)
	s_and_b32 vcc_lo, exec_lo, s1
	s_cbranch_vccz .LBB64_573
; %bb.554:
	v_cmp_gt_i16_e32 vcc_lo, 27, v25
	s_cbranch_vccnz .LBB64_557
; %bb.555:
	v_cmp_lt_i16_e32 vcc_lo, 27, v25
	s_cbranch_vccz .LBB64_558
; %bb.556:
	global_load_b32 v0, v[2:3], off
	s_mov_b32 s1, 0
	s_mov_b32 s0, 0
	s_waitcnt vmcnt(0)
	v_cvt_f32_u32_e32 v0, v0
	s_branch .LBB64_559
.LBB64_557:
	s_mov_b32 s1, -1
                                        ; implicit-def: $sgpr0
                                        ; implicit-def: $vgpr0
	s_branch .LBB64_562
.LBB64_558:
	s_mov_b32 s1, -1
                                        ; implicit-def: $sgpr0
                                        ; implicit-def: $vgpr0
.LBB64_559:
	s_delay_alu instid0(SALU_CYCLE_1)
	s_and_not1_b32 vcc_lo, exec_lo, s1
	s_cbranch_vccnz .LBB64_561
; %bb.560:
	global_load_u16 v0, v[2:3], off
	s_mov_b32 s0, 0
	s_waitcnt vmcnt(0)
	v_cvt_f32_u32_e32 v0, v0
.LBB64_561:
	s_mov_b32 s1, 0
.LBB64_562:
	v_mov_b32_e32 v1, s0
	s_and_not1_b32 vcc_lo, exec_lo, s1
	s_cbranch_vccnz .LBB64_572
; %bb.563:
	global_load_u8 v4, v[2:3], off
	s_mov_b32 s0, 0
	s_mov_b32 s3, exec_lo
                                        ; implicit-def: $sgpr2
                                        ; implicit-def: $sgpr1
	s_waitcnt vmcnt(0)
	v_cmpx_lt_i16_e32 0x7f, v4
	s_xor_b32 s3, exec_lo, s3
	s_cbranch_execz .LBB64_567
; %bb.564:
	s_mov_b32 s0, -1
	s_mov_b32 s4, exec_lo
                                        ; implicit-def: $sgpr2
                                        ; implicit-def: $sgpr1
	v_cmpx_eq_u16_e32 0x80, v4
; %bb.565:
	s_mov_b32 s1, 0x7f800001
	s_mov_b32 s2, 0
	s_xor_b32 s0, exec_lo, -1
; %bb.566:
	s_or_b32 exec_lo, exec_lo, s4
	s_delay_alu instid0(SALU_CYCLE_1)
	s_and_b32 s0, s0, exec_lo
.LBB64_567:
	s_or_saveexec_b32 s3, s3
	v_dual_mov_b32 v1, s2 :: v_dual_mov_b32 v0, s1
	s_xor_b32 exec_lo, exec_lo, s3
; %bb.568:
	v_cmp_ne_u16_e32 vcc_lo, 0, v4
	v_dual_mov_b32 v1, 0 :: v_dual_mov_b32 v0, 0
	s_and_not1_b32 s0, s0, exec_lo
	s_and_b32 s1, vcc_lo, exec_lo
	s_delay_alu instid0(SALU_CYCLE_1)
	s_or_b32 s0, s0, s1
; %bb.569:
	s_or_b32 exec_lo, exec_lo, s3
	s_and_saveexec_b32 s1, s0
	s_cbranch_execz .LBB64_571
; %bb.570:
	v_and_b32_e32 v0, 0xffff, v4
	v_lshlrev_b32_e32 v4, 24, v4
	s_delay_alu instid0(VALU_DEP_2) | instskip(NEXT) | instid1(VALU_DEP_2)
	v_and_b32_e32 v1, 7, v0
	v_and_b32_e32 v4, 0x80000000, v4
	s_delay_alu instid0(VALU_DEP_2) | instskip(NEXT) | instid1(VALU_DEP_1)
	v_clz_i32_u32_e32 v5, v1
	v_min_u32_e32 v5, 32, v5
	s_delay_alu instid0(VALU_DEP_1) | instskip(SKIP_1) | instid1(VALU_DEP_2)
	v_subrev_nc_u32_e32 v6, 28, v5
	v_sub_nc_u32_e32 v5, 29, v5
	v_lshlrev_b32_e32 v6, v6, v0
	v_bfe_u32 v0, v0, 3, 4
	s_delay_alu instid0(VALU_DEP_2) | instskip(NEXT) | instid1(VALU_DEP_2)
	v_and_b32_e32 v6, 7, v6
	v_cmp_eq_u32_e32 vcc_lo, 0, v0
	s_delay_alu instid0(VALU_DEP_2) | instskip(NEXT) | instid1(VALU_DEP_1)
	v_dual_cndmask_b32 v0, v0, v5 :: v_dual_cndmask_b32 v1, v1, v6
	v_lshl_add_u32 v0, v0, 23, 0x3b800000
	s_delay_alu instid0(VALU_DEP_2) | instskip(NEXT) | instid1(VALU_DEP_1)
	v_lshlrev_b32_e32 v1, 20, v1
	v_or3_b32 v0, v4, v0, v1
	v_mov_b32_e32 v1, 0
.LBB64_571:
	s_or_b32 exec_lo, exec_lo, s1
.LBB64_572:
	s_mov_b32 s0, -1
.LBB64_573:
	s_mov_b32 s1, 0
.LBB64_574:
	s_delay_alu instid0(SALU_CYCLE_1)
	s_and_b32 vcc_lo, exec_lo, s1
	s_cbranch_vccz .LBB64_608
; %bb.575:
	v_cmp_lt_i16_e32 vcc_lo, 22, v25
	s_cbranch_vccz .LBB64_587
; %bb.576:
	v_cmp_gt_i16_e32 vcc_lo, 24, v25
	s_cbranch_vccnz .LBB64_588
; %bb.577:
	v_cmp_lt_i16_e32 vcc_lo, 24, v25
	s_cbranch_vccz .LBB64_589
; %bb.578:
	global_load_u8 v4, v[2:3], off
	s_mov_b32 s0, 0
	s_mov_b32 s3, exec_lo
                                        ; implicit-def: $sgpr2
                                        ; implicit-def: $sgpr1
	s_waitcnt vmcnt(0)
	v_cmpx_lt_i16_e32 0x7f, v4
	s_xor_b32 s3, exec_lo, s3
	s_cbranch_execz .LBB64_582
; %bb.579:
	s_mov_b32 s0, -1
	s_mov_b32 s4, exec_lo
                                        ; implicit-def: $sgpr2
                                        ; implicit-def: $sgpr1
	v_cmpx_eq_u16_e32 0x80, v4
; %bb.580:
	s_mov_b32 s1, 0x7f800001
	s_mov_b32 s2, 0
	s_xor_b32 s0, exec_lo, -1
; %bb.581:
	s_or_b32 exec_lo, exec_lo, s4
	s_delay_alu instid0(SALU_CYCLE_1)
	s_and_b32 s0, s0, exec_lo
.LBB64_582:
	s_or_saveexec_b32 s3, s3
	v_dual_mov_b32 v1, s2 :: v_dual_mov_b32 v0, s1
	s_xor_b32 exec_lo, exec_lo, s3
; %bb.583:
	v_cmp_ne_u16_e32 vcc_lo, 0, v4
	v_dual_mov_b32 v1, 0 :: v_dual_mov_b32 v0, 0
	s_and_not1_b32 s0, s0, exec_lo
	s_and_b32 s1, vcc_lo, exec_lo
	s_delay_alu instid0(SALU_CYCLE_1)
	s_or_b32 s0, s0, s1
; %bb.584:
	s_or_b32 exec_lo, exec_lo, s3
	s_and_saveexec_b32 s1, s0
	s_cbranch_execz .LBB64_586
; %bb.585:
	v_and_b32_e32 v0, 0xffff, v4
	v_lshlrev_b32_e32 v4, 24, v4
	s_delay_alu instid0(VALU_DEP_2) | instskip(NEXT) | instid1(VALU_DEP_2)
	v_and_b32_e32 v1, 3, v0
	v_and_b32_e32 v4, 0x80000000, v4
	s_delay_alu instid0(VALU_DEP_2) | instskip(NEXT) | instid1(VALU_DEP_1)
	v_clz_i32_u32_e32 v5, v1
	v_min_u32_e32 v5, 32, v5
	s_delay_alu instid0(VALU_DEP_1) | instskip(SKIP_1) | instid1(VALU_DEP_2)
	v_subrev_nc_u32_e32 v6, 29, v5
	v_sub_nc_u32_e32 v5, 30, v5
	v_lshlrev_b32_e32 v6, v6, v0
	v_bfe_u32 v0, v0, 2, 5
	s_delay_alu instid0(VALU_DEP_2) | instskip(NEXT) | instid1(VALU_DEP_2)
	v_and_b32_e32 v6, 3, v6
	v_cmp_eq_u32_e32 vcc_lo, 0, v0
	s_delay_alu instid0(VALU_DEP_2) | instskip(NEXT) | instid1(VALU_DEP_1)
	v_dual_cndmask_b32 v0, v0, v5 :: v_dual_cndmask_b32 v1, v1, v6
	v_lshl_add_u32 v0, v0, 23, 0x37800000
	s_delay_alu instid0(VALU_DEP_2) | instskip(NEXT) | instid1(VALU_DEP_1)
	v_lshlrev_b32_e32 v1, 21, v1
	v_or3_b32 v0, v4, v0, v1
	v_mov_b32_e32 v1, 0
.LBB64_586:
	s_or_b32 exec_lo, exec_lo, s1
	s_mov_b32 s0, 0
	s_branch .LBB64_590
.LBB64_587:
	s_mov_b32 s1, -1
                                        ; implicit-def: $vgpr1
	s_branch .LBB64_596
.LBB64_588:
	s_mov_b32 s0, -1
                                        ; implicit-def: $vgpr1
	s_branch .LBB64_593
.LBB64_589:
	s_mov_b32 s0, -1
                                        ; implicit-def: $vgpr1
.LBB64_590:
	s_delay_alu instid0(SALU_CYCLE_1)
	s_and_b32 vcc_lo, exec_lo, s0
	s_cbranch_vccz .LBB64_592
; %bb.591:
	global_load_u8 v0, v[2:3], off
	s_waitcnt vmcnt(0)
	v_lshlrev_b32_e32 v0, 24, v0
	s_delay_alu instid0(VALU_DEP_1) | instskip(NEXT) | instid1(VALU_DEP_1)
	v_and_b32_e32 v1, 0x7f000000, v0
	v_clz_i32_u32_e32 v4, v1
	v_cmp_ne_u32_e32 vcc_lo, 0, v1
	v_add_nc_u32_e32 v6, 0x1000000, v1
	s_delay_alu instid0(VALU_DEP_3) | instskip(NEXT) | instid1(VALU_DEP_1)
	v_min_u32_e32 v4, 32, v4
	v_sub_nc_u32_e64 v4, v4, 4 clamp
	s_delay_alu instid0(VALU_DEP_1) | instskip(SKIP_1) | instid1(VALU_DEP_2)
	v_lshlrev_b32_e32 v5, v4, v1
	v_lshlrev_b32_e32 v4, 23, v4
	v_lshrrev_b32_e32 v5, 4, v5
	s_delay_alu instid0(VALU_DEP_1) | instskip(SKIP_1) | instid1(VALU_DEP_2)
	v_sub_nc_u32_e32 v4, v5, v4
	v_ashrrev_i32_e32 v5, 8, v6
	v_add_nc_u32_e32 v4, 0x3c000000, v4
	s_delay_alu instid0(VALU_DEP_1) | instskip(NEXT) | instid1(VALU_DEP_1)
	v_and_or_b32 v4, 0x7f800000, v5, v4
	v_cndmask_b32_e32 v1, 0, v4, vcc_lo
	s_delay_alu instid0(VALU_DEP_1)
	v_and_or_b32 v0, 0x80000000, v0, v1
	v_mov_b32_e32 v1, 0
.LBB64_592:
	s_mov_b32 s0, 0
.LBB64_593:
	s_delay_alu instid0(SALU_CYCLE_1)
	s_and_not1_b32 vcc_lo, exec_lo, s0
	s_cbranch_vccnz .LBB64_595
; %bb.594:
	global_load_u8 v0, v[2:3], off
	s_waitcnt vmcnt(0)
	v_lshlrev_b32_e32 v1, 25, v0
	v_lshlrev_b16 v0, 8, v0
	s_delay_alu instid0(VALU_DEP_2) | instskip(NEXT) | instid1(VALU_DEP_2)
	v_lshrrev_b32_e32 v4, 4, v1
	v_and_or_b32 v5, 0x7f00, v0, 0.5
	v_cmp_gt_u32_e32 vcc_lo, 0x8000000, v1
	v_bfe_i32 v0, v0, 0, 16
	s_delay_alu instid0(VALU_DEP_4) | instskip(NEXT) | instid1(VALU_DEP_1)
	v_or_b32_e32 v4, 0x70000000, v4
	v_dual_add_f32 v5, -0.5, v5 :: v_dual_mul_f32 v4, 0x7800000, v4
	s_delay_alu instid0(VALU_DEP_1) | instskip(NEXT) | instid1(VALU_DEP_1)
	v_cndmask_b32_e32 v1, v4, v5, vcc_lo
	v_and_or_b32 v0, 0x80000000, v0, v1
	v_mov_b32_e32 v1, 0
.LBB64_595:
	s_mov_b32 s1, 0
	s_mov_b32 s0, -1
.LBB64_596:
	s_and_not1_b32 vcc_lo, exec_lo, s1
	s_cbranch_vccnz .LBB64_608
; %bb.597:
	v_cmp_lt_i16_e32 vcc_lo, 14, v25
	s_cbranch_vccz .LBB64_600
; %bb.598:
	v_cmp_eq_u16_e32 vcc_lo, 15, v25
	s_cbranch_vccz .LBB64_601
; %bb.599:
	global_load_u16 v0, v[2:3], off
	s_mov_b32 s0, -1
	s_mov_b32 s25, 0
	s_mov_b32 s1, 0
	s_waitcnt vmcnt(0)
	v_lshlrev_b32_e32 v0, 16, v0
	s_branch .LBB64_602
.LBB64_600:
	s_mov_b32 s2, -1
                                        ; implicit-def: $sgpr1
                                        ; implicit-def: $vgpr0
	s_branch .LBB64_603
.LBB64_601:
	s_mov_b32 s25, -1
                                        ; implicit-def: $sgpr1
                                        ; implicit-def: $vgpr0
.LBB64_602:
	s_mov_b32 s2, 0
.LBB64_603:
	s_delay_alu instid0(SALU_CYCLE_1)
	s_and_b32 vcc_lo, exec_lo, s2
	s_cbranch_vccz .LBB64_607
; %bb.604:
	v_cmp_eq_u16_e32 vcc_lo, 11, v25
	s_cbranch_vccz .LBB64_606
; %bb.605:
	global_load_u8 v0, v[2:3], off
	s_mov_b32 s1, 0
	s_mov_b32 s0, -1
	s_mov_b32 s25, 0
	s_waitcnt vmcnt(0)
	v_cmp_ne_u16_e32 vcc_lo, 0, v0
	v_cndmask_b32_e64 v0, 0, 1.0, vcc_lo
	s_branch .LBB64_607
.LBB64_606:
	s_mov_b32 s25, -1
                                        ; implicit-def: $sgpr1
                                        ; implicit-def: $vgpr0
.LBB64_607:
	v_mov_b32_e32 v1, s1
.LBB64_608:
	s_mov_b32 s1, 0
.LBB64_609:
	s_delay_alu instid0(SALU_CYCLE_1)
	s_and_b32 vcc_lo, exec_lo, s1
	s_cbranch_vccz .LBB64_660
; %bb.610:
	v_cmp_gt_i16_e32 vcc_lo, 5, v25
	s_cbranch_vccnz .LBB64_615
; %bb.611:
	v_cmp_gt_i16_e32 vcc_lo, 8, v25
	s_cbranch_vccnz .LBB64_616
; %bb.612:
	v_cmp_gt_i16_e32 vcc_lo, 9, v25
	s_cbranch_vccnz .LBB64_617
; %bb.613:
	v_cmp_lt_i16_e32 vcc_lo, 9, v25
	s_cbranch_vccz .LBB64_618
; %bb.614:
	global_load_b128 v[4:7], v[2:3], off
	s_mov_b32 s0, 0
	s_waitcnt vmcnt(0)
	v_cvt_f32_f64_e32 v0, v[4:5]
	v_cvt_f32_f64_e32 v1, v[6:7]
	s_branch .LBB64_619
.LBB64_615:
	s_mov_b32 s0, -1
                                        ; implicit-def: $vgpr1
	s_branch .LBB64_638
.LBB64_616:
	s_mov_b32 s0, -1
                                        ; implicit-def: $vgpr1
	s_branch .LBB64_625
.LBB64_617:
	s_mov_b32 s0, -1
                                        ; implicit-def: $vgpr1
	s_branch .LBB64_622
.LBB64_618:
	s_mov_b32 s0, -1
                                        ; implicit-def: $vgpr1
.LBB64_619:
	s_delay_alu instid0(SALU_CYCLE_1)
	s_and_not1_b32 vcc_lo, exec_lo, s0
	s_cbranch_vccnz .LBB64_621
; %bb.620:
	global_load_b64 v[0:1], v[2:3], off
.LBB64_621:
	s_mov_b32 s0, 0
.LBB64_622:
	s_delay_alu instid0(SALU_CYCLE_1)
	s_and_not1_b32 vcc_lo, exec_lo, s0
	s_cbranch_vccnz .LBB64_624
; %bb.623:
	global_load_b32 v0, v[2:3], off
	s_waitcnt vmcnt(0)
	v_lshrrev_b32_e32 v1, 16, v0
	v_cvt_f32_f16_e32 v0, v0
	s_delay_alu instid0(VALU_DEP_2)
	v_cvt_f32_f16_e32 v1, v1
.LBB64_624:
	s_mov_b32 s0, 0
.LBB64_625:
	s_delay_alu instid0(SALU_CYCLE_1)
	s_and_not1_b32 vcc_lo, exec_lo, s0
	s_cbranch_vccnz .LBB64_637
; %bb.626:
	v_cmp_gt_i16_e32 vcc_lo, 6, v25
	s_cbranch_vccnz .LBB64_629
; %bb.627:
	v_cmp_lt_i16_e32 vcc_lo, 6, v25
	s_cbranch_vccz .LBB64_630
; %bb.628:
	global_load_b64 v[0:1], v[2:3], off
	s_mov_b32 s1, 0
	s_mov_b32 s0, 0
	s_waitcnt vmcnt(0)
	v_cvt_f32_f64_e32 v0, v[0:1]
	s_branch .LBB64_631
.LBB64_629:
	s_mov_b32 s1, -1
                                        ; implicit-def: $sgpr0
                                        ; implicit-def: $vgpr0
	s_branch .LBB64_634
.LBB64_630:
	s_mov_b32 s1, -1
                                        ; implicit-def: $sgpr0
                                        ; implicit-def: $vgpr0
.LBB64_631:
	s_delay_alu instid0(SALU_CYCLE_1)
	s_and_not1_b32 vcc_lo, exec_lo, s1
	s_cbranch_vccnz .LBB64_633
; %bb.632:
	global_load_b32 v0, v[2:3], off
	s_mov_b32 s0, 0
.LBB64_633:
	s_mov_b32 s1, 0
.LBB64_634:
	s_delay_alu instid0(SALU_CYCLE_1)
	s_and_not1_b32 vcc_lo, exec_lo, s1
	s_cbranch_vccnz .LBB64_636
; %bb.635:
	global_load_u16 v0, v[2:3], off
	s_mov_b32 s0, 0
	s_waitcnt vmcnt(0)
	v_cvt_f32_f16_e32 v0, v0
.LBB64_636:
	s_waitcnt vmcnt(0)
	v_mov_b32_e32 v1, s0
.LBB64_637:
	s_mov_b32 s0, 0
.LBB64_638:
	s_delay_alu instid0(SALU_CYCLE_1)
	s_and_not1_b32 vcc_lo, exec_lo, s0
	s_cbranch_vccnz .LBB64_659
; %bb.639:
	v_cmp_gt_i16_e32 vcc_lo, 2, v25
	s_cbranch_vccnz .LBB64_643
; %bb.640:
	v_cmp_gt_i16_e32 vcc_lo, 3, v25
	s_cbranch_vccnz .LBB64_644
; %bb.641:
	v_cmp_lt_i16_e32 vcc_lo, 3, v25
	s_cbranch_vccz .LBB64_645
; %bb.642:
	global_load_b64 v[0:1], v[2:3], off
	s_mov_b32 s1, 0
	s_mov_b32 s0, 0
	s_waitcnt vmcnt(0)
	v_xor_b32_e32 v4, v0, v1
	v_cls_i32_e32 v5, v1
	s_delay_alu instid0(VALU_DEP_2) | instskip(NEXT) | instid1(VALU_DEP_2)
	v_ashrrev_i32_e32 v4, 31, v4
	v_add_nc_u32_e32 v5, -1, v5
	s_delay_alu instid0(VALU_DEP_2) | instskip(NEXT) | instid1(VALU_DEP_1)
	v_add_nc_u32_e32 v4, 32, v4
	v_min_u32_e32 v4, v5, v4
	s_delay_alu instid0(VALU_DEP_1) | instskip(NEXT) | instid1(VALU_DEP_1)
	v_lshlrev_b64 v[0:1], v4, v[0:1]
	v_min_u32_e32 v0, 1, v0
	s_delay_alu instid0(VALU_DEP_1) | instskip(SKIP_1) | instid1(VALU_DEP_2)
	v_or_b32_e32 v0, v1, v0
	v_sub_nc_u32_e32 v1, 32, v4
	v_cvt_f32_i32_e32 v0, v0
	s_delay_alu instid0(VALU_DEP_1)
	v_ldexp_f32 v0, v0, v1
	s_branch .LBB64_646
.LBB64_643:
	s_mov_b32 s1, -1
                                        ; implicit-def: $sgpr0
                                        ; implicit-def: $vgpr0
	s_branch .LBB64_652
.LBB64_644:
	s_mov_b32 s1, -1
                                        ; implicit-def: $sgpr0
                                        ; implicit-def: $vgpr0
	s_branch .LBB64_649
.LBB64_645:
	s_mov_b32 s1, -1
                                        ; implicit-def: $sgpr0
                                        ; implicit-def: $vgpr0
.LBB64_646:
	s_delay_alu instid0(SALU_CYCLE_1)
	s_and_not1_b32 vcc_lo, exec_lo, s1
	s_cbranch_vccnz .LBB64_648
; %bb.647:
	global_load_b32 v0, v[2:3], off
	s_mov_b32 s0, 0
	s_waitcnt vmcnt(0)
	v_cvt_f32_i32_e32 v0, v0
.LBB64_648:
	s_mov_b32 s1, 0
.LBB64_649:
	s_delay_alu instid0(SALU_CYCLE_1)
	s_and_not1_b32 vcc_lo, exec_lo, s1
	s_cbranch_vccnz .LBB64_651
; %bb.650:
	global_load_i16 v0, v[2:3], off
	s_mov_b32 s0, 0
	s_waitcnt vmcnt(0)
	v_cvt_f32_i32_e32 v0, v0
.LBB64_651:
	s_mov_b32 s1, 0
.LBB64_652:
	s_delay_alu instid0(SALU_CYCLE_1)
	s_and_not1_b32 vcc_lo, exec_lo, s1
	s_cbranch_vccnz .LBB64_658
; %bb.653:
	v_cmp_lt_i16_e32 vcc_lo, 0, v25
	s_mov_b32 s1, 0
	s_cbranch_vccz .LBB64_655
; %bb.654:
	global_load_i8 v0, v[2:3], off
	s_mov_b32 s0, 0
	s_waitcnt vmcnt(0)
	v_cvt_f32_i32_e32 v0, v0
	s_branch .LBB64_656
.LBB64_655:
	s_mov_b32 s1, -1
                                        ; implicit-def: $sgpr0
                                        ; implicit-def: $vgpr0
.LBB64_656:
	s_delay_alu instid0(SALU_CYCLE_1)
	s_and_not1_b32 vcc_lo, exec_lo, s1
	s_cbranch_vccnz .LBB64_658
; %bb.657:
	global_load_u8 v0, v[2:3], off
	s_mov_b32 s0, 0
	s_waitcnt vmcnt(0)
	v_cvt_f32_ubyte0_e32 v0, v0
.LBB64_658:
	s_waitcnt vmcnt(0)
	v_mov_b32_e32 v1, s0
.LBB64_659:
	s_mov_b32 s0, -1
.LBB64_660:
	s_delay_alu instid0(SALU_CYCLE_1)
	s_and_not1_b32 vcc_lo, exec_lo, s0
	s_cbranch_vccnz .LBB64_668
; %bb.661:
	s_getpc_b64 s[0:1]
	s_add_u32 s0, s0, _ZN16c10_complex_math3expIfEEN3c107complexIT_EERKS4_@rel32@lo+4
	s_addc_u32 s1, s1, _ZN16c10_complex_math3expIfEEN3c107complexIT_EERKS4_@rel32@hi+12
	s_delay_alu instid0(SALU_CYCLE_1) | instskip(SKIP_2) | instid1(VALU_DEP_1)
	s_swappc_b64 s[30:31], s[0:1]
	v_mul_lo_u32 v2, v24, s10
	v_and_b32_e32 v4, 0xff, v23
	v_cmp_gt_i16_e32 vcc_lo, 11, v4
	s_delay_alu instid0(VALU_DEP_3) | instskip(SKIP_1) | instid1(VALU_DEP_1)
	v_ashrrev_i32_e32 v3, 31, v2
	v_add_co_u32 v2, s0, s16, v2
	v_add_co_ci_u32_e64 v3, s0, s17, v3, s0
	s_cbranch_vccnz .LBB64_669
; %bb.662:
	v_cmp_lt_i16_e32 vcc_lo, 25, v4
	s_cbranch_vccz .LBB64_670
; %bb.663:
	v_cmp_lt_i16_e32 vcc_lo, 28, v4
	s_cbranch_vccz .LBB64_671
	;; [unrolled: 3-line block ×4, first 2 shown]
; %bb.666:
	v_cmp_eq_u16_e32 vcc_lo, 46, v4
	s_mov_b32 s2, 0
	s_mov_b32 s0, -1
	s_mov_b32 s1, 0
	s_cbranch_vccz .LBB64_674
; %bb.667:
	v_bfe_u32 v5, v1, 16, 1
	v_bfe_u32 v6, v0, 16, 1
	v_cmp_o_f32_e32 vcc_lo, v1, v1
	s_mov_b32 s1, -1
	s_mov_b32 s0, 0
	v_add3_u32 v5, v1, v5, 0x7fff
	v_add3_u32 v6, v0, v6, 0x7fff
	s_delay_alu instid0(VALU_DEP_2) | instskip(NEXT) | instid1(VALU_DEP_2)
	v_and_b32_e32 v5, 0xffff0000, v5
	v_lshrrev_b32_e32 v6, 16, v6
	s_delay_alu instid0(VALU_DEP_2) | instskip(SKIP_1) | instid1(VALU_DEP_3)
	v_cndmask_b32_e32 v5, 0x7fc00000, v5, vcc_lo
	v_cmp_o_f32_e32 vcc_lo, v0, v0
	v_cndmask_b32_e32 v6, 0x7fc0, v6, vcc_lo
	s_delay_alu instid0(VALU_DEP_1)
	v_or_b32_e32 v5, v5, v6
	global_store_b32 v[2:3], v5, off
	s_branch .LBB64_674
.LBB64_668:
	s_mov_b32 s3, 0
	s_mov_b32 s0, s22
	s_branch .LBB64_785
.LBB64_669:
	s_mov_b32 s2, -1
	s_mov_b32 s1, 0
	s_mov_b32 s0, s22
	s_branch .LBB64_743
.LBB64_670:
	s_mov_b32 s2, -1
	s_mov_b32 s1, 0
	s_mov_b32 s0, s22
	s_branch .LBB64_701
.LBB64_671:
	s_mov_b32 s2, -1
	s_mov_b32 s1, 0
	s_mov_b32 s0, s22
	s_branch .LBB64_684
.LBB64_672:
	s_mov_b32 s2, -1
	s_mov_b32 s1, 0
	s_mov_b32 s0, s22
	s_branch .LBB64_680
.LBB64_673:
	s_mov_b32 s2, -1
	s_mov_b32 s1, 0
	s_mov_b32 s0, s22
.LBB64_674:
	s_and_b32 vcc_lo, exec_lo, s2
	s_cbranch_vccz .LBB64_679
; %bb.675:
	v_cmp_eq_u16_e32 vcc_lo, 44, v4
	s_mov_b32 s0, -1
	s_cbranch_vccz .LBB64_679
; %bb.676:
	v_bfe_u32 v6, v0, 23, 8
	v_mov_b32_e32 v5, 0xff
	s_mov_b32 s1, exec_lo
	s_delay_alu instid0(VALU_DEP_2)
	v_cmpx_ne_u32_e32 0xff, v6
; %bb.677:
	v_and_b32_e32 v5, 0x400000, v0
	v_and_or_b32 v6, 0x3fffff, v0, v6
	s_delay_alu instid0(VALU_DEP_2) | instskip(NEXT) | instid1(VALU_DEP_2)
	v_cmp_ne_u32_e32 vcc_lo, 0, v5
	v_cmp_ne_u32_e64 s0, 0, v6
	v_lshrrev_b32_e32 v5, 23, v0
	s_delay_alu instid0(VALU_DEP_2) | instskip(NEXT) | instid1(SALU_CYCLE_1)
	s_and_b32 s0, vcc_lo, s0
	v_cndmask_b32_e64 v6, 0, 1, s0
	s_delay_alu instid0(VALU_DEP_1)
	v_add_nc_u32_e32 v5, v5, v6
; %bb.678:
	s_or_b32 exec_lo, exec_lo, s1
	s_mov_b32 s1, -1
	s_mov_b32 s0, 0
	global_store_b8 v[2:3], v5, off
.LBB64_679:
	s_mov_b32 s2, 0
.LBB64_680:
	s_delay_alu instid0(SALU_CYCLE_1)
	s_and_b32 vcc_lo, exec_lo, s2
	s_cbranch_vccz .LBB64_683
; %bb.681:
	v_cmp_eq_u16_e32 vcc_lo, 29, v4
	s_mov_b32 s0, -1
	s_cbranch_vccz .LBB64_683
; %bb.682:
	v_trunc_f32_e32 v5, v0
	s_mov_b32 s1, -1
	s_mov_b32 s0, 0
	s_mov_b32 s2, 0
	s_delay_alu instid0(VALU_DEP_1) | instskip(NEXT) | instid1(VALU_DEP_1)
	v_mul_f32_e32 v6, 0x2f800000, v5
	v_floor_f32_e32 v6, v6
	s_delay_alu instid0(VALU_DEP_1) | instskip(SKIP_1) | instid1(VALU_DEP_2)
	v_fmamk_f32 v5, v6, 0xcf800000, v5
	v_cvt_u32_f32_e32 v6, v6
	v_cvt_u32_f32_e32 v5, v5
	global_store_b64 v[2:3], v[5:6], off
	s_branch .LBB64_684
.LBB64_683:
	s_mov_b32 s2, 0
.LBB64_684:
	s_delay_alu instid0(SALU_CYCLE_1)
	s_and_b32 vcc_lo, exec_lo, s2
	s_cbranch_vccz .LBB64_700
; %bb.685:
	v_cmp_gt_i16_e32 vcc_lo, 27, v4
	s_mov_b32 s1, -1
	s_cbranch_vccnz .LBB64_691
; %bb.686:
	v_cmp_lt_i16_e32 vcc_lo, 27, v4
	s_cbranch_vccz .LBB64_688
; %bb.687:
	v_cvt_u32_f32_e32 v5, v0
	s_mov_b32 s1, 0
	global_store_b32 v[2:3], v5, off
.LBB64_688:
	s_and_not1_b32 vcc_lo, exec_lo, s1
	s_cbranch_vccnz .LBB64_690
; %bb.689:
	v_cvt_u32_f32_e32 v5, v0
	global_store_b16 v[2:3], v5, off
.LBB64_690:
	s_mov_b32 s1, 0
.LBB64_691:
	s_delay_alu instid0(SALU_CYCLE_1)
	s_and_not1_b32 vcc_lo, exec_lo, s1
	s_cbranch_vccnz .LBB64_699
; %bb.692:
	v_and_b32_e32 v5, 0x7fffffff, v0
	v_mov_b32_e32 v6, 0x80
	s_mov_b32 s1, exec_lo
	s_delay_alu instid0(VALU_DEP_2)
	v_cmpx_gt_u32_e32 0x43800000, v5
	s_cbranch_execz .LBB64_698
; %bb.693:
	v_cmp_lt_u32_e32 vcc_lo, 0x3bffffff, v5
	s_mov_b32 s2, 0
                                        ; implicit-def: $vgpr5
	s_and_saveexec_b32 s3, vcc_lo
	s_delay_alu instid0(SALU_CYCLE_1)
	s_xor_b32 s3, exec_lo, s3
	s_cbranch_execz .LBB64_800
; %bb.694:
	v_bfe_u32 v5, v0, 20, 1
	s_mov_b32 s2, exec_lo
	s_delay_alu instid0(VALU_DEP_1) | instskip(NEXT) | instid1(VALU_DEP_1)
	v_add3_u32 v5, v0, v5, 0x487ffff
	v_lshrrev_b32_e32 v5, 20, v5
	s_or_saveexec_b32 s3, s3
                                        ; implicit-def: $sgpr4
	s_delay_alu instid0(SALU_CYCLE_1)
	s_xor_b32 exec_lo, exec_lo, s3
	s_cbranch_execnz .LBB64_801
.LBB64_695:
	s_or_b32 exec_lo, exec_lo, s3
	v_mov_b32_e32 v6, s4
	s_and_saveexec_b32 s3, s2
.LBB64_696:
	v_lshrrev_b32_e32 v6, 24, v0
	s_delay_alu instid0(VALU_DEP_1)
	v_and_or_b32 v6, 0x80, v6, v5
.LBB64_697:
	s_or_b32 exec_lo, exec_lo, s3
.LBB64_698:
	s_delay_alu instid0(SALU_CYCLE_1)
	s_or_b32 exec_lo, exec_lo, s1
	global_store_b8 v[2:3], v6, off
.LBB64_699:
	s_mov_b32 s1, -1
.LBB64_700:
	s_mov_b32 s2, 0
.LBB64_701:
	s_delay_alu instid0(SALU_CYCLE_1)
	s_and_b32 vcc_lo, exec_lo, s2
	s_cbranch_vccz .LBB64_742
; %bb.702:
	v_cmp_lt_i16_e32 vcc_lo, 22, v4
	s_mov_b32 s2, -1
	s_cbranch_vccz .LBB64_734
; %bb.703:
	v_cmp_gt_i16_e32 vcc_lo, 24, v4
	s_mov_b32 s1, -1
	s_cbranch_vccnz .LBB64_723
; %bb.704:
	v_cmp_lt_i16_e32 vcc_lo, 24, v4
	s_cbranch_vccz .LBB64_712
; %bb.705:
	v_and_b32_e32 v5, 0x7fffffff, v0
	v_mov_b32_e32 v6, 0x80
	s_mov_b32 s1, exec_lo
	s_delay_alu instid0(VALU_DEP_2)
	v_cmpx_gt_u32_e32 0x47800000, v5
	s_cbranch_execz .LBB64_711
; %bb.706:
	v_cmp_lt_u32_e32 vcc_lo, 0x37ffffff, v5
	s_mov_b32 s2, 0
                                        ; implicit-def: $vgpr5
	s_and_saveexec_b32 s3, vcc_lo
	s_delay_alu instid0(SALU_CYCLE_1)
	s_xor_b32 s3, exec_lo, s3
	s_cbranch_execz .LBB64_803
; %bb.707:
	v_bfe_u32 v5, v0, 21, 1
	s_mov_b32 s2, exec_lo
	s_delay_alu instid0(VALU_DEP_1) | instskip(NEXT) | instid1(VALU_DEP_1)
	v_add3_u32 v5, v0, v5, 0x88fffff
	v_lshrrev_b32_e32 v5, 21, v5
	s_or_saveexec_b32 s3, s3
                                        ; implicit-def: $sgpr4
	s_delay_alu instid0(SALU_CYCLE_1)
	s_xor_b32 exec_lo, exec_lo, s3
	s_cbranch_execnz .LBB64_804
.LBB64_708:
	s_or_b32 exec_lo, exec_lo, s3
	v_mov_b32_e32 v6, s4
	s_and_saveexec_b32 s3, s2
.LBB64_709:
	v_lshrrev_b32_e32 v6, 24, v0
	s_delay_alu instid0(VALU_DEP_1)
	v_and_or_b32 v6, 0x80, v6, v5
.LBB64_710:
	s_or_b32 exec_lo, exec_lo, s3
.LBB64_711:
	s_delay_alu instid0(SALU_CYCLE_1)
	s_or_b32 exec_lo, exec_lo, s1
	s_mov_b32 s1, 0
	global_store_b8 v[2:3], v6, off
.LBB64_712:
	s_and_b32 vcc_lo, exec_lo, s1
	s_cbranch_vccz .LBB64_722
; %bb.713:
	v_and_b32_e32 v6, 0x7fffffff, v0
	s_mov_b32 s1, exec_lo
                                        ; implicit-def: $vgpr5
	s_delay_alu instid0(VALU_DEP_1)
	v_cmpx_gt_u32_e32 0x43f00000, v6
	s_xor_b32 s1, exec_lo, s1
	s_cbranch_execz .LBB64_719
; %bb.714:
	s_mov_b32 s2, exec_lo
                                        ; implicit-def: $vgpr5
	v_cmpx_lt_u32_e32 0x3c7fffff, v6
	s_xor_b32 s2, exec_lo, s2
; %bb.715:
	v_bfe_u32 v5, v0, 20, 1
	s_delay_alu instid0(VALU_DEP_1) | instskip(NEXT) | instid1(VALU_DEP_1)
	v_add3_u32 v5, v0, v5, 0x407ffff
	v_and_b32_e32 v6, 0xff00000, v5
	v_lshrrev_b32_e32 v5, 20, v5
	s_delay_alu instid0(VALU_DEP_2) | instskip(NEXT) | instid1(VALU_DEP_2)
	v_cmp_ne_u32_e32 vcc_lo, 0x7f00000, v6
	v_cndmask_b32_e32 v5, 0x7e, v5, vcc_lo
; %bb.716:
	s_and_not1_saveexec_b32 s2, s2
; %bb.717:
	v_add_f32_e64 v5, 0x46800000, |v0|
; %bb.718:
	s_or_b32 exec_lo, exec_lo, s2
                                        ; implicit-def: $vgpr6
.LBB64_719:
	s_and_not1_saveexec_b32 s1, s1
; %bb.720:
	v_mov_b32_e32 v5, 0x7f
	v_cmp_lt_u32_e32 vcc_lo, 0x7f800000, v6
	s_delay_alu instid0(VALU_DEP_2)
	v_cndmask_b32_e32 v5, 0x7e, v5, vcc_lo
; %bb.721:
	s_or_b32 exec_lo, exec_lo, s1
	v_lshrrev_b32_e32 v6, 24, v0
	s_delay_alu instid0(VALU_DEP_1)
	v_and_or_b32 v5, 0x80, v6, v5
	global_store_b8 v[2:3], v5, off
.LBB64_722:
	s_mov_b32 s1, 0
.LBB64_723:
	s_delay_alu instid0(SALU_CYCLE_1)
	s_and_not1_b32 vcc_lo, exec_lo, s1
	s_cbranch_vccnz .LBB64_733
; %bb.724:
	v_and_b32_e32 v6, 0x7fffffff, v0
	s_mov_b32 s1, exec_lo
                                        ; implicit-def: $vgpr5
	s_delay_alu instid0(VALU_DEP_1)
	v_cmpx_gt_u32_e32 0x47800000, v6
	s_xor_b32 s1, exec_lo, s1
	s_cbranch_execz .LBB64_730
; %bb.725:
	s_mov_b32 s2, exec_lo
                                        ; implicit-def: $vgpr5
	v_cmpx_lt_u32_e32 0x387fffff, v6
	s_xor_b32 s2, exec_lo, s2
; %bb.726:
	v_bfe_u32 v5, v0, 21, 1
	s_delay_alu instid0(VALU_DEP_1) | instskip(NEXT) | instid1(VALU_DEP_1)
	v_add3_u32 v5, v0, v5, 0x80fffff
	v_lshrrev_b32_e32 v5, 21, v5
; %bb.727:
	s_and_not1_saveexec_b32 s2, s2
; %bb.728:
	v_add_f32_e64 v5, 0x43000000, |v0|
; %bb.729:
	s_or_b32 exec_lo, exec_lo, s2
                                        ; implicit-def: $vgpr6
.LBB64_730:
	s_and_not1_saveexec_b32 s1, s1
; %bb.731:
	v_mov_b32_e32 v5, 0x7f
	v_cmp_lt_u32_e32 vcc_lo, 0x7f800000, v6
	s_delay_alu instid0(VALU_DEP_2)
	v_cndmask_b32_e32 v5, 0x7c, v5, vcc_lo
; %bb.732:
	s_or_b32 exec_lo, exec_lo, s1
	v_lshrrev_b32_e32 v6, 24, v0
	s_delay_alu instid0(VALU_DEP_1)
	v_and_or_b32 v5, 0x80, v6, v5
	global_store_b8 v[2:3], v5, off
.LBB64_733:
	s_mov_b32 s2, 0
	s_mov_b32 s1, -1
.LBB64_734:
	s_and_not1_b32 vcc_lo, exec_lo, s2
	s_cbranch_vccnz .LBB64_742
; %bb.735:
	v_cmp_lt_i16_e32 vcc_lo, 14, v4
	s_mov_b32 s2, -1
	s_cbranch_vccz .LBB64_739
; %bb.736:
	v_cmp_eq_u16_e32 vcc_lo, 15, v4
	s_mov_b32 s0, -1
	s_cbranch_vccz .LBB64_738
; %bb.737:
	v_bfe_u32 v5, v0, 16, 1
	v_cmp_o_f32_e32 vcc_lo, v0, v0
	s_mov_b32 s1, -1
	s_mov_b32 s0, 0
	s_delay_alu instid0(VALU_DEP_2) | instskip(NEXT) | instid1(VALU_DEP_1)
	v_add3_u32 v5, v0, v5, 0x7fff
	v_lshrrev_b32_e32 v5, 16, v5
	s_delay_alu instid0(VALU_DEP_1)
	v_cndmask_b32_e32 v5, 0x7fc0, v5, vcc_lo
	global_store_b16 v[2:3], v5, off
.LBB64_738:
	s_mov_b32 s2, 0
.LBB64_739:
	s_delay_alu instid0(SALU_CYCLE_1)
	s_and_b32 vcc_lo, exec_lo, s2
	s_cbranch_vccz .LBB64_742
; %bb.740:
	v_cmp_eq_u16_e32 vcc_lo, 11, v4
	s_mov_b32 s0, -1
	s_cbranch_vccz .LBB64_742
; %bb.741:
	v_or_b32_e32 v5, v0, v1
	s_mov_b32 s0, 0
	s_mov_b32 s1, -1
	s_delay_alu instid0(VALU_DEP_1) | instskip(NEXT) | instid1(VALU_DEP_1)
	v_and_b32_e32 v5, 0x7fffffff, v5
	v_cmp_ne_u32_e32 vcc_lo, 0, v5
	v_cndmask_b32_e64 v5, 0, 1, vcc_lo
	global_store_b8 v[2:3], v5, off
.LBB64_742:
	s_mov_b32 s2, 0
.LBB64_743:
	s_delay_alu instid0(SALU_CYCLE_1)
	s_and_b32 vcc_lo, exec_lo, s2
	s_cbranch_vccz .LBB64_782
; %bb.744:
	v_cmp_gt_i16_e32 vcc_lo, 5, v4
	s_mov_b32 s1, -1
	s_cbranch_vccnz .LBB64_765
; %bb.745:
	v_cmp_gt_i16_e32 vcc_lo, 8, v4
	s_cbranch_vccnz .LBB64_755
; %bb.746:
	v_cmp_gt_i16_e32 vcc_lo, 9, v4
	s_cbranch_vccnz .LBB64_752
; %bb.747:
	v_cmp_lt_i16_e32 vcc_lo, 9, v4
	s_cbranch_vccz .LBB64_749
; %bb.748:
	v_cvt_f64_f32_e32 v[5:6], v0
	v_cvt_f64_f32_e32 v[7:8], v1
	s_mov_b32 s1, 0
	global_store_b128 v[2:3], v[5:8], off
.LBB64_749:
	s_and_not1_b32 vcc_lo, exec_lo, s1
	s_cbranch_vccnz .LBB64_751
; %bb.750:
	global_store_b64 v[2:3], v[0:1], off
.LBB64_751:
	s_mov_b32 s1, 0
.LBB64_752:
	s_delay_alu instid0(SALU_CYCLE_1)
	s_and_not1_b32 vcc_lo, exec_lo, s1
	s_cbranch_vccnz .LBB64_754
; %bb.753:
	v_cvt_f16_f32_e32 v1, v1
	v_cvt_f16_f32_e32 v5, v0
	s_delay_alu instid0(VALU_DEP_2) | instskip(NEXT) | instid1(VALU_DEP_2)
	v_lshlrev_b32_e32 v1, 16, v1
	v_and_b32_e32 v5, 0xffff, v5
	s_delay_alu instid0(VALU_DEP_1)
	v_or_b32_e32 v1, v1, v5
	global_store_b32 v[2:3], v1, off
.LBB64_754:
	s_mov_b32 s1, 0
.LBB64_755:
	s_delay_alu instid0(SALU_CYCLE_1)
	s_and_not1_b32 vcc_lo, exec_lo, s1
	s_cbranch_vccnz .LBB64_764
; %bb.756:
	v_cmp_gt_i16_e32 vcc_lo, 6, v4
	s_mov_b32 s1, -1
	s_cbranch_vccnz .LBB64_762
; %bb.757:
	v_cmp_lt_i16_e32 vcc_lo, 6, v4
	s_cbranch_vccz .LBB64_759
; %bb.758:
	v_cvt_f64_f32_e32 v[5:6], v0
	s_mov_b32 s1, 0
	global_store_b64 v[2:3], v[5:6], off
.LBB64_759:
	s_and_not1_b32 vcc_lo, exec_lo, s1
	s_cbranch_vccnz .LBB64_761
; %bb.760:
	global_store_b32 v[2:3], v0, off
.LBB64_761:
	s_mov_b32 s1, 0
.LBB64_762:
	s_delay_alu instid0(SALU_CYCLE_1)
	s_and_not1_b32 vcc_lo, exec_lo, s1
	s_cbranch_vccnz .LBB64_764
; %bb.763:
	v_cvt_f16_f32_e32 v1, v0
	global_store_b16 v[2:3], v1, off
.LBB64_764:
	s_mov_b32 s1, 0
.LBB64_765:
	s_delay_alu instid0(SALU_CYCLE_1)
	s_and_not1_b32 vcc_lo, exec_lo, s1
	s_cbranch_vccnz .LBB64_781
; %bb.766:
	v_cmp_gt_i16_e32 vcc_lo, 2, v4
	s_mov_b32 s1, -1
	s_cbranch_vccnz .LBB64_776
; %bb.767:
	v_cmp_gt_i16_e32 vcc_lo, 3, v4
	s_cbranch_vccnz .LBB64_773
; %bb.768:
	v_cmp_lt_i16_e32 vcc_lo, 3, v4
	s_cbranch_vccz .LBB64_770
; %bb.769:
	v_trunc_f32_e32 v1, v0
	s_mov_b32 s1, 0
	s_delay_alu instid0(VALU_DEP_1) | instskip(NEXT) | instid1(VALU_DEP_1)
	v_mul_f32_e64 v5, 0x2f800000, |v1|
	v_floor_f32_e32 v5, v5
	s_delay_alu instid0(VALU_DEP_1) | instskip(SKIP_2) | instid1(VALU_DEP_3)
	v_fma_f32 v6, 0xcf800000, v5, |v1|
	v_ashrrev_i32_e32 v1, 31, v1
	v_cvt_u32_f32_e32 v5, v5
	v_cvt_u32_f32_e32 v6, v6
	s_delay_alu instid0(VALU_DEP_2) | instskip(NEXT) | instid1(VALU_DEP_2)
	v_xor_b32_e32 v7, v5, v1
	v_xor_b32_e32 v6, v6, v1
	s_delay_alu instid0(VALU_DEP_1) | instskip(NEXT) | instid1(VALU_DEP_3)
	v_sub_co_u32 v5, vcc_lo, v6, v1
	v_sub_co_ci_u32_e32 v6, vcc_lo, v7, v1, vcc_lo
	global_store_b64 v[2:3], v[5:6], off
.LBB64_770:
	s_and_not1_b32 vcc_lo, exec_lo, s1
	s_cbranch_vccnz .LBB64_772
; %bb.771:
	v_cvt_i32_f32_e32 v1, v0
	global_store_b32 v[2:3], v1, off
.LBB64_772:
	s_mov_b32 s1, 0
.LBB64_773:
	s_delay_alu instid0(SALU_CYCLE_1)
	s_and_not1_b32 vcc_lo, exec_lo, s1
	s_cbranch_vccnz .LBB64_775
; %bb.774:
	v_cvt_i32_f32_e32 v1, v0
	global_store_b16 v[2:3], v1, off
.LBB64_775:
	s_mov_b32 s1, 0
.LBB64_776:
	s_delay_alu instid0(SALU_CYCLE_1)
	s_and_not1_b32 vcc_lo, exec_lo, s1
	s_cbranch_vccnz .LBB64_781
; %bb.777:
	v_cmp_lt_i16_e32 vcc_lo, 0, v4
	s_mov_b32 s1, -1
	s_cbranch_vccz .LBB64_779
; %bb.778:
	v_cvt_i32_f32_e32 v1, v0
	s_mov_b32 s1, 0
	global_store_b8 v[2:3], v1, off
.LBB64_779:
	s_and_not1_b32 vcc_lo, exec_lo, s1
	s_cbranch_vccnz .LBB64_781
; %bb.780:
	v_trunc_f32_e32 v0, v0
	s_delay_alu instid0(VALU_DEP_1) | instskip(NEXT) | instid1(VALU_DEP_1)
	v_mul_f32_e64 v1, 0x2f800000, |v0|
	v_floor_f32_e32 v1, v1
	s_delay_alu instid0(VALU_DEP_1) | instskip(SKIP_1) | instid1(VALU_DEP_2)
	v_fma_f32 v1, 0xcf800000, v1, |v0|
	v_ashrrev_i32_e32 v0, 31, v0
	v_cvt_u32_f32_e32 v1, v1
	s_delay_alu instid0(VALU_DEP_1) | instskip(NEXT) | instid1(VALU_DEP_1)
	v_xor_b32_e32 v1, v1, v0
	v_sub_nc_u32_e32 v0, v1, v0
	global_store_b8 v[2:3], v0, off
.LBB64_781:
	s_mov_b32 s1, -1
.LBB64_782:
	s_delay_alu instid0(SALU_CYCLE_1)
	s_and_not1_b32 vcc_lo, exec_lo, s1
	s_cbranch_vccnz .LBB64_784
; %bb.783:
	v_add_nc_u32_e32 v24, 0x80, v24
	s_mov_b32 s3, -1
	s_branch .LBB64_786
.LBB64_784:
	s_mov_b32 s3, 0
.LBB64_785:
                                        ; implicit-def: $vgpr24
.LBB64_786:
	s_and_not1_b32 s1, s22, exec_lo
	s_and_b32 s0, s0, exec_lo
	s_and_not1_b32 s4, s21, exec_lo
	s_and_b32 s5, s25, exec_lo
	s_or_b32 s2, s1, s0
	s_or_b32 s1, s4, s5
	s_or_not1_b32 s0, s3, exec_lo
.LBB64_787:
	s_or_b32 exec_lo, exec_lo, s24
	s_mov_b32 s4, 0
	s_mov_b32 s5, 0
	s_mov_b32 s6, 0
                                        ; implicit-def: $vgpr3_vgpr4
                                        ; implicit-def: $vgpr2
	s_and_saveexec_b32 s3, s0
	s_cbranch_execz .LBB64_875
; %bb.788:
	s_mov_b32 s0, 0
	s_mov_b32 s8, s1
	;; [unrolled: 1-line block ×3, first 2 shown]
	s_mov_b32 s4, exec_lo
                                        ; implicit-def: $vgpr3_vgpr4
                                        ; implicit-def: $vgpr2
	v_cmpx_gt_i32_e64 s14, v24
	s_cbranch_execz .LBB64_874
; %bb.789:
	s_waitcnt vmcnt(0)
	v_mul_lo_u32 v0, v24, s11
	v_cmp_gt_i16_e32 vcc_lo, 11, v25
	s_delay_alu instid0(VALU_DEP_2) | instskip(SKIP_1) | instid1(VALU_DEP_1)
	v_ashrrev_i32_e32 v1, 31, v0
	v_add_co_u32 v3, s0, s18, v0
	v_add_co_ci_u32_e64 v4, s0, s19, v1, s0
	s_cbranch_vccnz .LBB64_796
; %bb.790:
	v_cmp_lt_i16_e32 vcc_lo, 25, v25
	s_cbranch_vccz .LBB64_797
; %bb.791:
	v_cmp_lt_i16_e32 vcc_lo, 28, v25
	s_cbranch_vccz .LBB64_798
	;; [unrolled: 3-line block ×4, first 2 shown]
; %bb.794:
	v_cmp_eq_u16_e32 vcc_lo, 46, v25
	s_cbranch_vccz .LBB64_805
; %bb.795:
	global_load_b32 v0, v[3:4], off
	s_mov_b32 s0, 0
	s_mov_b32 s6, -1
	s_waitcnt vmcnt(0)
	v_and_b32_e32 v2, 0xffff0000, v0
	v_lshlrev_b32_e32 v1, 16, v0
	s_branch .LBB64_807
.LBB64_796:
	s_mov_b32 s7, -1
	s_mov_b32 s0, s1
                                        ; implicit-def: $vgpr2
	s_branch .LBB64_873
.LBB64_797:
	s_mov_b32 s7, -1
	s_mov_b32 s0, s1
                                        ; implicit-def: $vgpr2
	s_branch .LBB64_840
.LBB64_798:
	s_mov_b32 s7, -1
	s_mov_b32 s0, s1
                                        ; implicit-def: $vgpr2
	s_branch .LBB64_819
.LBB64_799:
	s_mov_b32 s7, -1
	s_mov_b32 s0, s1
                                        ; implicit-def: $vgpr2
	s_branch .LBB64_813
.LBB64_800:
	s_or_saveexec_b32 s3, s3
                                        ; implicit-def: $sgpr4
	s_delay_alu instid0(SALU_CYCLE_1)
	s_xor_b32 exec_lo, exec_lo, s3
	s_cbranch_execz .LBB64_695
.LBB64_801:
	v_add_f32_e64 v5, 0x46000000, |v0|
	s_and_not1_b32 s2, s2, exec_lo
	s_mov_b32 s4, 0
	s_delay_alu instid0(VALU_DEP_1) | instskip(NEXT) | instid1(VALU_DEP_1)
	v_and_b32_e32 v5, 0xff, v5
	v_cmp_ne_u32_e32 vcc_lo, 0, v5
	s_and_b32 s5, vcc_lo, exec_lo
	s_delay_alu instid0(SALU_CYCLE_1)
	s_or_b32 s2, s2, s5
	s_or_b32 exec_lo, exec_lo, s3
	v_mov_b32_e32 v6, s4
	s_and_saveexec_b32 s3, s2
	s_cbranch_execnz .LBB64_696
	s_branch .LBB64_697
.LBB64_802:
	s_mov_b32 s7, -1
	s_mov_b32 s0, s1
	s_branch .LBB64_806
.LBB64_803:
	s_or_saveexec_b32 s3, s3
                                        ; implicit-def: $sgpr4
	s_delay_alu instid0(SALU_CYCLE_1)
	s_xor_b32 exec_lo, exec_lo, s3
	s_cbranch_execz .LBB64_708
.LBB64_804:
	v_add_f32_e64 v5, 0x42800000, |v0|
	s_and_not1_b32 s2, s2, exec_lo
	s_mov_b32 s4, 0
	s_delay_alu instid0(VALU_DEP_1) | instskip(NEXT) | instid1(VALU_DEP_1)
	v_and_b32_e32 v5, 0xff, v5
	v_cmp_ne_u32_e32 vcc_lo, 0, v5
	s_and_b32 s5, vcc_lo, exec_lo
	s_delay_alu instid0(SALU_CYCLE_1)
	s_or_b32 s2, s2, s5
	s_or_b32 exec_lo, exec_lo, s3
	v_mov_b32_e32 v6, s4
	s_and_saveexec_b32 s3, s2
	s_cbranch_execnz .LBB64_709
	s_branch .LBB64_710
.LBB64_805:
	s_mov_b32 s0, -1
.LBB64_806:
                                        ; implicit-def: $vgpr2
.LBB64_807:
	s_and_b32 vcc_lo, exec_lo, s7
	s_cbranch_vccz .LBB64_812
; %bb.808:
	v_cmp_eq_u16_e32 vcc_lo, 44, v25
	s_cbranch_vccz .LBB64_810
; %bb.809:
	global_load_u8 v0, v[3:4], off
	s_mov_b32 s0, 0
	s_mov_b32 s6, -1
	s_waitcnt vmcnt(0)
	v_lshlrev_b32_e32 v1, 23, v0
	v_cmp_ne_u32_e32 vcc_lo, 0xff, v0
	s_delay_alu instid0(VALU_DEP_2) | instskip(SKIP_1) | instid1(VALU_DEP_2)
	v_cndmask_b32_e32 v1, 0x7f800001, v1, vcc_lo
	v_cmp_ne_u32_e32 vcc_lo, 0, v0
	v_cndmask_b32_e32 v1, 0x400000, v1, vcc_lo
	s_branch .LBB64_811
.LBB64_810:
	s_mov_b32 s0, -1
                                        ; implicit-def: $vgpr1
.LBB64_811:
	s_delay_alu instid0(SALU_CYCLE_1)
	v_mov_b32_e32 v2, s0
.LBB64_812:
	s_mov_b32 s7, 0
.LBB64_813:
	s_delay_alu instid0(SALU_CYCLE_1)
	s_and_b32 vcc_lo, exec_lo, s7
	s_cbranch_vccz .LBB64_818
; %bb.814:
	v_cmp_eq_u16_e32 vcc_lo, 29, v25
	s_cbranch_vccz .LBB64_816
; %bb.815:
	global_load_b64 v[0:1], v[3:4], off
	s_mov_b32 s0, 0
	s_mov_b32 s6, -1
	s_mov_b32 s7, 0
	s_waitcnt vmcnt(0)
	v_clz_i32_u32_e32 v2, v1
	s_delay_alu instid0(VALU_DEP_1) | instskip(NEXT) | instid1(VALU_DEP_1)
	v_min_u32_e32 v2, 32, v2
	v_lshlrev_b64 v[0:1], v2, v[0:1]
	s_delay_alu instid0(VALU_DEP_1) | instskip(NEXT) | instid1(VALU_DEP_1)
	v_min_u32_e32 v0, 1, v0
	v_or_b32_e32 v0, v1, v0
	v_sub_nc_u32_e32 v1, 32, v2
	s_delay_alu instid0(VALU_DEP_2) | instskip(NEXT) | instid1(VALU_DEP_1)
	v_cvt_f32_u32_e32 v0, v0
	v_ldexp_f32 v1, v0, v1
	s_branch .LBB64_817
.LBB64_816:
	s_mov_b32 s0, -1
                                        ; implicit-def: $sgpr7
                                        ; implicit-def: $vgpr1
.LBB64_817:
	v_mov_b32_e32 v2, s7
.LBB64_818:
	s_mov_b32 s7, 0
.LBB64_819:
	s_delay_alu instid0(SALU_CYCLE_1)
	s_and_b32 vcc_lo, exec_lo, s7
	s_cbranch_vccz .LBB64_839
; %bb.820:
	v_cmp_gt_i16_e32 vcc_lo, 27, v25
	s_cbranch_vccnz .LBB64_823
; %bb.821:
	v_cmp_lt_i16_e32 vcc_lo, 27, v25
	s_cbranch_vccz .LBB64_824
; %bb.822:
	global_load_b32 v0, v[3:4], off
	s_mov_b32 s7, 0
	s_mov_b32 s6, 0
	s_waitcnt vmcnt(0)
	v_cvt_f32_u32_e32 v1, v0
	s_branch .LBB64_825
.LBB64_823:
	s_mov_b32 s7, -1
                                        ; implicit-def: $sgpr6
                                        ; implicit-def: $vgpr1
	s_branch .LBB64_828
.LBB64_824:
	s_mov_b32 s7, -1
                                        ; implicit-def: $sgpr6
                                        ; implicit-def: $vgpr1
.LBB64_825:
	s_delay_alu instid0(SALU_CYCLE_1)
	s_and_not1_b32 vcc_lo, exec_lo, s7
	s_cbranch_vccnz .LBB64_827
; %bb.826:
	global_load_u16 v0, v[3:4], off
	s_mov_b32 s6, 0
	s_waitcnt vmcnt(0)
	v_cvt_f32_u32_e32 v1, v0
.LBB64_827:
	s_mov_b32 s7, 0
.LBB64_828:
	v_mov_b32_e32 v2, s6
	s_and_not1_b32 vcc_lo, exec_lo, s7
	s_cbranch_vccnz .LBB64_838
; %bb.829:
	global_load_u8 v0, v[3:4], off
	s_mov_b32 s6, 0
	s_mov_b32 s14, exec_lo
                                        ; implicit-def: $sgpr8
                                        ; implicit-def: $sgpr7
	s_waitcnt vmcnt(0)
	v_cmpx_lt_i16_e32 0x7f, v0
	s_xor_b32 s14, exec_lo, s14
	s_cbranch_execz .LBB64_833
; %bb.830:
	s_mov_b32 s6, -1
	s_mov_b32 s24, exec_lo
                                        ; implicit-def: $sgpr8
                                        ; implicit-def: $sgpr7
	v_cmpx_eq_u16_e32 0x80, v0
; %bb.831:
	s_mov_b32 s7, 0x7f800001
	s_mov_b32 s8, 0
	s_xor_b32 s6, exec_lo, -1
; %bb.832:
	s_or_b32 exec_lo, exec_lo, s24
	s_delay_alu instid0(SALU_CYCLE_1)
	s_and_b32 s6, s6, exec_lo
.LBB64_833:
	s_or_saveexec_b32 s14, s14
	v_dual_mov_b32 v2, s8 :: v_dual_mov_b32 v1, s7
	s_xor_b32 exec_lo, exec_lo, s14
; %bb.834:
	v_cmp_ne_u16_e32 vcc_lo, 0, v0
	v_dual_mov_b32 v2, 0 :: v_dual_mov_b32 v1, 0
	s_and_not1_b32 s6, s6, exec_lo
	s_and_b32 s7, vcc_lo, exec_lo
	s_delay_alu instid0(SALU_CYCLE_1)
	s_or_b32 s6, s6, s7
; %bb.835:
	s_or_b32 exec_lo, exec_lo, s14
	s_and_saveexec_b32 s7, s6
	s_cbranch_execz .LBB64_837
; %bb.836:
	v_and_b32_e32 v1, 0xffff, v0
	v_lshlrev_b32_e32 v0, 24, v0
	s_delay_alu instid0(VALU_DEP_2) | instskip(NEXT) | instid1(VALU_DEP_2)
	v_and_b32_e32 v2, 7, v1
	v_and_b32_e32 v0, 0x80000000, v0
	s_delay_alu instid0(VALU_DEP_2) | instskip(NEXT) | instid1(VALU_DEP_1)
	v_clz_i32_u32_e32 v5, v2
	v_min_u32_e32 v5, 32, v5
	s_delay_alu instid0(VALU_DEP_1) | instskip(SKIP_1) | instid1(VALU_DEP_2)
	v_subrev_nc_u32_e32 v6, 28, v5
	v_sub_nc_u32_e32 v5, 29, v5
	v_lshlrev_b32_e32 v6, v6, v1
	v_bfe_u32 v1, v1, 3, 4
	s_delay_alu instid0(VALU_DEP_1) | instskip(NEXT) | instid1(VALU_DEP_3)
	v_cmp_eq_u32_e32 vcc_lo, 0, v1
	v_dual_cndmask_b32 v1, v1, v5 :: v_dual_and_b32 v6, 7, v6
	s_delay_alu instid0(VALU_DEP_1) | instskip(NEXT) | instid1(VALU_DEP_2)
	v_cndmask_b32_e32 v2, v2, v6, vcc_lo
	v_lshl_add_u32 v1, v1, 23, 0x3b800000
	s_delay_alu instid0(VALU_DEP_2) | instskip(NEXT) | instid1(VALU_DEP_1)
	v_lshlrev_b32_e32 v2, 20, v2
	v_or3_b32 v1, v0, v1, v2
	v_mov_b32_e32 v2, 0
.LBB64_837:
	s_or_b32 exec_lo, exec_lo, s7
.LBB64_838:
	s_mov_b32 s6, -1
.LBB64_839:
	s_mov_b32 s7, 0
.LBB64_840:
	s_delay_alu instid0(SALU_CYCLE_1)
	s_and_b32 vcc_lo, exec_lo, s7
	s_cbranch_vccz .LBB64_872
; %bb.841:
	v_cmp_lt_i16_e32 vcc_lo, 22, v25
	s_cbranch_vccz .LBB64_853
; %bb.842:
	v_cmp_gt_i16_e32 vcc_lo, 24, v25
	s_cbranch_vccnz .LBB64_854
; %bb.843:
	v_cmp_lt_i16_e32 vcc_lo, 24, v25
	s_cbranch_vccz .LBB64_855
; %bb.844:
	global_load_u8 v0, v[3:4], off
	s_mov_b32 s8, exec_lo
                                        ; implicit-def: $sgpr7
                                        ; implicit-def: $sgpr6
	s_waitcnt vmcnt(0)
	v_cmpx_lt_i16_e32 0x7f, v0
	s_xor_b32 s8, exec_lo, s8
	s_cbranch_execz .LBB64_848
; %bb.845:
	s_mov_b32 s5, -1
	s_mov_b32 s14, exec_lo
                                        ; implicit-def: $sgpr7
                                        ; implicit-def: $sgpr6
	v_cmpx_eq_u16_e32 0x80, v0
; %bb.846:
	s_mov_b32 s6, 0x7f800001
	s_mov_b32 s7, 0
	s_xor_b32 s5, exec_lo, -1
; %bb.847:
	s_or_b32 exec_lo, exec_lo, s14
	s_delay_alu instid0(SALU_CYCLE_1)
	s_and_b32 s5, s5, exec_lo
.LBB64_848:
	s_or_saveexec_b32 s8, s8
	v_dual_mov_b32 v2, s7 :: v_dual_mov_b32 v1, s6
	s_xor_b32 exec_lo, exec_lo, s8
; %bb.849:
	v_cmp_ne_u16_e32 vcc_lo, 0, v0
	v_dual_mov_b32 v2, 0 :: v_dual_mov_b32 v1, 0
	s_and_not1_b32 s5, s5, exec_lo
	s_and_b32 s6, vcc_lo, exec_lo
	s_delay_alu instid0(SALU_CYCLE_1)
	s_or_b32 s5, s5, s6
; %bb.850:
	s_or_b32 exec_lo, exec_lo, s8
	s_and_saveexec_b32 s6, s5
	s_cbranch_execz .LBB64_852
; %bb.851:
	v_and_b32_e32 v1, 0xffff, v0
	v_lshlrev_b32_e32 v0, 24, v0
	s_delay_alu instid0(VALU_DEP_2) | instskip(NEXT) | instid1(VALU_DEP_2)
	v_and_b32_e32 v2, 3, v1
	v_and_b32_e32 v0, 0x80000000, v0
	s_delay_alu instid0(VALU_DEP_2) | instskip(NEXT) | instid1(VALU_DEP_1)
	v_clz_i32_u32_e32 v5, v2
	v_min_u32_e32 v5, 32, v5
	s_delay_alu instid0(VALU_DEP_1) | instskip(SKIP_1) | instid1(VALU_DEP_2)
	v_subrev_nc_u32_e32 v6, 29, v5
	v_sub_nc_u32_e32 v5, 30, v5
	v_lshlrev_b32_e32 v6, v6, v1
	v_bfe_u32 v1, v1, 2, 5
	s_delay_alu instid0(VALU_DEP_1) | instskip(NEXT) | instid1(VALU_DEP_3)
	v_cmp_eq_u32_e32 vcc_lo, 0, v1
	v_dual_cndmask_b32 v1, v1, v5 :: v_dual_and_b32 v6, 3, v6
	s_delay_alu instid0(VALU_DEP_1) | instskip(NEXT) | instid1(VALU_DEP_2)
	v_cndmask_b32_e32 v2, v2, v6, vcc_lo
	v_lshl_add_u32 v1, v1, 23, 0x37800000
	s_delay_alu instid0(VALU_DEP_2) | instskip(NEXT) | instid1(VALU_DEP_1)
	v_lshlrev_b32_e32 v2, 21, v2
	v_or3_b32 v1, v0, v1, v2
	v_mov_b32_e32 v2, 0
.LBB64_852:
	s_or_b32 exec_lo, exec_lo, s6
	s_mov_b32 s5, 0
	s_branch .LBB64_856
.LBB64_853:
	s_mov_b32 s5, -1
                                        ; implicit-def: $vgpr2
	s_branch .LBB64_862
.LBB64_854:
	s_mov_b32 s5, -1
                                        ; implicit-def: $vgpr2
	s_branch .LBB64_859
.LBB64_855:
	s_mov_b32 s5, -1
                                        ; implicit-def: $vgpr2
.LBB64_856:
	s_delay_alu instid0(SALU_CYCLE_1)
	s_and_b32 vcc_lo, exec_lo, s5
	s_cbranch_vccz .LBB64_858
; %bb.857:
	global_load_u8 v0, v[3:4], off
	s_waitcnt vmcnt(0)
	v_lshlrev_b32_e32 v0, 24, v0
	s_delay_alu instid0(VALU_DEP_1) | instskip(NEXT) | instid1(VALU_DEP_1)
	v_and_b32_e32 v1, 0x7f000000, v0
	v_clz_i32_u32_e32 v2, v1
	v_add_nc_u32_e32 v6, 0x1000000, v1
	v_cmp_ne_u32_e32 vcc_lo, 0, v1
	s_delay_alu instid0(VALU_DEP_3) | instskip(NEXT) | instid1(VALU_DEP_1)
	v_min_u32_e32 v2, 32, v2
	v_sub_nc_u32_e64 v2, v2, 4 clamp
	s_delay_alu instid0(VALU_DEP_1) | instskip(SKIP_1) | instid1(VALU_DEP_2)
	v_lshlrev_b32_e32 v5, v2, v1
	v_lshlrev_b32_e32 v2, 23, v2
	v_lshrrev_b32_e32 v5, 4, v5
	s_delay_alu instid0(VALU_DEP_1) | instskip(SKIP_1) | instid1(VALU_DEP_2)
	v_sub_nc_u32_e32 v2, v5, v2
	v_ashrrev_i32_e32 v5, 8, v6
	v_add_nc_u32_e32 v2, 0x3c000000, v2
	s_delay_alu instid0(VALU_DEP_1) | instskip(NEXT) | instid1(VALU_DEP_1)
	v_and_or_b32 v2, 0x7f800000, v5, v2
	v_dual_cndmask_b32 v1, 0, v2 :: v_dual_mov_b32 v2, 0
	s_delay_alu instid0(VALU_DEP_1)
	v_and_or_b32 v1, 0x80000000, v0, v1
.LBB64_858:
	s_mov_b32 s5, 0
.LBB64_859:
	s_delay_alu instid0(SALU_CYCLE_1)
	s_and_not1_b32 vcc_lo, exec_lo, s5
	s_cbranch_vccnz .LBB64_861
; %bb.860:
	global_load_u8 v0, v[3:4], off
	s_waitcnt vmcnt(0)
	v_lshlrev_b32_e32 v1, 25, v0
	v_lshlrev_b16 v0, 8, v0
	s_delay_alu instid0(VALU_DEP_2) | instskip(NEXT) | instid1(VALU_DEP_2)
	v_lshrrev_b32_e32 v2, 4, v1
	v_and_or_b32 v5, 0x7f00, v0, 0.5
	v_bfe_i32 v0, v0, 0, 16
	s_delay_alu instid0(VALU_DEP_3) | instskip(NEXT) | instid1(VALU_DEP_1)
	v_or_b32_e32 v2, 0x70000000, v2
	v_dual_add_f32 v5, -0.5, v5 :: v_dual_mul_f32 v2, 0x7800000, v2
	v_cmp_gt_u32_e32 vcc_lo, 0x8000000, v1
	s_delay_alu instid0(VALU_DEP_2) | instskip(NEXT) | instid1(VALU_DEP_1)
	v_dual_cndmask_b32 v1, v2, v5 :: v_dual_mov_b32 v2, 0
	v_and_or_b32 v1, 0x80000000, v0, v1
.LBB64_861:
	s_mov_b32 s5, 0
	s_mov_b32 s6, -1
.LBB64_862:
	s_and_not1_b32 vcc_lo, exec_lo, s5
	s_mov_b32 s5, 0
	s_cbranch_vccnz .LBB64_872
; %bb.863:
	v_cmp_lt_i16_e32 vcc_lo, 14, v25
	s_cbranch_vccz .LBB64_866
; %bb.864:
	v_cmp_eq_u16_e32 vcc_lo, 15, v25
	s_cbranch_vccz .LBB64_867
; %bb.865:
	global_load_u16 v0, v[3:4], off
	s_mov_b32 s0, 0
	s_mov_b32 s6, -1
	s_mov_b32 s7, 0
	s_waitcnt vmcnt(0)
	v_lshlrev_b32_e32 v1, 16, v0
	s_branch .LBB64_869
.LBB64_866:
	s_mov_b32 s5, -1
	s_branch .LBB64_868
.LBB64_867:
	s_mov_b32 s0, -1
.LBB64_868:
                                        ; implicit-def: $sgpr7
                                        ; implicit-def: $vgpr1
.LBB64_869:
	s_and_b32 vcc_lo, exec_lo, s5
	s_mov_b32 s5, 0
	s_cbranch_vccz .LBB64_871
; %bb.870:
	v_cmp_ne_u16_e32 vcc_lo, 11, v25
	s_and_not1_b32 s0, s0, exec_lo
	s_mov_b32 s5, -1
                                        ; implicit-def: $vgpr1
	s_and_b32 s7, vcc_lo, exec_lo
	s_delay_alu instid0(SALU_CYCLE_1)
	s_or_b32 s0, s0, s7
                                        ; implicit-def: $sgpr7
.LBB64_871:
	v_mov_b32_e32 v2, s7
.LBB64_872:
	s_mov_b32 s7, 0
.LBB64_873:
	s_and_not1_b32 s8, s1, exec_lo
	s_and_b32 s14, s0, exec_lo
	s_and_b32 s6, s6, exec_lo
	;; [unrolled: 1-line block ×4, first 2 shown]
	s_or_b32 s8, s8, s14
.LBB64_874:
	s_or_b32 exec_lo, exec_lo, s4
	s_delay_alu instid0(SALU_CYCLE_1)
	s_and_b32 s5, s7, exec_lo
	s_and_not1_b32 s1, s1, exec_lo
	s_and_b32 s7, s8, exec_lo
	s_and_b32 s6, s6, exec_lo
	;; [unrolled: 1-line block ×3, first 2 shown]
	s_or_b32 s1, s1, s7
.LBB64_875:
	s_or_b32 exec_lo, exec_lo, s3
	s_delay_alu instid0(SALU_CYCLE_1)
	s_and_not1_b32 s0, s22, exec_lo
	s_and_b32 s2, s2, exec_lo
	s_and_not1_b32 s3, s21, exec_lo
	s_or_b32 s22, s0, s2
	s_and_b32 s2, s5, exec_lo
	s_and_b32 s5, s1, exec_lo
	;; [unrolled: 1-line block ×4, first 2 shown]
	s_or_b32 s21, s3, s5
.LBB64_876:
	s_or_b32 exec_lo, exec_lo, s23
	s_delay_alu instid0(SALU_CYCLE_1)
	s_and_not1_b32 s3, s13, exec_lo
	s_and_b32 s4, s22, exec_lo
	s_and_b32 s0, s0, exec_lo
	s_or_b32 s13, s3, s4
	s_and_not1_b32 s3, s15, exec_lo
	s_and_b32 s4, s21, exec_lo
	s_and_b32 s2, s2, exec_lo
	;; [unrolled: 1-line block ×3, first 2 shown]
	s_or_b32 s15, s3, s4
.LBB64_877:
	s_or_b32 exec_lo, exec_lo, s20
	s_mov_b32 s14, 0
	s_and_saveexec_b32 s1, s15
	s_cbranch_execnz .LBB64_889
; %bb.878:
	s_or_b32 exec_lo, exec_lo, s1
	s_and_saveexec_b32 s1, s21
	s_delay_alu instid0(SALU_CYCLE_1)
	s_xor_b32 s1, exec_lo, s1
	s_cbranch_execz .LBB64_880
.LBB64_879:
	global_load_u8 v0, v[3:4], off
	v_mov_b32_e32 v2, 0
	s_or_b32 s0, s0, exec_lo
	s_waitcnt vmcnt(0)
	v_cmp_ne_u16_e32 vcc_lo, 0, v0
	v_cndmask_b32_e64 v1, 0, 1.0, vcc_lo
.LBB64_880:
	s_or_b32 exec_lo, exec_lo, s1
	s_and_saveexec_b32 s1, s2
	s_cbranch_execz .LBB64_930
; %bb.881:
	v_cmp_gt_i16_e32 vcc_lo, 5, v25
	s_cbranch_vccnz .LBB64_886
; %bb.882:
	v_cmp_gt_i16_e32 vcc_lo, 8, v25
	s_cbranch_vccnz .LBB64_887
	;; [unrolled: 3-line block ×3, first 2 shown]
; %bb.884:
	v_cmp_lt_i16_e32 vcc_lo, 9, v25
	s_cbranch_vccz .LBB64_891
; %bb.885:
	global_load_b128 v[5:8], v[3:4], off
	s_mov_b32 s2, 0
	s_waitcnt vmcnt(0)
	v_cvt_f32_f64_e32 v1, v[5:6]
	v_cvt_f32_f64_e32 v2, v[7:8]
	s_branch .LBB64_892
.LBB64_886:
                                        ; implicit-def: $vgpr2
	s_branch .LBB64_910
.LBB64_887:
                                        ; implicit-def: $vgpr2
	s_branch .LBB64_898
.LBB64_888:
	s_mov_b32 s2, -1
                                        ; implicit-def: $vgpr2
	s_branch .LBB64_895
.LBB64_889:
	s_cbranch_execnz .LBB64_939
; %bb.890:
	s_mov_b32 s14, exec_lo
	s_and_not1_b32 s21, s21, exec_lo
                                        ; implicit-def: $vgpr2
	s_or_b32 exec_lo, exec_lo, s1
	s_and_saveexec_b32 s1, s21
	s_delay_alu instid0(SALU_CYCLE_1)
	s_xor_b32 s1, exec_lo, s1
	s_cbranch_execnz .LBB64_879
	s_branch .LBB64_880
.LBB64_891:
	s_mov_b32 s2, -1
                                        ; implicit-def: $vgpr2
.LBB64_892:
	s_delay_alu instid0(SALU_CYCLE_1)
	s_and_not1_b32 vcc_lo, exec_lo, s2
	s_cbranch_vccnz .LBB64_894
; %bb.893:
	global_load_b64 v[1:2], v[3:4], off
.LBB64_894:
	s_mov_b32 s2, 0
.LBB64_895:
	s_delay_alu instid0(SALU_CYCLE_1)
	s_and_not1_b32 vcc_lo, exec_lo, s2
	s_cbranch_vccnz .LBB64_897
; %bb.896:
	global_load_b32 v0, v[3:4], off
	s_waitcnt vmcnt(0)
	v_lshrrev_b32_e32 v2, 16, v0
	v_cvt_f32_f16_e32 v1, v0
	s_delay_alu instid0(VALU_DEP_2)
	v_cvt_f32_f16_e32 v2, v2
.LBB64_897:
	s_cbranch_execnz .LBB64_909
.LBB64_898:
	v_cmp_gt_i16_e32 vcc_lo, 6, v25
	s_cbranch_vccnz .LBB64_901
; %bb.899:
	v_cmp_lt_i16_e32 vcc_lo, 6, v25
	s_cbranch_vccz .LBB64_902
; %bb.900:
	global_load_b64 v[0:1], v[3:4], off
	s_mov_b32 s3, 0
	s_mov_b32 s2, 0
	s_waitcnt vmcnt(0)
	v_cvt_f32_f64_e32 v1, v[0:1]
	s_branch .LBB64_903
.LBB64_901:
	s_mov_b32 s3, -1
                                        ; implicit-def: $sgpr2
                                        ; implicit-def: $vgpr1
	s_branch .LBB64_906
.LBB64_902:
	s_mov_b32 s3, -1
                                        ; implicit-def: $sgpr2
                                        ; implicit-def: $vgpr1
.LBB64_903:
	s_delay_alu instid0(SALU_CYCLE_1)
	s_and_not1_b32 vcc_lo, exec_lo, s3
	s_cbranch_vccnz .LBB64_905
; %bb.904:
	global_load_b32 v1, v[3:4], off
	s_mov_b32 s2, 0
.LBB64_905:
	s_mov_b32 s3, 0
.LBB64_906:
	s_delay_alu instid0(SALU_CYCLE_1)
	s_and_not1_b32 vcc_lo, exec_lo, s3
	s_cbranch_vccnz .LBB64_908
; %bb.907:
	global_load_u16 v0, v[3:4], off
	s_mov_b32 s2, 0
	s_waitcnt vmcnt(0)
	v_cvt_f32_f16_e32 v1, v0
.LBB64_908:
	s_waitcnt vmcnt(0)
	v_mov_b32_e32 v2, s2
.LBB64_909:
	s_cbranch_execnz .LBB64_929
.LBB64_910:
	v_cmp_gt_i16_e32 vcc_lo, 2, v25
	s_cbranch_vccnz .LBB64_914
; %bb.911:
	v_cmp_gt_i16_e32 vcc_lo, 3, v25
	s_cbranch_vccnz .LBB64_915
; %bb.912:
	v_cmp_lt_i16_e32 vcc_lo, 3, v25
	s_cbranch_vccz .LBB64_916
; %bb.913:
	global_load_b64 v[0:1], v[3:4], off
	s_mov_b32 s3, 0
	s_mov_b32 s2, 0
	s_waitcnt vmcnt(0)
	v_xor_b32_e32 v2, v0, v1
	v_cls_i32_e32 v5, v1
	s_delay_alu instid0(VALU_DEP_2) | instskip(NEXT) | instid1(VALU_DEP_2)
	v_ashrrev_i32_e32 v2, 31, v2
	v_add_nc_u32_e32 v5, -1, v5
	s_delay_alu instid0(VALU_DEP_2) | instskip(NEXT) | instid1(VALU_DEP_1)
	v_add_nc_u32_e32 v2, 32, v2
	v_min_u32_e32 v2, v5, v2
	s_delay_alu instid0(VALU_DEP_1) | instskip(NEXT) | instid1(VALU_DEP_1)
	v_lshlrev_b64 v[0:1], v2, v[0:1]
	v_min_u32_e32 v0, 1, v0
	s_delay_alu instid0(VALU_DEP_1) | instskip(SKIP_1) | instid1(VALU_DEP_2)
	v_or_b32_e32 v0, v1, v0
	v_sub_nc_u32_e32 v1, 32, v2
	v_cvt_f32_i32_e32 v0, v0
	s_delay_alu instid0(VALU_DEP_1)
	v_ldexp_f32 v1, v0, v1
	s_branch .LBB64_917
.LBB64_914:
                                        ; implicit-def: $sgpr2
                                        ; implicit-def: $vgpr1
	s_branch .LBB64_923
.LBB64_915:
	s_mov_b32 s3, -1
                                        ; implicit-def: $sgpr2
                                        ; implicit-def: $vgpr1
	s_branch .LBB64_920
.LBB64_916:
	s_mov_b32 s3, -1
                                        ; implicit-def: $sgpr2
                                        ; implicit-def: $vgpr1
.LBB64_917:
	s_delay_alu instid0(SALU_CYCLE_1)
	s_and_not1_b32 vcc_lo, exec_lo, s3
	s_cbranch_vccnz .LBB64_919
; %bb.918:
	global_load_b32 v0, v[3:4], off
	s_mov_b32 s2, 0
	s_waitcnt vmcnt(0)
	v_cvt_f32_i32_e32 v1, v0
.LBB64_919:
	s_mov_b32 s3, 0
.LBB64_920:
	s_delay_alu instid0(SALU_CYCLE_1)
	s_and_not1_b32 vcc_lo, exec_lo, s3
	s_cbranch_vccnz .LBB64_922
; %bb.921:
	global_load_i16 v0, v[3:4], off
	s_mov_b32 s2, 0
	s_waitcnt vmcnt(0)
	v_cvt_f32_i32_e32 v1, v0
.LBB64_922:
	s_cbranch_execnz .LBB64_928
.LBB64_923:
	v_cmp_lt_i16_e32 vcc_lo, 0, v25
	s_mov_b32 s3, 0
	s_cbranch_vccz .LBB64_925
; %bb.924:
	global_load_i8 v0, v[3:4], off
	s_mov_b32 s2, 0
	s_waitcnt vmcnt(0)
	v_cvt_f32_i32_e32 v1, v0
	s_branch .LBB64_926
.LBB64_925:
	s_mov_b32 s3, -1
                                        ; implicit-def: $sgpr2
                                        ; implicit-def: $vgpr1
.LBB64_926:
	s_delay_alu instid0(SALU_CYCLE_1)
	s_and_not1_b32 vcc_lo, exec_lo, s3
	s_cbranch_vccnz .LBB64_928
; %bb.927:
	global_load_u8 v0, v[3:4], off
	s_mov_b32 s2, 0
	s_waitcnt vmcnt(0)
	v_cvt_f32_ubyte0_e32 v1, v0
.LBB64_928:
	s_waitcnt vmcnt(0)
	v_mov_b32_e32 v2, s2
.LBB64_929:
	s_or_b32 s0, s0, exec_lo
.LBB64_930:
	s_or_b32 exec_lo, exec_lo, s1
	s_mov_b32 s2, 0
	s_mov_b32 s1, 0
                                        ; implicit-def: $vgpr5
                                        ; implicit-def: $vgpr3_vgpr4
                                        ; implicit-def: $vgpr0
	s_and_saveexec_b32 s15, s0
	s_cbranch_execz .LBB64_1010
; %bb.931:
	s_waitcnt vmcnt(0)
	s_delay_alu instid0(VALU_DEP_1) | instskip(SKIP_3) | instid1(SALU_CYCLE_1)
	v_dual_mov_b32 v0, v1 :: v_dual_mov_b32 v1, v2
	s_getpc_b64 s[0:1]
	s_add_u32 s0, s0, _ZN16c10_complex_math3expIfEEN3c107complexIT_EERKS4_@rel32@lo+4
	s_addc_u32 s1, s1, _ZN16c10_complex_math3expIfEEN3c107complexIT_EERKS4_@rel32@hi+12
	s_swappc_b64 s[30:31], s[0:1]
	v_mul_lo_u32 v2, v24, s10
	v_and_b32_e32 v5, 0xff, v23
	s_delay_alu instid0(VALU_DEP_1) | instskip(NEXT) | instid1(VALU_DEP_3)
	v_cmp_gt_i16_e32 vcc_lo, 11, v5
	v_ashrrev_i32_e32 v4, 31, v2
	v_add_co_u32 v3, s0, s16, v2
	s_delay_alu instid0(VALU_DEP_1)
	v_add_co_ci_u32_e64 v4, s0, s17, v4, s0
	s_cbranch_vccnz .LBB64_938
; %bb.932:
	v_cmp_lt_i16_e32 vcc_lo, 25, v5
	s_mov_b32 s1, -1
	s_mov_b32 s0, s13
	s_cbranch_vccz .LBB64_968
; %bb.933:
	v_cmp_lt_i16_e32 vcc_lo, 28, v5
	s_mov_b32 s0, s13
	s_cbranch_vccz .LBB64_952
; %bb.934:
	v_cmp_lt_i16_e32 vcc_lo, 43, v5
	;; [unrolled: 4-line block ×3, first 2 shown]
	s_mov_b32 s0, s13
	s_cbranch_vccz .LBB64_942
; %bb.936:
	v_cmp_eq_u16_e32 vcc_lo, 46, v5
	s_mov_b32 s0, -1
	s_cbranch_vccz .LBB64_941
; %bb.937:
	v_bfe_u32 v2, v1, 16, 1
	v_bfe_u32 v6, v0, 16, 1
	v_cmp_o_f32_e32 vcc_lo, v1, v1
	s_mov_b32 s0, 0
	s_mov_b32 s1, 0
	v_add3_u32 v2, v1, v2, 0x7fff
	v_add3_u32 v6, v0, v6, 0x7fff
	s_delay_alu instid0(VALU_DEP_2) | instskip(NEXT) | instid1(VALU_DEP_2)
	v_and_b32_e32 v2, 0xffff0000, v2
	v_lshrrev_b32_e32 v6, 16, v6
	s_delay_alu instid0(VALU_DEP_2) | instskip(SKIP_1) | instid1(VALU_DEP_3)
	v_cndmask_b32_e32 v2, 0x7fc00000, v2, vcc_lo
	v_cmp_o_f32_e32 vcc_lo, v0, v0
	v_cndmask_b32_e32 v6, 0x7fc0, v6, vcc_lo
	s_delay_alu instid0(VALU_DEP_1)
	v_or_b32_e32 v2, v2, v6
	global_store_b32 v[3:4], v2, off
	s_branch .LBB64_942
.LBB64_938:
	s_mov_b32 s2, 0
	s_mov_b32 s1, -1
	s_mov_b32 s0, s13
	s_branch .LBB64_1009
.LBB64_939:
	s_trap 2
	s_sendmsg_rtn_b32 s0, sendmsg(MSG_RTN_GET_DOORBELL)
	s_mov_b32 ttmp2, m0
	s_waitcnt lgkmcnt(0)
	s_and_b32 s0, s0, 0x3ff
	s_delay_alu instid0(SALU_CYCLE_1) | instskip(NEXT) | instid1(SALU_CYCLE_1)
	s_bitset1_b32 s0, 10
	s_mov_b32 m0, s0
	s_sendmsg sendmsg(MSG_INTERRUPT)
	s_mov_b32 m0, ttmp2
.LBB64_940:                             ; =>This Inner Loop Header: Depth=1
	s_sethalt 5
	s_branch .LBB64_940
.LBB64_941:
	s_mov_b32 s1, 0
.LBB64_942:
	s_delay_alu instid0(SALU_CYCLE_1)
	s_and_b32 vcc_lo, exec_lo, s1
	s_cbranch_vccz .LBB64_947
; %bb.943:
	v_cmp_eq_u16_e32 vcc_lo, 44, v5
	s_mov_b32 s0, -1
	s_cbranch_vccz .LBB64_947
; %bb.944:
	v_bfe_u32 v6, v0, 23, 8
	v_mov_b32_e32 v2, 0xff
	s_mov_b32 s1, exec_lo
	s_delay_alu instid0(VALU_DEP_2)
	v_cmpx_ne_u32_e32 0xff, v6
; %bb.945:
	v_and_b32_e32 v2, 0x400000, v0
	v_and_or_b32 v6, 0x3fffff, v0, v6
	s_delay_alu instid0(VALU_DEP_2) | instskip(NEXT) | instid1(VALU_DEP_2)
	v_cmp_ne_u32_e32 vcc_lo, 0, v2
	v_cmp_ne_u32_e64 s0, 0, v6
	v_lshrrev_b32_e32 v2, 23, v0
	s_delay_alu instid0(VALU_DEP_2) | instskip(NEXT) | instid1(SALU_CYCLE_1)
	s_and_b32 s0, vcc_lo, s0
	v_cndmask_b32_e64 v6, 0, 1, s0
	s_delay_alu instid0(VALU_DEP_1)
	v_add_nc_u32_e32 v2, v2, v6
; %bb.946:
	s_or_b32 exec_lo, exec_lo, s1
	s_mov_b32 s0, 0
	global_store_b8 v[3:4], v2, off
.LBB64_947:
	s_mov_b32 s1, 0
.LBB64_948:
	s_delay_alu instid0(SALU_CYCLE_1)
	s_and_b32 vcc_lo, exec_lo, s1
	s_cbranch_vccz .LBB64_951
; %bb.949:
	v_cmp_eq_u16_e32 vcc_lo, 29, v5
	s_mov_b32 s0, -1
	s_cbranch_vccz .LBB64_951
; %bb.950:
	v_trunc_f32_e32 v2, v0
	s_mov_b32 s0, 0
	s_mov_b32 s1, 0
	s_delay_alu instid0(VALU_DEP_1) | instskip(NEXT) | instid1(VALU_DEP_1)
	v_mul_f32_e32 v6, 0x2f800000, v2
	v_floor_f32_e32 v6, v6
	s_delay_alu instid0(VALU_DEP_1) | instskip(SKIP_1) | instid1(VALU_DEP_2)
	v_fmamk_f32 v2, v6, 0xcf800000, v2
	v_cvt_u32_f32_e32 v7, v6
	v_cvt_u32_f32_e32 v6, v2
	global_store_b64 v[3:4], v[6:7], off
	s_branch .LBB64_952
.LBB64_951:
	s_mov_b32 s1, 0
.LBB64_952:
	s_delay_alu instid0(SALU_CYCLE_1)
	s_and_b32 vcc_lo, exec_lo, s1
	s_cbranch_vccz .LBB64_967
; %bb.953:
	v_cmp_gt_i16_e32 vcc_lo, 27, v5
	s_mov_b32 s1, -1
	s_cbranch_vccnz .LBB64_959
; %bb.954:
	v_cmp_lt_i16_e32 vcc_lo, 27, v5
	v_cvt_u32_f32_e32 v2, v0
	s_cbranch_vccz .LBB64_956
; %bb.955:
	s_mov_b32 s1, 0
	global_store_b32 v[3:4], v2, off
.LBB64_956:
	s_and_not1_b32 vcc_lo, exec_lo, s1
	s_cbranch_vccnz .LBB64_958
; %bb.957:
	global_store_b16 v[3:4], v2, off
.LBB64_958:
	s_mov_b32 s1, 0
.LBB64_959:
	s_delay_alu instid0(SALU_CYCLE_1)
	s_and_not1_b32 vcc_lo, exec_lo, s1
	s_cbranch_vccnz .LBB64_967
; %bb.960:
	v_and_b32_e32 v2, 0x7fffffff, v0
	v_mov_b32_e32 v6, 0x80
	s_mov_b32 s1, exec_lo
	s_delay_alu instid0(VALU_DEP_2)
	v_cmpx_gt_u32_e32 0x43800000, v2
	s_cbranch_execz .LBB64_966
; %bb.961:
	v_cmp_lt_u32_e32 vcc_lo, 0x3bffffff, v2
	s_mov_b32 s2, 0
                                        ; implicit-def: $vgpr2
	s_and_saveexec_b32 s3, vcc_lo
	s_delay_alu instid0(SALU_CYCLE_1)
	s_xor_b32 s3, exec_lo, s3
	s_cbranch_execz .LBB64_1207
; %bb.962:
	v_bfe_u32 v2, v0, 20, 1
	s_mov_b32 s2, exec_lo
	s_delay_alu instid0(VALU_DEP_1) | instskip(NEXT) | instid1(VALU_DEP_1)
	v_add3_u32 v2, v0, v2, 0x487ffff
	v_lshrrev_b32_e32 v2, 20, v2
	s_or_saveexec_b32 s3, s3
                                        ; implicit-def: $sgpr4
	s_delay_alu instid0(SALU_CYCLE_1)
	s_xor_b32 exec_lo, exec_lo, s3
	s_cbranch_execnz .LBB64_1208
.LBB64_963:
	s_or_b32 exec_lo, exec_lo, s3
	v_mov_b32_e32 v6, s4
	s_and_saveexec_b32 s3, s2
.LBB64_964:
	v_lshrrev_b32_e32 v6, 24, v0
	s_delay_alu instid0(VALU_DEP_1)
	v_and_or_b32 v6, 0x80, v6, v2
.LBB64_965:
	s_or_b32 exec_lo, exec_lo, s3
.LBB64_966:
	s_delay_alu instid0(SALU_CYCLE_1)
	s_or_b32 exec_lo, exec_lo, s1
	global_store_b8 v[3:4], v6, off
.LBB64_967:
	s_mov_b32 s1, 0
.LBB64_968:
	s_delay_alu instid0(SALU_CYCLE_1)
	s_and_b32 vcc_lo, exec_lo, s1
	s_mov_b32 s1, 0
	s_cbranch_vccz .LBB64_1008
; %bb.969:
	v_cmp_lt_i16_e32 vcc_lo, 22, v5
	s_mov_b32 s2, -1
	s_cbranch_vccz .LBB64_1001
; %bb.970:
	v_cmp_gt_i16_e32 vcc_lo, 24, v5
	s_cbranch_vccnz .LBB64_990
; %bb.971:
	v_cmp_lt_i16_e32 vcc_lo, 24, v5
	s_cbranch_vccz .LBB64_979
; %bb.972:
	v_and_b32_e32 v2, 0x7fffffff, v0
	v_mov_b32_e32 v6, 0x80
	s_mov_b32 s2, exec_lo
	s_delay_alu instid0(VALU_DEP_2)
	v_cmpx_gt_u32_e32 0x47800000, v2
	s_cbranch_execz .LBB64_978
; %bb.973:
	v_cmp_lt_u32_e32 vcc_lo, 0x37ffffff, v2
	s_mov_b32 s3, 0
                                        ; implicit-def: $vgpr2
	s_and_saveexec_b32 s4, vcc_lo
	s_delay_alu instid0(SALU_CYCLE_1)
	s_xor_b32 s4, exec_lo, s4
	s_cbranch_execz .LBB64_1252
; %bb.974:
	v_bfe_u32 v2, v0, 21, 1
	s_mov_b32 s3, exec_lo
	s_delay_alu instid0(VALU_DEP_1) | instskip(NEXT) | instid1(VALU_DEP_1)
	v_add3_u32 v2, v0, v2, 0x88fffff
	v_lshrrev_b32_e32 v2, 21, v2
	s_or_saveexec_b32 s4, s4
                                        ; implicit-def: $sgpr5
	s_delay_alu instid0(SALU_CYCLE_1)
	s_xor_b32 exec_lo, exec_lo, s4
	s_cbranch_execnz .LBB64_1253
.LBB64_975:
	s_or_b32 exec_lo, exec_lo, s4
	v_mov_b32_e32 v6, s5
	s_and_saveexec_b32 s4, s3
.LBB64_976:
	v_lshrrev_b32_e32 v6, 24, v0
	s_delay_alu instid0(VALU_DEP_1)
	v_and_or_b32 v6, 0x80, v6, v2
.LBB64_977:
	s_or_b32 exec_lo, exec_lo, s4
.LBB64_978:
	s_delay_alu instid0(SALU_CYCLE_1)
	s_or_b32 exec_lo, exec_lo, s2
	s_mov_b32 s2, 0
	global_store_b8 v[3:4], v6, off
.LBB64_979:
	s_and_b32 vcc_lo, exec_lo, s2
	s_cbranch_vccz .LBB64_989
; %bb.980:
	v_and_b32_e32 v6, 0x7fffffff, v0
	s_mov_b32 s2, exec_lo
                                        ; implicit-def: $vgpr2
	s_delay_alu instid0(VALU_DEP_1)
	v_cmpx_gt_u32_e32 0x43f00000, v6
	s_xor_b32 s2, exec_lo, s2
	s_cbranch_execz .LBB64_986
; %bb.981:
	s_mov_b32 s3, exec_lo
                                        ; implicit-def: $vgpr2
	v_cmpx_lt_u32_e32 0x3c7fffff, v6
	s_xor_b32 s3, exec_lo, s3
; %bb.982:
	v_bfe_u32 v2, v0, 20, 1
	s_delay_alu instid0(VALU_DEP_1) | instskip(NEXT) | instid1(VALU_DEP_1)
	v_add3_u32 v2, v0, v2, 0x407ffff
	v_and_b32_e32 v6, 0xff00000, v2
	v_lshrrev_b32_e32 v2, 20, v2
	s_delay_alu instid0(VALU_DEP_2) | instskip(NEXT) | instid1(VALU_DEP_2)
	v_cmp_ne_u32_e32 vcc_lo, 0x7f00000, v6
	v_cndmask_b32_e32 v2, 0x7e, v2, vcc_lo
; %bb.983:
	s_and_not1_saveexec_b32 s3, s3
; %bb.984:
	v_add_f32_e64 v2, 0x46800000, |v0|
; %bb.985:
	s_or_b32 exec_lo, exec_lo, s3
                                        ; implicit-def: $vgpr6
.LBB64_986:
	s_and_not1_saveexec_b32 s2, s2
; %bb.987:
	v_mov_b32_e32 v2, 0x7f
	v_cmp_lt_u32_e32 vcc_lo, 0x7f800000, v6
	s_delay_alu instid0(VALU_DEP_2)
	v_cndmask_b32_e32 v2, 0x7e, v2, vcc_lo
; %bb.988:
	s_or_b32 exec_lo, exec_lo, s2
	v_lshrrev_b32_e32 v6, 24, v0
	s_delay_alu instid0(VALU_DEP_1)
	v_and_or_b32 v2, 0x80, v6, v2
	global_store_b8 v[3:4], v2, off
.LBB64_989:
	s_mov_b32 s2, 0
.LBB64_990:
	s_delay_alu instid0(SALU_CYCLE_1)
	s_and_not1_b32 vcc_lo, exec_lo, s2
	s_cbranch_vccnz .LBB64_1000
; %bb.991:
	v_and_b32_e32 v6, 0x7fffffff, v0
	s_mov_b32 s2, exec_lo
                                        ; implicit-def: $vgpr2
	s_delay_alu instid0(VALU_DEP_1)
	v_cmpx_gt_u32_e32 0x47800000, v6
	s_xor_b32 s2, exec_lo, s2
	s_cbranch_execz .LBB64_997
; %bb.992:
	s_mov_b32 s3, exec_lo
                                        ; implicit-def: $vgpr2
	v_cmpx_lt_u32_e32 0x387fffff, v6
	s_xor_b32 s3, exec_lo, s3
; %bb.993:
	v_bfe_u32 v2, v0, 21, 1
	s_delay_alu instid0(VALU_DEP_1) | instskip(NEXT) | instid1(VALU_DEP_1)
	v_add3_u32 v2, v0, v2, 0x80fffff
	v_lshrrev_b32_e32 v2, 21, v2
; %bb.994:
	s_and_not1_saveexec_b32 s3, s3
; %bb.995:
	v_add_f32_e64 v2, 0x43000000, |v0|
; %bb.996:
	s_or_b32 exec_lo, exec_lo, s3
                                        ; implicit-def: $vgpr6
.LBB64_997:
	s_and_not1_saveexec_b32 s2, s2
; %bb.998:
	v_mov_b32_e32 v2, 0x7f
	v_cmp_lt_u32_e32 vcc_lo, 0x7f800000, v6
	s_delay_alu instid0(VALU_DEP_2)
	v_cndmask_b32_e32 v2, 0x7c, v2, vcc_lo
; %bb.999:
	s_or_b32 exec_lo, exec_lo, s2
	v_lshrrev_b32_e32 v6, 24, v0
	s_delay_alu instid0(VALU_DEP_1)
	v_and_or_b32 v2, 0x80, v6, v2
	global_store_b8 v[3:4], v2, off
.LBB64_1000:
	s_mov_b32 s2, 0
.LBB64_1001:
	s_delay_alu instid0(SALU_CYCLE_1)
	s_and_not1_b32 vcc_lo, exec_lo, s2
	s_mov_b32 s2, 0
	s_cbranch_vccnz .LBB64_1009
; %bb.1002:
	v_cmp_lt_i16_e32 vcc_lo, 14, v5
	s_mov_b32 s2, -1
	s_cbranch_vccz .LBB64_1006
; %bb.1003:
	v_cmp_eq_u16_e32 vcc_lo, 15, v5
	s_mov_b32 s0, -1
	s_cbranch_vccz .LBB64_1005
; %bb.1004:
	v_bfe_u32 v2, v0, 16, 1
	v_cmp_o_f32_e32 vcc_lo, v0, v0
	s_mov_b32 s0, 0
	s_delay_alu instid0(VALU_DEP_2) | instskip(NEXT) | instid1(VALU_DEP_1)
	v_add3_u32 v2, v0, v2, 0x7fff
	v_lshrrev_b32_e32 v2, 16, v2
	s_delay_alu instid0(VALU_DEP_1)
	v_cndmask_b32_e32 v2, 0x7fc0, v2, vcc_lo
	global_store_b16 v[3:4], v2, off
.LBB64_1005:
	s_mov_b32 s2, 0
.LBB64_1006:
	s_delay_alu instid0(SALU_CYCLE_1)
	s_and_b32 vcc_lo, exec_lo, s2
	s_mov_b32 s2, 0
	s_cbranch_vccz .LBB64_1009
; %bb.1007:
	v_cmp_ne_u16_e32 vcc_lo, 11, v5
	s_and_not1_b32 s0, s0, exec_lo
	s_mov_b32 s2, -1
	s_and_b32 s3, vcc_lo, exec_lo
	s_delay_alu instid0(SALU_CYCLE_1)
	s_or_b32 s0, s0, s3
	s_branch .LBB64_1009
.LBB64_1008:
	s_mov_b32 s2, 0
.LBB64_1009:
	s_and_not1_b32 s3, s13, exec_lo
	s_and_b32 s0, s0, exec_lo
	s_and_b32 s1, s1, exec_lo
	;; [unrolled: 1-line block ×3, first 2 shown]
	s_or_b32 s13, s3, s0
.LBB64_1010:
	s_or_b32 exec_lo, exec_lo, s15
	s_and_saveexec_b32 s0, s13
	s_cbranch_execnz .LBB64_1073
; %bb.1011:
	s_or_b32 exec_lo, exec_lo, s0
	s_and_saveexec_b32 s0, s2
	s_delay_alu instid0(SALU_CYCLE_1)
	s_xor_b32 s0, exec_lo, s0
	s_cbranch_execz .LBB64_1013
.LBB64_1012:
	s_waitcnt vmcnt(0)
	s_delay_alu instid0(VALU_DEP_1) | instskip(NEXT) | instid1(VALU_DEP_1)
	v_or_b32_e32 v2, v0, v1
	v_and_b32_e32 v2, 0x7fffffff, v2
	s_delay_alu instid0(VALU_DEP_1)
	v_cmp_ne_u32_e32 vcc_lo, 0, v2
	v_cndmask_b32_e64 v2, 0, 1, vcc_lo
	global_store_b8 v[3:4], v2, off
.LBB64_1013:
	s_or_b32 exec_lo, exec_lo, s0
	s_and_saveexec_b32 s0, s1
	s_delay_alu instid0(SALU_CYCLE_1)
	s_xor_b32 s0, exec_lo, s0
	s_cbranch_execz .LBB64_1051
; %bb.1014:
	v_cmp_gt_i16_e32 vcc_lo, 5, v5
	s_mov_b32 s1, -1
	s_cbranch_vccnz .LBB64_1035
; %bb.1015:
	v_cmp_gt_i16_e32 vcc_lo, 8, v5
	s_cbranch_vccnz .LBB64_1025
; %bb.1016:
	v_cmp_gt_i16_e32 vcc_lo, 9, v5
	s_cbranch_vccnz .LBB64_1022
; %bb.1017:
	v_cmp_lt_i16_e32 vcc_lo, 9, v5
	s_cbranch_vccz .LBB64_1019
; %bb.1018:
	s_waitcnt vmcnt(0)
	v_cvt_f64_f32_e32 v[6:7], v0
	v_cvt_f64_f32_e32 v[8:9], v1
	s_mov_b32 s1, 0
	global_store_b128 v[3:4], v[6:9], off
.LBB64_1019:
	s_and_not1_b32 vcc_lo, exec_lo, s1
	s_cbranch_vccnz .LBB64_1021
; %bb.1020:
	s_waitcnt vmcnt(0)
	global_store_b64 v[3:4], v[0:1], off
.LBB64_1021:
	s_mov_b32 s1, 0
.LBB64_1022:
	s_delay_alu instid0(SALU_CYCLE_1)
	s_and_not1_b32 vcc_lo, exec_lo, s1
	s_cbranch_vccnz .LBB64_1024
; %bb.1023:
	s_waitcnt vmcnt(0)
	s_delay_alu instid0(VALU_DEP_4) | instskip(SKIP_1) | instid1(VALU_DEP_2)
	v_cvt_f16_f32_e32 v1, v1
	v_cvt_f16_f32_e32 v2, v0
	v_lshlrev_b32_e32 v1, 16, v1
	s_delay_alu instid0(VALU_DEP_2) | instskip(NEXT) | instid1(VALU_DEP_1)
	v_and_b32_e32 v2, 0xffff, v2
	v_or_b32_e32 v1, v1, v2
	global_store_b32 v[3:4], v1, off
.LBB64_1024:
	s_mov_b32 s1, 0
.LBB64_1025:
	s_delay_alu instid0(SALU_CYCLE_1)
	s_and_not1_b32 vcc_lo, exec_lo, s1
	s_cbranch_vccnz .LBB64_1034
; %bb.1026:
	v_cmp_gt_i16_e32 vcc_lo, 6, v5
	s_mov_b32 s1, -1
	s_cbranch_vccnz .LBB64_1032
; %bb.1027:
	v_cmp_lt_i16_e32 vcc_lo, 6, v5
	s_cbranch_vccz .LBB64_1029
; %bb.1028:
	s_waitcnt vmcnt(0)
	v_cvt_f64_f32_e32 v[1:2], v0
	s_mov_b32 s1, 0
	global_store_b64 v[3:4], v[1:2], off
.LBB64_1029:
	s_and_not1_b32 vcc_lo, exec_lo, s1
	s_cbranch_vccnz .LBB64_1031
; %bb.1030:
	s_waitcnt vmcnt(0)
	global_store_b32 v[3:4], v0, off
.LBB64_1031:
	s_mov_b32 s1, 0
.LBB64_1032:
	s_delay_alu instid0(SALU_CYCLE_1)
	s_and_not1_b32 vcc_lo, exec_lo, s1
	s_cbranch_vccnz .LBB64_1034
; %bb.1033:
	s_waitcnt vmcnt(0)
	v_cvt_f16_f32_e32 v1, v0
	global_store_b16 v[3:4], v1, off
.LBB64_1034:
	s_mov_b32 s1, 0
.LBB64_1035:
	s_delay_alu instid0(SALU_CYCLE_1)
	s_and_not1_b32 vcc_lo, exec_lo, s1
	s_cbranch_vccnz .LBB64_1051
; %bb.1036:
	v_cmp_gt_i16_e32 vcc_lo, 2, v5
	s_mov_b32 s1, -1
	s_cbranch_vccnz .LBB64_1046
; %bb.1037:
	v_cmp_gt_i16_e32 vcc_lo, 3, v5
	s_cbranch_vccnz .LBB64_1043
; %bb.1038:
	v_cmp_lt_i16_e32 vcc_lo, 3, v5
	s_cbranch_vccz .LBB64_1040
; %bb.1039:
	s_waitcnt vmcnt(0)
	v_trunc_f32_e32 v1, v0
	s_mov_b32 s1, 0
	s_delay_alu instid0(VALU_DEP_1) | instskip(SKIP_1) | instid1(VALU_DEP_2)
	v_mul_f32_e64 v2, 0x2f800000, |v1|
	v_ashrrev_i32_e32 v7, 31, v1
	v_floor_f32_e32 v2, v2
	s_delay_alu instid0(VALU_DEP_1) | instskip(SKIP_1) | instid1(VALU_DEP_2)
	v_fma_f32 v6, 0xcf800000, v2, |v1|
	v_cvt_u32_f32_e32 v2, v2
	v_cvt_u32_f32_e32 v1, v6
	s_delay_alu instid0(VALU_DEP_2) | instskip(NEXT) | instid1(VALU_DEP_2)
	v_xor_b32_e32 v2, v2, v7
	v_xor_b32_e32 v1, v1, v7
	s_delay_alu instid0(VALU_DEP_1) | instskip(NEXT) | instid1(VALU_DEP_3)
	v_sub_co_u32 v1, vcc_lo, v1, v7
	v_sub_co_ci_u32_e32 v2, vcc_lo, v2, v7, vcc_lo
	global_store_b64 v[3:4], v[1:2], off
.LBB64_1040:
	s_and_not1_b32 vcc_lo, exec_lo, s1
	s_cbranch_vccnz .LBB64_1042
; %bb.1041:
	s_waitcnt vmcnt(0)
	v_cvt_i32_f32_e32 v1, v0
	global_store_b32 v[3:4], v1, off
.LBB64_1042:
	s_mov_b32 s1, 0
.LBB64_1043:
	s_delay_alu instid0(SALU_CYCLE_1)
	s_and_not1_b32 vcc_lo, exec_lo, s1
	s_cbranch_vccnz .LBB64_1045
; %bb.1044:
	s_waitcnt vmcnt(0)
	v_cvt_i32_f32_e32 v1, v0
	global_store_b16 v[3:4], v1, off
.LBB64_1045:
	s_mov_b32 s1, 0
.LBB64_1046:
	s_delay_alu instid0(SALU_CYCLE_1)
	s_and_not1_b32 vcc_lo, exec_lo, s1
	s_cbranch_vccnz .LBB64_1051
; %bb.1047:
	v_cmp_lt_i16_e32 vcc_lo, 0, v5
	s_mov_b32 s1, -1
	s_cbranch_vccz .LBB64_1049
; %bb.1048:
	s_waitcnt vmcnt(0)
	v_cvt_i32_f32_e32 v1, v0
	s_mov_b32 s1, 0
	global_store_b8 v[3:4], v1, off
.LBB64_1049:
	s_and_not1_b32 vcc_lo, exec_lo, s1
	s_cbranch_vccnz .LBB64_1051
; %bb.1050:
	s_waitcnt vmcnt(0)
	v_trunc_f32_e32 v0, v0
	s_delay_alu instid0(VALU_DEP_1) | instskip(NEXT) | instid1(VALU_DEP_1)
	v_mul_f32_e64 v1, 0x2f800000, |v0|
	v_floor_f32_e32 v1, v1
	s_delay_alu instid0(VALU_DEP_1) | instskip(SKIP_1) | instid1(VALU_DEP_2)
	v_fma_f32 v1, 0xcf800000, v1, |v0|
	v_ashrrev_i32_e32 v0, 31, v0
	v_cvt_u32_f32_e32 v1, v1
	s_delay_alu instid0(VALU_DEP_1) | instskip(NEXT) | instid1(VALU_DEP_1)
	v_xor_b32_e32 v1, v1, v0
	v_sub_nc_u32_e32 v0, v1, v0
	global_store_b8 v[3:4], v0, off
.LBB64_1051:
	s_or_b32 exec_lo, exec_lo, s0
	s_delay_alu instid0(SALU_CYCLE_1)
	s_and_b32 s13, s14, exec_lo
                                        ; implicit-def: $vgpr24
                                        ; implicit-def: $vgpr25
                                        ; implicit-def: $vgpr23
.LBB64_1052:
	s_or_saveexec_b32 s12, s12
	s_mov_b32 s0, 0
                                        ; implicit-def: $vgpr26
                                        ; implicit-def: $vgpr2_vgpr3
                                        ; implicit-def: $vgpr0
	s_xor_b32 exec_lo, exec_lo, s12
	s_cbranch_execz .LBB64_2037
; %bb.1053:
	v_mul_lo_u32 v4, s11, v24
	v_cmp_gt_i16_e32 vcc_lo, 11, v25
	s_and_b32 vcc_lo, exec_lo, vcc_lo
	s_waitcnt vmcnt(0)
	s_delay_alu instid0(VALU_DEP_2) | instskip(SKIP_1) | instid1(VALU_DEP_1)
	v_ashrrev_i32_e32 v0, 31, v4
	v_add_co_u32 v2, s0, s18, v4
	v_add_co_ci_u32_e64 v3, s0, s19, v0, s0
	s_cbranch_vccnz .LBB64_1060
; %bb.1054:
	v_cmp_lt_i16_e32 vcc_lo, 25, v25
	s_mov_b32 s1, 0
	s_cbranch_vccz .LBB64_1066
; %bb.1055:
	v_cmp_lt_i16_e32 vcc_lo, 28, v25
	s_cbranch_vccz .LBB64_1069
; %bb.1056:
	v_cmp_lt_i16_e32 vcc_lo, 43, v25
	;; [unrolled: 3-line block ×3, first 2 shown]
	s_cbranch_vccz .LBB64_1075
; %bb.1058:
	v_cmp_eq_u16_e32 vcc_lo, 46, v25
	s_mov_b32 s3, 0
	s_cbranch_vccz .LBB64_1116
; %bb.1059:
	global_load_b32 v0, v[2:3], off
	s_mov_b32 s0, 0
	s_mov_b32 s2, -1
	s_waitcnt vmcnt(0)
	v_and_b32_e32 v1, 0xffff0000, v0
	v_lshlrev_b32_e32 v0, 16, v0
	s_branch .LBB64_1118
.LBB64_1060:
	s_mov_b32 s2, 0
	s_mov_b32 s9, s13
                                        ; implicit-def: $vgpr1
	s_cbranch_execz .LBB64_1184
; %bb.1061:
	v_cmp_gt_i16_e32 vcc_lo, 5, v25
	s_cbranch_vccnz .LBB64_1067
; %bb.1062:
	v_cmp_gt_i16_e32 vcc_lo, 8, v25
	s_cbranch_vccnz .LBB64_1070
	;; [unrolled: 3-line block ×3, first 2 shown]
; %bb.1064:
	v_cmp_lt_i16_e32 vcc_lo, 9, v25
	s_cbranch_vccz .LBB64_1076
; %bb.1065:
	global_load_b128 v[5:8], v[2:3], off
	s_mov_b32 s0, 0
	s_waitcnt vmcnt(0)
	v_cvt_f32_f64_e32 v0, v[5:6]
	v_cvt_f32_f64_e32 v1, v[7:8]
	s_branch .LBB64_1077
.LBB64_1066:
	s_mov_b32 s2, 0
	s_mov_b32 s0, 0
                                        ; implicit-def: $vgpr1
	s_cbranch_execnz .LBB64_1150
	s_branch .LBB64_1180
.LBB64_1067:
                                        ; implicit-def: $vgpr1
	s_branch .LBB64_1095
.LBB64_1068:
	s_branch .LBB64_1185
.LBB64_1069:
	s_mov_b32 s2, 0
	s_mov_b32 s0, 0
                                        ; implicit-def: $vgpr1
	s_cbranch_execnz .LBB64_1130
	s_branch .LBB64_1149
.LBB64_1070:
                                        ; implicit-def: $vgpr1
	s_branch .LBB64_1083
.LBB64_1071:
	s_mov_b32 s3, -1
	s_mov_b32 s2, 0
	s_mov_b32 s0, 0
                                        ; implicit-def: $vgpr1
	s_branch .LBB64_1124
.LBB64_1072:
	s_mov_b32 s0, -1
                                        ; implicit-def: $vgpr1
	s_branch .LBB64_1080
.LBB64_1073:
	s_cbranch_execnz .LBB64_1114
; %bb.1074:
	s_or_b32 s14, s14, exec_lo
	s_and_not1_b32 s2, s2, exec_lo
	s_or_b32 exec_lo, exec_lo, s0
	s_and_saveexec_b32 s0, s2
	s_delay_alu instid0(SALU_CYCLE_1)
	s_xor_b32 s0, exec_lo, s0
	s_cbranch_execnz .LBB64_1012
	s_branch .LBB64_1013
.LBB64_1075:
	s_mov_b32 s3, -1
	s_mov_b32 s2, 0
	s_mov_b32 s0, 0
	s_branch .LBB64_1117
.LBB64_1076:
	s_mov_b32 s0, -1
                                        ; implicit-def: $vgpr1
.LBB64_1077:
	s_delay_alu instid0(SALU_CYCLE_1)
	s_and_not1_b32 vcc_lo, exec_lo, s0
	s_cbranch_vccnz .LBB64_1079
; %bb.1078:
	global_load_b64 v[0:1], v[2:3], off
.LBB64_1079:
	s_mov_b32 s0, 0
.LBB64_1080:
	s_delay_alu instid0(SALU_CYCLE_1)
	s_and_not1_b32 vcc_lo, exec_lo, s0
	s_cbranch_vccnz .LBB64_1082
; %bb.1081:
	global_load_b32 v0, v[2:3], off
	s_waitcnt vmcnt(0)
	v_lshrrev_b32_e32 v1, 16, v0
	v_cvt_f32_f16_e32 v0, v0
	s_delay_alu instid0(VALU_DEP_2)
	v_cvt_f32_f16_e32 v1, v1
.LBB64_1082:
	s_cbranch_execnz .LBB64_1094
.LBB64_1083:
	v_cmp_gt_i16_e32 vcc_lo, 6, v25
	s_cbranch_vccnz .LBB64_1086
; %bb.1084:
	v_cmp_lt_i16_e32 vcc_lo, 6, v25
	s_cbranch_vccz .LBB64_1087
; %bb.1085:
	global_load_b64 v[0:1], v[2:3], off
	s_mov_b32 s1, 0
	s_mov_b32 s0, 0
	s_waitcnt vmcnt(0)
	v_cvt_f32_f64_e32 v0, v[0:1]
	s_branch .LBB64_1088
.LBB64_1086:
	s_mov_b32 s1, -1
                                        ; implicit-def: $sgpr0
                                        ; implicit-def: $vgpr0
	s_branch .LBB64_1091
.LBB64_1087:
	s_mov_b32 s1, -1
                                        ; implicit-def: $sgpr0
                                        ; implicit-def: $vgpr0
.LBB64_1088:
	s_delay_alu instid0(SALU_CYCLE_1)
	s_and_not1_b32 vcc_lo, exec_lo, s1
	s_cbranch_vccnz .LBB64_1090
; %bb.1089:
	global_load_b32 v0, v[2:3], off
	s_mov_b32 s0, 0
.LBB64_1090:
	s_mov_b32 s1, 0
.LBB64_1091:
	s_delay_alu instid0(SALU_CYCLE_1)
	s_and_not1_b32 vcc_lo, exec_lo, s1
	s_cbranch_vccnz .LBB64_1093
; %bb.1092:
	global_load_u16 v0, v[2:3], off
	s_mov_b32 s0, 0
	s_waitcnt vmcnt(0)
	v_cvt_f32_f16_e32 v0, v0
.LBB64_1093:
	s_waitcnt vmcnt(0)
	v_mov_b32_e32 v1, s0
.LBB64_1094:
	s_cbranch_execnz .LBB64_1068
.LBB64_1095:
	v_cmp_gt_i16_e32 vcc_lo, 2, v25
	s_cbranch_vccnz .LBB64_1099
; %bb.1096:
	v_cmp_gt_i16_e32 vcc_lo, 3, v25
	s_cbranch_vccnz .LBB64_1100
; %bb.1097:
	v_cmp_lt_i16_e32 vcc_lo, 3, v25
	s_cbranch_vccz .LBB64_1101
; %bb.1098:
	global_load_b64 v[0:1], v[2:3], off
	s_mov_b32 s1, 0
	s_mov_b32 s0, 0
	s_waitcnt vmcnt(0)
	v_xor_b32_e32 v5, v0, v1
	v_cls_i32_e32 v6, v1
	s_delay_alu instid0(VALU_DEP_2) | instskip(NEXT) | instid1(VALU_DEP_2)
	v_ashrrev_i32_e32 v5, 31, v5
	v_add_nc_u32_e32 v6, -1, v6
	s_delay_alu instid0(VALU_DEP_2) | instskip(NEXT) | instid1(VALU_DEP_1)
	v_add_nc_u32_e32 v5, 32, v5
	v_min_u32_e32 v5, v6, v5
	s_delay_alu instid0(VALU_DEP_1) | instskip(NEXT) | instid1(VALU_DEP_1)
	v_lshlrev_b64 v[0:1], v5, v[0:1]
	v_min_u32_e32 v0, 1, v0
	s_delay_alu instid0(VALU_DEP_1) | instskip(SKIP_1) | instid1(VALU_DEP_2)
	v_or_b32_e32 v0, v1, v0
	v_sub_nc_u32_e32 v1, 32, v5
	v_cvt_f32_i32_e32 v0, v0
	s_delay_alu instid0(VALU_DEP_1)
	v_ldexp_f32 v0, v0, v1
	s_branch .LBB64_1102
.LBB64_1099:
                                        ; implicit-def: $sgpr0
                                        ; implicit-def: $vgpr0
	s_branch .LBB64_1108
.LBB64_1100:
	s_mov_b32 s1, -1
                                        ; implicit-def: $sgpr0
                                        ; implicit-def: $vgpr0
	s_branch .LBB64_1105
.LBB64_1101:
	s_mov_b32 s1, -1
                                        ; implicit-def: $sgpr0
                                        ; implicit-def: $vgpr0
.LBB64_1102:
	s_delay_alu instid0(SALU_CYCLE_1)
	s_and_not1_b32 vcc_lo, exec_lo, s1
	s_cbranch_vccnz .LBB64_1104
; %bb.1103:
	global_load_b32 v0, v[2:3], off
	s_mov_b32 s0, 0
	s_waitcnt vmcnt(0)
	v_cvt_f32_i32_e32 v0, v0
.LBB64_1104:
	s_mov_b32 s1, 0
.LBB64_1105:
	s_delay_alu instid0(SALU_CYCLE_1)
	s_and_not1_b32 vcc_lo, exec_lo, s1
	s_cbranch_vccnz .LBB64_1107
; %bb.1106:
	global_load_i16 v0, v[2:3], off
	s_mov_b32 s0, 0
	s_waitcnt vmcnt(0)
	v_cvt_f32_i32_e32 v0, v0
.LBB64_1107:
	s_cbranch_execnz .LBB64_1113
.LBB64_1108:
	v_cmp_lt_i16_e32 vcc_lo, 0, v25
	s_mov_b32 s1, 0
	s_cbranch_vccz .LBB64_1110
; %bb.1109:
	global_load_i8 v0, v[2:3], off
	s_mov_b32 s0, 0
	s_waitcnt vmcnt(0)
	v_cvt_f32_i32_e32 v0, v0
	s_branch .LBB64_1111
.LBB64_1110:
	s_mov_b32 s1, -1
                                        ; implicit-def: $sgpr0
                                        ; implicit-def: $vgpr0
.LBB64_1111:
	s_delay_alu instid0(SALU_CYCLE_1)
	s_and_not1_b32 vcc_lo, exec_lo, s1
	s_cbranch_vccnz .LBB64_1113
; %bb.1112:
	global_load_u8 v0, v[2:3], off
	s_mov_b32 s0, 0
	s_waitcnt vmcnt(0)
	v_cvt_f32_ubyte0_e32 v0, v0
.LBB64_1113:
	s_waitcnt vmcnt(0)
	v_mov_b32_e32 v1, s0
	s_branch .LBB64_1185
.LBB64_1114:
	s_trap 2
	s_sendmsg_rtn_b32 s0, sendmsg(MSG_RTN_GET_DOORBELL)
	s_mov_b32 ttmp2, m0
	s_waitcnt lgkmcnt(0)
	s_and_b32 s0, s0, 0x3ff
	s_delay_alu instid0(SALU_CYCLE_1) | instskip(NEXT) | instid1(SALU_CYCLE_1)
	s_bitset1_b32 s0, 10
	s_mov_b32 m0, s0
	s_sendmsg sendmsg(MSG_INTERRUPT)
	s_mov_b32 m0, ttmp2
.LBB64_1115:                            ; =>This Inner Loop Header: Depth=1
	s_sethalt 5
	s_branch .LBB64_1115
.LBB64_1116:
	s_mov_b32 s0, -1
	s_mov_b32 s2, 0
.LBB64_1117:
                                        ; implicit-def: $vgpr1
.LBB64_1118:
	s_and_b32 vcc_lo, exec_lo, s3
	s_cbranch_vccz .LBB64_1123
; %bb.1119:
	v_cmp_eq_u16_e32 vcc_lo, 44, v25
	s_cbranch_vccz .LBB64_1121
; %bb.1120:
	global_load_u8 v0, v[2:3], off
	s_mov_b32 s0, 0
	s_mov_b32 s2, -1
	s_waitcnt vmcnt(0)
	v_lshlrev_b32_e32 v1, 23, v0
	v_cmp_ne_u32_e32 vcc_lo, 0xff, v0
	s_delay_alu instid0(VALU_DEP_2) | instskip(SKIP_1) | instid1(VALU_DEP_2)
	v_cndmask_b32_e32 v1, 0x7f800001, v1, vcc_lo
	v_cmp_ne_u32_e32 vcc_lo, 0, v0
	v_cndmask_b32_e32 v0, 0x400000, v1, vcc_lo
	s_branch .LBB64_1122
.LBB64_1121:
	s_mov_b32 s0, -1
                                        ; implicit-def: $vgpr0
.LBB64_1122:
	s_delay_alu instid0(SALU_CYCLE_1)
	v_mov_b32_e32 v1, s0
.LBB64_1123:
	s_mov_b32 s3, 0
.LBB64_1124:
	s_delay_alu instid0(SALU_CYCLE_1)
	s_and_b32 vcc_lo, exec_lo, s3
	s_cbranch_vccz .LBB64_1129
; %bb.1125:
	v_cmp_eq_u16_e32 vcc_lo, 29, v25
	s_cbranch_vccz .LBB64_1127
; %bb.1126:
	global_load_b64 v[0:1], v[2:3], off
	s_mov_b32 s0, 0
	s_mov_b32 s2, -1
	s_mov_b32 s3, 0
	s_waitcnt vmcnt(0)
	v_clz_i32_u32_e32 v5, v1
	s_delay_alu instid0(VALU_DEP_1) | instskip(NEXT) | instid1(VALU_DEP_1)
	v_min_u32_e32 v5, 32, v5
	v_lshlrev_b64 v[0:1], v5, v[0:1]
	s_delay_alu instid0(VALU_DEP_1) | instskip(NEXT) | instid1(VALU_DEP_1)
	v_min_u32_e32 v0, 1, v0
	v_or_b32_e32 v0, v1, v0
	v_sub_nc_u32_e32 v1, 32, v5
	s_delay_alu instid0(VALU_DEP_2) | instskip(NEXT) | instid1(VALU_DEP_1)
	v_cvt_f32_u32_e32 v0, v0
	v_ldexp_f32 v0, v0, v1
	s_branch .LBB64_1128
.LBB64_1127:
	s_mov_b32 s0, -1
                                        ; implicit-def: $sgpr3
                                        ; implicit-def: $vgpr0
.LBB64_1128:
	v_mov_b32_e32 v1, s3
.LBB64_1129:
	s_branch .LBB64_1149
.LBB64_1130:
	v_cmp_gt_i16_e32 vcc_lo, 27, v25
	s_cbranch_vccnz .LBB64_1133
; %bb.1131:
	v_cmp_lt_i16_e32 vcc_lo, 27, v25
	s_cbranch_vccz .LBB64_1134
; %bb.1132:
	global_load_b32 v0, v[2:3], off
	s_mov_b32 s3, 0
	s_mov_b32 s2, 0
	s_waitcnt vmcnt(0)
	v_cvt_f32_u32_e32 v0, v0
	s_branch .LBB64_1135
.LBB64_1133:
	s_mov_b32 s3, -1
                                        ; implicit-def: $sgpr2
                                        ; implicit-def: $vgpr0
	s_branch .LBB64_1138
.LBB64_1134:
	s_mov_b32 s3, -1
                                        ; implicit-def: $sgpr2
                                        ; implicit-def: $vgpr0
.LBB64_1135:
	s_delay_alu instid0(SALU_CYCLE_1)
	s_and_not1_b32 vcc_lo, exec_lo, s3
	s_cbranch_vccnz .LBB64_1137
; %bb.1136:
	global_load_u16 v0, v[2:3], off
	s_mov_b32 s2, 0
	s_waitcnt vmcnt(0)
	v_cvt_f32_u32_e32 v0, v0
.LBB64_1137:
	s_mov_b32 s3, 0
.LBB64_1138:
	v_mov_b32_e32 v1, s2
	s_and_not1_b32 vcc_lo, exec_lo, s3
	s_cbranch_vccnz .LBB64_1148
; %bb.1139:
	global_load_u8 v5, v[2:3], off
	s_mov_b32 s2, 0
	s_mov_b32 s5, exec_lo
                                        ; implicit-def: $sgpr4
                                        ; implicit-def: $sgpr3
	s_waitcnt vmcnt(0)
	v_cmpx_lt_i16_e32 0x7f, v5
	s_xor_b32 s5, exec_lo, s5
	s_cbranch_execz .LBB64_1143
; %bb.1140:
	s_mov_b32 s2, -1
	s_mov_b32 s6, exec_lo
                                        ; implicit-def: $sgpr4
                                        ; implicit-def: $sgpr3
	v_cmpx_eq_u16_e32 0x80, v5
; %bb.1141:
	s_mov_b32 s3, 0x7f800001
	s_mov_b32 s4, 0
	s_xor_b32 s2, exec_lo, -1
; %bb.1142:
	s_or_b32 exec_lo, exec_lo, s6
	s_delay_alu instid0(SALU_CYCLE_1)
	s_and_b32 s2, s2, exec_lo
.LBB64_1143:
	s_or_saveexec_b32 s5, s5
	v_dual_mov_b32 v1, s4 :: v_dual_mov_b32 v0, s3
	s_xor_b32 exec_lo, exec_lo, s5
; %bb.1144:
	v_mov_b32_e32 v1, 0
	v_cmp_ne_u16_e32 vcc_lo, 0, v5
	s_and_not1_b32 s2, s2, exec_lo
	s_delay_alu instid0(VALU_DEP_2) | instskip(SKIP_1) | instid1(SALU_CYCLE_1)
	v_mov_b32_e32 v0, v1
	s_and_b32 s3, vcc_lo, exec_lo
	s_or_b32 s2, s2, s3
; %bb.1145:
	s_or_b32 exec_lo, exec_lo, s5
	s_and_saveexec_b32 s3, s2
	s_cbranch_execz .LBB64_1147
; %bb.1146:
	v_and_b32_e32 v0, 0xffff, v5
	v_lshlrev_b32_e32 v5, 24, v5
	s_delay_alu instid0(VALU_DEP_2) | instskip(NEXT) | instid1(VALU_DEP_2)
	v_and_b32_e32 v1, 7, v0
	v_and_b32_e32 v5, 0x80000000, v5
	s_delay_alu instid0(VALU_DEP_2) | instskip(NEXT) | instid1(VALU_DEP_1)
	v_clz_i32_u32_e32 v6, v1
	v_min_u32_e32 v6, 32, v6
	s_delay_alu instid0(VALU_DEP_1) | instskip(SKIP_1) | instid1(VALU_DEP_2)
	v_subrev_nc_u32_e32 v7, 28, v6
	v_sub_nc_u32_e32 v6, 29, v6
	v_lshlrev_b32_e32 v7, v7, v0
	v_bfe_u32 v0, v0, 3, 4
	s_delay_alu instid0(VALU_DEP_2) | instskip(NEXT) | instid1(VALU_DEP_2)
	v_and_b32_e32 v7, 7, v7
	v_cmp_eq_u32_e32 vcc_lo, 0, v0
	s_delay_alu instid0(VALU_DEP_2) | instskip(NEXT) | instid1(VALU_DEP_1)
	v_dual_cndmask_b32 v0, v0, v6 :: v_dual_cndmask_b32 v1, v1, v7
	v_lshl_add_u32 v0, v0, 23, 0x3b800000
	s_delay_alu instid0(VALU_DEP_2) | instskip(NEXT) | instid1(VALU_DEP_1)
	v_lshlrev_b32_e32 v1, 20, v1
	v_or3_b32 v0, v5, v0, v1
	v_mov_b32_e32 v1, 0
.LBB64_1147:
	s_or_b32 exec_lo, exec_lo, s3
.LBB64_1148:
	s_mov_b32 s2, -1
.LBB64_1149:
	s_branch .LBB64_1180
.LBB64_1150:
	v_cmp_lt_i16_e32 vcc_lo, 22, v25
	s_cbranch_vccz .LBB64_1162
; %bb.1151:
	v_cmp_gt_i16_e32 vcc_lo, 24, v25
	s_cbranch_vccnz .LBB64_1163
; %bb.1152:
	v_cmp_lt_i16_e32 vcc_lo, 24, v25
	s_cbranch_vccz .LBB64_1164
; %bb.1153:
	global_load_u8 v5, v[2:3], off
	s_mov_b32 s4, exec_lo
                                        ; implicit-def: $sgpr3
                                        ; implicit-def: $sgpr2
	s_waitcnt vmcnt(0)
	v_cmpx_lt_i16_e32 0x7f, v5
	s_xor_b32 s4, exec_lo, s4
	s_cbranch_execz .LBB64_1157
; %bb.1154:
	s_mov_b32 s1, -1
	s_mov_b32 s5, exec_lo
                                        ; implicit-def: $sgpr3
                                        ; implicit-def: $sgpr2
	v_cmpx_eq_u16_e32 0x80, v5
; %bb.1155:
	s_mov_b32 s2, 0x7f800001
	s_mov_b32 s3, 0
	s_xor_b32 s1, exec_lo, -1
; %bb.1156:
	s_or_b32 exec_lo, exec_lo, s5
	s_delay_alu instid0(SALU_CYCLE_1)
	s_and_b32 s1, s1, exec_lo
.LBB64_1157:
	s_or_saveexec_b32 s4, s4
	v_dual_mov_b32 v1, s3 :: v_dual_mov_b32 v0, s2
	s_xor_b32 exec_lo, exec_lo, s4
; %bb.1158:
	v_mov_b32_e32 v1, 0
	v_cmp_ne_u16_e32 vcc_lo, 0, v5
	s_and_not1_b32 s1, s1, exec_lo
	s_delay_alu instid0(VALU_DEP_2) | instskip(SKIP_1) | instid1(SALU_CYCLE_1)
	v_mov_b32_e32 v0, v1
	s_and_b32 s2, vcc_lo, exec_lo
	s_or_b32 s1, s1, s2
; %bb.1159:
	s_or_b32 exec_lo, exec_lo, s4
	s_and_saveexec_b32 s2, s1
	s_cbranch_execz .LBB64_1161
; %bb.1160:
	v_and_b32_e32 v0, 0xffff, v5
	v_lshlrev_b32_e32 v5, 24, v5
	s_delay_alu instid0(VALU_DEP_2) | instskip(NEXT) | instid1(VALU_DEP_2)
	v_and_b32_e32 v1, 3, v0
	v_and_b32_e32 v5, 0x80000000, v5
	s_delay_alu instid0(VALU_DEP_2) | instskip(NEXT) | instid1(VALU_DEP_1)
	v_clz_i32_u32_e32 v6, v1
	v_min_u32_e32 v6, 32, v6
	s_delay_alu instid0(VALU_DEP_1) | instskip(SKIP_1) | instid1(VALU_DEP_2)
	v_subrev_nc_u32_e32 v7, 29, v6
	v_sub_nc_u32_e32 v6, 30, v6
	v_lshlrev_b32_e32 v7, v7, v0
	v_bfe_u32 v0, v0, 2, 5
	s_delay_alu instid0(VALU_DEP_2) | instskip(NEXT) | instid1(VALU_DEP_2)
	v_and_b32_e32 v7, 3, v7
	v_cmp_eq_u32_e32 vcc_lo, 0, v0
	s_delay_alu instid0(VALU_DEP_2) | instskip(NEXT) | instid1(VALU_DEP_1)
	v_dual_cndmask_b32 v0, v0, v6 :: v_dual_cndmask_b32 v1, v1, v7
	v_lshl_add_u32 v0, v0, 23, 0x37800000
	s_delay_alu instid0(VALU_DEP_2) | instskip(NEXT) | instid1(VALU_DEP_1)
	v_lshlrev_b32_e32 v1, 21, v1
	v_or3_b32 v0, v5, v0, v1
	v_mov_b32_e32 v1, 0
.LBB64_1161:
	s_or_b32 exec_lo, exec_lo, s2
	s_mov_b32 s1, 0
	s_branch .LBB64_1165
.LBB64_1162:
                                        ; implicit-def: $vgpr1
	s_mov_b32 s1, 0
	s_branch .LBB64_1171
.LBB64_1163:
	s_mov_b32 s1, -1
                                        ; implicit-def: $vgpr1
	s_branch .LBB64_1168
.LBB64_1164:
	s_mov_b32 s1, -1
                                        ; implicit-def: $vgpr1
.LBB64_1165:
	s_delay_alu instid0(SALU_CYCLE_1)
	s_and_b32 vcc_lo, exec_lo, s1
	s_cbranch_vccz .LBB64_1167
; %bb.1166:
	global_load_u8 v0, v[2:3], off
	s_waitcnt vmcnt(0)
	v_lshlrev_b32_e32 v0, 24, v0
	s_delay_alu instid0(VALU_DEP_1) | instskip(NEXT) | instid1(VALU_DEP_1)
	v_and_b32_e32 v1, 0x7f000000, v0
	v_clz_i32_u32_e32 v5, v1
	v_add_nc_u32_e32 v7, 0x1000000, v1
	v_cmp_ne_u32_e32 vcc_lo, 0, v1
	s_delay_alu instid0(VALU_DEP_3) | instskip(NEXT) | instid1(VALU_DEP_1)
	v_min_u32_e32 v5, 32, v5
	v_sub_nc_u32_e64 v5, v5, 4 clamp
	s_delay_alu instid0(VALU_DEP_1) | instskip(SKIP_1) | instid1(VALU_DEP_2)
	v_lshlrev_b32_e32 v6, v5, v1
	v_lshlrev_b32_e32 v5, 23, v5
	v_lshrrev_b32_e32 v6, 4, v6
	s_delay_alu instid0(VALU_DEP_1) | instskip(SKIP_1) | instid1(VALU_DEP_2)
	v_sub_nc_u32_e32 v5, v6, v5
	v_ashrrev_i32_e32 v6, 8, v7
	v_add_nc_u32_e32 v5, 0x3c000000, v5
	s_delay_alu instid0(VALU_DEP_1) | instskip(NEXT) | instid1(VALU_DEP_1)
	v_and_or_b32 v5, 0x7f800000, v6, v5
	v_cndmask_b32_e32 v1, 0, v5, vcc_lo
	s_delay_alu instid0(VALU_DEP_1)
	v_and_or_b32 v0, 0x80000000, v0, v1
	v_mov_b32_e32 v1, 0
.LBB64_1167:
	s_mov_b32 s1, 0
.LBB64_1168:
	s_delay_alu instid0(SALU_CYCLE_1)
	s_and_not1_b32 vcc_lo, exec_lo, s1
	s_cbranch_vccnz .LBB64_1170
; %bb.1169:
	global_load_u8 v0, v[2:3], off
	s_waitcnt vmcnt(0)
	v_lshlrev_b32_e32 v1, 25, v0
	v_lshlrev_b16 v0, 8, v0
	s_delay_alu instid0(VALU_DEP_1) | instskip(SKIP_1) | instid1(VALU_DEP_2)
	v_and_or_b32 v6, 0x7f00, v0, 0.5
	v_bfe_i32 v0, v0, 0, 16
	v_add_f32_e32 v6, -0.5, v6
	v_lshrrev_b32_e32 v5, 4, v1
	v_cmp_gt_u32_e32 vcc_lo, 0x8000000, v1
	s_delay_alu instid0(VALU_DEP_2) | instskip(NEXT) | instid1(VALU_DEP_1)
	v_or_b32_e32 v5, 0x70000000, v5
	v_mul_f32_e32 v5, 0x7800000, v5
	s_delay_alu instid0(VALU_DEP_1) | instskip(NEXT) | instid1(VALU_DEP_1)
	v_cndmask_b32_e32 v1, v5, v6, vcc_lo
	v_and_or_b32 v0, 0x80000000, v0, v1
	v_mov_b32_e32 v1, 0
.LBB64_1170:
	s_mov_b32 s2, -1
	s_mov_b32 s1, 0
	s_cbranch_execnz .LBB64_1180
.LBB64_1171:
	v_cmp_lt_i16_e32 vcc_lo, 14, v25
	s_cbranch_vccz .LBB64_1174
; %bb.1172:
	v_cmp_eq_u16_e32 vcc_lo, 15, v25
	s_cbranch_vccz .LBB64_1175
; %bb.1173:
	global_load_u16 v0, v[2:3], off
	s_mov_b32 s0, 0
	s_mov_b32 s2, -1
	s_mov_b32 s3, 0
	s_waitcnt vmcnt(0)
	v_lshlrev_b32_e32 v0, 16, v0
	s_branch .LBB64_1177
.LBB64_1174:
	s_mov_b32 s1, -1
	s_branch .LBB64_1176
.LBB64_1175:
	s_mov_b32 s0, -1
.LBB64_1176:
                                        ; implicit-def: $sgpr3
                                        ; implicit-def: $vgpr0
.LBB64_1177:
	s_and_b32 vcc_lo, exec_lo, s1
	s_mov_b32 s1, 0
	s_cbranch_vccz .LBB64_1179
; %bb.1178:
	v_cmp_ne_u16_e64 s0, 11, v25
	s_mov_b32 s1, -1
                                        ; implicit-def: $sgpr3
                                        ; implicit-def: $vgpr0
.LBB64_1179:
	v_mov_b32_e32 v1, s3
.LBB64_1180:
	s_delay_alu instid0(VALU_DEP_2)
	s_and_b32 vcc_lo, exec_lo, s0
	s_mov_b32 s9, s13
	s_cbranch_vccnz .LBB64_1205
; %bb.1181:
	s_and_not1_b32 vcc_lo, exec_lo, s1
	s_cbranch_vccnz .LBB64_1183
.LBB64_1182:
	global_load_u8 v0, v[2:3], off
	v_mov_b32_e32 v1, 0
	s_mov_b32 s2, -1
	s_waitcnt vmcnt(0)
	v_cmp_ne_u16_e32 vcc_lo, 0, v0
	v_cndmask_b32_e64 v0, 0, 1.0, vcc_lo
.LBB64_1183:
.LBB64_1184:
	s_and_not1_b32 vcc_lo, exec_lo, s2
	s_cbranch_vccnz .LBB64_2035
.LBB64_1185:
	s_lshl_b32 s1, s11, 7
	v_cmp_gt_i16_e32 vcc_lo, 11, v25
	v_add_nc_u32_e32 v4, s1, v4
	s_delay_alu instid0(VALU_DEP_1) | instskip(SKIP_1) | instid1(VALU_DEP_1)
	v_ashrrev_i32_e32 v3, 31, v4
	v_add_co_u32 v2, s0, s18, v4
	v_add_co_ci_u32_e64 v3, s0, s19, v3, s0
	s_cbranch_vccnz .LBB64_1192
; %bb.1186:
	v_cmp_lt_i16_e32 vcc_lo, 25, v25
	s_mov_b32 s2, 0
	s_cbranch_vccz .LBB64_1198
; %bb.1187:
	v_cmp_lt_i16_e32 vcc_lo, 28, v25
	s_cbranch_vccz .LBB64_1201
; %bb.1188:
	v_cmp_lt_i16_e32 vcc_lo, 43, v25
	;; [unrolled: 3-line block ×3, first 2 shown]
	s_cbranch_vccz .LBB64_1209
; %bb.1190:
	v_cmp_eq_u16_e32 vcc_lo, 46, v25
	s_mov_b32 s4, 0
	s_cbranch_vccz .LBB64_1254
; %bb.1191:
	global_load_b32 v5, v[2:3], off
	s_mov_b32 s0, 0
	s_mov_b32 s3, -1
	s_waitcnt vmcnt(0)
	v_and_b32_e32 v18, 0xffff0000, v5
	v_lshlrev_b32_e32 v17, 16, v5
	s_branch .LBB64_1256
.LBB64_1192:
	s_mov_b32 s3, 0
                                        ; implicit-def: $vgpr18
	s_cbranch_execz .LBB64_1324
; %bb.1193:
	v_cmp_gt_i16_e32 vcc_lo, 5, v25
	s_cbranch_vccnz .LBB64_1199
; %bb.1194:
	v_cmp_gt_i16_e32 vcc_lo, 8, v25
	s_cbranch_vccnz .LBB64_1202
	;; [unrolled: 3-line block ×3, first 2 shown]
; %bb.1196:
	v_cmp_lt_i16_e32 vcc_lo, 9, v25
	s_cbranch_vccz .LBB64_1210
; %bb.1197:
	global_load_b128 v[5:8], v[2:3], off
	s_mov_b32 s0, 0
	s_waitcnt vmcnt(0)
	v_cvt_f32_f64_e32 v17, v[5:6]
	v_cvt_f32_f64_e32 v18, v[7:8]
	s_branch .LBB64_1211
.LBB64_1198:
	s_mov_b32 s3, 0
	s_mov_b32 s0, 0
                                        ; implicit-def: $vgpr18
	s_cbranch_execnz .LBB64_1289
	s_branch .LBB64_1320
.LBB64_1199:
                                        ; implicit-def: $vgpr18
	s_branch .LBB64_1230
.LBB64_1200:
	s_branch .LBB64_1325
.LBB64_1201:
	s_mov_b32 s4, -1
	s_mov_b32 s3, 0
	s_mov_b32 s0, 0
                                        ; implicit-def: $vgpr18
	s_branch .LBB64_1268
.LBB64_1202:
	s_mov_b32 s0, -1
                                        ; implicit-def: $vgpr18
	s_branch .LBB64_1217
.LBB64_1203:
	s_mov_b32 s4, -1
	s_mov_b32 s3, 0
	s_mov_b32 s0, 0
                                        ; implicit-def: $vgpr18
	s_branch .LBB64_1262
.LBB64_1204:
	s_mov_b32 s0, -1
                                        ; implicit-def: $vgpr18
	s_branch .LBB64_1214
.LBB64_1205:
	s_cbranch_execnz .LBB64_1250
; %bb.1206:
	s_or_b32 s9, s13, exec_lo
                                        ; implicit-def: $vgpr1
	s_cbranch_execz .LBB64_1182
	s_branch .LBB64_1183
.LBB64_1207:
	s_or_saveexec_b32 s3, s3
                                        ; implicit-def: $sgpr4
	s_delay_alu instid0(SALU_CYCLE_1)
	s_xor_b32 exec_lo, exec_lo, s3
	s_cbranch_execz .LBB64_963
.LBB64_1208:
	v_add_f32_e64 v2, 0x46000000, |v0|
	s_and_not1_b32 s2, s2, exec_lo
	s_mov_b32 s4, 0
	s_delay_alu instid0(VALU_DEP_1) | instskip(NEXT) | instid1(VALU_DEP_1)
	v_and_b32_e32 v2, 0xff, v2
	v_cmp_ne_u32_e32 vcc_lo, 0, v2
	s_and_b32 s5, vcc_lo, exec_lo
	s_delay_alu instid0(SALU_CYCLE_1)
	s_or_b32 s2, s2, s5
	s_or_b32 exec_lo, exec_lo, s3
	v_mov_b32_e32 v6, s4
	s_and_saveexec_b32 s3, s2
	s_cbranch_execnz .LBB64_964
	s_branch .LBB64_965
.LBB64_1209:
	s_mov_b32 s4, -1
	s_mov_b32 s3, 0
	s_mov_b32 s0, 0
	s_branch .LBB64_1255
.LBB64_1210:
	s_mov_b32 s0, -1
                                        ; implicit-def: $vgpr18
.LBB64_1211:
	s_delay_alu instid0(SALU_CYCLE_1)
	s_and_not1_b32 vcc_lo, exec_lo, s0
	s_cbranch_vccnz .LBB64_1213
; %bb.1212:
	global_load_b64 v[17:18], v[2:3], off
.LBB64_1213:
	s_mov_b32 s0, 0
.LBB64_1214:
	s_delay_alu instid0(SALU_CYCLE_1)
	s_and_not1_b32 vcc_lo, exec_lo, s0
	s_cbranch_vccnz .LBB64_1216
; %bb.1215:
	global_load_b32 v5, v[2:3], off
	s_waitcnt vmcnt(0)
	v_lshrrev_b32_e32 v6, 16, v5
	v_cvt_f32_f16_e32 v17, v5
	s_delay_alu instid0(VALU_DEP_2)
	v_cvt_f32_f16_e32 v18, v6
.LBB64_1216:
	s_mov_b32 s0, 0
.LBB64_1217:
	s_delay_alu instid0(SALU_CYCLE_1)
	s_and_not1_b32 vcc_lo, exec_lo, s0
	s_cbranch_vccnz .LBB64_1229
; %bb.1218:
	v_cmp_gt_i16_e32 vcc_lo, 6, v25
	s_cbranch_vccnz .LBB64_1221
; %bb.1219:
	v_cmp_lt_i16_e32 vcc_lo, 6, v25
	s_cbranch_vccz .LBB64_1222
; %bb.1220:
	global_load_b64 v[5:6], v[2:3], off
	s_mov_b32 s2, 0
	s_mov_b32 s0, 0
	s_waitcnt vmcnt(0)
	v_cvt_f32_f64_e32 v17, v[5:6]
	s_branch .LBB64_1223
.LBB64_1221:
	s_mov_b32 s2, -1
                                        ; implicit-def: $sgpr0
                                        ; implicit-def: $vgpr17
	s_branch .LBB64_1226
.LBB64_1222:
	s_mov_b32 s2, -1
                                        ; implicit-def: $sgpr0
                                        ; implicit-def: $vgpr17
.LBB64_1223:
	s_delay_alu instid0(SALU_CYCLE_1)
	s_and_not1_b32 vcc_lo, exec_lo, s2
	s_cbranch_vccnz .LBB64_1225
; %bb.1224:
	global_load_b32 v17, v[2:3], off
	s_mov_b32 s0, 0
.LBB64_1225:
	s_mov_b32 s2, 0
.LBB64_1226:
	s_delay_alu instid0(SALU_CYCLE_1)
	s_and_not1_b32 vcc_lo, exec_lo, s2
	s_cbranch_vccnz .LBB64_1228
; %bb.1227:
	global_load_u16 v5, v[2:3], off
	s_mov_b32 s0, 0
	s_waitcnt vmcnt(0)
	v_cvt_f32_f16_e32 v17, v5
.LBB64_1228:
	s_waitcnt vmcnt(0)
	v_mov_b32_e32 v18, s0
.LBB64_1229:
	s_cbranch_execnz .LBB64_1200
.LBB64_1230:
	v_cmp_gt_i16_e32 vcc_lo, 2, v25
	s_cbranch_vccnz .LBB64_1234
; %bb.1231:
	v_cmp_gt_i16_e32 vcc_lo, 3, v25
	s_cbranch_vccnz .LBB64_1235
; %bb.1232:
	v_cmp_lt_i16_e32 vcc_lo, 3, v25
	s_cbranch_vccz .LBB64_1236
; %bb.1233:
	global_load_b64 v[5:6], v[2:3], off
	s_mov_b32 s2, 0
	s_mov_b32 s0, 0
	s_waitcnt vmcnt(0)
	v_xor_b32_e32 v7, v5, v6
	v_cls_i32_e32 v8, v6
	s_delay_alu instid0(VALU_DEP_2) | instskip(NEXT) | instid1(VALU_DEP_2)
	v_ashrrev_i32_e32 v7, 31, v7
	v_add_nc_u32_e32 v8, -1, v8
	s_delay_alu instid0(VALU_DEP_2) | instskip(NEXT) | instid1(VALU_DEP_1)
	v_add_nc_u32_e32 v7, 32, v7
	v_min_u32_e32 v7, v8, v7
	s_delay_alu instid0(VALU_DEP_1) | instskip(NEXT) | instid1(VALU_DEP_1)
	v_lshlrev_b64 v[5:6], v7, v[5:6]
	v_min_u32_e32 v5, 1, v5
	s_delay_alu instid0(VALU_DEP_1) | instskip(SKIP_1) | instid1(VALU_DEP_2)
	v_or_b32_e32 v5, v6, v5
	v_sub_nc_u32_e32 v6, 32, v7
	v_cvt_f32_i32_e32 v5, v5
	s_delay_alu instid0(VALU_DEP_1)
	v_ldexp_f32 v17, v5, v6
	s_branch .LBB64_1237
.LBB64_1234:
	s_mov_b32 s2, -1
                                        ; implicit-def: $sgpr0
                                        ; implicit-def: $vgpr17
	s_branch .LBB64_1243
.LBB64_1235:
	s_mov_b32 s2, -1
                                        ; implicit-def: $sgpr0
                                        ; implicit-def: $vgpr17
	s_branch .LBB64_1240
.LBB64_1236:
	s_mov_b32 s2, -1
                                        ; implicit-def: $sgpr0
                                        ; implicit-def: $vgpr17
.LBB64_1237:
	s_delay_alu instid0(SALU_CYCLE_1)
	s_and_not1_b32 vcc_lo, exec_lo, s2
	s_cbranch_vccnz .LBB64_1239
; %bb.1238:
	global_load_b32 v5, v[2:3], off
	s_mov_b32 s0, 0
	s_waitcnt vmcnt(0)
	v_cvt_f32_i32_e32 v17, v5
.LBB64_1239:
	s_mov_b32 s2, 0
.LBB64_1240:
	s_delay_alu instid0(SALU_CYCLE_1)
	s_and_not1_b32 vcc_lo, exec_lo, s2
	s_cbranch_vccnz .LBB64_1242
; %bb.1241:
	global_load_i16 v5, v[2:3], off
	s_mov_b32 s0, 0
	s_waitcnt vmcnt(0)
	v_cvt_f32_i32_e32 v17, v5
.LBB64_1242:
	s_mov_b32 s2, 0
.LBB64_1243:
	s_delay_alu instid0(SALU_CYCLE_1)
	s_and_not1_b32 vcc_lo, exec_lo, s2
	s_cbranch_vccnz .LBB64_1249
; %bb.1244:
	v_cmp_lt_i16_e32 vcc_lo, 0, v25
	s_mov_b32 s2, 0
	s_cbranch_vccz .LBB64_1246
; %bb.1245:
	global_load_i8 v5, v[2:3], off
	s_mov_b32 s0, 0
	s_waitcnt vmcnt(0)
	v_cvt_f32_i32_e32 v17, v5
	s_branch .LBB64_1247
.LBB64_1246:
	s_mov_b32 s2, -1
                                        ; implicit-def: $sgpr0
                                        ; implicit-def: $vgpr17
.LBB64_1247:
	s_delay_alu instid0(SALU_CYCLE_1)
	s_and_not1_b32 vcc_lo, exec_lo, s2
	s_cbranch_vccnz .LBB64_1249
; %bb.1248:
	global_load_u8 v2, v[2:3], off
	s_mov_b32 s0, 0
	s_waitcnt vmcnt(0)
	v_cvt_f32_ubyte0_e32 v17, v2
.LBB64_1249:
	s_waitcnt vmcnt(0)
	v_mov_b32_e32 v18, s0
	s_branch .LBB64_1325
.LBB64_1250:
	s_trap 2
	s_sendmsg_rtn_b32 s0, sendmsg(MSG_RTN_GET_DOORBELL)
	s_mov_b32 ttmp2, m0
	s_waitcnt lgkmcnt(0)
	s_and_b32 s0, s0, 0x3ff
	s_delay_alu instid0(SALU_CYCLE_1) | instskip(NEXT) | instid1(SALU_CYCLE_1)
	s_bitset1_b32 s0, 10
	s_mov_b32 m0, s0
	s_sendmsg sendmsg(MSG_INTERRUPT)
	s_mov_b32 m0, ttmp2
.LBB64_1251:                            ; =>This Inner Loop Header: Depth=1
	s_sethalt 5
	s_branch .LBB64_1251
.LBB64_1252:
	s_or_saveexec_b32 s4, s4
                                        ; implicit-def: $sgpr5
	s_delay_alu instid0(SALU_CYCLE_1)
	s_xor_b32 exec_lo, exec_lo, s4
	s_cbranch_execz .LBB64_975
.LBB64_1253:
	v_add_f32_e64 v2, 0x42800000, |v0|
	s_and_not1_b32 s3, s3, exec_lo
	s_mov_b32 s5, 0
	s_delay_alu instid0(VALU_DEP_1) | instskip(NEXT) | instid1(VALU_DEP_1)
	v_and_b32_e32 v2, 0xff, v2
	v_cmp_ne_u32_e32 vcc_lo, 0, v2
	s_and_b32 s6, vcc_lo, exec_lo
	s_delay_alu instid0(SALU_CYCLE_1)
	s_or_b32 s3, s3, s6
	s_or_b32 exec_lo, exec_lo, s4
	v_mov_b32_e32 v6, s5
	s_and_saveexec_b32 s4, s3
	s_cbranch_execnz .LBB64_976
	s_branch .LBB64_977
.LBB64_1254:
	s_mov_b32 s0, -1
	s_mov_b32 s3, 0
.LBB64_1255:
                                        ; implicit-def: $vgpr18
.LBB64_1256:
	s_and_b32 vcc_lo, exec_lo, s4
	s_cbranch_vccz .LBB64_1261
; %bb.1257:
	v_cmp_eq_u16_e32 vcc_lo, 44, v25
	s_cbranch_vccz .LBB64_1259
; %bb.1258:
	global_load_u8 v5, v[2:3], off
	s_mov_b32 s0, 0
	s_mov_b32 s3, -1
	s_waitcnt vmcnt(0)
	v_lshlrev_b32_e32 v6, 23, v5
	v_cmp_ne_u32_e32 vcc_lo, 0xff, v5
	s_delay_alu instid0(VALU_DEP_2) | instskip(SKIP_1) | instid1(VALU_DEP_2)
	v_cndmask_b32_e32 v6, 0x7f800001, v6, vcc_lo
	v_cmp_ne_u32_e32 vcc_lo, 0, v5
	v_cndmask_b32_e32 v17, 0x400000, v6, vcc_lo
	s_branch .LBB64_1260
.LBB64_1259:
	s_mov_b32 s0, -1
                                        ; implicit-def: $vgpr17
.LBB64_1260:
	s_delay_alu instid0(SALU_CYCLE_1)
	v_mov_b32_e32 v18, s0
.LBB64_1261:
	s_mov_b32 s4, 0
.LBB64_1262:
	s_delay_alu instid0(SALU_CYCLE_1)
	s_and_b32 vcc_lo, exec_lo, s4
	s_cbranch_vccz .LBB64_1267
; %bb.1263:
	v_cmp_eq_u16_e32 vcc_lo, 29, v25
	s_cbranch_vccz .LBB64_1265
; %bb.1264:
	global_load_b64 v[5:6], v[2:3], off
	s_mov_b32 s0, 0
	s_mov_b32 s3, -1
	s_mov_b32 s4, 0
	s_waitcnt vmcnt(0)
	v_clz_i32_u32_e32 v7, v6
	s_delay_alu instid0(VALU_DEP_1) | instskip(NEXT) | instid1(VALU_DEP_1)
	v_min_u32_e32 v7, 32, v7
	v_lshlrev_b64 v[5:6], v7, v[5:6]
	s_delay_alu instid0(VALU_DEP_1) | instskip(NEXT) | instid1(VALU_DEP_1)
	v_min_u32_e32 v5, 1, v5
	v_or_b32_e32 v5, v6, v5
	v_sub_nc_u32_e32 v6, 32, v7
	s_delay_alu instid0(VALU_DEP_2) | instskip(NEXT) | instid1(VALU_DEP_1)
	v_cvt_f32_u32_e32 v5, v5
	v_ldexp_f32 v17, v5, v6
	s_branch .LBB64_1266
.LBB64_1265:
	s_mov_b32 s0, -1
                                        ; implicit-def: $sgpr4
                                        ; implicit-def: $vgpr17
.LBB64_1266:
	v_mov_b32_e32 v18, s4
.LBB64_1267:
	s_mov_b32 s4, 0
.LBB64_1268:
	s_delay_alu instid0(SALU_CYCLE_1)
	s_and_b32 vcc_lo, exec_lo, s4
	s_cbranch_vccz .LBB64_1288
; %bb.1269:
	v_cmp_gt_i16_e32 vcc_lo, 27, v25
	s_cbranch_vccnz .LBB64_1272
; %bb.1270:
	v_cmp_lt_i16_e32 vcc_lo, 27, v25
	s_cbranch_vccz .LBB64_1273
; %bb.1271:
	global_load_b32 v5, v[2:3], off
	s_mov_b32 s4, 0
	s_mov_b32 s3, 0
	s_waitcnt vmcnt(0)
	v_cvt_f32_u32_e32 v17, v5
	s_branch .LBB64_1274
.LBB64_1272:
	s_mov_b32 s4, -1
                                        ; implicit-def: $sgpr3
                                        ; implicit-def: $vgpr17
	s_branch .LBB64_1277
.LBB64_1273:
	s_mov_b32 s4, -1
                                        ; implicit-def: $sgpr3
                                        ; implicit-def: $vgpr17
.LBB64_1274:
	s_delay_alu instid0(SALU_CYCLE_1)
	s_and_not1_b32 vcc_lo, exec_lo, s4
	s_cbranch_vccnz .LBB64_1276
; %bb.1275:
	global_load_u16 v5, v[2:3], off
	s_mov_b32 s3, 0
	s_waitcnt vmcnt(0)
	v_cvt_f32_u32_e32 v17, v5
.LBB64_1276:
	s_mov_b32 s4, 0
.LBB64_1277:
	v_mov_b32_e32 v18, s3
	s_and_not1_b32 vcc_lo, exec_lo, s4
	s_cbranch_vccnz .LBB64_1287
; %bb.1278:
	global_load_u8 v5, v[2:3], off
	s_mov_b32 s3, 0
	s_mov_b32 s6, exec_lo
                                        ; implicit-def: $sgpr5
                                        ; implicit-def: $sgpr4
	s_waitcnt vmcnt(0)
	v_cmpx_lt_i16_e32 0x7f, v5
	s_xor_b32 s6, exec_lo, s6
	s_cbranch_execz .LBB64_1282
; %bb.1279:
	s_mov_b32 s3, -1
	s_mov_b32 s7, exec_lo
                                        ; implicit-def: $sgpr5
                                        ; implicit-def: $sgpr4
	v_cmpx_eq_u16_e32 0x80, v5
; %bb.1280:
	s_mov_b32 s4, 0x7f800001
	s_mov_b32 s5, 0
	s_xor_b32 s3, exec_lo, -1
; %bb.1281:
	s_or_b32 exec_lo, exec_lo, s7
	s_delay_alu instid0(SALU_CYCLE_1)
	s_and_b32 s3, s3, exec_lo
.LBB64_1282:
	s_or_saveexec_b32 s6, s6
	v_dual_mov_b32 v18, s5 :: v_dual_mov_b32 v17, s4
	s_xor_b32 exec_lo, exec_lo, s6
; %bb.1283:
	v_mov_b32_e32 v18, 0
	v_cmp_ne_u16_e32 vcc_lo, 0, v5
	s_and_not1_b32 s3, s3, exec_lo
	s_delay_alu instid0(VALU_DEP_2) | instskip(SKIP_1) | instid1(SALU_CYCLE_1)
	v_mov_b32_e32 v17, v18
	s_and_b32 s4, vcc_lo, exec_lo
	s_or_b32 s3, s3, s4
; %bb.1284:
	s_or_b32 exec_lo, exec_lo, s6
	s_and_saveexec_b32 s4, s3
	s_cbranch_execz .LBB64_1286
; %bb.1285:
	v_and_b32_e32 v6, 0xffff, v5
	v_dual_mov_b32 v18, 0 :: v_dual_lshlrev_b32 v5, 24, v5
	s_delay_alu instid0(VALU_DEP_2) | instskip(NEXT) | instid1(VALU_DEP_2)
	v_and_b32_e32 v7, 7, v6
	v_and_b32_e32 v5, 0x80000000, v5
	s_delay_alu instid0(VALU_DEP_2) | instskip(NEXT) | instid1(VALU_DEP_1)
	v_clz_i32_u32_e32 v8, v7
	v_min_u32_e32 v8, 32, v8
	s_delay_alu instid0(VALU_DEP_1) | instskip(SKIP_1) | instid1(VALU_DEP_2)
	v_subrev_nc_u32_e32 v9, 28, v8
	v_sub_nc_u32_e32 v8, 29, v8
	v_lshlrev_b32_e32 v9, v9, v6
	v_bfe_u32 v6, v6, 3, 4
	s_delay_alu instid0(VALU_DEP_2) | instskip(NEXT) | instid1(VALU_DEP_2)
	v_and_b32_e32 v9, 7, v9
	v_cmp_eq_u32_e32 vcc_lo, 0, v6
	s_delay_alu instid0(VALU_DEP_2) | instskip(NEXT) | instid1(VALU_DEP_1)
	v_dual_cndmask_b32 v6, v6, v8 :: v_dual_cndmask_b32 v7, v7, v9
	v_lshl_add_u32 v6, v6, 23, 0x3b800000
	s_delay_alu instid0(VALU_DEP_2) | instskip(NEXT) | instid1(VALU_DEP_1)
	v_lshlrev_b32_e32 v7, 20, v7
	v_or3_b32 v17, v5, v6, v7
.LBB64_1286:
	s_or_b32 exec_lo, exec_lo, s4
.LBB64_1287:
	s_mov_b32 s3, -1
.LBB64_1288:
	s_branch .LBB64_1320
.LBB64_1289:
	v_cmp_lt_i16_e32 vcc_lo, 22, v25
	s_cbranch_vccz .LBB64_1301
; %bb.1290:
	v_cmp_gt_i16_e32 vcc_lo, 24, v25
	s_cbranch_vccnz .LBB64_1302
; %bb.1291:
	v_cmp_lt_i16_e32 vcc_lo, 24, v25
	s_cbranch_vccz .LBB64_1303
; %bb.1292:
	global_load_u8 v5, v[2:3], off
	s_mov_b32 s5, exec_lo
                                        ; implicit-def: $sgpr4
                                        ; implicit-def: $sgpr3
	s_waitcnt vmcnt(0)
	v_cmpx_lt_i16_e32 0x7f, v5
	s_xor_b32 s5, exec_lo, s5
	s_cbranch_execz .LBB64_1296
; %bb.1293:
	s_mov_b32 s2, -1
	s_mov_b32 s6, exec_lo
                                        ; implicit-def: $sgpr4
                                        ; implicit-def: $sgpr3
	v_cmpx_eq_u16_e32 0x80, v5
; %bb.1294:
	s_mov_b32 s3, 0x7f800001
	s_mov_b32 s4, 0
	s_xor_b32 s2, exec_lo, -1
; %bb.1295:
	s_or_b32 exec_lo, exec_lo, s6
	s_delay_alu instid0(SALU_CYCLE_1)
	s_and_b32 s2, s2, exec_lo
.LBB64_1296:
	s_or_saveexec_b32 s5, s5
	v_dual_mov_b32 v18, s4 :: v_dual_mov_b32 v17, s3
	s_xor_b32 exec_lo, exec_lo, s5
; %bb.1297:
	v_mov_b32_e32 v18, 0
	v_cmp_ne_u16_e32 vcc_lo, 0, v5
	s_and_not1_b32 s2, s2, exec_lo
	s_delay_alu instid0(VALU_DEP_2) | instskip(SKIP_1) | instid1(SALU_CYCLE_1)
	v_mov_b32_e32 v17, v18
	s_and_b32 s3, vcc_lo, exec_lo
	s_or_b32 s2, s2, s3
; %bb.1298:
	s_or_b32 exec_lo, exec_lo, s5
	s_and_saveexec_b32 s3, s2
	s_cbranch_execz .LBB64_1300
; %bb.1299:
	v_and_b32_e32 v6, 0xffff, v5
	v_dual_mov_b32 v18, 0 :: v_dual_lshlrev_b32 v5, 24, v5
	s_delay_alu instid0(VALU_DEP_2) | instskip(NEXT) | instid1(VALU_DEP_2)
	v_and_b32_e32 v7, 3, v6
	v_and_b32_e32 v5, 0x80000000, v5
	s_delay_alu instid0(VALU_DEP_2) | instskip(NEXT) | instid1(VALU_DEP_1)
	v_clz_i32_u32_e32 v8, v7
	v_min_u32_e32 v8, 32, v8
	s_delay_alu instid0(VALU_DEP_1) | instskip(SKIP_1) | instid1(VALU_DEP_2)
	v_subrev_nc_u32_e32 v9, 29, v8
	v_sub_nc_u32_e32 v8, 30, v8
	v_lshlrev_b32_e32 v9, v9, v6
	v_bfe_u32 v6, v6, 2, 5
	s_delay_alu instid0(VALU_DEP_2) | instskip(NEXT) | instid1(VALU_DEP_2)
	v_and_b32_e32 v9, 3, v9
	v_cmp_eq_u32_e32 vcc_lo, 0, v6
	s_delay_alu instid0(VALU_DEP_2) | instskip(NEXT) | instid1(VALU_DEP_1)
	v_dual_cndmask_b32 v6, v6, v8 :: v_dual_cndmask_b32 v7, v7, v9
	v_lshl_add_u32 v6, v6, 23, 0x37800000
	s_delay_alu instid0(VALU_DEP_2) | instskip(NEXT) | instid1(VALU_DEP_1)
	v_lshlrev_b32_e32 v7, 21, v7
	v_or3_b32 v17, v5, v6, v7
.LBB64_1300:
	s_or_b32 exec_lo, exec_lo, s3
	s_mov_b32 s2, 0
	s_branch .LBB64_1304
.LBB64_1301:
	s_mov_b32 s2, -1
                                        ; implicit-def: $vgpr18
	s_branch .LBB64_1310
.LBB64_1302:
	s_mov_b32 s2, -1
                                        ; implicit-def: $vgpr18
	s_branch .LBB64_1307
.LBB64_1303:
	s_mov_b32 s2, -1
                                        ; implicit-def: $vgpr18
.LBB64_1304:
	s_delay_alu instid0(SALU_CYCLE_1)
	s_and_b32 vcc_lo, exec_lo, s2
	s_cbranch_vccz .LBB64_1306
; %bb.1305:
	global_load_u8 v5, v[2:3], off
	s_waitcnt vmcnt(0)
	v_dual_mov_b32 v18, 0 :: v_dual_lshlrev_b32 v5, 24, v5
	s_delay_alu instid0(VALU_DEP_1) | instskip(NEXT) | instid1(VALU_DEP_1)
	v_and_b32_e32 v6, 0x7f000000, v5
	v_clz_i32_u32_e32 v7, v6
	v_add_nc_u32_e32 v9, 0x1000000, v6
	v_cmp_ne_u32_e32 vcc_lo, 0, v6
	s_delay_alu instid0(VALU_DEP_3) | instskip(NEXT) | instid1(VALU_DEP_1)
	v_min_u32_e32 v7, 32, v7
	v_sub_nc_u32_e64 v7, v7, 4 clamp
	s_delay_alu instid0(VALU_DEP_1) | instskip(SKIP_1) | instid1(VALU_DEP_2)
	v_lshlrev_b32_e32 v8, v7, v6
	v_lshlrev_b32_e32 v7, 23, v7
	v_lshrrev_b32_e32 v8, 4, v8
	s_delay_alu instid0(VALU_DEP_1) | instskip(SKIP_1) | instid1(VALU_DEP_2)
	v_sub_nc_u32_e32 v7, v8, v7
	v_ashrrev_i32_e32 v8, 8, v9
	v_add_nc_u32_e32 v7, 0x3c000000, v7
	s_delay_alu instid0(VALU_DEP_1) | instskip(NEXT) | instid1(VALU_DEP_1)
	v_and_or_b32 v7, 0x7f800000, v8, v7
	v_cndmask_b32_e32 v6, 0, v7, vcc_lo
	s_delay_alu instid0(VALU_DEP_1)
	v_and_or_b32 v17, 0x80000000, v5, v6
.LBB64_1306:
	s_mov_b32 s2, 0
.LBB64_1307:
	s_delay_alu instid0(SALU_CYCLE_1)
	s_and_not1_b32 vcc_lo, exec_lo, s2
	s_cbranch_vccnz .LBB64_1309
; %bb.1308:
	global_load_u8 v5, v[2:3], off
	v_mov_b32_e32 v18, 0
	s_waitcnt vmcnt(0)
	v_lshlrev_b32_e32 v6, 25, v5
	v_lshlrev_b16 v5, 8, v5
	s_delay_alu instid0(VALU_DEP_2) | instskip(NEXT) | instid1(VALU_DEP_2)
	v_lshrrev_b32_e32 v7, 4, v6
	v_and_or_b32 v8, 0x7f00, v5, 0.5
	v_bfe_i32 v5, v5, 0, 16
	s_delay_alu instid0(VALU_DEP_3) | instskip(NEXT) | instid1(VALU_DEP_1)
	v_or_b32_e32 v7, 0x70000000, v7
	v_dual_add_f32 v8, -0.5, v8 :: v_dual_mul_f32 v7, 0x7800000, v7
	v_cmp_gt_u32_e32 vcc_lo, 0x8000000, v6
	s_delay_alu instid0(VALU_DEP_2) | instskip(NEXT) | instid1(VALU_DEP_1)
	v_cndmask_b32_e32 v6, v7, v8, vcc_lo
	v_and_or_b32 v17, 0x80000000, v5, v6
.LBB64_1309:
	s_mov_b32 s2, 0
	s_mov_b32 s3, -1
.LBB64_1310:
	s_and_not1_b32 vcc_lo, exec_lo, s2
	s_mov_b32 s2, 0
	s_cbranch_vccnz .LBB64_1320
; %bb.1311:
	v_cmp_lt_i16_e32 vcc_lo, 14, v25
	s_cbranch_vccz .LBB64_1314
; %bb.1312:
	v_cmp_eq_u16_e32 vcc_lo, 15, v25
	s_cbranch_vccz .LBB64_1315
; %bb.1313:
	global_load_u16 v5, v[2:3], off
	s_mov_b32 s0, 0
	s_mov_b32 s3, -1
	s_mov_b32 s4, 0
	s_waitcnt vmcnt(0)
	v_lshlrev_b32_e32 v17, 16, v5
	s_branch .LBB64_1317
.LBB64_1314:
	s_mov_b32 s2, -1
	s_branch .LBB64_1316
.LBB64_1315:
	s_mov_b32 s0, -1
.LBB64_1316:
                                        ; implicit-def: $sgpr4
                                        ; implicit-def: $vgpr17
.LBB64_1317:
	s_and_b32 vcc_lo, exec_lo, s2
	s_mov_b32 s2, 0
	s_cbranch_vccz .LBB64_1319
; %bb.1318:
	v_cmp_ne_u16_e64 s0, 11, v25
	s_mov_b32 s2, -1
                                        ; implicit-def: $sgpr4
                                        ; implicit-def: $vgpr17
.LBB64_1319:
	v_mov_b32_e32 v18, s4
.LBB64_1320:
	s_delay_alu instid0(VALU_DEP_2)
	s_and_b32 vcc_lo, exec_lo, s0
	s_cbranch_vccnz .LBB64_1344
; %bb.1321:
	s_and_not1_b32 vcc_lo, exec_lo, s2
	s_cbranch_vccnz .LBB64_1323
.LBB64_1322:
	global_load_u8 v5, v[2:3], off
	v_mov_b32_e32 v18, 0
	s_mov_b32 s3, -1
	s_waitcnt vmcnt(0)
	v_cmp_ne_u16_e32 vcc_lo, 0, v5
	v_cndmask_b32_e64 v17, 0, 1.0, vcc_lo
.LBB64_1323:
.LBB64_1324:
	s_and_not1_b32 vcc_lo, exec_lo, s3
	s_cbranch_vccnz .LBB64_2035
.LBB64_1325:
	v_add_nc_u32_e32 v4, s1, v4
	v_cmp_gt_i16_e32 vcc_lo, 11, v25
	s_delay_alu instid0(VALU_DEP_2) | instskip(SKIP_1) | instid1(VALU_DEP_1)
	v_ashrrev_i32_e32 v3, 31, v4
	v_add_co_u32 v2, s0, s18, v4
	v_add_co_ci_u32_e64 v3, s0, s19, v3, s0
	s_cbranch_vccnz .LBB64_1332
; %bb.1326:
	v_cmp_lt_i16_e32 vcc_lo, 25, v25
	s_mov_b32 s2, 0
	s_cbranch_vccz .LBB64_1338
; %bb.1327:
	v_cmp_lt_i16_e32 vcc_lo, 28, v25
	s_cbranch_vccz .LBB64_1340
; %bb.1328:
	v_cmp_lt_i16_e32 vcc_lo, 43, v25
	;; [unrolled: 3-line block ×3, first 2 shown]
	s_cbranch_vccz .LBB64_1346
; %bb.1330:
	v_cmp_eq_u16_e32 vcc_lo, 46, v25
	s_mov_b32 s4, 0
	s_cbranch_vccz .LBB64_1391
; %bb.1331:
	global_load_b32 v5, v[2:3], off
	s_mov_b32 s0, 0
	s_mov_b32 s3, -1
	s_waitcnt vmcnt(0)
	v_and_b32_e32 v20, 0xffff0000, v5
	v_lshlrev_b32_e32 v19, 16, v5
	s_branch .LBB64_1393
.LBB64_1332:
	s_mov_b32 s3, 0
                                        ; implicit-def: $vgpr20
	s_cbranch_execz .LBB64_1462
; %bb.1333:
	v_cmp_gt_i16_e32 vcc_lo, 5, v25
	s_cbranch_vccnz .LBB64_1339
; %bb.1334:
	v_cmp_gt_i16_e32 vcc_lo, 8, v25
	s_cbranch_vccnz .LBB64_1341
	;; [unrolled: 3-line block ×3, first 2 shown]
; %bb.1336:
	v_cmp_lt_i16_e32 vcc_lo, 9, v25
	s_cbranch_vccz .LBB64_1347
; %bb.1337:
	global_load_b128 v[5:8], v[2:3], off
	s_mov_b32 s0, 0
	s_waitcnt vmcnt(0)
	v_cvt_f32_f64_e32 v19, v[5:6]
	v_cvt_f32_f64_e32 v20, v[7:8]
	s_branch .LBB64_1348
.LBB64_1338:
	s_mov_b32 s4, -1
	s_mov_b32 s3, 0
	s_mov_b32 s0, 0
                                        ; implicit-def: $vgpr20
	s_branch .LBB64_1426
.LBB64_1339:
	s_mov_b32 s0, -1
                                        ; implicit-def: $vgpr20
	s_branch .LBB64_1367
.LBB64_1340:
	s_mov_b32 s4, -1
	s_mov_b32 s3, 0
	s_mov_b32 s0, 0
                                        ; implicit-def: $vgpr20
	s_branch .LBB64_1405
.LBB64_1341:
	s_mov_b32 s0, -1
                                        ; implicit-def: $vgpr20
	s_branch .LBB64_1354
.LBB64_1342:
	s_mov_b32 s4, -1
	s_mov_b32 s3, 0
	s_mov_b32 s0, 0
                                        ; implicit-def: $vgpr20
	s_branch .LBB64_1399
.LBB64_1343:
	s_mov_b32 s0, -1
                                        ; implicit-def: $vgpr20
	s_branch .LBB64_1351
.LBB64_1344:
	s_cbranch_execnz .LBB64_1389
; %bb.1345:
	s_or_b32 s9, s9, exec_lo
                                        ; implicit-def: $vgpr18
	s_cbranch_execz .LBB64_1322
	s_branch .LBB64_1323
.LBB64_1346:
	s_mov_b32 s4, -1
	s_mov_b32 s3, 0
	s_mov_b32 s0, 0
	s_branch .LBB64_1392
.LBB64_1347:
	s_mov_b32 s0, -1
                                        ; implicit-def: $vgpr20
.LBB64_1348:
	s_delay_alu instid0(SALU_CYCLE_1)
	s_and_not1_b32 vcc_lo, exec_lo, s0
	s_cbranch_vccnz .LBB64_1350
; %bb.1349:
	global_load_b64 v[19:20], v[2:3], off
.LBB64_1350:
	s_mov_b32 s0, 0
.LBB64_1351:
	s_delay_alu instid0(SALU_CYCLE_1)
	s_and_not1_b32 vcc_lo, exec_lo, s0
	s_cbranch_vccnz .LBB64_1353
; %bb.1352:
	global_load_b32 v5, v[2:3], off
	s_waitcnt vmcnt(0)
	v_lshrrev_b32_e32 v6, 16, v5
	v_cvt_f32_f16_e32 v19, v5
	s_delay_alu instid0(VALU_DEP_2)
	v_cvt_f32_f16_e32 v20, v6
.LBB64_1353:
	s_mov_b32 s0, 0
.LBB64_1354:
	s_delay_alu instid0(SALU_CYCLE_1)
	s_and_not1_b32 vcc_lo, exec_lo, s0
	s_cbranch_vccnz .LBB64_1366
; %bb.1355:
	v_cmp_gt_i16_e32 vcc_lo, 6, v25
	s_cbranch_vccnz .LBB64_1358
; %bb.1356:
	v_cmp_lt_i16_e32 vcc_lo, 6, v25
	s_cbranch_vccz .LBB64_1359
; %bb.1357:
	global_load_b64 v[5:6], v[2:3], off
	s_mov_b32 s2, 0
	s_mov_b32 s0, 0
	s_waitcnt vmcnt(0)
	v_cvt_f32_f64_e32 v19, v[5:6]
	s_branch .LBB64_1360
.LBB64_1358:
	s_mov_b32 s2, -1
                                        ; implicit-def: $sgpr0
                                        ; implicit-def: $vgpr19
	s_branch .LBB64_1363
.LBB64_1359:
	s_mov_b32 s2, -1
                                        ; implicit-def: $sgpr0
                                        ; implicit-def: $vgpr19
.LBB64_1360:
	s_delay_alu instid0(SALU_CYCLE_1)
	s_and_not1_b32 vcc_lo, exec_lo, s2
	s_cbranch_vccnz .LBB64_1362
; %bb.1361:
	global_load_b32 v19, v[2:3], off
	s_mov_b32 s0, 0
.LBB64_1362:
	s_mov_b32 s2, 0
.LBB64_1363:
	s_delay_alu instid0(SALU_CYCLE_1)
	s_and_not1_b32 vcc_lo, exec_lo, s2
	s_cbranch_vccnz .LBB64_1365
; %bb.1364:
	global_load_u16 v5, v[2:3], off
	s_mov_b32 s0, 0
	s_waitcnt vmcnt(0)
	v_cvt_f32_f16_e32 v19, v5
.LBB64_1365:
	s_waitcnt vmcnt(0)
	v_mov_b32_e32 v20, s0
.LBB64_1366:
	s_mov_b32 s0, 0
.LBB64_1367:
	s_delay_alu instid0(SALU_CYCLE_1)
	s_and_not1_b32 vcc_lo, exec_lo, s0
	s_cbranch_vccnz .LBB64_1388
; %bb.1368:
	v_cmp_gt_i16_e32 vcc_lo, 2, v25
	s_cbranch_vccnz .LBB64_1372
; %bb.1369:
	v_cmp_gt_i16_e32 vcc_lo, 3, v25
	s_cbranch_vccnz .LBB64_1373
; %bb.1370:
	v_cmp_lt_i16_e32 vcc_lo, 3, v25
	s_cbranch_vccz .LBB64_1374
; %bb.1371:
	global_load_b64 v[5:6], v[2:3], off
	s_mov_b32 s2, 0
	s_mov_b32 s0, 0
	s_waitcnt vmcnt(0)
	v_xor_b32_e32 v7, v5, v6
	v_cls_i32_e32 v8, v6
	s_delay_alu instid0(VALU_DEP_2) | instskip(NEXT) | instid1(VALU_DEP_2)
	v_ashrrev_i32_e32 v7, 31, v7
	v_add_nc_u32_e32 v8, -1, v8
	s_delay_alu instid0(VALU_DEP_2) | instskip(NEXT) | instid1(VALU_DEP_1)
	v_add_nc_u32_e32 v7, 32, v7
	v_min_u32_e32 v7, v8, v7
	s_delay_alu instid0(VALU_DEP_1) | instskip(NEXT) | instid1(VALU_DEP_1)
	v_lshlrev_b64 v[5:6], v7, v[5:6]
	v_min_u32_e32 v5, 1, v5
	s_delay_alu instid0(VALU_DEP_1) | instskip(SKIP_1) | instid1(VALU_DEP_2)
	v_or_b32_e32 v5, v6, v5
	v_sub_nc_u32_e32 v6, 32, v7
	v_cvt_f32_i32_e32 v5, v5
	s_delay_alu instid0(VALU_DEP_1)
	v_ldexp_f32 v19, v5, v6
	s_branch .LBB64_1375
.LBB64_1372:
	s_mov_b32 s2, -1
                                        ; implicit-def: $sgpr0
                                        ; implicit-def: $vgpr19
	s_branch .LBB64_1381
.LBB64_1373:
	s_mov_b32 s2, -1
                                        ; implicit-def: $sgpr0
                                        ; implicit-def: $vgpr19
	s_branch .LBB64_1378
.LBB64_1374:
	s_mov_b32 s2, -1
                                        ; implicit-def: $sgpr0
                                        ; implicit-def: $vgpr19
.LBB64_1375:
	s_delay_alu instid0(SALU_CYCLE_1)
	s_and_not1_b32 vcc_lo, exec_lo, s2
	s_cbranch_vccnz .LBB64_1377
; %bb.1376:
	global_load_b32 v5, v[2:3], off
	s_mov_b32 s0, 0
	s_waitcnt vmcnt(0)
	v_cvt_f32_i32_e32 v19, v5
.LBB64_1377:
	s_mov_b32 s2, 0
.LBB64_1378:
	s_delay_alu instid0(SALU_CYCLE_1)
	s_and_not1_b32 vcc_lo, exec_lo, s2
	s_cbranch_vccnz .LBB64_1380
; %bb.1379:
	global_load_i16 v5, v[2:3], off
	s_mov_b32 s0, 0
	s_waitcnt vmcnt(0)
	v_cvt_f32_i32_e32 v19, v5
.LBB64_1380:
	s_mov_b32 s2, 0
.LBB64_1381:
	s_delay_alu instid0(SALU_CYCLE_1)
	s_and_not1_b32 vcc_lo, exec_lo, s2
	s_cbranch_vccnz .LBB64_1387
; %bb.1382:
	v_cmp_lt_i16_e32 vcc_lo, 0, v25
	s_mov_b32 s2, 0
	s_cbranch_vccz .LBB64_1384
; %bb.1383:
	global_load_i8 v5, v[2:3], off
	s_mov_b32 s0, 0
	s_waitcnt vmcnt(0)
	v_cvt_f32_i32_e32 v19, v5
	s_branch .LBB64_1385
.LBB64_1384:
	s_mov_b32 s2, -1
                                        ; implicit-def: $sgpr0
                                        ; implicit-def: $vgpr19
.LBB64_1385:
	s_delay_alu instid0(SALU_CYCLE_1)
	s_and_not1_b32 vcc_lo, exec_lo, s2
	s_cbranch_vccnz .LBB64_1387
; %bb.1386:
	global_load_u8 v2, v[2:3], off
	s_mov_b32 s0, 0
	s_waitcnt vmcnt(0)
	v_cvt_f32_ubyte0_e32 v19, v2
.LBB64_1387:
	s_waitcnt vmcnt(0)
	v_mov_b32_e32 v20, s0
.LBB64_1388:
	s_branch .LBB64_1463
.LBB64_1389:
	s_trap 2
	s_sendmsg_rtn_b32 s0, sendmsg(MSG_RTN_GET_DOORBELL)
	s_mov_b32 ttmp2, m0
	s_waitcnt lgkmcnt(0)
	s_and_b32 s0, s0, 0x3ff
	s_delay_alu instid0(SALU_CYCLE_1) | instskip(NEXT) | instid1(SALU_CYCLE_1)
	s_bitset1_b32 s0, 10
	s_mov_b32 m0, s0
	s_sendmsg sendmsg(MSG_INTERRUPT)
	s_mov_b32 m0, ttmp2
.LBB64_1390:                            ; =>This Inner Loop Header: Depth=1
	s_sethalt 5
	s_branch .LBB64_1390
.LBB64_1391:
	s_mov_b32 s0, -1
	s_mov_b32 s3, 0
.LBB64_1392:
                                        ; implicit-def: $vgpr20
.LBB64_1393:
	s_and_b32 vcc_lo, exec_lo, s4
	s_cbranch_vccz .LBB64_1398
; %bb.1394:
	v_cmp_eq_u16_e32 vcc_lo, 44, v25
	s_cbranch_vccz .LBB64_1396
; %bb.1395:
	global_load_u8 v5, v[2:3], off
	s_mov_b32 s0, 0
	s_mov_b32 s3, -1
	s_waitcnt vmcnt(0)
	v_lshlrev_b32_e32 v6, 23, v5
	v_cmp_ne_u32_e32 vcc_lo, 0xff, v5
	s_delay_alu instid0(VALU_DEP_2) | instskip(SKIP_1) | instid1(VALU_DEP_2)
	v_cndmask_b32_e32 v6, 0x7f800001, v6, vcc_lo
	v_cmp_ne_u32_e32 vcc_lo, 0, v5
	v_cndmask_b32_e32 v19, 0x400000, v6, vcc_lo
	s_branch .LBB64_1397
.LBB64_1396:
	s_mov_b32 s0, -1
                                        ; implicit-def: $vgpr19
.LBB64_1397:
	s_delay_alu instid0(SALU_CYCLE_1)
	v_mov_b32_e32 v20, s0
.LBB64_1398:
	s_mov_b32 s4, 0
.LBB64_1399:
	s_delay_alu instid0(SALU_CYCLE_1)
	s_and_b32 vcc_lo, exec_lo, s4
	s_cbranch_vccz .LBB64_1404
; %bb.1400:
	v_cmp_eq_u16_e32 vcc_lo, 29, v25
	s_cbranch_vccz .LBB64_1402
; %bb.1401:
	global_load_b64 v[5:6], v[2:3], off
	s_mov_b32 s0, 0
	s_mov_b32 s3, -1
	s_mov_b32 s4, 0
	s_waitcnt vmcnt(0)
	v_clz_i32_u32_e32 v7, v6
	s_delay_alu instid0(VALU_DEP_1) | instskip(NEXT) | instid1(VALU_DEP_1)
	v_min_u32_e32 v7, 32, v7
	v_lshlrev_b64 v[5:6], v7, v[5:6]
	s_delay_alu instid0(VALU_DEP_1) | instskip(NEXT) | instid1(VALU_DEP_1)
	v_min_u32_e32 v5, 1, v5
	v_or_b32_e32 v5, v6, v5
	v_sub_nc_u32_e32 v6, 32, v7
	s_delay_alu instid0(VALU_DEP_2) | instskip(NEXT) | instid1(VALU_DEP_1)
	v_cvt_f32_u32_e32 v5, v5
	v_ldexp_f32 v19, v5, v6
	s_branch .LBB64_1403
.LBB64_1402:
	s_mov_b32 s0, -1
                                        ; implicit-def: $sgpr4
                                        ; implicit-def: $vgpr19
.LBB64_1403:
	v_mov_b32_e32 v20, s4
.LBB64_1404:
	s_mov_b32 s4, 0
.LBB64_1405:
	s_delay_alu instid0(SALU_CYCLE_1)
	s_and_b32 vcc_lo, exec_lo, s4
	s_cbranch_vccz .LBB64_1425
; %bb.1406:
	v_cmp_gt_i16_e32 vcc_lo, 27, v25
	s_cbranch_vccnz .LBB64_1409
; %bb.1407:
	v_cmp_lt_i16_e32 vcc_lo, 27, v25
	s_cbranch_vccz .LBB64_1410
; %bb.1408:
	global_load_b32 v5, v[2:3], off
	s_mov_b32 s4, 0
	s_mov_b32 s3, 0
	s_waitcnt vmcnt(0)
	v_cvt_f32_u32_e32 v19, v5
	s_branch .LBB64_1411
.LBB64_1409:
	s_mov_b32 s4, -1
                                        ; implicit-def: $sgpr3
                                        ; implicit-def: $vgpr19
	s_branch .LBB64_1414
.LBB64_1410:
	s_mov_b32 s4, -1
                                        ; implicit-def: $sgpr3
                                        ; implicit-def: $vgpr19
.LBB64_1411:
	s_delay_alu instid0(SALU_CYCLE_1)
	s_and_not1_b32 vcc_lo, exec_lo, s4
	s_cbranch_vccnz .LBB64_1413
; %bb.1412:
	global_load_u16 v5, v[2:3], off
	s_mov_b32 s3, 0
	s_waitcnt vmcnt(0)
	v_cvt_f32_u32_e32 v19, v5
.LBB64_1413:
	s_mov_b32 s4, 0
.LBB64_1414:
	v_mov_b32_e32 v20, s3
	s_and_not1_b32 vcc_lo, exec_lo, s4
	s_cbranch_vccnz .LBB64_1424
; %bb.1415:
	global_load_u8 v5, v[2:3], off
	s_mov_b32 s3, 0
	s_mov_b32 s6, exec_lo
                                        ; implicit-def: $sgpr5
                                        ; implicit-def: $sgpr4
	s_waitcnt vmcnt(0)
	v_cmpx_lt_i16_e32 0x7f, v5
	s_xor_b32 s6, exec_lo, s6
	s_cbranch_execz .LBB64_1419
; %bb.1416:
	s_mov_b32 s3, -1
	s_mov_b32 s7, exec_lo
                                        ; implicit-def: $sgpr5
                                        ; implicit-def: $sgpr4
	v_cmpx_eq_u16_e32 0x80, v5
; %bb.1417:
	s_mov_b32 s4, 0x7f800001
	s_mov_b32 s5, 0
	s_xor_b32 s3, exec_lo, -1
; %bb.1418:
	s_or_b32 exec_lo, exec_lo, s7
	s_delay_alu instid0(SALU_CYCLE_1)
	s_and_b32 s3, s3, exec_lo
.LBB64_1419:
	s_or_saveexec_b32 s6, s6
	v_dual_mov_b32 v20, s5 :: v_dual_mov_b32 v19, s4
	s_xor_b32 exec_lo, exec_lo, s6
; %bb.1420:
	v_mov_b32_e32 v20, 0
	v_cmp_ne_u16_e32 vcc_lo, 0, v5
	s_and_not1_b32 s3, s3, exec_lo
	s_delay_alu instid0(VALU_DEP_2) | instskip(SKIP_1) | instid1(SALU_CYCLE_1)
	v_mov_b32_e32 v19, v20
	s_and_b32 s4, vcc_lo, exec_lo
	s_or_b32 s3, s3, s4
; %bb.1421:
	s_or_b32 exec_lo, exec_lo, s6
	s_and_saveexec_b32 s4, s3
	s_cbranch_execz .LBB64_1423
; %bb.1422:
	v_and_b32_e32 v6, 0xffff, v5
	v_dual_mov_b32 v20, 0 :: v_dual_lshlrev_b32 v5, 24, v5
	s_delay_alu instid0(VALU_DEP_2) | instskip(NEXT) | instid1(VALU_DEP_2)
	v_and_b32_e32 v7, 7, v6
	v_and_b32_e32 v5, 0x80000000, v5
	s_delay_alu instid0(VALU_DEP_2) | instskip(NEXT) | instid1(VALU_DEP_1)
	v_clz_i32_u32_e32 v8, v7
	v_min_u32_e32 v8, 32, v8
	s_delay_alu instid0(VALU_DEP_1) | instskip(SKIP_1) | instid1(VALU_DEP_2)
	v_subrev_nc_u32_e32 v9, 28, v8
	v_sub_nc_u32_e32 v8, 29, v8
	v_lshlrev_b32_e32 v9, v9, v6
	v_bfe_u32 v6, v6, 3, 4
	s_delay_alu instid0(VALU_DEP_2) | instskip(NEXT) | instid1(VALU_DEP_2)
	v_and_b32_e32 v9, 7, v9
	v_cmp_eq_u32_e32 vcc_lo, 0, v6
	s_delay_alu instid0(VALU_DEP_2) | instskip(NEXT) | instid1(VALU_DEP_1)
	v_dual_cndmask_b32 v6, v6, v8 :: v_dual_cndmask_b32 v7, v7, v9
	v_lshl_add_u32 v6, v6, 23, 0x3b800000
	s_delay_alu instid0(VALU_DEP_2) | instskip(NEXT) | instid1(VALU_DEP_1)
	v_lshlrev_b32_e32 v7, 20, v7
	v_or3_b32 v19, v5, v6, v7
.LBB64_1423:
	s_or_b32 exec_lo, exec_lo, s4
.LBB64_1424:
	s_mov_b32 s3, -1
.LBB64_1425:
	s_mov_b32 s4, 0
.LBB64_1426:
	s_delay_alu instid0(SALU_CYCLE_1)
	s_and_b32 vcc_lo, exec_lo, s4
	s_cbranch_vccz .LBB64_1458
; %bb.1427:
	v_cmp_lt_i16_e32 vcc_lo, 22, v25
	s_cbranch_vccz .LBB64_1439
; %bb.1428:
	v_cmp_gt_i16_e32 vcc_lo, 24, v25
	s_cbranch_vccnz .LBB64_1440
; %bb.1429:
	v_cmp_lt_i16_e32 vcc_lo, 24, v25
	s_cbranch_vccz .LBB64_1441
; %bb.1430:
	global_load_u8 v5, v[2:3], off
	s_mov_b32 s5, exec_lo
                                        ; implicit-def: $sgpr4
                                        ; implicit-def: $sgpr3
	s_waitcnt vmcnt(0)
	v_cmpx_lt_i16_e32 0x7f, v5
	s_xor_b32 s5, exec_lo, s5
	s_cbranch_execz .LBB64_1434
; %bb.1431:
	s_mov_b32 s2, -1
	s_mov_b32 s6, exec_lo
                                        ; implicit-def: $sgpr4
                                        ; implicit-def: $sgpr3
	v_cmpx_eq_u16_e32 0x80, v5
; %bb.1432:
	s_mov_b32 s3, 0x7f800001
	s_mov_b32 s4, 0
	s_xor_b32 s2, exec_lo, -1
; %bb.1433:
	s_or_b32 exec_lo, exec_lo, s6
	s_delay_alu instid0(SALU_CYCLE_1)
	s_and_b32 s2, s2, exec_lo
.LBB64_1434:
	s_or_saveexec_b32 s5, s5
	v_dual_mov_b32 v20, s4 :: v_dual_mov_b32 v19, s3
	s_xor_b32 exec_lo, exec_lo, s5
; %bb.1435:
	v_mov_b32_e32 v20, 0
	v_cmp_ne_u16_e32 vcc_lo, 0, v5
	s_and_not1_b32 s2, s2, exec_lo
	s_delay_alu instid0(VALU_DEP_2) | instskip(SKIP_1) | instid1(SALU_CYCLE_1)
	v_mov_b32_e32 v19, v20
	s_and_b32 s3, vcc_lo, exec_lo
	s_or_b32 s2, s2, s3
; %bb.1436:
	s_or_b32 exec_lo, exec_lo, s5
	s_and_saveexec_b32 s3, s2
	s_cbranch_execz .LBB64_1438
; %bb.1437:
	v_and_b32_e32 v6, 0xffff, v5
	v_dual_mov_b32 v20, 0 :: v_dual_lshlrev_b32 v5, 24, v5
	s_delay_alu instid0(VALU_DEP_2) | instskip(NEXT) | instid1(VALU_DEP_2)
	v_and_b32_e32 v7, 3, v6
	v_and_b32_e32 v5, 0x80000000, v5
	s_delay_alu instid0(VALU_DEP_2) | instskip(NEXT) | instid1(VALU_DEP_1)
	v_clz_i32_u32_e32 v8, v7
	v_min_u32_e32 v8, 32, v8
	s_delay_alu instid0(VALU_DEP_1) | instskip(SKIP_1) | instid1(VALU_DEP_2)
	v_subrev_nc_u32_e32 v9, 29, v8
	v_sub_nc_u32_e32 v8, 30, v8
	v_lshlrev_b32_e32 v9, v9, v6
	v_bfe_u32 v6, v6, 2, 5
	s_delay_alu instid0(VALU_DEP_2) | instskip(NEXT) | instid1(VALU_DEP_2)
	v_and_b32_e32 v9, 3, v9
	v_cmp_eq_u32_e32 vcc_lo, 0, v6
	s_delay_alu instid0(VALU_DEP_2) | instskip(NEXT) | instid1(VALU_DEP_1)
	v_dual_cndmask_b32 v6, v6, v8 :: v_dual_cndmask_b32 v7, v7, v9
	v_lshl_add_u32 v6, v6, 23, 0x37800000
	s_delay_alu instid0(VALU_DEP_2) | instskip(NEXT) | instid1(VALU_DEP_1)
	v_lshlrev_b32_e32 v7, 21, v7
	v_or3_b32 v19, v5, v6, v7
.LBB64_1438:
	s_or_b32 exec_lo, exec_lo, s3
	s_mov_b32 s2, 0
	s_branch .LBB64_1442
.LBB64_1439:
	s_mov_b32 s2, -1
                                        ; implicit-def: $vgpr20
	s_branch .LBB64_1448
.LBB64_1440:
	s_mov_b32 s2, -1
                                        ; implicit-def: $vgpr20
	s_branch .LBB64_1445
.LBB64_1441:
	s_mov_b32 s2, -1
                                        ; implicit-def: $vgpr20
.LBB64_1442:
	s_delay_alu instid0(SALU_CYCLE_1)
	s_and_b32 vcc_lo, exec_lo, s2
	s_cbranch_vccz .LBB64_1444
; %bb.1443:
	global_load_u8 v5, v[2:3], off
	s_waitcnt vmcnt(0)
	v_dual_mov_b32 v20, 0 :: v_dual_lshlrev_b32 v5, 24, v5
	s_delay_alu instid0(VALU_DEP_1) | instskip(NEXT) | instid1(VALU_DEP_1)
	v_and_b32_e32 v6, 0x7f000000, v5
	v_clz_i32_u32_e32 v7, v6
	v_add_nc_u32_e32 v9, 0x1000000, v6
	v_cmp_ne_u32_e32 vcc_lo, 0, v6
	s_delay_alu instid0(VALU_DEP_3) | instskip(NEXT) | instid1(VALU_DEP_1)
	v_min_u32_e32 v7, 32, v7
	v_sub_nc_u32_e64 v7, v7, 4 clamp
	s_delay_alu instid0(VALU_DEP_1) | instskip(SKIP_1) | instid1(VALU_DEP_2)
	v_lshlrev_b32_e32 v8, v7, v6
	v_lshlrev_b32_e32 v7, 23, v7
	v_lshrrev_b32_e32 v8, 4, v8
	s_delay_alu instid0(VALU_DEP_1) | instskip(SKIP_1) | instid1(VALU_DEP_2)
	v_sub_nc_u32_e32 v7, v8, v7
	v_ashrrev_i32_e32 v8, 8, v9
	v_add_nc_u32_e32 v7, 0x3c000000, v7
	s_delay_alu instid0(VALU_DEP_1) | instskip(NEXT) | instid1(VALU_DEP_1)
	v_and_or_b32 v7, 0x7f800000, v8, v7
	v_cndmask_b32_e32 v6, 0, v7, vcc_lo
	s_delay_alu instid0(VALU_DEP_1)
	v_and_or_b32 v19, 0x80000000, v5, v6
.LBB64_1444:
	s_mov_b32 s2, 0
.LBB64_1445:
	s_delay_alu instid0(SALU_CYCLE_1)
	s_and_not1_b32 vcc_lo, exec_lo, s2
	s_cbranch_vccnz .LBB64_1447
; %bb.1446:
	global_load_u8 v5, v[2:3], off
	v_mov_b32_e32 v20, 0
	s_waitcnt vmcnt(0)
	v_lshlrev_b32_e32 v6, 25, v5
	v_lshlrev_b16 v5, 8, v5
	s_delay_alu instid0(VALU_DEP_2) | instskip(NEXT) | instid1(VALU_DEP_2)
	v_lshrrev_b32_e32 v7, 4, v6
	v_and_or_b32 v8, 0x7f00, v5, 0.5
	v_bfe_i32 v5, v5, 0, 16
	s_delay_alu instid0(VALU_DEP_3) | instskip(NEXT) | instid1(VALU_DEP_1)
	v_or_b32_e32 v7, 0x70000000, v7
	v_dual_add_f32 v8, -0.5, v8 :: v_dual_mul_f32 v7, 0x7800000, v7
	v_cmp_gt_u32_e32 vcc_lo, 0x8000000, v6
	s_delay_alu instid0(VALU_DEP_2) | instskip(NEXT) | instid1(VALU_DEP_1)
	v_cndmask_b32_e32 v6, v7, v8, vcc_lo
	v_and_or_b32 v19, 0x80000000, v5, v6
.LBB64_1447:
	s_mov_b32 s2, 0
	s_mov_b32 s3, -1
.LBB64_1448:
	s_and_not1_b32 vcc_lo, exec_lo, s2
	s_mov_b32 s2, 0
	s_cbranch_vccnz .LBB64_1458
; %bb.1449:
	v_cmp_lt_i16_e32 vcc_lo, 14, v25
	s_cbranch_vccz .LBB64_1452
; %bb.1450:
	v_cmp_eq_u16_e32 vcc_lo, 15, v25
	s_cbranch_vccz .LBB64_1453
; %bb.1451:
	global_load_u16 v5, v[2:3], off
	s_mov_b32 s0, 0
	s_mov_b32 s3, -1
	s_mov_b32 s4, 0
	s_waitcnt vmcnt(0)
	v_lshlrev_b32_e32 v19, 16, v5
	s_branch .LBB64_1455
.LBB64_1452:
	s_mov_b32 s2, -1
	s_branch .LBB64_1454
.LBB64_1453:
	s_mov_b32 s0, -1
.LBB64_1454:
                                        ; implicit-def: $sgpr4
                                        ; implicit-def: $vgpr19
.LBB64_1455:
	s_and_b32 vcc_lo, exec_lo, s2
	s_mov_b32 s2, 0
	s_cbranch_vccz .LBB64_1457
; %bb.1456:
	v_cmp_ne_u16_e64 s0, 11, v25
	s_mov_b32 s2, -1
                                        ; implicit-def: $sgpr4
                                        ; implicit-def: $vgpr19
.LBB64_1457:
	v_mov_b32_e32 v20, s4
.LBB64_1458:
	s_delay_alu instid0(VALU_DEP_2)
	s_and_b32 vcc_lo, exec_lo, s0
	s_cbranch_vccnz .LBB64_1474
; %bb.1459:
	s_and_not1_b32 vcc_lo, exec_lo, s2
	s_cbranch_vccnz .LBB64_1461
.LBB64_1460:
	global_load_u8 v5, v[2:3], off
	v_mov_b32_e32 v20, 0
	s_mov_b32 s3, -1
	s_waitcnt vmcnt(0)
	v_cmp_ne_u16_e32 vcc_lo, 0, v5
	v_cndmask_b32_e64 v19, 0, 1.0, vcc_lo
.LBB64_1461:
.LBB64_1462:
	s_and_not1_b32 vcc_lo, exec_lo, s3
	s_cbranch_vccnz .LBB64_2035
.LBB64_1463:
	v_add_nc_u32_e32 v2, s1, v4
	v_cmp_gt_i16_e32 vcc_lo, 11, v25
	s_delay_alu instid0(VALU_DEP_2) | instskip(SKIP_1) | instid1(VALU_DEP_1)
	v_ashrrev_i32_e32 v3, 31, v2
	v_add_co_u32 v2, s0, s18, v2
	v_add_co_ci_u32_e64 v3, s0, s19, v3, s0
	s_cbranch_vccnz .LBB64_1470
; %bb.1464:
	v_cmp_lt_i16_e32 vcc_lo, 25, v25
	s_mov_b32 s1, 0
	s_cbranch_vccz .LBB64_1471
; %bb.1465:
	v_cmp_lt_i16_e32 vcc_lo, 28, v25
	s_cbranch_vccz .LBB64_1472
; %bb.1466:
	v_cmp_lt_i16_e32 vcc_lo, 43, v25
	;; [unrolled: 3-line block ×3, first 2 shown]
	s_cbranch_vccz .LBB64_1476
; %bb.1468:
	v_cmp_eq_u16_e32 vcc_lo, 46, v25
	s_mov_b32 s3, 0
	s_cbranch_vccz .LBB64_1479
; %bb.1469:
	global_load_b32 v4, v[2:3], off
	s_mov_b32 s0, 0
	s_mov_b32 s2, -1
	s_waitcnt vmcnt(0)
	v_and_b32_e32 v22, 0xffff0000, v4
	v_lshlrev_b32_e32 v21, 16, v4
	s_branch .LBB64_1481
.LBB64_1470:
	s_mov_b32 s0, -1
	s_mov_b32 s2, 0
                                        ; implicit-def: $vgpr22
	s_branch .LBB64_1550
.LBB64_1471:
	s_mov_b32 s3, -1
	s_mov_b32 s2, 0
	s_mov_b32 s0, 0
                                        ; implicit-def: $vgpr22
	s_branch .LBB64_1514
.LBB64_1472:
	s_mov_b32 s3, -1
	s_mov_b32 s2, 0
	s_mov_b32 s0, 0
                                        ; implicit-def: $vgpr22
	s_branch .LBB64_1493
.LBB64_1473:
	s_mov_b32 s3, -1
	s_mov_b32 s2, 0
	s_mov_b32 s0, 0
                                        ; implicit-def: $vgpr22
	s_branch .LBB64_1487
.LBB64_1474:
	s_cbranch_execnz .LBB64_1477
; %bb.1475:
	s_or_b32 s9, s9, exec_lo
                                        ; implicit-def: $vgpr20
	s_cbranch_execz .LBB64_1460
	s_branch .LBB64_1461
.LBB64_1476:
	s_mov_b32 s3, -1
	s_mov_b32 s2, 0
	s_mov_b32 s0, 0
	s_branch .LBB64_1480
.LBB64_1477:
	s_trap 2
	s_sendmsg_rtn_b32 s0, sendmsg(MSG_RTN_GET_DOORBELL)
	s_mov_b32 ttmp2, m0
	s_waitcnt lgkmcnt(0)
	s_and_b32 s0, s0, 0x3ff
	s_delay_alu instid0(SALU_CYCLE_1) | instskip(NEXT) | instid1(SALU_CYCLE_1)
	s_bitset1_b32 s0, 10
	s_mov_b32 m0, s0
	s_sendmsg sendmsg(MSG_INTERRUPT)
	s_mov_b32 m0, ttmp2
.LBB64_1478:                            ; =>This Inner Loop Header: Depth=1
	s_sethalt 5
	s_branch .LBB64_1478
.LBB64_1479:
	s_mov_b32 s0, -1
	s_mov_b32 s2, 0
.LBB64_1480:
                                        ; implicit-def: $vgpr22
.LBB64_1481:
	s_and_b32 vcc_lo, exec_lo, s3
	s_cbranch_vccz .LBB64_1486
; %bb.1482:
	v_cmp_eq_u16_e32 vcc_lo, 44, v25
	s_cbranch_vccz .LBB64_1484
; %bb.1483:
	global_load_u8 v4, v[2:3], off
	s_mov_b32 s0, 0
	s_mov_b32 s2, -1
	s_waitcnt vmcnt(0)
	v_lshlrev_b32_e32 v5, 23, v4
	v_cmp_ne_u32_e32 vcc_lo, 0xff, v4
	s_delay_alu instid0(VALU_DEP_2) | instskip(SKIP_1) | instid1(VALU_DEP_2)
	v_cndmask_b32_e32 v5, 0x7f800001, v5, vcc_lo
	v_cmp_ne_u32_e32 vcc_lo, 0, v4
	v_cndmask_b32_e32 v21, 0x400000, v5, vcc_lo
	s_branch .LBB64_1485
.LBB64_1484:
	s_mov_b32 s0, -1
                                        ; implicit-def: $vgpr21
.LBB64_1485:
	s_delay_alu instid0(SALU_CYCLE_1)
	v_mov_b32_e32 v22, s0
.LBB64_1486:
	s_mov_b32 s3, 0
.LBB64_1487:
	s_delay_alu instid0(SALU_CYCLE_1)
	s_and_b32 vcc_lo, exec_lo, s3
	s_cbranch_vccz .LBB64_1492
; %bb.1488:
	v_cmp_eq_u16_e32 vcc_lo, 29, v25
	s_cbranch_vccz .LBB64_1490
; %bb.1489:
	global_load_b64 v[4:5], v[2:3], off
	s_mov_b32 s0, 0
	s_mov_b32 s2, -1
	s_mov_b32 s3, 0
	s_waitcnt vmcnt(0)
	v_clz_i32_u32_e32 v6, v5
	s_delay_alu instid0(VALU_DEP_1) | instskip(NEXT) | instid1(VALU_DEP_1)
	v_min_u32_e32 v6, 32, v6
	v_lshlrev_b64 v[4:5], v6, v[4:5]
	s_delay_alu instid0(VALU_DEP_1) | instskip(NEXT) | instid1(VALU_DEP_1)
	v_min_u32_e32 v4, 1, v4
	v_or_b32_e32 v4, v5, v4
	v_sub_nc_u32_e32 v5, 32, v6
	s_delay_alu instid0(VALU_DEP_2) | instskip(NEXT) | instid1(VALU_DEP_1)
	v_cvt_f32_u32_e32 v4, v4
	v_ldexp_f32 v21, v4, v5
	s_branch .LBB64_1491
.LBB64_1490:
	s_mov_b32 s0, -1
                                        ; implicit-def: $sgpr3
                                        ; implicit-def: $vgpr21
.LBB64_1491:
	v_mov_b32_e32 v22, s3
.LBB64_1492:
	s_mov_b32 s3, 0
.LBB64_1493:
	s_delay_alu instid0(SALU_CYCLE_1)
	s_and_b32 vcc_lo, exec_lo, s3
	s_cbranch_vccz .LBB64_1513
; %bb.1494:
	v_cmp_gt_i16_e32 vcc_lo, 27, v25
	s_cbranch_vccnz .LBB64_1497
; %bb.1495:
	v_cmp_lt_i16_e32 vcc_lo, 27, v25
	s_cbranch_vccz .LBB64_1498
; %bb.1496:
	global_load_b32 v4, v[2:3], off
	s_mov_b32 s3, 0
	s_mov_b32 s2, 0
	s_waitcnt vmcnt(0)
	v_cvt_f32_u32_e32 v21, v4
	s_branch .LBB64_1499
.LBB64_1497:
	s_mov_b32 s3, -1
                                        ; implicit-def: $sgpr2
                                        ; implicit-def: $vgpr21
	s_branch .LBB64_1502
.LBB64_1498:
	s_mov_b32 s3, -1
                                        ; implicit-def: $sgpr2
                                        ; implicit-def: $vgpr21
.LBB64_1499:
	s_delay_alu instid0(SALU_CYCLE_1)
	s_and_not1_b32 vcc_lo, exec_lo, s3
	s_cbranch_vccnz .LBB64_1501
; %bb.1500:
	global_load_u16 v4, v[2:3], off
	s_mov_b32 s2, 0
	s_waitcnt vmcnt(0)
	v_cvt_f32_u32_e32 v21, v4
.LBB64_1501:
	s_mov_b32 s3, 0
.LBB64_1502:
	v_mov_b32_e32 v22, s2
	s_and_not1_b32 vcc_lo, exec_lo, s3
	s_cbranch_vccnz .LBB64_1512
; %bb.1503:
	global_load_u8 v4, v[2:3], off
	s_mov_b32 s2, 0
	s_mov_b32 s5, exec_lo
                                        ; implicit-def: $sgpr4
                                        ; implicit-def: $sgpr3
	s_waitcnt vmcnt(0)
	v_cmpx_lt_i16_e32 0x7f, v4
	s_xor_b32 s5, exec_lo, s5
	s_cbranch_execz .LBB64_1507
; %bb.1504:
	s_mov_b32 s2, -1
	s_mov_b32 s6, exec_lo
                                        ; implicit-def: $sgpr4
                                        ; implicit-def: $sgpr3
	v_cmpx_eq_u16_e32 0x80, v4
; %bb.1505:
	s_mov_b32 s3, 0x7f800001
	s_mov_b32 s4, 0
	s_xor_b32 s2, exec_lo, -1
; %bb.1506:
	s_or_b32 exec_lo, exec_lo, s6
	s_delay_alu instid0(SALU_CYCLE_1)
	s_and_b32 s2, s2, exec_lo
.LBB64_1507:
	s_or_saveexec_b32 s5, s5
	v_dual_mov_b32 v22, s4 :: v_dual_mov_b32 v21, s3
	s_xor_b32 exec_lo, exec_lo, s5
; %bb.1508:
	v_mov_b32_e32 v22, 0
	v_cmp_ne_u16_e32 vcc_lo, 0, v4
	s_and_not1_b32 s2, s2, exec_lo
	s_delay_alu instid0(VALU_DEP_2) | instskip(SKIP_1) | instid1(SALU_CYCLE_1)
	v_mov_b32_e32 v21, v22
	s_and_b32 s3, vcc_lo, exec_lo
	s_or_b32 s2, s2, s3
; %bb.1509:
	s_or_b32 exec_lo, exec_lo, s5
	s_and_saveexec_b32 s3, s2
	s_cbranch_execz .LBB64_1511
; %bb.1510:
	v_dual_mov_b32 v22, 0 :: v_dual_and_b32 v5, 0xffff, v4
	v_lshlrev_b32_e32 v4, 24, v4
	s_delay_alu instid0(VALU_DEP_2) | instskip(NEXT) | instid1(VALU_DEP_2)
	v_and_b32_e32 v6, 7, v5
	v_and_b32_e32 v4, 0x80000000, v4
	s_delay_alu instid0(VALU_DEP_2) | instskip(NEXT) | instid1(VALU_DEP_1)
	v_clz_i32_u32_e32 v7, v6
	v_min_u32_e32 v7, 32, v7
	s_delay_alu instid0(VALU_DEP_1) | instskip(SKIP_1) | instid1(VALU_DEP_2)
	v_subrev_nc_u32_e32 v8, 28, v7
	v_sub_nc_u32_e32 v7, 29, v7
	v_lshlrev_b32_e32 v8, v8, v5
	v_bfe_u32 v5, v5, 3, 4
	s_delay_alu instid0(VALU_DEP_2) | instskip(NEXT) | instid1(VALU_DEP_2)
	v_and_b32_e32 v8, 7, v8
	v_cmp_eq_u32_e32 vcc_lo, 0, v5
	s_delay_alu instid0(VALU_DEP_2) | instskip(NEXT) | instid1(VALU_DEP_1)
	v_dual_cndmask_b32 v5, v5, v7 :: v_dual_cndmask_b32 v6, v6, v8
	v_lshl_add_u32 v5, v5, 23, 0x3b800000
	s_delay_alu instid0(VALU_DEP_2) | instskip(NEXT) | instid1(VALU_DEP_1)
	v_lshlrev_b32_e32 v6, 20, v6
	v_or3_b32 v21, v4, v5, v6
.LBB64_1511:
	s_or_b32 exec_lo, exec_lo, s3
.LBB64_1512:
	s_mov_b32 s2, -1
.LBB64_1513:
	s_mov_b32 s3, 0
.LBB64_1514:
	s_delay_alu instid0(SALU_CYCLE_1)
	s_and_b32 vcc_lo, exec_lo, s3
	s_cbranch_vccz .LBB64_1546
; %bb.1515:
	v_cmp_lt_i16_e32 vcc_lo, 22, v25
	s_cbranch_vccz .LBB64_1527
; %bb.1516:
	v_cmp_gt_i16_e32 vcc_lo, 24, v25
	s_cbranch_vccnz .LBB64_1528
; %bb.1517:
	v_cmp_lt_i16_e32 vcc_lo, 24, v25
	s_cbranch_vccz .LBB64_1529
; %bb.1518:
	global_load_u8 v4, v[2:3], off
	s_mov_b32 s4, exec_lo
                                        ; implicit-def: $sgpr3
                                        ; implicit-def: $sgpr2
	s_waitcnt vmcnt(0)
	v_cmpx_lt_i16_e32 0x7f, v4
	s_xor_b32 s4, exec_lo, s4
	s_cbranch_execz .LBB64_1522
; %bb.1519:
	s_mov_b32 s1, -1
	s_mov_b32 s5, exec_lo
                                        ; implicit-def: $sgpr3
                                        ; implicit-def: $sgpr2
	v_cmpx_eq_u16_e32 0x80, v4
; %bb.1520:
	s_mov_b32 s2, 0x7f800001
	s_mov_b32 s3, 0
	s_xor_b32 s1, exec_lo, -1
; %bb.1521:
	s_or_b32 exec_lo, exec_lo, s5
	s_delay_alu instid0(SALU_CYCLE_1)
	s_and_b32 s1, s1, exec_lo
.LBB64_1522:
	s_or_saveexec_b32 s4, s4
	v_dual_mov_b32 v22, s3 :: v_dual_mov_b32 v21, s2
	s_xor_b32 exec_lo, exec_lo, s4
; %bb.1523:
	v_mov_b32_e32 v22, 0
	v_cmp_ne_u16_e32 vcc_lo, 0, v4
	s_and_not1_b32 s1, s1, exec_lo
	s_delay_alu instid0(VALU_DEP_2) | instskip(SKIP_1) | instid1(SALU_CYCLE_1)
	v_mov_b32_e32 v21, v22
	s_and_b32 s2, vcc_lo, exec_lo
	s_or_b32 s1, s1, s2
; %bb.1524:
	s_or_b32 exec_lo, exec_lo, s4
	s_and_saveexec_b32 s2, s1
	s_cbranch_execz .LBB64_1526
; %bb.1525:
	v_dual_mov_b32 v22, 0 :: v_dual_and_b32 v5, 0xffff, v4
	v_lshlrev_b32_e32 v4, 24, v4
	s_delay_alu instid0(VALU_DEP_2) | instskip(NEXT) | instid1(VALU_DEP_2)
	v_and_b32_e32 v6, 3, v5
	v_and_b32_e32 v4, 0x80000000, v4
	s_delay_alu instid0(VALU_DEP_2) | instskip(NEXT) | instid1(VALU_DEP_1)
	v_clz_i32_u32_e32 v7, v6
	v_min_u32_e32 v7, 32, v7
	s_delay_alu instid0(VALU_DEP_1) | instskip(SKIP_1) | instid1(VALU_DEP_2)
	v_subrev_nc_u32_e32 v8, 29, v7
	v_sub_nc_u32_e32 v7, 30, v7
	v_lshlrev_b32_e32 v8, v8, v5
	v_bfe_u32 v5, v5, 2, 5
	s_delay_alu instid0(VALU_DEP_2) | instskip(NEXT) | instid1(VALU_DEP_2)
	v_and_b32_e32 v8, 3, v8
	v_cmp_eq_u32_e32 vcc_lo, 0, v5
	s_delay_alu instid0(VALU_DEP_2) | instskip(NEXT) | instid1(VALU_DEP_1)
	v_dual_cndmask_b32 v5, v5, v7 :: v_dual_cndmask_b32 v6, v6, v8
	v_lshl_add_u32 v5, v5, 23, 0x37800000
	s_delay_alu instid0(VALU_DEP_2) | instskip(NEXT) | instid1(VALU_DEP_1)
	v_lshlrev_b32_e32 v6, 21, v6
	v_or3_b32 v21, v4, v5, v6
.LBB64_1526:
	s_or_b32 exec_lo, exec_lo, s2
	s_mov_b32 s1, 0
	s_branch .LBB64_1530
.LBB64_1527:
	s_mov_b32 s1, -1
                                        ; implicit-def: $vgpr22
	s_branch .LBB64_1536
.LBB64_1528:
	s_mov_b32 s1, -1
                                        ; implicit-def: $vgpr22
	s_branch .LBB64_1533
.LBB64_1529:
	s_mov_b32 s1, -1
                                        ; implicit-def: $vgpr22
.LBB64_1530:
	s_delay_alu instid0(SALU_CYCLE_1)
	s_and_b32 vcc_lo, exec_lo, s1
	s_cbranch_vccz .LBB64_1532
; %bb.1531:
	global_load_u8 v4, v[2:3], off
	v_mov_b32_e32 v22, 0
	s_waitcnt vmcnt(0)
	v_lshlrev_b32_e32 v4, 24, v4
	s_delay_alu instid0(VALU_DEP_1) | instskip(NEXT) | instid1(VALU_DEP_1)
	v_and_b32_e32 v5, 0x7f000000, v4
	v_clz_i32_u32_e32 v6, v5
	v_add_nc_u32_e32 v8, 0x1000000, v5
	v_cmp_ne_u32_e32 vcc_lo, 0, v5
	s_delay_alu instid0(VALU_DEP_3) | instskip(NEXT) | instid1(VALU_DEP_1)
	v_min_u32_e32 v6, 32, v6
	v_sub_nc_u32_e64 v6, v6, 4 clamp
	s_delay_alu instid0(VALU_DEP_1) | instskip(SKIP_1) | instid1(VALU_DEP_2)
	v_lshlrev_b32_e32 v7, v6, v5
	v_lshlrev_b32_e32 v6, 23, v6
	v_lshrrev_b32_e32 v7, 4, v7
	s_delay_alu instid0(VALU_DEP_1) | instskip(SKIP_1) | instid1(VALU_DEP_2)
	v_sub_nc_u32_e32 v6, v7, v6
	v_ashrrev_i32_e32 v7, 8, v8
	v_add_nc_u32_e32 v6, 0x3c000000, v6
	s_delay_alu instid0(VALU_DEP_1) | instskip(NEXT) | instid1(VALU_DEP_1)
	v_and_or_b32 v6, 0x7f800000, v7, v6
	v_cndmask_b32_e32 v5, 0, v6, vcc_lo
	s_delay_alu instid0(VALU_DEP_1)
	v_and_or_b32 v21, 0x80000000, v4, v5
.LBB64_1532:
	s_mov_b32 s1, 0
.LBB64_1533:
	s_delay_alu instid0(SALU_CYCLE_1)
	s_and_not1_b32 vcc_lo, exec_lo, s1
	s_cbranch_vccnz .LBB64_1535
; %bb.1534:
	global_load_u8 v4, v[2:3], off
	s_waitcnt vmcnt(0)
	v_dual_mov_b32 v22, 0 :: v_dual_lshlrev_b32 v5, 25, v4
	v_lshlrev_b16 v4, 8, v4
	s_delay_alu instid0(VALU_DEP_2) | instskip(NEXT) | instid1(VALU_DEP_2)
	v_lshrrev_b32_e32 v6, 4, v5
	v_and_or_b32 v7, 0x7f00, v4, 0.5
	v_bfe_i32 v4, v4, 0, 16
	s_delay_alu instid0(VALU_DEP_3) | instskip(NEXT) | instid1(VALU_DEP_1)
	v_or_b32_e32 v6, 0x70000000, v6
	v_dual_add_f32 v7, -0.5, v7 :: v_dual_mul_f32 v6, 0x7800000, v6
	v_cmp_gt_u32_e32 vcc_lo, 0x8000000, v5
	s_delay_alu instid0(VALU_DEP_2) | instskip(NEXT) | instid1(VALU_DEP_1)
	v_cndmask_b32_e32 v5, v6, v7, vcc_lo
	v_and_or_b32 v21, 0x80000000, v4, v5
.LBB64_1535:
	s_mov_b32 s1, 0
	s_mov_b32 s2, -1
.LBB64_1536:
	s_and_not1_b32 vcc_lo, exec_lo, s1
	s_mov_b32 s1, 0
	s_cbranch_vccnz .LBB64_1546
; %bb.1537:
	v_cmp_lt_i16_e32 vcc_lo, 14, v25
	s_cbranch_vccz .LBB64_1540
; %bb.1538:
	v_cmp_eq_u16_e32 vcc_lo, 15, v25
	s_cbranch_vccz .LBB64_1541
; %bb.1539:
	global_load_u16 v4, v[2:3], off
	s_mov_b32 s0, 0
	s_mov_b32 s2, -1
	s_mov_b32 s3, 0
	s_waitcnt vmcnt(0)
	v_lshlrev_b32_e32 v21, 16, v4
	s_branch .LBB64_1543
.LBB64_1540:
	s_mov_b32 s1, -1
	s_branch .LBB64_1542
.LBB64_1541:
	s_mov_b32 s0, -1
.LBB64_1542:
                                        ; implicit-def: $sgpr3
                                        ; implicit-def: $vgpr21
.LBB64_1543:
	s_and_b32 vcc_lo, exec_lo, s1
	s_mov_b32 s1, 0
	s_cbranch_vccz .LBB64_1545
; %bb.1544:
	v_cmp_ne_u16_e64 s0, 11, v25
	s_mov_b32 s1, -1
                                        ; implicit-def: $sgpr3
                                        ; implicit-def: $vgpr21
.LBB64_1545:
	v_mov_b32_e32 v22, s3
.LBB64_1546:
	s_delay_alu instid0(VALU_DEP_2)
	s_and_b32 vcc_lo, exec_lo, s0
	s_cbranch_vccnz .LBB64_2081
; %bb.1547:
	s_and_not1_b32 vcc_lo, exec_lo, s1
	s_cbranch_vccnz .LBB64_1549
.LBB64_1548:
	global_load_u8 v4, v[2:3], off
	v_mov_b32_e32 v22, 0
	s_mov_b32 s2, -1
	s_waitcnt vmcnt(0)
	v_cmp_ne_u16_e32 vcc_lo, 0, v4
	v_cndmask_b32_e64 v21, 0, 1.0, vcc_lo
.LBB64_1549:
	s_mov_b32 s0, 0
.LBB64_1550:
	s_delay_alu instid0(SALU_CYCLE_1)
	s_and_b32 vcc_lo, exec_lo, s0
	s_cbranch_vccz .LBB64_1601
; %bb.1551:
	v_cmp_gt_i16_e32 vcc_lo, 5, v25
	s_cbranch_vccnz .LBB64_1556
; %bb.1552:
	v_cmp_gt_i16_e32 vcc_lo, 8, v25
	s_cbranch_vccnz .LBB64_1557
	;; [unrolled: 3-line block ×3, first 2 shown]
; %bb.1554:
	v_cmp_lt_i16_e32 vcc_lo, 9, v25
	s_cbranch_vccz .LBB64_1559
; %bb.1555:
	global_load_b128 v[4:7], v[2:3], off
	s_mov_b32 s0, 0
	s_waitcnt vmcnt(0)
	v_cvt_f32_f64_e32 v21, v[4:5]
	v_cvt_f32_f64_e32 v22, v[6:7]
	s_branch .LBB64_1560
.LBB64_1556:
	s_mov_b32 s0, -1
                                        ; implicit-def: $vgpr22
	s_branch .LBB64_1579
.LBB64_1557:
	s_mov_b32 s0, -1
                                        ; implicit-def: $vgpr22
	s_branch .LBB64_1566
.LBB64_1558:
	s_mov_b32 s0, -1
                                        ; implicit-def: $vgpr22
	s_branch .LBB64_1563
.LBB64_1559:
	s_mov_b32 s0, -1
                                        ; implicit-def: $vgpr22
.LBB64_1560:
	s_delay_alu instid0(SALU_CYCLE_1)
	s_and_not1_b32 vcc_lo, exec_lo, s0
	s_cbranch_vccnz .LBB64_1562
; %bb.1561:
	global_load_b64 v[21:22], v[2:3], off
.LBB64_1562:
	s_mov_b32 s0, 0
.LBB64_1563:
	s_delay_alu instid0(SALU_CYCLE_1)
	s_and_not1_b32 vcc_lo, exec_lo, s0
	s_cbranch_vccnz .LBB64_1565
; %bb.1564:
	global_load_b32 v4, v[2:3], off
	s_waitcnt vmcnt(0)
	v_lshrrev_b32_e32 v5, 16, v4
	v_cvt_f32_f16_e32 v21, v4
	s_delay_alu instid0(VALU_DEP_2)
	v_cvt_f32_f16_e32 v22, v5
.LBB64_1565:
	s_mov_b32 s0, 0
.LBB64_1566:
	s_delay_alu instid0(SALU_CYCLE_1)
	s_and_not1_b32 vcc_lo, exec_lo, s0
	s_cbranch_vccnz .LBB64_1578
; %bb.1567:
	v_cmp_gt_i16_e32 vcc_lo, 6, v25
	s_cbranch_vccnz .LBB64_1570
; %bb.1568:
	v_cmp_lt_i16_e32 vcc_lo, 6, v25
	s_cbranch_vccz .LBB64_1571
; %bb.1569:
	global_load_b64 v[4:5], v[2:3], off
	s_mov_b32 s1, 0
	s_mov_b32 s0, 0
	s_waitcnt vmcnt(0)
	v_cvt_f32_f64_e32 v21, v[4:5]
	s_branch .LBB64_1572
.LBB64_1570:
	s_mov_b32 s1, -1
                                        ; implicit-def: $sgpr0
                                        ; implicit-def: $vgpr21
	s_branch .LBB64_1575
.LBB64_1571:
	s_mov_b32 s1, -1
                                        ; implicit-def: $sgpr0
                                        ; implicit-def: $vgpr21
.LBB64_1572:
	s_delay_alu instid0(SALU_CYCLE_1)
	s_and_not1_b32 vcc_lo, exec_lo, s1
	s_cbranch_vccnz .LBB64_1574
; %bb.1573:
	global_load_b32 v21, v[2:3], off
	s_mov_b32 s0, 0
.LBB64_1574:
	s_mov_b32 s1, 0
.LBB64_1575:
	s_delay_alu instid0(SALU_CYCLE_1)
	s_and_not1_b32 vcc_lo, exec_lo, s1
	s_cbranch_vccnz .LBB64_1577
; %bb.1576:
	global_load_u16 v4, v[2:3], off
	s_mov_b32 s0, 0
	s_waitcnt vmcnt(0)
	v_cvt_f32_f16_e32 v21, v4
.LBB64_1577:
	s_waitcnt vmcnt(0)
	v_mov_b32_e32 v22, s0
.LBB64_1578:
	s_mov_b32 s0, 0
.LBB64_1579:
	s_delay_alu instid0(SALU_CYCLE_1)
	s_and_not1_b32 vcc_lo, exec_lo, s0
	s_cbranch_vccnz .LBB64_1600
; %bb.1580:
	v_cmp_gt_i16_e32 vcc_lo, 2, v25
	s_cbranch_vccnz .LBB64_1584
; %bb.1581:
	v_cmp_gt_i16_e32 vcc_lo, 3, v25
	s_cbranch_vccnz .LBB64_1585
; %bb.1582:
	v_cmp_lt_i16_e32 vcc_lo, 3, v25
	s_cbranch_vccz .LBB64_1586
; %bb.1583:
	global_load_b64 v[4:5], v[2:3], off
	s_mov_b32 s1, 0
	s_mov_b32 s0, 0
	s_waitcnt vmcnt(0)
	v_xor_b32_e32 v6, v4, v5
	v_cls_i32_e32 v7, v5
	s_delay_alu instid0(VALU_DEP_2) | instskip(NEXT) | instid1(VALU_DEP_2)
	v_ashrrev_i32_e32 v6, 31, v6
	v_add_nc_u32_e32 v7, -1, v7
	s_delay_alu instid0(VALU_DEP_2) | instskip(NEXT) | instid1(VALU_DEP_1)
	v_add_nc_u32_e32 v6, 32, v6
	v_min_u32_e32 v6, v7, v6
	s_delay_alu instid0(VALU_DEP_1) | instskip(NEXT) | instid1(VALU_DEP_1)
	v_lshlrev_b64 v[4:5], v6, v[4:5]
	v_min_u32_e32 v4, 1, v4
	s_delay_alu instid0(VALU_DEP_1) | instskip(SKIP_1) | instid1(VALU_DEP_2)
	v_or_b32_e32 v4, v5, v4
	v_sub_nc_u32_e32 v5, 32, v6
	v_cvt_f32_i32_e32 v4, v4
	s_delay_alu instid0(VALU_DEP_1)
	v_ldexp_f32 v21, v4, v5
	s_branch .LBB64_1587
.LBB64_1584:
	s_mov_b32 s1, -1
                                        ; implicit-def: $sgpr0
                                        ; implicit-def: $vgpr21
	s_branch .LBB64_1593
.LBB64_1585:
	s_mov_b32 s1, -1
                                        ; implicit-def: $sgpr0
                                        ; implicit-def: $vgpr21
	s_branch .LBB64_1590
.LBB64_1586:
	s_mov_b32 s1, -1
                                        ; implicit-def: $sgpr0
                                        ; implicit-def: $vgpr21
.LBB64_1587:
	s_delay_alu instid0(SALU_CYCLE_1)
	s_and_not1_b32 vcc_lo, exec_lo, s1
	s_cbranch_vccnz .LBB64_1589
; %bb.1588:
	global_load_b32 v4, v[2:3], off
	s_mov_b32 s0, 0
	s_waitcnt vmcnt(0)
	v_cvt_f32_i32_e32 v21, v4
.LBB64_1589:
	s_mov_b32 s1, 0
.LBB64_1590:
	s_delay_alu instid0(SALU_CYCLE_1)
	s_and_not1_b32 vcc_lo, exec_lo, s1
	s_cbranch_vccnz .LBB64_1592
; %bb.1591:
	global_load_i16 v4, v[2:3], off
	s_mov_b32 s0, 0
	s_waitcnt vmcnt(0)
	v_cvt_f32_i32_e32 v21, v4
.LBB64_1592:
	s_mov_b32 s1, 0
.LBB64_1593:
	s_delay_alu instid0(SALU_CYCLE_1)
	s_and_not1_b32 vcc_lo, exec_lo, s1
	s_cbranch_vccnz .LBB64_1599
; %bb.1594:
	v_cmp_lt_i16_e32 vcc_lo, 0, v25
	s_mov_b32 s1, 0
	s_cbranch_vccz .LBB64_1596
; %bb.1595:
	global_load_i8 v4, v[2:3], off
	s_mov_b32 s0, 0
	s_waitcnt vmcnt(0)
	v_cvt_f32_i32_e32 v21, v4
	s_branch .LBB64_1597
.LBB64_1596:
	s_mov_b32 s1, -1
                                        ; implicit-def: $sgpr0
                                        ; implicit-def: $vgpr21
.LBB64_1597:
	s_delay_alu instid0(SALU_CYCLE_1)
	s_and_not1_b32 vcc_lo, exec_lo, s1
	s_cbranch_vccnz .LBB64_1599
; %bb.1598:
	global_load_u8 v2, v[2:3], off
	s_mov_b32 s0, 0
	s_waitcnt vmcnt(0)
	v_cvt_f32_ubyte0_e32 v21, v2
.LBB64_1599:
	s_waitcnt vmcnt(0)
	v_mov_b32_e32 v22, s0
.LBB64_1600:
	s_mov_b32 s2, -1
.LBB64_1601:
	s_delay_alu instid0(SALU_CYCLE_1)
	s_and_not1_b32 vcc_lo, exec_lo, s2
	s_cbranch_vccnz .LBB64_2035
; %bb.1602:
	s_getpc_b64 s[0:1]
	s_add_u32 s0, s0, _ZN16c10_complex_math3expIfEEN3c107complexIT_EERKS4_@rel32@lo+4
	s_addc_u32 s1, s1, _ZN16c10_complex_math3expIfEEN3c107complexIT_EERKS4_@rel32@hi+12
	s_delay_alu instid0(SALU_CYCLE_1) | instskip(SKIP_2) | instid1(VALU_DEP_1)
	s_swappc_b64 s[30:31], s[0:1]
	v_mul_lo_u32 v24, s10, v24
	v_and_b32_e32 v26, 0xff, v23
	v_cmp_gt_i16_e32 vcc_lo, 11, v26
	s_delay_alu instid0(VALU_DEP_3) | instskip(SKIP_1) | instid1(VALU_DEP_1)
	v_ashrrev_i32_e32 v3, 31, v24
	v_add_co_u32 v2, s0, s16, v24
	v_add_co_ci_u32_e64 v3, s0, s17, v3, s0
	s_cbranch_vccnz .LBB64_1680
; %bb.1603:
	v_cmp_lt_i16_e32 vcc_lo, 25, v26
	s_mov_b32 s3, -1
	s_mov_b32 s1, 0
	s_mov_b32 s2, 0
	;; [unrolled: 1-line block ×3, first 2 shown]
	s_cbranch_vccz .LBB64_1636
; %bb.1604:
	v_cmp_lt_i16_e32 vcc_lo, 28, v26
	s_cbranch_vccz .LBB64_1619
; %bb.1605:
	v_cmp_lt_i16_e32 vcc_lo, 43, v26
	s_cbranch_vccz .LBB64_1615
; %bb.1606:
	v_cmp_lt_i16_e32 vcc_lo, 45, v26
	s_cbranch_vccz .LBB64_1609
; %bb.1607:
	v_cmp_eq_u16_e32 vcc_lo, 46, v26
	s_mov_b32 s0, -1
	s_mov_b32 s3, 0
	s_cbranch_vccz .LBB64_1609
; %bb.1608:
	v_bfe_u32 v4, v1, 16, 1
	v_bfe_u32 v5, v0, 16, 1
	v_cmp_o_f32_e32 vcc_lo, v1, v1
	s_mov_b32 s0, 0
	s_mov_b32 s2, -1
	v_add3_u32 v4, v1, v4, 0x7fff
	v_add3_u32 v5, v0, v5, 0x7fff
	s_delay_alu instid0(VALU_DEP_2) | instskip(NEXT) | instid1(VALU_DEP_2)
	v_and_b32_e32 v4, 0xffff0000, v4
	v_lshrrev_b32_e32 v5, 16, v5
	s_delay_alu instid0(VALU_DEP_2) | instskip(SKIP_1) | instid1(VALU_DEP_3)
	v_cndmask_b32_e32 v4, 0x7fc00000, v4, vcc_lo
	v_cmp_o_f32_e32 vcc_lo, v0, v0
	v_cndmask_b32_e32 v5, 0x7fc0, v5, vcc_lo
	s_delay_alu instid0(VALU_DEP_1)
	v_or_b32_e32 v4, v4, v5
	global_store_b32 v[2:3], v4, off
.LBB64_1609:
	s_and_b32 vcc_lo, exec_lo, s3
	s_cbranch_vccz .LBB64_1614
; %bb.1610:
	v_cmp_eq_u16_e32 vcc_lo, 44, v26
	s_mov_b32 s0, -1
	s_cbranch_vccz .LBB64_1614
; %bb.1611:
	v_bfe_u32 v5, v0, 23, 8
	v_mov_b32_e32 v4, 0xff
	s_mov_b32 s2, exec_lo
	s_delay_alu instid0(VALU_DEP_2)
	v_cmpx_ne_u32_e32 0xff, v5
; %bb.1612:
	v_and_b32_e32 v4, 0x400000, v0
	v_and_or_b32 v5, 0x3fffff, v0, v5
	s_delay_alu instid0(VALU_DEP_2) | instskip(NEXT) | instid1(VALU_DEP_2)
	v_cmp_ne_u32_e32 vcc_lo, 0, v4
	v_cmp_ne_u32_e64 s0, 0, v5
	v_lshrrev_b32_e32 v4, 23, v0
	s_delay_alu instid0(VALU_DEP_2) | instskip(NEXT) | instid1(SALU_CYCLE_1)
	s_and_b32 s0, vcc_lo, s0
	v_cndmask_b32_e64 v5, 0, 1, s0
	s_delay_alu instid0(VALU_DEP_1)
	v_add_nc_u32_e32 v4, v4, v5
; %bb.1613:
	s_or_b32 exec_lo, exec_lo, s2
	s_mov_b32 s0, 0
	s_mov_b32 s2, -1
	global_store_b8 v[2:3], v4, off
.LBB64_1614:
	s_mov_b32 s3, 0
.LBB64_1615:
	s_delay_alu instid0(SALU_CYCLE_1)
	s_and_b32 vcc_lo, exec_lo, s3
	s_cbranch_vccz .LBB64_1618
; %bb.1616:
	v_cmp_eq_u16_e32 vcc_lo, 29, v26
	s_mov_b32 s0, -1
	s_cbranch_vccz .LBB64_1618
; %bb.1617:
	v_trunc_f32_e32 v4, v0
	s_mov_b32 s0, 0
	s_mov_b32 s2, -1
	s_delay_alu instid0(VALU_DEP_1) | instskip(NEXT) | instid1(VALU_DEP_1)
	v_mul_f32_e32 v5, 0x2f800000, v4
	v_floor_f32_e32 v5, v5
	s_delay_alu instid0(VALU_DEP_1) | instskip(SKIP_1) | instid1(VALU_DEP_2)
	v_fmamk_f32 v4, v5, 0xcf800000, v4
	v_cvt_u32_f32_e32 v5, v5
	v_cvt_u32_f32_e32 v4, v4
	global_store_b64 v[2:3], v[4:5], off
.LBB64_1618:
	s_mov_b32 s3, 0
.LBB64_1619:
	s_delay_alu instid0(SALU_CYCLE_1)
	s_and_b32 vcc_lo, exec_lo, s3
	s_cbranch_vccz .LBB64_1635
; %bb.1620:
	v_cmp_gt_i16_e32 vcc_lo, 27, v26
	s_mov_b32 s2, -1
	s_cbranch_vccnz .LBB64_1626
; %bb.1621:
	v_cmp_lt_i16_e32 vcc_lo, 27, v26
	v_cvt_u32_f32_e32 v4, v0
	s_cbranch_vccz .LBB64_1623
; %bb.1622:
	s_mov_b32 s2, 0
	global_store_b32 v[2:3], v4, off
.LBB64_1623:
	s_and_not1_b32 vcc_lo, exec_lo, s2
	s_cbranch_vccnz .LBB64_1625
; %bb.1624:
	global_store_b16 v[2:3], v4, off
.LBB64_1625:
	s_mov_b32 s2, 0
.LBB64_1626:
	s_delay_alu instid0(SALU_CYCLE_1)
	s_and_not1_b32 vcc_lo, exec_lo, s2
	s_cbranch_vccnz .LBB64_1634
; %bb.1627:
	v_and_b32_e32 v4, 0x7fffffff, v0
	v_mov_b32_e32 v5, 0x80
	s_mov_b32 s2, exec_lo
	s_delay_alu instid0(VALU_DEP_2)
	v_cmpx_gt_u32_e32 0x43800000, v4
	s_cbranch_execz .LBB64_1633
; %bb.1628:
	v_cmp_lt_u32_e32 vcc_lo, 0x3bffffff, v4
	s_mov_b32 s3, 0
                                        ; implicit-def: $vgpr4
	s_and_saveexec_b32 s4, vcc_lo
	s_delay_alu instid0(SALU_CYCLE_1)
	s_xor_b32 s4, exec_lo, s4
	s_cbranch_execz .LBB64_2083
; %bb.1629:
	v_bfe_u32 v4, v0, 20, 1
	s_mov_b32 s3, exec_lo
	s_delay_alu instid0(VALU_DEP_1) | instskip(NEXT) | instid1(VALU_DEP_1)
	v_add3_u32 v4, v0, v4, 0x487ffff
	v_lshrrev_b32_e32 v4, 20, v4
	s_or_saveexec_b32 s4, s4
                                        ; implicit-def: $sgpr5
	s_delay_alu instid0(SALU_CYCLE_1)
	s_xor_b32 exec_lo, exec_lo, s4
	s_cbranch_execnz .LBB64_2084
.LBB64_1630:
	s_or_b32 exec_lo, exec_lo, s4
	v_mov_b32_e32 v5, s5
	s_and_saveexec_b32 s4, s3
.LBB64_1631:
	v_lshrrev_b32_e32 v5, 24, v0
	s_delay_alu instid0(VALU_DEP_1)
	v_and_or_b32 v5, 0x80, v5, v4
.LBB64_1632:
	s_or_b32 exec_lo, exec_lo, s4
.LBB64_1633:
	s_delay_alu instid0(SALU_CYCLE_1)
	s_or_b32 exec_lo, exec_lo, s2
	global_store_b8 v[2:3], v5, off
.LBB64_1634:
	s_mov_b32 s2, -1
.LBB64_1635:
	s_mov_b32 s3, 0
.LBB64_1636:
	s_delay_alu instid0(SALU_CYCLE_1)
	s_and_b32 vcc_lo, exec_lo, s3
	s_cbranch_vccz .LBB64_1676
; %bb.1637:
	v_cmp_lt_i16_e32 vcc_lo, 22, v26
	s_mov_b32 s1, -1
	s_cbranch_vccz .LBB64_1669
; %bb.1638:
	v_cmp_gt_i16_e32 vcc_lo, 24, v26
	s_cbranch_vccnz .LBB64_1658
; %bb.1639:
	v_cmp_lt_i16_e32 vcc_lo, 24, v26
	s_cbranch_vccz .LBB64_1647
; %bb.1640:
	v_and_b32_e32 v4, 0x7fffffff, v0
	v_mov_b32_e32 v5, 0x80
	s_mov_b32 s1, exec_lo
	s_delay_alu instid0(VALU_DEP_2)
	v_cmpx_gt_u32_e32 0x47800000, v4
	s_cbranch_execz .LBB64_1646
; %bb.1641:
	v_cmp_lt_u32_e32 vcc_lo, 0x37ffffff, v4
	s_mov_b32 s2, 0
                                        ; implicit-def: $vgpr4
	s_and_saveexec_b32 s3, vcc_lo
	s_delay_alu instid0(SALU_CYCLE_1)
	s_xor_b32 s3, exec_lo, s3
	s_cbranch_execz .LBB64_2089
; %bb.1642:
	v_bfe_u32 v4, v0, 21, 1
	s_mov_b32 s2, exec_lo
	s_delay_alu instid0(VALU_DEP_1) | instskip(NEXT) | instid1(VALU_DEP_1)
	v_add3_u32 v4, v0, v4, 0x88fffff
	v_lshrrev_b32_e32 v4, 21, v4
	s_or_saveexec_b32 s3, s3
                                        ; implicit-def: $sgpr4
	s_delay_alu instid0(SALU_CYCLE_1)
	s_xor_b32 exec_lo, exec_lo, s3
	s_cbranch_execnz .LBB64_2090
.LBB64_1643:
	s_or_b32 exec_lo, exec_lo, s3
	v_mov_b32_e32 v5, s4
	s_and_saveexec_b32 s3, s2
.LBB64_1644:
	v_lshrrev_b32_e32 v5, 24, v0
	s_delay_alu instid0(VALU_DEP_1)
	v_and_or_b32 v5, 0x80, v5, v4
.LBB64_1645:
	s_or_b32 exec_lo, exec_lo, s3
.LBB64_1646:
	s_delay_alu instid0(SALU_CYCLE_1)
	s_or_b32 exec_lo, exec_lo, s1
	s_mov_b32 s1, 0
	global_store_b8 v[2:3], v5, off
.LBB64_1647:
	s_and_b32 vcc_lo, exec_lo, s1
	s_cbranch_vccz .LBB64_1657
; %bb.1648:
	v_and_b32_e32 v5, 0x7fffffff, v0
	s_mov_b32 s1, exec_lo
                                        ; implicit-def: $vgpr4
	s_delay_alu instid0(VALU_DEP_1)
	v_cmpx_gt_u32_e32 0x43f00000, v5
	s_xor_b32 s1, exec_lo, s1
	s_cbranch_execz .LBB64_1654
; %bb.1649:
	s_mov_b32 s2, exec_lo
                                        ; implicit-def: $vgpr4
	v_cmpx_lt_u32_e32 0x3c7fffff, v5
	s_xor_b32 s2, exec_lo, s2
; %bb.1650:
	v_bfe_u32 v4, v0, 20, 1
	s_delay_alu instid0(VALU_DEP_1) | instskip(NEXT) | instid1(VALU_DEP_1)
	v_add3_u32 v4, v0, v4, 0x407ffff
	v_and_b32_e32 v5, 0xff00000, v4
	v_lshrrev_b32_e32 v4, 20, v4
	s_delay_alu instid0(VALU_DEP_2) | instskip(NEXT) | instid1(VALU_DEP_2)
	v_cmp_ne_u32_e32 vcc_lo, 0x7f00000, v5
	v_cndmask_b32_e32 v4, 0x7e, v4, vcc_lo
; %bb.1651:
	s_and_not1_saveexec_b32 s2, s2
; %bb.1652:
	v_add_f32_e64 v4, 0x46800000, |v0|
; %bb.1653:
	s_or_b32 exec_lo, exec_lo, s2
                                        ; implicit-def: $vgpr5
.LBB64_1654:
	s_and_not1_saveexec_b32 s1, s1
; %bb.1655:
	v_mov_b32_e32 v4, 0x7f
	v_cmp_lt_u32_e32 vcc_lo, 0x7f800000, v5
	s_delay_alu instid0(VALU_DEP_2)
	v_cndmask_b32_e32 v4, 0x7e, v4, vcc_lo
; %bb.1656:
	s_or_b32 exec_lo, exec_lo, s1
	v_lshrrev_b32_e32 v5, 24, v0
	s_delay_alu instid0(VALU_DEP_1)
	v_and_or_b32 v4, 0x80, v5, v4
	global_store_b8 v[2:3], v4, off
.LBB64_1657:
	s_mov_b32 s1, 0
.LBB64_1658:
	s_delay_alu instid0(SALU_CYCLE_1)
	s_and_not1_b32 vcc_lo, exec_lo, s1
	s_cbranch_vccnz .LBB64_1668
; %bb.1659:
	v_and_b32_e32 v5, 0x7fffffff, v0
	s_mov_b32 s1, exec_lo
                                        ; implicit-def: $vgpr4
	s_delay_alu instid0(VALU_DEP_1)
	v_cmpx_gt_u32_e32 0x47800000, v5
	s_xor_b32 s1, exec_lo, s1
	s_cbranch_execz .LBB64_1665
; %bb.1660:
	s_mov_b32 s2, exec_lo
                                        ; implicit-def: $vgpr4
	v_cmpx_lt_u32_e32 0x387fffff, v5
	s_xor_b32 s2, exec_lo, s2
; %bb.1661:
	v_bfe_u32 v4, v0, 21, 1
	s_delay_alu instid0(VALU_DEP_1) | instskip(NEXT) | instid1(VALU_DEP_1)
	v_add3_u32 v4, v0, v4, 0x80fffff
	v_lshrrev_b32_e32 v4, 21, v4
; %bb.1662:
	s_and_not1_saveexec_b32 s2, s2
; %bb.1663:
	v_add_f32_e64 v4, 0x43000000, |v0|
; %bb.1664:
	s_or_b32 exec_lo, exec_lo, s2
                                        ; implicit-def: $vgpr5
.LBB64_1665:
	s_and_not1_saveexec_b32 s1, s1
; %bb.1666:
	v_mov_b32_e32 v4, 0x7f
	v_cmp_lt_u32_e32 vcc_lo, 0x7f800000, v5
	s_delay_alu instid0(VALU_DEP_2)
	v_cndmask_b32_e32 v4, 0x7c, v4, vcc_lo
; %bb.1667:
	s_or_b32 exec_lo, exec_lo, s1
	v_lshrrev_b32_e32 v5, 24, v0
	s_delay_alu instid0(VALU_DEP_1)
	v_and_or_b32 v4, 0x80, v5, v4
	global_store_b8 v[2:3], v4, off
.LBB64_1668:
	s_mov_b32 s1, 0
	s_mov_b32 s2, -1
.LBB64_1669:
	s_and_not1_b32 vcc_lo, exec_lo, s1
	s_mov_b32 s1, 0
	s_cbranch_vccnz .LBB64_1676
; %bb.1670:
	v_cmp_lt_i16_e32 vcc_lo, 14, v26
	s_mov_b32 s1, -1
	s_cbranch_vccz .LBB64_1674
; %bb.1671:
	v_cmp_eq_u16_e32 vcc_lo, 15, v26
	s_mov_b32 s0, -1
	s_cbranch_vccz .LBB64_1673
; %bb.1672:
	v_bfe_u32 v4, v0, 16, 1
	v_cmp_o_f32_e32 vcc_lo, v0, v0
	s_mov_b32 s0, 0
	s_mov_b32 s2, -1
	s_delay_alu instid0(VALU_DEP_2) | instskip(NEXT) | instid1(VALU_DEP_1)
	v_add3_u32 v4, v0, v4, 0x7fff
	v_lshrrev_b32_e32 v4, 16, v4
	s_delay_alu instid0(VALU_DEP_1)
	v_cndmask_b32_e32 v4, 0x7fc0, v4, vcc_lo
	global_store_b16 v[2:3], v4, off
.LBB64_1673:
	s_mov_b32 s1, 0
.LBB64_1674:
	s_delay_alu instid0(SALU_CYCLE_1)
	s_and_b32 vcc_lo, exec_lo, s1
	s_mov_b32 s1, 0
	s_cbranch_vccz .LBB64_1676
; %bb.1675:
	v_cmp_ne_u16_e64 s0, 11, v26
	s_mov_b32 s1, -1
.LBB64_1676:
	s_delay_alu instid0(VALU_DEP_1)
	s_and_b32 vcc_lo, exec_lo, s0
	s_cbranch_vccnz .LBB64_2087
; %bb.1677:
	s_and_not1_b32 vcc_lo, exec_lo, s1
	s_cbranch_vccnz .LBB64_1679
.LBB64_1678:
	v_or_b32_e32 v4, v0, v1
	s_mov_b32 s2, -1
	s_delay_alu instid0(VALU_DEP_1) | instskip(NEXT) | instid1(VALU_DEP_1)
	v_and_b32_e32 v4, 0x7fffffff, v4
	v_cmp_ne_u32_e32 vcc_lo, 0, v4
	v_cndmask_b32_e64 v4, 0, 1, vcc_lo
	global_store_b8 v[2:3], v4, off
.LBB64_1679:
	s_mov_b32 s0, 0
	s_branch .LBB64_1681
.LBB64_1680:
	s_mov_b32 s0, -1
	s_mov_b32 s2, 0
.LBB64_1681:
	s_and_b32 vcc_lo, exec_lo, s0
	s_cbranch_vccz .LBB64_1720
; %bb.1682:
	v_cmp_gt_i16_e32 vcc_lo, 5, v26
	s_mov_b32 s0, -1
	s_cbranch_vccnz .LBB64_1703
; %bb.1683:
	v_cmp_gt_i16_e32 vcc_lo, 8, v26
	s_cbranch_vccnz .LBB64_1693
; %bb.1684:
	v_cmp_gt_i16_e32 vcc_lo, 9, v26
	s_cbranch_vccnz .LBB64_1690
; %bb.1685:
	v_cmp_lt_i16_e32 vcc_lo, 9, v26
	s_cbranch_vccz .LBB64_1687
; %bb.1686:
	v_cvt_f64_f32_e32 v[4:5], v0
	v_cvt_f64_f32_e32 v[6:7], v1
	s_mov_b32 s0, 0
	global_store_b128 v[2:3], v[4:7], off
.LBB64_1687:
	s_and_not1_b32 vcc_lo, exec_lo, s0
	s_cbranch_vccnz .LBB64_1689
; %bb.1688:
	global_store_b64 v[2:3], v[0:1], off
.LBB64_1689:
	s_mov_b32 s0, 0
.LBB64_1690:
	s_delay_alu instid0(SALU_CYCLE_1)
	s_and_not1_b32 vcc_lo, exec_lo, s0
	s_cbranch_vccnz .LBB64_1692
; %bb.1691:
	v_cvt_f16_f32_e32 v1, v1
	v_cvt_f16_f32_e32 v4, v0
	s_delay_alu instid0(VALU_DEP_2) | instskip(NEXT) | instid1(VALU_DEP_2)
	v_lshlrev_b32_e32 v1, 16, v1
	v_and_b32_e32 v4, 0xffff, v4
	s_delay_alu instid0(VALU_DEP_1)
	v_or_b32_e32 v1, v1, v4
	global_store_b32 v[2:3], v1, off
.LBB64_1692:
	s_mov_b32 s0, 0
.LBB64_1693:
	s_delay_alu instid0(SALU_CYCLE_1)
	s_and_not1_b32 vcc_lo, exec_lo, s0
	s_cbranch_vccnz .LBB64_1702
; %bb.1694:
	v_cmp_gt_i16_e32 vcc_lo, 6, v26
	s_mov_b32 s0, -1
	s_cbranch_vccnz .LBB64_1700
; %bb.1695:
	v_cmp_lt_i16_e32 vcc_lo, 6, v26
	s_cbranch_vccz .LBB64_1697
; %bb.1696:
	v_cvt_f64_f32_e32 v[4:5], v0
	s_mov_b32 s0, 0
	global_store_b64 v[2:3], v[4:5], off
.LBB64_1697:
	s_and_not1_b32 vcc_lo, exec_lo, s0
	s_cbranch_vccnz .LBB64_1699
; %bb.1698:
	global_store_b32 v[2:3], v0, off
.LBB64_1699:
	s_mov_b32 s0, 0
.LBB64_1700:
	s_delay_alu instid0(SALU_CYCLE_1)
	s_and_not1_b32 vcc_lo, exec_lo, s0
	s_cbranch_vccnz .LBB64_1702
; %bb.1701:
	v_cvt_f16_f32_e32 v1, v0
	global_store_b16 v[2:3], v1, off
.LBB64_1702:
	s_mov_b32 s0, 0
.LBB64_1703:
	s_delay_alu instid0(SALU_CYCLE_1)
	s_and_not1_b32 vcc_lo, exec_lo, s0
	s_cbranch_vccnz .LBB64_1719
; %bb.1704:
	v_cmp_gt_i16_e32 vcc_lo, 2, v26
	s_mov_b32 s0, -1
	s_cbranch_vccnz .LBB64_1714
; %bb.1705:
	v_cmp_gt_i16_e32 vcc_lo, 3, v26
	s_cbranch_vccnz .LBB64_1711
; %bb.1706:
	v_cmp_lt_i16_e32 vcc_lo, 3, v26
	s_cbranch_vccz .LBB64_1708
; %bb.1707:
	v_trunc_f32_e32 v1, v0
	s_mov_b32 s0, 0
	s_delay_alu instid0(VALU_DEP_1) | instskip(NEXT) | instid1(VALU_DEP_1)
	v_mul_f32_e64 v4, 0x2f800000, |v1|
	v_floor_f32_e32 v4, v4
	s_delay_alu instid0(VALU_DEP_1) | instskip(SKIP_2) | instid1(VALU_DEP_3)
	v_fma_f32 v5, 0xcf800000, v4, |v1|
	v_ashrrev_i32_e32 v1, 31, v1
	v_cvt_u32_f32_e32 v4, v4
	v_cvt_u32_f32_e32 v5, v5
	s_delay_alu instid0(VALU_DEP_2) | instskip(NEXT) | instid1(VALU_DEP_2)
	v_xor_b32_e32 v6, v4, v1
	v_xor_b32_e32 v5, v5, v1
	s_delay_alu instid0(VALU_DEP_1) | instskip(NEXT) | instid1(VALU_DEP_3)
	v_sub_co_u32 v4, vcc_lo, v5, v1
	v_sub_co_ci_u32_e32 v5, vcc_lo, v6, v1, vcc_lo
	global_store_b64 v[2:3], v[4:5], off
.LBB64_1708:
	s_and_not1_b32 vcc_lo, exec_lo, s0
	s_cbranch_vccnz .LBB64_1710
; %bb.1709:
	v_cvt_i32_f32_e32 v1, v0
	global_store_b32 v[2:3], v1, off
.LBB64_1710:
	s_mov_b32 s0, 0
.LBB64_1711:
	s_delay_alu instid0(SALU_CYCLE_1)
	s_and_not1_b32 vcc_lo, exec_lo, s0
	s_cbranch_vccnz .LBB64_1713
; %bb.1712:
	v_cvt_i32_f32_e32 v1, v0
	global_store_b16 v[2:3], v1, off
.LBB64_1713:
	s_mov_b32 s0, 0
.LBB64_1714:
	s_delay_alu instid0(SALU_CYCLE_1)
	s_and_not1_b32 vcc_lo, exec_lo, s0
	s_cbranch_vccnz .LBB64_1719
; %bb.1715:
	v_cmp_lt_i16_e32 vcc_lo, 0, v26
	s_mov_b32 s0, -1
	s_cbranch_vccz .LBB64_1717
; %bb.1716:
	v_cvt_i32_f32_e32 v1, v0
	s_mov_b32 s0, 0
	global_store_b8 v[2:3], v1, off
.LBB64_1717:
	s_and_not1_b32 vcc_lo, exec_lo, s0
	s_cbranch_vccnz .LBB64_1719
; %bb.1718:
	v_trunc_f32_e32 v0, v0
	s_delay_alu instid0(VALU_DEP_1) | instskip(NEXT) | instid1(VALU_DEP_1)
	v_mul_f32_e64 v1, 0x2f800000, |v0|
	v_floor_f32_e32 v1, v1
	s_delay_alu instid0(VALU_DEP_1) | instskip(SKIP_1) | instid1(VALU_DEP_2)
	v_fma_f32 v1, 0xcf800000, v1, |v0|
	v_ashrrev_i32_e32 v0, 31, v0
	v_cvt_u32_f32_e32 v1, v1
	s_delay_alu instid0(VALU_DEP_1) | instskip(NEXT) | instid1(VALU_DEP_1)
	v_xor_b32_e32 v1, v1, v0
	v_sub_nc_u32_e32 v0, v1, v0
	global_store_b8 v[2:3], v0, off
.LBB64_1719:
	s_mov_b32 s2, -1
.LBB64_1720:
	s_delay_alu instid0(SALU_CYCLE_1)
	s_and_not1_b32 vcc_lo, exec_lo, s2
	s_cbranch_vccnz .LBB64_2035
; %bb.1721:
	v_dual_mov_b32 v0, v17 :: v_dual_mov_b32 v1, v18
	s_getpc_b64 s[0:1]
	s_add_u32 s0, s0, _ZN16c10_complex_math3expIfEEN3c107complexIT_EERKS4_@rel32@lo+4
	s_addc_u32 s1, s1, _ZN16c10_complex_math3expIfEEN3c107complexIT_EERKS4_@rel32@hi+12
	s_delay_alu instid0(SALU_CYCLE_1) | instskip(SKIP_3) | instid1(VALU_DEP_1)
	s_swappc_b64 s[30:31], s[0:1]
	s_lshl_b32 s10, s10, 7
	v_cmp_gt_i16_e32 vcc_lo, 11, v26
	v_add_nc_u32_e32 v17, s10, v24
	v_ashrrev_i32_e32 v3, 31, v17
	v_add_co_u32 v2, s0, s16, v17
	s_delay_alu instid0(VALU_DEP_1)
	v_add_co_ci_u32_e64 v3, s0, s17, v3, s0
	s_cbranch_vccnz .LBB64_1799
; %bb.1722:
	v_cmp_lt_i16_e32 vcc_lo, 25, v26
	s_mov_b32 s3, -1
	s_mov_b32 s1, 0
	s_mov_b32 s2, 0
	;; [unrolled: 1-line block ×3, first 2 shown]
	s_cbranch_vccz .LBB64_1755
; %bb.1723:
	v_cmp_lt_i16_e32 vcc_lo, 28, v26
	s_cbranch_vccz .LBB64_1738
; %bb.1724:
	v_cmp_lt_i16_e32 vcc_lo, 43, v26
	;; [unrolled: 3-line block ×3, first 2 shown]
	s_cbranch_vccz .LBB64_1728
; %bb.1726:
	v_cmp_eq_u16_e32 vcc_lo, 46, v26
	s_mov_b32 s0, -1
	s_mov_b32 s3, 0
	s_cbranch_vccz .LBB64_1728
; %bb.1727:
	v_bfe_u32 v4, v1, 16, 1
	v_bfe_u32 v5, v0, 16, 1
	v_cmp_o_f32_e32 vcc_lo, v1, v1
	s_mov_b32 s0, 0
	s_mov_b32 s2, -1
	v_add3_u32 v4, v1, v4, 0x7fff
	v_add3_u32 v5, v0, v5, 0x7fff
	s_delay_alu instid0(VALU_DEP_2) | instskip(NEXT) | instid1(VALU_DEP_2)
	v_and_b32_e32 v4, 0xffff0000, v4
	v_lshrrev_b32_e32 v5, 16, v5
	s_delay_alu instid0(VALU_DEP_2) | instskip(SKIP_1) | instid1(VALU_DEP_3)
	v_cndmask_b32_e32 v4, 0x7fc00000, v4, vcc_lo
	v_cmp_o_f32_e32 vcc_lo, v0, v0
	v_cndmask_b32_e32 v5, 0x7fc0, v5, vcc_lo
	s_delay_alu instid0(VALU_DEP_1)
	v_or_b32_e32 v4, v4, v5
	global_store_b32 v[2:3], v4, off
.LBB64_1728:
	s_and_b32 vcc_lo, exec_lo, s3
	s_cbranch_vccz .LBB64_1733
; %bb.1729:
	v_cmp_eq_u16_e32 vcc_lo, 44, v26
	s_mov_b32 s0, -1
	s_cbranch_vccz .LBB64_1733
; %bb.1730:
	v_bfe_u32 v5, v0, 23, 8
	v_mov_b32_e32 v4, 0xff
	s_mov_b32 s2, exec_lo
	s_delay_alu instid0(VALU_DEP_2)
	v_cmpx_ne_u32_e32 0xff, v5
; %bb.1731:
	v_and_b32_e32 v4, 0x400000, v0
	v_and_or_b32 v5, 0x3fffff, v0, v5
	s_delay_alu instid0(VALU_DEP_2) | instskip(NEXT) | instid1(VALU_DEP_2)
	v_cmp_ne_u32_e32 vcc_lo, 0, v4
	v_cmp_ne_u32_e64 s0, 0, v5
	v_lshrrev_b32_e32 v4, 23, v0
	s_delay_alu instid0(VALU_DEP_2) | instskip(NEXT) | instid1(SALU_CYCLE_1)
	s_and_b32 s0, vcc_lo, s0
	v_cndmask_b32_e64 v5, 0, 1, s0
	s_delay_alu instid0(VALU_DEP_1)
	v_add_nc_u32_e32 v4, v4, v5
; %bb.1732:
	s_or_b32 exec_lo, exec_lo, s2
	s_mov_b32 s0, 0
	s_mov_b32 s2, -1
	global_store_b8 v[2:3], v4, off
.LBB64_1733:
	s_mov_b32 s3, 0
.LBB64_1734:
	s_delay_alu instid0(SALU_CYCLE_1)
	s_and_b32 vcc_lo, exec_lo, s3
	s_cbranch_vccz .LBB64_1737
; %bb.1735:
	v_cmp_eq_u16_e32 vcc_lo, 29, v26
	s_mov_b32 s0, -1
	s_cbranch_vccz .LBB64_1737
; %bb.1736:
	v_trunc_f32_e32 v4, v0
	s_mov_b32 s0, 0
	s_mov_b32 s2, -1
	s_delay_alu instid0(VALU_DEP_1) | instskip(NEXT) | instid1(VALU_DEP_1)
	v_mul_f32_e32 v5, 0x2f800000, v4
	v_floor_f32_e32 v5, v5
	s_delay_alu instid0(VALU_DEP_1) | instskip(SKIP_1) | instid1(VALU_DEP_2)
	v_fmamk_f32 v4, v5, 0xcf800000, v4
	v_cvt_u32_f32_e32 v5, v5
	v_cvt_u32_f32_e32 v4, v4
	global_store_b64 v[2:3], v[4:5], off
.LBB64_1737:
	s_mov_b32 s3, 0
.LBB64_1738:
	s_delay_alu instid0(SALU_CYCLE_1)
	s_and_b32 vcc_lo, exec_lo, s3
	s_cbranch_vccz .LBB64_1754
; %bb.1739:
	v_cmp_gt_i16_e32 vcc_lo, 27, v26
	s_mov_b32 s2, -1
	s_cbranch_vccnz .LBB64_1745
; %bb.1740:
	v_cmp_lt_i16_e32 vcc_lo, 27, v26
	v_cvt_u32_f32_e32 v4, v0
	s_cbranch_vccz .LBB64_1742
; %bb.1741:
	s_mov_b32 s2, 0
	global_store_b32 v[2:3], v4, off
.LBB64_1742:
	s_and_not1_b32 vcc_lo, exec_lo, s2
	s_cbranch_vccnz .LBB64_1744
; %bb.1743:
	global_store_b16 v[2:3], v4, off
.LBB64_1744:
	s_mov_b32 s2, 0
.LBB64_1745:
	s_delay_alu instid0(SALU_CYCLE_1)
	s_and_not1_b32 vcc_lo, exec_lo, s2
	s_cbranch_vccnz .LBB64_1753
; %bb.1746:
	v_and_b32_e32 v4, 0x7fffffff, v0
	v_mov_b32_e32 v5, 0x80
	s_mov_b32 s2, exec_lo
	s_delay_alu instid0(VALU_DEP_2)
	v_cmpx_gt_u32_e32 0x43800000, v4
	s_cbranch_execz .LBB64_1752
; %bb.1747:
	v_cmp_lt_u32_e32 vcc_lo, 0x3bffffff, v4
	s_mov_b32 s3, 0
                                        ; implicit-def: $vgpr4
	s_and_saveexec_b32 s4, vcc_lo
	s_delay_alu instid0(SALU_CYCLE_1)
	s_xor_b32 s4, exec_lo, s4
	s_cbranch_execz .LBB64_2091
; %bb.1748:
	v_bfe_u32 v4, v0, 20, 1
	s_mov_b32 s3, exec_lo
	s_delay_alu instid0(VALU_DEP_1) | instskip(NEXT) | instid1(VALU_DEP_1)
	v_add3_u32 v4, v0, v4, 0x487ffff
	v_lshrrev_b32_e32 v4, 20, v4
	s_or_saveexec_b32 s4, s4
                                        ; implicit-def: $sgpr5
	s_delay_alu instid0(SALU_CYCLE_1)
	s_xor_b32 exec_lo, exec_lo, s4
	s_cbranch_execnz .LBB64_2092
.LBB64_1749:
	s_or_b32 exec_lo, exec_lo, s4
	v_mov_b32_e32 v5, s5
	s_and_saveexec_b32 s4, s3
.LBB64_1750:
	v_lshrrev_b32_e32 v5, 24, v0
	s_delay_alu instid0(VALU_DEP_1)
	v_and_or_b32 v5, 0x80, v5, v4
.LBB64_1751:
	s_or_b32 exec_lo, exec_lo, s4
.LBB64_1752:
	s_delay_alu instid0(SALU_CYCLE_1)
	s_or_b32 exec_lo, exec_lo, s2
	global_store_b8 v[2:3], v5, off
.LBB64_1753:
	s_mov_b32 s2, -1
.LBB64_1754:
	s_mov_b32 s3, 0
.LBB64_1755:
	s_delay_alu instid0(SALU_CYCLE_1)
	s_and_b32 vcc_lo, exec_lo, s3
	s_cbranch_vccz .LBB64_1795
; %bb.1756:
	v_cmp_lt_i16_e32 vcc_lo, 22, v26
	s_mov_b32 s1, -1
	s_cbranch_vccz .LBB64_1788
; %bb.1757:
	v_cmp_gt_i16_e32 vcc_lo, 24, v26
	s_cbranch_vccnz .LBB64_1777
; %bb.1758:
	v_cmp_lt_i16_e32 vcc_lo, 24, v26
	s_cbranch_vccz .LBB64_1766
; %bb.1759:
	v_and_b32_e32 v4, 0x7fffffff, v0
	v_mov_b32_e32 v5, 0x80
	s_mov_b32 s1, exec_lo
	s_delay_alu instid0(VALU_DEP_2)
	v_cmpx_gt_u32_e32 0x47800000, v4
	s_cbranch_execz .LBB64_1765
; %bb.1760:
	v_cmp_lt_u32_e32 vcc_lo, 0x37ffffff, v4
	s_mov_b32 s2, 0
                                        ; implicit-def: $vgpr4
	s_and_saveexec_b32 s3, vcc_lo
	s_delay_alu instid0(SALU_CYCLE_1)
	s_xor_b32 s3, exec_lo, s3
	s_cbranch_execz .LBB64_2097
; %bb.1761:
	v_bfe_u32 v4, v0, 21, 1
	s_mov_b32 s2, exec_lo
	s_delay_alu instid0(VALU_DEP_1) | instskip(NEXT) | instid1(VALU_DEP_1)
	v_add3_u32 v4, v0, v4, 0x88fffff
	v_lshrrev_b32_e32 v4, 21, v4
	s_or_saveexec_b32 s3, s3
                                        ; implicit-def: $sgpr4
	s_delay_alu instid0(SALU_CYCLE_1)
	s_xor_b32 exec_lo, exec_lo, s3
	s_cbranch_execnz .LBB64_2098
.LBB64_1762:
	s_or_b32 exec_lo, exec_lo, s3
	v_mov_b32_e32 v5, s4
	s_and_saveexec_b32 s3, s2
.LBB64_1763:
	v_lshrrev_b32_e32 v5, 24, v0
	s_delay_alu instid0(VALU_DEP_1)
	v_and_or_b32 v5, 0x80, v5, v4
.LBB64_1764:
	s_or_b32 exec_lo, exec_lo, s3
.LBB64_1765:
	s_delay_alu instid0(SALU_CYCLE_1)
	s_or_b32 exec_lo, exec_lo, s1
	s_mov_b32 s1, 0
	global_store_b8 v[2:3], v5, off
.LBB64_1766:
	s_and_b32 vcc_lo, exec_lo, s1
	s_cbranch_vccz .LBB64_1776
; %bb.1767:
	v_and_b32_e32 v5, 0x7fffffff, v0
	s_mov_b32 s1, exec_lo
                                        ; implicit-def: $vgpr4
	s_delay_alu instid0(VALU_DEP_1)
	v_cmpx_gt_u32_e32 0x43f00000, v5
	s_xor_b32 s1, exec_lo, s1
	s_cbranch_execz .LBB64_1773
; %bb.1768:
	s_mov_b32 s2, exec_lo
                                        ; implicit-def: $vgpr4
	v_cmpx_lt_u32_e32 0x3c7fffff, v5
	s_xor_b32 s2, exec_lo, s2
; %bb.1769:
	v_bfe_u32 v4, v0, 20, 1
	s_delay_alu instid0(VALU_DEP_1) | instskip(NEXT) | instid1(VALU_DEP_1)
	v_add3_u32 v4, v0, v4, 0x407ffff
	v_and_b32_e32 v5, 0xff00000, v4
	v_lshrrev_b32_e32 v4, 20, v4
	s_delay_alu instid0(VALU_DEP_2) | instskip(NEXT) | instid1(VALU_DEP_2)
	v_cmp_ne_u32_e32 vcc_lo, 0x7f00000, v5
	v_cndmask_b32_e32 v4, 0x7e, v4, vcc_lo
; %bb.1770:
	s_and_not1_saveexec_b32 s2, s2
; %bb.1771:
	v_add_f32_e64 v4, 0x46800000, |v0|
; %bb.1772:
	s_or_b32 exec_lo, exec_lo, s2
                                        ; implicit-def: $vgpr5
.LBB64_1773:
	s_and_not1_saveexec_b32 s1, s1
; %bb.1774:
	v_mov_b32_e32 v4, 0x7f
	v_cmp_lt_u32_e32 vcc_lo, 0x7f800000, v5
	s_delay_alu instid0(VALU_DEP_2)
	v_cndmask_b32_e32 v4, 0x7e, v4, vcc_lo
; %bb.1775:
	s_or_b32 exec_lo, exec_lo, s1
	v_lshrrev_b32_e32 v5, 24, v0
	s_delay_alu instid0(VALU_DEP_1)
	v_and_or_b32 v4, 0x80, v5, v4
	global_store_b8 v[2:3], v4, off
.LBB64_1776:
	s_mov_b32 s1, 0
.LBB64_1777:
	s_delay_alu instid0(SALU_CYCLE_1)
	s_and_not1_b32 vcc_lo, exec_lo, s1
	s_cbranch_vccnz .LBB64_1787
; %bb.1778:
	v_and_b32_e32 v5, 0x7fffffff, v0
	s_mov_b32 s1, exec_lo
                                        ; implicit-def: $vgpr4
	s_delay_alu instid0(VALU_DEP_1)
	v_cmpx_gt_u32_e32 0x47800000, v5
	s_xor_b32 s1, exec_lo, s1
	s_cbranch_execz .LBB64_1784
; %bb.1779:
	s_mov_b32 s2, exec_lo
                                        ; implicit-def: $vgpr4
	v_cmpx_lt_u32_e32 0x387fffff, v5
	s_xor_b32 s2, exec_lo, s2
; %bb.1780:
	v_bfe_u32 v4, v0, 21, 1
	s_delay_alu instid0(VALU_DEP_1) | instskip(NEXT) | instid1(VALU_DEP_1)
	v_add3_u32 v4, v0, v4, 0x80fffff
	v_lshrrev_b32_e32 v4, 21, v4
; %bb.1781:
	s_and_not1_saveexec_b32 s2, s2
; %bb.1782:
	v_add_f32_e64 v4, 0x43000000, |v0|
; %bb.1783:
	s_or_b32 exec_lo, exec_lo, s2
                                        ; implicit-def: $vgpr5
.LBB64_1784:
	s_and_not1_saveexec_b32 s1, s1
; %bb.1785:
	v_mov_b32_e32 v4, 0x7f
	v_cmp_lt_u32_e32 vcc_lo, 0x7f800000, v5
	s_delay_alu instid0(VALU_DEP_2)
	v_cndmask_b32_e32 v4, 0x7c, v4, vcc_lo
; %bb.1786:
	s_or_b32 exec_lo, exec_lo, s1
	v_lshrrev_b32_e32 v5, 24, v0
	s_delay_alu instid0(VALU_DEP_1)
	v_and_or_b32 v4, 0x80, v5, v4
	global_store_b8 v[2:3], v4, off
.LBB64_1787:
	s_mov_b32 s1, 0
	s_mov_b32 s2, -1
.LBB64_1788:
	s_and_not1_b32 vcc_lo, exec_lo, s1
	s_mov_b32 s1, 0
	s_cbranch_vccnz .LBB64_1795
; %bb.1789:
	v_cmp_lt_i16_e32 vcc_lo, 14, v26
	s_mov_b32 s1, -1
	s_cbranch_vccz .LBB64_1793
; %bb.1790:
	v_cmp_eq_u16_e32 vcc_lo, 15, v26
	s_mov_b32 s0, -1
	s_cbranch_vccz .LBB64_1792
; %bb.1791:
	v_bfe_u32 v4, v0, 16, 1
	v_cmp_o_f32_e32 vcc_lo, v0, v0
	s_mov_b32 s0, 0
	s_mov_b32 s2, -1
	s_delay_alu instid0(VALU_DEP_2) | instskip(NEXT) | instid1(VALU_DEP_1)
	v_add3_u32 v4, v0, v4, 0x7fff
	v_lshrrev_b32_e32 v4, 16, v4
	s_delay_alu instid0(VALU_DEP_1)
	v_cndmask_b32_e32 v4, 0x7fc0, v4, vcc_lo
	global_store_b16 v[2:3], v4, off
.LBB64_1792:
	s_mov_b32 s1, 0
.LBB64_1793:
	s_delay_alu instid0(SALU_CYCLE_1)
	s_and_b32 vcc_lo, exec_lo, s1
	s_mov_b32 s1, 0
	s_cbranch_vccz .LBB64_1795
; %bb.1794:
	v_cmp_ne_u16_e64 s0, 11, v26
	s_mov_b32 s1, -1
.LBB64_1795:
	s_delay_alu instid0(VALU_DEP_1)
	s_and_b32 vcc_lo, exec_lo, s0
	s_cbranch_vccnz .LBB64_2095
; %bb.1796:
	s_and_not1_b32 vcc_lo, exec_lo, s1
	s_cbranch_vccnz .LBB64_1798
.LBB64_1797:
	v_or_b32_e32 v4, v0, v1
	s_mov_b32 s2, -1
	s_delay_alu instid0(VALU_DEP_1) | instskip(NEXT) | instid1(VALU_DEP_1)
	v_and_b32_e32 v4, 0x7fffffff, v4
	v_cmp_ne_u32_e32 vcc_lo, 0, v4
	v_cndmask_b32_e64 v4, 0, 1, vcc_lo
	global_store_b8 v[2:3], v4, off
.LBB64_1798:
	s_mov_b32 s0, 0
	s_branch .LBB64_1800
.LBB64_1799:
	s_mov_b32 s0, -1
	s_mov_b32 s2, 0
.LBB64_1800:
	s_and_b32 vcc_lo, exec_lo, s0
	s_cbranch_vccz .LBB64_1839
; %bb.1801:
	v_cmp_gt_i16_e32 vcc_lo, 5, v26
	s_mov_b32 s0, -1
	s_cbranch_vccnz .LBB64_1822
; %bb.1802:
	v_cmp_gt_i16_e32 vcc_lo, 8, v26
	s_cbranch_vccnz .LBB64_1812
; %bb.1803:
	v_cmp_gt_i16_e32 vcc_lo, 9, v26
	s_cbranch_vccnz .LBB64_1809
; %bb.1804:
	v_cmp_lt_i16_e32 vcc_lo, 9, v26
	s_cbranch_vccz .LBB64_1806
; %bb.1805:
	v_cvt_f64_f32_e32 v[4:5], v0
	v_cvt_f64_f32_e32 v[6:7], v1
	s_mov_b32 s0, 0
	global_store_b128 v[2:3], v[4:7], off
.LBB64_1806:
	s_and_not1_b32 vcc_lo, exec_lo, s0
	s_cbranch_vccnz .LBB64_1808
; %bb.1807:
	global_store_b64 v[2:3], v[0:1], off
.LBB64_1808:
	s_mov_b32 s0, 0
.LBB64_1809:
	s_delay_alu instid0(SALU_CYCLE_1)
	s_and_not1_b32 vcc_lo, exec_lo, s0
	s_cbranch_vccnz .LBB64_1811
; %bb.1810:
	v_cvt_f16_f32_e32 v1, v1
	v_cvt_f16_f32_e32 v4, v0
	s_delay_alu instid0(VALU_DEP_2) | instskip(NEXT) | instid1(VALU_DEP_2)
	v_lshlrev_b32_e32 v1, 16, v1
	v_and_b32_e32 v4, 0xffff, v4
	s_delay_alu instid0(VALU_DEP_1)
	v_or_b32_e32 v1, v1, v4
	global_store_b32 v[2:3], v1, off
.LBB64_1811:
	s_mov_b32 s0, 0
.LBB64_1812:
	s_delay_alu instid0(SALU_CYCLE_1)
	s_and_not1_b32 vcc_lo, exec_lo, s0
	s_cbranch_vccnz .LBB64_1821
; %bb.1813:
	v_cmp_gt_i16_e32 vcc_lo, 6, v26
	s_mov_b32 s0, -1
	s_cbranch_vccnz .LBB64_1819
; %bb.1814:
	v_cmp_lt_i16_e32 vcc_lo, 6, v26
	s_cbranch_vccz .LBB64_1816
; %bb.1815:
	v_cvt_f64_f32_e32 v[4:5], v0
	s_mov_b32 s0, 0
	global_store_b64 v[2:3], v[4:5], off
.LBB64_1816:
	s_and_not1_b32 vcc_lo, exec_lo, s0
	s_cbranch_vccnz .LBB64_1818
; %bb.1817:
	global_store_b32 v[2:3], v0, off
.LBB64_1818:
	s_mov_b32 s0, 0
.LBB64_1819:
	s_delay_alu instid0(SALU_CYCLE_1)
	s_and_not1_b32 vcc_lo, exec_lo, s0
	s_cbranch_vccnz .LBB64_1821
; %bb.1820:
	v_cvt_f16_f32_e32 v1, v0
	global_store_b16 v[2:3], v1, off
.LBB64_1821:
	s_mov_b32 s0, 0
.LBB64_1822:
	s_delay_alu instid0(SALU_CYCLE_1)
	s_and_not1_b32 vcc_lo, exec_lo, s0
	s_cbranch_vccnz .LBB64_1838
; %bb.1823:
	v_cmp_gt_i16_e32 vcc_lo, 2, v26
	s_mov_b32 s0, -1
	s_cbranch_vccnz .LBB64_1833
; %bb.1824:
	v_cmp_gt_i16_e32 vcc_lo, 3, v26
	s_cbranch_vccnz .LBB64_1830
; %bb.1825:
	v_cmp_lt_i16_e32 vcc_lo, 3, v26
	s_cbranch_vccz .LBB64_1827
; %bb.1826:
	v_trunc_f32_e32 v1, v0
	s_mov_b32 s0, 0
	s_delay_alu instid0(VALU_DEP_1) | instskip(NEXT) | instid1(VALU_DEP_1)
	v_mul_f32_e64 v4, 0x2f800000, |v1|
	v_floor_f32_e32 v4, v4
	s_delay_alu instid0(VALU_DEP_1) | instskip(SKIP_2) | instid1(VALU_DEP_3)
	v_fma_f32 v5, 0xcf800000, v4, |v1|
	v_ashrrev_i32_e32 v1, 31, v1
	v_cvt_u32_f32_e32 v4, v4
	v_cvt_u32_f32_e32 v5, v5
	s_delay_alu instid0(VALU_DEP_2) | instskip(NEXT) | instid1(VALU_DEP_2)
	v_xor_b32_e32 v6, v4, v1
	v_xor_b32_e32 v5, v5, v1
	s_delay_alu instid0(VALU_DEP_1) | instskip(NEXT) | instid1(VALU_DEP_3)
	v_sub_co_u32 v4, vcc_lo, v5, v1
	v_sub_co_ci_u32_e32 v5, vcc_lo, v6, v1, vcc_lo
	global_store_b64 v[2:3], v[4:5], off
.LBB64_1827:
	s_and_not1_b32 vcc_lo, exec_lo, s0
	s_cbranch_vccnz .LBB64_1829
; %bb.1828:
	v_cvt_i32_f32_e32 v1, v0
	global_store_b32 v[2:3], v1, off
.LBB64_1829:
	s_mov_b32 s0, 0
.LBB64_1830:
	s_delay_alu instid0(SALU_CYCLE_1)
	s_and_not1_b32 vcc_lo, exec_lo, s0
	s_cbranch_vccnz .LBB64_1832
; %bb.1831:
	v_cvt_i32_f32_e32 v1, v0
	global_store_b16 v[2:3], v1, off
.LBB64_1832:
	s_mov_b32 s0, 0
.LBB64_1833:
	s_delay_alu instid0(SALU_CYCLE_1)
	s_and_not1_b32 vcc_lo, exec_lo, s0
	s_cbranch_vccnz .LBB64_1838
; %bb.1834:
	v_cmp_lt_i16_e32 vcc_lo, 0, v26
	s_mov_b32 s0, -1
	s_cbranch_vccz .LBB64_1836
; %bb.1835:
	v_cvt_i32_f32_e32 v1, v0
	s_mov_b32 s0, 0
	global_store_b8 v[2:3], v1, off
.LBB64_1836:
	s_and_not1_b32 vcc_lo, exec_lo, s0
	s_cbranch_vccnz .LBB64_1838
; %bb.1837:
	v_trunc_f32_e32 v0, v0
	s_delay_alu instid0(VALU_DEP_1) | instskip(NEXT) | instid1(VALU_DEP_1)
	v_mul_f32_e64 v1, 0x2f800000, |v0|
	v_floor_f32_e32 v1, v1
	s_delay_alu instid0(VALU_DEP_1) | instskip(SKIP_1) | instid1(VALU_DEP_2)
	v_fma_f32 v1, 0xcf800000, v1, |v0|
	v_ashrrev_i32_e32 v0, 31, v0
	v_cvt_u32_f32_e32 v1, v1
	s_delay_alu instid0(VALU_DEP_1) | instskip(NEXT) | instid1(VALU_DEP_1)
	v_xor_b32_e32 v1, v1, v0
	v_sub_nc_u32_e32 v0, v1, v0
	global_store_b8 v[2:3], v0, off
.LBB64_1838:
	s_mov_b32 s2, -1
.LBB64_1839:
	s_delay_alu instid0(SALU_CYCLE_1)
	s_and_not1_b32 vcc_lo, exec_lo, s2
	s_cbranch_vccnz .LBB64_2035
; %bb.1840:
	v_dual_mov_b32 v0, v19 :: v_dual_mov_b32 v1, v20
	s_getpc_b64 s[0:1]
	s_add_u32 s0, s0, _ZN16c10_complex_math3expIfEEN3c107complexIT_EERKS4_@rel32@lo+4
	s_addc_u32 s1, s1, _ZN16c10_complex_math3expIfEEN3c107complexIT_EERKS4_@rel32@hi+12
	s_delay_alu instid0(SALU_CYCLE_1) | instskip(SKIP_2) | instid1(VALU_DEP_2)
	s_swappc_b64 s[30:31], s[0:1]
	v_add_nc_u32_e32 v17, s10, v17
	v_cmp_gt_i16_e32 vcc_lo, 11, v26
	v_ashrrev_i32_e32 v3, 31, v17
	v_add_co_u32 v2, s0, s16, v17
	s_delay_alu instid0(VALU_DEP_1)
	v_add_co_ci_u32_e64 v3, s0, s17, v3, s0
	s_cbranch_vccnz .LBB64_1918
; %bb.1841:
	v_cmp_lt_i16_e32 vcc_lo, 25, v26
	s_mov_b32 s3, -1
	s_mov_b32 s1, 0
	s_mov_b32 s2, 0
	s_mov_b32 s0, 0
	s_cbranch_vccz .LBB64_1874
; %bb.1842:
	v_cmp_lt_i16_e32 vcc_lo, 28, v26
	s_cbranch_vccz .LBB64_1857
; %bb.1843:
	v_cmp_lt_i16_e32 vcc_lo, 43, v26
	;; [unrolled: 3-line block ×3, first 2 shown]
	s_cbranch_vccz .LBB64_1847
; %bb.1845:
	v_cmp_eq_u16_e32 vcc_lo, 46, v26
	s_mov_b32 s0, -1
	s_mov_b32 s3, 0
	s_cbranch_vccz .LBB64_1847
; %bb.1846:
	v_bfe_u32 v4, v1, 16, 1
	v_bfe_u32 v5, v0, 16, 1
	v_cmp_o_f32_e32 vcc_lo, v1, v1
	s_mov_b32 s0, 0
	s_mov_b32 s2, -1
	v_add3_u32 v4, v1, v4, 0x7fff
	v_add3_u32 v5, v0, v5, 0x7fff
	s_delay_alu instid0(VALU_DEP_2) | instskip(NEXT) | instid1(VALU_DEP_2)
	v_and_b32_e32 v4, 0xffff0000, v4
	v_lshrrev_b32_e32 v5, 16, v5
	s_delay_alu instid0(VALU_DEP_2) | instskip(SKIP_1) | instid1(VALU_DEP_3)
	v_cndmask_b32_e32 v4, 0x7fc00000, v4, vcc_lo
	v_cmp_o_f32_e32 vcc_lo, v0, v0
	v_cndmask_b32_e32 v5, 0x7fc0, v5, vcc_lo
	s_delay_alu instid0(VALU_DEP_1)
	v_or_b32_e32 v4, v4, v5
	global_store_b32 v[2:3], v4, off
.LBB64_1847:
	s_and_b32 vcc_lo, exec_lo, s3
	s_cbranch_vccz .LBB64_1852
; %bb.1848:
	v_cmp_eq_u16_e32 vcc_lo, 44, v26
	s_mov_b32 s0, -1
	s_cbranch_vccz .LBB64_1852
; %bb.1849:
	v_bfe_u32 v5, v0, 23, 8
	v_mov_b32_e32 v4, 0xff
	s_mov_b32 s2, exec_lo
	s_delay_alu instid0(VALU_DEP_2)
	v_cmpx_ne_u32_e32 0xff, v5
; %bb.1850:
	v_and_b32_e32 v4, 0x400000, v0
	v_and_or_b32 v5, 0x3fffff, v0, v5
	s_delay_alu instid0(VALU_DEP_2) | instskip(NEXT) | instid1(VALU_DEP_2)
	v_cmp_ne_u32_e32 vcc_lo, 0, v4
	v_cmp_ne_u32_e64 s0, 0, v5
	v_lshrrev_b32_e32 v4, 23, v0
	s_delay_alu instid0(VALU_DEP_2) | instskip(NEXT) | instid1(SALU_CYCLE_1)
	s_and_b32 s0, vcc_lo, s0
	v_cndmask_b32_e64 v5, 0, 1, s0
	s_delay_alu instid0(VALU_DEP_1)
	v_add_nc_u32_e32 v4, v4, v5
; %bb.1851:
	s_or_b32 exec_lo, exec_lo, s2
	s_mov_b32 s0, 0
	s_mov_b32 s2, -1
	global_store_b8 v[2:3], v4, off
.LBB64_1852:
	s_mov_b32 s3, 0
.LBB64_1853:
	s_delay_alu instid0(SALU_CYCLE_1)
	s_and_b32 vcc_lo, exec_lo, s3
	s_cbranch_vccz .LBB64_1856
; %bb.1854:
	v_cmp_eq_u16_e32 vcc_lo, 29, v26
	s_mov_b32 s0, -1
	s_cbranch_vccz .LBB64_1856
; %bb.1855:
	v_trunc_f32_e32 v4, v0
	s_mov_b32 s0, 0
	s_mov_b32 s2, -1
	s_delay_alu instid0(VALU_DEP_1) | instskip(NEXT) | instid1(VALU_DEP_1)
	v_mul_f32_e32 v5, 0x2f800000, v4
	v_floor_f32_e32 v5, v5
	s_delay_alu instid0(VALU_DEP_1) | instskip(SKIP_1) | instid1(VALU_DEP_2)
	v_fmamk_f32 v4, v5, 0xcf800000, v4
	v_cvt_u32_f32_e32 v5, v5
	v_cvt_u32_f32_e32 v4, v4
	global_store_b64 v[2:3], v[4:5], off
.LBB64_1856:
	s_mov_b32 s3, 0
.LBB64_1857:
	s_delay_alu instid0(SALU_CYCLE_1)
	s_and_b32 vcc_lo, exec_lo, s3
	s_cbranch_vccz .LBB64_1873
; %bb.1858:
	v_cmp_gt_i16_e32 vcc_lo, 27, v26
	s_mov_b32 s2, -1
	s_cbranch_vccnz .LBB64_1864
; %bb.1859:
	v_cmp_lt_i16_e32 vcc_lo, 27, v26
	v_cvt_u32_f32_e32 v4, v0
	s_cbranch_vccz .LBB64_1861
; %bb.1860:
	s_mov_b32 s2, 0
	global_store_b32 v[2:3], v4, off
.LBB64_1861:
	s_and_not1_b32 vcc_lo, exec_lo, s2
	s_cbranch_vccnz .LBB64_1863
; %bb.1862:
	global_store_b16 v[2:3], v4, off
.LBB64_1863:
	s_mov_b32 s2, 0
.LBB64_1864:
	s_delay_alu instid0(SALU_CYCLE_1)
	s_and_not1_b32 vcc_lo, exec_lo, s2
	s_cbranch_vccnz .LBB64_1872
; %bb.1865:
	v_and_b32_e32 v4, 0x7fffffff, v0
	v_mov_b32_e32 v5, 0x80
	s_mov_b32 s2, exec_lo
	s_delay_alu instid0(VALU_DEP_2)
	v_cmpx_gt_u32_e32 0x43800000, v4
	s_cbranch_execz .LBB64_1871
; %bb.1866:
	v_cmp_lt_u32_e32 vcc_lo, 0x3bffffff, v4
	s_mov_b32 s3, 0
                                        ; implicit-def: $vgpr4
	s_and_saveexec_b32 s4, vcc_lo
	s_delay_alu instid0(SALU_CYCLE_1)
	s_xor_b32 s4, exec_lo, s4
	s_cbranch_execz .LBB64_2099
; %bb.1867:
	v_bfe_u32 v4, v0, 20, 1
	s_mov_b32 s3, exec_lo
	s_delay_alu instid0(VALU_DEP_1) | instskip(NEXT) | instid1(VALU_DEP_1)
	v_add3_u32 v4, v0, v4, 0x487ffff
	v_lshrrev_b32_e32 v4, 20, v4
	s_or_saveexec_b32 s4, s4
                                        ; implicit-def: $sgpr5
	s_delay_alu instid0(SALU_CYCLE_1)
	s_xor_b32 exec_lo, exec_lo, s4
	s_cbranch_execnz .LBB64_2100
.LBB64_1868:
	s_or_b32 exec_lo, exec_lo, s4
	v_mov_b32_e32 v5, s5
	s_and_saveexec_b32 s4, s3
.LBB64_1869:
	v_lshrrev_b32_e32 v5, 24, v0
	s_delay_alu instid0(VALU_DEP_1)
	v_and_or_b32 v5, 0x80, v5, v4
.LBB64_1870:
	s_or_b32 exec_lo, exec_lo, s4
.LBB64_1871:
	s_delay_alu instid0(SALU_CYCLE_1)
	s_or_b32 exec_lo, exec_lo, s2
	global_store_b8 v[2:3], v5, off
.LBB64_1872:
	s_mov_b32 s2, -1
.LBB64_1873:
	s_mov_b32 s3, 0
.LBB64_1874:
	s_delay_alu instid0(SALU_CYCLE_1)
	s_and_b32 vcc_lo, exec_lo, s3
	s_cbranch_vccz .LBB64_1914
; %bb.1875:
	v_cmp_lt_i16_e32 vcc_lo, 22, v26
	s_mov_b32 s1, -1
	s_cbranch_vccz .LBB64_1907
; %bb.1876:
	v_cmp_gt_i16_e32 vcc_lo, 24, v26
	s_cbranch_vccnz .LBB64_1896
; %bb.1877:
	v_cmp_lt_i16_e32 vcc_lo, 24, v26
	s_cbranch_vccz .LBB64_1885
; %bb.1878:
	v_and_b32_e32 v4, 0x7fffffff, v0
	v_mov_b32_e32 v5, 0x80
	s_mov_b32 s1, exec_lo
	s_delay_alu instid0(VALU_DEP_2)
	v_cmpx_gt_u32_e32 0x47800000, v4
	s_cbranch_execz .LBB64_1884
; %bb.1879:
	v_cmp_lt_u32_e32 vcc_lo, 0x37ffffff, v4
	s_mov_b32 s2, 0
                                        ; implicit-def: $vgpr4
	s_and_saveexec_b32 s3, vcc_lo
	s_delay_alu instid0(SALU_CYCLE_1)
	s_xor_b32 s3, exec_lo, s3
	s_cbranch_execz .LBB64_2105
; %bb.1880:
	v_bfe_u32 v4, v0, 21, 1
	s_mov_b32 s2, exec_lo
	s_delay_alu instid0(VALU_DEP_1) | instskip(NEXT) | instid1(VALU_DEP_1)
	v_add3_u32 v4, v0, v4, 0x88fffff
	v_lshrrev_b32_e32 v4, 21, v4
	s_or_saveexec_b32 s3, s3
                                        ; implicit-def: $sgpr4
	s_delay_alu instid0(SALU_CYCLE_1)
	s_xor_b32 exec_lo, exec_lo, s3
	s_cbranch_execnz .LBB64_2106
.LBB64_1881:
	s_or_b32 exec_lo, exec_lo, s3
	v_mov_b32_e32 v5, s4
	s_and_saveexec_b32 s3, s2
.LBB64_1882:
	v_lshrrev_b32_e32 v5, 24, v0
	s_delay_alu instid0(VALU_DEP_1)
	v_and_or_b32 v5, 0x80, v5, v4
.LBB64_1883:
	s_or_b32 exec_lo, exec_lo, s3
.LBB64_1884:
	s_delay_alu instid0(SALU_CYCLE_1)
	s_or_b32 exec_lo, exec_lo, s1
	s_mov_b32 s1, 0
	global_store_b8 v[2:3], v5, off
.LBB64_1885:
	s_and_b32 vcc_lo, exec_lo, s1
	s_cbranch_vccz .LBB64_1895
; %bb.1886:
	v_and_b32_e32 v5, 0x7fffffff, v0
	s_mov_b32 s1, exec_lo
                                        ; implicit-def: $vgpr4
	s_delay_alu instid0(VALU_DEP_1)
	v_cmpx_gt_u32_e32 0x43f00000, v5
	s_xor_b32 s1, exec_lo, s1
	s_cbranch_execz .LBB64_1892
; %bb.1887:
	s_mov_b32 s2, exec_lo
                                        ; implicit-def: $vgpr4
	v_cmpx_lt_u32_e32 0x3c7fffff, v5
	s_xor_b32 s2, exec_lo, s2
; %bb.1888:
	v_bfe_u32 v4, v0, 20, 1
	s_delay_alu instid0(VALU_DEP_1) | instskip(NEXT) | instid1(VALU_DEP_1)
	v_add3_u32 v4, v0, v4, 0x407ffff
	v_and_b32_e32 v5, 0xff00000, v4
	v_lshrrev_b32_e32 v4, 20, v4
	s_delay_alu instid0(VALU_DEP_2) | instskip(NEXT) | instid1(VALU_DEP_2)
	v_cmp_ne_u32_e32 vcc_lo, 0x7f00000, v5
	v_cndmask_b32_e32 v4, 0x7e, v4, vcc_lo
; %bb.1889:
	s_and_not1_saveexec_b32 s2, s2
; %bb.1890:
	v_add_f32_e64 v4, 0x46800000, |v0|
; %bb.1891:
	s_or_b32 exec_lo, exec_lo, s2
                                        ; implicit-def: $vgpr5
.LBB64_1892:
	s_and_not1_saveexec_b32 s1, s1
; %bb.1893:
	v_mov_b32_e32 v4, 0x7f
	v_cmp_lt_u32_e32 vcc_lo, 0x7f800000, v5
	s_delay_alu instid0(VALU_DEP_2)
	v_cndmask_b32_e32 v4, 0x7e, v4, vcc_lo
; %bb.1894:
	s_or_b32 exec_lo, exec_lo, s1
	v_lshrrev_b32_e32 v5, 24, v0
	s_delay_alu instid0(VALU_DEP_1)
	v_and_or_b32 v4, 0x80, v5, v4
	global_store_b8 v[2:3], v4, off
.LBB64_1895:
	s_mov_b32 s1, 0
.LBB64_1896:
	s_delay_alu instid0(SALU_CYCLE_1)
	s_and_not1_b32 vcc_lo, exec_lo, s1
	s_cbranch_vccnz .LBB64_1906
; %bb.1897:
	v_and_b32_e32 v5, 0x7fffffff, v0
	s_mov_b32 s1, exec_lo
                                        ; implicit-def: $vgpr4
	s_delay_alu instid0(VALU_DEP_1)
	v_cmpx_gt_u32_e32 0x47800000, v5
	s_xor_b32 s1, exec_lo, s1
	s_cbranch_execz .LBB64_1903
; %bb.1898:
	s_mov_b32 s2, exec_lo
                                        ; implicit-def: $vgpr4
	v_cmpx_lt_u32_e32 0x387fffff, v5
	s_xor_b32 s2, exec_lo, s2
; %bb.1899:
	v_bfe_u32 v4, v0, 21, 1
	s_delay_alu instid0(VALU_DEP_1) | instskip(NEXT) | instid1(VALU_DEP_1)
	v_add3_u32 v4, v0, v4, 0x80fffff
	v_lshrrev_b32_e32 v4, 21, v4
; %bb.1900:
	s_and_not1_saveexec_b32 s2, s2
; %bb.1901:
	v_add_f32_e64 v4, 0x43000000, |v0|
; %bb.1902:
	s_or_b32 exec_lo, exec_lo, s2
                                        ; implicit-def: $vgpr5
.LBB64_1903:
	s_and_not1_saveexec_b32 s1, s1
; %bb.1904:
	v_mov_b32_e32 v4, 0x7f
	v_cmp_lt_u32_e32 vcc_lo, 0x7f800000, v5
	s_delay_alu instid0(VALU_DEP_2)
	v_cndmask_b32_e32 v4, 0x7c, v4, vcc_lo
; %bb.1905:
	s_or_b32 exec_lo, exec_lo, s1
	v_lshrrev_b32_e32 v5, 24, v0
	s_delay_alu instid0(VALU_DEP_1)
	v_and_or_b32 v4, 0x80, v5, v4
	global_store_b8 v[2:3], v4, off
.LBB64_1906:
	s_mov_b32 s1, 0
	s_mov_b32 s2, -1
.LBB64_1907:
	s_and_not1_b32 vcc_lo, exec_lo, s1
	s_mov_b32 s1, 0
	s_cbranch_vccnz .LBB64_1914
; %bb.1908:
	v_cmp_lt_i16_e32 vcc_lo, 14, v26
	s_mov_b32 s1, -1
	s_cbranch_vccz .LBB64_1912
; %bb.1909:
	v_cmp_eq_u16_e32 vcc_lo, 15, v26
	s_mov_b32 s0, -1
	s_cbranch_vccz .LBB64_1911
; %bb.1910:
	v_bfe_u32 v4, v0, 16, 1
	v_cmp_o_f32_e32 vcc_lo, v0, v0
	s_mov_b32 s0, 0
	s_mov_b32 s2, -1
	s_delay_alu instid0(VALU_DEP_2) | instskip(NEXT) | instid1(VALU_DEP_1)
	v_add3_u32 v4, v0, v4, 0x7fff
	v_lshrrev_b32_e32 v4, 16, v4
	s_delay_alu instid0(VALU_DEP_1)
	v_cndmask_b32_e32 v4, 0x7fc0, v4, vcc_lo
	global_store_b16 v[2:3], v4, off
.LBB64_1911:
	s_mov_b32 s1, 0
.LBB64_1912:
	s_delay_alu instid0(SALU_CYCLE_1)
	s_and_b32 vcc_lo, exec_lo, s1
	s_mov_b32 s1, 0
	s_cbranch_vccz .LBB64_1914
; %bb.1913:
	v_cmp_ne_u16_e64 s0, 11, v26
	s_mov_b32 s1, -1
.LBB64_1914:
	s_delay_alu instid0(VALU_DEP_1)
	s_and_b32 vcc_lo, exec_lo, s0
	s_cbranch_vccnz .LBB64_2103
; %bb.1915:
	s_and_not1_b32 vcc_lo, exec_lo, s1
	s_cbranch_vccnz .LBB64_1917
.LBB64_1916:
	v_or_b32_e32 v4, v0, v1
	s_mov_b32 s2, -1
	s_delay_alu instid0(VALU_DEP_1) | instskip(NEXT) | instid1(VALU_DEP_1)
	v_and_b32_e32 v4, 0x7fffffff, v4
	v_cmp_ne_u32_e32 vcc_lo, 0, v4
	v_cndmask_b32_e64 v4, 0, 1, vcc_lo
	global_store_b8 v[2:3], v4, off
.LBB64_1917:
	s_mov_b32 s0, 0
	s_branch .LBB64_1919
.LBB64_1918:
	s_mov_b32 s0, -1
	s_mov_b32 s2, 0
.LBB64_1919:
	s_and_b32 vcc_lo, exec_lo, s0
	s_cbranch_vccz .LBB64_1958
; %bb.1920:
	v_cmp_gt_i16_e32 vcc_lo, 5, v26
	s_mov_b32 s0, -1
	s_cbranch_vccnz .LBB64_1941
; %bb.1921:
	v_cmp_gt_i16_e32 vcc_lo, 8, v26
	s_cbranch_vccnz .LBB64_1931
; %bb.1922:
	v_cmp_gt_i16_e32 vcc_lo, 9, v26
	s_cbranch_vccnz .LBB64_1928
; %bb.1923:
	v_cmp_lt_i16_e32 vcc_lo, 9, v26
	s_cbranch_vccz .LBB64_1925
; %bb.1924:
	v_cvt_f64_f32_e32 v[4:5], v0
	v_cvt_f64_f32_e32 v[6:7], v1
	s_mov_b32 s0, 0
	global_store_b128 v[2:3], v[4:7], off
.LBB64_1925:
	s_and_not1_b32 vcc_lo, exec_lo, s0
	s_cbranch_vccnz .LBB64_1927
; %bb.1926:
	global_store_b64 v[2:3], v[0:1], off
.LBB64_1927:
	s_mov_b32 s0, 0
.LBB64_1928:
	s_delay_alu instid0(SALU_CYCLE_1)
	s_and_not1_b32 vcc_lo, exec_lo, s0
	s_cbranch_vccnz .LBB64_1930
; %bb.1929:
	v_cvt_f16_f32_e32 v1, v1
	v_cvt_f16_f32_e32 v4, v0
	s_delay_alu instid0(VALU_DEP_2) | instskip(NEXT) | instid1(VALU_DEP_2)
	v_lshlrev_b32_e32 v1, 16, v1
	v_and_b32_e32 v4, 0xffff, v4
	s_delay_alu instid0(VALU_DEP_1)
	v_or_b32_e32 v1, v1, v4
	global_store_b32 v[2:3], v1, off
.LBB64_1930:
	s_mov_b32 s0, 0
.LBB64_1931:
	s_delay_alu instid0(SALU_CYCLE_1)
	s_and_not1_b32 vcc_lo, exec_lo, s0
	s_cbranch_vccnz .LBB64_1940
; %bb.1932:
	v_cmp_gt_i16_e32 vcc_lo, 6, v26
	s_mov_b32 s0, -1
	s_cbranch_vccnz .LBB64_1938
; %bb.1933:
	v_cmp_lt_i16_e32 vcc_lo, 6, v26
	s_cbranch_vccz .LBB64_1935
; %bb.1934:
	v_cvt_f64_f32_e32 v[4:5], v0
	s_mov_b32 s0, 0
	global_store_b64 v[2:3], v[4:5], off
.LBB64_1935:
	s_and_not1_b32 vcc_lo, exec_lo, s0
	s_cbranch_vccnz .LBB64_1937
; %bb.1936:
	global_store_b32 v[2:3], v0, off
.LBB64_1937:
	s_mov_b32 s0, 0
.LBB64_1938:
	s_delay_alu instid0(SALU_CYCLE_1)
	s_and_not1_b32 vcc_lo, exec_lo, s0
	s_cbranch_vccnz .LBB64_1940
; %bb.1939:
	v_cvt_f16_f32_e32 v1, v0
	global_store_b16 v[2:3], v1, off
.LBB64_1940:
	s_mov_b32 s0, 0
.LBB64_1941:
	s_delay_alu instid0(SALU_CYCLE_1)
	s_and_not1_b32 vcc_lo, exec_lo, s0
	s_cbranch_vccnz .LBB64_1957
; %bb.1942:
	v_cmp_gt_i16_e32 vcc_lo, 2, v26
	s_mov_b32 s0, -1
	s_cbranch_vccnz .LBB64_1952
; %bb.1943:
	v_cmp_gt_i16_e32 vcc_lo, 3, v26
	s_cbranch_vccnz .LBB64_1949
; %bb.1944:
	v_cmp_lt_i16_e32 vcc_lo, 3, v26
	s_cbranch_vccz .LBB64_1946
; %bb.1945:
	v_trunc_f32_e32 v1, v0
	s_mov_b32 s0, 0
	s_delay_alu instid0(VALU_DEP_1) | instskip(NEXT) | instid1(VALU_DEP_1)
	v_mul_f32_e64 v4, 0x2f800000, |v1|
	v_floor_f32_e32 v4, v4
	s_delay_alu instid0(VALU_DEP_1) | instskip(SKIP_2) | instid1(VALU_DEP_3)
	v_fma_f32 v5, 0xcf800000, v4, |v1|
	v_ashrrev_i32_e32 v1, 31, v1
	v_cvt_u32_f32_e32 v4, v4
	v_cvt_u32_f32_e32 v5, v5
	s_delay_alu instid0(VALU_DEP_2) | instskip(NEXT) | instid1(VALU_DEP_2)
	v_xor_b32_e32 v6, v4, v1
	v_xor_b32_e32 v5, v5, v1
	s_delay_alu instid0(VALU_DEP_1) | instskip(NEXT) | instid1(VALU_DEP_3)
	v_sub_co_u32 v4, vcc_lo, v5, v1
	v_sub_co_ci_u32_e32 v5, vcc_lo, v6, v1, vcc_lo
	global_store_b64 v[2:3], v[4:5], off
.LBB64_1946:
	s_and_not1_b32 vcc_lo, exec_lo, s0
	s_cbranch_vccnz .LBB64_1948
; %bb.1947:
	v_cvt_i32_f32_e32 v1, v0
	global_store_b32 v[2:3], v1, off
.LBB64_1948:
	s_mov_b32 s0, 0
.LBB64_1949:
	s_delay_alu instid0(SALU_CYCLE_1)
	s_and_not1_b32 vcc_lo, exec_lo, s0
	s_cbranch_vccnz .LBB64_1951
; %bb.1950:
	v_cvt_i32_f32_e32 v1, v0
	global_store_b16 v[2:3], v1, off
.LBB64_1951:
	s_mov_b32 s0, 0
.LBB64_1952:
	s_delay_alu instid0(SALU_CYCLE_1)
	s_and_not1_b32 vcc_lo, exec_lo, s0
	s_cbranch_vccnz .LBB64_1957
; %bb.1953:
	v_cmp_lt_i16_e32 vcc_lo, 0, v26
	s_mov_b32 s0, -1
	s_cbranch_vccz .LBB64_1955
; %bb.1954:
	v_cvt_i32_f32_e32 v1, v0
	s_mov_b32 s0, 0
	global_store_b8 v[2:3], v1, off
.LBB64_1955:
	s_and_not1_b32 vcc_lo, exec_lo, s0
	s_cbranch_vccnz .LBB64_1957
; %bb.1956:
	v_trunc_f32_e32 v0, v0
	s_delay_alu instid0(VALU_DEP_1) | instskip(NEXT) | instid1(VALU_DEP_1)
	v_mul_f32_e64 v1, 0x2f800000, |v0|
	v_floor_f32_e32 v1, v1
	s_delay_alu instid0(VALU_DEP_1) | instskip(SKIP_1) | instid1(VALU_DEP_2)
	v_fma_f32 v1, 0xcf800000, v1, |v0|
	v_ashrrev_i32_e32 v0, 31, v0
	v_cvt_u32_f32_e32 v1, v1
	s_delay_alu instid0(VALU_DEP_1) | instskip(NEXT) | instid1(VALU_DEP_1)
	v_xor_b32_e32 v1, v1, v0
	v_sub_nc_u32_e32 v0, v1, v0
	global_store_b8 v[2:3], v0, off
.LBB64_1957:
	s_mov_b32 s2, -1
.LBB64_1958:
	s_delay_alu instid0(SALU_CYCLE_1)
	s_and_not1_b32 vcc_lo, exec_lo, s2
	s_cbranch_vccnz .LBB64_2035
; %bb.1959:
	v_dual_mov_b32 v0, v21 :: v_dual_mov_b32 v1, v22
	s_getpc_b64 s[0:1]
	s_add_u32 s0, s0, _ZN16c10_complex_math3expIfEEN3c107complexIT_EERKS4_@rel32@lo+4
	s_addc_u32 s1, s1, _ZN16c10_complex_math3expIfEEN3c107complexIT_EERKS4_@rel32@hi+12
	s_delay_alu instid0(SALU_CYCLE_1) | instskip(SKIP_2) | instid1(VALU_DEP_2)
	s_swappc_b64 s[30:31], s[0:1]
	v_add_nc_u32_e32 v2, s10, v17
	v_cmp_gt_i16_e32 vcc_lo, 11, v26
	v_ashrrev_i32_e32 v3, 31, v2
	v_add_co_u32 v2, s0, s16, v2
	s_delay_alu instid0(VALU_DEP_1)
	v_add_co_ci_u32_e64 v3, s0, s17, v3, s0
	s_cbranch_vccnz .LBB64_2080
; %bb.1960:
	v_cmp_lt_i16_e32 vcc_lo, 25, v26
	s_mov_b32 s2, -1
	s_mov_b32 s1, 0
	s_mov_b32 s0, 0
	s_cbranch_vccz .LBB64_1993
; %bb.1961:
	v_cmp_lt_i16_e32 vcc_lo, 28, v26
	s_cbranch_vccz .LBB64_1977
; %bb.1962:
	v_cmp_lt_i16_e32 vcc_lo, 43, v26
	;; [unrolled: 3-line block ×3, first 2 shown]
	s_cbranch_vccz .LBB64_1967
; %bb.1964:
	v_cmp_eq_u16_e32 vcc_lo, 46, v26
	s_mov_b32 s0, -1
	s_cbranch_vccz .LBB64_1966
; %bb.1965:
	v_bfe_u32 v4, v1, 16, 1
	v_bfe_u32 v5, v0, 16, 1
	v_cmp_o_f32_e32 vcc_lo, v1, v1
	s_mov_b32 s0, 0
	s_delay_alu instid0(VALU_DEP_3) | instskip(NEXT) | instid1(VALU_DEP_3)
	v_add3_u32 v4, v1, v4, 0x7fff
	v_add3_u32 v5, v0, v5, 0x7fff
	s_delay_alu instid0(VALU_DEP_2) | instskip(NEXT) | instid1(VALU_DEP_2)
	v_and_b32_e32 v4, 0xffff0000, v4
	v_lshrrev_b32_e32 v5, 16, v5
	s_delay_alu instid0(VALU_DEP_2) | instskip(SKIP_1) | instid1(VALU_DEP_3)
	v_cndmask_b32_e32 v4, 0x7fc00000, v4, vcc_lo
	v_cmp_o_f32_e32 vcc_lo, v0, v0
	v_cndmask_b32_e32 v5, 0x7fc0, v5, vcc_lo
	s_delay_alu instid0(VALU_DEP_1)
	v_or_b32_e32 v4, v4, v5
	global_store_b32 v[2:3], v4, off
.LBB64_1966:
	s_mov_b32 s2, 0
.LBB64_1967:
	s_delay_alu instid0(SALU_CYCLE_1)
	s_and_b32 vcc_lo, exec_lo, s2
	s_cbranch_vccz .LBB64_1972
; %bb.1968:
	v_cmp_eq_u16_e32 vcc_lo, 44, v26
	s_mov_b32 s0, -1
	s_cbranch_vccz .LBB64_1972
; %bb.1969:
	v_bfe_u32 v5, v0, 23, 8
	v_mov_b32_e32 v4, 0xff
	s_mov_b32 s2, exec_lo
	s_delay_alu instid0(VALU_DEP_2)
	v_cmpx_ne_u32_e32 0xff, v5
; %bb.1970:
	v_and_b32_e32 v4, 0x400000, v0
	v_and_or_b32 v5, 0x3fffff, v0, v5
	s_delay_alu instid0(VALU_DEP_2) | instskip(NEXT) | instid1(VALU_DEP_2)
	v_cmp_ne_u32_e32 vcc_lo, 0, v4
	v_cmp_ne_u32_e64 s0, 0, v5
	v_lshrrev_b32_e32 v4, 23, v0
	s_delay_alu instid0(VALU_DEP_2) | instskip(NEXT) | instid1(SALU_CYCLE_1)
	s_and_b32 s0, vcc_lo, s0
	v_cndmask_b32_e64 v5, 0, 1, s0
	s_delay_alu instid0(VALU_DEP_1)
	v_add_nc_u32_e32 v4, v4, v5
; %bb.1971:
	s_or_b32 exec_lo, exec_lo, s2
	s_mov_b32 s0, 0
	global_store_b8 v[2:3], v4, off
.LBB64_1972:
	s_mov_b32 s2, 0
.LBB64_1973:
	s_delay_alu instid0(SALU_CYCLE_1)
	s_and_b32 vcc_lo, exec_lo, s2
	s_cbranch_vccz .LBB64_1976
; %bb.1974:
	v_cmp_eq_u16_e32 vcc_lo, 29, v26
	s_mov_b32 s0, -1
	s_cbranch_vccz .LBB64_1976
; %bb.1975:
	v_trunc_f32_e32 v4, v0
	s_mov_b32 s0, 0
	s_delay_alu instid0(VALU_DEP_1) | instskip(NEXT) | instid1(VALU_DEP_1)
	v_mul_f32_e32 v5, 0x2f800000, v4
	v_floor_f32_e32 v5, v5
	s_delay_alu instid0(VALU_DEP_1) | instskip(SKIP_1) | instid1(VALU_DEP_2)
	v_fmamk_f32 v4, v5, 0xcf800000, v4
	v_cvt_u32_f32_e32 v5, v5
	v_cvt_u32_f32_e32 v4, v4
	global_store_b64 v[2:3], v[4:5], off
.LBB64_1976:
	s_mov_b32 s2, 0
.LBB64_1977:
	s_delay_alu instid0(SALU_CYCLE_1)
	s_and_b32 vcc_lo, exec_lo, s2
	s_cbranch_vccz .LBB64_1992
; %bb.1978:
	v_cmp_gt_i16_e32 vcc_lo, 27, v26
	s_mov_b32 s2, -1
	s_cbranch_vccnz .LBB64_1984
; %bb.1979:
	v_cmp_lt_i16_e32 vcc_lo, 27, v26
	v_cvt_u32_f32_e32 v4, v0
	s_cbranch_vccz .LBB64_1981
; %bb.1980:
	s_mov_b32 s2, 0
	global_store_b32 v[2:3], v4, off
.LBB64_1981:
	s_and_not1_b32 vcc_lo, exec_lo, s2
	s_cbranch_vccnz .LBB64_1983
; %bb.1982:
	global_store_b16 v[2:3], v4, off
.LBB64_1983:
	s_mov_b32 s2, 0
.LBB64_1984:
	s_delay_alu instid0(SALU_CYCLE_1)
	s_and_not1_b32 vcc_lo, exec_lo, s2
	s_cbranch_vccnz .LBB64_1992
; %bb.1985:
	v_and_b32_e32 v4, 0x7fffffff, v0
	v_mov_b32_e32 v5, 0x80
	s_mov_b32 s2, exec_lo
	s_delay_alu instid0(VALU_DEP_2)
	v_cmpx_gt_u32_e32 0x43800000, v4
	s_cbranch_execz .LBB64_1991
; %bb.1986:
	v_cmp_lt_u32_e32 vcc_lo, 0x3bffffff, v4
	s_mov_b32 s3, 0
                                        ; implicit-def: $vgpr4
	s_and_saveexec_b32 s4, vcc_lo
	s_delay_alu instid0(SALU_CYCLE_1)
	s_xor_b32 s4, exec_lo, s4
	s_cbranch_execz .LBB64_2107
; %bb.1987:
	v_bfe_u32 v4, v0, 20, 1
	s_mov_b32 s3, exec_lo
	s_delay_alu instid0(VALU_DEP_1) | instskip(NEXT) | instid1(VALU_DEP_1)
	v_add3_u32 v4, v0, v4, 0x487ffff
	v_lshrrev_b32_e32 v4, 20, v4
	s_or_saveexec_b32 s4, s4
                                        ; implicit-def: $sgpr5
	s_delay_alu instid0(SALU_CYCLE_1)
	s_xor_b32 exec_lo, exec_lo, s4
	s_cbranch_execnz .LBB64_2108
.LBB64_1988:
	s_or_b32 exec_lo, exec_lo, s4
	v_mov_b32_e32 v5, s5
	s_and_saveexec_b32 s4, s3
.LBB64_1989:
	v_lshrrev_b32_e32 v5, 24, v0
	s_delay_alu instid0(VALU_DEP_1)
	v_and_or_b32 v5, 0x80, v5, v4
.LBB64_1990:
	s_or_b32 exec_lo, exec_lo, s4
.LBB64_1991:
	s_delay_alu instid0(SALU_CYCLE_1)
	s_or_b32 exec_lo, exec_lo, s2
	global_store_b8 v[2:3], v5, off
.LBB64_1992:
	s_mov_b32 s2, 0
.LBB64_1993:
	s_delay_alu instid0(SALU_CYCLE_1)
	s_and_b32 vcc_lo, exec_lo, s2
	s_cbranch_vccz .LBB64_2033
; %bb.1994:
	v_cmp_lt_i16_e32 vcc_lo, 22, v26
	s_mov_b32 s1, -1
	s_cbranch_vccz .LBB64_2026
; %bb.1995:
	v_cmp_gt_i16_e32 vcc_lo, 24, v26
	s_cbranch_vccnz .LBB64_2015
; %bb.1996:
	v_cmp_lt_i16_e32 vcc_lo, 24, v26
	s_cbranch_vccz .LBB64_2004
; %bb.1997:
	v_and_b32_e32 v4, 0x7fffffff, v0
	v_mov_b32_e32 v5, 0x80
	s_mov_b32 s1, exec_lo
	s_delay_alu instid0(VALU_DEP_2)
	v_cmpx_gt_u32_e32 0x47800000, v4
	s_cbranch_execz .LBB64_2003
; %bb.1998:
	v_cmp_lt_u32_e32 vcc_lo, 0x37ffffff, v4
	s_mov_b32 s2, 0
                                        ; implicit-def: $vgpr4
	s_and_saveexec_b32 s3, vcc_lo
	s_delay_alu instid0(SALU_CYCLE_1)
	s_xor_b32 s3, exec_lo, s3
	s_cbranch_execz .LBB64_2113
; %bb.1999:
	v_bfe_u32 v4, v0, 21, 1
	s_mov_b32 s2, exec_lo
	s_delay_alu instid0(VALU_DEP_1) | instskip(NEXT) | instid1(VALU_DEP_1)
	v_add3_u32 v4, v0, v4, 0x88fffff
	v_lshrrev_b32_e32 v4, 21, v4
	s_or_saveexec_b32 s3, s3
                                        ; implicit-def: $sgpr4
	s_delay_alu instid0(SALU_CYCLE_1)
	s_xor_b32 exec_lo, exec_lo, s3
	s_cbranch_execnz .LBB64_2114
.LBB64_2000:
	s_or_b32 exec_lo, exec_lo, s3
	v_mov_b32_e32 v5, s4
	s_and_saveexec_b32 s3, s2
.LBB64_2001:
	v_lshrrev_b32_e32 v5, 24, v0
	s_delay_alu instid0(VALU_DEP_1)
	v_and_or_b32 v5, 0x80, v5, v4
.LBB64_2002:
	s_or_b32 exec_lo, exec_lo, s3
.LBB64_2003:
	s_delay_alu instid0(SALU_CYCLE_1)
	s_or_b32 exec_lo, exec_lo, s1
	s_mov_b32 s1, 0
	global_store_b8 v[2:3], v5, off
.LBB64_2004:
	s_and_b32 vcc_lo, exec_lo, s1
	s_cbranch_vccz .LBB64_2014
; %bb.2005:
	v_and_b32_e32 v5, 0x7fffffff, v0
	s_mov_b32 s1, exec_lo
                                        ; implicit-def: $vgpr4
	s_delay_alu instid0(VALU_DEP_1)
	v_cmpx_gt_u32_e32 0x43f00000, v5
	s_xor_b32 s1, exec_lo, s1
	s_cbranch_execz .LBB64_2011
; %bb.2006:
	s_mov_b32 s2, exec_lo
                                        ; implicit-def: $vgpr4
	v_cmpx_lt_u32_e32 0x3c7fffff, v5
	s_xor_b32 s2, exec_lo, s2
; %bb.2007:
	v_bfe_u32 v4, v0, 20, 1
	s_delay_alu instid0(VALU_DEP_1) | instskip(NEXT) | instid1(VALU_DEP_1)
	v_add3_u32 v4, v0, v4, 0x407ffff
	v_and_b32_e32 v5, 0xff00000, v4
	v_lshrrev_b32_e32 v4, 20, v4
	s_delay_alu instid0(VALU_DEP_2) | instskip(NEXT) | instid1(VALU_DEP_2)
	v_cmp_ne_u32_e32 vcc_lo, 0x7f00000, v5
	v_cndmask_b32_e32 v4, 0x7e, v4, vcc_lo
; %bb.2008:
	s_and_not1_saveexec_b32 s2, s2
; %bb.2009:
	v_add_f32_e64 v4, 0x46800000, |v0|
; %bb.2010:
	s_or_b32 exec_lo, exec_lo, s2
                                        ; implicit-def: $vgpr5
.LBB64_2011:
	s_and_not1_saveexec_b32 s1, s1
; %bb.2012:
	v_mov_b32_e32 v4, 0x7f
	v_cmp_lt_u32_e32 vcc_lo, 0x7f800000, v5
	s_delay_alu instid0(VALU_DEP_2)
	v_cndmask_b32_e32 v4, 0x7e, v4, vcc_lo
; %bb.2013:
	s_or_b32 exec_lo, exec_lo, s1
	v_lshrrev_b32_e32 v5, 24, v0
	s_delay_alu instid0(VALU_DEP_1)
	v_and_or_b32 v4, 0x80, v5, v4
	global_store_b8 v[2:3], v4, off
.LBB64_2014:
	s_mov_b32 s1, 0
.LBB64_2015:
	s_delay_alu instid0(SALU_CYCLE_1)
	s_and_not1_b32 vcc_lo, exec_lo, s1
	s_cbranch_vccnz .LBB64_2025
; %bb.2016:
	v_and_b32_e32 v5, 0x7fffffff, v0
	s_mov_b32 s1, exec_lo
                                        ; implicit-def: $vgpr4
	s_delay_alu instid0(VALU_DEP_1)
	v_cmpx_gt_u32_e32 0x47800000, v5
	s_xor_b32 s1, exec_lo, s1
	s_cbranch_execz .LBB64_2022
; %bb.2017:
	s_mov_b32 s2, exec_lo
                                        ; implicit-def: $vgpr4
	v_cmpx_lt_u32_e32 0x387fffff, v5
	s_xor_b32 s2, exec_lo, s2
; %bb.2018:
	v_bfe_u32 v4, v0, 21, 1
	s_delay_alu instid0(VALU_DEP_1) | instskip(NEXT) | instid1(VALU_DEP_1)
	v_add3_u32 v4, v0, v4, 0x80fffff
	v_lshrrev_b32_e32 v4, 21, v4
; %bb.2019:
	s_and_not1_saveexec_b32 s2, s2
; %bb.2020:
	v_add_f32_e64 v4, 0x43000000, |v0|
; %bb.2021:
	s_or_b32 exec_lo, exec_lo, s2
                                        ; implicit-def: $vgpr5
.LBB64_2022:
	s_and_not1_saveexec_b32 s1, s1
; %bb.2023:
	v_mov_b32_e32 v4, 0x7f
	v_cmp_lt_u32_e32 vcc_lo, 0x7f800000, v5
	s_delay_alu instid0(VALU_DEP_2)
	v_cndmask_b32_e32 v4, 0x7c, v4, vcc_lo
; %bb.2024:
	s_or_b32 exec_lo, exec_lo, s1
	v_lshrrev_b32_e32 v5, 24, v0
	s_delay_alu instid0(VALU_DEP_1)
	v_and_or_b32 v4, 0x80, v5, v4
	global_store_b8 v[2:3], v4, off
.LBB64_2025:
	s_mov_b32 s1, 0
.LBB64_2026:
	s_delay_alu instid0(SALU_CYCLE_1)
	s_and_not1_b32 vcc_lo, exec_lo, s1
	s_mov_b32 s1, 0
	s_cbranch_vccnz .LBB64_2033
; %bb.2027:
	v_cmp_lt_i16_e32 vcc_lo, 14, v26
	s_mov_b32 s1, -1
	s_cbranch_vccz .LBB64_2031
; %bb.2028:
	v_cmp_eq_u16_e32 vcc_lo, 15, v26
	s_mov_b32 s0, -1
	s_cbranch_vccz .LBB64_2030
; %bb.2029:
	v_bfe_u32 v4, v0, 16, 1
	v_cmp_o_f32_e32 vcc_lo, v0, v0
	s_mov_b32 s0, 0
	s_delay_alu instid0(VALU_DEP_2) | instskip(NEXT) | instid1(VALU_DEP_1)
	v_add3_u32 v4, v0, v4, 0x7fff
	v_lshrrev_b32_e32 v4, 16, v4
	s_delay_alu instid0(VALU_DEP_1)
	v_cndmask_b32_e32 v4, 0x7fc0, v4, vcc_lo
	global_store_b16 v[2:3], v4, off
.LBB64_2030:
	s_mov_b32 s1, 0
.LBB64_2031:
	s_delay_alu instid0(SALU_CYCLE_1)
	s_and_b32 vcc_lo, exec_lo, s1
	s_mov_b32 s1, 0
	s_cbranch_vccz .LBB64_2033
; %bb.2032:
	v_cmp_ne_u16_e64 s0, 11, v26
	s_mov_b32 s1, -1
.LBB64_2033:
	s_delay_alu instid0(VALU_DEP_1)
	s_and_b32 vcc_lo, exec_lo, s0
	s_cbranch_vccnz .LBB64_2111
.LBB64_2034:
	s_mov_b32 s0, 0
	s_branch .LBB64_2036
.LBB64_2035:
	s_mov_b32 s0, 0
	s_mov_b32 s1, 0
                                        ; implicit-def: $vgpr26
                                        ; implicit-def: $vgpr2_vgpr3
                                        ; implicit-def: $vgpr0
.LBB64_2036:
	s_and_not1_b32 s2, s13, exec_lo
	s_and_b32 s3, s9, exec_lo
	s_and_b32 s0, s0, exec_lo
	;; [unrolled: 1-line block ×3, first 2 shown]
	s_or_b32 s13, s2, s3
.LBB64_2037:
	s_or_b32 exec_lo, exec_lo, s12
	s_and_saveexec_b32 s1, s13
	s_cbranch_execz .LBB64_2040
; %bb.2038:
	; divergent unreachable
	s_or_b32 exec_lo, exec_lo, s1
	s_and_saveexec_b32 s1, s9
	s_delay_alu instid0(SALU_CYCLE_1)
	s_xor_b32 s1, exec_lo, s1
	s_cbranch_execnz .LBB64_2041
.LBB64_2039:
	s_or_b32 exec_lo, exec_lo, s1
	s_and_saveexec_b32 s1, s0
	s_cbranch_execnz .LBB64_2042
	s_branch .LBB64_2079
.LBB64_2040:
	s_or_b32 exec_lo, exec_lo, s1
	s_and_saveexec_b32 s1, s9
	s_delay_alu instid0(SALU_CYCLE_1)
	s_xor_b32 s1, exec_lo, s1
	s_cbranch_execz .LBB64_2039
.LBB64_2041:
	s_waitcnt vmcnt(0)
	v_or_b32_e32 v4, v0, v1
	s_delay_alu instid0(VALU_DEP_1) | instskip(NEXT) | instid1(VALU_DEP_1)
	v_and_b32_e32 v4, 0x7fffffff, v4
	v_cmp_ne_u32_e32 vcc_lo, 0, v4
	v_cndmask_b32_e64 v4, 0, 1, vcc_lo
	global_store_b8 v[2:3], v4, off
	s_or_b32 exec_lo, exec_lo, s1
	s_and_saveexec_b32 s1, s0
	s_cbranch_execz .LBB64_2079
.LBB64_2042:
	v_cmp_gt_i16_e32 vcc_lo, 5, v26
	s_mov_b32 s0, -1
	s_cbranch_vccnz .LBB64_2063
; %bb.2043:
	v_cmp_gt_i16_e32 vcc_lo, 8, v26
	s_cbranch_vccnz .LBB64_2053
; %bb.2044:
	v_cmp_gt_i16_e32 vcc_lo, 9, v26
	s_cbranch_vccnz .LBB64_2050
; %bb.2045:
	v_cmp_lt_i16_e32 vcc_lo, 9, v26
	s_cbranch_vccz .LBB64_2047
; %bb.2046:
	s_waitcnt vmcnt(0)
	v_cvt_f64_f32_e32 v[4:5], v0
	v_cvt_f64_f32_e32 v[6:7], v1
	s_mov_b32 s0, 0
	global_store_b128 v[2:3], v[4:7], off
.LBB64_2047:
	s_and_not1_b32 vcc_lo, exec_lo, s0
	s_cbranch_vccnz .LBB64_2049
; %bb.2048:
	s_waitcnt vmcnt(0)
	global_store_b64 v[2:3], v[0:1], off
.LBB64_2049:
	s_mov_b32 s0, 0
.LBB64_2050:
	s_delay_alu instid0(SALU_CYCLE_1)
	s_and_not1_b32 vcc_lo, exec_lo, s0
	s_cbranch_vccnz .LBB64_2052
; %bb.2051:
	s_waitcnt vmcnt(0)
	v_cvt_f16_f32_e32 v1, v1
	v_cvt_f16_f32_e32 v4, v0
	s_delay_alu instid0(VALU_DEP_2) | instskip(NEXT) | instid1(VALU_DEP_2)
	v_lshlrev_b32_e32 v1, 16, v1
	v_and_b32_e32 v4, 0xffff, v4
	s_delay_alu instid0(VALU_DEP_1)
	v_or_b32_e32 v1, v1, v4
	global_store_b32 v[2:3], v1, off
.LBB64_2052:
	s_mov_b32 s0, 0
.LBB64_2053:
	s_delay_alu instid0(SALU_CYCLE_1)
	s_and_not1_b32 vcc_lo, exec_lo, s0
	s_cbranch_vccnz .LBB64_2062
; %bb.2054:
	v_cmp_gt_i16_e32 vcc_lo, 6, v26
	s_mov_b32 s0, -1
	s_cbranch_vccnz .LBB64_2060
; %bb.2055:
	v_cmp_lt_i16_e32 vcc_lo, 6, v26
	s_cbranch_vccz .LBB64_2057
; %bb.2056:
	s_waitcnt vmcnt(0)
	v_cvt_f64_f32_e32 v[4:5], v0
	s_mov_b32 s0, 0
	global_store_b64 v[2:3], v[4:5], off
.LBB64_2057:
	s_and_not1_b32 vcc_lo, exec_lo, s0
	s_cbranch_vccnz .LBB64_2059
; %bb.2058:
	s_waitcnt vmcnt(0)
	global_store_b32 v[2:3], v0, off
.LBB64_2059:
	s_mov_b32 s0, 0
.LBB64_2060:
	s_delay_alu instid0(SALU_CYCLE_1)
	s_and_not1_b32 vcc_lo, exec_lo, s0
	s_cbranch_vccnz .LBB64_2062
; %bb.2061:
	s_waitcnt vmcnt(0)
	v_cvt_f16_f32_e32 v1, v0
	global_store_b16 v[2:3], v1, off
.LBB64_2062:
	s_mov_b32 s0, 0
.LBB64_2063:
	s_delay_alu instid0(SALU_CYCLE_1)
	s_and_not1_b32 vcc_lo, exec_lo, s0
	s_cbranch_vccnz .LBB64_2079
; %bb.2064:
	v_cmp_gt_i16_e32 vcc_lo, 2, v26
	s_mov_b32 s0, -1
	s_cbranch_vccnz .LBB64_2074
; %bb.2065:
	v_cmp_gt_i16_e32 vcc_lo, 3, v26
	s_cbranch_vccnz .LBB64_2071
; %bb.2066:
	v_cmp_lt_i16_e32 vcc_lo, 3, v26
	s_cbranch_vccz .LBB64_2068
; %bb.2067:
	s_waitcnt vmcnt(0)
	v_trunc_f32_e32 v1, v0
	s_mov_b32 s0, 0
	s_delay_alu instid0(VALU_DEP_1) | instskip(NEXT) | instid1(VALU_DEP_1)
	v_mul_f32_e64 v4, 0x2f800000, |v1|
	v_floor_f32_e32 v4, v4
	s_delay_alu instid0(VALU_DEP_1) | instskip(SKIP_2) | instid1(VALU_DEP_3)
	v_fma_f32 v5, 0xcf800000, v4, |v1|
	v_ashrrev_i32_e32 v1, 31, v1
	v_cvt_u32_f32_e32 v4, v4
	v_cvt_u32_f32_e32 v5, v5
	s_delay_alu instid0(VALU_DEP_2) | instskip(NEXT) | instid1(VALU_DEP_2)
	v_xor_b32_e32 v6, v4, v1
	v_xor_b32_e32 v5, v5, v1
	s_delay_alu instid0(VALU_DEP_1) | instskip(NEXT) | instid1(VALU_DEP_3)
	v_sub_co_u32 v4, vcc_lo, v5, v1
	v_sub_co_ci_u32_e32 v5, vcc_lo, v6, v1, vcc_lo
	global_store_b64 v[2:3], v[4:5], off
.LBB64_2068:
	s_and_not1_b32 vcc_lo, exec_lo, s0
	s_cbranch_vccnz .LBB64_2070
; %bb.2069:
	s_waitcnt vmcnt(0)
	v_cvt_i32_f32_e32 v1, v0
	global_store_b32 v[2:3], v1, off
.LBB64_2070:
	s_mov_b32 s0, 0
.LBB64_2071:
	s_delay_alu instid0(SALU_CYCLE_1)
	s_and_not1_b32 vcc_lo, exec_lo, s0
	s_cbranch_vccnz .LBB64_2073
; %bb.2072:
	s_waitcnt vmcnt(0)
	v_cvt_i32_f32_e32 v1, v0
	global_store_b16 v[2:3], v1, off
.LBB64_2073:
	s_mov_b32 s0, 0
.LBB64_2074:
	s_delay_alu instid0(SALU_CYCLE_1)
	s_and_not1_b32 vcc_lo, exec_lo, s0
	s_cbranch_vccnz .LBB64_2079
; %bb.2075:
	v_cmp_lt_i16_e32 vcc_lo, 0, v26
	s_mov_b32 s0, -1
	s_cbranch_vccz .LBB64_2077
; %bb.2076:
	s_waitcnt vmcnt(0)
	v_cvt_i32_f32_e32 v1, v0
	s_mov_b32 s0, 0
	global_store_b8 v[2:3], v1, off
.LBB64_2077:
	s_and_not1_b32 vcc_lo, exec_lo, s0
	s_cbranch_vccnz .LBB64_2079
; %bb.2078:
	s_waitcnt vmcnt(0)
	v_trunc_f32_e32 v0, v0
	s_delay_alu instid0(VALU_DEP_1) | instskip(NEXT) | instid1(VALU_DEP_1)
	v_mul_f32_e64 v1, 0x2f800000, |v0|
	v_floor_f32_e32 v1, v1
	s_delay_alu instid0(VALU_DEP_1) | instskip(SKIP_1) | instid1(VALU_DEP_2)
	v_fma_f32 v1, 0xcf800000, v1, |v0|
	v_ashrrev_i32_e32 v0, 31, v0
	v_cvt_u32_f32_e32 v1, v1
	s_delay_alu instid0(VALU_DEP_1) | instskip(NEXT) | instid1(VALU_DEP_1)
	v_xor_b32_e32 v1, v1, v0
	v_sub_nc_u32_e32 v0, v1, v0
	global_store_b8 v[2:3], v0, off
	s_endpgm
.LBB64_2079:
	s_endpgm
.LBB64_2080:
	s_mov_b32 s1, 0
	s_mov_b32 s0, -1
	s_branch .LBB64_2036
.LBB64_2081:
	s_cbranch_execnz .LBB64_2085
; %bb.2082:
	s_or_b32 s9, s9, exec_lo
                                        ; implicit-def: $vgpr22
	s_cbranch_execz .LBB64_1548
	s_branch .LBB64_1549
.LBB64_2083:
	s_or_saveexec_b32 s4, s4
                                        ; implicit-def: $sgpr5
	s_delay_alu instid0(SALU_CYCLE_1)
	s_xor_b32 exec_lo, exec_lo, s4
	s_cbranch_execz .LBB64_1630
.LBB64_2084:
	v_add_f32_e64 v4, 0x46000000, |v0|
	s_and_not1_b32 s3, s3, exec_lo
	s_mov_b32 s5, 0
	s_delay_alu instid0(VALU_DEP_1) | instskip(NEXT) | instid1(VALU_DEP_1)
	v_and_b32_e32 v4, 0xff, v4
	v_cmp_ne_u32_e32 vcc_lo, 0, v4
	s_and_b32 s6, vcc_lo, exec_lo
	s_delay_alu instid0(SALU_CYCLE_1)
	s_or_b32 s3, s3, s6
	s_or_b32 exec_lo, exec_lo, s4
	v_mov_b32_e32 v5, s5
	s_and_saveexec_b32 s4, s3
	s_cbranch_execnz .LBB64_1631
	s_branch .LBB64_1632
.LBB64_2085:
	s_trap 2
	s_sendmsg_rtn_b32 s0, sendmsg(MSG_RTN_GET_DOORBELL)
	s_mov_b32 ttmp2, m0
	s_waitcnt lgkmcnt(0)
	s_and_b32 s0, s0, 0x3ff
	s_delay_alu instid0(SALU_CYCLE_1) | instskip(NEXT) | instid1(SALU_CYCLE_1)
	s_bitset1_b32 s0, 10
	s_mov_b32 m0, s0
	s_sendmsg sendmsg(MSG_INTERRUPT)
	s_mov_b32 m0, ttmp2
.LBB64_2086:                            ; =>This Inner Loop Header: Depth=1
	s_sethalt 5
	s_branch .LBB64_2086
.LBB64_2087:
	s_cbranch_execnz .LBB64_2093
; %bb.2088:
	s_or_b32 s9, s9, exec_lo
	s_cbranch_execz .LBB64_1678
	s_branch .LBB64_1679
.LBB64_2089:
	s_or_saveexec_b32 s3, s3
                                        ; implicit-def: $sgpr4
	s_delay_alu instid0(SALU_CYCLE_1)
	s_xor_b32 exec_lo, exec_lo, s3
	s_cbranch_execz .LBB64_1643
.LBB64_2090:
	v_add_f32_e64 v4, 0x42800000, |v0|
	s_and_not1_b32 s2, s2, exec_lo
	s_mov_b32 s4, 0
	s_delay_alu instid0(VALU_DEP_1) | instskip(NEXT) | instid1(VALU_DEP_1)
	v_and_b32_e32 v4, 0xff, v4
	v_cmp_ne_u32_e32 vcc_lo, 0, v4
	s_and_b32 s5, vcc_lo, exec_lo
	s_delay_alu instid0(SALU_CYCLE_1)
	s_or_b32 s2, s2, s5
	s_or_b32 exec_lo, exec_lo, s3
	v_mov_b32_e32 v5, s4
	s_and_saveexec_b32 s3, s2
	s_cbranch_execnz .LBB64_1644
	s_branch .LBB64_1645
.LBB64_2091:
	s_or_saveexec_b32 s4, s4
                                        ; implicit-def: $sgpr5
	s_delay_alu instid0(SALU_CYCLE_1)
	s_xor_b32 exec_lo, exec_lo, s4
	s_cbranch_execz .LBB64_1749
.LBB64_2092:
	v_add_f32_e64 v4, 0x46000000, |v0|
	s_and_not1_b32 s3, s3, exec_lo
	s_mov_b32 s5, 0
	s_delay_alu instid0(VALU_DEP_1) | instskip(NEXT) | instid1(VALU_DEP_1)
	v_and_b32_e32 v4, 0xff, v4
	v_cmp_ne_u32_e32 vcc_lo, 0, v4
	s_and_b32 s6, vcc_lo, exec_lo
	s_delay_alu instid0(SALU_CYCLE_1)
	s_or_b32 s3, s3, s6
	s_or_b32 exec_lo, exec_lo, s4
	v_mov_b32_e32 v5, s5
	s_and_saveexec_b32 s4, s3
	s_cbranch_execnz .LBB64_1750
	s_branch .LBB64_1751
.LBB64_2093:
	s_trap 2
	s_sendmsg_rtn_b32 s0, sendmsg(MSG_RTN_GET_DOORBELL)
	s_mov_b32 ttmp2, m0
	s_waitcnt lgkmcnt(0)
	s_and_b32 s0, s0, 0x3ff
	s_delay_alu instid0(SALU_CYCLE_1) | instskip(NEXT) | instid1(SALU_CYCLE_1)
	s_bitset1_b32 s0, 10
	s_mov_b32 m0, s0
	s_sendmsg sendmsg(MSG_INTERRUPT)
	s_mov_b32 m0, ttmp2
.LBB64_2094:                            ; =>This Inner Loop Header: Depth=1
	s_sethalt 5
	s_branch .LBB64_2094
.LBB64_2095:
	s_cbranch_execnz .LBB64_2101
; %bb.2096:
	s_or_b32 s9, s9, exec_lo
	s_cbranch_execz .LBB64_1797
	s_branch .LBB64_1798
.LBB64_2097:
	s_or_saveexec_b32 s3, s3
                                        ; implicit-def: $sgpr4
	s_delay_alu instid0(SALU_CYCLE_1)
	s_xor_b32 exec_lo, exec_lo, s3
	s_cbranch_execz .LBB64_1762
.LBB64_2098:
	v_add_f32_e64 v4, 0x42800000, |v0|
	s_and_not1_b32 s2, s2, exec_lo
	s_mov_b32 s4, 0
	s_delay_alu instid0(VALU_DEP_1) | instskip(NEXT) | instid1(VALU_DEP_1)
	v_and_b32_e32 v4, 0xff, v4
	v_cmp_ne_u32_e32 vcc_lo, 0, v4
	s_and_b32 s5, vcc_lo, exec_lo
	s_delay_alu instid0(SALU_CYCLE_1)
	s_or_b32 s2, s2, s5
	s_or_b32 exec_lo, exec_lo, s3
	v_mov_b32_e32 v5, s4
	s_and_saveexec_b32 s3, s2
	s_cbranch_execnz .LBB64_1763
	s_branch .LBB64_1764
.LBB64_2099:
	s_or_saveexec_b32 s4, s4
                                        ; implicit-def: $sgpr5
	s_delay_alu instid0(SALU_CYCLE_1)
	s_xor_b32 exec_lo, exec_lo, s4
	s_cbranch_execz .LBB64_1868
.LBB64_2100:
	v_add_f32_e64 v4, 0x46000000, |v0|
	s_and_not1_b32 s3, s3, exec_lo
	s_mov_b32 s5, 0
	s_delay_alu instid0(VALU_DEP_1) | instskip(NEXT) | instid1(VALU_DEP_1)
	v_and_b32_e32 v4, 0xff, v4
	v_cmp_ne_u32_e32 vcc_lo, 0, v4
	s_and_b32 s6, vcc_lo, exec_lo
	s_delay_alu instid0(SALU_CYCLE_1)
	s_or_b32 s3, s3, s6
	s_or_b32 exec_lo, exec_lo, s4
	v_mov_b32_e32 v5, s5
	s_and_saveexec_b32 s4, s3
	s_cbranch_execnz .LBB64_1869
	s_branch .LBB64_1870
.LBB64_2101:
	s_trap 2
	s_sendmsg_rtn_b32 s0, sendmsg(MSG_RTN_GET_DOORBELL)
	s_mov_b32 ttmp2, m0
	s_waitcnt lgkmcnt(0)
	s_and_b32 s0, s0, 0x3ff
	s_delay_alu instid0(SALU_CYCLE_1) | instskip(NEXT) | instid1(SALU_CYCLE_1)
	s_bitset1_b32 s0, 10
	s_mov_b32 m0, s0
	s_sendmsg sendmsg(MSG_INTERRUPT)
	s_mov_b32 m0, ttmp2
.LBB64_2102:                            ; =>This Inner Loop Header: Depth=1
	s_sethalt 5
	s_branch .LBB64_2102
.LBB64_2103:
	s_cbranch_execnz .LBB64_2109
; %bb.2104:
	s_or_b32 s9, s9, exec_lo
	s_cbranch_execz .LBB64_1916
	s_branch .LBB64_1917
.LBB64_2105:
	s_or_saveexec_b32 s3, s3
                                        ; implicit-def: $sgpr4
	s_delay_alu instid0(SALU_CYCLE_1)
	s_xor_b32 exec_lo, exec_lo, s3
	s_cbranch_execz .LBB64_1881
.LBB64_2106:
	v_add_f32_e64 v4, 0x42800000, |v0|
	s_and_not1_b32 s2, s2, exec_lo
	s_mov_b32 s4, 0
	s_delay_alu instid0(VALU_DEP_1) | instskip(NEXT) | instid1(VALU_DEP_1)
	v_and_b32_e32 v4, 0xff, v4
	v_cmp_ne_u32_e32 vcc_lo, 0, v4
	s_and_b32 s5, vcc_lo, exec_lo
	s_delay_alu instid0(SALU_CYCLE_1)
	s_or_b32 s2, s2, s5
	s_or_b32 exec_lo, exec_lo, s3
	v_mov_b32_e32 v5, s4
	s_and_saveexec_b32 s3, s2
	s_cbranch_execnz .LBB64_1882
	s_branch .LBB64_1883
.LBB64_2107:
	s_or_saveexec_b32 s4, s4
                                        ; implicit-def: $sgpr5
	s_delay_alu instid0(SALU_CYCLE_1)
	s_xor_b32 exec_lo, exec_lo, s4
	s_cbranch_execz .LBB64_1988
.LBB64_2108:
	v_add_f32_e64 v4, 0x46000000, |v0|
	s_and_not1_b32 s3, s3, exec_lo
	s_mov_b32 s5, 0
	s_delay_alu instid0(VALU_DEP_1) | instskip(NEXT) | instid1(VALU_DEP_1)
	v_and_b32_e32 v4, 0xff, v4
	v_cmp_ne_u32_e32 vcc_lo, 0, v4
	s_and_b32 s6, vcc_lo, exec_lo
	s_delay_alu instid0(SALU_CYCLE_1)
	s_or_b32 s3, s3, s6
	s_or_b32 exec_lo, exec_lo, s4
	v_mov_b32_e32 v5, s5
	s_and_saveexec_b32 s4, s3
	s_cbranch_execnz .LBB64_1989
	s_branch .LBB64_1990
.LBB64_2109:
	s_trap 2
	s_sendmsg_rtn_b32 s0, sendmsg(MSG_RTN_GET_DOORBELL)
	s_mov_b32 ttmp2, m0
	s_waitcnt lgkmcnt(0)
	s_and_b32 s0, s0, 0x3ff
	s_delay_alu instid0(SALU_CYCLE_1) | instskip(NEXT) | instid1(SALU_CYCLE_1)
	s_bitset1_b32 s0, 10
	s_mov_b32 m0, s0
	s_sendmsg sendmsg(MSG_INTERRUPT)
	s_mov_b32 m0, ttmp2
.LBB64_2110:                            ; =>This Inner Loop Header: Depth=1
	s_sethalt 5
	s_branch .LBB64_2110
.LBB64_2111:
	s_cbranch_execnz .LBB64_2115
; %bb.2112:
	s_mov_b32 s1, 0
	s_or_b32 s9, s9, exec_lo
	s_branch .LBB64_2034
.LBB64_2113:
	s_or_saveexec_b32 s3, s3
                                        ; implicit-def: $sgpr4
	s_delay_alu instid0(SALU_CYCLE_1)
	s_xor_b32 exec_lo, exec_lo, s3
	s_cbranch_execz .LBB64_2000
.LBB64_2114:
	v_add_f32_e64 v4, 0x42800000, |v0|
	s_and_not1_b32 s2, s2, exec_lo
	s_mov_b32 s4, 0
	s_delay_alu instid0(VALU_DEP_1) | instskip(NEXT) | instid1(VALU_DEP_1)
	v_and_b32_e32 v4, 0xff, v4
	v_cmp_ne_u32_e32 vcc_lo, 0, v4
	s_and_b32 s5, vcc_lo, exec_lo
	s_delay_alu instid0(SALU_CYCLE_1)
	s_or_b32 s2, s2, s5
	s_or_b32 exec_lo, exec_lo, s3
	v_mov_b32_e32 v5, s4
	s_and_saveexec_b32 s3, s2
	s_cbranch_execnz .LBB64_2001
	s_branch .LBB64_2002
.LBB64_2115:
	s_trap 2
	s_sendmsg_rtn_b32 s0, sendmsg(MSG_RTN_GET_DOORBELL)
	s_mov_b32 ttmp2, m0
	s_waitcnt lgkmcnt(0)
	s_and_b32 s0, s0, 0x3ff
	s_delay_alu instid0(SALU_CYCLE_1) | instskip(NEXT) | instid1(SALU_CYCLE_1)
	s_bitset1_b32 s0, 10
	s_mov_b32 m0, s0
	s_sendmsg sendmsg(MSG_INTERRUPT)
	s_mov_b32 m0, ttmp2
.LBB64_2116:                            ; =>This Inner Loop Header: Depth=1
	s_sethalt 5
	s_branch .LBB64_2116
	.section	.rodata,"a",@progbits
	.p2align	6, 0x0
	.amdhsa_kernel _ZN2at6native32elementwise_kernel_manual_unrollILi128ELi4EZNS0_15gpu_kernel_implIZZZNS0_15exp_kernel_cudaERNS_18TensorIteratorBaseEENKUlvE_clEvENKUlvE0_clEvEUlN3c107complexIfEEE_EEvS4_RKT_EUlibE_EEviT1_
		.amdhsa_group_segment_fixed_size 0
		.amdhsa_private_segment_fixed_size 0
		.amdhsa_kernarg_size 40
		.amdhsa_user_sgpr_count 15
		.amdhsa_user_sgpr_dispatch_ptr 0
		.amdhsa_user_sgpr_queue_ptr 0
		.amdhsa_user_sgpr_kernarg_segment_ptr 1
		.amdhsa_user_sgpr_dispatch_id 0
		.amdhsa_user_sgpr_private_segment_size 0
		.amdhsa_wavefront_size32 1
		.amdhsa_uses_dynamic_stack 0
		.amdhsa_enable_private_segment 0
		.amdhsa_system_sgpr_workgroup_id_x 1
		.amdhsa_system_sgpr_workgroup_id_y 0
		.amdhsa_system_sgpr_workgroup_id_z 0
		.amdhsa_system_sgpr_workgroup_info 0
		.amdhsa_system_vgpr_workitem_id 0
		.amdhsa_next_free_vgpr 27
		.amdhsa_next_free_sgpr 33
		.amdhsa_reserve_vcc 1
		.amdhsa_float_round_mode_32 0
		.amdhsa_float_round_mode_16_64 0
		.amdhsa_float_denorm_mode_32 3
		.amdhsa_float_denorm_mode_16_64 3
		.amdhsa_dx10_clamp 1
		.amdhsa_ieee_mode 1
		.amdhsa_fp16_overflow 0
		.amdhsa_workgroup_processor_mode 1
		.amdhsa_memory_ordered 1
		.amdhsa_forward_progress 0
		.amdhsa_shared_vgpr_count 0
		.amdhsa_exception_fp_ieee_invalid_op 0
		.amdhsa_exception_fp_denorm_src 0
		.amdhsa_exception_fp_ieee_div_zero 0
		.amdhsa_exception_fp_ieee_overflow 0
		.amdhsa_exception_fp_ieee_underflow 0
		.amdhsa_exception_fp_ieee_inexact 0
		.amdhsa_exception_int_div_zero 0
	.end_amdhsa_kernel
	.section	.text._ZN2at6native32elementwise_kernel_manual_unrollILi128ELi4EZNS0_15gpu_kernel_implIZZZNS0_15exp_kernel_cudaERNS_18TensorIteratorBaseEENKUlvE_clEvENKUlvE0_clEvEUlN3c107complexIfEEE_EEvS4_RKT_EUlibE_EEviT1_,"axG",@progbits,_ZN2at6native32elementwise_kernel_manual_unrollILi128ELi4EZNS0_15gpu_kernel_implIZZZNS0_15exp_kernel_cudaERNS_18TensorIteratorBaseEENKUlvE_clEvENKUlvE0_clEvEUlN3c107complexIfEEE_EEvS4_RKT_EUlibE_EEviT1_,comdat
.Lfunc_end64:
	.size	_ZN2at6native32elementwise_kernel_manual_unrollILi128ELi4EZNS0_15gpu_kernel_implIZZZNS0_15exp_kernel_cudaERNS_18TensorIteratorBaseEENKUlvE_clEvENKUlvE0_clEvEUlN3c107complexIfEEE_EEvS4_RKT_EUlibE_EEviT1_, .Lfunc_end64-_ZN2at6native32elementwise_kernel_manual_unrollILi128ELi4EZNS0_15gpu_kernel_implIZZZNS0_15exp_kernel_cudaERNS_18TensorIteratorBaseEENKUlvE_clEvENKUlvE0_clEvEUlN3c107complexIfEEE_EEvS4_RKT_EUlibE_EEviT1_
                                        ; -- End function
	.section	.AMDGPU.csdata,"",@progbits
; Kernel info:
; codeLenInByte = 36832
; NumSgprs: 35
; NumVgprs: 27
; ScratchSize: 0
; MemoryBound: 1
; FloatMode: 240
; IeeeMode: 1
; LDSByteSize: 0 bytes/workgroup (compile time only)
; SGPRBlocks: 4
; VGPRBlocks: 3
; NumSGPRsForWavesPerEU: 35
; NumVGPRsForWavesPerEU: 27
; Occupancy: 16
; WaveLimiterHint : 0
; COMPUTE_PGM_RSRC2:SCRATCH_EN: 0
; COMPUTE_PGM_RSRC2:USER_SGPR: 15
; COMPUTE_PGM_RSRC2:TRAP_HANDLER: 0
; COMPUTE_PGM_RSRC2:TGID_X_EN: 1
; COMPUTE_PGM_RSRC2:TGID_Y_EN: 0
; COMPUTE_PGM_RSRC2:TGID_Z_EN: 0
; COMPUTE_PGM_RSRC2:TIDIG_COMP_CNT: 0
	.section	.text._ZN2at6native32elementwise_kernel_manual_unrollILi128ELi4EZNS0_15gpu_kernel_implIZZZNS0_15exp_kernel_cudaERNS_18TensorIteratorBaseEENKUlvE_clEvENKUlvE0_clEvEUlN3c107complexIfEEE_EEvS4_RKT_EUlibE0_EEviT1_,"axG",@progbits,_ZN2at6native32elementwise_kernel_manual_unrollILi128ELi4EZNS0_15gpu_kernel_implIZZZNS0_15exp_kernel_cudaERNS_18TensorIteratorBaseEENKUlvE_clEvENKUlvE0_clEvEUlN3c107complexIfEEE_EEvS4_RKT_EUlibE0_EEviT1_,comdat
	.globl	_ZN2at6native32elementwise_kernel_manual_unrollILi128ELi4EZNS0_15gpu_kernel_implIZZZNS0_15exp_kernel_cudaERNS_18TensorIteratorBaseEENKUlvE_clEvENKUlvE0_clEvEUlN3c107complexIfEEE_EEvS4_RKT_EUlibE0_EEviT1_ ; -- Begin function _ZN2at6native32elementwise_kernel_manual_unrollILi128ELi4EZNS0_15gpu_kernel_implIZZZNS0_15exp_kernel_cudaERNS_18TensorIteratorBaseEENKUlvE_clEvENKUlvE0_clEvEUlN3c107complexIfEEE_EEvS4_RKT_EUlibE0_EEviT1_
	.p2align	8
	.type	_ZN2at6native32elementwise_kernel_manual_unrollILi128ELi4EZNS0_15gpu_kernel_implIZZZNS0_15exp_kernel_cudaERNS_18TensorIteratorBaseEENKUlvE_clEvENKUlvE0_clEvEUlN3c107complexIfEEE_EEvS4_RKT_EUlibE0_EEviT1_,@function
_ZN2at6native32elementwise_kernel_manual_unrollILi128ELi4EZNS0_15gpu_kernel_implIZZZNS0_15exp_kernel_cudaERNS_18TensorIteratorBaseEENKUlvE_clEvENKUlvE0_clEvEUlN3c107complexIfEEE_EEvS4_RKT_EUlibE0_EEviT1_: ; @_ZN2at6native32elementwise_kernel_manual_unrollILi128ELi4EZNS0_15gpu_kernel_implIZZZNS0_15exp_kernel_cudaERNS_18TensorIteratorBaseEENKUlvE_clEvENKUlvE0_clEvEUlN3c107complexIfEEE_EEvS4_RKT_EUlibE0_EEviT1_
; %bb.0:
	s_clause 0x1
	s_load_b32 s9, s[0:1], 0x8
	s_load_b32 s38, s[0:1], 0x0
	v_lshl_or_b32 v20, s15, 9, v0
	s_mov_b64 s[10:11], s[0:1]
	s_mov_b32 s1, -1
	s_or_b32 s24, s10, 8
	s_mov_b32 s34, 0
	v_or_b32_e32 v1, 0x180, v20
	s_mov_b32 s25, s11
	s_mov_b32 s16, 0
	;; [unrolled: 1-line block ×3, first 2 shown]
	s_mov_b32 s0, exec_lo
	s_waitcnt lgkmcnt(0)
	s_add_i32 s33, s9, -1
	s_delay_alu instid0(SALU_CYCLE_1)
	s_cmp_gt_u32 s33, 1
	s_cselect_b32 s35, -1, 0
	v_cmpx_le_i32_e64 s38, v1
	s_xor_b32 s36, exec_lo, s0
	s_cbranch_execz .LBB65_1096
; %bb.1:
	v_mov_b32_e32 v0, 0
	s_clause 0x3
	s_load_b128 s[20:23], s[24:25], 0x4
	s_load_b64 s[26:27], s[24:25], 0x14
	s_load_b128 s[16:19], s[24:25], 0xc4
	s_load_b128 s[12:15], s[24:25], 0x148
	s_cmp_lg_u32 s9, 0
	s_mov_b32 s44, 0
	s_cselect_b32 s40, -1, 0
	global_load_u16 v18, v0, s[24:25] offset:345
	s_add_u32 s28, s24, 0xc4
	s_addc_u32 s29, s25, 0
	s_min_u32 s39, s33, 15
	s_cmp_gt_u32 s9, 1
	s_mov_b32 s42, 0
	s_cselect_b32 s37, -1, 0
	s_mov_b32 s41, 0
	s_mov_b32 s43, exec_lo
	s_waitcnt vmcnt(0)
	v_lshrrev_b16 v19, 8, v18
	v_cmpx_gt_i32_e64 s38, v20
	s_cbranch_execz .LBB65_268
; %bb.2:
	s_and_not1_b32 vcc_lo, exec_lo, s35
	s_cbranch_vccnz .LBB65_7
; %bb.3:
	v_dual_mov_b32 v17, 0 :: v_dual_mov_b32 v0, 0
	s_and_not1_b32 vcc_lo, exec_lo, s40
	s_mov_b32 s4, 0
	s_cbranch_vccnz .LBB65_12
; %bb.4:
	v_mov_b32_e32 v17, 0
	s_add_i32 s6, s39, 1
	s_cmp_eq_u32 s33, 2
	s_mov_b32 s5, 0
	s_cbranch_scc1 .LBB65_8
; %bb.5:
	v_dual_mov_b32 v0, 0 :: v_dual_mov_b32 v17, 0
	v_mov_b32_e32 v1, v20
	s_and_b32 s5, s6, 28
	s_mov_b32 s7, 0
	s_mov_b64 s[0:1], s[28:29]
	s_mov_b64 s[2:3], s[24:25]
.LBB65_6:                               ; =>This Inner Loop Header: Depth=1
	s_clause 0x1
	s_load_b256 s[48:55], s[2:3], 0x4
	s_load_b128 s[64:67], s[2:3], 0x24
	s_load_b256 s[56:63], s[0:1], 0x0
	s_add_u32 s2, s2, 48
	s_addc_u32 s3, s3, 0
	s_add_i32 s7, s7, 4
	s_add_u32 s0, s0, 32
	s_addc_u32 s1, s1, 0
	s_cmp_lg_u32 s5, s7
	s_waitcnt lgkmcnt(0)
	v_mul_hi_u32 v2, s49, v1
	s_delay_alu instid0(VALU_DEP_1) | instskip(NEXT) | instid1(VALU_DEP_1)
	v_add_nc_u32_e32 v2, v1, v2
	v_lshrrev_b32_e32 v2, s50, v2
	s_delay_alu instid0(VALU_DEP_1) | instskip(SKIP_1) | instid1(VALU_DEP_2)
	v_mul_hi_u32 v3, s52, v2
	v_mul_lo_u32 v5, v2, s48
	v_add_nc_u32_e32 v3, v2, v3
	s_delay_alu instid0(VALU_DEP_2) | instskip(NEXT) | instid1(VALU_DEP_2)
	v_sub_nc_u32_e32 v1, v1, v5
	v_lshrrev_b32_e32 v3, s53, v3
	s_delay_alu instid0(VALU_DEP_2) | instskip(SKIP_1) | instid1(VALU_DEP_3)
	v_mul_lo_u32 v5, v1, s56
	v_mul_lo_u32 v7, v1, s57
	v_mul_hi_u32 v4, s55, v3
	s_delay_alu instid0(VALU_DEP_1) | instskip(NEXT) | instid1(VALU_DEP_1)
	v_add_nc_u32_e32 v4, v3, v4
	v_lshrrev_b32_e32 v4, s64, v4
	s_delay_alu instid0(VALU_DEP_1) | instskip(SKIP_1) | instid1(VALU_DEP_2)
	v_mul_hi_u32 v6, s66, v4
	v_mul_lo_u32 v8, v4, s54
	v_add_nc_u32_e32 v1, v4, v6
	v_mul_lo_u32 v6, v3, s51
	s_delay_alu instid0(VALU_DEP_3) | instskip(NEXT) | instid1(VALU_DEP_3)
	v_sub_nc_u32_e32 v3, v3, v8
	v_lshrrev_b32_e32 v1, s67, v1
	s_delay_alu instid0(VALU_DEP_2) | instskip(SKIP_2) | instid1(VALU_DEP_4)
	v_mul_lo_u32 v8, v3, s60
	v_mul_lo_u32 v3, v3, s61
	v_sub_nc_u32_e32 v2, v2, v6
	v_mul_lo_u32 v9, v1, s65
	s_delay_alu instid0(VALU_DEP_2) | instskip(SKIP_1) | instid1(VALU_DEP_3)
	v_mul_lo_u32 v6, v2, s58
	v_mul_lo_u32 v2, v2, s59
	v_sub_nc_u32_e32 v4, v4, v9
	s_delay_alu instid0(VALU_DEP_3) | instskip(NEXT) | instid1(VALU_DEP_2)
	v_add3_u32 v5, v5, v17, v6
	v_mul_lo_u32 v9, v4, s62
	v_mul_lo_u32 v4, v4, s63
	v_add3_u32 v0, v7, v0, v2
	s_delay_alu instid0(VALU_DEP_3) | instskip(NEXT) | instid1(VALU_DEP_2)
	v_add3_u32 v17, v8, v5, v9
	v_add3_u32 v0, v3, v0, v4
	s_cbranch_scc1 .LBB65_6
	s_branch .LBB65_9
.LBB65_7:
	s_mov_b32 s4, -1
                                        ; implicit-def: $vgpr17
                                        ; implicit-def: $vgpr0
	s_branch .LBB65_12
.LBB65_8:
	v_dual_mov_b32 v1, v20 :: v_dual_mov_b32 v0, 0
.LBB65_9:
	s_and_b32 s6, s6, 3
	s_delay_alu instid0(SALU_CYCLE_1)
	s_cmp_eq_u32 s6, 0
	s_cbranch_scc1 .LBB65_12
; %bb.10:
	s_lshl_b32 s0, s5, 3
	s_mul_i32 s2, s5, 12
	s_add_u32 s0, s0, s24
	s_addc_u32 s1, s25, 0
	s_add_u32 s0, s0, 0xc4
	s_addc_u32 s1, s1, 0
	;; [unrolled: 2-line block ×3, first 2 shown]
	.p2align	6
.LBB65_11:                              ; =>This Inner Loop Header: Depth=1
	s_clause 0x1
	s_load_b64 s[30:31], s[2:3], 0x4
	s_load_b32 s5, s[2:3], 0xc
	s_load_b64 s[46:47], s[0:1], 0x0
	s_add_u32 s2, s2, 12
	s_addc_u32 s3, s3, 0
	s_add_u32 s0, s0, 8
	s_addc_u32 s1, s1, 0
	s_add_i32 s6, s6, -1
	s_delay_alu instid0(SALU_CYCLE_1) | instskip(SKIP_2) | instid1(VALU_DEP_1)
	s_cmp_lg_u32 s6, 0
	s_waitcnt lgkmcnt(0)
	v_mul_hi_u32 v2, s31, v1
	v_add_nc_u32_e32 v2, v1, v2
	s_delay_alu instid0(VALU_DEP_1) | instskip(NEXT) | instid1(VALU_DEP_1)
	v_lshrrev_b32_e32 v5, s5, v2
	v_mul_lo_u32 v2, v5, s30
	s_delay_alu instid0(VALU_DEP_1) | instskip(NEXT) | instid1(VALU_DEP_1)
	v_sub_nc_u32_e32 v1, v1, v2
	v_mad_u64_u32 v[2:3], null, v1, s46, v[17:18]
	v_mad_u64_u32 v[3:4], null, v1, s47, v[0:1]
	v_mov_b32_e32 v1, v5
	s_delay_alu instid0(VALU_DEP_2)
	v_dual_mov_b32 v17, v2 :: v_dual_mov_b32 v0, v3
	s_cbranch_scc1 .LBB65_11
.LBB65_12:
	s_and_not1_b32 vcc_lo, exec_lo, s4
	s_cbranch_vccnz .LBB65_15
; %bb.13:
	s_waitcnt lgkmcnt(0)
	v_mul_hi_u32 v0, s21, v20
	s_and_not1_b32 vcc_lo, exec_lo, s37
	s_delay_alu instid0(VALU_DEP_1) | instskip(NEXT) | instid1(VALU_DEP_1)
	v_add_nc_u32_e32 v0, v20, v0
	v_lshrrev_b32_e32 v1, s22, v0
	s_delay_alu instid0(VALU_DEP_1) | instskip(NEXT) | instid1(VALU_DEP_1)
	v_mul_lo_u32 v0, v1, s20
	v_sub_nc_u32_e32 v0, v20, v0
	s_delay_alu instid0(VALU_DEP_1)
	v_mul_lo_u32 v17, v0, s16
	v_mul_lo_u32 v0, v0, s17
	s_cbranch_vccnz .LBB65_15
; %bb.14:
	v_mul_hi_u32 v2, s26, v1
	s_delay_alu instid0(VALU_DEP_1) | instskip(NEXT) | instid1(VALU_DEP_1)
	v_add_nc_u32_e32 v2, v1, v2
	v_lshrrev_b32_e32 v2, s27, v2
	s_delay_alu instid0(VALU_DEP_1) | instskip(NEXT) | instid1(VALU_DEP_1)
	v_mul_lo_u32 v2, v2, s23
	v_sub_nc_u32_e32 v4, v1, v2
	s_delay_alu instid0(VALU_DEP_1) | instskip(NEXT) | instid1(VALU_DEP_1)
	v_mad_u64_u32 v[1:2], null, v4, s18, v[17:18]
	v_mad_u64_u32 v[2:3], null, v4, s19, v[0:1]
	s_delay_alu instid0(VALU_DEP_1)
	v_dual_mov_b32 v17, v1 :: v_dual_mov_b32 v0, v2
.LBB65_15:
	v_cmp_gt_i16_e32 vcc_lo, 11, v19
	s_waitcnt lgkmcnt(0)
	s_delay_alu instid0(VALU_DEP_2) | instskip(NEXT) | instid1(VALU_DEP_1)
	v_add_co_u32 v2, s0, s14, v0
	v_add_co_ci_u32_e64 v3, null, s15, 0, s0
	s_mov_b32 s42, 0
	s_cbranch_vccnz .LBB65_22
; %bb.16:
	v_cmp_lt_i16_e32 vcc_lo, 25, v19
	s_cbranch_vccz .LBB65_141
; %bb.17:
	v_cmp_lt_i16_e32 vcc_lo, 28, v19
	s_cbranch_vccz .LBB65_142
	;; [unrolled: 3-line block ×4, first 2 shown]
; %bb.20:
	v_cmp_eq_u16_e32 vcc_lo, 46, v19
	s_mov_b32 s1, 0
	s_cbranch_vccz .LBB65_145
; %bb.21:
	global_load_b32 v0, v[2:3], off
	s_mov_b32 s0, -1
	s_waitcnt vmcnt(0)
	v_and_b32_e32 v1, 0xffff0000, v0
	v_lshlrev_b32_e32 v0, 16, v0
	s_branch .LBB65_147
.LBB65_22:
	s_mov_b32 s0, 0
                                        ; implicit-def: $vgpr1
	s_cbranch_execnz .LBB65_216
.LBB65_23:
	s_and_not1_b32 vcc_lo, exec_lo, s0
	s_cbranch_vccnz .LBB65_265
.LBB65_24:
	s_getpc_b64 s[0:1]
	s_add_u32 s0, s0, _ZN16c10_complex_math3expIfEEN3c107complexIT_EERKS4_@rel32@lo+4
	s_addc_u32 s1, s1, _ZN16c10_complex_math3expIfEEN3c107complexIT_EERKS4_@rel32@hi+12
	s_delay_alu instid0(SALU_CYCLE_1) | instskip(SKIP_2) | instid1(VALU_DEP_1)
	s_swappc_b64 s[30:31], s[0:1]
	v_and_b32_e32 v4, 0xff, v18
	v_add_co_u32 v2, s1, s12, v17
	v_add_co_ci_u32_e64 v3, null, s13, 0, s1
	s_delay_alu instid0(VALU_DEP_3)
	v_cmp_gt_i16_e32 vcc_lo, 11, v4
	s_mov_b32 s0, 0
	s_mov_b32 s2, -1
	s_mov_b32 s1, 0
	s_cbranch_vccnz .LBB65_101
; %bb.25:
	v_cmp_lt_i16_e32 vcc_lo, 25, v4
	s_cbranch_vccz .LBB65_58
; %bb.26:
	v_cmp_lt_i16_e32 vcc_lo, 28, v4
	s_cbranch_vccz .LBB65_41
	;; [unrolled: 3-line block ×4, first 2 shown]
; %bb.29:
	v_cmp_eq_u16_e32 vcc_lo, 46, v4
	s_mov_b32 s2, 0
	s_mov_b32 s0, -1
	s_cbranch_vccz .LBB65_31
; %bb.30:
	v_bfe_u32 v5, v1, 16, 1
	v_bfe_u32 v6, v0, 16, 1
	v_cmp_o_f32_e32 vcc_lo, v1, v1
	s_mov_b32 s1, -1
	s_mov_b32 s0, 0
	v_add3_u32 v5, v1, v5, 0x7fff
	v_add3_u32 v6, v0, v6, 0x7fff
	s_delay_alu instid0(VALU_DEP_2) | instskip(NEXT) | instid1(VALU_DEP_2)
	v_and_b32_e32 v5, 0xffff0000, v5
	v_lshrrev_b32_e32 v6, 16, v6
	s_delay_alu instid0(VALU_DEP_2) | instskip(SKIP_1) | instid1(VALU_DEP_3)
	v_cndmask_b32_e32 v5, 0x7fc00000, v5, vcc_lo
	v_cmp_o_f32_e32 vcc_lo, v0, v0
	v_cndmask_b32_e32 v6, 0x7fc0, v6, vcc_lo
	s_delay_alu instid0(VALU_DEP_1)
	v_or_b32_e32 v5, v5, v6
	global_store_b32 v[2:3], v5, off
.LBB65_31:
	s_and_b32 vcc_lo, exec_lo, s2
	s_cbranch_vccz .LBB65_36
; %bb.32:
	v_cmp_eq_u16_e32 vcc_lo, 44, v4
	s_mov_b32 s0, -1
	s_cbranch_vccz .LBB65_36
; %bb.33:
	v_bfe_u32 v6, v0, 23, 8
	v_mov_b32_e32 v5, 0xff
	s_mov_b32 s1, exec_lo
	s_delay_alu instid0(VALU_DEP_2)
	v_cmpx_ne_u32_e32 0xff, v6
; %bb.34:
	v_and_b32_e32 v5, 0x400000, v0
	v_and_or_b32 v6, 0x3fffff, v0, v6
	s_delay_alu instid0(VALU_DEP_2) | instskip(NEXT) | instid1(VALU_DEP_2)
	v_cmp_ne_u32_e32 vcc_lo, 0, v5
	v_cmp_ne_u32_e64 s0, 0, v6
	v_lshrrev_b32_e32 v5, 23, v0
	s_delay_alu instid0(VALU_DEP_2) | instskip(NEXT) | instid1(SALU_CYCLE_1)
	s_and_b32 s0, vcc_lo, s0
	v_cndmask_b32_e64 v6, 0, 1, s0
	s_delay_alu instid0(VALU_DEP_1)
	v_add_nc_u32_e32 v5, v5, v6
; %bb.35:
	s_or_b32 exec_lo, exec_lo, s1
	s_mov_b32 s1, -1
	s_mov_b32 s0, 0
	global_store_b8 v[2:3], v5, off
.LBB65_36:
	s_mov_b32 s2, 0
.LBB65_37:
	s_delay_alu instid0(SALU_CYCLE_1)
	s_and_b32 vcc_lo, exec_lo, s2
	s_cbranch_vccz .LBB65_40
; %bb.38:
	v_cmp_eq_u16_e32 vcc_lo, 29, v4
	s_mov_b32 s0, -1
	s_cbranch_vccz .LBB65_40
; %bb.39:
	v_trunc_f32_e32 v5, v0
	s_mov_b32 s1, -1
	s_mov_b32 s0, 0
	s_delay_alu instid0(VALU_DEP_1) | instskip(NEXT) | instid1(VALU_DEP_1)
	v_mul_f32_e32 v6, 0x2f800000, v5
	v_floor_f32_e32 v6, v6
	s_delay_alu instid0(VALU_DEP_1) | instskip(SKIP_1) | instid1(VALU_DEP_2)
	v_fmamk_f32 v5, v6, 0xcf800000, v5
	v_cvt_u32_f32_e32 v6, v6
	v_cvt_u32_f32_e32 v5, v5
	global_store_b64 v[2:3], v[5:6], off
.LBB65_40:
	s_mov_b32 s2, 0
.LBB65_41:
	s_delay_alu instid0(SALU_CYCLE_1)
	s_and_b32 vcc_lo, exec_lo, s2
	s_cbranch_vccz .LBB65_57
; %bb.42:
	v_cmp_gt_i16_e32 vcc_lo, 27, v4
	s_mov_b32 s1, -1
	s_cbranch_vccnz .LBB65_48
; %bb.43:
	v_cmp_lt_i16_e32 vcc_lo, 27, v4
	s_cbranch_vccz .LBB65_45
; %bb.44:
	v_cvt_u32_f32_e32 v5, v0
	s_mov_b32 s1, 0
	global_store_b32 v[2:3], v5, off
.LBB65_45:
	s_and_not1_b32 vcc_lo, exec_lo, s1
	s_cbranch_vccnz .LBB65_47
; %bb.46:
	v_cvt_u32_f32_e32 v5, v0
	global_store_b16 v[2:3], v5, off
.LBB65_47:
	s_mov_b32 s1, 0
.LBB65_48:
	s_delay_alu instid0(SALU_CYCLE_1)
	s_and_not1_b32 vcc_lo, exec_lo, s1
	s_cbranch_vccnz .LBB65_56
; %bb.49:
	v_and_b32_e32 v5, 0x7fffffff, v0
	v_mov_b32_e32 v6, 0x80
	s_mov_b32 s1, exec_lo
	s_delay_alu instid0(VALU_DEP_2)
	v_cmpx_gt_u32_e32 0x43800000, v5
	s_cbranch_execz .LBB65_55
; %bb.50:
	v_cmp_lt_u32_e32 vcc_lo, 0x3bffffff, v5
	s_mov_b32 s2, 0
                                        ; implicit-def: $vgpr5
	s_and_saveexec_b32 s3, vcc_lo
	s_delay_alu instid0(SALU_CYCLE_1)
	s_xor_b32 s3, exec_lo, s3
	s_cbranch_execz .LBB65_150
; %bb.51:
	v_bfe_u32 v5, v0, 20, 1
	s_mov_b32 s2, exec_lo
	s_delay_alu instid0(VALU_DEP_1) | instskip(NEXT) | instid1(VALU_DEP_1)
	v_add3_u32 v5, v0, v5, 0x487ffff
	v_lshrrev_b32_e32 v5, 20, v5
	s_or_saveexec_b32 s3, s3
                                        ; implicit-def: $sgpr4
	s_delay_alu instid0(SALU_CYCLE_1)
	s_xor_b32 exec_lo, exec_lo, s3
	s_cbranch_execnz .LBB65_151
.LBB65_52:
	s_or_b32 exec_lo, exec_lo, s3
	v_mov_b32_e32 v6, s4
	s_and_saveexec_b32 s3, s2
.LBB65_53:
	v_lshrrev_b32_e32 v6, 24, v0
	s_delay_alu instid0(VALU_DEP_1)
	v_and_or_b32 v6, 0x80, v6, v5
.LBB65_54:
	s_or_b32 exec_lo, exec_lo, s3
.LBB65_55:
	s_delay_alu instid0(SALU_CYCLE_1)
	s_or_b32 exec_lo, exec_lo, s1
	global_store_b8 v[2:3], v6, off
.LBB65_56:
	s_mov_b32 s1, -1
.LBB65_57:
	s_mov_b32 s2, 0
.LBB65_58:
	s_delay_alu instid0(SALU_CYCLE_1)
	s_and_b32 vcc_lo, exec_lo, s2
	s_cbranch_vccz .LBB65_99
; %bb.59:
	v_cmp_lt_i16_e32 vcc_lo, 22, v4
	s_mov_b32 s2, -1
	s_cbranch_vccz .LBB65_91
; %bb.60:
	v_cmp_gt_i16_e32 vcc_lo, 24, v4
	s_mov_b32 s1, -1
	s_cbranch_vccnz .LBB65_80
; %bb.61:
	v_cmp_lt_i16_e32 vcc_lo, 24, v4
	s_cbranch_vccz .LBB65_69
; %bb.62:
	v_and_b32_e32 v5, 0x7fffffff, v0
	v_mov_b32_e32 v6, 0x80
	s_mov_b32 s1, exec_lo
	s_delay_alu instid0(VALU_DEP_2)
	v_cmpx_gt_u32_e32 0x47800000, v5
	s_cbranch_execz .LBB65_68
; %bb.63:
	v_cmp_lt_u32_e32 vcc_lo, 0x37ffffff, v5
	s_mov_b32 s2, 0
                                        ; implicit-def: $vgpr5
	s_and_saveexec_b32 s3, vcc_lo
	s_delay_alu instid0(SALU_CYCLE_1)
	s_xor_b32 s3, exec_lo, s3
	s_cbranch_execz .LBB65_346
; %bb.64:
	v_bfe_u32 v5, v0, 21, 1
	s_mov_b32 s2, exec_lo
	s_delay_alu instid0(VALU_DEP_1) | instskip(NEXT) | instid1(VALU_DEP_1)
	v_add3_u32 v5, v0, v5, 0x88fffff
	v_lshrrev_b32_e32 v5, 21, v5
	s_or_saveexec_b32 s3, s3
                                        ; implicit-def: $sgpr4
	s_delay_alu instid0(SALU_CYCLE_1)
	s_xor_b32 exec_lo, exec_lo, s3
	s_cbranch_execnz .LBB65_347
.LBB65_65:
	s_or_b32 exec_lo, exec_lo, s3
	v_mov_b32_e32 v6, s4
	s_and_saveexec_b32 s3, s2
.LBB65_66:
	v_lshrrev_b32_e32 v6, 24, v0
	s_delay_alu instid0(VALU_DEP_1)
	v_and_or_b32 v6, 0x80, v6, v5
.LBB65_67:
	s_or_b32 exec_lo, exec_lo, s3
.LBB65_68:
	s_delay_alu instid0(SALU_CYCLE_1)
	s_or_b32 exec_lo, exec_lo, s1
	s_mov_b32 s1, 0
	global_store_b8 v[2:3], v6, off
.LBB65_69:
	s_and_b32 vcc_lo, exec_lo, s1
	s_cbranch_vccz .LBB65_79
; %bb.70:
	v_and_b32_e32 v6, 0x7fffffff, v0
	s_mov_b32 s1, exec_lo
                                        ; implicit-def: $vgpr5
	s_delay_alu instid0(VALU_DEP_1)
	v_cmpx_gt_u32_e32 0x43f00000, v6
	s_xor_b32 s1, exec_lo, s1
	s_cbranch_execz .LBB65_76
; %bb.71:
	s_mov_b32 s2, exec_lo
                                        ; implicit-def: $vgpr5
	v_cmpx_lt_u32_e32 0x3c7fffff, v6
	s_xor_b32 s2, exec_lo, s2
; %bb.72:
	v_bfe_u32 v5, v0, 20, 1
	s_delay_alu instid0(VALU_DEP_1) | instskip(NEXT) | instid1(VALU_DEP_1)
	v_add3_u32 v5, v0, v5, 0x407ffff
	v_and_b32_e32 v6, 0xff00000, v5
	v_lshrrev_b32_e32 v5, 20, v5
	s_delay_alu instid0(VALU_DEP_2) | instskip(NEXT) | instid1(VALU_DEP_2)
	v_cmp_ne_u32_e32 vcc_lo, 0x7f00000, v6
	v_cndmask_b32_e32 v5, 0x7e, v5, vcc_lo
; %bb.73:
	s_and_not1_saveexec_b32 s2, s2
; %bb.74:
	v_add_f32_e64 v5, 0x46800000, |v0|
; %bb.75:
	s_or_b32 exec_lo, exec_lo, s2
                                        ; implicit-def: $vgpr6
.LBB65_76:
	s_and_not1_saveexec_b32 s1, s1
; %bb.77:
	v_mov_b32_e32 v5, 0x7f
	v_cmp_lt_u32_e32 vcc_lo, 0x7f800000, v6
	s_delay_alu instid0(VALU_DEP_2)
	v_cndmask_b32_e32 v5, 0x7e, v5, vcc_lo
; %bb.78:
	s_or_b32 exec_lo, exec_lo, s1
	v_lshrrev_b32_e32 v6, 24, v0
	s_delay_alu instid0(VALU_DEP_1)
	v_and_or_b32 v5, 0x80, v6, v5
	global_store_b8 v[2:3], v5, off
.LBB65_79:
	s_mov_b32 s1, 0
.LBB65_80:
	s_delay_alu instid0(SALU_CYCLE_1)
	s_and_not1_b32 vcc_lo, exec_lo, s1
	s_cbranch_vccnz .LBB65_90
; %bb.81:
	v_and_b32_e32 v6, 0x7fffffff, v0
	s_mov_b32 s1, exec_lo
                                        ; implicit-def: $vgpr5
	s_delay_alu instid0(VALU_DEP_1)
	v_cmpx_gt_u32_e32 0x47800000, v6
	s_xor_b32 s1, exec_lo, s1
	s_cbranch_execz .LBB65_87
; %bb.82:
	s_mov_b32 s2, exec_lo
                                        ; implicit-def: $vgpr5
	v_cmpx_lt_u32_e32 0x387fffff, v6
	s_xor_b32 s2, exec_lo, s2
; %bb.83:
	v_bfe_u32 v5, v0, 21, 1
	s_delay_alu instid0(VALU_DEP_1) | instskip(NEXT) | instid1(VALU_DEP_1)
	v_add3_u32 v5, v0, v5, 0x80fffff
	v_lshrrev_b32_e32 v5, 21, v5
; %bb.84:
	s_and_not1_saveexec_b32 s2, s2
; %bb.85:
	v_add_f32_e64 v5, 0x43000000, |v0|
; %bb.86:
	s_or_b32 exec_lo, exec_lo, s2
                                        ; implicit-def: $vgpr6
.LBB65_87:
	s_and_not1_saveexec_b32 s1, s1
; %bb.88:
	v_mov_b32_e32 v5, 0x7f
	v_cmp_lt_u32_e32 vcc_lo, 0x7f800000, v6
	s_delay_alu instid0(VALU_DEP_2)
	v_cndmask_b32_e32 v5, 0x7c, v5, vcc_lo
; %bb.89:
	s_or_b32 exec_lo, exec_lo, s1
	v_lshrrev_b32_e32 v6, 24, v0
	s_delay_alu instid0(VALU_DEP_1)
	v_and_or_b32 v5, 0x80, v6, v5
	global_store_b8 v[2:3], v5, off
.LBB65_90:
	s_mov_b32 s2, 0
	s_mov_b32 s1, -1
.LBB65_91:
	s_and_not1_b32 vcc_lo, exec_lo, s2
	s_cbranch_vccnz .LBB65_99
; %bb.92:
	v_cmp_lt_i16_e32 vcc_lo, 14, v4
	s_mov_b32 s2, -1
	s_cbranch_vccz .LBB65_96
; %bb.93:
	v_cmp_eq_u16_e32 vcc_lo, 15, v4
	s_mov_b32 s0, -1
	s_cbranch_vccz .LBB65_95
; %bb.94:
	v_bfe_u32 v5, v0, 16, 1
	v_cmp_o_f32_e32 vcc_lo, v0, v0
	s_mov_b32 s1, -1
	s_mov_b32 s0, 0
	s_delay_alu instid0(VALU_DEP_2) | instskip(NEXT) | instid1(VALU_DEP_1)
	v_add3_u32 v5, v0, v5, 0x7fff
	v_lshrrev_b32_e32 v5, 16, v5
	s_delay_alu instid0(VALU_DEP_1)
	v_cndmask_b32_e32 v5, 0x7fc0, v5, vcc_lo
	global_store_b16 v[2:3], v5, off
.LBB65_95:
	s_mov_b32 s2, 0
.LBB65_96:
	s_delay_alu instid0(SALU_CYCLE_1)
	s_and_b32 vcc_lo, exec_lo, s2
	s_cbranch_vccz .LBB65_99
; %bb.97:
	v_cmp_eq_u16_e32 vcc_lo, 11, v4
	s_mov_b32 s0, -1
	s_cbranch_vccz .LBB65_99
; %bb.98:
	v_or_b32_e32 v5, v0, v1
	s_mov_b32 s0, 0
	s_mov_b32 s1, -1
	s_delay_alu instid0(VALU_DEP_1) | instskip(NEXT) | instid1(VALU_DEP_1)
	v_and_b32_e32 v5, 0x7fffffff, v5
	v_cmp_ne_u32_e32 vcc_lo, 0, v5
	v_cndmask_b32_e64 v5, 0, 1, vcc_lo
	global_store_b8 v[2:3], v5, off
.LBB65_99:
.LBB65_100:
	s_and_not1_b32 vcc_lo, exec_lo, s1
	s_cbranch_vccz .LBB65_140
	s_branch .LBB65_266
.LBB65_101:
	s_and_b32 vcc_lo, exec_lo, s2
	s_cbranch_vccz .LBB65_100
; %bb.102:
	v_cmp_gt_i16_e32 vcc_lo, 5, v4
	s_mov_b32 s1, -1
	s_cbranch_vccnz .LBB65_123
; %bb.103:
	v_cmp_gt_i16_e32 vcc_lo, 8, v4
	s_cbranch_vccnz .LBB65_113
; %bb.104:
	v_cmp_gt_i16_e32 vcc_lo, 9, v4
	s_cbranch_vccnz .LBB65_110
; %bb.105:
	v_cmp_lt_i16_e32 vcc_lo, 9, v4
	s_cbranch_vccz .LBB65_107
; %bb.106:
	v_cvt_f64_f32_e32 v[5:6], v0
	v_cvt_f64_f32_e32 v[7:8], v1
	s_mov_b32 s1, 0
	global_store_b128 v[2:3], v[5:8], off
.LBB65_107:
	s_and_not1_b32 vcc_lo, exec_lo, s1
	s_cbranch_vccnz .LBB65_109
; %bb.108:
	global_store_b64 v[2:3], v[0:1], off
.LBB65_109:
	s_mov_b32 s1, 0
.LBB65_110:
	s_delay_alu instid0(SALU_CYCLE_1)
	s_and_not1_b32 vcc_lo, exec_lo, s1
	s_cbranch_vccnz .LBB65_112
; %bb.111:
	v_cvt_f16_f32_e32 v1, v1
	v_cvt_f16_f32_e32 v5, v0
	s_delay_alu instid0(VALU_DEP_2) | instskip(NEXT) | instid1(VALU_DEP_2)
	v_lshlrev_b32_e32 v1, 16, v1
	v_and_b32_e32 v5, 0xffff, v5
	s_delay_alu instid0(VALU_DEP_1)
	v_or_b32_e32 v1, v1, v5
	global_store_b32 v[2:3], v1, off
.LBB65_112:
	s_mov_b32 s1, 0
.LBB65_113:
	s_delay_alu instid0(SALU_CYCLE_1)
	s_and_not1_b32 vcc_lo, exec_lo, s1
	s_cbranch_vccnz .LBB65_122
; %bb.114:
	v_cmp_gt_i16_e32 vcc_lo, 6, v4
	s_mov_b32 s1, -1
	s_cbranch_vccnz .LBB65_120
; %bb.115:
	v_cmp_lt_i16_e32 vcc_lo, 6, v4
	s_cbranch_vccz .LBB65_117
; %bb.116:
	v_cvt_f64_f32_e32 v[5:6], v0
	s_mov_b32 s1, 0
	global_store_b64 v[2:3], v[5:6], off
.LBB65_117:
	s_and_not1_b32 vcc_lo, exec_lo, s1
	s_cbranch_vccnz .LBB65_119
; %bb.118:
	global_store_b32 v[2:3], v0, off
.LBB65_119:
	s_mov_b32 s1, 0
.LBB65_120:
	s_delay_alu instid0(SALU_CYCLE_1)
	s_and_not1_b32 vcc_lo, exec_lo, s1
	s_cbranch_vccnz .LBB65_122
; %bb.121:
	v_cvt_f16_f32_e32 v1, v0
	global_store_b16 v[2:3], v1, off
.LBB65_122:
	s_mov_b32 s1, 0
.LBB65_123:
	s_delay_alu instid0(SALU_CYCLE_1)
	s_and_not1_b32 vcc_lo, exec_lo, s1
	s_cbranch_vccnz .LBB65_139
; %bb.124:
	v_cmp_gt_i16_e32 vcc_lo, 2, v4
	s_mov_b32 s1, -1
	s_cbranch_vccnz .LBB65_134
; %bb.125:
	v_cmp_gt_i16_e32 vcc_lo, 3, v4
	s_cbranch_vccnz .LBB65_131
; %bb.126:
	v_cmp_lt_i16_e32 vcc_lo, 3, v4
	s_cbranch_vccz .LBB65_128
; %bb.127:
	v_trunc_f32_e32 v1, v0
	s_mov_b32 s1, 0
	s_delay_alu instid0(VALU_DEP_1) | instskip(NEXT) | instid1(VALU_DEP_1)
	v_mul_f32_e64 v5, 0x2f800000, |v1|
	v_floor_f32_e32 v5, v5
	s_delay_alu instid0(VALU_DEP_1) | instskip(SKIP_2) | instid1(VALU_DEP_3)
	v_fma_f32 v6, 0xcf800000, v5, |v1|
	v_ashrrev_i32_e32 v1, 31, v1
	v_cvt_u32_f32_e32 v5, v5
	v_cvt_u32_f32_e32 v6, v6
	s_delay_alu instid0(VALU_DEP_2) | instskip(NEXT) | instid1(VALU_DEP_2)
	v_xor_b32_e32 v7, v5, v1
	v_xor_b32_e32 v6, v6, v1
	s_delay_alu instid0(VALU_DEP_1) | instskip(NEXT) | instid1(VALU_DEP_3)
	v_sub_co_u32 v5, vcc_lo, v6, v1
	v_sub_co_ci_u32_e32 v6, vcc_lo, v7, v1, vcc_lo
	global_store_b64 v[2:3], v[5:6], off
.LBB65_128:
	s_and_not1_b32 vcc_lo, exec_lo, s1
	s_cbranch_vccnz .LBB65_130
; %bb.129:
	v_cvt_i32_f32_e32 v1, v0
	global_store_b32 v[2:3], v1, off
.LBB65_130:
	s_mov_b32 s1, 0
.LBB65_131:
	s_delay_alu instid0(SALU_CYCLE_1)
	s_and_not1_b32 vcc_lo, exec_lo, s1
	s_cbranch_vccnz .LBB65_133
; %bb.132:
	v_cvt_i32_f32_e32 v1, v0
	global_store_b16 v[2:3], v1, off
.LBB65_133:
	s_mov_b32 s1, 0
.LBB65_134:
	s_delay_alu instid0(SALU_CYCLE_1)
	s_and_not1_b32 vcc_lo, exec_lo, s1
	s_cbranch_vccnz .LBB65_139
; %bb.135:
	v_cmp_lt_i16_e32 vcc_lo, 0, v4
	s_mov_b32 s1, -1
	s_cbranch_vccz .LBB65_137
; %bb.136:
	v_cvt_i32_f32_e32 v1, v0
	s_mov_b32 s1, 0
	global_store_b8 v[2:3], v1, off
.LBB65_137:
	s_and_not1_b32 vcc_lo, exec_lo, s1
	s_cbranch_vccnz .LBB65_139
; %bb.138:
	v_trunc_f32_e32 v0, v0
	s_delay_alu instid0(VALU_DEP_1) | instskip(NEXT) | instid1(VALU_DEP_1)
	v_mul_f32_e64 v1, 0x2f800000, |v0|
	v_floor_f32_e32 v1, v1
	s_delay_alu instid0(VALU_DEP_1) | instskip(SKIP_1) | instid1(VALU_DEP_2)
	v_fma_f32 v1, 0xcf800000, v1, |v0|
	v_ashrrev_i32_e32 v0, 31, v0
	v_cvt_u32_f32_e32 v1, v1
	s_delay_alu instid0(VALU_DEP_1) | instskip(NEXT) | instid1(VALU_DEP_1)
	v_xor_b32_e32 v1, v1, v0
	v_sub_nc_u32_e32 v0, v1, v0
	global_store_b8 v[2:3], v0, off
.LBB65_139:
.LBB65_140:
	v_add_nc_u32_e32 v20, 0x80, v20
	s_mov_b32 s1, -1
	s_branch .LBB65_267
.LBB65_141:
	s_mov_b32 s0, 0
                                        ; implicit-def: $vgpr1
	s_cbranch_execnz .LBB65_182
	s_branch .LBB65_215
.LBB65_142:
	s_mov_b32 s1, -1
	s_mov_b32 s0, 0
                                        ; implicit-def: $vgpr1
	s_branch .LBB65_161
.LBB65_143:
	s_mov_b32 s1, -1
	s_mov_b32 s0, 0
                                        ; implicit-def: $vgpr1
	s_branch .LBB65_155
.LBB65_144:
	s_mov_b32 s1, -1
	s_branch .LBB65_146
.LBB65_145:
	s_mov_b32 s42, -1
.LBB65_146:
	s_mov_b32 s0, 0
                                        ; implicit-def: $vgpr1
.LBB65_147:
	s_and_b32 vcc_lo, exec_lo, s1
	s_cbranch_vccz .LBB65_154
; %bb.148:
	v_cmp_eq_u16_e32 vcc_lo, 44, v19
	s_cbranch_vccz .LBB65_152
; %bb.149:
	global_load_u8 v0, v[2:3], off
	s_mov_b32 s42, 0
	s_mov_b32 s0, -1
	s_waitcnt vmcnt(0)
	v_lshlrev_b32_e32 v1, 23, v0
	v_cmp_ne_u32_e32 vcc_lo, 0xff, v0
	s_delay_alu instid0(VALU_DEP_2) | instskip(SKIP_1) | instid1(VALU_DEP_2)
	v_cndmask_b32_e32 v1, 0x7f800001, v1, vcc_lo
	v_cmp_ne_u32_e32 vcc_lo, 0, v0
	v_cndmask_b32_e32 v0, 0x400000, v1, vcc_lo
	s_branch .LBB65_153
.LBB65_150:
	s_or_saveexec_b32 s3, s3
                                        ; implicit-def: $sgpr4
	s_delay_alu instid0(SALU_CYCLE_1)
	s_xor_b32 exec_lo, exec_lo, s3
	s_cbranch_execz .LBB65_52
.LBB65_151:
	v_add_f32_e64 v5, 0x46000000, |v0|
	s_and_not1_b32 s2, s2, exec_lo
	s_mov_b32 s4, 0
	s_delay_alu instid0(VALU_DEP_1) | instskip(NEXT) | instid1(VALU_DEP_1)
	v_and_b32_e32 v5, 0xff, v5
	v_cmp_ne_u32_e32 vcc_lo, 0, v5
	s_and_b32 s5, vcc_lo, exec_lo
	s_delay_alu instid0(SALU_CYCLE_1)
	s_or_b32 s2, s2, s5
	s_or_b32 exec_lo, exec_lo, s3
	v_mov_b32_e32 v6, s4
	s_and_saveexec_b32 s3, s2
	s_cbranch_execnz .LBB65_53
	s_branch .LBB65_54
.LBB65_152:
	s_mov_b32 s42, -1
                                        ; implicit-def: $vgpr0
.LBB65_153:
	s_delay_alu instid0(SALU_CYCLE_1)
	v_mov_b32_e32 v1, s42
.LBB65_154:
	s_mov_b32 s1, 0
.LBB65_155:
	s_delay_alu instid0(SALU_CYCLE_1)
	s_and_b32 vcc_lo, exec_lo, s1
	s_cbranch_vccz .LBB65_160
; %bb.156:
	v_cmp_eq_u16_e32 vcc_lo, 29, v19
	s_cbranch_vccz .LBB65_158
; %bb.157:
	global_load_b64 v[0:1], v[2:3], off
	s_mov_b32 s0, -1
	s_mov_b32 s42, 0
	s_mov_b32 s1, 0
	s_waitcnt vmcnt(0)
	v_clz_i32_u32_e32 v4, v1
	s_delay_alu instid0(VALU_DEP_1) | instskip(NEXT) | instid1(VALU_DEP_1)
	v_min_u32_e32 v4, 32, v4
	v_lshlrev_b64 v[0:1], v4, v[0:1]
	s_delay_alu instid0(VALU_DEP_1) | instskip(NEXT) | instid1(VALU_DEP_1)
	v_min_u32_e32 v0, 1, v0
	v_or_b32_e32 v0, v1, v0
	v_sub_nc_u32_e32 v1, 32, v4
	s_delay_alu instid0(VALU_DEP_2) | instskip(NEXT) | instid1(VALU_DEP_1)
	v_cvt_f32_u32_e32 v0, v0
	v_ldexp_f32 v0, v0, v1
	s_branch .LBB65_159
.LBB65_158:
	s_mov_b32 s42, -1
                                        ; implicit-def: $sgpr1
                                        ; implicit-def: $vgpr0
.LBB65_159:
	v_mov_b32_e32 v1, s1
.LBB65_160:
	s_mov_b32 s1, 0
.LBB65_161:
	s_delay_alu instid0(SALU_CYCLE_1)
	s_and_b32 vcc_lo, exec_lo, s1
	s_cbranch_vccz .LBB65_181
; %bb.162:
	v_cmp_gt_i16_e32 vcc_lo, 27, v19
	s_cbranch_vccnz .LBB65_165
; %bb.163:
	v_cmp_lt_i16_e32 vcc_lo, 27, v19
	s_cbranch_vccz .LBB65_166
; %bb.164:
	global_load_b32 v0, v[2:3], off
	s_mov_b32 s1, 0
	s_mov_b32 s0, 0
	s_waitcnt vmcnt(0)
	v_cvt_f32_u32_e32 v0, v0
	s_branch .LBB65_167
.LBB65_165:
	s_mov_b32 s1, -1
                                        ; implicit-def: $sgpr0
                                        ; implicit-def: $vgpr0
	s_branch .LBB65_170
.LBB65_166:
	s_mov_b32 s1, -1
                                        ; implicit-def: $sgpr0
                                        ; implicit-def: $vgpr0
.LBB65_167:
	s_delay_alu instid0(SALU_CYCLE_1)
	s_and_not1_b32 vcc_lo, exec_lo, s1
	s_cbranch_vccnz .LBB65_169
; %bb.168:
	global_load_u16 v0, v[2:3], off
	s_mov_b32 s0, 0
	s_waitcnt vmcnt(0)
	v_cvt_f32_u32_e32 v0, v0
.LBB65_169:
	s_mov_b32 s1, 0
.LBB65_170:
	v_mov_b32_e32 v1, s0
	s_and_not1_b32 vcc_lo, exec_lo, s1
	s_cbranch_vccnz .LBB65_180
; %bb.171:
	global_load_u8 v4, v[2:3], off
	s_mov_b32 s0, 0
	s_mov_b32 s3, exec_lo
                                        ; implicit-def: $sgpr2
                                        ; implicit-def: $sgpr1
	s_waitcnt vmcnt(0)
	v_cmpx_lt_i16_e32 0x7f, v4
	s_xor_b32 s3, exec_lo, s3
	s_cbranch_execz .LBB65_175
; %bb.172:
	s_mov_b32 s0, -1
	s_mov_b32 s4, exec_lo
                                        ; implicit-def: $sgpr2
                                        ; implicit-def: $sgpr1
	v_cmpx_eq_u16_e32 0x80, v4
; %bb.173:
	s_mov_b32 s1, 0x7f800001
	s_mov_b32 s2, 0
	s_xor_b32 s0, exec_lo, -1
; %bb.174:
	s_or_b32 exec_lo, exec_lo, s4
	s_delay_alu instid0(SALU_CYCLE_1)
	s_and_b32 s0, s0, exec_lo
.LBB65_175:
	s_or_saveexec_b32 s3, s3
	v_dual_mov_b32 v1, s2 :: v_dual_mov_b32 v0, s1
	s_xor_b32 exec_lo, exec_lo, s3
; %bb.176:
	v_mov_b32_e32 v1, 0
	v_cmp_ne_u16_e32 vcc_lo, 0, v4
	s_and_not1_b32 s0, s0, exec_lo
	s_delay_alu instid0(VALU_DEP_2) | instskip(SKIP_1) | instid1(SALU_CYCLE_1)
	v_mov_b32_e32 v0, v1
	s_and_b32 s1, vcc_lo, exec_lo
	s_or_b32 s0, s0, s1
; %bb.177:
	s_or_b32 exec_lo, exec_lo, s3
	s_and_saveexec_b32 s1, s0
	s_cbranch_execz .LBB65_179
; %bb.178:
	v_and_b32_e32 v0, 0xffff, v4
	v_lshlrev_b32_e32 v4, 24, v4
	s_delay_alu instid0(VALU_DEP_2) | instskip(NEXT) | instid1(VALU_DEP_2)
	v_and_b32_e32 v1, 7, v0
	v_and_b32_e32 v4, 0x80000000, v4
	s_delay_alu instid0(VALU_DEP_2) | instskip(NEXT) | instid1(VALU_DEP_1)
	v_clz_i32_u32_e32 v5, v1
	v_min_u32_e32 v5, 32, v5
	s_delay_alu instid0(VALU_DEP_1) | instskip(SKIP_1) | instid1(VALU_DEP_2)
	v_subrev_nc_u32_e32 v6, 28, v5
	v_sub_nc_u32_e32 v5, 29, v5
	v_lshlrev_b32_e32 v6, v6, v0
	v_bfe_u32 v0, v0, 3, 4
	s_delay_alu instid0(VALU_DEP_2) | instskip(NEXT) | instid1(VALU_DEP_2)
	v_and_b32_e32 v6, 7, v6
	v_cmp_eq_u32_e32 vcc_lo, 0, v0
	s_delay_alu instid0(VALU_DEP_2) | instskip(NEXT) | instid1(VALU_DEP_1)
	v_dual_cndmask_b32 v0, v0, v5 :: v_dual_cndmask_b32 v1, v1, v6
	v_lshl_add_u32 v0, v0, 23, 0x3b800000
	s_delay_alu instid0(VALU_DEP_2) | instskip(NEXT) | instid1(VALU_DEP_1)
	v_lshlrev_b32_e32 v1, 20, v1
	v_or3_b32 v0, v4, v0, v1
	v_mov_b32_e32 v1, 0
.LBB65_179:
	s_or_b32 exec_lo, exec_lo, s1
.LBB65_180:
	s_mov_b32 s0, -1
.LBB65_181:
	s_branch .LBB65_215
.LBB65_182:
	v_cmp_lt_i16_e32 vcc_lo, 22, v19
	s_cbranch_vccz .LBB65_194
; %bb.183:
	v_cmp_gt_i16_e32 vcc_lo, 24, v19
	s_cbranch_vccnz .LBB65_195
; %bb.184:
	v_cmp_lt_i16_e32 vcc_lo, 24, v19
	s_cbranch_vccz .LBB65_196
; %bb.185:
	global_load_u8 v4, v[2:3], off
	s_mov_b32 s0, 0
	s_mov_b32 s3, exec_lo
                                        ; implicit-def: $sgpr2
                                        ; implicit-def: $sgpr1
	s_waitcnt vmcnt(0)
	v_cmpx_lt_i16_e32 0x7f, v4
	s_xor_b32 s3, exec_lo, s3
	s_cbranch_execz .LBB65_189
; %bb.186:
	s_mov_b32 s0, -1
	s_mov_b32 s4, exec_lo
                                        ; implicit-def: $sgpr2
                                        ; implicit-def: $sgpr1
	v_cmpx_eq_u16_e32 0x80, v4
; %bb.187:
	s_mov_b32 s1, 0x7f800001
	s_mov_b32 s2, 0
	s_xor_b32 s0, exec_lo, -1
; %bb.188:
	s_or_b32 exec_lo, exec_lo, s4
	s_delay_alu instid0(SALU_CYCLE_1)
	s_and_b32 s0, s0, exec_lo
.LBB65_189:
	s_or_saveexec_b32 s3, s3
	v_dual_mov_b32 v1, s2 :: v_dual_mov_b32 v0, s1
	s_xor_b32 exec_lo, exec_lo, s3
; %bb.190:
	v_mov_b32_e32 v1, 0
	v_cmp_ne_u16_e32 vcc_lo, 0, v4
	s_and_not1_b32 s0, s0, exec_lo
	s_delay_alu instid0(VALU_DEP_2) | instskip(SKIP_1) | instid1(SALU_CYCLE_1)
	v_mov_b32_e32 v0, v1
	s_and_b32 s1, vcc_lo, exec_lo
	s_or_b32 s0, s0, s1
; %bb.191:
	s_or_b32 exec_lo, exec_lo, s3
	s_and_saveexec_b32 s1, s0
	s_cbranch_execz .LBB65_193
; %bb.192:
	v_and_b32_e32 v0, 0xffff, v4
	v_lshlrev_b32_e32 v4, 24, v4
	s_delay_alu instid0(VALU_DEP_2) | instskip(NEXT) | instid1(VALU_DEP_2)
	v_and_b32_e32 v1, 3, v0
	v_and_b32_e32 v4, 0x80000000, v4
	s_delay_alu instid0(VALU_DEP_2) | instskip(NEXT) | instid1(VALU_DEP_1)
	v_clz_i32_u32_e32 v5, v1
	v_min_u32_e32 v5, 32, v5
	s_delay_alu instid0(VALU_DEP_1) | instskip(SKIP_1) | instid1(VALU_DEP_2)
	v_subrev_nc_u32_e32 v6, 29, v5
	v_sub_nc_u32_e32 v5, 30, v5
	v_lshlrev_b32_e32 v6, v6, v0
	v_bfe_u32 v0, v0, 2, 5
	s_delay_alu instid0(VALU_DEP_2) | instskip(NEXT) | instid1(VALU_DEP_2)
	v_and_b32_e32 v6, 3, v6
	v_cmp_eq_u32_e32 vcc_lo, 0, v0
	s_delay_alu instid0(VALU_DEP_2) | instskip(NEXT) | instid1(VALU_DEP_1)
	v_dual_cndmask_b32 v0, v0, v5 :: v_dual_cndmask_b32 v1, v1, v6
	v_lshl_add_u32 v0, v0, 23, 0x37800000
	s_delay_alu instid0(VALU_DEP_2) | instskip(NEXT) | instid1(VALU_DEP_1)
	v_lshlrev_b32_e32 v1, 21, v1
	v_or3_b32 v0, v4, v0, v1
	v_mov_b32_e32 v1, 0
.LBB65_193:
	s_or_b32 exec_lo, exec_lo, s1
	s_mov_b32 s0, 0
	s_branch .LBB65_197
.LBB65_194:
	s_mov_b32 s1, -1
                                        ; implicit-def: $vgpr1
	s_branch .LBB65_203
.LBB65_195:
	s_mov_b32 s0, -1
                                        ; implicit-def: $vgpr1
	s_branch .LBB65_200
.LBB65_196:
	s_mov_b32 s0, -1
                                        ; implicit-def: $vgpr1
.LBB65_197:
	s_delay_alu instid0(SALU_CYCLE_1)
	s_and_b32 vcc_lo, exec_lo, s0
	s_cbranch_vccz .LBB65_199
; %bb.198:
	global_load_u8 v0, v[2:3], off
	s_waitcnt vmcnt(0)
	v_lshlrev_b32_e32 v0, 24, v0
	s_delay_alu instid0(VALU_DEP_1) | instskip(NEXT) | instid1(VALU_DEP_1)
	v_and_b32_e32 v1, 0x7f000000, v0
	v_clz_i32_u32_e32 v4, v1
	v_cmp_ne_u32_e32 vcc_lo, 0, v1
	v_add_nc_u32_e32 v6, 0x1000000, v1
	s_delay_alu instid0(VALU_DEP_3) | instskip(NEXT) | instid1(VALU_DEP_1)
	v_min_u32_e32 v4, 32, v4
	v_sub_nc_u32_e64 v4, v4, 4 clamp
	s_delay_alu instid0(VALU_DEP_1) | instskip(SKIP_1) | instid1(VALU_DEP_2)
	v_lshlrev_b32_e32 v5, v4, v1
	v_lshlrev_b32_e32 v4, 23, v4
	v_lshrrev_b32_e32 v5, 4, v5
	s_delay_alu instid0(VALU_DEP_1) | instskip(SKIP_1) | instid1(VALU_DEP_2)
	v_sub_nc_u32_e32 v4, v5, v4
	v_ashrrev_i32_e32 v5, 8, v6
	v_add_nc_u32_e32 v4, 0x3c000000, v4
	s_delay_alu instid0(VALU_DEP_1) | instskip(NEXT) | instid1(VALU_DEP_1)
	v_and_or_b32 v4, 0x7f800000, v5, v4
	v_cndmask_b32_e32 v1, 0, v4, vcc_lo
	s_delay_alu instid0(VALU_DEP_1)
	v_and_or_b32 v0, 0x80000000, v0, v1
	v_mov_b32_e32 v1, 0
.LBB65_199:
	s_mov_b32 s0, 0
.LBB65_200:
	s_delay_alu instid0(SALU_CYCLE_1)
	s_and_not1_b32 vcc_lo, exec_lo, s0
	s_cbranch_vccnz .LBB65_202
; %bb.201:
	global_load_u8 v0, v[2:3], off
	s_waitcnt vmcnt(0)
	v_lshlrev_b32_e32 v1, 25, v0
	v_lshlrev_b16 v0, 8, v0
	s_delay_alu instid0(VALU_DEP_2) | instskip(NEXT) | instid1(VALU_DEP_2)
	v_lshrrev_b32_e32 v4, 4, v1
	v_and_or_b32 v5, 0x7f00, v0, 0.5
	v_cmp_gt_u32_e32 vcc_lo, 0x8000000, v1
	v_bfe_i32 v0, v0, 0, 16
	s_delay_alu instid0(VALU_DEP_4) | instskip(NEXT) | instid1(VALU_DEP_1)
	v_or_b32_e32 v4, 0x70000000, v4
	v_dual_add_f32 v5, -0.5, v5 :: v_dual_mul_f32 v4, 0x7800000, v4
	s_delay_alu instid0(VALU_DEP_1) | instskip(NEXT) | instid1(VALU_DEP_1)
	v_cndmask_b32_e32 v1, v4, v5, vcc_lo
	v_and_or_b32 v0, 0x80000000, v0, v1
	v_mov_b32_e32 v1, 0
.LBB65_202:
	s_mov_b32 s1, 0
	s_mov_b32 s0, -1
.LBB65_203:
	s_and_not1_b32 vcc_lo, exec_lo, s1
	s_cbranch_vccnz .LBB65_215
; %bb.204:
	v_cmp_lt_i16_e32 vcc_lo, 14, v19
	s_cbranch_vccz .LBB65_207
; %bb.205:
	v_cmp_eq_u16_e32 vcc_lo, 15, v19
	s_cbranch_vccz .LBB65_208
; %bb.206:
	global_load_u16 v0, v[2:3], off
	s_mov_b32 s0, -1
	s_mov_b32 s42, 0
	s_mov_b32 s1, 0
	s_waitcnt vmcnt(0)
	v_lshlrev_b32_e32 v0, 16, v0
	s_branch .LBB65_209
.LBB65_207:
	s_mov_b32 s2, -1
                                        ; implicit-def: $sgpr1
                                        ; implicit-def: $vgpr0
	s_branch .LBB65_210
.LBB65_208:
	s_mov_b32 s42, -1
                                        ; implicit-def: $sgpr1
                                        ; implicit-def: $vgpr0
.LBB65_209:
	s_mov_b32 s2, 0
.LBB65_210:
	s_delay_alu instid0(SALU_CYCLE_1)
	s_and_b32 vcc_lo, exec_lo, s2
	s_cbranch_vccz .LBB65_214
; %bb.211:
	v_cmp_eq_u16_e32 vcc_lo, 11, v19
	s_cbranch_vccz .LBB65_213
; %bb.212:
	global_load_u8 v0, v[2:3], off
	s_mov_b32 s1, 0
	s_mov_b32 s0, -1
	s_mov_b32 s42, 0
	s_waitcnt vmcnt(0)
	v_cmp_ne_u16_e32 vcc_lo, 0, v0
	v_cndmask_b32_e64 v0, 0, 1.0, vcc_lo
	s_branch .LBB65_214
.LBB65_213:
	s_mov_b32 s42, -1
                                        ; implicit-def: $sgpr1
                                        ; implicit-def: $vgpr0
.LBB65_214:
	v_mov_b32_e32 v1, s1
.LBB65_215:
	s_branch .LBB65_23
.LBB65_216:
	v_cmp_gt_i16_e32 vcc_lo, 5, v19
	s_cbranch_vccnz .LBB65_221
; %bb.217:
	v_cmp_gt_i16_e32 vcc_lo, 8, v19
	s_cbranch_vccnz .LBB65_222
; %bb.218:
	;; [unrolled: 3-line block ×3, first 2 shown]
	v_cmp_lt_i16_e32 vcc_lo, 9, v19
	s_cbranch_vccz .LBB65_224
; %bb.220:
	global_load_b128 v[4:7], v[2:3], off
	s_mov_b32 s0, 0
	s_waitcnt vmcnt(0)
	v_cvt_f32_f64_e32 v0, v[4:5]
	v_cvt_f32_f64_e32 v1, v[6:7]
	s_branch .LBB65_225
.LBB65_221:
                                        ; implicit-def: $vgpr1
	s_branch .LBB65_244
.LBB65_222:
	s_mov_b32 s0, -1
                                        ; implicit-def: $vgpr1
	s_branch .LBB65_231
.LBB65_223:
	s_mov_b32 s0, -1
                                        ; implicit-def: $vgpr1
	s_branch .LBB65_228
.LBB65_224:
	s_mov_b32 s0, -1
                                        ; implicit-def: $vgpr1
.LBB65_225:
	s_delay_alu instid0(SALU_CYCLE_1)
	s_and_not1_b32 vcc_lo, exec_lo, s0
	s_cbranch_vccnz .LBB65_227
; %bb.226:
	global_load_b64 v[0:1], v[2:3], off
.LBB65_227:
	s_mov_b32 s0, 0
.LBB65_228:
	s_delay_alu instid0(SALU_CYCLE_1)
	s_and_not1_b32 vcc_lo, exec_lo, s0
	s_cbranch_vccnz .LBB65_230
; %bb.229:
	global_load_b32 v0, v[2:3], off
	s_waitcnt vmcnt(0)
	v_lshrrev_b32_e32 v1, 16, v0
	v_cvt_f32_f16_e32 v0, v0
	s_delay_alu instid0(VALU_DEP_2)
	v_cvt_f32_f16_e32 v1, v1
.LBB65_230:
	s_mov_b32 s0, 0
.LBB65_231:
	s_delay_alu instid0(SALU_CYCLE_1)
	s_and_not1_b32 vcc_lo, exec_lo, s0
	s_cbranch_vccnz .LBB65_243
; %bb.232:
	v_cmp_gt_i16_e32 vcc_lo, 6, v19
	s_cbranch_vccnz .LBB65_235
; %bb.233:
	v_cmp_lt_i16_e32 vcc_lo, 6, v19
	s_cbranch_vccz .LBB65_236
; %bb.234:
	global_load_b64 v[0:1], v[2:3], off
	s_mov_b32 s1, 0
	s_mov_b32 s0, 0
	s_waitcnt vmcnt(0)
	v_cvt_f32_f64_e32 v0, v[0:1]
	s_branch .LBB65_237
.LBB65_235:
	s_mov_b32 s1, -1
                                        ; implicit-def: $sgpr0
                                        ; implicit-def: $vgpr0
	s_branch .LBB65_240
.LBB65_236:
	s_mov_b32 s1, -1
                                        ; implicit-def: $sgpr0
                                        ; implicit-def: $vgpr0
.LBB65_237:
	s_delay_alu instid0(SALU_CYCLE_1)
	s_and_not1_b32 vcc_lo, exec_lo, s1
	s_cbranch_vccnz .LBB65_239
; %bb.238:
	global_load_b32 v0, v[2:3], off
	s_mov_b32 s0, 0
.LBB65_239:
	s_mov_b32 s1, 0
.LBB65_240:
	s_delay_alu instid0(SALU_CYCLE_1)
	s_and_not1_b32 vcc_lo, exec_lo, s1
	s_cbranch_vccnz .LBB65_242
; %bb.241:
	global_load_u16 v0, v[2:3], off
	s_mov_b32 s0, 0
	s_waitcnt vmcnt(0)
	v_cvt_f32_f16_e32 v0, v0
.LBB65_242:
	s_waitcnt vmcnt(0)
	v_mov_b32_e32 v1, s0
.LBB65_243:
	s_cbranch_execnz .LBB65_264
.LBB65_244:
	v_cmp_gt_i16_e32 vcc_lo, 2, v19
	s_cbranch_vccnz .LBB65_248
; %bb.245:
	v_cmp_gt_i16_e32 vcc_lo, 3, v19
	s_cbranch_vccnz .LBB65_249
; %bb.246:
	v_cmp_lt_i16_e32 vcc_lo, 3, v19
	s_cbranch_vccz .LBB65_250
; %bb.247:
	global_load_b64 v[0:1], v[2:3], off
	s_mov_b32 s1, 0
	s_mov_b32 s0, 0
	s_waitcnt vmcnt(0)
	v_xor_b32_e32 v4, v0, v1
	v_cls_i32_e32 v5, v1
	s_delay_alu instid0(VALU_DEP_2) | instskip(NEXT) | instid1(VALU_DEP_2)
	v_ashrrev_i32_e32 v4, 31, v4
	v_add_nc_u32_e32 v5, -1, v5
	s_delay_alu instid0(VALU_DEP_2) | instskip(NEXT) | instid1(VALU_DEP_1)
	v_add_nc_u32_e32 v4, 32, v4
	v_min_u32_e32 v4, v5, v4
	s_delay_alu instid0(VALU_DEP_1) | instskip(NEXT) | instid1(VALU_DEP_1)
	v_lshlrev_b64 v[0:1], v4, v[0:1]
	v_min_u32_e32 v0, 1, v0
	s_delay_alu instid0(VALU_DEP_1) | instskip(SKIP_1) | instid1(VALU_DEP_2)
	v_or_b32_e32 v0, v1, v0
	v_sub_nc_u32_e32 v1, 32, v4
	v_cvt_f32_i32_e32 v0, v0
	s_delay_alu instid0(VALU_DEP_1)
	v_ldexp_f32 v0, v0, v1
	s_branch .LBB65_251
.LBB65_248:
	s_mov_b32 s1, -1
                                        ; implicit-def: $sgpr0
                                        ; implicit-def: $vgpr0
	s_branch .LBB65_257
.LBB65_249:
	s_mov_b32 s1, -1
                                        ; implicit-def: $sgpr0
                                        ; implicit-def: $vgpr0
	s_branch .LBB65_254
.LBB65_250:
	s_mov_b32 s1, -1
                                        ; implicit-def: $sgpr0
                                        ; implicit-def: $vgpr0
.LBB65_251:
	s_delay_alu instid0(SALU_CYCLE_1)
	s_and_not1_b32 vcc_lo, exec_lo, s1
	s_cbranch_vccnz .LBB65_253
; %bb.252:
	global_load_b32 v0, v[2:3], off
	s_mov_b32 s0, 0
	s_waitcnt vmcnt(0)
	v_cvt_f32_i32_e32 v0, v0
.LBB65_253:
	s_mov_b32 s1, 0
.LBB65_254:
	s_delay_alu instid0(SALU_CYCLE_1)
	s_and_not1_b32 vcc_lo, exec_lo, s1
	s_cbranch_vccnz .LBB65_256
; %bb.255:
	global_load_i16 v0, v[2:3], off
	s_mov_b32 s0, 0
	s_waitcnt vmcnt(0)
	v_cvt_f32_i32_e32 v0, v0
.LBB65_256:
	s_mov_b32 s1, 0
.LBB65_257:
	s_delay_alu instid0(SALU_CYCLE_1)
	s_and_not1_b32 vcc_lo, exec_lo, s1
	s_cbranch_vccnz .LBB65_263
; %bb.258:
	v_cmp_lt_i16_e32 vcc_lo, 0, v19
	s_mov_b32 s1, 0
	s_cbranch_vccz .LBB65_260
; %bb.259:
	global_load_i8 v0, v[2:3], off
	s_mov_b32 s0, 0
	s_waitcnt vmcnt(0)
	v_cvt_f32_i32_e32 v0, v0
	s_branch .LBB65_261
.LBB65_260:
	s_mov_b32 s1, -1
                                        ; implicit-def: $sgpr0
                                        ; implicit-def: $vgpr0
.LBB65_261:
	s_delay_alu instid0(SALU_CYCLE_1)
	s_and_not1_b32 vcc_lo, exec_lo, s1
	s_cbranch_vccnz .LBB65_263
; %bb.262:
	global_load_u8 v0, v[2:3], off
	s_mov_b32 s0, 0
	s_waitcnt vmcnt(0)
	v_cvt_f32_ubyte0_e32 v0, v0
.LBB65_263:
	s_waitcnt vmcnt(0)
	v_mov_b32_e32 v1, s0
.LBB65_264:
	s_branch .LBB65_24
.LBB65_265:
	s_mov_b32 s0, 0
.LBB65_266:
	s_mov_b32 s1, 0
                                        ; implicit-def: $vgpr20
.LBB65_267:
	s_and_b32 s41, s0, exec_lo
	s_and_b32 s42, s42, exec_lo
	s_or_not1_b32 s1, s1, exec_lo
.LBB65_268:
	s_or_b32 exec_lo, exec_lo, s43
	s_mov_b32 s2, 0
	s_mov_b32 s0, 0
                                        ; implicit-def: $vgpr3_vgpr4
                                        ; implicit-def: $vgpr17
                                        ; implicit-def: $vgpr2
	s_and_saveexec_b32 s43, s1
	s_cbranch_execz .LBB65_924
; %bb.269:
	s_mov_b32 s0, -1
	s_mov_b32 s44, s42
	s_mov_b32 s45, s41
	s_mov_b32 s46, exec_lo
	v_cmpx_gt_i32_e64 s38, v20
	s_cbranch_execz .LBB65_543
; %bb.270:
	s_and_not1_b32 vcc_lo, exec_lo, s35
	s_cbranch_vccnz .LBB65_275
; %bb.271:
	s_waitcnt vmcnt(0)
	v_dual_mov_b32 v17, 0 :: v_dual_mov_b32 v0, 0
	s_and_not1_b32 vcc_lo, exec_lo, s40
	s_mov_b32 s4, 0
	s_cbranch_vccnz .LBB65_280
; %bb.272:
	v_mov_b32_e32 v17, 0
	s_add_i32 s6, s39, 1
	s_cmp_eq_u32 s33, 2
	s_mov_b32 s5, 0
	s_cbranch_scc1 .LBB65_276
; %bb.273:
	v_dual_mov_b32 v0, 0 :: v_dual_mov_b32 v17, 0
	v_mov_b32_e32 v1, v20
	s_and_b32 s5, s6, 28
	s_mov_b32 s7, 0
	s_mov_b64 s[0:1], s[28:29]
	s_mov_b64 s[2:3], s[24:25]
.LBB65_274:                             ; =>This Inner Loop Header: Depth=1
	s_clause 0x1
	s_load_b256 s[48:55], s[2:3], 0x4
	s_load_b128 s[64:67], s[2:3], 0x24
	s_load_b256 s[56:63], s[0:1], 0x0
	s_add_u32 s2, s2, 48
	s_addc_u32 s3, s3, 0
	s_add_i32 s7, s7, 4
	s_add_u32 s0, s0, 32
	s_addc_u32 s1, s1, 0
	s_cmp_eq_u32 s5, s7
	s_waitcnt lgkmcnt(0)
	v_mul_hi_u32 v2, s49, v1
	s_delay_alu instid0(VALU_DEP_1) | instskip(NEXT) | instid1(VALU_DEP_1)
	v_add_nc_u32_e32 v2, v1, v2
	v_lshrrev_b32_e32 v2, s50, v2
	s_delay_alu instid0(VALU_DEP_1) | instskip(SKIP_1) | instid1(VALU_DEP_2)
	v_mul_hi_u32 v3, s52, v2
	v_mul_lo_u32 v5, v2, s48
	v_add_nc_u32_e32 v3, v2, v3
	s_delay_alu instid0(VALU_DEP_2) | instskip(NEXT) | instid1(VALU_DEP_2)
	v_sub_nc_u32_e32 v1, v1, v5
	v_lshrrev_b32_e32 v3, s53, v3
	s_delay_alu instid0(VALU_DEP_2) | instskip(SKIP_1) | instid1(VALU_DEP_3)
	v_mul_lo_u32 v5, v1, s56
	v_mul_lo_u32 v7, v1, s57
	v_mul_hi_u32 v4, s55, v3
	s_delay_alu instid0(VALU_DEP_1) | instskip(NEXT) | instid1(VALU_DEP_1)
	v_add_nc_u32_e32 v4, v3, v4
	v_lshrrev_b32_e32 v4, s64, v4
	s_delay_alu instid0(VALU_DEP_1) | instskip(SKIP_1) | instid1(VALU_DEP_2)
	v_mul_hi_u32 v6, s66, v4
	v_mul_lo_u32 v8, v4, s54
	v_add_nc_u32_e32 v1, v4, v6
	v_mul_lo_u32 v6, v3, s51
	s_delay_alu instid0(VALU_DEP_3) | instskip(NEXT) | instid1(VALU_DEP_3)
	v_sub_nc_u32_e32 v3, v3, v8
	v_lshrrev_b32_e32 v1, s67, v1
	s_delay_alu instid0(VALU_DEP_2) | instskip(SKIP_2) | instid1(VALU_DEP_4)
	v_mul_lo_u32 v8, v3, s60
	v_mul_lo_u32 v3, v3, s61
	v_sub_nc_u32_e32 v2, v2, v6
	v_mul_lo_u32 v9, v1, s65
	s_delay_alu instid0(VALU_DEP_2) | instskip(SKIP_1) | instid1(VALU_DEP_3)
	v_mul_lo_u32 v6, v2, s58
	v_mul_lo_u32 v2, v2, s59
	v_sub_nc_u32_e32 v4, v4, v9
	s_delay_alu instid0(VALU_DEP_3) | instskip(NEXT) | instid1(VALU_DEP_2)
	v_add3_u32 v5, v5, v17, v6
	v_mul_lo_u32 v9, v4, s62
	v_mul_lo_u32 v4, v4, s63
	v_add3_u32 v0, v7, v0, v2
	s_delay_alu instid0(VALU_DEP_3) | instskip(NEXT) | instid1(VALU_DEP_2)
	v_add3_u32 v17, v8, v5, v9
	v_add3_u32 v0, v3, v0, v4
	s_cbranch_scc0 .LBB65_274
	s_branch .LBB65_277
.LBB65_275:
	s_mov_b32 s4, -1
                                        ; implicit-def: $vgpr17
                                        ; implicit-def: $vgpr0
	s_branch .LBB65_280
.LBB65_276:
	v_dual_mov_b32 v1, v20 :: v_dual_mov_b32 v0, 0
.LBB65_277:
	s_and_b32 s6, s6, 3
	s_delay_alu instid0(SALU_CYCLE_1)
	s_cmp_eq_u32 s6, 0
	s_cbranch_scc1 .LBB65_280
; %bb.278:
	s_lshl_b32 s0, s5, 3
	s_mul_i32 s2, s5, 12
	s_add_u32 s0, s0, s24
	s_addc_u32 s1, s25, 0
	s_add_u32 s0, s0, 0xc4
	s_addc_u32 s1, s1, 0
	;; [unrolled: 2-line block ×3, first 2 shown]
	.p2align	6
.LBB65_279:                             ; =>This Inner Loop Header: Depth=1
	s_clause 0x1
	s_load_b64 s[30:31], s[2:3], 0x4
	s_load_b32 s5, s[2:3], 0xc
	s_load_b64 s[44:45], s[0:1], 0x0
	s_add_u32 s2, s2, 12
	s_addc_u32 s3, s3, 0
	s_add_u32 s0, s0, 8
	s_addc_u32 s1, s1, 0
	s_add_i32 s6, s6, -1
	s_delay_alu instid0(SALU_CYCLE_1) | instskip(SKIP_2) | instid1(VALU_DEP_1)
	s_cmp_lg_u32 s6, 0
	s_waitcnt lgkmcnt(0)
	v_mul_hi_u32 v2, s31, v1
	v_add_nc_u32_e32 v2, v1, v2
	s_delay_alu instid0(VALU_DEP_1) | instskip(NEXT) | instid1(VALU_DEP_1)
	v_lshrrev_b32_e32 v5, s5, v2
	v_mul_lo_u32 v2, v5, s30
	s_delay_alu instid0(VALU_DEP_1) | instskip(NEXT) | instid1(VALU_DEP_1)
	v_sub_nc_u32_e32 v1, v1, v2
	v_mad_u64_u32 v[2:3], null, v1, s44, v[17:18]
	v_mad_u64_u32 v[3:4], null, v1, s45, v[0:1]
	v_mov_b32_e32 v1, v5
	s_delay_alu instid0(VALU_DEP_2)
	v_dual_mov_b32 v17, v2 :: v_dual_mov_b32 v0, v3
	s_cbranch_scc1 .LBB65_279
.LBB65_280:
	s_and_not1_b32 vcc_lo, exec_lo, s4
	s_cbranch_vccnz .LBB65_283
; %bb.281:
	s_waitcnt vmcnt(0) lgkmcnt(0)
	v_mul_hi_u32 v0, s21, v20
	s_and_not1_b32 vcc_lo, exec_lo, s37
	s_delay_alu instid0(VALU_DEP_1) | instskip(NEXT) | instid1(VALU_DEP_1)
	v_add_nc_u32_e32 v0, v20, v0
	v_lshrrev_b32_e32 v1, s22, v0
	s_delay_alu instid0(VALU_DEP_1) | instskip(NEXT) | instid1(VALU_DEP_1)
	v_mul_lo_u32 v0, v1, s20
	v_sub_nc_u32_e32 v0, v20, v0
	s_delay_alu instid0(VALU_DEP_1)
	v_mul_lo_u32 v17, v0, s16
	v_mul_lo_u32 v0, v0, s17
	s_cbranch_vccnz .LBB65_283
; %bb.282:
	v_mul_hi_u32 v2, s26, v1
	s_delay_alu instid0(VALU_DEP_1) | instskip(NEXT) | instid1(VALU_DEP_1)
	v_add_nc_u32_e32 v2, v1, v2
	v_lshrrev_b32_e32 v2, s27, v2
	s_delay_alu instid0(VALU_DEP_1) | instskip(NEXT) | instid1(VALU_DEP_1)
	v_mul_lo_u32 v2, v2, s23
	v_sub_nc_u32_e32 v4, v1, v2
	s_delay_alu instid0(VALU_DEP_1) | instskip(NEXT) | instid1(VALU_DEP_1)
	v_mad_u64_u32 v[1:2], null, v4, s18, v[17:18]
	v_mad_u64_u32 v[2:3], null, v4, s19, v[0:1]
	s_delay_alu instid0(VALU_DEP_1)
	v_dual_mov_b32 v17, v1 :: v_dual_mov_b32 v0, v2
.LBB65_283:
	v_cmp_gt_i16_e32 vcc_lo, 11, v19
	s_waitcnt vmcnt(0) lgkmcnt(0)
	s_delay_alu instid0(VALU_DEP_2) | instskip(NEXT) | instid1(VALU_DEP_1)
	v_add_co_u32 v2, s0, s14, v0
	v_add_co_ci_u32_e64 v3, null, s15, 0, s0
	s_mov_b32 s0, 0
	s_cbranch_vccnz .LBB65_290
; %bb.284:
	v_cmp_lt_i16_e32 vcc_lo, 25, v19
	s_cbranch_vccz .LBB65_339
; %bb.285:
	v_cmp_lt_i16_e32 vcc_lo, 28, v19
	s_cbranch_vccz .LBB65_340
	;; [unrolled: 3-line block ×4, first 2 shown]
; %bb.288:
	v_cmp_eq_u16_e32 vcc_lo, 46, v19
	s_mov_b32 s1, 0
	s_cbranch_vccz .LBB65_348
; %bb.289:
	global_load_b32 v0, v[2:3], off
	s_mov_b32 s0, -1
	s_mov_b32 s44, 0
	s_waitcnt vmcnt(0)
	v_and_b32_e32 v1, 0xffff0000, v0
	v_lshlrev_b32_e32 v0, 16, v0
	s_branch .LBB65_350
.LBB65_290:
	s_mov_b32 s44, s42
                                        ; implicit-def: $vgpr1
	s_cbranch_execnz .LBB65_490
.LBB65_291:
	s_and_not1_b32 vcc_lo, exec_lo, s0
	s_cbranch_vccnz .LBB65_540
.LBB65_292:
	s_getpc_b64 s[0:1]
	s_add_u32 s0, s0, _ZN16c10_complex_math3expIfEEN3c107complexIT_EERKS4_@rel32@lo+4
	s_addc_u32 s1, s1, _ZN16c10_complex_math3expIfEEN3c107complexIT_EERKS4_@rel32@hi+12
	s_delay_alu instid0(SALU_CYCLE_1) | instskip(SKIP_2) | instid1(VALU_DEP_1)
	s_swappc_b64 s[30:31], s[0:1]
	v_and_b32_e32 v4, 0xff, v18
	v_add_co_u32 v2, s0, s12, v17
	v_add_co_ci_u32_e64 v3, null, s13, 0, s0
	s_delay_alu instid0(VALU_DEP_3)
	v_cmp_gt_i16_e32 vcc_lo, 11, v4
	s_mov_b32 s1, 0
	s_mov_b32 s2, -1
	s_mov_b32 s0, s41
	s_cbranch_vccnz .LBB65_299
; %bb.293:
	v_cmp_lt_i16_e32 vcc_lo, 25, v4
	s_cbranch_vccz .LBB65_341
; %bb.294:
	v_cmp_lt_i16_e32 vcc_lo, 28, v4
	s_cbranch_vccz .LBB65_343
	;; [unrolled: 3-line block ×4, first 2 shown]
; %bb.297:
	v_cmp_eq_u16_e32 vcc_lo, 46, v4
	s_mov_b32 s2, 0
	s_mov_b32 s0, -1
	s_cbranch_vccz .LBB65_354
; %bb.298:
	v_bfe_u32 v5, v1, 16, 1
	v_bfe_u32 v6, v0, 16, 1
	v_cmp_o_f32_e32 vcc_lo, v1, v1
	s_mov_b32 s1, -1
	s_mov_b32 s0, 0
	v_add3_u32 v5, v1, v5, 0x7fff
	v_add3_u32 v6, v0, v6, 0x7fff
	s_delay_alu instid0(VALU_DEP_2) | instskip(NEXT) | instid1(VALU_DEP_2)
	v_and_b32_e32 v5, 0xffff0000, v5
	v_lshrrev_b32_e32 v6, 16, v6
	s_delay_alu instid0(VALU_DEP_2) | instskip(SKIP_1) | instid1(VALU_DEP_3)
	v_cndmask_b32_e32 v5, 0x7fc00000, v5, vcc_lo
	v_cmp_o_f32_e32 vcc_lo, v0, v0
	v_cndmask_b32_e32 v6, 0x7fc0, v6, vcc_lo
	s_delay_alu instid0(VALU_DEP_1)
	v_or_b32_e32 v5, v5, v6
	global_store_b32 v[2:3], v5, off
	s_branch .LBB65_354
.LBB65_299:
	s_and_b32 vcc_lo, exec_lo, s2
	s_cbranch_vccz .LBB65_423
; %bb.300:
	v_cmp_gt_i16_e32 vcc_lo, 5, v4
	s_mov_b32 s1, -1
	s_cbranch_vccnz .LBB65_321
; %bb.301:
	v_cmp_gt_i16_e32 vcc_lo, 8, v4
	s_cbranch_vccnz .LBB65_311
; %bb.302:
	v_cmp_gt_i16_e32 vcc_lo, 9, v4
	s_cbranch_vccnz .LBB65_308
; %bb.303:
	v_cmp_lt_i16_e32 vcc_lo, 9, v4
	s_cbranch_vccz .LBB65_305
; %bb.304:
	v_cvt_f64_f32_e32 v[5:6], v0
	v_cvt_f64_f32_e32 v[7:8], v1
	s_mov_b32 s1, 0
	global_store_b128 v[2:3], v[5:8], off
.LBB65_305:
	s_and_not1_b32 vcc_lo, exec_lo, s1
	s_cbranch_vccnz .LBB65_307
; %bb.306:
	global_store_b64 v[2:3], v[0:1], off
.LBB65_307:
	s_mov_b32 s1, 0
.LBB65_308:
	s_delay_alu instid0(SALU_CYCLE_1)
	s_and_not1_b32 vcc_lo, exec_lo, s1
	s_cbranch_vccnz .LBB65_310
; %bb.309:
	v_cvt_f16_f32_e32 v1, v1
	v_cvt_f16_f32_e32 v5, v0
	s_delay_alu instid0(VALU_DEP_2) | instskip(NEXT) | instid1(VALU_DEP_2)
	v_lshlrev_b32_e32 v1, 16, v1
	v_and_b32_e32 v5, 0xffff, v5
	s_delay_alu instid0(VALU_DEP_1)
	v_or_b32_e32 v1, v1, v5
	global_store_b32 v[2:3], v1, off
.LBB65_310:
	s_mov_b32 s1, 0
.LBB65_311:
	s_delay_alu instid0(SALU_CYCLE_1)
	s_and_not1_b32 vcc_lo, exec_lo, s1
	s_cbranch_vccnz .LBB65_320
; %bb.312:
	v_cmp_gt_i16_e32 vcc_lo, 6, v4
	s_mov_b32 s1, -1
	s_cbranch_vccnz .LBB65_318
; %bb.313:
	v_cmp_lt_i16_e32 vcc_lo, 6, v4
	s_cbranch_vccz .LBB65_315
; %bb.314:
	v_cvt_f64_f32_e32 v[5:6], v0
	s_mov_b32 s1, 0
	global_store_b64 v[2:3], v[5:6], off
.LBB65_315:
	s_and_not1_b32 vcc_lo, exec_lo, s1
	s_cbranch_vccnz .LBB65_317
; %bb.316:
	global_store_b32 v[2:3], v0, off
.LBB65_317:
	s_mov_b32 s1, 0
.LBB65_318:
	s_delay_alu instid0(SALU_CYCLE_1)
	s_and_not1_b32 vcc_lo, exec_lo, s1
	s_cbranch_vccnz .LBB65_320
; %bb.319:
	v_cvt_f16_f32_e32 v1, v0
	global_store_b16 v[2:3], v1, off
.LBB65_320:
	s_mov_b32 s1, 0
.LBB65_321:
	s_delay_alu instid0(SALU_CYCLE_1)
	s_and_not1_b32 vcc_lo, exec_lo, s1
	s_cbranch_vccnz .LBB65_337
; %bb.322:
	v_cmp_gt_i16_e32 vcc_lo, 2, v4
	s_mov_b32 s1, -1
	s_cbranch_vccnz .LBB65_332
; %bb.323:
	v_cmp_gt_i16_e32 vcc_lo, 3, v4
	s_cbranch_vccnz .LBB65_329
; %bb.324:
	v_cmp_lt_i16_e32 vcc_lo, 3, v4
	s_cbranch_vccz .LBB65_326
; %bb.325:
	v_trunc_f32_e32 v1, v0
	s_mov_b32 s1, 0
	s_delay_alu instid0(VALU_DEP_1) | instskip(NEXT) | instid1(VALU_DEP_1)
	v_mul_f32_e64 v5, 0x2f800000, |v1|
	v_floor_f32_e32 v5, v5
	s_delay_alu instid0(VALU_DEP_1) | instskip(SKIP_2) | instid1(VALU_DEP_3)
	v_fma_f32 v6, 0xcf800000, v5, |v1|
	v_ashrrev_i32_e32 v1, 31, v1
	v_cvt_u32_f32_e32 v5, v5
	v_cvt_u32_f32_e32 v6, v6
	s_delay_alu instid0(VALU_DEP_2) | instskip(NEXT) | instid1(VALU_DEP_2)
	v_xor_b32_e32 v7, v5, v1
	v_xor_b32_e32 v6, v6, v1
	s_delay_alu instid0(VALU_DEP_1) | instskip(NEXT) | instid1(VALU_DEP_3)
	v_sub_co_u32 v5, vcc_lo, v6, v1
	v_sub_co_ci_u32_e32 v6, vcc_lo, v7, v1, vcc_lo
	global_store_b64 v[2:3], v[5:6], off
.LBB65_326:
	s_and_not1_b32 vcc_lo, exec_lo, s1
	s_cbranch_vccnz .LBB65_328
; %bb.327:
	v_cvt_i32_f32_e32 v1, v0
	global_store_b32 v[2:3], v1, off
.LBB65_328:
	s_mov_b32 s1, 0
.LBB65_329:
	s_delay_alu instid0(SALU_CYCLE_1)
	s_and_not1_b32 vcc_lo, exec_lo, s1
	s_cbranch_vccnz .LBB65_331
; %bb.330:
	v_cvt_i32_f32_e32 v1, v0
	global_store_b16 v[2:3], v1, off
.LBB65_331:
	s_mov_b32 s1, 0
.LBB65_332:
	s_delay_alu instid0(SALU_CYCLE_1)
	s_and_not1_b32 vcc_lo, exec_lo, s1
	s_cbranch_vccnz .LBB65_337
; %bb.333:
	v_cmp_lt_i16_e32 vcc_lo, 0, v4
	s_mov_b32 s1, -1
	s_cbranch_vccz .LBB65_335
; %bb.334:
	v_cvt_i32_f32_e32 v1, v0
	s_mov_b32 s1, 0
	global_store_b8 v[2:3], v1, off
.LBB65_335:
	s_and_not1_b32 vcc_lo, exec_lo, s1
	s_cbranch_vccnz .LBB65_337
; %bb.336:
	v_trunc_f32_e32 v0, v0
	s_delay_alu instid0(VALU_DEP_1) | instskip(NEXT) | instid1(VALU_DEP_1)
	v_mul_f32_e64 v1, 0x2f800000, |v0|
	v_floor_f32_e32 v1, v1
	s_delay_alu instid0(VALU_DEP_1) | instskip(SKIP_1) | instid1(VALU_DEP_2)
	v_fma_f32 v1, 0xcf800000, v1, |v0|
	v_ashrrev_i32_e32 v0, 31, v0
	v_cvt_u32_f32_e32 v1, v1
	s_delay_alu instid0(VALU_DEP_1) | instskip(NEXT) | instid1(VALU_DEP_1)
	v_xor_b32_e32 v1, v1, v0
	v_sub_nc_u32_e32 v0, v1, v0
	global_store_b8 v[2:3], v0, off
.LBB65_337:
	s_branch .LBB65_424
.LBB65_338:
	s_mov_b32 s1, 0
	s_branch .LBB65_541
.LBB65_339:
	s_mov_b32 s1, -1
	s_mov_b32 s44, s42
                                        ; implicit-def: $vgpr1
	s_branch .LBB65_455
.LBB65_340:
	s_mov_b32 s1, -1
	s_mov_b32 s44, s42
                                        ; implicit-def: $vgpr1
	s_branch .LBB65_434
.LBB65_341:
	s_mov_b32 s0, s41
	s_branch .LBB65_381
.LBB65_342:
	s_mov_b32 s1, -1
	s_mov_b32 s44, s42
                                        ; implicit-def: $vgpr1
	s_branch .LBB65_428
.LBB65_343:
	s_mov_b32 s0, s41
	s_branch .LBB65_364
.LBB65_344:
	s_mov_b32 s1, -1
	s_mov_b32 s44, s42
	s_branch .LBB65_349
.LBB65_345:
	s_mov_b32 s0, s41
	s_branch .LBB65_360
.LBB65_346:
	s_or_saveexec_b32 s3, s3
                                        ; implicit-def: $sgpr4
	s_delay_alu instid0(SALU_CYCLE_1)
	s_xor_b32 exec_lo, exec_lo, s3
	s_cbranch_execz .LBB65_65
.LBB65_347:
	v_add_f32_e64 v5, 0x42800000, |v0|
	s_and_not1_b32 s2, s2, exec_lo
	s_mov_b32 s4, 0
	s_delay_alu instid0(VALU_DEP_1) | instskip(NEXT) | instid1(VALU_DEP_1)
	v_and_b32_e32 v5, 0xff, v5
	v_cmp_ne_u32_e32 vcc_lo, 0, v5
	s_and_b32 s5, vcc_lo, exec_lo
	s_delay_alu instid0(SALU_CYCLE_1)
	s_or_b32 s2, s2, s5
	s_or_b32 exec_lo, exec_lo, s3
	v_mov_b32_e32 v6, s4
	s_and_saveexec_b32 s3, s2
	s_cbranch_execnz .LBB65_66
	s_branch .LBB65_67
.LBB65_348:
	s_mov_b32 s44, -1
.LBB65_349:
                                        ; implicit-def: $vgpr1
.LBB65_350:
	s_and_b32 vcc_lo, exec_lo, s1
	s_cbranch_vccz .LBB65_427
; %bb.351:
	v_cmp_eq_u16_e32 vcc_lo, 44, v19
	s_cbranch_vccz .LBB65_425
; %bb.352:
	global_load_u8 v0, v[2:3], off
	s_mov_b32 s44, 0
	s_mov_b32 s0, -1
	s_waitcnt vmcnt(0)
	v_lshlrev_b32_e32 v1, 23, v0
	v_cmp_ne_u32_e32 vcc_lo, 0xff, v0
	s_delay_alu instid0(VALU_DEP_2) | instskip(SKIP_1) | instid1(VALU_DEP_2)
	v_cndmask_b32_e32 v1, 0x7f800001, v1, vcc_lo
	v_cmp_ne_u32_e32 vcc_lo, 0, v0
	v_cndmask_b32_e32 v0, 0x400000, v1, vcc_lo
	s_branch .LBB65_426
.LBB65_353:
	s_mov_b32 s0, s41
.LBB65_354:
	s_and_b32 vcc_lo, exec_lo, s2
	s_cbranch_vccz .LBB65_359
; %bb.355:
	v_cmp_eq_u16_e32 vcc_lo, 44, v4
	s_mov_b32 s0, -1
	s_cbranch_vccz .LBB65_359
; %bb.356:
	v_bfe_u32 v6, v0, 23, 8
	v_mov_b32_e32 v5, 0xff
	s_mov_b32 s1, exec_lo
	s_delay_alu instid0(VALU_DEP_2)
	v_cmpx_ne_u32_e32 0xff, v6
; %bb.357:
	v_and_b32_e32 v5, 0x400000, v0
	v_and_or_b32 v6, 0x3fffff, v0, v6
	s_delay_alu instid0(VALU_DEP_2) | instskip(NEXT) | instid1(VALU_DEP_2)
	v_cmp_ne_u32_e32 vcc_lo, 0, v5
	v_cmp_ne_u32_e64 s0, 0, v6
	v_lshrrev_b32_e32 v5, 23, v0
	s_delay_alu instid0(VALU_DEP_2) | instskip(NEXT) | instid1(SALU_CYCLE_1)
	s_and_b32 s0, vcc_lo, s0
	v_cndmask_b32_e64 v6, 0, 1, s0
	s_delay_alu instid0(VALU_DEP_1)
	v_add_nc_u32_e32 v5, v5, v6
; %bb.358:
	s_or_b32 exec_lo, exec_lo, s1
	s_mov_b32 s1, -1
	s_mov_b32 s0, 0
	global_store_b8 v[2:3], v5, off
.LBB65_359:
	s_mov_b32 s2, 0
.LBB65_360:
	s_delay_alu instid0(SALU_CYCLE_1)
	s_and_b32 vcc_lo, exec_lo, s2
	s_cbranch_vccz .LBB65_363
; %bb.361:
	v_cmp_eq_u16_e32 vcc_lo, 29, v4
	s_mov_b32 s0, -1
	s_cbranch_vccz .LBB65_363
; %bb.362:
	v_trunc_f32_e32 v5, v0
	s_mov_b32 s1, -1
	s_mov_b32 s0, 0
	s_mov_b32 s2, 0
	s_delay_alu instid0(VALU_DEP_1) | instskip(NEXT) | instid1(VALU_DEP_1)
	v_mul_f32_e32 v6, 0x2f800000, v5
	v_floor_f32_e32 v6, v6
	s_delay_alu instid0(VALU_DEP_1) | instskip(SKIP_1) | instid1(VALU_DEP_2)
	v_fmamk_f32 v5, v6, 0xcf800000, v5
	v_cvt_u32_f32_e32 v6, v6
	v_cvt_u32_f32_e32 v5, v5
	global_store_b64 v[2:3], v[5:6], off
	s_branch .LBB65_364
.LBB65_363:
	s_mov_b32 s2, 0
.LBB65_364:
	s_delay_alu instid0(SALU_CYCLE_1)
	s_and_b32 vcc_lo, exec_lo, s2
	s_cbranch_vccz .LBB65_380
; %bb.365:
	v_cmp_gt_i16_e32 vcc_lo, 27, v4
	s_mov_b32 s1, -1
	s_cbranch_vccnz .LBB65_371
; %bb.366:
	v_cmp_lt_i16_e32 vcc_lo, 27, v4
	s_cbranch_vccz .LBB65_368
; %bb.367:
	v_cvt_u32_f32_e32 v5, v0
	s_mov_b32 s1, 0
	global_store_b32 v[2:3], v5, off
.LBB65_368:
	s_and_not1_b32 vcc_lo, exec_lo, s1
	s_cbranch_vccnz .LBB65_370
; %bb.369:
	v_cvt_u32_f32_e32 v5, v0
	global_store_b16 v[2:3], v5, off
.LBB65_370:
	s_mov_b32 s1, 0
.LBB65_371:
	s_delay_alu instid0(SALU_CYCLE_1)
	s_and_not1_b32 vcc_lo, exec_lo, s1
	s_cbranch_vccnz .LBB65_379
; %bb.372:
	v_and_b32_e32 v5, 0x7fffffff, v0
	v_mov_b32_e32 v6, 0x80
	s_mov_b32 s1, exec_lo
	s_delay_alu instid0(VALU_DEP_2)
	v_cmpx_gt_u32_e32 0x43800000, v5
	s_cbranch_execz .LBB65_378
; %bb.373:
	v_cmp_lt_u32_e32 vcc_lo, 0x3bffffff, v5
	s_mov_b32 s2, 0
                                        ; implicit-def: $vgpr5
	s_and_saveexec_b32 s3, vcc_lo
	s_delay_alu instid0(SALU_CYCLE_1)
	s_xor_b32 s3, exec_lo, s3
	s_cbranch_execz .LBB65_569
; %bb.374:
	v_bfe_u32 v5, v0, 20, 1
	s_mov_b32 s2, exec_lo
	s_delay_alu instid0(VALU_DEP_1) | instskip(NEXT) | instid1(VALU_DEP_1)
	v_add3_u32 v5, v0, v5, 0x487ffff
	v_lshrrev_b32_e32 v5, 20, v5
	s_or_saveexec_b32 s3, s3
                                        ; implicit-def: $sgpr4
	s_delay_alu instid0(SALU_CYCLE_1)
	s_xor_b32 exec_lo, exec_lo, s3
	s_cbranch_execnz .LBB65_570
.LBB65_375:
	s_or_b32 exec_lo, exec_lo, s3
	v_mov_b32_e32 v6, s4
	s_and_saveexec_b32 s3, s2
.LBB65_376:
	v_lshrrev_b32_e32 v6, 24, v0
	s_delay_alu instid0(VALU_DEP_1)
	v_and_or_b32 v6, 0x80, v6, v5
.LBB65_377:
	s_or_b32 exec_lo, exec_lo, s3
.LBB65_378:
	s_delay_alu instid0(SALU_CYCLE_1)
	s_or_b32 exec_lo, exec_lo, s1
	global_store_b8 v[2:3], v6, off
.LBB65_379:
	s_mov_b32 s1, -1
.LBB65_380:
	s_mov_b32 s2, 0
.LBB65_381:
	s_delay_alu instid0(SALU_CYCLE_1)
	s_and_b32 vcc_lo, exec_lo, s2
	s_cbranch_vccz .LBB65_422
; %bb.382:
	v_cmp_lt_i16_e32 vcc_lo, 22, v4
	s_mov_b32 s2, -1
	s_cbranch_vccz .LBB65_414
; %bb.383:
	v_cmp_gt_i16_e32 vcc_lo, 24, v4
	s_mov_b32 s1, -1
	s_cbranch_vccnz .LBB65_403
; %bb.384:
	v_cmp_lt_i16_e32 vcc_lo, 24, v4
	s_cbranch_vccz .LBB65_392
; %bb.385:
	v_and_b32_e32 v5, 0x7fffffff, v0
	v_mov_b32_e32 v6, 0x80
	s_mov_b32 s1, exec_lo
	s_delay_alu instid0(VALU_DEP_2)
	v_cmpx_gt_u32_e32 0x47800000, v5
	s_cbranch_execz .LBB65_391
; %bb.386:
	v_cmp_lt_u32_e32 vcc_lo, 0x37ffffff, v5
	s_mov_b32 s2, 0
                                        ; implicit-def: $vgpr5
	s_and_saveexec_b32 s3, vcc_lo
	s_delay_alu instid0(SALU_CYCLE_1)
	s_xor_b32 s3, exec_lo, s3
	s_cbranch_execz .LBB65_572
; %bb.387:
	v_bfe_u32 v5, v0, 21, 1
	s_mov_b32 s2, exec_lo
	s_delay_alu instid0(VALU_DEP_1) | instskip(NEXT) | instid1(VALU_DEP_1)
	v_add3_u32 v5, v0, v5, 0x88fffff
	v_lshrrev_b32_e32 v5, 21, v5
	s_or_saveexec_b32 s3, s3
                                        ; implicit-def: $sgpr4
	s_delay_alu instid0(SALU_CYCLE_1)
	s_xor_b32 exec_lo, exec_lo, s3
	s_cbranch_execnz .LBB65_573
.LBB65_388:
	s_or_b32 exec_lo, exec_lo, s3
	v_mov_b32_e32 v6, s4
	s_and_saveexec_b32 s3, s2
.LBB65_389:
	v_lshrrev_b32_e32 v6, 24, v0
	s_delay_alu instid0(VALU_DEP_1)
	v_and_or_b32 v6, 0x80, v6, v5
.LBB65_390:
	s_or_b32 exec_lo, exec_lo, s3
.LBB65_391:
	s_delay_alu instid0(SALU_CYCLE_1)
	s_or_b32 exec_lo, exec_lo, s1
	s_mov_b32 s1, 0
	global_store_b8 v[2:3], v6, off
.LBB65_392:
	s_and_b32 vcc_lo, exec_lo, s1
	s_cbranch_vccz .LBB65_402
; %bb.393:
	v_and_b32_e32 v6, 0x7fffffff, v0
	s_mov_b32 s1, exec_lo
                                        ; implicit-def: $vgpr5
	s_delay_alu instid0(VALU_DEP_1)
	v_cmpx_gt_u32_e32 0x43f00000, v6
	s_xor_b32 s1, exec_lo, s1
	s_cbranch_execz .LBB65_399
; %bb.394:
	s_mov_b32 s2, exec_lo
                                        ; implicit-def: $vgpr5
	v_cmpx_lt_u32_e32 0x3c7fffff, v6
	s_xor_b32 s2, exec_lo, s2
; %bb.395:
	v_bfe_u32 v5, v0, 20, 1
	s_delay_alu instid0(VALU_DEP_1) | instskip(NEXT) | instid1(VALU_DEP_1)
	v_add3_u32 v5, v0, v5, 0x407ffff
	v_and_b32_e32 v6, 0xff00000, v5
	v_lshrrev_b32_e32 v5, 20, v5
	s_delay_alu instid0(VALU_DEP_2) | instskip(NEXT) | instid1(VALU_DEP_2)
	v_cmp_ne_u32_e32 vcc_lo, 0x7f00000, v6
	v_cndmask_b32_e32 v5, 0x7e, v5, vcc_lo
; %bb.396:
	s_and_not1_saveexec_b32 s2, s2
; %bb.397:
	v_add_f32_e64 v5, 0x46800000, |v0|
; %bb.398:
	s_or_b32 exec_lo, exec_lo, s2
                                        ; implicit-def: $vgpr6
.LBB65_399:
	s_and_not1_saveexec_b32 s1, s1
; %bb.400:
	v_mov_b32_e32 v5, 0x7f
	v_cmp_lt_u32_e32 vcc_lo, 0x7f800000, v6
	s_delay_alu instid0(VALU_DEP_2)
	v_cndmask_b32_e32 v5, 0x7e, v5, vcc_lo
; %bb.401:
	s_or_b32 exec_lo, exec_lo, s1
	v_lshrrev_b32_e32 v6, 24, v0
	s_delay_alu instid0(VALU_DEP_1)
	v_and_or_b32 v5, 0x80, v6, v5
	global_store_b8 v[2:3], v5, off
.LBB65_402:
	s_mov_b32 s1, 0
.LBB65_403:
	s_delay_alu instid0(SALU_CYCLE_1)
	s_and_not1_b32 vcc_lo, exec_lo, s1
	s_cbranch_vccnz .LBB65_413
; %bb.404:
	v_and_b32_e32 v6, 0x7fffffff, v0
	s_mov_b32 s1, exec_lo
                                        ; implicit-def: $vgpr5
	s_delay_alu instid0(VALU_DEP_1)
	v_cmpx_gt_u32_e32 0x47800000, v6
	s_xor_b32 s1, exec_lo, s1
	s_cbranch_execz .LBB65_410
; %bb.405:
	s_mov_b32 s2, exec_lo
                                        ; implicit-def: $vgpr5
	v_cmpx_lt_u32_e32 0x387fffff, v6
	s_xor_b32 s2, exec_lo, s2
; %bb.406:
	v_bfe_u32 v5, v0, 21, 1
	s_delay_alu instid0(VALU_DEP_1) | instskip(NEXT) | instid1(VALU_DEP_1)
	v_add3_u32 v5, v0, v5, 0x80fffff
	v_lshrrev_b32_e32 v5, 21, v5
; %bb.407:
	s_and_not1_saveexec_b32 s2, s2
; %bb.408:
	v_add_f32_e64 v5, 0x43000000, |v0|
; %bb.409:
	s_or_b32 exec_lo, exec_lo, s2
                                        ; implicit-def: $vgpr6
.LBB65_410:
	s_and_not1_saveexec_b32 s1, s1
; %bb.411:
	v_mov_b32_e32 v5, 0x7f
	v_cmp_lt_u32_e32 vcc_lo, 0x7f800000, v6
	s_delay_alu instid0(VALU_DEP_2)
	v_cndmask_b32_e32 v5, 0x7c, v5, vcc_lo
; %bb.412:
	s_or_b32 exec_lo, exec_lo, s1
	v_lshrrev_b32_e32 v6, 24, v0
	s_delay_alu instid0(VALU_DEP_1)
	v_and_or_b32 v5, 0x80, v6, v5
	global_store_b8 v[2:3], v5, off
.LBB65_413:
	s_mov_b32 s2, 0
	s_mov_b32 s1, -1
.LBB65_414:
	s_and_not1_b32 vcc_lo, exec_lo, s2
	s_cbranch_vccnz .LBB65_422
; %bb.415:
	v_cmp_lt_i16_e32 vcc_lo, 14, v4
	s_mov_b32 s2, -1
	s_cbranch_vccz .LBB65_419
; %bb.416:
	v_cmp_eq_u16_e32 vcc_lo, 15, v4
	s_mov_b32 s0, -1
	s_cbranch_vccz .LBB65_418
; %bb.417:
	v_bfe_u32 v5, v0, 16, 1
	v_cmp_o_f32_e32 vcc_lo, v0, v0
	s_mov_b32 s1, -1
	s_mov_b32 s0, 0
	s_delay_alu instid0(VALU_DEP_2) | instskip(NEXT) | instid1(VALU_DEP_1)
	v_add3_u32 v5, v0, v5, 0x7fff
	v_lshrrev_b32_e32 v5, 16, v5
	s_delay_alu instid0(VALU_DEP_1)
	v_cndmask_b32_e32 v5, 0x7fc0, v5, vcc_lo
	global_store_b16 v[2:3], v5, off
.LBB65_418:
	s_mov_b32 s2, 0
.LBB65_419:
	s_delay_alu instid0(SALU_CYCLE_1)
	s_and_b32 vcc_lo, exec_lo, s2
	s_cbranch_vccz .LBB65_422
; %bb.420:
	v_cmp_eq_u16_e32 vcc_lo, 11, v4
	s_mov_b32 s0, -1
	s_cbranch_vccz .LBB65_422
; %bb.421:
	v_or_b32_e32 v5, v0, v1
	s_mov_b32 s0, 0
	s_mov_b32 s1, -1
	s_delay_alu instid0(VALU_DEP_1) | instskip(NEXT) | instid1(VALU_DEP_1)
	v_and_b32_e32 v5, 0x7fffffff, v5
	v_cmp_ne_u32_e32 vcc_lo, 0, v5
	v_cndmask_b32_e64 v5, 0, 1, vcc_lo
	global_store_b8 v[2:3], v5, off
.LBB65_422:
.LBB65_423:
	s_and_not1_b32 vcc_lo, exec_lo, s1
	s_cbranch_vccnz .LBB65_338
.LBB65_424:
	v_add_nc_u32_e32 v20, 0x80, v20
	s_mov_b32 s1, -1
	s_branch .LBB65_542
.LBB65_425:
	s_mov_b32 s44, -1
                                        ; implicit-def: $vgpr0
.LBB65_426:
	s_delay_alu instid0(SALU_CYCLE_1)
	v_mov_b32_e32 v1, s44
.LBB65_427:
	s_mov_b32 s1, 0
.LBB65_428:
	s_delay_alu instid0(SALU_CYCLE_1)
	s_and_b32 vcc_lo, exec_lo, s1
	s_cbranch_vccz .LBB65_433
; %bb.429:
	v_cmp_eq_u16_e32 vcc_lo, 29, v19
	s_cbranch_vccz .LBB65_431
; %bb.430:
	global_load_b64 v[0:1], v[2:3], off
	s_mov_b32 s0, -1
	s_mov_b32 s44, 0
	s_mov_b32 s1, 0
	s_waitcnt vmcnt(0)
	v_clz_i32_u32_e32 v4, v1
	s_delay_alu instid0(VALU_DEP_1) | instskip(NEXT) | instid1(VALU_DEP_1)
	v_min_u32_e32 v4, 32, v4
	v_lshlrev_b64 v[0:1], v4, v[0:1]
	s_delay_alu instid0(VALU_DEP_1) | instskip(NEXT) | instid1(VALU_DEP_1)
	v_min_u32_e32 v0, 1, v0
	v_or_b32_e32 v0, v1, v0
	v_sub_nc_u32_e32 v1, 32, v4
	s_delay_alu instid0(VALU_DEP_2) | instskip(NEXT) | instid1(VALU_DEP_1)
	v_cvt_f32_u32_e32 v0, v0
	v_ldexp_f32 v0, v0, v1
	s_branch .LBB65_432
.LBB65_431:
	s_mov_b32 s44, -1
                                        ; implicit-def: $sgpr1
                                        ; implicit-def: $vgpr0
.LBB65_432:
	v_mov_b32_e32 v1, s1
.LBB65_433:
	s_mov_b32 s1, 0
.LBB65_434:
	s_delay_alu instid0(SALU_CYCLE_1)
	s_and_b32 vcc_lo, exec_lo, s1
	s_cbranch_vccz .LBB65_454
; %bb.435:
	v_cmp_gt_i16_e32 vcc_lo, 27, v19
	s_cbranch_vccnz .LBB65_438
; %bb.436:
	v_cmp_lt_i16_e32 vcc_lo, 27, v19
	s_cbranch_vccz .LBB65_439
; %bb.437:
	global_load_b32 v0, v[2:3], off
	s_mov_b32 s1, 0
	s_mov_b32 s0, 0
	s_waitcnt vmcnt(0)
	v_cvt_f32_u32_e32 v0, v0
	s_branch .LBB65_440
.LBB65_438:
	s_mov_b32 s1, -1
                                        ; implicit-def: $sgpr0
                                        ; implicit-def: $vgpr0
	s_branch .LBB65_443
.LBB65_439:
	s_mov_b32 s1, -1
                                        ; implicit-def: $sgpr0
                                        ; implicit-def: $vgpr0
.LBB65_440:
	s_delay_alu instid0(SALU_CYCLE_1)
	s_and_not1_b32 vcc_lo, exec_lo, s1
	s_cbranch_vccnz .LBB65_442
; %bb.441:
	global_load_u16 v0, v[2:3], off
	s_mov_b32 s0, 0
	s_waitcnt vmcnt(0)
	v_cvt_f32_u32_e32 v0, v0
.LBB65_442:
	s_mov_b32 s1, 0
.LBB65_443:
	v_mov_b32_e32 v1, s0
	s_and_not1_b32 vcc_lo, exec_lo, s1
	s_cbranch_vccnz .LBB65_453
; %bb.444:
	global_load_u8 v4, v[2:3], off
	s_mov_b32 s0, 0
	s_mov_b32 s3, exec_lo
                                        ; implicit-def: $sgpr2
                                        ; implicit-def: $sgpr1
	s_waitcnt vmcnt(0)
	v_cmpx_lt_i16_e32 0x7f, v4
	s_xor_b32 s3, exec_lo, s3
	s_cbranch_execz .LBB65_448
; %bb.445:
	s_mov_b32 s0, -1
	s_mov_b32 s4, exec_lo
                                        ; implicit-def: $sgpr2
                                        ; implicit-def: $sgpr1
	v_cmpx_eq_u16_e32 0x80, v4
; %bb.446:
	s_mov_b32 s1, 0x7f800001
	s_mov_b32 s2, 0
	s_xor_b32 s0, exec_lo, -1
; %bb.447:
	s_or_b32 exec_lo, exec_lo, s4
	s_delay_alu instid0(SALU_CYCLE_1)
	s_and_b32 s0, s0, exec_lo
.LBB65_448:
	s_or_saveexec_b32 s3, s3
	v_dual_mov_b32 v1, s2 :: v_dual_mov_b32 v0, s1
	s_xor_b32 exec_lo, exec_lo, s3
; %bb.449:
	v_cmp_ne_u16_e32 vcc_lo, 0, v4
	v_dual_mov_b32 v1, 0 :: v_dual_mov_b32 v0, 0
	s_and_not1_b32 s0, s0, exec_lo
	s_and_b32 s1, vcc_lo, exec_lo
	s_delay_alu instid0(SALU_CYCLE_1)
	s_or_b32 s0, s0, s1
; %bb.450:
	s_or_b32 exec_lo, exec_lo, s3
	s_and_saveexec_b32 s1, s0
	s_cbranch_execz .LBB65_452
; %bb.451:
	v_and_b32_e32 v0, 0xffff, v4
	v_lshlrev_b32_e32 v4, 24, v4
	s_delay_alu instid0(VALU_DEP_2) | instskip(NEXT) | instid1(VALU_DEP_2)
	v_and_b32_e32 v1, 7, v0
	v_and_b32_e32 v4, 0x80000000, v4
	s_delay_alu instid0(VALU_DEP_2) | instskip(NEXT) | instid1(VALU_DEP_1)
	v_clz_i32_u32_e32 v5, v1
	v_min_u32_e32 v5, 32, v5
	s_delay_alu instid0(VALU_DEP_1) | instskip(SKIP_1) | instid1(VALU_DEP_2)
	v_subrev_nc_u32_e32 v6, 28, v5
	v_sub_nc_u32_e32 v5, 29, v5
	v_lshlrev_b32_e32 v6, v6, v0
	v_bfe_u32 v0, v0, 3, 4
	s_delay_alu instid0(VALU_DEP_2) | instskip(NEXT) | instid1(VALU_DEP_2)
	v_and_b32_e32 v6, 7, v6
	v_cmp_eq_u32_e32 vcc_lo, 0, v0
	s_delay_alu instid0(VALU_DEP_2) | instskip(NEXT) | instid1(VALU_DEP_1)
	v_dual_cndmask_b32 v0, v0, v5 :: v_dual_cndmask_b32 v1, v1, v6
	v_lshl_add_u32 v0, v0, 23, 0x3b800000
	s_delay_alu instid0(VALU_DEP_2) | instskip(NEXT) | instid1(VALU_DEP_1)
	v_lshlrev_b32_e32 v1, 20, v1
	v_or3_b32 v0, v4, v0, v1
	v_mov_b32_e32 v1, 0
.LBB65_452:
	s_or_b32 exec_lo, exec_lo, s1
.LBB65_453:
	s_mov_b32 s0, -1
.LBB65_454:
	s_mov_b32 s1, 0
.LBB65_455:
	s_delay_alu instid0(SALU_CYCLE_1)
	s_and_b32 vcc_lo, exec_lo, s1
	s_cbranch_vccz .LBB65_489
; %bb.456:
	v_cmp_lt_i16_e32 vcc_lo, 22, v19
	s_cbranch_vccz .LBB65_468
; %bb.457:
	v_cmp_gt_i16_e32 vcc_lo, 24, v19
	s_cbranch_vccnz .LBB65_469
; %bb.458:
	v_cmp_lt_i16_e32 vcc_lo, 24, v19
	s_cbranch_vccz .LBB65_470
; %bb.459:
	global_load_u8 v4, v[2:3], off
	s_mov_b32 s0, 0
	s_mov_b32 s3, exec_lo
                                        ; implicit-def: $sgpr2
                                        ; implicit-def: $sgpr1
	s_waitcnt vmcnt(0)
	v_cmpx_lt_i16_e32 0x7f, v4
	s_xor_b32 s3, exec_lo, s3
	s_cbranch_execz .LBB65_463
; %bb.460:
	s_mov_b32 s0, -1
	s_mov_b32 s4, exec_lo
                                        ; implicit-def: $sgpr2
                                        ; implicit-def: $sgpr1
	v_cmpx_eq_u16_e32 0x80, v4
; %bb.461:
	s_mov_b32 s1, 0x7f800001
	s_mov_b32 s2, 0
	s_xor_b32 s0, exec_lo, -1
; %bb.462:
	s_or_b32 exec_lo, exec_lo, s4
	s_delay_alu instid0(SALU_CYCLE_1)
	s_and_b32 s0, s0, exec_lo
.LBB65_463:
	s_or_saveexec_b32 s3, s3
	v_dual_mov_b32 v1, s2 :: v_dual_mov_b32 v0, s1
	s_xor_b32 exec_lo, exec_lo, s3
; %bb.464:
	v_cmp_ne_u16_e32 vcc_lo, 0, v4
	v_dual_mov_b32 v1, 0 :: v_dual_mov_b32 v0, 0
	s_and_not1_b32 s0, s0, exec_lo
	s_and_b32 s1, vcc_lo, exec_lo
	s_delay_alu instid0(SALU_CYCLE_1)
	s_or_b32 s0, s0, s1
; %bb.465:
	s_or_b32 exec_lo, exec_lo, s3
	s_and_saveexec_b32 s1, s0
	s_cbranch_execz .LBB65_467
; %bb.466:
	v_and_b32_e32 v0, 0xffff, v4
	v_lshlrev_b32_e32 v4, 24, v4
	s_delay_alu instid0(VALU_DEP_2) | instskip(NEXT) | instid1(VALU_DEP_2)
	v_and_b32_e32 v1, 3, v0
	v_and_b32_e32 v4, 0x80000000, v4
	s_delay_alu instid0(VALU_DEP_2) | instskip(NEXT) | instid1(VALU_DEP_1)
	v_clz_i32_u32_e32 v5, v1
	v_min_u32_e32 v5, 32, v5
	s_delay_alu instid0(VALU_DEP_1) | instskip(SKIP_1) | instid1(VALU_DEP_2)
	v_subrev_nc_u32_e32 v6, 29, v5
	v_sub_nc_u32_e32 v5, 30, v5
	v_lshlrev_b32_e32 v6, v6, v0
	v_bfe_u32 v0, v0, 2, 5
	s_delay_alu instid0(VALU_DEP_2) | instskip(NEXT) | instid1(VALU_DEP_2)
	v_and_b32_e32 v6, 3, v6
	v_cmp_eq_u32_e32 vcc_lo, 0, v0
	s_delay_alu instid0(VALU_DEP_2) | instskip(NEXT) | instid1(VALU_DEP_1)
	v_dual_cndmask_b32 v0, v0, v5 :: v_dual_cndmask_b32 v1, v1, v6
	v_lshl_add_u32 v0, v0, 23, 0x37800000
	s_delay_alu instid0(VALU_DEP_2) | instskip(NEXT) | instid1(VALU_DEP_1)
	v_lshlrev_b32_e32 v1, 21, v1
	v_or3_b32 v0, v4, v0, v1
	v_mov_b32_e32 v1, 0
.LBB65_467:
	s_or_b32 exec_lo, exec_lo, s1
	s_mov_b32 s0, 0
	s_branch .LBB65_471
.LBB65_468:
	s_mov_b32 s1, -1
                                        ; implicit-def: $vgpr1
	s_branch .LBB65_477
.LBB65_469:
	s_mov_b32 s0, -1
                                        ; implicit-def: $vgpr1
	s_branch .LBB65_474
.LBB65_470:
	s_mov_b32 s0, -1
                                        ; implicit-def: $vgpr1
.LBB65_471:
	s_delay_alu instid0(SALU_CYCLE_1)
	s_and_b32 vcc_lo, exec_lo, s0
	s_cbranch_vccz .LBB65_473
; %bb.472:
	global_load_u8 v0, v[2:3], off
	s_waitcnt vmcnt(0)
	v_lshlrev_b32_e32 v0, 24, v0
	s_delay_alu instid0(VALU_DEP_1) | instskip(NEXT) | instid1(VALU_DEP_1)
	v_and_b32_e32 v1, 0x7f000000, v0
	v_clz_i32_u32_e32 v4, v1
	v_cmp_ne_u32_e32 vcc_lo, 0, v1
	v_add_nc_u32_e32 v6, 0x1000000, v1
	s_delay_alu instid0(VALU_DEP_3) | instskip(NEXT) | instid1(VALU_DEP_1)
	v_min_u32_e32 v4, 32, v4
	v_sub_nc_u32_e64 v4, v4, 4 clamp
	s_delay_alu instid0(VALU_DEP_1) | instskip(SKIP_1) | instid1(VALU_DEP_2)
	v_lshlrev_b32_e32 v5, v4, v1
	v_lshlrev_b32_e32 v4, 23, v4
	v_lshrrev_b32_e32 v5, 4, v5
	s_delay_alu instid0(VALU_DEP_1) | instskip(SKIP_1) | instid1(VALU_DEP_2)
	v_sub_nc_u32_e32 v4, v5, v4
	v_ashrrev_i32_e32 v5, 8, v6
	v_add_nc_u32_e32 v4, 0x3c000000, v4
	s_delay_alu instid0(VALU_DEP_1) | instskip(NEXT) | instid1(VALU_DEP_1)
	v_and_or_b32 v4, 0x7f800000, v5, v4
	v_cndmask_b32_e32 v1, 0, v4, vcc_lo
	s_delay_alu instid0(VALU_DEP_1)
	v_and_or_b32 v0, 0x80000000, v0, v1
	v_mov_b32_e32 v1, 0
.LBB65_473:
	s_mov_b32 s0, 0
.LBB65_474:
	s_delay_alu instid0(SALU_CYCLE_1)
	s_and_not1_b32 vcc_lo, exec_lo, s0
	s_cbranch_vccnz .LBB65_476
; %bb.475:
	global_load_u8 v0, v[2:3], off
	s_waitcnt vmcnt(0)
	v_lshlrev_b32_e32 v1, 25, v0
	v_lshlrev_b16 v0, 8, v0
	s_delay_alu instid0(VALU_DEP_2) | instskip(NEXT) | instid1(VALU_DEP_2)
	v_lshrrev_b32_e32 v4, 4, v1
	v_and_or_b32 v5, 0x7f00, v0, 0.5
	v_cmp_gt_u32_e32 vcc_lo, 0x8000000, v1
	v_bfe_i32 v0, v0, 0, 16
	s_delay_alu instid0(VALU_DEP_4) | instskip(NEXT) | instid1(VALU_DEP_1)
	v_or_b32_e32 v4, 0x70000000, v4
	v_dual_add_f32 v5, -0.5, v5 :: v_dual_mul_f32 v4, 0x7800000, v4
	s_delay_alu instid0(VALU_DEP_1) | instskip(NEXT) | instid1(VALU_DEP_1)
	v_cndmask_b32_e32 v1, v4, v5, vcc_lo
	v_and_or_b32 v0, 0x80000000, v0, v1
	v_mov_b32_e32 v1, 0
.LBB65_476:
	s_mov_b32 s1, 0
	s_mov_b32 s0, -1
.LBB65_477:
	s_and_not1_b32 vcc_lo, exec_lo, s1
	s_cbranch_vccnz .LBB65_489
; %bb.478:
	v_cmp_lt_i16_e32 vcc_lo, 14, v19
	s_cbranch_vccz .LBB65_481
; %bb.479:
	v_cmp_eq_u16_e32 vcc_lo, 15, v19
	s_cbranch_vccz .LBB65_482
; %bb.480:
	global_load_u16 v0, v[2:3], off
	s_mov_b32 s0, -1
	s_mov_b32 s44, 0
	s_mov_b32 s1, 0
	s_waitcnt vmcnt(0)
	v_lshlrev_b32_e32 v0, 16, v0
	s_branch .LBB65_483
.LBB65_481:
	s_mov_b32 s2, -1
                                        ; implicit-def: $sgpr1
                                        ; implicit-def: $vgpr0
	s_branch .LBB65_484
.LBB65_482:
	s_mov_b32 s44, -1
                                        ; implicit-def: $sgpr1
                                        ; implicit-def: $vgpr0
.LBB65_483:
	s_mov_b32 s2, 0
.LBB65_484:
	s_delay_alu instid0(SALU_CYCLE_1)
	s_and_b32 vcc_lo, exec_lo, s2
	s_cbranch_vccz .LBB65_488
; %bb.485:
	v_cmp_eq_u16_e32 vcc_lo, 11, v19
	s_cbranch_vccz .LBB65_487
; %bb.486:
	global_load_u8 v0, v[2:3], off
	s_mov_b32 s1, 0
	s_mov_b32 s0, -1
	s_mov_b32 s44, 0
	s_waitcnt vmcnt(0)
	v_cmp_ne_u16_e32 vcc_lo, 0, v0
	v_cndmask_b32_e64 v0, 0, 1.0, vcc_lo
	s_branch .LBB65_488
.LBB65_487:
	s_mov_b32 s44, -1
                                        ; implicit-def: $sgpr1
                                        ; implicit-def: $vgpr0
.LBB65_488:
	v_mov_b32_e32 v1, s1
.LBB65_489:
	s_branch .LBB65_291
.LBB65_490:
	v_cmp_gt_i16_e32 vcc_lo, 5, v19
	s_cbranch_vccnz .LBB65_495
; %bb.491:
	v_cmp_gt_i16_e32 vcc_lo, 8, v19
	s_cbranch_vccnz .LBB65_496
; %bb.492:
	;; [unrolled: 3-line block ×3, first 2 shown]
	v_cmp_lt_i16_e32 vcc_lo, 9, v19
	s_cbranch_vccz .LBB65_498
; %bb.494:
	global_load_b128 v[4:7], v[2:3], off
	s_mov_b32 s0, 0
	s_waitcnt vmcnt(0)
	v_cvt_f32_f64_e32 v0, v[4:5]
	v_cvt_f32_f64_e32 v1, v[6:7]
	s_branch .LBB65_499
.LBB65_495:
	s_mov_b32 s0, -1
                                        ; implicit-def: $vgpr1
	s_branch .LBB65_518
.LBB65_496:
	s_mov_b32 s0, -1
                                        ; implicit-def: $vgpr1
	s_branch .LBB65_505
.LBB65_497:
	s_mov_b32 s0, -1
                                        ; implicit-def: $vgpr1
	s_branch .LBB65_502
.LBB65_498:
	s_mov_b32 s0, -1
                                        ; implicit-def: $vgpr1
.LBB65_499:
	s_delay_alu instid0(SALU_CYCLE_1)
	s_and_not1_b32 vcc_lo, exec_lo, s0
	s_cbranch_vccnz .LBB65_501
; %bb.500:
	global_load_b64 v[0:1], v[2:3], off
.LBB65_501:
	s_mov_b32 s0, 0
.LBB65_502:
	s_delay_alu instid0(SALU_CYCLE_1)
	s_and_not1_b32 vcc_lo, exec_lo, s0
	s_cbranch_vccnz .LBB65_504
; %bb.503:
	global_load_b32 v0, v[2:3], off
	s_waitcnt vmcnt(0)
	v_lshrrev_b32_e32 v1, 16, v0
	v_cvt_f32_f16_e32 v0, v0
	s_delay_alu instid0(VALU_DEP_2)
	v_cvt_f32_f16_e32 v1, v1
.LBB65_504:
	s_mov_b32 s0, 0
.LBB65_505:
	s_delay_alu instid0(SALU_CYCLE_1)
	s_and_not1_b32 vcc_lo, exec_lo, s0
	s_cbranch_vccnz .LBB65_517
; %bb.506:
	v_cmp_gt_i16_e32 vcc_lo, 6, v19
	s_cbranch_vccnz .LBB65_509
; %bb.507:
	v_cmp_lt_i16_e32 vcc_lo, 6, v19
	s_cbranch_vccz .LBB65_510
; %bb.508:
	global_load_b64 v[0:1], v[2:3], off
	s_mov_b32 s1, 0
	s_mov_b32 s0, 0
	s_waitcnt vmcnt(0)
	v_cvt_f32_f64_e32 v0, v[0:1]
	s_branch .LBB65_511
.LBB65_509:
	s_mov_b32 s1, -1
                                        ; implicit-def: $sgpr0
                                        ; implicit-def: $vgpr0
	s_branch .LBB65_514
.LBB65_510:
	s_mov_b32 s1, -1
                                        ; implicit-def: $sgpr0
                                        ; implicit-def: $vgpr0
.LBB65_511:
	s_delay_alu instid0(SALU_CYCLE_1)
	s_and_not1_b32 vcc_lo, exec_lo, s1
	s_cbranch_vccnz .LBB65_513
; %bb.512:
	global_load_b32 v0, v[2:3], off
	s_mov_b32 s0, 0
.LBB65_513:
	s_mov_b32 s1, 0
.LBB65_514:
	s_delay_alu instid0(SALU_CYCLE_1)
	s_and_not1_b32 vcc_lo, exec_lo, s1
	s_cbranch_vccnz .LBB65_516
; %bb.515:
	global_load_u16 v0, v[2:3], off
	s_mov_b32 s0, 0
	s_waitcnt vmcnt(0)
	v_cvt_f32_f16_e32 v0, v0
.LBB65_516:
	s_waitcnt vmcnt(0)
	v_mov_b32_e32 v1, s0
.LBB65_517:
	s_mov_b32 s0, 0
.LBB65_518:
	s_delay_alu instid0(SALU_CYCLE_1)
	s_and_not1_b32 vcc_lo, exec_lo, s0
	s_cbranch_vccnz .LBB65_539
; %bb.519:
	v_cmp_gt_i16_e32 vcc_lo, 2, v19
	s_cbranch_vccnz .LBB65_523
; %bb.520:
	v_cmp_gt_i16_e32 vcc_lo, 3, v19
	s_cbranch_vccnz .LBB65_524
; %bb.521:
	v_cmp_lt_i16_e32 vcc_lo, 3, v19
	s_cbranch_vccz .LBB65_525
; %bb.522:
	global_load_b64 v[0:1], v[2:3], off
	s_mov_b32 s1, 0
	s_mov_b32 s0, 0
	s_waitcnt vmcnt(0)
	v_xor_b32_e32 v4, v0, v1
	v_cls_i32_e32 v5, v1
	s_delay_alu instid0(VALU_DEP_2) | instskip(NEXT) | instid1(VALU_DEP_2)
	v_ashrrev_i32_e32 v4, 31, v4
	v_add_nc_u32_e32 v5, -1, v5
	s_delay_alu instid0(VALU_DEP_2) | instskip(NEXT) | instid1(VALU_DEP_1)
	v_add_nc_u32_e32 v4, 32, v4
	v_min_u32_e32 v4, v5, v4
	s_delay_alu instid0(VALU_DEP_1) | instskip(NEXT) | instid1(VALU_DEP_1)
	v_lshlrev_b64 v[0:1], v4, v[0:1]
	v_min_u32_e32 v0, 1, v0
	s_delay_alu instid0(VALU_DEP_1) | instskip(SKIP_1) | instid1(VALU_DEP_2)
	v_or_b32_e32 v0, v1, v0
	v_sub_nc_u32_e32 v1, 32, v4
	v_cvt_f32_i32_e32 v0, v0
	s_delay_alu instid0(VALU_DEP_1)
	v_ldexp_f32 v0, v0, v1
	s_branch .LBB65_526
.LBB65_523:
	s_mov_b32 s1, -1
                                        ; implicit-def: $sgpr0
                                        ; implicit-def: $vgpr0
	s_branch .LBB65_532
.LBB65_524:
	s_mov_b32 s1, -1
                                        ; implicit-def: $sgpr0
                                        ; implicit-def: $vgpr0
	s_branch .LBB65_529
.LBB65_525:
	s_mov_b32 s1, -1
                                        ; implicit-def: $sgpr0
                                        ; implicit-def: $vgpr0
.LBB65_526:
	s_delay_alu instid0(SALU_CYCLE_1)
	s_and_not1_b32 vcc_lo, exec_lo, s1
	s_cbranch_vccnz .LBB65_528
; %bb.527:
	global_load_b32 v0, v[2:3], off
	s_mov_b32 s0, 0
	s_waitcnt vmcnt(0)
	v_cvt_f32_i32_e32 v0, v0
.LBB65_528:
	s_mov_b32 s1, 0
.LBB65_529:
	s_delay_alu instid0(SALU_CYCLE_1)
	s_and_not1_b32 vcc_lo, exec_lo, s1
	s_cbranch_vccnz .LBB65_531
; %bb.530:
	global_load_i16 v0, v[2:3], off
	s_mov_b32 s0, 0
	s_waitcnt vmcnt(0)
	v_cvt_f32_i32_e32 v0, v0
.LBB65_531:
	s_mov_b32 s1, 0
.LBB65_532:
	s_delay_alu instid0(SALU_CYCLE_1)
	s_and_not1_b32 vcc_lo, exec_lo, s1
	s_cbranch_vccnz .LBB65_538
; %bb.533:
	v_cmp_lt_i16_e32 vcc_lo, 0, v19
	s_mov_b32 s1, 0
	s_cbranch_vccz .LBB65_535
; %bb.534:
	global_load_i8 v0, v[2:3], off
	s_mov_b32 s0, 0
	s_waitcnt vmcnt(0)
	v_cvt_f32_i32_e32 v0, v0
	s_branch .LBB65_536
.LBB65_535:
	s_mov_b32 s1, -1
                                        ; implicit-def: $sgpr0
                                        ; implicit-def: $vgpr0
.LBB65_536:
	s_delay_alu instid0(SALU_CYCLE_1)
	s_and_not1_b32 vcc_lo, exec_lo, s1
	s_cbranch_vccnz .LBB65_538
; %bb.537:
	global_load_u8 v0, v[2:3], off
	s_mov_b32 s0, 0
	s_waitcnt vmcnt(0)
	v_cvt_f32_ubyte0_e32 v0, v0
.LBB65_538:
	s_waitcnt vmcnt(0)
	v_mov_b32_e32 v1, s0
.LBB65_539:
	s_branch .LBB65_292
.LBB65_540:
	s_mov_b32 s1, 0
	s_mov_b32 s0, s41
.LBB65_541:
                                        ; implicit-def: $vgpr20
.LBB65_542:
	s_and_not1_b32 s2, s41, exec_lo
	s_and_b32 s0, s0, exec_lo
	s_and_not1_b32 s3, s42, exec_lo
	s_and_b32 s4, s44, exec_lo
	s_or_b32 s45, s2, s0
	s_or_b32 s44, s3, s4
	s_or_not1_b32 s0, s1, exec_lo
.LBB65_543:
	s_or_b32 exec_lo, exec_lo, s46
	s_mov_b32 s1, 0
	s_mov_b32 s2, 0
	;; [unrolled: 1-line block ×3, first 2 shown]
                                        ; implicit-def: $vgpr3_vgpr4
                                        ; implicit-def: $vgpr17
                                        ; implicit-def: $vgpr2
	s_and_saveexec_b32 s46, s0
	s_cbranch_execz .LBB65_923
; %bb.544:
	s_mov_b32 s3, -1
	s_mov_b32 s4, s44
	s_mov_b32 s5, s45
	s_mov_b32 s47, exec_lo
	v_cmpx_gt_i32_e64 s38, v20
	s_cbranch_execz .LBB65_821
; %bb.545:
	s_and_not1_b32 vcc_lo, exec_lo, s35
	s_cbranch_vccnz .LBB65_550
; %bb.546:
	s_waitcnt vmcnt(0)
	v_dual_mov_b32 v17, 0 :: v_dual_mov_b32 v0, 0
	s_and_not1_b32 vcc_lo, exec_lo, s40
	s_mov_b32 s4, 0
	s_cbranch_vccnz .LBB65_555
; %bb.547:
	v_mov_b32_e32 v17, 0
	s_add_i32 s6, s39, 1
	s_cmp_eq_u32 s33, 2
	s_mov_b32 s5, 0
	s_cbranch_scc1 .LBB65_551
; %bb.548:
	v_dual_mov_b32 v0, 0 :: v_dual_mov_b32 v17, 0
	v_mov_b32_e32 v1, v20
	s_and_b32 s5, s6, 28
	s_mov_b32 s7, 0
	s_mov_b64 s[0:1], s[28:29]
	s_mov_b64 s[2:3], s[24:25]
.LBB65_549:                             ; =>This Inner Loop Header: Depth=1
	s_clause 0x1
	s_load_b256 s[48:55], s[2:3], 0x4
	s_load_b128 s[64:67], s[2:3], 0x24
	s_load_b256 s[56:63], s[0:1], 0x0
	s_add_u32 s2, s2, 48
	s_addc_u32 s3, s3, 0
	s_add_i32 s7, s7, 4
	s_add_u32 s0, s0, 32
	s_addc_u32 s1, s1, 0
	s_cmp_eq_u32 s5, s7
	s_waitcnt lgkmcnt(0)
	v_mul_hi_u32 v2, s49, v1
	s_delay_alu instid0(VALU_DEP_1) | instskip(NEXT) | instid1(VALU_DEP_1)
	v_add_nc_u32_e32 v2, v1, v2
	v_lshrrev_b32_e32 v2, s50, v2
	s_delay_alu instid0(VALU_DEP_1) | instskip(SKIP_1) | instid1(VALU_DEP_2)
	v_mul_hi_u32 v3, s52, v2
	v_mul_lo_u32 v5, v2, s48
	v_add_nc_u32_e32 v3, v2, v3
	s_delay_alu instid0(VALU_DEP_2) | instskip(NEXT) | instid1(VALU_DEP_2)
	v_sub_nc_u32_e32 v1, v1, v5
	v_lshrrev_b32_e32 v3, s53, v3
	s_delay_alu instid0(VALU_DEP_2) | instskip(SKIP_1) | instid1(VALU_DEP_3)
	v_mul_lo_u32 v5, v1, s56
	v_mul_lo_u32 v7, v1, s57
	v_mul_hi_u32 v4, s55, v3
	s_delay_alu instid0(VALU_DEP_1) | instskip(NEXT) | instid1(VALU_DEP_1)
	v_add_nc_u32_e32 v4, v3, v4
	v_lshrrev_b32_e32 v4, s64, v4
	s_delay_alu instid0(VALU_DEP_1) | instskip(SKIP_1) | instid1(VALU_DEP_2)
	v_mul_hi_u32 v6, s66, v4
	v_mul_lo_u32 v8, v4, s54
	v_add_nc_u32_e32 v1, v4, v6
	v_mul_lo_u32 v6, v3, s51
	s_delay_alu instid0(VALU_DEP_3) | instskip(NEXT) | instid1(VALU_DEP_3)
	v_sub_nc_u32_e32 v3, v3, v8
	v_lshrrev_b32_e32 v1, s67, v1
	s_delay_alu instid0(VALU_DEP_2) | instskip(SKIP_2) | instid1(VALU_DEP_4)
	v_mul_lo_u32 v8, v3, s60
	v_mul_lo_u32 v3, v3, s61
	v_sub_nc_u32_e32 v2, v2, v6
	v_mul_lo_u32 v9, v1, s65
	s_delay_alu instid0(VALU_DEP_2) | instskip(SKIP_1) | instid1(VALU_DEP_3)
	v_mul_lo_u32 v6, v2, s58
	v_mul_lo_u32 v2, v2, s59
	v_sub_nc_u32_e32 v4, v4, v9
	s_delay_alu instid0(VALU_DEP_3) | instskip(NEXT) | instid1(VALU_DEP_2)
	v_add3_u32 v5, v5, v17, v6
	v_mul_lo_u32 v9, v4, s62
	v_mul_lo_u32 v4, v4, s63
	v_add3_u32 v0, v7, v0, v2
	s_delay_alu instid0(VALU_DEP_3) | instskip(NEXT) | instid1(VALU_DEP_2)
	v_add3_u32 v17, v8, v5, v9
	v_add3_u32 v0, v3, v0, v4
	s_cbranch_scc0 .LBB65_549
	s_branch .LBB65_552
.LBB65_550:
	s_mov_b32 s4, -1
                                        ; implicit-def: $vgpr17
                                        ; implicit-def: $vgpr0
	s_branch .LBB65_555
.LBB65_551:
	v_dual_mov_b32 v1, v20 :: v_dual_mov_b32 v0, 0
.LBB65_552:
	s_and_b32 s6, s6, 3
	s_delay_alu instid0(SALU_CYCLE_1)
	s_cmp_eq_u32 s6, 0
	s_cbranch_scc1 .LBB65_555
; %bb.553:
	s_lshl_b32 s0, s5, 3
	s_mul_i32 s2, s5, 12
	s_add_u32 s0, s0, s24
	s_addc_u32 s1, s25, 0
	s_add_u32 s0, s0, 0xc4
	s_addc_u32 s1, s1, 0
	;; [unrolled: 2-line block ×3, first 2 shown]
	.p2align	6
.LBB65_554:                             ; =>This Inner Loop Header: Depth=1
	s_clause 0x1
	s_load_b64 s[30:31], s[2:3], 0x4
	s_load_b32 s5, s[2:3], 0xc
	s_load_b64 s[48:49], s[0:1], 0x0
	s_add_u32 s2, s2, 12
	s_addc_u32 s3, s3, 0
	s_add_u32 s0, s0, 8
	s_addc_u32 s1, s1, 0
	s_add_i32 s6, s6, -1
	s_delay_alu instid0(SALU_CYCLE_1) | instskip(SKIP_2) | instid1(VALU_DEP_1)
	s_cmp_lg_u32 s6, 0
	s_waitcnt lgkmcnt(0)
	v_mul_hi_u32 v2, s31, v1
	v_add_nc_u32_e32 v2, v1, v2
	s_delay_alu instid0(VALU_DEP_1) | instskip(NEXT) | instid1(VALU_DEP_1)
	v_lshrrev_b32_e32 v5, s5, v2
	v_mul_lo_u32 v2, v5, s30
	s_delay_alu instid0(VALU_DEP_1) | instskip(NEXT) | instid1(VALU_DEP_1)
	v_sub_nc_u32_e32 v1, v1, v2
	v_mad_u64_u32 v[2:3], null, v1, s48, v[17:18]
	v_mad_u64_u32 v[3:4], null, v1, s49, v[0:1]
	v_mov_b32_e32 v1, v5
	s_delay_alu instid0(VALU_DEP_2)
	v_dual_mov_b32 v17, v2 :: v_dual_mov_b32 v0, v3
	s_cbranch_scc1 .LBB65_554
.LBB65_555:
	s_and_not1_b32 vcc_lo, exec_lo, s4
	s_cbranch_vccnz .LBB65_558
; %bb.556:
	s_waitcnt vmcnt(0) lgkmcnt(0)
	v_mul_hi_u32 v0, s21, v20
	s_and_not1_b32 vcc_lo, exec_lo, s37
	s_delay_alu instid0(VALU_DEP_1) | instskip(NEXT) | instid1(VALU_DEP_1)
	v_add_nc_u32_e32 v0, v20, v0
	v_lshrrev_b32_e32 v1, s22, v0
	s_delay_alu instid0(VALU_DEP_1) | instskip(NEXT) | instid1(VALU_DEP_1)
	v_mul_lo_u32 v0, v1, s20
	v_sub_nc_u32_e32 v0, v20, v0
	s_delay_alu instid0(VALU_DEP_1)
	v_mul_lo_u32 v17, v0, s16
	v_mul_lo_u32 v0, v0, s17
	s_cbranch_vccnz .LBB65_558
; %bb.557:
	v_mul_hi_u32 v2, s26, v1
	s_delay_alu instid0(VALU_DEP_1) | instskip(NEXT) | instid1(VALU_DEP_1)
	v_add_nc_u32_e32 v2, v1, v2
	v_lshrrev_b32_e32 v2, s27, v2
	s_delay_alu instid0(VALU_DEP_1) | instskip(NEXT) | instid1(VALU_DEP_1)
	v_mul_lo_u32 v2, v2, s23
	v_sub_nc_u32_e32 v4, v1, v2
	s_delay_alu instid0(VALU_DEP_1) | instskip(NEXT) | instid1(VALU_DEP_1)
	v_mad_u64_u32 v[1:2], null, v4, s18, v[17:18]
	v_mad_u64_u32 v[2:3], null, v4, s19, v[0:1]
	s_delay_alu instid0(VALU_DEP_1)
	v_dual_mov_b32 v17, v1 :: v_dual_mov_b32 v0, v2
.LBB65_558:
	v_cmp_gt_i16_e32 vcc_lo, 11, v19
	s_waitcnt vmcnt(0) lgkmcnt(0)
	s_delay_alu instid0(VALU_DEP_2) | instskip(NEXT) | instid1(VALU_DEP_1)
	v_add_co_u32 v2, s0, s14, v0
	v_add_co_ci_u32_e64 v3, null, s15, 0, s0
	s_mov_b32 s0, 0
	s_cbranch_vccnz .LBB65_565
; %bb.559:
	v_cmp_lt_i16_e32 vcc_lo, 25, v19
	s_cbranch_vccz .LBB65_566
; %bb.560:
	v_cmp_lt_i16_e32 vcc_lo, 28, v19
	s_cbranch_vccz .LBB65_567
	;; [unrolled: 3-line block ×4, first 2 shown]
; %bb.563:
	v_cmp_eq_u16_e32 vcc_lo, 46, v19
	s_mov_b32 s1, 0
	s_cbranch_vccz .LBB65_574
; %bb.564:
	global_load_b32 v0, v[2:3], off
	s_mov_b32 s0, -1
	s_mov_b32 s48, 0
	s_waitcnt vmcnt(0)
	v_and_b32_e32 v1, 0xffff0000, v0
	v_lshlrev_b32_e32 v0, 16, v0
	s_branch .LBB65_576
.LBB65_565:
	s_mov_b32 s1, -1
	s_mov_b32 s48, s44
                                        ; implicit-def: $vgpr1
	s_branch .LBB65_644
.LBB65_566:
	s_mov_b32 s1, -1
	s_mov_b32 s48, s44
                                        ; implicit-def: $vgpr1
	s_branch .LBB65_609
.LBB65_567:
	s_mov_b32 s1, -1
	s_mov_b32 s48, s44
                                        ; implicit-def: $vgpr1
	s_branch .LBB65_588
.LBB65_568:
	s_mov_b32 s1, -1
	s_mov_b32 s48, s44
                                        ; implicit-def: $vgpr1
	s_branch .LBB65_582
.LBB65_569:
	s_or_saveexec_b32 s3, s3
                                        ; implicit-def: $sgpr4
	s_delay_alu instid0(SALU_CYCLE_1)
	s_xor_b32 exec_lo, exec_lo, s3
	s_cbranch_execz .LBB65_375
.LBB65_570:
	v_add_f32_e64 v5, 0x46000000, |v0|
	s_and_not1_b32 s2, s2, exec_lo
	s_mov_b32 s4, 0
	s_delay_alu instid0(VALU_DEP_1) | instskip(NEXT) | instid1(VALU_DEP_1)
	v_and_b32_e32 v5, 0xff, v5
	v_cmp_ne_u32_e32 vcc_lo, 0, v5
	s_and_b32 s5, vcc_lo, exec_lo
	s_delay_alu instid0(SALU_CYCLE_1)
	s_or_b32 s2, s2, s5
	s_or_b32 exec_lo, exec_lo, s3
	v_mov_b32_e32 v6, s4
	s_and_saveexec_b32 s3, s2
	s_cbranch_execnz .LBB65_376
	s_branch .LBB65_377
.LBB65_571:
	s_mov_b32 s1, -1
	s_mov_b32 s48, s44
	s_branch .LBB65_575
.LBB65_572:
	s_or_saveexec_b32 s3, s3
                                        ; implicit-def: $sgpr4
	s_delay_alu instid0(SALU_CYCLE_1)
	s_xor_b32 exec_lo, exec_lo, s3
	s_cbranch_execz .LBB65_388
.LBB65_573:
	v_add_f32_e64 v5, 0x42800000, |v0|
	s_and_not1_b32 s2, s2, exec_lo
	s_mov_b32 s4, 0
	s_delay_alu instid0(VALU_DEP_1) | instskip(NEXT) | instid1(VALU_DEP_1)
	v_and_b32_e32 v5, 0xff, v5
	v_cmp_ne_u32_e32 vcc_lo, 0, v5
	s_and_b32 s5, vcc_lo, exec_lo
	s_delay_alu instid0(SALU_CYCLE_1)
	s_or_b32 s2, s2, s5
	s_or_b32 exec_lo, exec_lo, s3
	v_mov_b32_e32 v6, s4
	s_and_saveexec_b32 s3, s2
	s_cbranch_execnz .LBB65_389
	s_branch .LBB65_390
.LBB65_574:
	s_mov_b32 s48, -1
.LBB65_575:
                                        ; implicit-def: $vgpr1
.LBB65_576:
	s_and_b32 vcc_lo, exec_lo, s1
	s_cbranch_vccz .LBB65_581
; %bb.577:
	v_cmp_eq_u16_e32 vcc_lo, 44, v19
	s_cbranch_vccz .LBB65_579
; %bb.578:
	global_load_u8 v0, v[2:3], off
	s_mov_b32 s48, 0
	s_mov_b32 s0, -1
	s_waitcnt vmcnt(0)
	v_lshlrev_b32_e32 v1, 23, v0
	v_cmp_ne_u32_e32 vcc_lo, 0xff, v0
	s_delay_alu instid0(VALU_DEP_2) | instskip(SKIP_1) | instid1(VALU_DEP_2)
	v_cndmask_b32_e32 v1, 0x7f800001, v1, vcc_lo
	v_cmp_ne_u32_e32 vcc_lo, 0, v0
	v_cndmask_b32_e32 v0, 0x400000, v1, vcc_lo
	s_branch .LBB65_580
.LBB65_579:
	s_mov_b32 s48, -1
                                        ; implicit-def: $vgpr0
.LBB65_580:
	s_delay_alu instid0(SALU_CYCLE_1)
	v_mov_b32_e32 v1, s48
.LBB65_581:
	s_mov_b32 s1, 0
.LBB65_582:
	s_delay_alu instid0(SALU_CYCLE_1)
	s_and_b32 vcc_lo, exec_lo, s1
	s_cbranch_vccz .LBB65_587
; %bb.583:
	v_cmp_eq_u16_e32 vcc_lo, 29, v19
	s_cbranch_vccz .LBB65_585
; %bb.584:
	global_load_b64 v[0:1], v[2:3], off
	s_mov_b32 s0, -1
	s_mov_b32 s48, 0
	s_mov_b32 s1, 0
	s_waitcnt vmcnt(0)
	v_clz_i32_u32_e32 v4, v1
	s_delay_alu instid0(VALU_DEP_1) | instskip(NEXT) | instid1(VALU_DEP_1)
	v_min_u32_e32 v4, 32, v4
	v_lshlrev_b64 v[0:1], v4, v[0:1]
	s_delay_alu instid0(VALU_DEP_1) | instskip(NEXT) | instid1(VALU_DEP_1)
	v_min_u32_e32 v0, 1, v0
	v_or_b32_e32 v0, v1, v0
	v_sub_nc_u32_e32 v1, 32, v4
	s_delay_alu instid0(VALU_DEP_2) | instskip(NEXT) | instid1(VALU_DEP_1)
	v_cvt_f32_u32_e32 v0, v0
	v_ldexp_f32 v0, v0, v1
	s_branch .LBB65_586
.LBB65_585:
	s_mov_b32 s48, -1
                                        ; implicit-def: $sgpr1
                                        ; implicit-def: $vgpr0
.LBB65_586:
	v_mov_b32_e32 v1, s1
.LBB65_587:
	s_mov_b32 s1, 0
.LBB65_588:
	s_delay_alu instid0(SALU_CYCLE_1)
	s_and_b32 vcc_lo, exec_lo, s1
	s_cbranch_vccz .LBB65_608
; %bb.589:
	v_cmp_gt_i16_e32 vcc_lo, 27, v19
	s_cbranch_vccnz .LBB65_592
; %bb.590:
	v_cmp_lt_i16_e32 vcc_lo, 27, v19
	s_cbranch_vccz .LBB65_593
; %bb.591:
	global_load_b32 v0, v[2:3], off
	s_mov_b32 s1, 0
	s_mov_b32 s0, 0
	s_waitcnt vmcnt(0)
	v_cvt_f32_u32_e32 v0, v0
	s_branch .LBB65_594
.LBB65_592:
	s_mov_b32 s1, -1
                                        ; implicit-def: $sgpr0
                                        ; implicit-def: $vgpr0
	s_branch .LBB65_597
.LBB65_593:
	s_mov_b32 s1, -1
                                        ; implicit-def: $sgpr0
                                        ; implicit-def: $vgpr0
.LBB65_594:
	s_delay_alu instid0(SALU_CYCLE_1)
	s_and_not1_b32 vcc_lo, exec_lo, s1
	s_cbranch_vccnz .LBB65_596
; %bb.595:
	global_load_u16 v0, v[2:3], off
	s_mov_b32 s0, 0
	s_waitcnt vmcnt(0)
	v_cvt_f32_u32_e32 v0, v0
.LBB65_596:
	s_mov_b32 s1, 0
.LBB65_597:
	v_mov_b32_e32 v1, s0
	s_and_not1_b32 vcc_lo, exec_lo, s1
	s_cbranch_vccnz .LBB65_607
; %bb.598:
	global_load_u8 v4, v[2:3], off
	s_mov_b32 s0, 0
	s_mov_b32 s3, exec_lo
                                        ; implicit-def: $sgpr2
                                        ; implicit-def: $sgpr1
	s_waitcnt vmcnt(0)
	v_cmpx_lt_i16_e32 0x7f, v4
	s_xor_b32 s3, exec_lo, s3
	s_cbranch_execz .LBB65_602
; %bb.599:
	s_mov_b32 s0, -1
	s_mov_b32 s4, exec_lo
                                        ; implicit-def: $sgpr2
                                        ; implicit-def: $sgpr1
	v_cmpx_eq_u16_e32 0x80, v4
; %bb.600:
	s_mov_b32 s1, 0x7f800001
	s_mov_b32 s2, 0
	s_xor_b32 s0, exec_lo, -1
; %bb.601:
	s_or_b32 exec_lo, exec_lo, s4
	s_delay_alu instid0(SALU_CYCLE_1)
	s_and_b32 s0, s0, exec_lo
.LBB65_602:
	s_or_saveexec_b32 s3, s3
	v_dual_mov_b32 v1, s2 :: v_dual_mov_b32 v0, s1
	s_xor_b32 exec_lo, exec_lo, s3
; %bb.603:
	v_cmp_ne_u16_e32 vcc_lo, 0, v4
	v_dual_mov_b32 v1, 0 :: v_dual_mov_b32 v0, 0
	s_and_not1_b32 s0, s0, exec_lo
	s_and_b32 s1, vcc_lo, exec_lo
	s_delay_alu instid0(SALU_CYCLE_1)
	s_or_b32 s0, s0, s1
; %bb.604:
	s_or_b32 exec_lo, exec_lo, s3
	s_and_saveexec_b32 s1, s0
	s_cbranch_execz .LBB65_606
; %bb.605:
	v_and_b32_e32 v0, 0xffff, v4
	v_lshlrev_b32_e32 v4, 24, v4
	s_delay_alu instid0(VALU_DEP_2) | instskip(NEXT) | instid1(VALU_DEP_2)
	v_and_b32_e32 v1, 7, v0
	v_and_b32_e32 v4, 0x80000000, v4
	s_delay_alu instid0(VALU_DEP_2) | instskip(NEXT) | instid1(VALU_DEP_1)
	v_clz_i32_u32_e32 v5, v1
	v_min_u32_e32 v5, 32, v5
	s_delay_alu instid0(VALU_DEP_1) | instskip(SKIP_1) | instid1(VALU_DEP_2)
	v_subrev_nc_u32_e32 v6, 28, v5
	v_sub_nc_u32_e32 v5, 29, v5
	v_lshlrev_b32_e32 v6, v6, v0
	v_bfe_u32 v0, v0, 3, 4
	s_delay_alu instid0(VALU_DEP_2) | instskip(NEXT) | instid1(VALU_DEP_2)
	v_and_b32_e32 v6, 7, v6
	v_cmp_eq_u32_e32 vcc_lo, 0, v0
	s_delay_alu instid0(VALU_DEP_2) | instskip(NEXT) | instid1(VALU_DEP_1)
	v_dual_cndmask_b32 v0, v0, v5 :: v_dual_cndmask_b32 v1, v1, v6
	v_lshl_add_u32 v0, v0, 23, 0x3b800000
	s_delay_alu instid0(VALU_DEP_2) | instskip(NEXT) | instid1(VALU_DEP_1)
	v_lshlrev_b32_e32 v1, 20, v1
	v_or3_b32 v0, v4, v0, v1
	v_mov_b32_e32 v1, 0
.LBB65_606:
	s_or_b32 exec_lo, exec_lo, s1
.LBB65_607:
	s_mov_b32 s0, -1
.LBB65_608:
	s_mov_b32 s1, 0
.LBB65_609:
	s_delay_alu instid0(SALU_CYCLE_1)
	s_and_b32 vcc_lo, exec_lo, s1
	s_cbranch_vccz .LBB65_643
; %bb.610:
	v_cmp_lt_i16_e32 vcc_lo, 22, v19
	s_cbranch_vccz .LBB65_622
; %bb.611:
	v_cmp_gt_i16_e32 vcc_lo, 24, v19
	s_cbranch_vccnz .LBB65_623
; %bb.612:
	v_cmp_lt_i16_e32 vcc_lo, 24, v19
	s_cbranch_vccz .LBB65_624
; %bb.613:
	global_load_u8 v4, v[2:3], off
	s_mov_b32 s0, 0
	s_mov_b32 s3, exec_lo
                                        ; implicit-def: $sgpr2
                                        ; implicit-def: $sgpr1
	s_waitcnt vmcnt(0)
	v_cmpx_lt_i16_e32 0x7f, v4
	s_xor_b32 s3, exec_lo, s3
	s_cbranch_execz .LBB65_617
; %bb.614:
	s_mov_b32 s0, -1
	s_mov_b32 s4, exec_lo
                                        ; implicit-def: $sgpr2
                                        ; implicit-def: $sgpr1
	v_cmpx_eq_u16_e32 0x80, v4
; %bb.615:
	s_mov_b32 s1, 0x7f800001
	s_mov_b32 s2, 0
	s_xor_b32 s0, exec_lo, -1
; %bb.616:
	s_or_b32 exec_lo, exec_lo, s4
	s_delay_alu instid0(SALU_CYCLE_1)
	s_and_b32 s0, s0, exec_lo
.LBB65_617:
	s_or_saveexec_b32 s3, s3
	v_dual_mov_b32 v1, s2 :: v_dual_mov_b32 v0, s1
	s_xor_b32 exec_lo, exec_lo, s3
; %bb.618:
	v_cmp_ne_u16_e32 vcc_lo, 0, v4
	v_dual_mov_b32 v1, 0 :: v_dual_mov_b32 v0, 0
	s_and_not1_b32 s0, s0, exec_lo
	s_and_b32 s1, vcc_lo, exec_lo
	s_delay_alu instid0(SALU_CYCLE_1)
	s_or_b32 s0, s0, s1
; %bb.619:
	s_or_b32 exec_lo, exec_lo, s3
	s_and_saveexec_b32 s1, s0
	s_cbranch_execz .LBB65_621
; %bb.620:
	v_and_b32_e32 v0, 0xffff, v4
	v_lshlrev_b32_e32 v4, 24, v4
	s_delay_alu instid0(VALU_DEP_2) | instskip(NEXT) | instid1(VALU_DEP_2)
	v_and_b32_e32 v1, 3, v0
	v_and_b32_e32 v4, 0x80000000, v4
	s_delay_alu instid0(VALU_DEP_2) | instskip(NEXT) | instid1(VALU_DEP_1)
	v_clz_i32_u32_e32 v5, v1
	v_min_u32_e32 v5, 32, v5
	s_delay_alu instid0(VALU_DEP_1) | instskip(SKIP_1) | instid1(VALU_DEP_2)
	v_subrev_nc_u32_e32 v6, 29, v5
	v_sub_nc_u32_e32 v5, 30, v5
	v_lshlrev_b32_e32 v6, v6, v0
	v_bfe_u32 v0, v0, 2, 5
	s_delay_alu instid0(VALU_DEP_2) | instskip(NEXT) | instid1(VALU_DEP_2)
	v_and_b32_e32 v6, 3, v6
	v_cmp_eq_u32_e32 vcc_lo, 0, v0
	s_delay_alu instid0(VALU_DEP_2) | instskip(NEXT) | instid1(VALU_DEP_1)
	v_dual_cndmask_b32 v0, v0, v5 :: v_dual_cndmask_b32 v1, v1, v6
	v_lshl_add_u32 v0, v0, 23, 0x37800000
	s_delay_alu instid0(VALU_DEP_2) | instskip(NEXT) | instid1(VALU_DEP_1)
	v_lshlrev_b32_e32 v1, 21, v1
	v_or3_b32 v0, v4, v0, v1
	v_mov_b32_e32 v1, 0
.LBB65_621:
	s_or_b32 exec_lo, exec_lo, s1
	s_mov_b32 s0, 0
	s_branch .LBB65_625
.LBB65_622:
	s_mov_b32 s1, -1
                                        ; implicit-def: $vgpr1
	s_branch .LBB65_631
.LBB65_623:
	s_mov_b32 s0, -1
                                        ; implicit-def: $vgpr1
	s_branch .LBB65_628
.LBB65_624:
	s_mov_b32 s0, -1
                                        ; implicit-def: $vgpr1
.LBB65_625:
	s_delay_alu instid0(SALU_CYCLE_1)
	s_and_b32 vcc_lo, exec_lo, s0
	s_cbranch_vccz .LBB65_627
; %bb.626:
	global_load_u8 v0, v[2:3], off
	s_waitcnt vmcnt(0)
	v_lshlrev_b32_e32 v0, 24, v0
	s_delay_alu instid0(VALU_DEP_1) | instskip(NEXT) | instid1(VALU_DEP_1)
	v_and_b32_e32 v1, 0x7f000000, v0
	v_clz_i32_u32_e32 v4, v1
	v_cmp_ne_u32_e32 vcc_lo, 0, v1
	v_add_nc_u32_e32 v6, 0x1000000, v1
	s_delay_alu instid0(VALU_DEP_3) | instskip(NEXT) | instid1(VALU_DEP_1)
	v_min_u32_e32 v4, 32, v4
	v_sub_nc_u32_e64 v4, v4, 4 clamp
	s_delay_alu instid0(VALU_DEP_1) | instskip(SKIP_1) | instid1(VALU_DEP_2)
	v_lshlrev_b32_e32 v5, v4, v1
	v_lshlrev_b32_e32 v4, 23, v4
	v_lshrrev_b32_e32 v5, 4, v5
	s_delay_alu instid0(VALU_DEP_1) | instskip(SKIP_1) | instid1(VALU_DEP_2)
	v_sub_nc_u32_e32 v4, v5, v4
	v_ashrrev_i32_e32 v5, 8, v6
	v_add_nc_u32_e32 v4, 0x3c000000, v4
	s_delay_alu instid0(VALU_DEP_1) | instskip(NEXT) | instid1(VALU_DEP_1)
	v_and_or_b32 v4, 0x7f800000, v5, v4
	v_cndmask_b32_e32 v1, 0, v4, vcc_lo
	s_delay_alu instid0(VALU_DEP_1)
	v_and_or_b32 v0, 0x80000000, v0, v1
	v_mov_b32_e32 v1, 0
.LBB65_627:
	s_mov_b32 s0, 0
.LBB65_628:
	s_delay_alu instid0(SALU_CYCLE_1)
	s_and_not1_b32 vcc_lo, exec_lo, s0
	s_cbranch_vccnz .LBB65_630
; %bb.629:
	global_load_u8 v0, v[2:3], off
	s_waitcnt vmcnt(0)
	v_lshlrev_b32_e32 v1, 25, v0
	v_lshlrev_b16 v0, 8, v0
	s_delay_alu instid0(VALU_DEP_2) | instskip(NEXT) | instid1(VALU_DEP_2)
	v_lshrrev_b32_e32 v4, 4, v1
	v_and_or_b32 v5, 0x7f00, v0, 0.5
	v_cmp_gt_u32_e32 vcc_lo, 0x8000000, v1
	v_bfe_i32 v0, v0, 0, 16
	s_delay_alu instid0(VALU_DEP_4) | instskip(NEXT) | instid1(VALU_DEP_1)
	v_or_b32_e32 v4, 0x70000000, v4
	v_dual_add_f32 v5, -0.5, v5 :: v_dual_mul_f32 v4, 0x7800000, v4
	s_delay_alu instid0(VALU_DEP_1) | instskip(NEXT) | instid1(VALU_DEP_1)
	v_cndmask_b32_e32 v1, v4, v5, vcc_lo
	v_and_or_b32 v0, 0x80000000, v0, v1
	v_mov_b32_e32 v1, 0
.LBB65_630:
	s_mov_b32 s1, 0
	s_mov_b32 s0, -1
.LBB65_631:
	s_and_not1_b32 vcc_lo, exec_lo, s1
	s_cbranch_vccnz .LBB65_643
; %bb.632:
	v_cmp_lt_i16_e32 vcc_lo, 14, v19
	s_cbranch_vccz .LBB65_635
; %bb.633:
	v_cmp_eq_u16_e32 vcc_lo, 15, v19
	s_cbranch_vccz .LBB65_636
; %bb.634:
	global_load_u16 v0, v[2:3], off
	s_mov_b32 s0, -1
	s_mov_b32 s48, 0
	s_mov_b32 s1, 0
	s_waitcnt vmcnt(0)
	v_lshlrev_b32_e32 v0, 16, v0
	s_branch .LBB65_637
.LBB65_635:
	s_mov_b32 s2, -1
                                        ; implicit-def: $sgpr1
                                        ; implicit-def: $vgpr0
	s_branch .LBB65_638
.LBB65_636:
	s_mov_b32 s48, -1
                                        ; implicit-def: $sgpr1
                                        ; implicit-def: $vgpr0
.LBB65_637:
	s_mov_b32 s2, 0
.LBB65_638:
	s_delay_alu instid0(SALU_CYCLE_1)
	s_and_b32 vcc_lo, exec_lo, s2
	s_cbranch_vccz .LBB65_642
; %bb.639:
	v_cmp_eq_u16_e32 vcc_lo, 11, v19
	s_cbranch_vccz .LBB65_641
; %bb.640:
	global_load_u8 v0, v[2:3], off
	s_mov_b32 s1, 0
	s_mov_b32 s0, -1
	s_mov_b32 s48, 0
	s_waitcnt vmcnt(0)
	v_cmp_ne_u16_e32 vcc_lo, 0, v0
	v_cndmask_b32_e64 v0, 0, 1.0, vcc_lo
	s_branch .LBB65_642
.LBB65_641:
	s_mov_b32 s48, -1
                                        ; implicit-def: $sgpr1
                                        ; implicit-def: $vgpr0
.LBB65_642:
	v_mov_b32_e32 v1, s1
.LBB65_643:
	s_mov_b32 s1, 0
.LBB65_644:
	s_delay_alu instid0(SALU_CYCLE_1)
	s_and_b32 vcc_lo, exec_lo, s1
	s_cbranch_vccz .LBB65_695
; %bb.645:
	v_cmp_gt_i16_e32 vcc_lo, 5, v19
	s_cbranch_vccnz .LBB65_650
; %bb.646:
	v_cmp_gt_i16_e32 vcc_lo, 8, v19
	s_cbranch_vccnz .LBB65_651
	;; [unrolled: 3-line block ×3, first 2 shown]
; %bb.648:
	v_cmp_lt_i16_e32 vcc_lo, 9, v19
	s_cbranch_vccz .LBB65_653
; %bb.649:
	global_load_b128 v[4:7], v[2:3], off
	s_mov_b32 s0, 0
	s_waitcnt vmcnt(0)
	v_cvt_f32_f64_e32 v0, v[4:5]
	v_cvt_f32_f64_e32 v1, v[6:7]
	s_branch .LBB65_654
.LBB65_650:
	s_mov_b32 s0, -1
                                        ; implicit-def: $vgpr1
	s_branch .LBB65_673
.LBB65_651:
	s_mov_b32 s0, -1
                                        ; implicit-def: $vgpr1
	s_branch .LBB65_660
.LBB65_652:
	s_mov_b32 s0, -1
                                        ; implicit-def: $vgpr1
	s_branch .LBB65_657
.LBB65_653:
	s_mov_b32 s0, -1
                                        ; implicit-def: $vgpr1
.LBB65_654:
	s_delay_alu instid0(SALU_CYCLE_1)
	s_and_not1_b32 vcc_lo, exec_lo, s0
	s_cbranch_vccnz .LBB65_656
; %bb.655:
	global_load_b64 v[0:1], v[2:3], off
.LBB65_656:
	s_mov_b32 s0, 0
.LBB65_657:
	s_delay_alu instid0(SALU_CYCLE_1)
	s_and_not1_b32 vcc_lo, exec_lo, s0
	s_cbranch_vccnz .LBB65_659
; %bb.658:
	global_load_b32 v0, v[2:3], off
	s_waitcnt vmcnt(0)
	v_lshrrev_b32_e32 v1, 16, v0
	v_cvt_f32_f16_e32 v0, v0
	s_delay_alu instid0(VALU_DEP_2)
	v_cvt_f32_f16_e32 v1, v1
.LBB65_659:
	s_mov_b32 s0, 0
.LBB65_660:
	s_delay_alu instid0(SALU_CYCLE_1)
	s_and_not1_b32 vcc_lo, exec_lo, s0
	s_cbranch_vccnz .LBB65_672
; %bb.661:
	v_cmp_gt_i16_e32 vcc_lo, 6, v19
	s_cbranch_vccnz .LBB65_664
; %bb.662:
	v_cmp_lt_i16_e32 vcc_lo, 6, v19
	s_cbranch_vccz .LBB65_665
; %bb.663:
	global_load_b64 v[0:1], v[2:3], off
	s_mov_b32 s1, 0
	s_mov_b32 s0, 0
	s_waitcnt vmcnt(0)
	v_cvt_f32_f64_e32 v0, v[0:1]
	s_branch .LBB65_666
.LBB65_664:
	s_mov_b32 s1, -1
                                        ; implicit-def: $sgpr0
                                        ; implicit-def: $vgpr0
	s_branch .LBB65_669
.LBB65_665:
	s_mov_b32 s1, -1
                                        ; implicit-def: $sgpr0
                                        ; implicit-def: $vgpr0
.LBB65_666:
	s_delay_alu instid0(SALU_CYCLE_1)
	s_and_not1_b32 vcc_lo, exec_lo, s1
	s_cbranch_vccnz .LBB65_668
; %bb.667:
	global_load_b32 v0, v[2:3], off
	s_mov_b32 s0, 0
.LBB65_668:
	s_mov_b32 s1, 0
.LBB65_669:
	s_delay_alu instid0(SALU_CYCLE_1)
	s_and_not1_b32 vcc_lo, exec_lo, s1
	s_cbranch_vccnz .LBB65_671
; %bb.670:
	global_load_u16 v0, v[2:3], off
	s_mov_b32 s0, 0
	s_waitcnt vmcnt(0)
	v_cvt_f32_f16_e32 v0, v0
.LBB65_671:
	s_waitcnt vmcnt(0)
	v_mov_b32_e32 v1, s0
.LBB65_672:
	s_mov_b32 s0, 0
.LBB65_673:
	s_delay_alu instid0(SALU_CYCLE_1)
	s_and_not1_b32 vcc_lo, exec_lo, s0
	s_cbranch_vccnz .LBB65_694
; %bb.674:
	v_cmp_gt_i16_e32 vcc_lo, 2, v19
	s_cbranch_vccnz .LBB65_678
; %bb.675:
	v_cmp_gt_i16_e32 vcc_lo, 3, v19
	s_cbranch_vccnz .LBB65_679
; %bb.676:
	v_cmp_lt_i16_e32 vcc_lo, 3, v19
	s_cbranch_vccz .LBB65_680
; %bb.677:
	global_load_b64 v[0:1], v[2:3], off
	s_mov_b32 s1, 0
	s_mov_b32 s0, 0
	s_waitcnt vmcnt(0)
	v_xor_b32_e32 v4, v0, v1
	v_cls_i32_e32 v5, v1
	s_delay_alu instid0(VALU_DEP_2) | instskip(NEXT) | instid1(VALU_DEP_2)
	v_ashrrev_i32_e32 v4, 31, v4
	v_add_nc_u32_e32 v5, -1, v5
	s_delay_alu instid0(VALU_DEP_2) | instskip(NEXT) | instid1(VALU_DEP_1)
	v_add_nc_u32_e32 v4, 32, v4
	v_min_u32_e32 v4, v5, v4
	s_delay_alu instid0(VALU_DEP_1) | instskip(NEXT) | instid1(VALU_DEP_1)
	v_lshlrev_b64 v[0:1], v4, v[0:1]
	v_min_u32_e32 v0, 1, v0
	s_delay_alu instid0(VALU_DEP_1) | instskip(SKIP_1) | instid1(VALU_DEP_2)
	v_or_b32_e32 v0, v1, v0
	v_sub_nc_u32_e32 v1, 32, v4
	v_cvt_f32_i32_e32 v0, v0
	s_delay_alu instid0(VALU_DEP_1)
	v_ldexp_f32 v0, v0, v1
	s_branch .LBB65_681
.LBB65_678:
	s_mov_b32 s1, -1
                                        ; implicit-def: $sgpr0
                                        ; implicit-def: $vgpr0
	s_branch .LBB65_687
.LBB65_679:
	s_mov_b32 s1, -1
                                        ; implicit-def: $sgpr0
                                        ; implicit-def: $vgpr0
	s_branch .LBB65_684
.LBB65_680:
	s_mov_b32 s1, -1
                                        ; implicit-def: $sgpr0
                                        ; implicit-def: $vgpr0
.LBB65_681:
	s_delay_alu instid0(SALU_CYCLE_1)
	s_and_not1_b32 vcc_lo, exec_lo, s1
	s_cbranch_vccnz .LBB65_683
; %bb.682:
	global_load_b32 v0, v[2:3], off
	s_mov_b32 s0, 0
	s_waitcnt vmcnt(0)
	v_cvt_f32_i32_e32 v0, v0
.LBB65_683:
	s_mov_b32 s1, 0
.LBB65_684:
	s_delay_alu instid0(SALU_CYCLE_1)
	s_and_not1_b32 vcc_lo, exec_lo, s1
	s_cbranch_vccnz .LBB65_686
; %bb.685:
	global_load_i16 v0, v[2:3], off
	s_mov_b32 s0, 0
	s_waitcnt vmcnt(0)
	v_cvt_f32_i32_e32 v0, v0
.LBB65_686:
	s_mov_b32 s1, 0
.LBB65_687:
	s_delay_alu instid0(SALU_CYCLE_1)
	s_and_not1_b32 vcc_lo, exec_lo, s1
	s_cbranch_vccnz .LBB65_693
; %bb.688:
	v_cmp_lt_i16_e32 vcc_lo, 0, v19
	s_mov_b32 s1, 0
	s_cbranch_vccz .LBB65_690
; %bb.689:
	global_load_i8 v0, v[2:3], off
	s_mov_b32 s0, 0
	s_waitcnt vmcnt(0)
	v_cvt_f32_i32_e32 v0, v0
	s_branch .LBB65_691
.LBB65_690:
	s_mov_b32 s1, -1
                                        ; implicit-def: $sgpr0
                                        ; implicit-def: $vgpr0
.LBB65_691:
	s_delay_alu instid0(SALU_CYCLE_1)
	s_and_not1_b32 vcc_lo, exec_lo, s1
	s_cbranch_vccnz .LBB65_693
; %bb.692:
	global_load_u8 v0, v[2:3], off
	s_mov_b32 s0, 0
	s_waitcnt vmcnt(0)
	v_cvt_f32_ubyte0_e32 v0, v0
.LBB65_693:
	s_waitcnt vmcnt(0)
	v_mov_b32_e32 v1, s0
.LBB65_694:
	s_mov_b32 s0, -1
.LBB65_695:
	s_delay_alu instid0(SALU_CYCLE_1)
	s_and_not1_b32 vcc_lo, exec_lo, s0
	s_cbranch_vccnz .LBB65_703
; %bb.696:
	s_getpc_b64 s[0:1]
	s_add_u32 s0, s0, _ZN16c10_complex_math3expIfEEN3c107complexIT_EERKS4_@rel32@lo+4
	s_addc_u32 s1, s1, _ZN16c10_complex_math3expIfEEN3c107complexIT_EERKS4_@rel32@hi+12
	s_delay_alu instid0(SALU_CYCLE_1) | instskip(SKIP_2) | instid1(VALU_DEP_1)
	s_swappc_b64 s[30:31], s[0:1]
	v_and_b32_e32 v4, 0xff, v18
	v_add_co_u32 v2, s0, s12, v17
	v_add_co_ci_u32_e64 v3, null, s13, 0, s0
	s_delay_alu instid0(VALU_DEP_3)
	v_cmp_gt_i16_e32 vcc_lo, 11, v4
	s_mov_b32 s1, 0
	s_mov_b32 s2, -1
	s_mov_b32 s0, s45
	s_cbranch_vccnz .LBB65_704
; %bb.697:
	v_cmp_lt_i16_e32 vcc_lo, 25, v4
	s_cbranch_vccz .LBB65_745
; %bb.698:
	v_cmp_lt_i16_e32 vcc_lo, 28, v4
	s_cbranch_vccz .LBB65_746
	;; [unrolled: 3-line block ×4, first 2 shown]
; %bb.701:
	v_cmp_eq_u16_e32 vcc_lo, 46, v4
	s_mov_b32 s2, 0
	s_mov_b32 s0, -1
	s_cbranch_vccz .LBB65_749
; %bb.702:
	v_bfe_u32 v5, v1, 16, 1
	v_bfe_u32 v6, v0, 16, 1
	v_cmp_o_f32_e32 vcc_lo, v1, v1
	s_mov_b32 s1, -1
	s_mov_b32 s0, 0
	v_add3_u32 v5, v1, v5, 0x7fff
	v_add3_u32 v6, v0, v6, 0x7fff
	s_delay_alu instid0(VALU_DEP_2) | instskip(NEXT) | instid1(VALU_DEP_2)
	v_and_b32_e32 v5, 0xffff0000, v5
	v_lshrrev_b32_e32 v6, 16, v6
	s_delay_alu instid0(VALU_DEP_2) | instskip(SKIP_1) | instid1(VALU_DEP_3)
	v_cndmask_b32_e32 v5, 0x7fc00000, v5, vcc_lo
	v_cmp_o_f32_e32 vcc_lo, v0, v0
	v_cndmask_b32_e32 v6, 0x7fc0, v6, vcc_lo
	s_delay_alu instid0(VALU_DEP_1)
	v_or_b32_e32 v5, v5, v6
	global_store_b32 v[2:3], v5, off
	s_branch .LBB65_749
.LBB65_703:
	s_mov_b32 s1, 0
	s_mov_b32 s0, s45
	s_branch .LBB65_744
.LBB65_704:
	s_and_b32 vcc_lo, exec_lo, s2
	s_cbranch_vccz .LBB65_818
; %bb.705:
	v_cmp_gt_i16_e32 vcc_lo, 5, v4
	s_mov_b32 s1, -1
	s_cbranch_vccnz .LBB65_726
; %bb.706:
	v_cmp_gt_i16_e32 vcc_lo, 8, v4
	s_cbranch_vccnz .LBB65_716
; %bb.707:
	v_cmp_gt_i16_e32 vcc_lo, 9, v4
	s_cbranch_vccnz .LBB65_713
; %bb.708:
	v_cmp_lt_i16_e32 vcc_lo, 9, v4
	s_cbranch_vccz .LBB65_710
; %bb.709:
	v_cvt_f64_f32_e32 v[5:6], v0
	v_cvt_f64_f32_e32 v[7:8], v1
	s_mov_b32 s1, 0
	global_store_b128 v[2:3], v[5:8], off
.LBB65_710:
	s_and_not1_b32 vcc_lo, exec_lo, s1
	s_cbranch_vccnz .LBB65_712
; %bb.711:
	global_store_b64 v[2:3], v[0:1], off
.LBB65_712:
	s_mov_b32 s1, 0
.LBB65_713:
	s_delay_alu instid0(SALU_CYCLE_1)
	s_and_not1_b32 vcc_lo, exec_lo, s1
	s_cbranch_vccnz .LBB65_715
; %bb.714:
	v_cvt_f16_f32_e32 v1, v1
	v_cvt_f16_f32_e32 v5, v0
	s_delay_alu instid0(VALU_DEP_2) | instskip(NEXT) | instid1(VALU_DEP_2)
	v_lshlrev_b32_e32 v1, 16, v1
	v_and_b32_e32 v5, 0xffff, v5
	s_delay_alu instid0(VALU_DEP_1)
	v_or_b32_e32 v1, v1, v5
	global_store_b32 v[2:3], v1, off
.LBB65_715:
	s_mov_b32 s1, 0
.LBB65_716:
	s_delay_alu instid0(SALU_CYCLE_1)
	s_and_not1_b32 vcc_lo, exec_lo, s1
	s_cbranch_vccnz .LBB65_725
; %bb.717:
	v_cmp_gt_i16_e32 vcc_lo, 6, v4
	s_mov_b32 s1, -1
	s_cbranch_vccnz .LBB65_723
; %bb.718:
	v_cmp_lt_i16_e32 vcc_lo, 6, v4
	s_cbranch_vccz .LBB65_720
; %bb.719:
	v_cvt_f64_f32_e32 v[5:6], v0
	s_mov_b32 s1, 0
	global_store_b64 v[2:3], v[5:6], off
.LBB65_720:
	s_and_not1_b32 vcc_lo, exec_lo, s1
	s_cbranch_vccnz .LBB65_722
; %bb.721:
	global_store_b32 v[2:3], v0, off
.LBB65_722:
	s_mov_b32 s1, 0
.LBB65_723:
	s_delay_alu instid0(SALU_CYCLE_1)
	s_and_not1_b32 vcc_lo, exec_lo, s1
	s_cbranch_vccnz .LBB65_725
; %bb.724:
	v_cvt_f16_f32_e32 v1, v0
	global_store_b16 v[2:3], v1, off
.LBB65_725:
	s_mov_b32 s1, 0
.LBB65_726:
	s_delay_alu instid0(SALU_CYCLE_1)
	s_and_not1_b32 vcc_lo, exec_lo, s1
	s_cbranch_vccnz .LBB65_742
; %bb.727:
	v_cmp_gt_i16_e32 vcc_lo, 2, v4
	s_mov_b32 s1, -1
	s_cbranch_vccnz .LBB65_737
; %bb.728:
	v_cmp_gt_i16_e32 vcc_lo, 3, v4
	s_cbranch_vccnz .LBB65_734
; %bb.729:
	v_cmp_lt_i16_e32 vcc_lo, 3, v4
	s_cbranch_vccz .LBB65_731
; %bb.730:
	v_trunc_f32_e32 v1, v0
	s_mov_b32 s1, 0
	s_delay_alu instid0(VALU_DEP_1) | instskip(NEXT) | instid1(VALU_DEP_1)
	v_mul_f32_e64 v5, 0x2f800000, |v1|
	v_floor_f32_e32 v5, v5
	s_delay_alu instid0(VALU_DEP_1) | instskip(SKIP_2) | instid1(VALU_DEP_3)
	v_fma_f32 v6, 0xcf800000, v5, |v1|
	v_ashrrev_i32_e32 v1, 31, v1
	v_cvt_u32_f32_e32 v5, v5
	v_cvt_u32_f32_e32 v6, v6
	s_delay_alu instid0(VALU_DEP_2) | instskip(NEXT) | instid1(VALU_DEP_2)
	v_xor_b32_e32 v7, v5, v1
	v_xor_b32_e32 v6, v6, v1
	s_delay_alu instid0(VALU_DEP_1) | instskip(NEXT) | instid1(VALU_DEP_3)
	v_sub_co_u32 v5, vcc_lo, v6, v1
	v_sub_co_ci_u32_e32 v6, vcc_lo, v7, v1, vcc_lo
	global_store_b64 v[2:3], v[5:6], off
.LBB65_731:
	s_and_not1_b32 vcc_lo, exec_lo, s1
	s_cbranch_vccnz .LBB65_733
; %bb.732:
	v_cvt_i32_f32_e32 v1, v0
	global_store_b32 v[2:3], v1, off
.LBB65_733:
	s_mov_b32 s1, 0
.LBB65_734:
	s_delay_alu instid0(SALU_CYCLE_1)
	s_and_not1_b32 vcc_lo, exec_lo, s1
	s_cbranch_vccnz .LBB65_736
; %bb.735:
	v_cvt_i32_f32_e32 v1, v0
	global_store_b16 v[2:3], v1, off
.LBB65_736:
	s_mov_b32 s1, 0
.LBB65_737:
	s_delay_alu instid0(SALU_CYCLE_1)
	s_and_not1_b32 vcc_lo, exec_lo, s1
	s_cbranch_vccnz .LBB65_742
; %bb.738:
	v_cmp_lt_i16_e32 vcc_lo, 0, v4
	s_mov_b32 s1, -1
	s_cbranch_vccz .LBB65_740
; %bb.739:
	v_cvt_i32_f32_e32 v1, v0
	s_mov_b32 s1, 0
	global_store_b8 v[2:3], v1, off
.LBB65_740:
	s_and_not1_b32 vcc_lo, exec_lo, s1
	s_cbranch_vccnz .LBB65_742
; %bb.741:
	v_trunc_f32_e32 v0, v0
	s_delay_alu instid0(VALU_DEP_1) | instskip(NEXT) | instid1(VALU_DEP_1)
	v_mul_f32_e64 v1, 0x2f800000, |v0|
	v_floor_f32_e32 v1, v1
	s_delay_alu instid0(VALU_DEP_1) | instskip(SKIP_1) | instid1(VALU_DEP_2)
	v_fma_f32 v1, 0xcf800000, v1, |v0|
	v_ashrrev_i32_e32 v0, 31, v0
	v_cvt_u32_f32_e32 v1, v1
	s_delay_alu instid0(VALU_DEP_1) | instskip(NEXT) | instid1(VALU_DEP_1)
	v_xor_b32_e32 v1, v1, v0
	v_sub_nc_u32_e32 v0, v1, v0
	global_store_b8 v[2:3], v0, off
.LBB65_742:
	s_branch .LBB65_819
.LBB65_743:
	s_mov_b32 s1, 0
.LBB65_744:
                                        ; implicit-def: $vgpr20
	s_branch .LBB65_820
.LBB65_745:
	s_mov_b32 s0, s45
	s_branch .LBB65_776
.LBB65_746:
	s_mov_b32 s0, s45
	s_branch .LBB65_759
.LBB65_747:
	s_mov_b32 s0, s45
	s_branch .LBB65_755
.LBB65_748:
	s_mov_b32 s0, s45
.LBB65_749:
	s_and_b32 vcc_lo, exec_lo, s2
	s_cbranch_vccz .LBB65_754
; %bb.750:
	v_cmp_eq_u16_e32 vcc_lo, 44, v4
	s_mov_b32 s0, -1
	s_cbranch_vccz .LBB65_754
; %bb.751:
	v_bfe_u32 v6, v0, 23, 8
	v_mov_b32_e32 v5, 0xff
	s_mov_b32 s1, exec_lo
	s_delay_alu instid0(VALU_DEP_2)
	v_cmpx_ne_u32_e32 0xff, v6
; %bb.752:
	v_and_b32_e32 v5, 0x400000, v0
	v_and_or_b32 v6, 0x3fffff, v0, v6
	s_delay_alu instid0(VALU_DEP_2) | instskip(NEXT) | instid1(VALU_DEP_2)
	v_cmp_ne_u32_e32 vcc_lo, 0, v5
	v_cmp_ne_u32_e64 s0, 0, v6
	v_lshrrev_b32_e32 v5, 23, v0
	s_delay_alu instid0(VALU_DEP_2) | instskip(NEXT) | instid1(SALU_CYCLE_1)
	s_and_b32 s0, vcc_lo, s0
	v_cndmask_b32_e64 v6, 0, 1, s0
	s_delay_alu instid0(VALU_DEP_1)
	v_add_nc_u32_e32 v5, v5, v6
; %bb.753:
	s_or_b32 exec_lo, exec_lo, s1
	s_mov_b32 s1, -1
	s_mov_b32 s0, 0
	global_store_b8 v[2:3], v5, off
.LBB65_754:
	s_mov_b32 s2, 0
.LBB65_755:
	s_delay_alu instid0(SALU_CYCLE_1)
	s_and_b32 vcc_lo, exec_lo, s2
	s_cbranch_vccz .LBB65_758
; %bb.756:
	v_cmp_eq_u16_e32 vcc_lo, 29, v4
	s_mov_b32 s0, -1
	s_cbranch_vccz .LBB65_758
; %bb.757:
	v_trunc_f32_e32 v5, v0
	s_mov_b32 s1, -1
	s_mov_b32 s0, 0
	s_mov_b32 s2, 0
	s_delay_alu instid0(VALU_DEP_1) | instskip(NEXT) | instid1(VALU_DEP_1)
	v_mul_f32_e32 v6, 0x2f800000, v5
	v_floor_f32_e32 v6, v6
	s_delay_alu instid0(VALU_DEP_1) | instskip(SKIP_1) | instid1(VALU_DEP_2)
	v_fmamk_f32 v5, v6, 0xcf800000, v5
	v_cvt_u32_f32_e32 v6, v6
	v_cvt_u32_f32_e32 v5, v5
	global_store_b64 v[2:3], v[5:6], off
	s_branch .LBB65_759
.LBB65_758:
	s_mov_b32 s2, 0
.LBB65_759:
	s_delay_alu instid0(SALU_CYCLE_1)
	s_and_b32 vcc_lo, exec_lo, s2
	s_cbranch_vccz .LBB65_775
; %bb.760:
	v_cmp_gt_i16_e32 vcc_lo, 27, v4
	s_mov_b32 s1, -1
	s_cbranch_vccnz .LBB65_766
; %bb.761:
	v_cmp_lt_i16_e32 vcc_lo, 27, v4
	s_cbranch_vccz .LBB65_763
; %bb.762:
	v_cvt_u32_f32_e32 v5, v0
	s_mov_b32 s1, 0
	global_store_b32 v[2:3], v5, off
.LBB65_763:
	s_and_not1_b32 vcc_lo, exec_lo, s1
	s_cbranch_vccnz .LBB65_765
; %bb.764:
	v_cvt_u32_f32_e32 v5, v0
	global_store_b16 v[2:3], v5, off
.LBB65_765:
	s_mov_b32 s1, 0
.LBB65_766:
	s_delay_alu instid0(SALU_CYCLE_1)
	s_and_not1_b32 vcc_lo, exec_lo, s1
	s_cbranch_vccnz .LBB65_774
; %bb.767:
	v_and_b32_e32 v5, 0x7fffffff, v0
	v_mov_b32_e32 v6, 0x80
	s_mov_b32 s1, exec_lo
	s_delay_alu instid0(VALU_DEP_2)
	v_cmpx_gt_u32_e32 0x43800000, v5
	s_cbranch_execz .LBB65_773
; %bb.768:
	v_cmp_lt_u32_e32 vcc_lo, 0x3bffffff, v5
	s_mov_b32 s2, 0
                                        ; implicit-def: $vgpr5
	s_and_saveexec_b32 s3, vcc_lo
	s_delay_alu instid0(SALU_CYCLE_1)
	s_xor_b32 s3, exec_lo, s3
	s_cbranch_execz .LBB65_847
; %bb.769:
	v_bfe_u32 v5, v0, 20, 1
	s_mov_b32 s2, exec_lo
	s_delay_alu instid0(VALU_DEP_1) | instskip(NEXT) | instid1(VALU_DEP_1)
	v_add3_u32 v5, v0, v5, 0x487ffff
	v_lshrrev_b32_e32 v5, 20, v5
	s_or_saveexec_b32 s3, s3
                                        ; implicit-def: $sgpr4
	s_delay_alu instid0(SALU_CYCLE_1)
	s_xor_b32 exec_lo, exec_lo, s3
	s_cbranch_execnz .LBB65_848
.LBB65_770:
	s_or_b32 exec_lo, exec_lo, s3
	v_mov_b32_e32 v6, s4
	s_and_saveexec_b32 s3, s2
.LBB65_771:
	v_lshrrev_b32_e32 v6, 24, v0
	s_delay_alu instid0(VALU_DEP_1)
	v_and_or_b32 v6, 0x80, v6, v5
.LBB65_772:
	s_or_b32 exec_lo, exec_lo, s3
.LBB65_773:
	s_delay_alu instid0(SALU_CYCLE_1)
	s_or_b32 exec_lo, exec_lo, s1
	global_store_b8 v[2:3], v6, off
.LBB65_774:
	s_mov_b32 s1, -1
.LBB65_775:
	s_mov_b32 s2, 0
.LBB65_776:
	s_delay_alu instid0(SALU_CYCLE_1)
	s_and_b32 vcc_lo, exec_lo, s2
	s_cbranch_vccz .LBB65_817
; %bb.777:
	v_cmp_lt_i16_e32 vcc_lo, 22, v4
	s_mov_b32 s2, -1
	s_cbranch_vccz .LBB65_809
; %bb.778:
	v_cmp_gt_i16_e32 vcc_lo, 24, v4
	s_mov_b32 s1, -1
	s_cbranch_vccnz .LBB65_798
; %bb.779:
	v_cmp_lt_i16_e32 vcc_lo, 24, v4
	s_cbranch_vccz .LBB65_787
; %bb.780:
	v_and_b32_e32 v5, 0x7fffffff, v0
	v_mov_b32_e32 v6, 0x80
	s_mov_b32 s1, exec_lo
	s_delay_alu instid0(VALU_DEP_2)
	v_cmpx_gt_u32_e32 0x47800000, v5
	s_cbranch_execz .LBB65_786
; %bb.781:
	v_cmp_lt_u32_e32 vcc_lo, 0x37ffffff, v5
	s_mov_b32 s2, 0
                                        ; implicit-def: $vgpr5
	s_and_saveexec_b32 s3, vcc_lo
	s_delay_alu instid0(SALU_CYCLE_1)
	s_xor_b32 s3, exec_lo, s3
	s_cbranch_execz .LBB65_850
; %bb.782:
	v_bfe_u32 v5, v0, 21, 1
	s_mov_b32 s2, exec_lo
	s_delay_alu instid0(VALU_DEP_1) | instskip(NEXT) | instid1(VALU_DEP_1)
	v_add3_u32 v5, v0, v5, 0x88fffff
	v_lshrrev_b32_e32 v5, 21, v5
	s_or_saveexec_b32 s3, s3
                                        ; implicit-def: $sgpr4
	s_delay_alu instid0(SALU_CYCLE_1)
	s_xor_b32 exec_lo, exec_lo, s3
	s_cbranch_execnz .LBB65_851
.LBB65_783:
	s_or_b32 exec_lo, exec_lo, s3
	v_mov_b32_e32 v6, s4
	s_and_saveexec_b32 s3, s2
.LBB65_784:
	v_lshrrev_b32_e32 v6, 24, v0
	s_delay_alu instid0(VALU_DEP_1)
	v_and_or_b32 v6, 0x80, v6, v5
.LBB65_785:
	s_or_b32 exec_lo, exec_lo, s3
.LBB65_786:
	s_delay_alu instid0(SALU_CYCLE_1)
	s_or_b32 exec_lo, exec_lo, s1
	s_mov_b32 s1, 0
	global_store_b8 v[2:3], v6, off
.LBB65_787:
	s_and_b32 vcc_lo, exec_lo, s1
	s_cbranch_vccz .LBB65_797
; %bb.788:
	v_and_b32_e32 v6, 0x7fffffff, v0
	s_mov_b32 s1, exec_lo
                                        ; implicit-def: $vgpr5
	s_delay_alu instid0(VALU_DEP_1)
	v_cmpx_gt_u32_e32 0x43f00000, v6
	s_xor_b32 s1, exec_lo, s1
	s_cbranch_execz .LBB65_794
; %bb.789:
	s_mov_b32 s2, exec_lo
                                        ; implicit-def: $vgpr5
	v_cmpx_lt_u32_e32 0x3c7fffff, v6
	s_xor_b32 s2, exec_lo, s2
; %bb.790:
	v_bfe_u32 v5, v0, 20, 1
	s_delay_alu instid0(VALU_DEP_1) | instskip(NEXT) | instid1(VALU_DEP_1)
	v_add3_u32 v5, v0, v5, 0x407ffff
	v_and_b32_e32 v6, 0xff00000, v5
	v_lshrrev_b32_e32 v5, 20, v5
	s_delay_alu instid0(VALU_DEP_2) | instskip(NEXT) | instid1(VALU_DEP_2)
	v_cmp_ne_u32_e32 vcc_lo, 0x7f00000, v6
	v_cndmask_b32_e32 v5, 0x7e, v5, vcc_lo
; %bb.791:
	s_and_not1_saveexec_b32 s2, s2
; %bb.792:
	v_add_f32_e64 v5, 0x46800000, |v0|
; %bb.793:
	s_or_b32 exec_lo, exec_lo, s2
                                        ; implicit-def: $vgpr6
.LBB65_794:
	s_and_not1_saveexec_b32 s1, s1
; %bb.795:
	v_mov_b32_e32 v5, 0x7f
	v_cmp_lt_u32_e32 vcc_lo, 0x7f800000, v6
	s_delay_alu instid0(VALU_DEP_2)
	v_cndmask_b32_e32 v5, 0x7e, v5, vcc_lo
; %bb.796:
	s_or_b32 exec_lo, exec_lo, s1
	v_lshrrev_b32_e32 v6, 24, v0
	s_delay_alu instid0(VALU_DEP_1)
	v_and_or_b32 v5, 0x80, v6, v5
	global_store_b8 v[2:3], v5, off
.LBB65_797:
	s_mov_b32 s1, 0
.LBB65_798:
	s_delay_alu instid0(SALU_CYCLE_1)
	s_and_not1_b32 vcc_lo, exec_lo, s1
	s_cbranch_vccnz .LBB65_808
; %bb.799:
	v_and_b32_e32 v6, 0x7fffffff, v0
	s_mov_b32 s1, exec_lo
                                        ; implicit-def: $vgpr5
	s_delay_alu instid0(VALU_DEP_1)
	v_cmpx_gt_u32_e32 0x47800000, v6
	s_xor_b32 s1, exec_lo, s1
	s_cbranch_execz .LBB65_805
; %bb.800:
	s_mov_b32 s2, exec_lo
                                        ; implicit-def: $vgpr5
	v_cmpx_lt_u32_e32 0x387fffff, v6
	s_xor_b32 s2, exec_lo, s2
; %bb.801:
	v_bfe_u32 v5, v0, 21, 1
	s_delay_alu instid0(VALU_DEP_1) | instskip(NEXT) | instid1(VALU_DEP_1)
	v_add3_u32 v5, v0, v5, 0x80fffff
	v_lshrrev_b32_e32 v5, 21, v5
; %bb.802:
	s_and_not1_saveexec_b32 s2, s2
; %bb.803:
	v_add_f32_e64 v5, 0x43000000, |v0|
; %bb.804:
	s_or_b32 exec_lo, exec_lo, s2
                                        ; implicit-def: $vgpr6
.LBB65_805:
	s_and_not1_saveexec_b32 s1, s1
; %bb.806:
	v_mov_b32_e32 v5, 0x7f
	v_cmp_lt_u32_e32 vcc_lo, 0x7f800000, v6
	s_delay_alu instid0(VALU_DEP_2)
	v_cndmask_b32_e32 v5, 0x7c, v5, vcc_lo
; %bb.807:
	s_or_b32 exec_lo, exec_lo, s1
	v_lshrrev_b32_e32 v6, 24, v0
	s_delay_alu instid0(VALU_DEP_1)
	v_and_or_b32 v5, 0x80, v6, v5
	global_store_b8 v[2:3], v5, off
.LBB65_808:
	s_mov_b32 s2, 0
	s_mov_b32 s1, -1
.LBB65_809:
	s_and_not1_b32 vcc_lo, exec_lo, s2
	s_cbranch_vccnz .LBB65_817
; %bb.810:
	v_cmp_lt_i16_e32 vcc_lo, 14, v4
	s_mov_b32 s2, -1
	s_cbranch_vccz .LBB65_814
; %bb.811:
	v_cmp_eq_u16_e32 vcc_lo, 15, v4
	s_mov_b32 s0, -1
	s_cbranch_vccz .LBB65_813
; %bb.812:
	v_bfe_u32 v5, v0, 16, 1
	v_cmp_o_f32_e32 vcc_lo, v0, v0
	s_mov_b32 s1, -1
	s_mov_b32 s0, 0
	s_delay_alu instid0(VALU_DEP_2) | instskip(NEXT) | instid1(VALU_DEP_1)
	v_add3_u32 v5, v0, v5, 0x7fff
	v_lshrrev_b32_e32 v5, 16, v5
	s_delay_alu instid0(VALU_DEP_1)
	v_cndmask_b32_e32 v5, 0x7fc0, v5, vcc_lo
	global_store_b16 v[2:3], v5, off
.LBB65_813:
	s_mov_b32 s2, 0
.LBB65_814:
	s_delay_alu instid0(SALU_CYCLE_1)
	s_and_b32 vcc_lo, exec_lo, s2
	s_cbranch_vccz .LBB65_817
; %bb.815:
	v_cmp_eq_u16_e32 vcc_lo, 11, v4
	s_mov_b32 s0, -1
	s_cbranch_vccz .LBB65_817
; %bb.816:
	v_or_b32_e32 v5, v0, v1
	s_mov_b32 s0, 0
	s_mov_b32 s1, -1
	s_delay_alu instid0(VALU_DEP_1) | instskip(NEXT) | instid1(VALU_DEP_1)
	v_and_b32_e32 v5, 0x7fffffff, v5
	v_cmp_ne_u32_e32 vcc_lo, 0, v5
	v_cndmask_b32_e64 v5, 0, 1, vcc_lo
	global_store_b8 v[2:3], v5, off
.LBB65_817:
.LBB65_818:
	s_and_not1_b32 vcc_lo, exec_lo, s1
	s_cbranch_vccnz .LBB65_743
.LBB65_819:
	v_add_nc_u32_e32 v20, 0x80, v20
	s_mov_b32 s1, -1
.LBB65_820:
	s_and_not1_b32 s2, s45, exec_lo
	s_and_b32 s0, s0, exec_lo
	s_and_not1_b32 s3, s44, exec_lo
	s_and_b32 s4, s48, exec_lo
	s_or_b32 s5, s2, s0
	s_or_b32 s4, s3, s4
	s_or_not1_b32 s3, s1, exec_lo
.LBB65_821:
	s_or_b32 exec_lo, exec_lo, s47
	s_mov_b32 s0, 0
	s_mov_b32 s1, 0
	;; [unrolled: 1-line block ×3, first 2 shown]
                                        ; implicit-def: $vgpr3_vgpr4
                                        ; implicit-def: $vgpr17
                                        ; implicit-def: $vgpr2
	s_and_saveexec_b32 s6, s3
	s_cbranch_execz .LBB65_922
; %bb.822:
	s_mov_b32 s8, s4
	s_mov_b32 s3, 0
	s_mov_b32 s7, exec_lo
                                        ; implicit-def: $vgpr3_vgpr4
                                        ; implicit-def: $vgpr17
                                        ; implicit-def: $vgpr2
	v_cmpx_gt_i32_e64 s38, v20
	s_cbranch_execz .LBB65_921
; %bb.823:
	s_and_not1_b32 vcc_lo, exec_lo, s35
	s_cbranch_vccnz .LBB65_828
; %bb.824:
	s_waitcnt vmcnt(0)
	v_dual_mov_b32 v17, 0 :: v_dual_mov_b32 v0, 0
	s_and_not1_b32 vcc_lo, exec_lo, s40
	s_mov_b32 s8, 0
	s_cbranch_vccnz .LBB65_833
; %bb.825:
	v_mov_b32_e32 v17, 0
	s_add_i32 s39, s39, 1
	s_cmp_eq_u32 s33, 2
	s_cbranch_scc1 .LBB65_829
; %bb.826:
	v_dual_mov_b32 v0, 0 :: v_dual_mov_b32 v17, 0
	v_mov_b32_e32 v1, v20
	s_and_b32 s2, s39, 28
	s_mov_b64 s[0:1], s[24:25]
.LBB65_827:                             ; =>This Inner Loop Header: Depth=1
	s_clause 0x1
	s_load_b256 s[48:55], s[0:1], 0x4
	s_load_b128 s[64:67], s[0:1], 0x24
	s_load_b256 s[56:63], s[28:29], 0x0
	s_add_u32 s0, s0, 48
	s_addc_u32 s1, s1, 0
	s_add_i32 s3, s3, 4
	s_add_u32 s28, s28, 32
	s_addc_u32 s29, s29, 0
	s_cmp_eq_u32 s2, s3
	s_waitcnt lgkmcnt(0)
	v_mul_hi_u32 v2, s49, v1
	s_delay_alu instid0(VALU_DEP_1) | instskip(NEXT) | instid1(VALU_DEP_1)
	v_add_nc_u32_e32 v2, v1, v2
	v_lshrrev_b32_e32 v2, s50, v2
	s_delay_alu instid0(VALU_DEP_1) | instskip(SKIP_1) | instid1(VALU_DEP_2)
	v_mul_hi_u32 v3, s52, v2
	v_mul_lo_u32 v5, v2, s48
	v_add_nc_u32_e32 v3, v2, v3
	s_delay_alu instid0(VALU_DEP_2) | instskip(NEXT) | instid1(VALU_DEP_2)
	v_sub_nc_u32_e32 v1, v1, v5
	v_lshrrev_b32_e32 v3, s53, v3
	s_delay_alu instid0(VALU_DEP_2) | instskip(SKIP_1) | instid1(VALU_DEP_3)
	v_mul_lo_u32 v5, v1, s56
	v_mul_lo_u32 v7, v1, s57
	v_mul_hi_u32 v4, s55, v3
	s_delay_alu instid0(VALU_DEP_1) | instskip(NEXT) | instid1(VALU_DEP_1)
	v_add_nc_u32_e32 v4, v3, v4
	v_lshrrev_b32_e32 v4, s64, v4
	s_delay_alu instid0(VALU_DEP_1) | instskip(SKIP_1) | instid1(VALU_DEP_2)
	v_mul_hi_u32 v6, s66, v4
	v_mul_lo_u32 v8, v4, s54
	v_add_nc_u32_e32 v1, v4, v6
	v_mul_lo_u32 v6, v3, s51
	s_delay_alu instid0(VALU_DEP_3) | instskip(NEXT) | instid1(VALU_DEP_3)
	v_sub_nc_u32_e32 v3, v3, v8
	v_lshrrev_b32_e32 v1, s67, v1
	s_delay_alu instid0(VALU_DEP_2) | instskip(SKIP_2) | instid1(VALU_DEP_4)
	v_mul_lo_u32 v8, v3, s60
	v_mul_lo_u32 v3, v3, s61
	v_sub_nc_u32_e32 v2, v2, v6
	v_mul_lo_u32 v9, v1, s65
	s_delay_alu instid0(VALU_DEP_2) | instskip(SKIP_1) | instid1(VALU_DEP_3)
	v_mul_lo_u32 v6, v2, s58
	v_mul_lo_u32 v2, v2, s59
	v_sub_nc_u32_e32 v4, v4, v9
	s_delay_alu instid0(VALU_DEP_3) | instskip(NEXT) | instid1(VALU_DEP_2)
	v_add3_u32 v5, v5, v17, v6
	v_mul_lo_u32 v9, v4, s62
	v_mul_lo_u32 v4, v4, s63
	v_add3_u32 v0, v7, v0, v2
	s_delay_alu instid0(VALU_DEP_3) | instskip(NEXT) | instid1(VALU_DEP_2)
	v_add3_u32 v17, v8, v5, v9
	v_add3_u32 v0, v3, v0, v4
	s_cbranch_scc0 .LBB65_827
	s_branch .LBB65_830
.LBB65_828:
	s_mov_b32 s8, -1
                                        ; implicit-def: $vgpr17
                                        ; implicit-def: $vgpr0
	s_branch .LBB65_833
.LBB65_829:
	v_dual_mov_b32 v1, v20 :: v_dual_mov_b32 v0, 0
.LBB65_830:
	s_and_b32 s28, s39, 3
	s_delay_alu instid0(SALU_CYCLE_1)
	s_cmp_eq_u32 s28, 0
	s_cbranch_scc1 .LBB65_833
; %bb.831:
	s_lshl_b32 s0, s2, 3
	s_mul_i32 s2, s2, 12
	s_add_u32 s0, s0, s24
	s_addc_u32 s1, s25, 0
	s_add_u32 s0, s0, 0xc4
	s_addc_u32 s1, s1, 0
	;; [unrolled: 2-line block ×3, first 2 shown]
.LBB65_832:                             ; =>This Inner Loop Header: Depth=1
	s_clause 0x1
	s_load_b64 s[30:31], s[2:3], 0x4
	s_load_b32 s29, s[2:3], 0xc
	s_load_b64 s[38:39], s[0:1], 0x0
	s_add_u32 s2, s2, 12
	s_addc_u32 s3, s3, 0
	s_add_u32 s0, s0, 8
	s_addc_u32 s1, s1, 0
	s_add_i32 s28, s28, -1
	s_delay_alu instid0(SALU_CYCLE_1) | instskip(SKIP_2) | instid1(VALU_DEP_1)
	s_cmp_lg_u32 s28, 0
	s_waitcnt lgkmcnt(0)
	v_mul_hi_u32 v2, s31, v1
	v_add_nc_u32_e32 v2, v1, v2
	s_delay_alu instid0(VALU_DEP_1) | instskip(NEXT) | instid1(VALU_DEP_1)
	v_lshrrev_b32_e32 v5, s29, v2
	v_mul_lo_u32 v2, v5, s30
	s_delay_alu instid0(VALU_DEP_1) | instskip(NEXT) | instid1(VALU_DEP_1)
	v_sub_nc_u32_e32 v1, v1, v2
	v_mad_u64_u32 v[2:3], null, v1, s38, v[17:18]
	v_mad_u64_u32 v[3:4], null, v1, s39, v[0:1]
	v_mov_b32_e32 v1, v5
	s_delay_alu instid0(VALU_DEP_2)
	v_dual_mov_b32 v17, v2 :: v_dual_mov_b32 v0, v3
	s_cbranch_scc1 .LBB65_832
.LBB65_833:
	s_and_not1_b32 vcc_lo, exec_lo, s8
	s_cbranch_vccnz .LBB65_836
; %bb.834:
	s_waitcnt vmcnt(0) lgkmcnt(0)
	v_mul_hi_u32 v0, s21, v20
	s_and_not1_b32 vcc_lo, exec_lo, s37
	s_delay_alu instid0(VALU_DEP_1) | instskip(NEXT) | instid1(VALU_DEP_1)
	v_add_nc_u32_e32 v0, v20, v0
	v_lshrrev_b32_e32 v1, s22, v0
	s_delay_alu instid0(VALU_DEP_1) | instskip(NEXT) | instid1(VALU_DEP_1)
	v_mul_lo_u32 v0, v1, s20
	v_sub_nc_u32_e32 v0, v20, v0
	s_delay_alu instid0(VALU_DEP_1)
	v_mul_lo_u32 v17, v0, s16
	v_mul_lo_u32 v0, v0, s17
	s_cbranch_vccnz .LBB65_836
; %bb.835:
	v_mul_hi_u32 v2, s26, v1
	s_delay_alu instid0(VALU_DEP_1) | instskip(NEXT) | instid1(VALU_DEP_1)
	v_add_nc_u32_e32 v2, v1, v2
	v_lshrrev_b32_e32 v2, s27, v2
	s_delay_alu instid0(VALU_DEP_1) | instskip(NEXT) | instid1(VALU_DEP_1)
	v_mul_lo_u32 v2, v2, s23
	v_sub_nc_u32_e32 v4, v1, v2
	s_delay_alu instid0(VALU_DEP_1) | instskip(NEXT) | instid1(VALU_DEP_1)
	v_mad_u64_u32 v[1:2], null, v4, s18, v[17:18]
	v_mad_u64_u32 v[2:3], null, v4, s19, v[0:1]
	s_delay_alu instid0(VALU_DEP_1)
	v_dual_mov_b32 v17, v1 :: v_dual_mov_b32 v0, v2
.LBB65_836:
	v_cmp_gt_i16_e32 vcc_lo, 11, v19
	s_waitcnt vmcnt(0) lgkmcnt(0)
	s_delay_alu instid0(VALU_DEP_2) | instskip(NEXT) | instid1(VALU_DEP_1)
	v_add_co_u32 v3, s0, s14, v0
	v_add_co_ci_u32_e64 v4, null, s15, 0, s0
	s_mov_b32 s2, 0
	s_cbranch_vccnz .LBB65_843
; %bb.837:
	v_cmp_lt_i16_e32 vcc_lo, 25, v19
	s_mov_b32 s1, 0
	s_cbranch_vccz .LBB65_844
; %bb.838:
	v_cmp_lt_i16_e32 vcc_lo, 28, v19
	s_cbranch_vccz .LBB65_845
; %bb.839:
	v_cmp_lt_i16_e32 vcc_lo, 43, v19
	;; [unrolled: 3-line block ×3, first 2 shown]
	s_cbranch_vccz .LBB65_849
; %bb.841:
	v_cmp_eq_u16_e32 vcc_lo, 46, v19
	s_mov_b32 s3, 0
	s_cbranch_vccz .LBB65_852
; %bb.842:
	global_load_b32 v0, v[3:4], off
	s_mov_b32 s0, 0
	s_mov_b32 s2, -1
	s_waitcnt vmcnt(0)
	v_and_b32_e32 v2, 0xffff0000, v0
	v_lshlrev_b32_e32 v1, 16, v0
	s_branch .LBB65_854
.LBB65_843:
	s_mov_b32 s3, -1
	s_mov_b32 s1, 0
	s_mov_b32 s0, s4
                                        ; implicit-def: $vgpr2
	s_branch .LBB65_920
.LBB65_844:
	s_mov_b32 s3, -1
	s_mov_b32 s0, s4
                                        ; implicit-def: $vgpr2
	s_branch .LBB65_887
.LBB65_845:
	s_mov_b32 s3, -1
	s_mov_b32 s0, s4
                                        ; implicit-def: $vgpr2
	s_branch .LBB65_866
.LBB65_846:
	s_mov_b32 s3, -1
	s_mov_b32 s0, s4
                                        ; implicit-def: $vgpr2
	s_branch .LBB65_860
.LBB65_847:
	s_or_saveexec_b32 s3, s3
                                        ; implicit-def: $sgpr4
	s_delay_alu instid0(SALU_CYCLE_1)
	s_xor_b32 exec_lo, exec_lo, s3
	s_cbranch_execz .LBB65_770
.LBB65_848:
	v_add_f32_e64 v5, 0x46000000, |v0|
	s_and_not1_b32 s2, s2, exec_lo
	s_mov_b32 s4, 0
	s_delay_alu instid0(VALU_DEP_1) | instskip(NEXT) | instid1(VALU_DEP_1)
	v_and_b32_e32 v5, 0xff, v5
	v_cmp_ne_u32_e32 vcc_lo, 0, v5
	s_and_b32 s5, vcc_lo, exec_lo
	s_delay_alu instid0(SALU_CYCLE_1)
	s_or_b32 s2, s2, s5
	s_or_b32 exec_lo, exec_lo, s3
	v_mov_b32_e32 v6, s4
	s_and_saveexec_b32 s3, s2
	s_cbranch_execnz .LBB65_771
	s_branch .LBB65_772
.LBB65_849:
	s_mov_b32 s3, -1
	s_mov_b32 s0, s4
	s_branch .LBB65_853
.LBB65_850:
	s_or_saveexec_b32 s3, s3
                                        ; implicit-def: $sgpr4
	s_delay_alu instid0(SALU_CYCLE_1)
	s_xor_b32 exec_lo, exec_lo, s3
	s_cbranch_execz .LBB65_783
.LBB65_851:
	v_add_f32_e64 v5, 0x42800000, |v0|
	s_and_not1_b32 s2, s2, exec_lo
	s_mov_b32 s4, 0
	s_delay_alu instid0(VALU_DEP_1) | instskip(NEXT) | instid1(VALU_DEP_1)
	v_and_b32_e32 v5, 0xff, v5
	v_cmp_ne_u32_e32 vcc_lo, 0, v5
	s_and_b32 s5, vcc_lo, exec_lo
	s_delay_alu instid0(SALU_CYCLE_1)
	s_or_b32 s2, s2, s5
	s_or_b32 exec_lo, exec_lo, s3
	v_mov_b32_e32 v6, s4
	s_and_saveexec_b32 s3, s2
	s_cbranch_execnz .LBB65_784
	s_branch .LBB65_785
.LBB65_852:
	s_mov_b32 s0, -1
.LBB65_853:
                                        ; implicit-def: $vgpr2
.LBB65_854:
	s_and_b32 vcc_lo, exec_lo, s3
	s_cbranch_vccz .LBB65_859
; %bb.855:
	v_cmp_eq_u16_e32 vcc_lo, 44, v19
	s_cbranch_vccz .LBB65_857
; %bb.856:
	global_load_u8 v0, v[3:4], off
	s_mov_b32 s0, 0
	s_mov_b32 s2, -1
	s_waitcnt vmcnt(0)
	v_lshlrev_b32_e32 v1, 23, v0
	v_cmp_ne_u32_e32 vcc_lo, 0xff, v0
	s_delay_alu instid0(VALU_DEP_2) | instskip(SKIP_1) | instid1(VALU_DEP_2)
	v_cndmask_b32_e32 v1, 0x7f800001, v1, vcc_lo
	v_cmp_ne_u32_e32 vcc_lo, 0, v0
	v_cndmask_b32_e32 v1, 0x400000, v1, vcc_lo
	s_branch .LBB65_858
.LBB65_857:
	s_mov_b32 s0, -1
                                        ; implicit-def: $vgpr1
.LBB65_858:
	s_delay_alu instid0(SALU_CYCLE_1)
	v_mov_b32_e32 v2, s0
.LBB65_859:
	s_mov_b32 s3, 0
.LBB65_860:
	s_delay_alu instid0(SALU_CYCLE_1)
	s_and_b32 vcc_lo, exec_lo, s3
	s_cbranch_vccz .LBB65_865
; %bb.861:
	v_cmp_eq_u16_e32 vcc_lo, 29, v19
	s_cbranch_vccz .LBB65_863
; %bb.862:
	global_load_b64 v[0:1], v[3:4], off
	s_mov_b32 s0, 0
	s_mov_b32 s2, -1
	s_mov_b32 s3, 0
	s_waitcnt vmcnt(0)
	v_clz_i32_u32_e32 v2, v1
	s_delay_alu instid0(VALU_DEP_1) | instskip(NEXT) | instid1(VALU_DEP_1)
	v_min_u32_e32 v2, 32, v2
	v_lshlrev_b64 v[0:1], v2, v[0:1]
	s_delay_alu instid0(VALU_DEP_1) | instskip(NEXT) | instid1(VALU_DEP_1)
	v_min_u32_e32 v0, 1, v0
	v_or_b32_e32 v0, v1, v0
	v_sub_nc_u32_e32 v1, 32, v2
	s_delay_alu instid0(VALU_DEP_2) | instskip(NEXT) | instid1(VALU_DEP_1)
	v_cvt_f32_u32_e32 v0, v0
	v_ldexp_f32 v1, v0, v1
	s_branch .LBB65_864
.LBB65_863:
	s_mov_b32 s0, -1
                                        ; implicit-def: $sgpr3
                                        ; implicit-def: $vgpr1
.LBB65_864:
	v_mov_b32_e32 v2, s3
.LBB65_865:
	s_mov_b32 s3, 0
.LBB65_866:
	s_delay_alu instid0(SALU_CYCLE_1)
	s_and_b32 vcc_lo, exec_lo, s3
	s_cbranch_vccz .LBB65_886
; %bb.867:
	v_cmp_gt_i16_e32 vcc_lo, 27, v19
	s_cbranch_vccnz .LBB65_870
; %bb.868:
	v_cmp_lt_i16_e32 vcc_lo, 27, v19
	s_cbranch_vccz .LBB65_871
; %bb.869:
	global_load_b32 v0, v[3:4], off
	s_mov_b32 s3, 0
	s_mov_b32 s2, 0
	s_waitcnt vmcnt(0)
	v_cvt_f32_u32_e32 v1, v0
	s_branch .LBB65_872
.LBB65_870:
	s_mov_b32 s3, -1
                                        ; implicit-def: $sgpr2
                                        ; implicit-def: $vgpr1
	s_branch .LBB65_875
.LBB65_871:
	s_mov_b32 s3, -1
                                        ; implicit-def: $sgpr2
                                        ; implicit-def: $vgpr1
.LBB65_872:
	s_delay_alu instid0(SALU_CYCLE_1)
	s_and_not1_b32 vcc_lo, exec_lo, s3
	s_cbranch_vccnz .LBB65_874
; %bb.873:
	global_load_u16 v0, v[3:4], off
	s_mov_b32 s2, 0
	s_waitcnt vmcnt(0)
	v_cvt_f32_u32_e32 v1, v0
.LBB65_874:
	s_mov_b32 s3, 0
.LBB65_875:
	v_mov_b32_e32 v2, s2
	s_and_not1_b32 vcc_lo, exec_lo, s3
	s_cbranch_vccnz .LBB65_885
; %bb.876:
	global_load_u8 v0, v[3:4], off
	s_mov_b32 s2, 0
	s_mov_b32 s14, exec_lo
                                        ; implicit-def: $sgpr8
                                        ; implicit-def: $sgpr3
	s_waitcnt vmcnt(0)
	v_cmpx_lt_i16_e32 0x7f, v0
	s_xor_b32 s14, exec_lo, s14
	s_cbranch_execz .LBB65_880
; %bb.877:
	s_mov_b32 s2, -1
	s_mov_b32 s15, exec_lo
                                        ; implicit-def: $sgpr8
                                        ; implicit-def: $sgpr3
	v_cmpx_eq_u16_e32 0x80, v0
; %bb.878:
	s_mov_b32 s3, 0x7f800001
	s_mov_b32 s8, 0
	s_xor_b32 s2, exec_lo, -1
; %bb.879:
	s_or_b32 exec_lo, exec_lo, s15
	s_delay_alu instid0(SALU_CYCLE_1)
	s_and_b32 s2, s2, exec_lo
.LBB65_880:
	s_or_saveexec_b32 s14, s14
	v_dual_mov_b32 v2, s8 :: v_dual_mov_b32 v1, s3
	s_xor_b32 exec_lo, exec_lo, s14
; %bb.881:
	v_cmp_ne_u16_e32 vcc_lo, 0, v0
	v_dual_mov_b32 v2, 0 :: v_dual_mov_b32 v1, 0
	s_and_not1_b32 s2, s2, exec_lo
	s_and_b32 s3, vcc_lo, exec_lo
	s_delay_alu instid0(SALU_CYCLE_1)
	s_or_b32 s2, s2, s3
; %bb.882:
	s_or_b32 exec_lo, exec_lo, s14
	s_and_saveexec_b32 s3, s2
	s_cbranch_execz .LBB65_884
; %bb.883:
	v_and_b32_e32 v1, 0xffff, v0
	v_lshlrev_b32_e32 v0, 24, v0
	s_delay_alu instid0(VALU_DEP_2) | instskip(NEXT) | instid1(VALU_DEP_2)
	v_and_b32_e32 v2, 7, v1
	v_and_b32_e32 v0, 0x80000000, v0
	s_delay_alu instid0(VALU_DEP_2) | instskip(NEXT) | instid1(VALU_DEP_1)
	v_clz_i32_u32_e32 v5, v2
	v_min_u32_e32 v5, 32, v5
	s_delay_alu instid0(VALU_DEP_1) | instskip(SKIP_1) | instid1(VALU_DEP_2)
	v_subrev_nc_u32_e32 v6, 28, v5
	v_sub_nc_u32_e32 v5, 29, v5
	v_lshlrev_b32_e32 v6, v6, v1
	v_bfe_u32 v1, v1, 3, 4
	s_delay_alu instid0(VALU_DEP_1) | instskip(NEXT) | instid1(VALU_DEP_3)
	v_cmp_eq_u32_e32 vcc_lo, 0, v1
	v_dual_cndmask_b32 v1, v1, v5 :: v_dual_and_b32 v6, 7, v6
	s_delay_alu instid0(VALU_DEP_1) | instskip(NEXT) | instid1(VALU_DEP_2)
	v_cndmask_b32_e32 v2, v2, v6, vcc_lo
	v_lshl_add_u32 v1, v1, 23, 0x3b800000
	s_delay_alu instid0(VALU_DEP_2) | instskip(NEXT) | instid1(VALU_DEP_1)
	v_lshlrev_b32_e32 v2, 20, v2
	v_or3_b32 v1, v0, v1, v2
	v_mov_b32_e32 v2, 0
.LBB65_884:
	s_or_b32 exec_lo, exec_lo, s3
.LBB65_885:
	s_mov_b32 s2, -1
.LBB65_886:
	s_mov_b32 s3, 0
.LBB65_887:
	s_delay_alu instid0(SALU_CYCLE_1)
	s_and_b32 vcc_lo, exec_lo, s3
	s_cbranch_vccz .LBB65_919
; %bb.888:
	v_cmp_lt_i16_e32 vcc_lo, 22, v19
	s_cbranch_vccz .LBB65_900
; %bb.889:
	v_cmp_gt_i16_e32 vcc_lo, 24, v19
	s_cbranch_vccnz .LBB65_901
; %bb.890:
	v_cmp_lt_i16_e32 vcc_lo, 24, v19
	s_cbranch_vccz .LBB65_902
; %bb.891:
	global_load_u8 v0, v[3:4], off
	s_mov_b32 s8, exec_lo
                                        ; implicit-def: $sgpr3
                                        ; implicit-def: $sgpr2
	s_waitcnt vmcnt(0)
	v_cmpx_lt_i16_e32 0x7f, v0
	s_xor_b32 s8, exec_lo, s8
	s_cbranch_execz .LBB65_895
; %bb.892:
	s_mov_b32 s1, -1
	s_mov_b32 s14, exec_lo
                                        ; implicit-def: $sgpr3
                                        ; implicit-def: $sgpr2
	v_cmpx_eq_u16_e32 0x80, v0
; %bb.893:
	s_mov_b32 s2, 0x7f800001
	s_mov_b32 s3, 0
	s_xor_b32 s1, exec_lo, -1
; %bb.894:
	s_or_b32 exec_lo, exec_lo, s14
	s_delay_alu instid0(SALU_CYCLE_1)
	s_and_b32 s1, s1, exec_lo
.LBB65_895:
	s_or_saveexec_b32 s8, s8
	v_dual_mov_b32 v2, s3 :: v_dual_mov_b32 v1, s2
	s_xor_b32 exec_lo, exec_lo, s8
; %bb.896:
	v_cmp_ne_u16_e32 vcc_lo, 0, v0
	v_dual_mov_b32 v2, 0 :: v_dual_mov_b32 v1, 0
	s_and_not1_b32 s1, s1, exec_lo
	s_and_b32 s2, vcc_lo, exec_lo
	s_delay_alu instid0(SALU_CYCLE_1)
	s_or_b32 s1, s1, s2
; %bb.897:
	s_or_b32 exec_lo, exec_lo, s8
	s_and_saveexec_b32 s2, s1
	s_cbranch_execz .LBB65_899
; %bb.898:
	v_and_b32_e32 v1, 0xffff, v0
	v_lshlrev_b32_e32 v0, 24, v0
	s_delay_alu instid0(VALU_DEP_2) | instskip(NEXT) | instid1(VALU_DEP_2)
	v_and_b32_e32 v2, 3, v1
	v_and_b32_e32 v0, 0x80000000, v0
	s_delay_alu instid0(VALU_DEP_2) | instskip(NEXT) | instid1(VALU_DEP_1)
	v_clz_i32_u32_e32 v5, v2
	v_min_u32_e32 v5, 32, v5
	s_delay_alu instid0(VALU_DEP_1) | instskip(SKIP_1) | instid1(VALU_DEP_2)
	v_subrev_nc_u32_e32 v6, 29, v5
	v_sub_nc_u32_e32 v5, 30, v5
	v_lshlrev_b32_e32 v6, v6, v1
	v_bfe_u32 v1, v1, 2, 5
	s_delay_alu instid0(VALU_DEP_1) | instskip(NEXT) | instid1(VALU_DEP_3)
	v_cmp_eq_u32_e32 vcc_lo, 0, v1
	v_dual_cndmask_b32 v1, v1, v5 :: v_dual_and_b32 v6, 3, v6
	s_delay_alu instid0(VALU_DEP_1) | instskip(NEXT) | instid1(VALU_DEP_2)
	v_cndmask_b32_e32 v2, v2, v6, vcc_lo
	v_lshl_add_u32 v1, v1, 23, 0x37800000
	s_delay_alu instid0(VALU_DEP_2) | instskip(NEXT) | instid1(VALU_DEP_1)
	v_lshlrev_b32_e32 v2, 21, v2
	v_or3_b32 v1, v0, v1, v2
	v_mov_b32_e32 v2, 0
.LBB65_899:
	s_or_b32 exec_lo, exec_lo, s2
	s_mov_b32 s1, 0
	s_branch .LBB65_903
.LBB65_900:
	s_mov_b32 s1, -1
                                        ; implicit-def: $vgpr2
	s_branch .LBB65_909
.LBB65_901:
	s_mov_b32 s1, -1
                                        ; implicit-def: $vgpr2
	s_branch .LBB65_906
.LBB65_902:
	s_mov_b32 s1, -1
                                        ; implicit-def: $vgpr2
.LBB65_903:
	s_delay_alu instid0(SALU_CYCLE_1)
	s_and_b32 vcc_lo, exec_lo, s1
	s_cbranch_vccz .LBB65_905
; %bb.904:
	global_load_u8 v0, v[3:4], off
	s_waitcnt vmcnt(0)
	v_lshlrev_b32_e32 v0, 24, v0
	s_delay_alu instid0(VALU_DEP_1) | instskip(NEXT) | instid1(VALU_DEP_1)
	v_and_b32_e32 v1, 0x7f000000, v0
	v_clz_i32_u32_e32 v2, v1
	v_add_nc_u32_e32 v6, 0x1000000, v1
	v_cmp_ne_u32_e32 vcc_lo, 0, v1
	s_delay_alu instid0(VALU_DEP_3) | instskip(NEXT) | instid1(VALU_DEP_1)
	v_min_u32_e32 v2, 32, v2
	v_sub_nc_u32_e64 v2, v2, 4 clamp
	s_delay_alu instid0(VALU_DEP_1) | instskip(SKIP_1) | instid1(VALU_DEP_2)
	v_lshlrev_b32_e32 v5, v2, v1
	v_lshlrev_b32_e32 v2, 23, v2
	v_lshrrev_b32_e32 v5, 4, v5
	s_delay_alu instid0(VALU_DEP_1) | instskip(SKIP_1) | instid1(VALU_DEP_2)
	v_sub_nc_u32_e32 v2, v5, v2
	v_ashrrev_i32_e32 v5, 8, v6
	v_add_nc_u32_e32 v2, 0x3c000000, v2
	s_delay_alu instid0(VALU_DEP_1) | instskip(NEXT) | instid1(VALU_DEP_1)
	v_and_or_b32 v2, 0x7f800000, v5, v2
	v_dual_cndmask_b32 v1, 0, v2 :: v_dual_mov_b32 v2, 0
	s_delay_alu instid0(VALU_DEP_1)
	v_and_or_b32 v1, 0x80000000, v0, v1
.LBB65_905:
	s_mov_b32 s1, 0
.LBB65_906:
	s_delay_alu instid0(SALU_CYCLE_1)
	s_and_not1_b32 vcc_lo, exec_lo, s1
	s_cbranch_vccnz .LBB65_908
; %bb.907:
	global_load_u8 v0, v[3:4], off
	s_waitcnt vmcnt(0)
	v_lshlrev_b32_e32 v1, 25, v0
	v_lshlrev_b16 v0, 8, v0
	s_delay_alu instid0(VALU_DEP_2) | instskip(NEXT) | instid1(VALU_DEP_2)
	v_lshrrev_b32_e32 v2, 4, v1
	v_and_or_b32 v5, 0x7f00, v0, 0.5
	v_bfe_i32 v0, v0, 0, 16
	s_delay_alu instid0(VALU_DEP_3) | instskip(NEXT) | instid1(VALU_DEP_1)
	v_or_b32_e32 v2, 0x70000000, v2
	v_dual_add_f32 v5, -0.5, v5 :: v_dual_mul_f32 v2, 0x7800000, v2
	v_cmp_gt_u32_e32 vcc_lo, 0x8000000, v1
	s_delay_alu instid0(VALU_DEP_2) | instskip(NEXT) | instid1(VALU_DEP_1)
	v_dual_cndmask_b32 v1, v2, v5 :: v_dual_mov_b32 v2, 0
	v_and_or_b32 v1, 0x80000000, v0, v1
.LBB65_908:
	s_mov_b32 s1, 0
	s_mov_b32 s2, -1
.LBB65_909:
	s_and_not1_b32 vcc_lo, exec_lo, s1
	s_mov_b32 s1, 0
	s_cbranch_vccnz .LBB65_919
; %bb.910:
	v_cmp_lt_i16_e32 vcc_lo, 14, v19
	s_cbranch_vccz .LBB65_913
; %bb.911:
	v_cmp_eq_u16_e32 vcc_lo, 15, v19
	s_cbranch_vccz .LBB65_914
; %bb.912:
	global_load_u16 v0, v[3:4], off
	s_mov_b32 s0, 0
	s_mov_b32 s2, -1
	s_mov_b32 s3, 0
	s_waitcnt vmcnt(0)
	v_lshlrev_b32_e32 v1, 16, v0
	s_branch .LBB65_916
.LBB65_913:
	s_mov_b32 s1, -1
	s_branch .LBB65_915
.LBB65_914:
	s_mov_b32 s0, -1
.LBB65_915:
                                        ; implicit-def: $sgpr3
                                        ; implicit-def: $vgpr1
.LBB65_916:
	s_and_b32 vcc_lo, exec_lo, s1
	s_mov_b32 s1, 0
	s_cbranch_vccz .LBB65_918
; %bb.917:
	v_cmp_ne_u16_e32 vcc_lo, 11, v19
	s_and_not1_b32 s0, s0, exec_lo
	s_mov_b32 s1, -1
                                        ; implicit-def: $vgpr1
	s_and_b32 s3, vcc_lo, exec_lo
	s_delay_alu instid0(SALU_CYCLE_1)
	s_or_b32 s0, s0, s3
                                        ; implicit-def: $sgpr3
.LBB65_918:
	v_mov_b32_e32 v2, s3
.LBB65_919:
	s_mov_b32 s3, 0
.LBB65_920:
	s_and_not1_b32 s8, s4, exec_lo
	s_and_b32 s14, s0, exec_lo
	s_and_b32 s2, s2, exec_lo
	;; [unrolled: 1-line block ×4, first 2 shown]
	s_or_b32 s8, s8, s14
.LBB65_921:
	s_or_b32 exec_lo, exec_lo, s7
	s_delay_alu instid0(SALU_CYCLE_1)
	s_and_b32 s1, s3, exec_lo
	s_and_not1_b32 s3, s4, exec_lo
	s_and_b32 s4, s8, exec_lo
	s_and_b32 s2, s2, exec_lo
	;; [unrolled: 1-line block ×3, first 2 shown]
	s_or_b32 s4, s3, s4
.LBB65_922:
	s_or_b32 exec_lo, exec_lo, s6
	s_delay_alu instid0(SALU_CYCLE_1)
	s_and_not1_b32 s3, s45, exec_lo
	s_and_b32 s5, s5, exec_lo
	s_and_b32 s4, s4, exec_lo
	s_or_b32 s45, s3, s5
	s_and_not1_b32 s5, s44, exec_lo
	s_and_b32 s3, s2, exec_lo
	s_and_b32 s2, s1, exec_lo
	;; [unrolled: 1-line block ×3, first 2 shown]
	s_or_b32 s44, s5, s4
.LBB65_923:
	s_or_b32 exec_lo, exec_lo, s46
	s_delay_alu instid0(SALU_CYCLE_1)
	s_and_not1_b32 s0, s41, exec_lo
	s_and_b32 s4, s45, exec_lo
	s_and_b32 s2, s2, exec_lo
	s_or_b32 s41, s0, s4
	s_and_b32 s0, s3, exec_lo
	s_and_not1_b32 s3, s42, exec_lo
	s_and_b32 s4, s44, exec_lo
	s_and_b32 s44, s1, exec_lo
	s_or_b32 s42, s3, s4
.LBB65_924:
	s_or_b32 exec_lo, exec_lo, s43
	s_waitcnt lgkmcnt(0)
	s_mov_b32 s14, 0
	s_and_saveexec_b32 s1, s42
	s_cbranch_execnz .LBB65_936
; %bb.925:
	s_or_b32 exec_lo, exec_lo, s1
	s_and_saveexec_b32 s1, s44
	s_delay_alu instid0(SALU_CYCLE_1)
	s_xor_b32 s1, exec_lo, s1
	s_cbranch_execz .LBB65_927
.LBB65_926:
	global_load_u8 v0, v[3:4], off
	v_mov_b32_e32 v2, 0
	s_or_b32 s0, s0, exec_lo
	s_waitcnt vmcnt(0)
	v_cmp_ne_u16_e32 vcc_lo, 0, v0
	v_cndmask_b32_e64 v1, 0, 1.0, vcc_lo
.LBB65_927:
	s_or_b32 exec_lo, exec_lo, s1
	s_and_saveexec_b32 s1, s2
	s_cbranch_execz .LBB65_977
; %bb.928:
	v_cmp_gt_i16_e32 vcc_lo, 5, v19
	s_cbranch_vccnz .LBB65_933
; %bb.929:
	v_cmp_gt_i16_e32 vcc_lo, 8, v19
	s_cbranch_vccnz .LBB65_934
	;; [unrolled: 3-line block ×3, first 2 shown]
; %bb.931:
	v_cmp_lt_i16_e32 vcc_lo, 9, v19
	s_cbranch_vccz .LBB65_938
; %bb.932:
	global_load_b128 v[5:8], v[3:4], off
	s_mov_b32 s2, 0
	s_waitcnt vmcnt(0)
	v_cvt_f32_f64_e32 v1, v[5:6]
	v_cvt_f32_f64_e32 v2, v[7:8]
	s_branch .LBB65_939
.LBB65_933:
                                        ; implicit-def: $vgpr2
	s_branch .LBB65_957
.LBB65_934:
                                        ; implicit-def: $vgpr2
	s_branch .LBB65_945
.LBB65_935:
	s_mov_b32 s2, -1
                                        ; implicit-def: $vgpr2
	s_branch .LBB65_942
.LBB65_936:
	s_cbranch_execnz .LBB65_1210
; %bb.937:
	s_mov_b32 s14, exec_lo
	s_and_not1_b32 s44, s44, exec_lo
                                        ; implicit-def: $vgpr2
	s_or_b32 exec_lo, exec_lo, s1
	s_and_saveexec_b32 s1, s44
	s_delay_alu instid0(SALU_CYCLE_1)
	s_xor_b32 s1, exec_lo, s1
	s_cbranch_execnz .LBB65_926
	s_branch .LBB65_927
.LBB65_938:
	s_mov_b32 s2, -1
                                        ; implicit-def: $vgpr2
.LBB65_939:
	s_delay_alu instid0(SALU_CYCLE_1)
	s_and_not1_b32 vcc_lo, exec_lo, s2
	s_cbranch_vccnz .LBB65_941
; %bb.940:
	global_load_b64 v[1:2], v[3:4], off
.LBB65_941:
	s_mov_b32 s2, 0
.LBB65_942:
	s_delay_alu instid0(SALU_CYCLE_1)
	s_and_not1_b32 vcc_lo, exec_lo, s2
	s_cbranch_vccnz .LBB65_944
; %bb.943:
	global_load_b32 v0, v[3:4], off
	s_waitcnt vmcnt(0)
	v_lshrrev_b32_e32 v2, 16, v0
	v_cvt_f32_f16_e32 v1, v0
	s_delay_alu instid0(VALU_DEP_2)
	v_cvt_f32_f16_e32 v2, v2
.LBB65_944:
	s_cbranch_execnz .LBB65_956
.LBB65_945:
	v_cmp_gt_i16_e32 vcc_lo, 6, v19
	s_cbranch_vccnz .LBB65_948
; %bb.946:
	v_cmp_lt_i16_e32 vcc_lo, 6, v19
	s_cbranch_vccz .LBB65_949
; %bb.947:
	global_load_b64 v[0:1], v[3:4], off
	s_mov_b32 s3, 0
	s_mov_b32 s2, 0
	s_waitcnt vmcnt(0)
	v_cvt_f32_f64_e32 v1, v[0:1]
	s_branch .LBB65_950
.LBB65_948:
	s_mov_b32 s3, -1
                                        ; implicit-def: $sgpr2
                                        ; implicit-def: $vgpr1
	s_branch .LBB65_953
.LBB65_949:
	s_mov_b32 s3, -1
                                        ; implicit-def: $sgpr2
                                        ; implicit-def: $vgpr1
.LBB65_950:
	s_delay_alu instid0(SALU_CYCLE_1)
	s_and_not1_b32 vcc_lo, exec_lo, s3
	s_cbranch_vccnz .LBB65_952
; %bb.951:
	global_load_b32 v1, v[3:4], off
	s_mov_b32 s2, 0
.LBB65_952:
	s_mov_b32 s3, 0
.LBB65_953:
	s_delay_alu instid0(SALU_CYCLE_1)
	s_and_not1_b32 vcc_lo, exec_lo, s3
	s_cbranch_vccnz .LBB65_955
; %bb.954:
	global_load_u16 v0, v[3:4], off
	s_mov_b32 s2, 0
	s_waitcnt vmcnt(0)
	v_cvt_f32_f16_e32 v1, v0
.LBB65_955:
	s_waitcnt vmcnt(0)
	v_mov_b32_e32 v2, s2
.LBB65_956:
	s_cbranch_execnz .LBB65_976
.LBB65_957:
	v_cmp_gt_i16_e32 vcc_lo, 2, v19
	s_cbranch_vccnz .LBB65_961
; %bb.958:
	v_cmp_gt_i16_e32 vcc_lo, 3, v19
	s_cbranch_vccnz .LBB65_962
; %bb.959:
	v_cmp_lt_i16_e32 vcc_lo, 3, v19
	s_cbranch_vccz .LBB65_963
; %bb.960:
	global_load_b64 v[0:1], v[3:4], off
	s_mov_b32 s3, 0
	s_mov_b32 s2, 0
	s_waitcnt vmcnt(0)
	v_xor_b32_e32 v2, v0, v1
	v_cls_i32_e32 v5, v1
	s_delay_alu instid0(VALU_DEP_2) | instskip(NEXT) | instid1(VALU_DEP_2)
	v_ashrrev_i32_e32 v2, 31, v2
	v_add_nc_u32_e32 v5, -1, v5
	s_delay_alu instid0(VALU_DEP_2) | instskip(NEXT) | instid1(VALU_DEP_1)
	v_add_nc_u32_e32 v2, 32, v2
	v_min_u32_e32 v2, v5, v2
	s_delay_alu instid0(VALU_DEP_1) | instskip(NEXT) | instid1(VALU_DEP_1)
	v_lshlrev_b64 v[0:1], v2, v[0:1]
	v_min_u32_e32 v0, 1, v0
	s_delay_alu instid0(VALU_DEP_1) | instskip(SKIP_1) | instid1(VALU_DEP_2)
	v_or_b32_e32 v0, v1, v0
	v_sub_nc_u32_e32 v1, 32, v2
	v_cvt_f32_i32_e32 v0, v0
	s_delay_alu instid0(VALU_DEP_1)
	v_ldexp_f32 v1, v0, v1
	s_branch .LBB65_964
.LBB65_961:
                                        ; implicit-def: $sgpr2
                                        ; implicit-def: $vgpr1
	s_branch .LBB65_970
.LBB65_962:
	s_mov_b32 s3, -1
                                        ; implicit-def: $sgpr2
                                        ; implicit-def: $vgpr1
	s_branch .LBB65_967
.LBB65_963:
	s_mov_b32 s3, -1
                                        ; implicit-def: $sgpr2
                                        ; implicit-def: $vgpr1
.LBB65_964:
	s_delay_alu instid0(SALU_CYCLE_1)
	s_and_not1_b32 vcc_lo, exec_lo, s3
	s_cbranch_vccnz .LBB65_966
; %bb.965:
	global_load_b32 v0, v[3:4], off
	s_mov_b32 s2, 0
	s_waitcnt vmcnt(0)
	v_cvt_f32_i32_e32 v1, v0
.LBB65_966:
	s_mov_b32 s3, 0
.LBB65_967:
	s_delay_alu instid0(SALU_CYCLE_1)
	s_and_not1_b32 vcc_lo, exec_lo, s3
	s_cbranch_vccnz .LBB65_969
; %bb.968:
	global_load_i16 v0, v[3:4], off
	s_mov_b32 s2, 0
	s_waitcnt vmcnt(0)
	v_cvt_f32_i32_e32 v1, v0
.LBB65_969:
	s_cbranch_execnz .LBB65_975
.LBB65_970:
	v_cmp_lt_i16_e32 vcc_lo, 0, v19
	s_mov_b32 s3, 0
	s_cbranch_vccz .LBB65_972
; %bb.971:
	global_load_i8 v0, v[3:4], off
	s_mov_b32 s2, 0
	s_waitcnt vmcnt(0)
	v_cvt_f32_i32_e32 v1, v0
	s_branch .LBB65_973
.LBB65_972:
	s_mov_b32 s3, -1
                                        ; implicit-def: $sgpr2
                                        ; implicit-def: $vgpr1
.LBB65_973:
	s_delay_alu instid0(SALU_CYCLE_1)
	s_and_not1_b32 vcc_lo, exec_lo, s3
	s_cbranch_vccnz .LBB65_975
; %bb.974:
	global_load_u8 v0, v[3:4], off
	s_mov_b32 s2, 0
	s_waitcnt vmcnt(0)
	v_cvt_f32_ubyte0_e32 v1, v0
.LBB65_975:
	s_waitcnt vmcnt(0)
	v_mov_b32_e32 v2, s2
.LBB65_976:
	s_or_b32 s0, s0, exec_lo
.LBB65_977:
	s_or_b32 exec_lo, exec_lo, s1
	s_mov_b32 s2, 0
	s_mov_b32 s1, 0
                                        ; implicit-def: $vgpr5
                                        ; implicit-def: $vgpr3_vgpr4
                                        ; implicit-def: $vgpr0
	s_and_saveexec_b32 s15, s0
	s_cbranch_execz .LBB65_1054
; %bb.978:
	s_waitcnt vmcnt(0)
	s_delay_alu instid0(VALU_DEP_1) | instskip(SKIP_3) | instid1(SALU_CYCLE_1)
	v_dual_mov_b32 v0, v1 :: v_dual_mov_b32 v1, v2
	s_getpc_b64 s[0:1]
	s_add_u32 s0, s0, _ZN16c10_complex_math3expIfEEN3c107complexIT_EERKS4_@rel32@lo+4
	s_addc_u32 s1, s1, _ZN16c10_complex_math3expIfEEN3c107complexIT_EERKS4_@rel32@hi+12
	s_swappc_b64 s[30:31], s[0:1]
	v_and_b32_e32 v5, 0xff, v18
	v_add_co_u32 v3, s0, s12, v17
	s_delay_alu instid0(VALU_DEP_1) | instskip(NEXT) | instid1(VALU_DEP_3)
	v_add_co_ci_u32_e64 v4, null, s13, 0, s0
	v_cmp_gt_i16_e32 vcc_lo, 11, v5
	s_mov_b32 s2, 0
	s_mov_b32 s1, -1
	s_mov_b32 s0, s41
	s_cbranch_vccnz .LBB65_1053
; %bb.979:
	v_cmp_lt_i16_e32 vcc_lo, 25, v5
	s_mov_b32 s0, s41
	s_cbranch_vccz .LBB65_1012
; %bb.980:
	v_cmp_lt_i16_e32 vcc_lo, 28, v5
	s_mov_b32 s0, s41
	s_cbranch_vccz .LBB65_996
	;; [unrolled: 4-line block ×4, first 2 shown]
; %bb.983:
	v_cmp_eq_u16_e32 vcc_lo, 46, v5
	s_mov_b32 s0, -1
	s_cbranch_vccz .LBB65_985
; %bb.984:
	v_bfe_u32 v2, v1, 16, 1
	v_bfe_u32 v6, v0, 16, 1
	v_cmp_o_f32_e32 vcc_lo, v1, v1
	s_mov_b32 s0, 0
	s_delay_alu instid0(VALU_DEP_3) | instskip(NEXT) | instid1(VALU_DEP_3)
	v_add3_u32 v2, v1, v2, 0x7fff
	v_add3_u32 v6, v0, v6, 0x7fff
	s_delay_alu instid0(VALU_DEP_2) | instskip(NEXT) | instid1(VALU_DEP_2)
	v_and_b32_e32 v2, 0xffff0000, v2
	v_lshrrev_b32_e32 v6, 16, v6
	s_delay_alu instid0(VALU_DEP_2) | instskip(SKIP_1) | instid1(VALU_DEP_3)
	v_cndmask_b32_e32 v2, 0x7fc00000, v2, vcc_lo
	v_cmp_o_f32_e32 vcc_lo, v0, v0
	v_cndmask_b32_e32 v6, 0x7fc0, v6, vcc_lo
	s_delay_alu instid0(VALU_DEP_1)
	v_or_b32_e32 v2, v2, v6
	global_store_b32 v[3:4], v2, off
.LBB65_985:
	s_mov_b32 s1, 0
.LBB65_986:
	s_delay_alu instid0(SALU_CYCLE_1)
	s_and_b32 vcc_lo, exec_lo, s1
	s_cbranch_vccz .LBB65_991
; %bb.987:
	v_cmp_eq_u16_e32 vcc_lo, 44, v5
	s_mov_b32 s0, -1
	s_cbranch_vccz .LBB65_991
; %bb.988:
	v_bfe_u32 v6, v0, 23, 8
	v_mov_b32_e32 v2, 0xff
	s_mov_b32 s1, exec_lo
	s_delay_alu instid0(VALU_DEP_2)
	v_cmpx_ne_u32_e32 0xff, v6
; %bb.989:
	v_and_b32_e32 v2, 0x400000, v0
	v_and_or_b32 v6, 0x3fffff, v0, v6
	s_delay_alu instid0(VALU_DEP_2) | instskip(NEXT) | instid1(VALU_DEP_2)
	v_cmp_ne_u32_e32 vcc_lo, 0, v2
	v_cmp_ne_u32_e64 s0, 0, v6
	v_lshrrev_b32_e32 v2, 23, v0
	s_delay_alu instid0(VALU_DEP_2) | instskip(NEXT) | instid1(SALU_CYCLE_1)
	s_and_b32 s0, vcc_lo, s0
	v_cndmask_b32_e64 v6, 0, 1, s0
	s_delay_alu instid0(VALU_DEP_1)
	v_add_nc_u32_e32 v2, v2, v6
; %bb.990:
	s_or_b32 exec_lo, exec_lo, s1
	s_mov_b32 s0, 0
	global_store_b8 v[3:4], v2, off
.LBB65_991:
	s_mov_b32 s1, 0
.LBB65_992:
	s_delay_alu instid0(SALU_CYCLE_1)
	s_and_b32 vcc_lo, exec_lo, s1
	s_cbranch_vccz .LBB65_995
; %bb.993:
	v_cmp_eq_u16_e32 vcc_lo, 29, v5
	s_mov_b32 s0, -1
	s_cbranch_vccz .LBB65_995
; %bb.994:
	v_trunc_f32_e32 v2, v0
	s_mov_b32 s0, 0
	s_delay_alu instid0(VALU_DEP_1) | instskip(NEXT) | instid1(VALU_DEP_1)
	v_mul_f32_e32 v6, 0x2f800000, v2
	v_floor_f32_e32 v6, v6
	s_delay_alu instid0(VALU_DEP_1) | instskip(SKIP_1) | instid1(VALU_DEP_2)
	v_fmamk_f32 v2, v6, 0xcf800000, v2
	v_cvt_u32_f32_e32 v7, v6
	v_cvt_u32_f32_e32 v6, v2
	global_store_b64 v[3:4], v[6:7], off
.LBB65_995:
	s_mov_b32 s1, 0
.LBB65_996:
	s_delay_alu instid0(SALU_CYCLE_1)
	s_and_b32 vcc_lo, exec_lo, s1
	s_cbranch_vccz .LBB65_1011
; %bb.997:
	v_cmp_gt_i16_e32 vcc_lo, 27, v5
	s_mov_b32 s1, -1
	s_cbranch_vccnz .LBB65_1003
; %bb.998:
	v_cmp_lt_i16_e32 vcc_lo, 27, v5
	v_cvt_u32_f32_e32 v2, v0
	s_cbranch_vccz .LBB65_1000
; %bb.999:
	s_mov_b32 s1, 0
	global_store_b32 v[3:4], v2, off
.LBB65_1000:
	s_and_not1_b32 vcc_lo, exec_lo, s1
	s_cbranch_vccnz .LBB65_1002
; %bb.1001:
	global_store_b16 v[3:4], v2, off
.LBB65_1002:
	s_mov_b32 s1, 0
.LBB65_1003:
	s_delay_alu instid0(SALU_CYCLE_1)
	s_and_not1_b32 vcc_lo, exec_lo, s1
	s_cbranch_vccnz .LBB65_1011
; %bb.1004:
	v_and_b32_e32 v2, 0x7fffffff, v0
	v_mov_b32_e32 v6, 0x80
	s_mov_b32 s1, exec_lo
	s_delay_alu instid0(VALU_DEP_2)
	v_cmpx_gt_u32_e32 0x43800000, v2
	s_cbranch_execz .LBB65_1010
; %bb.1005:
	v_cmp_lt_u32_e32 vcc_lo, 0x3bffffff, v2
                                        ; implicit-def: $vgpr2
	s_and_saveexec_b32 s3, vcc_lo
	s_delay_alu instid0(SALU_CYCLE_1)
	s_xor_b32 s3, exec_lo, s3
	s_cbranch_execz .LBB65_1305
; %bb.1006:
	v_bfe_u32 v2, v0, 20, 1
	s_mov_b32 s2, exec_lo
	s_delay_alu instid0(VALU_DEP_1) | instskip(NEXT) | instid1(VALU_DEP_1)
	v_add3_u32 v2, v0, v2, 0x487ffff
	v_lshrrev_b32_e32 v2, 20, v2
	s_or_saveexec_b32 s3, s3
                                        ; implicit-def: $sgpr4
	s_delay_alu instid0(SALU_CYCLE_1)
	s_xor_b32 exec_lo, exec_lo, s3
	s_cbranch_execnz .LBB65_1306
.LBB65_1007:
	s_or_b32 exec_lo, exec_lo, s3
	v_mov_b32_e32 v6, s4
	s_and_saveexec_b32 s3, s2
.LBB65_1008:
	v_lshrrev_b32_e32 v6, 24, v0
	s_delay_alu instid0(VALU_DEP_1)
	v_and_or_b32 v6, 0x80, v6, v2
.LBB65_1009:
	s_or_b32 exec_lo, exec_lo, s3
.LBB65_1010:
	s_delay_alu instid0(SALU_CYCLE_1)
	s_or_b32 exec_lo, exec_lo, s1
	global_store_b8 v[3:4], v6, off
.LBB65_1011:
	s_mov_b32 s1, 0
.LBB65_1012:
	s_delay_alu instid0(SALU_CYCLE_1)
	s_and_b32 vcc_lo, exec_lo, s1
	s_mov_b32 s1, 0
	s_cbranch_vccz .LBB65_1052
; %bb.1013:
	v_cmp_lt_i16_e32 vcc_lo, 22, v5
	s_mov_b32 s2, -1
	s_cbranch_vccz .LBB65_1045
; %bb.1014:
	v_cmp_gt_i16_e32 vcc_lo, 24, v5
	s_cbranch_vccnz .LBB65_1034
; %bb.1015:
	v_cmp_lt_i16_e32 vcc_lo, 24, v5
	s_cbranch_vccz .LBB65_1023
; %bb.1016:
	v_and_b32_e32 v2, 0x7fffffff, v0
	v_mov_b32_e32 v6, 0x80
	s_mov_b32 s2, exec_lo
	s_delay_alu instid0(VALU_DEP_2)
	v_cmpx_gt_u32_e32 0x47800000, v2
	s_cbranch_execz .LBB65_1022
; %bb.1017:
	v_cmp_lt_u32_e32 vcc_lo, 0x37ffffff, v2
	s_mov_b32 s3, 0
                                        ; implicit-def: $vgpr2
	s_and_saveexec_b32 s4, vcc_lo
	s_delay_alu instid0(SALU_CYCLE_1)
	s_xor_b32 s4, exec_lo, s4
	s_cbranch_execz .LBB65_1350
; %bb.1018:
	v_bfe_u32 v2, v0, 21, 1
	s_mov_b32 s3, exec_lo
	s_delay_alu instid0(VALU_DEP_1) | instskip(NEXT) | instid1(VALU_DEP_1)
	v_add3_u32 v2, v0, v2, 0x88fffff
	v_lshrrev_b32_e32 v2, 21, v2
	s_or_saveexec_b32 s4, s4
                                        ; implicit-def: $sgpr5
	s_delay_alu instid0(SALU_CYCLE_1)
	s_xor_b32 exec_lo, exec_lo, s4
	s_cbranch_execnz .LBB65_1351
.LBB65_1019:
	s_or_b32 exec_lo, exec_lo, s4
	v_mov_b32_e32 v6, s5
	s_and_saveexec_b32 s4, s3
.LBB65_1020:
	v_lshrrev_b32_e32 v6, 24, v0
	s_delay_alu instid0(VALU_DEP_1)
	v_and_or_b32 v6, 0x80, v6, v2
.LBB65_1021:
	s_or_b32 exec_lo, exec_lo, s4
.LBB65_1022:
	s_delay_alu instid0(SALU_CYCLE_1)
	s_or_b32 exec_lo, exec_lo, s2
	s_mov_b32 s2, 0
	global_store_b8 v[3:4], v6, off
.LBB65_1023:
	s_and_b32 vcc_lo, exec_lo, s2
	s_cbranch_vccz .LBB65_1033
; %bb.1024:
	v_and_b32_e32 v6, 0x7fffffff, v0
	s_mov_b32 s2, exec_lo
                                        ; implicit-def: $vgpr2
	s_delay_alu instid0(VALU_DEP_1)
	v_cmpx_gt_u32_e32 0x43f00000, v6
	s_xor_b32 s2, exec_lo, s2
	s_cbranch_execz .LBB65_1030
; %bb.1025:
	s_mov_b32 s3, exec_lo
                                        ; implicit-def: $vgpr2
	v_cmpx_lt_u32_e32 0x3c7fffff, v6
	s_xor_b32 s3, exec_lo, s3
; %bb.1026:
	v_bfe_u32 v2, v0, 20, 1
	s_delay_alu instid0(VALU_DEP_1) | instskip(NEXT) | instid1(VALU_DEP_1)
	v_add3_u32 v2, v0, v2, 0x407ffff
	v_and_b32_e32 v6, 0xff00000, v2
	v_lshrrev_b32_e32 v2, 20, v2
	s_delay_alu instid0(VALU_DEP_2) | instskip(NEXT) | instid1(VALU_DEP_2)
	v_cmp_ne_u32_e32 vcc_lo, 0x7f00000, v6
	v_cndmask_b32_e32 v2, 0x7e, v2, vcc_lo
; %bb.1027:
	s_and_not1_saveexec_b32 s3, s3
; %bb.1028:
	v_add_f32_e64 v2, 0x46800000, |v0|
; %bb.1029:
	s_or_b32 exec_lo, exec_lo, s3
                                        ; implicit-def: $vgpr6
.LBB65_1030:
	s_and_not1_saveexec_b32 s2, s2
; %bb.1031:
	v_mov_b32_e32 v2, 0x7f
	v_cmp_lt_u32_e32 vcc_lo, 0x7f800000, v6
	s_delay_alu instid0(VALU_DEP_2)
	v_cndmask_b32_e32 v2, 0x7e, v2, vcc_lo
; %bb.1032:
	s_or_b32 exec_lo, exec_lo, s2
	v_lshrrev_b32_e32 v6, 24, v0
	s_delay_alu instid0(VALU_DEP_1)
	v_and_or_b32 v2, 0x80, v6, v2
	global_store_b8 v[3:4], v2, off
.LBB65_1033:
	s_mov_b32 s2, 0
.LBB65_1034:
	s_delay_alu instid0(SALU_CYCLE_1)
	s_and_not1_b32 vcc_lo, exec_lo, s2
	s_cbranch_vccnz .LBB65_1044
; %bb.1035:
	v_and_b32_e32 v6, 0x7fffffff, v0
	s_mov_b32 s2, exec_lo
                                        ; implicit-def: $vgpr2
	s_delay_alu instid0(VALU_DEP_1)
	v_cmpx_gt_u32_e32 0x47800000, v6
	s_xor_b32 s2, exec_lo, s2
	s_cbranch_execz .LBB65_1041
; %bb.1036:
	s_mov_b32 s3, exec_lo
                                        ; implicit-def: $vgpr2
	v_cmpx_lt_u32_e32 0x387fffff, v6
	s_xor_b32 s3, exec_lo, s3
; %bb.1037:
	v_bfe_u32 v2, v0, 21, 1
	s_delay_alu instid0(VALU_DEP_1) | instskip(NEXT) | instid1(VALU_DEP_1)
	v_add3_u32 v2, v0, v2, 0x80fffff
	v_lshrrev_b32_e32 v2, 21, v2
; %bb.1038:
	s_and_not1_saveexec_b32 s3, s3
; %bb.1039:
	v_add_f32_e64 v2, 0x43000000, |v0|
; %bb.1040:
	s_or_b32 exec_lo, exec_lo, s3
                                        ; implicit-def: $vgpr6
.LBB65_1041:
	s_and_not1_saveexec_b32 s2, s2
; %bb.1042:
	v_mov_b32_e32 v2, 0x7f
	v_cmp_lt_u32_e32 vcc_lo, 0x7f800000, v6
	s_delay_alu instid0(VALU_DEP_2)
	v_cndmask_b32_e32 v2, 0x7c, v2, vcc_lo
; %bb.1043:
	s_or_b32 exec_lo, exec_lo, s2
	v_lshrrev_b32_e32 v6, 24, v0
	s_delay_alu instid0(VALU_DEP_1)
	v_and_or_b32 v2, 0x80, v6, v2
	global_store_b8 v[3:4], v2, off
.LBB65_1044:
	s_mov_b32 s2, 0
.LBB65_1045:
	s_delay_alu instid0(SALU_CYCLE_1)
	s_and_not1_b32 vcc_lo, exec_lo, s2
	s_mov_b32 s2, 0
	s_cbranch_vccnz .LBB65_1053
; %bb.1046:
	v_cmp_lt_i16_e32 vcc_lo, 14, v5
	s_mov_b32 s2, -1
	s_cbranch_vccz .LBB65_1050
; %bb.1047:
	v_cmp_eq_u16_e32 vcc_lo, 15, v5
	s_mov_b32 s0, -1
	s_cbranch_vccz .LBB65_1049
; %bb.1048:
	v_bfe_u32 v2, v0, 16, 1
	v_cmp_o_f32_e32 vcc_lo, v0, v0
	s_mov_b32 s0, 0
	s_delay_alu instid0(VALU_DEP_2) | instskip(NEXT) | instid1(VALU_DEP_1)
	v_add3_u32 v2, v0, v2, 0x7fff
	v_lshrrev_b32_e32 v2, 16, v2
	s_delay_alu instid0(VALU_DEP_1)
	v_cndmask_b32_e32 v2, 0x7fc0, v2, vcc_lo
	global_store_b16 v[3:4], v2, off
.LBB65_1049:
	s_mov_b32 s2, 0
.LBB65_1050:
	s_delay_alu instid0(SALU_CYCLE_1)
	s_and_b32 vcc_lo, exec_lo, s2
	s_mov_b32 s2, 0
	s_cbranch_vccz .LBB65_1053
; %bb.1051:
	v_cmp_ne_u16_e32 vcc_lo, 11, v5
	s_and_not1_b32 s0, s0, exec_lo
	s_mov_b32 s2, -1
	s_and_b32 s3, vcc_lo, exec_lo
	s_delay_alu instid0(SALU_CYCLE_1)
	s_or_b32 s0, s0, s3
	s_branch .LBB65_1053
.LBB65_1052:
	s_mov_b32 s2, 0
.LBB65_1053:
	s_and_not1_b32 s3, s41, exec_lo
	s_and_b32 s0, s0, exec_lo
	s_and_b32 s1, s1, exec_lo
	;; [unrolled: 1-line block ×3, first 2 shown]
	s_or_b32 s41, s3, s0
.LBB65_1054:
	s_or_b32 exec_lo, exec_lo, s15
	s_and_saveexec_b32 s0, s41
	s_cbranch_execnz .LBB65_1169
; %bb.1055:
	s_or_b32 exec_lo, exec_lo, s0
	s_and_saveexec_b32 s0, s2
	s_delay_alu instid0(SALU_CYCLE_1)
	s_xor_b32 s0, exec_lo, s0
	s_cbranch_execz .LBB65_1057
.LBB65_1056:
	s_waitcnt vmcnt(0)
	s_delay_alu instid0(VALU_DEP_1) | instskip(NEXT) | instid1(VALU_DEP_1)
	v_or_b32_e32 v2, v0, v1
	v_and_b32_e32 v2, 0x7fffffff, v2
	s_delay_alu instid0(VALU_DEP_1)
	v_cmp_ne_u32_e32 vcc_lo, 0, v2
	v_cndmask_b32_e64 v2, 0, 1, vcc_lo
	global_store_b8 v[3:4], v2, off
.LBB65_1057:
	s_or_b32 exec_lo, exec_lo, s0
	s_and_saveexec_b32 s0, s1
	s_delay_alu instid0(SALU_CYCLE_1)
	s_xor_b32 s0, exec_lo, s0
	s_cbranch_execz .LBB65_1095
; %bb.1058:
	v_cmp_gt_i16_e32 vcc_lo, 5, v5
	s_mov_b32 s1, -1
	s_cbranch_vccnz .LBB65_1079
; %bb.1059:
	v_cmp_gt_i16_e32 vcc_lo, 8, v5
	s_cbranch_vccnz .LBB65_1069
; %bb.1060:
	v_cmp_gt_i16_e32 vcc_lo, 9, v5
	s_cbranch_vccnz .LBB65_1066
; %bb.1061:
	v_cmp_lt_i16_e32 vcc_lo, 9, v5
	s_cbranch_vccz .LBB65_1063
; %bb.1062:
	s_waitcnt vmcnt(0)
	v_cvt_f64_f32_e32 v[6:7], v0
	v_cvt_f64_f32_e32 v[8:9], v1
	s_mov_b32 s1, 0
	global_store_b128 v[3:4], v[6:9], off
.LBB65_1063:
	s_and_not1_b32 vcc_lo, exec_lo, s1
	s_cbranch_vccnz .LBB65_1065
; %bb.1064:
	s_waitcnt vmcnt(0)
	global_store_b64 v[3:4], v[0:1], off
.LBB65_1065:
	s_mov_b32 s1, 0
.LBB65_1066:
	s_delay_alu instid0(SALU_CYCLE_1)
	s_and_not1_b32 vcc_lo, exec_lo, s1
	s_cbranch_vccnz .LBB65_1068
; %bb.1067:
	s_waitcnt vmcnt(0)
	s_delay_alu instid0(VALU_DEP_4) | instskip(SKIP_1) | instid1(VALU_DEP_2)
	v_cvt_f16_f32_e32 v1, v1
	v_cvt_f16_f32_e32 v2, v0
	v_lshlrev_b32_e32 v1, 16, v1
	s_delay_alu instid0(VALU_DEP_2) | instskip(NEXT) | instid1(VALU_DEP_1)
	v_and_b32_e32 v2, 0xffff, v2
	v_or_b32_e32 v1, v1, v2
	global_store_b32 v[3:4], v1, off
.LBB65_1068:
	s_mov_b32 s1, 0
.LBB65_1069:
	s_delay_alu instid0(SALU_CYCLE_1)
	s_and_not1_b32 vcc_lo, exec_lo, s1
	s_cbranch_vccnz .LBB65_1078
; %bb.1070:
	v_cmp_gt_i16_e32 vcc_lo, 6, v5
	s_mov_b32 s1, -1
	s_cbranch_vccnz .LBB65_1076
; %bb.1071:
	v_cmp_lt_i16_e32 vcc_lo, 6, v5
	s_cbranch_vccz .LBB65_1073
; %bb.1072:
	s_waitcnt vmcnt(0)
	v_cvt_f64_f32_e32 v[1:2], v0
	s_mov_b32 s1, 0
	global_store_b64 v[3:4], v[1:2], off
.LBB65_1073:
	s_and_not1_b32 vcc_lo, exec_lo, s1
	s_cbranch_vccnz .LBB65_1075
; %bb.1074:
	s_waitcnt vmcnt(0)
	global_store_b32 v[3:4], v0, off
.LBB65_1075:
	s_mov_b32 s1, 0
.LBB65_1076:
	s_delay_alu instid0(SALU_CYCLE_1)
	s_and_not1_b32 vcc_lo, exec_lo, s1
	s_cbranch_vccnz .LBB65_1078
; %bb.1077:
	s_waitcnt vmcnt(0)
	v_cvt_f16_f32_e32 v1, v0
	global_store_b16 v[3:4], v1, off
.LBB65_1078:
	s_mov_b32 s1, 0
.LBB65_1079:
	s_delay_alu instid0(SALU_CYCLE_1)
	s_and_not1_b32 vcc_lo, exec_lo, s1
	s_cbranch_vccnz .LBB65_1095
; %bb.1080:
	v_cmp_gt_i16_e32 vcc_lo, 2, v5
	s_mov_b32 s1, -1
	s_cbranch_vccnz .LBB65_1090
; %bb.1081:
	v_cmp_gt_i16_e32 vcc_lo, 3, v5
	s_cbranch_vccnz .LBB65_1087
; %bb.1082:
	v_cmp_lt_i16_e32 vcc_lo, 3, v5
	s_cbranch_vccz .LBB65_1084
; %bb.1083:
	s_waitcnt vmcnt(0)
	v_trunc_f32_e32 v1, v0
	s_mov_b32 s1, 0
	s_delay_alu instid0(VALU_DEP_1) | instskip(SKIP_1) | instid1(VALU_DEP_2)
	v_mul_f32_e64 v2, 0x2f800000, |v1|
	v_ashrrev_i32_e32 v7, 31, v1
	v_floor_f32_e32 v2, v2
	s_delay_alu instid0(VALU_DEP_1) | instskip(SKIP_1) | instid1(VALU_DEP_2)
	v_fma_f32 v6, 0xcf800000, v2, |v1|
	v_cvt_u32_f32_e32 v2, v2
	v_cvt_u32_f32_e32 v1, v6
	s_delay_alu instid0(VALU_DEP_2) | instskip(NEXT) | instid1(VALU_DEP_2)
	v_xor_b32_e32 v2, v2, v7
	v_xor_b32_e32 v1, v1, v7
	s_delay_alu instid0(VALU_DEP_1) | instskip(NEXT) | instid1(VALU_DEP_3)
	v_sub_co_u32 v1, vcc_lo, v1, v7
	v_sub_co_ci_u32_e32 v2, vcc_lo, v2, v7, vcc_lo
	global_store_b64 v[3:4], v[1:2], off
.LBB65_1084:
	s_and_not1_b32 vcc_lo, exec_lo, s1
	s_cbranch_vccnz .LBB65_1086
; %bb.1085:
	s_waitcnt vmcnt(0)
	v_cvt_i32_f32_e32 v1, v0
	global_store_b32 v[3:4], v1, off
.LBB65_1086:
	s_mov_b32 s1, 0
.LBB65_1087:
	s_delay_alu instid0(SALU_CYCLE_1)
	s_and_not1_b32 vcc_lo, exec_lo, s1
	s_cbranch_vccnz .LBB65_1089
; %bb.1088:
	s_waitcnt vmcnt(0)
	v_cvt_i32_f32_e32 v1, v0
	global_store_b16 v[3:4], v1, off
.LBB65_1089:
	s_mov_b32 s1, 0
.LBB65_1090:
	s_delay_alu instid0(SALU_CYCLE_1)
	s_and_not1_b32 vcc_lo, exec_lo, s1
	s_cbranch_vccnz .LBB65_1095
; %bb.1091:
	v_cmp_lt_i16_e32 vcc_lo, 0, v5
	s_mov_b32 s1, -1
	s_cbranch_vccz .LBB65_1093
; %bb.1092:
	s_waitcnt vmcnt(0)
	v_cvt_i32_f32_e32 v1, v0
	s_mov_b32 s1, 0
	global_store_b8 v[3:4], v1, off
.LBB65_1093:
	s_and_not1_b32 vcc_lo, exec_lo, s1
	s_cbranch_vccnz .LBB65_1095
; %bb.1094:
	s_waitcnt vmcnt(0)
	v_trunc_f32_e32 v0, v0
	s_delay_alu instid0(VALU_DEP_1) | instskip(NEXT) | instid1(VALU_DEP_1)
	v_mul_f32_e64 v1, 0x2f800000, |v0|
	v_floor_f32_e32 v1, v1
	s_delay_alu instid0(VALU_DEP_1) | instskip(SKIP_1) | instid1(VALU_DEP_2)
	v_fma_f32 v1, 0xcf800000, v1, |v0|
	v_ashrrev_i32_e32 v0, 31, v0
	v_cvt_u32_f32_e32 v1, v1
	s_delay_alu instid0(VALU_DEP_1) | instskip(NEXT) | instid1(VALU_DEP_1)
	v_xor_b32_e32 v1, v1, v0
	v_sub_nc_u32_e32 v0, v1, v0
	global_store_b8 v[3:4], v0, off
.LBB65_1095:
	s_or_b32 exec_lo, exec_lo, s0
	s_delay_alu instid0(SALU_CYCLE_1)
	s_and_b32 s16, s14, exec_lo
                                        ; implicit-def: $vgpr1
                                        ; implicit-def: $vgpr20
.LBB65_1096:
	s_or_saveexec_b32 s17, s36
	s_mov_b32 s0, 0
                                        ; implicit-def: $vgpr2_vgpr3
                                        ; implicit-def: $vgpr27
                                        ; implicit-def: $vgpr0
	s_xor_b32 exec_lo, exec_lo, s17
	s_cbranch_execz .LBB65_2132
; %bb.1097:
	s_waitcnt vmcnt(0)
	v_cndmask_b32_e64 v2, 0, 1, s35
	s_and_not1_b32 vcc_lo, exec_lo, s35
	s_cbranch_vccnz .LBB65_1103
; %bb.1098:
	v_mov_b32_e32 v26, 0
	v_mov_b32_e32 v0, 0
	s_cmp_lg_u32 s9, 0
	s_mov_b32 s4, 0
	s_cbranch_scc0 .LBB65_1107
; %bb.1099:
	s_min_u32 s5, s33, 15
	v_mov_b32_e32 v26, 0
	s_add_i32 s5, s5, 1
	s_cmp_eq_u32 s33, 2
	s_mov_b32 s6, 0
	s_cbranch_scc1 .LBB65_1104
; %bb.1100:
	v_dual_mov_b32 v0, 0 :: v_dual_mov_b32 v3, v20
	v_mov_b32_e32 v26, 0
	s_add_u32 s0, s24, 0xc4
	s_addc_u32 s1, s25, 0
	s_and_b32 s6, s5, 28
	s_mov_b32 s7, 0
	s_mov_b64 s[2:3], s[24:25]
.LBB65_1101:                            ; =>This Inner Loop Header: Depth=1
	s_clause 0x1
	s_load_b256 s[36:43], s[2:3], 0x4
	s_load_b128 s[12:15], s[2:3], 0x24
	s_load_b256 s[44:51], s[0:1], 0x0
	s_add_u32 s2, s2, 48
	s_addc_u32 s3, s3, 0
	s_add_i32 s7, s7, 4
	s_add_u32 s0, s0, 32
	s_addc_u32 s1, s1, 0
	s_cmp_lg_u32 s6, s7
	s_waitcnt lgkmcnt(0)
	v_mul_hi_u32 v4, s37, v3
	s_delay_alu instid0(VALU_DEP_1) | instskip(NEXT) | instid1(VALU_DEP_1)
	v_add_nc_u32_e32 v4, v3, v4
	v_lshrrev_b32_e32 v4, s38, v4
	s_delay_alu instid0(VALU_DEP_1) | instskip(SKIP_1) | instid1(VALU_DEP_2)
	v_mul_hi_u32 v5, s40, v4
	v_mul_lo_u32 v7, v4, s36
	v_add_nc_u32_e32 v5, v4, v5
	s_delay_alu instid0(VALU_DEP_2) | instskip(NEXT) | instid1(VALU_DEP_2)
	v_sub_nc_u32_e32 v3, v3, v7
	v_lshrrev_b32_e32 v5, s41, v5
	s_delay_alu instid0(VALU_DEP_2) | instskip(SKIP_1) | instid1(VALU_DEP_3)
	v_mul_lo_u32 v7, v3, s44
	v_mul_lo_u32 v9, v3, s45
	v_mul_hi_u32 v6, s43, v5
	s_delay_alu instid0(VALU_DEP_1) | instskip(NEXT) | instid1(VALU_DEP_1)
	v_add_nc_u32_e32 v6, v5, v6
	v_lshrrev_b32_e32 v6, s12, v6
	s_delay_alu instid0(VALU_DEP_1) | instskip(SKIP_1) | instid1(VALU_DEP_2)
	v_mul_hi_u32 v8, s14, v6
	v_mul_lo_u32 v10, v6, s42
	v_add_nc_u32_e32 v3, v6, v8
	v_mul_lo_u32 v8, v5, s39
	s_delay_alu instid0(VALU_DEP_3) | instskip(NEXT) | instid1(VALU_DEP_3)
	v_sub_nc_u32_e32 v5, v5, v10
	v_lshrrev_b32_e32 v3, s15, v3
	s_delay_alu instid0(VALU_DEP_2) | instskip(SKIP_2) | instid1(VALU_DEP_4)
	v_mul_lo_u32 v10, v5, s48
	v_mul_lo_u32 v5, v5, s49
	v_sub_nc_u32_e32 v4, v4, v8
	v_mul_lo_u32 v11, v3, s13
	s_delay_alu instid0(VALU_DEP_2) | instskip(SKIP_1) | instid1(VALU_DEP_3)
	v_mul_lo_u32 v8, v4, s46
	v_mul_lo_u32 v4, v4, s47
	v_sub_nc_u32_e32 v6, v6, v11
	s_delay_alu instid0(VALU_DEP_3) | instskip(NEXT) | instid1(VALU_DEP_2)
	v_add3_u32 v7, v7, v26, v8
	v_mul_lo_u32 v11, v6, s50
	v_mul_lo_u32 v6, v6, s51
	v_add3_u32 v0, v9, v0, v4
	s_delay_alu instid0(VALU_DEP_3) | instskip(NEXT) | instid1(VALU_DEP_2)
	v_add3_u32 v26, v10, v7, v11
	v_add3_u32 v0, v5, v0, v6
	s_cbranch_scc1 .LBB65_1101
; %bb.1102:
	s_and_b32 s5, s5, 3
	s_delay_alu instid0(SALU_CYCLE_1)
	s_cmp_eq_u32 s5, 0
	s_cbranch_scc0 .LBB65_1105
	s_branch .LBB65_1107
.LBB65_1103:
	s_mov_b32 s4, -1
                                        ; implicit-def: $vgpr26
                                        ; implicit-def: $vgpr0
	s_branch .LBB65_1107
.LBB65_1104:
	v_dual_mov_b32 v3, v20 :: v_dual_mov_b32 v0, 0
	s_and_b32 s5, s5, 3
	s_delay_alu instid0(SALU_CYCLE_1)
	s_cmp_eq_u32 s5, 0
	s_cbranch_scc1 .LBB65_1107
.LBB65_1105:
	s_lshl_b32 s0, s6, 3
	s_mul_i32 s2, s6, 12
	s_add_u32 s0, s0, s24
	s_addc_u32 s1, 0, s25
	s_add_u32 s0, s0, 0xc4
	s_addc_u32 s1, s1, 0
	;; [unrolled: 2-line block ×3, first 2 shown]
	.p2align	6
.LBB65_1106:                            ; =>This Inner Loop Header: Depth=1
	s_clause 0x1
	s_load_b64 s[6:7], s[2:3], 0x4
	s_load_b32 s8, s[2:3], 0xc
	s_load_b64 s[12:13], s[0:1], 0x0
	s_add_u32 s2, s2, 12
	s_addc_u32 s3, s3, 0
	s_add_u32 s0, s0, 8
	s_addc_u32 s1, s1, 0
	s_add_i32 s5, s5, -1
	s_delay_alu instid0(SALU_CYCLE_1) | instskip(SKIP_2) | instid1(VALU_DEP_1)
	s_cmp_lg_u32 s5, 0
	s_waitcnt lgkmcnt(0)
	v_mul_hi_u32 v4, s7, v3
	v_add_nc_u32_e32 v4, v3, v4
	s_delay_alu instid0(VALU_DEP_1) | instskip(NEXT) | instid1(VALU_DEP_1)
	v_lshrrev_b32_e32 v7, s8, v4
	v_mul_lo_u32 v4, v7, s6
	s_delay_alu instid0(VALU_DEP_1) | instskip(NEXT) | instid1(VALU_DEP_1)
	v_sub_nc_u32_e32 v3, v3, v4
	v_mad_u64_u32 v[4:5], null, v3, s12, v[26:27]
	v_mad_u64_u32 v[5:6], null, v3, s13, v[0:1]
	s_delay_alu instid0(VALU_DEP_2) | instskip(NEXT) | instid1(VALU_DEP_2)
	v_dual_mov_b32 v3, v7 :: v_dual_mov_b32 v26, v4
	v_mov_b32_e32 v0, v5
	s_cbranch_scc1 .LBB65_1106
.LBB65_1107:
	s_and_not1_b32 vcc_lo, exec_lo, s4
	s_cbranch_vccnz .LBB65_1110
; %bb.1108:
	s_clause 0x1
	s_load_b128 s[0:3], s[24:25], 0x4
	s_load_b64 s[4:5], s[24:25], 0xc4
	s_cmp_lt_u32 s9, 2
	s_waitcnt lgkmcnt(0)
	v_mul_hi_u32 v0, s1, v20
	s_delay_alu instid0(VALU_DEP_1) | instskip(NEXT) | instid1(VALU_DEP_1)
	v_add_nc_u32_e32 v0, v20, v0
	v_lshrrev_b32_e32 v3, s2, v0
	s_delay_alu instid0(VALU_DEP_1) | instskip(NEXT) | instid1(VALU_DEP_1)
	v_mul_lo_u32 v0, v3, s0
	v_sub_nc_u32_e32 v0, v20, v0
	s_delay_alu instid0(VALU_DEP_1)
	v_mul_lo_u32 v26, v0, s4
	v_mul_lo_u32 v0, v0, s5
	s_cbranch_scc1 .LBB65_1110
; %bb.1109:
	s_clause 0x1
	s_load_b128 s[0:3], s[24:25], 0x10
	s_load_b64 s[4:5], s[24:25], 0xcc
	s_waitcnt lgkmcnt(0)
	v_mul_hi_u32 v4, s1, v3
	s_delay_alu instid0(VALU_DEP_1) | instskip(NEXT) | instid1(VALU_DEP_1)
	v_add_nc_u32_e32 v4, v3, v4
	v_lshrrev_b32_e32 v4, s2, v4
	s_delay_alu instid0(VALU_DEP_1) | instskip(NEXT) | instid1(VALU_DEP_1)
	v_mul_lo_u32 v4, v4, s0
	v_sub_nc_u32_e32 v6, v3, v4
	s_delay_alu instid0(VALU_DEP_1) | instskip(SKIP_1) | instid1(VALU_DEP_2)
	v_mad_u64_u32 v[3:4], null, v6, s4, v[26:27]
	v_mad_u64_u32 v[4:5], null, v6, s5, v[0:1]
	v_mov_b32_e32 v26, v3
	s_delay_alu instid0(VALU_DEP_2)
	v_mov_b32_e32 v0, v4
.LBB65_1110:
	v_cmp_ne_u32_e32 vcc_lo, 1, v2
	v_add_nc_u32_e32 v3, 0x80, v20
	s_cbranch_vccnz .LBB65_1116
; %bb.1111:
	v_dual_mov_b32 v25, 0 :: v_dual_mov_b32 v4, 0
	s_cmp_lg_u32 s9, 0
	s_mov_b32 s4, 0
	s_cbranch_scc0 .LBB65_1120
; %bb.1112:
	s_min_u32 s5, s33, 15
	v_mov_b32_e32 v25, 0
	s_add_i32 s5, s5, 1
	s_cmp_eq_u32 s33, 2
	s_mov_b32 s6, 0
	s_cbranch_scc1 .LBB65_1117
; %bb.1113:
	v_dual_mov_b32 v4, 0 :: v_dual_mov_b32 v25, 0
	v_mov_b32_e32 v5, v3
	s_add_u32 s0, s24, 0xc4
	s_addc_u32 s1, s25, 0
	s_and_b32 s6, s5, 28
	s_mov_b32 s7, 0
	s_mov_b64 s[2:3], s[24:25]
.LBB65_1114:                            ; =>This Inner Loop Header: Depth=1
	s_clause 0x1
	s_load_b256 s[36:43], s[2:3], 0x4
	s_load_b128 s[12:15], s[2:3], 0x24
	s_load_b256 s[44:51], s[0:1], 0x0
	s_add_u32 s2, s2, 48
	s_addc_u32 s3, s3, 0
	s_add_i32 s7, s7, 4
	s_add_u32 s0, s0, 32
	s_addc_u32 s1, s1, 0
	s_cmp_lg_u32 s6, s7
	s_waitcnt lgkmcnt(0)
	v_mul_hi_u32 v6, s37, v5
	s_delay_alu instid0(VALU_DEP_1) | instskip(NEXT) | instid1(VALU_DEP_1)
	v_add_nc_u32_e32 v6, v5, v6
	v_lshrrev_b32_e32 v6, s38, v6
	s_delay_alu instid0(VALU_DEP_1) | instskip(SKIP_1) | instid1(VALU_DEP_2)
	v_mul_hi_u32 v7, s40, v6
	v_mul_lo_u32 v9, v6, s36
	v_add_nc_u32_e32 v7, v6, v7
	s_delay_alu instid0(VALU_DEP_2) | instskip(NEXT) | instid1(VALU_DEP_2)
	v_sub_nc_u32_e32 v5, v5, v9
	v_lshrrev_b32_e32 v7, s41, v7
	s_delay_alu instid0(VALU_DEP_2) | instskip(SKIP_1) | instid1(VALU_DEP_3)
	v_mul_lo_u32 v9, v5, s44
	v_mul_lo_u32 v11, v5, s45
	v_mul_hi_u32 v8, s43, v7
	s_delay_alu instid0(VALU_DEP_1) | instskip(NEXT) | instid1(VALU_DEP_1)
	v_add_nc_u32_e32 v8, v7, v8
	v_lshrrev_b32_e32 v8, s12, v8
	s_delay_alu instid0(VALU_DEP_1) | instskip(SKIP_1) | instid1(VALU_DEP_2)
	v_mul_hi_u32 v10, s14, v8
	v_mul_lo_u32 v12, v8, s42
	v_add_nc_u32_e32 v5, v8, v10
	v_mul_lo_u32 v10, v7, s39
	s_delay_alu instid0(VALU_DEP_3) | instskip(NEXT) | instid1(VALU_DEP_3)
	v_sub_nc_u32_e32 v7, v7, v12
	v_lshrrev_b32_e32 v5, s15, v5
	s_delay_alu instid0(VALU_DEP_2) | instskip(SKIP_2) | instid1(VALU_DEP_4)
	v_mul_lo_u32 v12, v7, s48
	v_mul_lo_u32 v7, v7, s49
	v_sub_nc_u32_e32 v6, v6, v10
	v_mul_lo_u32 v13, v5, s13
	s_delay_alu instid0(VALU_DEP_2) | instskip(SKIP_1) | instid1(VALU_DEP_3)
	v_mul_lo_u32 v10, v6, s46
	v_mul_lo_u32 v6, v6, s47
	v_sub_nc_u32_e32 v8, v8, v13
	s_delay_alu instid0(VALU_DEP_3) | instskip(NEXT) | instid1(VALU_DEP_2)
	v_add3_u32 v9, v9, v25, v10
	v_mul_lo_u32 v13, v8, s50
	v_mul_lo_u32 v8, v8, s51
	v_add3_u32 v4, v11, v4, v6
	s_delay_alu instid0(VALU_DEP_3) | instskip(NEXT) | instid1(VALU_DEP_2)
	v_add3_u32 v25, v12, v9, v13
	v_add3_u32 v4, v7, v4, v8
	s_cbranch_scc1 .LBB65_1114
; %bb.1115:
	s_and_b32 s5, s5, 3
	s_delay_alu instid0(SALU_CYCLE_1)
	s_cmp_eq_u32 s5, 0
	s_cbranch_scc0 .LBB65_1118
	s_branch .LBB65_1120
.LBB65_1116:
	s_mov_b32 s4, -1
                                        ; implicit-def: $vgpr25
                                        ; implicit-def: $vgpr4
	s_branch .LBB65_1120
.LBB65_1117:
	v_dual_mov_b32 v5, v3 :: v_dual_mov_b32 v4, 0
	s_and_b32 s5, s5, 3
	s_delay_alu instid0(SALU_CYCLE_1)
	s_cmp_eq_u32 s5, 0
	s_cbranch_scc1 .LBB65_1120
.LBB65_1118:
	s_lshl_b32 s0, s6, 3
	s_mul_i32 s2, s6, 12
	s_add_u32 s0, s0, s24
	s_addc_u32 s1, 0, s25
	s_add_u32 s0, s0, 0xc4
	s_addc_u32 s1, s1, 0
	;; [unrolled: 2-line block ×3, first 2 shown]
	.p2align	6
.LBB65_1119:                            ; =>This Inner Loop Header: Depth=1
	s_clause 0x1
	s_load_b64 s[6:7], s[2:3], 0x4
	s_load_b32 s8, s[2:3], 0xc
	s_load_b64 s[12:13], s[0:1], 0x0
	s_add_u32 s2, s2, 12
	s_addc_u32 s3, s3, 0
	s_add_u32 s0, s0, 8
	s_addc_u32 s1, s1, 0
	s_add_i32 s5, s5, -1
	s_delay_alu instid0(SALU_CYCLE_1) | instskip(SKIP_2) | instid1(VALU_DEP_1)
	s_cmp_lg_u32 s5, 0
	s_waitcnt lgkmcnt(0)
	v_mul_hi_u32 v6, s7, v5
	v_add_nc_u32_e32 v6, v5, v6
	s_delay_alu instid0(VALU_DEP_1) | instskip(NEXT) | instid1(VALU_DEP_1)
	v_lshrrev_b32_e32 v9, s8, v6
	v_mul_lo_u32 v6, v9, s6
	s_delay_alu instid0(VALU_DEP_1) | instskip(NEXT) | instid1(VALU_DEP_1)
	v_sub_nc_u32_e32 v5, v5, v6
	v_mad_u64_u32 v[6:7], null, v5, s12, v[25:26]
	v_mad_u64_u32 v[7:8], null, v5, s13, v[4:5]
	v_mov_b32_e32 v5, v9
	s_delay_alu instid0(VALU_DEP_2)
	v_dual_mov_b32 v25, v6 :: v_dual_mov_b32 v4, v7
	s_cbranch_scc1 .LBB65_1119
.LBB65_1120:
	s_and_not1_b32 vcc_lo, exec_lo, s4
	s_cbranch_vccnz .LBB65_1123
; %bb.1121:
	s_clause 0x1
	s_load_b128 s[0:3], s[24:25], 0x4
	s_load_b64 s[4:5], s[24:25], 0xc4
	s_cmp_lt_u32 s9, 2
	s_waitcnt lgkmcnt(0)
	v_mul_hi_u32 v4, s1, v3
	s_delay_alu instid0(VALU_DEP_1) | instskip(NEXT) | instid1(VALU_DEP_1)
	v_add_nc_u32_e32 v4, v3, v4
	v_lshrrev_b32_e32 v5, s2, v4
	s_delay_alu instid0(VALU_DEP_1) | instskip(NEXT) | instid1(VALU_DEP_1)
	v_mul_lo_u32 v4, v5, s0
	v_sub_nc_u32_e32 v3, v3, v4
	s_delay_alu instid0(VALU_DEP_1)
	v_mul_lo_u32 v25, v3, s4
	v_mul_lo_u32 v4, v3, s5
	s_cbranch_scc1 .LBB65_1123
; %bb.1122:
	s_clause 0x1
	s_load_b128 s[0:3], s[24:25], 0x10
	s_load_b64 s[4:5], s[24:25], 0xcc
	s_waitcnt lgkmcnt(0)
	v_mul_hi_u32 v3, s1, v5
	s_delay_alu instid0(VALU_DEP_1) | instskip(NEXT) | instid1(VALU_DEP_1)
	v_add_nc_u32_e32 v3, v5, v3
	v_lshrrev_b32_e32 v3, s2, v3
	s_delay_alu instid0(VALU_DEP_1) | instskip(NEXT) | instid1(VALU_DEP_1)
	v_mul_lo_u32 v3, v3, s0
	v_sub_nc_u32_e32 v3, v5, v3
	s_delay_alu instid0(VALU_DEP_1) | instskip(NEXT) | instid1(VALU_DEP_1)
	v_mad_u64_u32 v[5:6], null, v3, s4, v[25:26]
	v_mad_u64_u32 v[6:7], null, v3, s5, v[4:5]
	s_delay_alu instid0(VALU_DEP_1)
	v_dual_mov_b32 v25, v5 :: v_dual_mov_b32 v4, v6
.LBB65_1123:
	v_cmp_ne_u32_e32 vcc_lo, 1, v2
	v_add_nc_u32_e32 v5, 0x100, v20
	s_cbranch_vccnz .LBB65_1129
; %bb.1124:
	v_dual_mov_b32 v24, 0 :: v_dual_mov_b32 v3, 0
	s_cmp_lg_u32 s9, 0
	s_mov_b32 s4, 0
	s_cbranch_scc0 .LBB65_1133
; %bb.1125:
	s_min_u32 s5, s33, 15
	v_mov_b32_e32 v24, 0
	s_add_i32 s5, s5, 1
	s_cmp_eq_u32 s33, 2
	s_mov_b32 s6, 0
	s_cbranch_scc1 .LBB65_1130
; %bb.1126:
	v_dual_mov_b32 v3, 0 :: v_dual_mov_b32 v24, 0
	v_mov_b32_e32 v6, v5
	s_add_u32 s0, s24, 0xc4
	s_addc_u32 s1, s25, 0
	s_and_b32 s6, s5, 28
	s_mov_b32 s7, 0
	s_mov_b64 s[2:3], s[24:25]
.LBB65_1127:                            ; =>This Inner Loop Header: Depth=1
	s_clause 0x1
	s_load_b256 s[36:43], s[2:3], 0x4
	s_load_b128 s[12:15], s[2:3], 0x24
	s_load_b256 s[44:51], s[0:1], 0x0
	s_add_u32 s2, s2, 48
	s_addc_u32 s3, s3, 0
	s_add_i32 s7, s7, 4
	s_add_u32 s0, s0, 32
	s_addc_u32 s1, s1, 0
	s_cmp_lg_u32 s6, s7
	s_waitcnt lgkmcnt(0)
	v_mul_hi_u32 v7, s37, v6
	s_delay_alu instid0(VALU_DEP_1) | instskip(NEXT) | instid1(VALU_DEP_1)
	v_add_nc_u32_e32 v7, v6, v7
	v_lshrrev_b32_e32 v7, s38, v7
	s_delay_alu instid0(VALU_DEP_1) | instskip(SKIP_1) | instid1(VALU_DEP_2)
	v_mul_hi_u32 v8, s40, v7
	v_mul_lo_u32 v10, v7, s36
	v_add_nc_u32_e32 v8, v7, v8
	s_delay_alu instid0(VALU_DEP_2) | instskip(NEXT) | instid1(VALU_DEP_2)
	v_sub_nc_u32_e32 v6, v6, v10
	v_lshrrev_b32_e32 v8, s41, v8
	s_delay_alu instid0(VALU_DEP_2) | instskip(SKIP_1) | instid1(VALU_DEP_3)
	v_mul_lo_u32 v10, v6, s44
	v_mul_lo_u32 v12, v6, s45
	v_mul_hi_u32 v9, s43, v8
	s_delay_alu instid0(VALU_DEP_1) | instskip(NEXT) | instid1(VALU_DEP_1)
	v_add_nc_u32_e32 v9, v8, v9
	v_lshrrev_b32_e32 v9, s12, v9
	s_delay_alu instid0(VALU_DEP_1) | instskip(SKIP_1) | instid1(VALU_DEP_2)
	v_mul_hi_u32 v11, s14, v9
	v_mul_lo_u32 v13, v9, s42
	v_add_nc_u32_e32 v6, v9, v11
	v_mul_lo_u32 v11, v8, s39
	s_delay_alu instid0(VALU_DEP_3) | instskip(NEXT) | instid1(VALU_DEP_3)
	v_sub_nc_u32_e32 v8, v8, v13
	v_lshrrev_b32_e32 v6, s15, v6
	s_delay_alu instid0(VALU_DEP_2) | instskip(SKIP_2) | instid1(VALU_DEP_4)
	v_mul_lo_u32 v13, v8, s48
	v_mul_lo_u32 v8, v8, s49
	v_sub_nc_u32_e32 v7, v7, v11
	v_mul_lo_u32 v14, v6, s13
	s_delay_alu instid0(VALU_DEP_2) | instskip(SKIP_1) | instid1(VALU_DEP_3)
	v_mul_lo_u32 v11, v7, s46
	v_mul_lo_u32 v7, v7, s47
	v_sub_nc_u32_e32 v9, v9, v14
	s_delay_alu instid0(VALU_DEP_3) | instskip(NEXT) | instid1(VALU_DEP_2)
	v_add3_u32 v10, v10, v24, v11
	v_mul_lo_u32 v14, v9, s50
	v_mul_lo_u32 v9, v9, s51
	v_add3_u32 v3, v12, v3, v7
	s_delay_alu instid0(VALU_DEP_3) | instskip(NEXT) | instid1(VALU_DEP_2)
	v_add3_u32 v24, v13, v10, v14
	v_add3_u32 v3, v8, v3, v9
	s_cbranch_scc1 .LBB65_1127
; %bb.1128:
	s_and_b32 s5, s5, 3
	s_delay_alu instid0(SALU_CYCLE_1)
	s_cmp_eq_u32 s5, 0
	s_cbranch_scc0 .LBB65_1131
	s_branch .LBB65_1133
.LBB65_1129:
	s_mov_b32 s4, -1
                                        ; implicit-def: $vgpr24
                                        ; implicit-def: $vgpr3
	s_branch .LBB65_1133
.LBB65_1130:
	v_dual_mov_b32 v6, v5 :: v_dual_mov_b32 v3, 0
	s_and_b32 s5, s5, 3
	s_delay_alu instid0(SALU_CYCLE_1)
	s_cmp_eq_u32 s5, 0
	s_cbranch_scc1 .LBB65_1133
.LBB65_1131:
	s_lshl_b32 s0, s6, 3
	s_mul_i32 s2, s6, 12
	s_add_u32 s0, s0, s24
	s_addc_u32 s1, 0, s25
	s_add_u32 s0, s0, 0xc4
	s_addc_u32 s1, s1, 0
	;; [unrolled: 2-line block ×3, first 2 shown]
	.p2align	6
.LBB65_1132:                            ; =>This Inner Loop Header: Depth=1
	s_clause 0x1
	s_load_b64 s[6:7], s[2:3], 0x4
	s_load_b32 s8, s[2:3], 0xc
	s_load_b64 s[12:13], s[0:1], 0x0
	s_add_u32 s2, s2, 12
	s_addc_u32 s3, s3, 0
	s_add_u32 s0, s0, 8
	s_addc_u32 s1, s1, 0
	s_add_i32 s5, s5, -1
	s_delay_alu instid0(SALU_CYCLE_1) | instskip(SKIP_2) | instid1(VALU_DEP_1)
	s_cmp_lg_u32 s5, 0
	s_waitcnt lgkmcnt(0)
	v_mul_hi_u32 v7, s7, v6
	v_add_nc_u32_e32 v7, v6, v7
	s_delay_alu instid0(VALU_DEP_1) | instskip(NEXT) | instid1(VALU_DEP_1)
	v_lshrrev_b32_e32 v10, s8, v7
	v_mul_lo_u32 v7, v10, s6
	s_delay_alu instid0(VALU_DEP_1) | instskip(NEXT) | instid1(VALU_DEP_1)
	v_sub_nc_u32_e32 v6, v6, v7
	v_mad_u64_u32 v[7:8], null, v6, s12, v[24:25]
	v_mad_u64_u32 v[8:9], null, v6, s13, v[3:4]
	v_mov_b32_e32 v6, v10
	s_delay_alu instid0(VALU_DEP_2)
	v_dual_mov_b32 v24, v7 :: v_dual_mov_b32 v3, v8
	s_cbranch_scc1 .LBB65_1132
.LBB65_1133:
	s_and_not1_b32 vcc_lo, exec_lo, s4
	s_cbranch_vccnz .LBB65_1136
; %bb.1134:
	s_clause 0x1
	s_load_b128 s[0:3], s[24:25], 0x4
	s_load_b64 s[4:5], s[24:25], 0xc4
	s_cmp_lt_u32 s9, 2
	s_waitcnt lgkmcnt(0)
	v_mul_hi_u32 v3, s1, v5
	s_delay_alu instid0(VALU_DEP_1) | instskip(NEXT) | instid1(VALU_DEP_1)
	v_add_nc_u32_e32 v3, v5, v3
	v_lshrrev_b32_e32 v6, s2, v3
	s_delay_alu instid0(VALU_DEP_1) | instskip(NEXT) | instid1(VALU_DEP_1)
	v_mul_lo_u32 v3, v6, s0
	v_sub_nc_u32_e32 v3, v5, v3
	s_delay_alu instid0(VALU_DEP_1)
	v_mul_lo_u32 v24, v3, s4
	v_mul_lo_u32 v3, v3, s5
	s_cbranch_scc1 .LBB65_1136
; %bb.1135:
	s_clause 0x1
	s_load_b128 s[0:3], s[24:25], 0x10
	s_load_b64 s[4:5], s[24:25], 0xcc
	s_waitcnt lgkmcnt(0)
	v_mul_hi_u32 v5, s1, v6
	s_delay_alu instid0(VALU_DEP_1) | instskip(NEXT) | instid1(VALU_DEP_1)
	v_add_nc_u32_e32 v5, v6, v5
	v_lshrrev_b32_e32 v5, s2, v5
	s_delay_alu instid0(VALU_DEP_1) | instskip(NEXT) | instid1(VALU_DEP_1)
	v_mul_lo_u32 v5, v5, s0
	v_sub_nc_u32_e32 v8, v6, v5
	s_delay_alu instid0(VALU_DEP_1) | instskip(SKIP_1) | instid1(VALU_DEP_1)
	v_mad_u64_u32 v[5:6], null, v8, s4, v[24:25]
	v_mad_u64_u32 v[6:7], null, v8, s5, v[3:4]
	v_dual_mov_b32 v24, v5 :: v_dual_mov_b32 v3, v6
.LBB65_1136:
	v_cmp_ne_u32_e32 vcc_lo, 1, v2
	s_cbranch_vccnz .LBB65_1142
; %bb.1137:
	v_dual_mov_b32 v23, 0 :: v_dual_mov_b32 v2, 0
	s_cmp_lg_u32 s9, 0
	s_mov_b32 s4, 0
	s_cbranch_scc0 .LBB65_1146
; %bb.1138:
	s_min_u32 s5, s33, 15
	v_mov_b32_e32 v23, 0
	s_add_i32 s5, s5, 1
	s_cmp_eq_u32 s33, 2
	s_mov_b32 s6, 0
	s_cbranch_scc1 .LBB65_1143
; %bb.1139:
	v_dual_mov_b32 v2, 0 :: v_dual_mov_b32 v23, 0
	v_mov_b32_e32 v5, v1
	s_add_u32 s0, s24, 0xc4
	s_addc_u32 s1, s25, 0
	s_and_b32 s6, s5, 28
	s_mov_b32 s7, 0
	s_mov_b64 s[2:3], s[24:25]
.LBB65_1140:                            ; =>This Inner Loop Header: Depth=1
	s_clause 0x1
	s_load_b256 s[36:43], s[2:3], 0x4
	s_load_b128 s[12:15], s[2:3], 0x24
	s_load_b256 s[44:51], s[0:1], 0x0
	s_add_u32 s2, s2, 48
	s_addc_u32 s3, s3, 0
	s_add_i32 s7, s7, 4
	s_add_u32 s0, s0, 32
	s_addc_u32 s1, s1, 0
	s_cmp_lg_u32 s6, s7
	s_waitcnt lgkmcnt(0)
	v_mul_hi_u32 v6, s37, v5
	s_delay_alu instid0(VALU_DEP_1) | instskip(NEXT) | instid1(VALU_DEP_1)
	v_add_nc_u32_e32 v6, v5, v6
	v_lshrrev_b32_e32 v6, s38, v6
	s_delay_alu instid0(VALU_DEP_1) | instskip(SKIP_1) | instid1(VALU_DEP_2)
	v_mul_hi_u32 v7, s40, v6
	v_mul_lo_u32 v9, v6, s36
	v_add_nc_u32_e32 v7, v6, v7
	s_delay_alu instid0(VALU_DEP_2) | instskip(NEXT) | instid1(VALU_DEP_2)
	v_sub_nc_u32_e32 v5, v5, v9
	v_lshrrev_b32_e32 v7, s41, v7
	s_delay_alu instid0(VALU_DEP_2) | instskip(SKIP_1) | instid1(VALU_DEP_3)
	v_mul_lo_u32 v9, v5, s44
	v_mul_lo_u32 v11, v5, s45
	v_mul_hi_u32 v8, s43, v7
	s_delay_alu instid0(VALU_DEP_1) | instskip(NEXT) | instid1(VALU_DEP_1)
	v_add_nc_u32_e32 v8, v7, v8
	v_lshrrev_b32_e32 v8, s12, v8
	s_delay_alu instid0(VALU_DEP_1) | instskip(SKIP_1) | instid1(VALU_DEP_2)
	v_mul_hi_u32 v10, s14, v8
	v_mul_lo_u32 v12, v8, s42
	v_add_nc_u32_e32 v5, v8, v10
	v_mul_lo_u32 v10, v7, s39
	s_delay_alu instid0(VALU_DEP_3) | instskip(NEXT) | instid1(VALU_DEP_3)
	v_sub_nc_u32_e32 v7, v7, v12
	v_lshrrev_b32_e32 v5, s15, v5
	s_delay_alu instid0(VALU_DEP_2) | instskip(SKIP_2) | instid1(VALU_DEP_4)
	v_mul_lo_u32 v12, v7, s48
	v_mul_lo_u32 v7, v7, s49
	v_sub_nc_u32_e32 v6, v6, v10
	v_mul_lo_u32 v13, v5, s13
	s_delay_alu instid0(VALU_DEP_2) | instskip(SKIP_1) | instid1(VALU_DEP_3)
	v_mul_lo_u32 v10, v6, s46
	v_mul_lo_u32 v6, v6, s47
	v_sub_nc_u32_e32 v8, v8, v13
	s_delay_alu instid0(VALU_DEP_3) | instskip(NEXT) | instid1(VALU_DEP_2)
	v_add3_u32 v9, v9, v23, v10
	v_mul_lo_u32 v13, v8, s50
	v_mul_lo_u32 v8, v8, s51
	v_add3_u32 v2, v11, v2, v6
	s_delay_alu instid0(VALU_DEP_3) | instskip(NEXT) | instid1(VALU_DEP_2)
	v_add3_u32 v23, v12, v9, v13
	v_add3_u32 v2, v7, v2, v8
	s_cbranch_scc1 .LBB65_1140
; %bb.1141:
	s_and_b32 s5, s5, 3
	s_delay_alu instid0(SALU_CYCLE_1)
	s_cmp_eq_u32 s5, 0
	s_cbranch_scc0 .LBB65_1144
	s_branch .LBB65_1146
.LBB65_1142:
	s_mov_b32 s4, -1
                                        ; implicit-def: $vgpr23
                                        ; implicit-def: $vgpr2
	s_branch .LBB65_1146
.LBB65_1143:
	v_dual_mov_b32 v5, v1 :: v_dual_mov_b32 v2, 0
	s_and_b32 s5, s5, 3
	s_delay_alu instid0(SALU_CYCLE_1)
	s_cmp_eq_u32 s5, 0
	s_cbranch_scc1 .LBB65_1146
.LBB65_1144:
	s_lshl_b32 s0, s6, 3
	s_mul_i32 s2, s6, 12
	s_add_u32 s0, s0, s24
	s_addc_u32 s1, 0, s25
	s_add_u32 s0, s0, 0xc4
	s_addc_u32 s1, s1, 0
	;; [unrolled: 2-line block ×3, first 2 shown]
	.p2align	6
.LBB65_1145:                            ; =>This Inner Loop Header: Depth=1
	s_clause 0x1
	s_load_b64 s[6:7], s[2:3], 0x4
	s_load_b32 s8, s[2:3], 0xc
	s_load_b64 s[12:13], s[0:1], 0x0
	s_add_u32 s2, s2, 12
	s_addc_u32 s3, s3, 0
	s_add_u32 s0, s0, 8
	s_addc_u32 s1, s1, 0
	s_add_i32 s5, s5, -1
	s_delay_alu instid0(SALU_CYCLE_1) | instskip(SKIP_2) | instid1(VALU_DEP_1)
	s_cmp_lg_u32 s5, 0
	s_waitcnt lgkmcnt(0)
	v_mul_hi_u32 v6, s7, v5
	v_add_nc_u32_e32 v6, v5, v6
	s_delay_alu instid0(VALU_DEP_1) | instskip(NEXT) | instid1(VALU_DEP_1)
	v_lshrrev_b32_e32 v9, s8, v6
	v_mul_lo_u32 v6, v9, s6
	s_delay_alu instid0(VALU_DEP_1) | instskip(NEXT) | instid1(VALU_DEP_1)
	v_sub_nc_u32_e32 v5, v5, v6
	v_mad_u64_u32 v[6:7], null, v5, s12, v[23:24]
	v_mad_u64_u32 v[7:8], null, v5, s13, v[2:3]
	v_mov_b32_e32 v5, v9
	s_delay_alu instid0(VALU_DEP_2)
	v_dual_mov_b32 v23, v6 :: v_dual_mov_b32 v2, v7
	s_cbranch_scc1 .LBB65_1145
.LBB65_1146:
	s_and_not1_b32 vcc_lo, exec_lo, s4
	s_cbranch_vccnz .LBB65_1149
; %bb.1147:
	s_clause 0x1
	s_load_b128 s[0:3], s[24:25], 0x4
	s_load_b64 s[4:5], s[24:25], 0xc4
	s_cmp_lt_u32 s9, 2
	s_waitcnt lgkmcnt(0)
	v_mul_hi_u32 v2, s1, v1
	s_delay_alu instid0(VALU_DEP_1) | instskip(NEXT) | instid1(VALU_DEP_1)
	v_add_nc_u32_e32 v2, v1, v2
	v_lshrrev_b32_e32 v5, s2, v2
	s_delay_alu instid0(VALU_DEP_1) | instskip(NEXT) | instid1(VALU_DEP_1)
	v_mul_lo_u32 v2, v5, s0
	v_sub_nc_u32_e32 v1, v1, v2
	s_delay_alu instid0(VALU_DEP_1)
	v_mul_lo_u32 v23, v1, s4
	v_mul_lo_u32 v2, v1, s5
	s_cbranch_scc1 .LBB65_1149
; %bb.1148:
	s_clause 0x1
	s_load_b128 s[0:3], s[24:25], 0x10
	s_load_b64 s[4:5], s[24:25], 0xcc
	s_waitcnt lgkmcnt(0)
	v_mul_hi_u32 v1, s1, v5
	s_delay_alu instid0(VALU_DEP_1) | instskip(NEXT) | instid1(VALU_DEP_1)
	v_add_nc_u32_e32 v1, v5, v1
	v_lshrrev_b32_e32 v1, s2, v1
	s_delay_alu instid0(VALU_DEP_1) | instskip(NEXT) | instid1(VALU_DEP_1)
	v_mul_lo_u32 v1, v1, s0
	v_sub_nc_u32_e32 v1, v5, v1
	s_delay_alu instid0(VALU_DEP_1) | instskip(SKIP_1) | instid1(VALU_DEP_1)
	v_mad_u64_u32 v[5:6], null, v1, s4, v[23:24]
	v_mad_u64_u32 v[6:7], null, v1, s5, v[2:3]
	v_dual_mov_b32 v23, v5 :: v_dual_mov_b32 v2, v6
.LBB65_1149:
	s_clause 0x1
	s_load_b32 s0, s[10:11], 0x160
	s_load_b128 s[12:15], s[24:25], 0x148
	s_mov_b32 s3, 0
	s_waitcnt lgkmcnt(0)
	s_lshr_b32 s1, s0, 16
	s_delay_alu instid0(SALU_CYCLE_1) | instskip(SKIP_1) | instid1(VALU_DEP_1)
	v_and_b32_e64 v7, 0xff, s1
	v_add_co_u32 v5, s1, s14, v0
	v_add_co_ci_u32_e64 v6, null, s15, 0, s1
	s_delay_alu instid0(VALU_DEP_3)
	v_cmp_gt_i16_e32 vcc_lo, 11, v7
	s_cbranch_vccnz .LBB65_1156
; %bb.1150:
	v_cmp_lt_i16_e32 vcc_lo, 25, v7
	s_mov_b32 s2, 0
	s_cbranch_vccz .LBB65_1162
; %bb.1151:
	v_cmp_lt_i16_e32 vcc_lo, 28, v7
	s_cbranch_vccz .LBB65_1165
; %bb.1152:
	v_cmp_lt_i16_e32 vcc_lo, 43, v7
	;; [unrolled: 3-line block ×3, first 2 shown]
	s_cbranch_vccz .LBB65_1171
; %bb.1154:
	v_cmp_eq_u16_e32 vcc_lo, 46, v7
	s_mov_b32 s4, 0
	s_cbranch_vccz .LBB65_1214
; %bb.1155:
	global_load_b32 v0, v[5:6], off
	s_mov_b32 s1, 0
	s_mov_b32 s3, -1
	s_waitcnt vmcnt(0)
	v_and_b32_e32 v1, 0xffff0000, v0
	v_lshlrev_b32_e32 v0, 16, v0
	s_branch .LBB65_1216
.LBB65_1156:
	s_mov_b32 s9, s16
                                        ; implicit-def: $vgpr1
	s_cbranch_execz .LBB65_1282
; %bb.1157:
	v_cmp_gt_i16_e32 vcc_lo, 5, v7
	s_cbranch_vccnz .LBB65_1163
; %bb.1158:
	v_cmp_gt_i16_e32 vcc_lo, 8, v7
	s_cbranch_vccnz .LBB65_1166
	;; [unrolled: 3-line block ×3, first 2 shown]
; %bb.1160:
	v_cmp_lt_i16_e32 vcc_lo, 9, v7
	s_cbranch_vccz .LBB65_1172
; %bb.1161:
	global_load_b128 v[8:11], v[5:6], off
	s_mov_b32 s1, 0
	s_waitcnt vmcnt(0)
	v_cvt_f32_f64_e32 v0, v[8:9]
	v_cvt_f32_f64_e32 v1, v[10:11]
	s_branch .LBB65_1173
.LBB65_1162:
	s_mov_b32 s1, 0
                                        ; implicit-def: $vgpr1
	s_cbranch_execnz .LBB65_1248
	s_branch .LBB65_1278
.LBB65_1163:
                                        ; implicit-def: $vgpr1
	s_branch .LBB65_1191
.LBB65_1164:
	s_branch .LBB65_1283
.LBB65_1165:
	s_mov_b32 s1, 0
                                        ; implicit-def: $vgpr1
	s_cbranch_execnz .LBB65_1228
	s_branch .LBB65_1247
.LBB65_1166:
                                        ; implicit-def: $vgpr1
	s_branch .LBB65_1179
.LBB65_1167:
	s_mov_b32 s4, -1
	s_mov_b32 s1, 0
                                        ; implicit-def: $vgpr1
	s_branch .LBB65_1222
.LBB65_1168:
	s_mov_b32 s1, -1
                                        ; implicit-def: $vgpr1
	s_branch .LBB65_1176
.LBB65_1169:
	s_cbranch_execnz .LBB65_1212
; %bb.1170:
	s_or_b32 s14, s14, exec_lo
	s_and_not1_b32 s2, s2, exec_lo
	s_or_b32 exec_lo, exec_lo, s0
	s_and_saveexec_b32 s0, s2
	s_delay_alu instid0(SALU_CYCLE_1)
	s_xor_b32 s0, exec_lo, s0
	s_cbranch_execnz .LBB65_1056
	s_branch .LBB65_1057
.LBB65_1171:
	s_mov_b32 s4, -1
	s_mov_b32 s1, 0
	s_branch .LBB65_1215
.LBB65_1172:
	s_mov_b32 s1, -1
                                        ; implicit-def: $vgpr1
.LBB65_1173:
	s_delay_alu instid0(SALU_CYCLE_1)
	s_and_not1_b32 vcc_lo, exec_lo, s1
	s_cbranch_vccnz .LBB65_1175
; %bb.1174:
	global_load_b64 v[0:1], v[5:6], off
.LBB65_1175:
	s_mov_b32 s1, 0
.LBB65_1176:
	s_delay_alu instid0(SALU_CYCLE_1)
	s_and_not1_b32 vcc_lo, exec_lo, s1
	s_cbranch_vccnz .LBB65_1178
; %bb.1177:
	global_load_b32 v0, v[5:6], off
	s_waitcnt vmcnt(0)
	v_lshrrev_b32_e32 v1, 16, v0
	v_cvt_f32_f16_e32 v0, v0
	s_delay_alu instid0(VALU_DEP_2)
	v_cvt_f32_f16_e32 v1, v1
.LBB65_1178:
	s_cbranch_execnz .LBB65_1190
.LBB65_1179:
	v_cmp_gt_i16_e32 vcc_lo, 6, v7
	s_cbranch_vccnz .LBB65_1182
; %bb.1180:
	v_cmp_lt_i16_e32 vcc_lo, 6, v7
	s_cbranch_vccz .LBB65_1183
; %bb.1181:
	global_load_b64 v[0:1], v[5:6], off
	s_mov_b32 s2, 0
	s_mov_b32 s1, 0
	s_waitcnt vmcnt(0)
	v_cvt_f32_f64_e32 v0, v[0:1]
	s_branch .LBB65_1184
.LBB65_1182:
	s_mov_b32 s2, -1
                                        ; implicit-def: $sgpr1
                                        ; implicit-def: $vgpr0
	s_branch .LBB65_1187
.LBB65_1183:
	s_mov_b32 s2, -1
                                        ; implicit-def: $sgpr1
                                        ; implicit-def: $vgpr0
.LBB65_1184:
	s_delay_alu instid0(SALU_CYCLE_1)
	s_and_not1_b32 vcc_lo, exec_lo, s2
	s_cbranch_vccnz .LBB65_1186
; %bb.1185:
	global_load_b32 v0, v[5:6], off
	s_mov_b32 s1, 0
.LBB65_1186:
	s_mov_b32 s2, 0
.LBB65_1187:
	s_delay_alu instid0(SALU_CYCLE_1)
	s_and_not1_b32 vcc_lo, exec_lo, s2
	s_cbranch_vccnz .LBB65_1189
; %bb.1188:
	global_load_u16 v0, v[5:6], off
	s_mov_b32 s1, 0
	s_waitcnt vmcnt(0)
	v_cvt_f32_f16_e32 v0, v0
.LBB65_1189:
	s_waitcnt vmcnt(0)
	v_mov_b32_e32 v1, s1
.LBB65_1190:
	s_cbranch_execnz .LBB65_1164
.LBB65_1191:
	v_cmp_gt_i16_e32 vcc_lo, 2, v7
	s_cbranch_vccnz .LBB65_1195
; %bb.1192:
	v_cmp_gt_i16_e32 vcc_lo, 3, v7
	s_cbranch_vccnz .LBB65_1196
; %bb.1193:
	v_cmp_lt_i16_e32 vcc_lo, 3, v7
	s_cbranch_vccz .LBB65_1197
; %bb.1194:
	global_load_b64 v[0:1], v[5:6], off
	s_mov_b32 s2, 0
	s_mov_b32 s1, 0
	s_waitcnt vmcnt(0)
	v_xor_b32_e32 v8, v0, v1
	v_cls_i32_e32 v9, v1
	s_delay_alu instid0(VALU_DEP_2) | instskip(NEXT) | instid1(VALU_DEP_2)
	v_ashrrev_i32_e32 v8, 31, v8
	v_add_nc_u32_e32 v9, -1, v9
	s_delay_alu instid0(VALU_DEP_2) | instskip(NEXT) | instid1(VALU_DEP_1)
	v_add_nc_u32_e32 v8, 32, v8
	v_min_u32_e32 v8, v9, v8
	s_delay_alu instid0(VALU_DEP_1) | instskip(NEXT) | instid1(VALU_DEP_1)
	v_lshlrev_b64 v[0:1], v8, v[0:1]
	v_min_u32_e32 v0, 1, v0
	s_delay_alu instid0(VALU_DEP_1) | instskip(SKIP_1) | instid1(VALU_DEP_2)
	v_or_b32_e32 v0, v1, v0
	v_sub_nc_u32_e32 v1, 32, v8
	v_cvt_f32_i32_e32 v0, v0
	s_delay_alu instid0(VALU_DEP_1)
	v_ldexp_f32 v0, v0, v1
	s_branch .LBB65_1198
.LBB65_1195:
                                        ; implicit-def: $sgpr1
                                        ; implicit-def: $vgpr0
	s_branch .LBB65_1204
.LBB65_1196:
	s_mov_b32 s2, -1
                                        ; implicit-def: $sgpr1
                                        ; implicit-def: $vgpr0
	s_branch .LBB65_1201
.LBB65_1197:
	s_mov_b32 s2, -1
                                        ; implicit-def: $sgpr1
                                        ; implicit-def: $vgpr0
.LBB65_1198:
	s_delay_alu instid0(SALU_CYCLE_1)
	s_and_not1_b32 vcc_lo, exec_lo, s2
	s_cbranch_vccnz .LBB65_1200
; %bb.1199:
	global_load_b32 v0, v[5:6], off
	s_mov_b32 s1, 0
	s_waitcnt vmcnt(0)
	v_cvt_f32_i32_e32 v0, v0
.LBB65_1200:
	s_mov_b32 s2, 0
.LBB65_1201:
	s_delay_alu instid0(SALU_CYCLE_1)
	s_and_not1_b32 vcc_lo, exec_lo, s2
	s_cbranch_vccnz .LBB65_1203
; %bb.1202:
	global_load_i16 v0, v[5:6], off
	s_mov_b32 s1, 0
	s_waitcnt vmcnt(0)
	v_cvt_f32_i32_e32 v0, v0
.LBB65_1203:
	s_cbranch_execnz .LBB65_1209
.LBB65_1204:
	v_cmp_lt_i16_e32 vcc_lo, 0, v7
	s_mov_b32 s2, 0
	s_cbranch_vccz .LBB65_1206
; %bb.1205:
	global_load_i8 v0, v[5:6], off
	s_mov_b32 s1, 0
	s_waitcnt vmcnt(0)
	v_cvt_f32_i32_e32 v0, v0
	s_branch .LBB65_1207
.LBB65_1206:
	s_mov_b32 s2, -1
                                        ; implicit-def: $sgpr1
                                        ; implicit-def: $vgpr0
.LBB65_1207:
	s_delay_alu instid0(SALU_CYCLE_1)
	s_and_not1_b32 vcc_lo, exec_lo, s2
	s_cbranch_vccnz .LBB65_1209
; %bb.1208:
	global_load_u8 v0, v[5:6], off
	s_mov_b32 s1, 0
	s_waitcnt vmcnt(0)
	v_cvt_f32_ubyte0_e32 v0, v0
.LBB65_1209:
	s_waitcnt vmcnt(0)
	v_mov_b32_e32 v1, s1
	s_branch .LBB65_1283
.LBB65_1210:
	s_trap 2
	s_sendmsg_rtn_b32 s0, sendmsg(MSG_RTN_GET_DOORBELL)
	s_mov_b32 ttmp2, m0
	s_waitcnt lgkmcnt(0)
	s_and_b32 s0, s0, 0x3ff
	s_delay_alu instid0(SALU_CYCLE_1) | instskip(NEXT) | instid1(SALU_CYCLE_1)
	s_bitset1_b32 s0, 10
	s_mov_b32 m0, s0
	s_sendmsg sendmsg(MSG_INTERRUPT)
	s_mov_b32 m0, ttmp2
.LBB65_1211:                            ; =>This Inner Loop Header: Depth=1
	s_sethalt 5
	s_branch .LBB65_1211
.LBB65_1212:
	s_trap 2
	s_sendmsg_rtn_b32 s0, sendmsg(MSG_RTN_GET_DOORBELL)
	s_mov_b32 ttmp2, m0
	s_waitcnt lgkmcnt(0)
	s_and_b32 s0, s0, 0x3ff
	s_delay_alu instid0(SALU_CYCLE_1) | instskip(NEXT) | instid1(SALU_CYCLE_1)
	s_bitset1_b32 s0, 10
	s_mov_b32 m0, s0
	s_sendmsg sendmsg(MSG_INTERRUPT)
	s_mov_b32 m0, ttmp2
.LBB65_1213:                            ; =>This Inner Loop Header: Depth=1
	s_sethalt 5
	s_branch .LBB65_1213
.LBB65_1214:
	s_mov_b32 s1, -1
.LBB65_1215:
                                        ; implicit-def: $vgpr1
.LBB65_1216:
	s_and_b32 vcc_lo, exec_lo, s4
	s_cbranch_vccz .LBB65_1221
; %bb.1217:
	v_cmp_eq_u16_e32 vcc_lo, 44, v7
	s_cbranch_vccz .LBB65_1219
; %bb.1218:
	global_load_u8 v0, v[5:6], off
	s_mov_b32 s1, 0
	s_mov_b32 s3, -1
	s_waitcnt vmcnt(0)
	v_lshlrev_b32_e32 v1, 23, v0
	v_cmp_ne_u32_e32 vcc_lo, 0xff, v0
	s_delay_alu instid0(VALU_DEP_2) | instskip(SKIP_1) | instid1(VALU_DEP_2)
	v_cndmask_b32_e32 v1, 0x7f800001, v1, vcc_lo
	v_cmp_ne_u32_e32 vcc_lo, 0, v0
	v_cndmask_b32_e32 v0, 0x400000, v1, vcc_lo
	s_branch .LBB65_1220
.LBB65_1219:
	s_mov_b32 s1, -1
                                        ; implicit-def: $vgpr0
.LBB65_1220:
	s_delay_alu instid0(SALU_CYCLE_1)
	v_mov_b32_e32 v1, s1
.LBB65_1221:
	s_mov_b32 s4, 0
.LBB65_1222:
	s_delay_alu instid0(SALU_CYCLE_1)
	s_and_b32 vcc_lo, exec_lo, s4
	s_cbranch_vccz .LBB65_1227
; %bb.1223:
	v_cmp_eq_u16_e32 vcc_lo, 29, v7
	s_cbranch_vccz .LBB65_1225
; %bb.1224:
	global_load_b64 v[0:1], v[5:6], off
	s_mov_b32 s1, 0
	s_mov_b32 s3, -1
	s_mov_b32 s4, 0
	s_waitcnt vmcnt(0)
	v_clz_i32_u32_e32 v8, v1
	s_delay_alu instid0(VALU_DEP_1) | instskip(NEXT) | instid1(VALU_DEP_1)
	v_min_u32_e32 v8, 32, v8
	v_lshlrev_b64 v[0:1], v8, v[0:1]
	s_delay_alu instid0(VALU_DEP_1) | instskip(NEXT) | instid1(VALU_DEP_1)
	v_min_u32_e32 v0, 1, v0
	v_or_b32_e32 v0, v1, v0
	v_sub_nc_u32_e32 v1, 32, v8
	s_delay_alu instid0(VALU_DEP_2) | instskip(NEXT) | instid1(VALU_DEP_1)
	v_cvt_f32_u32_e32 v0, v0
	v_ldexp_f32 v0, v0, v1
	s_branch .LBB65_1226
.LBB65_1225:
	s_mov_b32 s1, -1
                                        ; implicit-def: $sgpr4
                                        ; implicit-def: $vgpr0
.LBB65_1226:
	v_mov_b32_e32 v1, s4
.LBB65_1227:
	s_branch .LBB65_1247
.LBB65_1228:
	v_cmp_gt_i16_e32 vcc_lo, 27, v7
	s_cbranch_vccnz .LBB65_1231
; %bb.1229:
	v_cmp_lt_i16_e32 vcc_lo, 27, v7
	s_cbranch_vccz .LBB65_1232
; %bb.1230:
	global_load_b32 v0, v[5:6], off
	s_mov_b32 s4, 0
	s_mov_b32 s3, 0
	s_waitcnt vmcnt(0)
	v_cvt_f32_u32_e32 v0, v0
	s_branch .LBB65_1233
.LBB65_1231:
	s_mov_b32 s4, -1
                                        ; implicit-def: $sgpr3
                                        ; implicit-def: $vgpr0
	s_branch .LBB65_1236
.LBB65_1232:
	s_mov_b32 s4, -1
                                        ; implicit-def: $sgpr3
                                        ; implicit-def: $vgpr0
.LBB65_1233:
	s_delay_alu instid0(SALU_CYCLE_1)
	s_and_not1_b32 vcc_lo, exec_lo, s4
	s_cbranch_vccnz .LBB65_1235
; %bb.1234:
	global_load_u16 v0, v[5:6], off
	s_mov_b32 s3, 0
	s_waitcnt vmcnt(0)
	v_cvt_f32_u32_e32 v0, v0
.LBB65_1235:
	s_mov_b32 s4, 0
.LBB65_1236:
	v_mov_b32_e32 v1, s3
	s_and_not1_b32 vcc_lo, exec_lo, s4
	s_cbranch_vccnz .LBB65_1246
; %bb.1237:
	global_load_u8 v8, v[5:6], off
	s_mov_b32 s3, 0
	s_mov_b32 s6, exec_lo
                                        ; implicit-def: $sgpr5
                                        ; implicit-def: $sgpr4
	s_waitcnt vmcnt(0)
	v_cmpx_lt_i16_e32 0x7f, v8
	s_xor_b32 s6, exec_lo, s6
	s_cbranch_execz .LBB65_1241
; %bb.1238:
	s_mov_b32 s3, -1
	s_mov_b32 s7, exec_lo
                                        ; implicit-def: $sgpr5
                                        ; implicit-def: $sgpr4
	v_cmpx_eq_u16_e32 0x80, v8
; %bb.1239:
	s_mov_b32 s4, 0x7f800001
	s_mov_b32 s5, 0
	s_xor_b32 s3, exec_lo, -1
; %bb.1240:
	s_or_b32 exec_lo, exec_lo, s7
	s_delay_alu instid0(SALU_CYCLE_1)
	s_and_b32 s3, s3, exec_lo
.LBB65_1241:
	s_or_saveexec_b32 s6, s6
	v_dual_mov_b32 v1, s5 :: v_dual_mov_b32 v0, s4
	s_xor_b32 exec_lo, exec_lo, s6
; %bb.1242:
	v_mov_b32_e32 v1, 0
	v_cmp_ne_u16_e32 vcc_lo, 0, v8
	s_and_not1_b32 s3, s3, exec_lo
	s_delay_alu instid0(VALU_DEP_2) | instskip(SKIP_1) | instid1(SALU_CYCLE_1)
	v_mov_b32_e32 v0, v1
	s_and_b32 s4, vcc_lo, exec_lo
	s_or_b32 s3, s3, s4
; %bb.1243:
	s_or_b32 exec_lo, exec_lo, s6
	s_and_saveexec_b32 s4, s3
	s_cbranch_execz .LBB65_1245
; %bb.1244:
	v_and_b32_e32 v0, 0xffff, v8
	v_lshlrev_b32_e32 v8, 24, v8
	s_delay_alu instid0(VALU_DEP_2) | instskip(NEXT) | instid1(VALU_DEP_2)
	v_and_b32_e32 v1, 7, v0
	v_and_b32_e32 v8, 0x80000000, v8
	s_delay_alu instid0(VALU_DEP_2) | instskip(NEXT) | instid1(VALU_DEP_1)
	v_clz_i32_u32_e32 v9, v1
	v_min_u32_e32 v9, 32, v9
	s_delay_alu instid0(VALU_DEP_1) | instskip(SKIP_1) | instid1(VALU_DEP_2)
	v_subrev_nc_u32_e32 v10, 28, v9
	v_sub_nc_u32_e32 v9, 29, v9
	v_lshlrev_b32_e32 v10, v10, v0
	v_bfe_u32 v0, v0, 3, 4
	s_delay_alu instid0(VALU_DEP_2) | instskip(NEXT) | instid1(VALU_DEP_2)
	v_and_b32_e32 v10, 7, v10
	v_cmp_eq_u32_e32 vcc_lo, 0, v0
	s_delay_alu instid0(VALU_DEP_2) | instskip(NEXT) | instid1(VALU_DEP_1)
	v_dual_cndmask_b32 v0, v0, v9 :: v_dual_cndmask_b32 v1, v1, v10
	v_lshl_add_u32 v0, v0, 23, 0x3b800000
	s_delay_alu instid0(VALU_DEP_2) | instskip(NEXT) | instid1(VALU_DEP_1)
	v_lshlrev_b32_e32 v1, 20, v1
	v_or3_b32 v0, v8, v0, v1
	v_mov_b32_e32 v1, 0
.LBB65_1245:
	s_or_b32 exec_lo, exec_lo, s4
.LBB65_1246:
	s_mov_b32 s3, -1
.LBB65_1247:
	s_branch .LBB65_1278
.LBB65_1248:
	v_cmp_lt_i16_e32 vcc_lo, 22, v7
	s_cbranch_vccz .LBB65_1260
; %bb.1249:
	v_cmp_gt_i16_e32 vcc_lo, 24, v7
	s_cbranch_vccnz .LBB65_1261
; %bb.1250:
	v_cmp_lt_i16_e32 vcc_lo, 24, v7
	s_cbranch_vccz .LBB65_1262
; %bb.1251:
	global_load_u8 v8, v[5:6], off
	s_mov_b32 s5, exec_lo
                                        ; implicit-def: $sgpr4
                                        ; implicit-def: $sgpr3
	s_waitcnt vmcnt(0)
	v_cmpx_lt_i16_e32 0x7f, v8
	s_xor_b32 s5, exec_lo, s5
	s_cbranch_execz .LBB65_1255
; %bb.1252:
	s_mov_b32 s2, -1
	s_mov_b32 s6, exec_lo
                                        ; implicit-def: $sgpr4
                                        ; implicit-def: $sgpr3
	v_cmpx_eq_u16_e32 0x80, v8
; %bb.1253:
	s_mov_b32 s3, 0x7f800001
	s_mov_b32 s4, 0
	s_xor_b32 s2, exec_lo, -1
; %bb.1254:
	s_or_b32 exec_lo, exec_lo, s6
	s_delay_alu instid0(SALU_CYCLE_1)
	s_and_b32 s2, s2, exec_lo
.LBB65_1255:
	s_or_saveexec_b32 s5, s5
	v_dual_mov_b32 v1, s4 :: v_dual_mov_b32 v0, s3
	s_xor_b32 exec_lo, exec_lo, s5
; %bb.1256:
	v_mov_b32_e32 v1, 0
	v_cmp_ne_u16_e32 vcc_lo, 0, v8
	s_and_not1_b32 s2, s2, exec_lo
	s_delay_alu instid0(VALU_DEP_2) | instskip(SKIP_1) | instid1(SALU_CYCLE_1)
	v_mov_b32_e32 v0, v1
	s_and_b32 s3, vcc_lo, exec_lo
	s_or_b32 s2, s2, s3
; %bb.1257:
	s_or_b32 exec_lo, exec_lo, s5
	s_and_saveexec_b32 s3, s2
	s_cbranch_execz .LBB65_1259
; %bb.1258:
	v_and_b32_e32 v0, 0xffff, v8
	v_lshlrev_b32_e32 v8, 24, v8
	s_delay_alu instid0(VALU_DEP_2) | instskip(NEXT) | instid1(VALU_DEP_2)
	v_and_b32_e32 v1, 3, v0
	v_and_b32_e32 v8, 0x80000000, v8
	s_delay_alu instid0(VALU_DEP_2) | instskip(NEXT) | instid1(VALU_DEP_1)
	v_clz_i32_u32_e32 v9, v1
	v_min_u32_e32 v9, 32, v9
	s_delay_alu instid0(VALU_DEP_1) | instskip(SKIP_1) | instid1(VALU_DEP_2)
	v_subrev_nc_u32_e32 v10, 29, v9
	v_sub_nc_u32_e32 v9, 30, v9
	v_lshlrev_b32_e32 v10, v10, v0
	v_bfe_u32 v0, v0, 2, 5
	s_delay_alu instid0(VALU_DEP_2) | instskip(NEXT) | instid1(VALU_DEP_2)
	v_and_b32_e32 v10, 3, v10
	v_cmp_eq_u32_e32 vcc_lo, 0, v0
	s_delay_alu instid0(VALU_DEP_2) | instskip(NEXT) | instid1(VALU_DEP_1)
	v_dual_cndmask_b32 v0, v0, v9 :: v_dual_cndmask_b32 v1, v1, v10
	v_lshl_add_u32 v0, v0, 23, 0x37800000
	s_delay_alu instid0(VALU_DEP_2) | instskip(NEXT) | instid1(VALU_DEP_1)
	v_lshlrev_b32_e32 v1, 21, v1
	v_or3_b32 v0, v8, v0, v1
	v_mov_b32_e32 v1, 0
.LBB65_1259:
	s_or_b32 exec_lo, exec_lo, s3
	s_mov_b32 s2, 0
	s_branch .LBB65_1263
.LBB65_1260:
                                        ; implicit-def: $vgpr1
	s_mov_b32 s2, 0
	s_branch .LBB65_1269
.LBB65_1261:
	s_mov_b32 s2, -1
                                        ; implicit-def: $vgpr1
	s_branch .LBB65_1266
.LBB65_1262:
	s_mov_b32 s2, -1
                                        ; implicit-def: $vgpr1
.LBB65_1263:
	s_delay_alu instid0(SALU_CYCLE_1)
	s_and_b32 vcc_lo, exec_lo, s2
	s_cbranch_vccz .LBB65_1265
; %bb.1264:
	global_load_u8 v0, v[5:6], off
	s_waitcnt vmcnt(0)
	v_lshlrev_b32_e32 v0, 24, v0
	s_delay_alu instid0(VALU_DEP_1) | instskip(NEXT) | instid1(VALU_DEP_1)
	v_and_b32_e32 v1, 0x7f000000, v0
	v_clz_i32_u32_e32 v8, v1
	v_cmp_ne_u32_e32 vcc_lo, 0, v1
	v_add_nc_u32_e32 v10, 0x1000000, v1
	s_delay_alu instid0(VALU_DEP_3) | instskip(NEXT) | instid1(VALU_DEP_1)
	v_min_u32_e32 v8, 32, v8
	v_sub_nc_u32_e64 v8, v8, 4 clamp
	s_delay_alu instid0(VALU_DEP_1) | instskip(SKIP_1) | instid1(VALU_DEP_2)
	v_lshlrev_b32_e32 v9, v8, v1
	v_lshlrev_b32_e32 v8, 23, v8
	v_lshrrev_b32_e32 v9, 4, v9
	s_delay_alu instid0(VALU_DEP_1) | instskip(SKIP_1) | instid1(VALU_DEP_2)
	v_sub_nc_u32_e32 v8, v9, v8
	v_ashrrev_i32_e32 v9, 8, v10
	v_add_nc_u32_e32 v8, 0x3c000000, v8
	s_delay_alu instid0(VALU_DEP_1) | instskip(NEXT) | instid1(VALU_DEP_1)
	v_and_or_b32 v8, 0x7f800000, v9, v8
	v_cndmask_b32_e32 v1, 0, v8, vcc_lo
	s_delay_alu instid0(VALU_DEP_1)
	v_and_or_b32 v0, 0x80000000, v0, v1
	v_mov_b32_e32 v1, 0
.LBB65_1265:
	s_mov_b32 s2, 0
.LBB65_1266:
	s_delay_alu instid0(SALU_CYCLE_1)
	s_and_not1_b32 vcc_lo, exec_lo, s2
	s_cbranch_vccnz .LBB65_1268
; %bb.1267:
	global_load_u8 v0, v[5:6], off
	s_waitcnt vmcnt(0)
	v_lshlrev_b32_e32 v1, 25, v0
	v_lshlrev_b16 v0, 8, v0
	s_delay_alu instid0(VALU_DEP_2) | instskip(NEXT) | instid1(VALU_DEP_2)
	v_lshrrev_b32_e32 v8, 4, v1
	v_and_or_b32 v9, 0x7f00, v0, 0.5
	v_cmp_gt_u32_e32 vcc_lo, 0x8000000, v1
	v_bfe_i32 v0, v0, 0, 16
	s_delay_alu instid0(VALU_DEP_4) | instskip(NEXT) | instid1(VALU_DEP_1)
	v_or_b32_e32 v8, 0x70000000, v8
	v_dual_add_f32 v9, -0.5, v9 :: v_dual_mul_f32 v8, 0x7800000, v8
	s_delay_alu instid0(VALU_DEP_1) | instskip(NEXT) | instid1(VALU_DEP_1)
	v_cndmask_b32_e32 v1, v8, v9, vcc_lo
	v_and_or_b32 v0, 0x80000000, v0, v1
	v_mov_b32_e32 v1, 0
.LBB65_1268:
	s_mov_b32 s3, -1
	s_mov_b32 s2, 0
	s_cbranch_execnz .LBB65_1278
.LBB65_1269:
	v_cmp_lt_i16_e32 vcc_lo, 14, v7
	s_cbranch_vccz .LBB65_1272
; %bb.1270:
	v_cmp_eq_u16_e32 vcc_lo, 15, v7
	s_cbranch_vccz .LBB65_1273
; %bb.1271:
	global_load_u16 v0, v[5:6], off
	s_mov_b32 s1, 0
	s_mov_b32 s3, -1
	s_mov_b32 s4, 0
	s_waitcnt vmcnt(0)
	v_lshlrev_b32_e32 v0, 16, v0
	s_branch .LBB65_1275
.LBB65_1272:
	s_mov_b32 s2, -1
	s_branch .LBB65_1274
.LBB65_1273:
	s_mov_b32 s1, -1
.LBB65_1274:
                                        ; implicit-def: $sgpr4
                                        ; implicit-def: $vgpr0
.LBB65_1275:
	s_and_b32 vcc_lo, exec_lo, s2
	s_mov_b32 s2, 0
	s_cbranch_vccz .LBB65_1277
; %bb.1276:
	v_cmp_ne_u16_e64 s1, 11, v7
	s_mov_b32 s2, -1
                                        ; implicit-def: $sgpr4
                                        ; implicit-def: $vgpr0
.LBB65_1277:
	v_mov_b32_e32 v1, s4
.LBB65_1278:
	s_delay_alu instid0(VALU_DEP_2)
	s_and_b32 vcc_lo, exec_lo, s1
	s_mov_b32 s9, s16
	s_cbranch_vccnz .LBB65_1303
; %bb.1279:
	s_and_not1_b32 vcc_lo, exec_lo, s2
	s_cbranch_vccnz .LBB65_1281
.LBB65_1280:
	global_load_u8 v0, v[5:6], off
	v_mov_b32_e32 v1, 0
	s_mov_b32 s3, -1
	s_waitcnt vmcnt(0)
	v_cmp_ne_u16_e32 vcc_lo, 0, v0
	v_cndmask_b32_e64 v0, 0, 1.0, vcc_lo
.LBB65_1281:
.LBB65_1282:
	s_and_not1_b32 vcc_lo, exec_lo, s3
	s_cbranch_vccnz .LBB65_2130
.LBB65_1283:
	v_cmp_gt_i16_e32 vcc_lo, 11, v7
	v_add_co_u32 v4, s1, s14, v4
	s_delay_alu instid0(VALU_DEP_1)
	v_add_co_ci_u32_e64 v5, null, s15, 0, s1
	s_mov_b32 s3, 0
	s_cbranch_vccnz .LBB65_1290
; %bb.1284:
	v_cmp_lt_i16_e32 vcc_lo, 25, v7
	s_mov_b32 s2, 0
	s_cbranch_vccz .LBB65_1296
; %bb.1285:
	v_cmp_lt_i16_e32 vcc_lo, 28, v7
	s_cbranch_vccz .LBB65_1299
; %bb.1286:
	v_cmp_lt_i16_e32 vcc_lo, 43, v7
	;; [unrolled: 3-line block ×3, first 2 shown]
	s_cbranch_vccz .LBB65_1307
; %bb.1288:
	v_cmp_eq_u16_e32 vcc_lo, 46, v7
	s_mov_b32 s4, 0
	s_cbranch_vccz .LBB65_1352
; %bb.1289:
	global_load_b32 v6, v[4:5], off
	s_mov_b32 s1, 0
	s_mov_b32 s3, -1
	s_waitcnt vmcnt(0)
	v_and_b32_e32 v18, 0xffff0000, v6
	v_lshlrev_b32_e32 v17, 16, v6
	s_branch .LBB65_1354
.LBB65_1290:
                                        ; implicit-def: $vgpr18
	s_cbranch_execz .LBB65_1422
; %bb.1291:
	v_cmp_gt_i16_e32 vcc_lo, 5, v7
	s_cbranch_vccnz .LBB65_1297
; %bb.1292:
	v_cmp_gt_i16_e32 vcc_lo, 8, v7
	s_cbranch_vccnz .LBB65_1300
	;; [unrolled: 3-line block ×3, first 2 shown]
; %bb.1294:
	v_cmp_lt_i16_e32 vcc_lo, 9, v7
	s_cbranch_vccz .LBB65_1308
; %bb.1295:
	global_load_b128 v[8:11], v[4:5], off
	s_mov_b32 s1, 0
	s_waitcnt vmcnt(0)
	v_cvt_f32_f64_e32 v17, v[8:9]
	v_cvt_f32_f64_e32 v18, v[10:11]
	s_branch .LBB65_1309
.LBB65_1296:
	s_mov_b32 s1, 0
                                        ; implicit-def: $vgpr18
	s_cbranch_execnz .LBB65_1387
	s_branch .LBB65_1418
.LBB65_1297:
                                        ; implicit-def: $vgpr18
	s_branch .LBB65_1328
.LBB65_1298:
	s_branch .LBB65_1423
.LBB65_1299:
	s_mov_b32 s4, -1
	s_mov_b32 s1, 0
                                        ; implicit-def: $vgpr18
	s_branch .LBB65_1366
.LBB65_1300:
	s_mov_b32 s1, -1
                                        ; implicit-def: $vgpr18
	s_branch .LBB65_1315
.LBB65_1301:
	s_mov_b32 s4, -1
	s_mov_b32 s1, 0
                                        ; implicit-def: $vgpr18
	s_branch .LBB65_1360
.LBB65_1302:
	s_mov_b32 s1, -1
                                        ; implicit-def: $vgpr18
	s_branch .LBB65_1312
.LBB65_1303:
	s_cbranch_execnz .LBB65_1348
; %bb.1304:
	s_or_b32 s9, s16, exec_lo
                                        ; implicit-def: $vgpr1
	s_cbranch_execz .LBB65_1280
	s_branch .LBB65_1281
.LBB65_1305:
	s_or_saveexec_b32 s3, s3
                                        ; implicit-def: $sgpr4
	s_delay_alu instid0(SALU_CYCLE_1)
	s_xor_b32 exec_lo, exec_lo, s3
	s_cbranch_execz .LBB65_1007
.LBB65_1306:
	v_add_f32_e64 v2, 0x46000000, |v0|
	s_and_not1_b32 s2, s2, exec_lo
	s_mov_b32 s4, 0
	s_delay_alu instid0(VALU_DEP_1) | instskip(NEXT) | instid1(VALU_DEP_1)
	v_and_b32_e32 v2, 0xff, v2
	v_cmp_ne_u32_e32 vcc_lo, 0, v2
	s_and_b32 s5, vcc_lo, exec_lo
	s_delay_alu instid0(SALU_CYCLE_1)
	s_or_b32 s2, s2, s5
	s_or_b32 exec_lo, exec_lo, s3
	v_mov_b32_e32 v6, s4
	s_and_saveexec_b32 s3, s2
	s_cbranch_execnz .LBB65_1008
	s_branch .LBB65_1009
.LBB65_1307:
	s_mov_b32 s4, -1
	s_mov_b32 s1, 0
	s_branch .LBB65_1353
.LBB65_1308:
	s_mov_b32 s1, -1
                                        ; implicit-def: $vgpr18
.LBB65_1309:
	s_delay_alu instid0(SALU_CYCLE_1)
	s_and_not1_b32 vcc_lo, exec_lo, s1
	s_cbranch_vccnz .LBB65_1311
; %bb.1310:
	global_load_b64 v[17:18], v[4:5], off
.LBB65_1311:
	s_mov_b32 s1, 0
.LBB65_1312:
	s_delay_alu instid0(SALU_CYCLE_1)
	s_and_not1_b32 vcc_lo, exec_lo, s1
	s_cbranch_vccnz .LBB65_1314
; %bb.1313:
	global_load_b32 v6, v[4:5], off
	s_waitcnt vmcnt(0)
	v_lshrrev_b32_e32 v8, 16, v6
	v_cvt_f32_f16_e32 v17, v6
	s_delay_alu instid0(VALU_DEP_2)
	v_cvt_f32_f16_e32 v18, v8
.LBB65_1314:
	s_mov_b32 s1, 0
.LBB65_1315:
	s_delay_alu instid0(SALU_CYCLE_1)
	s_and_not1_b32 vcc_lo, exec_lo, s1
	s_cbranch_vccnz .LBB65_1327
; %bb.1316:
	v_cmp_gt_i16_e32 vcc_lo, 6, v7
	s_cbranch_vccnz .LBB65_1319
; %bb.1317:
	v_cmp_lt_i16_e32 vcc_lo, 6, v7
	s_cbranch_vccz .LBB65_1320
; %bb.1318:
	global_load_b64 v[8:9], v[4:5], off
	s_mov_b32 s2, 0
	s_mov_b32 s1, 0
	s_waitcnt vmcnt(0)
	v_cvt_f32_f64_e32 v17, v[8:9]
	s_branch .LBB65_1321
.LBB65_1319:
	s_mov_b32 s2, -1
                                        ; implicit-def: $sgpr1
                                        ; implicit-def: $vgpr17
	s_branch .LBB65_1324
.LBB65_1320:
	s_mov_b32 s2, -1
                                        ; implicit-def: $sgpr1
                                        ; implicit-def: $vgpr17
.LBB65_1321:
	s_delay_alu instid0(SALU_CYCLE_1)
	s_and_not1_b32 vcc_lo, exec_lo, s2
	s_cbranch_vccnz .LBB65_1323
; %bb.1322:
	global_load_b32 v17, v[4:5], off
	s_mov_b32 s1, 0
.LBB65_1323:
	s_mov_b32 s2, 0
.LBB65_1324:
	s_delay_alu instid0(SALU_CYCLE_1)
	s_and_not1_b32 vcc_lo, exec_lo, s2
	s_cbranch_vccnz .LBB65_1326
; %bb.1325:
	global_load_u16 v6, v[4:5], off
	s_mov_b32 s1, 0
	s_waitcnt vmcnt(0)
	v_cvt_f32_f16_e32 v17, v6
.LBB65_1326:
	s_waitcnt vmcnt(0)
	v_mov_b32_e32 v18, s1
.LBB65_1327:
	s_cbranch_execnz .LBB65_1298
.LBB65_1328:
	v_cmp_gt_i16_e32 vcc_lo, 2, v7
	s_cbranch_vccnz .LBB65_1332
; %bb.1329:
	v_cmp_gt_i16_e32 vcc_lo, 3, v7
	s_cbranch_vccnz .LBB65_1333
; %bb.1330:
	v_cmp_lt_i16_e32 vcc_lo, 3, v7
	s_cbranch_vccz .LBB65_1334
; %bb.1331:
	global_load_b64 v[8:9], v[4:5], off
	s_mov_b32 s2, 0
	s_mov_b32 s1, 0
	s_waitcnt vmcnt(0)
	v_xor_b32_e32 v6, v8, v9
	v_cls_i32_e32 v10, v9
	s_delay_alu instid0(VALU_DEP_2) | instskip(NEXT) | instid1(VALU_DEP_2)
	v_ashrrev_i32_e32 v6, 31, v6
	v_add_nc_u32_e32 v10, -1, v10
	s_delay_alu instid0(VALU_DEP_2) | instskip(NEXT) | instid1(VALU_DEP_1)
	v_add_nc_u32_e32 v6, 32, v6
	v_min_u32_e32 v6, v10, v6
	s_delay_alu instid0(VALU_DEP_1) | instskip(SKIP_1) | instid1(VALU_DEP_2)
	v_lshlrev_b64 v[8:9], v6, v[8:9]
	v_sub_nc_u32_e32 v6, 32, v6
	v_min_u32_e32 v8, 1, v8
	s_delay_alu instid0(VALU_DEP_1) | instskip(NEXT) | instid1(VALU_DEP_1)
	v_or_b32_e32 v8, v9, v8
	v_cvt_f32_i32_e32 v8, v8
	s_delay_alu instid0(VALU_DEP_1)
	v_ldexp_f32 v17, v8, v6
	s_branch .LBB65_1335
.LBB65_1332:
	s_mov_b32 s2, -1
                                        ; implicit-def: $sgpr1
                                        ; implicit-def: $vgpr17
	s_branch .LBB65_1341
.LBB65_1333:
	s_mov_b32 s2, -1
                                        ; implicit-def: $sgpr1
                                        ; implicit-def: $vgpr17
	s_branch .LBB65_1338
.LBB65_1334:
	s_mov_b32 s2, -1
                                        ; implicit-def: $sgpr1
                                        ; implicit-def: $vgpr17
.LBB65_1335:
	s_delay_alu instid0(SALU_CYCLE_1)
	s_and_not1_b32 vcc_lo, exec_lo, s2
	s_cbranch_vccnz .LBB65_1337
; %bb.1336:
	global_load_b32 v6, v[4:5], off
	s_mov_b32 s1, 0
	s_waitcnt vmcnt(0)
	v_cvt_f32_i32_e32 v17, v6
.LBB65_1337:
	s_mov_b32 s2, 0
.LBB65_1338:
	s_delay_alu instid0(SALU_CYCLE_1)
	s_and_not1_b32 vcc_lo, exec_lo, s2
	s_cbranch_vccnz .LBB65_1340
; %bb.1339:
	global_load_i16 v6, v[4:5], off
	s_mov_b32 s1, 0
	s_waitcnt vmcnt(0)
	v_cvt_f32_i32_e32 v17, v6
.LBB65_1340:
	s_mov_b32 s2, 0
.LBB65_1341:
	s_delay_alu instid0(SALU_CYCLE_1)
	s_and_not1_b32 vcc_lo, exec_lo, s2
	s_cbranch_vccnz .LBB65_1347
; %bb.1342:
	v_cmp_lt_i16_e32 vcc_lo, 0, v7
	s_mov_b32 s2, 0
	s_cbranch_vccz .LBB65_1344
; %bb.1343:
	global_load_i8 v6, v[4:5], off
	s_mov_b32 s1, 0
	s_waitcnt vmcnt(0)
	v_cvt_f32_i32_e32 v17, v6
	s_branch .LBB65_1345
.LBB65_1344:
	s_mov_b32 s2, -1
                                        ; implicit-def: $sgpr1
                                        ; implicit-def: $vgpr17
.LBB65_1345:
	s_delay_alu instid0(SALU_CYCLE_1)
	s_and_not1_b32 vcc_lo, exec_lo, s2
	s_cbranch_vccnz .LBB65_1347
; %bb.1346:
	global_load_u8 v4, v[4:5], off
	s_mov_b32 s1, 0
	s_waitcnt vmcnt(0)
	v_cvt_f32_ubyte0_e32 v17, v4
.LBB65_1347:
	s_waitcnt vmcnt(0)
	v_mov_b32_e32 v18, s1
	s_branch .LBB65_1423
.LBB65_1348:
	s_trap 2
	s_sendmsg_rtn_b32 s0, sendmsg(MSG_RTN_GET_DOORBELL)
	s_mov_b32 ttmp2, m0
	s_waitcnt lgkmcnt(0)
	s_and_b32 s0, s0, 0x3ff
	s_delay_alu instid0(SALU_CYCLE_1) | instskip(NEXT) | instid1(SALU_CYCLE_1)
	s_bitset1_b32 s0, 10
	s_mov_b32 m0, s0
	s_sendmsg sendmsg(MSG_INTERRUPT)
	s_mov_b32 m0, ttmp2
.LBB65_1349:                            ; =>This Inner Loop Header: Depth=1
	s_sethalt 5
	s_branch .LBB65_1349
.LBB65_1350:
	s_or_saveexec_b32 s4, s4
                                        ; implicit-def: $sgpr5
	s_delay_alu instid0(SALU_CYCLE_1)
	s_xor_b32 exec_lo, exec_lo, s4
	s_cbranch_execz .LBB65_1019
.LBB65_1351:
	v_add_f32_e64 v2, 0x42800000, |v0|
	s_and_not1_b32 s3, s3, exec_lo
	s_mov_b32 s5, 0
	s_delay_alu instid0(VALU_DEP_1) | instskip(NEXT) | instid1(VALU_DEP_1)
	v_and_b32_e32 v2, 0xff, v2
	v_cmp_ne_u32_e32 vcc_lo, 0, v2
	s_and_b32 s6, vcc_lo, exec_lo
	s_delay_alu instid0(SALU_CYCLE_1)
	s_or_b32 s3, s3, s6
	s_or_b32 exec_lo, exec_lo, s4
	v_mov_b32_e32 v6, s5
	s_and_saveexec_b32 s4, s3
	s_cbranch_execnz .LBB65_1020
	s_branch .LBB65_1021
.LBB65_1352:
	s_mov_b32 s1, -1
.LBB65_1353:
                                        ; implicit-def: $vgpr18
.LBB65_1354:
	s_and_b32 vcc_lo, exec_lo, s4
	s_cbranch_vccz .LBB65_1359
; %bb.1355:
	v_cmp_eq_u16_e32 vcc_lo, 44, v7
	s_cbranch_vccz .LBB65_1357
; %bb.1356:
	global_load_u8 v6, v[4:5], off
	s_mov_b32 s1, 0
	s_mov_b32 s3, -1
	s_waitcnt vmcnt(0)
	v_lshlrev_b32_e32 v8, 23, v6
	v_cmp_ne_u32_e32 vcc_lo, 0xff, v6
	s_delay_alu instid0(VALU_DEP_2) | instskip(SKIP_1) | instid1(VALU_DEP_2)
	v_cndmask_b32_e32 v8, 0x7f800001, v8, vcc_lo
	v_cmp_ne_u32_e32 vcc_lo, 0, v6
	v_cndmask_b32_e32 v17, 0x400000, v8, vcc_lo
	s_branch .LBB65_1358
.LBB65_1357:
	s_mov_b32 s1, -1
                                        ; implicit-def: $vgpr17
.LBB65_1358:
	s_delay_alu instid0(SALU_CYCLE_1)
	v_mov_b32_e32 v18, s1
.LBB65_1359:
	s_mov_b32 s4, 0
.LBB65_1360:
	s_delay_alu instid0(SALU_CYCLE_1)
	s_and_b32 vcc_lo, exec_lo, s4
	s_cbranch_vccz .LBB65_1365
; %bb.1361:
	v_cmp_eq_u16_e32 vcc_lo, 29, v7
	s_cbranch_vccz .LBB65_1363
; %bb.1362:
	global_load_b64 v[8:9], v[4:5], off
	s_mov_b32 s1, 0
	s_mov_b32 s3, -1
	s_mov_b32 s4, 0
	s_waitcnt vmcnt(0)
	v_clz_i32_u32_e32 v6, v9
	s_delay_alu instid0(VALU_DEP_1) | instskip(NEXT) | instid1(VALU_DEP_1)
	v_min_u32_e32 v6, 32, v6
	v_lshlrev_b64 v[8:9], v6, v[8:9]
	v_sub_nc_u32_e32 v6, 32, v6
	s_delay_alu instid0(VALU_DEP_2) | instskip(NEXT) | instid1(VALU_DEP_1)
	v_min_u32_e32 v8, 1, v8
	v_or_b32_e32 v8, v9, v8
	s_delay_alu instid0(VALU_DEP_1) | instskip(NEXT) | instid1(VALU_DEP_1)
	v_cvt_f32_u32_e32 v8, v8
	v_ldexp_f32 v17, v8, v6
	s_branch .LBB65_1364
.LBB65_1363:
	s_mov_b32 s1, -1
                                        ; implicit-def: $sgpr4
                                        ; implicit-def: $vgpr17
.LBB65_1364:
	v_mov_b32_e32 v18, s4
.LBB65_1365:
	s_mov_b32 s4, 0
.LBB65_1366:
	s_delay_alu instid0(SALU_CYCLE_1)
	s_and_b32 vcc_lo, exec_lo, s4
	s_cbranch_vccz .LBB65_1386
; %bb.1367:
	v_cmp_gt_i16_e32 vcc_lo, 27, v7
	s_cbranch_vccnz .LBB65_1370
; %bb.1368:
	v_cmp_lt_i16_e32 vcc_lo, 27, v7
	s_cbranch_vccz .LBB65_1371
; %bb.1369:
	global_load_b32 v6, v[4:5], off
	s_mov_b32 s4, 0
	s_mov_b32 s3, 0
	s_waitcnt vmcnt(0)
	v_cvt_f32_u32_e32 v17, v6
	s_branch .LBB65_1372
.LBB65_1370:
	s_mov_b32 s4, -1
                                        ; implicit-def: $sgpr3
                                        ; implicit-def: $vgpr17
	s_branch .LBB65_1375
.LBB65_1371:
	s_mov_b32 s4, -1
                                        ; implicit-def: $sgpr3
                                        ; implicit-def: $vgpr17
.LBB65_1372:
	s_delay_alu instid0(SALU_CYCLE_1)
	s_and_not1_b32 vcc_lo, exec_lo, s4
	s_cbranch_vccnz .LBB65_1374
; %bb.1373:
	global_load_u16 v6, v[4:5], off
	s_mov_b32 s3, 0
	s_waitcnt vmcnt(0)
	v_cvt_f32_u32_e32 v17, v6
.LBB65_1374:
	s_mov_b32 s4, 0
.LBB65_1375:
	v_mov_b32_e32 v18, s3
	s_and_not1_b32 vcc_lo, exec_lo, s4
	s_cbranch_vccnz .LBB65_1385
; %bb.1376:
	global_load_u8 v6, v[4:5], off
	s_mov_b32 s3, 0
	s_mov_b32 s6, exec_lo
                                        ; implicit-def: $sgpr5
                                        ; implicit-def: $sgpr4
	s_waitcnt vmcnt(0)
	v_cmpx_lt_i16_e32 0x7f, v6
	s_xor_b32 s6, exec_lo, s6
	s_cbranch_execz .LBB65_1380
; %bb.1377:
	s_mov_b32 s3, -1
	s_mov_b32 s7, exec_lo
                                        ; implicit-def: $sgpr5
                                        ; implicit-def: $sgpr4
	v_cmpx_eq_u16_e32 0x80, v6
; %bb.1378:
	s_mov_b32 s4, 0x7f800001
	s_mov_b32 s5, 0
	s_xor_b32 s3, exec_lo, -1
; %bb.1379:
	s_or_b32 exec_lo, exec_lo, s7
	s_delay_alu instid0(SALU_CYCLE_1)
	s_and_b32 s3, s3, exec_lo
.LBB65_1380:
	s_or_saveexec_b32 s6, s6
	v_dual_mov_b32 v18, s5 :: v_dual_mov_b32 v17, s4
	s_xor_b32 exec_lo, exec_lo, s6
; %bb.1381:
	v_mov_b32_e32 v18, 0
	v_cmp_ne_u16_e32 vcc_lo, 0, v6
	s_and_not1_b32 s3, s3, exec_lo
	s_delay_alu instid0(VALU_DEP_2) | instskip(SKIP_1) | instid1(SALU_CYCLE_1)
	v_mov_b32_e32 v17, v18
	s_and_b32 s4, vcc_lo, exec_lo
	s_or_b32 s3, s3, s4
; %bb.1382:
	s_or_b32 exec_lo, exec_lo, s6
	s_and_saveexec_b32 s4, s3
	s_cbranch_execz .LBB65_1384
; %bb.1383:
	v_and_b32_e32 v8, 0xffff, v6
	v_lshlrev_b32_e32 v6, 24, v6
	s_delay_alu instid0(VALU_DEP_2) | instskip(NEXT) | instid1(VALU_DEP_2)
	v_dual_mov_b32 v18, 0 :: v_dual_and_b32 v9, 7, v8
	v_and_b32_e32 v6, 0x80000000, v6
	s_delay_alu instid0(VALU_DEP_2) | instskip(NEXT) | instid1(VALU_DEP_1)
	v_clz_i32_u32_e32 v10, v9
	v_min_u32_e32 v10, 32, v10
	s_delay_alu instid0(VALU_DEP_1) | instskip(SKIP_1) | instid1(VALU_DEP_2)
	v_subrev_nc_u32_e32 v11, 28, v10
	v_sub_nc_u32_e32 v10, 29, v10
	v_lshlrev_b32_e32 v11, v11, v8
	v_bfe_u32 v8, v8, 3, 4
	s_delay_alu instid0(VALU_DEP_2) | instskip(NEXT) | instid1(VALU_DEP_2)
	v_and_b32_e32 v11, 7, v11
	v_cmp_eq_u32_e32 vcc_lo, 0, v8
	s_delay_alu instid0(VALU_DEP_2) | instskip(NEXT) | instid1(VALU_DEP_1)
	v_dual_cndmask_b32 v8, v8, v10 :: v_dual_cndmask_b32 v9, v9, v11
	v_lshl_add_u32 v8, v8, 23, 0x3b800000
	s_delay_alu instid0(VALU_DEP_2) | instskip(NEXT) | instid1(VALU_DEP_1)
	v_lshlrev_b32_e32 v9, 20, v9
	v_or3_b32 v17, v6, v8, v9
.LBB65_1384:
	s_or_b32 exec_lo, exec_lo, s4
.LBB65_1385:
	s_mov_b32 s3, -1
.LBB65_1386:
	s_branch .LBB65_1418
.LBB65_1387:
	v_cmp_lt_i16_e32 vcc_lo, 22, v7
	s_cbranch_vccz .LBB65_1399
; %bb.1388:
	v_cmp_gt_i16_e32 vcc_lo, 24, v7
	s_cbranch_vccnz .LBB65_1400
; %bb.1389:
	v_cmp_lt_i16_e32 vcc_lo, 24, v7
	s_cbranch_vccz .LBB65_1401
; %bb.1390:
	global_load_u8 v6, v[4:5], off
	s_mov_b32 s5, exec_lo
                                        ; implicit-def: $sgpr4
                                        ; implicit-def: $sgpr3
	s_waitcnt vmcnt(0)
	v_cmpx_lt_i16_e32 0x7f, v6
	s_xor_b32 s5, exec_lo, s5
	s_cbranch_execz .LBB65_1394
; %bb.1391:
	s_mov_b32 s2, -1
	s_mov_b32 s6, exec_lo
                                        ; implicit-def: $sgpr4
                                        ; implicit-def: $sgpr3
	v_cmpx_eq_u16_e32 0x80, v6
; %bb.1392:
	s_mov_b32 s3, 0x7f800001
	s_mov_b32 s4, 0
	s_xor_b32 s2, exec_lo, -1
; %bb.1393:
	s_or_b32 exec_lo, exec_lo, s6
	s_delay_alu instid0(SALU_CYCLE_1)
	s_and_b32 s2, s2, exec_lo
.LBB65_1394:
	s_or_saveexec_b32 s5, s5
	v_dual_mov_b32 v18, s4 :: v_dual_mov_b32 v17, s3
	s_xor_b32 exec_lo, exec_lo, s5
; %bb.1395:
	v_mov_b32_e32 v18, 0
	v_cmp_ne_u16_e32 vcc_lo, 0, v6
	s_and_not1_b32 s2, s2, exec_lo
	s_delay_alu instid0(VALU_DEP_2) | instskip(SKIP_1) | instid1(SALU_CYCLE_1)
	v_mov_b32_e32 v17, v18
	s_and_b32 s3, vcc_lo, exec_lo
	s_or_b32 s2, s2, s3
; %bb.1396:
	s_or_b32 exec_lo, exec_lo, s5
	s_and_saveexec_b32 s3, s2
	s_cbranch_execz .LBB65_1398
; %bb.1397:
	v_and_b32_e32 v8, 0xffff, v6
	v_lshlrev_b32_e32 v6, 24, v6
	s_delay_alu instid0(VALU_DEP_2) | instskip(NEXT) | instid1(VALU_DEP_2)
	v_dual_mov_b32 v18, 0 :: v_dual_and_b32 v9, 3, v8
	v_and_b32_e32 v6, 0x80000000, v6
	s_delay_alu instid0(VALU_DEP_2) | instskip(NEXT) | instid1(VALU_DEP_1)
	v_clz_i32_u32_e32 v10, v9
	v_min_u32_e32 v10, 32, v10
	s_delay_alu instid0(VALU_DEP_1) | instskip(SKIP_1) | instid1(VALU_DEP_2)
	v_subrev_nc_u32_e32 v11, 29, v10
	v_sub_nc_u32_e32 v10, 30, v10
	v_lshlrev_b32_e32 v11, v11, v8
	v_bfe_u32 v8, v8, 2, 5
	s_delay_alu instid0(VALU_DEP_2) | instskip(NEXT) | instid1(VALU_DEP_2)
	v_and_b32_e32 v11, 3, v11
	v_cmp_eq_u32_e32 vcc_lo, 0, v8
	s_delay_alu instid0(VALU_DEP_2) | instskip(NEXT) | instid1(VALU_DEP_1)
	v_dual_cndmask_b32 v8, v8, v10 :: v_dual_cndmask_b32 v9, v9, v11
	v_lshl_add_u32 v8, v8, 23, 0x37800000
	s_delay_alu instid0(VALU_DEP_2) | instskip(NEXT) | instid1(VALU_DEP_1)
	v_lshlrev_b32_e32 v9, 21, v9
	v_or3_b32 v17, v6, v8, v9
.LBB65_1398:
	s_or_b32 exec_lo, exec_lo, s3
	s_mov_b32 s2, 0
	s_branch .LBB65_1402
.LBB65_1399:
	s_mov_b32 s2, -1
                                        ; implicit-def: $vgpr18
	s_branch .LBB65_1408
.LBB65_1400:
	s_mov_b32 s2, -1
                                        ; implicit-def: $vgpr18
	s_branch .LBB65_1405
.LBB65_1401:
	s_mov_b32 s2, -1
                                        ; implicit-def: $vgpr18
.LBB65_1402:
	s_delay_alu instid0(SALU_CYCLE_1)
	s_and_b32 vcc_lo, exec_lo, s2
	s_cbranch_vccz .LBB65_1404
; %bb.1403:
	global_load_u8 v6, v[4:5], off
	v_mov_b32_e32 v18, 0
	s_waitcnt vmcnt(0)
	v_lshlrev_b32_e32 v6, 24, v6
	s_delay_alu instid0(VALU_DEP_1) | instskip(NEXT) | instid1(VALU_DEP_1)
	v_and_b32_e32 v8, 0x7f000000, v6
	v_clz_i32_u32_e32 v9, v8
	v_cmp_ne_u32_e32 vcc_lo, 0, v8
	v_add_nc_u32_e32 v11, 0x1000000, v8
	s_delay_alu instid0(VALU_DEP_3) | instskip(NEXT) | instid1(VALU_DEP_1)
	v_min_u32_e32 v9, 32, v9
	v_sub_nc_u32_e64 v9, v9, 4 clamp
	s_delay_alu instid0(VALU_DEP_1) | instskip(SKIP_1) | instid1(VALU_DEP_2)
	v_lshlrev_b32_e32 v10, v9, v8
	v_lshlrev_b32_e32 v9, 23, v9
	v_lshrrev_b32_e32 v10, 4, v10
	s_delay_alu instid0(VALU_DEP_1) | instskip(SKIP_1) | instid1(VALU_DEP_2)
	v_sub_nc_u32_e32 v9, v10, v9
	v_ashrrev_i32_e32 v10, 8, v11
	v_add_nc_u32_e32 v9, 0x3c000000, v9
	s_delay_alu instid0(VALU_DEP_1) | instskip(NEXT) | instid1(VALU_DEP_1)
	v_and_or_b32 v9, 0x7f800000, v10, v9
	v_cndmask_b32_e32 v8, 0, v9, vcc_lo
	s_delay_alu instid0(VALU_DEP_1)
	v_and_or_b32 v17, 0x80000000, v6, v8
.LBB65_1404:
	s_mov_b32 s2, 0
.LBB65_1405:
	s_delay_alu instid0(SALU_CYCLE_1)
	s_and_not1_b32 vcc_lo, exec_lo, s2
	s_cbranch_vccnz .LBB65_1407
; %bb.1406:
	global_load_u8 v6, v[4:5], off
	v_mov_b32_e32 v18, 0
	s_waitcnt vmcnt(0)
	v_lshlrev_b32_e32 v8, 25, v6
	v_lshlrev_b16 v6, 8, v6
	s_delay_alu instid0(VALU_DEP_2) | instskip(NEXT) | instid1(VALU_DEP_2)
	v_lshrrev_b32_e32 v9, 4, v8
	v_and_or_b32 v10, 0x7f00, v6, 0.5
	v_bfe_i32 v6, v6, 0, 16
	s_delay_alu instid0(VALU_DEP_3) | instskip(NEXT) | instid1(VALU_DEP_1)
	v_or_b32_e32 v9, 0x70000000, v9
	v_dual_add_f32 v10, -0.5, v10 :: v_dual_mul_f32 v9, 0x7800000, v9
	v_cmp_gt_u32_e32 vcc_lo, 0x8000000, v8
	s_delay_alu instid0(VALU_DEP_2) | instskip(NEXT) | instid1(VALU_DEP_1)
	v_cndmask_b32_e32 v8, v9, v10, vcc_lo
	v_and_or_b32 v17, 0x80000000, v6, v8
.LBB65_1407:
	s_mov_b32 s2, 0
	s_mov_b32 s3, -1
.LBB65_1408:
	s_and_not1_b32 vcc_lo, exec_lo, s2
	s_mov_b32 s2, 0
	s_cbranch_vccnz .LBB65_1418
; %bb.1409:
	v_cmp_lt_i16_e32 vcc_lo, 14, v7
	s_cbranch_vccz .LBB65_1412
; %bb.1410:
	v_cmp_eq_u16_e32 vcc_lo, 15, v7
	s_cbranch_vccz .LBB65_1413
; %bb.1411:
	global_load_u16 v6, v[4:5], off
	s_mov_b32 s1, 0
	s_mov_b32 s3, -1
	s_mov_b32 s4, 0
	s_waitcnt vmcnt(0)
	v_lshlrev_b32_e32 v17, 16, v6
	s_branch .LBB65_1415
.LBB65_1412:
	s_mov_b32 s2, -1
	s_branch .LBB65_1414
.LBB65_1413:
	s_mov_b32 s1, -1
.LBB65_1414:
                                        ; implicit-def: $sgpr4
                                        ; implicit-def: $vgpr17
.LBB65_1415:
	s_and_b32 vcc_lo, exec_lo, s2
	s_mov_b32 s2, 0
	s_cbranch_vccz .LBB65_1417
; %bb.1416:
	v_cmp_ne_u16_e64 s1, 11, v7
	s_mov_b32 s2, -1
                                        ; implicit-def: $sgpr4
                                        ; implicit-def: $vgpr17
.LBB65_1417:
	v_mov_b32_e32 v18, s4
.LBB65_1418:
	s_delay_alu instid0(VALU_DEP_2)
	s_and_b32 vcc_lo, exec_lo, s1
	s_cbranch_vccnz .LBB65_1442
; %bb.1419:
	s_and_not1_b32 vcc_lo, exec_lo, s2
	s_cbranch_vccnz .LBB65_1421
.LBB65_1420:
	global_load_u8 v6, v[4:5], off
	v_mov_b32_e32 v18, 0
	s_mov_b32 s3, -1
	s_waitcnt vmcnt(0)
	v_cmp_ne_u16_e32 vcc_lo, 0, v6
	v_cndmask_b32_e64 v17, 0, 1.0, vcc_lo
.LBB65_1421:
.LBB65_1422:
	s_and_not1_b32 vcc_lo, exec_lo, s3
	s_cbranch_vccnz .LBB65_2130
.LBB65_1423:
	v_cmp_gt_i16_e32 vcc_lo, 11, v7
	v_add_co_u32 v3, s1, s14, v3
	s_delay_alu instid0(VALU_DEP_1)
	v_add_co_ci_u32_e64 v4, null, s15, 0, s1
	s_mov_b32 s3, 0
	s_cbranch_vccnz .LBB65_1430
; %bb.1424:
	v_cmp_lt_i16_e32 vcc_lo, 25, v7
	s_mov_b32 s2, 0
	s_cbranch_vccz .LBB65_1436
; %bb.1425:
	v_cmp_lt_i16_e32 vcc_lo, 28, v7
	s_cbranch_vccz .LBB65_1438
; %bb.1426:
	v_cmp_lt_i16_e32 vcc_lo, 43, v7
	s_cbranch_vccz .LBB65_1440
; %bb.1427:
	v_cmp_lt_i16_e32 vcc_lo, 45, v7
	s_cbranch_vccz .LBB65_1444
; %bb.1428:
	v_cmp_eq_u16_e32 vcc_lo, 46, v7
	s_mov_b32 s4, 0
	s_cbranch_vccz .LBB65_1489
; %bb.1429:
	global_load_b32 v5, v[3:4], off
	s_mov_b32 s1, 0
	s_mov_b32 s3, -1
	s_waitcnt vmcnt(0)
	v_and_b32_e32 v20, 0xffff0000, v5
	v_lshlrev_b32_e32 v19, 16, v5
	s_branch .LBB65_1491
.LBB65_1430:
                                        ; implicit-def: $vgpr20
	s_cbranch_execz .LBB65_1560
; %bb.1431:
	v_cmp_gt_i16_e32 vcc_lo, 5, v7
	s_cbranch_vccnz .LBB65_1437
; %bb.1432:
	v_cmp_gt_i16_e32 vcc_lo, 8, v7
	s_cbranch_vccnz .LBB65_1439
	;; [unrolled: 3-line block ×3, first 2 shown]
; %bb.1434:
	v_cmp_lt_i16_e32 vcc_lo, 9, v7
	s_cbranch_vccz .LBB65_1445
; %bb.1435:
	global_load_b128 v[8:11], v[3:4], off
	s_mov_b32 s1, 0
	s_waitcnt vmcnt(0)
	v_cvt_f32_f64_e32 v19, v[8:9]
	v_cvt_f32_f64_e32 v20, v[10:11]
	s_branch .LBB65_1446
.LBB65_1436:
	s_mov_b32 s4, -1
	s_mov_b32 s1, 0
                                        ; implicit-def: $vgpr20
	s_branch .LBB65_1524
.LBB65_1437:
	s_mov_b32 s1, -1
                                        ; implicit-def: $vgpr20
	s_branch .LBB65_1465
.LBB65_1438:
	s_mov_b32 s4, -1
	s_mov_b32 s1, 0
                                        ; implicit-def: $vgpr20
	s_branch .LBB65_1503
.LBB65_1439:
	s_mov_b32 s1, -1
                                        ; implicit-def: $vgpr20
	s_branch .LBB65_1452
.LBB65_1440:
	s_mov_b32 s4, -1
	s_mov_b32 s1, 0
                                        ; implicit-def: $vgpr20
	s_branch .LBB65_1497
.LBB65_1441:
	s_mov_b32 s1, -1
                                        ; implicit-def: $vgpr20
	s_branch .LBB65_1449
.LBB65_1442:
	s_cbranch_execnz .LBB65_1487
; %bb.1443:
	s_or_b32 s9, s9, exec_lo
                                        ; implicit-def: $vgpr18
	s_cbranch_execz .LBB65_1420
	s_branch .LBB65_1421
.LBB65_1444:
	s_mov_b32 s4, -1
	s_mov_b32 s1, 0
	s_branch .LBB65_1490
.LBB65_1445:
	s_mov_b32 s1, -1
                                        ; implicit-def: $vgpr20
.LBB65_1446:
	s_delay_alu instid0(SALU_CYCLE_1)
	s_and_not1_b32 vcc_lo, exec_lo, s1
	s_cbranch_vccnz .LBB65_1448
; %bb.1447:
	global_load_b64 v[19:20], v[3:4], off
.LBB65_1448:
	s_mov_b32 s1, 0
.LBB65_1449:
	s_delay_alu instid0(SALU_CYCLE_1)
	s_and_not1_b32 vcc_lo, exec_lo, s1
	s_cbranch_vccnz .LBB65_1451
; %bb.1450:
	global_load_b32 v5, v[3:4], off
	s_waitcnt vmcnt(0)
	v_lshrrev_b32_e32 v6, 16, v5
	v_cvt_f32_f16_e32 v19, v5
	s_delay_alu instid0(VALU_DEP_2)
	v_cvt_f32_f16_e32 v20, v6
.LBB65_1451:
	s_mov_b32 s1, 0
.LBB65_1452:
	s_delay_alu instid0(SALU_CYCLE_1)
	s_and_not1_b32 vcc_lo, exec_lo, s1
	s_cbranch_vccnz .LBB65_1464
; %bb.1453:
	v_cmp_gt_i16_e32 vcc_lo, 6, v7
	s_cbranch_vccnz .LBB65_1456
; %bb.1454:
	v_cmp_lt_i16_e32 vcc_lo, 6, v7
	s_cbranch_vccz .LBB65_1457
; %bb.1455:
	global_load_b64 v[5:6], v[3:4], off
	s_mov_b32 s2, 0
	s_mov_b32 s1, 0
	s_waitcnt vmcnt(0)
	v_cvt_f32_f64_e32 v19, v[5:6]
	s_branch .LBB65_1458
.LBB65_1456:
	s_mov_b32 s2, -1
                                        ; implicit-def: $sgpr1
                                        ; implicit-def: $vgpr19
	s_branch .LBB65_1461
.LBB65_1457:
	s_mov_b32 s2, -1
                                        ; implicit-def: $sgpr1
                                        ; implicit-def: $vgpr19
.LBB65_1458:
	s_delay_alu instid0(SALU_CYCLE_1)
	s_and_not1_b32 vcc_lo, exec_lo, s2
	s_cbranch_vccnz .LBB65_1460
; %bb.1459:
	global_load_b32 v19, v[3:4], off
	s_mov_b32 s1, 0
.LBB65_1460:
	s_mov_b32 s2, 0
.LBB65_1461:
	s_delay_alu instid0(SALU_CYCLE_1)
	s_and_not1_b32 vcc_lo, exec_lo, s2
	s_cbranch_vccnz .LBB65_1463
; %bb.1462:
	global_load_u16 v5, v[3:4], off
	s_mov_b32 s1, 0
	s_waitcnt vmcnt(0)
	v_cvt_f32_f16_e32 v19, v5
.LBB65_1463:
	s_waitcnt vmcnt(0)
	v_mov_b32_e32 v20, s1
.LBB65_1464:
	s_mov_b32 s1, 0
.LBB65_1465:
	s_delay_alu instid0(SALU_CYCLE_1)
	s_and_not1_b32 vcc_lo, exec_lo, s1
	s_cbranch_vccnz .LBB65_1486
; %bb.1466:
	v_cmp_gt_i16_e32 vcc_lo, 2, v7
	s_cbranch_vccnz .LBB65_1470
; %bb.1467:
	v_cmp_gt_i16_e32 vcc_lo, 3, v7
	s_cbranch_vccnz .LBB65_1471
; %bb.1468:
	v_cmp_lt_i16_e32 vcc_lo, 3, v7
	s_cbranch_vccz .LBB65_1472
; %bb.1469:
	global_load_b64 v[5:6], v[3:4], off
	s_mov_b32 s2, 0
	s_mov_b32 s1, 0
	s_waitcnt vmcnt(0)
	v_xor_b32_e32 v8, v5, v6
	v_cls_i32_e32 v9, v6
	s_delay_alu instid0(VALU_DEP_2) | instskip(NEXT) | instid1(VALU_DEP_2)
	v_ashrrev_i32_e32 v8, 31, v8
	v_add_nc_u32_e32 v9, -1, v9
	s_delay_alu instid0(VALU_DEP_2) | instskip(NEXT) | instid1(VALU_DEP_1)
	v_add_nc_u32_e32 v8, 32, v8
	v_min_u32_e32 v8, v9, v8
	s_delay_alu instid0(VALU_DEP_1) | instskip(NEXT) | instid1(VALU_DEP_1)
	v_lshlrev_b64 v[5:6], v8, v[5:6]
	v_min_u32_e32 v5, 1, v5
	s_delay_alu instid0(VALU_DEP_1) | instskip(SKIP_1) | instid1(VALU_DEP_2)
	v_or_b32_e32 v5, v6, v5
	v_sub_nc_u32_e32 v6, 32, v8
	v_cvt_f32_i32_e32 v5, v5
	s_delay_alu instid0(VALU_DEP_1)
	v_ldexp_f32 v19, v5, v6
	s_branch .LBB65_1473
.LBB65_1470:
	s_mov_b32 s2, -1
                                        ; implicit-def: $sgpr1
                                        ; implicit-def: $vgpr19
	s_branch .LBB65_1479
.LBB65_1471:
	s_mov_b32 s2, -1
                                        ; implicit-def: $sgpr1
                                        ; implicit-def: $vgpr19
	s_branch .LBB65_1476
.LBB65_1472:
	s_mov_b32 s2, -1
                                        ; implicit-def: $sgpr1
                                        ; implicit-def: $vgpr19
.LBB65_1473:
	s_delay_alu instid0(SALU_CYCLE_1)
	s_and_not1_b32 vcc_lo, exec_lo, s2
	s_cbranch_vccnz .LBB65_1475
; %bb.1474:
	global_load_b32 v5, v[3:4], off
	s_mov_b32 s1, 0
	s_waitcnt vmcnt(0)
	v_cvt_f32_i32_e32 v19, v5
.LBB65_1475:
	s_mov_b32 s2, 0
.LBB65_1476:
	s_delay_alu instid0(SALU_CYCLE_1)
	s_and_not1_b32 vcc_lo, exec_lo, s2
	s_cbranch_vccnz .LBB65_1478
; %bb.1477:
	global_load_i16 v5, v[3:4], off
	s_mov_b32 s1, 0
	s_waitcnt vmcnt(0)
	v_cvt_f32_i32_e32 v19, v5
.LBB65_1478:
	s_mov_b32 s2, 0
.LBB65_1479:
	s_delay_alu instid0(SALU_CYCLE_1)
	s_and_not1_b32 vcc_lo, exec_lo, s2
	s_cbranch_vccnz .LBB65_1485
; %bb.1480:
	v_cmp_lt_i16_e32 vcc_lo, 0, v7
	s_mov_b32 s2, 0
	s_cbranch_vccz .LBB65_1482
; %bb.1481:
	global_load_i8 v5, v[3:4], off
	s_mov_b32 s1, 0
	s_waitcnt vmcnt(0)
	v_cvt_f32_i32_e32 v19, v5
	s_branch .LBB65_1483
.LBB65_1482:
	s_mov_b32 s2, -1
                                        ; implicit-def: $sgpr1
                                        ; implicit-def: $vgpr19
.LBB65_1483:
	s_delay_alu instid0(SALU_CYCLE_1)
	s_and_not1_b32 vcc_lo, exec_lo, s2
	s_cbranch_vccnz .LBB65_1485
; %bb.1484:
	global_load_u8 v3, v[3:4], off
	s_mov_b32 s1, 0
	s_waitcnt vmcnt(0)
	v_cvt_f32_ubyte0_e32 v19, v3
.LBB65_1485:
	s_waitcnt vmcnt(0)
	v_mov_b32_e32 v20, s1
.LBB65_1486:
	s_branch .LBB65_1561
.LBB65_1487:
	s_trap 2
	s_sendmsg_rtn_b32 s0, sendmsg(MSG_RTN_GET_DOORBELL)
	s_mov_b32 ttmp2, m0
	s_waitcnt lgkmcnt(0)
	s_and_b32 s0, s0, 0x3ff
	s_delay_alu instid0(SALU_CYCLE_1) | instskip(NEXT) | instid1(SALU_CYCLE_1)
	s_bitset1_b32 s0, 10
	s_mov_b32 m0, s0
	s_sendmsg sendmsg(MSG_INTERRUPT)
	s_mov_b32 m0, ttmp2
.LBB65_1488:                            ; =>This Inner Loop Header: Depth=1
	s_sethalt 5
	s_branch .LBB65_1488
.LBB65_1489:
	s_mov_b32 s1, -1
.LBB65_1490:
                                        ; implicit-def: $vgpr20
.LBB65_1491:
	s_and_b32 vcc_lo, exec_lo, s4
	s_cbranch_vccz .LBB65_1496
; %bb.1492:
	v_cmp_eq_u16_e32 vcc_lo, 44, v7
	s_cbranch_vccz .LBB65_1494
; %bb.1493:
	global_load_u8 v5, v[3:4], off
	s_mov_b32 s1, 0
	s_mov_b32 s3, -1
	s_waitcnt vmcnt(0)
	v_lshlrev_b32_e32 v6, 23, v5
	v_cmp_ne_u32_e32 vcc_lo, 0xff, v5
	s_delay_alu instid0(VALU_DEP_2) | instskip(SKIP_1) | instid1(VALU_DEP_2)
	v_cndmask_b32_e32 v6, 0x7f800001, v6, vcc_lo
	v_cmp_ne_u32_e32 vcc_lo, 0, v5
	v_cndmask_b32_e32 v19, 0x400000, v6, vcc_lo
	s_branch .LBB65_1495
.LBB65_1494:
	s_mov_b32 s1, -1
                                        ; implicit-def: $vgpr19
.LBB65_1495:
	s_delay_alu instid0(SALU_CYCLE_1)
	v_mov_b32_e32 v20, s1
.LBB65_1496:
	s_mov_b32 s4, 0
.LBB65_1497:
	s_delay_alu instid0(SALU_CYCLE_1)
	s_and_b32 vcc_lo, exec_lo, s4
	s_cbranch_vccz .LBB65_1502
; %bb.1498:
	v_cmp_eq_u16_e32 vcc_lo, 29, v7
	s_cbranch_vccz .LBB65_1500
; %bb.1499:
	global_load_b64 v[5:6], v[3:4], off
	s_mov_b32 s1, 0
	s_mov_b32 s3, -1
	s_mov_b32 s4, 0
	s_waitcnt vmcnt(0)
	v_clz_i32_u32_e32 v8, v6
	s_delay_alu instid0(VALU_DEP_1) | instskip(NEXT) | instid1(VALU_DEP_1)
	v_min_u32_e32 v8, 32, v8
	v_lshlrev_b64 v[5:6], v8, v[5:6]
	s_delay_alu instid0(VALU_DEP_1) | instskip(NEXT) | instid1(VALU_DEP_1)
	v_min_u32_e32 v5, 1, v5
	v_or_b32_e32 v5, v6, v5
	v_sub_nc_u32_e32 v6, 32, v8
	s_delay_alu instid0(VALU_DEP_2) | instskip(NEXT) | instid1(VALU_DEP_1)
	v_cvt_f32_u32_e32 v5, v5
	v_ldexp_f32 v19, v5, v6
	s_branch .LBB65_1501
.LBB65_1500:
	s_mov_b32 s1, -1
                                        ; implicit-def: $sgpr4
                                        ; implicit-def: $vgpr19
.LBB65_1501:
	v_mov_b32_e32 v20, s4
.LBB65_1502:
	s_mov_b32 s4, 0
.LBB65_1503:
	s_delay_alu instid0(SALU_CYCLE_1)
	s_and_b32 vcc_lo, exec_lo, s4
	s_cbranch_vccz .LBB65_1523
; %bb.1504:
	v_cmp_gt_i16_e32 vcc_lo, 27, v7
	s_cbranch_vccnz .LBB65_1507
; %bb.1505:
	v_cmp_lt_i16_e32 vcc_lo, 27, v7
	s_cbranch_vccz .LBB65_1508
; %bb.1506:
	global_load_b32 v5, v[3:4], off
	s_mov_b32 s4, 0
	s_mov_b32 s3, 0
	s_waitcnt vmcnt(0)
	v_cvt_f32_u32_e32 v19, v5
	s_branch .LBB65_1509
.LBB65_1507:
	s_mov_b32 s4, -1
                                        ; implicit-def: $sgpr3
                                        ; implicit-def: $vgpr19
	s_branch .LBB65_1512
.LBB65_1508:
	s_mov_b32 s4, -1
                                        ; implicit-def: $sgpr3
                                        ; implicit-def: $vgpr19
.LBB65_1509:
	s_delay_alu instid0(SALU_CYCLE_1)
	s_and_not1_b32 vcc_lo, exec_lo, s4
	s_cbranch_vccnz .LBB65_1511
; %bb.1510:
	global_load_u16 v5, v[3:4], off
	s_mov_b32 s3, 0
	s_waitcnt vmcnt(0)
	v_cvt_f32_u32_e32 v19, v5
.LBB65_1511:
	s_mov_b32 s4, 0
.LBB65_1512:
	v_mov_b32_e32 v20, s3
	s_and_not1_b32 vcc_lo, exec_lo, s4
	s_cbranch_vccnz .LBB65_1522
; %bb.1513:
	global_load_u8 v5, v[3:4], off
	s_mov_b32 s3, 0
	s_mov_b32 s6, exec_lo
                                        ; implicit-def: $sgpr5
                                        ; implicit-def: $sgpr4
	s_waitcnt vmcnt(0)
	v_cmpx_lt_i16_e32 0x7f, v5
	s_xor_b32 s6, exec_lo, s6
	s_cbranch_execz .LBB65_1517
; %bb.1514:
	s_mov_b32 s3, -1
	s_mov_b32 s7, exec_lo
                                        ; implicit-def: $sgpr5
                                        ; implicit-def: $sgpr4
	v_cmpx_eq_u16_e32 0x80, v5
; %bb.1515:
	s_mov_b32 s4, 0x7f800001
	s_mov_b32 s5, 0
	s_xor_b32 s3, exec_lo, -1
; %bb.1516:
	s_or_b32 exec_lo, exec_lo, s7
	s_delay_alu instid0(SALU_CYCLE_1)
	s_and_b32 s3, s3, exec_lo
.LBB65_1517:
	s_or_saveexec_b32 s6, s6
	v_dual_mov_b32 v20, s5 :: v_dual_mov_b32 v19, s4
	s_xor_b32 exec_lo, exec_lo, s6
; %bb.1518:
	v_mov_b32_e32 v20, 0
	v_cmp_ne_u16_e32 vcc_lo, 0, v5
	s_and_not1_b32 s3, s3, exec_lo
	s_delay_alu instid0(VALU_DEP_2) | instskip(SKIP_1) | instid1(SALU_CYCLE_1)
	v_mov_b32_e32 v19, v20
	s_and_b32 s4, vcc_lo, exec_lo
	s_or_b32 s3, s3, s4
; %bb.1519:
	s_or_b32 exec_lo, exec_lo, s6
	s_and_saveexec_b32 s4, s3
	s_cbranch_execz .LBB65_1521
; %bb.1520:
	v_and_b32_e32 v6, 0xffff, v5
	v_mov_b32_e32 v20, 0
	s_delay_alu instid0(VALU_DEP_2) | instskip(NEXT) | instid1(VALU_DEP_1)
	v_and_b32_e32 v8, 7, v6
	v_clz_i32_u32_e32 v9, v8
	s_delay_alu instid0(VALU_DEP_1) | instskip(NEXT) | instid1(VALU_DEP_1)
	v_min_u32_e32 v9, 32, v9
	v_subrev_nc_u32_e32 v10, 28, v9
	v_sub_nc_u32_e32 v9, 29, v9
	s_delay_alu instid0(VALU_DEP_2) | instskip(SKIP_1) | instid1(VALU_DEP_2)
	v_lshlrev_b32_e32 v10, v10, v6
	v_bfe_u32 v6, v6, 3, 4
	v_and_b32_e32 v10, 7, v10
	s_delay_alu instid0(VALU_DEP_2) | instskip(NEXT) | instid1(VALU_DEP_2)
	v_cmp_eq_u32_e32 vcc_lo, 0, v6
	v_dual_cndmask_b32 v8, v8, v10 :: v_dual_lshlrev_b32 v5, 24, v5
	v_cndmask_b32_e32 v6, v6, v9, vcc_lo
	s_delay_alu instid0(VALU_DEP_2) | instskip(NEXT) | instid1(VALU_DEP_3)
	v_and_b32_e32 v5, 0x80000000, v5
	v_lshlrev_b32_e32 v8, 20, v8
	s_delay_alu instid0(VALU_DEP_3) | instskip(NEXT) | instid1(VALU_DEP_1)
	v_lshl_add_u32 v6, v6, 23, 0x3b800000
	v_or3_b32 v19, v5, v6, v8
.LBB65_1521:
	s_or_b32 exec_lo, exec_lo, s4
.LBB65_1522:
	s_mov_b32 s3, -1
.LBB65_1523:
	s_mov_b32 s4, 0
.LBB65_1524:
	s_delay_alu instid0(SALU_CYCLE_1)
	s_and_b32 vcc_lo, exec_lo, s4
	s_cbranch_vccz .LBB65_1556
; %bb.1525:
	v_cmp_lt_i16_e32 vcc_lo, 22, v7
	s_cbranch_vccz .LBB65_1537
; %bb.1526:
	v_cmp_gt_i16_e32 vcc_lo, 24, v7
	s_cbranch_vccnz .LBB65_1538
; %bb.1527:
	v_cmp_lt_i16_e32 vcc_lo, 24, v7
	s_cbranch_vccz .LBB65_1539
; %bb.1528:
	global_load_u8 v5, v[3:4], off
	s_mov_b32 s5, exec_lo
                                        ; implicit-def: $sgpr4
                                        ; implicit-def: $sgpr3
	s_waitcnt vmcnt(0)
	v_cmpx_lt_i16_e32 0x7f, v5
	s_xor_b32 s5, exec_lo, s5
	s_cbranch_execz .LBB65_1532
; %bb.1529:
	s_mov_b32 s2, -1
	s_mov_b32 s6, exec_lo
                                        ; implicit-def: $sgpr4
                                        ; implicit-def: $sgpr3
	v_cmpx_eq_u16_e32 0x80, v5
; %bb.1530:
	s_mov_b32 s3, 0x7f800001
	s_mov_b32 s4, 0
	s_xor_b32 s2, exec_lo, -1
; %bb.1531:
	s_or_b32 exec_lo, exec_lo, s6
	s_delay_alu instid0(SALU_CYCLE_1)
	s_and_b32 s2, s2, exec_lo
.LBB65_1532:
	s_or_saveexec_b32 s5, s5
	v_dual_mov_b32 v20, s4 :: v_dual_mov_b32 v19, s3
	s_xor_b32 exec_lo, exec_lo, s5
; %bb.1533:
	v_mov_b32_e32 v20, 0
	v_cmp_ne_u16_e32 vcc_lo, 0, v5
	s_and_not1_b32 s2, s2, exec_lo
	s_delay_alu instid0(VALU_DEP_2) | instskip(SKIP_1) | instid1(SALU_CYCLE_1)
	v_mov_b32_e32 v19, v20
	s_and_b32 s3, vcc_lo, exec_lo
	s_or_b32 s2, s2, s3
; %bb.1534:
	s_or_b32 exec_lo, exec_lo, s5
	s_and_saveexec_b32 s3, s2
	s_cbranch_execz .LBB65_1536
; %bb.1535:
	v_and_b32_e32 v6, 0xffff, v5
	v_mov_b32_e32 v20, 0
	s_delay_alu instid0(VALU_DEP_2) | instskip(NEXT) | instid1(VALU_DEP_1)
	v_and_b32_e32 v8, 3, v6
	v_clz_i32_u32_e32 v9, v8
	s_delay_alu instid0(VALU_DEP_1) | instskip(NEXT) | instid1(VALU_DEP_1)
	v_min_u32_e32 v9, 32, v9
	v_subrev_nc_u32_e32 v10, 29, v9
	v_sub_nc_u32_e32 v9, 30, v9
	s_delay_alu instid0(VALU_DEP_2) | instskip(SKIP_1) | instid1(VALU_DEP_2)
	v_lshlrev_b32_e32 v10, v10, v6
	v_bfe_u32 v6, v6, 2, 5
	v_and_b32_e32 v10, 3, v10
	s_delay_alu instid0(VALU_DEP_2) | instskip(NEXT) | instid1(VALU_DEP_2)
	v_cmp_eq_u32_e32 vcc_lo, 0, v6
	v_dual_cndmask_b32 v8, v8, v10 :: v_dual_lshlrev_b32 v5, 24, v5
	v_cndmask_b32_e32 v6, v6, v9, vcc_lo
	s_delay_alu instid0(VALU_DEP_2) | instskip(NEXT) | instid1(VALU_DEP_3)
	v_and_b32_e32 v5, 0x80000000, v5
	v_lshlrev_b32_e32 v8, 21, v8
	s_delay_alu instid0(VALU_DEP_3) | instskip(NEXT) | instid1(VALU_DEP_1)
	v_lshl_add_u32 v6, v6, 23, 0x37800000
	v_or3_b32 v19, v5, v6, v8
.LBB65_1536:
	s_or_b32 exec_lo, exec_lo, s3
	s_mov_b32 s2, 0
	s_branch .LBB65_1540
.LBB65_1537:
	s_mov_b32 s2, -1
                                        ; implicit-def: $vgpr20
	s_branch .LBB65_1546
.LBB65_1538:
	s_mov_b32 s2, -1
                                        ; implicit-def: $vgpr20
	s_branch .LBB65_1543
.LBB65_1539:
	s_mov_b32 s2, -1
                                        ; implicit-def: $vgpr20
.LBB65_1540:
	s_delay_alu instid0(SALU_CYCLE_1)
	s_and_b32 vcc_lo, exec_lo, s2
	s_cbranch_vccz .LBB65_1542
; %bb.1541:
	global_load_u8 v5, v[3:4], off
	s_waitcnt vmcnt(0)
	v_dual_mov_b32 v20, 0 :: v_dual_lshlrev_b32 v5, 24, v5
	s_delay_alu instid0(VALU_DEP_1) | instskip(NEXT) | instid1(VALU_DEP_1)
	v_and_b32_e32 v6, 0x7f000000, v5
	v_clz_i32_u32_e32 v8, v6
	v_add_nc_u32_e32 v10, 0x1000000, v6
	v_cmp_ne_u32_e32 vcc_lo, 0, v6
	s_delay_alu instid0(VALU_DEP_3) | instskip(NEXT) | instid1(VALU_DEP_1)
	v_min_u32_e32 v8, 32, v8
	v_sub_nc_u32_e64 v8, v8, 4 clamp
	s_delay_alu instid0(VALU_DEP_1) | instskip(SKIP_1) | instid1(VALU_DEP_2)
	v_lshlrev_b32_e32 v9, v8, v6
	v_lshlrev_b32_e32 v8, 23, v8
	v_lshrrev_b32_e32 v9, 4, v9
	s_delay_alu instid0(VALU_DEP_1) | instskip(SKIP_1) | instid1(VALU_DEP_2)
	v_sub_nc_u32_e32 v8, v9, v8
	v_ashrrev_i32_e32 v9, 8, v10
	v_add_nc_u32_e32 v8, 0x3c000000, v8
	s_delay_alu instid0(VALU_DEP_1) | instskip(NEXT) | instid1(VALU_DEP_1)
	v_and_or_b32 v8, 0x7f800000, v9, v8
	v_cndmask_b32_e32 v6, 0, v8, vcc_lo
	s_delay_alu instid0(VALU_DEP_1)
	v_and_or_b32 v19, 0x80000000, v5, v6
.LBB65_1542:
	s_mov_b32 s2, 0
.LBB65_1543:
	s_delay_alu instid0(SALU_CYCLE_1)
	s_and_not1_b32 vcc_lo, exec_lo, s2
	s_cbranch_vccnz .LBB65_1545
; %bb.1544:
	global_load_u8 v5, v[3:4], off
	v_mov_b32_e32 v20, 0
	s_waitcnt vmcnt(0)
	v_lshlrev_b32_e32 v6, 25, v5
	v_lshlrev_b16 v5, 8, v5
	s_delay_alu instid0(VALU_DEP_2) | instskip(NEXT) | instid1(VALU_DEP_2)
	v_lshrrev_b32_e32 v8, 4, v6
	v_and_or_b32 v9, 0x7f00, v5, 0.5
	v_cmp_gt_u32_e32 vcc_lo, 0x8000000, v6
	v_bfe_i32 v5, v5, 0, 16
	s_delay_alu instid0(VALU_DEP_4) | instskip(NEXT) | instid1(VALU_DEP_1)
	v_or_b32_e32 v8, 0x70000000, v8
	v_dual_add_f32 v9, -0.5, v9 :: v_dual_mul_f32 v8, 0x7800000, v8
	s_delay_alu instid0(VALU_DEP_1) | instskip(NEXT) | instid1(VALU_DEP_1)
	v_cndmask_b32_e32 v6, v8, v9, vcc_lo
	v_and_or_b32 v19, 0x80000000, v5, v6
.LBB65_1545:
	s_mov_b32 s2, 0
	s_mov_b32 s3, -1
.LBB65_1546:
	s_and_not1_b32 vcc_lo, exec_lo, s2
	s_mov_b32 s2, 0
	s_cbranch_vccnz .LBB65_1556
; %bb.1547:
	v_cmp_lt_i16_e32 vcc_lo, 14, v7
	s_cbranch_vccz .LBB65_1550
; %bb.1548:
	v_cmp_eq_u16_e32 vcc_lo, 15, v7
	s_cbranch_vccz .LBB65_1551
; %bb.1549:
	global_load_u16 v5, v[3:4], off
	s_mov_b32 s1, 0
	s_mov_b32 s3, -1
	s_mov_b32 s4, 0
	s_waitcnt vmcnt(0)
	v_lshlrev_b32_e32 v19, 16, v5
	s_branch .LBB65_1553
.LBB65_1550:
	s_mov_b32 s2, -1
	s_branch .LBB65_1552
.LBB65_1551:
	s_mov_b32 s1, -1
.LBB65_1552:
                                        ; implicit-def: $sgpr4
                                        ; implicit-def: $vgpr19
.LBB65_1553:
	s_and_b32 vcc_lo, exec_lo, s2
	s_mov_b32 s2, 0
	s_cbranch_vccz .LBB65_1555
; %bb.1554:
	v_cmp_ne_u16_e64 s1, 11, v7
	s_mov_b32 s2, -1
                                        ; implicit-def: $sgpr4
                                        ; implicit-def: $vgpr19
.LBB65_1555:
	v_mov_b32_e32 v20, s4
.LBB65_1556:
	s_delay_alu instid0(VALU_DEP_2)
	s_and_b32 vcc_lo, exec_lo, s1
	s_cbranch_vccnz .LBB65_1572
; %bb.1557:
	s_and_not1_b32 vcc_lo, exec_lo, s2
	s_cbranch_vccnz .LBB65_1559
.LBB65_1558:
	global_load_u8 v5, v[3:4], off
	v_mov_b32_e32 v20, 0
	s_mov_b32 s3, -1
	s_waitcnt vmcnt(0)
	v_cmp_ne_u16_e32 vcc_lo, 0, v5
	v_cndmask_b32_e64 v19, 0, 1.0, vcc_lo
.LBB65_1559:
.LBB65_1560:
	s_and_not1_b32 vcc_lo, exec_lo, s3
	s_cbranch_vccnz .LBB65_2130
.LBB65_1561:
	v_cmp_gt_i16_e32 vcc_lo, 11, v7
	v_add_co_u32 v2, s1, s14, v2
	s_delay_alu instid0(VALU_DEP_1)
	v_add_co_ci_u32_e64 v3, null, s15, 0, s1
	s_mov_b32 s3, 0
	s_cbranch_vccnz .LBB65_1568
; %bb.1562:
	v_cmp_lt_i16_e32 vcc_lo, 25, v7
	s_mov_b32 s2, 0
	s_cbranch_vccz .LBB65_1569
; %bb.1563:
	v_cmp_lt_i16_e32 vcc_lo, 28, v7
	s_cbranch_vccz .LBB65_1570
; %bb.1564:
	v_cmp_lt_i16_e32 vcc_lo, 43, v7
	;; [unrolled: 3-line block ×3, first 2 shown]
	s_cbranch_vccz .LBB65_1574
; %bb.1566:
	v_cmp_eq_u16_e32 vcc_lo, 46, v7
	s_mov_b32 s4, 0
	s_cbranch_vccz .LBB65_1577
; %bb.1567:
	global_load_b32 v4, v[2:3], off
	s_mov_b32 s1, 0
	s_mov_b32 s3, -1
	s_waitcnt vmcnt(0)
	v_and_b32_e32 v22, 0xffff0000, v4
	v_lshlrev_b32_e32 v21, 16, v4
	s_branch .LBB65_1579
.LBB65_1568:
	s_mov_b32 s1, -1
                                        ; implicit-def: $vgpr22
	s_branch .LBB65_1648
.LBB65_1569:
	s_mov_b32 s4, -1
	s_mov_b32 s1, 0
                                        ; implicit-def: $vgpr22
	s_branch .LBB65_1612
.LBB65_1570:
	s_mov_b32 s4, -1
	s_mov_b32 s1, 0
                                        ; implicit-def: $vgpr22
	s_branch .LBB65_1591
.LBB65_1571:
	s_mov_b32 s4, -1
	s_mov_b32 s1, 0
                                        ; implicit-def: $vgpr22
	s_branch .LBB65_1585
.LBB65_1572:
	s_cbranch_execnz .LBB65_1575
; %bb.1573:
	s_or_b32 s9, s9, exec_lo
                                        ; implicit-def: $vgpr20
	s_cbranch_execz .LBB65_1558
	s_branch .LBB65_1559
.LBB65_1574:
	s_mov_b32 s4, -1
	s_mov_b32 s1, 0
	s_branch .LBB65_1578
.LBB65_1575:
	s_trap 2
	s_sendmsg_rtn_b32 s0, sendmsg(MSG_RTN_GET_DOORBELL)
	s_mov_b32 ttmp2, m0
	s_waitcnt lgkmcnt(0)
	s_and_b32 s0, s0, 0x3ff
	s_delay_alu instid0(SALU_CYCLE_1) | instskip(NEXT) | instid1(SALU_CYCLE_1)
	s_bitset1_b32 s0, 10
	s_mov_b32 m0, s0
	s_sendmsg sendmsg(MSG_INTERRUPT)
	s_mov_b32 m0, ttmp2
.LBB65_1576:                            ; =>This Inner Loop Header: Depth=1
	s_sethalt 5
	s_branch .LBB65_1576
.LBB65_1577:
	s_mov_b32 s1, -1
.LBB65_1578:
                                        ; implicit-def: $vgpr22
.LBB65_1579:
	s_and_b32 vcc_lo, exec_lo, s4
	s_cbranch_vccz .LBB65_1584
; %bb.1580:
	v_cmp_eq_u16_e32 vcc_lo, 44, v7
	s_cbranch_vccz .LBB65_1582
; %bb.1581:
	global_load_u8 v4, v[2:3], off
	s_mov_b32 s1, 0
	s_mov_b32 s3, -1
	s_waitcnt vmcnt(0)
	v_lshlrev_b32_e32 v5, 23, v4
	v_cmp_ne_u32_e32 vcc_lo, 0xff, v4
	s_delay_alu instid0(VALU_DEP_2) | instskip(SKIP_1) | instid1(VALU_DEP_2)
	v_cndmask_b32_e32 v5, 0x7f800001, v5, vcc_lo
	v_cmp_ne_u32_e32 vcc_lo, 0, v4
	v_cndmask_b32_e32 v21, 0x400000, v5, vcc_lo
	s_branch .LBB65_1583
.LBB65_1582:
	s_mov_b32 s1, -1
                                        ; implicit-def: $vgpr21
.LBB65_1583:
	s_delay_alu instid0(SALU_CYCLE_1)
	v_mov_b32_e32 v22, s1
.LBB65_1584:
	s_mov_b32 s4, 0
.LBB65_1585:
	s_delay_alu instid0(SALU_CYCLE_1)
	s_and_b32 vcc_lo, exec_lo, s4
	s_cbranch_vccz .LBB65_1590
; %bb.1586:
	v_cmp_eq_u16_e32 vcc_lo, 29, v7
	s_cbranch_vccz .LBB65_1588
; %bb.1587:
	global_load_b64 v[4:5], v[2:3], off
	s_mov_b32 s1, 0
	s_mov_b32 s3, -1
	s_mov_b32 s4, 0
	s_waitcnt vmcnt(0)
	v_clz_i32_u32_e32 v6, v5
	s_delay_alu instid0(VALU_DEP_1) | instskip(NEXT) | instid1(VALU_DEP_1)
	v_min_u32_e32 v6, 32, v6
	v_lshlrev_b64 v[4:5], v6, v[4:5]
	s_delay_alu instid0(VALU_DEP_1) | instskip(NEXT) | instid1(VALU_DEP_1)
	v_min_u32_e32 v4, 1, v4
	v_or_b32_e32 v4, v5, v4
	v_sub_nc_u32_e32 v5, 32, v6
	s_delay_alu instid0(VALU_DEP_2) | instskip(NEXT) | instid1(VALU_DEP_1)
	v_cvt_f32_u32_e32 v4, v4
	v_ldexp_f32 v21, v4, v5
	s_branch .LBB65_1589
.LBB65_1588:
	s_mov_b32 s1, -1
                                        ; implicit-def: $sgpr4
                                        ; implicit-def: $vgpr21
.LBB65_1589:
	v_mov_b32_e32 v22, s4
.LBB65_1590:
	s_mov_b32 s4, 0
.LBB65_1591:
	s_delay_alu instid0(SALU_CYCLE_1)
	s_and_b32 vcc_lo, exec_lo, s4
	s_cbranch_vccz .LBB65_1611
; %bb.1592:
	v_cmp_gt_i16_e32 vcc_lo, 27, v7
	s_cbranch_vccnz .LBB65_1595
; %bb.1593:
	v_cmp_lt_i16_e32 vcc_lo, 27, v7
	s_cbranch_vccz .LBB65_1596
; %bb.1594:
	global_load_b32 v4, v[2:3], off
	s_mov_b32 s4, 0
	s_mov_b32 s3, 0
	s_waitcnt vmcnt(0)
	v_cvt_f32_u32_e32 v21, v4
	s_branch .LBB65_1597
.LBB65_1595:
	s_mov_b32 s4, -1
                                        ; implicit-def: $sgpr3
                                        ; implicit-def: $vgpr21
	s_branch .LBB65_1600
.LBB65_1596:
	s_mov_b32 s4, -1
                                        ; implicit-def: $sgpr3
                                        ; implicit-def: $vgpr21
.LBB65_1597:
	s_delay_alu instid0(SALU_CYCLE_1)
	s_and_not1_b32 vcc_lo, exec_lo, s4
	s_cbranch_vccnz .LBB65_1599
; %bb.1598:
	global_load_u16 v4, v[2:3], off
	s_mov_b32 s3, 0
	s_waitcnt vmcnt(0)
	v_cvt_f32_u32_e32 v21, v4
.LBB65_1599:
	s_mov_b32 s4, 0
.LBB65_1600:
	v_mov_b32_e32 v22, s3
	s_and_not1_b32 vcc_lo, exec_lo, s4
	s_cbranch_vccnz .LBB65_1610
; %bb.1601:
	global_load_u8 v4, v[2:3], off
	s_mov_b32 s3, 0
	s_mov_b32 s6, exec_lo
                                        ; implicit-def: $sgpr5
                                        ; implicit-def: $sgpr4
	s_waitcnt vmcnt(0)
	v_cmpx_lt_i16_e32 0x7f, v4
	s_xor_b32 s6, exec_lo, s6
	s_cbranch_execz .LBB65_1605
; %bb.1602:
	s_mov_b32 s3, -1
	s_mov_b32 s7, exec_lo
                                        ; implicit-def: $sgpr5
                                        ; implicit-def: $sgpr4
	v_cmpx_eq_u16_e32 0x80, v4
; %bb.1603:
	s_mov_b32 s4, 0x7f800001
	s_mov_b32 s5, 0
	s_xor_b32 s3, exec_lo, -1
; %bb.1604:
	s_or_b32 exec_lo, exec_lo, s7
	s_delay_alu instid0(SALU_CYCLE_1)
	s_and_b32 s3, s3, exec_lo
.LBB65_1605:
	s_or_saveexec_b32 s6, s6
	v_dual_mov_b32 v22, s5 :: v_dual_mov_b32 v21, s4
	s_xor_b32 exec_lo, exec_lo, s6
; %bb.1606:
	v_mov_b32_e32 v22, 0
	v_cmp_ne_u16_e32 vcc_lo, 0, v4
	s_and_not1_b32 s3, s3, exec_lo
	s_delay_alu instid0(VALU_DEP_2) | instskip(SKIP_1) | instid1(SALU_CYCLE_1)
	v_mov_b32_e32 v21, v22
	s_and_b32 s4, vcc_lo, exec_lo
	s_or_b32 s3, s3, s4
; %bb.1607:
	s_or_b32 exec_lo, exec_lo, s6
	s_and_saveexec_b32 s4, s3
	s_cbranch_execz .LBB65_1609
; %bb.1608:
	v_and_b32_e32 v5, 0xffff, v4
	v_lshlrev_b32_e32 v4, 24, v4
	v_mov_b32_e32 v22, 0
	s_delay_alu instid0(VALU_DEP_3) | instskip(NEXT) | instid1(VALU_DEP_3)
	v_and_b32_e32 v6, 7, v5
	v_and_b32_e32 v4, 0x80000000, v4
	s_delay_alu instid0(VALU_DEP_2) | instskip(NEXT) | instid1(VALU_DEP_1)
	v_clz_i32_u32_e32 v8, v6
	v_min_u32_e32 v8, 32, v8
	s_delay_alu instid0(VALU_DEP_1) | instskip(SKIP_1) | instid1(VALU_DEP_2)
	v_subrev_nc_u32_e32 v9, 28, v8
	v_sub_nc_u32_e32 v8, 29, v8
	v_lshlrev_b32_e32 v9, v9, v5
	v_bfe_u32 v5, v5, 3, 4
	s_delay_alu instid0(VALU_DEP_2) | instskip(NEXT) | instid1(VALU_DEP_2)
	v_and_b32_e32 v9, 7, v9
	v_cmp_eq_u32_e32 vcc_lo, 0, v5
	s_delay_alu instid0(VALU_DEP_2) | instskip(NEXT) | instid1(VALU_DEP_1)
	v_dual_cndmask_b32 v5, v5, v8 :: v_dual_cndmask_b32 v6, v6, v9
	v_lshl_add_u32 v5, v5, 23, 0x3b800000
	s_delay_alu instid0(VALU_DEP_2) | instskip(NEXT) | instid1(VALU_DEP_1)
	v_lshlrev_b32_e32 v6, 20, v6
	v_or3_b32 v21, v4, v5, v6
.LBB65_1609:
	s_or_b32 exec_lo, exec_lo, s4
.LBB65_1610:
	s_mov_b32 s3, -1
.LBB65_1611:
	s_mov_b32 s4, 0
.LBB65_1612:
	s_delay_alu instid0(SALU_CYCLE_1)
	s_and_b32 vcc_lo, exec_lo, s4
	s_cbranch_vccz .LBB65_1644
; %bb.1613:
	v_cmp_lt_i16_e32 vcc_lo, 22, v7
	s_cbranch_vccz .LBB65_1625
; %bb.1614:
	v_cmp_gt_i16_e32 vcc_lo, 24, v7
	s_cbranch_vccnz .LBB65_1626
; %bb.1615:
	v_cmp_lt_i16_e32 vcc_lo, 24, v7
	s_cbranch_vccz .LBB65_1627
; %bb.1616:
	global_load_u8 v4, v[2:3], off
	s_mov_b32 s5, exec_lo
                                        ; implicit-def: $sgpr4
                                        ; implicit-def: $sgpr3
	s_waitcnt vmcnt(0)
	v_cmpx_lt_i16_e32 0x7f, v4
	s_xor_b32 s5, exec_lo, s5
	s_cbranch_execz .LBB65_1620
; %bb.1617:
	s_mov_b32 s2, -1
	s_mov_b32 s6, exec_lo
                                        ; implicit-def: $sgpr4
                                        ; implicit-def: $sgpr3
	v_cmpx_eq_u16_e32 0x80, v4
; %bb.1618:
	s_mov_b32 s3, 0x7f800001
	s_mov_b32 s4, 0
	s_xor_b32 s2, exec_lo, -1
; %bb.1619:
	s_or_b32 exec_lo, exec_lo, s6
	s_delay_alu instid0(SALU_CYCLE_1)
	s_and_b32 s2, s2, exec_lo
.LBB65_1620:
	s_or_saveexec_b32 s5, s5
	v_dual_mov_b32 v22, s4 :: v_dual_mov_b32 v21, s3
	s_xor_b32 exec_lo, exec_lo, s5
; %bb.1621:
	v_mov_b32_e32 v22, 0
	v_cmp_ne_u16_e32 vcc_lo, 0, v4
	s_and_not1_b32 s2, s2, exec_lo
	s_delay_alu instid0(VALU_DEP_2) | instskip(SKIP_1) | instid1(SALU_CYCLE_1)
	v_mov_b32_e32 v21, v22
	s_and_b32 s3, vcc_lo, exec_lo
	s_or_b32 s2, s2, s3
; %bb.1622:
	s_or_b32 exec_lo, exec_lo, s5
	s_and_saveexec_b32 s3, s2
	s_cbranch_execz .LBB65_1624
; %bb.1623:
	v_and_b32_e32 v5, 0xffff, v4
	v_lshlrev_b32_e32 v4, 24, v4
	v_mov_b32_e32 v22, 0
	s_delay_alu instid0(VALU_DEP_3) | instskip(NEXT) | instid1(VALU_DEP_3)
	v_and_b32_e32 v6, 3, v5
	v_and_b32_e32 v4, 0x80000000, v4
	s_delay_alu instid0(VALU_DEP_2) | instskip(NEXT) | instid1(VALU_DEP_1)
	v_clz_i32_u32_e32 v8, v6
	v_min_u32_e32 v8, 32, v8
	s_delay_alu instid0(VALU_DEP_1) | instskip(SKIP_1) | instid1(VALU_DEP_2)
	v_subrev_nc_u32_e32 v9, 29, v8
	v_sub_nc_u32_e32 v8, 30, v8
	v_lshlrev_b32_e32 v9, v9, v5
	v_bfe_u32 v5, v5, 2, 5
	s_delay_alu instid0(VALU_DEP_2) | instskip(NEXT) | instid1(VALU_DEP_2)
	v_and_b32_e32 v9, 3, v9
	v_cmp_eq_u32_e32 vcc_lo, 0, v5
	s_delay_alu instid0(VALU_DEP_2) | instskip(NEXT) | instid1(VALU_DEP_1)
	v_dual_cndmask_b32 v5, v5, v8 :: v_dual_cndmask_b32 v6, v6, v9
	v_lshl_add_u32 v5, v5, 23, 0x37800000
	s_delay_alu instid0(VALU_DEP_2) | instskip(NEXT) | instid1(VALU_DEP_1)
	v_lshlrev_b32_e32 v6, 21, v6
	v_or3_b32 v21, v4, v5, v6
.LBB65_1624:
	s_or_b32 exec_lo, exec_lo, s3
	s_mov_b32 s2, 0
	s_branch .LBB65_1628
.LBB65_1625:
	s_mov_b32 s2, -1
                                        ; implicit-def: $vgpr22
	s_branch .LBB65_1634
.LBB65_1626:
	s_mov_b32 s2, -1
                                        ; implicit-def: $vgpr22
	s_branch .LBB65_1631
.LBB65_1627:
	s_mov_b32 s2, -1
                                        ; implicit-def: $vgpr22
.LBB65_1628:
	s_delay_alu instid0(SALU_CYCLE_1)
	s_and_b32 vcc_lo, exec_lo, s2
	s_cbranch_vccz .LBB65_1630
; %bb.1629:
	global_load_u8 v4, v[2:3], off
	v_mov_b32_e32 v22, 0
	s_waitcnt vmcnt(0)
	v_lshlrev_b32_e32 v4, 24, v4
	s_delay_alu instid0(VALU_DEP_1) | instskip(NEXT) | instid1(VALU_DEP_1)
	v_and_b32_e32 v5, 0x7f000000, v4
	v_clz_i32_u32_e32 v6, v5
	v_add_nc_u32_e32 v9, 0x1000000, v5
	v_cmp_ne_u32_e32 vcc_lo, 0, v5
	s_delay_alu instid0(VALU_DEP_3) | instskip(NEXT) | instid1(VALU_DEP_1)
	v_min_u32_e32 v6, 32, v6
	v_sub_nc_u32_e64 v6, v6, 4 clamp
	s_delay_alu instid0(VALU_DEP_1) | instskip(SKIP_1) | instid1(VALU_DEP_2)
	v_lshlrev_b32_e32 v8, v6, v5
	v_lshlrev_b32_e32 v6, 23, v6
	v_lshrrev_b32_e32 v8, 4, v8
	s_delay_alu instid0(VALU_DEP_1) | instskip(SKIP_1) | instid1(VALU_DEP_2)
	v_sub_nc_u32_e32 v6, v8, v6
	v_ashrrev_i32_e32 v8, 8, v9
	v_add_nc_u32_e32 v6, 0x3c000000, v6
	s_delay_alu instid0(VALU_DEP_1) | instskip(NEXT) | instid1(VALU_DEP_1)
	v_and_or_b32 v6, 0x7f800000, v8, v6
	v_cndmask_b32_e32 v5, 0, v6, vcc_lo
	s_delay_alu instid0(VALU_DEP_1)
	v_and_or_b32 v21, 0x80000000, v4, v5
.LBB65_1630:
	s_mov_b32 s2, 0
.LBB65_1631:
	s_delay_alu instid0(SALU_CYCLE_1)
	s_and_not1_b32 vcc_lo, exec_lo, s2
	s_cbranch_vccnz .LBB65_1633
; %bb.1632:
	global_load_u8 v4, v[2:3], off
	s_waitcnt vmcnt(0)
	v_dual_mov_b32 v22, 0 :: v_dual_lshlrev_b32 v5, 25, v4
	v_lshlrev_b16 v4, 8, v4
	s_delay_alu instid0(VALU_DEP_2) | instskip(NEXT) | instid1(VALU_DEP_2)
	v_lshrrev_b32_e32 v6, 4, v5
	v_and_or_b32 v8, 0x7f00, v4, 0.5
	v_bfe_i32 v4, v4, 0, 16
	s_delay_alu instid0(VALU_DEP_3) | instskip(NEXT) | instid1(VALU_DEP_3)
	v_or_b32_e32 v6, 0x70000000, v6
	v_add_f32_e32 v8, -0.5, v8
	s_delay_alu instid0(VALU_DEP_2) | instskip(SKIP_1) | instid1(VALU_DEP_2)
	v_mul_f32_e32 v6, 0x7800000, v6
	v_cmp_gt_u32_e32 vcc_lo, 0x8000000, v5
	v_cndmask_b32_e32 v5, v6, v8, vcc_lo
	s_delay_alu instid0(VALU_DEP_1)
	v_and_or_b32 v21, 0x80000000, v4, v5
.LBB65_1633:
	s_mov_b32 s2, 0
	s_mov_b32 s3, -1
.LBB65_1634:
	s_and_not1_b32 vcc_lo, exec_lo, s2
	s_mov_b32 s2, 0
	s_cbranch_vccnz .LBB65_1644
; %bb.1635:
	v_cmp_lt_i16_e32 vcc_lo, 14, v7
	s_cbranch_vccz .LBB65_1638
; %bb.1636:
	v_cmp_eq_u16_e32 vcc_lo, 15, v7
	s_cbranch_vccz .LBB65_1639
; %bb.1637:
	global_load_u16 v4, v[2:3], off
	s_mov_b32 s1, 0
	s_mov_b32 s3, -1
	s_mov_b32 s4, 0
	s_waitcnt vmcnt(0)
	v_lshlrev_b32_e32 v21, 16, v4
	s_branch .LBB65_1641
.LBB65_1638:
	s_mov_b32 s2, -1
	s_branch .LBB65_1640
.LBB65_1639:
	s_mov_b32 s1, -1
.LBB65_1640:
                                        ; implicit-def: $sgpr4
                                        ; implicit-def: $vgpr21
.LBB65_1641:
	s_and_b32 vcc_lo, exec_lo, s2
	s_mov_b32 s2, 0
	s_cbranch_vccz .LBB65_1643
; %bb.1642:
	v_cmp_ne_u16_e64 s1, 11, v7
	s_mov_b32 s2, -1
                                        ; implicit-def: $sgpr4
                                        ; implicit-def: $vgpr21
.LBB65_1643:
	v_mov_b32_e32 v22, s4
.LBB65_1644:
	s_delay_alu instid0(VALU_DEP_2)
	s_and_b32 vcc_lo, exec_lo, s1
	s_cbranch_vccnz .LBB65_2175
; %bb.1645:
	s_and_not1_b32 vcc_lo, exec_lo, s2
	s_cbranch_vccnz .LBB65_1647
.LBB65_1646:
	global_load_u8 v4, v[2:3], off
	v_mov_b32_e32 v22, 0
	s_mov_b32 s3, -1
	s_waitcnt vmcnt(0)
	v_cmp_ne_u16_e32 vcc_lo, 0, v4
	v_cndmask_b32_e64 v21, 0, 1.0, vcc_lo
.LBB65_1647:
	s_mov_b32 s1, 0
.LBB65_1648:
	s_delay_alu instid0(SALU_CYCLE_1)
	s_and_b32 vcc_lo, exec_lo, s1
	s_cbranch_vccz .LBB65_1699
; %bb.1649:
	v_cmp_gt_i16_e32 vcc_lo, 5, v7
	s_cbranch_vccnz .LBB65_1654
; %bb.1650:
	v_cmp_gt_i16_e32 vcc_lo, 8, v7
	s_cbranch_vccnz .LBB65_1655
	;; [unrolled: 3-line block ×3, first 2 shown]
; %bb.1652:
	v_cmp_lt_i16_e32 vcc_lo, 9, v7
	s_cbranch_vccz .LBB65_1657
; %bb.1653:
	global_load_b128 v[8:11], v[2:3], off
	s_mov_b32 s1, 0
	s_waitcnt vmcnt(0)
	v_cvt_f32_f64_e32 v21, v[8:9]
	v_cvt_f32_f64_e32 v22, v[10:11]
	s_branch .LBB65_1658
.LBB65_1654:
	s_mov_b32 s1, -1
                                        ; implicit-def: $vgpr22
	s_branch .LBB65_1677
.LBB65_1655:
	s_mov_b32 s1, -1
                                        ; implicit-def: $vgpr22
	s_branch .LBB65_1664
.LBB65_1656:
	s_mov_b32 s1, -1
                                        ; implicit-def: $vgpr22
	s_branch .LBB65_1661
.LBB65_1657:
	s_mov_b32 s1, -1
                                        ; implicit-def: $vgpr22
.LBB65_1658:
	s_delay_alu instid0(SALU_CYCLE_1)
	s_and_not1_b32 vcc_lo, exec_lo, s1
	s_cbranch_vccnz .LBB65_1660
; %bb.1659:
	global_load_b64 v[21:22], v[2:3], off
.LBB65_1660:
	s_mov_b32 s1, 0
.LBB65_1661:
	s_delay_alu instid0(SALU_CYCLE_1)
	s_and_not1_b32 vcc_lo, exec_lo, s1
	s_cbranch_vccnz .LBB65_1663
; %bb.1662:
	global_load_b32 v4, v[2:3], off
	s_waitcnt vmcnt(0)
	v_lshrrev_b32_e32 v5, 16, v4
	v_cvt_f32_f16_e32 v21, v4
	s_delay_alu instid0(VALU_DEP_2)
	v_cvt_f32_f16_e32 v22, v5
.LBB65_1663:
	s_mov_b32 s1, 0
.LBB65_1664:
	s_delay_alu instid0(SALU_CYCLE_1)
	s_and_not1_b32 vcc_lo, exec_lo, s1
	s_cbranch_vccnz .LBB65_1676
; %bb.1665:
	v_cmp_gt_i16_e32 vcc_lo, 6, v7
	s_cbranch_vccnz .LBB65_1668
; %bb.1666:
	v_cmp_lt_i16_e32 vcc_lo, 6, v7
	s_cbranch_vccz .LBB65_1669
; %bb.1667:
	global_load_b64 v[4:5], v[2:3], off
	s_mov_b32 s2, 0
	s_mov_b32 s1, 0
	s_waitcnt vmcnt(0)
	v_cvt_f32_f64_e32 v21, v[4:5]
	s_branch .LBB65_1670
.LBB65_1668:
	s_mov_b32 s2, -1
                                        ; implicit-def: $sgpr1
                                        ; implicit-def: $vgpr21
	s_branch .LBB65_1673
.LBB65_1669:
	s_mov_b32 s2, -1
                                        ; implicit-def: $sgpr1
                                        ; implicit-def: $vgpr21
.LBB65_1670:
	s_delay_alu instid0(SALU_CYCLE_1)
	s_and_not1_b32 vcc_lo, exec_lo, s2
	s_cbranch_vccnz .LBB65_1672
; %bb.1671:
	global_load_b32 v21, v[2:3], off
	s_mov_b32 s1, 0
.LBB65_1672:
	s_mov_b32 s2, 0
.LBB65_1673:
	s_delay_alu instid0(SALU_CYCLE_1)
	s_and_not1_b32 vcc_lo, exec_lo, s2
	s_cbranch_vccnz .LBB65_1675
; %bb.1674:
	global_load_u16 v4, v[2:3], off
	s_mov_b32 s1, 0
	s_waitcnt vmcnt(0)
	v_cvt_f32_f16_e32 v21, v4
.LBB65_1675:
	s_waitcnt vmcnt(0)
	v_mov_b32_e32 v22, s1
.LBB65_1676:
	s_mov_b32 s1, 0
.LBB65_1677:
	s_delay_alu instid0(SALU_CYCLE_1)
	s_and_not1_b32 vcc_lo, exec_lo, s1
	s_cbranch_vccnz .LBB65_1698
; %bb.1678:
	v_cmp_gt_i16_e32 vcc_lo, 2, v7
	s_cbranch_vccnz .LBB65_1682
; %bb.1679:
	v_cmp_gt_i16_e32 vcc_lo, 3, v7
	s_cbranch_vccnz .LBB65_1683
; %bb.1680:
	v_cmp_lt_i16_e32 vcc_lo, 3, v7
	s_cbranch_vccz .LBB65_1684
; %bb.1681:
	global_load_b64 v[4:5], v[2:3], off
	s_mov_b32 s2, 0
	s_mov_b32 s1, 0
	s_waitcnt vmcnt(0)
	v_xor_b32_e32 v6, v4, v5
	v_cls_i32_e32 v8, v5
	s_delay_alu instid0(VALU_DEP_2) | instskip(NEXT) | instid1(VALU_DEP_2)
	v_ashrrev_i32_e32 v6, 31, v6
	v_add_nc_u32_e32 v8, -1, v8
	s_delay_alu instid0(VALU_DEP_2) | instskip(NEXT) | instid1(VALU_DEP_1)
	v_add_nc_u32_e32 v6, 32, v6
	v_min_u32_e32 v6, v8, v6
	s_delay_alu instid0(VALU_DEP_1) | instskip(NEXT) | instid1(VALU_DEP_1)
	v_lshlrev_b64 v[4:5], v6, v[4:5]
	v_min_u32_e32 v4, 1, v4
	s_delay_alu instid0(VALU_DEP_1) | instskip(SKIP_1) | instid1(VALU_DEP_2)
	v_or_b32_e32 v4, v5, v4
	v_sub_nc_u32_e32 v5, 32, v6
	v_cvt_f32_i32_e32 v4, v4
	s_delay_alu instid0(VALU_DEP_1)
	v_ldexp_f32 v21, v4, v5
	s_branch .LBB65_1685
.LBB65_1682:
	s_mov_b32 s2, -1
                                        ; implicit-def: $sgpr1
                                        ; implicit-def: $vgpr21
	s_branch .LBB65_1691
.LBB65_1683:
	s_mov_b32 s2, -1
                                        ; implicit-def: $sgpr1
                                        ; implicit-def: $vgpr21
	s_branch .LBB65_1688
.LBB65_1684:
	s_mov_b32 s2, -1
                                        ; implicit-def: $sgpr1
                                        ; implicit-def: $vgpr21
.LBB65_1685:
	s_delay_alu instid0(SALU_CYCLE_1)
	s_and_not1_b32 vcc_lo, exec_lo, s2
	s_cbranch_vccnz .LBB65_1687
; %bb.1686:
	global_load_b32 v4, v[2:3], off
	s_mov_b32 s1, 0
	s_waitcnt vmcnt(0)
	v_cvt_f32_i32_e32 v21, v4
.LBB65_1687:
	s_mov_b32 s2, 0
.LBB65_1688:
	s_delay_alu instid0(SALU_CYCLE_1)
	s_and_not1_b32 vcc_lo, exec_lo, s2
	s_cbranch_vccnz .LBB65_1690
; %bb.1689:
	global_load_i16 v4, v[2:3], off
	s_mov_b32 s1, 0
	s_waitcnt vmcnt(0)
	v_cvt_f32_i32_e32 v21, v4
.LBB65_1690:
	s_mov_b32 s2, 0
.LBB65_1691:
	s_delay_alu instid0(SALU_CYCLE_1)
	s_and_not1_b32 vcc_lo, exec_lo, s2
	s_cbranch_vccnz .LBB65_1697
; %bb.1692:
	v_cmp_lt_i16_e32 vcc_lo, 0, v7
	s_mov_b32 s2, 0
	s_cbranch_vccz .LBB65_1694
; %bb.1693:
	global_load_i8 v4, v[2:3], off
	s_mov_b32 s1, 0
	s_waitcnt vmcnt(0)
	v_cvt_f32_i32_e32 v21, v4
	s_branch .LBB65_1695
.LBB65_1694:
	s_mov_b32 s2, -1
                                        ; implicit-def: $sgpr1
                                        ; implicit-def: $vgpr21
.LBB65_1695:
	s_delay_alu instid0(SALU_CYCLE_1)
	s_and_not1_b32 vcc_lo, exec_lo, s2
	s_cbranch_vccnz .LBB65_1697
; %bb.1696:
	global_load_u8 v2, v[2:3], off
	s_mov_b32 s1, 0
	s_waitcnt vmcnt(0)
	v_cvt_f32_ubyte0_e32 v21, v2
.LBB65_1697:
	s_waitcnt vmcnt(0)
	v_mov_b32_e32 v22, s1
.LBB65_1698:
	s_mov_b32 s3, -1
.LBB65_1699:
	s_delay_alu instid0(SALU_CYCLE_1)
	s_and_not1_b32 vcc_lo, exec_lo, s3
	s_cbranch_vccnz .LBB65_2130
; %bb.1700:
	s_lshr_b32 s0, s0, 8
	s_delay_alu instid0(SALU_CYCLE_1) | instskip(SKIP_3) | instid1(SALU_CYCLE_1)
	v_and_b32_e64 v27, 0xff, s0
	s_getpc_b64 s[0:1]
	s_add_u32 s0, s0, _ZN16c10_complex_math3expIfEEN3c107complexIT_EERKS4_@rel32@lo+4
	s_addc_u32 s1, s1, _ZN16c10_complex_math3expIfEEN3c107complexIT_EERKS4_@rel32@hi+12
	s_swappc_b64 s[30:31], s[0:1]
	v_cmp_gt_i16_e32 vcc_lo, 11, v27
	v_add_co_u32 v2, s0, s12, v26
	s_delay_alu instid0(VALU_DEP_1)
	v_add_co_ci_u32_e64 v3, null, s13, 0, s0
	s_mov_b32 s2, 0
	s_mov_b32 s0, -1
	s_cbranch_vccnz .LBB65_1778
; %bb.1701:
	v_cmp_lt_i16_e32 vcc_lo, 25, v27
	s_mov_b32 s3, -1
	s_mov_b32 s1, 0
	s_mov_b32 s0, 0
	s_cbranch_vccz .LBB65_1734
; %bb.1702:
	v_cmp_lt_i16_e32 vcc_lo, 28, v27
	s_cbranch_vccz .LBB65_1717
; %bb.1703:
	v_cmp_lt_i16_e32 vcc_lo, 43, v27
	;; [unrolled: 3-line block ×3, first 2 shown]
	s_cbranch_vccz .LBB65_1707
; %bb.1705:
	v_cmp_eq_u16_e32 vcc_lo, 46, v27
	s_mov_b32 s0, -1
	s_mov_b32 s3, 0
	s_cbranch_vccz .LBB65_1707
; %bb.1706:
	v_bfe_u32 v4, v1, 16, 1
	v_bfe_u32 v5, v0, 16, 1
	v_cmp_o_f32_e32 vcc_lo, v1, v1
	s_mov_b32 s0, 0
	s_mov_b32 s2, -1
	v_add3_u32 v4, v1, v4, 0x7fff
	v_add3_u32 v5, v0, v5, 0x7fff
	s_delay_alu instid0(VALU_DEP_2) | instskip(NEXT) | instid1(VALU_DEP_2)
	v_and_b32_e32 v4, 0xffff0000, v4
	v_lshrrev_b32_e32 v5, 16, v5
	s_delay_alu instid0(VALU_DEP_2) | instskip(SKIP_1) | instid1(VALU_DEP_3)
	v_cndmask_b32_e32 v4, 0x7fc00000, v4, vcc_lo
	v_cmp_o_f32_e32 vcc_lo, v0, v0
	v_cndmask_b32_e32 v5, 0x7fc0, v5, vcc_lo
	s_delay_alu instid0(VALU_DEP_1)
	v_or_b32_e32 v4, v4, v5
	global_store_b32 v[2:3], v4, off
.LBB65_1707:
	s_and_b32 vcc_lo, exec_lo, s3
	s_cbranch_vccz .LBB65_1712
; %bb.1708:
	v_cmp_eq_u16_e32 vcc_lo, 44, v27
	s_mov_b32 s0, -1
	s_cbranch_vccz .LBB65_1712
; %bb.1709:
	v_bfe_u32 v5, v0, 23, 8
	v_mov_b32_e32 v4, 0xff
	s_mov_b32 s2, exec_lo
	s_delay_alu instid0(VALU_DEP_2)
	v_cmpx_ne_u32_e32 0xff, v5
; %bb.1710:
	v_and_b32_e32 v4, 0x400000, v0
	v_and_or_b32 v5, 0x3fffff, v0, v5
	s_delay_alu instid0(VALU_DEP_2) | instskip(NEXT) | instid1(VALU_DEP_2)
	v_cmp_ne_u32_e32 vcc_lo, 0, v4
	v_cmp_ne_u32_e64 s0, 0, v5
	v_lshrrev_b32_e32 v4, 23, v0
	s_delay_alu instid0(VALU_DEP_2) | instskip(NEXT) | instid1(SALU_CYCLE_1)
	s_and_b32 s0, vcc_lo, s0
	v_cndmask_b32_e64 v5, 0, 1, s0
	s_delay_alu instid0(VALU_DEP_1)
	v_add_nc_u32_e32 v4, v4, v5
; %bb.1711:
	s_or_b32 exec_lo, exec_lo, s2
	s_mov_b32 s0, 0
	s_mov_b32 s2, -1
	global_store_b8 v[2:3], v4, off
.LBB65_1712:
	s_mov_b32 s3, 0
.LBB65_1713:
	s_delay_alu instid0(SALU_CYCLE_1)
	s_and_b32 vcc_lo, exec_lo, s3
	s_cbranch_vccz .LBB65_1716
; %bb.1714:
	v_cmp_eq_u16_e32 vcc_lo, 29, v27
	s_mov_b32 s0, -1
	s_cbranch_vccz .LBB65_1716
; %bb.1715:
	v_trunc_f32_e32 v4, v0
	s_mov_b32 s0, 0
	s_mov_b32 s2, -1
	s_delay_alu instid0(VALU_DEP_1) | instskip(NEXT) | instid1(VALU_DEP_1)
	v_mul_f32_e32 v5, 0x2f800000, v4
	v_floor_f32_e32 v5, v5
	s_delay_alu instid0(VALU_DEP_1) | instskip(SKIP_1) | instid1(VALU_DEP_2)
	v_fmamk_f32 v4, v5, 0xcf800000, v4
	v_cvt_u32_f32_e32 v5, v5
	v_cvt_u32_f32_e32 v4, v4
	global_store_b64 v[2:3], v[4:5], off
.LBB65_1716:
	s_mov_b32 s3, 0
.LBB65_1717:
	s_delay_alu instid0(SALU_CYCLE_1)
	s_and_b32 vcc_lo, exec_lo, s3
	s_cbranch_vccz .LBB65_1733
; %bb.1718:
	v_cmp_gt_i16_e32 vcc_lo, 27, v27
	s_mov_b32 s2, -1
	s_cbranch_vccnz .LBB65_1724
; %bb.1719:
	v_cmp_lt_i16_e32 vcc_lo, 27, v27
	v_cvt_u32_f32_e32 v4, v0
	s_cbranch_vccz .LBB65_1721
; %bb.1720:
	s_mov_b32 s2, 0
	global_store_b32 v[2:3], v4, off
.LBB65_1721:
	s_and_not1_b32 vcc_lo, exec_lo, s2
	s_cbranch_vccnz .LBB65_1723
; %bb.1722:
	global_store_b16 v[2:3], v4, off
.LBB65_1723:
	s_mov_b32 s2, 0
.LBB65_1724:
	s_delay_alu instid0(SALU_CYCLE_1)
	s_and_not1_b32 vcc_lo, exec_lo, s2
	s_cbranch_vccnz .LBB65_1732
; %bb.1725:
	v_and_b32_e32 v4, 0x7fffffff, v0
	v_mov_b32_e32 v5, 0x80
	s_mov_b32 s2, exec_lo
	s_delay_alu instid0(VALU_DEP_2)
	v_cmpx_gt_u32_e32 0x43800000, v4
	s_cbranch_execz .LBB65_1731
; %bb.1726:
	v_cmp_lt_u32_e32 vcc_lo, 0x3bffffff, v4
	s_mov_b32 s3, 0
                                        ; implicit-def: $vgpr4
	s_and_saveexec_b32 s4, vcc_lo
	s_delay_alu instid0(SALU_CYCLE_1)
	s_xor_b32 s4, exec_lo, s4
	s_cbranch_execz .LBB65_2177
; %bb.1727:
	v_bfe_u32 v4, v0, 20, 1
	s_mov_b32 s3, exec_lo
	s_delay_alu instid0(VALU_DEP_1) | instskip(NEXT) | instid1(VALU_DEP_1)
	v_add3_u32 v4, v0, v4, 0x487ffff
	v_lshrrev_b32_e32 v4, 20, v4
	s_or_saveexec_b32 s4, s4
                                        ; implicit-def: $sgpr5
	s_delay_alu instid0(SALU_CYCLE_1)
	s_xor_b32 exec_lo, exec_lo, s4
	s_cbranch_execnz .LBB65_2178
.LBB65_1728:
	s_or_b32 exec_lo, exec_lo, s4
	v_mov_b32_e32 v5, s5
	s_and_saveexec_b32 s4, s3
.LBB65_1729:
	v_lshrrev_b32_e32 v5, 24, v0
	s_delay_alu instid0(VALU_DEP_1)
	v_and_or_b32 v5, 0x80, v5, v4
.LBB65_1730:
	s_or_b32 exec_lo, exec_lo, s4
.LBB65_1731:
	s_delay_alu instid0(SALU_CYCLE_1)
	s_or_b32 exec_lo, exec_lo, s2
	global_store_b8 v[2:3], v5, off
.LBB65_1732:
	s_mov_b32 s2, -1
.LBB65_1733:
	s_mov_b32 s3, 0
.LBB65_1734:
	s_delay_alu instid0(SALU_CYCLE_1)
	s_and_b32 vcc_lo, exec_lo, s3
	s_cbranch_vccz .LBB65_1774
; %bb.1735:
	v_cmp_lt_i16_e32 vcc_lo, 22, v27
	s_mov_b32 s1, -1
	s_cbranch_vccz .LBB65_1767
; %bb.1736:
	v_cmp_gt_i16_e32 vcc_lo, 24, v27
	s_cbranch_vccnz .LBB65_1756
; %bb.1737:
	v_cmp_lt_i16_e32 vcc_lo, 24, v27
	s_cbranch_vccz .LBB65_1745
; %bb.1738:
	v_and_b32_e32 v4, 0x7fffffff, v0
	v_mov_b32_e32 v5, 0x80
	s_mov_b32 s1, exec_lo
	s_delay_alu instid0(VALU_DEP_2)
	v_cmpx_gt_u32_e32 0x47800000, v4
	s_cbranch_execz .LBB65_1744
; %bb.1739:
	v_cmp_lt_u32_e32 vcc_lo, 0x37ffffff, v4
	s_mov_b32 s2, 0
                                        ; implicit-def: $vgpr4
	s_and_saveexec_b32 s3, vcc_lo
	s_delay_alu instid0(SALU_CYCLE_1)
	s_xor_b32 s3, exec_lo, s3
	s_cbranch_execz .LBB65_2183
; %bb.1740:
	v_bfe_u32 v4, v0, 21, 1
	s_mov_b32 s2, exec_lo
	s_delay_alu instid0(VALU_DEP_1) | instskip(NEXT) | instid1(VALU_DEP_1)
	v_add3_u32 v4, v0, v4, 0x88fffff
	v_lshrrev_b32_e32 v4, 21, v4
	s_or_saveexec_b32 s3, s3
                                        ; implicit-def: $sgpr4
	s_delay_alu instid0(SALU_CYCLE_1)
	s_xor_b32 exec_lo, exec_lo, s3
	s_cbranch_execnz .LBB65_2184
.LBB65_1741:
	s_or_b32 exec_lo, exec_lo, s3
	v_mov_b32_e32 v5, s4
	s_and_saveexec_b32 s3, s2
.LBB65_1742:
	v_lshrrev_b32_e32 v5, 24, v0
	s_delay_alu instid0(VALU_DEP_1)
	v_and_or_b32 v5, 0x80, v5, v4
.LBB65_1743:
	s_or_b32 exec_lo, exec_lo, s3
.LBB65_1744:
	s_delay_alu instid0(SALU_CYCLE_1)
	s_or_b32 exec_lo, exec_lo, s1
	s_mov_b32 s1, 0
	global_store_b8 v[2:3], v5, off
.LBB65_1745:
	s_and_b32 vcc_lo, exec_lo, s1
	s_cbranch_vccz .LBB65_1755
; %bb.1746:
	v_and_b32_e32 v5, 0x7fffffff, v0
	s_mov_b32 s1, exec_lo
                                        ; implicit-def: $vgpr4
	s_delay_alu instid0(VALU_DEP_1)
	v_cmpx_gt_u32_e32 0x43f00000, v5
	s_xor_b32 s1, exec_lo, s1
	s_cbranch_execz .LBB65_1752
; %bb.1747:
	s_mov_b32 s2, exec_lo
                                        ; implicit-def: $vgpr4
	v_cmpx_lt_u32_e32 0x3c7fffff, v5
	s_xor_b32 s2, exec_lo, s2
; %bb.1748:
	v_bfe_u32 v4, v0, 20, 1
	s_delay_alu instid0(VALU_DEP_1) | instskip(NEXT) | instid1(VALU_DEP_1)
	v_add3_u32 v4, v0, v4, 0x407ffff
	v_and_b32_e32 v5, 0xff00000, v4
	v_lshrrev_b32_e32 v4, 20, v4
	s_delay_alu instid0(VALU_DEP_2) | instskip(NEXT) | instid1(VALU_DEP_2)
	v_cmp_ne_u32_e32 vcc_lo, 0x7f00000, v5
	v_cndmask_b32_e32 v4, 0x7e, v4, vcc_lo
; %bb.1749:
	s_and_not1_saveexec_b32 s2, s2
; %bb.1750:
	v_add_f32_e64 v4, 0x46800000, |v0|
; %bb.1751:
	s_or_b32 exec_lo, exec_lo, s2
                                        ; implicit-def: $vgpr5
.LBB65_1752:
	s_and_not1_saveexec_b32 s1, s1
; %bb.1753:
	v_mov_b32_e32 v4, 0x7f
	v_cmp_lt_u32_e32 vcc_lo, 0x7f800000, v5
	s_delay_alu instid0(VALU_DEP_2)
	v_cndmask_b32_e32 v4, 0x7e, v4, vcc_lo
; %bb.1754:
	s_or_b32 exec_lo, exec_lo, s1
	v_lshrrev_b32_e32 v5, 24, v0
	s_delay_alu instid0(VALU_DEP_1)
	v_and_or_b32 v4, 0x80, v5, v4
	global_store_b8 v[2:3], v4, off
.LBB65_1755:
	s_mov_b32 s1, 0
.LBB65_1756:
	s_delay_alu instid0(SALU_CYCLE_1)
	s_and_not1_b32 vcc_lo, exec_lo, s1
	s_cbranch_vccnz .LBB65_1766
; %bb.1757:
	v_and_b32_e32 v5, 0x7fffffff, v0
	s_mov_b32 s1, exec_lo
                                        ; implicit-def: $vgpr4
	s_delay_alu instid0(VALU_DEP_1)
	v_cmpx_gt_u32_e32 0x47800000, v5
	s_xor_b32 s1, exec_lo, s1
	s_cbranch_execz .LBB65_1763
; %bb.1758:
	s_mov_b32 s2, exec_lo
                                        ; implicit-def: $vgpr4
	v_cmpx_lt_u32_e32 0x387fffff, v5
	s_xor_b32 s2, exec_lo, s2
; %bb.1759:
	v_bfe_u32 v4, v0, 21, 1
	s_delay_alu instid0(VALU_DEP_1) | instskip(NEXT) | instid1(VALU_DEP_1)
	v_add3_u32 v4, v0, v4, 0x80fffff
	v_lshrrev_b32_e32 v4, 21, v4
; %bb.1760:
	s_and_not1_saveexec_b32 s2, s2
; %bb.1761:
	v_add_f32_e64 v4, 0x43000000, |v0|
; %bb.1762:
	s_or_b32 exec_lo, exec_lo, s2
                                        ; implicit-def: $vgpr5
.LBB65_1763:
	s_and_not1_saveexec_b32 s1, s1
; %bb.1764:
	v_mov_b32_e32 v4, 0x7f
	v_cmp_lt_u32_e32 vcc_lo, 0x7f800000, v5
	s_delay_alu instid0(VALU_DEP_2)
	v_cndmask_b32_e32 v4, 0x7c, v4, vcc_lo
; %bb.1765:
	s_or_b32 exec_lo, exec_lo, s1
	v_lshrrev_b32_e32 v5, 24, v0
	s_delay_alu instid0(VALU_DEP_1)
	v_and_or_b32 v4, 0x80, v5, v4
	global_store_b8 v[2:3], v4, off
.LBB65_1766:
	s_mov_b32 s1, 0
	s_mov_b32 s2, -1
.LBB65_1767:
	s_and_not1_b32 vcc_lo, exec_lo, s1
	s_mov_b32 s1, 0
	s_cbranch_vccnz .LBB65_1774
; %bb.1768:
	v_cmp_lt_i16_e32 vcc_lo, 14, v27
	s_mov_b32 s1, -1
	s_cbranch_vccz .LBB65_1772
; %bb.1769:
	v_cmp_eq_u16_e32 vcc_lo, 15, v27
	s_mov_b32 s0, -1
	s_cbranch_vccz .LBB65_1771
; %bb.1770:
	v_bfe_u32 v4, v0, 16, 1
	v_cmp_o_f32_e32 vcc_lo, v0, v0
	s_mov_b32 s0, 0
	s_mov_b32 s2, -1
	s_delay_alu instid0(VALU_DEP_2) | instskip(NEXT) | instid1(VALU_DEP_1)
	v_add3_u32 v4, v0, v4, 0x7fff
	v_lshrrev_b32_e32 v4, 16, v4
	s_delay_alu instid0(VALU_DEP_1)
	v_cndmask_b32_e32 v4, 0x7fc0, v4, vcc_lo
	global_store_b16 v[2:3], v4, off
.LBB65_1771:
	s_mov_b32 s1, 0
.LBB65_1772:
	s_delay_alu instid0(SALU_CYCLE_1)
	s_and_b32 vcc_lo, exec_lo, s1
	s_mov_b32 s1, 0
	s_cbranch_vccz .LBB65_1774
; %bb.1773:
	v_cmp_ne_u16_e64 s0, 11, v27
	s_mov_b32 s1, -1
.LBB65_1774:
	s_delay_alu instid0(VALU_DEP_1)
	s_and_b32 vcc_lo, exec_lo, s0
	s_cbranch_vccnz .LBB65_2181
; %bb.1775:
	s_and_not1_b32 vcc_lo, exec_lo, s1
	s_cbranch_vccnz .LBB65_1777
.LBB65_1776:
	v_or_b32_e32 v4, v0, v1
	s_mov_b32 s2, -1
	s_delay_alu instid0(VALU_DEP_1) | instskip(NEXT) | instid1(VALU_DEP_1)
	v_and_b32_e32 v4, 0x7fffffff, v4
	v_cmp_ne_u32_e32 vcc_lo, 0, v4
	v_cndmask_b32_e64 v4, 0, 1, vcc_lo
	global_store_b8 v[2:3], v4, off
.LBB65_1777:
	s_mov_b32 s0, 0
.LBB65_1778:
	s_delay_alu instid0(SALU_CYCLE_1)
	s_and_b32 vcc_lo, exec_lo, s0
	s_cbranch_vccz .LBB65_1817
; %bb.1779:
	v_cmp_gt_i16_e32 vcc_lo, 5, v27
	s_mov_b32 s0, -1
	s_cbranch_vccnz .LBB65_1800
; %bb.1780:
	v_cmp_gt_i16_e32 vcc_lo, 8, v27
	s_cbranch_vccnz .LBB65_1790
; %bb.1781:
	v_cmp_gt_i16_e32 vcc_lo, 9, v27
	s_cbranch_vccnz .LBB65_1787
; %bb.1782:
	v_cmp_lt_i16_e32 vcc_lo, 9, v27
	s_cbranch_vccz .LBB65_1784
; %bb.1783:
	v_cvt_f64_f32_e32 v[4:5], v0
	v_cvt_f64_f32_e32 v[6:7], v1
	s_mov_b32 s0, 0
	global_store_b128 v[2:3], v[4:7], off
.LBB65_1784:
	s_and_not1_b32 vcc_lo, exec_lo, s0
	s_cbranch_vccnz .LBB65_1786
; %bb.1785:
	global_store_b64 v[2:3], v[0:1], off
.LBB65_1786:
	s_mov_b32 s0, 0
.LBB65_1787:
	s_delay_alu instid0(SALU_CYCLE_1)
	s_and_not1_b32 vcc_lo, exec_lo, s0
	s_cbranch_vccnz .LBB65_1789
; %bb.1788:
	v_cvt_f16_f32_e32 v1, v1
	v_cvt_f16_f32_e32 v4, v0
	s_delay_alu instid0(VALU_DEP_2) | instskip(NEXT) | instid1(VALU_DEP_2)
	v_lshlrev_b32_e32 v1, 16, v1
	v_and_b32_e32 v4, 0xffff, v4
	s_delay_alu instid0(VALU_DEP_1)
	v_or_b32_e32 v1, v1, v4
	global_store_b32 v[2:3], v1, off
.LBB65_1789:
	s_mov_b32 s0, 0
.LBB65_1790:
	s_delay_alu instid0(SALU_CYCLE_1)
	s_and_not1_b32 vcc_lo, exec_lo, s0
	s_cbranch_vccnz .LBB65_1799
; %bb.1791:
	v_cmp_gt_i16_e32 vcc_lo, 6, v27
	s_mov_b32 s0, -1
	s_cbranch_vccnz .LBB65_1797
; %bb.1792:
	v_cmp_lt_i16_e32 vcc_lo, 6, v27
	s_cbranch_vccz .LBB65_1794
; %bb.1793:
	v_cvt_f64_f32_e32 v[4:5], v0
	s_mov_b32 s0, 0
	global_store_b64 v[2:3], v[4:5], off
.LBB65_1794:
	s_and_not1_b32 vcc_lo, exec_lo, s0
	s_cbranch_vccnz .LBB65_1796
; %bb.1795:
	global_store_b32 v[2:3], v0, off
.LBB65_1796:
	s_mov_b32 s0, 0
.LBB65_1797:
	s_delay_alu instid0(SALU_CYCLE_1)
	s_and_not1_b32 vcc_lo, exec_lo, s0
	s_cbranch_vccnz .LBB65_1799
; %bb.1798:
	v_cvt_f16_f32_e32 v1, v0
	global_store_b16 v[2:3], v1, off
.LBB65_1799:
	s_mov_b32 s0, 0
.LBB65_1800:
	s_delay_alu instid0(SALU_CYCLE_1)
	s_and_not1_b32 vcc_lo, exec_lo, s0
	s_cbranch_vccnz .LBB65_1816
; %bb.1801:
	v_cmp_gt_i16_e32 vcc_lo, 2, v27
	s_mov_b32 s0, -1
	s_cbranch_vccnz .LBB65_1811
; %bb.1802:
	v_cmp_gt_i16_e32 vcc_lo, 3, v27
	s_cbranch_vccnz .LBB65_1808
; %bb.1803:
	v_cmp_lt_i16_e32 vcc_lo, 3, v27
	s_cbranch_vccz .LBB65_1805
; %bb.1804:
	v_trunc_f32_e32 v1, v0
	s_mov_b32 s0, 0
	s_delay_alu instid0(VALU_DEP_1) | instskip(NEXT) | instid1(VALU_DEP_1)
	v_mul_f32_e64 v4, 0x2f800000, |v1|
	v_floor_f32_e32 v4, v4
	s_delay_alu instid0(VALU_DEP_1) | instskip(SKIP_2) | instid1(VALU_DEP_3)
	v_fma_f32 v5, 0xcf800000, v4, |v1|
	v_ashrrev_i32_e32 v1, 31, v1
	v_cvt_u32_f32_e32 v4, v4
	v_cvt_u32_f32_e32 v5, v5
	s_delay_alu instid0(VALU_DEP_2) | instskip(NEXT) | instid1(VALU_DEP_2)
	v_xor_b32_e32 v6, v4, v1
	v_xor_b32_e32 v5, v5, v1
	s_delay_alu instid0(VALU_DEP_1) | instskip(NEXT) | instid1(VALU_DEP_3)
	v_sub_co_u32 v4, vcc_lo, v5, v1
	v_sub_co_ci_u32_e32 v5, vcc_lo, v6, v1, vcc_lo
	global_store_b64 v[2:3], v[4:5], off
.LBB65_1805:
	s_and_not1_b32 vcc_lo, exec_lo, s0
	s_cbranch_vccnz .LBB65_1807
; %bb.1806:
	v_cvt_i32_f32_e32 v1, v0
	global_store_b32 v[2:3], v1, off
.LBB65_1807:
	s_mov_b32 s0, 0
.LBB65_1808:
	s_delay_alu instid0(SALU_CYCLE_1)
	s_and_not1_b32 vcc_lo, exec_lo, s0
	s_cbranch_vccnz .LBB65_1810
; %bb.1809:
	v_cvt_i32_f32_e32 v1, v0
	global_store_b16 v[2:3], v1, off
.LBB65_1810:
	s_mov_b32 s0, 0
.LBB65_1811:
	s_delay_alu instid0(SALU_CYCLE_1)
	s_and_not1_b32 vcc_lo, exec_lo, s0
	s_cbranch_vccnz .LBB65_1816
; %bb.1812:
	v_cmp_lt_i16_e32 vcc_lo, 0, v27
	s_mov_b32 s0, -1
	s_cbranch_vccz .LBB65_1814
; %bb.1813:
	v_cvt_i32_f32_e32 v1, v0
	s_mov_b32 s0, 0
	global_store_b8 v[2:3], v1, off
.LBB65_1814:
	s_and_not1_b32 vcc_lo, exec_lo, s0
	s_cbranch_vccnz .LBB65_1816
; %bb.1815:
	v_trunc_f32_e32 v0, v0
	s_delay_alu instid0(VALU_DEP_1) | instskip(NEXT) | instid1(VALU_DEP_1)
	v_mul_f32_e64 v1, 0x2f800000, |v0|
	v_floor_f32_e32 v1, v1
	s_delay_alu instid0(VALU_DEP_1) | instskip(SKIP_1) | instid1(VALU_DEP_2)
	v_fma_f32 v1, 0xcf800000, v1, |v0|
	v_ashrrev_i32_e32 v0, 31, v0
	v_cvt_u32_f32_e32 v1, v1
	s_delay_alu instid0(VALU_DEP_1) | instskip(NEXT) | instid1(VALU_DEP_1)
	v_xor_b32_e32 v1, v1, v0
	v_sub_nc_u32_e32 v0, v1, v0
	global_store_b8 v[2:3], v0, off
.LBB65_1816:
	s_mov_b32 s2, -1
.LBB65_1817:
	s_delay_alu instid0(SALU_CYCLE_1)
	s_and_not1_b32 vcc_lo, exec_lo, s2
	s_cbranch_vccnz .LBB65_2130
; %bb.1818:
	v_dual_mov_b32 v0, v17 :: v_dual_mov_b32 v1, v18
	s_getpc_b64 s[0:1]
	s_add_u32 s0, s0, _ZN16c10_complex_math3expIfEEN3c107complexIT_EERKS4_@rel32@lo+4
	s_addc_u32 s1, s1, _ZN16c10_complex_math3expIfEEN3c107complexIT_EERKS4_@rel32@hi+12
	s_delay_alu instid0(SALU_CYCLE_1) | instskip(SKIP_2) | instid1(VALU_DEP_1)
	s_swappc_b64 s[30:31], s[0:1]
	v_cmp_gt_i16_e32 vcc_lo, 11, v27
	v_add_co_u32 v2, s0, s12, v25
	v_add_co_ci_u32_e64 v3, null, s13, 0, s0
	s_mov_b32 s2, 0
	s_mov_b32 s0, -1
	s_cbranch_vccnz .LBB65_1896
; %bb.1819:
	v_cmp_lt_i16_e32 vcc_lo, 25, v27
	s_mov_b32 s3, -1
	s_mov_b32 s1, 0
	s_mov_b32 s0, 0
	s_cbranch_vccz .LBB65_1852
; %bb.1820:
	v_cmp_lt_i16_e32 vcc_lo, 28, v27
	s_cbranch_vccz .LBB65_1835
; %bb.1821:
	v_cmp_lt_i16_e32 vcc_lo, 43, v27
	;; [unrolled: 3-line block ×3, first 2 shown]
	s_cbranch_vccz .LBB65_1825
; %bb.1823:
	v_cmp_eq_u16_e32 vcc_lo, 46, v27
	s_mov_b32 s0, -1
	s_mov_b32 s3, 0
	s_cbranch_vccz .LBB65_1825
; %bb.1824:
	v_bfe_u32 v4, v1, 16, 1
	v_bfe_u32 v5, v0, 16, 1
	v_cmp_o_f32_e32 vcc_lo, v1, v1
	s_mov_b32 s0, 0
	s_mov_b32 s2, -1
	v_add3_u32 v4, v1, v4, 0x7fff
	v_add3_u32 v5, v0, v5, 0x7fff
	s_delay_alu instid0(VALU_DEP_2) | instskip(NEXT) | instid1(VALU_DEP_2)
	v_and_b32_e32 v4, 0xffff0000, v4
	v_lshrrev_b32_e32 v5, 16, v5
	s_delay_alu instid0(VALU_DEP_2) | instskip(SKIP_1) | instid1(VALU_DEP_3)
	v_cndmask_b32_e32 v4, 0x7fc00000, v4, vcc_lo
	v_cmp_o_f32_e32 vcc_lo, v0, v0
	v_cndmask_b32_e32 v5, 0x7fc0, v5, vcc_lo
	s_delay_alu instid0(VALU_DEP_1)
	v_or_b32_e32 v4, v4, v5
	global_store_b32 v[2:3], v4, off
.LBB65_1825:
	s_and_b32 vcc_lo, exec_lo, s3
	s_cbranch_vccz .LBB65_1830
; %bb.1826:
	v_cmp_eq_u16_e32 vcc_lo, 44, v27
	s_mov_b32 s0, -1
	s_cbranch_vccz .LBB65_1830
; %bb.1827:
	v_bfe_u32 v5, v0, 23, 8
	v_mov_b32_e32 v4, 0xff
	s_mov_b32 s2, exec_lo
	s_delay_alu instid0(VALU_DEP_2)
	v_cmpx_ne_u32_e32 0xff, v5
; %bb.1828:
	v_and_b32_e32 v4, 0x400000, v0
	v_and_or_b32 v5, 0x3fffff, v0, v5
	s_delay_alu instid0(VALU_DEP_2) | instskip(NEXT) | instid1(VALU_DEP_2)
	v_cmp_ne_u32_e32 vcc_lo, 0, v4
	v_cmp_ne_u32_e64 s0, 0, v5
	v_lshrrev_b32_e32 v4, 23, v0
	s_delay_alu instid0(VALU_DEP_2) | instskip(NEXT) | instid1(SALU_CYCLE_1)
	s_and_b32 s0, vcc_lo, s0
	v_cndmask_b32_e64 v5, 0, 1, s0
	s_delay_alu instid0(VALU_DEP_1)
	v_add_nc_u32_e32 v4, v4, v5
; %bb.1829:
	s_or_b32 exec_lo, exec_lo, s2
	s_mov_b32 s0, 0
	s_mov_b32 s2, -1
	global_store_b8 v[2:3], v4, off
.LBB65_1830:
	s_mov_b32 s3, 0
.LBB65_1831:
	s_delay_alu instid0(SALU_CYCLE_1)
	s_and_b32 vcc_lo, exec_lo, s3
	s_cbranch_vccz .LBB65_1834
; %bb.1832:
	v_cmp_eq_u16_e32 vcc_lo, 29, v27
	s_mov_b32 s0, -1
	s_cbranch_vccz .LBB65_1834
; %bb.1833:
	v_trunc_f32_e32 v4, v0
	s_mov_b32 s0, 0
	s_mov_b32 s2, -1
	s_delay_alu instid0(VALU_DEP_1) | instskip(NEXT) | instid1(VALU_DEP_1)
	v_mul_f32_e32 v5, 0x2f800000, v4
	v_floor_f32_e32 v5, v5
	s_delay_alu instid0(VALU_DEP_1) | instskip(SKIP_1) | instid1(VALU_DEP_2)
	v_fmamk_f32 v4, v5, 0xcf800000, v4
	v_cvt_u32_f32_e32 v5, v5
	v_cvt_u32_f32_e32 v4, v4
	global_store_b64 v[2:3], v[4:5], off
.LBB65_1834:
	s_mov_b32 s3, 0
.LBB65_1835:
	s_delay_alu instid0(SALU_CYCLE_1)
	s_and_b32 vcc_lo, exec_lo, s3
	s_cbranch_vccz .LBB65_1851
; %bb.1836:
	v_cmp_gt_i16_e32 vcc_lo, 27, v27
	s_mov_b32 s2, -1
	s_cbranch_vccnz .LBB65_1842
; %bb.1837:
	v_cmp_lt_i16_e32 vcc_lo, 27, v27
	v_cvt_u32_f32_e32 v4, v0
	s_cbranch_vccz .LBB65_1839
; %bb.1838:
	s_mov_b32 s2, 0
	global_store_b32 v[2:3], v4, off
.LBB65_1839:
	s_and_not1_b32 vcc_lo, exec_lo, s2
	s_cbranch_vccnz .LBB65_1841
; %bb.1840:
	global_store_b16 v[2:3], v4, off
.LBB65_1841:
	s_mov_b32 s2, 0
.LBB65_1842:
	s_delay_alu instid0(SALU_CYCLE_1)
	s_and_not1_b32 vcc_lo, exec_lo, s2
	s_cbranch_vccnz .LBB65_1850
; %bb.1843:
	v_and_b32_e32 v4, 0x7fffffff, v0
	v_mov_b32_e32 v5, 0x80
	s_mov_b32 s2, exec_lo
	s_delay_alu instid0(VALU_DEP_2)
	v_cmpx_gt_u32_e32 0x43800000, v4
	s_cbranch_execz .LBB65_1849
; %bb.1844:
	v_cmp_lt_u32_e32 vcc_lo, 0x3bffffff, v4
	s_mov_b32 s3, 0
                                        ; implicit-def: $vgpr4
	s_and_saveexec_b32 s4, vcc_lo
	s_delay_alu instid0(SALU_CYCLE_1)
	s_xor_b32 s4, exec_lo, s4
	s_cbranch_execz .LBB65_2185
; %bb.1845:
	v_bfe_u32 v4, v0, 20, 1
	s_mov_b32 s3, exec_lo
	s_delay_alu instid0(VALU_DEP_1) | instskip(NEXT) | instid1(VALU_DEP_1)
	v_add3_u32 v4, v0, v4, 0x487ffff
	v_lshrrev_b32_e32 v4, 20, v4
	s_or_saveexec_b32 s4, s4
                                        ; implicit-def: $sgpr5
	s_delay_alu instid0(SALU_CYCLE_1)
	s_xor_b32 exec_lo, exec_lo, s4
	s_cbranch_execnz .LBB65_2186
.LBB65_1846:
	s_or_b32 exec_lo, exec_lo, s4
	v_mov_b32_e32 v5, s5
	s_and_saveexec_b32 s4, s3
.LBB65_1847:
	v_lshrrev_b32_e32 v5, 24, v0
	s_delay_alu instid0(VALU_DEP_1)
	v_and_or_b32 v5, 0x80, v5, v4
.LBB65_1848:
	s_or_b32 exec_lo, exec_lo, s4
.LBB65_1849:
	s_delay_alu instid0(SALU_CYCLE_1)
	s_or_b32 exec_lo, exec_lo, s2
	global_store_b8 v[2:3], v5, off
.LBB65_1850:
	s_mov_b32 s2, -1
.LBB65_1851:
	s_mov_b32 s3, 0
.LBB65_1852:
	s_delay_alu instid0(SALU_CYCLE_1)
	s_and_b32 vcc_lo, exec_lo, s3
	s_cbranch_vccz .LBB65_1892
; %bb.1853:
	v_cmp_lt_i16_e32 vcc_lo, 22, v27
	s_mov_b32 s1, -1
	s_cbranch_vccz .LBB65_1885
; %bb.1854:
	v_cmp_gt_i16_e32 vcc_lo, 24, v27
	s_cbranch_vccnz .LBB65_1874
; %bb.1855:
	v_cmp_lt_i16_e32 vcc_lo, 24, v27
	s_cbranch_vccz .LBB65_1863
; %bb.1856:
	v_and_b32_e32 v4, 0x7fffffff, v0
	v_mov_b32_e32 v5, 0x80
	s_mov_b32 s1, exec_lo
	s_delay_alu instid0(VALU_DEP_2)
	v_cmpx_gt_u32_e32 0x47800000, v4
	s_cbranch_execz .LBB65_1862
; %bb.1857:
	v_cmp_lt_u32_e32 vcc_lo, 0x37ffffff, v4
	s_mov_b32 s2, 0
                                        ; implicit-def: $vgpr4
	s_and_saveexec_b32 s3, vcc_lo
	s_delay_alu instid0(SALU_CYCLE_1)
	s_xor_b32 s3, exec_lo, s3
	s_cbranch_execz .LBB65_2191
; %bb.1858:
	v_bfe_u32 v4, v0, 21, 1
	s_mov_b32 s2, exec_lo
	s_delay_alu instid0(VALU_DEP_1) | instskip(NEXT) | instid1(VALU_DEP_1)
	v_add3_u32 v4, v0, v4, 0x88fffff
	v_lshrrev_b32_e32 v4, 21, v4
	s_or_saveexec_b32 s3, s3
                                        ; implicit-def: $sgpr4
	s_delay_alu instid0(SALU_CYCLE_1)
	s_xor_b32 exec_lo, exec_lo, s3
	s_cbranch_execnz .LBB65_2192
.LBB65_1859:
	s_or_b32 exec_lo, exec_lo, s3
	v_mov_b32_e32 v5, s4
	s_and_saveexec_b32 s3, s2
.LBB65_1860:
	v_lshrrev_b32_e32 v5, 24, v0
	s_delay_alu instid0(VALU_DEP_1)
	v_and_or_b32 v5, 0x80, v5, v4
.LBB65_1861:
	s_or_b32 exec_lo, exec_lo, s3
.LBB65_1862:
	s_delay_alu instid0(SALU_CYCLE_1)
	s_or_b32 exec_lo, exec_lo, s1
	s_mov_b32 s1, 0
	global_store_b8 v[2:3], v5, off
.LBB65_1863:
	s_and_b32 vcc_lo, exec_lo, s1
	s_cbranch_vccz .LBB65_1873
; %bb.1864:
	v_and_b32_e32 v5, 0x7fffffff, v0
	s_mov_b32 s1, exec_lo
                                        ; implicit-def: $vgpr4
	s_delay_alu instid0(VALU_DEP_1)
	v_cmpx_gt_u32_e32 0x43f00000, v5
	s_xor_b32 s1, exec_lo, s1
	s_cbranch_execz .LBB65_1870
; %bb.1865:
	s_mov_b32 s2, exec_lo
                                        ; implicit-def: $vgpr4
	v_cmpx_lt_u32_e32 0x3c7fffff, v5
	s_xor_b32 s2, exec_lo, s2
; %bb.1866:
	v_bfe_u32 v4, v0, 20, 1
	s_delay_alu instid0(VALU_DEP_1) | instskip(NEXT) | instid1(VALU_DEP_1)
	v_add3_u32 v4, v0, v4, 0x407ffff
	v_and_b32_e32 v5, 0xff00000, v4
	v_lshrrev_b32_e32 v4, 20, v4
	s_delay_alu instid0(VALU_DEP_2) | instskip(NEXT) | instid1(VALU_DEP_2)
	v_cmp_ne_u32_e32 vcc_lo, 0x7f00000, v5
	v_cndmask_b32_e32 v4, 0x7e, v4, vcc_lo
; %bb.1867:
	s_and_not1_saveexec_b32 s2, s2
; %bb.1868:
	v_add_f32_e64 v4, 0x46800000, |v0|
; %bb.1869:
	s_or_b32 exec_lo, exec_lo, s2
                                        ; implicit-def: $vgpr5
.LBB65_1870:
	s_and_not1_saveexec_b32 s1, s1
; %bb.1871:
	v_mov_b32_e32 v4, 0x7f
	v_cmp_lt_u32_e32 vcc_lo, 0x7f800000, v5
	s_delay_alu instid0(VALU_DEP_2)
	v_cndmask_b32_e32 v4, 0x7e, v4, vcc_lo
; %bb.1872:
	s_or_b32 exec_lo, exec_lo, s1
	v_lshrrev_b32_e32 v5, 24, v0
	s_delay_alu instid0(VALU_DEP_1)
	v_and_or_b32 v4, 0x80, v5, v4
	global_store_b8 v[2:3], v4, off
.LBB65_1873:
	s_mov_b32 s1, 0
.LBB65_1874:
	s_delay_alu instid0(SALU_CYCLE_1)
	s_and_not1_b32 vcc_lo, exec_lo, s1
	s_cbranch_vccnz .LBB65_1884
; %bb.1875:
	v_and_b32_e32 v5, 0x7fffffff, v0
	s_mov_b32 s1, exec_lo
                                        ; implicit-def: $vgpr4
	s_delay_alu instid0(VALU_DEP_1)
	v_cmpx_gt_u32_e32 0x47800000, v5
	s_xor_b32 s1, exec_lo, s1
	s_cbranch_execz .LBB65_1881
; %bb.1876:
	s_mov_b32 s2, exec_lo
                                        ; implicit-def: $vgpr4
	v_cmpx_lt_u32_e32 0x387fffff, v5
	s_xor_b32 s2, exec_lo, s2
; %bb.1877:
	v_bfe_u32 v4, v0, 21, 1
	s_delay_alu instid0(VALU_DEP_1) | instskip(NEXT) | instid1(VALU_DEP_1)
	v_add3_u32 v4, v0, v4, 0x80fffff
	v_lshrrev_b32_e32 v4, 21, v4
; %bb.1878:
	s_and_not1_saveexec_b32 s2, s2
; %bb.1879:
	v_add_f32_e64 v4, 0x43000000, |v0|
; %bb.1880:
	s_or_b32 exec_lo, exec_lo, s2
                                        ; implicit-def: $vgpr5
.LBB65_1881:
	s_and_not1_saveexec_b32 s1, s1
; %bb.1882:
	v_mov_b32_e32 v4, 0x7f
	v_cmp_lt_u32_e32 vcc_lo, 0x7f800000, v5
	s_delay_alu instid0(VALU_DEP_2)
	v_cndmask_b32_e32 v4, 0x7c, v4, vcc_lo
; %bb.1883:
	s_or_b32 exec_lo, exec_lo, s1
	v_lshrrev_b32_e32 v5, 24, v0
	s_delay_alu instid0(VALU_DEP_1)
	v_and_or_b32 v4, 0x80, v5, v4
	global_store_b8 v[2:3], v4, off
.LBB65_1884:
	s_mov_b32 s1, 0
	s_mov_b32 s2, -1
.LBB65_1885:
	s_and_not1_b32 vcc_lo, exec_lo, s1
	s_mov_b32 s1, 0
	s_cbranch_vccnz .LBB65_1892
; %bb.1886:
	v_cmp_lt_i16_e32 vcc_lo, 14, v27
	s_mov_b32 s1, -1
	s_cbranch_vccz .LBB65_1890
; %bb.1887:
	v_cmp_eq_u16_e32 vcc_lo, 15, v27
	s_mov_b32 s0, -1
	s_cbranch_vccz .LBB65_1889
; %bb.1888:
	v_bfe_u32 v4, v0, 16, 1
	v_cmp_o_f32_e32 vcc_lo, v0, v0
	s_mov_b32 s0, 0
	s_mov_b32 s2, -1
	s_delay_alu instid0(VALU_DEP_2) | instskip(NEXT) | instid1(VALU_DEP_1)
	v_add3_u32 v4, v0, v4, 0x7fff
	v_lshrrev_b32_e32 v4, 16, v4
	s_delay_alu instid0(VALU_DEP_1)
	v_cndmask_b32_e32 v4, 0x7fc0, v4, vcc_lo
	global_store_b16 v[2:3], v4, off
.LBB65_1889:
	s_mov_b32 s1, 0
.LBB65_1890:
	s_delay_alu instid0(SALU_CYCLE_1)
	s_and_b32 vcc_lo, exec_lo, s1
	s_mov_b32 s1, 0
	s_cbranch_vccz .LBB65_1892
; %bb.1891:
	v_cmp_ne_u16_e64 s0, 11, v27
	s_mov_b32 s1, -1
.LBB65_1892:
	s_delay_alu instid0(VALU_DEP_1)
	s_and_b32 vcc_lo, exec_lo, s0
	s_cbranch_vccnz .LBB65_2189
; %bb.1893:
	s_and_not1_b32 vcc_lo, exec_lo, s1
	s_cbranch_vccnz .LBB65_1895
.LBB65_1894:
	v_or_b32_e32 v4, v0, v1
	s_mov_b32 s2, -1
	s_delay_alu instid0(VALU_DEP_1) | instskip(NEXT) | instid1(VALU_DEP_1)
	v_and_b32_e32 v4, 0x7fffffff, v4
	v_cmp_ne_u32_e32 vcc_lo, 0, v4
	v_cndmask_b32_e64 v4, 0, 1, vcc_lo
	global_store_b8 v[2:3], v4, off
.LBB65_1895:
	s_mov_b32 s0, 0
.LBB65_1896:
	s_delay_alu instid0(SALU_CYCLE_1)
	s_and_b32 vcc_lo, exec_lo, s0
	s_cbranch_vccz .LBB65_1935
; %bb.1897:
	v_cmp_gt_i16_e32 vcc_lo, 5, v27
	s_mov_b32 s0, -1
	s_cbranch_vccnz .LBB65_1918
; %bb.1898:
	v_cmp_gt_i16_e32 vcc_lo, 8, v27
	s_cbranch_vccnz .LBB65_1908
; %bb.1899:
	v_cmp_gt_i16_e32 vcc_lo, 9, v27
	s_cbranch_vccnz .LBB65_1905
; %bb.1900:
	v_cmp_lt_i16_e32 vcc_lo, 9, v27
	s_cbranch_vccz .LBB65_1902
; %bb.1901:
	v_cvt_f64_f32_e32 v[4:5], v0
	v_cvt_f64_f32_e32 v[6:7], v1
	s_mov_b32 s0, 0
	global_store_b128 v[2:3], v[4:7], off
.LBB65_1902:
	s_and_not1_b32 vcc_lo, exec_lo, s0
	s_cbranch_vccnz .LBB65_1904
; %bb.1903:
	global_store_b64 v[2:3], v[0:1], off
.LBB65_1904:
	s_mov_b32 s0, 0
.LBB65_1905:
	s_delay_alu instid0(SALU_CYCLE_1)
	s_and_not1_b32 vcc_lo, exec_lo, s0
	s_cbranch_vccnz .LBB65_1907
; %bb.1906:
	v_cvt_f16_f32_e32 v1, v1
	v_cvt_f16_f32_e32 v4, v0
	s_delay_alu instid0(VALU_DEP_2) | instskip(NEXT) | instid1(VALU_DEP_2)
	v_lshlrev_b32_e32 v1, 16, v1
	v_and_b32_e32 v4, 0xffff, v4
	s_delay_alu instid0(VALU_DEP_1)
	v_or_b32_e32 v1, v1, v4
	global_store_b32 v[2:3], v1, off
.LBB65_1907:
	s_mov_b32 s0, 0
.LBB65_1908:
	s_delay_alu instid0(SALU_CYCLE_1)
	s_and_not1_b32 vcc_lo, exec_lo, s0
	s_cbranch_vccnz .LBB65_1917
; %bb.1909:
	v_cmp_gt_i16_e32 vcc_lo, 6, v27
	s_mov_b32 s0, -1
	s_cbranch_vccnz .LBB65_1915
; %bb.1910:
	v_cmp_lt_i16_e32 vcc_lo, 6, v27
	s_cbranch_vccz .LBB65_1912
; %bb.1911:
	v_cvt_f64_f32_e32 v[4:5], v0
	s_mov_b32 s0, 0
	global_store_b64 v[2:3], v[4:5], off
.LBB65_1912:
	s_and_not1_b32 vcc_lo, exec_lo, s0
	s_cbranch_vccnz .LBB65_1914
; %bb.1913:
	global_store_b32 v[2:3], v0, off
.LBB65_1914:
	s_mov_b32 s0, 0
.LBB65_1915:
	s_delay_alu instid0(SALU_CYCLE_1)
	s_and_not1_b32 vcc_lo, exec_lo, s0
	s_cbranch_vccnz .LBB65_1917
; %bb.1916:
	v_cvt_f16_f32_e32 v1, v0
	global_store_b16 v[2:3], v1, off
.LBB65_1917:
	s_mov_b32 s0, 0
.LBB65_1918:
	s_delay_alu instid0(SALU_CYCLE_1)
	s_and_not1_b32 vcc_lo, exec_lo, s0
	s_cbranch_vccnz .LBB65_1934
; %bb.1919:
	v_cmp_gt_i16_e32 vcc_lo, 2, v27
	s_mov_b32 s0, -1
	s_cbranch_vccnz .LBB65_1929
; %bb.1920:
	v_cmp_gt_i16_e32 vcc_lo, 3, v27
	s_cbranch_vccnz .LBB65_1926
; %bb.1921:
	v_cmp_lt_i16_e32 vcc_lo, 3, v27
	s_cbranch_vccz .LBB65_1923
; %bb.1922:
	v_trunc_f32_e32 v1, v0
	s_mov_b32 s0, 0
	s_delay_alu instid0(VALU_DEP_1) | instskip(NEXT) | instid1(VALU_DEP_1)
	v_mul_f32_e64 v4, 0x2f800000, |v1|
	v_floor_f32_e32 v4, v4
	s_delay_alu instid0(VALU_DEP_1) | instskip(SKIP_2) | instid1(VALU_DEP_3)
	v_fma_f32 v5, 0xcf800000, v4, |v1|
	v_ashrrev_i32_e32 v1, 31, v1
	v_cvt_u32_f32_e32 v4, v4
	v_cvt_u32_f32_e32 v5, v5
	s_delay_alu instid0(VALU_DEP_2) | instskip(NEXT) | instid1(VALU_DEP_2)
	v_xor_b32_e32 v6, v4, v1
	v_xor_b32_e32 v5, v5, v1
	s_delay_alu instid0(VALU_DEP_1) | instskip(NEXT) | instid1(VALU_DEP_3)
	v_sub_co_u32 v4, vcc_lo, v5, v1
	v_sub_co_ci_u32_e32 v5, vcc_lo, v6, v1, vcc_lo
	global_store_b64 v[2:3], v[4:5], off
.LBB65_1923:
	s_and_not1_b32 vcc_lo, exec_lo, s0
	s_cbranch_vccnz .LBB65_1925
; %bb.1924:
	v_cvt_i32_f32_e32 v1, v0
	global_store_b32 v[2:3], v1, off
.LBB65_1925:
	s_mov_b32 s0, 0
.LBB65_1926:
	s_delay_alu instid0(SALU_CYCLE_1)
	s_and_not1_b32 vcc_lo, exec_lo, s0
	s_cbranch_vccnz .LBB65_1928
; %bb.1927:
	v_cvt_i32_f32_e32 v1, v0
	global_store_b16 v[2:3], v1, off
.LBB65_1928:
	s_mov_b32 s0, 0
.LBB65_1929:
	s_delay_alu instid0(SALU_CYCLE_1)
	s_and_not1_b32 vcc_lo, exec_lo, s0
	s_cbranch_vccnz .LBB65_1934
; %bb.1930:
	v_cmp_lt_i16_e32 vcc_lo, 0, v27
	s_mov_b32 s0, -1
	s_cbranch_vccz .LBB65_1932
; %bb.1931:
	v_cvt_i32_f32_e32 v1, v0
	s_mov_b32 s0, 0
	global_store_b8 v[2:3], v1, off
.LBB65_1932:
	s_and_not1_b32 vcc_lo, exec_lo, s0
	s_cbranch_vccnz .LBB65_1934
; %bb.1933:
	v_trunc_f32_e32 v0, v0
	s_delay_alu instid0(VALU_DEP_1) | instskip(NEXT) | instid1(VALU_DEP_1)
	v_mul_f32_e64 v1, 0x2f800000, |v0|
	v_floor_f32_e32 v1, v1
	s_delay_alu instid0(VALU_DEP_1) | instskip(SKIP_1) | instid1(VALU_DEP_2)
	v_fma_f32 v1, 0xcf800000, v1, |v0|
	v_ashrrev_i32_e32 v0, 31, v0
	v_cvt_u32_f32_e32 v1, v1
	s_delay_alu instid0(VALU_DEP_1) | instskip(NEXT) | instid1(VALU_DEP_1)
	v_xor_b32_e32 v1, v1, v0
	v_sub_nc_u32_e32 v0, v1, v0
	global_store_b8 v[2:3], v0, off
.LBB65_1934:
	s_mov_b32 s2, -1
.LBB65_1935:
	s_delay_alu instid0(SALU_CYCLE_1)
	s_and_not1_b32 vcc_lo, exec_lo, s2
	s_cbranch_vccnz .LBB65_2130
; %bb.1936:
	v_dual_mov_b32 v0, v19 :: v_dual_mov_b32 v1, v20
	s_getpc_b64 s[0:1]
	s_add_u32 s0, s0, _ZN16c10_complex_math3expIfEEN3c107complexIT_EERKS4_@rel32@lo+4
	s_addc_u32 s1, s1, _ZN16c10_complex_math3expIfEEN3c107complexIT_EERKS4_@rel32@hi+12
	s_delay_alu instid0(SALU_CYCLE_1) | instskip(SKIP_2) | instid1(VALU_DEP_1)
	s_swappc_b64 s[30:31], s[0:1]
	v_cmp_gt_i16_e32 vcc_lo, 11, v27
	v_add_co_u32 v2, s0, s12, v24
	v_add_co_ci_u32_e64 v3, null, s13, 0, s0
	s_mov_b32 s2, 0
	s_mov_b32 s0, -1
	s_cbranch_vccnz .LBB65_2014
; %bb.1937:
	v_cmp_lt_i16_e32 vcc_lo, 25, v27
	s_mov_b32 s3, -1
	s_mov_b32 s1, 0
	s_mov_b32 s0, 0
	s_cbranch_vccz .LBB65_1970
; %bb.1938:
	v_cmp_lt_i16_e32 vcc_lo, 28, v27
	s_cbranch_vccz .LBB65_1953
; %bb.1939:
	v_cmp_lt_i16_e32 vcc_lo, 43, v27
	;; [unrolled: 3-line block ×3, first 2 shown]
	s_cbranch_vccz .LBB65_1943
; %bb.1941:
	v_cmp_eq_u16_e32 vcc_lo, 46, v27
	s_mov_b32 s0, -1
	s_mov_b32 s3, 0
	s_cbranch_vccz .LBB65_1943
; %bb.1942:
	v_bfe_u32 v4, v1, 16, 1
	v_bfe_u32 v5, v0, 16, 1
	v_cmp_o_f32_e32 vcc_lo, v1, v1
	s_mov_b32 s0, 0
	s_mov_b32 s2, -1
	v_add3_u32 v4, v1, v4, 0x7fff
	v_add3_u32 v5, v0, v5, 0x7fff
	s_delay_alu instid0(VALU_DEP_2) | instskip(NEXT) | instid1(VALU_DEP_2)
	v_and_b32_e32 v4, 0xffff0000, v4
	v_lshrrev_b32_e32 v5, 16, v5
	s_delay_alu instid0(VALU_DEP_2) | instskip(SKIP_1) | instid1(VALU_DEP_3)
	v_cndmask_b32_e32 v4, 0x7fc00000, v4, vcc_lo
	v_cmp_o_f32_e32 vcc_lo, v0, v0
	v_cndmask_b32_e32 v5, 0x7fc0, v5, vcc_lo
	s_delay_alu instid0(VALU_DEP_1)
	v_or_b32_e32 v4, v4, v5
	global_store_b32 v[2:3], v4, off
.LBB65_1943:
	s_and_b32 vcc_lo, exec_lo, s3
	s_cbranch_vccz .LBB65_1948
; %bb.1944:
	v_cmp_eq_u16_e32 vcc_lo, 44, v27
	s_mov_b32 s0, -1
	s_cbranch_vccz .LBB65_1948
; %bb.1945:
	v_bfe_u32 v5, v0, 23, 8
	v_mov_b32_e32 v4, 0xff
	s_mov_b32 s2, exec_lo
	s_delay_alu instid0(VALU_DEP_2)
	v_cmpx_ne_u32_e32 0xff, v5
; %bb.1946:
	v_and_b32_e32 v4, 0x400000, v0
	v_and_or_b32 v5, 0x3fffff, v0, v5
	s_delay_alu instid0(VALU_DEP_2) | instskip(NEXT) | instid1(VALU_DEP_2)
	v_cmp_ne_u32_e32 vcc_lo, 0, v4
	v_cmp_ne_u32_e64 s0, 0, v5
	v_lshrrev_b32_e32 v4, 23, v0
	s_delay_alu instid0(VALU_DEP_2) | instskip(NEXT) | instid1(SALU_CYCLE_1)
	s_and_b32 s0, vcc_lo, s0
	v_cndmask_b32_e64 v5, 0, 1, s0
	s_delay_alu instid0(VALU_DEP_1)
	v_add_nc_u32_e32 v4, v4, v5
; %bb.1947:
	s_or_b32 exec_lo, exec_lo, s2
	s_mov_b32 s0, 0
	s_mov_b32 s2, -1
	global_store_b8 v[2:3], v4, off
.LBB65_1948:
	s_mov_b32 s3, 0
.LBB65_1949:
	s_delay_alu instid0(SALU_CYCLE_1)
	s_and_b32 vcc_lo, exec_lo, s3
	s_cbranch_vccz .LBB65_1952
; %bb.1950:
	v_cmp_eq_u16_e32 vcc_lo, 29, v27
	s_mov_b32 s0, -1
	s_cbranch_vccz .LBB65_1952
; %bb.1951:
	v_trunc_f32_e32 v4, v0
	s_mov_b32 s0, 0
	s_mov_b32 s2, -1
	s_delay_alu instid0(VALU_DEP_1) | instskip(NEXT) | instid1(VALU_DEP_1)
	v_mul_f32_e32 v5, 0x2f800000, v4
	v_floor_f32_e32 v5, v5
	s_delay_alu instid0(VALU_DEP_1) | instskip(SKIP_1) | instid1(VALU_DEP_2)
	v_fmamk_f32 v4, v5, 0xcf800000, v4
	v_cvt_u32_f32_e32 v5, v5
	v_cvt_u32_f32_e32 v4, v4
	global_store_b64 v[2:3], v[4:5], off
.LBB65_1952:
	s_mov_b32 s3, 0
.LBB65_1953:
	s_delay_alu instid0(SALU_CYCLE_1)
	s_and_b32 vcc_lo, exec_lo, s3
	s_cbranch_vccz .LBB65_1969
; %bb.1954:
	v_cmp_gt_i16_e32 vcc_lo, 27, v27
	s_mov_b32 s2, -1
	s_cbranch_vccnz .LBB65_1960
; %bb.1955:
	v_cmp_lt_i16_e32 vcc_lo, 27, v27
	v_cvt_u32_f32_e32 v4, v0
	s_cbranch_vccz .LBB65_1957
; %bb.1956:
	s_mov_b32 s2, 0
	global_store_b32 v[2:3], v4, off
.LBB65_1957:
	s_and_not1_b32 vcc_lo, exec_lo, s2
	s_cbranch_vccnz .LBB65_1959
; %bb.1958:
	global_store_b16 v[2:3], v4, off
.LBB65_1959:
	s_mov_b32 s2, 0
.LBB65_1960:
	s_delay_alu instid0(SALU_CYCLE_1)
	s_and_not1_b32 vcc_lo, exec_lo, s2
	s_cbranch_vccnz .LBB65_1968
; %bb.1961:
	v_and_b32_e32 v4, 0x7fffffff, v0
	v_mov_b32_e32 v5, 0x80
	s_mov_b32 s2, exec_lo
	s_delay_alu instid0(VALU_DEP_2)
	v_cmpx_gt_u32_e32 0x43800000, v4
	s_cbranch_execz .LBB65_1967
; %bb.1962:
	v_cmp_lt_u32_e32 vcc_lo, 0x3bffffff, v4
	s_mov_b32 s3, 0
                                        ; implicit-def: $vgpr4
	s_and_saveexec_b32 s4, vcc_lo
	s_delay_alu instid0(SALU_CYCLE_1)
	s_xor_b32 s4, exec_lo, s4
	s_cbranch_execz .LBB65_2193
; %bb.1963:
	v_bfe_u32 v4, v0, 20, 1
	s_mov_b32 s3, exec_lo
	s_delay_alu instid0(VALU_DEP_1) | instskip(NEXT) | instid1(VALU_DEP_1)
	v_add3_u32 v4, v0, v4, 0x487ffff
	v_lshrrev_b32_e32 v4, 20, v4
	s_or_saveexec_b32 s4, s4
                                        ; implicit-def: $sgpr5
	s_delay_alu instid0(SALU_CYCLE_1)
	s_xor_b32 exec_lo, exec_lo, s4
	s_cbranch_execnz .LBB65_2194
.LBB65_1964:
	s_or_b32 exec_lo, exec_lo, s4
	v_mov_b32_e32 v5, s5
	s_and_saveexec_b32 s4, s3
.LBB65_1965:
	v_lshrrev_b32_e32 v5, 24, v0
	s_delay_alu instid0(VALU_DEP_1)
	v_and_or_b32 v5, 0x80, v5, v4
.LBB65_1966:
	s_or_b32 exec_lo, exec_lo, s4
.LBB65_1967:
	s_delay_alu instid0(SALU_CYCLE_1)
	s_or_b32 exec_lo, exec_lo, s2
	global_store_b8 v[2:3], v5, off
.LBB65_1968:
	s_mov_b32 s2, -1
.LBB65_1969:
	s_mov_b32 s3, 0
.LBB65_1970:
	s_delay_alu instid0(SALU_CYCLE_1)
	s_and_b32 vcc_lo, exec_lo, s3
	s_cbranch_vccz .LBB65_2010
; %bb.1971:
	v_cmp_lt_i16_e32 vcc_lo, 22, v27
	s_mov_b32 s1, -1
	s_cbranch_vccz .LBB65_2003
; %bb.1972:
	v_cmp_gt_i16_e32 vcc_lo, 24, v27
	s_cbranch_vccnz .LBB65_1992
; %bb.1973:
	v_cmp_lt_i16_e32 vcc_lo, 24, v27
	s_cbranch_vccz .LBB65_1981
; %bb.1974:
	v_and_b32_e32 v4, 0x7fffffff, v0
	v_mov_b32_e32 v5, 0x80
	s_mov_b32 s1, exec_lo
	s_delay_alu instid0(VALU_DEP_2)
	v_cmpx_gt_u32_e32 0x47800000, v4
	s_cbranch_execz .LBB65_1980
; %bb.1975:
	v_cmp_lt_u32_e32 vcc_lo, 0x37ffffff, v4
	s_mov_b32 s2, 0
                                        ; implicit-def: $vgpr4
	s_and_saveexec_b32 s3, vcc_lo
	s_delay_alu instid0(SALU_CYCLE_1)
	s_xor_b32 s3, exec_lo, s3
	s_cbranch_execz .LBB65_2199
; %bb.1976:
	v_bfe_u32 v4, v0, 21, 1
	s_mov_b32 s2, exec_lo
	s_delay_alu instid0(VALU_DEP_1) | instskip(NEXT) | instid1(VALU_DEP_1)
	v_add3_u32 v4, v0, v4, 0x88fffff
	v_lshrrev_b32_e32 v4, 21, v4
	s_or_saveexec_b32 s3, s3
                                        ; implicit-def: $sgpr4
	s_delay_alu instid0(SALU_CYCLE_1)
	s_xor_b32 exec_lo, exec_lo, s3
	s_cbranch_execnz .LBB65_2200
.LBB65_1977:
	s_or_b32 exec_lo, exec_lo, s3
	v_mov_b32_e32 v5, s4
	s_and_saveexec_b32 s3, s2
.LBB65_1978:
	v_lshrrev_b32_e32 v5, 24, v0
	s_delay_alu instid0(VALU_DEP_1)
	v_and_or_b32 v5, 0x80, v5, v4
.LBB65_1979:
	s_or_b32 exec_lo, exec_lo, s3
.LBB65_1980:
	s_delay_alu instid0(SALU_CYCLE_1)
	s_or_b32 exec_lo, exec_lo, s1
	s_mov_b32 s1, 0
	global_store_b8 v[2:3], v5, off
.LBB65_1981:
	s_and_b32 vcc_lo, exec_lo, s1
	s_cbranch_vccz .LBB65_1991
; %bb.1982:
	v_and_b32_e32 v5, 0x7fffffff, v0
	s_mov_b32 s1, exec_lo
                                        ; implicit-def: $vgpr4
	s_delay_alu instid0(VALU_DEP_1)
	v_cmpx_gt_u32_e32 0x43f00000, v5
	s_xor_b32 s1, exec_lo, s1
	s_cbranch_execz .LBB65_1988
; %bb.1983:
	s_mov_b32 s2, exec_lo
                                        ; implicit-def: $vgpr4
	v_cmpx_lt_u32_e32 0x3c7fffff, v5
	s_xor_b32 s2, exec_lo, s2
; %bb.1984:
	v_bfe_u32 v4, v0, 20, 1
	s_delay_alu instid0(VALU_DEP_1) | instskip(NEXT) | instid1(VALU_DEP_1)
	v_add3_u32 v4, v0, v4, 0x407ffff
	v_and_b32_e32 v5, 0xff00000, v4
	v_lshrrev_b32_e32 v4, 20, v4
	s_delay_alu instid0(VALU_DEP_2) | instskip(NEXT) | instid1(VALU_DEP_2)
	v_cmp_ne_u32_e32 vcc_lo, 0x7f00000, v5
	v_cndmask_b32_e32 v4, 0x7e, v4, vcc_lo
; %bb.1985:
	s_and_not1_saveexec_b32 s2, s2
; %bb.1986:
	v_add_f32_e64 v4, 0x46800000, |v0|
; %bb.1987:
	s_or_b32 exec_lo, exec_lo, s2
                                        ; implicit-def: $vgpr5
.LBB65_1988:
	s_and_not1_saveexec_b32 s1, s1
; %bb.1989:
	v_mov_b32_e32 v4, 0x7f
	v_cmp_lt_u32_e32 vcc_lo, 0x7f800000, v5
	s_delay_alu instid0(VALU_DEP_2)
	v_cndmask_b32_e32 v4, 0x7e, v4, vcc_lo
; %bb.1990:
	s_or_b32 exec_lo, exec_lo, s1
	v_lshrrev_b32_e32 v5, 24, v0
	s_delay_alu instid0(VALU_DEP_1)
	v_and_or_b32 v4, 0x80, v5, v4
	global_store_b8 v[2:3], v4, off
.LBB65_1991:
	s_mov_b32 s1, 0
.LBB65_1992:
	s_delay_alu instid0(SALU_CYCLE_1)
	s_and_not1_b32 vcc_lo, exec_lo, s1
	s_cbranch_vccnz .LBB65_2002
; %bb.1993:
	v_and_b32_e32 v5, 0x7fffffff, v0
	s_mov_b32 s1, exec_lo
                                        ; implicit-def: $vgpr4
	s_delay_alu instid0(VALU_DEP_1)
	v_cmpx_gt_u32_e32 0x47800000, v5
	s_xor_b32 s1, exec_lo, s1
	s_cbranch_execz .LBB65_1999
; %bb.1994:
	s_mov_b32 s2, exec_lo
                                        ; implicit-def: $vgpr4
	v_cmpx_lt_u32_e32 0x387fffff, v5
	s_xor_b32 s2, exec_lo, s2
; %bb.1995:
	v_bfe_u32 v4, v0, 21, 1
	s_delay_alu instid0(VALU_DEP_1) | instskip(NEXT) | instid1(VALU_DEP_1)
	v_add3_u32 v4, v0, v4, 0x80fffff
	v_lshrrev_b32_e32 v4, 21, v4
; %bb.1996:
	s_and_not1_saveexec_b32 s2, s2
; %bb.1997:
	v_add_f32_e64 v4, 0x43000000, |v0|
; %bb.1998:
	s_or_b32 exec_lo, exec_lo, s2
                                        ; implicit-def: $vgpr5
.LBB65_1999:
	s_and_not1_saveexec_b32 s1, s1
; %bb.2000:
	v_mov_b32_e32 v4, 0x7f
	v_cmp_lt_u32_e32 vcc_lo, 0x7f800000, v5
	s_delay_alu instid0(VALU_DEP_2)
	v_cndmask_b32_e32 v4, 0x7c, v4, vcc_lo
; %bb.2001:
	s_or_b32 exec_lo, exec_lo, s1
	v_lshrrev_b32_e32 v5, 24, v0
	s_delay_alu instid0(VALU_DEP_1)
	v_and_or_b32 v4, 0x80, v5, v4
	global_store_b8 v[2:3], v4, off
.LBB65_2002:
	s_mov_b32 s1, 0
	s_mov_b32 s2, -1
.LBB65_2003:
	s_and_not1_b32 vcc_lo, exec_lo, s1
	s_mov_b32 s1, 0
	s_cbranch_vccnz .LBB65_2010
; %bb.2004:
	v_cmp_lt_i16_e32 vcc_lo, 14, v27
	s_mov_b32 s1, -1
	s_cbranch_vccz .LBB65_2008
; %bb.2005:
	v_cmp_eq_u16_e32 vcc_lo, 15, v27
	s_mov_b32 s0, -1
	s_cbranch_vccz .LBB65_2007
; %bb.2006:
	v_bfe_u32 v4, v0, 16, 1
	v_cmp_o_f32_e32 vcc_lo, v0, v0
	s_mov_b32 s0, 0
	s_mov_b32 s2, -1
	s_delay_alu instid0(VALU_DEP_2) | instskip(NEXT) | instid1(VALU_DEP_1)
	v_add3_u32 v4, v0, v4, 0x7fff
	v_lshrrev_b32_e32 v4, 16, v4
	s_delay_alu instid0(VALU_DEP_1)
	v_cndmask_b32_e32 v4, 0x7fc0, v4, vcc_lo
	global_store_b16 v[2:3], v4, off
.LBB65_2007:
	s_mov_b32 s1, 0
.LBB65_2008:
	s_delay_alu instid0(SALU_CYCLE_1)
	s_and_b32 vcc_lo, exec_lo, s1
	s_mov_b32 s1, 0
	s_cbranch_vccz .LBB65_2010
; %bb.2009:
	v_cmp_ne_u16_e64 s0, 11, v27
	s_mov_b32 s1, -1
.LBB65_2010:
	s_delay_alu instid0(VALU_DEP_1)
	s_and_b32 vcc_lo, exec_lo, s0
	s_cbranch_vccnz .LBB65_2197
; %bb.2011:
	s_and_not1_b32 vcc_lo, exec_lo, s1
	s_cbranch_vccnz .LBB65_2013
.LBB65_2012:
	v_or_b32_e32 v4, v0, v1
	s_mov_b32 s2, -1
	s_delay_alu instid0(VALU_DEP_1) | instskip(NEXT) | instid1(VALU_DEP_1)
	v_and_b32_e32 v4, 0x7fffffff, v4
	v_cmp_ne_u32_e32 vcc_lo, 0, v4
	v_cndmask_b32_e64 v4, 0, 1, vcc_lo
	global_store_b8 v[2:3], v4, off
.LBB65_2013:
	s_mov_b32 s0, 0
.LBB65_2014:
	s_delay_alu instid0(SALU_CYCLE_1)
	s_and_b32 vcc_lo, exec_lo, s0
	s_cbranch_vccz .LBB65_2053
; %bb.2015:
	v_cmp_gt_i16_e32 vcc_lo, 5, v27
	s_mov_b32 s0, -1
	s_cbranch_vccnz .LBB65_2036
; %bb.2016:
	v_cmp_gt_i16_e32 vcc_lo, 8, v27
	s_cbranch_vccnz .LBB65_2026
; %bb.2017:
	v_cmp_gt_i16_e32 vcc_lo, 9, v27
	s_cbranch_vccnz .LBB65_2023
; %bb.2018:
	v_cmp_lt_i16_e32 vcc_lo, 9, v27
	s_cbranch_vccz .LBB65_2020
; %bb.2019:
	v_cvt_f64_f32_e32 v[4:5], v0
	v_cvt_f64_f32_e32 v[6:7], v1
	s_mov_b32 s0, 0
	global_store_b128 v[2:3], v[4:7], off
.LBB65_2020:
	s_and_not1_b32 vcc_lo, exec_lo, s0
	s_cbranch_vccnz .LBB65_2022
; %bb.2021:
	global_store_b64 v[2:3], v[0:1], off
.LBB65_2022:
	s_mov_b32 s0, 0
.LBB65_2023:
	s_delay_alu instid0(SALU_CYCLE_1)
	s_and_not1_b32 vcc_lo, exec_lo, s0
	s_cbranch_vccnz .LBB65_2025
; %bb.2024:
	v_cvt_f16_f32_e32 v1, v1
	v_cvt_f16_f32_e32 v4, v0
	s_delay_alu instid0(VALU_DEP_2) | instskip(NEXT) | instid1(VALU_DEP_2)
	v_lshlrev_b32_e32 v1, 16, v1
	v_and_b32_e32 v4, 0xffff, v4
	s_delay_alu instid0(VALU_DEP_1)
	v_or_b32_e32 v1, v1, v4
	global_store_b32 v[2:3], v1, off
.LBB65_2025:
	s_mov_b32 s0, 0
.LBB65_2026:
	s_delay_alu instid0(SALU_CYCLE_1)
	s_and_not1_b32 vcc_lo, exec_lo, s0
	s_cbranch_vccnz .LBB65_2035
; %bb.2027:
	v_cmp_gt_i16_e32 vcc_lo, 6, v27
	s_mov_b32 s0, -1
	s_cbranch_vccnz .LBB65_2033
; %bb.2028:
	v_cmp_lt_i16_e32 vcc_lo, 6, v27
	s_cbranch_vccz .LBB65_2030
; %bb.2029:
	v_cvt_f64_f32_e32 v[4:5], v0
	s_mov_b32 s0, 0
	global_store_b64 v[2:3], v[4:5], off
.LBB65_2030:
	s_and_not1_b32 vcc_lo, exec_lo, s0
	s_cbranch_vccnz .LBB65_2032
; %bb.2031:
	global_store_b32 v[2:3], v0, off
.LBB65_2032:
	s_mov_b32 s0, 0
.LBB65_2033:
	s_delay_alu instid0(SALU_CYCLE_1)
	s_and_not1_b32 vcc_lo, exec_lo, s0
	s_cbranch_vccnz .LBB65_2035
; %bb.2034:
	v_cvt_f16_f32_e32 v1, v0
	global_store_b16 v[2:3], v1, off
.LBB65_2035:
	s_mov_b32 s0, 0
.LBB65_2036:
	s_delay_alu instid0(SALU_CYCLE_1)
	s_and_not1_b32 vcc_lo, exec_lo, s0
	s_cbranch_vccnz .LBB65_2052
; %bb.2037:
	v_cmp_gt_i16_e32 vcc_lo, 2, v27
	s_mov_b32 s0, -1
	s_cbranch_vccnz .LBB65_2047
; %bb.2038:
	v_cmp_gt_i16_e32 vcc_lo, 3, v27
	s_cbranch_vccnz .LBB65_2044
; %bb.2039:
	v_cmp_lt_i16_e32 vcc_lo, 3, v27
	s_cbranch_vccz .LBB65_2041
; %bb.2040:
	v_trunc_f32_e32 v1, v0
	s_mov_b32 s0, 0
	s_delay_alu instid0(VALU_DEP_1) | instskip(NEXT) | instid1(VALU_DEP_1)
	v_mul_f32_e64 v4, 0x2f800000, |v1|
	v_floor_f32_e32 v4, v4
	s_delay_alu instid0(VALU_DEP_1) | instskip(SKIP_2) | instid1(VALU_DEP_3)
	v_fma_f32 v5, 0xcf800000, v4, |v1|
	v_ashrrev_i32_e32 v1, 31, v1
	v_cvt_u32_f32_e32 v4, v4
	v_cvt_u32_f32_e32 v5, v5
	s_delay_alu instid0(VALU_DEP_2) | instskip(NEXT) | instid1(VALU_DEP_2)
	v_xor_b32_e32 v6, v4, v1
	v_xor_b32_e32 v5, v5, v1
	s_delay_alu instid0(VALU_DEP_1) | instskip(NEXT) | instid1(VALU_DEP_3)
	v_sub_co_u32 v4, vcc_lo, v5, v1
	v_sub_co_ci_u32_e32 v5, vcc_lo, v6, v1, vcc_lo
	global_store_b64 v[2:3], v[4:5], off
.LBB65_2041:
	s_and_not1_b32 vcc_lo, exec_lo, s0
	s_cbranch_vccnz .LBB65_2043
; %bb.2042:
	v_cvt_i32_f32_e32 v1, v0
	global_store_b32 v[2:3], v1, off
.LBB65_2043:
	s_mov_b32 s0, 0
.LBB65_2044:
	s_delay_alu instid0(SALU_CYCLE_1)
	s_and_not1_b32 vcc_lo, exec_lo, s0
	s_cbranch_vccnz .LBB65_2046
; %bb.2045:
	v_cvt_i32_f32_e32 v1, v0
	global_store_b16 v[2:3], v1, off
.LBB65_2046:
	s_mov_b32 s0, 0
.LBB65_2047:
	s_delay_alu instid0(SALU_CYCLE_1)
	s_and_not1_b32 vcc_lo, exec_lo, s0
	s_cbranch_vccnz .LBB65_2052
; %bb.2048:
	v_cmp_lt_i16_e32 vcc_lo, 0, v27
	s_mov_b32 s0, -1
	s_cbranch_vccz .LBB65_2050
; %bb.2049:
	v_cvt_i32_f32_e32 v1, v0
	s_mov_b32 s0, 0
	global_store_b8 v[2:3], v1, off
.LBB65_2050:
	s_and_not1_b32 vcc_lo, exec_lo, s0
	s_cbranch_vccnz .LBB65_2052
; %bb.2051:
	v_trunc_f32_e32 v0, v0
	s_delay_alu instid0(VALU_DEP_1) | instskip(NEXT) | instid1(VALU_DEP_1)
	v_mul_f32_e64 v1, 0x2f800000, |v0|
	v_floor_f32_e32 v1, v1
	s_delay_alu instid0(VALU_DEP_1) | instskip(SKIP_1) | instid1(VALU_DEP_2)
	v_fma_f32 v1, 0xcf800000, v1, |v0|
	v_ashrrev_i32_e32 v0, 31, v0
	v_cvt_u32_f32_e32 v1, v1
	s_delay_alu instid0(VALU_DEP_1) | instskip(NEXT) | instid1(VALU_DEP_1)
	v_xor_b32_e32 v1, v1, v0
	v_sub_nc_u32_e32 v0, v1, v0
	global_store_b8 v[2:3], v0, off
.LBB65_2052:
	s_mov_b32 s2, -1
.LBB65_2053:
	s_delay_alu instid0(SALU_CYCLE_1)
	s_and_not1_b32 vcc_lo, exec_lo, s2
	s_cbranch_vccnz .LBB65_2130
; %bb.2054:
	v_dual_mov_b32 v0, v21 :: v_dual_mov_b32 v1, v22
	s_getpc_b64 s[0:1]
	s_add_u32 s0, s0, _ZN16c10_complex_math3expIfEEN3c107complexIT_EERKS4_@rel32@lo+4
	s_addc_u32 s1, s1, _ZN16c10_complex_math3expIfEEN3c107complexIT_EERKS4_@rel32@hi+12
	s_delay_alu instid0(SALU_CYCLE_1) | instskip(SKIP_2) | instid1(VALU_DEP_1)
	s_swappc_b64 s[30:31], s[0:1]
	v_cmp_gt_i16_e32 vcc_lo, 11, v27
	v_add_co_u32 v2, s0, s12, v23
	v_add_co_ci_u32_e64 v3, null, s13, 0, s0
	s_mov_b32 s1, 0
	s_mov_b32 s0, -1
	s_cbranch_vccnz .LBB65_2131
; %bb.2055:
	v_cmp_lt_i16_e32 vcc_lo, 25, v27
	s_mov_b32 s2, -1
	s_mov_b32 s0, 0
	s_cbranch_vccz .LBB65_2088
; %bb.2056:
	v_cmp_lt_i16_e32 vcc_lo, 28, v27
	s_cbranch_vccz .LBB65_2072
; %bb.2057:
	v_cmp_lt_i16_e32 vcc_lo, 43, v27
	;; [unrolled: 3-line block ×3, first 2 shown]
	s_cbranch_vccz .LBB65_2062
; %bb.2059:
	v_cmp_eq_u16_e32 vcc_lo, 46, v27
	s_mov_b32 s0, -1
	s_cbranch_vccz .LBB65_2061
; %bb.2060:
	v_bfe_u32 v4, v1, 16, 1
	v_bfe_u32 v5, v0, 16, 1
	v_cmp_o_f32_e32 vcc_lo, v1, v1
	s_mov_b32 s0, 0
	s_delay_alu instid0(VALU_DEP_3) | instskip(NEXT) | instid1(VALU_DEP_3)
	v_add3_u32 v4, v1, v4, 0x7fff
	v_add3_u32 v5, v0, v5, 0x7fff
	s_delay_alu instid0(VALU_DEP_2) | instskip(NEXT) | instid1(VALU_DEP_2)
	v_and_b32_e32 v4, 0xffff0000, v4
	v_lshrrev_b32_e32 v5, 16, v5
	s_delay_alu instid0(VALU_DEP_2) | instskip(SKIP_1) | instid1(VALU_DEP_3)
	v_cndmask_b32_e32 v4, 0x7fc00000, v4, vcc_lo
	v_cmp_o_f32_e32 vcc_lo, v0, v0
	v_cndmask_b32_e32 v5, 0x7fc0, v5, vcc_lo
	s_delay_alu instid0(VALU_DEP_1)
	v_or_b32_e32 v4, v4, v5
	global_store_b32 v[2:3], v4, off
.LBB65_2061:
	s_mov_b32 s2, 0
.LBB65_2062:
	s_delay_alu instid0(SALU_CYCLE_1)
	s_and_b32 vcc_lo, exec_lo, s2
	s_cbranch_vccz .LBB65_2067
; %bb.2063:
	v_cmp_eq_u16_e32 vcc_lo, 44, v27
	s_mov_b32 s0, -1
	s_cbranch_vccz .LBB65_2067
; %bb.2064:
	v_bfe_u32 v5, v0, 23, 8
	v_mov_b32_e32 v4, 0xff
	s_mov_b32 s2, exec_lo
	s_delay_alu instid0(VALU_DEP_2)
	v_cmpx_ne_u32_e32 0xff, v5
; %bb.2065:
	v_and_b32_e32 v4, 0x400000, v0
	v_and_or_b32 v5, 0x3fffff, v0, v5
	s_delay_alu instid0(VALU_DEP_2) | instskip(NEXT) | instid1(VALU_DEP_2)
	v_cmp_ne_u32_e32 vcc_lo, 0, v4
	v_cmp_ne_u32_e64 s0, 0, v5
	v_lshrrev_b32_e32 v4, 23, v0
	s_delay_alu instid0(VALU_DEP_2) | instskip(NEXT) | instid1(SALU_CYCLE_1)
	s_and_b32 s0, vcc_lo, s0
	v_cndmask_b32_e64 v5, 0, 1, s0
	s_delay_alu instid0(VALU_DEP_1)
	v_add_nc_u32_e32 v4, v4, v5
; %bb.2066:
	s_or_b32 exec_lo, exec_lo, s2
	s_mov_b32 s0, 0
	global_store_b8 v[2:3], v4, off
.LBB65_2067:
	s_mov_b32 s2, 0
.LBB65_2068:
	s_delay_alu instid0(SALU_CYCLE_1)
	s_and_b32 vcc_lo, exec_lo, s2
	s_cbranch_vccz .LBB65_2071
; %bb.2069:
	v_cmp_eq_u16_e32 vcc_lo, 29, v27
	s_mov_b32 s0, -1
	s_cbranch_vccz .LBB65_2071
; %bb.2070:
	v_trunc_f32_e32 v4, v0
	s_mov_b32 s0, 0
	s_delay_alu instid0(VALU_DEP_1) | instskip(NEXT) | instid1(VALU_DEP_1)
	v_mul_f32_e32 v5, 0x2f800000, v4
	v_floor_f32_e32 v5, v5
	s_delay_alu instid0(VALU_DEP_1) | instskip(SKIP_1) | instid1(VALU_DEP_2)
	v_fmamk_f32 v4, v5, 0xcf800000, v4
	v_cvt_u32_f32_e32 v5, v5
	v_cvt_u32_f32_e32 v4, v4
	global_store_b64 v[2:3], v[4:5], off
.LBB65_2071:
	s_mov_b32 s2, 0
.LBB65_2072:
	s_delay_alu instid0(SALU_CYCLE_1)
	s_and_b32 vcc_lo, exec_lo, s2
	s_cbranch_vccz .LBB65_2087
; %bb.2073:
	v_cmp_gt_i16_e32 vcc_lo, 27, v27
	s_mov_b32 s2, -1
	s_cbranch_vccnz .LBB65_2079
; %bb.2074:
	v_cmp_lt_i16_e32 vcc_lo, 27, v27
	v_cvt_u32_f32_e32 v4, v0
	s_cbranch_vccz .LBB65_2076
; %bb.2075:
	s_mov_b32 s2, 0
	global_store_b32 v[2:3], v4, off
.LBB65_2076:
	s_and_not1_b32 vcc_lo, exec_lo, s2
	s_cbranch_vccnz .LBB65_2078
; %bb.2077:
	global_store_b16 v[2:3], v4, off
.LBB65_2078:
	s_mov_b32 s2, 0
.LBB65_2079:
	s_delay_alu instid0(SALU_CYCLE_1)
	s_and_not1_b32 vcc_lo, exec_lo, s2
	s_cbranch_vccnz .LBB65_2087
; %bb.2080:
	v_and_b32_e32 v4, 0x7fffffff, v0
	v_mov_b32_e32 v5, 0x80
	s_mov_b32 s2, exec_lo
	s_delay_alu instid0(VALU_DEP_2)
	v_cmpx_gt_u32_e32 0x43800000, v4
	s_cbranch_execz .LBB65_2086
; %bb.2081:
	v_cmp_lt_u32_e32 vcc_lo, 0x3bffffff, v4
	s_mov_b32 s3, 0
                                        ; implicit-def: $vgpr4
	s_and_saveexec_b32 s4, vcc_lo
	s_delay_alu instid0(SALU_CYCLE_1)
	s_xor_b32 s4, exec_lo, s4
	s_cbranch_execz .LBB65_2201
; %bb.2082:
	v_bfe_u32 v4, v0, 20, 1
	s_mov_b32 s3, exec_lo
	s_delay_alu instid0(VALU_DEP_1) | instskip(NEXT) | instid1(VALU_DEP_1)
	v_add3_u32 v4, v0, v4, 0x487ffff
	v_lshrrev_b32_e32 v4, 20, v4
	s_or_saveexec_b32 s4, s4
                                        ; implicit-def: $sgpr5
	s_delay_alu instid0(SALU_CYCLE_1)
	s_xor_b32 exec_lo, exec_lo, s4
	s_cbranch_execnz .LBB65_2202
.LBB65_2083:
	s_or_b32 exec_lo, exec_lo, s4
	v_mov_b32_e32 v5, s5
	s_and_saveexec_b32 s4, s3
.LBB65_2084:
	v_lshrrev_b32_e32 v5, 24, v0
	s_delay_alu instid0(VALU_DEP_1)
	v_and_or_b32 v5, 0x80, v5, v4
.LBB65_2085:
	s_or_b32 exec_lo, exec_lo, s4
.LBB65_2086:
	s_delay_alu instid0(SALU_CYCLE_1)
	s_or_b32 exec_lo, exec_lo, s2
	global_store_b8 v[2:3], v5, off
.LBB65_2087:
	s_mov_b32 s2, 0
.LBB65_2088:
	s_delay_alu instid0(SALU_CYCLE_1)
	s_and_b32 vcc_lo, exec_lo, s2
	s_cbranch_vccz .LBB65_2128
; %bb.2089:
	v_cmp_lt_i16_e32 vcc_lo, 22, v27
	s_mov_b32 s1, -1
	s_cbranch_vccz .LBB65_2121
; %bb.2090:
	v_cmp_gt_i16_e32 vcc_lo, 24, v27
	s_cbranch_vccnz .LBB65_2110
; %bb.2091:
	v_cmp_lt_i16_e32 vcc_lo, 24, v27
	s_cbranch_vccz .LBB65_2099
; %bb.2092:
	v_and_b32_e32 v4, 0x7fffffff, v0
	v_mov_b32_e32 v5, 0x80
	s_mov_b32 s1, exec_lo
	s_delay_alu instid0(VALU_DEP_2)
	v_cmpx_gt_u32_e32 0x47800000, v4
	s_cbranch_execz .LBB65_2098
; %bb.2093:
	v_cmp_lt_u32_e32 vcc_lo, 0x37ffffff, v4
	s_mov_b32 s2, 0
                                        ; implicit-def: $vgpr4
	s_and_saveexec_b32 s3, vcc_lo
	s_delay_alu instid0(SALU_CYCLE_1)
	s_xor_b32 s3, exec_lo, s3
	s_cbranch_execz .LBB65_2207
; %bb.2094:
	v_bfe_u32 v4, v0, 21, 1
	s_mov_b32 s2, exec_lo
	s_delay_alu instid0(VALU_DEP_1) | instskip(NEXT) | instid1(VALU_DEP_1)
	v_add3_u32 v4, v0, v4, 0x88fffff
	v_lshrrev_b32_e32 v4, 21, v4
	s_or_saveexec_b32 s3, s3
                                        ; implicit-def: $sgpr4
	s_delay_alu instid0(SALU_CYCLE_1)
	s_xor_b32 exec_lo, exec_lo, s3
	s_cbranch_execnz .LBB65_2208
.LBB65_2095:
	s_or_b32 exec_lo, exec_lo, s3
	v_mov_b32_e32 v5, s4
	s_and_saveexec_b32 s3, s2
.LBB65_2096:
	v_lshrrev_b32_e32 v5, 24, v0
	s_delay_alu instid0(VALU_DEP_1)
	v_and_or_b32 v5, 0x80, v5, v4
.LBB65_2097:
	s_or_b32 exec_lo, exec_lo, s3
.LBB65_2098:
	s_delay_alu instid0(SALU_CYCLE_1)
	s_or_b32 exec_lo, exec_lo, s1
	s_mov_b32 s1, 0
	global_store_b8 v[2:3], v5, off
.LBB65_2099:
	s_and_b32 vcc_lo, exec_lo, s1
	s_cbranch_vccz .LBB65_2109
; %bb.2100:
	v_and_b32_e32 v5, 0x7fffffff, v0
	s_mov_b32 s1, exec_lo
                                        ; implicit-def: $vgpr4
	s_delay_alu instid0(VALU_DEP_1)
	v_cmpx_gt_u32_e32 0x43f00000, v5
	s_xor_b32 s1, exec_lo, s1
	s_cbranch_execz .LBB65_2106
; %bb.2101:
	s_mov_b32 s2, exec_lo
                                        ; implicit-def: $vgpr4
	v_cmpx_lt_u32_e32 0x3c7fffff, v5
	s_xor_b32 s2, exec_lo, s2
; %bb.2102:
	v_bfe_u32 v4, v0, 20, 1
	s_delay_alu instid0(VALU_DEP_1) | instskip(NEXT) | instid1(VALU_DEP_1)
	v_add3_u32 v4, v0, v4, 0x407ffff
	v_and_b32_e32 v5, 0xff00000, v4
	v_lshrrev_b32_e32 v4, 20, v4
	s_delay_alu instid0(VALU_DEP_2) | instskip(NEXT) | instid1(VALU_DEP_2)
	v_cmp_ne_u32_e32 vcc_lo, 0x7f00000, v5
	v_cndmask_b32_e32 v4, 0x7e, v4, vcc_lo
; %bb.2103:
	s_and_not1_saveexec_b32 s2, s2
; %bb.2104:
	v_add_f32_e64 v4, 0x46800000, |v0|
; %bb.2105:
	s_or_b32 exec_lo, exec_lo, s2
                                        ; implicit-def: $vgpr5
.LBB65_2106:
	s_and_not1_saveexec_b32 s1, s1
; %bb.2107:
	v_mov_b32_e32 v4, 0x7f
	v_cmp_lt_u32_e32 vcc_lo, 0x7f800000, v5
	s_delay_alu instid0(VALU_DEP_2)
	v_cndmask_b32_e32 v4, 0x7e, v4, vcc_lo
; %bb.2108:
	s_or_b32 exec_lo, exec_lo, s1
	v_lshrrev_b32_e32 v5, 24, v0
	s_delay_alu instid0(VALU_DEP_1)
	v_and_or_b32 v4, 0x80, v5, v4
	global_store_b8 v[2:3], v4, off
.LBB65_2109:
	s_mov_b32 s1, 0
.LBB65_2110:
	s_delay_alu instid0(SALU_CYCLE_1)
	s_and_not1_b32 vcc_lo, exec_lo, s1
	s_cbranch_vccnz .LBB65_2120
; %bb.2111:
	v_and_b32_e32 v5, 0x7fffffff, v0
	s_mov_b32 s1, exec_lo
                                        ; implicit-def: $vgpr4
	s_delay_alu instid0(VALU_DEP_1)
	v_cmpx_gt_u32_e32 0x47800000, v5
	s_xor_b32 s1, exec_lo, s1
	s_cbranch_execz .LBB65_2117
; %bb.2112:
	s_mov_b32 s2, exec_lo
                                        ; implicit-def: $vgpr4
	v_cmpx_lt_u32_e32 0x387fffff, v5
	s_xor_b32 s2, exec_lo, s2
; %bb.2113:
	v_bfe_u32 v4, v0, 21, 1
	s_delay_alu instid0(VALU_DEP_1) | instskip(NEXT) | instid1(VALU_DEP_1)
	v_add3_u32 v4, v0, v4, 0x80fffff
	v_lshrrev_b32_e32 v4, 21, v4
; %bb.2114:
	s_and_not1_saveexec_b32 s2, s2
; %bb.2115:
	v_add_f32_e64 v4, 0x43000000, |v0|
; %bb.2116:
	s_or_b32 exec_lo, exec_lo, s2
                                        ; implicit-def: $vgpr5
.LBB65_2117:
	s_and_not1_saveexec_b32 s1, s1
; %bb.2118:
	v_mov_b32_e32 v4, 0x7f
	v_cmp_lt_u32_e32 vcc_lo, 0x7f800000, v5
	s_delay_alu instid0(VALU_DEP_2)
	v_cndmask_b32_e32 v4, 0x7c, v4, vcc_lo
; %bb.2119:
	s_or_b32 exec_lo, exec_lo, s1
	v_lshrrev_b32_e32 v5, 24, v0
	s_delay_alu instid0(VALU_DEP_1)
	v_and_or_b32 v4, 0x80, v5, v4
	global_store_b8 v[2:3], v4, off
.LBB65_2120:
	s_mov_b32 s1, 0
.LBB65_2121:
	s_delay_alu instid0(SALU_CYCLE_1)
	s_and_not1_b32 vcc_lo, exec_lo, s1
	s_mov_b32 s1, 0
	s_cbranch_vccnz .LBB65_2128
; %bb.2122:
	v_cmp_lt_i16_e32 vcc_lo, 14, v27
	s_mov_b32 s1, -1
	s_cbranch_vccz .LBB65_2126
; %bb.2123:
	v_cmp_eq_u16_e32 vcc_lo, 15, v27
	s_mov_b32 s0, -1
	s_cbranch_vccz .LBB65_2125
; %bb.2124:
	v_bfe_u32 v4, v0, 16, 1
	v_cmp_o_f32_e32 vcc_lo, v0, v0
	s_mov_b32 s0, 0
	s_delay_alu instid0(VALU_DEP_2) | instskip(NEXT) | instid1(VALU_DEP_1)
	v_add3_u32 v4, v0, v4, 0x7fff
	v_lshrrev_b32_e32 v4, 16, v4
	s_delay_alu instid0(VALU_DEP_1)
	v_cndmask_b32_e32 v4, 0x7fc0, v4, vcc_lo
	global_store_b16 v[2:3], v4, off
.LBB65_2125:
	s_mov_b32 s1, 0
.LBB65_2126:
	s_delay_alu instid0(SALU_CYCLE_1)
	s_and_b32 vcc_lo, exec_lo, s1
	s_mov_b32 s1, 0
	s_cbranch_vccz .LBB65_2128
; %bb.2127:
	v_cmp_ne_u16_e64 s0, 11, v27
	s_mov_b32 s1, -1
.LBB65_2128:
	s_delay_alu instid0(VALU_DEP_1)
	s_and_b32 vcc_lo, exec_lo, s0
	s_cbranch_vccnz .LBB65_2205
.LBB65_2129:
	s_mov_b32 s0, 0
	s_branch .LBB65_2131
.LBB65_2130:
	s_mov_b32 s0, 0
	s_mov_b32 s1, 0
                                        ; implicit-def: $vgpr2_vgpr3
                                        ; implicit-def: $vgpr27
                                        ; implicit-def: $vgpr0
.LBB65_2131:
	s_and_not1_b32 s2, s16, exec_lo
	s_and_b32 s3, s9, exec_lo
	s_and_b32 s0, s0, exec_lo
	;; [unrolled: 1-line block ×3, first 2 shown]
	s_or_b32 s16, s2, s3
.LBB65_2132:
	s_or_b32 exec_lo, exec_lo, s17
	s_and_saveexec_b32 s1, s16
	s_cbranch_execz .LBB65_2135
; %bb.2133:
	; divergent unreachable
	s_or_b32 exec_lo, exec_lo, s1
	s_and_saveexec_b32 s1, s34
	s_delay_alu instid0(SALU_CYCLE_1)
	s_xor_b32 s1, exec_lo, s1
	s_cbranch_execnz .LBB65_2136
.LBB65_2134:
	s_or_b32 exec_lo, exec_lo, s1
	s_and_saveexec_b32 s1, s0
	s_cbranch_execnz .LBB65_2137
	s_branch .LBB65_2174
.LBB65_2135:
	s_or_b32 exec_lo, exec_lo, s1
	s_and_saveexec_b32 s1, s34
	s_delay_alu instid0(SALU_CYCLE_1)
	s_xor_b32 s1, exec_lo, s1
	s_cbranch_execz .LBB65_2134
.LBB65_2136:
	s_waitcnt vmcnt(0)
	s_delay_alu instid0(VALU_DEP_1) | instskip(NEXT) | instid1(VALU_DEP_1)
	v_or_b32_e32 v4, v0, v1
	v_and_b32_e32 v4, 0x7fffffff, v4
	s_delay_alu instid0(VALU_DEP_1)
	v_cmp_ne_u32_e32 vcc_lo, 0, v4
	v_cndmask_b32_e64 v4, 0, 1, vcc_lo
	global_store_b8 v[2:3], v4, off
	s_or_b32 exec_lo, exec_lo, s1
	s_and_saveexec_b32 s1, s0
	s_cbranch_execz .LBB65_2174
.LBB65_2137:
	v_cmp_gt_i16_e32 vcc_lo, 5, v27
	s_mov_b32 s0, -1
	s_cbranch_vccnz .LBB65_2158
; %bb.2138:
	v_cmp_gt_i16_e32 vcc_lo, 8, v27
	s_cbranch_vccnz .LBB65_2148
; %bb.2139:
	v_cmp_gt_i16_e32 vcc_lo, 9, v27
	s_cbranch_vccnz .LBB65_2145
; %bb.2140:
	v_cmp_lt_i16_e32 vcc_lo, 9, v27
	s_cbranch_vccz .LBB65_2142
; %bb.2141:
	s_waitcnt vmcnt(0)
	v_cvt_f64_f32_e32 v[4:5], v0
	v_cvt_f64_f32_e32 v[6:7], v1
	s_mov_b32 s0, 0
	global_store_b128 v[2:3], v[4:7], off
.LBB65_2142:
	s_and_not1_b32 vcc_lo, exec_lo, s0
	s_cbranch_vccnz .LBB65_2144
; %bb.2143:
	s_waitcnt vmcnt(0)
	global_store_b64 v[2:3], v[0:1], off
.LBB65_2144:
	s_mov_b32 s0, 0
.LBB65_2145:
	s_delay_alu instid0(SALU_CYCLE_1)
	s_and_not1_b32 vcc_lo, exec_lo, s0
	s_cbranch_vccnz .LBB65_2147
; %bb.2146:
	s_waitcnt vmcnt(0)
	v_cvt_f16_f32_e32 v1, v1
	v_cvt_f16_f32_e32 v4, v0
	s_delay_alu instid0(VALU_DEP_2) | instskip(NEXT) | instid1(VALU_DEP_2)
	v_lshlrev_b32_e32 v1, 16, v1
	v_and_b32_e32 v4, 0xffff, v4
	s_delay_alu instid0(VALU_DEP_1)
	v_or_b32_e32 v1, v1, v4
	global_store_b32 v[2:3], v1, off
.LBB65_2147:
	s_mov_b32 s0, 0
.LBB65_2148:
	s_delay_alu instid0(SALU_CYCLE_1)
	s_and_not1_b32 vcc_lo, exec_lo, s0
	s_cbranch_vccnz .LBB65_2157
; %bb.2149:
	v_cmp_gt_i16_e32 vcc_lo, 6, v27
	s_mov_b32 s0, -1
	s_cbranch_vccnz .LBB65_2155
; %bb.2150:
	v_cmp_lt_i16_e32 vcc_lo, 6, v27
	s_cbranch_vccz .LBB65_2152
; %bb.2151:
	s_waitcnt vmcnt(0)
	v_cvt_f64_f32_e32 v[4:5], v0
	s_mov_b32 s0, 0
	global_store_b64 v[2:3], v[4:5], off
.LBB65_2152:
	s_and_not1_b32 vcc_lo, exec_lo, s0
	s_cbranch_vccnz .LBB65_2154
; %bb.2153:
	s_waitcnt vmcnt(0)
	global_store_b32 v[2:3], v0, off
.LBB65_2154:
	s_mov_b32 s0, 0
.LBB65_2155:
	s_delay_alu instid0(SALU_CYCLE_1)
	s_and_not1_b32 vcc_lo, exec_lo, s0
	s_cbranch_vccnz .LBB65_2157
; %bb.2156:
	s_waitcnt vmcnt(0)
	v_cvt_f16_f32_e32 v1, v0
	global_store_b16 v[2:3], v1, off
.LBB65_2157:
	s_mov_b32 s0, 0
.LBB65_2158:
	s_delay_alu instid0(SALU_CYCLE_1)
	s_and_not1_b32 vcc_lo, exec_lo, s0
	s_cbranch_vccnz .LBB65_2174
; %bb.2159:
	v_cmp_gt_i16_e32 vcc_lo, 2, v27
	s_mov_b32 s0, -1
	s_cbranch_vccnz .LBB65_2169
; %bb.2160:
	v_cmp_gt_i16_e32 vcc_lo, 3, v27
	s_cbranch_vccnz .LBB65_2166
; %bb.2161:
	v_cmp_lt_i16_e32 vcc_lo, 3, v27
	s_cbranch_vccz .LBB65_2163
; %bb.2162:
	s_waitcnt vmcnt(0)
	v_trunc_f32_e32 v1, v0
	s_mov_b32 s0, 0
	s_delay_alu instid0(VALU_DEP_1) | instskip(NEXT) | instid1(VALU_DEP_1)
	v_mul_f32_e64 v4, 0x2f800000, |v1|
	v_floor_f32_e32 v4, v4
	s_delay_alu instid0(VALU_DEP_1) | instskip(SKIP_2) | instid1(VALU_DEP_3)
	v_fma_f32 v5, 0xcf800000, v4, |v1|
	v_ashrrev_i32_e32 v1, 31, v1
	v_cvt_u32_f32_e32 v4, v4
	v_cvt_u32_f32_e32 v5, v5
	s_delay_alu instid0(VALU_DEP_2) | instskip(NEXT) | instid1(VALU_DEP_2)
	v_xor_b32_e32 v6, v4, v1
	v_xor_b32_e32 v5, v5, v1
	s_delay_alu instid0(VALU_DEP_1) | instskip(NEXT) | instid1(VALU_DEP_3)
	v_sub_co_u32 v4, vcc_lo, v5, v1
	v_sub_co_ci_u32_e32 v5, vcc_lo, v6, v1, vcc_lo
	global_store_b64 v[2:3], v[4:5], off
.LBB65_2163:
	s_and_not1_b32 vcc_lo, exec_lo, s0
	s_cbranch_vccnz .LBB65_2165
; %bb.2164:
	s_waitcnt vmcnt(0)
	v_cvt_i32_f32_e32 v1, v0
	global_store_b32 v[2:3], v1, off
.LBB65_2165:
	s_mov_b32 s0, 0
.LBB65_2166:
	s_delay_alu instid0(SALU_CYCLE_1)
	s_and_not1_b32 vcc_lo, exec_lo, s0
	s_cbranch_vccnz .LBB65_2168
; %bb.2167:
	s_waitcnt vmcnt(0)
	v_cvt_i32_f32_e32 v1, v0
	global_store_b16 v[2:3], v1, off
.LBB65_2168:
	s_mov_b32 s0, 0
.LBB65_2169:
	s_delay_alu instid0(SALU_CYCLE_1)
	s_and_not1_b32 vcc_lo, exec_lo, s0
	s_cbranch_vccnz .LBB65_2174
; %bb.2170:
	v_cmp_lt_i16_e32 vcc_lo, 0, v27
	s_mov_b32 s0, -1
	s_cbranch_vccz .LBB65_2172
; %bb.2171:
	s_waitcnt vmcnt(0)
	v_cvt_i32_f32_e32 v1, v0
	s_mov_b32 s0, 0
	global_store_b8 v[2:3], v1, off
.LBB65_2172:
	s_and_not1_b32 vcc_lo, exec_lo, s0
	s_cbranch_vccnz .LBB65_2174
; %bb.2173:
	s_waitcnt vmcnt(0)
	v_trunc_f32_e32 v0, v0
	s_delay_alu instid0(VALU_DEP_1) | instskip(NEXT) | instid1(VALU_DEP_1)
	v_mul_f32_e64 v1, 0x2f800000, |v0|
	v_floor_f32_e32 v1, v1
	s_delay_alu instid0(VALU_DEP_1) | instskip(SKIP_1) | instid1(VALU_DEP_2)
	v_fma_f32 v1, 0xcf800000, v1, |v0|
	v_ashrrev_i32_e32 v0, 31, v0
	v_cvt_u32_f32_e32 v1, v1
	s_delay_alu instid0(VALU_DEP_1) | instskip(NEXT) | instid1(VALU_DEP_1)
	v_xor_b32_e32 v1, v1, v0
	v_sub_nc_u32_e32 v0, v1, v0
	global_store_b8 v[2:3], v0, off
	s_endpgm
.LBB65_2174:
	s_endpgm
.LBB65_2175:
	s_cbranch_execnz .LBB65_2179
; %bb.2176:
	s_or_b32 s9, s9, exec_lo
                                        ; implicit-def: $vgpr22
	s_cbranch_execz .LBB65_1646
	s_branch .LBB65_1647
.LBB65_2177:
	s_or_saveexec_b32 s4, s4
                                        ; implicit-def: $sgpr5
	s_delay_alu instid0(SALU_CYCLE_1)
	s_xor_b32 exec_lo, exec_lo, s4
	s_cbranch_execz .LBB65_1728
.LBB65_2178:
	v_add_f32_e64 v4, 0x46000000, |v0|
	s_and_not1_b32 s3, s3, exec_lo
	s_mov_b32 s5, 0
	s_delay_alu instid0(VALU_DEP_1) | instskip(NEXT) | instid1(VALU_DEP_1)
	v_and_b32_e32 v4, 0xff, v4
	v_cmp_ne_u32_e32 vcc_lo, 0, v4
	s_and_b32 s6, vcc_lo, exec_lo
	s_delay_alu instid0(SALU_CYCLE_1)
	s_or_b32 s3, s3, s6
	s_or_b32 exec_lo, exec_lo, s4
	v_mov_b32_e32 v5, s5
	s_and_saveexec_b32 s4, s3
	s_cbranch_execnz .LBB65_1729
	s_branch .LBB65_1730
.LBB65_2179:
	s_trap 2
	s_sendmsg_rtn_b32 s0, sendmsg(MSG_RTN_GET_DOORBELL)
	s_mov_b32 ttmp2, m0
	s_waitcnt lgkmcnt(0)
	s_and_b32 s0, s0, 0x3ff
	s_delay_alu instid0(SALU_CYCLE_1) | instskip(NEXT) | instid1(SALU_CYCLE_1)
	s_bitset1_b32 s0, 10
	s_mov_b32 m0, s0
	s_sendmsg sendmsg(MSG_INTERRUPT)
	s_mov_b32 m0, ttmp2
.LBB65_2180:                            ; =>This Inner Loop Header: Depth=1
	s_sethalt 5
	s_branch .LBB65_2180
.LBB65_2181:
	s_cbranch_execnz .LBB65_2187
; %bb.2182:
	s_or_b32 s9, s9, exec_lo
	s_cbranch_execz .LBB65_1776
	s_branch .LBB65_1777
.LBB65_2183:
	s_or_saveexec_b32 s3, s3
                                        ; implicit-def: $sgpr4
	s_delay_alu instid0(SALU_CYCLE_1)
	s_xor_b32 exec_lo, exec_lo, s3
	s_cbranch_execz .LBB65_1741
.LBB65_2184:
	v_add_f32_e64 v4, 0x42800000, |v0|
	s_and_not1_b32 s2, s2, exec_lo
	s_mov_b32 s4, 0
	s_delay_alu instid0(VALU_DEP_1) | instskip(NEXT) | instid1(VALU_DEP_1)
	v_and_b32_e32 v4, 0xff, v4
	v_cmp_ne_u32_e32 vcc_lo, 0, v4
	s_and_b32 s5, vcc_lo, exec_lo
	s_delay_alu instid0(SALU_CYCLE_1)
	s_or_b32 s2, s2, s5
	s_or_b32 exec_lo, exec_lo, s3
	v_mov_b32_e32 v5, s4
	s_and_saveexec_b32 s3, s2
	s_cbranch_execnz .LBB65_1742
	s_branch .LBB65_1743
.LBB65_2185:
	s_or_saveexec_b32 s4, s4
                                        ; implicit-def: $sgpr5
	s_delay_alu instid0(SALU_CYCLE_1)
	s_xor_b32 exec_lo, exec_lo, s4
	s_cbranch_execz .LBB65_1846
.LBB65_2186:
	v_add_f32_e64 v4, 0x46000000, |v0|
	s_and_not1_b32 s3, s3, exec_lo
	s_mov_b32 s5, 0
	s_delay_alu instid0(VALU_DEP_1) | instskip(NEXT) | instid1(VALU_DEP_1)
	v_and_b32_e32 v4, 0xff, v4
	v_cmp_ne_u32_e32 vcc_lo, 0, v4
	s_and_b32 s6, vcc_lo, exec_lo
	s_delay_alu instid0(SALU_CYCLE_1)
	s_or_b32 s3, s3, s6
	s_or_b32 exec_lo, exec_lo, s4
	v_mov_b32_e32 v5, s5
	s_and_saveexec_b32 s4, s3
	s_cbranch_execnz .LBB65_1847
	s_branch .LBB65_1848
.LBB65_2187:
	s_trap 2
	s_sendmsg_rtn_b32 s0, sendmsg(MSG_RTN_GET_DOORBELL)
	s_mov_b32 ttmp2, m0
	s_waitcnt lgkmcnt(0)
	s_and_b32 s0, s0, 0x3ff
	s_delay_alu instid0(SALU_CYCLE_1) | instskip(NEXT) | instid1(SALU_CYCLE_1)
	s_bitset1_b32 s0, 10
	s_mov_b32 m0, s0
	s_sendmsg sendmsg(MSG_INTERRUPT)
	s_mov_b32 m0, ttmp2
.LBB65_2188:                            ; =>This Inner Loop Header: Depth=1
	s_sethalt 5
	s_branch .LBB65_2188
.LBB65_2189:
	s_cbranch_execnz .LBB65_2195
; %bb.2190:
	s_or_b32 s9, s9, exec_lo
	s_cbranch_execz .LBB65_1894
	s_branch .LBB65_1895
.LBB65_2191:
	s_or_saveexec_b32 s3, s3
                                        ; implicit-def: $sgpr4
	s_delay_alu instid0(SALU_CYCLE_1)
	s_xor_b32 exec_lo, exec_lo, s3
	s_cbranch_execz .LBB65_1859
.LBB65_2192:
	v_add_f32_e64 v4, 0x42800000, |v0|
	s_and_not1_b32 s2, s2, exec_lo
	s_mov_b32 s4, 0
	s_delay_alu instid0(VALU_DEP_1) | instskip(NEXT) | instid1(VALU_DEP_1)
	v_and_b32_e32 v4, 0xff, v4
	v_cmp_ne_u32_e32 vcc_lo, 0, v4
	s_and_b32 s5, vcc_lo, exec_lo
	s_delay_alu instid0(SALU_CYCLE_1)
	s_or_b32 s2, s2, s5
	s_or_b32 exec_lo, exec_lo, s3
	v_mov_b32_e32 v5, s4
	s_and_saveexec_b32 s3, s2
	s_cbranch_execnz .LBB65_1860
	s_branch .LBB65_1861
.LBB65_2193:
	s_or_saveexec_b32 s4, s4
                                        ; implicit-def: $sgpr5
	s_delay_alu instid0(SALU_CYCLE_1)
	s_xor_b32 exec_lo, exec_lo, s4
	s_cbranch_execz .LBB65_1964
.LBB65_2194:
	v_add_f32_e64 v4, 0x46000000, |v0|
	s_and_not1_b32 s3, s3, exec_lo
	s_mov_b32 s5, 0
	s_delay_alu instid0(VALU_DEP_1) | instskip(NEXT) | instid1(VALU_DEP_1)
	v_and_b32_e32 v4, 0xff, v4
	v_cmp_ne_u32_e32 vcc_lo, 0, v4
	s_and_b32 s6, vcc_lo, exec_lo
	s_delay_alu instid0(SALU_CYCLE_1)
	s_or_b32 s3, s3, s6
	s_or_b32 exec_lo, exec_lo, s4
	v_mov_b32_e32 v5, s5
	s_and_saveexec_b32 s4, s3
	s_cbranch_execnz .LBB65_1965
	s_branch .LBB65_1966
.LBB65_2195:
	s_trap 2
	s_sendmsg_rtn_b32 s0, sendmsg(MSG_RTN_GET_DOORBELL)
	s_mov_b32 ttmp2, m0
	s_waitcnt lgkmcnt(0)
	s_and_b32 s0, s0, 0x3ff
	s_delay_alu instid0(SALU_CYCLE_1) | instskip(NEXT) | instid1(SALU_CYCLE_1)
	s_bitset1_b32 s0, 10
	s_mov_b32 m0, s0
	s_sendmsg sendmsg(MSG_INTERRUPT)
	s_mov_b32 m0, ttmp2
.LBB65_2196:                            ; =>This Inner Loop Header: Depth=1
	s_sethalt 5
	s_branch .LBB65_2196
.LBB65_2197:
	s_cbranch_execnz .LBB65_2203
; %bb.2198:
	s_or_b32 s9, s9, exec_lo
	s_cbranch_execz .LBB65_2012
	s_branch .LBB65_2013
.LBB65_2199:
	s_or_saveexec_b32 s3, s3
                                        ; implicit-def: $sgpr4
	s_delay_alu instid0(SALU_CYCLE_1)
	s_xor_b32 exec_lo, exec_lo, s3
	s_cbranch_execz .LBB65_1977
.LBB65_2200:
	v_add_f32_e64 v4, 0x42800000, |v0|
	s_and_not1_b32 s2, s2, exec_lo
	s_mov_b32 s4, 0
	s_delay_alu instid0(VALU_DEP_1) | instskip(NEXT) | instid1(VALU_DEP_1)
	v_and_b32_e32 v4, 0xff, v4
	v_cmp_ne_u32_e32 vcc_lo, 0, v4
	s_and_b32 s5, vcc_lo, exec_lo
	s_delay_alu instid0(SALU_CYCLE_1)
	s_or_b32 s2, s2, s5
	s_or_b32 exec_lo, exec_lo, s3
	v_mov_b32_e32 v5, s4
	s_and_saveexec_b32 s3, s2
	s_cbranch_execnz .LBB65_1978
	s_branch .LBB65_1979
.LBB65_2201:
	s_or_saveexec_b32 s4, s4
                                        ; implicit-def: $sgpr5
	s_delay_alu instid0(SALU_CYCLE_1)
	s_xor_b32 exec_lo, exec_lo, s4
	s_cbranch_execz .LBB65_2083
.LBB65_2202:
	v_add_f32_e64 v4, 0x46000000, |v0|
	s_and_not1_b32 s3, s3, exec_lo
	s_mov_b32 s5, 0
	s_delay_alu instid0(VALU_DEP_1) | instskip(NEXT) | instid1(VALU_DEP_1)
	v_and_b32_e32 v4, 0xff, v4
	v_cmp_ne_u32_e32 vcc_lo, 0, v4
	s_and_b32 s6, vcc_lo, exec_lo
	s_delay_alu instid0(SALU_CYCLE_1)
	s_or_b32 s3, s3, s6
	s_or_b32 exec_lo, exec_lo, s4
	v_mov_b32_e32 v5, s5
	s_and_saveexec_b32 s4, s3
	s_cbranch_execnz .LBB65_2084
	s_branch .LBB65_2085
.LBB65_2203:
	s_trap 2
	s_sendmsg_rtn_b32 s0, sendmsg(MSG_RTN_GET_DOORBELL)
	s_mov_b32 ttmp2, m0
	s_waitcnt lgkmcnt(0)
	s_and_b32 s0, s0, 0x3ff
	s_delay_alu instid0(SALU_CYCLE_1) | instskip(NEXT) | instid1(SALU_CYCLE_1)
	s_bitset1_b32 s0, 10
	s_mov_b32 m0, s0
	s_sendmsg sendmsg(MSG_INTERRUPT)
	s_mov_b32 m0, ttmp2
.LBB65_2204:                            ; =>This Inner Loop Header: Depth=1
	s_sethalt 5
	s_branch .LBB65_2204
.LBB65_2205:
	s_cbranch_execnz .LBB65_2209
; %bb.2206:
	s_mov_b32 s1, 0
	s_or_b32 s9, s9, exec_lo
	s_branch .LBB65_2129
.LBB65_2207:
	s_or_saveexec_b32 s3, s3
                                        ; implicit-def: $sgpr4
	s_delay_alu instid0(SALU_CYCLE_1)
	s_xor_b32 exec_lo, exec_lo, s3
	s_cbranch_execz .LBB65_2095
.LBB65_2208:
	v_add_f32_e64 v4, 0x42800000, |v0|
	s_and_not1_b32 s2, s2, exec_lo
	s_mov_b32 s4, 0
	s_delay_alu instid0(VALU_DEP_1) | instskip(NEXT) | instid1(VALU_DEP_1)
	v_and_b32_e32 v4, 0xff, v4
	v_cmp_ne_u32_e32 vcc_lo, 0, v4
	s_and_b32 s5, vcc_lo, exec_lo
	s_delay_alu instid0(SALU_CYCLE_1)
	s_or_b32 s2, s2, s5
	s_or_b32 exec_lo, exec_lo, s3
	v_mov_b32_e32 v5, s4
	s_and_saveexec_b32 s3, s2
	s_cbranch_execnz .LBB65_2096
	s_branch .LBB65_2097
.LBB65_2209:
	s_trap 2
	s_sendmsg_rtn_b32 s0, sendmsg(MSG_RTN_GET_DOORBELL)
	s_mov_b32 ttmp2, m0
	s_waitcnt lgkmcnt(0)
	s_and_b32 s0, s0, 0x3ff
	s_delay_alu instid0(SALU_CYCLE_1) | instskip(NEXT) | instid1(SALU_CYCLE_1)
	s_bitset1_b32 s0, 10
	s_mov_b32 m0, s0
	s_sendmsg sendmsg(MSG_INTERRUPT)
	s_mov_b32 m0, ttmp2
.LBB65_2210:                            ; =>This Inner Loop Header: Depth=1
	s_sethalt 5
	s_branch .LBB65_2210
	.section	.rodata,"a",@progbits
	.p2align	6, 0x0
	.amdhsa_kernel _ZN2at6native32elementwise_kernel_manual_unrollILi128ELi4EZNS0_15gpu_kernel_implIZZZNS0_15exp_kernel_cudaERNS_18TensorIteratorBaseEENKUlvE_clEvENKUlvE0_clEvEUlN3c107complexIfEEE_EEvS4_RKT_EUlibE0_EEviT1_
		.amdhsa_group_segment_fixed_size 0
		.amdhsa_private_segment_fixed_size 0
		.amdhsa_kernarg_size 360
		.amdhsa_user_sgpr_count 15
		.amdhsa_user_sgpr_dispatch_ptr 0
		.amdhsa_user_sgpr_queue_ptr 0
		.amdhsa_user_sgpr_kernarg_segment_ptr 1
		.amdhsa_user_sgpr_dispatch_id 0
		.amdhsa_user_sgpr_private_segment_size 0
		.amdhsa_wavefront_size32 1
		.amdhsa_uses_dynamic_stack 0
		.amdhsa_enable_private_segment 0
		.amdhsa_system_sgpr_workgroup_id_x 1
		.amdhsa_system_sgpr_workgroup_id_y 0
		.amdhsa_system_sgpr_workgroup_id_z 0
		.amdhsa_system_sgpr_workgroup_info 0
		.amdhsa_system_vgpr_workitem_id 0
		.amdhsa_next_free_vgpr 28
		.amdhsa_next_free_sgpr 68
		.amdhsa_reserve_vcc 1
		.amdhsa_float_round_mode_32 0
		.amdhsa_float_round_mode_16_64 0
		.amdhsa_float_denorm_mode_32 3
		.amdhsa_float_denorm_mode_16_64 3
		.amdhsa_dx10_clamp 1
		.amdhsa_ieee_mode 1
		.amdhsa_fp16_overflow 0
		.amdhsa_workgroup_processor_mode 1
		.amdhsa_memory_ordered 1
		.amdhsa_forward_progress 0
		.amdhsa_shared_vgpr_count 0
		.amdhsa_exception_fp_ieee_invalid_op 0
		.amdhsa_exception_fp_denorm_src 0
		.amdhsa_exception_fp_ieee_div_zero 0
		.amdhsa_exception_fp_ieee_overflow 0
		.amdhsa_exception_fp_ieee_underflow 0
		.amdhsa_exception_fp_ieee_inexact 0
		.amdhsa_exception_int_div_zero 0
	.end_amdhsa_kernel
	.section	.text._ZN2at6native32elementwise_kernel_manual_unrollILi128ELi4EZNS0_15gpu_kernel_implIZZZNS0_15exp_kernel_cudaERNS_18TensorIteratorBaseEENKUlvE_clEvENKUlvE0_clEvEUlN3c107complexIfEEE_EEvS4_RKT_EUlibE0_EEviT1_,"axG",@progbits,_ZN2at6native32elementwise_kernel_manual_unrollILi128ELi4EZNS0_15gpu_kernel_implIZZZNS0_15exp_kernel_cudaERNS_18TensorIteratorBaseEENKUlvE_clEvENKUlvE0_clEvEUlN3c107complexIfEEE_EEvS4_RKT_EUlibE0_EEviT1_,comdat
.Lfunc_end65:
	.size	_ZN2at6native32elementwise_kernel_manual_unrollILi128ELi4EZNS0_15gpu_kernel_implIZZZNS0_15exp_kernel_cudaERNS_18TensorIteratorBaseEENKUlvE_clEvENKUlvE0_clEvEUlN3c107complexIfEEE_EEvS4_RKT_EUlibE0_EEviT1_, .Lfunc_end65-_ZN2at6native32elementwise_kernel_manual_unrollILi128ELi4EZNS0_15gpu_kernel_implIZZZNS0_15exp_kernel_cudaERNS_18TensorIteratorBaseEENKUlvE_clEvENKUlvE0_clEvEUlN3c107complexIfEEE_EEvS4_RKT_EUlibE0_EEviT1_
                                        ; -- End function
	.section	.AMDGPU.csdata,"",@progbits
; Kernel info:
; codeLenInByte = 42672
; NumSgprs: 70
; NumVgprs: 28
; ScratchSize: 0
; MemoryBound: 1
; FloatMode: 240
; IeeeMode: 1
; LDSByteSize: 0 bytes/workgroup (compile time only)
; SGPRBlocks: 8
; VGPRBlocks: 3
; NumSGPRsForWavesPerEU: 70
; NumVGPRsForWavesPerEU: 28
; Occupancy: 16
; WaveLimiterHint : 1
; COMPUTE_PGM_RSRC2:SCRATCH_EN: 0
; COMPUTE_PGM_RSRC2:USER_SGPR: 15
; COMPUTE_PGM_RSRC2:TRAP_HANDLER: 0
; COMPUTE_PGM_RSRC2:TGID_X_EN: 1
; COMPUTE_PGM_RSRC2:TGID_Y_EN: 0
; COMPUTE_PGM_RSRC2:TGID_Z_EN: 0
; COMPUTE_PGM_RSRC2:TIDIG_COMP_CNT: 0
	.section	.text._ZN2at6native29vectorized_elementwise_kernelILi16EZZZNS0_15exp_kernel_cudaERNS_18TensorIteratorBaseEENKUlvE_clEvENKUlvE1_clEvEUlN3c107complexINS6_4HalfEEEE_St5arrayIPcLm2EEEEviT0_T1_,"axG",@progbits,_ZN2at6native29vectorized_elementwise_kernelILi16EZZZNS0_15exp_kernel_cudaERNS_18TensorIteratorBaseEENKUlvE_clEvENKUlvE1_clEvEUlN3c107complexINS6_4HalfEEEE_St5arrayIPcLm2EEEEviT0_T1_,comdat
	.globl	_ZN2at6native29vectorized_elementwise_kernelILi16EZZZNS0_15exp_kernel_cudaERNS_18TensorIteratorBaseEENKUlvE_clEvENKUlvE1_clEvEUlN3c107complexINS6_4HalfEEEE_St5arrayIPcLm2EEEEviT0_T1_ ; -- Begin function _ZN2at6native29vectorized_elementwise_kernelILi16EZZZNS0_15exp_kernel_cudaERNS_18TensorIteratorBaseEENKUlvE_clEvENKUlvE1_clEvEUlN3c107complexINS6_4HalfEEEE_St5arrayIPcLm2EEEEviT0_T1_
	.p2align	8
	.type	_ZN2at6native29vectorized_elementwise_kernelILi16EZZZNS0_15exp_kernel_cudaERNS_18TensorIteratorBaseEENKUlvE_clEvENKUlvE1_clEvEUlN3c107complexINS6_4HalfEEEE_St5arrayIPcLm2EEEEviT0_T1_,@function
_ZN2at6native29vectorized_elementwise_kernelILi16EZZZNS0_15exp_kernel_cudaERNS_18TensorIteratorBaseEENKUlvE_clEvENKUlvE1_clEvEUlN3c107complexINS6_4HalfEEEE_St5arrayIPcLm2EEEEviT0_T1_: ; @_ZN2at6native29vectorized_elementwise_kernelILi16EZZZNS0_15exp_kernel_cudaERNS_18TensorIteratorBaseEENKUlvE_clEvENKUlvE1_clEvEUlN3c107complexINS6_4HalfEEEE_St5arrayIPcLm2EEEEviT0_T1_
; %bb.0:
	s_clause 0x1
	s_load_b32 s2, s[0:1], 0x0
	s_load_b128 s[16:19], s[0:1], 0x8
	s_lshl_b32 s10, s15, 10
	v_mov_b32_e32 v17, v0
	s_mov_b32 s0, -1
	s_mov_b32 s32, 0
	s_waitcnt lgkmcnt(0)
	s_sub_i32 s12, s2, s10
	s_delay_alu instid0(SALU_CYCLE_1)
	s_cmpk_gt_i32 s12, 0x3ff
	s_cbranch_scc0 .LBB66_2
; %bb.1:
	s_ashr_i32 s11, s10, 31
	v_lshlrev_b32_e32 v22, 4, v17
	s_lshl_b64 s[14:15], s[10:11], 2
	s_delay_alu instid0(SALU_CYCLE_1)
	s_add_u32 s0, s18, s14
	s_addc_u32 s1, s19, s15
	s_getpc_b64 s[20:21]
	s_add_u32 s20, s20, _ZN16c10_complex_math3expIfEEN3c107complexIT_EERKS4_@rel32@lo+4
	s_addc_u32 s21, s21, _ZN16c10_complex_math3expIfEEN3c107complexIT_EERKS4_@rel32@hi+12
	global_load_b128 v[18:21], v22, s[0:1]
	s_waitcnt vmcnt(0)
	v_lshrrev_b32_e32 v1, 16, v18
	v_cvt_f32_f16_e32 v0, v18
	s_delay_alu instid0(VALU_DEP_2) | instskip(SKIP_1) | instid1(VALU_DEP_1)
	v_cvt_f32_f16_e32 v1, v1
	s_swappc_b64 s[30:31], s[20:21]
	v_cvt_f16_f32_e32 v1, v1
	s_delay_alu instid0(VALU_DEP_3) | instskip(SKIP_1) | instid1(VALU_DEP_3)
	v_cvt_f16_f32_e32 v0, v0
	v_lshrrev_b32_e32 v2, 16, v19
	v_lshlrev_b32_e32 v3, 16, v1
	s_delay_alu instid0(VALU_DEP_3) | instskip(SKIP_1) | instid1(VALU_DEP_4)
	v_and_b32_e32 v4, 0xffff, v0
	v_cvt_f32_f16_e32 v0, v19
	v_cvt_f32_f16_e32 v1, v2
	s_delay_alu instid0(VALU_DEP_3) | instskip(SKIP_1) | instid1(VALU_DEP_2)
	v_or_b32_e32 v18, v3, v4
	s_swappc_b64 s[30:31], s[20:21]
	v_cvt_f16_f32_e32 v1, v1
	v_cvt_f16_f32_e32 v0, v0
	v_lshrrev_b32_e32 v2, 16, v20
	s_delay_alu instid0(VALU_DEP_3) | instskip(NEXT) | instid1(VALU_DEP_3)
	v_lshlrev_b32_e32 v3, 16, v1
	v_and_b32_e32 v4, 0xffff, v0
	v_cvt_f32_f16_e32 v0, v20
	s_delay_alu instid0(VALU_DEP_4) | instskip(NEXT) | instid1(VALU_DEP_3)
	v_cvt_f32_f16_e32 v1, v2
	v_or_b32_e32 v19, v3, v4
	s_swappc_b64 s[30:31], s[20:21]
	s_delay_alu instid0(VALU_DEP_2) | instskip(SKIP_2) | instid1(VALU_DEP_3)
	v_cvt_f16_f32_e32 v1, v1
	v_cvt_f16_f32_e32 v0, v0
	v_lshrrev_b32_e32 v2, 16, v21
	v_lshlrev_b32_e32 v3, 16, v1
	s_delay_alu instid0(VALU_DEP_3) | instskip(SKIP_1) | instid1(VALU_DEP_4)
	v_and_b32_e32 v4, 0xffff, v0
	v_cvt_f32_f16_e32 v0, v21
	v_cvt_f32_f16_e32 v1, v2
	s_delay_alu instid0(VALU_DEP_3) | instskip(SKIP_1) | instid1(VALU_DEP_2)
	v_or_b32_e32 v20, v3, v4
	s_swappc_b64 s[30:31], s[20:21]
	v_cvt_f16_f32_e32 v1, v1
	v_cvt_f16_f32_e32 v0, v0
	s_add_u32 s2, s16, s14
	s_addc_u32 s3, s17, s15
	s_mov_b32 s0, 0
	v_lshlrev_b32_e32 v1, 16, v1
	v_and_b32_e32 v0, 0xffff, v0
	s_delay_alu instid0(VALU_DEP_1)
	v_or_b32_e32 v21, v1, v0
	global_store_b128 v22, v[18:21], s[2:3]
.LBB66_2:
	s_and_not1_b32 vcc_lo, exec_lo, s0
	s_cbranch_vccnz .LBB66_21
; %bb.3:
	v_cmp_gt_i32_e64 s9, s12, v17
	v_dual_mov_b32 v21, 0 :: v_dual_mov_b32 v0, 0
	v_or_b32_e32 v18, s10, v17
	v_or_b32_e32 v20, 0x100, v17
	v_mov_b32_e32 v1, v17
	s_and_saveexec_b32 s0, s9
	s_cbranch_execz .LBB66_5
; %bb.4:
	v_mov_b32_e32 v19, 0
	s_delay_alu instid0(VALU_DEP_1) | instskip(NEXT) | instid1(VALU_DEP_1)
	v_lshlrev_b64 v[0:1], 2, v[18:19]
	v_add_co_u32 v0, vcc_lo, s18, v0
	s_delay_alu instid0(VALU_DEP_2)
	v_add_co_ci_u32_e32 v1, vcc_lo, s19, v1, vcc_lo
	global_load_b32 v0, v[0:1], off
	v_or_b32_e32 v1, 0x100, v17
.LBB66_5:
	s_or_b32 exec_lo, exec_lo, s0
	s_delay_alu instid0(SALU_CYCLE_1) | instskip(NEXT) | instid1(VALU_DEP_1)
	s_mov_b32 s0, exec_lo
	v_cmpx_gt_i32_e64 s12, v1
	s_cbranch_execz .LBB66_7
; %bb.6:
	v_dual_mov_b32 v3, 0 :: v_dual_add_nc_u32 v2, s10, v1
	v_add_nc_u32_e32 v1, 0x100, v1
	s_delay_alu instid0(VALU_DEP_2) | instskip(NEXT) | instid1(VALU_DEP_1)
	v_lshlrev_b64 v[2:3], 2, v[2:3]
	v_add_co_u32 v2, vcc_lo, s18, v2
	s_delay_alu instid0(VALU_DEP_2)
	v_add_co_ci_u32_e32 v3, vcc_lo, s19, v3, vcc_lo
	global_load_b32 v21, v[2:3], off
.LBB66_7:
	s_or_b32 exec_lo, exec_lo, s0
	v_dual_mov_b32 v19, 0 :: v_dual_mov_b32 v24, 0
	s_mov_b32 s0, exec_lo
	v_cmpx_gt_i32_e64 s12, v1
	s_cbranch_execz .LBB66_22
; %bb.8:
	v_dual_mov_b32 v3, 0 :: v_dual_add_nc_u32 v2, s10, v1
	v_add_nc_u32_e32 v1, 0x100, v1
	s_delay_alu instid0(VALU_DEP_2) | instskip(NEXT) | instid1(VALU_DEP_1)
	v_lshlrev_b64 v[2:3], 2, v[2:3]
	v_add_co_u32 v2, vcc_lo, s18, v2
	s_delay_alu instid0(VALU_DEP_2) | instskip(SKIP_2) | instid1(SALU_CYCLE_1)
	v_add_co_ci_u32_e32 v3, vcc_lo, s19, v3, vcc_lo
	global_load_b32 v24, v[2:3], off
	s_or_b32 exec_lo, exec_lo, s0
	s_mov_b32 s0, exec_lo
	v_cmpx_gt_i32_e64 s12, v1
	s_cbranch_execnz .LBB66_23
.LBB66_9:
	s_or_b32 exec_lo, exec_lo, s0
                                        ; implicit-def: $vgpr22
	s_and_saveexec_b32 s11, s9
	s_cbranch_execz .LBB66_11
.LBB66_10:
	s_waitcnt vmcnt(0)
	v_lshrrev_b32_e32 v1, 16, v0
	v_cvt_f32_f16_e32 v0, v0
	s_getpc_b64 s[0:1]
	s_add_u32 s0, s0, _ZN16c10_complex_math3expIfEEN3c107complexIT_EERKS4_@rel32@lo+4
	s_addc_u32 s1, s1, _ZN16c10_complex_math3expIfEEN3c107complexIT_EERKS4_@rel32@hi+12
	v_cvt_f32_f16_e32 v1, v1
	s_swappc_b64 s[30:31], s[0:1]
	s_delay_alu instid0(VALU_DEP_1) | instskip(SKIP_1) | instid1(VALU_DEP_2)
	v_cvt_f16_f32_e32 v1, v1
	v_cvt_f16_f32_e32 v0, v0
	v_lshlrev_b32_e32 v1, 16, v1
	s_delay_alu instid0(VALU_DEP_2) | instskip(NEXT) | instid1(VALU_DEP_1)
	v_and_b32_e32 v0, 0xffff, v0
	v_or_b32_e32 v22, v1, v0
.LBB66_11:
	s_or_b32 exec_lo, exec_lo, s11
	s_delay_alu instid0(SALU_CYCLE_1)
	s_mov_b32 s11, exec_lo
                                        ; implicit-def: $vgpr23
	v_cmpx_gt_i32_e64 s12, v20
	s_cbranch_execz .LBB66_13
; %bb.12:
	s_waitcnt vmcnt(0)
	v_lshrrev_b32_e32 v1, 16, v21
	v_cvt_f32_f16_e32 v0, v21
	s_getpc_b64 s[0:1]
	s_add_u32 s0, s0, _ZN16c10_complex_math3expIfEEN3c107complexIT_EERKS4_@rel32@lo+4
	s_addc_u32 s1, s1, _ZN16c10_complex_math3expIfEEN3c107complexIT_EERKS4_@rel32@hi+12
	v_cvt_f32_f16_e32 v1, v1
	s_swappc_b64 s[30:31], s[0:1]
	s_delay_alu instid0(VALU_DEP_1) | instskip(SKIP_1) | instid1(VALU_DEP_2)
	v_cvt_f16_f32_e32 v1, v1
	v_cvt_f16_f32_e32 v0, v0
	v_lshlrev_b32_e32 v1, 16, v1
	s_delay_alu instid0(VALU_DEP_2) | instskip(NEXT) | instid1(VALU_DEP_1)
	v_and_b32_e32 v0, 0xffff, v0
	v_or_b32_e32 v23, v1, v0
.LBB66_13:
	s_or_b32 exec_lo, exec_lo, s11
	s_waitcnt vmcnt(0)
	v_or_b32_e32 v0, 0x200, v17
	s_mov_b32 s11, exec_lo
                                        ; implicit-def: $vgpr21
	s_delay_alu instid0(VALU_DEP_1)
	v_cmpx_gt_i32_e64 s12, v0
	s_cbranch_execz .LBB66_15
; %bb.14:
	v_lshrrev_b32_e32 v1, 16, v24
	v_cvt_f32_f16_e32 v0, v24
	s_getpc_b64 s[0:1]
	s_add_u32 s0, s0, _ZN16c10_complex_math3expIfEEN3c107complexIT_EERKS4_@rel32@lo+4
	s_addc_u32 s1, s1, _ZN16c10_complex_math3expIfEEN3c107complexIT_EERKS4_@rel32@hi+12
	v_cvt_f32_f16_e32 v1, v1
	s_swappc_b64 s[30:31], s[0:1]
	s_delay_alu instid0(VALU_DEP_1) | instskip(SKIP_1) | instid1(VALU_DEP_2)
	v_cvt_f16_f32_e32 v1, v1
	v_cvt_f16_f32_e32 v0, v0
	v_lshlrev_b32_e32 v1, 16, v1
	s_delay_alu instid0(VALU_DEP_2) | instskip(NEXT) | instid1(VALU_DEP_1)
	v_and_b32_e32 v0, 0xffff, v0
	v_or_b32_e32 v21, v1, v0
.LBB66_15:
	s_or_b32 exec_lo, exec_lo, s11
	v_or_b32_e32 v0, 0x300, v17
	s_delay_alu instid0(VALU_DEP_1)
	v_cmp_gt_i32_e32 vcc_lo, s12, v0
                                        ; implicit-def: $vgpr0
	s_and_saveexec_b32 s11, vcc_lo
	s_cbranch_execz .LBB66_24
; %bb.16:
	v_lshrrev_b32_e32 v1, 16, v19
	v_cvt_f32_f16_e32 v0, v19
	s_getpc_b64 s[0:1]
	s_add_u32 s0, s0, _ZN16c10_complex_math3expIfEEN3c107complexIT_EERKS4_@rel32@lo+4
	s_addc_u32 s1, s1, _ZN16c10_complex_math3expIfEEN3c107complexIT_EERKS4_@rel32@hi+12
	v_cvt_f32_f16_e32 v1, v1
	s_swappc_b64 s[30:31], s[0:1]
	s_delay_alu instid0(VALU_DEP_1) | instskip(SKIP_1) | instid1(VALU_DEP_2)
	v_cvt_f16_f32_e32 v1, v1
	v_cvt_f16_f32_e32 v0, v0
	v_lshlrev_b32_e32 v1, 16, v1
	s_delay_alu instid0(VALU_DEP_2) | instskip(NEXT) | instid1(VALU_DEP_1)
	v_and_b32_e32 v0, 0xffff, v0
	v_or_b32_e32 v0, v1, v0
	s_or_b32 exec_lo, exec_lo, s11
	s_and_saveexec_b32 s0, s9
	s_delay_alu instid0(SALU_CYCLE_1)
	s_xor_b32 s0, exec_lo, s0
	s_cbranch_execnz .LBB66_25
.LBB66_17:
	s_or_b32 exec_lo, exec_lo, s0
	s_delay_alu instid0(SALU_CYCLE_1)
	s_mov_b32 s0, exec_lo
	v_cmpx_gt_i32_e64 s12, v17
	s_cbranch_execz .LBB66_26
.LBB66_18:
	v_dual_mov_b32 v2, 0 :: v_dual_add_nc_u32 v1, s10, v17
	v_add_nc_u32_e32 v17, 0x100, v17
	s_delay_alu instid0(VALU_DEP_2) | instskip(NEXT) | instid1(VALU_DEP_1)
	v_lshlrev_b64 v[1:2], 2, v[1:2]
	v_add_co_u32 v1, vcc_lo, s16, v1
	s_delay_alu instid0(VALU_DEP_2) | instskip(SKIP_2) | instid1(SALU_CYCLE_1)
	v_add_co_ci_u32_e32 v2, vcc_lo, s17, v2, vcc_lo
	global_store_b32 v[1:2], v23, off
	s_or_b32 exec_lo, exec_lo, s0
	s_mov_b32 s0, exec_lo
	v_cmpx_gt_i32_e64 s12, v17
	s_cbranch_execnz .LBB66_27
.LBB66_19:
	s_or_b32 exec_lo, exec_lo, s0
	s_delay_alu instid0(SALU_CYCLE_1)
	s_mov_b32 s0, exec_lo
	v_cmpx_gt_i32_e64 s12, v17
	s_cbranch_execz .LBB66_21
.LBB66_20:
	v_dual_mov_b32 v2, 0 :: v_dual_add_nc_u32 v1, s10, v17
	s_delay_alu instid0(VALU_DEP_1) | instskip(NEXT) | instid1(VALU_DEP_1)
	v_lshlrev_b64 v[1:2], 2, v[1:2]
	v_add_co_u32 v1, vcc_lo, s16, v1
	s_delay_alu instid0(VALU_DEP_2)
	v_add_co_ci_u32_e32 v2, vcc_lo, s17, v2, vcc_lo
	global_store_b32 v[1:2], v0, off
.LBB66_21:
	s_endpgm
.LBB66_22:
	s_or_b32 exec_lo, exec_lo, s0
	s_delay_alu instid0(SALU_CYCLE_1)
	s_mov_b32 s0, exec_lo
	v_cmpx_gt_i32_e64 s12, v1
	s_cbranch_execz .LBB66_9
.LBB66_23:
	v_dual_mov_b32 v2, 0 :: v_dual_add_nc_u32 v1, s10, v1
	s_delay_alu instid0(VALU_DEP_1) | instskip(NEXT) | instid1(VALU_DEP_1)
	v_lshlrev_b64 v[1:2], 2, v[1:2]
	v_add_co_u32 v1, vcc_lo, s18, v1
	s_delay_alu instid0(VALU_DEP_2)
	v_add_co_ci_u32_e32 v2, vcc_lo, s19, v2, vcc_lo
	global_load_b32 v19, v[1:2], off
	s_or_b32 exec_lo, exec_lo, s0
                                        ; implicit-def: $vgpr22
	s_and_saveexec_b32 s11, s9
	s_cbranch_execz .LBB66_11
	s_branch .LBB66_10
.LBB66_24:
	s_or_b32 exec_lo, exec_lo, s11
	s_and_saveexec_b32 s0, s9
	s_delay_alu instid0(SALU_CYCLE_1)
	s_xor_b32 s0, exec_lo, s0
	s_cbranch_execz .LBB66_17
.LBB66_25:
	v_mov_b32_e32 v19, 0
	v_mov_b32_e32 v17, v20
	s_delay_alu instid0(VALU_DEP_2) | instskip(NEXT) | instid1(VALU_DEP_1)
	v_lshlrev_b64 v[1:2], 2, v[18:19]
	v_add_co_u32 v1, vcc_lo, s16, v1
	s_delay_alu instid0(VALU_DEP_2) | instskip(SKIP_2) | instid1(SALU_CYCLE_1)
	v_add_co_ci_u32_e32 v2, vcc_lo, s17, v2, vcc_lo
	global_store_b32 v[1:2], v22, off
	s_or_b32 exec_lo, exec_lo, s0
	s_mov_b32 s0, exec_lo
	v_cmpx_gt_i32_e64 s12, v17
	s_cbranch_execnz .LBB66_18
.LBB66_26:
	s_or_b32 exec_lo, exec_lo, s0
	s_delay_alu instid0(SALU_CYCLE_1)
	s_mov_b32 s0, exec_lo
	v_cmpx_gt_i32_e64 s12, v17
	s_cbranch_execz .LBB66_19
.LBB66_27:
	v_dual_mov_b32 v2, 0 :: v_dual_add_nc_u32 v1, s10, v17
	v_add_nc_u32_e32 v17, 0x100, v17
	s_delay_alu instid0(VALU_DEP_2) | instskip(NEXT) | instid1(VALU_DEP_1)
	v_lshlrev_b64 v[1:2], 2, v[1:2]
	v_add_co_u32 v1, vcc_lo, s16, v1
	s_delay_alu instid0(VALU_DEP_2) | instskip(SKIP_2) | instid1(SALU_CYCLE_1)
	v_add_co_ci_u32_e32 v2, vcc_lo, s17, v2, vcc_lo
	global_store_b32 v[1:2], v21, off
	s_or_b32 exec_lo, exec_lo, s0
	s_mov_b32 s0, exec_lo
	v_cmpx_gt_i32_e64 s12, v17
	s_cbranch_execnz .LBB66_20
	s_branch .LBB66_21
	.section	.rodata,"a",@progbits
	.p2align	6, 0x0
	.amdhsa_kernel _ZN2at6native29vectorized_elementwise_kernelILi16EZZZNS0_15exp_kernel_cudaERNS_18TensorIteratorBaseEENKUlvE_clEvENKUlvE1_clEvEUlN3c107complexINS6_4HalfEEEE_St5arrayIPcLm2EEEEviT0_T1_
		.amdhsa_group_segment_fixed_size 0
		.amdhsa_private_segment_fixed_size 0
		.amdhsa_kernarg_size 24
		.amdhsa_user_sgpr_count 15
		.amdhsa_user_sgpr_dispatch_ptr 0
		.amdhsa_user_sgpr_queue_ptr 0
		.amdhsa_user_sgpr_kernarg_segment_ptr 1
		.amdhsa_user_sgpr_dispatch_id 0
		.amdhsa_user_sgpr_private_segment_size 0
		.amdhsa_wavefront_size32 1
		.amdhsa_uses_dynamic_stack 0
		.amdhsa_enable_private_segment 0
		.amdhsa_system_sgpr_workgroup_id_x 1
		.amdhsa_system_sgpr_workgroup_id_y 0
		.amdhsa_system_sgpr_workgroup_id_z 0
		.amdhsa_system_sgpr_workgroup_info 0
		.amdhsa_system_vgpr_workitem_id 0
		.amdhsa_next_free_vgpr 25
		.amdhsa_next_free_sgpr 33
		.amdhsa_reserve_vcc 1
		.amdhsa_float_round_mode_32 0
		.amdhsa_float_round_mode_16_64 0
		.amdhsa_float_denorm_mode_32 3
		.amdhsa_float_denorm_mode_16_64 3
		.amdhsa_dx10_clamp 1
		.amdhsa_ieee_mode 1
		.amdhsa_fp16_overflow 0
		.amdhsa_workgroup_processor_mode 1
		.amdhsa_memory_ordered 1
		.amdhsa_forward_progress 0
		.amdhsa_shared_vgpr_count 0
		.amdhsa_exception_fp_ieee_invalid_op 0
		.amdhsa_exception_fp_denorm_src 0
		.amdhsa_exception_fp_ieee_div_zero 0
		.amdhsa_exception_fp_ieee_overflow 0
		.amdhsa_exception_fp_ieee_underflow 0
		.amdhsa_exception_fp_ieee_inexact 0
		.amdhsa_exception_int_div_zero 0
	.end_amdhsa_kernel
	.section	.text._ZN2at6native29vectorized_elementwise_kernelILi16EZZZNS0_15exp_kernel_cudaERNS_18TensorIteratorBaseEENKUlvE_clEvENKUlvE1_clEvEUlN3c107complexINS6_4HalfEEEE_St5arrayIPcLm2EEEEviT0_T1_,"axG",@progbits,_ZN2at6native29vectorized_elementwise_kernelILi16EZZZNS0_15exp_kernel_cudaERNS_18TensorIteratorBaseEENKUlvE_clEvENKUlvE1_clEvEUlN3c107complexINS6_4HalfEEEE_St5arrayIPcLm2EEEEviT0_T1_,comdat
.Lfunc_end66:
	.size	_ZN2at6native29vectorized_elementwise_kernelILi16EZZZNS0_15exp_kernel_cudaERNS_18TensorIteratorBaseEENKUlvE_clEvENKUlvE1_clEvEUlN3c107complexINS6_4HalfEEEE_St5arrayIPcLm2EEEEviT0_T1_, .Lfunc_end66-_ZN2at6native29vectorized_elementwise_kernelILi16EZZZNS0_15exp_kernel_cudaERNS_18TensorIteratorBaseEENKUlvE_clEvENKUlvE1_clEvEUlN3c107complexINS6_4HalfEEEE_St5arrayIPcLm2EEEEviT0_T1_
                                        ; -- End function
	.section	.AMDGPU.csdata,"",@progbits
; Kernel info:
; codeLenInByte = 1440
; NumSgprs: 35
; NumVgprs: 25
; ScratchSize: 0
; MemoryBound: 0
; FloatMode: 240
; IeeeMode: 1
; LDSByteSize: 0 bytes/workgroup (compile time only)
; SGPRBlocks: 4
; VGPRBlocks: 3
; NumSGPRsForWavesPerEU: 35
; NumVGPRsForWavesPerEU: 25
; Occupancy: 16
; WaveLimiterHint : 0
; COMPUTE_PGM_RSRC2:SCRATCH_EN: 0
; COMPUTE_PGM_RSRC2:USER_SGPR: 15
; COMPUTE_PGM_RSRC2:TRAP_HANDLER: 0
; COMPUTE_PGM_RSRC2:TGID_X_EN: 1
; COMPUTE_PGM_RSRC2:TGID_Y_EN: 0
; COMPUTE_PGM_RSRC2:TGID_Z_EN: 0
; COMPUTE_PGM_RSRC2:TIDIG_COMP_CNT: 0
	.section	.text._ZN2at6native29vectorized_elementwise_kernelILi8EZZZNS0_15exp_kernel_cudaERNS_18TensorIteratorBaseEENKUlvE_clEvENKUlvE1_clEvEUlN3c107complexINS6_4HalfEEEE_St5arrayIPcLm2EEEEviT0_T1_,"axG",@progbits,_ZN2at6native29vectorized_elementwise_kernelILi8EZZZNS0_15exp_kernel_cudaERNS_18TensorIteratorBaseEENKUlvE_clEvENKUlvE1_clEvEUlN3c107complexINS6_4HalfEEEE_St5arrayIPcLm2EEEEviT0_T1_,comdat
	.globl	_ZN2at6native29vectorized_elementwise_kernelILi8EZZZNS0_15exp_kernel_cudaERNS_18TensorIteratorBaseEENKUlvE_clEvENKUlvE1_clEvEUlN3c107complexINS6_4HalfEEEE_St5arrayIPcLm2EEEEviT0_T1_ ; -- Begin function _ZN2at6native29vectorized_elementwise_kernelILi8EZZZNS0_15exp_kernel_cudaERNS_18TensorIteratorBaseEENKUlvE_clEvENKUlvE1_clEvEUlN3c107complexINS6_4HalfEEEE_St5arrayIPcLm2EEEEviT0_T1_
	.p2align	8
	.type	_ZN2at6native29vectorized_elementwise_kernelILi8EZZZNS0_15exp_kernel_cudaERNS_18TensorIteratorBaseEENKUlvE_clEvENKUlvE1_clEvEUlN3c107complexINS6_4HalfEEEE_St5arrayIPcLm2EEEEviT0_T1_,@function
_ZN2at6native29vectorized_elementwise_kernelILi8EZZZNS0_15exp_kernel_cudaERNS_18TensorIteratorBaseEENKUlvE_clEvENKUlvE1_clEvEUlN3c107complexINS6_4HalfEEEE_St5arrayIPcLm2EEEEviT0_T1_: ; @_ZN2at6native29vectorized_elementwise_kernelILi8EZZZNS0_15exp_kernel_cudaERNS_18TensorIteratorBaseEENKUlvE_clEvENKUlvE1_clEvEUlN3c107complexINS6_4HalfEEEE_St5arrayIPcLm2EEEEviT0_T1_
; %bb.0:
	s_clause 0x1
	s_load_b32 s2, s[0:1], 0x0
	s_load_b128 s[16:19], s[0:1], 0x8
	s_lshl_b32 s10, s15, 10
	v_mov_b32_e32 v17, v0
	s_mov_b32 s0, -1
	s_mov_b32 s32, 0
	s_waitcnt lgkmcnt(0)
	s_sub_i32 s12, s2, s10
	s_delay_alu instid0(SALU_CYCLE_1)
	s_cmpk_gt_i32 s12, 0x3ff
	s_cbranch_scc0 .LBB67_2
; %bb.1:
	s_ashr_i32 s11, s10, 31
	v_lshlrev_b32_e32 v22, 4, v17
	s_lshl_b64 s[14:15], s[10:11], 2
	s_delay_alu instid0(SALU_CYCLE_1)
	s_add_u32 s0, s18, s14
	s_addc_u32 s1, s19, s15
	s_getpc_b64 s[20:21]
	s_add_u32 s20, s20, _ZN16c10_complex_math3expIfEEN3c107complexIT_EERKS4_@rel32@lo+4
	s_addc_u32 s21, s21, _ZN16c10_complex_math3expIfEEN3c107complexIT_EERKS4_@rel32@hi+12
	global_load_b128 v[18:21], v22, s[0:1]
	s_waitcnt vmcnt(0)
	v_lshrrev_b32_e32 v1, 16, v18
	v_cvt_f32_f16_e32 v0, v18
	s_delay_alu instid0(VALU_DEP_2) | instskip(SKIP_1) | instid1(VALU_DEP_1)
	v_cvt_f32_f16_e32 v1, v1
	s_swappc_b64 s[30:31], s[20:21]
	v_cvt_f16_f32_e32 v1, v1
	s_delay_alu instid0(VALU_DEP_3) | instskip(SKIP_1) | instid1(VALU_DEP_3)
	v_cvt_f16_f32_e32 v0, v0
	v_lshrrev_b32_e32 v2, 16, v19
	v_lshlrev_b32_e32 v3, 16, v1
	s_delay_alu instid0(VALU_DEP_3) | instskip(SKIP_1) | instid1(VALU_DEP_4)
	v_and_b32_e32 v4, 0xffff, v0
	v_cvt_f32_f16_e32 v0, v19
	v_cvt_f32_f16_e32 v1, v2
	s_delay_alu instid0(VALU_DEP_3) | instskip(SKIP_1) | instid1(VALU_DEP_2)
	v_or_b32_e32 v18, v3, v4
	s_swappc_b64 s[30:31], s[20:21]
	v_cvt_f16_f32_e32 v1, v1
	v_cvt_f16_f32_e32 v0, v0
	v_lshrrev_b32_e32 v2, 16, v20
	s_delay_alu instid0(VALU_DEP_3) | instskip(NEXT) | instid1(VALU_DEP_3)
	v_lshlrev_b32_e32 v3, 16, v1
	v_and_b32_e32 v4, 0xffff, v0
	v_cvt_f32_f16_e32 v0, v20
	s_delay_alu instid0(VALU_DEP_4) | instskip(NEXT) | instid1(VALU_DEP_3)
	v_cvt_f32_f16_e32 v1, v2
	v_or_b32_e32 v19, v3, v4
	s_swappc_b64 s[30:31], s[20:21]
	s_delay_alu instid0(VALU_DEP_2) | instskip(SKIP_2) | instid1(VALU_DEP_3)
	v_cvt_f16_f32_e32 v1, v1
	v_cvt_f16_f32_e32 v0, v0
	v_lshrrev_b32_e32 v2, 16, v21
	v_lshlrev_b32_e32 v3, 16, v1
	s_delay_alu instid0(VALU_DEP_3) | instskip(SKIP_1) | instid1(VALU_DEP_4)
	v_and_b32_e32 v4, 0xffff, v0
	v_cvt_f32_f16_e32 v0, v21
	v_cvt_f32_f16_e32 v1, v2
	s_delay_alu instid0(VALU_DEP_3) | instskip(SKIP_1) | instid1(VALU_DEP_2)
	v_or_b32_e32 v20, v3, v4
	s_swappc_b64 s[30:31], s[20:21]
	v_cvt_f16_f32_e32 v1, v1
	v_cvt_f16_f32_e32 v0, v0
	s_add_u32 s2, s16, s14
	s_addc_u32 s3, s17, s15
	s_mov_b32 s0, 0
	v_lshlrev_b32_e32 v1, 16, v1
	v_and_b32_e32 v0, 0xffff, v0
	s_delay_alu instid0(VALU_DEP_1)
	v_or_b32_e32 v21, v1, v0
	global_store_b128 v22, v[18:21], s[2:3]
.LBB67_2:
	s_and_not1_b32 vcc_lo, exec_lo, s0
	s_cbranch_vccnz .LBB67_21
; %bb.3:
	v_cmp_gt_i32_e64 s9, s12, v17
	v_dual_mov_b32 v21, 0 :: v_dual_mov_b32 v0, 0
	v_or_b32_e32 v18, s10, v17
	v_or_b32_e32 v20, 0x100, v17
	v_mov_b32_e32 v1, v17
	s_and_saveexec_b32 s0, s9
	s_cbranch_execz .LBB67_5
; %bb.4:
	v_mov_b32_e32 v19, 0
	s_delay_alu instid0(VALU_DEP_1) | instskip(NEXT) | instid1(VALU_DEP_1)
	v_lshlrev_b64 v[0:1], 2, v[18:19]
	v_add_co_u32 v0, vcc_lo, s18, v0
	s_delay_alu instid0(VALU_DEP_2)
	v_add_co_ci_u32_e32 v1, vcc_lo, s19, v1, vcc_lo
	global_load_b32 v0, v[0:1], off
	v_or_b32_e32 v1, 0x100, v17
.LBB67_5:
	s_or_b32 exec_lo, exec_lo, s0
	s_delay_alu instid0(SALU_CYCLE_1) | instskip(NEXT) | instid1(VALU_DEP_1)
	s_mov_b32 s0, exec_lo
	v_cmpx_gt_i32_e64 s12, v1
	s_cbranch_execz .LBB67_7
; %bb.6:
	v_dual_mov_b32 v3, 0 :: v_dual_add_nc_u32 v2, s10, v1
	v_add_nc_u32_e32 v1, 0x100, v1
	s_delay_alu instid0(VALU_DEP_2) | instskip(NEXT) | instid1(VALU_DEP_1)
	v_lshlrev_b64 v[2:3], 2, v[2:3]
	v_add_co_u32 v2, vcc_lo, s18, v2
	s_delay_alu instid0(VALU_DEP_2)
	v_add_co_ci_u32_e32 v3, vcc_lo, s19, v3, vcc_lo
	global_load_b32 v21, v[2:3], off
.LBB67_7:
	s_or_b32 exec_lo, exec_lo, s0
	v_dual_mov_b32 v19, 0 :: v_dual_mov_b32 v24, 0
	s_mov_b32 s0, exec_lo
	v_cmpx_gt_i32_e64 s12, v1
	s_cbranch_execz .LBB67_22
; %bb.8:
	v_dual_mov_b32 v3, 0 :: v_dual_add_nc_u32 v2, s10, v1
	v_add_nc_u32_e32 v1, 0x100, v1
	s_delay_alu instid0(VALU_DEP_2) | instskip(NEXT) | instid1(VALU_DEP_1)
	v_lshlrev_b64 v[2:3], 2, v[2:3]
	v_add_co_u32 v2, vcc_lo, s18, v2
	s_delay_alu instid0(VALU_DEP_2) | instskip(SKIP_2) | instid1(SALU_CYCLE_1)
	v_add_co_ci_u32_e32 v3, vcc_lo, s19, v3, vcc_lo
	global_load_b32 v24, v[2:3], off
	s_or_b32 exec_lo, exec_lo, s0
	s_mov_b32 s0, exec_lo
	v_cmpx_gt_i32_e64 s12, v1
	s_cbranch_execnz .LBB67_23
.LBB67_9:
	s_or_b32 exec_lo, exec_lo, s0
                                        ; implicit-def: $vgpr22
	s_and_saveexec_b32 s11, s9
	s_cbranch_execz .LBB67_11
.LBB67_10:
	s_waitcnt vmcnt(0)
	v_lshrrev_b32_e32 v1, 16, v0
	v_cvt_f32_f16_e32 v0, v0
	s_getpc_b64 s[0:1]
	s_add_u32 s0, s0, _ZN16c10_complex_math3expIfEEN3c107complexIT_EERKS4_@rel32@lo+4
	s_addc_u32 s1, s1, _ZN16c10_complex_math3expIfEEN3c107complexIT_EERKS4_@rel32@hi+12
	v_cvt_f32_f16_e32 v1, v1
	s_swappc_b64 s[30:31], s[0:1]
	s_delay_alu instid0(VALU_DEP_1) | instskip(SKIP_1) | instid1(VALU_DEP_2)
	v_cvt_f16_f32_e32 v1, v1
	v_cvt_f16_f32_e32 v0, v0
	v_lshlrev_b32_e32 v1, 16, v1
	s_delay_alu instid0(VALU_DEP_2) | instskip(NEXT) | instid1(VALU_DEP_1)
	v_and_b32_e32 v0, 0xffff, v0
	v_or_b32_e32 v22, v1, v0
.LBB67_11:
	s_or_b32 exec_lo, exec_lo, s11
	s_delay_alu instid0(SALU_CYCLE_1)
	s_mov_b32 s11, exec_lo
                                        ; implicit-def: $vgpr23
	v_cmpx_gt_i32_e64 s12, v20
	s_cbranch_execz .LBB67_13
; %bb.12:
	s_waitcnt vmcnt(0)
	v_lshrrev_b32_e32 v1, 16, v21
	v_cvt_f32_f16_e32 v0, v21
	s_getpc_b64 s[0:1]
	s_add_u32 s0, s0, _ZN16c10_complex_math3expIfEEN3c107complexIT_EERKS4_@rel32@lo+4
	s_addc_u32 s1, s1, _ZN16c10_complex_math3expIfEEN3c107complexIT_EERKS4_@rel32@hi+12
	v_cvt_f32_f16_e32 v1, v1
	s_swappc_b64 s[30:31], s[0:1]
	s_delay_alu instid0(VALU_DEP_1) | instskip(SKIP_1) | instid1(VALU_DEP_2)
	v_cvt_f16_f32_e32 v1, v1
	v_cvt_f16_f32_e32 v0, v0
	v_lshlrev_b32_e32 v1, 16, v1
	s_delay_alu instid0(VALU_DEP_2) | instskip(NEXT) | instid1(VALU_DEP_1)
	v_and_b32_e32 v0, 0xffff, v0
	v_or_b32_e32 v23, v1, v0
.LBB67_13:
	s_or_b32 exec_lo, exec_lo, s11
	s_waitcnt vmcnt(0)
	v_or_b32_e32 v0, 0x200, v17
	s_mov_b32 s11, exec_lo
                                        ; implicit-def: $vgpr21
	s_delay_alu instid0(VALU_DEP_1)
	v_cmpx_gt_i32_e64 s12, v0
	s_cbranch_execz .LBB67_15
; %bb.14:
	v_lshrrev_b32_e32 v1, 16, v24
	v_cvt_f32_f16_e32 v0, v24
	s_getpc_b64 s[0:1]
	s_add_u32 s0, s0, _ZN16c10_complex_math3expIfEEN3c107complexIT_EERKS4_@rel32@lo+4
	s_addc_u32 s1, s1, _ZN16c10_complex_math3expIfEEN3c107complexIT_EERKS4_@rel32@hi+12
	v_cvt_f32_f16_e32 v1, v1
	s_swappc_b64 s[30:31], s[0:1]
	s_delay_alu instid0(VALU_DEP_1) | instskip(SKIP_1) | instid1(VALU_DEP_2)
	v_cvt_f16_f32_e32 v1, v1
	v_cvt_f16_f32_e32 v0, v0
	v_lshlrev_b32_e32 v1, 16, v1
	s_delay_alu instid0(VALU_DEP_2) | instskip(NEXT) | instid1(VALU_DEP_1)
	v_and_b32_e32 v0, 0xffff, v0
	v_or_b32_e32 v21, v1, v0
.LBB67_15:
	s_or_b32 exec_lo, exec_lo, s11
	v_or_b32_e32 v0, 0x300, v17
	s_delay_alu instid0(VALU_DEP_1)
	v_cmp_gt_i32_e32 vcc_lo, s12, v0
                                        ; implicit-def: $vgpr0
	s_and_saveexec_b32 s11, vcc_lo
	s_cbranch_execz .LBB67_24
; %bb.16:
	v_lshrrev_b32_e32 v1, 16, v19
	v_cvt_f32_f16_e32 v0, v19
	s_getpc_b64 s[0:1]
	s_add_u32 s0, s0, _ZN16c10_complex_math3expIfEEN3c107complexIT_EERKS4_@rel32@lo+4
	s_addc_u32 s1, s1, _ZN16c10_complex_math3expIfEEN3c107complexIT_EERKS4_@rel32@hi+12
	v_cvt_f32_f16_e32 v1, v1
	s_swappc_b64 s[30:31], s[0:1]
	s_delay_alu instid0(VALU_DEP_1) | instskip(SKIP_1) | instid1(VALU_DEP_2)
	v_cvt_f16_f32_e32 v1, v1
	v_cvt_f16_f32_e32 v0, v0
	v_lshlrev_b32_e32 v1, 16, v1
	s_delay_alu instid0(VALU_DEP_2) | instskip(NEXT) | instid1(VALU_DEP_1)
	v_and_b32_e32 v0, 0xffff, v0
	v_or_b32_e32 v0, v1, v0
	s_or_b32 exec_lo, exec_lo, s11
	s_and_saveexec_b32 s0, s9
	s_delay_alu instid0(SALU_CYCLE_1)
	s_xor_b32 s0, exec_lo, s0
	s_cbranch_execnz .LBB67_25
.LBB67_17:
	s_or_b32 exec_lo, exec_lo, s0
	s_delay_alu instid0(SALU_CYCLE_1)
	s_mov_b32 s0, exec_lo
	v_cmpx_gt_i32_e64 s12, v17
	s_cbranch_execz .LBB67_26
.LBB67_18:
	v_dual_mov_b32 v2, 0 :: v_dual_add_nc_u32 v1, s10, v17
	v_add_nc_u32_e32 v17, 0x100, v17
	s_delay_alu instid0(VALU_DEP_2) | instskip(NEXT) | instid1(VALU_DEP_1)
	v_lshlrev_b64 v[1:2], 2, v[1:2]
	v_add_co_u32 v1, vcc_lo, s16, v1
	s_delay_alu instid0(VALU_DEP_2) | instskip(SKIP_2) | instid1(SALU_CYCLE_1)
	v_add_co_ci_u32_e32 v2, vcc_lo, s17, v2, vcc_lo
	global_store_b32 v[1:2], v23, off
	s_or_b32 exec_lo, exec_lo, s0
	s_mov_b32 s0, exec_lo
	v_cmpx_gt_i32_e64 s12, v17
	s_cbranch_execnz .LBB67_27
.LBB67_19:
	s_or_b32 exec_lo, exec_lo, s0
	s_delay_alu instid0(SALU_CYCLE_1)
	s_mov_b32 s0, exec_lo
	v_cmpx_gt_i32_e64 s12, v17
	s_cbranch_execz .LBB67_21
.LBB67_20:
	v_dual_mov_b32 v2, 0 :: v_dual_add_nc_u32 v1, s10, v17
	s_delay_alu instid0(VALU_DEP_1) | instskip(NEXT) | instid1(VALU_DEP_1)
	v_lshlrev_b64 v[1:2], 2, v[1:2]
	v_add_co_u32 v1, vcc_lo, s16, v1
	s_delay_alu instid0(VALU_DEP_2)
	v_add_co_ci_u32_e32 v2, vcc_lo, s17, v2, vcc_lo
	global_store_b32 v[1:2], v0, off
.LBB67_21:
	s_endpgm
.LBB67_22:
	s_or_b32 exec_lo, exec_lo, s0
	s_delay_alu instid0(SALU_CYCLE_1)
	s_mov_b32 s0, exec_lo
	v_cmpx_gt_i32_e64 s12, v1
	s_cbranch_execz .LBB67_9
.LBB67_23:
	v_dual_mov_b32 v2, 0 :: v_dual_add_nc_u32 v1, s10, v1
	s_delay_alu instid0(VALU_DEP_1) | instskip(NEXT) | instid1(VALU_DEP_1)
	v_lshlrev_b64 v[1:2], 2, v[1:2]
	v_add_co_u32 v1, vcc_lo, s18, v1
	s_delay_alu instid0(VALU_DEP_2)
	v_add_co_ci_u32_e32 v2, vcc_lo, s19, v2, vcc_lo
	global_load_b32 v19, v[1:2], off
	s_or_b32 exec_lo, exec_lo, s0
                                        ; implicit-def: $vgpr22
	s_and_saveexec_b32 s11, s9
	s_cbranch_execz .LBB67_11
	s_branch .LBB67_10
.LBB67_24:
	s_or_b32 exec_lo, exec_lo, s11
	s_and_saveexec_b32 s0, s9
	s_delay_alu instid0(SALU_CYCLE_1)
	s_xor_b32 s0, exec_lo, s0
	s_cbranch_execz .LBB67_17
.LBB67_25:
	v_mov_b32_e32 v19, 0
	v_mov_b32_e32 v17, v20
	s_delay_alu instid0(VALU_DEP_2) | instskip(NEXT) | instid1(VALU_DEP_1)
	v_lshlrev_b64 v[1:2], 2, v[18:19]
	v_add_co_u32 v1, vcc_lo, s16, v1
	s_delay_alu instid0(VALU_DEP_2) | instskip(SKIP_2) | instid1(SALU_CYCLE_1)
	v_add_co_ci_u32_e32 v2, vcc_lo, s17, v2, vcc_lo
	global_store_b32 v[1:2], v22, off
	s_or_b32 exec_lo, exec_lo, s0
	s_mov_b32 s0, exec_lo
	v_cmpx_gt_i32_e64 s12, v17
	s_cbranch_execnz .LBB67_18
.LBB67_26:
	s_or_b32 exec_lo, exec_lo, s0
	s_delay_alu instid0(SALU_CYCLE_1)
	s_mov_b32 s0, exec_lo
	v_cmpx_gt_i32_e64 s12, v17
	s_cbranch_execz .LBB67_19
.LBB67_27:
	v_dual_mov_b32 v2, 0 :: v_dual_add_nc_u32 v1, s10, v17
	v_add_nc_u32_e32 v17, 0x100, v17
	s_delay_alu instid0(VALU_DEP_2) | instskip(NEXT) | instid1(VALU_DEP_1)
	v_lshlrev_b64 v[1:2], 2, v[1:2]
	v_add_co_u32 v1, vcc_lo, s16, v1
	s_delay_alu instid0(VALU_DEP_2) | instskip(SKIP_2) | instid1(SALU_CYCLE_1)
	v_add_co_ci_u32_e32 v2, vcc_lo, s17, v2, vcc_lo
	global_store_b32 v[1:2], v21, off
	s_or_b32 exec_lo, exec_lo, s0
	s_mov_b32 s0, exec_lo
	v_cmpx_gt_i32_e64 s12, v17
	s_cbranch_execnz .LBB67_20
	s_branch .LBB67_21
	.section	.rodata,"a",@progbits
	.p2align	6, 0x0
	.amdhsa_kernel _ZN2at6native29vectorized_elementwise_kernelILi8EZZZNS0_15exp_kernel_cudaERNS_18TensorIteratorBaseEENKUlvE_clEvENKUlvE1_clEvEUlN3c107complexINS6_4HalfEEEE_St5arrayIPcLm2EEEEviT0_T1_
		.amdhsa_group_segment_fixed_size 0
		.amdhsa_private_segment_fixed_size 0
		.amdhsa_kernarg_size 24
		.amdhsa_user_sgpr_count 15
		.amdhsa_user_sgpr_dispatch_ptr 0
		.amdhsa_user_sgpr_queue_ptr 0
		.amdhsa_user_sgpr_kernarg_segment_ptr 1
		.amdhsa_user_sgpr_dispatch_id 0
		.amdhsa_user_sgpr_private_segment_size 0
		.amdhsa_wavefront_size32 1
		.amdhsa_uses_dynamic_stack 0
		.amdhsa_enable_private_segment 0
		.amdhsa_system_sgpr_workgroup_id_x 1
		.amdhsa_system_sgpr_workgroup_id_y 0
		.amdhsa_system_sgpr_workgroup_id_z 0
		.amdhsa_system_sgpr_workgroup_info 0
		.amdhsa_system_vgpr_workitem_id 0
		.amdhsa_next_free_vgpr 25
		.amdhsa_next_free_sgpr 33
		.amdhsa_reserve_vcc 1
		.amdhsa_float_round_mode_32 0
		.amdhsa_float_round_mode_16_64 0
		.amdhsa_float_denorm_mode_32 3
		.amdhsa_float_denorm_mode_16_64 3
		.amdhsa_dx10_clamp 1
		.amdhsa_ieee_mode 1
		.amdhsa_fp16_overflow 0
		.amdhsa_workgroup_processor_mode 1
		.amdhsa_memory_ordered 1
		.amdhsa_forward_progress 0
		.amdhsa_shared_vgpr_count 0
		.amdhsa_exception_fp_ieee_invalid_op 0
		.amdhsa_exception_fp_denorm_src 0
		.amdhsa_exception_fp_ieee_div_zero 0
		.amdhsa_exception_fp_ieee_overflow 0
		.amdhsa_exception_fp_ieee_underflow 0
		.amdhsa_exception_fp_ieee_inexact 0
		.amdhsa_exception_int_div_zero 0
	.end_amdhsa_kernel
	.section	.text._ZN2at6native29vectorized_elementwise_kernelILi8EZZZNS0_15exp_kernel_cudaERNS_18TensorIteratorBaseEENKUlvE_clEvENKUlvE1_clEvEUlN3c107complexINS6_4HalfEEEE_St5arrayIPcLm2EEEEviT0_T1_,"axG",@progbits,_ZN2at6native29vectorized_elementwise_kernelILi8EZZZNS0_15exp_kernel_cudaERNS_18TensorIteratorBaseEENKUlvE_clEvENKUlvE1_clEvEUlN3c107complexINS6_4HalfEEEE_St5arrayIPcLm2EEEEviT0_T1_,comdat
.Lfunc_end67:
	.size	_ZN2at6native29vectorized_elementwise_kernelILi8EZZZNS0_15exp_kernel_cudaERNS_18TensorIteratorBaseEENKUlvE_clEvENKUlvE1_clEvEUlN3c107complexINS6_4HalfEEEE_St5arrayIPcLm2EEEEviT0_T1_, .Lfunc_end67-_ZN2at6native29vectorized_elementwise_kernelILi8EZZZNS0_15exp_kernel_cudaERNS_18TensorIteratorBaseEENKUlvE_clEvENKUlvE1_clEvEUlN3c107complexINS6_4HalfEEEE_St5arrayIPcLm2EEEEviT0_T1_
                                        ; -- End function
	.section	.AMDGPU.csdata,"",@progbits
; Kernel info:
; codeLenInByte = 1440
; NumSgprs: 35
; NumVgprs: 25
; ScratchSize: 0
; MemoryBound: 0
; FloatMode: 240
; IeeeMode: 1
; LDSByteSize: 0 bytes/workgroup (compile time only)
; SGPRBlocks: 4
; VGPRBlocks: 3
; NumSGPRsForWavesPerEU: 35
; NumVGPRsForWavesPerEU: 25
; Occupancy: 16
; WaveLimiterHint : 0
; COMPUTE_PGM_RSRC2:SCRATCH_EN: 0
; COMPUTE_PGM_RSRC2:USER_SGPR: 15
; COMPUTE_PGM_RSRC2:TRAP_HANDLER: 0
; COMPUTE_PGM_RSRC2:TGID_X_EN: 1
; COMPUTE_PGM_RSRC2:TGID_Y_EN: 0
; COMPUTE_PGM_RSRC2:TGID_Z_EN: 0
; COMPUTE_PGM_RSRC2:TIDIG_COMP_CNT: 0
	.section	.text._ZN2at6native29vectorized_elementwise_kernelILi4EZZZNS0_15exp_kernel_cudaERNS_18TensorIteratorBaseEENKUlvE_clEvENKUlvE1_clEvEUlN3c107complexINS6_4HalfEEEE_St5arrayIPcLm2EEEEviT0_T1_,"axG",@progbits,_ZN2at6native29vectorized_elementwise_kernelILi4EZZZNS0_15exp_kernel_cudaERNS_18TensorIteratorBaseEENKUlvE_clEvENKUlvE1_clEvEUlN3c107complexINS6_4HalfEEEE_St5arrayIPcLm2EEEEviT0_T1_,comdat
	.globl	_ZN2at6native29vectorized_elementwise_kernelILi4EZZZNS0_15exp_kernel_cudaERNS_18TensorIteratorBaseEENKUlvE_clEvENKUlvE1_clEvEUlN3c107complexINS6_4HalfEEEE_St5arrayIPcLm2EEEEviT0_T1_ ; -- Begin function _ZN2at6native29vectorized_elementwise_kernelILi4EZZZNS0_15exp_kernel_cudaERNS_18TensorIteratorBaseEENKUlvE_clEvENKUlvE1_clEvEUlN3c107complexINS6_4HalfEEEE_St5arrayIPcLm2EEEEviT0_T1_
	.p2align	8
	.type	_ZN2at6native29vectorized_elementwise_kernelILi4EZZZNS0_15exp_kernel_cudaERNS_18TensorIteratorBaseEENKUlvE_clEvENKUlvE1_clEvEUlN3c107complexINS6_4HalfEEEE_St5arrayIPcLm2EEEEviT0_T1_,@function
_ZN2at6native29vectorized_elementwise_kernelILi4EZZZNS0_15exp_kernel_cudaERNS_18TensorIteratorBaseEENKUlvE_clEvENKUlvE1_clEvEUlN3c107complexINS6_4HalfEEEE_St5arrayIPcLm2EEEEviT0_T1_: ; @_ZN2at6native29vectorized_elementwise_kernelILi4EZZZNS0_15exp_kernel_cudaERNS_18TensorIteratorBaseEENKUlvE_clEvENKUlvE1_clEvEUlN3c107complexINS6_4HalfEEEE_St5arrayIPcLm2EEEEviT0_T1_
; %bb.0:
	s_clause 0x1
	s_load_b32 s2, s[0:1], 0x0
	s_load_b128 s[16:19], s[0:1], 0x8
	s_lshl_b32 s10, s15, 10
	v_mov_b32_e32 v17, v0
	s_mov_b32 s0, -1
	s_mov_b32 s32, 0
	s_waitcnt lgkmcnt(0)
	s_sub_i32 s12, s2, s10
	s_delay_alu instid0(SALU_CYCLE_1)
	s_cmpk_gt_i32 s12, 0x3ff
	s_cbranch_scc0 .LBB68_2
; %bb.1:
	s_ashr_i32 s11, s10, 31
	v_lshlrev_b32_e32 v22, 4, v17
	s_lshl_b64 s[14:15], s[10:11], 2
	s_delay_alu instid0(SALU_CYCLE_1)
	s_add_u32 s0, s18, s14
	s_addc_u32 s1, s19, s15
	s_getpc_b64 s[20:21]
	s_add_u32 s20, s20, _ZN16c10_complex_math3expIfEEN3c107complexIT_EERKS4_@rel32@lo+4
	s_addc_u32 s21, s21, _ZN16c10_complex_math3expIfEEN3c107complexIT_EERKS4_@rel32@hi+12
	global_load_b128 v[18:21], v22, s[0:1]
	s_waitcnt vmcnt(0)
	v_lshrrev_b32_e32 v1, 16, v18
	v_cvt_f32_f16_e32 v0, v18
	s_delay_alu instid0(VALU_DEP_2) | instskip(SKIP_1) | instid1(VALU_DEP_1)
	v_cvt_f32_f16_e32 v1, v1
	s_swappc_b64 s[30:31], s[20:21]
	v_cvt_f16_f32_e32 v1, v1
	s_delay_alu instid0(VALU_DEP_3) | instskip(SKIP_1) | instid1(VALU_DEP_3)
	v_cvt_f16_f32_e32 v0, v0
	v_lshrrev_b32_e32 v2, 16, v19
	v_lshlrev_b32_e32 v3, 16, v1
	s_delay_alu instid0(VALU_DEP_3) | instskip(SKIP_1) | instid1(VALU_DEP_4)
	v_and_b32_e32 v4, 0xffff, v0
	v_cvt_f32_f16_e32 v0, v19
	v_cvt_f32_f16_e32 v1, v2
	s_delay_alu instid0(VALU_DEP_3) | instskip(SKIP_1) | instid1(VALU_DEP_2)
	v_or_b32_e32 v18, v3, v4
	s_swappc_b64 s[30:31], s[20:21]
	v_cvt_f16_f32_e32 v1, v1
	v_cvt_f16_f32_e32 v0, v0
	v_lshrrev_b32_e32 v2, 16, v20
	s_delay_alu instid0(VALU_DEP_3) | instskip(NEXT) | instid1(VALU_DEP_3)
	v_lshlrev_b32_e32 v3, 16, v1
	v_and_b32_e32 v4, 0xffff, v0
	v_cvt_f32_f16_e32 v0, v20
	s_delay_alu instid0(VALU_DEP_4) | instskip(NEXT) | instid1(VALU_DEP_3)
	v_cvt_f32_f16_e32 v1, v2
	v_or_b32_e32 v19, v3, v4
	s_swappc_b64 s[30:31], s[20:21]
	s_delay_alu instid0(VALU_DEP_2) | instskip(SKIP_2) | instid1(VALU_DEP_3)
	v_cvt_f16_f32_e32 v1, v1
	v_cvt_f16_f32_e32 v0, v0
	v_lshrrev_b32_e32 v2, 16, v21
	v_lshlrev_b32_e32 v3, 16, v1
	s_delay_alu instid0(VALU_DEP_3) | instskip(SKIP_1) | instid1(VALU_DEP_4)
	v_and_b32_e32 v4, 0xffff, v0
	v_cvt_f32_f16_e32 v0, v21
	v_cvt_f32_f16_e32 v1, v2
	s_delay_alu instid0(VALU_DEP_3) | instskip(SKIP_1) | instid1(VALU_DEP_2)
	v_or_b32_e32 v20, v3, v4
	s_swappc_b64 s[30:31], s[20:21]
	v_cvt_f16_f32_e32 v1, v1
	v_cvt_f16_f32_e32 v0, v0
	s_add_u32 s2, s16, s14
	s_addc_u32 s3, s17, s15
	s_mov_b32 s0, 0
	v_lshlrev_b32_e32 v1, 16, v1
	v_and_b32_e32 v0, 0xffff, v0
	s_delay_alu instid0(VALU_DEP_1)
	v_or_b32_e32 v21, v1, v0
	global_store_b128 v22, v[18:21], s[2:3]
.LBB68_2:
	s_and_not1_b32 vcc_lo, exec_lo, s0
	s_cbranch_vccnz .LBB68_21
; %bb.3:
	v_cmp_gt_i32_e64 s9, s12, v17
	v_dual_mov_b32 v21, 0 :: v_dual_mov_b32 v0, 0
	v_or_b32_e32 v18, s10, v17
	v_or_b32_e32 v20, 0x100, v17
	v_mov_b32_e32 v1, v17
	s_and_saveexec_b32 s0, s9
	s_cbranch_execz .LBB68_5
; %bb.4:
	v_mov_b32_e32 v19, 0
	s_delay_alu instid0(VALU_DEP_1) | instskip(NEXT) | instid1(VALU_DEP_1)
	v_lshlrev_b64 v[0:1], 2, v[18:19]
	v_add_co_u32 v0, vcc_lo, s18, v0
	s_delay_alu instid0(VALU_DEP_2)
	v_add_co_ci_u32_e32 v1, vcc_lo, s19, v1, vcc_lo
	global_load_b32 v0, v[0:1], off
	v_or_b32_e32 v1, 0x100, v17
.LBB68_5:
	s_or_b32 exec_lo, exec_lo, s0
	s_delay_alu instid0(SALU_CYCLE_1) | instskip(NEXT) | instid1(VALU_DEP_1)
	s_mov_b32 s0, exec_lo
	v_cmpx_gt_i32_e64 s12, v1
	s_cbranch_execz .LBB68_7
; %bb.6:
	v_dual_mov_b32 v3, 0 :: v_dual_add_nc_u32 v2, s10, v1
	v_add_nc_u32_e32 v1, 0x100, v1
	s_delay_alu instid0(VALU_DEP_2) | instskip(NEXT) | instid1(VALU_DEP_1)
	v_lshlrev_b64 v[2:3], 2, v[2:3]
	v_add_co_u32 v2, vcc_lo, s18, v2
	s_delay_alu instid0(VALU_DEP_2)
	v_add_co_ci_u32_e32 v3, vcc_lo, s19, v3, vcc_lo
	global_load_b32 v21, v[2:3], off
.LBB68_7:
	s_or_b32 exec_lo, exec_lo, s0
	v_dual_mov_b32 v19, 0 :: v_dual_mov_b32 v24, 0
	s_mov_b32 s0, exec_lo
	v_cmpx_gt_i32_e64 s12, v1
	s_cbranch_execz .LBB68_22
; %bb.8:
	v_dual_mov_b32 v3, 0 :: v_dual_add_nc_u32 v2, s10, v1
	v_add_nc_u32_e32 v1, 0x100, v1
	s_delay_alu instid0(VALU_DEP_2) | instskip(NEXT) | instid1(VALU_DEP_1)
	v_lshlrev_b64 v[2:3], 2, v[2:3]
	v_add_co_u32 v2, vcc_lo, s18, v2
	s_delay_alu instid0(VALU_DEP_2) | instskip(SKIP_2) | instid1(SALU_CYCLE_1)
	v_add_co_ci_u32_e32 v3, vcc_lo, s19, v3, vcc_lo
	global_load_b32 v24, v[2:3], off
	s_or_b32 exec_lo, exec_lo, s0
	s_mov_b32 s0, exec_lo
	v_cmpx_gt_i32_e64 s12, v1
	s_cbranch_execnz .LBB68_23
.LBB68_9:
	s_or_b32 exec_lo, exec_lo, s0
                                        ; implicit-def: $vgpr22
	s_and_saveexec_b32 s11, s9
	s_cbranch_execz .LBB68_11
.LBB68_10:
	s_waitcnt vmcnt(0)
	v_lshrrev_b32_e32 v1, 16, v0
	v_cvt_f32_f16_e32 v0, v0
	s_getpc_b64 s[0:1]
	s_add_u32 s0, s0, _ZN16c10_complex_math3expIfEEN3c107complexIT_EERKS4_@rel32@lo+4
	s_addc_u32 s1, s1, _ZN16c10_complex_math3expIfEEN3c107complexIT_EERKS4_@rel32@hi+12
	v_cvt_f32_f16_e32 v1, v1
	s_swappc_b64 s[30:31], s[0:1]
	s_delay_alu instid0(VALU_DEP_1) | instskip(SKIP_1) | instid1(VALU_DEP_2)
	v_cvt_f16_f32_e32 v1, v1
	v_cvt_f16_f32_e32 v0, v0
	v_lshlrev_b32_e32 v1, 16, v1
	s_delay_alu instid0(VALU_DEP_2) | instskip(NEXT) | instid1(VALU_DEP_1)
	v_and_b32_e32 v0, 0xffff, v0
	v_or_b32_e32 v22, v1, v0
.LBB68_11:
	s_or_b32 exec_lo, exec_lo, s11
	s_delay_alu instid0(SALU_CYCLE_1)
	s_mov_b32 s11, exec_lo
                                        ; implicit-def: $vgpr23
	v_cmpx_gt_i32_e64 s12, v20
	s_cbranch_execz .LBB68_13
; %bb.12:
	s_waitcnt vmcnt(0)
	v_lshrrev_b32_e32 v1, 16, v21
	v_cvt_f32_f16_e32 v0, v21
	s_getpc_b64 s[0:1]
	s_add_u32 s0, s0, _ZN16c10_complex_math3expIfEEN3c107complexIT_EERKS4_@rel32@lo+4
	s_addc_u32 s1, s1, _ZN16c10_complex_math3expIfEEN3c107complexIT_EERKS4_@rel32@hi+12
	v_cvt_f32_f16_e32 v1, v1
	s_swappc_b64 s[30:31], s[0:1]
	s_delay_alu instid0(VALU_DEP_1) | instskip(SKIP_1) | instid1(VALU_DEP_2)
	v_cvt_f16_f32_e32 v1, v1
	v_cvt_f16_f32_e32 v0, v0
	v_lshlrev_b32_e32 v1, 16, v1
	s_delay_alu instid0(VALU_DEP_2) | instskip(NEXT) | instid1(VALU_DEP_1)
	v_and_b32_e32 v0, 0xffff, v0
	v_or_b32_e32 v23, v1, v0
.LBB68_13:
	s_or_b32 exec_lo, exec_lo, s11
	s_waitcnt vmcnt(0)
	v_or_b32_e32 v0, 0x200, v17
	s_mov_b32 s11, exec_lo
                                        ; implicit-def: $vgpr21
	s_delay_alu instid0(VALU_DEP_1)
	v_cmpx_gt_i32_e64 s12, v0
	s_cbranch_execz .LBB68_15
; %bb.14:
	v_lshrrev_b32_e32 v1, 16, v24
	v_cvt_f32_f16_e32 v0, v24
	s_getpc_b64 s[0:1]
	s_add_u32 s0, s0, _ZN16c10_complex_math3expIfEEN3c107complexIT_EERKS4_@rel32@lo+4
	s_addc_u32 s1, s1, _ZN16c10_complex_math3expIfEEN3c107complexIT_EERKS4_@rel32@hi+12
	v_cvt_f32_f16_e32 v1, v1
	s_swappc_b64 s[30:31], s[0:1]
	s_delay_alu instid0(VALU_DEP_1) | instskip(SKIP_1) | instid1(VALU_DEP_2)
	v_cvt_f16_f32_e32 v1, v1
	v_cvt_f16_f32_e32 v0, v0
	v_lshlrev_b32_e32 v1, 16, v1
	s_delay_alu instid0(VALU_DEP_2) | instskip(NEXT) | instid1(VALU_DEP_1)
	v_and_b32_e32 v0, 0xffff, v0
	v_or_b32_e32 v21, v1, v0
.LBB68_15:
	s_or_b32 exec_lo, exec_lo, s11
	v_or_b32_e32 v0, 0x300, v17
	s_delay_alu instid0(VALU_DEP_1)
	v_cmp_gt_i32_e32 vcc_lo, s12, v0
                                        ; implicit-def: $vgpr0
	s_and_saveexec_b32 s11, vcc_lo
	s_cbranch_execz .LBB68_24
; %bb.16:
	v_lshrrev_b32_e32 v1, 16, v19
	v_cvt_f32_f16_e32 v0, v19
	s_getpc_b64 s[0:1]
	s_add_u32 s0, s0, _ZN16c10_complex_math3expIfEEN3c107complexIT_EERKS4_@rel32@lo+4
	s_addc_u32 s1, s1, _ZN16c10_complex_math3expIfEEN3c107complexIT_EERKS4_@rel32@hi+12
	v_cvt_f32_f16_e32 v1, v1
	s_swappc_b64 s[30:31], s[0:1]
	s_delay_alu instid0(VALU_DEP_1) | instskip(SKIP_1) | instid1(VALU_DEP_2)
	v_cvt_f16_f32_e32 v1, v1
	v_cvt_f16_f32_e32 v0, v0
	v_lshlrev_b32_e32 v1, 16, v1
	s_delay_alu instid0(VALU_DEP_2) | instskip(NEXT) | instid1(VALU_DEP_1)
	v_and_b32_e32 v0, 0xffff, v0
	v_or_b32_e32 v0, v1, v0
	s_or_b32 exec_lo, exec_lo, s11
	s_and_saveexec_b32 s0, s9
	s_delay_alu instid0(SALU_CYCLE_1)
	s_xor_b32 s0, exec_lo, s0
	s_cbranch_execnz .LBB68_25
.LBB68_17:
	s_or_b32 exec_lo, exec_lo, s0
	s_delay_alu instid0(SALU_CYCLE_1)
	s_mov_b32 s0, exec_lo
	v_cmpx_gt_i32_e64 s12, v17
	s_cbranch_execz .LBB68_26
.LBB68_18:
	v_dual_mov_b32 v2, 0 :: v_dual_add_nc_u32 v1, s10, v17
	v_add_nc_u32_e32 v17, 0x100, v17
	s_delay_alu instid0(VALU_DEP_2) | instskip(NEXT) | instid1(VALU_DEP_1)
	v_lshlrev_b64 v[1:2], 2, v[1:2]
	v_add_co_u32 v1, vcc_lo, s16, v1
	s_delay_alu instid0(VALU_DEP_2) | instskip(SKIP_2) | instid1(SALU_CYCLE_1)
	v_add_co_ci_u32_e32 v2, vcc_lo, s17, v2, vcc_lo
	global_store_b32 v[1:2], v23, off
	s_or_b32 exec_lo, exec_lo, s0
	s_mov_b32 s0, exec_lo
	v_cmpx_gt_i32_e64 s12, v17
	s_cbranch_execnz .LBB68_27
.LBB68_19:
	s_or_b32 exec_lo, exec_lo, s0
	s_delay_alu instid0(SALU_CYCLE_1)
	s_mov_b32 s0, exec_lo
	v_cmpx_gt_i32_e64 s12, v17
	s_cbranch_execz .LBB68_21
.LBB68_20:
	v_dual_mov_b32 v2, 0 :: v_dual_add_nc_u32 v1, s10, v17
	s_delay_alu instid0(VALU_DEP_1) | instskip(NEXT) | instid1(VALU_DEP_1)
	v_lshlrev_b64 v[1:2], 2, v[1:2]
	v_add_co_u32 v1, vcc_lo, s16, v1
	s_delay_alu instid0(VALU_DEP_2)
	v_add_co_ci_u32_e32 v2, vcc_lo, s17, v2, vcc_lo
	global_store_b32 v[1:2], v0, off
.LBB68_21:
	s_endpgm
.LBB68_22:
	s_or_b32 exec_lo, exec_lo, s0
	s_delay_alu instid0(SALU_CYCLE_1)
	s_mov_b32 s0, exec_lo
	v_cmpx_gt_i32_e64 s12, v1
	s_cbranch_execz .LBB68_9
.LBB68_23:
	v_dual_mov_b32 v2, 0 :: v_dual_add_nc_u32 v1, s10, v1
	s_delay_alu instid0(VALU_DEP_1) | instskip(NEXT) | instid1(VALU_DEP_1)
	v_lshlrev_b64 v[1:2], 2, v[1:2]
	v_add_co_u32 v1, vcc_lo, s18, v1
	s_delay_alu instid0(VALU_DEP_2)
	v_add_co_ci_u32_e32 v2, vcc_lo, s19, v2, vcc_lo
	global_load_b32 v19, v[1:2], off
	s_or_b32 exec_lo, exec_lo, s0
                                        ; implicit-def: $vgpr22
	s_and_saveexec_b32 s11, s9
	s_cbranch_execz .LBB68_11
	s_branch .LBB68_10
.LBB68_24:
	s_or_b32 exec_lo, exec_lo, s11
	s_and_saveexec_b32 s0, s9
	s_delay_alu instid0(SALU_CYCLE_1)
	s_xor_b32 s0, exec_lo, s0
	s_cbranch_execz .LBB68_17
.LBB68_25:
	v_mov_b32_e32 v19, 0
	v_mov_b32_e32 v17, v20
	s_delay_alu instid0(VALU_DEP_2) | instskip(NEXT) | instid1(VALU_DEP_1)
	v_lshlrev_b64 v[1:2], 2, v[18:19]
	v_add_co_u32 v1, vcc_lo, s16, v1
	s_delay_alu instid0(VALU_DEP_2) | instskip(SKIP_2) | instid1(SALU_CYCLE_1)
	v_add_co_ci_u32_e32 v2, vcc_lo, s17, v2, vcc_lo
	global_store_b32 v[1:2], v22, off
	s_or_b32 exec_lo, exec_lo, s0
	s_mov_b32 s0, exec_lo
	v_cmpx_gt_i32_e64 s12, v17
	s_cbranch_execnz .LBB68_18
.LBB68_26:
	s_or_b32 exec_lo, exec_lo, s0
	s_delay_alu instid0(SALU_CYCLE_1)
	s_mov_b32 s0, exec_lo
	v_cmpx_gt_i32_e64 s12, v17
	s_cbranch_execz .LBB68_19
.LBB68_27:
	v_dual_mov_b32 v2, 0 :: v_dual_add_nc_u32 v1, s10, v17
	v_add_nc_u32_e32 v17, 0x100, v17
	s_delay_alu instid0(VALU_DEP_2) | instskip(NEXT) | instid1(VALU_DEP_1)
	v_lshlrev_b64 v[1:2], 2, v[1:2]
	v_add_co_u32 v1, vcc_lo, s16, v1
	s_delay_alu instid0(VALU_DEP_2) | instskip(SKIP_2) | instid1(SALU_CYCLE_1)
	v_add_co_ci_u32_e32 v2, vcc_lo, s17, v2, vcc_lo
	global_store_b32 v[1:2], v21, off
	s_or_b32 exec_lo, exec_lo, s0
	s_mov_b32 s0, exec_lo
	v_cmpx_gt_i32_e64 s12, v17
	s_cbranch_execnz .LBB68_20
	s_branch .LBB68_21
	.section	.rodata,"a",@progbits
	.p2align	6, 0x0
	.amdhsa_kernel _ZN2at6native29vectorized_elementwise_kernelILi4EZZZNS0_15exp_kernel_cudaERNS_18TensorIteratorBaseEENKUlvE_clEvENKUlvE1_clEvEUlN3c107complexINS6_4HalfEEEE_St5arrayIPcLm2EEEEviT0_T1_
		.amdhsa_group_segment_fixed_size 0
		.amdhsa_private_segment_fixed_size 0
		.amdhsa_kernarg_size 24
		.amdhsa_user_sgpr_count 15
		.amdhsa_user_sgpr_dispatch_ptr 0
		.amdhsa_user_sgpr_queue_ptr 0
		.amdhsa_user_sgpr_kernarg_segment_ptr 1
		.amdhsa_user_sgpr_dispatch_id 0
		.amdhsa_user_sgpr_private_segment_size 0
		.amdhsa_wavefront_size32 1
		.amdhsa_uses_dynamic_stack 0
		.amdhsa_enable_private_segment 0
		.amdhsa_system_sgpr_workgroup_id_x 1
		.amdhsa_system_sgpr_workgroup_id_y 0
		.amdhsa_system_sgpr_workgroup_id_z 0
		.amdhsa_system_sgpr_workgroup_info 0
		.amdhsa_system_vgpr_workitem_id 0
		.amdhsa_next_free_vgpr 25
		.amdhsa_next_free_sgpr 33
		.amdhsa_reserve_vcc 1
		.amdhsa_float_round_mode_32 0
		.amdhsa_float_round_mode_16_64 0
		.amdhsa_float_denorm_mode_32 3
		.amdhsa_float_denorm_mode_16_64 3
		.amdhsa_dx10_clamp 1
		.amdhsa_ieee_mode 1
		.amdhsa_fp16_overflow 0
		.amdhsa_workgroup_processor_mode 1
		.amdhsa_memory_ordered 1
		.amdhsa_forward_progress 0
		.amdhsa_shared_vgpr_count 0
		.amdhsa_exception_fp_ieee_invalid_op 0
		.amdhsa_exception_fp_denorm_src 0
		.amdhsa_exception_fp_ieee_div_zero 0
		.amdhsa_exception_fp_ieee_overflow 0
		.amdhsa_exception_fp_ieee_underflow 0
		.amdhsa_exception_fp_ieee_inexact 0
		.amdhsa_exception_int_div_zero 0
	.end_amdhsa_kernel
	.section	.text._ZN2at6native29vectorized_elementwise_kernelILi4EZZZNS0_15exp_kernel_cudaERNS_18TensorIteratorBaseEENKUlvE_clEvENKUlvE1_clEvEUlN3c107complexINS6_4HalfEEEE_St5arrayIPcLm2EEEEviT0_T1_,"axG",@progbits,_ZN2at6native29vectorized_elementwise_kernelILi4EZZZNS0_15exp_kernel_cudaERNS_18TensorIteratorBaseEENKUlvE_clEvENKUlvE1_clEvEUlN3c107complexINS6_4HalfEEEE_St5arrayIPcLm2EEEEviT0_T1_,comdat
.Lfunc_end68:
	.size	_ZN2at6native29vectorized_elementwise_kernelILi4EZZZNS0_15exp_kernel_cudaERNS_18TensorIteratorBaseEENKUlvE_clEvENKUlvE1_clEvEUlN3c107complexINS6_4HalfEEEE_St5arrayIPcLm2EEEEviT0_T1_, .Lfunc_end68-_ZN2at6native29vectorized_elementwise_kernelILi4EZZZNS0_15exp_kernel_cudaERNS_18TensorIteratorBaseEENKUlvE_clEvENKUlvE1_clEvEUlN3c107complexINS6_4HalfEEEE_St5arrayIPcLm2EEEEviT0_T1_
                                        ; -- End function
	.section	.AMDGPU.csdata,"",@progbits
; Kernel info:
; codeLenInByte = 1440
; NumSgprs: 35
; NumVgprs: 25
; ScratchSize: 0
; MemoryBound: 0
; FloatMode: 240
; IeeeMode: 1
; LDSByteSize: 0 bytes/workgroup (compile time only)
; SGPRBlocks: 4
; VGPRBlocks: 3
; NumSGPRsForWavesPerEU: 35
; NumVGPRsForWavesPerEU: 25
; Occupancy: 16
; WaveLimiterHint : 0
; COMPUTE_PGM_RSRC2:SCRATCH_EN: 0
; COMPUTE_PGM_RSRC2:USER_SGPR: 15
; COMPUTE_PGM_RSRC2:TRAP_HANDLER: 0
; COMPUTE_PGM_RSRC2:TGID_X_EN: 1
; COMPUTE_PGM_RSRC2:TGID_Y_EN: 0
; COMPUTE_PGM_RSRC2:TGID_Z_EN: 0
; COMPUTE_PGM_RSRC2:TIDIG_COMP_CNT: 0
	.section	.text._ZN2at6native29vectorized_elementwise_kernelILi2EZZZNS0_15exp_kernel_cudaERNS_18TensorIteratorBaseEENKUlvE_clEvENKUlvE1_clEvEUlN3c107complexINS6_4HalfEEEE_St5arrayIPcLm2EEEEviT0_T1_,"axG",@progbits,_ZN2at6native29vectorized_elementwise_kernelILi2EZZZNS0_15exp_kernel_cudaERNS_18TensorIteratorBaseEENKUlvE_clEvENKUlvE1_clEvEUlN3c107complexINS6_4HalfEEEE_St5arrayIPcLm2EEEEviT0_T1_,comdat
	.globl	_ZN2at6native29vectorized_elementwise_kernelILi2EZZZNS0_15exp_kernel_cudaERNS_18TensorIteratorBaseEENKUlvE_clEvENKUlvE1_clEvEUlN3c107complexINS6_4HalfEEEE_St5arrayIPcLm2EEEEviT0_T1_ ; -- Begin function _ZN2at6native29vectorized_elementwise_kernelILi2EZZZNS0_15exp_kernel_cudaERNS_18TensorIteratorBaseEENKUlvE_clEvENKUlvE1_clEvEUlN3c107complexINS6_4HalfEEEE_St5arrayIPcLm2EEEEviT0_T1_
	.p2align	8
	.type	_ZN2at6native29vectorized_elementwise_kernelILi2EZZZNS0_15exp_kernel_cudaERNS_18TensorIteratorBaseEENKUlvE_clEvENKUlvE1_clEvEUlN3c107complexINS6_4HalfEEEE_St5arrayIPcLm2EEEEviT0_T1_,@function
_ZN2at6native29vectorized_elementwise_kernelILi2EZZZNS0_15exp_kernel_cudaERNS_18TensorIteratorBaseEENKUlvE_clEvENKUlvE1_clEvEUlN3c107complexINS6_4HalfEEEE_St5arrayIPcLm2EEEEviT0_T1_: ; @_ZN2at6native29vectorized_elementwise_kernelILi2EZZZNS0_15exp_kernel_cudaERNS_18TensorIteratorBaseEENKUlvE_clEvENKUlvE1_clEvEUlN3c107complexINS6_4HalfEEEE_St5arrayIPcLm2EEEEviT0_T1_
; %bb.0:
	s_clause 0x1
	s_load_b32 s2, s[0:1], 0x0
	s_load_b128 s[16:19], s[0:1], 0x8
	s_lshl_b32 s10, s15, 10
	v_mov_b32_e32 v17, v0
	s_mov_b32 s9, -1
	s_mov_b32 s32, 0
	s_waitcnt lgkmcnt(0)
	s_sub_i32 s14, s2, s10
	s_delay_alu instid0(SALU_CYCLE_1)
	s_cmpk_gt_i32 s14, 0x3ff
	s_cbranch_scc0 .LBB69_2
; %bb.1:
	s_ashr_i32 s11, s10, 31
	v_lshlrev_b32_e32 v22, 3, v17
	s_lshl_b64 s[12:13], s[10:11], 2
	s_delay_alu instid0(SALU_CYCLE_1)
	s_add_u32 s0, s18, s12
	s_addc_u32 s1, s19, s13
	s_getpc_b64 s[20:21]
	s_add_u32 s20, s20, _ZN16c10_complex_math3expIfEEN3c107complexIT_EERKS4_@rel32@lo+4
	s_addc_u32 s21, s21, _ZN16c10_complex_math3expIfEEN3c107complexIT_EERKS4_@rel32@hi+12
	s_clause 0x1
	global_load_b64 v[18:19], v22, s[0:1]
	global_load_b64 v[20:21], v22, s[0:1] offset:2048
	s_waitcnt vmcnt(1)
	v_lshrrev_b32_e32 v1, 16, v18
	v_cvt_f32_f16_e32 v0, v18
	s_delay_alu instid0(VALU_DEP_2) | instskip(SKIP_1) | instid1(VALU_DEP_1)
	v_cvt_f32_f16_e32 v1, v1
	s_swappc_b64 s[30:31], s[20:21]
	v_cvt_f16_f32_e32 v1, v1
	s_delay_alu instid0(VALU_DEP_3) | instskip(SKIP_2) | instid1(VALU_DEP_3)
	v_cvt_f16_f32_e32 v0, v0
	v_lshrrev_b32_e32 v2, 16, v19
	s_mov_b32 s9, 0
	v_lshlrev_b32_e32 v3, 16, v1
	s_delay_alu instid0(VALU_DEP_3) | instskip(SKIP_2) | instid1(VALU_DEP_3)
	v_and_b32_e32 v4, 0xffff, v0
	v_cvt_f32_f16_e32 v0, v19
	v_cvt_f32_f16_e32 v1, v2
	v_or_b32_e32 v18, v3, v4
	s_swappc_b64 s[30:31], s[20:21]
	s_delay_alu instid0(VALU_DEP_2) | instskip(SKIP_3) | instid1(VALU_DEP_4)
	v_cvt_f16_f32_e32 v1, v1
	v_cvt_f16_f32_e32 v0, v0
	v_lshrrev_b32_e32 v2, 16, v20
	v_or3_b32 v18, 0, 0, v18
	v_lshlrev_b32_e32 v3, 16, v1
	s_delay_alu instid0(VALU_DEP_4) | instskip(SKIP_2) | instid1(VALU_DEP_3)
	v_and_b32_e32 v4, 0xffff, v0
	v_cvt_f32_f16_e32 v0, v20
	v_cvt_f32_f16_e32 v1, v2
	v_or3_b32 v19, v3, v4, 0
	s_swappc_b64 s[30:31], s[20:21]
	s_delay_alu instid0(VALU_DEP_2) | instskip(SKIP_2) | instid1(VALU_DEP_3)
	v_cvt_f16_f32_e32 v1, v1
	v_cvt_f16_f32_e32 v0, v0
	v_lshrrev_b32_e32 v2, 16, v21
	v_lshlrev_b32_e32 v3, 16, v1
	s_delay_alu instid0(VALU_DEP_3) | instskip(SKIP_1) | instid1(VALU_DEP_4)
	v_and_b32_e32 v4, 0xffff, v0
	v_cvt_f32_f16_e32 v0, v21
	v_cvt_f32_f16_e32 v1, v2
	s_delay_alu instid0(VALU_DEP_3) | instskip(SKIP_1) | instid1(VALU_DEP_2)
	v_or_b32_e32 v20, v3, v4
	s_swappc_b64 s[30:31], s[20:21]
	v_cvt_f16_f32_e32 v1, v1
	v_cvt_f16_f32_e32 v0, v0
	s_add_u32 s0, s16, s12
	s_addc_u32 s1, s17, s13
	s_delay_alu instid0(VALU_DEP_2) | instskip(NEXT) | instid1(VALU_DEP_2)
	v_lshlrev_b32_e32 v1, 16, v1
	v_and_b32_e32 v0, 0xffff, v0
	s_delay_alu instid0(VALU_DEP_1)
	v_or3_b32 v1, v1, v0, 0
	v_or3_b32 v0, 0, 0, v20
	s_clause 0x1
	global_store_b64 v22, v[18:19], s[0:1]
	global_store_b64 v22, v[0:1], s[0:1] offset:2048
.LBB69_2:
	s_and_not1_b32 vcc_lo, exec_lo, s9
	s_cbranch_vccnz .LBB69_21
; %bb.3:
	v_cmp_gt_i32_e64 s9, s14, v17
	v_dual_mov_b32 v21, 0 :: v_dual_mov_b32 v0, 0
	v_or_b32_e32 v18, s10, v17
	v_or_b32_e32 v20, 0x100, v17
	v_mov_b32_e32 v1, v17
	s_and_saveexec_b32 s0, s9
	s_cbranch_execz .LBB69_5
; %bb.4:
	v_mov_b32_e32 v19, 0
	s_delay_alu instid0(VALU_DEP_1) | instskip(NEXT) | instid1(VALU_DEP_1)
	v_lshlrev_b64 v[0:1], 2, v[18:19]
	v_add_co_u32 v0, vcc_lo, s18, v0
	s_delay_alu instid0(VALU_DEP_2)
	v_add_co_ci_u32_e32 v1, vcc_lo, s19, v1, vcc_lo
	global_load_b32 v0, v[0:1], off
	v_or_b32_e32 v1, 0x100, v17
.LBB69_5:
	s_or_b32 exec_lo, exec_lo, s0
	s_delay_alu instid0(SALU_CYCLE_1) | instskip(NEXT) | instid1(VALU_DEP_1)
	s_mov_b32 s0, exec_lo
	v_cmpx_gt_i32_e64 s14, v1
	s_cbranch_execz .LBB69_7
; %bb.6:
	v_dual_mov_b32 v3, 0 :: v_dual_add_nc_u32 v2, s10, v1
	v_add_nc_u32_e32 v1, 0x100, v1
	s_delay_alu instid0(VALU_DEP_2) | instskip(NEXT) | instid1(VALU_DEP_1)
	v_lshlrev_b64 v[2:3], 2, v[2:3]
	v_add_co_u32 v2, vcc_lo, s18, v2
	s_delay_alu instid0(VALU_DEP_2)
	v_add_co_ci_u32_e32 v3, vcc_lo, s19, v3, vcc_lo
	global_load_b32 v21, v[2:3], off
.LBB69_7:
	s_or_b32 exec_lo, exec_lo, s0
	v_dual_mov_b32 v19, 0 :: v_dual_mov_b32 v24, 0
	s_mov_b32 s0, exec_lo
	v_cmpx_gt_i32_e64 s14, v1
	s_cbranch_execz .LBB69_22
; %bb.8:
	v_dual_mov_b32 v3, 0 :: v_dual_add_nc_u32 v2, s10, v1
	v_add_nc_u32_e32 v1, 0x100, v1
	s_delay_alu instid0(VALU_DEP_2) | instskip(NEXT) | instid1(VALU_DEP_1)
	v_lshlrev_b64 v[2:3], 2, v[2:3]
	v_add_co_u32 v2, vcc_lo, s18, v2
	s_delay_alu instid0(VALU_DEP_2) | instskip(SKIP_2) | instid1(SALU_CYCLE_1)
	v_add_co_ci_u32_e32 v3, vcc_lo, s19, v3, vcc_lo
	global_load_b32 v24, v[2:3], off
	s_or_b32 exec_lo, exec_lo, s0
	s_mov_b32 s0, exec_lo
	v_cmpx_gt_i32_e64 s14, v1
	s_cbranch_execnz .LBB69_23
.LBB69_9:
	s_or_b32 exec_lo, exec_lo, s0
                                        ; implicit-def: $vgpr22
	s_and_saveexec_b32 s11, s9
	s_cbranch_execz .LBB69_11
.LBB69_10:
	s_waitcnt vmcnt(0)
	v_lshrrev_b32_e32 v1, 16, v0
	v_cvt_f32_f16_e32 v0, v0
	s_getpc_b64 s[0:1]
	s_add_u32 s0, s0, _ZN16c10_complex_math3expIfEEN3c107complexIT_EERKS4_@rel32@lo+4
	s_addc_u32 s1, s1, _ZN16c10_complex_math3expIfEEN3c107complexIT_EERKS4_@rel32@hi+12
	v_cvt_f32_f16_e32 v1, v1
	s_swappc_b64 s[30:31], s[0:1]
	s_delay_alu instid0(VALU_DEP_1) | instskip(SKIP_1) | instid1(VALU_DEP_2)
	v_cvt_f16_f32_e32 v1, v1
	v_cvt_f16_f32_e32 v0, v0
	v_lshlrev_b32_e32 v1, 16, v1
	s_delay_alu instid0(VALU_DEP_2) | instskip(NEXT) | instid1(VALU_DEP_1)
	v_and_b32_e32 v0, 0xffff, v0
	v_or_b32_e32 v22, v1, v0
.LBB69_11:
	s_or_b32 exec_lo, exec_lo, s11
	s_delay_alu instid0(SALU_CYCLE_1)
	s_mov_b32 s11, exec_lo
                                        ; implicit-def: $vgpr23
	v_cmpx_gt_i32_e64 s14, v20
	s_cbranch_execz .LBB69_13
; %bb.12:
	s_waitcnt vmcnt(0)
	v_lshrrev_b32_e32 v1, 16, v21
	v_cvt_f32_f16_e32 v0, v21
	s_getpc_b64 s[0:1]
	s_add_u32 s0, s0, _ZN16c10_complex_math3expIfEEN3c107complexIT_EERKS4_@rel32@lo+4
	s_addc_u32 s1, s1, _ZN16c10_complex_math3expIfEEN3c107complexIT_EERKS4_@rel32@hi+12
	v_cvt_f32_f16_e32 v1, v1
	s_swappc_b64 s[30:31], s[0:1]
	s_delay_alu instid0(VALU_DEP_1) | instskip(SKIP_1) | instid1(VALU_DEP_2)
	v_cvt_f16_f32_e32 v1, v1
	v_cvt_f16_f32_e32 v0, v0
	v_lshlrev_b32_e32 v1, 16, v1
	s_delay_alu instid0(VALU_DEP_2) | instskip(NEXT) | instid1(VALU_DEP_1)
	v_and_b32_e32 v0, 0xffff, v0
	v_or_b32_e32 v23, v1, v0
.LBB69_13:
	s_or_b32 exec_lo, exec_lo, s11
	s_waitcnt vmcnt(0)
	v_or_b32_e32 v0, 0x200, v17
	s_mov_b32 s11, exec_lo
                                        ; implicit-def: $vgpr21
	s_delay_alu instid0(VALU_DEP_1)
	v_cmpx_gt_i32_e64 s14, v0
	s_cbranch_execz .LBB69_15
; %bb.14:
	v_lshrrev_b32_e32 v1, 16, v24
	v_cvt_f32_f16_e32 v0, v24
	s_getpc_b64 s[0:1]
	s_add_u32 s0, s0, _ZN16c10_complex_math3expIfEEN3c107complexIT_EERKS4_@rel32@lo+4
	s_addc_u32 s1, s1, _ZN16c10_complex_math3expIfEEN3c107complexIT_EERKS4_@rel32@hi+12
	v_cvt_f32_f16_e32 v1, v1
	s_swappc_b64 s[30:31], s[0:1]
	s_delay_alu instid0(VALU_DEP_1) | instskip(SKIP_1) | instid1(VALU_DEP_2)
	v_cvt_f16_f32_e32 v1, v1
	v_cvt_f16_f32_e32 v0, v0
	v_lshlrev_b32_e32 v1, 16, v1
	s_delay_alu instid0(VALU_DEP_2) | instskip(NEXT) | instid1(VALU_DEP_1)
	v_and_b32_e32 v0, 0xffff, v0
	v_or_b32_e32 v21, v1, v0
.LBB69_15:
	s_or_b32 exec_lo, exec_lo, s11
	v_or_b32_e32 v0, 0x300, v17
	s_delay_alu instid0(VALU_DEP_1)
	v_cmp_gt_i32_e32 vcc_lo, s14, v0
                                        ; implicit-def: $vgpr0
	s_and_saveexec_b32 s11, vcc_lo
	s_cbranch_execz .LBB69_24
; %bb.16:
	v_lshrrev_b32_e32 v1, 16, v19
	v_cvt_f32_f16_e32 v0, v19
	s_getpc_b64 s[0:1]
	s_add_u32 s0, s0, _ZN16c10_complex_math3expIfEEN3c107complexIT_EERKS4_@rel32@lo+4
	s_addc_u32 s1, s1, _ZN16c10_complex_math3expIfEEN3c107complexIT_EERKS4_@rel32@hi+12
	v_cvt_f32_f16_e32 v1, v1
	s_swappc_b64 s[30:31], s[0:1]
	s_delay_alu instid0(VALU_DEP_1) | instskip(SKIP_1) | instid1(VALU_DEP_2)
	v_cvt_f16_f32_e32 v1, v1
	v_cvt_f16_f32_e32 v0, v0
	v_lshlrev_b32_e32 v1, 16, v1
	s_delay_alu instid0(VALU_DEP_2) | instskip(NEXT) | instid1(VALU_DEP_1)
	v_and_b32_e32 v0, 0xffff, v0
	v_or_b32_e32 v0, v1, v0
	s_or_b32 exec_lo, exec_lo, s11
	s_and_saveexec_b32 s0, s9
	s_delay_alu instid0(SALU_CYCLE_1)
	s_xor_b32 s0, exec_lo, s0
	s_cbranch_execnz .LBB69_25
.LBB69_17:
	s_or_b32 exec_lo, exec_lo, s0
	s_delay_alu instid0(SALU_CYCLE_1)
	s_mov_b32 s0, exec_lo
	v_cmpx_gt_i32_e64 s14, v17
	s_cbranch_execz .LBB69_26
.LBB69_18:
	v_dual_mov_b32 v2, 0 :: v_dual_add_nc_u32 v1, s10, v17
	v_add_nc_u32_e32 v17, 0x100, v17
	s_delay_alu instid0(VALU_DEP_2) | instskip(NEXT) | instid1(VALU_DEP_1)
	v_lshlrev_b64 v[1:2], 2, v[1:2]
	v_add_co_u32 v1, vcc_lo, s16, v1
	s_delay_alu instid0(VALU_DEP_2) | instskip(SKIP_2) | instid1(SALU_CYCLE_1)
	v_add_co_ci_u32_e32 v2, vcc_lo, s17, v2, vcc_lo
	global_store_b32 v[1:2], v23, off
	s_or_b32 exec_lo, exec_lo, s0
	s_mov_b32 s0, exec_lo
	v_cmpx_gt_i32_e64 s14, v17
	s_cbranch_execnz .LBB69_27
.LBB69_19:
	s_or_b32 exec_lo, exec_lo, s0
	s_delay_alu instid0(SALU_CYCLE_1)
	s_mov_b32 s0, exec_lo
	v_cmpx_gt_i32_e64 s14, v17
	s_cbranch_execz .LBB69_21
.LBB69_20:
	v_dual_mov_b32 v2, 0 :: v_dual_add_nc_u32 v1, s10, v17
	s_delay_alu instid0(VALU_DEP_1) | instskip(NEXT) | instid1(VALU_DEP_1)
	v_lshlrev_b64 v[1:2], 2, v[1:2]
	v_add_co_u32 v1, vcc_lo, s16, v1
	s_delay_alu instid0(VALU_DEP_2)
	v_add_co_ci_u32_e32 v2, vcc_lo, s17, v2, vcc_lo
	global_store_b32 v[1:2], v0, off
.LBB69_21:
	s_endpgm
.LBB69_22:
	s_or_b32 exec_lo, exec_lo, s0
	s_delay_alu instid0(SALU_CYCLE_1)
	s_mov_b32 s0, exec_lo
	v_cmpx_gt_i32_e64 s14, v1
	s_cbranch_execz .LBB69_9
.LBB69_23:
	v_dual_mov_b32 v2, 0 :: v_dual_add_nc_u32 v1, s10, v1
	s_delay_alu instid0(VALU_DEP_1) | instskip(NEXT) | instid1(VALU_DEP_1)
	v_lshlrev_b64 v[1:2], 2, v[1:2]
	v_add_co_u32 v1, vcc_lo, s18, v1
	s_delay_alu instid0(VALU_DEP_2)
	v_add_co_ci_u32_e32 v2, vcc_lo, s19, v2, vcc_lo
	global_load_b32 v19, v[1:2], off
	s_or_b32 exec_lo, exec_lo, s0
                                        ; implicit-def: $vgpr22
	s_and_saveexec_b32 s11, s9
	s_cbranch_execz .LBB69_11
	s_branch .LBB69_10
.LBB69_24:
	s_or_b32 exec_lo, exec_lo, s11
	s_and_saveexec_b32 s0, s9
	s_delay_alu instid0(SALU_CYCLE_1)
	s_xor_b32 s0, exec_lo, s0
	s_cbranch_execz .LBB69_17
.LBB69_25:
	v_mov_b32_e32 v19, 0
	v_mov_b32_e32 v17, v20
	s_delay_alu instid0(VALU_DEP_2) | instskip(NEXT) | instid1(VALU_DEP_1)
	v_lshlrev_b64 v[1:2], 2, v[18:19]
	v_add_co_u32 v1, vcc_lo, s16, v1
	s_delay_alu instid0(VALU_DEP_2) | instskip(SKIP_2) | instid1(SALU_CYCLE_1)
	v_add_co_ci_u32_e32 v2, vcc_lo, s17, v2, vcc_lo
	global_store_b32 v[1:2], v22, off
	s_or_b32 exec_lo, exec_lo, s0
	s_mov_b32 s0, exec_lo
	v_cmpx_gt_i32_e64 s14, v17
	s_cbranch_execnz .LBB69_18
.LBB69_26:
	s_or_b32 exec_lo, exec_lo, s0
	s_delay_alu instid0(SALU_CYCLE_1)
	s_mov_b32 s0, exec_lo
	v_cmpx_gt_i32_e64 s14, v17
	s_cbranch_execz .LBB69_19
.LBB69_27:
	v_dual_mov_b32 v2, 0 :: v_dual_add_nc_u32 v1, s10, v17
	v_add_nc_u32_e32 v17, 0x100, v17
	s_delay_alu instid0(VALU_DEP_2) | instskip(NEXT) | instid1(VALU_DEP_1)
	v_lshlrev_b64 v[1:2], 2, v[1:2]
	v_add_co_u32 v1, vcc_lo, s16, v1
	s_delay_alu instid0(VALU_DEP_2) | instskip(SKIP_2) | instid1(SALU_CYCLE_1)
	v_add_co_ci_u32_e32 v2, vcc_lo, s17, v2, vcc_lo
	global_store_b32 v[1:2], v21, off
	s_or_b32 exec_lo, exec_lo, s0
	s_mov_b32 s0, exec_lo
	v_cmpx_gt_i32_e64 s14, v17
	s_cbranch_execnz .LBB69_20
	s_branch .LBB69_21
	.section	.rodata,"a",@progbits
	.p2align	6, 0x0
	.amdhsa_kernel _ZN2at6native29vectorized_elementwise_kernelILi2EZZZNS0_15exp_kernel_cudaERNS_18TensorIteratorBaseEENKUlvE_clEvENKUlvE1_clEvEUlN3c107complexINS6_4HalfEEEE_St5arrayIPcLm2EEEEviT0_T1_
		.amdhsa_group_segment_fixed_size 0
		.amdhsa_private_segment_fixed_size 0
		.amdhsa_kernarg_size 24
		.amdhsa_user_sgpr_count 15
		.amdhsa_user_sgpr_dispatch_ptr 0
		.amdhsa_user_sgpr_queue_ptr 0
		.amdhsa_user_sgpr_kernarg_segment_ptr 1
		.amdhsa_user_sgpr_dispatch_id 0
		.amdhsa_user_sgpr_private_segment_size 0
		.amdhsa_wavefront_size32 1
		.amdhsa_uses_dynamic_stack 0
		.amdhsa_enable_private_segment 0
		.amdhsa_system_sgpr_workgroup_id_x 1
		.amdhsa_system_sgpr_workgroup_id_y 0
		.amdhsa_system_sgpr_workgroup_id_z 0
		.amdhsa_system_sgpr_workgroup_info 0
		.amdhsa_system_vgpr_workitem_id 0
		.amdhsa_next_free_vgpr 25
		.amdhsa_next_free_sgpr 33
		.amdhsa_reserve_vcc 1
		.amdhsa_float_round_mode_32 0
		.amdhsa_float_round_mode_16_64 0
		.amdhsa_float_denorm_mode_32 3
		.amdhsa_float_denorm_mode_16_64 3
		.amdhsa_dx10_clamp 1
		.amdhsa_ieee_mode 1
		.amdhsa_fp16_overflow 0
		.amdhsa_workgroup_processor_mode 1
		.amdhsa_memory_ordered 1
		.amdhsa_forward_progress 0
		.amdhsa_shared_vgpr_count 0
		.amdhsa_exception_fp_ieee_invalid_op 0
		.amdhsa_exception_fp_denorm_src 0
		.amdhsa_exception_fp_ieee_div_zero 0
		.amdhsa_exception_fp_ieee_overflow 0
		.amdhsa_exception_fp_ieee_underflow 0
		.amdhsa_exception_fp_ieee_inexact 0
		.amdhsa_exception_int_div_zero 0
	.end_amdhsa_kernel
	.section	.text._ZN2at6native29vectorized_elementwise_kernelILi2EZZZNS0_15exp_kernel_cudaERNS_18TensorIteratorBaseEENKUlvE_clEvENKUlvE1_clEvEUlN3c107complexINS6_4HalfEEEE_St5arrayIPcLm2EEEEviT0_T1_,"axG",@progbits,_ZN2at6native29vectorized_elementwise_kernelILi2EZZZNS0_15exp_kernel_cudaERNS_18TensorIteratorBaseEENKUlvE_clEvENKUlvE1_clEvEUlN3c107complexINS6_4HalfEEEE_St5arrayIPcLm2EEEEviT0_T1_,comdat
.Lfunc_end69:
	.size	_ZN2at6native29vectorized_elementwise_kernelILi2EZZZNS0_15exp_kernel_cudaERNS_18TensorIteratorBaseEENKUlvE_clEvENKUlvE1_clEvEUlN3c107complexINS6_4HalfEEEE_St5arrayIPcLm2EEEEviT0_T1_, .Lfunc_end69-_ZN2at6native29vectorized_elementwise_kernelILi2EZZZNS0_15exp_kernel_cudaERNS_18TensorIteratorBaseEENKUlvE_clEvENKUlvE1_clEvEUlN3c107complexINS6_4HalfEEEE_St5arrayIPcLm2EEEEviT0_T1_
                                        ; -- End function
	.section	.AMDGPU.csdata,"",@progbits
; Kernel info:
; codeLenInByte = 1488
; NumSgprs: 35
; NumVgprs: 25
; ScratchSize: 0
; MemoryBound: 0
; FloatMode: 240
; IeeeMode: 1
; LDSByteSize: 0 bytes/workgroup (compile time only)
; SGPRBlocks: 4
; VGPRBlocks: 3
; NumSGPRsForWavesPerEU: 35
; NumVGPRsForWavesPerEU: 25
; Occupancy: 16
; WaveLimiterHint : 0
; COMPUTE_PGM_RSRC2:SCRATCH_EN: 0
; COMPUTE_PGM_RSRC2:USER_SGPR: 15
; COMPUTE_PGM_RSRC2:TRAP_HANDLER: 0
; COMPUTE_PGM_RSRC2:TGID_X_EN: 1
; COMPUTE_PGM_RSRC2:TGID_Y_EN: 0
; COMPUTE_PGM_RSRC2:TGID_Z_EN: 0
; COMPUTE_PGM_RSRC2:TIDIG_COMP_CNT: 0
	.section	.text._ZN2at6native27unrolled_elementwise_kernelIZZZNS0_15exp_kernel_cudaERNS_18TensorIteratorBaseEENKUlvE_clEvENKUlvE1_clEvEUlN3c107complexINS6_4HalfEEEE_St5arrayIPcLm2EELi4E23TrivialOffsetCalculatorILi1EjESF_NS0_6memory15LoadWithoutCastENSG_16StoreWithoutCastEEEviT_T0_T2_T3_T4_T5_,"axG",@progbits,_ZN2at6native27unrolled_elementwise_kernelIZZZNS0_15exp_kernel_cudaERNS_18TensorIteratorBaseEENKUlvE_clEvENKUlvE1_clEvEUlN3c107complexINS6_4HalfEEEE_St5arrayIPcLm2EELi4E23TrivialOffsetCalculatorILi1EjESF_NS0_6memory15LoadWithoutCastENSG_16StoreWithoutCastEEEviT_T0_T2_T3_T4_T5_,comdat
	.globl	_ZN2at6native27unrolled_elementwise_kernelIZZZNS0_15exp_kernel_cudaERNS_18TensorIteratorBaseEENKUlvE_clEvENKUlvE1_clEvEUlN3c107complexINS6_4HalfEEEE_St5arrayIPcLm2EELi4E23TrivialOffsetCalculatorILi1EjESF_NS0_6memory15LoadWithoutCastENSG_16StoreWithoutCastEEEviT_T0_T2_T3_T4_T5_ ; -- Begin function _ZN2at6native27unrolled_elementwise_kernelIZZZNS0_15exp_kernel_cudaERNS_18TensorIteratorBaseEENKUlvE_clEvENKUlvE1_clEvEUlN3c107complexINS6_4HalfEEEE_St5arrayIPcLm2EELi4E23TrivialOffsetCalculatorILi1EjESF_NS0_6memory15LoadWithoutCastENSG_16StoreWithoutCastEEEviT_T0_T2_T3_T4_T5_
	.p2align	8
	.type	_ZN2at6native27unrolled_elementwise_kernelIZZZNS0_15exp_kernel_cudaERNS_18TensorIteratorBaseEENKUlvE_clEvENKUlvE1_clEvEUlN3c107complexINS6_4HalfEEEE_St5arrayIPcLm2EELi4E23TrivialOffsetCalculatorILi1EjESF_NS0_6memory15LoadWithoutCastENSG_16StoreWithoutCastEEEviT_T0_T2_T3_T4_T5_,@function
_ZN2at6native27unrolled_elementwise_kernelIZZZNS0_15exp_kernel_cudaERNS_18TensorIteratorBaseEENKUlvE_clEvENKUlvE1_clEvEUlN3c107complexINS6_4HalfEEEE_St5arrayIPcLm2EELi4E23TrivialOffsetCalculatorILi1EjESF_NS0_6memory15LoadWithoutCastENSG_16StoreWithoutCastEEEviT_T0_T2_T3_T4_T5_: ; @_ZN2at6native27unrolled_elementwise_kernelIZZZNS0_15exp_kernel_cudaERNS_18TensorIteratorBaseEENKUlvE_clEvENKUlvE1_clEvEUlN3c107complexINS6_4HalfEEEE_St5arrayIPcLm2EELi4E23TrivialOffsetCalculatorILi1EjESF_NS0_6memory15LoadWithoutCastENSG_16StoreWithoutCastEEEviT_T0_T2_T3_T4_T5_
; %bb.0:
	s_clause 0x1
	s_load_b32 s2, s[0:1], 0x0
	s_load_b128 s[16:19], s[0:1], 0x8
	v_dual_mov_b32 v17, v0 :: v_dual_mov_b32 v0, 0
	s_lshl_b32 s10, s15, 10
	v_mov_b32_e32 v21, 0
	s_mov_b32 s32, 0
	s_delay_alu instid0(VALU_DEP_2) | instskip(SKIP_4) | instid1(SALU_CYCLE_1)
	v_or_b32_e32 v18, s10, v17
	v_or_b32_e32 v20, 0x100, v17
	v_mov_b32_e32 v1, v17
	s_waitcnt lgkmcnt(0)
	s_sub_i32 s11, s2, s10
	v_cmp_gt_i32_e64 s9, s11, v17
	s_delay_alu instid0(VALU_DEP_1)
	s_and_saveexec_b32 s0, s9
	s_cbranch_execz .LBB70_2
; %bb.1:
	v_mov_b32_e32 v19, 0
	s_delay_alu instid0(VALU_DEP_1) | instskip(NEXT) | instid1(VALU_DEP_1)
	v_lshlrev_b64 v[0:1], 2, v[18:19]
	v_add_co_u32 v0, vcc_lo, s18, v0
	s_delay_alu instid0(VALU_DEP_2)
	v_add_co_ci_u32_e32 v1, vcc_lo, s19, v1, vcc_lo
	global_load_b32 v0, v[0:1], off
	v_or_b32_e32 v1, 0x100, v17
.LBB70_2:
	s_or_b32 exec_lo, exec_lo, s0
	s_delay_alu instid0(SALU_CYCLE_1) | instskip(NEXT) | instid1(VALU_DEP_1)
	s_mov_b32 s0, exec_lo
	v_cmpx_gt_i32_e64 s11, v1
	s_cbranch_execz .LBB70_4
; %bb.3:
	v_dual_mov_b32 v3, 0 :: v_dual_add_nc_u32 v2, s10, v1
	v_add_nc_u32_e32 v1, 0x100, v1
	s_delay_alu instid0(VALU_DEP_2) | instskip(NEXT) | instid1(VALU_DEP_1)
	v_lshlrev_b64 v[2:3], 2, v[2:3]
	v_add_co_u32 v2, vcc_lo, s18, v2
	s_delay_alu instid0(VALU_DEP_2)
	v_add_co_ci_u32_e32 v3, vcc_lo, s19, v3, vcc_lo
	global_load_b32 v21, v[2:3], off
.LBB70_4:
	s_or_b32 exec_lo, exec_lo, s0
	v_dual_mov_b32 v19, 0 :: v_dual_mov_b32 v24, 0
	s_mov_b32 s0, exec_lo
	v_cmpx_gt_i32_e64 s11, v1
	s_cbranch_execz .LBB70_18
; %bb.5:
	v_dual_mov_b32 v3, 0 :: v_dual_add_nc_u32 v2, s10, v1
	v_add_nc_u32_e32 v1, 0x100, v1
	s_delay_alu instid0(VALU_DEP_2) | instskip(NEXT) | instid1(VALU_DEP_1)
	v_lshlrev_b64 v[2:3], 2, v[2:3]
	v_add_co_u32 v2, vcc_lo, s18, v2
	s_delay_alu instid0(VALU_DEP_2) | instskip(SKIP_2) | instid1(SALU_CYCLE_1)
	v_add_co_ci_u32_e32 v3, vcc_lo, s19, v3, vcc_lo
	global_load_b32 v24, v[2:3], off
	s_or_b32 exec_lo, exec_lo, s0
	s_mov_b32 s0, exec_lo
	v_cmpx_gt_i32_e64 s11, v1
	s_cbranch_execnz .LBB70_19
.LBB70_6:
	s_or_b32 exec_lo, exec_lo, s0
                                        ; implicit-def: $vgpr22
	s_and_saveexec_b32 s12, s9
	s_cbranch_execz .LBB70_8
.LBB70_7:
	s_waitcnt vmcnt(0)
	v_lshrrev_b32_e32 v1, 16, v0
	v_cvt_f32_f16_e32 v0, v0
	s_getpc_b64 s[0:1]
	s_add_u32 s0, s0, _ZN16c10_complex_math3expIfEEN3c107complexIT_EERKS4_@rel32@lo+4
	s_addc_u32 s1, s1, _ZN16c10_complex_math3expIfEEN3c107complexIT_EERKS4_@rel32@hi+12
	v_cvt_f32_f16_e32 v1, v1
	s_swappc_b64 s[30:31], s[0:1]
	s_delay_alu instid0(VALU_DEP_1) | instskip(SKIP_1) | instid1(VALU_DEP_2)
	v_cvt_f16_f32_e32 v1, v1
	v_cvt_f16_f32_e32 v0, v0
	v_lshlrev_b32_e32 v1, 16, v1
	s_delay_alu instid0(VALU_DEP_2) | instskip(NEXT) | instid1(VALU_DEP_1)
	v_and_b32_e32 v0, 0xffff, v0
	v_or_b32_e32 v22, v1, v0
.LBB70_8:
	s_or_b32 exec_lo, exec_lo, s12
	s_delay_alu instid0(SALU_CYCLE_1)
	s_mov_b32 s12, exec_lo
                                        ; implicit-def: $vgpr23
	v_cmpx_gt_i32_e64 s11, v20
	s_cbranch_execz .LBB70_10
; %bb.9:
	s_waitcnt vmcnt(0)
	v_lshrrev_b32_e32 v1, 16, v21
	v_cvt_f32_f16_e32 v0, v21
	s_getpc_b64 s[0:1]
	s_add_u32 s0, s0, _ZN16c10_complex_math3expIfEEN3c107complexIT_EERKS4_@rel32@lo+4
	s_addc_u32 s1, s1, _ZN16c10_complex_math3expIfEEN3c107complexIT_EERKS4_@rel32@hi+12
	v_cvt_f32_f16_e32 v1, v1
	s_swappc_b64 s[30:31], s[0:1]
	s_delay_alu instid0(VALU_DEP_1) | instskip(SKIP_1) | instid1(VALU_DEP_2)
	v_cvt_f16_f32_e32 v1, v1
	v_cvt_f16_f32_e32 v0, v0
	v_lshlrev_b32_e32 v1, 16, v1
	s_delay_alu instid0(VALU_DEP_2) | instskip(NEXT) | instid1(VALU_DEP_1)
	v_and_b32_e32 v0, 0xffff, v0
	v_or_b32_e32 v23, v1, v0
.LBB70_10:
	s_or_b32 exec_lo, exec_lo, s12
	s_waitcnt vmcnt(0)
	v_or_b32_e32 v0, 0x200, v17
	s_mov_b32 s12, exec_lo
                                        ; implicit-def: $vgpr21
	s_delay_alu instid0(VALU_DEP_1)
	v_cmpx_gt_i32_e64 s11, v0
	s_cbranch_execz .LBB70_12
; %bb.11:
	v_lshrrev_b32_e32 v1, 16, v24
	v_cvt_f32_f16_e32 v0, v24
	s_getpc_b64 s[0:1]
	s_add_u32 s0, s0, _ZN16c10_complex_math3expIfEEN3c107complexIT_EERKS4_@rel32@lo+4
	s_addc_u32 s1, s1, _ZN16c10_complex_math3expIfEEN3c107complexIT_EERKS4_@rel32@hi+12
	v_cvt_f32_f16_e32 v1, v1
	s_swappc_b64 s[30:31], s[0:1]
	s_delay_alu instid0(VALU_DEP_1) | instskip(SKIP_1) | instid1(VALU_DEP_2)
	v_cvt_f16_f32_e32 v1, v1
	v_cvt_f16_f32_e32 v0, v0
	v_lshlrev_b32_e32 v1, 16, v1
	s_delay_alu instid0(VALU_DEP_2) | instskip(NEXT) | instid1(VALU_DEP_1)
	v_and_b32_e32 v0, 0xffff, v0
	v_or_b32_e32 v21, v1, v0
.LBB70_12:
	s_or_b32 exec_lo, exec_lo, s12
	v_or_b32_e32 v0, 0x300, v17
	s_delay_alu instid0(VALU_DEP_1)
	v_cmp_gt_i32_e32 vcc_lo, s11, v0
                                        ; implicit-def: $vgpr0
	s_and_saveexec_b32 s12, vcc_lo
	s_cbranch_execz .LBB70_20
; %bb.13:
	v_lshrrev_b32_e32 v1, 16, v19
	v_cvt_f32_f16_e32 v0, v19
	s_getpc_b64 s[0:1]
	s_add_u32 s0, s0, _ZN16c10_complex_math3expIfEEN3c107complexIT_EERKS4_@rel32@lo+4
	s_addc_u32 s1, s1, _ZN16c10_complex_math3expIfEEN3c107complexIT_EERKS4_@rel32@hi+12
	v_cvt_f32_f16_e32 v1, v1
	s_swappc_b64 s[30:31], s[0:1]
	s_delay_alu instid0(VALU_DEP_1) | instskip(SKIP_1) | instid1(VALU_DEP_2)
	v_cvt_f16_f32_e32 v1, v1
	v_cvt_f16_f32_e32 v0, v0
	v_lshlrev_b32_e32 v1, 16, v1
	s_delay_alu instid0(VALU_DEP_2) | instskip(NEXT) | instid1(VALU_DEP_1)
	v_and_b32_e32 v0, 0xffff, v0
	v_or_b32_e32 v0, v1, v0
	s_or_b32 exec_lo, exec_lo, s12
	s_and_saveexec_b32 s0, s9
	s_delay_alu instid0(SALU_CYCLE_1)
	s_xor_b32 s0, exec_lo, s0
	s_cbranch_execnz .LBB70_21
.LBB70_14:
	s_or_b32 exec_lo, exec_lo, s0
	s_delay_alu instid0(SALU_CYCLE_1)
	s_mov_b32 s0, exec_lo
	v_cmpx_gt_i32_e64 s11, v17
	s_cbranch_execz .LBB70_22
.LBB70_15:
	v_dual_mov_b32 v2, 0 :: v_dual_add_nc_u32 v1, s10, v17
	v_add_nc_u32_e32 v17, 0x100, v17
	s_delay_alu instid0(VALU_DEP_2) | instskip(NEXT) | instid1(VALU_DEP_1)
	v_lshlrev_b64 v[1:2], 2, v[1:2]
	v_add_co_u32 v1, vcc_lo, s16, v1
	s_delay_alu instid0(VALU_DEP_2) | instskip(SKIP_2) | instid1(SALU_CYCLE_1)
	v_add_co_ci_u32_e32 v2, vcc_lo, s17, v2, vcc_lo
	global_store_b32 v[1:2], v23, off
	s_or_b32 exec_lo, exec_lo, s0
	s_mov_b32 s0, exec_lo
	v_cmpx_gt_i32_e64 s11, v17
	s_cbranch_execnz .LBB70_23
.LBB70_16:
	s_or_b32 exec_lo, exec_lo, s0
	s_delay_alu instid0(SALU_CYCLE_1)
	s_mov_b32 s0, exec_lo
	v_cmpx_gt_i32_e64 s11, v17
	s_cbranch_execz .LBB70_24
.LBB70_17:
	v_dual_mov_b32 v2, 0 :: v_dual_add_nc_u32 v1, s10, v17
	s_delay_alu instid0(VALU_DEP_1) | instskip(NEXT) | instid1(VALU_DEP_1)
	v_lshlrev_b64 v[1:2], 2, v[1:2]
	v_add_co_u32 v1, vcc_lo, s16, v1
	s_delay_alu instid0(VALU_DEP_2)
	v_add_co_ci_u32_e32 v2, vcc_lo, s17, v2, vcc_lo
	global_store_b32 v[1:2], v0, off
	s_endpgm
.LBB70_18:
	s_or_b32 exec_lo, exec_lo, s0
	s_delay_alu instid0(SALU_CYCLE_1)
	s_mov_b32 s0, exec_lo
	v_cmpx_gt_i32_e64 s11, v1
	s_cbranch_execz .LBB70_6
.LBB70_19:
	v_dual_mov_b32 v2, 0 :: v_dual_add_nc_u32 v1, s10, v1
	s_delay_alu instid0(VALU_DEP_1) | instskip(NEXT) | instid1(VALU_DEP_1)
	v_lshlrev_b64 v[1:2], 2, v[1:2]
	v_add_co_u32 v1, vcc_lo, s18, v1
	s_delay_alu instid0(VALU_DEP_2)
	v_add_co_ci_u32_e32 v2, vcc_lo, s19, v2, vcc_lo
	global_load_b32 v19, v[1:2], off
	s_or_b32 exec_lo, exec_lo, s0
                                        ; implicit-def: $vgpr22
	s_and_saveexec_b32 s12, s9
	s_cbranch_execz .LBB70_8
	s_branch .LBB70_7
.LBB70_20:
	s_or_b32 exec_lo, exec_lo, s12
	s_and_saveexec_b32 s0, s9
	s_delay_alu instid0(SALU_CYCLE_1)
	s_xor_b32 s0, exec_lo, s0
	s_cbranch_execz .LBB70_14
.LBB70_21:
	v_mov_b32_e32 v19, 0
	v_mov_b32_e32 v17, v20
	s_delay_alu instid0(VALU_DEP_2) | instskip(NEXT) | instid1(VALU_DEP_1)
	v_lshlrev_b64 v[1:2], 2, v[18:19]
	v_add_co_u32 v1, vcc_lo, s16, v1
	s_delay_alu instid0(VALU_DEP_2) | instskip(SKIP_2) | instid1(SALU_CYCLE_1)
	v_add_co_ci_u32_e32 v2, vcc_lo, s17, v2, vcc_lo
	global_store_b32 v[1:2], v22, off
	s_or_b32 exec_lo, exec_lo, s0
	s_mov_b32 s0, exec_lo
	v_cmpx_gt_i32_e64 s11, v17
	s_cbranch_execnz .LBB70_15
.LBB70_22:
	s_or_b32 exec_lo, exec_lo, s0
	s_delay_alu instid0(SALU_CYCLE_1)
	s_mov_b32 s0, exec_lo
	v_cmpx_gt_i32_e64 s11, v17
	s_cbranch_execz .LBB70_16
.LBB70_23:
	v_dual_mov_b32 v2, 0 :: v_dual_add_nc_u32 v1, s10, v17
	v_add_nc_u32_e32 v17, 0x100, v17
	s_delay_alu instid0(VALU_DEP_2) | instskip(NEXT) | instid1(VALU_DEP_1)
	v_lshlrev_b64 v[1:2], 2, v[1:2]
	v_add_co_u32 v1, vcc_lo, s16, v1
	s_delay_alu instid0(VALU_DEP_2) | instskip(SKIP_2) | instid1(SALU_CYCLE_1)
	v_add_co_ci_u32_e32 v2, vcc_lo, s17, v2, vcc_lo
	global_store_b32 v[1:2], v21, off
	s_or_b32 exec_lo, exec_lo, s0
	s_mov_b32 s0, exec_lo
	v_cmpx_gt_i32_e64 s11, v17
	s_cbranch_execnz .LBB70_17
.LBB70_24:
	s_endpgm
	.section	.rodata,"a",@progbits
	.p2align	6, 0x0
	.amdhsa_kernel _ZN2at6native27unrolled_elementwise_kernelIZZZNS0_15exp_kernel_cudaERNS_18TensorIteratorBaseEENKUlvE_clEvENKUlvE1_clEvEUlN3c107complexINS6_4HalfEEEE_St5arrayIPcLm2EELi4E23TrivialOffsetCalculatorILi1EjESF_NS0_6memory15LoadWithoutCastENSG_16StoreWithoutCastEEEviT_T0_T2_T3_T4_T5_
		.amdhsa_group_segment_fixed_size 0
		.amdhsa_private_segment_fixed_size 0
		.amdhsa_kernarg_size 28
		.amdhsa_user_sgpr_count 15
		.amdhsa_user_sgpr_dispatch_ptr 0
		.amdhsa_user_sgpr_queue_ptr 0
		.amdhsa_user_sgpr_kernarg_segment_ptr 1
		.amdhsa_user_sgpr_dispatch_id 0
		.amdhsa_user_sgpr_private_segment_size 0
		.amdhsa_wavefront_size32 1
		.amdhsa_uses_dynamic_stack 0
		.amdhsa_enable_private_segment 0
		.amdhsa_system_sgpr_workgroup_id_x 1
		.amdhsa_system_sgpr_workgroup_id_y 0
		.amdhsa_system_sgpr_workgroup_id_z 0
		.amdhsa_system_sgpr_workgroup_info 0
		.amdhsa_system_vgpr_workitem_id 0
		.amdhsa_next_free_vgpr 25
		.amdhsa_next_free_sgpr 33
		.amdhsa_reserve_vcc 1
		.amdhsa_float_round_mode_32 0
		.amdhsa_float_round_mode_16_64 0
		.amdhsa_float_denorm_mode_32 3
		.amdhsa_float_denorm_mode_16_64 3
		.amdhsa_dx10_clamp 1
		.amdhsa_ieee_mode 1
		.amdhsa_fp16_overflow 0
		.amdhsa_workgroup_processor_mode 1
		.amdhsa_memory_ordered 1
		.amdhsa_forward_progress 0
		.amdhsa_shared_vgpr_count 0
		.amdhsa_exception_fp_ieee_invalid_op 0
		.amdhsa_exception_fp_denorm_src 0
		.amdhsa_exception_fp_ieee_div_zero 0
		.amdhsa_exception_fp_ieee_overflow 0
		.amdhsa_exception_fp_ieee_underflow 0
		.amdhsa_exception_fp_ieee_inexact 0
		.amdhsa_exception_int_div_zero 0
	.end_amdhsa_kernel
	.section	.text._ZN2at6native27unrolled_elementwise_kernelIZZZNS0_15exp_kernel_cudaERNS_18TensorIteratorBaseEENKUlvE_clEvENKUlvE1_clEvEUlN3c107complexINS6_4HalfEEEE_St5arrayIPcLm2EELi4E23TrivialOffsetCalculatorILi1EjESF_NS0_6memory15LoadWithoutCastENSG_16StoreWithoutCastEEEviT_T0_T2_T3_T4_T5_,"axG",@progbits,_ZN2at6native27unrolled_elementwise_kernelIZZZNS0_15exp_kernel_cudaERNS_18TensorIteratorBaseEENKUlvE_clEvENKUlvE1_clEvEUlN3c107complexINS6_4HalfEEEE_St5arrayIPcLm2EELi4E23TrivialOffsetCalculatorILi1EjESF_NS0_6memory15LoadWithoutCastENSG_16StoreWithoutCastEEEviT_T0_T2_T3_T4_T5_,comdat
.Lfunc_end70:
	.size	_ZN2at6native27unrolled_elementwise_kernelIZZZNS0_15exp_kernel_cudaERNS_18TensorIteratorBaseEENKUlvE_clEvENKUlvE1_clEvEUlN3c107complexINS6_4HalfEEEE_St5arrayIPcLm2EELi4E23TrivialOffsetCalculatorILi1EjESF_NS0_6memory15LoadWithoutCastENSG_16StoreWithoutCastEEEviT_T0_T2_T3_T4_T5_, .Lfunc_end70-_ZN2at6native27unrolled_elementwise_kernelIZZZNS0_15exp_kernel_cudaERNS_18TensorIteratorBaseEENKUlvE_clEvENKUlvE1_clEvEUlN3c107complexINS6_4HalfEEEE_St5arrayIPcLm2EELi4E23TrivialOffsetCalculatorILi1EjESF_NS0_6memory15LoadWithoutCastENSG_16StoreWithoutCastEEEviT_T0_T2_T3_T4_T5_
                                        ; -- End function
	.section	.AMDGPU.csdata,"",@progbits
; Kernel info:
; codeLenInByte = 1148
; NumSgprs: 35
; NumVgprs: 25
; ScratchSize: 0
; MemoryBound: 0
; FloatMode: 240
; IeeeMode: 1
; LDSByteSize: 0 bytes/workgroup (compile time only)
; SGPRBlocks: 4
; VGPRBlocks: 3
; NumSGPRsForWavesPerEU: 35
; NumVGPRsForWavesPerEU: 25
; Occupancy: 16
; WaveLimiterHint : 0
; COMPUTE_PGM_RSRC2:SCRATCH_EN: 0
; COMPUTE_PGM_RSRC2:USER_SGPR: 15
; COMPUTE_PGM_RSRC2:TRAP_HANDLER: 0
; COMPUTE_PGM_RSRC2:TGID_X_EN: 1
; COMPUTE_PGM_RSRC2:TGID_Y_EN: 0
; COMPUTE_PGM_RSRC2:TGID_Z_EN: 0
; COMPUTE_PGM_RSRC2:TIDIG_COMP_CNT: 0
	.section	.text._ZN2at6native32elementwise_kernel_manual_unrollILi128ELi4EZNS0_22gpu_kernel_impl_nocastIZZZNS0_15exp_kernel_cudaERNS_18TensorIteratorBaseEENKUlvE_clEvENKUlvE1_clEvEUlN3c107complexINS7_4HalfEEEE_EEvS4_RKT_EUlibE_EEviT1_,"axG",@progbits,_ZN2at6native32elementwise_kernel_manual_unrollILi128ELi4EZNS0_22gpu_kernel_impl_nocastIZZZNS0_15exp_kernel_cudaERNS_18TensorIteratorBaseEENKUlvE_clEvENKUlvE1_clEvEUlN3c107complexINS7_4HalfEEEE_EEvS4_RKT_EUlibE_EEviT1_,comdat
	.globl	_ZN2at6native32elementwise_kernel_manual_unrollILi128ELi4EZNS0_22gpu_kernel_impl_nocastIZZZNS0_15exp_kernel_cudaERNS_18TensorIteratorBaseEENKUlvE_clEvENKUlvE1_clEvEUlN3c107complexINS7_4HalfEEEE_EEvS4_RKT_EUlibE_EEviT1_ ; -- Begin function _ZN2at6native32elementwise_kernel_manual_unrollILi128ELi4EZNS0_22gpu_kernel_impl_nocastIZZZNS0_15exp_kernel_cudaERNS_18TensorIteratorBaseEENKUlvE_clEvENKUlvE1_clEvEUlN3c107complexINS7_4HalfEEEE_EEvS4_RKT_EUlibE_EEviT1_
	.p2align	8
	.type	_ZN2at6native32elementwise_kernel_manual_unrollILi128ELi4EZNS0_22gpu_kernel_impl_nocastIZZZNS0_15exp_kernel_cudaERNS_18TensorIteratorBaseEENKUlvE_clEvENKUlvE1_clEvEUlN3c107complexINS7_4HalfEEEE_EEvS4_RKT_EUlibE_EEviT1_,@function
_ZN2at6native32elementwise_kernel_manual_unrollILi128ELi4EZNS0_22gpu_kernel_impl_nocastIZZZNS0_15exp_kernel_cudaERNS_18TensorIteratorBaseEENKUlvE_clEvENKUlvE1_clEvEUlN3c107complexINS7_4HalfEEEE_EEvS4_RKT_EUlibE_EEviT1_: ; @_ZN2at6native32elementwise_kernel_manual_unrollILi128ELi4EZNS0_22gpu_kernel_impl_nocastIZZZNS0_15exp_kernel_cudaERNS_18TensorIteratorBaseEENKUlvE_clEvENKUlvE1_clEvEUlN3c107complexINS7_4HalfEEEE_EEvS4_RKT_EUlibE_EEviT1_
; %bb.0:
	s_clause 0x1
	s_load_b32 s9, s[0:1], 0x8
	s_load_b32 s35, s[0:1], 0x0
	v_lshl_or_b32 v20, s15, 9, v0
	s_mov_b64 s[10:11], s[0:1]
	s_mov_b32 s32, 0
	s_or_b32 s10, s10, 8
	s_mov_b32 s0, exec_lo
	v_or_b32_e32 v1, 0x180, v20
	s_waitcnt lgkmcnt(0)
	s_add_i32 s28, s9, -1
	s_delay_alu instid0(SALU_CYCLE_1)
	s_cmp_gt_u32 s28, 1
	s_cselect_b32 s29, -1, 0
	v_cmpx_le_i32_e64 s35, v1
	s_xor_b32 s33, exec_lo, s0
	s_cbranch_execz .LBB71_7
; %bb.1:
	s_clause 0x3
	s_load_b128 s[20:23], s[10:11], 0x4
	s_load_b64 s[24:25], s[10:11], 0x14
	s_load_b128 s[16:19], s[10:11], 0xc4
	s_load_b128 s[12:15], s[10:11], 0x148
	s_cmp_lg_u32 s9, 0
	s_mov_b32 s38, exec_lo
	s_cselect_b32 s37, -1, 0
	s_add_u32 s26, s10, 0xc4
	s_addc_u32 s27, s11, 0
	s_min_u32 s36, s28, 15
	s_cmp_gt_u32 s9, 1
	s_cselect_b32 s34, -1, 0
	v_cmpx_gt_i32_e64 s35, v20
	s_cbranch_execz .LBB71_14
; %bb.2:
	s_and_not1_b32 vcc_lo, exec_lo, s29
	s_cbranch_vccnz .LBB71_21
; %bb.3:
	v_dual_mov_b32 v17, 0 :: v_dual_mov_b32 v0, 0
	s_and_not1_b32 vcc_lo, exec_lo, s37
	s_mov_b32 s4, 0
	s_cbranch_vccnz .LBB71_73
; %bb.4:
	v_mov_b32_e32 v17, 0
	s_add_i32 s6, s36, 1
	s_cmp_eq_u32 s28, 2
	s_mov_b32 s5, 0
	s_cbranch_scc1 .LBB71_69
; %bb.5:
	v_dual_mov_b32 v0, 0 :: v_dual_mov_b32 v17, 0
	v_mov_b32_e32 v1, v20
	s_and_b32 s5, s6, 28
	s_mov_b32 s7, 0
	s_mov_b64 s[0:1], s[26:27]
	s_mov_b64 s[2:3], s[10:11]
.LBB71_6:                               ; =>This Inner Loop Header: Depth=1
	s_clause 0x1
	s_load_b256 s[40:47], s[2:3], 0x4
	s_load_b128 s[56:59], s[2:3], 0x24
	s_load_b256 s[48:55], s[0:1], 0x0
	s_add_u32 s2, s2, 48
	s_addc_u32 s3, s3, 0
	s_add_i32 s7, s7, 4
	s_add_u32 s0, s0, 32
	s_addc_u32 s1, s1, 0
	s_cmp_lg_u32 s5, s7
	s_waitcnt lgkmcnt(0)
	v_mul_hi_u32 v2, s41, v1
	s_delay_alu instid0(VALU_DEP_1) | instskip(NEXT) | instid1(VALU_DEP_1)
	v_add_nc_u32_e32 v2, v1, v2
	v_lshrrev_b32_e32 v2, s42, v2
	s_delay_alu instid0(VALU_DEP_1) | instskip(SKIP_1) | instid1(VALU_DEP_2)
	v_mul_hi_u32 v3, s44, v2
	v_mul_lo_u32 v5, v2, s40
	v_add_nc_u32_e32 v3, v2, v3
	s_delay_alu instid0(VALU_DEP_2) | instskip(NEXT) | instid1(VALU_DEP_2)
	v_sub_nc_u32_e32 v1, v1, v5
	v_lshrrev_b32_e32 v3, s45, v3
	s_delay_alu instid0(VALU_DEP_2) | instskip(SKIP_1) | instid1(VALU_DEP_3)
	v_mul_lo_u32 v5, v1, s48
	v_mul_lo_u32 v7, v1, s49
	v_mul_hi_u32 v4, s47, v3
	s_delay_alu instid0(VALU_DEP_1) | instskip(NEXT) | instid1(VALU_DEP_1)
	v_add_nc_u32_e32 v4, v3, v4
	v_lshrrev_b32_e32 v4, s56, v4
	s_delay_alu instid0(VALU_DEP_1) | instskip(SKIP_1) | instid1(VALU_DEP_2)
	v_mul_hi_u32 v6, s58, v4
	v_mul_lo_u32 v8, v4, s46
	v_add_nc_u32_e32 v1, v4, v6
	v_mul_lo_u32 v6, v3, s43
	s_delay_alu instid0(VALU_DEP_3) | instskip(NEXT) | instid1(VALU_DEP_3)
	v_sub_nc_u32_e32 v3, v3, v8
	v_lshrrev_b32_e32 v1, s59, v1
	s_delay_alu instid0(VALU_DEP_2) | instskip(SKIP_2) | instid1(VALU_DEP_4)
	v_mul_lo_u32 v8, v3, s52
	v_mul_lo_u32 v3, v3, s53
	v_sub_nc_u32_e32 v2, v2, v6
	v_mul_lo_u32 v9, v1, s57
	s_delay_alu instid0(VALU_DEP_2) | instskip(SKIP_1) | instid1(VALU_DEP_3)
	v_mul_lo_u32 v6, v2, s50
	v_mul_lo_u32 v2, v2, s51
	v_sub_nc_u32_e32 v4, v4, v9
	s_delay_alu instid0(VALU_DEP_3) | instskip(NEXT) | instid1(VALU_DEP_2)
	v_add3_u32 v5, v5, v17, v6
	v_mul_lo_u32 v9, v4, s54
	v_mul_lo_u32 v4, v4, s55
	v_add3_u32 v0, v7, v0, v2
	s_delay_alu instid0(VALU_DEP_3) | instskip(NEXT) | instid1(VALU_DEP_2)
	v_add3_u32 v17, v8, v5, v9
	v_add3_u32 v0, v3, v0, v4
	s_cbranch_scc1 .LBB71_6
	s_branch .LBB71_70
.LBB71_7:
	s_and_not1_saveexec_b32 s0, s33
	s_cbranch_execz .LBB71_94
.LBB71_8:
	v_cndmask_b32_e64 v2, 0, 1, s29
	s_and_not1_b32 vcc_lo, exec_lo, s29
	s_cbranch_vccnz .LBB71_20
; %bb.9:
	v_dual_mov_b32 v17, 0 :: v_dual_mov_b32 v0, 0
	s_cmp_lg_u32 s9, 0
	s_mov_b32 s4, 0
	s_cbranch_scc0 .LBB71_26
; %bb.10:
	s_min_u32 s5, s28, 15
	v_mov_b32_e32 v17, 0
	s_add_i32 s5, s5, 1
	s_cmp_eq_u32 s28, 2
	s_mov_b32 s6, 0
	s_cbranch_scc1 .LBB71_23
; %bb.11:
	v_dual_mov_b32 v0, 0 :: v_dual_mov_b32 v17, 0
	v_mov_b32_e32 v3, v20
	s_add_u32 s0, s10, 0xc4
	s_addc_u32 s1, s11, 0
	s_and_b32 s6, s5, 28
	s_mov_b32 s7, 0
	s_mov_b64 s[2:3], s[10:11]
.LBB71_12:                              ; =>This Inner Loop Header: Depth=1
	s_waitcnt lgkmcnt(0)
	s_clause 0x1
	s_load_b256 s[12:19], s[2:3], 0x4
	s_load_b128 s[36:39], s[2:3], 0x24
	s_load_b256 s[20:27], s[0:1], 0x0
	s_add_u32 s2, s2, 48
	s_addc_u32 s3, s3, 0
	s_add_i32 s7, s7, 4
	s_add_u32 s0, s0, 32
	s_addc_u32 s1, s1, 0
	s_cmp_lg_u32 s6, s7
	s_waitcnt lgkmcnt(0)
	v_mul_hi_u32 v4, s13, v3
	s_delay_alu instid0(VALU_DEP_1) | instskip(NEXT) | instid1(VALU_DEP_1)
	v_add_nc_u32_e32 v4, v3, v4
	v_lshrrev_b32_e32 v4, s14, v4
	s_delay_alu instid0(VALU_DEP_1) | instskip(SKIP_1) | instid1(VALU_DEP_2)
	v_mul_hi_u32 v5, s16, v4
	v_mul_lo_u32 v7, v4, s12
	v_add_nc_u32_e32 v5, v4, v5
	s_delay_alu instid0(VALU_DEP_2) | instskip(NEXT) | instid1(VALU_DEP_2)
	v_sub_nc_u32_e32 v3, v3, v7
	v_lshrrev_b32_e32 v5, s17, v5
	s_delay_alu instid0(VALU_DEP_2) | instskip(SKIP_1) | instid1(VALU_DEP_3)
	v_mul_lo_u32 v7, v3, s20
	v_mul_lo_u32 v9, v3, s21
	v_mul_hi_u32 v6, s19, v5
	s_delay_alu instid0(VALU_DEP_1) | instskip(NEXT) | instid1(VALU_DEP_1)
	v_add_nc_u32_e32 v6, v5, v6
	v_lshrrev_b32_e32 v6, s36, v6
	s_delay_alu instid0(VALU_DEP_1) | instskip(SKIP_1) | instid1(VALU_DEP_2)
	v_mul_hi_u32 v8, s38, v6
	v_mul_lo_u32 v10, v6, s18
	v_add_nc_u32_e32 v3, v6, v8
	v_mul_lo_u32 v8, v5, s15
	s_delay_alu instid0(VALU_DEP_3) | instskip(NEXT) | instid1(VALU_DEP_3)
	v_sub_nc_u32_e32 v5, v5, v10
	v_lshrrev_b32_e32 v3, s39, v3
	s_delay_alu instid0(VALU_DEP_2) | instskip(SKIP_2) | instid1(VALU_DEP_4)
	v_mul_lo_u32 v10, v5, s24
	v_mul_lo_u32 v5, v5, s25
	v_sub_nc_u32_e32 v4, v4, v8
	v_mul_lo_u32 v11, v3, s37
	s_delay_alu instid0(VALU_DEP_2) | instskip(SKIP_1) | instid1(VALU_DEP_3)
	v_mul_lo_u32 v8, v4, s22
	v_mul_lo_u32 v4, v4, s23
	v_sub_nc_u32_e32 v6, v6, v11
	s_delay_alu instid0(VALU_DEP_3) | instskip(NEXT) | instid1(VALU_DEP_2)
	v_add3_u32 v7, v7, v17, v8
	v_mul_lo_u32 v11, v6, s26
	v_mul_lo_u32 v6, v6, s27
	v_add3_u32 v0, v9, v0, v4
	s_delay_alu instid0(VALU_DEP_3) | instskip(NEXT) | instid1(VALU_DEP_2)
	v_add3_u32 v17, v10, v7, v11
	v_add3_u32 v0, v5, v0, v6
	s_cbranch_scc1 .LBB71_12
; %bb.13:
	s_and_b32 s5, s5, 3
	s_delay_alu instid0(SALU_CYCLE_1)
	s_cmp_eq_u32 s5, 0
	s_cbranch_scc0 .LBB71_24
	s_branch .LBB71_26
.LBB71_14:
	s_or_b32 exec_lo, exec_lo, s38
	s_delay_alu instid0(SALU_CYCLE_1)
	s_mov_b32 s38, exec_lo
	v_cmpx_gt_i32_e64 s35, v20
	s_cbranch_execz .LBB71_77
.LBB71_15:
	s_and_not1_b32 vcc_lo, exec_lo, s29
	s_cbranch_vccnz .LBB71_22
; %bb.16:
	v_dual_mov_b32 v17, 0 :: v_dual_mov_b32 v0, 0
	s_and_not1_b32 vcc_lo, exec_lo, s37
	s_mov_b32 s4, 0
	s_cbranch_vccnz .LBB71_88
; %bb.17:
	v_mov_b32_e32 v17, 0
	s_add_i32 s6, s36, 1
	s_cmp_eq_u32 s28, 2
	s_mov_b32 s5, 0
	s_cbranch_scc1 .LBB71_84
; %bb.18:
	v_dual_mov_b32 v0, 0 :: v_dual_mov_b32 v17, 0
	v_mov_b32_e32 v1, v20
	s_and_b32 s5, s6, 28
	s_mov_b32 s7, 0
	s_mov_b64 s[0:1], s[26:27]
	s_mov_b64 s[2:3], s[10:11]
.LBB71_19:                              ; =>This Inner Loop Header: Depth=1
	s_clause 0x1
	s_load_b256 s[40:47], s[2:3], 0x4
	s_load_b128 s[56:59], s[2:3], 0x24
	s_load_b256 s[48:55], s[0:1], 0x0
	s_add_u32 s2, s2, 48
	s_addc_u32 s3, s3, 0
	s_add_i32 s7, s7, 4
	s_add_u32 s0, s0, 32
	s_addc_u32 s1, s1, 0
	s_cmp_eq_u32 s5, s7
	s_waitcnt lgkmcnt(0)
	v_mul_hi_u32 v2, s41, v1
	s_delay_alu instid0(VALU_DEP_1) | instskip(NEXT) | instid1(VALU_DEP_1)
	v_add_nc_u32_e32 v2, v1, v2
	v_lshrrev_b32_e32 v2, s42, v2
	s_delay_alu instid0(VALU_DEP_1) | instskip(SKIP_1) | instid1(VALU_DEP_2)
	v_mul_hi_u32 v3, s44, v2
	v_mul_lo_u32 v5, v2, s40
	v_add_nc_u32_e32 v3, v2, v3
	s_delay_alu instid0(VALU_DEP_2) | instskip(NEXT) | instid1(VALU_DEP_2)
	v_sub_nc_u32_e32 v1, v1, v5
	v_lshrrev_b32_e32 v3, s45, v3
	s_delay_alu instid0(VALU_DEP_2) | instskip(SKIP_1) | instid1(VALU_DEP_3)
	v_mul_lo_u32 v5, v1, s48
	v_mul_lo_u32 v7, v1, s49
	v_mul_hi_u32 v4, s47, v3
	s_delay_alu instid0(VALU_DEP_1) | instskip(NEXT) | instid1(VALU_DEP_1)
	v_add_nc_u32_e32 v4, v3, v4
	v_lshrrev_b32_e32 v4, s56, v4
	s_delay_alu instid0(VALU_DEP_1) | instskip(SKIP_1) | instid1(VALU_DEP_2)
	v_mul_hi_u32 v6, s58, v4
	v_mul_lo_u32 v8, v4, s46
	v_add_nc_u32_e32 v1, v4, v6
	v_mul_lo_u32 v6, v3, s43
	s_delay_alu instid0(VALU_DEP_3) | instskip(NEXT) | instid1(VALU_DEP_3)
	v_sub_nc_u32_e32 v3, v3, v8
	v_lshrrev_b32_e32 v1, s59, v1
	s_delay_alu instid0(VALU_DEP_2) | instskip(SKIP_2) | instid1(VALU_DEP_4)
	v_mul_lo_u32 v8, v3, s52
	v_mul_lo_u32 v3, v3, s53
	v_sub_nc_u32_e32 v2, v2, v6
	v_mul_lo_u32 v9, v1, s57
	s_delay_alu instid0(VALU_DEP_2) | instskip(SKIP_1) | instid1(VALU_DEP_3)
	v_mul_lo_u32 v6, v2, s50
	v_mul_lo_u32 v2, v2, s51
	v_sub_nc_u32_e32 v4, v4, v9
	s_delay_alu instid0(VALU_DEP_3) | instskip(NEXT) | instid1(VALU_DEP_2)
	v_add3_u32 v5, v5, v17, v6
	v_mul_lo_u32 v9, v4, s54
	v_mul_lo_u32 v4, v4, s55
	v_add3_u32 v0, v7, v0, v2
	s_delay_alu instid0(VALU_DEP_3) | instskip(NEXT) | instid1(VALU_DEP_2)
	v_add3_u32 v17, v8, v5, v9
	v_add3_u32 v0, v3, v0, v4
	s_cbranch_scc0 .LBB71_19
	s_branch .LBB71_85
.LBB71_20:
	s_mov_b32 s4, -1
                                        ; implicit-def: $vgpr17
                                        ; implicit-def: $vgpr0
	s_branch .LBB71_26
.LBB71_21:
	s_mov_b32 s4, -1
                                        ; implicit-def: $vgpr17
                                        ; implicit-def: $vgpr0
	s_branch .LBB71_73
.LBB71_22:
	s_mov_b32 s4, -1
                                        ; implicit-def: $vgpr17
                                        ; implicit-def: $vgpr0
	s_branch .LBB71_88
.LBB71_23:
	v_dual_mov_b32 v3, v20 :: v_dual_mov_b32 v0, 0
	s_and_b32 s5, s5, 3
	s_delay_alu instid0(SALU_CYCLE_1)
	s_cmp_eq_u32 s5, 0
	s_cbranch_scc1 .LBB71_26
.LBB71_24:
	s_lshl_b32 s0, s6, 3
	s_mul_i32 s2, s6, 12
	s_add_u32 s0, s0, s10
	s_addc_u32 s1, 0, s11
	s_add_u32 s0, s0, 0xc4
	s_addc_u32 s1, s1, 0
	;; [unrolled: 2-line block ×3, first 2 shown]
	.p2align	6
.LBB71_25:                              ; =>This Inner Loop Header: Depth=1
	s_clause 0x1
	s_load_b64 s[6:7], s[2:3], 0x4
	s_load_b32 s8, s[2:3], 0xc
	s_waitcnt lgkmcnt(0)
	s_load_b64 s[12:13], s[0:1], 0x0
	s_add_u32 s2, s2, 12
	s_addc_u32 s3, s3, 0
	s_add_u32 s0, s0, 8
	s_addc_u32 s1, s1, 0
	s_add_i32 s5, s5, -1
	s_delay_alu instid0(SALU_CYCLE_1) | instskip(SKIP_1) | instid1(VALU_DEP_1)
	s_cmp_lg_u32 s5, 0
	v_mul_hi_u32 v4, s7, v3
	v_add_nc_u32_e32 v4, v3, v4
	s_delay_alu instid0(VALU_DEP_1) | instskip(NEXT) | instid1(VALU_DEP_1)
	v_lshrrev_b32_e32 v7, s8, v4
	v_mul_lo_u32 v4, v7, s6
	s_delay_alu instid0(VALU_DEP_1) | instskip(SKIP_1) | instid1(VALU_DEP_1)
	v_sub_nc_u32_e32 v3, v3, v4
	s_waitcnt lgkmcnt(0)
	v_mad_u64_u32 v[4:5], null, v3, s12, v[17:18]
	v_mad_u64_u32 v[5:6], null, v3, s13, v[0:1]
	v_mov_b32_e32 v3, v7
	s_delay_alu instid0(VALU_DEP_2)
	v_dual_mov_b32 v17, v4 :: v_dual_mov_b32 v0, v5
	s_cbranch_scc1 .LBB71_25
.LBB71_26:
	s_and_not1_b32 vcc_lo, exec_lo, s4
	s_cbranch_vccnz .LBB71_29
; %bb.27:
	s_clause 0x1
	s_load_b128 s[0:3], s[10:11], 0x4
	s_load_b64 s[4:5], s[10:11], 0xc4
	s_cmp_lt_u32 s9, 2
	s_waitcnt lgkmcnt(0)
	v_mul_hi_u32 v0, s1, v20
	s_delay_alu instid0(VALU_DEP_1) | instskip(NEXT) | instid1(VALU_DEP_1)
	v_add_nc_u32_e32 v0, v20, v0
	v_lshrrev_b32_e32 v3, s2, v0
	s_delay_alu instid0(VALU_DEP_1) | instskip(NEXT) | instid1(VALU_DEP_1)
	v_mul_lo_u32 v0, v3, s0
	v_sub_nc_u32_e32 v0, v20, v0
	s_delay_alu instid0(VALU_DEP_1)
	v_mul_lo_u32 v17, v0, s4
	v_mul_lo_u32 v0, v0, s5
	s_cbranch_scc1 .LBB71_29
; %bb.28:
	s_clause 0x1
	s_load_b128 s[0:3], s[10:11], 0x10
	s_load_b64 s[4:5], s[10:11], 0xcc
	s_waitcnt lgkmcnt(0)
	v_mul_hi_u32 v4, s1, v3
	s_delay_alu instid0(VALU_DEP_1) | instskip(NEXT) | instid1(VALU_DEP_1)
	v_add_nc_u32_e32 v4, v3, v4
	v_lshrrev_b32_e32 v4, s2, v4
	s_delay_alu instid0(VALU_DEP_1) | instskip(NEXT) | instid1(VALU_DEP_1)
	v_mul_lo_u32 v4, v4, s0
	v_sub_nc_u32_e32 v6, v3, v4
	s_delay_alu instid0(VALU_DEP_1) | instskip(SKIP_1) | instid1(VALU_DEP_1)
	v_mad_u64_u32 v[3:4], null, v6, s4, v[17:18]
	v_mad_u64_u32 v[4:5], null, v6, s5, v[0:1]
	v_dual_mov_b32 v17, v3 :: v_dual_mov_b32 v0, v4
.LBB71_29:
	v_cmp_ne_u32_e32 vcc_lo, 1, v2
	v_add_nc_u32_e32 v3, 0x80, v20
	s_cbranch_vccnz .LBB71_35
; %bb.30:
	v_dual_mov_b32 v18, 0 :: v_dual_mov_b32 v19, 0
	s_cmp_lg_u32 s9, 0
	s_mov_b32 s4, 0
	s_cbranch_scc0 .LBB71_39
; %bb.31:
	s_min_u32 s5, s28, 15
	v_mov_b32_e32 v18, 0
	s_add_i32 s5, s5, 1
	s_cmp_eq_u32 s28, 2
	s_mov_b32 s6, 0
	s_cbranch_scc1 .LBB71_36
; %bb.32:
	v_dual_mov_b32 v19, 0 :: v_dual_mov_b32 v18, 0
	v_mov_b32_e32 v4, v3
	s_add_u32 s0, s10, 0xc4
	s_addc_u32 s1, s11, 0
	s_and_b32 s6, s5, 28
	s_mov_b32 s7, 0
	s_mov_b64 s[2:3], s[10:11]
.LBB71_33:                              ; =>This Inner Loop Header: Depth=1
	s_waitcnt lgkmcnt(0)
	s_clause 0x1
	s_load_b256 s[12:19], s[2:3], 0x4
	s_load_b128 s[36:39], s[2:3], 0x24
	s_load_b256 s[20:27], s[0:1], 0x0
	s_add_u32 s2, s2, 48
	s_addc_u32 s3, s3, 0
	s_add_i32 s7, s7, 4
	s_add_u32 s0, s0, 32
	s_addc_u32 s1, s1, 0
	s_cmp_lg_u32 s6, s7
	s_waitcnt lgkmcnt(0)
	v_mul_hi_u32 v5, s13, v4
	s_delay_alu instid0(VALU_DEP_1) | instskip(NEXT) | instid1(VALU_DEP_1)
	v_add_nc_u32_e32 v5, v4, v5
	v_lshrrev_b32_e32 v5, s14, v5
	s_delay_alu instid0(VALU_DEP_1) | instskip(SKIP_1) | instid1(VALU_DEP_2)
	v_mul_hi_u32 v6, s16, v5
	v_mul_lo_u32 v8, v5, s12
	v_add_nc_u32_e32 v6, v5, v6
	s_delay_alu instid0(VALU_DEP_2) | instskip(NEXT) | instid1(VALU_DEP_2)
	v_sub_nc_u32_e32 v4, v4, v8
	v_lshrrev_b32_e32 v6, s17, v6
	s_delay_alu instid0(VALU_DEP_2) | instskip(SKIP_1) | instid1(VALU_DEP_3)
	v_mul_lo_u32 v8, v4, s20
	v_mul_lo_u32 v10, v4, s21
	v_mul_hi_u32 v7, s19, v6
	s_delay_alu instid0(VALU_DEP_1) | instskip(NEXT) | instid1(VALU_DEP_1)
	v_add_nc_u32_e32 v7, v6, v7
	v_lshrrev_b32_e32 v7, s36, v7
	s_delay_alu instid0(VALU_DEP_1) | instskip(SKIP_1) | instid1(VALU_DEP_2)
	v_mul_hi_u32 v9, s38, v7
	v_mul_lo_u32 v11, v7, s18
	v_add_nc_u32_e32 v4, v7, v9
	v_mul_lo_u32 v9, v6, s15
	s_delay_alu instid0(VALU_DEP_3) | instskip(NEXT) | instid1(VALU_DEP_3)
	v_sub_nc_u32_e32 v6, v6, v11
	v_lshrrev_b32_e32 v4, s39, v4
	s_delay_alu instid0(VALU_DEP_2) | instskip(SKIP_2) | instid1(VALU_DEP_4)
	v_mul_lo_u32 v11, v6, s24
	v_mul_lo_u32 v6, v6, s25
	v_sub_nc_u32_e32 v5, v5, v9
	v_mul_lo_u32 v12, v4, s37
	s_delay_alu instid0(VALU_DEP_2) | instskip(SKIP_1) | instid1(VALU_DEP_3)
	v_mul_lo_u32 v9, v5, s22
	v_mul_lo_u32 v5, v5, s23
	v_sub_nc_u32_e32 v7, v7, v12
	s_delay_alu instid0(VALU_DEP_3) | instskip(NEXT) | instid1(VALU_DEP_2)
	v_add3_u32 v8, v8, v18, v9
	v_mul_lo_u32 v12, v7, s26
	v_mul_lo_u32 v7, v7, s27
	v_add3_u32 v5, v10, v19, v5
	s_delay_alu instid0(VALU_DEP_3) | instskip(NEXT) | instid1(VALU_DEP_2)
	v_add3_u32 v18, v11, v8, v12
	v_add3_u32 v19, v6, v5, v7
	s_cbranch_scc1 .LBB71_33
; %bb.34:
	s_and_b32 s5, s5, 3
	s_delay_alu instid0(SALU_CYCLE_1)
	s_cmp_eq_u32 s5, 0
	s_cbranch_scc0 .LBB71_37
	s_branch .LBB71_39
.LBB71_35:
	s_mov_b32 s4, -1
                                        ; implicit-def: $vgpr18
                                        ; implicit-def: $vgpr19
	s_branch .LBB71_39
.LBB71_36:
	v_dual_mov_b32 v4, v3 :: v_dual_mov_b32 v19, 0
	s_and_b32 s5, s5, 3
	s_delay_alu instid0(SALU_CYCLE_1)
	s_cmp_eq_u32 s5, 0
	s_cbranch_scc1 .LBB71_39
.LBB71_37:
	s_lshl_b32 s0, s6, 3
	s_mul_i32 s2, s6, 12
	s_add_u32 s0, s0, s10
	s_addc_u32 s1, 0, s11
	s_add_u32 s0, s0, 0xc4
	s_addc_u32 s1, s1, 0
	;; [unrolled: 2-line block ×3, first 2 shown]
	.p2align	6
.LBB71_38:                              ; =>This Inner Loop Header: Depth=1
	s_clause 0x1
	s_load_b64 s[6:7], s[2:3], 0x4
	s_load_b32 s8, s[2:3], 0xc
	s_waitcnt lgkmcnt(0)
	s_load_b64 s[12:13], s[0:1], 0x0
	s_add_u32 s2, s2, 12
	s_addc_u32 s3, s3, 0
	s_add_u32 s0, s0, 8
	s_addc_u32 s1, s1, 0
	s_add_i32 s5, s5, -1
	s_delay_alu instid0(SALU_CYCLE_1) | instskip(SKIP_1) | instid1(VALU_DEP_1)
	s_cmp_lg_u32 s5, 0
	v_mul_hi_u32 v5, s7, v4
	v_add_nc_u32_e32 v5, v4, v5
	s_delay_alu instid0(VALU_DEP_1) | instskip(NEXT) | instid1(VALU_DEP_1)
	v_lshrrev_b32_e32 v8, s8, v5
	v_mul_lo_u32 v5, v8, s6
	s_delay_alu instid0(VALU_DEP_1) | instskip(SKIP_1) | instid1(VALU_DEP_1)
	v_sub_nc_u32_e32 v4, v4, v5
	s_waitcnt lgkmcnt(0)
	v_mad_u64_u32 v[5:6], null, v4, s12, v[18:19]
	v_mad_u64_u32 v[6:7], null, v4, s13, v[19:20]
	v_mov_b32_e32 v4, v8
	s_delay_alu instid0(VALU_DEP_2)
	v_dual_mov_b32 v18, v5 :: v_dual_mov_b32 v19, v6
	s_cbranch_scc1 .LBB71_38
.LBB71_39:
	s_and_not1_b32 vcc_lo, exec_lo, s4
	s_cbranch_vccnz .LBB71_42
; %bb.40:
	s_clause 0x1
	s_load_b128 s[0:3], s[10:11], 0x4
	s_load_b64 s[4:5], s[10:11], 0xc4
	s_cmp_lt_u32 s9, 2
	s_waitcnt lgkmcnt(0)
	v_mul_hi_u32 v4, s1, v3
	s_delay_alu instid0(VALU_DEP_1) | instskip(NEXT) | instid1(VALU_DEP_1)
	v_add_nc_u32_e32 v4, v3, v4
	v_lshrrev_b32_e32 v4, s2, v4
	s_delay_alu instid0(VALU_DEP_1) | instskip(NEXT) | instid1(VALU_DEP_1)
	v_mul_lo_u32 v5, v4, s0
	v_sub_nc_u32_e32 v3, v3, v5
	s_delay_alu instid0(VALU_DEP_1)
	v_mul_lo_u32 v18, v3, s4
	v_mul_lo_u32 v19, v3, s5
	s_cbranch_scc1 .LBB71_42
; %bb.41:
	s_clause 0x1
	s_load_b128 s[0:3], s[10:11], 0x10
	s_load_b64 s[4:5], s[10:11], 0xcc
	s_waitcnt lgkmcnt(0)
	v_mul_hi_u32 v3, s1, v4
	s_delay_alu instid0(VALU_DEP_1) | instskip(NEXT) | instid1(VALU_DEP_1)
	v_add_nc_u32_e32 v3, v4, v3
	v_lshrrev_b32_e32 v3, s2, v3
	s_delay_alu instid0(VALU_DEP_1) | instskip(NEXT) | instid1(VALU_DEP_1)
	v_mul_lo_u32 v3, v3, s0
	v_sub_nc_u32_e32 v6, v4, v3
	s_delay_alu instid0(VALU_DEP_1) | instskip(SKIP_1) | instid1(VALU_DEP_1)
	v_mad_u64_u32 v[3:4], null, v6, s4, v[18:19]
	v_mad_u64_u32 v[4:5], null, v6, s5, v[19:20]
	v_dual_mov_b32 v18, v3 :: v_dual_mov_b32 v19, v4
.LBB71_42:
	v_cmp_ne_u32_e32 vcc_lo, 1, v2
	v_add_nc_u32_e32 v3, 0x100, v20
	s_cbranch_vccnz .LBB71_48
; %bb.43:
	v_dual_mov_b32 v20, 0 :: v_dual_mov_b32 v21, 0
	s_cmp_lg_u32 s9, 0
	s_mov_b32 s4, 0
	s_cbranch_scc0 .LBB71_52
; %bb.44:
	s_min_u32 s5, s28, 15
	v_mov_b32_e32 v20, 0
	s_add_i32 s5, s5, 1
	s_cmp_eq_u32 s28, 2
	s_mov_b32 s6, 0
	s_cbranch_scc1 .LBB71_49
; %bb.45:
	v_dual_mov_b32 v21, 0 :: v_dual_mov_b32 v20, 0
	v_mov_b32_e32 v4, v3
	s_add_u32 s0, s10, 0xc4
	s_addc_u32 s1, s11, 0
	s_and_b32 s6, s5, 28
	s_mov_b32 s7, 0
	s_mov_b64 s[2:3], s[10:11]
.LBB71_46:                              ; =>This Inner Loop Header: Depth=1
	s_waitcnt lgkmcnt(0)
	s_clause 0x1
	s_load_b256 s[12:19], s[2:3], 0x4
	s_load_b128 s[36:39], s[2:3], 0x24
	s_load_b256 s[20:27], s[0:1], 0x0
	s_add_u32 s2, s2, 48
	s_addc_u32 s3, s3, 0
	s_add_i32 s7, s7, 4
	s_add_u32 s0, s0, 32
	s_addc_u32 s1, s1, 0
	s_cmp_lg_u32 s6, s7
	s_waitcnt lgkmcnt(0)
	v_mul_hi_u32 v5, s13, v4
	s_delay_alu instid0(VALU_DEP_1) | instskip(NEXT) | instid1(VALU_DEP_1)
	v_add_nc_u32_e32 v5, v4, v5
	v_lshrrev_b32_e32 v5, s14, v5
	s_delay_alu instid0(VALU_DEP_1) | instskip(SKIP_1) | instid1(VALU_DEP_2)
	v_mul_hi_u32 v6, s16, v5
	v_mul_lo_u32 v8, v5, s12
	v_add_nc_u32_e32 v6, v5, v6
	s_delay_alu instid0(VALU_DEP_2) | instskip(NEXT) | instid1(VALU_DEP_2)
	v_sub_nc_u32_e32 v4, v4, v8
	v_lshrrev_b32_e32 v6, s17, v6
	s_delay_alu instid0(VALU_DEP_2) | instskip(SKIP_1) | instid1(VALU_DEP_3)
	v_mul_lo_u32 v8, v4, s20
	v_mul_lo_u32 v10, v4, s21
	v_mul_hi_u32 v7, s19, v6
	s_delay_alu instid0(VALU_DEP_1) | instskip(NEXT) | instid1(VALU_DEP_1)
	v_add_nc_u32_e32 v7, v6, v7
	v_lshrrev_b32_e32 v7, s36, v7
	s_delay_alu instid0(VALU_DEP_1) | instskip(SKIP_1) | instid1(VALU_DEP_2)
	v_mul_hi_u32 v9, s38, v7
	v_mul_lo_u32 v11, v7, s18
	v_add_nc_u32_e32 v4, v7, v9
	v_mul_lo_u32 v9, v6, s15
	s_delay_alu instid0(VALU_DEP_3) | instskip(NEXT) | instid1(VALU_DEP_3)
	v_sub_nc_u32_e32 v6, v6, v11
	v_lshrrev_b32_e32 v4, s39, v4
	s_delay_alu instid0(VALU_DEP_2) | instskip(SKIP_2) | instid1(VALU_DEP_4)
	v_mul_lo_u32 v11, v6, s24
	v_mul_lo_u32 v6, v6, s25
	v_sub_nc_u32_e32 v5, v5, v9
	v_mul_lo_u32 v12, v4, s37
	s_delay_alu instid0(VALU_DEP_2) | instskip(SKIP_1) | instid1(VALU_DEP_3)
	v_mul_lo_u32 v9, v5, s22
	v_mul_lo_u32 v5, v5, s23
	v_sub_nc_u32_e32 v7, v7, v12
	s_delay_alu instid0(VALU_DEP_3) | instskip(NEXT) | instid1(VALU_DEP_2)
	v_add3_u32 v8, v8, v20, v9
	v_mul_lo_u32 v12, v7, s26
	v_mul_lo_u32 v7, v7, s27
	v_add3_u32 v5, v10, v21, v5
	s_delay_alu instid0(VALU_DEP_3) | instskip(NEXT) | instid1(VALU_DEP_2)
	v_add3_u32 v20, v11, v8, v12
	v_add3_u32 v21, v6, v5, v7
	s_cbranch_scc1 .LBB71_46
; %bb.47:
	s_and_b32 s5, s5, 3
	s_delay_alu instid0(SALU_CYCLE_1)
	s_cmp_eq_u32 s5, 0
	s_cbranch_scc0 .LBB71_50
	s_branch .LBB71_52
.LBB71_48:
	s_mov_b32 s4, -1
                                        ; implicit-def: $vgpr20
                                        ; implicit-def: $vgpr21
	s_branch .LBB71_52
.LBB71_49:
	v_dual_mov_b32 v4, v3 :: v_dual_mov_b32 v21, 0
	s_and_b32 s5, s5, 3
	s_delay_alu instid0(SALU_CYCLE_1)
	s_cmp_eq_u32 s5, 0
	s_cbranch_scc1 .LBB71_52
.LBB71_50:
	s_lshl_b32 s0, s6, 3
	s_mul_i32 s2, s6, 12
	s_add_u32 s0, s0, s10
	s_addc_u32 s1, 0, s11
	s_add_u32 s0, s0, 0xc4
	s_addc_u32 s1, s1, 0
	;; [unrolled: 2-line block ×3, first 2 shown]
	.p2align	6
.LBB71_51:                              ; =>This Inner Loop Header: Depth=1
	s_clause 0x1
	s_load_b64 s[6:7], s[2:3], 0x4
	s_load_b32 s8, s[2:3], 0xc
	s_waitcnt lgkmcnt(0)
	s_load_b64 s[12:13], s[0:1], 0x0
	s_add_u32 s2, s2, 12
	s_addc_u32 s3, s3, 0
	s_add_u32 s0, s0, 8
	s_addc_u32 s1, s1, 0
	s_add_i32 s5, s5, -1
	s_delay_alu instid0(SALU_CYCLE_1) | instskip(SKIP_1) | instid1(VALU_DEP_1)
	s_cmp_lg_u32 s5, 0
	v_mul_hi_u32 v5, s7, v4
	v_add_nc_u32_e32 v5, v4, v5
	s_delay_alu instid0(VALU_DEP_1) | instskip(NEXT) | instid1(VALU_DEP_1)
	v_lshrrev_b32_e32 v8, s8, v5
	v_mul_lo_u32 v5, v8, s6
	s_delay_alu instid0(VALU_DEP_1) | instskip(SKIP_1) | instid1(VALU_DEP_1)
	v_sub_nc_u32_e32 v4, v4, v5
	s_waitcnt lgkmcnt(0)
	v_mad_u64_u32 v[5:6], null, v4, s12, v[20:21]
	v_mad_u64_u32 v[6:7], null, v4, s13, v[21:22]
	v_mov_b32_e32 v4, v8
	s_delay_alu instid0(VALU_DEP_2)
	v_dual_mov_b32 v20, v5 :: v_dual_mov_b32 v21, v6
	s_cbranch_scc1 .LBB71_51
.LBB71_52:
	s_and_not1_b32 vcc_lo, exec_lo, s4
	s_cbranch_vccnz .LBB71_55
; %bb.53:
	s_clause 0x1
	s_load_b128 s[0:3], s[10:11], 0x4
	s_load_b64 s[4:5], s[10:11], 0xc4
	s_cmp_lt_u32 s9, 2
	s_waitcnt lgkmcnt(0)
	v_mul_hi_u32 v4, s1, v3
	s_delay_alu instid0(VALU_DEP_1) | instskip(NEXT) | instid1(VALU_DEP_1)
	v_add_nc_u32_e32 v4, v3, v4
	v_lshrrev_b32_e32 v4, s2, v4
	s_delay_alu instid0(VALU_DEP_1) | instskip(NEXT) | instid1(VALU_DEP_1)
	v_mul_lo_u32 v5, v4, s0
	v_sub_nc_u32_e32 v3, v3, v5
	s_delay_alu instid0(VALU_DEP_1)
	v_mul_lo_u32 v20, v3, s4
	v_mul_lo_u32 v21, v3, s5
	s_cbranch_scc1 .LBB71_55
; %bb.54:
	s_clause 0x1
	s_load_b128 s[0:3], s[10:11], 0x10
	s_load_b64 s[4:5], s[10:11], 0xcc
	s_waitcnt lgkmcnt(0)
	v_mul_hi_u32 v3, s1, v4
	s_delay_alu instid0(VALU_DEP_1) | instskip(NEXT) | instid1(VALU_DEP_1)
	v_add_nc_u32_e32 v3, v4, v3
	v_lshrrev_b32_e32 v3, s2, v3
	s_delay_alu instid0(VALU_DEP_1) | instskip(NEXT) | instid1(VALU_DEP_1)
	v_mul_lo_u32 v3, v3, s0
	v_sub_nc_u32_e32 v6, v4, v3
	s_delay_alu instid0(VALU_DEP_1) | instskip(SKIP_1) | instid1(VALU_DEP_1)
	v_mad_u64_u32 v[3:4], null, v6, s4, v[20:21]
	v_mad_u64_u32 v[4:5], null, v6, s5, v[21:22]
	v_dual_mov_b32 v20, v3 :: v_dual_mov_b32 v21, v4
.LBB71_55:
	v_cmp_ne_u32_e32 vcc_lo, 1, v2
	s_cbranch_vccnz .LBB71_61
; %bb.56:
	v_dual_mov_b32 v22, 0 :: v_dual_mov_b32 v23, 0
	s_cmp_lg_u32 s9, 0
	s_mov_b32 s4, 0
	s_cbranch_scc0 .LBB71_65
; %bb.57:
	s_min_u32 s5, s28, 15
	v_mov_b32_e32 v22, 0
	s_add_i32 s5, s5, 1
	s_cmp_eq_u32 s28, 2
	s_mov_b32 s6, 0
	s_cbranch_scc1 .LBB71_62
; %bb.58:
	v_dual_mov_b32 v23, 0 :: v_dual_mov_b32 v22, 0
	v_mov_b32_e32 v2, v1
	s_add_u32 s0, s10, 0xc4
	s_addc_u32 s1, s11, 0
	s_and_b32 s6, s5, 28
	s_mov_b32 s7, 0
	s_mov_b64 s[2:3], s[10:11]
.LBB71_59:                              ; =>This Inner Loop Header: Depth=1
	s_waitcnt lgkmcnt(0)
	s_clause 0x1
	s_load_b256 s[12:19], s[2:3], 0x4
	s_load_b128 s[28:31], s[2:3], 0x24
	s_load_b256 s[20:27], s[0:1], 0x0
	s_add_u32 s2, s2, 48
	s_addc_u32 s3, s3, 0
	s_add_i32 s7, s7, 4
	s_add_u32 s0, s0, 32
	s_addc_u32 s1, s1, 0
	s_cmp_lg_u32 s6, s7
	s_waitcnt lgkmcnt(0)
	v_mul_hi_u32 v3, s13, v2
	s_delay_alu instid0(VALU_DEP_1) | instskip(NEXT) | instid1(VALU_DEP_1)
	v_add_nc_u32_e32 v3, v2, v3
	v_lshrrev_b32_e32 v3, s14, v3
	s_delay_alu instid0(VALU_DEP_1) | instskip(SKIP_1) | instid1(VALU_DEP_2)
	v_mul_hi_u32 v4, s16, v3
	v_mul_lo_u32 v6, v3, s12
	v_add_nc_u32_e32 v4, v3, v4
	s_delay_alu instid0(VALU_DEP_2) | instskip(NEXT) | instid1(VALU_DEP_2)
	v_sub_nc_u32_e32 v2, v2, v6
	v_lshrrev_b32_e32 v4, s17, v4
	s_delay_alu instid0(VALU_DEP_2) | instskip(SKIP_1) | instid1(VALU_DEP_3)
	v_mul_lo_u32 v6, v2, s20
	v_mul_lo_u32 v8, v2, s21
	v_mul_hi_u32 v5, s19, v4
	s_delay_alu instid0(VALU_DEP_1) | instskip(NEXT) | instid1(VALU_DEP_1)
	v_add_nc_u32_e32 v5, v4, v5
	v_lshrrev_b32_e32 v5, s28, v5
	s_delay_alu instid0(VALU_DEP_1) | instskip(SKIP_1) | instid1(VALU_DEP_2)
	v_mul_hi_u32 v7, s30, v5
	v_mul_lo_u32 v9, v5, s18
	v_add_nc_u32_e32 v2, v5, v7
	v_mul_lo_u32 v7, v4, s15
	s_delay_alu instid0(VALU_DEP_3) | instskip(NEXT) | instid1(VALU_DEP_3)
	v_sub_nc_u32_e32 v4, v4, v9
	v_lshrrev_b32_e32 v2, s31, v2
	s_delay_alu instid0(VALU_DEP_2) | instskip(SKIP_2) | instid1(VALU_DEP_4)
	v_mul_lo_u32 v9, v4, s24
	v_mul_lo_u32 v4, v4, s25
	v_sub_nc_u32_e32 v3, v3, v7
	v_mul_lo_u32 v10, v2, s29
	s_delay_alu instid0(VALU_DEP_2) | instskip(SKIP_1) | instid1(VALU_DEP_3)
	v_mul_lo_u32 v7, v3, s22
	v_mul_lo_u32 v3, v3, s23
	v_sub_nc_u32_e32 v5, v5, v10
	s_delay_alu instid0(VALU_DEP_3) | instskip(NEXT) | instid1(VALU_DEP_2)
	v_add3_u32 v6, v6, v22, v7
	v_mul_lo_u32 v10, v5, s26
	v_mul_lo_u32 v5, v5, s27
	v_add3_u32 v3, v8, v23, v3
	s_delay_alu instid0(VALU_DEP_3) | instskip(NEXT) | instid1(VALU_DEP_2)
	v_add3_u32 v22, v9, v6, v10
	v_add3_u32 v23, v4, v3, v5
	s_cbranch_scc1 .LBB71_59
; %bb.60:
	s_and_b32 s5, s5, 3
	s_delay_alu instid0(SALU_CYCLE_1)
	s_cmp_eq_u32 s5, 0
	s_cbranch_scc0 .LBB71_63
	s_branch .LBB71_65
.LBB71_61:
	s_mov_b32 s4, -1
                                        ; implicit-def: $vgpr22
                                        ; implicit-def: $vgpr23
	s_branch .LBB71_65
.LBB71_62:
	v_dual_mov_b32 v2, v1 :: v_dual_mov_b32 v23, 0
	s_and_b32 s5, s5, 3
	s_delay_alu instid0(SALU_CYCLE_1)
	s_cmp_eq_u32 s5, 0
	s_cbranch_scc1 .LBB71_65
.LBB71_63:
	s_lshl_b32 s0, s6, 3
	s_mul_i32 s2, s6, 12
	s_add_u32 s0, s0, s10
	s_addc_u32 s1, 0, s11
	s_add_u32 s0, s0, 0xc4
	s_addc_u32 s1, s1, 0
	;; [unrolled: 2-line block ×3, first 2 shown]
	.p2align	6
.LBB71_64:                              ; =>This Inner Loop Header: Depth=1
	s_clause 0x1
	s_load_b64 s[6:7], s[2:3], 0x4
	s_load_b32 s8, s[2:3], 0xc
	s_waitcnt lgkmcnt(0)
	s_load_b64 s[12:13], s[0:1], 0x0
	s_add_u32 s2, s2, 12
	s_addc_u32 s3, s3, 0
	s_add_u32 s0, s0, 8
	s_addc_u32 s1, s1, 0
	s_add_i32 s5, s5, -1
	s_delay_alu instid0(SALU_CYCLE_1) | instskip(SKIP_1) | instid1(VALU_DEP_1)
	s_cmp_lg_u32 s5, 0
	v_mul_hi_u32 v3, s7, v2
	v_add_nc_u32_e32 v3, v2, v3
	s_delay_alu instid0(VALU_DEP_1) | instskip(NEXT) | instid1(VALU_DEP_1)
	v_lshrrev_b32_e32 v6, s8, v3
	v_mul_lo_u32 v3, v6, s6
	s_delay_alu instid0(VALU_DEP_1) | instskip(SKIP_1) | instid1(VALU_DEP_1)
	v_sub_nc_u32_e32 v2, v2, v3
	s_waitcnt lgkmcnt(0)
	v_mad_u64_u32 v[3:4], null, v2, s12, v[22:23]
	v_mad_u64_u32 v[4:5], null, v2, s13, v[23:24]
	v_mov_b32_e32 v2, v6
	s_delay_alu instid0(VALU_DEP_2)
	v_dual_mov_b32 v22, v3 :: v_dual_mov_b32 v23, v4
	s_cbranch_scc1 .LBB71_64
.LBB71_65:
	s_and_not1_b32 vcc_lo, exec_lo, s4
	s_cbranch_vccnz .LBB71_68
; %bb.66:
	s_clause 0x1
	s_load_b128 s[0:3], s[10:11], 0x4
	s_load_b64 s[4:5], s[10:11], 0xc4
	s_cmp_lt_u32 s9, 2
	s_waitcnt lgkmcnt(0)
	v_mul_hi_u32 v2, s1, v1
	s_delay_alu instid0(VALU_DEP_1) | instskip(NEXT) | instid1(VALU_DEP_1)
	v_add_nc_u32_e32 v2, v1, v2
	v_lshrrev_b32_e32 v2, s2, v2
	s_delay_alu instid0(VALU_DEP_1) | instskip(NEXT) | instid1(VALU_DEP_1)
	v_mul_lo_u32 v3, v2, s0
	v_sub_nc_u32_e32 v1, v1, v3
	s_delay_alu instid0(VALU_DEP_1)
	v_mul_lo_u32 v22, v1, s4
	v_mul_lo_u32 v23, v1, s5
	s_cbranch_scc1 .LBB71_68
; %bb.67:
	s_clause 0x1
	s_load_b128 s[0:3], s[10:11], 0x10
	s_load_b64 s[4:5], s[10:11], 0xcc
	s_waitcnt lgkmcnt(0)
	v_mul_hi_u32 v1, s1, v2
	s_delay_alu instid0(VALU_DEP_1) | instskip(NEXT) | instid1(VALU_DEP_1)
	v_add_nc_u32_e32 v1, v2, v1
	v_lshrrev_b32_e32 v1, s2, v1
	s_delay_alu instid0(VALU_DEP_1) | instskip(NEXT) | instid1(VALU_DEP_1)
	v_mul_lo_u32 v1, v1, s0
	v_sub_nc_u32_e32 v4, v2, v1
	s_delay_alu instid0(VALU_DEP_1) | instskip(SKIP_1) | instid1(VALU_DEP_1)
	v_mad_u64_u32 v[1:2], null, v4, s4, v[22:23]
	v_mad_u64_u32 v[2:3], null, v4, s5, v[23:24]
	v_dual_mov_b32 v22, v1 :: v_dual_mov_b32 v23, v2
.LBB71_68:
	s_waitcnt lgkmcnt(0)
	s_load_b128 s[12:15], s[10:11], 0x148
	s_getpc_b64 s[10:11]
	s_add_u32 s10, s10, _ZN16c10_complex_math3expIfEEN3c107complexIT_EERKS4_@rel32@lo+4
	s_addc_u32 s11, s11, _ZN16c10_complex_math3expIfEEN3c107complexIT_EERKS4_@rel32@hi+12
	s_waitcnt lgkmcnt(0)
	global_load_b32 v0, v0, s[14:15]
	s_waitcnt vmcnt(0)
	v_lshrrev_b32_e32 v1, 16, v0
	v_cvt_f32_f16_e32 v0, v0
	s_delay_alu instid0(VALU_DEP_2) | instskip(SKIP_4) | instid1(VALU_DEP_2)
	v_cvt_f32_f16_e32 v1, v1
	s_swappc_b64 s[30:31], s[10:11]
	global_load_b32 v2, v19, s[14:15]
	v_cvt_f16_f32_e32 v1, v1
	v_cvt_f16_f32_e32 v0, v0
	v_lshlrev_b32_e32 v4, 16, v1
	s_delay_alu instid0(VALU_DEP_2) | instskip(NEXT) | instid1(VALU_DEP_1)
	v_and_b32_e32 v5, 0xffff, v0
	v_or_b32_e32 v19, v4, v5
	s_waitcnt vmcnt(0)
	v_lshrrev_b32_e32 v3, 16, v2
	v_cvt_f32_f16_e32 v0, v2
	s_delay_alu instid0(VALU_DEP_2) | instskip(SKIP_4) | instid1(VALU_DEP_2)
	v_cvt_f32_f16_e32 v1, v3
	s_swappc_b64 s[30:31], s[10:11]
	global_load_b32 v2, v21, s[14:15]
	v_cvt_f16_f32_e32 v1, v1
	v_cvt_f16_f32_e32 v0, v0
	v_lshlrev_b32_e32 v4, 16, v1
	s_delay_alu instid0(VALU_DEP_2) | instskip(NEXT) | instid1(VALU_DEP_1)
	v_and_b32_e32 v5, 0xffff, v0
	v_or_b32_e32 v21, v4, v5
	s_waitcnt vmcnt(0)
	v_lshrrev_b32_e32 v3, 16, v2
	v_cvt_f32_f16_e32 v0, v2
	s_delay_alu instid0(VALU_DEP_2) | instskip(SKIP_4) | instid1(VALU_DEP_2)
	v_cvt_f32_f16_e32 v1, v3
	s_swappc_b64 s[30:31], s[10:11]
	global_load_b32 v2, v23, s[14:15]
	v_cvt_f16_f32_e32 v1, v1
	v_cvt_f16_f32_e32 v0, v0
	v_lshlrev_b32_e32 v4, 16, v1
	s_delay_alu instid0(VALU_DEP_2) | instskip(NEXT) | instid1(VALU_DEP_1)
	v_and_b32_e32 v5, 0xffff, v0
	v_or_b32_e32 v23, v4, v5
	s_waitcnt vmcnt(0)
	v_lshrrev_b32_e32 v3, 16, v2
	v_cvt_f32_f16_e32 v0, v2
	s_delay_alu instid0(VALU_DEP_2) | instskip(SKIP_1) | instid1(VALU_DEP_1)
	v_cvt_f32_f16_e32 v1, v3
	s_swappc_b64 s[30:31], s[10:11]
	v_cvt_f16_f32_e32 v1, v1
	s_delay_alu instid0(VALU_DEP_3) | instskip(NEXT) | instid1(VALU_DEP_2)
	v_cvt_f16_f32_e32 v0, v0
	v_lshlrev_b32_e32 v1, 16, v1
	s_delay_alu instid0(VALU_DEP_2) | instskip(NEXT) | instid1(VALU_DEP_1)
	v_and_b32_e32 v0, 0xffff, v0
	v_or_b32_e32 v0, v1, v0
	s_clause 0x3
	global_store_b32 v17, v19, s[12:13]
	global_store_b32 v18, v21, s[12:13]
	;; [unrolled: 1-line block ×4, first 2 shown]
	s_endpgm
.LBB71_69:
	v_dual_mov_b32 v1, v20 :: v_dual_mov_b32 v0, 0
.LBB71_70:
	s_and_b32 s6, s6, 3
	s_delay_alu instid0(SALU_CYCLE_1)
	s_cmp_eq_u32 s6, 0
	s_cbranch_scc1 .LBB71_73
; %bb.71:
	s_lshl_b32 s0, s5, 3
	s_mul_i32 s2, s5, 12
	s_add_u32 s0, s0, s10
	s_addc_u32 s1, s11, 0
	s_add_u32 s0, s0, 0xc4
	s_addc_u32 s1, s1, 0
	;; [unrolled: 2-line block ×3, first 2 shown]
	.p2align	6
.LBB71_72:                              ; =>This Inner Loop Header: Depth=1
	s_clause 0x1
	s_load_b64 s[30:31], s[2:3], 0x4
	s_load_b32 s5, s[2:3], 0xc
	s_load_b64 s[40:41], s[0:1], 0x0
	s_add_u32 s2, s2, 12
	s_addc_u32 s3, s3, 0
	s_add_u32 s0, s0, 8
	s_addc_u32 s1, s1, 0
	s_add_i32 s6, s6, -1
	s_delay_alu instid0(SALU_CYCLE_1) | instskip(SKIP_2) | instid1(VALU_DEP_1)
	s_cmp_lg_u32 s6, 0
	s_waitcnt lgkmcnt(0)
	v_mul_hi_u32 v2, s31, v1
	v_add_nc_u32_e32 v2, v1, v2
	s_delay_alu instid0(VALU_DEP_1) | instskip(NEXT) | instid1(VALU_DEP_1)
	v_lshrrev_b32_e32 v5, s5, v2
	v_mul_lo_u32 v2, v5, s30
	s_delay_alu instid0(VALU_DEP_1) | instskip(NEXT) | instid1(VALU_DEP_1)
	v_sub_nc_u32_e32 v1, v1, v2
	v_mad_u64_u32 v[2:3], null, v1, s40, v[17:18]
	v_mad_u64_u32 v[3:4], null, v1, s41, v[0:1]
	v_mov_b32_e32 v1, v5
	s_delay_alu instid0(VALU_DEP_2)
	v_dual_mov_b32 v17, v2 :: v_dual_mov_b32 v0, v3
	s_cbranch_scc1 .LBB71_72
.LBB71_73:
	s_and_not1_b32 vcc_lo, exec_lo, s4
	s_cbranch_vccnz .LBB71_76
; %bb.74:
	s_waitcnt lgkmcnt(0)
	v_mul_hi_u32 v0, s21, v20
	s_and_not1_b32 vcc_lo, exec_lo, s34
	s_delay_alu instid0(VALU_DEP_1) | instskip(NEXT) | instid1(VALU_DEP_1)
	v_add_nc_u32_e32 v0, v20, v0
	v_lshrrev_b32_e32 v1, s22, v0
	s_delay_alu instid0(VALU_DEP_1) | instskip(NEXT) | instid1(VALU_DEP_1)
	v_mul_lo_u32 v0, v1, s20
	v_sub_nc_u32_e32 v0, v20, v0
	s_delay_alu instid0(VALU_DEP_1)
	v_mul_lo_u32 v17, v0, s16
	v_mul_lo_u32 v0, v0, s17
	s_cbranch_vccnz .LBB71_76
; %bb.75:
	v_mul_hi_u32 v2, s24, v1
	s_delay_alu instid0(VALU_DEP_1) | instskip(NEXT) | instid1(VALU_DEP_1)
	v_add_nc_u32_e32 v2, v1, v2
	v_lshrrev_b32_e32 v2, s25, v2
	s_delay_alu instid0(VALU_DEP_1) | instskip(NEXT) | instid1(VALU_DEP_1)
	v_mul_lo_u32 v2, v2, s23
	v_sub_nc_u32_e32 v4, v1, v2
	s_delay_alu instid0(VALU_DEP_1) | instskip(NEXT) | instid1(VALU_DEP_1)
	v_mad_u64_u32 v[1:2], null, v4, s18, v[17:18]
	v_mad_u64_u32 v[2:3], null, v4, s19, v[0:1]
	s_delay_alu instid0(VALU_DEP_1)
	v_dual_mov_b32 v17, v1 :: v_dual_mov_b32 v0, v2
.LBB71_76:
	s_waitcnt lgkmcnt(0)
	global_load_b32 v0, v0, s[14:15]
	s_getpc_b64 s[0:1]
	s_add_u32 s0, s0, _ZN16c10_complex_math3expIfEEN3c107complexIT_EERKS4_@rel32@lo+4
	s_addc_u32 s1, s1, _ZN16c10_complex_math3expIfEEN3c107complexIT_EERKS4_@rel32@hi+12
	s_waitcnt vmcnt(0)
	v_lshrrev_b32_e32 v1, 16, v0
	v_cvt_f32_f16_e32 v0, v0
	s_delay_alu instid0(VALU_DEP_2) | instskip(SKIP_1) | instid1(VALU_DEP_1)
	v_cvt_f32_f16_e32 v1, v1
	s_swappc_b64 s[30:31], s[0:1]
	v_cvt_f16_f32_e32 v1, v1
	s_delay_alu instid0(VALU_DEP_3) | instskip(SKIP_1) | instid1(VALU_DEP_3)
	v_cvt_f16_f32_e32 v0, v0
	v_add_nc_u32_e32 v20, 0x80, v20
	v_lshlrev_b32_e32 v1, 16, v1
	s_delay_alu instid0(VALU_DEP_3) | instskip(NEXT) | instid1(VALU_DEP_1)
	v_and_b32_e32 v0, 0xffff, v0
	v_or_b32_e32 v0, v1, v0
	global_store_b32 v17, v0, s[12:13]
	s_or_b32 exec_lo, exec_lo, s38
	s_delay_alu instid0(SALU_CYCLE_1)
	s_mov_b32 s38, exec_lo
	v_cmpx_gt_i32_e64 s35, v20
	s_cbranch_execnz .LBB71_15
.LBB71_77:
	s_or_b32 exec_lo, exec_lo, s38
	s_delay_alu instid0(SALU_CYCLE_1)
	s_mov_b32 s38, exec_lo
	v_cmpx_gt_i32_e64 s35, v20
	s_cbranch_execz .LBB71_92
.LBB71_78:
	s_and_not1_b32 vcc_lo, exec_lo, s29
	s_cbranch_vccnz .LBB71_83
; %bb.79:
	v_dual_mov_b32 v17, 0 :: v_dual_mov_b32 v0, 0
	s_and_not1_b32 vcc_lo, exec_lo, s37
	s_mov_b32 s4, 0
	s_cbranch_vccnz .LBB71_99
; %bb.80:
	v_mov_b32_e32 v17, 0
	s_add_i32 s6, s36, 1
	s_cmp_eq_u32 s28, 2
	s_mov_b32 s5, 0
	s_cbranch_scc1 .LBB71_95
; %bb.81:
	v_dual_mov_b32 v0, 0 :: v_dual_mov_b32 v17, 0
	v_mov_b32_e32 v1, v20
	s_and_b32 s5, s6, 28
	s_mov_b32 s7, 0
	s_mov_b64 s[0:1], s[26:27]
	s_mov_b64 s[2:3], s[10:11]
.LBB71_82:                              ; =>This Inner Loop Header: Depth=1
	s_clause 0x1
	s_load_b256 s[40:47], s[2:3], 0x4
	s_load_b128 s[56:59], s[2:3], 0x24
	s_load_b256 s[48:55], s[0:1], 0x0
	s_add_u32 s2, s2, 48
	s_addc_u32 s3, s3, 0
	s_add_i32 s7, s7, 4
	s_add_u32 s0, s0, 32
	s_addc_u32 s1, s1, 0
	s_cmp_eq_u32 s5, s7
	s_waitcnt lgkmcnt(0)
	v_mul_hi_u32 v2, s41, v1
	s_delay_alu instid0(VALU_DEP_1) | instskip(NEXT) | instid1(VALU_DEP_1)
	v_add_nc_u32_e32 v2, v1, v2
	v_lshrrev_b32_e32 v2, s42, v2
	s_delay_alu instid0(VALU_DEP_1) | instskip(SKIP_1) | instid1(VALU_DEP_2)
	v_mul_hi_u32 v3, s44, v2
	v_mul_lo_u32 v5, v2, s40
	v_add_nc_u32_e32 v3, v2, v3
	s_delay_alu instid0(VALU_DEP_2) | instskip(NEXT) | instid1(VALU_DEP_2)
	v_sub_nc_u32_e32 v1, v1, v5
	v_lshrrev_b32_e32 v3, s45, v3
	s_delay_alu instid0(VALU_DEP_2) | instskip(SKIP_1) | instid1(VALU_DEP_3)
	v_mul_lo_u32 v5, v1, s48
	v_mul_lo_u32 v7, v1, s49
	v_mul_hi_u32 v4, s47, v3
	s_delay_alu instid0(VALU_DEP_1) | instskip(NEXT) | instid1(VALU_DEP_1)
	v_add_nc_u32_e32 v4, v3, v4
	v_lshrrev_b32_e32 v4, s56, v4
	s_delay_alu instid0(VALU_DEP_1) | instskip(SKIP_1) | instid1(VALU_DEP_2)
	v_mul_hi_u32 v6, s58, v4
	v_mul_lo_u32 v8, v4, s46
	v_add_nc_u32_e32 v1, v4, v6
	v_mul_lo_u32 v6, v3, s43
	s_delay_alu instid0(VALU_DEP_3) | instskip(NEXT) | instid1(VALU_DEP_3)
	v_sub_nc_u32_e32 v3, v3, v8
	v_lshrrev_b32_e32 v1, s59, v1
	s_delay_alu instid0(VALU_DEP_2) | instskip(SKIP_2) | instid1(VALU_DEP_4)
	v_mul_lo_u32 v8, v3, s52
	v_mul_lo_u32 v3, v3, s53
	v_sub_nc_u32_e32 v2, v2, v6
	v_mul_lo_u32 v9, v1, s57
	s_delay_alu instid0(VALU_DEP_2) | instskip(SKIP_1) | instid1(VALU_DEP_3)
	v_mul_lo_u32 v6, v2, s50
	v_mul_lo_u32 v2, v2, s51
	v_sub_nc_u32_e32 v4, v4, v9
	s_delay_alu instid0(VALU_DEP_3) | instskip(NEXT) | instid1(VALU_DEP_2)
	v_add3_u32 v5, v5, v17, v6
	v_mul_lo_u32 v9, v4, s54
	v_mul_lo_u32 v4, v4, s55
	v_add3_u32 v0, v7, v0, v2
	s_delay_alu instid0(VALU_DEP_3) | instskip(NEXT) | instid1(VALU_DEP_2)
	v_add3_u32 v17, v8, v5, v9
	v_add3_u32 v0, v3, v0, v4
	s_cbranch_scc0 .LBB71_82
	s_branch .LBB71_96
.LBB71_83:
	s_mov_b32 s4, -1
                                        ; implicit-def: $vgpr17
                                        ; implicit-def: $vgpr0
	s_branch .LBB71_99
.LBB71_84:
	v_dual_mov_b32 v1, v20 :: v_dual_mov_b32 v0, 0
.LBB71_85:
	s_and_b32 s6, s6, 3
	s_delay_alu instid0(SALU_CYCLE_1)
	s_cmp_eq_u32 s6, 0
	s_cbranch_scc1 .LBB71_88
; %bb.86:
	s_lshl_b32 s0, s5, 3
	s_mul_i32 s2, s5, 12
	s_add_u32 s0, s0, s10
	s_addc_u32 s1, s11, 0
	s_add_u32 s0, s0, 0xc4
	s_addc_u32 s1, s1, 0
	;; [unrolled: 2-line block ×3, first 2 shown]
	.p2align	6
.LBB71_87:                              ; =>This Inner Loop Header: Depth=1
	s_clause 0x1
	s_load_b64 s[30:31], s[2:3], 0x4
	s_load_b32 s5, s[2:3], 0xc
	s_load_b64 s[40:41], s[0:1], 0x0
	s_add_u32 s2, s2, 12
	s_addc_u32 s3, s3, 0
	s_add_u32 s0, s0, 8
	s_addc_u32 s1, s1, 0
	s_add_i32 s6, s6, -1
	s_delay_alu instid0(SALU_CYCLE_1) | instskip(SKIP_2) | instid1(VALU_DEP_1)
	s_cmp_lg_u32 s6, 0
	s_waitcnt lgkmcnt(0)
	v_mul_hi_u32 v2, s31, v1
	v_add_nc_u32_e32 v2, v1, v2
	s_delay_alu instid0(VALU_DEP_1) | instskip(NEXT) | instid1(VALU_DEP_1)
	v_lshrrev_b32_e32 v5, s5, v2
	v_mul_lo_u32 v2, v5, s30
	s_delay_alu instid0(VALU_DEP_1) | instskip(NEXT) | instid1(VALU_DEP_1)
	v_sub_nc_u32_e32 v1, v1, v2
	v_mad_u64_u32 v[2:3], null, v1, s40, v[17:18]
	v_mad_u64_u32 v[3:4], null, v1, s41, v[0:1]
	v_mov_b32_e32 v1, v5
	s_delay_alu instid0(VALU_DEP_2)
	v_dual_mov_b32 v17, v2 :: v_dual_mov_b32 v0, v3
	s_cbranch_scc1 .LBB71_87
.LBB71_88:
	s_and_not1_b32 vcc_lo, exec_lo, s4
	s_cbranch_vccnz .LBB71_91
; %bb.89:
	s_waitcnt lgkmcnt(0)
	v_mul_hi_u32 v0, s21, v20
	s_and_not1_b32 vcc_lo, exec_lo, s34
	s_delay_alu instid0(VALU_DEP_1) | instskip(NEXT) | instid1(VALU_DEP_1)
	v_add_nc_u32_e32 v0, v20, v0
	v_lshrrev_b32_e32 v1, s22, v0
	s_delay_alu instid0(VALU_DEP_1) | instskip(NEXT) | instid1(VALU_DEP_1)
	v_mul_lo_u32 v0, v1, s20
	v_sub_nc_u32_e32 v0, v20, v0
	s_delay_alu instid0(VALU_DEP_1)
	v_mul_lo_u32 v17, v0, s16
	v_mul_lo_u32 v0, v0, s17
	s_cbranch_vccnz .LBB71_91
; %bb.90:
	v_mul_hi_u32 v2, s24, v1
	s_delay_alu instid0(VALU_DEP_1) | instskip(NEXT) | instid1(VALU_DEP_1)
	v_add_nc_u32_e32 v2, v1, v2
	v_lshrrev_b32_e32 v2, s25, v2
	s_delay_alu instid0(VALU_DEP_1) | instskip(NEXT) | instid1(VALU_DEP_1)
	v_mul_lo_u32 v2, v2, s23
	v_sub_nc_u32_e32 v4, v1, v2
	s_delay_alu instid0(VALU_DEP_1) | instskip(NEXT) | instid1(VALU_DEP_1)
	v_mad_u64_u32 v[1:2], null, v4, s18, v[17:18]
	v_mad_u64_u32 v[2:3], null, v4, s19, v[0:1]
	s_delay_alu instid0(VALU_DEP_1)
	v_dual_mov_b32 v17, v1 :: v_dual_mov_b32 v0, v2
.LBB71_91:
	s_waitcnt lgkmcnt(0)
	global_load_b32 v0, v0, s[14:15]
	s_getpc_b64 s[0:1]
	s_add_u32 s0, s0, _ZN16c10_complex_math3expIfEEN3c107complexIT_EERKS4_@rel32@lo+4
	s_addc_u32 s1, s1, _ZN16c10_complex_math3expIfEEN3c107complexIT_EERKS4_@rel32@hi+12
	s_waitcnt vmcnt(0)
	v_lshrrev_b32_e32 v1, 16, v0
	v_cvt_f32_f16_e32 v0, v0
	s_delay_alu instid0(VALU_DEP_2) | instskip(SKIP_1) | instid1(VALU_DEP_1)
	v_cvt_f32_f16_e32 v1, v1
	s_swappc_b64 s[30:31], s[0:1]
	v_cvt_f16_f32_e32 v1, v1
	s_delay_alu instid0(VALU_DEP_3) | instskip(SKIP_1) | instid1(VALU_DEP_3)
	v_cvt_f16_f32_e32 v0, v0
	v_add_nc_u32_e32 v20, 0x80, v20
	v_lshlrev_b32_e32 v1, 16, v1
	s_delay_alu instid0(VALU_DEP_3) | instskip(NEXT) | instid1(VALU_DEP_1)
	v_and_b32_e32 v0, 0xffff, v0
	v_or_b32_e32 v0, v1, v0
	global_store_b32 v17, v0, s[12:13]
	s_or_b32 exec_lo, exec_lo, s38
	s_delay_alu instid0(SALU_CYCLE_1)
	s_mov_b32 s38, exec_lo
	v_cmpx_gt_i32_e64 s35, v20
	s_cbranch_execnz .LBB71_78
.LBB71_92:
	s_or_b32 exec_lo, exec_lo, s38
	v_cmp_gt_i32_e32 vcc_lo, s35, v20
	s_and_saveexec_b32 s35, vcc_lo
	s_cbranch_execnz .LBB71_103
.LBB71_93:
	s_or_b32 exec_lo, exec_lo, s35
                                        ; implicit-def: $vgpr1
                                        ; implicit-def: $vgpr20
	s_and_not1_saveexec_b32 s0, s33
	s_cbranch_execnz .LBB71_8
.LBB71_94:
	s_endpgm
.LBB71_95:
	v_dual_mov_b32 v1, v20 :: v_dual_mov_b32 v0, 0
.LBB71_96:
	s_and_b32 s6, s6, 3
	s_delay_alu instid0(SALU_CYCLE_1)
	s_cmp_eq_u32 s6, 0
	s_cbranch_scc1 .LBB71_99
; %bb.97:
	s_lshl_b32 s0, s5, 3
	s_mul_i32 s2, s5, 12
	s_add_u32 s0, s0, s10
	s_addc_u32 s1, s11, 0
	s_add_u32 s0, s0, 0xc4
	s_addc_u32 s1, s1, 0
	;; [unrolled: 2-line block ×3, first 2 shown]
	.p2align	6
.LBB71_98:                              ; =>This Inner Loop Header: Depth=1
	s_clause 0x1
	s_load_b64 s[30:31], s[2:3], 0x4
	s_load_b32 s5, s[2:3], 0xc
	s_load_b64 s[40:41], s[0:1], 0x0
	s_add_u32 s2, s2, 12
	s_addc_u32 s3, s3, 0
	s_add_u32 s0, s0, 8
	s_addc_u32 s1, s1, 0
	s_add_i32 s6, s6, -1
	s_delay_alu instid0(SALU_CYCLE_1) | instskip(SKIP_2) | instid1(VALU_DEP_1)
	s_cmp_lg_u32 s6, 0
	s_waitcnt lgkmcnt(0)
	v_mul_hi_u32 v2, s31, v1
	v_add_nc_u32_e32 v2, v1, v2
	s_delay_alu instid0(VALU_DEP_1) | instskip(NEXT) | instid1(VALU_DEP_1)
	v_lshrrev_b32_e32 v5, s5, v2
	v_mul_lo_u32 v2, v5, s30
	s_delay_alu instid0(VALU_DEP_1) | instskip(NEXT) | instid1(VALU_DEP_1)
	v_sub_nc_u32_e32 v1, v1, v2
	v_mad_u64_u32 v[2:3], null, v1, s40, v[17:18]
	v_mad_u64_u32 v[3:4], null, v1, s41, v[0:1]
	v_mov_b32_e32 v1, v5
	s_delay_alu instid0(VALU_DEP_2)
	v_dual_mov_b32 v17, v2 :: v_dual_mov_b32 v0, v3
	s_cbranch_scc1 .LBB71_98
.LBB71_99:
	s_and_not1_b32 vcc_lo, exec_lo, s4
	s_cbranch_vccnz .LBB71_102
; %bb.100:
	s_waitcnt lgkmcnt(0)
	v_mul_hi_u32 v0, s21, v20
	s_and_not1_b32 vcc_lo, exec_lo, s34
	s_delay_alu instid0(VALU_DEP_1) | instskip(NEXT) | instid1(VALU_DEP_1)
	v_add_nc_u32_e32 v0, v20, v0
	v_lshrrev_b32_e32 v1, s22, v0
	s_delay_alu instid0(VALU_DEP_1) | instskip(NEXT) | instid1(VALU_DEP_1)
	v_mul_lo_u32 v0, v1, s20
	v_sub_nc_u32_e32 v0, v20, v0
	s_delay_alu instid0(VALU_DEP_1)
	v_mul_lo_u32 v17, v0, s16
	v_mul_lo_u32 v0, v0, s17
	s_cbranch_vccnz .LBB71_102
; %bb.101:
	v_mul_hi_u32 v2, s24, v1
	s_delay_alu instid0(VALU_DEP_1) | instskip(NEXT) | instid1(VALU_DEP_1)
	v_add_nc_u32_e32 v2, v1, v2
	v_lshrrev_b32_e32 v2, s25, v2
	s_delay_alu instid0(VALU_DEP_1) | instskip(NEXT) | instid1(VALU_DEP_1)
	v_mul_lo_u32 v2, v2, s23
	v_sub_nc_u32_e32 v4, v1, v2
	s_delay_alu instid0(VALU_DEP_1) | instskip(NEXT) | instid1(VALU_DEP_1)
	v_mad_u64_u32 v[1:2], null, v4, s18, v[17:18]
	v_mad_u64_u32 v[2:3], null, v4, s19, v[0:1]
	s_delay_alu instid0(VALU_DEP_1)
	v_dual_mov_b32 v17, v1 :: v_dual_mov_b32 v0, v2
.LBB71_102:
	s_waitcnt lgkmcnt(0)
	global_load_b32 v0, v0, s[14:15]
	s_getpc_b64 s[0:1]
	s_add_u32 s0, s0, _ZN16c10_complex_math3expIfEEN3c107complexIT_EERKS4_@rel32@lo+4
	s_addc_u32 s1, s1, _ZN16c10_complex_math3expIfEEN3c107complexIT_EERKS4_@rel32@hi+12
	s_waitcnt vmcnt(0)
	v_lshrrev_b32_e32 v1, 16, v0
	v_cvt_f32_f16_e32 v0, v0
	s_delay_alu instid0(VALU_DEP_2) | instskip(SKIP_1) | instid1(VALU_DEP_1)
	v_cvt_f32_f16_e32 v1, v1
	s_swappc_b64 s[30:31], s[0:1]
	v_cvt_f16_f32_e32 v1, v1
	s_delay_alu instid0(VALU_DEP_3) | instskip(SKIP_1) | instid1(VALU_DEP_3)
	v_cvt_f16_f32_e32 v0, v0
	v_add_nc_u32_e32 v20, 0x80, v20
	v_lshlrev_b32_e32 v1, 16, v1
	s_delay_alu instid0(VALU_DEP_3) | instskip(NEXT) | instid1(VALU_DEP_1)
	v_and_b32_e32 v0, 0xffff, v0
	v_or_b32_e32 v0, v1, v0
	global_store_b32 v17, v0, s[12:13]
	s_or_b32 exec_lo, exec_lo, s38
	v_cmp_gt_i32_e32 vcc_lo, s35, v20
	s_and_saveexec_b32 s35, vcc_lo
	s_cbranch_execz .LBB71_93
.LBB71_103:
	s_and_not1_b32 vcc_lo, exec_lo, s29
	s_cbranch_vccnz .LBB71_108
; %bb.104:
	v_dual_mov_b32 v17, 0 :: v_dual_mov_b32 v0, 0
	s_and_not1_b32 vcc_lo, exec_lo, s37
	s_mov_b32 s4, 0
	s_cbranch_vccnz .LBB71_113
; %bb.105:
	v_mov_b32_e32 v17, 0
	s_add_i32 s36, s36, 1
	s_cmp_eq_u32 s28, 2
	s_mov_b32 s2, 0
	s_cbranch_scc1 .LBB71_109
; %bb.106:
	v_dual_mov_b32 v0, 0 :: v_dual_mov_b32 v17, 0
	v_mov_b32_e32 v1, v20
	s_and_b32 s2, s36, 28
	s_mov_b32 s3, 0
	s_mov_b64 s[0:1], s[10:11]
.LBB71_107:                             ; =>This Inner Loop Header: Depth=1
	s_clause 0x1
	s_load_b256 s[40:47], s[0:1], 0x4
	s_load_b128 s[56:59], s[0:1], 0x24
	s_load_b256 s[48:55], s[26:27], 0x0
	s_add_u32 s0, s0, 48
	s_addc_u32 s1, s1, 0
	s_add_i32 s3, s3, 4
	s_add_u32 s26, s26, 32
	s_addc_u32 s27, s27, 0
	s_cmp_eq_u32 s2, s3
	s_waitcnt lgkmcnt(0)
	v_mul_hi_u32 v2, s41, v1
	s_delay_alu instid0(VALU_DEP_1) | instskip(NEXT) | instid1(VALU_DEP_1)
	v_add_nc_u32_e32 v2, v1, v2
	v_lshrrev_b32_e32 v2, s42, v2
	s_delay_alu instid0(VALU_DEP_1) | instskip(SKIP_1) | instid1(VALU_DEP_2)
	v_mul_hi_u32 v3, s44, v2
	v_mul_lo_u32 v5, v2, s40
	v_add_nc_u32_e32 v3, v2, v3
	s_delay_alu instid0(VALU_DEP_2) | instskip(NEXT) | instid1(VALU_DEP_2)
	v_sub_nc_u32_e32 v1, v1, v5
	v_lshrrev_b32_e32 v3, s45, v3
	s_delay_alu instid0(VALU_DEP_2) | instskip(SKIP_1) | instid1(VALU_DEP_3)
	v_mul_lo_u32 v5, v1, s48
	v_mul_lo_u32 v7, v1, s49
	v_mul_hi_u32 v4, s47, v3
	s_delay_alu instid0(VALU_DEP_1) | instskip(NEXT) | instid1(VALU_DEP_1)
	v_add_nc_u32_e32 v4, v3, v4
	v_lshrrev_b32_e32 v4, s56, v4
	s_delay_alu instid0(VALU_DEP_1) | instskip(SKIP_1) | instid1(VALU_DEP_2)
	v_mul_hi_u32 v6, s58, v4
	v_mul_lo_u32 v8, v4, s46
	v_add_nc_u32_e32 v1, v4, v6
	v_mul_lo_u32 v6, v3, s43
	s_delay_alu instid0(VALU_DEP_3) | instskip(NEXT) | instid1(VALU_DEP_3)
	v_sub_nc_u32_e32 v3, v3, v8
	v_lshrrev_b32_e32 v1, s59, v1
	s_delay_alu instid0(VALU_DEP_2) | instskip(SKIP_2) | instid1(VALU_DEP_4)
	v_mul_lo_u32 v8, v3, s52
	v_mul_lo_u32 v3, v3, s53
	v_sub_nc_u32_e32 v2, v2, v6
	v_mul_lo_u32 v9, v1, s57
	s_delay_alu instid0(VALU_DEP_2) | instskip(SKIP_1) | instid1(VALU_DEP_3)
	v_mul_lo_u32 v6, v2, s50
	v_mul_lo_u32 v2, v2, s51
	v_sub_nc_u32_e32 v4, v4, v9
	s_delay_alu instid0(VALU_DEP_3) | instskip(NEXT) | instid1(VALU_DEP_2)
	v_add3_u32 v5, v5, v17, v6
	v_mul_lo_u32 v9, v4, s54
	v_mul_lo_u32 v4, v4, s55
	v_add3_u32 v0, v7, v0, v2
	s_delay_alu instid0(VALU_DEP_3) | instskip(NEXT) | instid1(VALU_DEP_2)
	v_add3_u32 v17, v8, v5, v9
	v_add3_u32 v0, v3, v0, v4
	s_cbranch_scc0 .LBB71_107
	s_branch .LBB71_110
.LBB71_108:
	s_mov_b32 s4, -1
                                        ; implicit-def: $vgpr17
                                        ; implicit-def: $vgpr0
	s_branch .LBB71_113
.LBB71_109:
	v_dual_mov_b32 v1, v20 :: v_dual_mov_b32 v0, 0
.LBB71_110:
	s_and_b32 s5, s36, 3
	s_delay_alu instid0(SALU_CYCLE_1)
	s_cmp_eq_u32 s5, 0
	s_cbranch_scc1 .LBB71_113
; %bb.111:
	s_lshl_b32 s0, s2, 3
	s_mul_i32 s2, s2, 12
	s_add_u32 s0, s0, s10
	s_addc_u32 s1, s11, 0
	s_add_u32 s0, s0, 0xc4
	s_addc_u32 s1, s1, 0
	;; [unrolled: 2-line block ×3, first 2 shown]
	.p2align	6
.LBB71_112:                             ; =>This Inner Loop Header: Depth=1
	s_clause 0x1
	s_load_b64 s[6:7], s[2:3], 0x4
	s_load_b32 s8, s[2:3], 0xc
	s_load_b64 s[26:27], s[0:1], 0x0
	s_add_u32 s2, s2, 12
	s_addc_u32 s3, s3, 0
	s_add_u32 s0, s0, 8
	s_addc_u32 s1, s1, 0
	s_add_i32 s5, s5, -1
	s_delay_alu instid0(SALU_CYCLE_1) | instskip(SKIP_2) | instid1(VALU_DEP_1)
	s_cmp_lg_u32 s5, 0
	s_waitcnt lgkmcnt(0)
	v_mul_hi_u32 v2, s7, v1
	v_add_nc_u32_e32 v2, v1, v2
	s_delay_alu instid0(VALU_DEP_1) | instskip(NEXT) | instid1(VALU_DEP_1)
	v_lshrrev_b32_e32 v5, s8, v2
	v_mul_lo_u32 v2, v5, s6
	s_delay_alu instid0(VALU_DEP_1) | instskip(NEXT) | instid1(VALU_DEP_1)
	v_sub_nc_u32_e32 v1, v1, v2
	v_mad_u64_u32 v[2:3], null, v1, s26, v[17:18]
	v_mad_u64_u32 v[3:4], null, v1, s27, v[0:1]
	v_mov_b32_e32 v1, v5
	s_delay_alu instid0(VALU_DEP_2)
	v_dual_mov_b32 v17, v2 :: v_dual_mov_b32 v0, v3
	s_cbranch_scc1 .LBB71_112
.LBB71_113:
	s_and_not1_b32 vcc_lo, exec_lo, s4
	s_cbranch_vccnz .LBB71_116
; %bb.114:
	s_waitcnt lgkmcnt(0)
	v_mul_hi_u32 v0, s21, v20
	s_and_not1_b32 vcc_lo, exec_lo, s34
	s_delay_alu instid0(VALU_DEP_1) | instskip(NEXT) | instid1(VALU_DEP_1)
	v_add_nc_u32_e32 v0, v20, v0
	v_lshrrev_b32_e32 v1, s22, v0
	s_delay_alu instid0(VALU_DEP_1) | instskip(NEXT) | instid1(VALU_DEP_1)
	v_mul_lo_u32 v0, v1, s20
	v_sub_nc_u32_e32 v0, v20, v0
	s_delay_alu instid0(VALU_DEP_1)
	v_mul_lo_u32 v17, v0, s16
	v_mul_lo_u32 v0, v0, s17
	s_cbranch_vccnz .LBB71_116
; %bb.115:
	v_mul_hi_u32 v2, s24, v1
	s_delay_alu instid0(VALU_DEP_1) | instskip(NEXT) | instid1(VALU_DEP_1)
	v_add_nc_u32_e32 v2, v1, v2
	v_lshrrev_b32_e32 v2, s25, v2
	s_delay_alu instid0(VALU_DEP_1) | instskip(NEXT) | instid1(VALU_DEP_1)
	v_mul_lo_u32 v2, v2, s23
	v_sub_nc_u32_e32 v4, v1, v2
	s_delay_alu instid0(VALU_DEP_1) | instskip(NEXT) | instid1(VALU_DEP_1)
	v_mad_u64_u32 v[1:2], null, v4, s18, v[17:18]
	v_mad_u64_u32 v[2:3], null, v4, s19, v[0:1]
	s_delay_alu instid0(VALU_DEP_1)
	v_dual_mov_b32 v17, v1 :: v_dual_mov_b32 v0, v2
.LBB71_116:
	s_waitcnt lgkmcnt(0)
	global_load_b32 v0, v0, s[14:15]
	s_getpc_b64 s[0:1]
	s_add_u32 s0, s0, _ZN16c10_complex_math3expIfEEN3c107complexIT_EERKS4_@rel32@lo+4
	s_addc_u32 s1, s1, _ZN16c10_complex_math3expIfEEN3c107complexIT_EERKS4_@rel32@hi+12
	s_waitcnt vmcnt(0)
	v_lshrrev_b32_e32 v1, 16, v0
	v_cvt_f32_f16_e32 v0, v0
	s_delay_alu instid0(VALU_DEP_2) | instskip(SKIP_1) | instid1(VALU_DEP_1)
	v_cvt_f32_f16_e32 v1, v1
	s_swappc_b64 s[30:31], s[0:1]
	v_cvt_f16_f32_e32 v1, v1
	s_delay_alu instid0(VALU_DEP_3) | instskip(NEXT) | instid1(VALU_DEP_2)
	v_cvt_f16_f32_e32 v0, v0
	v_lshlrev_b32_e32 v1, 16, v1
	s_delay_alu instid0(VALU_DEP_2) | instskip(NEXT) | instid1(VALU_DEP_1)
	v_and_b32_e32 v0, 0xffff, v0
	v_or_b32_e32 v0, v1, v0
	global_store_b32 v17, v0, s[12:13]
	s_or_b32 exec_lo, exec_lo, s35
                                        ; implicit-def: $vgpr1
                                        ; implicit-def: $vgpr20
	s_and_not1_saveexec_b32 s0, s33
	s_cbranch_execz .LBB71_94
	s_branch .LBB71_8
	.section	.rodata,"a",@progbits
	.p2align	6, 0x0
	.amdhsa_kernel _ZN2at6native32elementwise_kernel_manual_unrollILi128ELi4EZNS0_22gpu_kernel_impl_nocastIZZZNS0_15exp_kernel_cudaERNS_18TensorIteratorBaseEENKUlvE_clEvENKUlvE1_clEvEUlN3c107complexINS7_4HalfEEEE_EEvS4_RKT_EUlibE_EEviT1_
		.amdhsa_group_segment_fixed_size 0
		.amdhsa_private_segment_fixed_size 0
		.amdhsa_kernarg_size 360
		.amdhsa_user_sgpr_count 15
		.amdhsa_user_sgpr_dispatch_ptr 0
		.amdhsa_user_sgpr_queue_ptr 0
		.amdhsa_user_sgpr_kernarg_segment_ptr 1
		.amdhsa_user_sgpr_dispatch_id 0
		.amdhsa_user_sgpr_private_segment_size 0
		.amdhsa_wavefront_size32 1
		.amdhsa_uses_dynamic_stack 0
		.amdhsa_enable_private_segment 0
		.amdhsa_system_sgpr_workgroup_id_x 1
		.amdhsa_system_sgpr_workgroup_id_y 0
		.amdhsa_system_sgpr_workgroup_id_z 0
		.amdhsa_system_sgpr_workgroup_info 0
		.amdhsa_system_vgpr_workitem_id 0
		.amdhsa_next_free_vgpr 25
		.amdhsa_next_free_sgpr 60
		.amdhsa_reserve_vcc 1
		.amdhsa_float_round_mode_32 0
		.amdhsa_float_round_mode_16_64 0
		.amdhsa_float_denorm_mode_32 3
		.amdhsa_float_denorm_mode_16_64 3
		.amdhsa_dx10_clamp 1
		.amdhsa_ieee_mode 1
		.amdhsa_fp16_overflow 0
		.amdhsa_workgroup_processor_mode 1
		.amdhsa_memory_ordered 1
		.amdhsa_forward_progress 0
		.amdhsa_shared_vgpr_count 0
		.amdhsa_exception_fp_ieee_invalid_op 0
		.amdhsa_exception_fp_denorm_src 0
		.amdhsa_exception_fp_ieee_div_zero 0
		.amdhsa_exception_fp_ieee_overflow 0
		.amdhsa_exception_fp_ieee_underflow 0
		.amdhsa_exception_fp_ieee_inexact 0
		.amdhsa_exception_int_div_zero 0
	.end_amdhsa_kernel
	.section	.text._ZN2at6native32elementwise_kernel_manual_unrollILi128ELi4EZNS0_22gpu_kernel_impl_nocastIZZZNS0_15exp_kernel_cudaERNS_18TensorIteratorBaseEENKUlvE_clEvENKUlvE1_clEvEUlN3c107complexINS7_4HalfEEEE_EEvS4_RKT_EUlibE_EEviT1_,"axG",@progbits,_ZN2at6native32elementwise_kernel_manual_unrollILi128ELi4EZNS0_22gpu_kernel_impl_nocastIZZZNS0_15exp_kernel_cudaERNS_18TensorIteratorBaseEENKUlvE_clEvENKUlvE1_clEvEUlN3c107complexINS7_4HalfEEEE_EEvS4_RKT_EUlibE_EEviT1_,comdat
.Lfunc_end71:
	.size	_ZN2at6native32elementwise_kernel_manual_unrollILi128ELi4EZNS0_22gpu_kernel_impl_nocastIZZZNS0_15exp_kernel_cudaERNS_18TensorIteratorBaseEENKUlvE_clEvENKUlvE1_clEvEUlN3c107complexINS7_4HalfEEEE_EEvS4_RKT_EUlibE_EEviT1_, .Lfunc_end71-_ZN2at6native32elementwise_kernel_manual_unrollILi128ELi4EZNS0_22gpu_kernel_impl_nocastIZZZNS0_15exp_kernel_cudaERNS_18TensorIteratorBaseEENKUlvE_clEvENKUlvE1_clEvEUlN3c107complexINS7_4HalfEEEE_EEvS4_RKT_EUlibE_EEviT1_
                                        ; -- End function
	.section	.AMDGPU.csdata,"",@progbits
; Kernel info:
; codeLenInByte = 7280
; NumSgprs: 62
; NumVgprs: 25
; ScratchSize: 0
; MemoryBound: 0
; FloatMode: 240
; IeeeMode: 1
; LDSByteSize: 0 bytes/workgroup (compile time only)
; SGPRBlocks: 7
; VGPRBlocks: 3
; NumSGPRsForWavesPerEU: 62
; NumVGPRsForWavesPerEU: 25
; Occupancy: 16
; WaveLimiterHint : 1
; COMPUTE_PGM_RSRC2:SCRATCH_EN: 0
; COMPUTE_PGM_RSRC2:USER_SGPR: 15
; COMPUTE_PGM_RSRC2:TRAP_HANDLER: 0
; COMPUTE_PGM_RSRC2:TGID_X_EN: 1
; COMPUTE_PGM_RSRC2:TGID_Y_EN: 0
; COMPUTE_PGM_RSRC2:TGID_Z_EN: 0
; COMPUTE_PGM_RSRC2:TIDIG_COMP_CNT: 0
	.section	.text._ZN2at6native32elementwise_kernel_manual_unrollILi128ELi4EZNS0_15gpu_kernel_implIZZZNS0_15exp_kernel_cudaERNS_18TensorIteratorBaseEENKUlvE_clEvENKUlvE1_clEvEUlN3c107complexINS7_4HalfEEEE_EEvS4_RKT_EUlibE_EEviT1_,"axG",@progbits,_ZN2at6native32elementwise_kernel_manual_unrollILi128ELi4EZNS0_15gpu_kernel_implIZZZNS0_15exp_kernel_cudaERNS_18TensorIteratorBaseEENKUlvE_clEvENKUlvE1_clEvEUlN3c107complexINS7_4HalfEEEE_EEvS4_RKT_EUlibE_EEviT1_,comdat
	.globl	_ZN2at6native32elementwise_kernel_manual_unrollILi128ELi4EZNS0_15gpu_kernel_implIZZZNS0_15exp_kernel_cudaERNS_18TensorIteratorBaseEENKUlvE_clEvENKUlvE1_clEvEUlN3c107complexINS7_4HalfEEEE_EEvS4_RKT_EUlibE_EEviT1_ ; -- Begin function _ZN2at6native32elementwise_kernel_manual_unrollILi128ELi4EZNS0_15gpu_kernel_implIZZZNS0_15exp_kernel_cudaERNS_18TensorIteratorBaseEENKUlvE_clEvENKUlvE1_clEvEUlN3c107complexINS7_4HalfEEEE_EEvS4_RKT_EUlibE_EEviT1_
	.p2align	8
	.type	_ZN2at6native32elementwise_kernel_manual_unrollILi128ELi4EZNS0_15gpu_kernel_implIZZZNS0_15exp_kernel_cudaERNS_18TensorIteratorBaseEENKUlvE_clEvENKUlvE1_clEvEUlN3c107complexINS7_4HalfEEEE_EEvS4_RKT_EUlibE_EEviT1_,@function
_ZN2at6native32elementwise_kernel_manual_unrollILi128ELi4EZNS0_15gpu_kernel_implIZZZNS0_15exp_kernel_cudaERNS_18TensorIteratorBaseEENKUlvE_clEvENKUlvE1_clEvEUlN3c107complexINS7_4HalfEEEE_EEvS4_RKT_EUlibE_EEviT1_: ; @_ZN2at6native32elementwise_kernel_manual_unrollILi128ELi4EZNS0_15gpu_kernel_implIZZZNS0_15exp_kernel_cudaERNS_18TensorIteratorBaseEENKUlvE_clEvENKUlvE1_clEvEUlN3c107complexINS7_4HalfEEEE_EEvS4_RKT_EUlibE_EEviT1_
; %bb.0:
	v_mov_b32_e32 v1, 0
	s_clause 0x2
	s_load_b32 s14, s[0:1], 0x0
	s_load_b64 s[10:11], s[0:1], 0x18
	s_load_b128 s[16:19], s[0:1], 0x8
	v_lshl_or_b32 v18, s15, 9, v0
	s_mov_b32 s9, 0
	s_mov_b32 s13, 0
	global_load_u16 v17, v1, s[0:1] offset:33
	s_mov_b32 s32, 0
	v_or_b32_e32 v0, 0x180, v18
	s_mov_b32 s0, exec_lo
	s_waitcnt vmcnt(0)
	v_lshrrev_b16 v19, 8, v17
	s_waitcnt lgkmcnt(0)
	v_cmpx_le_i32_e64 s14, v0
	s_xor_b32 s12, exec_lo, s0
	s_cbranch_execz .LBB72_1052
; %bb.1:
	s_mov_b32 s1, -1
	s_mov_b32 s21, 0
	s_mov_b32 s15, 0
	s_mov_b32 s20, exec_lo
	v_cmpx_gt_i32_e64 s14, v18
	s_cbranch_execz .LBB72_256
; %bb.2:
	v_mul_lo_u32 v0, v18, s11
	v_cmp_gt_i16_e32 vcc_lo, 11, v19
	s_delay_alu instid0(VALU_DEP_2) | instskip(SKIP_1) | instid1(VALU_DEP_1)
	v_ashrrev_i32_e32 v1, 31, v0
	v_add_co_u32 v0, s0, s18, v0
	v_add_co_ci_u32_e64 v1, s0, s19, v1, s0
	s_cbranch_vccnz .LBB72_9
; %bb.3:
	v_cmp_lt_i16_e32 vcc_lo, 25, v19
	s_cbranch_vccz .LBB72_18
; %bb.4:
	v_cmp_lt_i16_e32 vcc_lo, 28, v19
	s_cbranch_vccz .LBB72_21
	;; [unrolled: 3-line block ×4, first 2 shown]
; %bb.7:
	v_cmp_eq_u16_e32 vcc_lo, 46, v19
	s_mov_b32 s1, 0
	s_cbranch_vccz .LBB72_26
; %bb.8:
	global_load_b32 v2, v[0:1], off
	s_mov_b32 s0, -1
	s_waitcnt vmcnt(0)
	v_lshlrev_b32_e32 v3, 16, v2
	v_and_b32_e32 v4, 0xffff0000, v2
	s_delay_alu instid0(VALU_DEP_2) | instskip(NEXT) | instid1(VALU_DEP_2)
	v_cvt_f16_f32_e32 v2, v3
	v_cvt_f16_f32_e32 v3, v4
	s_branch .LBB72_28
.LBB72_9:
	s_mov_b32 s0, 0
                                        ; implicit-def: $vgpr3
                                        ; implicit-def: $vgpr2
	s_and_b32 vcc_lo, exec_lo, s1
	s_cbranch_vccnz .LBB72_204
.LBB72_10:
	s_and_not1_b32 vcc_lo, exec_lo, s0
	s_cbranch_vccnz .LBB72_253
.LBB72_11:
	s_waitcnt vmcnt(0)
	s_delay_alu instid0(VALU_DEP_2) | instskip(NEXT) | instid1(VALU_DEP_2)
	v_cvt_f32_f16_e32 v0, v2
	v_cvt_f32_f16_e32 v1, v3
	s_getpc_b64 s[0:1]
	s_add_u32 s0, s0, _ZN16c10_complex_math3expIfEEN3c107complexIT_EERKS4_@rel32@lo+4
	s_addc_u32 s1, s1, _ZN16c10_complex_math3expIfEEN3c107complexIT_EERKS4_@rel32@hi+12
	s_delay_alu instid0(SALU_CYCLE_1) | instskip(SKIP_4) | instid1(VALU_DEP_3)
	s_swappc_b64 s[30:31], s[0:1]
	v_mul_lo_u32 v4, v18, s10
	v_cvt_f16_f32_e32 v5, v1
	v_cvt_f16_f32_e32 v2, v0
	v_and_b32_e32 v3, 0xff, v17
	v_lshlrev_b32_e32 v6, 16, v5
	s_delay_alu instid0(VALU_DEP_3) | instskip(SKIP_1) | instid1(VALU_DEP_4)
	v_and_b32_e32 v7, 0xffff, v2
	v_ashrrev_i32_e32 v1, 31, v4
	v_cmp_gt_i16_e32 vcc_lo, 11, v3
	v_add_co_u32 v0, s0, s16, v4
	s_delay_alu instid0(VALU_DEP_4) | instskip(NEXT) | instid1(VALU_DEP_4)
	v_or_b32_e32 v4, v6, v7
	v_add_co_ci_u32_e64 v1, s0, s17, v1, s0
	s_cbranch_vccnz .LBB72_19
; %bb.12:
	v_cmp_lt_i16_e32 vcc_lo, 25, v3
	s_cbranch_vccz .LBB72_22
; %bb.13:
	v_cmp_lt_i16_e32 vcc_lo, 28, v3
	s_cbranch_vccz .LBB72_24
	;; [unrolled: 3-line block ×4, first 2 shown]
; %bb.16:
	v_cmp_eq_u16_e32 vcc_lo, 46, v3
	s_mov_b32 s2, 0
	s_mov_b32 s0, -1
	s_mov_b32 s1, 0
	s_cbranch_vccz .LBB72_32
; %bb.17:
	v_cvt_f32_f16_e32 v6, v5
	v_cvt_f32_f16_e32 v7, v2
	v_cmp_o_f16_e32 vcc_lo, v5, v5
	s_mov_b32 s1, -1
	s_mov_b32 s0, 0
	v_bfe_u32 v8, v6, 16, 1
	v_bfe_u32 v9, v7, 16, 1
	s_delay_alu instid0(VALU_DEP_2) | instskip(NEXT) | instid1(VALU_DEP_2)
	v_add3_u32 v6, v6, v8, 0x7fff
	v_add3_u32 v7, v7, v9, 0x7fff
	s_delay_alu instid0(VALU_DEP_2) | instskip(NEXT) | instid1(VALU_DEP_2)
	v_and_b32_e32 v6, 0xffff0000, v6
	v_lshrrev_b32_e32 v7, 16, v7
	s_delay_alu instid0(VALU_DEP_2) | instskip(SKIP_1) | instid1(VALU_DEP_3)
	v_cndmask_b32_e32 v6, 0x7fc00000, v6, vcc_lo
	v_cmp_o_f16_e32 vcc_lo, v2, v2
	v_cndmask_b32_e32 v7, 0x7fc0, v7, vcc_lo
	s_delay_alu instid0(VALU_DEP_1)
	v_or_b32_e32 v6, v6, v7
	global_store_b32 v[0:1], v6, off
	s_branch .LBB72_32
.LBB72_18:
	s_mov_b32 s0, 0
                                        ; implicit-def: $vgpr3
                                        ; implicit-def: $vgpr2
	s_and_b32 vcc_lo, exec_lo, s1
	s_cbranch_vccnz .LBB72_170
	s_branch .LBB72_203
.LBB72_19:
	s_mov_b32 s0, 0
	s_mov_b32 s1, 0
	s_cbranch_execnz .LBB72_101
.LBB72_20:
	s_and_not1_b32 vcc_lo, exec_lo, s1
	s_cbranch_vccnz .LBB72_254
	s_branch .LBB72_139
.LBB72_21:
	s_mov_b32 s0, 0
                                        ; implicit-def: $vgpr3
                                        ; implicit-def: $vgpr2
	s_branch .LBB72_149
.LBB72_22:
	s_mov_b32 s2, -1
	s_mov_b32 s0, 0
	s_mov_b32 s1, 0
	s_branch .LBB72_59
.LBB72_23:
	s_mov_b32 s0, 0
                                        ; implicit-def: $vgpr3
                                        ; implicit-def: $vgpr2
	s_branch .LBB72_143
.LBB72_24:
	s_mov_b32 s2, -1
	s_mov_b32 s0, 0
	s_mov_b32 s1, 0
	s_branch .LBB72_42
.LBB72_25:
	s_mov_b32 s2, -1
	s_mov_b32 s0, 0
	s_mov_b32 s1, 0
	s_branch .LBB72_38
.LBB72_26:
	s_mov_b32 s15, -1
.LBB72_27:
	s_mov_b32 s0, 0
                                        ; implicit-def: $vgpr3
                                        ; implicit-def: $vgpr2
.LBB72_28:
	s_and_b32 vcc_lo, exec_lo, s1
	s_cbranch_vccz .LBB72_142
; %bb.29:
	v_cmp_eq_u16_e32 vcc_lo, 44, v19
	s_cbranch_vccz .LBB72_140
; %bb.30:
	global_load_u8 v2, v[0:1], off
	s_mov_b32 s15, 0
	s_mov_b32 s0, -1
	s_waitcnt vmcnt(0)
	v_lshlrev_b32_e32 v3, 23, v2
	v_cmp_ne_u32_e32 vcc_lo, 0xff, v2
	s_delay_alu instid0(VALU_DEP_2) | instskip(NEXT) | instid1(VALU_DEP_1)
	v_cvt_f16_f32_e32 v3, v3
	v_cndmask_b32_e32 v3, 0x7e00, v3, vcc_lo
	v_cmp_ne_u32_e32 vcc_lo, 0, v2
	s_delay_alu instid0(VALU_DEP_2)
	v_cndmask_b32_e32 v2, 0, v3, vcc_lo
	s_branch .LBB72_141
.LBB72_31:
	s_mov_b32 s2, -1
	s_mov_b32 s0, 0
	s_mov_b32 s1, 0
.LBB72_32:
	s_and_b32 vcc_lo, exec_lo, s2
	s_cbranch_vccz .LBB72_37
; %bb.33:
	v_cmp_eq_u16_e32 vcc_lo, 44, v3
	s_mov_b32 s0, -1
	s_cbranch_vccz .LBB72_37
; %bb.34:
	v_cvt_f32_f16_e32 v6, v2
	v_mov_b32_e32 v7, 0xff
	s_mov_b32 s1, exec_lo
	s_delay_alu instid0(VALU_DEP_2) | instskip(NEXT) | instid1(VALU_DEP_1)
	v_bfe_u32 v8, v6, 23, 8
	v_cmpx_ne_u32_e32 0xff, v8
; %bb.35:
	v_and_b32_e32 v7, 0x400000, v6
	v_and_or_b32 v8, 0x3fffff, v6, v8
	v_lshrrev_b32_e32 v6, 23, v6
	s_delay_alu instid0(VALU_DEP_3) | instskip(NEXT) | instid1(VALU_DEP_3)
	v_cmp_ne_u32_e32 vcc_lo, 0, v7
	v_cmp_ne_u32_e64 s0, 0, v8
	s_delay_alu instid0(VALU_DEP_1) | instskip(NEXT) | instid1(SALU_CYCLE_1)
	s_and_b32 s0, vcc_lo, s0
	v_cndmask_b32_e64 v7, 0, 1, s0
	s_delay_alu instid0(VALU_DEP_1)
	v_add_nc_u32_e32 v7, v6, v7
; %bb.36:
	s_or_b32 exec_lo, exec_lo, s1
	s_mov_b32 s1, -1
	s_mov_b32 s0, 0
	global_store_b8 v[0:1], v7, off
.LBB72_37:
	s_mov_b32 s2, 0
.LBB72_38:
	s_delay_alu instid0(SALU_CYCLE_1)
	s_and_b32 vcc_lo, exec_lo, s2
	s_cbranch_vccz .LBB72_41
; %bb.39:
	v_cmp_eq_u16_e32 vcc_lo, 29, v3
	s_mov_b32 s0, -1
	s_cbranch_vccz .LBB72_41
; %bb.40:
	v_cvt_f32_f16_e32 v6, v2
	v_mov_b32_e32 v7, 0
	s_mov_b32 s0, 0
	s_mov_b32 s1, -1
	s_mov_b32 s2, 0
	v_cvt_u32_f32_e32 v6, v6
	global_store_b64 v[0:1], v[6:7], off
	s_branch .LBB72_42
.LBB72_41:
	s_mov_b32 s2, 0
.LBB72_42:
	s_delay_alu instid0(SALU_CYCLE_1)
	s_and_b32 vcc_lo, exec_lo, s2
	s_cbranch_vccz .LBB72_58
; %bb.43:
	v_cmp_gt_i16_e32 vcc_lo, 27, v3
	s_mov_b32 s1, -1
	s_cbranch_vccnz .LBB72_49
; %bb.44:
	v_cmp_lt_i16_e32 vcc_lo, 27, v3
	s_cbranch_vccz .LBB72_46
; %bb.45:
	v_cvt_f32_f16_e32 v6, v2
	s_mov_b32 s1, 0
	s_delay_alu instid0(VALU_DEP_1)
	v_cvt_u32_f32_e32 v6, v6
	global_store_b32 v[0:1], v6, off
.LBB72_46:
	s_and_not1_b32 vcc_lo, exec_lo, s1
	s_cbranch_vccnz .LBB72_48
; %bb.47:
	v_cvt_u16_f16_e32 v6, v2
	global_store_b16 v[0:1], v6, off
.LBB72_48:
	s_mov_b32 s1, 0
.LBB72_49:
	s_delay_alu instid0(SALU_CYCLE_1)
	s_and_not1_b32 vcc_lo, exec_lo, s1
	s_cbranch_vccnz .LBB72_57
; %bb.50:
	v_cvt_f32_f16_e32 v6, v2
	v_mov_b32_e32 v8, 0x80
	s_mov_b32 s1, exec_lo
	s_delay_alu instid0(VALU_DEP_2) | instskip(NEXT) | instid1(VALU_DEP_1)
	v_and_b32_e32 v7, 0x7fffffff, v6
	v_cmpx_gt_u32_e32 0x43800000, v7
	s_cbranch_execz .LBB72_56
; %bb.51:
	v_cmp_lt_u32_e32 vcc_lo, 0x3bffffff, v7
	s_mov_b32 s2, 0
                                        ; implicit-def: $vgpr7
	s_and_saveexec_b32 s3, vcc_lo
	s_delay_alu instid0(SALU_CYCLE_1)
	s_xor_b32 s3, exec_lo, s3
	s_cbranch_execz .LBB72_280
; %bb.52:
	v_bfe_u32 v7, v6, 20, 1
	s_mov_b32 s2, exec_lo
	s_delay_alu instid0(VALU_DEP_1) | instskip(NEXT) | instid1(VALU_DEP_1)
	v_add3_u32 v7, v6, v7, 0x487ffff
	v_lshrrev_b32_e32 v7, 20, v7
	s_or_saveexec_b32 s3, s3
                                        ; implicit-def: $sgpr4
	s_delay_alu instid0(SALU_CYCLE_1)
	s_xor_b32 exec_lo, exec_lo, s3
	s_cbranch_execnz .LBB72_281
.LBB72_53:
	s_or_b32 exec_lo, exec_lo, s3
	v_mov_b32_e32 v8, s4
	s_and_saveexec_b32 s3, s2
.LBB72_54:
	v_lshrrev_b32_e32 v6, 24, v6
	s_delay_alu instid0(VALU_DEP_1)
	v_and_or_b32 v8, 0x80, v6, v7
.LBB72_55:
	s_or_b32 exec_lo, exec_lo, s3
.LBB72_56:
	s_delay_alu instid0(SALU_CYCLE_1)
	s_or_b32 exec_lo, exec_lo, s1
	global_store_b8 v[0:1], v8, off
.LBB72_57:
	s_mov_b32 s1, -1
.LBB72_58:
	s_mov_b32 s2, 0
.LBB72_59:
	s_delay_alu instid0(SALU_CYCLE_1)
	s_and_b32 vcc_lo, exec_lo, s2
	s_cbranch_vccz .LBB72_100
; %bb.60:
	v_cmp_lt_i16_e32 vcc_lo, 22, v3
	s_mov_b32 s2, -1
	s_cbranch_vccz .LBB72_92
; %bb.61:
	v_cmp_gt_i16_e32 vcc_lo, 24, v3
	s_mov_b32 s1, -1
	s_cbranch_vccnz .LBB72_81
; %bb.62:
	v_cmp_lt_i16_e32 vcc_lo, 24, v3
	s_cbranch_vccz .LBB72_70
; %bb.63:
	v_cvt_f32_f16_e32 v6, v2
	v_mov_b32_e32 v8, 0x80
	s_mov_b32 s1, exec_lo
	s_delay_alu instid0(VALU_DEP_2) | instskip(NEXT) | instid1(VALU_DEP_1)
	v_and_b32_e32 v7, 0x7fffffff, v6
	v_cmpx_gt_u32_e32 0x47800000, v7
	s_cbranch_execz .LBB72_69
; %bb.64:
	v_cmp_lt_u32_e32 vcc_lo, 0x37ffffff, v7
	s_mov_b32 s2, 0
                                        ; implicit-def: $vgpr7
	s_and_saveexec_b32 s3, vcc_lo
	s_delay_alu instid0(SALU_CYCLE_1)
	s_xor_b32 s3, exec_lo, s3
	s_cbranch_execz .LBB72_284
; %bb.65:
	v_bfe_u32 v7, v6, 21, 1
	s_mov_b32 s2, exec_lo
	s_delay_alu instid0(VALU_DEP_1) | instskip(NEXT) | instid1(VALU_DEP_1)
	v_add3_u32 v7, v6, v7, 0x88fffff
	v_lshrrev_b32_e32 v7, 21, v7
	s_or_saveexec_b32 s3, s3
                                        ; implicit-def: $sgpr4
	s_delay_alu instid0(SALU_CYCLE_1)
	s_xor_b32 exec_lo, exec_lo, s3
	s_cbranch_execnz .LBB72_285
.LBB72_66:
	s_or_b32 exec_lo, exec_lo, s3
	v_mov_b32_e32 v8, s4
	s_and_saveexec_b32 s3, s2
.LBB72_67:
	v_lshrrev_b32_e32 v6, 24, v6
	s_delay_alu instid0(VALU_DEP_1)
	v_and_or_b32 v8, 0x80, v6, v7
.LBB72_68:
	s_or_b32 exec_lo, exec_lo, s3
.LBB72_69:
	s_delay_alu instid0(SALU_CYCLE_1)
	s_or_b32 exec_lo, exec_lo, s1
	s_mov_b32 s1, 0
	global_store_b8 v[0:1], v8, off
.LBB72_70:
	s_and_b32 vcc_lo, exec_lo, s1
	s_cbranch_vccz .LBB72_80
; %bb.71:
	v_cvt_f32_f16_e32 v6, v2
	s_mov_b32 s1, exec_lo
                                        ; implicit-def: $vgpr7
	s_delay_alu instid0(VALU_DEP_1) | instskip(NEXT) | instid1(VALU_DEP_1)
	v_and_b32_e32 v8, 0x7fffffff, v6
	v_cmpx_gt_u32_e32 0x43f00000, v8
	s_xor_b32 s1, exec_lo, s1
	s_cbranch_execz .LBB72_77
; %bb.72:
	s_mov_b32 s2, exec_lo
                                        ; implicit-def: $vgpr7
	v_cmpx_lt_u32_e32 0x3c7fffff, v8
	s_xor_b32 s2, exec_lo, s2
; %bb.73:
	v_bfe_u32 v7, v6, 20, 1
	s_delay_alu instid0(VALU_DEP_1) | instskip(NEXT) | instid1(VALU_DEP_1)
	v_add3_u32 v7, v6, v7, 0x407ffff
	v_and_b32_e32 v8, 0xff00000, v7
	v_lshrrev_b32_e32 v7, 20, v7
	s_delay_alu instid0(VALU_DEP_2) | instskip(NEXT) | instid1(VALU_DEP_2)
	v_cmp_ne_u32_e32 vcc_lo, 0x7f00000, v8
	v_cndmask_b32_e32 v7, 0x7e, v7, vcc_lo
; %bb.74:
	s_and_not1_saveexec_b32 s2, s2
; %bb.75:
	v_add_f32_e64 v7, 0x46800000, |v6|
; %bb.76:
	s_or_b32 exec_lo, exec_lo, s2
                                        ; implicit-def: $vgpr8
.LBB72_77:
	s_and_not1_saveexec_b32 s1, s1
; %bb.78:
	v_mov_b32_e32 v7, 0x7f
	v_cmp_lt_u32_e32 vcc_lo, 0x7f800000, v8
	s_delay_alu instid0(VALU_DEP_2)
	v_cndmask_b32_e32 v7, 0x7e, v7, vcc_lo
; %bb.79:
	s_or_b32 exec_lo, exec_lo, s1
	v_lshrrev_b32_e32 v6, 24, v6
	s_delay_alu instid0(VALU_DEP_1)
	v_and_or_b32 v6, 0x80, v6, v7
	global_store_b8 v[0:1], v6, off
.LBB72_80:
	s_mov_b32 s1, 0
.LBB72_81:
	s_delay_alu instid0(SALU_CYCLE_1)
	s_and_not1_b32 vcc_lo, exec_lo, s1
	s_cbranch_vccnz .LBB72_91
; %bb.82:
	v_cvt_f32_f16_e32 v6, v2
	s_mov_b32 s1, exec_lo
                                        ; implicit-def: $vgpr7
	s_delay_alu instid0(VALU_DEP_1) | instskip(NEXT) | instid1(VALU_DEP_1)
	v_and_b32_e32 v8, 0x7fffffff, v6
	v_cmpx_gt_u32_e32 0x47800000, v8
	s_xor_b32 s1, exec_lo, s1
	s_cbranch_execz .LBB72_88
; %bb.83:
	s_mov_b32 s2, exec_lo
                                        ; implicit-def: $vgpr7
	v_cmpx_lt_u32_e32 0x387fffff, v8
	s_xor_b32 s2, exec_lo, s2
; %bb.84:
	v_bfe_u32 v7, v6, 21, 1
	s_delay_alu instid0(VALU_DEP_1) | instskip(NEXT) | instid1(VALU_DEP_1)
	v_add3_u32 v7, v6, v7, 0x80fffff
	v_lshrrev_b32_e32 v7, 21, v7
; %bb.85:
	s_and_not1_saveexec_b32 s2, s2
; %bb.86:
	v_add_f32_e64 v7, 0x43000000, |v6|
; %bb.87:
	s_or_b32 exec_lo, exec_lo, s2
                                        ; implicit-def: $vgpr8
.LBB72_88:
	s_and_not1_saveexec_b32 s1, s1
; %bb.89:
	v_mov_b32_e32 v7, 0x7f
	v_cmp_lt_u32_e32 vcc_lo, 0x7f800000, v8
	s_delay_alu instid0(VALU_DEP_2)
	v_cndmask_b32_e32 v7, 0x7c, v7, vcc_lo
; %bb.90:
	s_or_b32 exec_lo, exec_lo, s1
	v_lshrrev_b32_e32 v6, 24, v6
	s_delay_alu instid0(VALU_DEP_1)
	v_and_or_b32 v6, 0x80, v6, v7
	global_store_b8 v[0:1], v6, off
.LBB72_91:
	s_mov_b32 s2, 0
	s_mov_b32 s1, -1
.LBB72_92:
	s_and_not1_b32 vcc_lo, exec_lo, s2
	s_cbranch_vccnz .LBB72_100
; %bb.93:
	v_cmp_lt_i16_e32 vcc_lo, 14, v3
	s_mov_b32 s2, -1
	s_cbranch_vccz .LBB72_97
; %bb.94:
	v_cmp_eq_u16_e32 vcc_lo, 15, v3
	s_mov_b32 s0, -1
	s_cbranch_vccz .LBB72_96
; %bb.95:
	v_cvt_f32_f16_e32 v6, v2
	v_cmp_o_f16_e32 vcc_lo, v2, v2
	s_mov_b32 s1, -1
	s_mov_b32 s0, 0
	s_delay_alu instid0(VALU_DEP_2) | instskip(NEXT) | instid1(VALU_DEP_1)
	v_bfe_u32 v7, v6, 16, 1
	v_add3_u32 v6, v6, v7, 0x7fff
	s_delay_alu instid0(VALU_DEP_1) | instskip(NEXT) | instid1(VALU_DEP_1)
	v_lshrrev_b32_e32 v6, 16, v6
	v_cndmask_b32_e32 v6, 0x7fc0, v6, vcc_lo
	global_store_b16 v[0:1], v6, off
.LBB72_96:
	s_mov_b32 s2, 0
.LBB72_97:
	s_delay_alu instid0(SALU_CYCLE_1)
	s_and_b32 vcc_lo, exec_lo, s2
	s_cbranch_vccz .LBB72_100
; %bb.98:
	v_cmp_eq_u16_e32 vcc_lo, 11, v3
	s_mov_b32 s0, -1
	s_cbranch_vccz .LBB72_100
; %bb.99:
	v_and_b32_e32 v6, 0x7fff7fff, v4
	s_mov_b32 s0, 0
	s_mov_b32 s1, -1
	s_delay_alu instid0(VALU_DEP_1)
	v_cmp_ne_u32_e32 vcc_lo, 0, v6
	v_cndmask_b32_e64 v6, 0, 1, vcc_lo
	global_store_b8 v[0:1], v6, off
.LBB72_100:
	s_branch .LBB72_20
.LBB72_101:
	v_cmp_gt_i16_e32 vcc_lo, 5, v3
	s_mov_b32 s1, -1
	s_cbranch_vccnz .LBB72_122
; %bb.102:
	v_cmp_gt_i16_e32 vcc_lo, 8, v3
	s_cbranch_vccnz .LBB72_112
; %bb.103:
	v_cmp_gt_i16_e32 vcc_lo, 9, v3
	s_cbranch_vccnz .LBB72_109
; %bb.104:
	v_cmp_lt_i16_e32 vcc_lo, 9, v3
	s_cbranch_vccz .LBB72_106
; %bb.105:
	v_cvt_f32_f16_e32 v6, v2
	v_cvt_f32_f16_e32 v8, v5
	s_mov_b32 s1, 0
	s_delay_alu instid0(VALU_DEP_2) | instskip(NEXT) | instid1(VALU_DEP_2)
	v_cvt_f64_f32_e32 v[6:7], v6
	v_cvt_f64_f32_e32 v[8:9], v8
	global_store_b128 v[0:1], v[6:9], off
.LBB72_106:
	s_and_not1_b32 vcc_lo, exec_lo, s1
	s_cbranch_vccnz .LBB72_108
; %bb.107:
	v_cvt_f32_f16_e32 v6, v2
	v_cvt_f32_f16_e32 v7, v5
	global_store_b64 v[0:1], v[6:7], off
.LBB72_108:
	s_mov_b32 s1, 0
.LBB72_109:
	s_delay_alu instid0(SALU_CYCLE_1)
	s_and_not1_b32 vcc_lo, exec_lo, s1
	s_cbranch_vccnz .LBB72_111
; %bb.110:
	global_store_b32 v[0:1], v4, off
.LBB72_111:
	s_mov_b32 s1, 0
.LBB72_112:
	s_delay_alu instid0(SALU_CYCLE_1)
	s_and_not1_b32 vcc_lo, exec_lo, s1
	s_cbranch_vccnz .LBB72_121
; %bb.113:
	v_cmp_gt_i16_e32 vcc_lo, 6, v3
	s_mov_b32 s1, -1
	s_cbranch_vccnz .LBB72_119
; %bb.114:
	v_cmp_lt_i16_e32 vcc_lo, 6, v3
	s_cbranch_vccz .LBB72_116
; %bb.115:
	v_cvt_f32_f16_e32 v4, v2
	s_mov_b32 s1, 0
	s_delay_alu instid0(VALU_DEP_1)
	v_cvt_f64_f32_e32 v[4:5], v4
	global_store_b64 v[0:1], v[4:5], off
.LBB72_116:
	s_and_not1_b32 vcc_lo, exec_lo, s1
	s_cbranch_vccnz .LBB72_118
; %bb.117:
	v_cvt_f32_f16_e32 v4, v2
	global_store_b32 v[0:1], v4, off
.LBB72_118:
	s_mov_b32 s1, 0
.LBB72_119:
	s_delay_alu instid0(SALU_CYCLE_1)
	s_and_not1_b32 vcc_lo, exec_lo, s1
	s_cbranch_vccnz .LBB72_121
; %bb.120:
	global_store_b16 v[0:1], v2, off
.LBB72_121:
	s_mov_b32 s1, 0
.LBB72_122:
	s_delay_alu instid0(SALU_CYCLE_1)
	s_and_not1_b32 vcc_lo, exec_lo, s1
	s_cbranch_vccnz .LBB72_138
; %bb.123:
	v_cmp_gt_i16_e32 vcc_lo, 2, v3
	s_mov_b32 s1, -1
	s_cbranch_vccnz .LBB72_133
; %bb.124:
	v_cmp_gt_i16_e32 vcc_lo, 3, v3
	s_cbranch_vccnz .LBB72_130
; %bb.125:
	v_cmp_lt_i16_e32 vcc_lo, 3, v3
	s_cbranch_vccz .LBB72_127
; %bb.126:
	v_cvt_f32_f16_e32 v4, v2
	s_mov_b32 s1, 0
	s_delay_alu instid0(VALU_DEP_1) | instskip(NEXT) | instid1(VALU_DEP_1)
	v_cvt_i32_f32_e32 v4, v4
	v_ashrrev_i32_e32 v5, 31, v4
	global_store_b64 v[0:1], v[4:5], off
.LBB72_127:
	s_and_not1_b32 vcc_lo, exec_lo, s1
	s_cbranch_vccnz .LBB72_129
; %bb.128:
	v_cvt_f32_f16_e32 v4, v2
	s_delay_alu instid0(VALU_DEP_1)
	v_cvt_i32_f32_e32 v4, v4
	global_store_b32 v[0:1], v4, off
.LBB72_129:
	s_mov_b32 s1, 0
.LBB72_130:
	s_delay_alu instid0(SALU_CYCLE_1)
	s_and_not1_b32 vcc_lo, exec_lo, s1
	s_cbranch_vccnz .LBB72_132
; %bb.131:
	v_cvt_i16_f16_e32 v4, v2
	global_store_b16 v[0:1], v4, off
.LBB72_132:
	s_mov_b32 s1, 0
.LBB72_133:
	s_delay_alu instid0(SALU_CYCLE_1)
	s_and_not1_b32 vcc_lo, exec_lo, s1
	s_cbranch_vccnz .LBB72_138
; %bb.134:
	v_cmp_lt_i16_e32 vcc_lo, 0, v3
	s_mov_b32 s1, -1
	s_cbranch_vccz .LBB72_136
; %bb.135:
	v_cvt_i16_f16_e32 v3, v2
	s_mov_b32 s1, 0
	global_store_b8 v[0:1], v3, off
.LBB72_136:
	s_and_not1_b32 vcc_lo, exec_lo, s1
	s_cbranch_vccnz .LBB72_138
; %bb.137:
	v_cvt_f32_f16_e32 v2, v2
	s_delay_alu instid0(VALU_DEP_1)
	v_cvt_i32_f32_e32 v2, v2
	global_store_b8 v[0:1], v2, off
.LBB72_138:
.LBB72_139:
	v_add_nc_u32_e32 v18, 0x80, v18
	s_mov_b32 s1, -1
	s_branch .LBB72_255
.LBB72_140:
	s_mov_b32 s15, -1
                                        ; implicit-def: $vgpr2
.LBB72_141:
	s_delay_alu instid0(SALU_CYCLE_1)
	v_mov_b32_e32 v3, s15
.LBB72_142:
	s_mov_b32 s1, 0
.LBB72_143:
	s_delay_alu instid0(SALU_CYCLE_1)
	s_and_b32 vcc_lo, exec_lo, s1
	s_cbranch_vccz .LBB72_148
; %bb.144:
	v_cmp_eq_u16_e32 vcc_lo, 29, v19
	s_cbranch_vccz .LBB72_146
; %bb.145:
	global_load_b64 v[2:3], v[0:1], off
	s_mov_b32 s0, -1
	s_mov_b32 s15, 0
	s_mov_b32 s1, 0
	s_waitcnt vmcnt(0)
	v_clz_i32_u32_e32 v4, v3
	s_delay_alu instid0(VALU_DEP_1) | instskip(NEXT) | instid1(VALU_DEP_1)
	v_min_u32_e32 v4, 32, v4
	v_lshlrev_b64 v[2:3], v4, v[2:3]
	s_delay_alu instid0(VALU_DEP_1) | instskip(NEXT) | instid1(VALU_DEP_1)
	v_min_u32_e32 v2, 1, v2
	v_or_b32_e32 v2, v3, v2
	v_sub_nc_u32_e32 v3, 32, v4
	s_delay_alu instid0(VALU_DEP_2) | instskip(NEXT) | instid1(VALU_DEP_1)
	v_cvt_f32_u32_e32 v2, v2
	v_ldexp_f32 v2, v2, v3
	s_delay_alu instid0(VALU_DEP_1)
	v_cvt_f16_f32_e32 v2, v2
	s_branch .LBB72_147
.LBB72_146:
	s_mov_b32 s15, -1
                                        ; implicit-def: $sgpr1
                                        ; implicit-def: $vgpr2
.LBB72_147:
	v_mov_b32_e32 v3, s1
.LBB72_148:
	s_mov_b32 s1, 0
.LBB72_149:
	s_delay_alu instid0(SALU_CYCLE_1)
	s_and_b32 vcc_lo, exec_lo, s1
	s_cbranch_vccz .LBB72_169
; %bb.150:
	v_cmp_gt_i16_e32 vcc_lo, 27, v19
	s_cbranch_vccnz .LBB72_153
; %bb.151:
	v_cmp_lt_i16_e32 vcc_lo, 27, v19
	s_cbranch_vccz .LBB72_154
; %bb.152:
	global_load_b32 v2, v[0:1], off
	s_mov_b32 s1, 0
	s_mov_b32 s0, 0
	s_waitcnt vmcnt(0)
	v_cvt_f32_u32_e32 v2, v2
	s_delay_alu instid0(VALU_DEP_1)
	v_cvt_f16_f32_e32 v2, v2
	s_branch .LBB72_155
.LBB72_153:
	s_mov_b32 s1, -1
                                        ; implicit-def: $sgpr0
                                        ; implicit-def: $vgpr2
	s_branch .LBB72_158
.LBB72_154:
	s_mov_b32 s1, -1
                                        ; implicit-def: $sgpr0
                                        ; implicit-def: $vgpr2
.LBB72_155:
	s_delay_alu instid0(SALU_CYCLE_1)
	s_and_not1_b32 vcc_lo, exec_lo, s1
	s_cbranch_vccnz .LBB72_157
; %bb.156:
	global_load_u16 v2, v[0:1], off
	s_mov_b32 s0, 0
	s_waitcnt vmcnt(0)
	v_cvt_f16_u16_e32 v2, v2
.LBB72_157:
	s_mov_b32 s1, 0
.LBB72_158:
	v_mov_b32_e32 v3, s0
	s_and_not1_b32 vcc_lo, exec_lo, s1
	s_cbranch_vccnz .LBB72_168
; %bb.159:
	global_load_u8 v4, v[0:1], off
	s_mov_b32 s0, 0
	s_mov_b32 s3, exec_lo
                                        ; implicit-def: $sgpr2
                                        ; implicit-def: $sgpr1
	s_waitcnt vmcnt(0)
	v_cmpx_lt_i16_e32 0x7f, v4
	s_xor_b32 s3, exec_lo, s3
	s_cbranch_execz .LBB72_163
; %bb.160:
	s_mov_b32 s0, -1
	s_mov_b32 s4, exec_lo
                                        ; implicit-def: $sgpr2
                                        ; implicit-def: $sgpr1
	v_cmpx_eq_u16_e32 0x80, v4
; %bb.161:
	s_movk_i32 s1, 0x7e00
	s_mov_b32 s2, 0
	s_xor_b32 s0, exec_lo, -1
; %bb.162:
	s_or_b32 exec_lo, exec_lo, s4
	s_delay_alu instid0(SALU_CYCLE_1)
	s_and_b32 s0, s0, exec_lo
.LBB72_163:
	s_or_saveexec_b32 s3, s3
	v_dual_mov_b32 v3, s2 :: v_dual_mov_b32 v2, s1
	s_xor_b32 exec_lo, exec_lo, s3
; %bb.164:
	v_cmp_ne_u16_e32 vcc_lo, 0, v4
	v_dual_mov_b32 v3, 0 :: v_dual_mov_b32 v2, v4
	s_and_not1_b32 s0, s0, exec_lo
	s_and_b32 s1, vcc_lo, exec_lo
	s_delay_alu instid0(SALU_CYCLE_1)
	s_or_b32 s0, s0, s1
; %bb.165:
	s_or_b32 exec_lo, exec_lo, s3
	s_and_saveexec_b32 s1, s0
	s_cbranch_execz .LBB72_167
; %bb.166:
	v_and_b32_e32 v2, 0xffff, v4
	v_lshlrev_b32_e32 v4, 24, v4
	s_delay_alu instid0(VALU_DEP_2) | instskip(NEXT) | instid1(VALU_DEP_2)
	v_and_b32_e32 v3, 7, v2
	v_and_b32_e32 v4, 0x80000000, v4
	s_delay_alu instid0(VALU_DEP_2) | instskip(NEXT) | instid1(VALU_DEP_1)
	v_clz_i32_u32_e32 v5, v3
	v_min_u32_e32 v5, 32, v5
	s_delay_alu instid0(VALU_DEP_1) | instskip(SKIP_1) | instid1(VALU_DEP_2)
	v_subrev_nc_u32_e32 v6, 28, v5
	v_sub_nc_u32_e32 v5, 29, v5
	v_lshlrev_b32_e32 v6, v6, v2
	v_bfe_u32 v2, v2, 3, 4
	s_delay_alu instid0(VALU_DEP_2) | instskip(NEXT) | instid1(VALU_DEP_2)
	v_and_b32_e32 v6, 7, v6
	v_cmp_eq_u32_e32 vcc_lo, 0, v2
	s_delay_alu instid0(VALU_DEP_2) | instskip(NEXT) | instid1(VALU_DEP_1)
	v_dual_cndmask_b32 v2, v2, v5 :: v_dual_cndmask_b32 v3, v3, v6
	v_lshl_add_u32 v2, v2, 23, 0x3b800000
	s_delay_alu instid0(VALU_DEP_2) | instskip(NEXT) | instid1(VALU_DEP_1)
	v_lshlrev_b32_e32 v3, 20, v3
	v_or3_b32 v2, v4, v2, v3
	v_mov_b32_e32 v3, 0
	s_delay_alu instid0(VALU_DEP_2)
	v_cvt_f16_f32_e32 v2, v2
.LBB72_167:
	s_or_b32 exec_lo, exec_lo, s1
.LBB72_168:
	s_mov_b32 s0, -1
.LBB72_169:
	s_branch .LBB72_203
.LBB72_170:
	v_cmp_lt_i16_e32 vcc_lo, 22, v19
	s_cbranch_vccz .LBB72_182
; %bb.171:
	v_cmp_gt_i16_e32 vcc_lo, 24, v19
	s_cbranch_vccnz .LBB72_183
; %bb.172:
	v_cmp_lt_i16_e32 vcc_lo, 24, v19
	s_cbranch_vccz .LBB72_184
; %bb.173:
	global_load_u8 v4, v[0:1], off
	s_mov_b32 s0, 0
	s_mov_b32 s3, exec_lo
                                        ; implicit-def: $sgpr2
                                        ; implicit-def: $sgpr1
	s_waitcnt vmcnt(0)
	v_cmpx_lt_i16_e32 0x7f, v4
	s_xor_b32 s3, exec_lo, s3
	s_cbranch_execz .LBB72_177
; %bb.174:
	s_mov_b32 s0, -1
	s_mov_b32 s4, exec_lo
                                        ; implicit-def: $sgpr2
                                        ; implicit-def: $sgpr1
	v_cmpx_eq_u16_e32 0x80, v4
; %bb.175:
	s_movk_i32 s1, 0x7e00
	s_mov_b32 s2, 0
	s_xor_b32 s0, exec_lo, -1
; %bb.176:
	s_or_b32 exec_lo, exec_lo, s4
	s_delay_alu instid0(SALU_CYCLE_1)
	s_and_b32 s0, s0, exec_lo
.LBB72_177:
	s_or_saveexec_b32 s3, s3
	v_dual_mov_b32 v3, s2 :: v_dual_mov_b32 v2, s1
	s_xor_b32 exec_lo, exec_lo, s3
; %bb.178:
	v_cmp_ne_u16_e32 vcc_lo, 0, v4
	v_dual_mov_b32 v3, 0 :: v_dual_mov_b32 v2, v4
	s_and_not1_b32 s0, s0, exec_lo
	s_and_b32 s1, vcc_lo, exec_lo
	s_delay_alu instid0(SALU_CYCLE_1)
	s_or_b32 s0, s0, s1
; %bb.179:
	s_or_b32 exec_lo, exec_lo, s3
	s_and_saveexec_b32 s1, s0
	s_cbranch_execz .LBB72_181
; %bb.180:
	v_and_b32_e32 v2, 0xffff, v4
	v_lshlrev_b32_e32 v4, 24, v4
	s_delay_alu instid0(VALU_DEP_2) | instskip(NEXT) | instid1(VALU_DEP_2)
	v_and_b32_e32 v3, 3, v2
	v_and_b32_e32 v4, 0x80000000, v4
	s_delay_alu instid0(VALU_DEP_2) | instskip(NEXT) | instid1(VALU_DEP_1)
	v_clz_i32_u32_e32 v5, v3
	v_min_u32_e32 v5, 32, v5
	s_delay_alu instid0(VALU_DEP_1) | instskip(SKIP_1) | instid1(VALU_DEP_2)
	v_subrev_nc_u32_e32 v6, 29, v5
	v_sub_nc_u32_e32 v5, 30, v5
	v_lshlrev_b32_e32 v6, v6, v2
	v_bfe_u32 v2, v2, 2, 5
	s_delay_alu instid0(VALU_DEP_2) | instskip(NEXT) | instid1(VALU_DEP_2)
	v_and_b32_e32 v6, 3, v6
	v_cmp_eq_u32_e32 vcc_lo, 0, v2
	s_delay_alu instid0(VALU_DEP_2) | instskip(NEXT) | instid1(VALU_DEP_1)
	v_dual_cndmask_b32 v2, v2, v5 :: v_dual_cndmask_b32 v3, v3, v6
	v_lshl_add_u32 v2, v2, 23, 0x37800000
	s_delay_alu instid0(VALU_DEP_2) | instskip(NEXT) | instid1(VALU_DEP_1)
	v_lshlrev_b32_e32 v3, 21, v3
	v_or3_b32 v2, v4, v2, v3
	v_mov_b32_e32 v3, 0
	s_delay_alu instid0(VALU_DEP_2)
	v_cvt_f16_f32_e32 v2, v2
.LBB72_181:
	s_or_b32 exec_lo, exec_lo, s1
	s_mov_b32 s0, 0
	s_branch .LBB72_185
.LBB72_182:
	s_mov_b32 s1, -1
                                        ; implicit-def: $vgpr3
                                        ; implicit-def: $vgpr2
	s_branch .LBB72_191
.LBB72_183:
	s_mov_b32 s0, -1
                                        ; implicit-def: $vgpr3
                                        ; implicit-def: $vgpr2
	s_branch .LBB72_188
.LBB72_184:
	s_mov_b32 s0, -1
                                        ; implicit-def: $vgpr3
                                        ; implicit-def: $vgpr2
.LBB72_185:
	s_delay_alu instid0(SALU_CYCLE_1)
	s_and_b32 vcc_lo, exec_lo, s0
	s_cbranch_vccz .LBB72_187
; %bb.186:
	global_load_u8 v2, v[0:1], off
	s_waitcnt vmcnt(0)
	v_lshlrev_b32_e32 v2, 24, v2
	s_delay_alu instid0(VALU_DEP_1) | instskip(NEXT) | instid1(VALU_DEP_1)
	v_and_b32_e32 v3, 0x7f000000, v2
	v_clz_i32_u32_e32 v4, v3
	v_add_nc_u32_e32 v6, 0x1000000, v3
	v_cmp_ne_u32_e32 vcc_lo, 0, v3
	s_delay_alu instid0(VALU_DEP_3) | instskip(NEXT) | instid1(VALU_DEP_1)
	v_min_u32_e32 v4, 32, v4
	v_sub_nc_u32_e64 v4, v4, 4 clamp
	s_delay_alu instid0(VALU_DEP_1) | instskip(SKIP_1) | instid1(VALU_DEP_2)
	v_lshlrev_b32_e32 v5, v4, v3
	v_lshlrev_b32_e32 v4, 23, v4
	v_lshrrev_b32_e32 v5, 4, v5
	s_delay_alu instid0(VALU_DEP_1) | instskip(SKIP_1) | instid1(VALU_DEP_2)
	v_sub_nc_u32_e32 v4, v5, v4
	v_ashrrev_i32_e32 v5, 8, v6
	v_add_nc_u32_e32 v4, 0x3c000000, v4
	s_delay_alu instid0(VALU_DEP_1) | instskip(NEXT) | instid1(VALU_DEP_1)
	v_and_or_b32 v4, 0x7f800000, v5, v4
	v_cndmask_b32_e32 v3, 0, v4, vcc_lo
	s_delay_alu instid0(VALU_DEP_1) | instskip(SKIP_1) | instid1(VALU_DEP_2)
	v_and_or_b32 v2, 0x80000000, v2, v3
	v_mov_b32_e32 v3, 0
	v_cvt_f16_f32_e32 v2, v2
.LBB72_187:
	s_mov_b32 s0, 0
.LBB72_188:
	s_delay_alu instid0(SALU_CYCLE_1)
	s_and_not1_b32 vcc_lo, exec_lo, s0
	s_cbranch_vccnz .LBB72_190
; %bb.189:
	global_load_u8 v2, v[0:1], off
	s_waitcnt vmcnt(0)
	v_lshlrev_b32_e32 v3, 25, v2
	v_lshlrev_b16 v2, 8, v2
	s_delay_alu instid0(VALU_DEP_2) | instskip(NEXT) | instid1(VALU_DEP_2)
	v_lshrrev_b32_e32 v4, 4, v3
	v_and_or_b32 v5, 0x7f00, v2, 0.5
	v_bfe_i32 v2, v2, 0, 16
	s_delay_alu instid0(VALU_DEP_3) | instskip(NEXT) | instid1(VALU_DEP_1)
	v_or_b32_e32 v4, 0x70000000, v4
	v_dual_add_f32 v5, -0.5, v5 :: v_dual_mul_f32 v4, 0x7800000, v4
	v_cmp_gt_u32_e32 vcc_lo, 0x8000000, v3
	s_delay_alu instid0(VALU_DEP_2) | instskip(NEXT) | instid1(VALU_DEP_1)
	v_cndmask_b32_e32 v3, v4, v5, vcc_lo
	v_and_or_b32 v2, 0x80000000, v2, v3
	v_mov_b32_e32 v3, 0
	s_delay_alu instid0(VALU_DEP_2)
	v_cvt_f16_f32_e32 v2, v2
.LBB72_190:
	s_mov_b32 s1, 0
	s_mov_b32 s0, -1
.LBB72_191:
	s_and_not1_b32 vcc_lo, exec_lo, s1
	s_cbranch_vccnz .LBB72_203
; %bb.192:
	v_cmp_lt_i16_e32 vcc_lo, 14, v19
	s_cbranch_vccz .LBB72_195
; %bb.193:
	v_cmp_eq_u16_e32 vcc_lo, 15, v19
	s_cbranch_vccz .LBB72_196
; %bb.194:
	global_load_u16 v2, v[0:1], off
	s_mov_b32 s0, -1
	s_mov_b32 s15, 0
	s_mov_b32 s1, 0
	s_waitcnt vmcnt(0)
	v_lshlrev_b32_e32 v2, 16, v2
	s_delay_alu instid0(VALU_DEP_1)
	v_cvt_f16_f32_e32 v2, v2
	s_branch .LBB72_197
.LBB72_195:
	s_mov_b32 s2, -1
                                        ; implicit-def: $sgpr1
                                        ; implicit-def: $vgpr2
	s_branch .LBB72_198
.LBB72_196:
	s_mov_b32 s15, -1
                                        ; implicit-def: $sgpr1
                                        ; implicit-def: $vgpr2
.LBB72_197:
	s_mov_b32 s2, 0
.LBB72_198:
	s_delay_alu instid0(SALU_CYCLE_1)
	s_and_b32 vcc_lo, exec_lo, s2
	s_cbranch_vccz .LBB72_202
; %bb.199:
	v_cmp_eq_u16_e32 vcc_lo, 11, v19
	s_cbranch_vccz .LBB72_201
; %bb.200:
	global_load_u8 v2, v[0:1], off
	s_mov_b32 s1, 0
	s_mov_b32 s0, -1
	s_mov_b32 s15, 0
	s_waitcnt vmcnt(0)
	v_cmp_ne_u16_e32 vcc_lo, 0, v2
	v_cndmask_b32_e64 v2, 0, 0x3c00, vcc_lo
	s_branch .LBB72_202
.LBB72_201:
	s_mov_b32 s15, -1
                                        ; implicit-def: $sgpr1
                                        ; implicit-def: $vgpr2
.LBB72_202:
	v_mov_b32_e32 v3, s1
.LBB72_203:
	s_branch .LBB72_10
.LBB72_204:
	v_cmp_gt_i16_e32 vcc_lo, 5, v19
	s_cbranch_vccnz .LBB72_209
; %bb.205:
	v_cmp_gt_i16_e32 vcc_lo, 8, v19
	s_cbranch_vccnz .LBB72_210
; %bb.206:
	;; [unrolled: 3-line block ×3, first 2 shown]
	v_cmp_lt_i16_e32 vcc_lo, 9, v19
	s_cbranch_vccz .LBB72_212
; %bb.208:
	global_load_b128 v[2:5], v[0:1], off
	s_mov_b32 s0, 0
	s_waitcnt vmcnt(0)
	v_cvt_f32_f64_e32 v2, v[2:3]
	v_cvt_f32_f64_e32 v3, v[4:5]
	s_delay_alu instid0(VALU_DEP_2) | instskip(NEXT) | instid1(VALU_DEP_2)
	v_cvt_f16_f32_e32 v2, v2
	v_cvt_f16_f32_e32 v3, v3
	s_branch .LBB72_213
.LBB72_209:
                                        ; implicit-def: $vgpr3
                                        ; implicit-def: $vgpr2
	s_branch .LBB72_232
.LBB72_210:
	s_mov_b32 s0, -1
                                        ; implicit-def: $vgpr3
                                        ; implicit-def: $vgpr2
	s_branch .LBB72_219
.LBB72_211:
	s_mov_b32 s0, -1
                                        ; implicit-def: $vgpr3
                                        ; implicit-def: $vgpr2
	s_branch .LBB72_216
.LBB72_212:
	s_mov_b32 s0, -1
                                        ; implicit-def: $vgpr3
                                        ; implicit-def: $vgpr2
.LBB72_213:
	s_delay_alu instid0(SALU_CYCLE_1)
	s_and_not1_b32 vcc_lo, exec_lo, s0
	s_cbranch_vccnz .LBB72_215
; %bb.214:
	global_load_b64 v[2:3], v[0:1], off
	s_waitcnt vmcnt(0)
	v_cvt_f16_f32_e32 v2, v2
	v_cvt_f16_f32_e32 v3, v3
.LBB72_215:
	s_mov_b32 s0, 0
.LBB72_216:
	s_delay_alu instid0(SALU_CYCLE_1)
	s_and_not1_b32 vcc_lo, exec_lo, s0
	s_cbranch_vccnz .LBB72_218
; %bb.217:
	global_load_b32 v2, v[0:1], off
	s_waitcnt vmcnt(0)
	v_lshrrev_b32_e32 v3, 16, v2
.LBB72_218:
	s_mov_b32 s0, 0
.LBB72_219:
	s_delay_alu instid0(SALU_CYCLE_1)
	s_and_not1_b32 vcc_lo, exec_lo, s0
	s_cbranch_vccnz .LBB72_231
; %bb.220:
	v_cmp_gt_i16_e32 vcc_lo, 6, v19
	s_cbranch_vccnz .LBB72_223
; %bb.221:
	v_cmp_lt_i16_e32 vcc_lo, 6, v19
	s_cbranch_vccz .LBB72_224
; %bb.222:
	global_load_b64 v[2:3], v[0:1], off
	s_mov_b32 s1, 0
	s_mov_b32 s0, 0
	s_waitcnt vmcnt(0)
	v_cvt_f32_f64_e32 v2, v[2:3]
	s_delay_alu instid0(VALU_DEP_1)
	v_cvt_f16_f32_e32 v2, v2
	s_branch .LBB72_225
.LBB72_223:
	s_mov_b32 s1, -1
                                        ; implicit-def: $sgpr0
                                        ; implicit-def: $vgpr2
	s_branch .LBB72_228
.LBB72_224:
	s_mov_b32 s1, -1
                                        ; implicit-def: $sgpr0
                                        ; implicit-def: $vgpr2
.LBB72_225:
	s_delay_alu instid0(SALU_CYCLE_1)
	s_and_not1_b32 vcc_lo, exec_lo, s1
	s_cbranch_vccnz .LBB72_227
; %bb.226:
	global_load_b32 v2, v[0:1], off
	s_mov_b32 s0, 0
	s_waitcnt vmcnt(0)
	v_cvt_f16_f32_e32 v2, v2
.LBB72_227:
	s_mov_b32 s1, 0
.LBB72_228:
	s_delay_alu instid0(SALU_CYCLE_1)
	s_and_not1_b32 vcc_lo, exec_lo, s1
	s_cbranch_vccnz .LBB72_230
; %bb.229:
	global_load_u16 v2, v[0:1], off
	s_mov_b32 s0, 0
.LBB72_230:
	s_delay_alu instid0(SALU_CYCLE_1)
	v_mov_b32_e32 v3, s0
.LBB72_231:
	s_cbranch_execnz .LBB72_252
.LBB72_232:
	v_cmp_gt_i16_e32 vcc_lo, 2, v19
	s_cbranch_vccnz .LBB72_236
; %bb.233:
	v_cmp_gt_i16_e32 vcc_lo, 3, v19
	s_cbranch_vccnz .LBB72_237
; %bb.234:
	v_cmp_lt_i16_e32 vcc_lo, 3, v19
	s_cbranch_vccz .LBB72_238
; %bb.235:
	global_load_b64 v[2:3], v[0:1], off
	s_mov_b32 s1, 0
	s_mov_b32 s0, 0
	s_waitcnt vmcnt(0)
	v_xor_b32_e32 v4, v2, v3
	v_cls_i32_e32 v5, v3
	s_delay_alu instid0(VALU_DEP_2) | instskip(NEXT) | instid1(VALU_DEP_2)
	v_ashrrev_i32_e32 v4, 31, v4
	v_add_nc_u32_e32 v5, -1, v5
	s_delay_alu instid0(VALU_DEP_2) | instskip(NEXT) | instid1(VALU_DEP_1)
	v_add_nc_u32_e32 v4, 32, v4
	v_min_u32_e32 v4, v5, v4
	s_delay_alu instid0(VALU_DEP_1) | instskip(NEXT) | instid1(VALU_DEP_1)
	v_lshlrev_b64 v[2:3], v4, v[2:3]
	v_min_u32_e32 v2, 1, v2
	s_delay_alu instid0(VALU_DEP_1) | instskip(SKIP_1) | instid1(VALU_DEP_2)
	v_or_b32_e32 v2, v3, v2
	v_sub_nc_u32_e32 v3, 32, v4
	v_cvt_f32_i32_e32 v2, v2
	s_delay_alu instid0(VALU_DEP_1) | instskip(NEXT) | instid1(VALU_DEP_1)
	v_ldexp_f32 v2, v2, v3
	v_cvt_f16_f32_e32 v2, v2
	s_branch .LBB72_239
.LBB72_236:
	s_mov_b32 s1, -1
                                        ; implicit-def: $sgpr0
                                        ; implicit-def: $vgpr2
	s_branch .LBB72_245
.LBB72_237:
	s_mov_b32 s1, -1
                                        ; implicit-def: $sgpr0
                                        ; implicit-def: $vgpr2
	s_branch .LBB72_242
.LBB72_238:
	s_mov_b32 s1, -1
                                        ; implicit-def: $sgpr0
                                        ; implicit-def: $vgpr2
.LBB72_239:
	s_delay_alu instid0(SALU_CYCLE_1)
	s_and_not1_b32 vcc_lo, exec_lo, s1
	s_cbranch_vccnz .LBB72_241
; %bb.240:
	global_load_b32 v2, v[0:1], off
	s_mov_b32 s0, 0
	s_waitcnt vmcnt(0)
	v_cvt_f32_i32_e32 v2, v2
	s_delay_alu instid0(VALU_DEP_1)
	v_cvt_f16_f32_e32 v2, v2
.LBB72_241:
	s_mov_b32 s1, 0
.LBB72_242:
	s_delay_alu instid0(SALU_CYCLE_1)
	s_and_not1_b32 vcc_lo, exec_lo, s1
	s_cbranch_vccnz .LBB72_244
; %bb.243:
	global_load_u16 v2, v[0:1], off
	s_mov_b32 s0, 0
	s_waitcnt vmcnt(0)
	v_cvt_f16_i16_e32 v2, v2
.LBB72_244:
	s_mov_b32 s1, 0
.LBB72_245:
	s_delay_alu instid0(SALU_CYCLE_1)
	s_and_not1_b32 vcc_lo, exec_lo, s1
	s_cbranch_vccnz .LBB72_251
; %bb.246:
	v_cmp_lt_i16_e32 vcc_lo, 0, v19
	s_mov_b32 s1, 0
	s_cbranch_vccz .LBB72_248
; %bb.247:
	global_load_i8 v2, v[0:1], off
	s_mov_b32 s0, 0
	s_waitcnt vmcnt(0)
	v_cvt_f16_i16_e32 v2, v2
	s_branch .LBB72_249
.LBB72_248:
	s_mov_b32 s1, -1
                                        ; implicit-def: $sgpr0
                                        ; implicit-def: $vgpr2
.LBB72_249:
	s_delay_alu instid0(SALU_CYCLE_1)
	s_and_not1_b32 vcc_lo, exec_lo, s1
	s_cbranch_vccnz .LBB72_251
; %bb.250:
	global_load_u8 v0, v[0:1], off
	s_mov_b32 s0, 0
	s_waitcnt vmcnt(0)
	v_cvt_f16_u16_e32 v2, v0
.LBB72_251:
	v_mov_b32_e32 v3, s0
.LBB72_252:
	s_branch .LBB72_11
.LBB72_253:
	s_mov_b32 s0, 0
.LBB72_254:
	s_mov_b32 s1, 0
                                        ; implicit-def: $vgpr18
.LBB72_255:
	s_and_b32 s13, s0, exec_lo
	s_and_b32 s15, s15, exec_lo
	s_or_not1_b32 s1, s1, exec_lo
.LBB72_256:
	s_or_b32 exec_lo, exec_lo, s20
	s_mov_b32 s2, 0
	s_mov_b32 s0, 0
                                        ; implicit-def: $vgpr0_vgpr1
                                        ; implicit-def: $vgpr6
                                        ; implicit-def: $vgpr4
	s_and_saveexec_b32 s20, s1
	s_cbranch_execz .LBB72_877
; %bb.257:
	s_mov_b32 s3, -1
	s_mov_b32 s21, s15
	s_mov_b32 s22, s13
	s_mov_b32 s23, exec_lo
	v_cmpx_gt_i32_e64 s14, v18
	s_cbranch_execz .LBB72_521
; %bb.258:
	v_mul_lo_u32 v0, v18, s11
	v_cmp_gt_i16_e32 vcc_lo, 11, v19
	s_delay_alu instid0(VALU_DEP_2) | instskip(SKIP_1) | instid1(VALU_DEP_1)
	v_ashrrev_i32_e32 v1, 31, v0
	v_add_co_u32 v0, s0, s18, v0
	v_add_co_ci_u32_e64 v1, s0, s19, v1, s0
	s_cbranch_vccnz .LBB72_265
; %bb.259:
	v_cmp_lt_i16_e32 vcc_lo, 25, v19
	s_cbranch_vccz .LBB72_274
; %bb.260:
	v_cmp_lt_i16_e32 vcc_lo, 28, v19
	s_cbranch_vccz .LBB72_276
	;; [unrolled: 3-line block ×4, first 2 shown]
; %bb.263:
	v_cmp_eq_u16_e32 vcc_lo, 46, v19
	s_mov_b32 s1, 0
	s_cbranch_vccz .LBB72_286
; %bb.264:
	global_load_b32 v2, v[0:1], off
	s_mov_b32 s0, -1
	s_mov_b32 s21, 0
	s_waitcnt vmcnt(0)
	v_lshlrev_b32_e32 v3, 16, v2
	v_and_b32_e32 v4, 0xffff0000, v2
	s_delay_alu instid0(VALU_DEP_2) | instskip(NEXT) | instid1(VALU_DEP_2)
	v_cvt_f16_f32_e32 v2, v3
	v_cvt_f16_f32_e32 v3, v4
	s_branch .LBB72_288
.LBB72_265:
	s_mov_b32 s0, 0
	s_mov_b32 s21, s15
                                        ; implicit-def: $vgpr3
                                        ; implicit-def: $vgpr2
	s_cbranch_execnz .LBB72_468
.LBB72_266:
	s_and_not1_b32 vcc_lo, exec_lo, s0
	s_cbranch_vccnz .LBB72_518
.LBB72_267:
	s_waitcnt vmcnt(0)
	s_delay_alu instid0(VALU_DEP_2) | instskip(NEXT) | instid1(VALU_DEP_2)
	v_cvt_f32_f16_e32 v0, v2
	v_cvt_f32_f16_e32 v1, v3
	s_getpc_b64 s[0:1]
	s_add_u32 s0, s0, _ZN16c10_complex_math3expIfEEN3c107complexIT_EERKS4_@rel32@lo+4
	s_addc_u32 s1, s1, _ZN16c10_complex_math3expIfEEN3c107complexIT_EERKS4_@rel32@hi+12
	s_delay_alu instid0(SALU_CYCLE_1) | instskip(SKIP_4) | instid1(VALU_DEP_3)
	s_swappc_b64 s[30:31], s[0:1]
	v_mul_lo_u32 v4, v18, s10
	v_cvt_f16_f32_e32 v5, v1
	v_cvt_f16_f32_e32 v2, v0
	v_and_b32_e32 v3, 0xff, v17
	v_lshlrev_b32_e32 v6, 16, v5
	s_delay_alu instid0(VALU_DEP_3) | instskip(SKIP_1) | instid1(VALU_DEP_4)
	v_and_b32_e32 v7, 0xffff, v2
	v_ashrrev_i32_e32 v1, 31, v4
	v_cmp_gt_i16_e32 vcc_lo, 11, v3
	v_add_co_u32 v0, s0, s16, v4
	s_delay_alu instid0(VALU_DEP_4) | instskip(NEXT) | instid1(VALU_DEP_4)
	v_or_b32_e32 v4, v6, v7
	v_add_co_ci_u32_e64 v1, s0, s17, v1, s0
	s_cbranch_vccnz .LBB72_275
; %bb.268:
	v_cmp_lt_i16_e32 vcc_lo, 25, v3
	s_cbranch_vccz .LBB72_277
; %bb.269:
	v_cmp_lt_i16_e32 vcc_lo, 28, v3
	s_cbranch_vccz .LBB72_279
	;; [unrolled: 3-line block ×4, first 2 shown]
; %bb.272:
	v_cmp_eq_u16_e32 vcc_lo, 46, v3
	s_mov_b32 s2, 0
	s_mov_b32 s0, -1
	s_mov_b32 s1, 0
	s_cbranch_vccz .LBB72_292
; %bb.273:
	v_cvt_f32_f16_e32 v6, v5
	v_cvt_f32_f16_e32 v7, v2
	v_cmp_o_f16_e32 vcc_lo, v5, v5
	s_mov_b32 s1, -1
	s_mov_b32 s0, 0
	v_bfe_u32 v8, v6, 16, 1
	v_bfe_u32 v9, v7, 16, 1
	s_delay_alu instid0(VALU_DEP_2) | instskip(NEXT) | instid1(VALU_DEP_2)
	v_add3_u32 v6, v6, v8, 0x7fff
	v_add3_u32 v7, v7, v9, 0x7fff
	s_delay_alu instid0(VALU_DEP_2) | instskip(NEXT) | instid1(VALU_DEP_2)
	v_and_b32_e32 v6, 0xffff0000, v6
	v_lshrrev_b32_e32 v7, 16, v7
	s_delay_alu instid0(VALU_DEP_2) | instskip(SKIP_1) | instid1(VALU_DEP_3)
	v_cndmask_b32_e32 v6, 0x7fc00000, v6, vcc_lo
	v_cmp_o_f16_e32 vcc_lo, v2, v2
	v_cndmask_b32_e32 v7, 0x7fc0, v7, vcc_lo
	s_delay_alu instid0(VALU_DEP_1)
	v_or_b32_e32 v6, v6, v7
	global_store_b32 v[0:1], v6, off
	s_branch .LBB72_292
.LBB72_274:
	s_mov_b32 s1, -1
	s_mov_b32 s0, 0
	s_mov_b32 s21, s15
                                        ; implicit-def: $vgpr3
                                        ; implicit-def: $vgpr2
	s_branch .LBB72_433
.LBB72_275:
	s_mov_b32 s2, -1
	s_mov_b32 s1, 0
	s_mov_b32 s0, s13
	s_branch .LBB72_361
.LBB72_276:
	s_mov_b32 s1, -1
	s_mov_b32 s0, 0
	s_mov_b32 s21, s15
                                        ; implicit-def: $vgpr3
                                        ; implicit-def: $vgpr2
	s_branch .LBB72_412
.LBB72_277:
	s_mov_b32 s2, -1
	s_mov_b32 s1, 0
	s_mov_b32 s0, s13
	s_branch .LBB72_319
.LBB72_278:
	s_mov_b32 s1, -1
	s_mov_b32 s0, 0
	s_mov_b32 s21, s15
                                        ; implicit-def: $vgpr3
                                        ; implicit-def: $vgpr2
	s_branch .LBB72_406
.LBB72_279:
	s_mov_b32 s2, -1
	s_mov_b32 s1, 0
	s_mov_b32 s0, s13
	s_branch .LBB72_302
.LBB72_280:
	s_or_saveexec_b32 s3, s3
                                        ; implicit-def: $sgpr4
	s_delay_alu instid0(SALU_CYCLE_1)
	s_xor_b32 exec_lo, exec_lo, s3
	s_cbranch_execz .LBB72_53
.LBB72_281:
	v_add_f32_e64 v7, 0x46000000, |v6|
	s_and_not1_b32 s2, s2, exec_lo
	s_mov_b32 s4, 0
	s_delay_alu instid0(VALU_DEP_1) | instskip(NEXT) | instid1(VALU_DEP_1)
	v_and_b32_e32 v7, 0xff, v7
	v_cmp_ne_u32_e32 vcc_lo, 0, v7
	s_and_b32 s5, vcc_lo, exec_lo
	s_delay_alu instid0(SALU_CYCLE_1)
	s_or_b32 s2, s2, s5
	s_or_b32 exec_lo, exec_lo, s3
	v_mov_b32_e32 v8, s4
	s_and_saveexec_b32 s3, s2
	s_cbranch_execnz .LBB72_54
	s_branch .LBB72_55
.LBB72_282:
	s_mov_b32 s1, -1
	s_mov_b32 s0, 0
	s_mov_b32 s21, s15
	s_branch .LBB72_287
.LBB72_283:
	s_mov_b32 s2, -1
	s_mov_b32 s1, 0
	s_mov_b32 s0, s13
	s_branch .LBB72_298
.LBB72_284:
	s_or_saveexec_b32 s3, s3
                                        ; implicit-def: $sgpr4
	s_delay_alu instid0(SALU_CYCLE_1)
	s_xor_b32 exec_lo, exec_lo, s3
	s_cbranch_execz .LBB72_66
.LBB72_285:
	v_add_f32_e64 v7, 0x42800000, |v6|
	s_and_not1_b32 s2, s2, exec_lo
	s_mov_b32 s4, 0
	s_delay_alu instid0(VALU_DEP_1) | instskip(NEXT) | instid1(VALU_DEP_1)
	v_and_b32_e32 v7, 0xff, v7
	v_cmp_ne_u32_e32 vcc_lo, 0, v7
	s_and_b32 s5, vcc_lo, exec_lo
	s_delay_alu instid0(SALU_CYCLE_1)
	s_or_b32 s2, s2, s5
	s_or_b32 exec_lo, exec_lo, s3
	v_mov_b32_e32 v8, s4
	s_and_saveexec_b32 s3, s2
	s_cbranch_execnz .LBB72_67
	s_branch .LBB72_68
.LBB72_286:
	s_mov_b32 s21, -1
	s_mov_b32 s0, 0
.LBB72_287:
                                        ; implicit-def: $vgpr3
                                        ; implicit-def: $vgpr2
.LBB72_288:
	s_and_b32 vcc_lo, exec_lo, s1
	s_cbranch_vccz .LBB72_405
; %bb.289:
	v_cmp_eq_u16_e32 vcc_lo, 44, v19
	s_cbranch_vccz .LBB72_403
; %bb.290:
	global_load_u8 v2, v[0:1], off
	s_mov_b32 s21, 0
	s_mov_b32 s0, -1
	s_waitcnt vmcnt(0)
	v_lshlrev_b32_e32 v3, 23, v2
	v_cmp_ne_u32_e32 vcc_lo, 0xff, v2
	s_delay_alu instid0(VALU_DEP_2) | instskip(NEXT) | instid1(VALU_DEP_1)
	v_cvt_f16_f32_e32 v3, v3
	v_cndmask_b32_e32 v3, 0x7e00, v3, vcc_lo
	v_cmp_ne_u32_e32 vcc_lo, 0, v2
	s_delay_alu instid0(VALU_DEP_2)
	v_cndmask_b32_e32 v2, 0, v3, vcc_lo
	s_branch .LBB72_404
.LBB72_291:
	s_mov_b32 s2, -1
	s_mov_b32 s1, 0
	s_mov_b32 s0, s13
.LBB72_292:
	s_and_b32 vcc_lo, exec_lo, s2
	s_cbranch_vccz .LBB72_297
; %bb.293:
	v_cmp_eq_u16_e32 vcc_lo, 44, v3
	s_mov_b32 s0, -1
	s_cbranch_vccz .LBB72_297
; %bb.294:
	v_cvt_f32_f16_e32 v6, v2
	v_mov_b32_e32 v7, 0xff
	s_mov_b32 s1, exec_lo
	s_delay_alu instid0(VALU_DEP_2) | instskip(NEXT) | instid1(VALU_DEP_1)
	v_bfe_u32 v8, v6, 23, 8
	v_cmpx_ne_u32_e32 0xff, v8
; %bb.295:
	v_and_b32_e32 v7, 0x400000, v6
	v_and_or_b32 v8, 0x3fffff, v6, v8
	v_lshrrev_b32_e32 v6, 23, v6
	s_delay_alu instid0(VALU_DEP_3) | instskip(NEXT) | instid1(VALU_DEP_3)
	v_cmp_ne_u32_e32 vcc_lo, 0, v7
	v_cmp_ne_u32_e64 s0, 0, v8
	s_delay_alu instid0(VALU_DEP_1) | instskip(NEXT) | instid1(SALU_CYCLE_1)
	s_and_b32 s0, vcc_lo, s0
	v_cndmask_b32_e64 v7, 0, 1, s0
	s_delay_alu instid0(VALU_DEP_1)
	v_add_nc_u32_e32 v7, v6, v7
; %bb.296:
	s_or_b32 exec_lo, exec_lo, s1
	s_mov_b32 s1, -1
	s_mov_b32 s0, 0
	global_store_b8 v[0:1], v7, off
.LBB72_297:
	s_mov_b32 s2, 0
.LBB72_298:
	s_delay_alu instid0(SALU_CYCLE_1)
	s_and_b32 vcc_lo, exec_lo, s2
	s_cbranch_vccz .LBB72_301
; %bb.299:
	v_cmp_eq_u16_e32 vcc_lo, 29, v3
	s_mov_b32 s0, -1
	s_cbranch_vccz .LBB72_301
; %bb.300:
	v_cvt_f32_f16_e32 v6, v2
	v_mov_b32_e32 v7, 0
	s_mov_b32 s0, 0
	s_mov_b32 s1, -1
	s_mov_b32 s2, 0
	v_cvt_u32_f32_e32 v6, v6
	global_store_b64 v[0:1], v[6:7], off
	s_branch .LBB72_302
.LBB72_301:
	s_mov_b32 s2, 0
.LBB72_302:
	s_delay_alu instid0(SALU_CYCLE_1)
	s_and_b32 vcc_lo, exec_lo, s2
	s_cbranch_vccz .LBB72_318
; %bb.303:
	v_cmp_gt_i16_e32 vcc_lo, 27, v3
	s_mov_b32 s1, -1
	s_cbranch_vccnz .LBB72_309
; %bb.304:
	v_cmp_lt_i16_e32 vcc_lo, 27, v3
	s_cbranch_vccz .LBB72_306
; %bb.305:
	v_cvt_f32_f16_e32 v6, v2
	s_mov_b32 s1, 0
	s_delay_alu instid0(VALU_DEP_1)
	v_cvt_u32_f32_e32 v6, v6
	global_store_b32 v[0:1], v6, off
.LBB72_306:
	s_and_not1_b32 vcc_lo, exec_lo, s1
	s_cbranch_vccnz .LBB72_308
; %bb.307:
	v_cvt_u16_f16_e32 v6, v2
	global_store_b16 v[0:1], v6, off
.LBB72_308:
	s_mov_b32 s1, 0
.LBB72_309:
	s_delay_alu instid0(SALU_CYCLE_1)
	s_and_not1_b32 vcc_lo, exec_lo, s1
	s_cbranch_vccnz .LBB72_317
; %bb.310:
	v_cvt_f32_f16_e32 v6, v2
	v_mov_b32_e32 v8, 0x80
	s_mov_b32 s1, exec_lo
	s_delay_alu instid0(VALU_DEP_2) | instskip(NEXT) | instid1(VALU_DEP_1)
	v_and_b32_e32 v7, 0x7fffffff, v6
	v_cmpx_gt_u32_e32 0x43800000, v7
	s_cbranch_execz .LBB72_316
; %bb.311:
	v_cmp_lt_u32_e32 vcc_lo, 0x3bffffff, v7
	s_mov_b32 s2, 0
                                        ; implicit-def: $vgpr7
	s_and_saveexec_b32 s3, vcc_lo
	s_delay_alu instid0(SALU_CYCLE_1)
	s_xor_b32 s3, exec_lo, s3
	s_cbranch_execz .LBB72_534
; %bb.312:
	v_bfe_u32 v7, v6, 20, 1
	s_mov_b32 s2, exec_lo
	s_delay_alu instid0(VALU_DEP_1) | instskip(NEXT) | instid1(VALU_DEP_1)
	v_add3_u32 v7, v6, v7, 0x487ffff
	v_lshrrev_b32_e32 v7, 20, v7
	s_or_saveexec_b32 s3, s3
                                        ; implicit-def: $sgpr4
	s_delay_alu instid0(SALU_CYCLE_1)
	s_xor_b32 exec_lo, exec_lo, s3
	s_cbranch_execnz .LBB72_535
.LBB72_313:
	s_or_b32 exec_lo, exec_lo, s3
	v_mov_b32_e32 v8, s4
	s_and_saveexec_b32 s3, s2
.LBB72_314:
	v_lshrrev_b32_e32 v6, 24, v6
	s_delay_alu instid0(VALU_DEP_1)
	v_and_or_b32 v8, 0x80, v6, v7
.LBB72_315:
	s_or_b32 exec_lo, exec_lo, s3
.LBB72_316:
	s_delay_alu instid0(SALU_CYCLE_1)
	s_or_b32 exec_lo, exec_lo, s1
	global_store_b8 v[0:1], v8, off
.LBB72_317:
	s_mov_b32 s1, -1
.LBB72_318:
	s_mov_b32 s2, 0
.LBB72_319:
	s_delay_alu instid0(SALU_CYCLE_1)
	s_and_b32 vcc_lo, exec_lo, s2
	s_cbranch_vccz .LBB72_360
; %bb.320:
	v_cmp_lt_i16_e32 vcc_lo, 22, v3
	s_mov_b32 s2, -1
	s_cbranch_vccz .LBB72_352
; %bb.321:
	v_cmp_gt_i16_e32 vcc_lo, 24, v3
	s_mov_b32 s1, -1
	s_cbranch_vccnz .LBB72_341
; %bb.322:
	v_cmp_lt_i16_e32 vcc_lo, 24, v3
	s_cbranch_vccz .LBB72_330
; %bb.323:
	v_cvt_f32_f16_e32 v6, v2
	v_mov_b32_e32 v8, 0x80
	s_mov_b32 s1, exec_lo
	s_delay_alu instid0(VALU_DEP_2) | instskip(NEXT) | instid1(VALU_DEP_1)
	v_and_b32_e32 v7, 0x7fffffff, v6
	v_cmpx_gt_u32_e32 0x47800000, v7
	s_cbranch_execz .LBB72_329
; %bb.324:
	v_cmp_lt_u32_e32 vcc_lo, 0x37ffffff, v7
	s_mov_b32 s2, 0
                                        ; implicit-def: $vgpr7
	s_and_saveexec_b32 s3, vcc_lo
	s_delay_alu instid0(SALU_CYCLE_1)
	s_xor_b32 s3, exec_lo, s3
	s_cbranch_execz .LBB72_537
; %bb.325:
	v_bfe_u32 v7, v6, 21, 1
	s_mov_b32 s2, exec_lo
	s_delay_alu instid0(VALU_DEP_1) | instskip(NEXT) | instid1(VALU_DEP_1)
	v_add3_u32 v7, v6, v7, 0x88fffff
	v_lshrrev_b32_e32 v7, 21, v7
	s_or_saveexec_b32 s3, s3
                                        ; implicit-def: $sgpr4
	s_delay_alu instid0(SALU_CYCLE_1)
	s_xor_b32 exec_lo, exec_lo, s3
	s_cbranch_execnz .LBB72_538
.LBB72_326:
	s_or_b32 exec_lo, exec_lo, s3
	v_mov_b32_e32 v8, s4
	s_and_saveexec_b32 s3, s2
.LBB72_327:
	v_lshrrev_b32_e32 v6, 24, v6
	s_delay_alu instid0(VALU_DEP_1)
	v_and_or_b32 v8, 0x80, v6, v7
.LBB72_328:
	s_or_b32 exec_lo, exec_lo, s3
.LBB72_329:
	s_delay_alu instid0(SALU_CYCLE_1)
	s_or_b32 exec_lo, exec_lo, s1
	s_mov_b32 s1, 0
	global_store_b8 v[0:1], v8, off
.LBB72_330:
	s_and_b32 vcc_lo, exec_lo, s1
	s_cbranch_vccz .LBB72_340
; %bb.331:
	v_cvt_f32_f16_e32 v6, v2
	s_mov_b32 s1, exec_lo
                                        ; implicit-def: $vgpr7
	s_delay_alu instid0(VALU_DEP_1) | instskip(NEXT) | instid1(VALU_DEP_1)
	v_and_b32_e32 v8, 0x7fffffff, v6
	v_cmpx_gt_u32_e32 0x43f00000, v8
	s_xor_b32 s1, exec_lo, s1
	s_cbranch_execz .LBB72_337
; %bb.332:
	s_mov_b32 s2, exec_lo
                                        ; implicit-def: $vgpr7
	v_cmpx_lt_u32_e32 0x3c7fffff, v8
	s_xor_b32 s2, exec_lo, s2
; %bb.333:
	v_bfe_u32 v7, v6, 20, 1
	s_delay_alu instid0(VALU_DEP_1) | instskip(NEXT) | instid1(VALU_DEP_1)
	v_add3_u32 v7, v6, v7, 0x407ffff
	v_and_b32_e32 v8, 0xff00000, v7
	v_lshrrev_b32_e32 v7, 20, v7
	s_delay_alu instid0(VALU_DEP_2) | instskip(NEXT) | instid1(VALU_DEP_2)
	v_cmp_ne_u32_e32 vcc_lo, 0x7f00000, v8
	v_cndmask_b32_e32 v7, 0x7e, v7, vcc_lo
; %bb.334:
	s_and_not1_saveexec_b32 s2, s2
; %bb.335:
	v_add_f32_e64 v7, 0x46800000, |v6|
; %bb.336:
	s_or_b32 exec_lo, exec_lo, s2
                                        ; implicit-def: $vgpr8
.LBB72_337:
	s_and_not1_saveexec_b32 s1, s1
; %bb.338:
	v_mov_b32_e32 v7, 0x7f
	v_cmp_lt_u32_e32 vcc_lo, 0x7f800000, v8
	s_delay_alu instid0(VALU_DEP_2)
	v_cndmask_b32_e32 v7, 0x7e, v7, vcc_lo
; %bb.339:
	s_or_b32 exec_lo, exec_lo, s1
	v_lshrrev_b32_e32 v6, 24, v6
	s_delay_alu instid0(VALU_DEP_1)
	v_and_or_b32 v6, 0x80, v6, v7
	global_store_b8 v[0:1], v6, off
.LBB72_340:
	s_mov_b32 s1, 0
.LBB72_341:
	s_delay_alu instid0(SALU_CYCLE_1)
	s_and_not1_b32 vcc_lo, exec_lo, s1
	s_cbranch_vccnz .LBB72_351
; %bb.342:
	v_cvt_f32_f16_e32 v6, v2
	s_mov_b32 s1, exec_lo
                                        ; implicit-def: $vgpr7
	s_delay_alu instid0(VALU_DEP_1) | instskip(NEXT) | instid1(VALU_DEP_1)
	v_and_b32_e32 v8, 0x7fffffff, v6
	v_cmpx_gt_u32_e32 0x47800000, v8
	s_xor_b32 s1, exec_lo, s1
	s_cbranch_execz .LBB72_348
; %bb.343:
	s_mov_b32 s2, exec_lo
                                        ; implicit-def: $vgpr7
	v_cmpx_lt_u32_e32 0x387fffff, v8
	s_xor_b32 s2, exec_lo, s2
; %bb.344:
	v_bfe_u32 v7, v6, 21, 1
	s_delay_alu instid0(VALU_DEP_1) | instskip(NEXT) | instid1(VALU_DEP_1)
	v_add3_u32 v7, v6, v7, 0x80fffff
	v_lshrrev_b32_e32 v7, 21, v7
; %bb.345:
	s_and_not1_saveexec_b32 s2, s2
; %bb.346:
	v_add_f32_e64 v7, 0x43000000, |v6|
; %bb.347:
	s_or_b32 exec_lo, exec_lo, s2
                                        ; implicit-def: $vgpr8
.LBB72_348:
	s_and_not1_saveexec_b32 s1, s1
; %bb.349:
	v_mov_b32_e32 v7, 0x7f
	v_cmp_lt_u32_e32 vcc_lo, 0x7f800000, v8
	s_delay_alu instid0(VALU_DEP_2)
	v_cndmask_b32_e32 v7, 0x7c, v7, vcc_lo
; %bb.350:
	s_or_b32 exec_lo, exec_lo, s1
	v_lshrrev_b32_e32 v6, 24, v6
	s_delay_alu instid0(VALU_DEP_1)
	v_and_or_b32 v6, 0x80, v6, v7
	global_store_b8 v[0:1], v6, off
.LBB72_351:
	s_mov_b32 s2, 0
	s_mov_b32 s1, -1
.LBB72_352:
	s_and_not1_b32 vcc_lo, exec_lo, s2
	s_cbranch_vccnz .LBB72_360
; %bb.353:
	v_cmp_lt_i16_e32 vcc_lo, 14, v3
	s_mov_b32 s2, -1
	s_cbranch_vccz .LBB72_357
; %bb.354:
	v_cmp_eq_u16_e32 vcc_lo, 15, v3
	s_mov_b32 s0, -1
	s_cbranch_vccz .LBB72_356
; %bb.355:
	v_cvt_f32_f16_e32 v6, v2
	v_cmp_o_f16_e32 vcc_lo, v2, v2
	s_mov_b32 s1, -1
	s_mov_b32 s0, 0
	s_delay_alu instid0(VALU_DEP_2) | instskip(NEXT) | instid1(VALU_DEP_1)
	v_bfe_u32 v7, v6, 16, 1
	v_add3_u32 v6, v6, v7, 0x7fff
	s_delay_alu instid0(VALU_DEP_1) | instskip(NEXT) | instid1(VALU_DEP_1)
	v_lshrrev_b32_e32 v6, 16, v6
	v_cndmask_b32_e32 v6, 0x7fc0, v6, vcc_lo
	global_store_b16 v[0:1], v6, off
.LBB72_356:
	s_mov_b32 s2, 0
.LBB72_357:
	s_delay_alu instid0(SALU_CYCLE_1)
	s_and_b32 vcc_lo, exec_lo, s2
	s_cbranch_vccz .LBB72_360
; %bb.358:
	v_cmp_eq_u16_e32 vcc_lo, 11, v3
	s_mov_b32 s0, -1
	s_cbranch_vccz .LBB72_360
; %bb.359:
	v_and_b32_e32 v6, 0x7fff7fff, v4
	s_mov_b32 s0, 0
	s_mov_b32 s1, -1
	s_delay_alu instid0(VALU_DEP_1)
	v_cmp_ne_u32_e32 vcc_lo, 0, v6
	v_cndmask_b32_e64 v6, 0, 1, vcc_lo
	global_store_b8 v[0:1], v6, off
.LBB72_360:
	s_mov_b32 s2, 0
.LBB72_361:
	s_delay_alu instid0(SALU_CYCLE_1)
	s_and_b32 vcc_lo, exec_lo, s2
	s_cbranch_vccz .LBB72_400
; %bb.362:
	v_cmp_gt_i16_e32 vcc_lo, 5, v3
	s_mov_b32 s1, -1
	s_cbranch_vccnz .LBB72_383
; %bb.363:
	v_cmp_gt_i16_e32 vcc_lo, 8, v3
	s_cbranch_vccnz .LBB72_373
; %bb.364:
	v_cmp_gt_i16_e32 vcc_lo, 9, v3
	s_cbranch_vccnz .LBB72_370
; %bb.365:
	v_cmp_lt_i16_e32 vcc_lo, 9, v3
	s_cbranch_vccz .LBB72_367
; %bb.366:
	v_cvt_f32_f16_e32 v6, v2
	v_cvt_f32_f16_e32 v8, v5
	s_mov_b32 s1, 0
	s_delay_alu instid0(VALU_DEP_2) | instskip(NEXT) | instid1(VALU_DEP_2)
	v_cvt_f64_f32_e32 v[6:7], v6
	v_cvt_f64_f32_e32 v[8:9], v8
	global_store_b128 v[0:1], v[6:9], off
.LBB72_367:
	s_and_not1_b32 vcc_lo, exec_lo, s1
	s_cbranch_vccnz .LBB72_369
; %bb.368:
	v_cvt_f32_f16_e32 v6, v2
	v_cvt_f32_f16_e32 v7, v5
	global_store_b64 v[0:1], v[6:7], off
.LBB72_369:
	s_mov_b32 s1, 0
.LBB72_370:
	s_delay_alu instid0(SALU_CYCLE_1)
	s_and_not1_b32 vcc_lo, exec_lo, s1
	s_cbranch_vccnz .LBB72_372
; %bb.371:
	global_store_b32 v[0:1], v4, off
.LBB72_372:
	s_mov_b32 s1, 0
.LBB72_373:
	s_delay_alu instid0(SALU_CYCLE_1)
	s_and_not1_b32 vcc_lo, exec_lo, s1
	s_cbranch_vccnz .LBB72_382
; %bb.374:
	v_cmp_gt_i16_e32 vcc_lo, 6, v3
	s_mov_b32 s1, -1
	s_cbranch_vccnz .LBB72_380
; %bb.375:
	v_cmp_lt_i16_e32 vcc_lo, 6, v3
	s_cbranch_vccz .LBB72_377
; %bb.376:
	v_cvt_f32_f16_e32 v4, v2
	s_mov_b32 s1, 0
	s_delay_alu instid0(VALU_DEP_1)
	v_cvt_f64_f32_e32 v[4:5], v4
	global_store_b64 v[0:1], v[4:5], off
.LBB72_377:
	s_and_not1_b32 vcc_lo, exec_lo, s1
	s_cbranch_vccnz .LBB72_379
; %bb.378:
	v_cvt_f32_f16_e32 v4, v2
	global_store_b32 v[0:1], v4, off
.LBB72_379:
	s_mov_b32 s1, 0
.LBB72_380:
	s_delay_alu instid0(SALU_CYCLE_1)
	s_and_not1_b32 vcc_lo, exec_lo, s1
	s_cbranch_vccnz .LBB72_382
; %bb.381:
	global_store_b16 v[0:1], v2, off
.LBB72_382:
	s_mov_b32 s1, 0
.LBB72_383:
	s_delay_alu instid0(SALU_CYCLE_1)
	s_and_not1_b32 vcc_lo, exec_lo, s1
	s_cbranch_vccnz .LBB72_399
; %bb.384:
	v_cmp_gt_i16_e32 vcc_lo, 2, v3
	s_mov_b32 s1, -1
	s_cbranch_vccnz .LBB72_394
; %bb.385:
	v_cmp_gt_i16_e32 vcc_lo, 3, v3
	s_cbranch_vccnz .LBB72_391
; %bb.386:
	v_cmp_lt_i16_e32 vcc_lo, 3, v3
	s_cbranch_vccz .LBB72_388
; %bb.387:
	v_cvt_f32_f16_e32 v4, v2
	s_mov_b32 s1, 0
	s_delay_alu instid0(VALU_DEP_1) | instskip(NEXT) | instid1(VALU_DEP_1)
	v_cvt_i32_f32_e32 v4, v4
	v_ashrrev_i32_e32 v5, 31, v4
	global_store_b64 v[0:1], v[4:5], off
.LBB72_388:
	s_and_not1_b32 vcc_lo, exec_lo, s1
	s_cbranch_vccnz .LBB72_390
; %bb.389:
	v_cvt_f32_f16_e32 v4, v2
	s_delay_alu instid0(VALU_DEP_1)
	v_cvt_i32_f32_e32 v4, v4
	global_store_b32 v[0:1], v4, off
.LBB72_390:
	s_mov_b32 s1, 0
.LBB72_391:
	s_delay_alu instid0(SALU_CYCLE_1)
	s_and_not1_b32 vcc_lo, exec_lo, s1
	s_cbranch_vccnz .LBB72_393
; %bb.392:
	v_cvt_i16_f16_e32 v4, v2
	global_store_b16 v[0:1], v4, off
.LBB72_393:
	s_mov_b32 s1, 0
.LBB72_394:
	s_delay_alu instid0(SALU_CYCLE_1)
	s_and_not1_b32 vcc_lo, exec_lo, s1
	s_cbranch_vccnz .LBB72_399
; %bb.395:
	v_cmp_lt_i16_e32 vcc_lo, 0, v3
	s_mov_b32 s1, -1
	s_cbranch_vccz .LBB72_397
; %bb.396:
	v_cvt_i16_f16_e32 v3, v2
	s_mov_b32 s1, 0
	global_store_b8 v[0:1], v3, off
.LBB72_397:
	s_and_not1_b32 vcc_lo, exec_lo, s1
	s_cbranch_vccnz .LBB72_399
; %bb.398:
	v_cvt_f32_f16_e32 v2, v2
	s_delay_alu instid0(VALU_DEP_1)
	v_cvt_i32_f32_e32 v2, v2
	global_store_b8 v[0:1], v2, off
.LBB72_399:
	s_mov_b32 s1, -1
.LBB72_400:
	s_delay_alu instid0(SALU_CYCLE_1)
	s_and_not1_b32 vcc_lo, exec_lo, s1
	s_cbranch_vccnz .LBB72_402
; %bb.401:
	v_add_nc_u32_e32 v18, 0x80, v18
	s_mov_b32 s1, -1
	s_branch .LBB72_520
.LBB72_402:
	s_mov_b32 s1, 0
	s_branch .LBB72_519
.LBB72_403:
	s_mov_b32 s21, -1
                                        ; implicit-def: $vgpr2
.LBB72_404:
	s_delay_alu instid0(SALU_CYCLE_1)
	v_mov_b32_e32 v3, s21
.LBB72_405:
	s_mov_b32 s1, 0
.LBB72_406:
	s_delay_alu instid0(SALU_CYCLE_1)
	s_and_b32 vcc_lo, exec_lo, s1
	s_cbranch_vccz .LBB72_411
; %bb.407:
	v_cmp_eq_u16_e32 vcc_lo, 29, v19
	s_cbranch_vccz .LBB72_409
; %bb.408:
	global_load_b64 v[2:3], v[0:1], off
	s_mov_b32 s0, -1
	s_mov_b32 s21, 0
	s_mov_b32 s1, 0
	s_waitcnt vmcnt(0)
	v_clz_i32_u32_e32 v4, v3
	s_delay_alu instid0(VALU_DEP_1) | instskip(NEXT) | instid1(VALU_DEP_1)
	v_min_u32_e32 v4, 32, v4
	v_lshlrev_b64 v[2:3], v4, v[2:3]
	s_delay_alu instid0(VALU_DEP_1) | instskip(NEXT) | instid1(VALU_DEP_1)
	v_min_u32_e32 v2, 1, v2
	v_or_b32_e32 v2, v3, v2
	v_sub_nc_u32_e32 v3, 32, v4
	s_delay_alu instid0(VALU_DEP_2) | instskip(NEXT) | instid1(VALU_DEP_1)
	v_cvt_f32_u32_e32 v2, v2
	v_ldexp_f32 v2, v2, v3
	s_delay_alu instid0(VALU_DEP_1)
	v_cvt_f16_f32_e32 v2, v2
	s_branch .LBB72_410
.LBB72_409:
	s_mov_b32 s21, -1
                                        ; implicit-def: $sgpr1
                                        ; implicit-def: $vgpr2
.LBB72_410:
	v_mov_b32_e32 v3, s1
.LBB72_411:
	s_mov_b32 s1, 0
.LBB72_412:
	s_delay_alu instid0(SALU_CYCLE_1)
	s_and_b32 vcc_lo, exec_lo, s1
	s_cbranch_vccz .LBB72_432
; %bb.413:
	v_cmp_gt_i16_e32 vcc_lo, 27, v19
	s_cbranch_vccnz .LBB72_416
; %bb.414:
	v_cmp_lt_i16_e32 vcc_lo, 27, v19
	s_cbranch_vccz .LBB72_417
; %bb.415:
	global_load_b32 v2, v[0:1], off
	s_mov_b32 s1, 0
	s_mov_b32 s0, 0
	s_waitcnt vmcnt(0)
	v_cvt_f32_u32_e32 v2, v2
	s_delay_alu instid0(VALU_DEP_1)
	v_cvt_f16_f32_e32 v2, v2
	s_branch .LBB72_418
.LBB72_416:
	s_mov_b32 s1, -1
                                        ; implicit-def: $sgpr0
                                        ; implicit-def: $vgpr2
	s_branch .LBB72_421
.LBB72_417:
	s_mov_b32 s1, -1
                                        ; implicit-def: $sgpr0
                                        ; implicit-def: $vgpr2
.LBB72_418:
	s_delay_alu instid0(SALU_CYCLE_1)
	s_and_not1_b32 vcc_lo, exec_lo, s1
	s_cbranch_vccnz .LBB72_420
; %bb.419:
	global_load_u16 v2, v[0:1], off
	s_mov_b32 s0, 0
	s_waitcnt vmcnt(0)
	v_cvt_f16_u16_e32 v2, v2
.LBB72_420:
	s_mov_b32 s1, 0
.LBB72_421:
	v_mov_b32_e32 v3, s0
	s_and_not1_b32 vcc_lo, exec_lo, s1
	s_cbranch_vccnz .LBB72_431
; %bb.422:
	global_load_u8 v4, v[0:1], off
	s_mov_b32 s0, 0
	s_mov_b32 s3, exec_lo
                                        ; implicit-def: $sgpr2
                                        ; implicit-def: $sgpr1
	s_waitcnt vmcnt(0)
	v_cmpx_lt_i16_e32 0x7f, v4
	s_xor_b32 s3, exec_lo, s3
	s_cbranch_execz .LBB72_426
; %bb.423:
	s_mov_b32 s0, -1
	s_mov_b32 s4, exec_lo
                                        ; implicit-def: $sgpr2
                                        ; implicit-def: $sgpr1
	v_cmpx_eq_u16_e32 0x80, v4
; %bb.424:
	s_movk_i32 s1, 0x7e00
	s_mov_b32 s2, 0
	s_xor_b32 s0, exec_lo, -1
; %bb.425:
	s_or_b32 exec_lo, exec_lo, s4
	s_delay_alu instid0(SALU_CYCLE_1)
	s_and_b32 s0, s0, exec_lo
.LBB72_426:
	s_or_saveexec_b32 s3, s3
	v_dual_mov_b32 v3, s2 :: v_dual_mov_b32 v2, s1
	s_xor_b32 exec_lo, exec_lo, s3
; %bb.427:
	v_cmp_ne_u16_e32 vcc_lo, 0, v4
	v_dual_mov_b32 v3, 0 :: v_dual_mov_b32 v2, v4
	s_and_not1_b32 s0, s0, exec_lo
	s_and_b32 s1, vcc_lo, exec_lo
	s_delay_alu instid0(SALU_CYCLE_1)
	s_or_b32 s0, s0, s1
; %bb.428:
	s_or_b32 exec_lo, exec_lo, s3
	s_and_saveexec_b32 s1, s0
	s_cbranch_execz .LBB72_430
; %bb.429:
	v_and_b32_e32 v2, 0xffff, v4
	v_lshlrev_b32_e32 v4, 24, v4
	s_delay_alu instid0(VALU_DEP_2) | instskip(NEXT) | instid1(VALU_DEP_2)
	v_and_b32_e32 v3, 7, v2
	v_and_b32_e32 v4, 0x80000000, v4
	s_delay_alu instid0(VALU_DEP_2) | instskip(NEXT) | instid1(VALU_DEP_1)
	v_clz_i32_u32_e32 v5, v3
	v_min_u32_e32 v5, 32, v5
	s_delay_alu instid0(VALU_DEP_1) | instskip(SKIP_1) | instid1(VALU_DEP_2)
	v_subrev_nc_u32_e32 v6, 28, v5
	v_sub_nc_u32_e32 v5, 29, v5
	v_lshlrev_b32_e32 v6, v6, v2
	v_bfe_u32 v2, v2, 3, 4
	s_delay_alu instid0(VALU_DEP_2) | instskip(NEXT) | instid1(VALU_DEP_2)
	v_and_b32_e32 v6, 7, v6
	v_cmp_eq_u32_e32 vcc_lo, 0, v2
	s_delay_alu instid0(VALU_DEP_2) | instskip(NEXT) | instid1(VALU_DEP_1)
	v_dual_cndmask_b32 v2, v2, v5 :: v_dual_cndmask_b32 v3, v3, v6
	v_lshl_add_u32 v2, v2, 23, 0x3b800000
	s_delay_alu instid0(VALU_DEP_2) | instskip(NEXT) | instid1(VALU_DEP_1)
	v_lshlrev_b32_e32 v3, 20, v3
	v_or3_b32 v2, v4, v2, v3
	v_mov_b32_e32 v3, 0
	s_delay_alu instid0(VALU_DEP_2)
	v_cvt_f16_f32_e32 v2, v2
.LBB72_430:
	s_or_b32 exec_lo, exec_lo, s1
.LBB72_431:
	s_mov_b32 s0, -1
.LBB72_432:
	s_mov_b32 s1, 0
.LBB72_433:
	s_delay_alu instid0(SALU_CYCLE_1)
	s_and_b32 vcc_lo, exec_lo, s1
	s_cbranch_vccz .LBB72_467
; %bb.434:
	v_cmp_lt_i16_e32 vcc_lo, 22, v19
	s_cbranch_vccz .LBB72_446
; %bb.435:
	v_cmp_gt_i16_e32 vcc_lo, 24, v19
	s_cbranch_vccnz .LBB72_447
; %bb.436:
	v_cmp_lt_i16_e32 vcc_lo, 24, v19
	s_cbranch_vccz .LBB72_448
; %bb.437:
	global_load_u8 v4, v[0:1], off
	s_mov_b32 s0, 0
	s_mov_b32 s3, exec_lo
                                        ; implicit-def: $sgpr2
                                        ; implicit-def: $sgpr1
	s_waitcnt vmcnt(0)
	v_cmpx_lt_i16_e32 0x7f, v4
	s_xor_b32 s3, exec_lo, s3
	s_cbranch_execz .LBB72_441
; %bb.438:
	s_mov_b32 s0, -1
	s_mov_b32 s4, exec_lo
                                        ; implicit-def: $sgpr2
                                        ; implicit-def: $sgpr1
	v_cmpx_eq_u16_e32 0x80, v4
; %bb.439:
	s_movk_i32 s1, 0x7e00
	s_mov_b32 s2, 0
	s_xor_b32 s0, exec_lo, -1
; %bb.440:
	s_or_b32 exec_lo, exec_lo, s4
	s_delay_alu instid0(SALU_CYCLE_1)
	s_and_b32 s0, s0, exec_lo
.LBB72_441:
	s_or_saveexec_b32 s3, s3
	v_dual_mov_b32 v3, s2 :: v_dual_mov_b32 v2, s1
	s_xor_b32 exec_lo, exec_lo, s3
; %bb.442:
	v_cmp_ne_u16_e32 vcc_lo, 0, v4
	v_dual_mov_b32 v3, 0 :: v_dual_mov_b32 v2, v4
	s_and_not1_b32 s0, s0, exec_lo
	s_and_b32 s1, vcc_lo, exec_lo
	s_delay_alu instid0(SALU_CYCLE_1)
	s_or_b32 s0, s0, s1
; %bb.443:
	s_or_b32 exec_lo, exec_lo, s3
	s_and_saveexec_b32 s1, s0
	s_cbranch_execz .LBB72_445
; %bb.444:
	v_and_b32_e32 v2, 0xffff, v4
	v_lshlrev_b32_e32 v4, 24, v4
	s_delay_alu instid0(VALU_DEP_2) | instskip(NEXT) | instid1(VALU_DEP_2)
	v_and_b32_e32 v3, 3, v2
	v_and_b32_e32 v4, 0x80000000, v4
	s_delay_alu instid0(VALU_DEP_2) | instskip(NEXT) | instid1(VALU_DEP_1)
	v_clz_i32_u32_e32 v5, v3
	v_min_u32_e32 v5, 32, v5
	s_delay_alu instid0(VALU_DEP_1) | instskip(SKIP_1) | instid1(VALU_DEP_2)
	v_subrev_nc_u32_e32 v6, 29, v5
	v_sub_nc_u32_e32 v5, 30, v5
	v_lshlrev_b32_e32 v6, v6, v2
	v_bfe_u32 v2, v2, 2, 5
	s_delay_alu instid0(VALU_DEP_2) | instskip(NEXT) | instid1(VALU_DEP_2)
	v_and_b32_e32 v6, 3, v6
	v_cmp_eq_u32_e32 vcc_lo, 0, v2
	s_delay_alu instid0(VALU_DEP_2) | instskip(NEXT) | instid1(VALU_DEP_1)
	v_dual_cndmask_b32 v2, v2, v5 :: v_dual_cndmask_b32 v3, v3, v6
	v_lshl_add_u32 v2, v2, 23, 0x37800000
	s_delay_alu instid0(VALU_DEP_2) | instskip(NEXT) | instid1(VALU_DEP_1)
	v_lshlrev_b32_e32 v3, 21, v3
	v_or3_b32 v2, v4, v2, v3
	v_mov_b32_e32 v3, 0
	s_delay_alu instid0(VALU_DEP_2)
	v_cvt_f16_f32_e32 v2, v2
.LBB72_445:
	s_or_b32 exec_lo, exec_lo, s1
	s_mov_b32 s0, 0
	s_branch .LBB72_449
.LBB72_446:
	s_mov_b32 s1, -1
                                        ; implicit-def: $vgpr3
                                        ; implicit-def: $vgpr2
	s_branch .LBB72_455
.LBB72_447:
	s_mov_b32 s0, -1
                                        ; implicit-def: $vgpr3
                                        ; implicit-def: $vgpr2
	s_branch .LBB72_452
.LBB72_448:
	s_mov_b32 s0, -1
                                        ; implicit-def: $vgpr3
                                        ; implicit-def: $vgpr2
.LBB72_449:
	s_delay_alu instid0(SALU_CYCLE_1)
	s_and_b32 vcc_lo, exec_lo, s0
	s_cbranch_vccz .LBB72_451
; %bb.450:
	global_load_u8 v2, v[0:1], off
	s_waitcnt vmcnt(0)
	v_lshlrev_b32_e32 v2, 24, v2
	s_delay_alu instid0(VALU_DEP_1) | instskip(NEXT) | instid1(VALU_DEP_1)
	v_and_b32_e32 v3, 0x7f000000, v2
	v_clz_i32_u32_e32 v4, v3
	v_add_nc_u32_e32 v6, 0x1000000, v3
	v_cmp_ne_u32_e32 vcc_lo, 0, v3
	s_delay_alu instid0(VALU_DEP_3) | instskip(NEXT) | instid1(VALU_DEP_1)
	v_min_u32_e32 v4, 32, v4
	v_sub_nc_u32_e64 v4, v4, 4 clamp
	s_delay_alu instid0(VALU_DEP_1) | instskip(SKIP_1) | instid1(VALU_DEP_2)
	v_lshlrev_b32_e32 v5, v4, v3
	v_lshlrev_b32_e32 v4, 23, v4
	v_lshrrev_b32_e32 v5, 4, v5
	s_delay_alu instid0(VALU_DEP_1) | instskip(SKIP_1) | instid1(VALU_DEP_2)
	v_sub_nc_u32_e32 v4, v5, v4
	v_ashrrev_i32_e32 v5, 8, v6
	v_add_nc_u32_e32 v4, 0x3c000000, v4
	s_delay_alu instid0(VALU_DEP_1) | instskip(NEXT) | instid1(VALU_DEP_1)
	v_and_or_b32 v4, 0x7f800000, v5, v4
	v_cndmask_b32_e32 v3, 0, v4, vcc_lo
	s_delay_alu instid0(VALU_DEP_1) | instskip(SKIP_1) | instid1(VALU_DEP_2)
	v_and_or_b32 v2, 0x80000000, v2, v3
	v_mov_b32_e32 v3, 0
	v_cvt_f16_f32_e32 v2, v2
.LBB72_451:
	s_mov_b32 s0, 0
.LBB72_452:
	s_delay_alu instid0(SALU_CYCLE_1)
	s_and_not1_b32 vcc_lo, exec_lo, s0
	s_cbranch_vccnz .LBB72_454
; %bb.453:
	global_load_u8 v2, v[0:1], off
	s_waitcnt vmcnt(0)
	v_lshlrev_b32_e32 v3, 25, v2
	v_lshlrev_b16 v2, 8, v2
	s_delay_alu instid0(VALU_DEP_2) | instskip(NEXT) | instid1(VALU_DEP_2)
	v_lshrrev_b32_e32 v4, 4, v3
	v_and_or_b32 v5, 0x7f00, v2, 0.5
	v_bfe_i32 v2, v2, 0, 16
	s_delay_alu instid0(VALU_DEP_3) | instskip(NEXT) | instid1(VALU_DEP_1)
	v_or_b32_e32 v4, 0x70000000, v4
	v_dual_add_f32 v5, -0.5, v5 :: v_dual_mul_f32 v4, 0x7800000, v4
	v_cmp_gt_u32_e32 vcc_lo, 0x8000000, v3
	s_delay_alu instid0(VALU_DEP_2) | instskip(NEXT) | instid1(VALU_DEP_1)
	v_cndmask_b32_e32 v3, v4, v5, vcc_lo
	v_and_or_b32 v2, 0x80000000, v2, v3
	v_mov_b32_e32 v3, 0
	s_delay_alu instid0(VALU_DEP_2)
	v_cvt_f16_f32_e32 v2, v2
.LBB72_454:
	s_mov_b32 s1, 0
	s_mov_b32 s0, -1
.LBB72_455:
	s_and_not1_b32 vcc_lo, exec_lo, s1
	s_cbranch_vccnz .LBB72_467
; %bb.456:
	v_cmp_lt_i16_e32 vcc_lo, 14, v19
	s_cbranch_vccz .LBB72_459
; %bb.457:
	v_cmp_eq_u16_e32 vcc_lo, 15, v19
	s_cbranch_vccz .LBB72_460
; %bb.458:
	global_load_u16 v2, v[0:1], off
	s_mov_b32 s0, -1
	s_mov_b32 s21, 0
	s_mov_b32 s1, 0
	s_waitcnt vmcnt(0)
	v_lshlrev_b32_e32 v2, 16, v2
	s_delay_alu instid0(VALU_DEP_1)
	v_cvt_f16_f32_e32 v2, v2
	s_branch .LBB72_461
.LBB72_459:
	s_mov_b32 s2, -1
                                        ; implicit-def: $sgpr1
                                        ; implicit-def: $vgpr2
	s_branch .LBB72_462
.LBB72_460:
	s_mov_b32 s21, -1
                                        ; implicit-def: $sgpr1
                                        ; implicit-def: $vgpr2
.LBB72_461:
	s_mov_b32 s2, 0
.LBB72_462:
	s_delay_alu instid0(SALU_CYCLE_1)
	s_and_b32 vcc_lo, exec_lo, s2
	s_cbranch_vccz .LBB72_466
; %bb.463:
	v_cmp_eq_u16_e32 vcc_lo, 11, v19
	s_cbranch_vccz .LBB72_465
; %bb.464:
	global_load_u8 v2, v[0:1], off
	s_mov_b32 s1, 0
	s_mov_b32 s0, -1
	s_mov_b32 s21, 0
	s_waitcnt vmcnt(0)
	v_cmp_ne_u16_e32 vcc_lo, 0, v2
	v_cndmask_b32_e64 v2, 0, 0x3c00, vcc_lo
	s_branch .LBB72_466
.LBB72_465:
	s_mov_b32 s21, -1
                                        ; implicit-def: $sgpr1
                                        ; implicit-def: $vgpr2
.LBB72_466:
	v_mov_b32_e32 v3, s1
.LBB72_467:
	s_branch .LBB72_266
.LBB72_468:
	v_cmp_gt_i16_e32 vcc_lo, 5, v19
	s_cbranch_vccnz .LBB72_473
; %bb.469:
	v_cmp_gt_i16_e32 vcc_lo, 8, v19
	s_cbranch_vccnz .LBB72_474
; %bb.470:
	v_cmp_gt_i16_e32 vcc_lo, 9, v19
	s_cbranch_vccnz .LBB72_475
; %bb.471:
	v_cmp_lt_i16_e32 vcc_lo, 9, v19
	s_cbranch_vccz .LBB72_476
; %bb.472:
	global_load_b128 v[2:5], v[0:1], off
	s_mov_b32 s0, 0
	s_waitcnt vmcnt(0)
	v_cvt_f32_f64_e32 v2, v[2:3]
	v_cvt_f32_f64_e32 v3, v[4:5]
	s_delay_alu instid0(VALU_DEP_2) | instskip(NEXT) | instid1(VALU_DEP_2)
	v_cvt_f16_f32_e32 v2, v2
	v_cvt_f16_f32_e32 v3, v3
	s_branch .LBB72_477
.LBB72_473:
	s_mov_b32 s0, -1
                                        ; implicit-def: $vgpr3
                                        ; implicit-def: $vgpr2
	s_branch .LBB72_496
.LBB72_474:
	s_mov_b32 s0, -1
                                        ; implicit-def: $vgpr3
                                        ; implicit-def: $vgpr2
	s_branch .LBB72_483
.LBB72_475:
	s_mov_b32 s0, -1
                                        ; implicit-def: $vgpr3
                                        ; implicit-def: $vgpr2
	s_branch .LBB72_480
.LBB72_476:
	s_mov_b32 s0, -1
                                        ; implicit-def: $vgpr3
                                        ; implicit-def: $vgpr2
.LBB72_477:
	s_delay_alu instid0(SALU_CYCLE_1)
	s_and_not1_b32 vcc_lo, exec_lo, s0
	s_cbranch_vccnz .LBB72_479
; %bb.478:
	global_load_b64 v[2:3], v[0:1], off
	s_waitcnt vmcnt(0)
	v_cvt_f16_f32_e32 v2, v2
	v_cvt_f16_f32_e32 v3, v3
.LBB72_479:
	s_mov_b32 s0, 0
.LBB72_480:
	s_delay_alu instid0(SALU_CYCLE_1)
	s_and_not1_b32 vcc_lo, exec_lo, s0
	s_cbranch_vccnz .LBB72_482
; %bb.481:
	global_load_b32 v2, v[0:1], off
	s_waitcnt vmcnt(0)
	v_lshrrev_b32_e32 v3, 16, v2
.LBB72_482:
	s_mov_b32 s0, 0
.LBB72_483:
	s_delay_alu instid0(SALU_CYCLE_1)
	s_and_not1_b32 vcc_lo, exec_lo, s0
	s_cbranch_vccnz .LBB72_495
; %bb.484:
	v_cmp_gt_i16_e32 vcc_lo, 6, v19
	s_cbranch_vccnz .LBB72_487
; %bb.485:
	v_cmp_lt_i16_e32 vcc_lo, 6, v19
	s_cbranch_vccz .LBB72_488
; %bb.486:
	global_load_b64 v[2:3], v[0:1], off
	s_mov_b32 s1, 0
	s_mov_b32 s0, 0
	s_waitcnt vmcnt(0)
	v_cvt_f32_f64_e32 v2, v[2:3]
	s_delay_alu instid0(VALU_DEP_1)
	v_cvt_f16_f32_e32 v2, v2
	s_branch .LBB72_489
.LBB72_487:
	s_mov_b32 s1, -1
                                        ; implicit-def: $sgpr0
                                        ; implicit-def: $vgpr2
	s_branch .LBB72_492
.LBB72_488:
	s_mov_b32 s1, -1
                                        ; implicit-def: $sgpr0
                                        ; implicit-def: $vgpr2
.LBB72_489:
	s_delay_alu instid0(SALU_CYCLE_1)
	s_and_not1_b32 vcc_lo, exec_lo, s1
	s_cbranch_vccnz .LBB72_491
; %bb.490:
	global_load_b32 v2, v[0:1], off
	s_mov_b32 s0, 0
	s_waitcnt vmcnt(0)
	v_cvt_f16_f32_e32 v2, v2
.LBB72_491:
	s_mov_b32 s1, 0
.LBB72_492:
	s_delay_alu instid0(SALU_CYCLE_1)
	s_and_not1_b32 vcc_lo, exec_lo, s1
	s_cbranch_vccnz .LBB72_494
; %bb.493:
	global_load_u16 v2, v[0:1], off
	s_mov_b32 s0, 0
.LBB72_494:
	s_delay_alu instid0(SALU_CYCLE_1)
	v_mov_b32_e32 v3, s0
.LBB72_495:
	s_mov_b32 s0, 0
.LBB72_496:
	s_delay_alu instid0(SALU_CYCLE_1)
	s_and_not1_b32 vcc_lo, exec_lo, s0
	s_cbranch_vccnz .LBB72_517
; %bb.497:
	v_cmp_gt_i16_e32 vcc_lo, 2, v19
	s_cbranch_vccnz .LBB72_501
; %bb.498:
	v_cmp_gt_i16_e32 vcc_lo, 3, v19
	s_cbranch_vccnz .LBB72_502
; %bb.499:
	v_cmp_lt_i16_e32 vcc_lo, 3, v19
	s_cbranch_vccz .LBB72_503
; %bb.500:
	global_load_b64 v[2:3], v[0:1], off
	s_mov_b32 s1, 0
	s_mov_b32 s0, 0
	s_waitcnt vmcnt(0)
	v_xor_b32_e32 v4, v2, v3
	v_cls_i32_e32 v5, v3
	s_delay_alu instid0(VALU_DEP_2) | instskip(NEXT) | instid1(VALU_DEP_2)
	v_ashrrev_i32_e32 v4, 31, v4
	v_add_nc_u32_e32 v5, -1, v5
	s_delay_alu instid0(VALU_DEP_2) | instskip(NEXT) | instid1(VALU_DEP_1)
	v_add_nc_u32_e32 v4, 32, v4
	v_min_u32_e32 v4, v5, v4
	s_delay_alu instid0(VALU_DEP_1) | instskip(NEXT) | instid1(VALU_DEP_1)
	v_lshlrev_b64 v[2:3], v4, v[2:3]
	v_min_u32_e32 v2, 1, v2
	s_delay_alu instid0(VALU_DEP_1) | instskip(SKIP_1) | instid1(VALU_DEP_2)
	v_or_b32_e32 v2, v3, v2
	v_sub_nc_u32_e32 v3, 32, v4
	v_cvt_f32_i32_e32 v2, v2
	s_delay_alu instid0(VALU_DEP_1) | instskip(NEXT) | instid1(VALU_DEP_1)
	v_ldexp_f32 v2, v2, v3
	v_cvt_f16_f32_e32 v2, v2
	s_branch .LBB72_504
.LBB72_501:
	s_mov_b32 s1, -1
                                        ; implicit-def: $sgpr0
                                        ; implicit-def: $vgpr2
	s_branch .LBB72_510
.LBB72_502:
	s_mov_b32 s1, -1
                                        ; implicit-def: $sgpr0
                                        ; implicit-def: $vgpr2
	s_branch .LBB72_507
.LBB72_503:
	s_mov_b32 s1, -1
                                        ; implicit-def: $sgpr0
                                        ; implicit-def: $vgpr2
.LBB72_504:
	s_delay_alu instid0(SALU_CYCLE_1)
	s_and_not1_b32 vcc_lo, exec_lo, s1
	s_cbranch_vccnz .LBB72_506
; %bb.505:
	global_load_b32 v2, v[0:1], off
	s_mov_b32 s0, 0
	s_waitcnt vmcnt(0)
	v_cvt_f32_i32_e32 v2, v2
	s_delay_alu instid0(VALU_DEP_1)
	v_cvt_f16_f32_e32 v2, v2
.LBB72_506:
	s_mov_b32 s1, 0
.LBB72_507:
	s_delay_alu instid0(SALU_CYCLE_1)
	s_and_not1_b32 vcc_lo, exec_lo, s1
	s_cbranch_vccnz .LBB72_509
; %bb.508:
	global_load_u16 v2, v[0:1], off
	s_mov_b32 s0, 0
	s_waitcnt vmcnt(0)
	v_cvt_f16_i16_e32 v2, v2
.LBB72_509:
	s_mov_b32 s1, 0
.LBB72_510:
	s_delay_alu instid0(SALU_CYCLE_1)
	s_and_not1_b32 vcc_lo, exec_lo, s1
	s_cbranch_vccnz .LBB72_516
; %bb.511:
	v_cmp_lt_i16_e32 vcc_lo, 0, v19
	s_mov_b32 s1, 0
	s_cbranch_vccz .LBB72_513
; %bb.512:
	global_load_i8 v2, v[0:1], off
	s_mov_b32 s0, 0
	s_waitcnt vmcnt(0)
	v_cvt_f16_i16_e32 v2, v2
	s_branch .LBB72_514
.LBB72_513:
	s_mov_b32 s1, -1
                                        ; implicit-def: $sgpr0
                                        ; implicit-def: $vgpr2
.LBB72_514:
	s_delay_alu instid0(SALU_CYCLE_1)
	s_and_not1_b32 vcc_lo, exec_lo, s1
	s_cbranch_vccnz .LBB72_516
; %bb.515:
	global_load_u8 v0, v[0:1], off
	s_mov_b32 s0, 0
	s_waitcnt vmcnt(0)
	v_cvt_f16_u16_e32 v2, v0
.LBB72_516:
	v_mov_b32_e32 v3, s0
.LBB72_517:
	s_branch .LBB72_267
.LBB72_518:
	s_mov_b32 s1, 0
	s_mov_b32 s0, s13
.LBB72_519:
                                        ; implicit-def: $vgpr18
.LBB72_520:
	s_and_not1_b32 s2, s13, exec_lo
	s_and_b32 s0, s0, exec_lo
	s_and_not1_b32 s3, s15, exec_lo
	s_and_b32 s4, s21, exec_lo
	s_or_b32 s22, s2, s0
	s_or_b32 s21, s3, s4
	s_or_not1_b32 s3, s1, exec_lo
.LBB72_521:
	s_or_b32 exec_lo, exec_lo, s23
	s_mov_b32 s1, 0
	s_mov_b32 s2, 0
	;; [unrolled: 1-line block ×3, first 2 shown]
                                        ; implicit-def: $vgpr0_vgpr1
                                        ; implicit-def: $vgpr6
                                        ; implicit-def: $vgpr4
	s_and_saveexec_b32 s23, s3
	s_cbranch_execz .LBB72_876
; %bb.522:
	s_mov_b32 s0, -1
	s_mov_b32 s1, s21
	s_mov_b32 s2, s22
	s_mov_b32 s24, exec_lo
	v_cmpx_gt_i32_e64 s14, v18
	s_cbranch_execz .LBB72_787
; %bb.523:
	v_mul_lo_u32 v0, v18, s11
	v_cmp_gt_i16_e32 vcc_lo, 11, v19
	s_delay_alu instid0(VALU_DEP_2) | instskip(SKIP_1) | instid1(VALU_DEP_1)
	v_ashrrev_i32_e32 v1, 31, v0
	v_add_co_u32 v0, s0, s18, v0
	v_add_co_ci_u32_e64 v1, s0, s19, v1, s0
	s_cbranch_vccnz .LBB72_530
; %bb.524:
	v_cmp_lt_i16_e32 vcc_lo, 25, v19
	s_cbranch_vccz .LBB72_531
; %bb.525:
	v_cmp_lt_i16_e32 vcc_lo, 28, v19
	s_cbranch_vccz .LBB72_532
	;; [unrolled: 3-line block ×4, first 2 shown]
; %bb.528:
	v_cmp_eq_u16_e32 vcc_lo, 46, v19
	s_mov_b32 s1, 0
	s_cbranch_vccz .LBB72_539
; %bb.529:
	global_load_b32 v2, v[0:1], off
	s_mov_b32 s0, -1
	s_mov_b32 s25, 0
	s_waitcnt vmcnt(0)
	v_lshlrev_b32_e32 v3, 16, v2
	v_and_b32_e32 v4, 0xffff0000, v2
	s_delay_alu instid0(VALU_DEP_2) | instskip(NEXT) | instid1(VALU_DEP_2)
	v_cvt_f16_f32_e32 v2, v3
	v_cvt_f16_f32_e32 v3, v4
	s_branch .LBB72_541
.LBB72_530:
	s_mov_b32 s1, -1
	s_mov_b32 s0, 0
	s_mov_b32 s25, s21
                                        ; implicit-def: $vgpr3
                                        ; implicit-def: $vgpr2
	s_branch .LBB72_609
.LBB72_531:
	s_mov_b32 s1, -1
	s_mov_b32 s0, 0
	s_mov_b32 s25, s21
                                        ; implicit-def: $vgpr3
                                        ; implicit-def: $vgpr2
	s_branch .LBB72_574
.LBB72_532:
	s_mov_b32 s1, -1
	s_mov_b32 s0, 0
	s_mov_b32 s25, s21
                                        ; implicit-def: $vgpr3
                                        ; implicit-def: $vgpr2
	s_branch .LBB72_553
.LBB72_533:
	s_mov_b32 s1, -1
	s_mov_b32 s0, 0
	s_mov_b32 s25, s21
                                        ; implicit-def: $vgpr3
                                        ; implicit-def: $vgpr2
	s_branch .LBB72_547
.LBB72_534:
	s_or_saveexec_b32 s3, s3
                                        ; implicit-def: $sgpr4
	s_delay_alu instid0(SALU_CYCLE_1)
	s_xor_b32 exec_lo, exec_lo, s3
	s_cbranch_execz .LBB72_313
.LBB72_535:
	v_add_f32_e64 v7, 0x46000000, |v6|
	s_and_not1_b32 s2, s2, exec_lo
	s_mov_b32 s4, 0
	s_delay_alu instid0(VALU_DEP_1) | instskip(NEXT) | instid1(VALU_DEP_1)
	v_and_b32_e32 v7, 0xff, v7
	v_cmp_ne_u32_e32 vcc_lo, 0, v7
	s_and_b32 s5, vcc_lo, exec_lo
	s_delay_alu instid0(SALU_CYCLE_1)
	s_or_b32 s2, s2, s5
	s_or_b32 exec_lo, exec_lo, s3
	v_mov_b32_e32 v8, s4
	s_and_saveexec_b32 s3, s2
	s_cbranch_execnz .LBB72_314
	s_branch .LBB72_315
.LBB72_536:
	s_mov_b32 s1, -1
	s_mov_b32 s0, 0
	s_mov_b32 s25, s21
	s_branch .LBB72_540
.LBB72_537:
	s_or_saveexec_b32 s3, s3
                                        ; implicit-def: $sgpr4
	s_delay_alu instid0(SALU_CYCLE_1)
	s_xor_b32 exec_lo, exec_lo, s3
	s_cbranch_execz .LBB72_326
.LBB72_538:
	v_add_f32_e64 v7, 0x42800000, |v6|
	s_and_not1_b32 s2, s2, exec_lo
	s_mov_b32 s4, 0
	s_delay_alu instid0(VALU_DEP_1) | instskip(NEXT) | instid1(VALU_DEP_1)
	v_and_b32_e32 v7, 0xff, v7
	v_cmp_ne_u32_e32 vcc_lo, 0, v7
	s_and_b32 s5, vcc_lo, exec_lo
	s_delay_alu instid0(SALU_CYCLE_1)
	s_or_b32 s2, s2, s5
	s_or_b32 exec_lo, exec_lo, s3
	v_mov_b32_e32 v8, s4
	s_and_saveexec_b32 s3, s2
	s_cbranch_execnz .LBB72_327
	s_branch .LBB72_328
.LBB72_539:
	s_mov_b32 s25, -1
	s_mov_b32 s0, 0
.LBB72_540:
                                        ; implicit-def: $vgpr3
                                        ; implicit-def: $vgpr2
.LBB72_541:
	s_and_b32 vcc_lo, exec_lo, s1
	s_cbranch_vccz .LBB72_546
; %bb.542:
	v_cmp_eq_u16_e32 vcc_lo, 44, v19
	s_cbranch_vccz .LBB72_544
; %bb.543:
	global_load_u8 v2, v[0:1], off
	s_mov_b32 s25, 0
	s_mov_b32 s0, -1
	s_waitcnt vmcnt(0)
	v_lshlrev_b32_e32 v3, 23, v2
	v_cmp_ne_u32_e32 vcc_lo, 0xff, v2
	s_delay_alu instid0(VALU_DEP_2) | instskip(NEXT) | instid1(VALU_DEP_1)
	v_cvt_f16_f32_e32 v3, v3
	v_cndmask_b32_e32 v3, 0x7e00, v3, vcc_lo
	v_cmp_ne_u32_e32 vcc_lo, 0, v2
	s_delay_alu instid0(VALU_DEP_2)
	v_cndmask_b32_e32 v2, 0, v3, vcc_lo
	s_branch .LBB72_545
.LBB72_544:
	s_mov_b32 s25, -1
                                        ; implicit-def: $vgpr2
.LBB72_545:
	s_delay_alu instid0(SALU_CYCLE_1)
	v_mov_b32_e32 v3, s25
.LBB72_546:
	s_mov_b32 s1, 0
.LBB72_547:
	s_delay_alu instid0(SALU_CYCLE_1)
	s_and_b32 vcc_lo, exec_lo, s1
	s_cbranch_vccz .LBB72_552
; %bb.548:
	v_cmp_eq_u16_e32 vcc_lo, 29, v19
	s_cbranch_vccz .LBB72_550
; %bb.549:
	global_load_b64 v[2:3], v[0:1], off
	s_mov_b32 s0, -1
	s_mov_b32 s25, 0
	s_mov_b32 s1, 0
	s_waitcnt vmcnt(0)
	v_clz_i32_u32_e32 v4, v3
	s_delay_alu instid0(VALU_DEP_1) | instskip(NEXT) | instid1(VALU_DEP_1)
	v_min_u32_e32 v4, 32, v4
	v_lshlrev_b64 v[2:3], v4, v[2:3]
	s_delay_alu instid0(VALU_DEP_1) | instskip(NEXT) | instid1(VALU_DEP_1)
	v_min_u32_e32 v2, 1, v2
	v_or_b32_e32 v2, v3, v2
	v_sub_nc_u32_e32 v3, 32, v4
	s_delay_alu instid0(VALU_DEP_2) | instskip(NEXT) | instid1(VALU_DEP_1)
	v_cvt_f32_u32_e32 v2, v2
	v_ldexp_f32 v2, v2, v3
	s_delay_alu instid0(VALU_DEP_1)
	v_cvt_f16_f32_e32 v2, v2
	s_branch .LBB72_551
.LBB72_550:
	s_mov_b32 s25, -1
                                        ; implicit-def: $sgpr1
                                        ; implicit-def: $vgpr2
.LBB72_551:
	v_mov_b32_e32 v3, s1
.LBB72_552:
	s_mov_b32 s1, 0
.LBB72_553:
	s_delay_alu instid0(SALU_CYCLE_1)
	s_and_b32 vcc_lo, exec_lo, s1
	s_cbranch_vccz .LBB72_573
; %bb.554:
	v_cmp_gt_i16_e32 vcc_lo, 27, v19
	s_cbranch_vccnz .LBB72_557
; %bb.555:
	v_cmp_lt_i16_e32 vcc_lo, 27, v19
	s_cbranch_vccz .LBB72_558
; %bb.556:
	global_load_b32 v2, v[0:1], off
	s_mov_b32 s1, 0
	s_mov_b32 s0, 0
	s_waitcnt vmcnt(0)
	v_cvt_f32_u32_e32 v2, v2
	s_delay_alu instid0(VALU_DEP_1)
	v_cvt_f16_f32_e32 v2, v2
	s_branch .LBB72_559
.LBB72_557:
	s_mov_b32 s1, -1
                                        ; implicit-def: $sgpr0
                                        ; implicit-def: $vgpr2
	s_branch .LBB72_562
.LBB72_558:
	s_mov_b32 s1, -1
                                        ; implicit-def: $sgpr0
                                        ; implicit-def: $vgpr2
.LBB72_559:
	s_delay_alu instid0(SALU_CYCLE_1)
	s_and_not1_b32 vcc_lo, exec_lo, s1
	s_cbranch_vccnz .LBB72_561
; %bb.560:
	global_load_u16 v2, v[0:1], off
	s_mov_b32 s0, 0
	s_waitcnt vmcnt(0)
	v_cvt_f16_u16_e32 v2, v2
.LBB72_561:
	s_mov_b32 s1, 0
.LBB72_562:
	v_mov_b32_e32 v3, s0
	s_and_not1_b32 vcc_lo, exec_lo, s1
	s_cbranch_vccnz .LBB72_572
; %bb.563:
	global_load_u8 v4, v[0:1], off
	s_mov_b32 s0, 0
	s_mov_b32 s3, exec_lo
                                        ; implicit-def: $sgpr2
                                        ; implicit-def: $sgpr1
	s_waitcnt vmcnt(0)
	v_cmpx_lt_i16_e32 0x7f, v4
	s_xor_b32 s3, exec_lo, s3
	s_cbranch_execz .LBB72_567
; %bb.564:
	s_mov_b32 s0, -1
	s_mov_b32 s4, exec_lo
                                        ; implicit-def: $sgpr2
                                        ; implicit-def: $sgpr1
	v_cmpx_eq_u16_e32 0x80, v4
; %bb.565:
	s_movk_i32 s1, 0x7e00
	s_mov_b32 s2, 0
	s_xor_b32 s0, exec_lo, -1
; %bb.566:
	s_or_b32 exec_lo, exec_lo, s4
	s_delay_alu instid0(SALU_CYCLE_1)
	s_and_b32 s0, s0, exec_lo
.LBB72_567:
	s_or_saveexec_b32 s3, s3
	v_dual_mov_b32 v3, s2 :: v_dual_mov_b32 v2, s1
	s_xor_b32 exec_lo, exec_lo, s3
; %bb.568:
	v_cmp_ne_u16_e32 vcc_lo, 0, v4
	v_dual_mov_b32 v3, 0 :: v_dual_mov_b32 v2, v4
	s_and_not1_b32 s0, s0, exec_lo
	s_and_b32 s1, vcc_lo, exec_lo
	s_delay_alu instid0(SALU_CYCLE_1)
	s_or_b32 s0, s0, s1
; %bb.569:
	s_or_b32 exec_lo, exec_lo, s3
	s_and_saveexec_b32 s1, s0
	s_cbranch_execz .LBB72_571
; %bb.570:
	v_and_b32_e32 v2, 0xffff, v4
	v_lshlrev_b32_e32 v4, 24, v4
	s_delay_alu instid0(VALU_DEP_2) | instskip(NEXT) | instid1(VALU_DEP_2)
	v_and_b32_e32 v3, 7, v2
	v_and_b32_e32 v4, 0x80000000, v4
	s_delay_alu instid0(VALU_DEP_2) | instskip(NEXT) | instid1(VALU_DEP_1)
	v_clz_i32_u32_e32 v5, v3
	v_min_u32_e32 v5, 32, v5
	s_delay_alu instid0(VALU_DEP_1) | instskip(SKIP_1) | instid1(VALU_DEP_2)
	v_subrev_nc_u32_e32 v6, 28, v5
	v_sub_nc_u32_e32 v5, 29, v5
	v_lshlrev_b32_e32 v6, v6, v2
	v_bfe_u32 v2, v2, 3, 4
	s_delay_alu instid0(VALU_DEP_2) | instskip(NEXT) | instid1(VALU_DEP_2)
	v_and_b32_e32 v6, 7, v6
	v_cmp_eq_u32_e32 vcc_lo, 0, v2
	s_delay_alu instid0(VALU_DEP_2) | instskip(NEXT) | instid1(VALU_DEP_1)
	v_dual_cndmask_b32 v2, v2, v5 :: v_dual_cndmask_b32 v3, v3, v6
	v_lshl_add_u32 v2, v2, 23, 0x3b800000
	s_delay_alu instid0(VALU_DEP_2) | instskip(NEXT) | instid1(VALU_DEP_1)
	v_lshlrev_b32_e32 v3, 20, v3
	v_or3_b32 v2, v4, v2, v3
	v_mov_b32_e32 v3, 0
	s_delay_alu instid0(VALU_DEP_2)
	v_cvt_f16_f32_e32 v2, v2
.LBB72_571:
	s_or_b32 exec_lo, exec_lo, s1
.LBB72_572:
	s_mov_b32 s0, -1
.LBB72_573:
	s_mov_b32 s1, 0
.LBB72_574:
	s_delay_alu instid0(SALU_CYCLE_1)
	s_and_b32 vcc_lo, exec_lo, s1
	s_cbranch_vccz .LBB72_608
; %bb.575:
	v_cmp_lt_i16_e32 vcc_lo, 22, v19
	s_cbranch_vccz .LBB72_587
; %bb.576:
	v_cmp_gt_i16_e32 vcc_lo, 24, v19
	s_cbranch_vccnz .LBB72_588
; %bb.577:
	v_cmp_lt_i16_e32 vcc_lo, 24, v19
	s_cbranch_vccz .LBB72_589
; %bb.578:
	global_load_u8 v4, v[0:1], off
	s_mov_b32 s0, 0
	s_mov_b32 s3, exec_lo
                                        ; implicit-def: $sgpr2
                                        ; implicit-def: $sgpr1
	s_waitcnt vmcnt(0)
	v_cmpx_lt_i16_e32 0x7f, v4
	s_xor_b32 s3, exec_lo, s3
	s_cbranch_execz .LBB72_582
; %bb.579:
	s_mov_b32 s0, -1
	s_mov_b32 s4, exec_lo
                                        ; implicit-def: $sgpr2
                                        ; implicit-def: $sgpr1
	v_cmpx_eq_u16_e32 0x80, v4
; %bb.580:
	s_movk_i32 s1, 0x7e00
	s_mov_b32 s2, 0
	s_xor_b32 s0, exec_lo, -1
; %bb.581:
	s_or_b32 exec_lo, exec_lo, s4
	s_delay_alu instid0(SALU_CYCLE_1)
	s_and_b32 s0, s0, exec_lo
.LBB72_582:
	s_or_saveexec_b32 s3, s3
	v_dual_mov_b32 v3, s2 :: v_dual_mov_b32 v2, s1
	s_xor_b32 exec_lo, exec_lo, s3
; %bb.583:
	v_cmp_ne_u16_e32 vcc_lo, 0, v4
	v_dual_mov_b32 v3, 0 :: v_dual_mov_b32 v2, v4
	s_and_not1_b32 s0, s0, exec_lo
	s_and_b32 s1, vcc_lo, exec_lo
	s_delay_alu instid0(SALU_CYCLE_1)
	s_or_b32 s0, s0, s1
; %bb.584:
	s_or_b32 exec_lo, exec_lo, s3
	s_and_saveexec_b32 s1, s0
	s_cbranch_execz .LBB72_586
; %bb.585:
	v_and_b32_e32 v2, 0xffff, v4
	v_lshlrev_b32_e32 v4, 24, v4
	s_delay_alu instid0(VALU_DEP_2) | instskip(NEXT) | instid1(VALU_DEP_2)
	v_and_b32_e32 v3, 3, v2
	v_and_b32_e32 v4, 0x80000000, v4
	s_delay_alu instid0(VALU_DEP_2) | instskip(NEXT) | instid1(VALU_DEP_1)
	v_clz_i32_u32_e32 v5, v3
	v_min_u32_e32 v5, 32, v5
	s_delay_alu instid0(VALU_DEP_1) | instskip(SKIP_1) | instid1(VALU_DEP_2)
	v_subrev_nc_u32_e32 v6, 29, v5
	v_sub_nc_u32_e32 v5, 30, v5
	v_lshlrev_b32_e32 v6, v6, v2
	v_bfe_u32 v2, v2, 2, 5
	s_delay_alu instid0(VALU_DEP_2) | instskip(NEXT) | instid1(VALU_DEP_2)
	v_and_b32_e32 v6, 3, v6
	v_cmp_eq_u32_e32 vcc_lo, 0, v2
	s_delay_alu instid0(VALU_DEP_2) | instskip(NEXT) | instid1(VALU_DEP_1)
	v_dual_cndmask_b32 v2, v2, v5 :: v_dual_cndmask_b32 v3, v3, v6
	v_lshl_add_u32 v2, v2, 23, 0x37800000
	s_delay_alu instid0(VALU_DEP_2) | instskip(NEXT) | instid1(VALU_DEP_1)
	v_lshlrev_b32_e32 v3, 21, v3
	v_or3_b32 v2, v4, v2, v3
	v_mov_b32_e32 v3, 0
	s_delay_alu instid0(VALU_DEP_2)
	v_cvt_f16_f32_e32 v2, v2
.LBB72_586:
	s_or_b32 exec_lo, exec_lo, s1
	s_mov_b32 s0, 0
	s_branch .LBB72_590
.LBB72_587:
	s_mov_b32 s1, -1
                                        ; implicit-def: $vgpr3
                                        ; implicit-def: $vgpr2
	s_branch .LBB72_596
.LBB72_588:
	s_mov_b32 s0, -1
                                        ; implicit-def: $vgpr3
                                        ; implicit-def: $vgpr2
	s_branch .LBB72_593
.LBB72_589:
	s_mov_b32 s0, -1
                                        ; implicit-def: $vgpr3
                                        ; implicit-def: $vgpr2
.LBB72_590:
	s_delay_alu instid0(SALU_CYCLE_1)
	s_and_b32 vcc_lo, exec_lo, s0
	s_cbranch_vccz .LBB72_592
; %bb.591:
	global_load_u8 v2, v[0:1], off
	s_waitcnt vmcnt(0)
	v_lshlrev_b32_e32 v2, 24, v2
	s_delay_alu instid0(VALU_DEP_1) | instskip(NEXT) | instid1(VALU_DEP_1)
	v_and_b32_e32 v3, 0x7f000000, v2
	v_clz_i32_u32_e32 v4, v3
	v_add_nc_u32_e32 v6, 0x1000000, v3
	v_cmp_ne_u32_e32 vcc_lo, 0, v3
	s_delay_alu instid0(VALU_DEP_3) | instskip(NEXT) | instid1(VALU_DEP_1)
	v_min_u32_e32 v4, 32, v4
	v_sub_nc_u32_e64 v4, v4, 4 clamp
	s_delay_alu instid0(VALU_DEP_1) | instskip(SKIP_1) | instid1(VALU_DEP_2)
	v_lshlrev_b32_e32 v5, v4, v3
	v_lshlrev_b32_e32 v4, 23, v4
	v_lshrrev_b32_e32 v5, 4, v5
	s_delay_alu instid0(VALU_DEP_1) | instskip(SKIP_1) | instid1(VALU_DEP_2)
	v_sub_nc_u32_e32 v4, v5, v4
	v_ashrrev_i32_e32 v5, 8, v6
	v_add_nc_u32_e32 v4, 0x3c000000, v4
	s_delay_alu instid0(VALU_DEP_1) | instskip(NEXT) | instid1(VALU_DEP_1)
	v_and_or_b32 v4, 0x7f800000, v5, v4
	v_cndmask_b32_e32 v3, 0, v4, vcc_lo
	s_delay_alu instid0(VALU_DEP_1) | instskip(SKIP_1) | instid1(VALU_DEP_2)
	v_and_or_b32 v2, 0x80000000, v2, v3
	v_mov_b32_e32 v3, 0
	v_cvt_f16_f32_e32 v2, v2
.LBB72_592:
	s_mov_b32 s0, 0
.LBB72_593:
	s_delay_alu instid0(SALU_CYCLE_1)
	s_and_not1_b32 vcc_lo, exec_lo, s0
	s_cbranch_vccnz .LBB72_595
; %bb.594:
	global_load_u8 v2, v[0:1], off
	s_waitcnt vmcnt(0)
	v_lshlrev_b32_e32 v3, 25, v2
	v_lshlrev_b16 v2, 8, v2
	s_delay_alu instid0(VALU_DEP_2) | instskip(NEXT) | instid1(VALU_DEP_2)
	v_lshrrev_b32_e32 v4, 4, v3
	v_and_or_b32 v5, 0x7f00, v2, 0.5
	v_bfe_i32 v2, v2, 0, 16
	s_delay_alu instid0(VALU_DEP_3) | instskip(NEXT) | instid1(VALU_DEP_1)
	v_or_b32_e32 v4, 0x70000000, v4
	v_dual_add_f32 v5, -0.5, v5 :: v_dual_mul_f32 v4, 0x7800000, v4
	v_cmp_gt_u32_e32 vcc_lo, 0x8000000, v3
	s_delay_alu instid0(VALU_DEP_2) | instskip(NEXT) | instid1(VALU_DEP_1)
	v_cndmask_b32_e32 v3, v4, v5, vcc_lo
	v_and_or_b32 v2, 0x80000000, v2, v3
	v_mov_b32_e32 v3, 0
	s_delay_alu instid0(VALU_DEP_2)
	v_cvt_f16_f32_e32 v2, v2
.LBB72_595:
	s_mov_b32 s1, 0
	s_mov_b32 s0, -1
.LBB72_596:
	s_and_not1_b32 vcc_lo, exec_lo, s1
	s_cbranch_vccnz .LBB72_608
; %bb.597:
	v_cmp_lt_i16_e32 vcc_lo, 14, v19
	s_cbranch_vccz .LBB72_600
; %bb.598:
	v_cmp_eq_u16_e32 vcc_lo, 15, v19
	s_cbranch_vccz .LBB72_601
; %bb.599:
	global_load_u16 v2, v[0:1], off
	s_mov_b32 s0, -1
	s_mov_b32 s25, 0
	s_mov_b32 s1, 0
	s_waitcnt vmcnt(0)
	v_lshlrev_b32_e32 v2, 16, v2
	s_delay_alu instid0(VALU_DEP_1)
	v_cvt_f16_f32_e32 v2, v2
	s_branch .LBB72_602
.LBB72_600:
	s_mov_b32 s2, -1
                                        ; implicit-def: $sgpr1
                                        ; implicit-def: $vgpr2
	s_branch .LBB72_603
.LBB72_601:
	s_mov_b32 s25, -1
                                        ; implicit-def: $sgpr1
                                        ; implicit-def: $vgpr2
.LBB72_602:
	s_mov_b32 s2, 0
.LBB72_603:
	s_delay_alu instid0(SALU_CYCLE_1)
	s_and_b32 vcc_lo, exec_lo, s2
	s_cbranch_vccz .LBB72_607
; %bb.604:
	v_cmp_eq_u16_e32 vcc_lo, 11, v19
	s_cbranch_vccz .LBB72_606
; %bb.605:
	global_load_u8 v2, v[0:1], off
	s_mov_b32 s1, 0
	s_mov_b32 s0, -1
	s_mov_b32 s25, 0
	s_waitcnt vmcnt(0)
	v_cmp_ne_u16_e32 vcc_lo, 0, v2
	v_cndmask_b32_e64 v2, 0, 0x3c00, vcc_lo
	s_branch .LBB72_607
.LBB72_606:
	s_mov_b32 s25, -1
                                        ; implicit-def: $sgpr1
                                        ; implicit-def: $vgpr2
.LBB72_607:
	v_mov_b32_e32 v3, s1
.LBB72_608:
	s_mov_b32 s1, 0
.LBB72_609:
	s_delay_alu instid0(SALU_CYCLE_1)
	s_and_b32 vcc_lo, exec_lo, s1
	s_cbranch_vccz .LBB72_660
; %bb.610:
	v_cmp_gt_i16_e32 vcc_lo, 5, v19
	s_cbranch_vccnz .LBB72_615
; %bb.611:
	v_cmp_gt_i16_e32 vcc_lo, 8, v19
	s_cbranch_vccnz .LBB72_616
	;; [unrolled: 3-line block ×3, first 2 shown]
; %bb.613:
	v_cmp_lt_i16_e32 vcc_lo, 9, v19
	s_cbranch_vccz .LBB72_618
; %bb.614:
	global_load_b128 v[2:5], v[0:1], off
	s_mov_b32 s0, 0
	s_waitcnt vmcnt(0)
	v_cvt_f32_f64_e32 v2, v[2:3]
	v_cvt_f32_f64_e32 v3, v[4:5]
	s_delay_alu instid0(VALU_DEP_2) | instskip(NEXT) | instid1(VALU_DEP_2)
	v_cvt_f16_f32_e32 v2, v2
	v_cvt_f16_f32_e32 v3, v3
	s_branch .LBB72_619
.LBB72_615:
	s_mov_b32 s0, -1
                                        ; implicit-def: $vgpr3
                                        ; implicit-def: $vgpr2
	s_branch .LBB72_638
.LBB72_616:
	s_mov_b32 s0, -1
                                        ; implicit-def: $vgpr3
                                        ; implicit-def: $vgpr2
	s_branch .LBB72_625
.LBB72_617:
	s_mov_b32 s0, -1
                                        ; implicit-def: $vgpr3
                                        ; implicit-def: $vgpr2
	s_branch .LBB72_622
.LBB72_618:
	s_mov_b32 s0, -1
                                        ; implicit-def: $vgpr3
                                        ; implicit-def: $vgpr2
.LBB72_619:
	s_delay_alu instid0(SALU_CYCLE_1)
	s_and_not1_b32 vcc_lo, exec_lo, s0
	s_cbranch_vccnz .LBB72_621
; %bb.620:
	global_load_b64 v[2:3], v[0:1], off
	s_waitcnt vmcnt(0)
	v_cvt_f16_f32_e32 v2, v2
	v_cvt_f16_f32_e32 v3, v3
.LBB72_621:
	s_mov_b32 s0, 0
.LBB72_622:
	s_delay_alu instid0(SALU_CYCLE_1)
	s_and_not1_b32 vcc_lo, exec_lo, s0
	s_cbranch_vccnz .LBB72_624
; %bb.623:
	global_load_b32 v2, v[0:1], off
	s_waitcnt vmcnt(0)
	v_lshrrev_b32_e32 v3, 16, v2
.LBB72_624:
	s_mov_b32 s0, 0
.LBB72_625:
	s_delay_alu instid0(SALU_CYCLE_1)
	s_and_not1_b32 vcc_lo, exec_lo, s0
	s_cbranch_vccnz .LBB72_637
; %bb.626:
	v_cmp_gt_i16_e32 vcc_lo, 6, v19
	s_cbranch_vccnz .LBB72_629
; %bb.627:
	v_cmp_lt_i16_e32 vcc_lo, 6, v19
	s_cbranch_vccz .LBB72_630
; %bb.628:
	global_load_b64 v[2:3], v[0:1], off
	s_mov_b32 s1, 0
	s_mov_b32 s0, 0
	s_waitcnt vmcnt(0)
	v_cvt_f32_f64_e32 v2, v[2:3]
	s_delay_alu instid0(VALU_DEP_1)
	v_cvt_f16_f32_e32 v2, v2
	s_branch .LBB72_631
.LBB72_629:
	s_mov_b32 s1, -1
                                        ; implicit-def: $sgpr0
                                        ; implicit-def: $vgpr2
	s_branch .LBB72_634
.LBB72_630:
	s_mov_b32 s1, -1
                                        ; implicit-def: $sgpr0
                                        ; implicit-def: $vgpr2
.LBB72_631:
	s_delay_alu instid0(SALU_CYCLE_1)
	s_and_not1_b32 vcc_lo, exec_lo, s1
	s_cbranch_vccnz .LBB72_633
; %bb.632:
	global_load_b32 v2, v[0:1], off
	s_mov_b32 s0, 0
	s_waitcnt vmcnt(0)
	v_cvt_f16_f32_e32 v2, v2
.LBB72_633:
	s_mov_b32 s1, 0
.LBB72_634:
	s_delay_alu instid0(SALU_CYCLE_1)
	s_and_not1_b32 vcc_lo, exec_lo, s1
	s_cbranch_vccnz .LBB72_636
; %bb.635:
	global_load_u16 v2, v[0:1], off
	s_mov_b32 s0, 0
.LBB72_636:
	s_delay_alu instid0(SALU_CYCLE_1)
	v_mov_b32_e32 v3, s0
.LBB72_637:
	s_mov_b32 s0, 0
.LBB72_638:
	s_delay_alu instid0(SALU_CYCLE_1)
	s_and_not1_b32 vcc_lo, exec_lo, s0
	s_cbranch_vccnz .LBB72_659
; %bb.639:
	v_cmp_gt_i16_e32 vcc_lo, 2, v19
	s_cbranch_vccnz .LBB72_643
; %bb.640:
	v_cmp_gt_i16_e32 vcc_lo, 3, v19
	s_cbranch_vccnz .LBB72_644
; %bb.641:
	v_cmp_lt_i16_e32 vcc_lo, 3, v19
	s_cbranch_vccz .LBB72_645
; %bb.642:
	global_load_b64 v[2:3], v[0:1], off
	s_mov_b32 s1, 0
	s_mov_b32 s0, 0
	s_waitcnt vmcnt(0)
	v_xor_b32_e32 v4, v2, v3
	v_cls_i32_e32 v5, v3
	s_delay_alu instid0(VALU_DEP_2) | instskip(NEXT) | instid1(VALU_DEP_2)
	v_ashrrev_i32_e32 v4, 31, v4
	v_add_nc_u32_e32 v5, -1, v5
	s_delay_alu instid0(VALU_DEP_2) | instskip(NEXT) | instid1(VALU_DEP_1)
	v_add_nc_u32_e32 v4, 32, v4
	v_min_u32_e32 v4, v5, v4
	s_delay_alu instid0(VALU_DEP_1) | instskip(NEXT) | instid1(VALU_DEP_1)
	v_lshlrev_b64 v[2:3], v4, v[2:3]
	v_min_u32_e32 v2, 1, v2
	s_delay_alu instid0(VALU_DEP_1) | instskip(SKIP_1) | instid1(VALU_DEP_2)
	v_or_b32_e32 v2, v3, v2
	v_sub_nc_u32_e32 v3, 32, v4
	v_cvt_f32_i32_e32 v2, v2
	s_delay_alu instid0(VALU_DEP_1) | instskip(NEXT) | instid1(VALU_DEP_1)
	v_ldexp_f32 v2, v2, v3
	v_cvt_f16_f32_e32 v2, v2
	s_branch .LBB72_646
.LBB72_643:
	s_mov_b32 s1, -1
                                        ; implicit-def: $sgpr0
                                        ; implicit-def: $vgpr2
	s_branch .LBB72_652
.LBB72_644:
	s_mov_b32 s1, -1
                                        ; implicit-def: $sgpr0
                                        ; implicit-def: $vgpr2
	s_branch .LBB72_649
.LBB72_645:
	s_mov_b32 s1, -1
                                        ; implicit-def: $sgpr0
                                        ; implicit-def: $vgpr2
.LBB72_646:
	s_delay_alu instid0(SALU_CYCLE_1)
	s_and_not1_b32 vcc_lo, exec_lo, s1
	s_cbranch_vccnz .LBB72_648
; %bb.647:
	global_load_b32 v2, v[0:1], off
	s_mov_b32 s0, 0
	s_waitcnt vmcnt(0)
	v_cvt_f32_i32_e32 v2, v2
	s_delay_alu instid0(VALU_DEP_1)
	v_cvt_f16_f32_e32 v2, v2
.LBB72_648:
	s_mov_b32 s1, 0
.LBB72_649:
	s_delay_alu instid0(SALU_CYCLE_1)
	s_and_not1_b32 vcc_lo, exec_lo, s1
	s_cbranch_vccnz .LBB72_651
; %bb.650:
	global_load_u16 v2, v[0:1], off
	s_mov_b32 s0, 0
	s_waitcnt vmcnt(0)
	v_cvt_f16_i16_e32 v2, v2
.LBB72_651:
	s_mov_b32 s1, 0
.LBB72_652:
	s_delay_alu instid0(SALU_CYCLE_1)
	s_and_not1_b32 vcc_lo, exec_lo, s1
	s_cbranch_vccnz .LBB72_658
; %bb.653:
	v_cmp_lt_i16_e32 vcc_lo, 0, v19
	s_mov_b32 s1, 0
	s_cbranch_vccz .LBB72_655
; %bb.654:
	global_load_i8 v2, v[0:1], off
	s_mov_b32 s0, 0
	s_waitcnt vmcnt(0)
	v_cvt_f16_i16_e32 v2, v2
	s_branch .LBB72_656
.LBB72_655:
	s_mov_b32 s1, -1
                                        ; implicit-def: $sgpr0
                                        ; implicit-def: $vgpr2
.LBB72_656:
	s_delay_alu instid0(SALU_CYCLE_1)
	s_and_not1_b32 vcc_lo, exec_lo, s1
	s_cbranch_vccnz .LBB72_658
; %bb.657:
	global_load_u8 v0, v[0:1], off
	s_mov_b32 s0, 0
	s_waitcnt vmcnt(0)
	v_cvt_f16_u16_e32 v2, v0
.LBB72_658:
	v_mov_b32_e32 v3, s0
.LBB72_659:
	s_mov_b32 s0, -1
.LBB72_660:
	s_delay_alu instid0(SALU_CYCLE_1)
	s_and_not1_b32 vcc_lo, exec_lo, s0
	s_cbranch_vccnz .LBB72_668
; %bb.661:
	s_waitcnt vmcnt(0)
	v_cvt_f32_f16_e32 v0, v2
	v_cvt_f32_f16_e32 v1, v3
	s_getpc_b64 s[0:1]
	s_add_u32 s0, s0, _ZN16c10_complex_math3expIfEEN3c107complexIT_EERKS4_@rel32@lo+4
	s_addc_u32 s1, s1, _ZN16c10_complex_math3expIfEEN3c107complexIT_EERKS4_@rel32@hi+12
	s_delay_alu instid0(SALU_CYCLE_1) | instskip(SKIP_4) | instid1(VALU_DEP_3)
	s_swappc_b64 s[30:31], s[0:1]
	v_mul_lo_u32 v4, v18, s10
	v_cvt_f16_f32_e32 v5, v1
	v_cvt_f16_f32_e32 v2, v0
	v_and_b32_e32 v3, 0xff, v17
	v_lshlrev_b32_e32 v6, 16, v5
	s_delay_alu instid0(VALU_DEP_3) | instskip(SKIP_1) | instid1(VALU_DEP_4)
	v_and_b32_e32 v7, 0xffff, v2
	v_ashrrev_i32_e32 v1, 31, v4
	v_cmp_gt_i16_e32 vcc_lo, 11, v3
	v_add_co_u32 v0, s0, s16, v4
	s_delay_alu instid0(VALU_DEP_4) | instskip(NEXT) | instid1(VALU_DEP_4)
	v_or_b32_e32 v4, v6, v7
	v_add_co_ci_u32_e64 v1, s0, s17, v1, s0
	s_cbranch_vccnz .LBB72_669
; %bb.662:
	v_cmp_lt_i16_e32 vcc_lo, 25, v3
	s_cbranch_vccz .LBB72_670
; %bb.663:
	v_cmp_lt_i16_e32 vcc_lo, 28, v3
	s_cbranch_vccz .LBB72_671
	;; [unrolled: 3-line block ×4, first 2 shown]
; %bb.666:
	v_cmp_eq_u16_e32 vcc_lo, 46, v3
	s_mov_b32 s2, 0
	s_mov_b32 s0, -1
	s_mov_b32 s1, 0
	s_cbranch_vccz .LBB72_674
; %bb.667:
	v_cvt_f32_f16_e32 v6, v5
	v_cvt_f32_f16_e32 v7, v2
	v_cmp_o_f16_e32 vcc_lo, v5, v5
	s_mov_b32 s1, -1
	s_mov_b32 s0, 0
	v_bfe_u32 v8, v6, 16, 1
	v_bfe_u32 v9, v7, 16, 1
	s_delay_alu instid0(VALU_DEP_2) | instskip(NEXT) | instid1(VALU_DEP_2)
	v_add3_u32 v6, v6, v8, 0x7fff
	v_add3_u32 v7, v7, v9, 0x7fff
	s_delay_alu instid0(VALU_DEP_2) | instskip(NEXT) | instid1(VALU_DEP_2)
	v_and_b32_e32 v6, 0xffff0000, v6
	v_lshrrev_b32_e32 v7, 16, v7
	s_delay_alu instid0(VALU_DEP_2) | instskip(SKIP_1) | instid1(VALU_DEP_3)
	v_cndmask_b32_e32 v6, 0x7fc00000, v6, vcc_lo
	v_cmp_o_f16_e32 vcc_lo, v2, v2
	v_cndmask_b32_e32 v7, 0x7fc0, v7, vcc_lo
	s_delay_alu instid0(VALU_DEP_1)
	v_or_b32_e32 v6, v6, v7
	global_store_b32 v[0:1], v6, off
	s_branch .LBB72_674
.LBB72_668:
	s_mov_b32 s3, 0
	s_mov_b32 s0, s22
	s_branch .LBB72_785
.LBB72_669:
	s_mov_b32 s2, -1
	s_mov_b32 s1, 0
	s_mov_b32 s0, s22
	s_branch .LBB72_743
.LBB72_670:
	s_mov_b32 s2, -1
	s_mov_b32 s1, 0
	s_mov_b32 s0, s22
	s_branch .LBB72_701
.LBB72_671:
	s_mov_b32 s2, -1
	s_mov_b32 s1, 0
	s_mov_b32 s0, s22
	s_branch .LBB72_684
.LBB72_672:
	s_mov_b32 s2, -1
	s_mov_b32 s1, 0
	s_mov_b32 s0, s22
	s_branch .LBB72_680
.LBB72_673:
	s_mov_b32 s2, -1
	s_mov_b32 s1, 0
	s_mov_b32 s0, s22
.LBB72_674:
	s_and_b32 vcc_lo, exec_lo, s2
	s_cbranch_vccz .LBB72_679
; %bb.675:
	v_cmp_eq_u16_e32 vcc_lo, 44, v3
	s_mov_b32 s0, -1
	s_cbranch_vccz .LBB72_679
; %bb.676:
	v_cvt_f32_f16_e32 v6, v2
	v_mov_b32_e32 v7, 0xff
	s_mov_b32 s1, exec_lo
	s_delay_alu instid0(VALU_DEP_2) | instskip(NEXT) | instid1(VALU_DEP_1)
	v_bfe_u32 v8, v6, 23, 8
	v_cmpx_ne_u32_e32 0xff, v8
; %bb.677:
	v_and_b32_e32 v7, 0x400000, v6
	v_and_or_b32 v8, 0x3fffff, v6, v8
	v_lshrrev_b32_e32 v6, 23, v6
	s_delay_alu instid0(VALU_DEP_3) | instskip(NEXT) | instid1(VALU_DEP_3)
	v_cmp_ne_u32_e32 vcc_lo, 0, v7
	v_cmp_ne_u32_e64 s0, 0, v8
	s_delay_alu instid0(VALU_DEP_1) | instskip(NEXT) | instid1(SALU_CYCLE_1)
	s_and_b32 s0, vcc_lo, s0
	v_cndmask_b32_e64 v7, 0, 1, s0
	s_delay_alu instid0(VALU_DEP_1)
	v_add_nc_u32_e32 v7, v6, v7
; %bb.678:
	s_or_b32 exec_lo, exec_lo, s1
	s_mov_b32 s1, -1
	s_mov_b32 s0, 0
	global_store_b8 v[0:1], v7, off
.LBB72_679:
	s_mov_b32 s2, 0
.LBB72_680:
	s_delay_alu instid0(SALU_CYCLE_1)
	s_and_b32 vcc_lo, exec_lo, s2
	s_cbranch_vccz .LBB72_683
; %bb.681:
	v_cmp_eq_u16_e32 vcc_lo, 29, v3
	s_mov_b32 s0, -1
	s_cbranch_vccz .LBB72_683
; %bb.682:
	v_cvt_f32_f16_e32 v6, v2
	v_mov_b32_e32 v7, 0
	s_mov_b32 s0, 0
	s_mov_b32 s1, -1
	s_mov_b32 s2, 0
	v_cvt_u32_f32_e32 v6, v6
	global_store_b64 v[0:1], v[6:7], off
	s_branch .LBB72_684
.LBB72_683:
	s_mov_b32 s2, 0
.LBB72_684:
	s_delay_alu instid0(SALU_CYCLE_1)
	s_and_b32 vcc_lo, exec_lo, s2
	s_cbranch_vccz .LBB72_700
; %bb.685:
	v_cmp_gt_i16_e32 vcc_lo, 27, v3
	s_mov_b32 s1, -1
	s_cbranch_vccnz .LBB72_691
; %bb.686:
	v_cmp_lt_i16_e32 vcc_lo, 27, v3
	s_cbranch_vccz .LBB72_688
; %bb.687:
	v_cvt_f32_f16_e32 v6, v2
	s_mov_b32 s1, 0
	s_delay_alu instid0(VALU_DEP_1)
	v_cvt_u32_f32_e32 v6, v6
	global_store_b32 v[0:1], v6, off
.LBB72_688:
	s_and_not1_b32 vcc_lo, exec_lo, s1
	s_cbranch_vccnz .LBB72_690
; %bb.689:
	v_cvt_u16_f16_e32 v6, v2
	global_store_b16 v[0:1], v6, off
.LBB72_690:
	s_mov_b32 s1, 0
.LBB72_691:
	s_delay_alu instid0(SALU_CYCLE_1)
	s_and_not1_b32 vcc_lo, exec_lo, s1
	s_cbranch_vccnz .LBB72_699
; %bb.692:
	v_cvt_f32_f16_e32 v6, v2
	v_mov_b32_e32 v8, 0x80
	s_mov_b32 s1, exec_lo
	s_delay_alu instid0(VALU_DEP_2) | instskip(NEXT) | instid1(VALU_DEP_1)
	v_and_b32_e32 v7, 0x7fffffff, v6
	v_cmpx_gt_u32_e32 0x43800000, v7
	s_cbranch_execz .LBB72_698
; %bb.693:
	v_cmp_lt_u32_e32 vcc_lo, 0x3bffffff, v7
	s_mov_b32 s2, 0
                                        ; implicit-def: $vgpr7
	s_and_saveexec_b32 s3, vcc_lo
	s_delay_alu instid0(SALU_CYCLE_1)
	s_xor_b32 s3, exec_lo, s3
	s_cbranch_execz .LBB72_800
; %bb.694:
	v_bfe_u32 v7, v6, 20, 1
	s_mov_b32 s2, exec_lo
	s_delay_alu instid0(VALU_DEP_1) | instskip(NEXT) | instid1(VALU_DEP_1)
	v_add3_u32 v7, v6, v7, 0x487ffff
	v_lshrrev_b32_e32 v7, 20, v7
	s_or_saveexec_b32 s3, s3
                                        ; implicit-def: $sgpr4
	s_delay_alu instid0(SALU_CYCLE_1)
	s_xor_b32 exec_lo, exec_lo, s3
	s_cbranch_execnz .LBB72_801
.LBB72_695:
	s_or_b32 exec_lo, exec_lo, s3
	v_mov_b32_e32 v8, s4
	s_and_saveexec_b32 s3, s2
.LBB72_696:
	v_lshrrev_b32_e32 v6, 24, v6
	s_delay_alu instid0(VALU_DEP_1)
	v_and_or_b32 v8, 0x80, v6, v7
.LBB72_697:
	s_or_b32 exec_lo, exec_lo, s3
.LBB72_698:
	s_delay_alu instid0(SALU_CYCLE_1)
	s_or_b32 exec_lo, exec_lo, s1
	global_store_b8 v[0:1], v8, off
.LBB72_699:
	s_mov_b32 s1, -1
.LBB72_700:
	s_mov_b32 s2, 0
.LBB72_701:
	s_delay_alu instid0(SALU_CYCLE_1)
	s_and_b32 vcc_lo, exec_lo, s2
	s_cbranch_vccz .LBB72_742
; %bb.702:
	v_cmp_lt_i16_e32 vcc_lo, 22, v3
	s_mov_b32 s2, -1
	s_cbranch_vccz .LBB72_734
; %bb.703:
	v_cmp_gt_i16_e32 vcc_lo, 24, v3
	s_mov_b32 s1, -1
	s_cbranch_vccnz .LBB72_723
; %bb.704:
	v_cmp_lt_i16_e32 vcc_lo, 24, v3
	s_cbranch_vccz .LBB72_712
; %bb.705:
	v_cvt_f32_f16_e32 v6, v2
	v_mov_b32_e32 v8, 0x80
	s_mov_b32 s1, exec_lo
	s_delay_alu instid0(VALU_DEP_2) | instskip(NEXT) | instid1(VALU_DEP_1)
	v_and_b32_e32 v7, 0x7fffffff, v6
	v_cmpx_gt_u32_e32 0x47800000, v7
	s_cbranch_execz .LBB72_711
; %bb.706:
	v_cmp_lt_u32_e32 vcc_lo, 0x37ffffff, v7
	s_mov_b32 s2, 0
                                        ; implicit-def: $vgpr7
	s_and_saveexec_b32 s3, vcc_lo
	s_delay_alu instid0(SALU_CYCLE_1)
	s_xor_b32 s3, exec_lo, s3
	s_cbranch_execz .LBB72_803
; %bb.707:
	v_bfe_u32 v7, v6, 21, 1
	s_mov_b32 s2, exec_lo
	s_delay_alu instid0(VALU_DEP_1) | instskip(NEXT) | instid1(VALU_DEP_1)
	v_add3_u32 v7, v6, v7, 0x88fffff
	v_lshrrev_b32_e32 v7, 21, v7
	s_or_saveexec_b32 s3, s3
                                        ; implicit-def: $sgpr4
	s_delay_alu instid0(SALU_CYCLE_1)
	s_xor_b32 exec_lo, exec_lo, s3
	s_cbranch_execnz .LBB72_804
.LBB72_708:
	s_or_b32 exec_lo, exec_lo, s3
	v_mov_b32_e32 v8, s4
	s_and_saveexec_b32 s3, s2
.LBB72_709:
	v_lshrrev_b32_e32 v6, 24, v6
	s_delay_alu instid0(VALU_DEP_1)
	v_and_or_b32 v8, 0x80, v6, v7
.LBB72_710:
	s_or_b32 exec_lo, exec_lo, s3
.LBB72_711:
	s_delay_alu instid0(SALU_CYCLE_1)
	s_or_b32 exec_lo, exec_lo, s1
	s_mov_b32 s1, 0
	global_store_b8 v[0:1], v8, off
.LBB72_712:
	s_and_b32 vcc_lo, exec_lo, s1
	s_cbranch_vccz .LBB72_722
; %bb.713:
	v_cvt_f32_f16_e32 v6, v2
	s_mov_b32 s1, exec_lo
                                        ; implicit-def: $vgpr7
	s_delay_alu instid0(VALU_DEP_1) | instskip(NEXT) | instid1(VALU_DEP_1)
	v_and_b32_e32 v8, 0x7fffffff, v6
	v_cmpx_gt_u32_e32 0x43f00000, v8
	s_xor_b32 s1, exec_lo, s1
	s_cbranch_execz .LBB72_719
; %bb.714:
	s_mov_b32 s2, exec_lo
                                        ; implicit-def: $vgpr7
	v_cmpx_lt_u32_e32 0x3c7fffff, v8
	s_xor_b32 s2, exec_lo, s2
; %bb.715:
	v_bfe_u32 v7, v6, 20, 1
	s_delay_alu instid0(VALU_DEP_1) | instskip(NEXT) | instid1(VALU_DEP_1)
	v_add3_u32 v7, v6, v7, 0x407ffff
	v_and_b32_e32 v8, 0xff00000, v7
	v_lshrrev_b32_e32 v7, 20, v7
	s_delay_alu instid0(VALU_DEP_2) | instskip(NEXT) | instid1(VALU_DEP_2)
	v_cmp_ne_u32_e32 vcc_lo, 0x7f00000, v8
	v_cndmask_b32_e32 v7, 0x7e, v7, vcc_lo
; %bb.716:
	s_and_not1_saveexec_b32 s2, s2
; %bb.717:
	v_add_f32_e64 v7, 0x46800000, |v6|
; %bb.718:
	s_or_b32 exec_lo, exec_lo, s2
                                        ; implicit-def: $vgpr8
.LBB72_719:
	s_and_not1_saveexec_b32 s1, s1
; %bb.720:
	v_mov_b32_e32 v7, 0x7f
	v_cmp_lt_u32_e32 vcc_lo, 0x7f800000, v8
	s_delay_alu instid0(VALU_DEP_2)
	v_cndmask_b32_e32 v7, 0x7e, v7, vcc_lo
; %bb.721:
	s_or_b32 exec_lo, exec_lo, s1
	v_lshrrev_b32_e32 v6, 24, v6
	s_delay_alu instid0(VALU_DEP_1)
	v_and_or_b32 v6, 0x80, v6, v7
	global_store_b8 v[0:1], v6, off
.LBB72_722:
	s_mov_b32 s1, 0
.LBB72_723:
	s_delay_alu instid0(SALU_CYCLE_1)
	s_and_not1_b32 vcc_lo, exec_lo, s1
	s_cbranch_vccnz .LBB72_733
; %bb.724:
	v_cvt_f32_f16_e32 v6, v2
	s_mov_b32 s1, exec_lo
                                        ; implicit-def: $vgpr7
	s_delay_alu instid0(VALU_DEP_1) | instskip(NEXT) | instid1(VALU_DEP_1)
	v_and_b32_e32 v8, 0x7fffffff, v6
	v_cmpx_gt_u32_e32 0x47800000, v8
	s_xor_b32 s1, exec_lo, s1
	s_cbranch_execz .LBB72_730
; %bb.725:
	s_mov_b32 s2, exec_lo
                                        ; implicit-def: $vgpr7
	v_cmpx_lt_u32_e32 0x387fffff, v8
	s_xor_b32 s2, exec_lo, s2
; %bb.726:
	v_bfe_u32 v7, v6, 21, 1
	s_delay_alu instid0(VALU_DEP_1) | instskip(NEXT) | instid1(VALU_DEP_1)
	v_add3_u32 v7, v6, v7, 0x80fffff
	v_lshrrev_b32_e32 v7, 21, v7
; %bb.727:
	s_and_not1_saveexec_b32 s2, s2
; %bb.728:
	v_add_f32_e64 v7, 0x43000000, |v6|
; %bb.729:
	s_or_b32 exec_lo, exec_lo, s2
                                        ; implicit-def: $vgpr8
.LBB72_730:
	s_and_not1_saveexec_b32 s1, s1
; %bb.731:
	v_mov_b32_e32 v7, 0x7f
	v_cmp_lt_u32_e32 vcc_lo, 0x7f800000, v8
	s_delay_alu instid0(VALU_DEP_2)
	v_cndmask_b32_e32 v7, 0x7c, v7, vcc_lo
; %bb.732:
	s_or_b32 exec_lo, exec_lo, s1
	v_lshrrev_b32_e32 v6, 24, v6
	s_delay_alu instid0(VALU_DEP_1)
	v_and_or_b32 v6, 0x80, v6, v7
	global_store_b8 v[0:1], v6, off
.LBB72_733:
	s_mov_b32 s2, 0
	s_mov_b32 s1, -1
.LBB72_734:
	s_and_not1_b32 vcc_lo, exec_lo, s2
	s_cbranch_vccnz .LBB72_742
; %bb.735:
	v_cmp_lt_i16_e32 vcc_lo, 14, v3
	s_mov_b32 s2, -1
	s_cbranch_vccz .LBB72_739
; %bb.736:
	v_cmp_eq_u16_e32 vcc_lo, 15, v3
	s_mov_b32 s0, -1
	s_cbranch_vccz .LBB72_738
; %bb.737:
	v_cvt_f32_f16_e32 v6, v2
	v_cmp_o_f16_e32 vcc_lo, v2, v2
	s_mov_b32 s1, -1
	s_mov_b32 s0, 0
	s_delay_alu instid0(VALU_DEP_2) | instskip(NEXT) | instid1(VALU_DEP_1)
	v_bfe_u32 v7, v6, 16, 1
	v_add3_u32 v6, v6, v7, 0x7fff
	s_delay_alu instid0(VALU_DEP_1) | instskip(NEXT) | instid1(VALU_DEP_1)
	v_lshrrev_b32_e32 v6, 16, v6
	v_cndmask_b32_e32 v6, 0x7fc0, v6, vcc_lo
	global_store_b16 v[0:1], v6, off
.LBB72_738:
	s_mov_b32 s2, 0
.LBB72_739:
	s_delay_alu instid0(SALU_CYCLE_1)
	s_and_b32 vcc_lo, exec_lo, s2
	s_cbranch_vccz .LBB72_742
; %bb.740:
	v_cmp_eq_u16_e32 vcc_lo, 11, v3
	s_mov_b32 s0, -1
	s_cbranch_vccz .LBB72_742
; %bb.741:
	v_and_b32_e32 v6, 0x7fff7fff, v4
	s_mov_b32 s0, 0
	s_mov_b32 s1, -1
	s_delay_alu instid0(VALU_DEP_1)
	v_cmp_ne_u32_e32 vcc_lo, 0, v6
	v_cndmask_b32_e64 v6, 0, 1, vcc_lo
	global_store_b8 v[0:1], v6, off
.LBB72_742:
	s_mov_b32 s2, 0
.LBB72_743:
	s_delay_alu instid0(SALU_CYCLE_1)
	s_and_b32 vcc_lo, exec_lo, s2
	s_cbranch_vccz .LBB72_782
; %bb.744:
	v_cmp_gt_i16_e32 vcc_lo, 5, v3
	s_mov_b32 s1, -1
	s_cbranch_vccnz .LBB72_765
; %bb.745:
	v_cmp_gt_i16_e32 vcc_lo, 8, v3
	s_cbranch_vccnz .LBB72_755
; %bb.746:
	v_cmp_gt_i16_e32 vcc_lo, 9, v3
	s_cbranch_vccnz .LBB72_752
; %bb.747:
	v_cmp_lt_i16_e32 vcc_lo, 9, v3
	s_cbranch_vccz .LBB72_749
; %bb.748:
	v_cvt_f32_f16_e32 v6, v2
	v_cvt_f32_f16_e32 v8, v5
	s_mov_b32 s1, 0
	s_delay_alu instid0(VALU_DEP_2) | instskip(NEXT) | instid1(VALU_DEP_2)
	v_cvt_f64_f32_e32 v[6:7], v6
	v_cvt_f64_f32_e32 v[8:9], v8
	global_store_b128 v[0:1], v[6:9], off
.LBB72_749:
	s_and_not1_b32 vcc_lo, exec_lo, s1
	s_cbranch_vccnz .LBB72_751
; %bb.750:
	v_cvt_f32_f16_e32 v6, v2
	v_cvt_f32_f16_e32 v7, v5
	global_store_b64 v[0:1], v[6:7], off
.LBB72_751:
	s_mov_b32 s1, 0
.LBB72_752:
	s_delay_alu instid0(SALU_CYCLE_1)
	s_and_not1_b32 vcc_lo, exec_lo, s1
	s_cbranch_vccnz .LBB72_754
; %bb.753:
	global_store_b32 v[0:1], v4, off
.LBB72_754:
	s_mov_b32 s1, 0
.LBB72_755:
	s_delay_alu instid0(SALU_CYCLE_1)
	s_and_not1_b32 vcc_lo, exec_lo, s1
	s_cbranch_vccnz .LBB72_764
; %bb.756:
	v_cmp_gt_i16_e32 vcc_lo, 6, v3
	s_mov_b32 s1, -1
	s_cbranch_vccnz .LBB72_762
; %bb.757:
	v_cmp_lt_i16_e32 vcc_lo, 6, v3
	s_cbranch_vccz .LBB72_759
; %bb.758:
	v_cvt_f32_f16_e32 v4, v2
	s_mov_b32 s1, 0
	s_delay_alu instid0(VALU_DEP_1)
	v_cvt_f64_f32_e32 v[4:5], v4
	global_store_b64 v[0:1], v[4:5], off
.LBB72_759:
	s_and_not1_b32 vcc_lo, exec_lo, s1
	s_cbranch_vccnz .LBB72_761
; %bb.760:
	v_cvt_f32_f16_e32 v4, v2
	global_store_b32 v[0:1], v4, off
.LBB72_761:
	s_mov_b32 s1, 0
.LBB72_762:
	s_delay_alu instid0(SALU_CYCLE_1)
	s_and_not1_b32 vcc_lo, exec_lo, s1
	s_cbranch_vccnz .LBB72_764
; %bb.763:
	global_store_b16 v[0:1], v2, off
.LBB72_764:
	s_mov_b32 s1, 0
.LBB72_765:
	s_delay_alu instid0(SALU_CYCLE_1)
	s_and_not1_b32 vcc_lo, exec_lo, s1
	s_cbranch_vccnz .LBB72_781
; %bb.766:
	v_cmp_gt_i16_e32 vcc_lo, 2, v3
	s_mov_b32 s1, -1
	s_cbranch_vccnz .LBB72_776
; %bb.767:
	v_cmp_gt_i16_e32 vcc_lo, 3, v3
	s_cbranch_vccnz .LBB72_773
; %bb.768:
	v_cmp_lt_i16_e32 vcc_lo, 3, v3
	s_cbranch_vccz .LBB72_770
; %bb.769:
	v_cvt_f32_f16_e32 v4, v2
	s_mov_b32 s1, 0
	s_delay_alu instid0(VALU_DEP_1) | instskip(NEXT) | instid1(VALU_DEP_1)
	v_cvt_i32_f32_e32 v4, v4
	v_ashrrev_i32_e32 v5, 31, v4
	global_store_b64 v[0:1], v[4:5], off
.LBB72_770:
	s_and_not1_b32 vcc_lo, exec_lo, s1
	s_cbranch_vccnz .LBB72_772
; %bb.771:
	v_cvt_f32_f16_e32 v4, v2
	s_delay_alu instid0(VALU_DEP_1)
	v_cvt_i32_f32_e32 v4, v4
	global_store_b32 v[0:1], v4, off
.LBB72_772:
	s_mov_b32 s1, 0
.LBB72_773:
	s_delay_alu instid0(SALU_CYCLE_1)
	s_and_not1_b32 vcc_lo, exec_lo, s1
	s_cbranch_vccnz .LBB72_775
; %bb.774:
	v_cvt_i16_f16_e32 v4, v2
	global_store_b16 v[0:1], v4, off
.LBB72_775:
	s_mov_b32 s1, 0
.LBB72_776:
	s_delay_alu instid0(SALU_CYCLE_1)
	s_and_not1_b32 vcc_lo, exec_lo, s1
	s_cbranch_vccnz .LBB72_781
; %bb.777:
	v_cmp_lt_i16_e32 vcc_lo, 0, v3
	s_mov_b32 s1, -1
	s_cbranch_vccz .LBB72_779
; %bb.778:
	v_cvt_i16_f16_e32 v3, v2
	s_mov_b32 s1, 0
	global_store_b8 v[0:1], v3, off
.LBB72_779:
	s_and_not1_b32 vcc_lo, exec_lo, s1
	s_cbranch_vccnz .LBB72_781
; %bb.780:
	v_cvt_f32_f16_e32 v2, v2
	s_delay_alu instid0(VALU_DEP_1)
	v_cvt_i32_f32_e32 v2, v2
	global_store_b8 v[0:1], v2, off
.LBB72_781:
	s_mov_b32 s1, -1
.LBB72_782:
	s_delay_alu instid0(SALU_CYCLE_1)
	s_and_not1_b32 vcc_lo, exec_lo, s1
	s_cbranch_vccnz .LBB72_784
; %bb.783:
	v_add_nc_u32_e32 v18, 0x80, v18
	s_mov_b32 s3, -1
	s_branch .LBB72_786
.LBB72_784:
	s_mov_b32 s3, 0
.LBB72_785:
                                        ; implicit-def: $vgpr18
.LBB72_786:
	s_and_not1_b32 s1, s22, exec_lo
	s_and_b32 s0, s0, exec_lo
	s_and_not1_b32 s4, s21, exec_lo
	s_and_b32 s5, s25, exec_lo
	s_or_b32 s2, s1, s0
	s_or_b32 s1, s4, s5
	s_or_not1_b32 s0, s3, exec_lo
.LBB72_787:
	s_or_b32 exec_lo, exec_lo, s24
	s_mov_b32 s4, 0
	s_mov_b32 s5, 0
	;; [unrolled: 1-line block ×3, first 2 shown]
                                        ; implicit-def: $vgpr0_vgpr1
                                        ; implicit-def: $vgpr6
                                        ; implicit-def: $vgpr4
	s_and_saveexec_b32 s3, s0
	s_cbranch_execz .LBB72_875
; %bb.788:
	s_mov_b32 s0, 0
	s_mov_b32 s8, s1
	;; [unrolled: 1-line block ×3, first 2 shown]
	s_mov_b32 s4, exec_lo
                                        ; implicit-def: $vgpr0_vgpr1
                                        ; implicit-def: $vgpr6
                                        ; implicit-def: $vgpr4
	v_cmpx_gt_i32_e64 s14, v18
	s_cbranch_execz .LBB72_874
; %bb.789:
	v_mul_lo_u32 v0, v18, s11
	v_cmp_gt_i16_e32 vcc_lo, 11, v19
	s_delay_alu instid0(VALU_DEP_2) | instskip(SKIP_1) | instid1(VALU_DEP_1)
	v_ashrrev_i32_e32 v1, 31, v0
	v_add_co_u32 v0, s0, s18, v0
	v_add_co_ci_u32_e64 v1, s0, s19, v1, s0
	s_cbranch_vccnz .LBB72_796
; %bb.790:
	v_cmp_lt_i16_e32 vcc_lo, 25, v19
	s_cbranch_vccz .LBB72_797
; %bb.791:
	v_cmp_lt_i16_e32 vcc_lo, 28, v19
	s_cbranch_vccz .LBB72_798
	;; [unrolled: 3-line block ×4, first 2 shown]
; %bb.794:
	v_cmp_eq_u16_e32 vcc_lo, 46, v19
	s_cbranch_vccz .LBB72_805
; %bb.795:
	global_load_b32 v2, v[0:1], off
	s_mov_b32 s0, 0
	s_mov_b32 s6, -1
	s_waitcnt vmcnt(0)
	v_lshlrev_b32_e32 v3, 16, v2
	v_and_b32_e32 v2, 0xffff0000, v2
	s_delay_alu instid0(VALU_DEP_2) | instskip(NEXT) | instid1(VALU_DEP_2)
	v_cvt_f16_f32_e32 v4, v3
	v_cvt_f16_f32_e32 v6, v2
	s_branch .LBB72_807
.LBB72_796:
	s_mov_b32 s7, -1
	s_mov_b32 s0, s1
                                        ; implicit-def: $vgpr6
                                        ; implicit-def: $vgpr4
	s_branch .LBB72_873
.LBB72_797:
	s_mov_b32 s7, -1
	s_mov_b32 s0, s1
                                        ; implicit-def: $vgpr6
                                        ; implicit-def: $vgpr4
	s_branch .LBB72_840
.LBB72_798:
	s_mov_b32 s7, -1
	s_mov_b32 s0, s1
                                        ; implicit-def: $vgpr6
                                        ; implicit-def: $vgpr4
	s_branch .LBB72_819
.LBB72_799:
	s_mov_b32 s7, -1
	s_mov_b32 s0, s1
                                        ; implicit-def: $vgpr6
                                        ; implicit-def: $vgpr4
	s_branch .LBB72_813
.LBB72_800:
	s_or_saveexec_b32 s3, s3
                                        ; implicit-def: $sgpr4
	s_delay_alu instid0(SALU_CYCLE_1)
	s_xor_b32 exec_lo, exec_lo, s3
	s_cbranch_execz .LBB72_695
.LBB72_801:
	v_add_f32_e64 v7, 0x46000000, |v6|
	s_and_not1_b32 s2, s2, exec_lo
	s_mov_b32 s4, 0
	s_delay_alu instid0(VALU_DEP_1) | instskip(NEXT) | instid1(VALU_DEP_1)
	v_and_b32_e32 v7, 0xff, v7
	v_cmp_ne_u32_e32 vcc_lo, 0, v7
	s_and_b32 s5, vcc_lo, exec_lo
	s_delay_alu instid0(SALU_CYCLE_1)
	s_or_b32 s2, s2, s5
	s_or_b32 exec_lo, exec_lo, s3
	v_mov_b32_e32 v8, s4
	s_and_saveexec_b32 s3, s2
	s_cbranch_execnz .LBB72_696
	s_branch .LBB72_697
.LBB72_802:
	s_mov_b32 s7, -1
	s_mov_b32 s0, s1
	s_branch .LBB72_806
.LBB72_803:
	s_or_saveexec_b32 s3, s3
                                        ; implicit-def: $sgpr4
	s_delay_alu instid0(SALU_CYCLE_1)
	s_xor_b32 exec_lo, exec_lo, s3
	s_cbranch_execz .LBB72_708
.LBB72_804:
	v_add_f32_e64 v7, 0x42800000, |v6|
	s_and_not1_b32 s2, s2, exec_lo
	s_mov_b32 s4, 0
	s_delay_alu instid0(VALU_DEP_1) | instskip(NEXT) | instid1(VALU_DEP_1)
	v_and_b32_e32 v7, 0xff, v7
	v_cmp_ne_u32_e32 vcc_lo, 0, v7
	s_and_b32 s5, vcc_lo, exec_lo
	s_delay_alu instid0(SALU_CYCLE_1)
	s_or_b32 s2, s2, s5
	s_or_b32 exec_lo, exec_lo, s3
	v_mov_b32_e32 v8, s4
	s_and_saveexec_b32 s3, s2
	s_cbranch_execnz .LBB72_709
	s_branch .LBB72_710
.LBB72_805:
	s_mov_b32 s0, -1
.LBB72_806:
                                        ; implicit-def: $vgpr6
                                        ; implicit-def: $vgpr4
.LBB72_807:
	s_and_b32 vcc_lo, exec_lo, s7
	s_cbranch_vccz .LBB72_812
; %bb.808:
	v_cmp_eq_u16_e32 vcc_lo, 44, v19
	s_cbranch_vccz .LBB72_810
; %bb.809:
	global_load_u8 v2, v[0:1], off
	s_mov_b32 s0, 0
	s_mov_b32 s6, -1
	s_waitcnt vmcnt(0)
	v_lshlrev_b32_e32 v3, 23, v2
	v_cmp_ne_u32_e32 vcc_lo, 0xff, v2
	s_delay_alu instid0(VALU_DEP_2) | instskip(NEXT) | instid1(VALU_DEP_1)
	v_cvt_f16_f32_e32 v3, v3
	v_cndmask_b32_e32 v3, 0x7e00, v3, vcc_lo
	v_cmp_ne_u32_e32 vcc_lo, 0, v2
	s_delay_alu instid0(VALU_DEP_2)
	v_cndmask_b32_e32 v4, 0, v3, vcc_lo
	s_branch .LBB72_811
.LBB72_810:
	s_mov_b32 s0, -1
                                        ; implicit-def: $vgpr4
.LBB72_811:
	s_delay_alu instid0(SALU_CYCLE_1)
	v_mov_b32_e32 v6, s0
.LBB72_812:
	s_mov_b32 s7, 0
.LBB72_813:
	s_delay_alu instid0(SALU_CYCLE_1)
	s_and_b32 vcc_lo, exec_lo, s7
	s_cbranch_vccz .LBB72_818
; %bb.814:
	v_cmp_eq_u16_e32 vcc_lo, 29, v19
	s_cbranch_vccz .LBB72_816
; %bb.815:
	global_load_b64 v[2:3], v[0:1], off
	s_mov_b32 s0, 0
	s_mov_b32 s6, -1
	s_mov_b32 s7, 0
	s_waitcnt vmcnt(0)
	v_clz_i32_u32_e32 v4, v3
	s_delay_alu instid0(VALU_DEP_1) | instskip(NEXT) | instid1(VALU_DEP_1)
	v_min_u32_e32 v4, 32, v4
	v_lshlrev_b64 v[2:3], v4, v[2:3]
	s_delay_alu instid0(VALU_DEP_1) | instskip(NEXT) | instid1(VALU_DEP_1)
	v_min_u32_e32 v2, 1, v2
	v_or_b32_e32 v2, v3, v2
	v_sub_nc_u32_e32 v3, 32, v4
	s_delay_alu instid0(VALU_DEP_2) | instskip(NEXT) | instid1(VALU_DEP_1)
	v_cvt_f32_u32_e32 v2, v2
	v_ldexp_f32 v2, v2, v3
	s_delay_alu instid0(VALU_DEP_1)
	v_cvt_f16_f32_e32 v4, v2
	s_branch .LBB72_817
.LBB72_816:
	s_mov_b32 s0, -1
                                        ; implicit-def: $sgpr7
                                        ; implicit-def: $vgpr4
.LBB72_817:
	v_mov_b32_e32 v6, s7
.LBB72_818:
	s_mov_b32 s7, 0
.LBB72_819:
	s_delay_alu instid0(SALU_CYCLE_1)
	s_and_b32 vcc_lo, exec_lo, s7
	s_cbranch_vccz .LBB72_839
; %bb.820:
	v_cmp_gt_i16_e32 vcc_lo, 27, v19
	s_cbranch_vccnz .LBB72_823
; %bb.821:
	v_cmp_lt_i16_e32 vcc_lo, 27, v19
	s_cbranch_vccz .LBB72_824
; %bb.822:
	global_load_b32 v2, v[0:1], off
	s_mov_b32 s7, 0
	s_mov_b32 s6, 0
	s_waitcnt vmcnt(0)
	v_cvt_f32_u32_e32 v2, v2
	s_delay_alu instid0(VALU_DEP_1)
	v_cvt_f16_f32_e32 v4, v2
	s_branch .LBB72_825
.LBB72_823:
	s_mov_b32 s7, -1
                                        ; implicit-def: $sgpr6
                                        ; implicit-def: $vgpr4
	s_branch .LBB72_828
.LBB72_824:
	s_mov_b32 s7, -1
                                        ; implicit-def: $sgpr6
                                        ; implicit-def: $vgpr4
.LBB72_825:
	s_delay_alu instid0(SALU_CYCLE_1)
	s_and_not1_b32 vcc_lo, exec_lo, s7
	s_cbranch_vccnz .LBB72_827
; %bb.826:
	global_load_u16 v2, v[0:1], off
	s_mov_b32 s6, 0
	s_waitcnt vmcnt(0)
	v_cvt_f16_u16_e32 v4, v2
.LBB72_827:
	s_mov_b32 s7, 0
.LBB72_828:
	v_mov_b32_e32 v6, s6
	s_and_not1_b32 vcc_lo, exec_lo, s7
	s_cbranch_vccnz .LBB72_838
; %bb.829:
	global_load_u8 v2, v[0:1], off
	s_mov_b32 s6, 0
	s_mov_b32 s14, exec_lo
                                        ; implicit-def: $sgpr8
                                        ; implicit-def: $sgpr7
	s_waitcnt vmcnt(0)
	v_cmpx_lt_i16_e32 0x7f, v2
	s_xor_b32 s14, exec_lo, s14
	s_cbranch_execz .LBB72_833
; %bb.830:
	s_mov_b32 s6, -1
	s_mov_b32 s24, exec_lo
                                        ; implicit-def: $sgpr8
                                        ; implicit-def: $sgpr7
	v_cmpx_eq_u16_e32 0x80, v2
; %bb.831:
	s_movk_i32 s7, 0x7e00
	s_mov_b32 s8, 0
	s_xor_b32 s6, exec_lo, -1
; %bb.832:
	s_or_b32 exec_lo, exec_lo, s24
	s_delay_alu instid0(SALU_CYCLE_1)
	s_and_b32 s6, s6, exec_lo
.LBB72_833:
	s_or_saveexec_b32 s14, s14
	v_mov_b32_e32 v6, s8
	v_mov_b32_e32 v4, s7
	s_xor_b32 exec_lo, exec_lo, s14
; %bb.834:
	v_cmp_ne_u16_e32 vcc_lo, 0, v2
	v_mov_b32_e32 v6, 0
	v_mov_b32_e32 v4, v2
	s_and_not1_b32 s6, s6, exec_lo
	s_and_b32 s7, vcc_lo, exec_lo
	s_delay_alu instid0(SALU_CYCLE_1)
	s_or_b32 s6, s6, s7
; %bb.835:
	s_or_b32 exec_lo, exec_lo, s14
	s_and_saveexec_b32 s7, s6
	s_cbranch_execz .LBB72_837
; %bb.836:
	v_and_b32_e32 v3, 0xffff, v2
	v_lshlrev_b32_e32 v2, 24, v2
	s_delay_alu instid0(VALU_DEP_2) | instskip(NEXT) | instid1(VALU_DEP_2)
	v_and_b32_e32 v4, 7, v3
	v_and_b32_e32 v2, 0x80000000, v2
	s_delay_alu instid0(VALU_DEP_2) | instskip(NEXT) | instid1(VALU_DEP_1)
	v_clz_i32_u32_e32 v5, v4
	v_min_u32_e32 v5, 32, v5
	s_delay_alu instid0(VALU_DEP_1) | instskip(SKIP_1) | instid1(VALU_DEP_2)
	v_subrev_nc_u32_e32 v6, 28, v5
	v_sub_nc_u32_e32 v5, 29, v5
	v_lshlrev_b32_e32 v6, v6, v3
	v_bfe_u32 v3, v3, 3, 4
	s_delay_alu instid0(VALU_DEP_2) | instskip(NEXT) | instid1(VALU_DEP_2)
	v_and_b32_e32 v6, 7, v6
	v_cmp_eq_u32_e32 vcc_lo, 0, v3
	s_delay_alu instid0(VALU_DEP_2) | instskip(SKIP_1) | instid1(VALU_DEP_2)
	v_dual_cndmask_b32 v3, v3, v5 :: v_dual_cndmask_b32 v4, v4, v6
	v_mov_b32_e32 v6, 0
	v_lshl_add_u32 v3, v3, 23, 0x3b800000
	s_delay_alu instid0(VALU_DEP_3) | instskip(NEXT) | instid1(VALU_DEP_1)
	v_lshlrev_b32_e32 v4, 20, v4
	v_or3_b32 v2, v2, v3, v4
	s_delay_alu instid0(VALU_DEP_1)
	v_cvt_f16_f32_e32 v4, v2
.LBB72_837:
	s_or_b32 exec_lo, exec_lo, s7
.LBB72_838:
	s_mov_b32 s6, -1
.LBB72_839:
	s_mov_b32 s7, 0
.LBB72_840:
	s_delay_alu instid0(SALU_CYCLE_1)
	s_and_b32 vcc_lo, exec_lo, s7
	s_cbranch_vccz .LBB72_872
; %bb.841:
	v_cmp_lt_i16_e32 vcc_lo, 22, v19
	s_cbranch_vccz .LBB72_853
; %bb.842:
	v_cmp_gt_i16_e32 vcc_lo, 24, v19
	s_cbranch_vccnz .LBB72_854
; %bb.843:
	v_cmp_lt_i16_e32 vcc_lo, 24, v19
	s_cbranch_vccz .LBB72_855
; %bb.844:
	global_load_u8 v2, v[0:1], off
	s_mov_b32 s8, exec_lo
                                        ; implicit-def: $sgpr7
                                        ; implicit-def: $sgpr6
	s_waitcnt vmcnt(0)
	v_cmpx_lt_i16_e32 0x7f, v2
	s_xor_b32 s8, exec_lo, s8
	s_cbranch_execz .LBB72_848
; %bb.845:
	s_mov_b32 s5, -1
	s_mov_b32 s14, exec_lo
                                        ; implicit-def: $sgpr7
                                        ; implicit-def: $sgpr6
	v_cmpx_eq_u16_e32 0x80, v2
; %bb.846:
	s_movk_i32 s6, 0x7e00
	s_mov_b32 s7, 0
	s_xor_b32 s5, exec_lo, -1
; %bb.847:
	s_or_b32 exec_lo, exec_lo, s14
	s_delay_alu instid0(SALU_CYCLE_1)
	s_and_b32 s5, s5, exec_lo
.LBB72_848:
	s_or_saveexec_b32 s8, s8
	v_mov_b32_e32 v6, s7
	v_mov_b32_e32 v4, s6
	s_xor_b32 exec_lo, exec_lo, s8
; %bb.849:
	v_cmp_ne_u16_e32 vcc_lo, 0, v2
	v_mov_b32_e32 v6, 0
	v_mov_b32_e32 v4, v2
	s_and_not1_b32 s5, s5, exec_lo
	s_and_b32 s6, vcc_lo, exec_lo
	s_delay_alu instid0(SALU_CYCLE_1)
	s_or_b32 s5, s5, s6
; %bb.850:
	s_or_b32 exec_lo, exec_lo, s8
	s_and_saveexec_b32 s6, s5
	s_cbranch_execz .LBB72_852
; %bb.851:
	v_and_b32_e32 v3, 0xffff, v2
	v_lshlrev_b32_e32 v2, 24, v2
	s_delay_alu instid0(VALU_DEP_2) | instskip(NEXT) | instid1(VALU_DEP_2)
	v_and_b32_e32 v4, 3, v3
	v_and_b32_e32 v2, 0x80000000, v2
	s_delay_alu instid0(VALU_DEP_2) | instskip(NEXT) | instid1(VALU_DEP_1)
	v_clz_i32_u32_e32 v5, v4
	v_min_u32_e32 v5, 32, v5
	s_delay_alu instid0(VALU_DEP_1) | instskip(SKIP_1) | instid1(VALU_DEP_2)
	v_subrev_nc_u32_e32 v6, 29, v5
	v_sub_nc_u32_e32 v5, 30, v5
	v_lshlrev_b32_e32 v6, v6, v3
	v_bfe_u32 v3, v3, 2, 5
	s_delay_alu instid0(VALU_DEP_2) | instskip(NEXT) | instid1(VALU_DEP_2)
	v_and_b32_e32 v6, 3, v6
	v_cmp_eq_u32_e32 vcc_lo, 0, v3
	s_delay_alu instid0(VALU_DEP_2) | instskip(SKIP_1) | instid1(VALU_DEP_2)
	v_dual_cndmask_b32 v3, v3, v5 :: v_dual_cndmask_b32 v4, v4, v6
	v_mov_b32_e32 v6, 0
	v_lshl_add_u32 v3, v3, 23, 0x37800000
	s_delay_alu instid0(VALU_DEP_3) | instskip(NEXT) | instid1(VALU_DEP_1)
	v_lshlrev_b32_e32 v4, 21, v4
	v_or3_b32 v2, v2, v3, v4
	s_delay_alu instid0(VALU_DEP_1)
	v_cvt_f16_f32_e32 v4, v2
.LBB72_852:
	s_or_b32 exec_lo, exec_lo, s6
	s_mov_b32 s5, 0
	s_branch .LBB72_856
.LBB72_853:
	s_mov_b32 s5, -1
                                        ; implicit-def: $vgpr6
                                        ; implicit-def: $vgpr4
	s_branch .LBB72_862
.LBB72_854:
	s_mov_b32 s5, -1
                                        ; implicit-def: $vgpr6
                                        ; implicit-def: $vgpr4
	s_branch .LBB72_859
.LBB72_855:
	s_mov_b32 s5, -1
                                        ; implicit-def: $vgpr6
                                        ; implicit-def: $vgpr4
.LBB72_856:
	s_delay_alu instid0(SALU_CYCLE_1)
	s_and_b32 vcc_lo, exec_lo, s5
	s_cbranch_vccz .LBB72_858
; %bb.857:
	global_load_u8 v2, v[0:1], off
	s_waitcnt vmcnt(0)
	v_lshlrev_b32_e32 v2, 24, v2
	s_delay_alu instid0(VALU_DEP_1) | instskip(NEXT) | instid1(VALU_DEP_1)
	v_and_b32_e32 v3, 0x7f000000, v2
	v_clz_i32_u32_e32 v4, v3
	v_add_nc_u32_e32 v6, 0x1000000, v3
	s_delay_alu instid0(VALU_DEP_2) | instskip(NEXT) | instid1(VALU_DEP_1)
	v_min_u32_e32 v4, 32, v4
	v_sub_nc_u32_e64 v4, v4, 4 clamp
	s_delay_alu instid0(VALU_DEP_1) | instskip(SKIP_1) | instid1(VALU_DEP_2)
	v_lshlrev_b32_e32 v5, v4, v3
	v_lshlrev_b32_e32 v4, 23, v4
	v_lshrrev_b32_e32 v5, 4, v5
	s_delay_alu instid0(VALU_DEP_1) | instskip(SKIP_3) | instid1(VALU_DEP_4)
	v_sub_nc_u32_e32 v4, v5, v4
	v_ashrrev_i32_e32 v5, 8, v6
	v_mov_b32_e32 v6, 0
	v_cmp_ne_u32_e32 vcc_lo, 0, v3
	v_add_nc_u32_e32 v4, 0x3c000000, v4
	s_delay_alu instid0(VALU_DEP_1) | instskip(NEXT) | instid1(VALU_DEP_1)
	v_and_or_b32 v4, 0x7f800000, v5, v4
	v_cndmask_b32_e32 v3, 0, v4, vcc_lo
	s_delay_alu instid0(VALU_DEP_1) | instskip(NEXT) | instid1(VALU_DEP_1)
	v_and_or_b32 v2, 0x80000000, v2, v3
	v_cvt_f16_f32_e32 v4, v2
.LBB72_858:
	s_mov_b32 s5, 0
.LBB72_859:
	s_delay_alu instid0(SALU_CYCLE_1)
	s_and_not1_b32 vcc_lo, exec_lo, s5
	s_cbranch_vccnz .LBB72_861
; %bb.860:
	global_load_u8 v2, v[0:1], off
	s_waitcnt vmcnt(0)
	v_dual_mov_b32 v6, 0 :: v_dual_lshlrev_b32 v3, 25, v2
	v_lshlrev_b16 v2, 8, v2
	s_delay_alu instid0(VALU_DEP_2) | instskip(NEXT) | instid1(VALU_DEP_2)
	v_lshrrev_b32_e32 v4, 4, v3
	v_and_or_b32 v5, 0x7f00, v2, 0.5
	v_bfe_i32 v2, v2, 0, 16
	s_delay_alu instid0(VALU_DEP_3) | instskip(NEXT) | instid1(VALU_DEP_1)
	v_or_b32_e32 v4, 0x70000000, v4
	v_dual_add_f32 v5, -0.5, v5 :: v_dual_mul_f32 v4, 0x7800000, v4
	v_cmp_gt_u32_e32 vcc_lo, 0x8000000, v3
	s_delay_alu instid0(VALU_DEP_2) | instskip(NEXT) | instid1(VALU_DEP_1)
	v_cndmask_b32_e32 v3, v4, v5, vcc_lo
	v_and_or_b32 v2, 0x80000000, v2, v3
	s_delay_alu instid0(VALU_DEP_1)
	v_cvt_f16_f32_e32 v4, v2
.LBB72_861:
	s_mov_b32 s5, 0
	s_mov_b32 s6, -1
.LBB72_862:
	s_and_not1_b32 vcc_lo, exec_lo, s5
	s_mov_b32 s5, 0
	s_cbranch_vccnz .LBB72_872
; %bb.863:
	v_cmp_lt_i16_e32 vcc_lo, 14, v19
	s_cbranch_vccz .LBB72_866
; %bb.864:
	v_cmp_eq_u16_e32 vcc_lo, 15, v19
	s_cbranch_vccz .LBB72_867
; %bb.865:
	global_load_u16 v2, v[0:1], off
	s_mov_b32 s0, 0
	s_mov_b32 s6, -1
	s_mov_b32 s7, 0
	s_waitcnt vmcnt(0)
	v_lshlrev_b32_e32 v2, 16, v2
	s_delay_alu instid0(VALU_DEP_1)
	v_cvt_f16_f32_e32 v4, v2
	s_branch .LBB72_869
.LBB72_866:
	s_mov_b32 s5, -1
	s_branch .LBB72_868
.LBB72_867:
	s_mov_b32 s0, -1
.LBB72_868:
                                        ; implicit-def: $sgpr7
                                        ; implicit-def: $vgpr4
.LBB72_869:
	s_and_b32 vcc_lo, exec_lo, s5
	s_mov_b32 s5, 0
	s_cbranch_vccz .LBB72_871
; %bb.870:
	v_cmp_ne_u16_e32 vcc_lo, 11, v19
	s_and_not1_b32 s0, s0, exec_lo
	s_mov_b32 s5, -1
                                        ; implicit-def: $vgpr4
	s_and_b32 s7, vcc_lo, exec_lo
	s_delay_alu instid0(SALU_CYCLE_1)
	s_or_b32 s0, s0, s7
                                        ; implicit-def: $sgpr7
.LBB72_871:
	v_mov_b32_e32 v6, s7
.LBB72_872:
	s_mov_b32 s7, 0
.LBB72_873:
	s_and_not1_b32 s8, s1, exec_lo
	s_and_b32 s14, s0, exec_lo
	s_and_b32 s6, s6, exec_lo
	;; [unrolled: 1-line block ×4, first 2 shown]
	s_or_b32 s8, s8, s14
.LBB72_874:
	s_or_b32 exec_lo, exec_lo, s4
	s_delay_alu instid0(SALU_CYCLE_1)
	s_and_b32 s5, s7, exec_lo
	s_and_not1_b32 s1, s1, exec_lo
	s_and_b32 s7, s8, exec_lo
	s_and_b32 s6, s6, exec_lo
	;; [unrolled: 1-line block ×3, first 2 shown]
	s_or_b32 s1, s1, s7
.LBB72_875:
	s_or_b32 exec_lo, exec_lo, s3
	s_delay_alu instid0(SALU_CYCLE_1)
	s_and_not1_b32 s0, s22, exec_lo
	s_and_b32 s2, s2, exec_lo
	s_and_not1_b32 s3, s21, exec_lo
	s_or_b32 s22, s0, s2
	s_and_b32 s2, s5, exec_lo
	s_and_b32 s5, s1, exec_lo
	;; [unrolled: 1-line block ×4, first 2 shown]
	s_or_b32 s21, s3, s5
.LBB72_876:
	s_or_b32 exec_lo, exec_lo, s23
	s_delay_alu instid0(SALU_CYCLE_1)
	s_and_not1_b32 s3, s13, exec_lo
	s_and_b32 s4, s22, exec_lo
	s_and_b32 s0, s0, exec_lo
	s_or_b32 s13, s3, s4
	s_and_not1_b32 s3, s15, exec_lo
	s_and_b32 s4, s21, exec_lo
	s_and_b32 s2, s2, exec_lo
	s_and_b32 s21, s1, exec_lo
	s_or_b32 s15, s3, s4
.LBB72_877:
	s_or_b32 exec_lo, exec_lo, s20
	s_mov_b32 s14, 0
	s_and_saveexec_b32 s1, s15
	s_cbranch_execnz .LBB72_889
; %bb.878:
	s_or_b32 exec_lo, exec_lo, s1
	s_and_saveexec_b32 s1, s21
	s_delay_alu instid0(SALU_CYCLE_1)
	s_xor_b32 s1, exec_lo, s1
	s_cbranch_execz .LBB72_880
.LBB72_879:
	global_load_u8 v2, v[0:1], off
	v_mov_b32_e32 v6, 0
	s_or_b32 s0, s0, exec_lo
	s_waitcnt vmcnt(0)
	v_cmp_ne_u16_e32 vcc_lo, 0, v2
	v_cndmask_b32_e64 v4, 0, 0x3c00, vcc_lo
.LBB72_880:
	s_or_b32 exec_lo, exec_lo, s1
	s_and_saveexec_b32 s1, s2
	s_cbranch_execz .LBB72_930
; %bb.881:
	v_cmp_gt_i16_e32 vcc_lo, 5, v19
	s_cbranch_vccnz .LBB72_886
; %bb.882:
	v_cmp_gt_i16_e32 vcc_lo, 8, v19
	s_cbranch_vccnz .LBB72_887
	;; [unrolled: 3-line block ×3, first 2 shown]
; %bb.884:
	v_cmp_lt_i16_e32 vcc_lo, 9, v19
	s_cbranch_vccz .LBB72_891
; %bb.885:
	global_load_b128 v[2:5], v[0:1], off
	s_mov_b32 s2, 0
	s_waitcnt vmcnt(0)
	v_cvt_f32_f64_e32 v2, v[2:3]
	v_cvt_f32_f64_e32 v3, v[4:5]
	s_delay_alu instid0(VALU_DEP_2) | instskip(NEXT) | instid1(VALU_DEP_2)
	v_cvt_f16_f32_e32 v4, v2
	v_cvt_f16_f32_e32 v6, v3
	s_branch .LBB72_892
.LBB72_886:
                                        ; implicit-def: $vgpr6
                                        ; implicit-def: $vgpr4
	s_branch .LBB72_910
.LBB72_887:
                                        ; implicit-def: $vgpr6
                                        ; implicit-def: $vgpr4
	s_branch .LBB72_898
.LBB72_888:
	s_mov_b32 s2, -1
                                        ; implicit-def: $vgpr6
                                        ; implicit-def: $vgpr4
	s_branch .LBB72_895
.LBB72_889:
	s_cbranch_execnz .LBB72_939
; %bb.890:
	s_mov_b32 s14, exec_lo
	s_and_not1_b32 s21, s21, exec_lo
                                        ; implicit-def: $vgpr6
                                        ; implicit-def: $vgpr4
	s_or_b32 exec_lo, exec_lo, s1
	s_and_saveexec_b32 s1, s21
	s_delay_alu instid0(SALU_CYCLE_1)
	s_xor_b32 s1, exec_lo, s1
	s_cbranch_execnz .LBB72_879
	s_branch .LBB72_880
.LBB72_891:
	s_mov_b32 s2, -1
                                        ; implicit-def: $vgpr6
                                        ; implicit-def: $vgpr4
.LBB72_892:
	s_delay_alu instid0(SALU_CYCLE_1)
	s_and_not1_b32 vcc_lo, exec_lo, s2
	s_cbranch_vccnz .LBB72_894
; %bb.893:
	global_load_b64 v[2:3], v[0:1], off
	s_waitcnt vmcnt(0)
	v_cvt_f16_f32_e32 v4, v2
	v_cvt_f16_f32_e32 v6, v3
.LBB72_894:
	s_mov_b32 s2, 0
.LBB72_895:
	s_delay_alu instid0(SALU_CYCLE_1)
	s_and_not1_b32 vcc_lo, exec_lo, s2
	s_cbranch_vccnz .LBB72_897
; %bb.896:
	global_load_b32 v4, v[0:1], off
	s_waitcnt vmcnt(0)
	v_lshrrev_b32_e32 v6, 16, v4
.LBB72_897:
	s_cbranch_execnz .LBB72_909
.LBB72_898:
	v_cmp_gt_i16_e32 vcc_lo, 6, v19
	s_cbranch_vccnz .LBB72_901
; %bb.899:
	v_cmp_lt_i16_e32 vcc_lo, 6, v19
	s_cbranch_vccz .LBB72_902
; %bb.900:
	global_load_b64 v[2:3], v[0:1], off
	s_mov_b32 s3, 0
	s_mov_b32 s2, 0
	s_waitcnt vmcnt(0)
	v_cvt_f32_f64_e32 v2, v[2:3]
	s_delay_alu instid0(VALU_DEP_1)
	v_cvt_f16_f32_e32 v4, v2
	s_branch .LBB72_903
.LBB72_901:
	s_mov_b32 s3, -1
                                        ; implicit-def: $sgpr2
                                        ; implicit-def: $vgpr4
	s_branch .LBB72_906
.LBB72_902:
	s_mov_b32 s3, -1
                                        ; implicit-def: $sgpr2
                                        ; implicit-def: $vgpr4
.LBB72_903:
	s_delay_alu instid0(SALU_CYCLE_1)
	s_and_not1_b32 vcc_lo, exec_lo, s3
	s_cbranch_vccnz .LBB72_905
; %bb.904:
	global_load_b32 v2, v[0:1], off
	s_mov_b32 s2, 0
	s_waitcnt vmcnt(0)
	v_cvt_f16_f32_e32 v4, v2
.LBB72_905:
	s_mov_b32 s3, 0
.LBB72_906:
	s_delay_alu instid0(SALU_CYCLE_1)
	s_and_not1_b32 vcc_lo, exec_lo, s3
	s_cbranch_vccnz .LBB72_908
; %bb.907:
	global_load_u16 v4, v[0:1], off
	s_mov_b32 s2, 0
.LBB72_908:
	s_delay_alu instid0(SALU_CYCLE_1)
	v_mov_b32_e32 v6, s2
.LBB72_909:
	s_cbranch_execnz .LBB72_929
.LBB72_910:
	v_cmp_gt_i16_e32 vcc_lo, 2, v19
	s_cbranch_vccnz .LBB72_914
; %bb.911:
	v_cmp_gt_i16_e32 vcc_lo, 3, v19
	s_cbranch_vccnz .LBB72_915
; %bb.912:
	v_cmp_lt_i16_e32 vcc_lo, 3, v19
	s_cbranch_vccz .LBB72_916
; %bb.913:
	global_load_b64 v[2:3], v[0:1], off
	s_mov_b32 s3, 0
	s_mov_b32 s2, 0
	s_waitcnt vmcnt(0)
	v_xor_b32_e32 v4, v2, v3
	v_cls_i32_e32 v5, v3
	s_delay_alu instid0(VALU_DEP_2) | instskip(NEXT) | instid1(VALU_DEP_2)
	v_ashrrev_i32_e32 v4, 31, v4
	v_add_nc_u32_e32 v5, -1, v5
	s_delay_alu instid0(VALU_DEP_2) | instskip(NEXT) | instid1(VALU_DEP_1)
	v_add_nc_u32_e32 v4, 32, v4
	v_min_u32_e32 v4, v5, v4
	s_delay_alu instid0(VALU_DEP_1) | instskip(NEXT) | instid1(VALU_DEP_1)
	v_lshlrev_b64 v[2:3], v4, v[2:3]
	v_min_u32_e32 v2, 1, v2
	s_delay_alu instid0(VALU_DEP_1) | instskip(SKIP_1) | instid1(VALU_DEP_2)
	v_or_b32_e32 v2, v3, v2
	v_sub_nc_u32_e32 v3, 32, v4
	v_cvt_f32_i32_e32 v2, v2
	s_delay_alu instid0(VALU_DEP_1) | instskip(NEXT) | instid1(VALU_DEP_1)
	v_ldexp_f32 v2, v2, v3
	v_cvt_f16_f32_e32 v4, v2
	s_branch .LBB72_917
.LBB72_914:
                                        ; implicit-def: $sgpr2
                                        ; implicit-def: $vgpr4
	s_branch .LBB72_923
.LBB72_915:
	s_mov_b32 s3, -1
                                        ; implicit-def: $sgpr2
                                        ; implicit-def: $vgpr4
	s_branch .LBB72_920
.LBB72_916:
	s_mov_b32 s3, -1
                                        ; implicit-def: $sgpr2
                                        ; implicit-def: $vgpr4
.LBB72_917:
	s_delay_alu instid0(SALU_CYCLE_1)
	s_and_not1_b32 vcc_lo, exec_lo, s3
	s_cbranch_vccnz .LBB72_919
; %bb.918:
	global_load_b32 v2, v[0:1], off
	s_mov_b32 s2, 0
	s_waitcnt vmcnt(0)
	v_cvt_f32_i32_e32 v2, v2
	s_delay_alu instid0(VALU_DEP_1)
	v_cvt_f16_f32_e32 v4, v2
.LBB72_919:
	s_mov_b32 s3, 0
.LBB72_920:
	s_delay_alu instid0(SALU_CYCLE_1)
	s_and_not1_b32 vcc_lo, exec_lo, s3
	s_cbranch_vccnz .LBB72_922
; %bb.921:
	global_load_u16 v2, v[0:1], off
	s_mov_b32 s2, 0
	s_waitcnt vmcnt(0)
	v_cvt_f16_i16_e32 v4, v2
.LBB72_922:
	s_cbranch_execnz .LBB72_928
.LBB72_923:
	v_cmp_lt_i16_e32 vcc_lo, 0, v19
	s_mov_b32 s3, 0
	s_cbranch_vccz .LBB72_925
; %bb.924:
	global_load_i8 v2, v[0:1], off
	s_mov_b32 s2, 0
	s_waitcnt vmcnt(0)
	v_cvt_f16_i16_e32 v4, v2
	s_branch .LBB72_926
.LBB72_925:
	s_mov_b32 s3, -1
                                        ; implicit-def: $sgpr2
                                        ; implicit-def: $vgpr4
.LBB72_926:
	s_delay_alu instid0(SALU_CYCLE_1)
	s_and_not1_b32 vcc_lo, exec_lo, s3
	s_cbranch_vccnz .LBB72_928
; %bb.927:
	global_load_u8 v0, v[0:1], off
	s_mov_b32 s2, 0
	s_waitcnt vmcnt(0)
	v_cvt_f16_u16_e32 v4, v0
.LBB72_928:
	v_mov_b32_e32 v6, s2
.LBB72_929:
	s_or_b32 s0, s0, exec_lo
.LBB72_930:
	s_or_b32 exec_lo, exec_lo, s1
	s_mov_b32 s2, 0
	s_mov_b32 s1, 0
                                        ; implicit-def: $vgpr3
                                        ; implicit-def: $vgpr0_vgpr1
                                        ; implicit-def: $vgpr7
                                        ; implicit-def: $vgpr5
                                        ; implicit-def: $vgpr2
	s_and_saveexec_b32 s15, s0
	s_cbranch_execz .LBB72_1010
; %bb.931:
	s_waitcnt vmcnt(0)
	v_cvt_f32_f16_e32 v0, v4
	v_cvt_f32_f16_e32 v1, v6
	s_getpc_b64 s[0:1]
	s_add_u32 s0, s0, _ZN16c10_complex_math3expIfEEN3c107complexIT_EERKS4_@rel32@lo+4
	s_addc_u32 s1, s1, _ZN16c10_complex_math3expIfEEN3c107complexIT_EERKS4_@rel32@hi+12
	s_delay_alu instid0(SALU_CYCLE_1) | instskip(SKIP_4) | instid1(VALU_DEP_3)
	s_swappc_b64 s[30:31], s[0:1]
	v_mul_lo_u32 v7, v18, s10
	v_and_b32_e32 v3, 0xff, v17
	v_cvt_f16_f32_e32 v5, v1
	v_cvt_f16_f32_e32 v2, v0
	v_cmp_gt_i16_e32 vcc_lo, 11, v3
	s_delay_alu instid0(VALU_DEP_3) | instskip(SKIP_3) | instid1(VALU_DEP_3)
	v_lshlrev_b32_e32 v4, 16, v5
	v_ashrrev_i32_e32 v1, 31, v7
	v_add_co_u32 v0, s0, s16, v7
	v_and_b32_e32 v6, 0xffff, v2
	v_add_co_ci_u32_e64 v1, s0, s17, v1, s0
	s_cbranch_vccnz .LBB72_938
; %bb.932:
	v_cmp_lt_i16_e32 vcc_lo, 25, v3
	s_mov_b32 s1, -1
	s_mov_b32 s0, s13
	s_cbranch_vccz .LBB72_968
; %bb.933:
	v_cmp_lt_i16_e32 vcc_lo, 28, v3
	s_mov_b32 s0, s13
	s_cbranch_vccz .LBB72_952
; %bb.934:
	v_cmp_lt_i16_e32 vcc_lo, 43, v3
	;; [unrolled: 4-line block ×3, first 2 shown]
	s_mov_b32 s0, s13
	s_cbranch_vccz .LBB72_942
; %bb.936:
	v_cmp_eq_u16_e32 vcc_lo, 46, v3
	s_mov_b32 s0, -1
	s_cbranch_vccz .LBB72_941
; %bb.937:
	v_cvt_f32_f16_e32 v7, v5
	v_cvt_f32_f16_e32 v8, v2
	v_cmp_o_f16_e32 vcc_lo, v5, v5
	s_mov_b32 s0, 0
	s_mov_b32 s1, 0
	v_bfe_u32 v9, v7, 16, 1
	v_bfe_u32 v10, v8, 16, 1
	s_delay_alu instid0(VALU_DEP_2) | instskip(NEXT) | instid1(VALU_DEP_2)
	v_add3_u32 v7, v7, v9, 0x7fff
	v_add3_u32 v8, v8, v10, 0x7fff
	s_delay_alu instid0(VALU_DEP_2) | instskip(NEXT) | instid1(VALU_DEP_2)
	v_and_b32_e32 v7, 0xffff0000, v7
	v_lshrrev_b32_e32 v8, 16, v8
	s_delay_alu instid0(VALU_DEP_2) | instskip(SKIP_1) | instid1(VALU_DEP_3)
	v_cndmask_b32_e32 v7, 0x7fc00000, v7, vcc_lo
	v_cmp_o_f16_e32 vcc_lo, v2, v2
	v_cndmask_b32_e32 v8, 0x7fc0, v8, vcc_lo
	s_delay_alu instid0(VALU_DEP_1)
	v_or_b32_e32 v7, v7, v8
	global_store_b32 v[0:1], v7, off
	s_branch .LBB72_942
.LBB72_938:
	s_mov_b32 s2, 0
	s_mov_b32 s1, -1
	s_mov_b32 s0, s13
	s_branch .LBB72_1009
.LBB72_939:
	s_trap 2
	s_sendmsg_rtn_b32 s0, sendmsg(MSG_RTN_GET_DOORBELL)
	s_mov_b32 ttmp2, m0
	s_waitcnt lgkmcnt(0)
	s_and_b32 s0, s0, 0x3ff
	s_delay_alu instid0(SALU_CYCLE_1) | instskip(NEXT) | instid1(SALU_CYCLE_1)
	s_bitset1_b32 s0, 10
	s_mov_b32 m0, s0
	s_sendmsg sendmsg(MSG_INTERRUPT)
	s_mov_b32 m0, ttmp2
.LBB72_940:                             ; =>This Inner Loop Header: Depth=1
	s_sethalt 5
	s_branch .LBB72_940
.LBB72_941:
	s_mov_b32 s1, 0
.LBB72_942:
	s_delay_alu instid0(SALU_CYCLE_1)
	s_and_b32 vcc_lo, exec_lo, s1
	s_cbranch_vccz .LBB72_947
; %bb.943:
	v_cmp_eq_u16_e32 vcc_lo, 44, v3
	s_mov_b32 s0, -1
	s_cbranch_vccz .LBB72_947
; %bb.944:
	v_cvt_f32_f16_e32 v7, v2
	v_mov_b32_e32 v8, 0xff
	s_mov_b32 s1, exec_lo
	s_delay_alu instid0(VALU_DEP_2) | instskip(NEXT) | instid1(VALU_DEP_1)
	v_bfe_u32 v9, v7, 23, 8
	v_cmpx_ne_u32_e32 0xff, v9
; %bb.945:
	v_and_b32_e32 v8, 0x400000, v7
	v_and_or_b32 v9, 0x3fffff, v7, v9
	v_lshrrev_b32_e32 v7, 23, v7
	s_delay_alu instid0(VALU_DEP_3) | instskip(NEXT) | instid1(VALU_DEP_3)
	v_cmp_ne_u32_e32 vcc_lo, 0, v8
	v_cmp_ne_u32_e64 s0, 0, v9
	s_delay_alu instid0(VALU_DEP_1) | instskip(NEXT) | instid1(SALU_CYCLE_1)
	s_and_b32 s0, vcc_lo, s0
	v_cndmask_b32_e64 v8, 0, 1, s0
	s_delay_alu instid0(VALU_DEP_1)
	v_add_nc_u32_e32 v8, v7, v8
; %bb.946:
	s_or_b32 exec_lo, exec_lo, s1
	s_mov_b32 s0, 0
	global_store_b8 v[0:1], v8, off
.LBB72_947:
	s_mov_b32 s1, 0
.LBB72_948:
	s_delay_alu instid0(SALU_CYCLE_1)
	s_and_b32 vcc_lo, exec_lo, s1
	s_cbranch_vccz .LBB72_951
; %bb.949:
	v_cmp_eq_u16_e32 vcc_lo, 29, v3
	s_mov_b32 s0, -1
	s_cbranch_vccz .LBB72_951
; %bb.950:
	v_cvt_f32_f16_e32 v7, v2
	v_mov_b32_e32 v8, 0
	s_mov_b32 s0, 0
	s_mov_b32 s1, 0
	s_delay_alu instid0(VALU_DEP_2)
	v_cvt_u32_f32_e32 v7, v7
	global_store_b64 v[0:1], v[7:8], off
	s_branch .LBB72_952
.LBB72_951:
	s_mov_b32 s1, 0
.LBB72_952:
	s_delay_alu instid0(SALU_CYCLE_1)
	s_and_b32 vcc_lo, exec_lo, s1
	s_cbranch_vccz .LBB72_967
; %bb.953:
	v_cmp_gt_i16_e32 vcc_lo, 27, v3
	s_mov_b32 s1, -1
	s_cbranch_vccnz .LBB72_959
; %bb.954:
	v_cmp_lt_i16_e32 vcc_lo, 27, v3
	s_cbranch_vccz .LBB72_956
; %bb.955:
	v_cvt_f32_f16_e32 v7, v2
	s_mov_b32 s1, 0
	s_delay_alu instid0(VALU_DEP_1)
	v_cvt_u32_f32_e32 v7, v7
	global_store_b32 v[0:1], v7, off
.LBB72_956:
	s_and_not1_b32 vcc_lo, exec_lo, s1
	s_cbranch_vccnz .LBB72_958
; %bb.957:
	v_cvt_u16_f16_e32 v7, v2
	global_store_b16 v[0:1], v7, off
.LBB72_958:
	s_mov_b32 s1, 0
.LBB72_959:
	s_delay_alu instid0(SALU_CYCLE_1)
	s_and_not1_b32 vcc_lo, exec_lo, s1
	s_cbranch_vccnz .LBB72_967
; %bb.960:
	v_cvt_f32_f16_e32 v7, v2
	v_mov_b32_e32 v9, 0x80
	s_mov_b32 s1, exec_lo
	s_delay_alu instid0(VALU_DEP_2) | instskip(NEXT) | instid1(VALU_DEP_1)
	v_and_b32_e32 v8, 0x7fffffff, v7
	v_cmpx_gt_u32_e32 0x43800000, v8
	s_cbranch_execz .LBB72_966
; %bb.961:
	v_cmp_lt_u32_e32 vcc_lo, 0x3bffffff, v8
	s_mov_b32 s2, 0
                                        ; implicit-def: $vgpr8
	s_and_saveexec_b32 s3, vcc_lo
	s_delay_alu instid0(SALU_CYCLE_1)
	s_xor_b32 s3, exec_lo, s3
	s_cbranch_execz .LBB72_1207
; %bb.962:
	v_bfe_u32 v8, v7, 20, 1
	s_mov_b32 s2, exec_lo
	s_delay_alu instid0(VALU_DEP_1) | instskip(NEXT) | instid1(VALU_DEP_1)
	v_add3_u32 v8, v7, v8, 0x487ffff
	v_lshrrev_b32_e32 v8, 20, v8
	s_or_saveexec_b32 s3, s3
                                        ; implicit-def: $sgpr4
	s_delay_alu instid0(SALU_CYCLE_1)
	s_xor_b32 exec_lo, exec_lo, s3
	s_cbranch_execnz .LBB72_1208
.LBB72_963:
	s_or_b32 exec_lo, exec_lo, s3
	v_mov_b32_e32 v9, s4
	s_and_saveexec_b32 s3, s2
.LBB72_964:
	v_lshrrev_b32_e32 v7, 24, v7
	s_delay_alu instid0(VALU_DEP_1)
	v_and_or_b32 v9, 0x80, v7, v8
.LBB72_965:
	s_or_b32 exec_lo, exec_lo, s3
.LBB72_966:
	s_delay_alu instid0(SALU_CYCLE_1)
	s_or_b32 exec_lo, exec_lo, s1
	global_store_b8 v[0:1], v9, off
.LBB72_967:
	s_mov_b32 s1, 0
.LBB72_968:
	s_delay_alu instid0(SALU_CYCLE_1)
	s_and_b32 vcc_lo, exec_lo, s1
	s_mov_b32 s1, 0
	s_cbranch_vccz .LBB72_1008
; %bb.969:
	v_cmp_lt_i16_e32 vcc_lo, 22, v3
	s_mov_b32 s2, -1
	s_cbranch_vccz .LBB72_1001
; %bb.970:
	v_cmp_gt_i16_e32 vcc_lo, 24, v3
	s_cbranch_vccnz .LBB72_990
; %bb.971:
	v_cmp_lt_i16_e32 vcc_lo, 24, v3
	s_cbranch_vccz .LBB72_979
; %bb.972:
	v_cvt_f32_f16_e32 v7, v2
	v_mov_b32_e32 v9, 0x80
	s_mov_b32 s2, exec_lo
	s_delay_alu instid0(VALU_DEP_2) | instskip(NEXT) | instid1(VALU_DEP_1)
	v_and_b32_e32 v8, 0x7fffffff, v7
	v_cmpx_gt_u32_e32 0x47800000, v8
	s_cbranch_execz .LBB72_978
; %bb.973:
	v_cmp_lt_u32_e32 vcc_lo, 0x37ffffff, v8
	s_mov_b32 s3, 0
                                        ; implicit-def: $vgpr8
	s_and_saveexec_b32 s4, vcc_lo
	s_delay_alu instid0(SALU_CYCLE_1)
	s_xor_b32 s4, exec_lo, s4
	s_cbranch_execz .LBB72_1252
; %bb.974:
	v_bfe_u32 v8, v7, 21, 1
	s_mov_b32 s3, exec_lo
	s_delay_alu instid0(VALU_DEP_1) | instskip(NEXT) | instid1(VALU_DEP_1)
	v_add3_u32 v8, v7, v8, 0x88fffff
	v_lshrrev_b32_e32 v8, 21, v8
	s_or_saveexec_b32 s4, s4
                                        ; implicit-def: $sgpr5
	s_delay_alu instid0(SALU_CYCLE_1)
	s_xor_b32 exec_lo, exec_lo, s4
	s_cbranch_execnz .LBB72_1253
.LBB72_975:
	s_or_b32 exec_lo, exec_lo, s4
	v_mov_b32_e32 v9, s5
	s_and_saveexec_b32 s4, s3
.LBB72_976:
	v_lshrrev_b32_e32 v7, 24, v7
	s_delay_alu instid0(VALU_DEP_1)
	v_and_or_b32 v9, 0x80, v7, v8
.LBB72_977:
	s_or_b32 exec_lo, exec_lo, s4
.LBB72_978:
	s_delay_alu instid0(SALU_CYCLE_1)
	s_or_b32 exec_lo, exec_lo, s2
	s_mov_b32 s2, 0
	global_store_b8 v[0:1], v9, off
.LBB72_979:
	s_and_b32 vcc_lo, exec_lo, s2
	s_cbranch_vccz .LBB72_989
; %bb.980:
	v_cvt_f32_f16_e32 v7, v2
	s_mov_b32 s2, exec_lo
                                        ; implicit-def: $vgpr8
	s_delay_alu instid0(VALU_DEP_1) | instskip(NEXT) | instid1(VALU_DEP_1)
	v_and_b32_e32 v9, 0x7fffffff, v7
	v_cmpx_gt_u32_e32 0x43f00000, v9
	s_xor_b32 s2, exec_lo, s2
	s_cbranch_execz .LBB72_986
; %bb.981:
	s_mov_b32 s3, exec_lo
                                        ; implicit-def: $vgpr8
	v_cmpx_lt_u32_e32 0x3c7fffff, v9
	s_xor_b32 s3, exec_lo, s3
; %bb.982:
	v_bfe_u32 v8, v7, 20, 1
	s_delay_alu instid0(VALU_DEP_1) | instskip(NEXT) | instid1(VALU_DEP_1)
	v_add3_u32 v8, v7, v8, 0x407ffff
	v_and_b32_e32 v9, 0xff00000, v8
	v_lshrrev_b32_e32 v8, 20, v8
	s_delay_alu instid0(VALU_DEP_2) | instskip(NEXT) | instid1(VALU_DEP_2)
	v_cmp_ne_u32_e32 vcc_lo, 0x7f00000, v9
	v_cndmask_b32_e32 v8, 0x7e, v8, vcc_lo
; %bb.983:
	s_and_not1_saveexec_b32 s3, s3
; %bb.984:
	v_add_f32_e64 v8, 0x46800000, |v7|
; %bb.985:
	s_or_b32 exec_lo, exec_lo, s3
                                        ; implicit-def: $vgpr9
.LBB72_986:
	s_and_not1_saveexec_b32 s2, s2
; %bb.987:
	v_mov_b32_e32 v8, 0x7f
	v_cmp_lt_u32_e32 vcc_lo, 0x7f800000, v9
	s_delay_alu instid0(VALU_DEP_2)
	v_cndmask_b32_e32 v8, 0x7e, v8, vcc_lo
; %bb.988:
	s_or_b32 exec_lo, exec_lo, s2
	v_lshrrev_b32_e32 v7, 24, v7
	s_delay_alu instid0(VALU_DEP_1)
	v_and_or_b32 v7, 0x80, v7, v8
	global_store_b8 v[0:1], v7, off
.LBB72_989:
	s_mov_b32 s2, 0
.LBB72_990:
	s_delay_alu instid0(SALU_CYCLE_1)
	s_and_not1_b32 vcc_lo, exec_lo, s2
	s_cbranch_vccnz .LBB72_1000
; %bb.991:
	v_cvt_f32_f16_e32 v7, v2
	s_mov_b32 s2, exec_lo
                                        ; implicit-def: $vgpr8
	s_delay_alu instid0(VALU_DEP_1) | instskip(NEXT) | instid1(VALU_DEP_1)
	v_and_b32_e32 v9, 0x7fffffff, v7
	v_cmpx_gt_u32_e32 0x47800000, v9
	s_xor_b32 s2, exec_lo, s2
	s_cbranch_execz .LBB72_997
; %bb.992:
	s_mov_b32 s3, exec_lo
                                        ; implicit-def: $vgpr8
	v_cmpx_lt_u32_e32 0x387fffff, v9
	s_xor_b32 s3, exec_lo, s3
; %bb.993:
	v_bfe_u32 v8, v7, 21, 1
	s_delay_alu instid0(VALU_DEP_1) | instskip(NEXT) | instid1(VALU_DEP_1)
	v_add3_u32 v8, v7, v8, 0x80fffff
	v_lshrrev_b32_e32 v8, 21, v8
; %bb.994:
	s_and_not1_saveexec_b32 s3, s3
; %bb.995:
	v_add_f32_e64 v8, 0x43000000, |v7|
; %bb.996:
	s_or_b32 exec_lo, exec_lo, s3
                                        ; implicit-def: $vgpr9
.LBB72_997:
	s_and_not1_saveexec_b32 s2, s2
; %bb.998:
	v_mov_b32_e32 v8, 0x7f
	v_cmp_lt_u32_e32 vcc_lo, 0x7f800000, v9
	s_delay_alu instid0(VALU_DEP_2)
	v_cndmask_b32_e32 v8, 0x7c, v8, vcc_lo
; %bb.999:
	s_or_b32 exec_lo, exec_lo, s2
	v_lshrrev_b32_e32 v7, 24, v7
	s_delay_alu instid0(VALU_DEP_1)
	v_and_or_b32 v7, 0x80, v7, v8
	global_store_b8 v[0:1], v7, off
.LBB72_1000:
	s_mov_b32 s2, 0
.LBB72_1001:
	s_delay_alu instid0(SALU_CYCLE_1)
	s_and_not1_b32 vcc_lo, exec_lo, s2
	s_mov_b32 s2, 0
	s_cbranch_vccnz .LBB72_1009
; %bb.1002:
	v_cmp_lt_i16_e32 vcc_lo, 14, v3
	s_mov_b32 s2, -1
	s_cbranch_vccz .LBB72_1006
; %bb.1003:
	v_cmp_eq_u16_e32 vcc_lo, 15, v3
	s_mov_b32 s0, -1
	s_cbranch_vccz .LBB72_1005
; %bb.1004:
	v_cvt_f32_f16_e32 v7, v2
	v_cmp_o_f16_e32 vcc_lo, v2, v2
	s_mov_b32 s0, 0
	s_delay_alu instid0(VALU_DEP_2) | instskip(NEXT) | instid1(VALU_DEP_1)
	v_bfe_u32 v8, v7, 16, 1
	v_add3_u32 v7, v7, v8, 0x7fff
	s_delay_alu instid0(VALU_DEP_1) | instskip(NEXT) | instid1(VALU_DEP_1)
	v_lshrrev_b32_e32 v7, 16, v7
	v_cndmask_b32_e32 v7, 0x7fc0, v7, vcc_lo
	global_store_b16 v[0:1], v7, off
.LBB72_1005:
	s_mov_b32 s2, 0
.LBB72_1006:
	s_delay_alu instid0(SALU_CYCLE_1)
	s_and_b32 vcc_lo, exec_lo, s2
	s_mov_b32 s2, 0
	s_cbranch_vccz .LBB72_1009
; %bb.1007:
	v_cmp_ne_u16_e32 vcc_lo, 11, v3
	s_and_not1_b32 s0, s0, exec_lo
	s_mov_b32 s2, -1
	s_and_b32 s3, vcc_lo, exec_lo
	s_delay_alu instid0(SALU_CYCLE_1)
	s_or_b32 s0, s0, s3
	s_branch .LBB72_1009
.LBB72_1008:
	s_mov_b32 s2, 0
.LBB72_1009:
	s_and_not1_b32 s3, s13, exec_lo
	s_and_b32 s0, s0, exec_lo
	v_or_b32_e32 v7, v4, v6
	s_and_b32 s1, s1, exec_lo
	s_and_b32 s2, s2, exec_lo
	s_or_b32 s13, s3, s0
.LBB72_1010:
	s_or_b32 exec_lo, exec_lo, s15
	s_and_saveexec_b32 s0, s13
	s_cbranch_execnz .LBB72_1073
; %bb.1011:
	s_or_b32 exec_lo, exec_lo, s0
	s_and_saveexec_b32 s0, s2
	s_delay_alu instid0(SALU_CYCLE_1)
	s_xor_b32 s0, exec_lo, s0
	s_cbranch_execz .LBB72_1013
.LBB72_1012:
	s_waitcnt vmcnt(0)
	v_and_b32_e32 v4, 0x7fff7fff, v7
	s_delay_alu instid0(VALU_DEP_1)
	v_cmp_ne_u32_e32 vcc_lo, 0, v4
	v_cndmask_b32_e64 v4, 0, 1, vcc_lo
	global_store_b8 v[0:1], v4, off
.LBB72_1013:
	s_or_b32 exec_lo, exec_lo, s0
	s_and_saveexec_b32 s0, s1
	s_delay_alu instid0(SALU_CYCLE_1)
	s_xor_b32 s0, exec_lo, s0
	s_cbranch_execz .LBB72_1051
; %bb.1014:
	v_cmp_gt_i16_e32 vcc_lo, 5, v3
	s_mov_b32 s1, -1
	s_cbranch_vccnz .LBB72_1035
; %bb.1015:
	v_cmp_gt_i16_e32 vcc_lo, 8, v3
	s_cbranch_vccnz .LBB72_1025
; %bb.1016:
	v_cmp_gt_i16_e32 vcc_lo, 9, v3
	s_cbranch_vccnz .LBB72_1022
; %bb.1017:
	v_cmp_lt_i16_e32 vcc_lo, 9, v3
	s_cbranch_vccz .LBB72_1019
; %bb.1018:
	s_waitcnt vmcnt(0)
	v_cvt_f32_f16_e32 v4, v2
	v_cvt_f32_f16_e32 v6, v5
	s_mov_b32 s1, 0
	s_delay_alu instid0(VALU_DEP_2) | instskip(NEXT) | instid1(VALU_DEP_2)
	v_cvt_f64_f32_e32 v[8:9], v4
	v_cvt_f64_f32_e32 v[10:11], v6
	global_store_b128 v[0:1], v[8:11], off
.LBB72_1019:
	s_and_not1_b32 vcc_lo, exec_lo, s1
	s_cbranch_vccnz .LBB72_1021
; %bb.1020:
	s_waitcnt vmcnt(0)
	v_cvt_f32_f16_e32 v4, v2
	v_cvt_f32_f16_e32 v5, v5
	global_store_b64 v[0:1], v[4:5], off
.LBB72_1021:
	s_mov_b32 s1, 0
.LBB72_1022:
	s_delay_alu instid0(SALU_CYCLE_1)
	s_and_not1_b32 vcc_lo, exec_lo, s1
	s_cbranch_vccnz .LBB72_1024
; %bb.1023:
	global_store_b32 v[0:1], v7, off
.LBB72_1024:
	s_mov_b32 s1, 0
.LBB72_1025:
	s_delay_alu instid0(SALU_CYCLE_1)
	s_and_not1_b32 vcc_lo, exec_lo, s1
	s_cbranch_vccnz .LBB72_1034
; %bb.1026:
	v_cmp_gt_i16_e32 vcc_lo, 6, v3
	s_mov_b32 s1, -1
	s_cbranch_vccnz .LBB72_1032
; %bb.1027:
	v_cmp_lt_i16_e32 vcc_lo, 6, v3
	s_cbranch_vccz .LBB72_1029
; %bb.1028:
	s_waitcnt vmcnt(0)
	v_cvt_f32_f16_e32 v4, v2
	s_mov_b32 s1, 0
	s_delay_alu instid0(VALU_DEP_1)
	v_cvt_f64_f32_e32 v[4:5], v4
	global_store_b64 v[0:1], v[4:5], off
.LBB72_1029:
	s_and_not1_b32 vcc_lo, exec_lo, s1
	s_cbranch_vccnz .LBB72_1031
; %bb.1030:
	s_waitcnt vmcnt(0)
	v_cvt_f32_f16_e32 v4, v2
	global_store_b32 v[0:1], v4, off
.LBB72_1031:
	s_mov_b32 s1, 0
.LBB72_1032:
	s_delay_alu instid0(SALU_CYCLE_1)
	s_and_not1_b32 vcc_lo, exec_lo, s1
	s_cbranch_vccnz .LBB72_1034
; %bb.1033:
	s_waitcnt vmcnt(0)
	global_store_b16 v[0:1], v2, off
.LBB72_1034:
	s_mov_b32 s1, 0
.LBB72_1035:
	s_delay_alu instid0(SALU_CYCLE_1)
	s_and_not1_b32 vcc_lo, exec_lo, s1
	s_cbranch_vccnz .LBB72_1051
; %bb.1036:
	v_cmp_gt_i16_e32 vcc_lo, 2, v3
	s_mov_b32 s1, -1
	s_cbranch_vccnz .LBB72_1046
; %bb.1037:
	v_cmp_gt_i16_e32 vcc_lo, 3, v3
	s_cbranch_vccnz .LBB72_1043
; %bb.1038:
	v_cmp_lt_i16_e32 vcc_lo, 3, v3
	s_cbranch_vccz .LBB72_1040
; %bb.1039:
	s_waitcnt vmcnt(0)
	v_cvt_f32_f16_e32 v4, v2
	s_mov_b32 s1, 0
	s_delay_alu instid0(VALU_DEP_1) | instskip(NEXT) | instid1(VALU_DEP_1)
	v_cvt_i32_f32_e32 v4, v4
	v_ashrrev_i32_e32 v5, 31, v4
	global_store_b64 v[0:1], v[4:5], off
.LBB72_1040:
	s_and_not1_b32 vcc_lo, exec_lo, s1
	s_cbranch_vccnz .LBB72_1042
; %bb.1041:
	s_waitcnt vmcnt(0)
	v_cvt_f32_f16_e32 v4, v2
	s_delay_alu instid0(VALU_DEP_1)
	v_cvt_i32_f32_e32 v4, v4
	global_store_b32 v[0:1], v4, off
.LBB72_1042:
	s_mov_b32 s1, 0
.LBB72_1043:
	s_delay_alu instid0(SALU_CYCLE_1)
	s_and_not1_b32 vcc_lo, exec_lo, s1
	s_cbranch_vccnz .LBB72_1045
; %bb.1044:
	s_waitcnt vmcnt(0)
	v_cvt_i16_f16_e32 v4, v2
	global_store_b16 v[0:1], v4, off
.LBB72_1045:
	s_mov_b32 s1, 0
.LBB72_1046:
	s_delay_alu instid0(SALU_CYCLE_1)
	s_and_not1_b32 vcc_lo, exec_lo, s1
	s_cbranch_vccnz .LBB72_1051
; %bb.1047:
	v_cmp_lt_i16_e32 vcc_lo, 0, v3
	s_mov_b32 s1, -1
	s_cbranch_vccz .LBB72_1049
; %bb.1048:
	s_waitcnt vmcnt(0)
	v_cvt_i16_f16_e32 v3, v2
	s_mov_b32 s1, 0
	global_store_b8 v[0:1], v3, off
.LBB72_1049:
	s_and_not1_b32 vcc_lo, exec_lo, s1
	s_cbranch_vccnz .LBB72_1051
; %bb.1050:
	s_waitcnt vmcnt(0)
	v_cvt_f32_f16_e32 v2, v2
	s_delay_alu instid0(VALU_DEP_1)
	v_cvt_i32_f32_e32 v2, v2
	global_store_b8 v[0:1], v2, off
.LBB72_1051:
	s_or_b32 exec_lo, exec_lo, s0
	s_delay_alu instid0(SALU_CYCLE_1)
	s_and_b32 s13, s14, exec_lo
                                        ; implicit-def: $vgpr18
                                        ; implicit-def: $vgpr19
                                        ; implicit-def: $vgpr17
.LBB72_1052:
	s_or_saveexec_b32 s12, s12
	s_mov_b32 s0, 0
                                        ; implicit-def: $vgpr21
                                        ; implicit-def: $vgpr0_vgpr1
                                        ; implicit-def: $vgpr4
                                        ; implicit-def: $vgpr3
                                        ; implicit-def: $vgpr2
	s_xor_b32 exec_lo, exec_lo, s12
	s_cbranch_execz .LBB72_2037
; %bb.1053:
	s_waitcnt vmcnt(0)
	v_mul_lo_u32 v4, s11, v18
	v_cmp_gt_i16_e32 vcc_lo, 11, v19
	s_delay_alu instid0(VALU_DEP_2) | instskip(SKIP_1) | instid1(VALU_DEP_1)
	v_ashrrev_i32_e32 v1, 31, v4
	v_add_co_u32 v0, s0, s18, v4
	v_add_co_ci_u32_e64 v1, s0, s19, v1, s0
	s_cbranch_vccnz .LBB72_1060
; %bb.1054:
	v_cmp_lt_i16_e32 vcc_lo, 25, v19
	s_mov_b32 s1, 0
	s_cbranch_vccz .LBB72_1066
; %bb.1055:
	v_cmp_lt_i16_e32 vcc_lo, 28, v19
	s_cbranch_vccz .LBB72_1069
; %bb.1056:
	v_cmp_lt_i16_e32 vcc_lo, 43, v19
	;; [unrolled: 3-line block ×3, first 2 shown]
	s_cbranch_vccz .LBB72_1075
; %bb.1058:
	v_cmp_eq_u16_e32 vcc_lo, 46, v19
	s_mov_b32 s3, 0
	s_cbranch_vccz .LBB72_1116
; %bb.1059:
	global_load_b32 v2, v[0:1], off
	s_mov_b32 s0, 0
	s_mov_b32 s2, -1
	s_waitcnt vmcnt(0)
	v_lshlrev_b32_e32 v3, 16, v2
	v_and_b32_e32 v5, 0xffff0000, v2
	s_delay_alu instid0(VALU_DEP_2) | instskip(NEXT) | instid1(VALU_DEP_2)
	v_cvt_f16_f32_e32 v2, v3
	v_cvt_f16_f32_e32 v3, v5
	s_branch .LBB72_1118
.LBB72_1060:
	s_mov_b32 s2, 0
	s_mov_b32 s9, s13
                                        ; implicit-def: $vgpr3
                                        ; implicit-def: $vgpr2
	s_cbranch_execz .LBB72_1184
; %bb.1061:
	v_cmp_gt_i16_e32 vcc_lo, 5, v19
	s_cbranch_vccnz .LBB72_1067
; %bb.1062:
	v_cmp_gt_i16_e32 vcc_lo, 8, v19
	s_cbranch_vccnz .LBB72_1070
	;; [unrolled: 3-line block ×3, first 2 shown]
; %bb.1064:
	v_cmp_lt_i16_e32 vcc_lo, 9, v19
	s_cbranch_vccz .LBB72_1076
; %bb.1065:
	global_load_b128 v[5:8], v[0:1], off
	s_mov_b32 s0, 0
	s_waitcnt vmcnt(0)
	v_cvt_f32_f64_e32 v2, v[5:6]
	v_cvt_f32_f64_e32 v3, v[7:8]
	s_delay_alu instid0(VALU_DEP_2) | instskip(NEXT) | instid1(VALU_DEP_2)
	v_cvt_f16_f32_e32 v2, v2
	v_cvt_f16_f32_e32 v3, v3
	s_branch .LBB72_1077
.LBB72_1066:
	s_mov_b32 s2, 0
	s_mov_b32 s0, 0
                                        ; implicit-def: $vgpr3
                                        ; implicit-def: $vgpr2
	s_cbranch_execnz .LBB72_1150
	s_branch .LBB72_1180
.LBB72_1067:
                                        ; implicit-def: $vgpr3
                                        ; implicit-def: $vgpr2
	s_branch .LBB72_1095
.LBB72_1068:
	s_branch .LBB72_1185
.LBB72_1069:
	s_mov_b32 s2, 0
	s_mov_b32 s0, 0
                                        ; implicit-def: $vgpr3
                                        ; implicit-def: $vgpr2
	s_cbranch_execnz .LBB72_1130
	s_branch .LBB72_1149
.LBB72_1070:
                                        ; implicit-def: $vgpr3
                                        ; implicit-def: $vgpr2
	s_branch .LBB72_1083
.LBB72_1071:
	s_mov_b32 s3, -1
	s_mov_b32 s2, 0
	s_mov_b32 s0, 0
                                        ; implicit-def: $vgpr3
                                        ; implicit-def: $vgpr2
	s_branch .LBB72_1124
.LBB72_1072:
	s_mov_b32 s0, -1
                                        ; implicit-def: $vgpr3
                                        ; implicit-def: $vgpr2
	s_branch .LBB72_1080
.LBB72_1073:
	s_cbranch_execnz .LBB72_1114
; %bb.1074:
	s_or_b32 s14, s14, exec_lo
	s_and_not1_b32 s2, s2, exec_lo
	s_or_b32 exec_lo, exec_lo, s0
	s_and_saveexec_b32 s0, s2
	s_delay_alu instid0(SALU_CYCLE_1)
	s_xor_b32 s0, exec_lo, s0
	s_cbranch_execnz .LBB72_1012
	s_branch .LBB72_1013
.LBB72_1075:
	s_mov_b32 s3, -1
	s_mov_b32 s2, 0
	s_mov_b32 s0, 0
	s_branch .LBB72_1117
.LBB72_1076:
	s_mov_b32 s0, -1
                                        ; implicit-def: $vgpr3
                                        ; implicit-def: $vgpr2
.LBB72_1077:
	s_delay_alu instid0(SALU_CYCLE_1)
	s_and_not1_b32 vcc_lo, exec_lo, s0
	s_cbranch_vccnz .LBB72_1079
; %bb.1078:
	global_load_b64 v[2:3], v[0:1], off
	s_waitcnt vmcnt(0)
	v_cvt_f16_f32_e32 v2, v2
	v_cvt_f16_f32_e32 v3, v3
.LBB72_1079:
	s_mov_b32 s0, 0
.LBB72_1080:
	s_delay_alu instid0(SALU_CYCLE_1)
	s_and_not1_b32 vcc_lo, exec_lo, s0
	s_cbranch_vccnz .LBB72_1082
; %bb.1081:
	global_load_b32 v2, v[0:1], off
	s_waitcnt vmcnt(0)
	v_lshrrev_b32_e32 v3, 16, v2
.LBB72_1082:
	s_cbranch_execnz .LBB72_1094
.LBB72_1083:
	v_cmp_gt_i16_e32 vcc_lo, 6, v19
	s_cbranch_vccnz .LBB72_1086
; %bb.1084:
	v_cmp_lt_i16_e32 vcc_lo, 6, v19
	s_cbranch_vccz .LBB72_1087
; %bb.1085:
	global_load_b64 v[2:3], v[0:1], off
	s_mov_b32 s1, 0
	s_mov_b32 s0, 0
	s_waitcnt vmcnt(0)
	v_cvt_f32_f64_e32 v2, v[2:3]
	s_delay_alu instid0(VALU_DEP_1)
	v_cvt_f16_f32_e32 v2, v2
	s_branch .LBB72_1088
.LBB72_1086:
	s_mov_b32 s1, -1
                                        ; implicit-def: $sgpr0
                                        ; implicit-def: $vgpr2
	s_branch .LBB72_1091
.LBB72_1087:
	s_mov_b32 s1, -1
                                        ; implicit-def: $sgpr0
                                        ; implicit-def: $vgpr2
.LBB72_1088:
	s_delay_alu instid0(SALU_CYCLE_1)
	s_and_not1_b32 vcc_lo, exec_lo, s1
	s_cbranch_vccnz .LBB72_1090
; %bb.1089:
	global_load_b32 v2, v[0:1], off
	s_mov_b32 s0, 0
	s_waitcnt vmcnt(0)
	v_cvt_f16_f32_e32 v2, v2
.LBB72_1090:
	s_mov_b32 s1, 0
.LBB72_1091:
	s_delay_alu instid0(SALU_CYCLE_1)
	s_and_not1_b32 vcc_lo, exec_lo, s1
	s_cbranch_vccnz .LBB72_1093
; %bb.1092:
	global_load_u16 v2, v[0:1], off
	s_mov_b32 s0, 0
.LBB72_1093:
	s_delay_alu instid0(SALU_CYCLE_1)
	v_mov_b32_e32 v3, s0
.LBB72_1094:
	s_cbranch_execnz .LBB72_1068
.LBB72_1095:
	v_cmp_gt_i16_e32 vcc_lo, 2, v19
	s_cbranch_vccnz .LBB72_1099
; %bb.1096:
	v_cmp_gt_i16_e32 vcc_lo, 3, v19
	s_cbranch_vccnz .LBB72_1100
; %bb.1097:
	v_cmp_lt_i16_e32 vcc_lo, 3, v19
	s_cbranch_vccz .LBB72_1101
; %bb.1098:
	global_load_b64 v[2:3], v[0:1], off
	s_mov_b32 s1, 0
	s_mov_b32 s0, 0
	s_waitcnt vmcnt(0)
	v_xor_b32_e32 v5, v2, v3
	v_cls_i32_e32 v6, v3
	s_delay_alu instid0(VALU_DEP_2) | instskip(NEXT) | instid1(VALU_DEP_2)
	v_ashrrev_i32_e32 v5, 31, v5
	v_add_nc_u32_e32 v6, -1, v6
	s_delay_alu instid0(VALU_DEP_2) | instskip(NEXT) | instid1(VALU_DEP_1)
	v_add_nc_u32_e32 v5, 32, v5
	v_min_u32_e32 v5, v6, v5
	s_delay_alu instid0(VALU_DEP_1) | instskip(NEXT) | instid1(VALU_DEP_1)
	v_lshlrev_b64 v[2:3], v5, v[2:3]
	v_min_u32_e32 v2, 1, v2
	s_delay_alu instid0(VALU_DEP_1) | instskip(SKIP_1) | instid1(VALU_DEP_2)
	v_or_b32_e32 v2, v3, v2
	v_sub_nc_u32_e32 v3, 32, v5
	v_cvt_f32_i32_e32 v2, v2
	s_delay_alu instid0(VALU_DEP_1) | instskip(NEXT) | instid1(VALU_DEP_1)
	v_ldexp_f32 v2, v2, v3
	v_cvt_f16_f32_e32 v2, v2
	s_branch .LBB72_1102
.LBB72_1099:
                                        ; implicit-def: $sgpr0
                                        ; implicit-def: $vgpr2
	s_branch .LBB72_1108
.LBB72_1100:
	s_mov_b32 s1, -1
                                        ; implicit-def: $sgpr0
                                        ; implicit-def: $vgpr2
	s_branch .LBB72_1105
.LBB72_1101:
	s_mov_b32 s1, -1
                                        ; implicit-def: $sgpr0
                                        ; implicit-def: $vgpr2
.LBB72_1102:
	s_delay_alu instid0(SALU_CYCLE_1)
	s_and_not1_b32 vcc_lo, exec_lo, s1
	s_cbranch_vccnz .LBB72_1104
; %bb.1103:
	global_load_b32 v2, v[0:1], off
	s_mov_b32 s0, 0
	s_waitcnt vmcnt(0)
	v_cvt_f32_i32_e32 v2, v2
	s_delay_alu instid0(VALU_DEP_1)
	v_cvt_f16_f32_e32 v2, v2
.LBB72_1104:
	s_mov_b32 s1, 0
.LBB72_1105:
	s_delay_alu instid0(SALU_CYCLE_1)
	s_and_not1_b32 vcc_lo, exec_lo, s1
	s_cbranch_vccnz .LBB72_1107
; %bb.1106:
	global_load_u16 v2, v[0:1], off
	s_mov_b32 s0, 0
	s_waitcnt vmcnt(0)
	v_cvt_f16_i16_e32 v2, v2
.LBB72_1107:
	s_cbranch_execnz .LBB72_1113
.LBB72_1108:
	v_cmp_lt_i16_e32 vcc_lo, 0, v19
	s_mov_b32 s1, 0
	s_cbranch_vccz .LBB72_1110
; %bb.1109:
	global_load_i8 v2, v[0:1], off
	s_mov_b32 s0, 0
	s_waitcnt vmcnt(0)
	v_cvt_f16_i16_e32 v2, v2
	s_branch .LBB72_1111
.LBB72_1110:
	s_mov_b32 s1, -1
                                        ; implicit-def: $sgpr0
                                        ; implicit-def: $vgpr2
.LBB72_1111:
	s_delay_alu instid0(SALU_CYCLE_1)
	s_and_not1_b32 vcc_lo, exec_lo, s1
	s_cbranch_vccnz .LBB72_1113
; %bb.1112:
	global_load_u8 v0, v[0:1], off
	s_mov_b32 s0, 0
	s_waitcnt vmcnt(0)
	v_cvt_f16_u16_e32 v2, v0
.LBB72_1113:
	v_mov_b32_e32 v3, s0
	s_branch .LBB72_1185
.LBB72_1114:
	s_trap 2
	s_sendmsg_rtn_b32 s0, sendmsg(MSG_RTN_GET_DOORBELL)
	s_mov_b32 ttmp2, m0
	s_waitcnt lgkmcnt(0)
	s_and_b32 s0, s0, 0x3ff
	s_delay_alu instid0(SALU_CYCLE_1) | instskip(NEXT) | instid1(SALU_CYCLE_1)
	s_bitset1_b32 s0, 10
	s_mov_b32 m0, s0
	s_sendmsg sendmsg(MSG_INTERRUPT)
	s_mov_b32 m0, ttmp2
.LBB72_1115:                            ; =>This Inner Loop Header: Depth=1
	s_sethalt 5
	s_branch .LBB72_1115
.LBB72_1116:
	s_mov_b32 s0, -1
	s_mov_b32 s2, 0
.LBB72_1117:
                                        ; implicit-def: $vgpr3
                                        ; implicit-def: $vgpr2
.LBB72_1118:
	s_and_b32 vcc_lo, exec_lo, s3
	s_cbranch_vccz .LBB72_1123
; %bb.1119:
	v_cmp_eq_u16_e32 vcc_lo, 44, v19
	s_cbranch_vccz .LBB72_1121
; %bb.1120:
	global_load_u8 v2, v[0:1], off
	s_mov_b32 s0, 0
	s_mov_b32 s2, -1
	s_waitcnt vmcnt(0)
	v_lshlrev_b32_e32 v3, 23, v2
	v_cmp_ne_u32_e32 vcc_lo, 0xff, v2
	s_delay_alu instid0(VALU_DEP_2) | instskip(NEXT) | instid1(VALU_DEP_1)
	v_cvt_f16_f32_e32 v3, v3
	v_cndmask_b32_e32 v3, 0x7e00, v3, vcc_lo
	v_cmp_ne_u32_e32 vcc_lo, 0, v2
	s_delay_alu instid0(VALU_DEP_2)
	v_cndmask_b32_e32 v2, 0, v3, vcc_lo
	s_branch .LBB72_1122
.LBB72_1121:
	s_mov_b32 s0, -1
                                        ; implicit-def: $vgpr2
.LBB72_1122:
	s_delay_alu instid0(SALU_CYCLE_1)
	v_mov_b32_e32 v3, s0
.LBB72_1123:
	s_mov_b32 s3, 0
.LBB72_1124:
	s_delay_alu instid0(SALU_CYCLE_1)
	s_and_b32 vcc_lo, exec_lo, s3
	s_cbranch_vccz .LBB72_1129
; %bb.1125:
	v_cmp_eq_u16_e32 vcc_lo, 29, v19
	s_cbranch_vccz .LBB72_1127
; %bb.1126:
	global_load_b64 v[2:3], v[0:1], off
	s_mov_b32 s0, 0
	s_mov_b32 s2, -1
	s_mov_b32 s3, 0
	s_waitcnt vmcnt(0)
	v_clz_i32_u32_e32 v5, v3
	s_delay_alu instid0(VALU_DEP_1) | instskip(NEXT) | instid1(VALU_DEP_1)
	v_min_u32_e32 v5, 32, v5
	v_lshlrev_b64 v[2:3], v5, v[2:3]
	s_delay_alu instid0(VALU_DEP_1) | instskip(NEXT) | instid1(VALU_DEP_1)
	v_min_u32_e32 v2, 1, v2
	v_or_b32_e32 v2, v3, v2
	v_sub_nc_u32_e32 v3, 32, v5
	s_delay_alu instid0(VALU_DEP_2) | instskip(NEXT) | instid1(VALU_DEP_1)
	v_cvt_f32_u32_e32 v2, v2
	v_ldexp_f32 v2, v2, v3
	s_delay_alu instid0(VALU_DEP_1)
	v_cvt_f16_f32_e32 v2, v2
	s_branch .LBB72_1128
.LBB72_1127:
	s_mov_b32 s0, -1
                                        ; implicit-def: $sgpr3
                                        ; implicit-def: $vgpr2
.LBB72_1128:
	v_mov_b32_e32 v3, s3
.LBB72_1129:
	s_branch .LBB72_1149
.LBB72_1130:
	v_cmp_gt_i16_e32 vcc_lo, 27, v19
	s_cbranch_vccnz .LBB72_1133
; %bb.1131:
	v_cmp_lt_i16_e32 vcc_lo, 27, v19
	s_cbranch_vccz .LBB72_1134
; %bb.1132:
	global_load_b32 v2, v[0:1], off
	s_mov_b32 s3, 0
	s_mov_b32 s2, 0
	s_waitcnt vmcnt(0)
	v_cvt_f32_u32_e32 v2, v2
	s_delay_alu instid0(VALU_DEP_1)
	v_cvt_f16_f32_e32 v2, v2
	s_branch .LBB72_1135
.LBB72_1133:
	s_mov_b32 s3, -1
                                        ; implicit-def: $sgpr2
                                        ; implicit-def: $vgpr2
	s_branch .LBB72_1138
.LBB72_1134:
	s_mov_b32 s3, -1
                                        ; implicit-def: $sgpr2
                                        ; implicit-def: $vgpr2
.LBB72_1135:
	s_delay_alu instid0(SALU_CYCLE_1)
	s_and_not1_b32 vcc_lo, exec_lo, s3
	s_cbranch_vccnz .LBB72_1137
; %bb.1136:
	global_load_u16 v2, v[0:1], off
	s_mov_b32 s2, 0
	s_waitcnt vmcnt(0)
	v_cvt_f16_u16_e32 v2, v2
.LBB72_1137:
	s_mov_b32 s3, 0
.LBB72_1138:
	v_mov_b32_e32 v3, s2
	s_and_not1_b32 vcc_lo, exec_lo, s3
	s_cbranch_vccnz .LBB72_1148
; %bb.1139:
	global_load_u8 v5, v[0:1], off
	s_mov_b32 s2, 0
	s_mov_b32 s5, exec_lo
                                        ; implicit-def: $sgpr4
                                        ; implicit-def: $sgpr3
	s_waitcnt vmcnt(0)
	v_cmpx_lt_i16_e32 0x7f, v5
	s_xor_b32 s5, exec_lo, s5
	s_cbranch_execz .LBB72_1143
; %bb.1140:
	s_mov_b32 s2, -1
	s_mov_b32 s6, exec_lo
                                        ; implicit-def: $sgpr4
                                        ; implicit-def: $sgpr3
	v_cmpx_eq_u16_e32 0x80, v5
; %bb.1141:
	s_movk_i32 s3, 0x7e00
	s_mov_b32 s4, 0
	s_xor_b32 s2, exec_lo, -1
; %bb.1142:
	s_or_b32 exec_lo, exec_lo, s6
	s_delay_alu instid0(SALU_CYCLE_1)
	s_and_b32 s2, s2, exec_lo
.LBB72_1143:
	s_or_saveexec_b32 s5, s5
	v_dual_mov_b32 v3, s4 :: v_dual_mov_b32 v2, s3
	s_xor_b32 exec_lo, exec_lo, s5
; %bb.1144:
	v_cmp_ne_u16_e32 vcc_lo, 0, v5
	v_dual_mov_b32 v3, 0 :: v_dual_mov_b32 v2, v5
	s_and_not1_b32 s2, s2, exec_lo
	s_and_b32 s3, vcc_lo, exec_lo
	s_delay_alu instid0(SALU_CYCLE_1)
	s_or_b32 s2, s2, s3
; %bb.1145:
	s_or_b32 exec_lo, exec_lo, s5
	s_and_saveexec_b32 s3, s2
	s_cbranch_execz .LBB72_1147
; %bb.1146:
	v_and_b32_e32 v2, 0xffff, v5
	v_lshlrev_b32_e32 v5, 24, v5
	s_delay_alu instid0(VALU_DEP_2) | instskip(NEXT) | instid1(VALU_DEP_2)
	v_and_b32_e32 v3, 7, v2
	v_and_b32_e32 v5, 0x80000000, v5
	s_delay_alu instid0(VALU_DEP_2) | instskip(NEXT) | instid1(VALU_DEP_1)
	v_clz_i32_u32_e32 v6, v3
	v_min_u32_e32 v6, 32, v6
	s_delay_alu instid0(VALU_DEP_1) | instskip(SKIP_1) | instid1(VALU_DEP_2)
	v_subrev_nc_u32_e32 v7, 28, v6
	v_sub_nc_u32_e32 v6, 29, v6
	v_lshlrev_b32_e32 v7, v7, v2
	v_bfe_u32 v2, v2, 3, 4
	s_delay_alu instid0(VALU_DEP_1) | instskip(NEXT) | instid1(VALU_DEP_3)
	v_cmp_eq_u32_e32 vcc_lo, 0, v2
	v_dual_cndmask_b32 v2, v2, v6 :: v_dual_and_b32 v7, 7, v7
	s_delay_alu instid0(VALU_DEP_1) | instskip(NEXT) | instid1(VALU_DEP_2)
	v_cndmask_b32_e32 v3, v3, v7, vcc_lo
	v_lshl_add_u32 v2, v2, 23, 0x3b800000
	s_delay_alu instid0(VALU_DEP_2) | instskip(NEXT) | instid1(VALU_DEP_1)
	v_lshlrev_b32_e32 v3, 20, v3
	v_or3_b32 v2, v5, v2, v3
	v_mov_b32_e32 v3, 0
	s_delay_alu instid0(VALU_DEP_2)
	v_cvt_f16_f32_e32 v2, v2
.LBB72_1147:
	s_or_b32 exec_lo, exec_lo, s3
.LBB72_1148:
	s_mov_b32 s2, -1
.LBB72_1149:
	s_branch .LBB72_1180
.LBB72_1150:
	v_cmp_lt_i16_e32 vcc_lo, 22, v19
	s_cbranch_vccz .LBB72_1162
; %bb.1151:
	v_cmp_gt_i16_e32 vcc_lo, 24, v19
	s_cbranch_vccnz .LBB72_1163
; %bb.1152:
	v_cmp_lt_i16_e32 vcc_lo, 24, v19
	s_cbranch_vccz .LBB72_1164
; %bb.1153:
	global_load_u8 v5, v[0:1], off
	s_mov_b32 s4, exec_lo
                                        ; implicit-def: $sgpr3
                                        ; implicit-def: $sgpr2
	s_waitcnt vmcnt(0)
	v_cmpx_lt_i16_e32 0x7f, v5
	s_xor_b32 s4, exec_lo, s4
	s_cbranch_execz .LBB72_1157
; %bb.1154:
	s_mov_b32 s1, -1
	s_mov_b32 s5, exec_lo
                                        ; implicit-def: $sgpr3
                                        ; implicit-def: $sgpr2
	v_cmpx_eq_u16_e32 0x80, v5
; %bb.1155:
	s_movk_i32 s2, 0x7e00
	s_mov_b32 s3, 0
	s_xor_b32 s1, exec_lo, -1
; %bb.1156:
	s_or_b32 exec_lo, exec_lo, s5
	s_delay_alu instid0(SALU_CYCLE_1)
	s_and_b32 s1, s1, exec_lo
.LBB72_1157:
	s_or_saveexec_b32 s4, s4
	v_dual_mov_b32 v3, s3 :: v_dual_mov_b32 v2, s2
	s_xor_b32 exec_lo, exec_lo, s4
; %bb.1158:
	v_cmp_ne_u16_e32 vcc_lo, 0, v5
	v_dual_mov_b32 v3, 0 :: v_dual_mov_b32 v2, v5
	s_and_not1_b32 s1, s1, exec_lo
	s_and_b32 s2, vcc_lo, exec_lo
	s_delay_alu instid0(SALU_CYCLE_1)
	s_or_b32 s1, s1, s2
; %bb.1159:
	s_or_b32 exec_lo, exec_lo, s4
	s_and_saveexec_b32 s2, s1
	s_cbranch_execz .LBB72_1161
; %bb.1160:
	v_and_b32_e32 v2, 0xffff, v5
	v_lshlrev_b32_e32 v5, 24, v5
	s_delay_alu instid0(VALU_DEP_2) | instskip(NEXT) | instid1(VALU_DEP_2)
	v_and_b32_e32 v3, 3, v2
	v_and_b32_e32 v5, 0x80000000, v5
	s_delay_alu instid0(VALU_DEP_2) | instskip(NEXT) | instid1(VALU_DEP_1)
	v_clz_i32_u32_e32 v6, v3
	v_min_u32_e32 v6, 32, v6
	s_delay_alu instid0(VALU_DEP_1) | instskip(SKIP_1) | instid1(VALU_DEP_2)
	v_subrev_nc_u32_e32 v7, 29, v6
	v_sub_nc_u32_e32 v6, 30, v6
	v_lshlrev_b32_e32 v7, v7, v2
	v_bfe_u32 v2, v2, 2, 5
	s_delay_alu instid0(VALU_DEP_1) | instskip(NEXT) | instid1(VALU_DEP_3)
	v_cmp_eq_u32_e32 vcc_lo, 0, v2
	v_dual_cndmask_b32 v2, v2, v6 :: v_dual_and_b32 v7, 3, v7
	s_delay_alu instid0(VALU_DEP_1) | instskip(NEXT) | instid1(VALU_DEP_2)
	v_cndmask_b32_e32 v3, v3, v7, vcc_lo
	v_lshl_add_u32 v2, v2, 23, 0x37800000
	s_delay_alu instid0(VALU_DEP_2) | instskip(NEXT) | instid1(VALU_DEP_1)
	v_lshlrev_b32_e32 v3, 21, v3
	v_or3_b32 v2, v5, v2, v3
	v_mov_b32_e32 v3, 0
	s_delay_alu instid0(VALU_DEP_2)
	v_cvt_f16_f32_e32 v2, v2
.LBB72_1161:
	s_or_b32 exec_lo, exec_lo, s2
	s_mov_b32 s1, 0
	s_branch .LBB72_1165
.LBB72_1162:
                                        ; implicit-def: $vgpr3
                                        ; implicit-def: $vgpr2
	s_mov_b32 s1, 0
	s_branch .LBB72_1171
.LBB72_1163:
	s_mov_b32 s1, -1
                                        ; implicit-def: $vgpr3
                                        ; implicit-def: $vgpr2
	s_branch .LBB72_1168
.LBB72_1164:
	s_mov_b32 s1, -1
                                        ; implicit-def: $vgpr3
                                        ; implicit-def: $vgpr2
.LBB72_1165:
	s_delay_alu instid0(SALU_CYCLE_1)
	s_and_b32 vcc_lo, exec_lo, s1
	s_cbranch_vccz .LBB72_1167
; %bb.1166:
	global_load_u8 v2, v[0:1], off
	s_waitcnt vmcnt(0)
	v_lshlrev_b32_e32 v2, 24, v2
	s_delay_alu instid0(VALU_DEP_1) | instskip(NEXT) | instid1(VALU_DEP_1)
	v_and_b32_e32 v3, 0x7f000000, v2
	v_clz_i32_u32_e32 v5, v3
	v_add_nc_u32_e32 v7, 0x1000000, v3
	v_cmp_ne_u32_e32 vcc_lo, 0, v3
	s_delay_alu instid0(VALU_DEP_3) | instskip(NEXT) | instid1(VALU_DEP_1)
	v_min_u32_e32 v5, 32, v5
	v_sub_nc_u32_e64 v5, v5, 4 clamp
	s_delay_alu instid0(VALU_DEP_1) | instskip(SKIP_1) | instid1(VALU_DEP_2)
	v_lshlrev_b32_e32 v6, v5, v3
	v_lshlrev_b32_e32 v5, 23, v5
	v_lshrrev_b32_e32 v6, 4, v6
	s_delay_alu instid0(VALU_DEP_1) | instskip(SKIP_1) | instid1(VALU_DEP_2)
	v_sub_nc_u32_e32 v5, v6, v5
	v_ashrrev_i32_e32 v6, 8, v7
	v_add_nc_u32_e32 v5, 0x3c000000, v5
	s_delay_alu instid0(VALU_DEP_1) | instskip(NEXT) | instid1(VALU_DEP_1)
	v_and_or_b32 v5, 0x7f800000, v6, v5
	v_cndmask_b32_e32 v3, 0, v5, vcc_lo
	s_delay_alu instid0(VALU_DEP_1) | instskip(SKIP_1) | instid1(VALU_DEP_2)
	v_and_or_b32 v2, 0x80000000, v2, v3
	v_mov_b32_e32 v3, 0
	v_cvt_f16_f32_e32 v2, v2
.LBB72_1167:
	s_mov_b32 s1, 0
.LBB72_1168:
	s_delay_alu instid0(SALU_CYCLE_1)
	s_and_not1_b32 vcc_lo, exec_lo, s1
	s_cbranch_vccnz .LBB72_1170
; %bb.1169:
	global_load_u8 v2, v[0:1], off
	s_waitcnt vmcnt(0)
	v_lshlrev_b32_e32 v3, 25, v2
	v_lshlrev_b16 v2, 8, v2
	s_delay_alu instid0(VALU_DEP_2) | instskip(NEXT) | instid1(VALU_DEP_2)
	v_lshrrev_b32_e32 v5, 4, v3
	v_and_or_b32 v6, 0x7f00, v2, 0.5
	v_cmp_gt_u32_e32 vcc_lo, 0x8000000, v3
	v_bfe_i32 v2, v2, 0, 16
	s_delay_alu instid0(VALU_DEP_4) | instskip(NEXT) | instid1(VALU_DEP_1)
	v_or_b32_e32 v5, 0x70000000, v5
	v_dual_add_f32 v6, -0.5, v6 :: v_dual_mul_f32 v5, 0x7800000, v5
	s_delay_alu instid0(VALU_DEP_1) | instskip(NEXT) | instid1(VALU_DEP_1)
	v_cndmask_b32_e32 v3, v5, v6, vcc_lo
	v_and_or_b32 v2, 0x80000000, v2, v3
	v_mov_b32_e32 v3, 0
	s_delay_alu instid0(VALU_DEP_2)
	v_cvt_f16_f32_e32 v2, v2
.LBB72_1170:
	s_mov_b32 s2, -1
	s_mov_b32 s1, 0
	s_cbranch_execnz .LBB72_1180
.LBB72_1171:
	v_cmp_lt_i16_e32 vcc_lo, 14, v19
	s_cbranch_vccz .LBB72_1174
; %bb.1172:
	v_cmp_eq_u16_e32 vcc_lo, 15, v19
	s_cbranch_vccz .LBB72_1175
; %bb.1173:
	global_load_u16 v2, v[0:1], off
	s_mov_b32 s0, 0
	s_mov_b32 s2, -1
	s_mov_b32 s3, 0
	s_waitcnt vmcnt(0)
	v_lshlrev_b32_e32 v2, 16, v2
	s_delay_alu instid0(VALU_DEP_1)
	v_cvt_f16_f32_e32 v2, v2
	s_branch .LBB72_1177
.LBB72_1174:
	s_mov_b32 s1, -1
	s_branch .LBB72_1176
.LBB72_1175:
	s_mov_b32 s0, -1
.LBB72_1176:
                                        ; implicit-def: $sgpr3
                                        ; implicit-def: $vgpr2
.LBB72_1177:
	s_and_b32 vcc_lo, exec_lo, s1
	s_mov_b32 s1, 0
	s_cbranch_vccz .LBB72_1179
; %bb.1178:
	v_cmp_ne_u16_e64 s0, 11, v19
	s_mov_b32 s1, -1
                                        ; implicit-def: $sgpr3
                                        ; implicit-def: $vgpr2
.LBB72_1179:
	v_mov_b32_e32 v3, s3
.LBB72_1180:
	s_delay_alu instid0(VALU_DEP_2)
	s_and_b32 vcc_lo, exec_lo, s0
	s_mov_b32 s9, s13
	s_cbranch_vccnz .LBB72_1205
; %bb.1181:
	s_and_not1_b32 vcc_lo, exec_lo, s1
	s_cbranch_vccnz .LBB72_1183
.LBB72_1182:
	global_load_u8 v2, v[0:1], off
	v_mov_b32_e32 v3, 0
	s_mov_b32 s2, -1
	s_waitcnt vmcnt(0)
	v_cmp_ne_u16_e32 vcc_lo, 0, v2
	v_cndmask_b32_e64 v2, 0, 0x3c00, vcc_lo
.LBB72_1183:
.LBB72_1184:
	s_and_not1_b32 vcc_lo, exec_lo, s2
	s_cbranch_vccnz .LBB72_2035
.LBB72_1185:
	s_lshl_b32 s1, s11, 7
	v_cmp_gt_i16_e32 vcc_lo, 11, v19
	v_add_nc_u32_e32 v4, s1, v4
	s_delay_alu instid0(VALU_DEP_1) | instskip(SKIP_1) | instid1(VALU_DEP_1)
	v_ashrrev_i32_e32 v1, 31, v4
	v_add_co_u32 v0, s0, s18, v4
	v_add_co_ci_u32_e64 v1, s0, s19, v1, s0
	s_cbranch_vccnz .LBB72_1192
; %bb.1186:
	v_cmp_lt_i16_e32 vcc_lo, 25, v19
	s_mov_b32 s2, 0
	s_cbranch_vccz .LBB72_1198
; %bb.1187:
	v_cmp_lt_i16_e32 vcc_lo, 28, v19
	s_cbranch_vccz .LBB72_1201
; %bb.1188:
	v_cmp_lt_i16_e32 vcc_lo, 43, v19
	;; [unrolled: 3-line block ×3, first 2 shown]
	s_cbranch_vccz .LBB72_1209
; %bb.1190:
	v_cmp_eq_u16_e32 vcc_lo, 46, v19
	s_mov_b32 s4, 0
	s_cbranch_vccz .LBB72_1254
; %bb.1191:
	global_load_b32 v5, v[0:1], off
	s_mov_b32 s0, 0
	s_mov_b32 s3, -1
	s_waitcnt vmcnt(0)
	v_lshlrev_b32_e32 v6, 16, v5
	v_and_b32_e32 v5, 0xffff0000, v5
	s_delay_alu instid0(VALU_DEP_2) | instskip(NEXT) | instid1(VALU_DEP_2)
	v_cvt_f16_f32_e32 v20, v6
	v_cvt_f16_f32_e32 v23, v5
	s_branch .LBB72_1256
.LBB72_1192:
	s_mov_b32 s3, 0
                                        ; implicit-def: $vgpr23
                                        ; implicit-def: $vgpr20
	s_cbranch_execz .LBB72_1324
; %bb.1193:
	v_cmp_gt_i16_e32 vcc_lo, 5, v19
	s_cbranch_vccnz .LBB72_1199
; %bb.1194:
	v_cmp_gt_i16_e32 vcc_lo, 8, v19
	s_cbranch_vccnz .LBB72_1202
	;; [unrolled: 3-line block ×3, first 2 shown]
; %bb.1196:
	v_cmp_lt_i16_e32 vcc_lo, 9, v19
	s_cbranch_vccz .LBB72_1210
; %bb.1197:
	global_load_b128 v[5:8], v[0:1], off
	s_mov_b32 s0, 0
	s_waitcnt vmcnt(0)
	v_cvt_f32_f64_e32 v5, v[5:6]
	v_cvt_f32_f64_e32 v6, v[7:8]
	s_delay_alu instid0(VALU_DEP_2) | instskip(NEXT) | instid1(VALU_DEP_2)
	v_cvt_f16_f32_e32 v20, v5
	v_cvt_f16_f32_e32 v23, v6
	s_branch .LBB72_1211
.LBB72_1198:
	s_mov_b32 s3, 0
	s_mov_b32 s0, 0
                                        ; implicit-def: $vgpr23
                                        ; implicit-def: $vgpr20
	s_cbranch_execnz .LBB72_1289
	s_branch .LBB72_1320
.LBB72_1199:
                                        ; implicit-def: $vgpr23
                                        ; implicit-def: $vgpr20
	s_branch .LBB72_1230
.LBB72_1200:
	s_branch .LBB72_1325
.LBB72_1201:
	s_mov_b32 s4, -1
	s_mov_b32 s3, 0
	s_mov_b32 s0, 0
                                        ; implicit-def: $vgpr23
                                        ; implicit-def: $vgpr20
	s_branch .LBB72_1268
.LBB72_1202:
	s_mov_b32 s0, -1
                                        ; implicit-def: $vgpr23
                                        ; implicit-def: $vgpr20
	s_branch .LBB72_1217
.LBB72_1203:
	s_mov_b32 s4, -1
	s_mov_b32 s3, 0
	s_mov_b32 s0, 0
                                        ; implicit-def: $vgpr23
                                        ; implicit-def: $vgpr20
	s_branch .LBB72_1262
.LBB72_1204:
	s_mov_b32 s0, -1
                                        ; implicit-def: $vgpr23
                                        ; implicit-def: $vgpr20
	s_branch .LBB72_1214
.LBB72_1205:
	s_cbranch_execnz .LBB72_1250
; %bb.1206:
	s_or_b32 s9, s13, exec_lo
                                        ; implicit-def: $vgpr3
                                        ; implicit-def: $vgpr2
	s_cbranch_execz .LBB72_1182
	s_branch .LBB72_1183
.LBB72_1207:
	s_or_saveexec_b32 s3, s3
                                        ; implicit-def: $sgpr4
	s_delay_alu instid0(SALU_CYCLE_1)
	s_xor_b32 exec_lo, exec_lo, s3
	s_cbranch_execz .LBB72_963
.LBB72_1208:
	v_add_f32_e64 v8, 0x46000000, |v7|
	s_and_not1_b32 s2, s2, exec_lo
	s_mov_b32 s4, 0
	s_delay_alu instid0(VALU_DEP_1) | instskip(NEXT) | instid1(VALU_DEP_1)
	v_and_b32_e32 v8, 0xff, v8
	v_cmp_ne_u32_e32 vcc_lo, 0, v8
	s_and_b32 s5, vcc_lo, exec_lo
	s_delay_alu instid0(SALU_CYCLE_1)
	s_or_b32 s2, s2, s5
	s_or_b32 exec_lo, exec_lo, s3
	v_mov_b32_e32 v9, s4
	s_and_saveexec_b32 s3, s2
	s_cbranch_execnz .LBB72_964
	s_branch .LBB72_965
.LBB72_1209:
	s_mov_b32 s4, -1
	s_mov_b32 s3, 0
	s_mov_b32 s0, 0
	s_branch .LBB72_1255
.LBB72_1210:
	s_mov_b32 s0, -1
                                        ; implicit-def: $vgpr23
                                        ; implicit-def: $vgpr20
.LBB72_1211:
	s_delay_alu instid0(SALU_CYCLE_1)
	s_and_not1_b32 vcc_lo, exec_lo, s0
	s_cbranch_vccnz .LBB72_1213
; %bb.1212:
	global_load_b64 v[5:6], v[0:1], off
	s_waitcnt vmcnt(0)
	v_cvt_f16_f32_e32 v20, v5
	v_cvt_f16_f32_e32 v23, v6
.LBB72_1213:
	s_mov_b32 s0, 0
.LBB72_1214:
	s_delay_alu instid0(SALU_CYCLE_1)
	s_and_not1_b32 vcc_lo, exec_lo, s0
	s_cbranch_vccnz .LBB72_1216
; %bb.1215:
	global_load_b32 v20, v[0:1], off
	s_waitcnt vmcnt(0)
	v_lshrrev_b32_e32 v23, 16, v20
.LBB72_1216:
	s_mov_b32 s0, 0
.LBB72_1217:
	s_delay_alu instid0(SALU_CYCLE_1)
	s_and_not1_b32 vcc_lo, exec_lo, s0
	s_cbranch_vccnz .LBB72_1229
; %bb.1218:
	v_cmp_gt_i16_e32 vcc_lo, 6, v19
	s_cbranch_vccnz .LBB72_1221
; %bb.1219:
	v_cmp_lt_i16_e32 vcc_lo, 6, v19
	s_cbranch_vccz .LBB72_1222
; %bb.1220:
	global_load_b64 v[5:6], v[0:1], off
	s_mov_b32 s2, 0
	s_mov_b32 s0, 0
	s_waitcnt vmcnt(0)
	v_cvt_f32_f64_e32 v5, v[5:6]
	s_delay_alu instid0(VALU_DEP_1)
	v_cvt_f16_f32_e32 v20, v5
	s_branch .LBB72_1223
.LBB72_1221:
	s_mov_b32 s2, -1
                                        ; implicit-def: $sgpr0
                                        ; implicit-def: $vgpr20
	s_branch .LBB72_1226
.LBB72_1222:
	s_mov_b32 s2, -1
                                        ; implicit-def: $sgpr0
                                        ; implicit-def: $vgpr20
.LBB72_1223:
	s_delay_alu instid0(SALU_CYCLE_1)
	s_and_not1_b32 vcc_lo, exec_lo, s2
	s_cbranch_vccnz .LBB72_1225
; %bb.1224:
	global_load_b32 v5, v[0:1], off
	s_mov_b32 s0, 0
	s_waitcnt vmcnt(0)
	v_cvt_f16_f32_e32 v20, v5
.LBB72_1225:
	s_mov_b32 s2, 0
.LBB72_1226:
	s_delay_alu instid0(SALU_CYCLE_1)
	s_and_not1_b32 vcc_lo, exec_lo, s2
	s_cbranch_vccnz .LBB72_1228
; %bb.1227:
	global_load_u16 v20, v[0:1], off
	s_mov_b32 s0, 0
.LBB72_1228:
	s_delay_alu instid0(SALU_CYCLE_1)
	v_mov_b32_e32 v23, s0
.LBB72_1229:
	s_cbranch_execnz .LBB72_1200
.LBB72_1230:
	v_cmp_gt_i16_e32 vcc_lo, 2, v19
	s_cbranch_vccnz .LBB72_1234
; %bb.1231:
	v_cmp_gt_i16_e32 vcc_lo, 3, v19
	s_cbranch_vccnz .LBB72_1235
; %bb.1232:
	v_cmp_lt_i16_e32 vcc_lo, 3, v19
	s_cbranch_vccz .LBB72_1236
; %bb.1233:
	global_load_b64 v[5:6], v[0:1], off
	s_mov_b32 s2, 0
	s_mov_b32 s0, 0
	s_waitcnt vmcnt(0)
	v_xor_b32_e32 v7, v5, v6
	v_cls_i32_e32 v8, v6
	s_delay_alu instid0(VALU_DEP_2) | instskip(NEXT) | instid1(VALU_DEP_2)
	v_ashrrev_i32_e32 v7, 31, v7
	v_add_nc_u32_e32 v8, -1, v8
	s_delay_alu instid0(VALU_DEP_2) | instskip(NEXT) | instid1(VALU_DEP_1)
	v_add_nc_u32_e32 v7, 32, v7
	v_min_u32_e32 v7, v8, v7
	s_delay_alu instid0(VALU_DEP_1) | instskip(NEXT) | instid1(VALU_DEP_1)
	v_lshlrev_b64 v[5:6], v7, v[5:6]
	v_min_u32_e32 v5, 1, v5
	s_delay_alu instid0(VALU_DEP_1) | instskip(SKIP_1) | instid1(VALU_DEP_2)
	v_or_b32_e32 v5, v6, v5
	v_sub_nc_u32_e32 v6, 32, v7
	v_cvt_f32_i32_e32 v5, v5
	s_delay_alu instid0(VALU_DEP_1) | instskip(NEXT) | instid1(VALU_DEP_1)
	v_ldexp_f32 v5, v5, v6
	v_cvt_f16_f32_e32 v20, v5
	s_branch .LBB72_1237
.LBB72_1234:
	s_mov_b32 s2, -1
                                        ; implicit-def: $sgpr0
                                        ; implicit-def: $vgpr20
	s_branch .LBB72_1243
.LBB72_1235:
	s_mov_b32 s2, -1
                                        ; implicit-def: $sgpr0
                                        ; implicit-def: $vgpr20
	s_branch .LBB72_1240
.LBB72_1236:
	s_mov_b32 s2, -1
                                        ; implicit-def: $sgpr0
                                        ; implicit-def: $vgpr20
.LBB72_1237:
	s_delay_alu instid0(SALU_CYCLE_1)
	s_and_not1_b32 vcc_lo, exec_lo, s2
	s_cbranch_vccnz .LBB72_1239
; %bb.1238:
	global_load_b32 v5, v[0:1], off
	s_mov_b32 s0, 0
	s_waitcnt vmcnt(0)
	v_cvt_f32_i32_e32 v5, v5
	s_delay_alu instid0(VALU_DEP_1)
	v_cvt_f16_f32_e32 v20, v5
.LBB72_1239:
	s_mov_b32 s2, 0
.LBB72_1240:
	s_delay_alu instid0(SALU_CYCLE_1)
	s_and_not1_b32 vcc_lo, exec_lo, s2
	s_cbranch_vccnz .LBB72_1242
; %bb.1241:
	global_load_u16 v5, v[0:1], off
	s_mov_b32 s0, 0
	s_waitcnt vmcnt(0)
	v_cvt_f16_i16_e32 v20, v5
.LBB72_1242:
	s_mov_b32 s2, 0
.LBB72_1243:
	s_delay_alu instid0(SALU_CYCLE_1)
	s_and_not1_b32 vcc_lo, exec_lo, s2
	s_cbranch_vccnz .LBB72_1249
; %bb.1244:
	v_cmp_lt_i16_e32 vcc_lo, 0, v19
	s_mov_b32 s2, 0
	s_cbranch_vccz .LBB72_1246
; %bb.1245:
	global_load_i8 v5, v[0:1], off
	s_mov_b32 s0, 0
	s_waitcnt vmcnt(0)
	v_cvt_f16_i16_e32 v20, v5
	s_branch .LBB72_1247
.LBB72_1246:
	s_mov_b32 s2, -1
                                        ; implicit-def: $sgpr0
                                        ; implicit-def: $vgpr20
.LBB72_1247:
	s_delay_alu instid0(SALU_CYCLE_1)
	s_and_not1_b32 vcc_lo, exec_lo, s2
	s_cbranch_vccnz .LBB72_1249
; %bb.1248:
	global_load_u8 v0, v[0:1], off
	s_mov_b32 s0, 0
	s_waitcnt vmcnt(0)
	v_cvt_f16_u16_e32 v20, v0
.LBB72_1249:
	v_mov_b32_e32 v23, s0
	s_branch .LBB72_1325
.LBB72_1250:
	s_trap 2
	s_sendmsg_rtn_b32 s0, sendmsg(MSG_RTN_GET_DOORBELL)
	s_mov_b32 ttmp2, m0
	s_waitcnt lgkmcnt(0)
	s_and_b32 s0, s0, 0x3ff
	s_delay_alu instid0(SALU_CYCLE_1) | instskip(NEXT) | instid1(SALU_CYCLE_1)
	s_bitset1_b32 s0, 10
	s_mov_b32 m0, s0
	s_sendmsg sendmsg(MSG_INTERRUPT)
	s_mov_b32 m0, ttmp2
.LBB72_1251:                            ; =>This Inner Loop Header: Depth=1
	s_sethalt 5
	s_branch .LBB72_1251
.LBB72_1252:
	s_or_saveexec_b32 s4, s4
                                        ; implicit-def: $sgpr5
	s_delay_alu instid0(SALU_CYCLE_1)
	s_xor_b32 exec_lo, exec_lo, s4
	s_cbranch_execz .LBB72_975
.LBB72_1253:
	v_add_f32_e64 v8, 0x42800000, |v7|
	s_and_not1_b32 s3, s3, exec_lo
	s_mov_b32 s5, 0
	s_delay_alu instid0(VALU_DEP_1) | instskip(NEXT) | instid1(VALU_DEP_1)
	v_and_b32_e32 v8, 0xff, v8
	v_cmp_ne_u32_e32 vcc_lo, 0, v8
	s_and_b32 s6, vcc_lo, exec_lo
	s_delay_alu instid0(SALU_CYCLE_1)
	s_or_b32 s3, s3, s6
	s_or_b32 exec_lo, exec_lo, s4
	v_mov_b32_e32 v9, s5
	s_and_saveexec_b32 s4, s3
	s_cbranch_execnz .LBB72_976
	s_branch .LBB72_977
.LBB72_1254:
	s_mov_b32 s0, -1
	s_mov_b32 s3, 0
.LBB72_1255:
                                        ; implicit-def: $vgpr23
                                        ; implicit-def: $vgpr20
.LBB72_1256:
	s_and_b32 vcc_lo, exec_lo, s4
	s_cbranch_vccz .LBB72_1261
; %bb.1257:
	v_cmp_eq_u16_e32 vcc_lo, 44, v19
	s_cbranch_vccz .LBB72_1259
; %bb.1258:
	global_load_u8 v5, v[0:1], off
	s_mov_b32 s0, 0
	s_mov_b32 s3, -1
	s_waitcnt vmcnt(0)
	v_lshlrev_b32_e32 v6, 23, v5
	v_cmp_ne_u32_e32 vcc_lo, 0xff, v5
	s_delay_alu instid0(VALU_DEP_2) | instskip(NEXT) | instid1(VALU_DEP_1)
	v_cvt_f16_f32_e32 v6, v6
	v_cndmask_b32_e32 v6, 0x7e00, v6, vcc_lo
	v_cmp_ne_u32_e32 vcc_lo, 0, v5
	s_delay_alu instid0(VALU_DEP_2)
	v_cndmask_b32_e32 v20, 0, v6, vcc_lo
	s_branch .LBB72_1260
.LBB72_1259:
	s_mov_b32 s0, -1
                                        ; implicit-def: $vgpr20
.LBB72_1260:
	s_delay_alu instid0(SALU_CYCLE_1)
	v_mov_b32_e32 v23, s0
.LBB72_1261:
	s_mov_b32 s4, 0
.LBB72_1262:
	s_delay_alu instid0(SALU_CYCLE_1)
	s_and_b32 vcc_lo, exec_lo, s4
	s_cbranch_vccz .LBB72_1267
; %bb.1263:
	v_cmp_eq_u16_e32 vcc_lo, 29, v19
	s_cbranch_vccz .LBB72_1265
; %bb.1264:
	global_load_b64 v[5:6], v[0:1], off
	s_mov_b32 s0, 0
	s_mov_b32 s3, -1
	s_mov_b32 s4, 0
	s_waitcnt vmcnt(0)
	v_clz_i32_u32_e32 v7, v6
	s_delay_alu instid0(VALU_DEP_1) | instskip(NEXT) | instid1(VALU_DEP_1)
	v_min_u32_e32 v7, 32, v7
	v_lshlrev_b64 v[5:6], v7, v[5:6]
	s_delay_alu instid0(VALU_DEP_1) | instskip(NEXT) | instid1(VALU_DEP_1)
	v_min_u32_e32 v5, 1, v5
	v_or_b32_e32 v5, v6, v5
	v_sub_nc_u32_e32 v6, 32, v7
	s_delay_alu instid0(VALU_DEP_2) | instskip(NEXT) | instid1(VALU_DEP_1)
	v_cvt_f32_u32_e32 v5, v5
	v_ldexp_f32 v5, v5, v6
	s_delay_alu instid0(VALU_DEP_1)
	v_cvt_f16_f32_e32 v20, v5
	s_branch .LBB72_1266
.LBB72_1265:
	s_mov_b32 s0, -1
                                        ; implicit-def: $sgpr4
                                        ; implicit-def: $vgpr20
.LBB72_1266:
	v_mov_b32_e32 v23, s4
.LBB72_1267:
	s_mov_b32 s4, 0
.LBB72_1268:
	s_delay_alu instid0(SALU_CYCLE_1)
	s_and_b32 vcc_lo, exec_lo, s4
	s_cbranch_vccz .LBB72_1288
; %bb.1269:
	v_cmp_gt_i16_e32 vcc_lo, 27, v19
	s_cbranch_vccnz .LBB72_1272
; %bb.1270:
	v_cmp_lt_i16_e32 vcc_lo, 27, v19
	s_cbranch_vccz .LBB72_1273
; %bb.1271:
	global_load_b32 v5, v[0:1], off
	s_mov_b32 s4, 0
	s_mov_b32 s3, 0
	s_waitcnt vmcnt(0)
	v_cvt_f32_u32_e32 v5, v5
	s_delay_alu instid0(VALU_DEP_1)
	v_cvt_f16_f32_e32 v20, v5
	s_branch .LBB72_1274
.LBB72_1272:
	s_mov_b32 s4, -1
                                        ; implicit-def: $sgpr3
                                        ; implicit-def: $vgpr20
	s_branch .LBB72_1277
.LBB72_1273:
	s_mov_b32 s4, -1
                                        ; implicit-def: $sgpr3
                                        ; implicit-def: $vgpr20
.LBB72_1274:
	s_delay_alu instid0(SALU_CYCLE_1)
	s_and_not1_b32 vcc_lo, exec_lo, s4
	s_cbranch_vccnz .LBB72_1276
; %bb.1275:
	global_load_u16 v5, v[0:1], off
	s_mov_b32 s3, 0
	s_waitcnt vmcnt(0)
	v_cvt_f16_u16_e32 v20, v5
.LBB72_1276:
	s_mov_b32 s4, 0
.LBB72_1277:
	v_mov_b32_e32 v23, s3
	s_and_not1_b32 vcc_lo, exec_lo, s4
	s_cbranch_vccnz .LBB72_1287
; %bb.1278:
	global_load_u8 v5, v[0:1], off
	s_mov_b32 s3, 0
	s_mov_b32 s6, exec_lo
                                        ; implicit-def: $sgpr5
                                        ; implicit-def: $sgpr4
	s_waitcnt vmcnt(0)
	v_cmpx_lt_i16_e32 0x7f, v5
	s_xor_b32 s6, exec_lo, s6
	s_cbranch_execz .LBB72_1282
; %bb.1279:
	s_mov_b32 s3, -1
	s_mov_b32 s7, exec_lo
                                        ; implicit-def: $sgpr5
                                        ; implicit-def: $sgpr4
	v_cmpx_eq_u16_e32 0x80, v5
; %bb.1280:
	s_movk_i32 s4, 0x7e00
	s_mov_b32 s5, 0
	s_xor_b32 s3, exec_lo, -1
; %bb.1281:
	s_or_b32 exec_lo, exec_lo, s7
	s_delay_alu instid0(SALU_CYCLE_1)
	s_and_b32 s3, s3, exec_lo
.LBB72_1282:
	s_or_saveexec_b32 s6, s6
	v_dual_mov_b32 v23, s5 :: v_dual_mov_b32 v20, s4
	s_xor_b32 exec_lo, exec_lo, s6
; %bb.1283:
	v_cmp_ne_u16_e32 vcc_lo, 0, v5
	v_dual_mov_b32 v23, 0 :: v_dual_mov_b32 v20, v5
	s_and_not1_b32 s3, s3, exec_lo
	s_and_b32 s4, vcc_lo, exec_lo
	s_delay_alu instid0(SALU_CYCLE_1)
	s_or_b32 s3, s3, s4
; %bb.1284:
	s_or_b32 exec_lo, exec_lo, s6
	s_and_saveexec_b32 s4, s3
	s_cbranch_execz .LBB72_1286
; %bb.1285:
	v_dual_mov_b32 v23, 0 :: v_dual_and_b32 v6, 0xffff, v5
	v_lshlrev_b32_e32 v5, 24, v5
	s_delay_alu instid0(VALU_DEP_2) | instskip(NEXT) | instid1(VALU_DEP_2)
	v_and_b32_e32 v7, 7, v6
	v_and_b32_e32 v5, 0x80000000, v5
	s_delay_alu instid0(VALU_DEP_2) | instskip(NEXT) | instid1(VALU_DEP_1)
	v_clz_i32_u32_e32 v8, v7
	v_min_u32_e32 v8, 32, v8
	s_delay_alu instid0(VALU_DEP_1) | instskip(SKIP_1) | instid1(VALU_DEP_2)
	v_subrev_nc_u32_e32 v9, 28, v8
	v_sub_nc_u32_e32 v8, 29, v8
	v_lshlrev_b32_e32 v9, v9, v6
	v_bfe_u32 v6, v6, 3, 4
	s_delay_alu instid0(VALU_DEP_2) | instskip(NEXT) | instid1(VALU_DEP_2)
	v_and_b32_e32 v9, 7, v9
	v_cmp_eq_u32_e32 vcc_lo, 0, v6
	s_delay_alu instid0(VALU_DEP_2) | instskip(NEXT) | instid1(VALU_DEP_1)
	v_dual_cndmask_b32 v6, v6, v8 :: v_dual_cndmask_b32 v7, v7, v9
	v_lshl_add_u32 v6, v6, 23, 0x3b800000
	s_delay_alu instid0(VALU_DEP_2) | instskip(NEXT) | instid1(VALU_DEP_1)
	v_lshlrev_b32_e32 v7, 20, v7
	v_or3_b32 v5, v5, v6, v7
	s_delay_alu instid0(VALU_DEP_1)
	v_cvt_f16_f32_e32 v20, v5
.LBB72_1286:
	s_or_b32 exec_lo, exec_lo, s4
.LBB72_1287:
	s_mov_b32 s3, -1
.LBB72_1288:
	s_branch .LBB72_1320
.LBB72_1289:
	v_cmp_lt_i16_e32 vcc_lo, 22, v19
	s_cbranch_vccz .LBB72_1301
; %bb.1290:
	v_cmp_gt_i16_e32 vcc_lo, 24, v19
	s_cbranch_vccnz .LBB72_1302
; %bb.1291:
	v_cmp_lt_i16_e32 vcc_lo, 24, v19
	s_cbranch_vccz .LBB72_1303
; %bb.1292:
	global_load_u8 v5, v[0:1], off
	s_mov_b32 s5, exec_lo
                                        ; implicit-def: $sgpr4
                                        ; implicit-def: $sgpr3
	s_waitcnt vmcnt(0)
	v_cmpx_lt_i16_e32 0x7f, v5
	s_xor_b32 s5, exec_lo, s5
	s_cbranch_execz .LBB72_1296
; %bb.1293:
	s_mov_b32 s2, -1
	s_mov_b32 s6, exec_lo
                                        ; implicit-def: $sgpr4
                                        ; implicit-def: $sgpr3
	v_cmpx_eq_u16_e32 0x80, v5
; %bb.1294:
	s_movk_i32 s3, 0x7e00
	s_mov_b32 s4, 0
	s_xor_b32 s2, exec_lo, -1
; %bb.1295:
	s_or_b32 exec_lo, exec_lo, s6
	s_delay_alu instid0(SALU_CYCLE_1)
	s_and_b32 s2, s2, exec_lo
.LBB72_1296:
	s_or_saveexec_b32 s5, s5
	v_dual_mov_b32 v23, s4 :: v_dual_mov_b32 v20, s3
	s_xor_b32 exec_lo, exec_lo, s5
; %bb.1297:
	v_cmp_ne_u16_e32 vcc_lo, 0, v5
	v_dual_mov_b32 v23, 0 :: v_dual_mov_b32 v20, v5
	s_and_not1_b32 s2, s2, exec_lo
	s_and_b32 s3, vcc_lo, exec_lo
	s_delay_alu instid0(SALU_CYCLE_1)
	s_or_b32 s2, s2, s3
; %bb.1298:
	s_or_b32 exec_lo, exec_lo, s5
	s_and_saveexec_b32 s3, s2
	s_cbranch_execz .LBB72_1300
; %bb.1299:
	v_dual_mov_b32 v23, 0 :: v_dual_and_b32 v6, 0xffff, v5
	v_lshlrev_b32_e32 v5, 24, v5
	s_delay_alu instid0(VALU_DEP_2) | instskip(NEXT) | instid1(VALU_DEP_2)
	v_and_b32_e32 v7, 3, v6
	v_and_b32_e32 v5, 0x80000000, v5
	s_delay_alu instid0(VALU_DEP_2) | instskip(NEXT) | instid1(VALU_DEP_1)
	v_clz_i32_u32_e32 v8, v7
	v_min_u32_e32 v8, 32, v8
	s_delay_alu instid0(VALU_DEP_1) | instskip(SKIP_1) | instid1(VALU_DEP_2)
	v_subrev_nc_u32_e32 v9, 29, v8
	v_sub_nc_u32_e32 v8, 30, v8
	v_lshlrev_b32_e32 v9, v9, v6
	v_bfe_u32 v6, v6, 2, 5
	s_delay_alu instid0(VALU_DEP_2) | instskip(NEXT) | instid1(VALU_DEP_2)
	v_and_b32_e32 v9, 3, v9
	v_cmp_eq_u32_e32 vcc_lo, 0, v6
	s_delay_alu instid0(VALU_DEP_2) | instskip(NEXT) | instid1(VALU_DEP_1)
	v_dual_cndmask_b32 v6, v6, v8 :: v_dual_cndmask_b32 v7, v7, v9
	v_lshl_add_u32 v6, v6, 23, 0x37800000
	s_delay_alu instid0(VALU_DEP_2) | instskip(NEXT) | instid1(VALU_DEP_1)
	v_lshlrev_b32_e32 v7, 21, v7
	v_or3_b32 v5, v5, v6, v7
	s_delay_alu instid0(VALU_DEP_1)
	v_cvt_f16_f32_e32 v20, v5
.LBB72_1300:
	s_or_b32 exec_lo, exec_lo, s3
	s_mov_b32 s2, 0
	s_branch .LBB72_1304
.LBB72_1301:
	s_mov_b32 s2, -1
                                        ; implicit-def: $vgpr23
                                        ; implicit-def: $vgpr20
	s_branch .LBB72_1310
.LBB72_1302:
	s_mov_b32 s2, -1
                                        ; implicit-def: $vgpr23
                                        ; implicit-def: $vgpr20
	s_branch .LBB72_1307
.LBB72_1303:
	s_mov_b32 s2, -1
                                        ; implicit-def: $vgpr23
                                        ; implicit-def: $vgpr20
.LBB72_1304:
	s_delay_alu instid0(SALU_CYCLE_1)
	s_and_b32 vcc_lo, exec_lo, s2
	s_cbranch_vccz .LBB72_1306
; %bb.1305:
	global_load_u8 v5, v[0:1], off
	v_mov_b32_e32 v23, 0
	s_waitcnt vmcnt(0)
	v_lshlrev_b32_e32 v5, 24, v5
	s_delay_alu instid0(VALU_DEP_1) | instskip(NEXT) | instid1(VALU_DEP_1)
	v_and_b32_e32 v6, 0x7f000000, v5
	v_clz_i32_u32_e32 v7, v6
	v_add_nc_u32_e32 v9, 0x1000000, v6
	v_cmp_ne_u32_e32 vcc_lo, 0, v6
	s_delay_alu instid0(VALU_DEP_3) | instskip(NEXT) | instid1(VALU_DEP_1)
	v_min_u32_e32 v7, 32, v7
	v_sub_nc_u32_e64 v7, v7, 4 clamp
	s_delay_alu instid0(VALU_DEP_1) | instskip(SKIP_1) | instid1(VALU_DEP_2)
	v_lshlrev_b32_e32 v8, v7, v6
	v_lshlrev_b32_e32 v7, 23, v7
	v_lshrrev_b32_e32 v8, 4, v8
	s_delay_alu instid0(VALU_DEP_1) | instskip(SKIP_1) | instid1(VALU_DEP_2)
	v_sub_nc_u32_e32 v7, v8, v7
	v_ashrrev_i32_e32 v8, 8, v9
	v_add_nc_u32_e32 v7, 0x3c000000, v7
	s_delay_alu instid0(VALU_DEP_1) | instskip(NEXT) | instid1(VALU_DEP_1)
	v_and_or_b32 v7, 0x7f800000, v8, v7
	v_cndmask_b32_e32 v6, 0, v7, vcc_lo
	s_delay_alu instid0(VALU_DEP_1) | instskip(NEXT) | instid1(VALU_DEP_1)
	v_and_or_b32 v5, 0x80000000, v5, v6
	v_cvt_f16_f32_e32 v20, v5
.LBB72_1306:
	s_mov_b32 s2, 0
.LBB72_1307:
	s_delay_alu instid0(SALU_CYCLE_1)
	s_and_not1_b32 vcc_lo, exec_lo, s2
	s_cbranch_vccnz .LBB72_1309
; %bb.1308:
	global_load_u8 v5, v[0:1], off
	s_waitcnt vmcnt(0)
	v_dual_mov_b32 v23, 0 :: v_dual_lshlrev_b32 v6, 25, v5
	v_lshlrev_b16 v5, 8, v5
	s_delay_alu instid0(VALU_DEP_2) | instskip(NEXT) | instid1(VALU_DEP_2)
	v_lshrrev_b32_e32 v7, 4, v6
	v_and_or_b32 v8, 0x7f00, v5, 0.5
	v_bfe_i32 v5, v5, 0, 16
	s_delay_alu instid0(VALU_DEP_3) | instskip(NEXT) | instid1(VALU_DEP_1)
	v_or_b32_e32 v7, 0x70000000, v7
	v_dual_add_f32 v8, -0.5, v8 :: v_dual_mul_f32 v7, 0x7800000, v7
	v_cmp_gt_u32_e32 vcc_lo, 0x8000000, v6
	s_delay_alu instid0(VALU_DEP_2) | instskip(NEXT) | instid1(VALU_DEP_1)
	v_cndmask_b32_e32 v6, v7, v8, vcc_lo
	v_and_or_b32 v5, 0x80000000, v5, v6
	s_delay_alu instid0(VALU_DEP_1)
	v_cvt_f16_f32_e32 v20, v5
.LBB72_1309:
	s_mov_b32 s2, 0
	s_mov_b32 s3, -1
.LBB72_1310:
	s_and_not1_b32 vcc_lo, exec_lo, s2
	s_mov_b32 s2, 0
	s_cbranch_vccnz .LBB72_1320
; %bb.1311:
	v_cmp_lt_i16_e32 vcc_lo, 14, v19
	s_cbranch_vccz .LBB72_1314
; %bb.1312:
	v_cmp_eq_u16_e32 vcc_lo, 15, v19
	s_cbranch_vccz .LBB72_1315
; %bb.1313:
	global_load_u16 v5, v[0:1], off
	s_mov_b32 s0, 0
	s_mov_b32 s3, -1
	s_mov_b32 s4, 0
	s_waitcnt vmcnt(0)
	v_lshlrev_b32_e32 v5, 16, v5
	s_delay_alu instid0(VALU_DEP_1)
	v_cvt_f16_f32_e32 v20, v5
	s_branch .LBB72_1317
.LBB72_1314:
	s_mov_b32 s2, -1
	s_branch .LBB72_1316
.LBB72_1315:
	s_mov_b32 s0, -1
.LBB72_1316:
                                        ; implicit-def: $sgpr4
                                        ; implicit-def: $vgpr20
.LBB72_1317:
	s_and_b32 vcc_lo, exec_lo, s2
	s_mov_b32 s2, 0
	s_cbranch_vccz .LBB72_1319
; %bb.1318:
	v_cmp_ne_u16_e64 s0, 11, v19
	s_mov_b32 s2, -1
                                        ; implicit-def: $sgpr4
                                        ; implicit-def: $vgpr20
.LBB72_1319:
	v_mov_b32_e32 v23, s4
.LBB72_1320:
	s_delay_alu instid0(VALU_DEP_2)
	s_and_b32 vcc_lo, exec_lo, s0
	s_cbranch_vccnz .LBB72_1344
; %bb.1321:
	s_and_not1_b32 vcc_lo, exec_lo, s2
	s_cbranch_vccnz .LBB72_1323
.LBB72_1322:
	global_load_u8 v5, v[0:1], off
	v_mov_b32_e32 v23, 0
	s_mov_b32 s3, -1
	s_waitcnt vmcnt(0)
	v_cmp_ne_u16_e32 vcc_lo, 0, v5
	v_cndmask_b32_e64 v20, 0, 0x3c00, vcc_lo
.LBB72_1323:
.LBB72_1324:
	s_and_not1_b32 vcc_lo, exec_lo, s3
	s_cbranch_vccnz .LBB72_2035
.LBB72_1325:
	v_add_nc_u32_e32 v4, s1, v4
	v_cmp_gt_i16_e32 vcc_lo, 11, v19
	s_delay_alu instid0(VALU_DEP_2) | instskip(SKIP_1) | instid1(VALU_DEP_1)
	v_ashrrev_i32_e32 v1, 31, v4
	v_add_co_u32 v0, s0, s18, v4
	v_add_co_ci_u32_e64 v1, s0, s19, v1, s0
	s_cbranch_vccnz .LBB72_1332
; %bb.1326:
	v_cmp_lt_i16_e32 vcc_lo, 25, v19
	s_mov_b32 s2, 0
	s_cbranch_vccz .LBB72_1338
; %bb.1327:
	v_cmp_lt_i16_e32 vcc_lo, 28, v19
	s_cbranch_vccz .LBB72_1340
; %bb.1328:
	v_cmp_lt_i16_e32 vcc_lo, 43, v19
	;; [unrolled: 3-line block ×3, first 2 shown]
	s_cbranch_vccz .LBB72_1346
; %bb.1330:
	v_cmp_eq_u16_e32 vcc_lo, 46, v19
	s_mov_b32 s4, 0
	s_cbranch_vccz .LBB72_1391
; %bb.1331:
	global_load_b32 v5, v[0:1], off
	s_mov_b32 s0, 0
	s_mov_b32 s3, -1
	s_waitcnt vmcnt(0)
	v_lshlrev_b32_e32 v6, 16, v5
	v_and_b32_e32 v5, 0xffff0000, v5
	s_delay_alu instid0(VALU_DEP_2) | instskip(NEXT) | instid1(VALU_DEP_2)
	v_cvt_f16_f32_e32 v22, v6
	v_cvt_f16_f32_e32 v25, v5
	s_branch .LBB72_1393
.LBB72_1332:
	s_mov_b32 s3, 0
                                        ; implicit-def: $vgpr25
                                        ; implicit-def: $vgpr22
	s_cbranch_execz .LBB72_1462
; %bb.1333:
	v_cmp_gt_i16_e32 vcc_lo, 5, v19
	s_cbranch_vccnz .LBB72_1339
; %bb.1334:
	v_cmp_gt_i16_e32 vcc_lo, 8, v19
	s_cbranch_vccnz .LBB72_1341
	;; [unrolled: 3-line block ×3, first 2 shown]
; %bb.1336:
	v_cmp_lt_i16_e32 vcc_lo, 9, v19
	s_cbranch_vccz .LBB72_1347
; %bb.1337:
	global_load_b128 v[5:8], v[0:1], off
	s_mov_b32 s0, 0
	s_waitcnt vmcnt(0)
	v_cvt_f32_f64_e32 v5, v[5:6]
	v_cvt_f32_f64_e32 v6, v[7:8]
	s_delay_alu instid0(VALU_DEP_2) | instskip(NEXT) | instid1(VALU_DEP_2)
	v_cvt_f16_f32_e32 v22, v5
	v_cvt_f16_f32_e32 v25, v6
	s_branch .LBB72_1348
.LBB72_1338:
	s_mov_b32 s4, -1
	s_mov_b32 s3, 0
	s_mov_b32 s0, 0
                                        ; implicit-def: $vgpr25
                                        ; implicit-def: $vgpr22
	s_branch .LBB72_1426
.LBB72_1339:
	s_mov_b32 s0, -1
                                        ; implicit-def: $vgpr25
                                        ; implicit-def: $vgpr22
	s_branch .LBB72_1367
.LBB72_1340:
	s_mov_b32 s4, -1
	s_mov_b32 s3, 0
	s_mov_b32 s0, 0
                                        ; implicit-def: $vgpr25
                                        ; implicit-def: $vgpr22
	s_branch .LBB72_1405
.LBB72_1341:
	s_mov_b32 s0, -1
                                        ; implicit-def: $vgpr25
                                        ; implicit-def: $vgpr22
	s_branch .LBB72_1354
.LBB72_1342:
	s_mov_b32 s4, -1
	s_mov_b32 s3, 0
	s_mov_b32 s0, 0
                                        ; implicit-def: $vgpr25
                                        ; implicit-def: $vgpr22
	s_branch .LBB72_1399
.LBB72_1343:
	s_mov_b32 s0, -1
                                        ; implicit-def: $vgpr25
                                        ; implicit-def: $vgpr22
	s_branch .LBB72_1351
.LBB72_1344:
	s_cbranch_execnz .LBB72_1389
; %bb.1345:
	s_or_b32 s9, s9, exec_lo
                                        ; implicit-def: $vgpr23
                                        ; implicit-def: $vgpr20
	s_cbranch_execz .LBB72_1322
	s_branch .LBB72_1323
.LBB72_1346:
	s_mov_b32 s4, -1
	s_mov_b32 s3, 0
	s_mov_b32 s0, 0
	s_branch .LBB72_1392
.LBB72_1347:
	s_mov_b32 s0, -1
                                        ; implicit-def: $vgpr25
                                        ; implicit-def: $vgpr22
.LBB72_1348:
	s_delay_alu instid0(SALU_CYCLE_1)
	s_and_not1_b32 vcc_lo, exec_lo, s0
	s_cbranch_vccnz .LBB72_1350
; %bb.1349:
	global_load_b64 v[5:6], v[0:1], off
	s_waitcnt vmcnt(0)
	v_cvt_f16_f32_e32 v22, v5
	v_cvt_f16_f32_e32 v25, v6
.LBB72_1350:
	s_mov_b32 s0, 0
.LBB72_1351:
	s_delay_alu instid0(SALU_CYCLE_1)
	s_and_not1_b32 vcc_lo, exec_lo, s0
	s_cbranch_vccnz .LBB72_1353
; %bb.1352:
	global_load_b32 v22, v[0:1], off
	s_waitcnt vmcnt(0)
	v_lshrrev_b32_e32 v25, 16, v22
.LBB72_1353:
	s_mov_b32 s0, 0
.LBB72_1354:
	s_delay_alu instid0(SALU_CYCLE_1)
	s_and_not1_b32 vcc_lo, exec_lo, s0
	s_cbranch_vccnz .LBB72_1366
; %bb.1355:
	v_cmp_gt_i16_e32 vcc_lo, 6, v19
	s_cbranch_vccnz .LBB72_1358
; %bb.1356:
	v_cmp_lt_i16_e32 vcc_lo, 6, v19
	s_cbranch_vccz .LBB72_1359
; %bb.1357:
	global_load_b64 v[5:6], v[0:1], off
	s_mov_b32 s2, 0
	s_mov_b32 s0, 0
	s_waitcnt vmcnt(0)
	v_cvt_f32_f64_e32 v5, v[5:6]
	s_delay_alu instid0(VALU_DEP_1)
	v_cvt_f16_f32_e32 v22, v5
	s_branch .LBB72_1360
.LBB72_1358:
	s_mov_b32 s2, -1
                                        ; implicit-def: $sgpr0
                                        ; implicit-def: $vgpr22
	s_branch .LBB72_1363
.LBB72_1359:
	s_mov_b32 s2, -1
                                        ; implicit-def: $sgpr0
                                        ; implicit-def: $vgpr22
.LBB72_1360:
	s_delay_alu instid0(SALU_CYCLE_1)
	s_and_not1_b32 vcc_lo, exec_lo, s2
	s_cbranch_vccnz .LBB72_1362
; %bb.1361:
	global_load_b32 v5, v[0:1], off
	s_mov_b32 s0, 0
	s_waitcnt vmcnt(0)
	v_cvt_f16_f32_e32 v22, v5
.LBB72_1362:
	s_mov_b32 s2, 0
.LBB72_1363:
	s_delay_alu instid0(SALU_CYCLE_1)
	s_and_not1_b32 vcc_lo, exec_lo, s2
	s_cbranch_vccnz .LBB72_1365
; %bb.1364:
	global_load_u16 v22, v[0:1], off
	s_mov_b32 s0, 0
.LBB72_1365:
	s_delay_alu instid0(SALU_CYCLE_1)
	v_mov_b32_e32 v25, s0
.LBB72_1366:
	s_mov_b32 s0, 0
.LBB72_1367:
	s_delay_alu instid0(SALU_CYCLE_1)
	s_and_not1_b32 vcc_lo, exec_lo, s0
	s_cbranch_vccnz .LBB72_1388
; %bb.1368:
	v_cmp_gt_i16_e32 vcc_lo, 2, v19
	s_cbranch_vccnz .LBB72_1372
; %bb.1369:
	v_cmp_gt_i16_e32 vcc_lo, 3, v19
	s_cbranch_vccnz .LBB72_1373
; %bb.1370:
	v_cmp_lt_i16_e32 vcc_lo, 3, v19
	s_cbranch_vccz .LBB72_1374
; %bb.1371:
	global_load_b64 v[5:6], v[0:1], off
	s_mov_b32 s2, 0
	s_mov_b32 s0, 0
	s_waitcnt vmcnt(0)
	v_xor_b32_e32 v7, v5, v6
	v_cls_i32_e32 v8, v6
	s_delay_alu instid0(VALU_DEP_2) | instskip(NEXT) | instid1(VALU_DEP_2)
	v_ashrrev_i32_e32 v7, 31, v7
	v_add_nc_u32_e32 v8, -1, v8
	s_delay_alu instid0(VALU_DEP_2) | instskip(NEXT) | instid1(VALU_DEP_1)
	v_add_nc_u32_e32 v7, 32, v7
	v_min_u32_e32 v7, v8, v7
	s_delay_alu instid0(VALU_DEP_1) | instskip(NEXT) | instid1(VALU_DEP_1)
	v_lshlrev_b64 v[5:6], v7, v[5:6]
	v_min_u32_e32 v5, 1, v5
	s_delay_alu instid0(VALU_DEP_1) | instskip(SKIP_1) | instid1(VALU_DEP_2)
	v_or_b32_e32 v5, v6, v5
	v_sub_nc_u32_e32 v6, 32, v7
	v_cvt_f32_i32_e32 v5, v5
	s_delay_alu instid0(VALU_DEP_1) | instskip(NEXT) | instid1(VALU_DEP_1)
	v_ldexp_f32 v5, v5, v6
	v_cvt_f16_f32_e32 v22, v5
	s_branch .LBB72_1375
.LBB72_1372:
	s_mov_b32 s2, -1
                                        ; implicit-def: $sgpr0
                                        ; implicit-def: $vgpr22
	s_branch .LBB72_1381
.LBB72_1373:
	s_mov_b32 s2, -1
                                        ; implicit-def: $sgpr0
                                        ; implicit-def: $vgpr22
	s_branch .LBB72_1378
.LBB72_1374:
	s_mov_b32 s2, -1
                                        ; implicit-def: $sgpr0
                                        ; implicit-def: $vgpr22
.LBB72_1375:
	s_delay_alu instid0(SALU_CYCLE_1)
	s_and_not1_b32 vcc_lo, exec_lo, s2
	s_cbranch_vccnz .LBB72_1377
; %bb.1376:
	global_load_b32 v5, v[0:1], off
	s_mov_b32 s0, 0
	s_waitcnt vmcnt(0)
	v_cvt_f32_i32_e32 v5, v5
	s_delay_alu instid0(VALU_DEP_1)
	v_cvt_f16_f32_e32 v22, v5
.LBB72_1377:
	s_mov_b32 s2, 0
.LBB72_1378:
	s_delay_alu instid0(SALU_CYCLE_1)
	s_and_not1_b32 vcc_lo, exec_lo, s2
	s_cbranch_vccnz .LBB72_1380
; %bb.1379:
	global_load_u16 v5, v[0:1], off
	s_mov_b32 s0, 0
	s_waitcnt vmcnt(0)
	v_cvt_f16_i16_e32 v22, v5
.LBB72_1380:
	s_mov_b32 s2, 0
.LBB72_1381:
	s_delay_alu instid0(SALU_CYCLE_1)
	s_and_not1_b32 vcc_lo, exec_lo, s2
	s_cbranch_vccnz .LBB72_1387
; %bb.1382:
	v_cmp_lt_i16_e32 vcc_lo, 0, v19
	s_mov_b32 s2, 0
	s_cbranch_vccz .LBB72_1384
; %bb.1383:
	global_load_i8 v5, v[0:1], off
	s_mov_b32 s0, 0
	s_waitcnt vmcnt(0)
	v_cvt_f16_i16_e32 v22, v5
	s_branch .LBB72_1385
.LBB72_1384:
	s_mov_b32 s2, -1
                                        ; implicit-def: $sgpr0
                                        ; implicit-def: $vgpr22
.LBB72_1385:
	s_delay_alu instid0(SALU_CYCLE_1)
	s_and_not1_b32 vcc_lo, exec_lo, s2
	s_cbranch_vccnz .LBB72_1387
; %bb.1386:
	global_load_u8 v0, v[0:1], off
	s_mov_b32 s0, 0
	s_waitcnt vmcnt(0)
	v_cvt_f16_u16_e32 v22, v0
.LBB72_1387:
	v_mov_b32_e32 v25, s0
.LBB72_1388:
	s_branch .LBB72_1463
.LBB72_1389:
	s_trap 2
	s_sendmsg_rtn_b32 s0, sendmsg(MSG_RTN_GET_DOORBELL)
	s_mov_b32 ttmp2, m0
	s_waitcnt lgkmcnt(0)
	s_and_b32 s0, s0, 0x3ff
	s_delay_alu instid0(SALU_CYCLE_1) | instskip(NEXT) | instid1(SALU_CYCLE_1)
	s_bitset1_b32 s0, 10
	s_mov_b32 m0, s0
	s_sendmsg sendmsg(MSG_INTERRUPT)
	s_mov_b32 m0, ttmp2
.LBB72_1390:                            ; =>This Inner Loop Header: Depth=1
	s_sethalt 5
	s_branch .LBB72_1390
.LBB72_1391:
	s_mov_b32 s0, -1
	s_mov_b32 s3, 0
.LBB72_1392:
                                        ; implicit-def: $vgpr25
                                        ; implicit-def: $vgpr22
.LBB72_1393:
	s_and_b32 vcc_lo, exec_lo, s4
	s_cbranch_vccz .LBB72_1398
; %bb.1394:
	v_cmp_eq_u16_e32 vcc_lo, 44, v19
	s_cbranch_vccz .LBB72_1396
; %bb.1395:
	global_load_u8 v5, v[0:1], off
	s_mov_b32 s0, 0
	s_mov_b32 s3, -1
	s_waitcnt vmcnt(0)
	v_lshlrev_b32_e32 v6, 23, v5
	v_cmp_ne_u32_e32 vcc_lo, 0xff, v5
	s_delay_alu instid0(VALU_DEP_2) | instskip(NEXT) | instid1(VALU_DEP_1)
	v_cvt_f16_f32_e32 v6, v6
	v_cndmask_b32_e32 v6, 0x7e00, v6, vcc_lo
	v_cmp_ne_u32_e32 vcc_lo, 0, v5
	s_delay_alu instid0(VALU_DEP_2)
	v_cndmask_b32_e32 v22, 0, v6, vcc_lo
	s_branch .LBB72_1397
.LBB72_1396:
	s_mov_b32 s0, -1
                                        ; implicit-def: $vgpr22
.LBB72_1397:
	s_delay_alu instid0(SALU_CYCLE_1)
	v_mov_b32_e32 v25, s0
.LBB72_1398:
	s_mov_b32 s4, 0
.LBB72_1399:
	s_delay_alu instid0(SALU_CYCLE_1)
	s_and_b32 vcc_lo, exec_lo, s4
	s_cbranch_vccz .LBB72_1404
; %bb.1400:
	v_cmp_eq_u16_e32 vcc_lo, 29, v19
	s_cbranch_vccz .LBB72_1402
; %bb.1401:
	global_load_b64 v[5:6], v[0:1], off
	s_mov_b32 s0, 0
	s_mov_b32 s3, -1
	s_mov_b32 s4, 0
	s_waitcnt vmcnt(0)
	v_clz_i32_u32_e32 v7, v6
	s_delay_alu instid0(VALU_DEP_1) | instskip(NEXT) | instid1(VALU_DEP_1)
	v_min_u32_e32 v7, 32, v7
	v_lshlrev_b64 v[5:6], v7, v[5:6]
	s_delay_alu instid0(VALU_DEP_1) | instskip(NEXT) | instid1(VALU_DEP_1)
	v_min_u32_e32 v5, 1, v5
	v_or_b32_e32 v5, v6, v5
	v_sub_nc_u32_e32 v6, 32, v7
	s_delay_alu instid0(VALU_DEP_2) | instskip(NEXT) | instid1(VALU_DEP_1)
	v_cvt_f32_u32_e32 v5, v5
	v_ldexp_f32 v5, v5, v6
	s_delay_alu instid0(VALU_DEP_1)
	v_cvt_f16_f32_e32 v22, v5
	s_branch .LBB72_1403
.LBB72_1402:
	s_mov_b32 s0, -1
                                        ; implicit-def: $sgpr4
                                        ; implicit-def: $vgpr22
.LBB72_1403:
	v_mov_b32_e32 v25, s4
.LBB72_1404:
	s_mov_b32 s4, 0
.LBB72_1405:
	s_delay_alu instid0(SALU_CYCLE_1)
	s_and_b32 vcc_lo, exec_lo, s4
	s_cbranch_vccz .LBB72_1425
; %bb.1406:
	v_cmp_gt_i16_e32 vcc_lo, 27, v19
	s_cbranch_vccnz .LBB72_1409
; %bb.1407:
	v_cmp_lt_i16_e32 vcc_lo, 27, v19
	s_cbranch_vccz .LBB72_1410
; %bb.1408:
	global_load_b32 v5, v[0:1], off
	s_mov_b32 s4, 0
	s_mov_b32 s3, 0
	s_waitcnt vmcnt(0)
	v_cvt_f32_u32_e32 v5, v5
	s_delay_alu instid0(VALU_DEP_1)
	v_cvt_f16_f32_e32 v22, v5
	s_branch .LBB72_1411
.LBB72_1409:
	s_mov_b32 s4, -1
                                        ; implicit-def: $sgpr3
                                        ; implicit-def: $vgpr22
	s_branch .LBB72_1414
.LBB72_1410:
	s_mov_b32 s4, -1
                                        ; implicit-def: $sgpr3
                                        ; implicit-def: $vgpr22
.LBB72_1411:
	s_delay_alu instid0(SALU_CYCLE_1)
	s_and_not1_b32 vcc_lo, exec_lo, s4
	s_cbranch_vccnz .LBB72_1413
; %bb.1412:
	global_load_u16 v5, v[0:1], off
	s_mov_b32 s3, 0
	s_waitcnt vmcnt(0)
	v_cvt_f16_u16_e32 v22, v5
.LBB72_1413:
	s_mov_b32 s4, 0
.LBB72_1414:
	v_mov_b32_e32 v25, s3
	s_and_not1_b32 vcc_lo, exec_lo, s4
	s_cbranch_vccnz .LBB72_1424
; %bb.1415:
	global_load_u8 v5, v[0:1], off
	s_mov_b32 s3, 0
	s_mov_b32 s6, exec_lo
                                        ; implicit-def: $sgpr5
                                        ; implicit-def: $sgpr4
	s_waitcnt vmcnt(0)
	v_cmpx_lt_i16_e32 0x7f, v5
	s_xor_b32 s6, exec_lo, s6
	s_cbranch_execz .LBB72_1419
; %bb.1416:
	s_mov_b32 s3, -1
	s_mov_b32 s7, exec_lo
                                        ; implicit-def: $sgpr5
                                        ; implicit-def: $sgpr4
	v_cmpx_eq_u16_e32 0x80, v5
; %bb.1417:
	s_movk_i32 s4, 0x7e00
	s_mov_b32 s5, 0
	s_xor_b32 s3, exec_lo, -1
; %bb.1418:
	s_or_b32 exec_lo, exec_lo, s7
	s_delay_alu instid0(SALU_CYCLE_1)
	s_and_b32 s3, s3, exec_lo
.LBB72_1419:
	s_or_saveexec_b32 s6, s6
	v_dual_mov_b32 v25, s5 :: v_dual_mov_b32 v22, s4
	s_xor_b32 exec_lo, exec_lo, s6
; %bb.1420:
	v_cmp_ne_u16_e32 vcc_lo, 0, v5
	v_dual_mov_b32 v25, 0 :: v_dual_mov_b32 v22, v5
	s_and_not1_b32 s3, s3, exec_lo
	s_and_b32 s4, vcc_lo, exec_lo
	s_delay_alu instid0(SALU_CYCLE_1)
	s_or_b32 s3, s3, s4
; %bb.1421:
	s_or_b32 exec_lo, exec_lo, s6
	s_and_saveexec_b32 s4, s3
	s_cbranch_execz .LBB72_1423
; %bb.1422:
	v_dual_mov_b32 v25, 0 :: v_dual_and_b32 v6, 0xffff, v5
	v_lshlrev_b32_e32 v5, 24, v5
	s_delay_alu instid0(VALU_DEP_2) | instskip(NEXT) | instid1(VALU_DEP_2)
	v_and_b32_e32 v7, 7, v6
	v_and_b32_e32 v5, 0x80000000, v5
	s_delay_alu instid0(VALU_DEP_2) | instskip(NEXT) | instid1(VALU_DEP_1)
	v_clz_i32_u32_e32 v8, v7
	v_min_u32_e32 v8, 32, v8
	s_delay_alu instid0(VALU_DEP_1) | instskip(SKIP_1) | instid1(VALU_DEP_2)
	v_subrev_nc_u32_e32 v9, 28, v8
	v_sub_nc_u32_e32 v8, 29, v8
	v_lshlrev_b32_e32 v9, v9, v6
	v_bfe_u32 v6, v6, 3, 4
	s_delay_alu instid0(VALU_DEP_2) | instskip(NEXT) | instid1(VALU_DEP_2)
	v_and_b32_e32 v9, 7, v9
	v_cmp_eq_u32_e32 vcc_lo, 0, v6
	s_delay_alu instid0(VALU_DEP_2) | instskip(NEXT) | instid1(VALU_DEP_1)
	v_dual_cndmask_b32 v6, v6, v8 :: v_dual_cndmask_b32 v7, v7, v9
	v_lshl_add_u32 v6, v6, 23, 0x3b800000
	s_delay_alu instid0(VALU_DEP_2) | instskip(NEXT) | instid1(VALU_DEP_1)
	v_lshlrev_b32_e32 v7, 20, v7
	v_or3_b32 v5, v5, v6, v7
	s_delay_alu instid0(VALU_DEP_1)
	v_cvt_f16_f32_e32 v22, v5
.LBB72_1423:
	s_or_b32 exec_lo, exec_lo, s4
.LBB72_1424:
	s_mov_b32 s3, -1
.LBB72_1425:
	s_mov_b32 s4, 0
.LBB72_1426:
	s_delay_alu instid0(SALU_CYCLE_1)
	s_and_b32 vcc_lo, exec_lo, s4
	s_cbranch_vccz .LBB72_1458
; %bb.1427:
	v_cmp_lt_i16_e32 vcc_lo, 22, v19
	s_cbranch_vccz .LBB72_1439
; %bb.1428:
	v_cmp_gt_i16_e32 vcc_lo, 24, v19
	s_cbranch_vccnz .LBB72_1440
; %bb.1429:
	v_cmp_lt_i16_e32 vcc_lo, 24, v19
	s_cbranch_vccz .LBB72_1441
; %bb.1430:
	global_load_u8 v5, v[0:1], off
	s_mov_b32 s5, exec_lo
                                        ; implicit-def: $sgpr4
                                        ; implicit-def: $sgpr3
	s_waitcnt vmcnt(0)
	v_cmpx_lt_i16_e32 0x7f, v5
	s_xor_b32 s5, exec_lo, s5
	s_cbranch_execz .LBB72_1434
; %bb.1431:
	s_mov_b32 s2, -1
	s_mov_b32 s6, exec_lo
                                        ; implicit-def: $sgpr4
                                        ; implicit-def: $sgpr3
	v_cmpx_eq_u16_e32 0x80, v5
; %bb.1432:
	s_movk_i32 s3, 0x7e00
	s_mov_b32 s4, 0
	s_xor_b32 s2, exec_lo, -1
; %bb.1433:
	s_or_b32 exec_lo, exec_lo, s6
	s_delay_alu instid0(SALU_CYCLE_1)
	s_and_b32 s2, s2, exec_lo
.LBB72_1434:
	s_or_saveexec_b32 s5, s5
	v_dual_mov_b32 v25, s4 :: v_dual_mov_b32 v22, s3
	s_xor_b32 exec_lo, exec_lo, s5
; %bb.1435:
	v_cmp_ne_u16_e32 vcc_lo, 0, v5
	v_dual_mov_b32 v25, 0 :: v_dual_mov_b32 v22, v5
	s_and_not1_b32 s2, s2, exec_lo
	s_and_b32 s3, vcc_lo, exec_lo
	s_delay_alu instid0(SALU_CYCLE_1)
	s_or_b32 s2, s2, s3
; %bb.1436:
	s_or_b32 exec_lo, exec_lo, s5
	s_and_saveexec_b32 s3, s2
	s_cbranch_execz .LBB72_1438
; %bb.1437:
	v_dual_mov_b32 v25, 0 :: v_dual_and_b32 v6, 0xffff, v5
	v_lshlrev_b32_e32 v5, 24, v5
	s_delay_alu instid0(VALU_DEP_2) | instskip(NEXT) | instid1(VALU_DEP_2)
	v_and_b32_e32 v7, 3, v6
	v_and_b32_e32 v5, 0x80000000, v5
	s_delay_alu instid0(VALU_DEP_2) | instskip(NEXT) | instid1(VALU_DEP_1)
	v_clz_i32_u32_e32 v8, v7
	v_min_u32_e32 v8, 32, v8
	s_delay_alu instid0(VALU_DEP_1) | instskip(SKIP_1) | instid1(VALU_DEP_2)
	v_subrev_nc_u32_e32 v9, 29, v8
	v_sub_nc_u32_e32 v8, 30, v8
	v_lshlrev_b32_e32 v9, v9, v6
	v_bfe_u32 v6, v6, 2, 5
	s_delay_alu instid0(VALU_DEP_2) | instskip(NEXT) | instid1(VALU_DEP_2)
	v_and_b32_e32 v9, 3, v9
	v_cmp_eq_u32_e32 vcc_lo, 0, v6
	s_delay_alu instid0(VALU_DEP_2) | instskip(NEXT) | instid1(VALU_DEP_1)
	v_dual_cndmask_b32 v6, v6, v8 :: v_dual_cndmask_b32 v7, v7, v9
	v_lshl_add_u32 v6, v6, 23, 0x37800000
	s_delay_alu instid0(VALU_DEP_2) | instskip(NEXT) | instid1(VALU_DEP_1)
	v_lshlrev_b32_e32 v7, 21, v7
	v_or3_b32 v5, v5, v6, v7
	s_delay_alu instid0(VALU_DEP_1)
	v_cvt_f16_f32_e32 v22, v5
.LBB72_1438:
	s_or_b32 exec_lo, exec_lo, s3
	s_mov_b32 s2, 0
	s_branch .LBB72_1442
.LBB72_1439:
	s_mov_b32 s2, -1
                                        ; implicit-def: $vgpr25
                                        ; implicit-def: $vgpr22
	s_branch .LBB72_1448
.LBB72_1440:
	s_mov_b32 s2, -1
                                        ; implicit-def: $vgpr25
                                        ; implicit-def: $vgpr22
	s_branch .LBB72_1445
.LBB72_1441:
	s_mov_b32 s2, -1
                                        ; implicit-def: $vgpr25
                                        ; implicit-def: $vgpr22
.LBB72_1442:
	s_delay_alu instid0(SALU_CYCLE_1)
	s_and_b32 vcc_lo, exec_lo, s2
	s_cbranch_vccz .LBB72_1444
; %bb.1443:
	global_load_u8 v5, v[0:1], off
	v_mov_b32_e32 v25, 0
	s_waitcnt vmcnt(0)
	v_lshlrev_b32_e32 v5, 24, v5
	s_delay_alu instid0(VALU_DEP_1) | instskip(NEXT) | instid1(VALU_DEP_1)
	v_and_b32_e32 v6, 0x7f000000, v5
	v_clz_i32_u32_e32 v7, v6
	v_add_nc_u32_e32 v9, 0x1000000, v6
	v_cmp_ne_u32_e32 vcc_lo, 0, v6
	s_delay_alu instid0(VALU_DEP_3) | instskip(NEXT) | instid1(VALU_DEP_1)
	v_min_u32_e32 v7, 32, v7
	v_sub_nc_u32_e64 v7, v7, 4 clamp
	s_delay_alu instid0(VALU_DEP_1) | instskip(SKIP_1) | instid1(VALU_DEP_2)
	v_lshlrev_b32_e32 v8, v7, v6
	v_lshlrev_b32_e32 v7, 23, v7
	v_lshrrev_b32_e32 v8, 4, v8
	s_delay_alu instid0(VALU_DEP_1) | instskip(SKIP_1) | instid1(VALU_DEP_2)
	v_sub_nc_u32_e32 v7, v8, v7
	v_ashrrev_i32_e32 v8, 8, v9
	v_add_nc_u32_e32 v7, 0x3c000000, v7
	s_delay_alu instid0(VALU_DEP_1) | instskip(NEXT) | instid1(VALU_DEP_1)
	v_and_or_b32 v7, 0x7f800000, v8, v7
	v_cndmask_b32_e32 v6, 0, v7, vcc_lo
	s_delay_alu instid0(VALU_DEP_1) | instskip(NEXT) | instid1(VALU_DEP_1)
	v_and_or_b32 v5, 0x80000000, v5, v6
	v_cvt_f16_f32_e32 v22, v5
.LBB72_1444:
	s_mov_b32 s2, 0
.LBB72_1445:
	s_delay_alu instid0(SALU_CYCLE_1)
	s_and_not1_b32 vcc_lo, exec_lo, s2
	s_cbranch_vccnz .LBB72_1447
; %bb.1446:
	global_load_u8 v5, v[0:1], off
	s_waitcnt vmcnt(0)
	v_dual_mov_b32 v25, 0 :: v_dual_lshlrev_b32 v6, 25, v5
	v_lshlrev_b16 v5, 8, v5
	s_delay_alu instid0(VALU_DEP_2) | instskip(NEXT) | instid1(VALU_DEP_2)
	v_lshrrev_b32_e32 v7, 4, v6
	v_and_or_b32 v8, 0x7f00, v5, 0.5
	v_bfe_i32 v5, v5, 0, 16
	s_delay_alu instid0(VALU_DEP_3) | instskip(NEXT) | instid1(VALU_DEP_1)
	v_or_b32_e32 v7, 0x70000000, v7
	v_dual_add_f32 v8, -0.5, v8 :: v_dual_mul_f32 v7, 0x7800000, v7
	v_cmp_gt_u32_e32 vcc_lo, 0x8000000, v6
	s_delay_alu instid0(VALU_DEP_2) | instskip(NEXT) | instid1(VALU_DEP_1)
	v_cndmask_b32_e32 v6, v7, v8, vcc_lo
	v_and_or_b32 v5, 0x80000000, v5, v6
	s_delay_alu instid0(VALU_DEP_1)
	v_cvt_f16_f32_e32 v22, v5
.LBB72_1447:
	s_mov_b32 s2, 0
	s_mov_b32 s3, -1
.LBB72_1448:
	s_and_not1_b32 vcc_lo, exec_lo, s2
	s_mov_b32 s2, 0
	s_cbranch_vccnz .LBB72_1458
; %bb.1449:
	v_cmp_lt_i16_e32 vcc_lo, 14, v19
	s_cbranch_vccz .LBB72_1452
; %bb.1450:
	v_cmp_eq_u16_e32 vcc_lo, 15, v19
	s_cbranch_vccz .LBB72_1453
; %bb.1451:
	global_load_u16 v5, v[0:1], off
	s_mov_b32 s0, 0
	s_mov_b32 s3, -1
	s_mov_b32 s4, 0
	s_waitcnt vmcnt(0)
	v_lshlrev_b32_e32 v5, 16, v5
	s_delay_alu instid0(VALU_DEP_1)
	v_cvt_f16_f32_e32 v22, v5
	s_branch .LBB72_1455
.LBB72_1452:
	s_mov_b32 s2, -1
	s_branch .LBB72_1454
.LBB72_1453:
	s_mov_b32 s0, -1
.LBB72_1454:
                                        ; implicit-def: $sgpr4
                                        ; implicit-def: $vgpr22
.LBB72_1455:
	s_and_b32 vcc_lo, exec_lo, s2
	s_mov_b32 s2, 0
	s_cbranch_vccz .LBB72_1457
; %bb.1456:
	v_cmp_ne_u16_e64 s0, 11, v19
	s_mov_b32 s2, -1
                                        ; implicit-def: $sgpr4
                                        ; implicit-def: $vgpr22
.LBB72_1457:
	v_mov_b32_e32 v25, s4
.LBB72_1458:
	s_delay_alu instid0(VALU_DEP_2)
	s_and_b32 vcc_lo, exec_lo, s0
	s_cbranch_vccnz .LBB72_1474
; %bb.1459:
	s_and_not1_b32 vcc_lo, exec_lo, s2
	s_cbranch_vccnz .LBB72_1461
.LBB72_1460:
	global_load_u8 v5, v[0:1], off
	v_mov_b32_e32 v25, 0
	s_mov_b32 s3, -1
	s_waitcnt vmcnt(0)
	v_cmp_ne_u16_e32 vcc_lo, 0, v5
	v_cndmask_b32_e64 v22, 0, 0x3c00, vcc_lo
.LBB72_1461:
.LBB72_1462:
	s_and_not1_b32 vcc_lo, exec_lo, s3
	s_cbranch_vccnz .LBB72_2035
.LBB72_1463:
	v_add_nc_u32_e32 v0, s1, v4
	v_cmp_gt_i16_e32 vcc_lo, 11, v19
	s_delay_alu instid0(VALU_DEP_2) | instskip(SKIP_1) | instid1(VALU_DEP_1)
	v_ashrrev_i32_e32 v1, 31, v0
	v_add_co_u32 v0, s0, s18, v0
	v_add_co_ci_u32_e64 v1, s0, s19, v1, s0
	s_cbranch_vccnz .LBB72_1470
; %bb.1464:
	v_cmp_lt_i16_e32 vcc_lo, 25, v19
	s_mov_b32 s1, 0
	s_cbranch_vccz .LBB72_1471
; %bb.1465:
	v_cmp_lt_i16_e32 vcc_lo, 28, v19
	s_cbranch_vccz .LBB72_1472
; %bb.1466:
	v_cmp_lt_i16_e32 vcc_lo, 43, v19
	;; [unrolled: 3-line block ×3, first 2 shown]
	s_cbranch_vccz .LBB72_1476
; %bb.1468:
	v_cmp_eq_u16_e32 vcc_lo, 46, v19
	s_mov_b32 s3, 0
	s_cbranch_vccz .LBB72_1479
; %bb.1469:
	global_load_b32 v4, v[0:1], off
	s_mov_b32 s0, 0
	s_mov_b32 s2, -1
	s_waitcnt vmcnt(0)
	v_lshlrev_b32_e32 v5, 16, v4
	v_and_b32_e32 v4, 0xffff0000, v4
	s_delay_alu instid0(VALU_DEP_2) | instskip(NEXT) | instid1(VALU_DEP_2)
	v_cvt_f16_f32_e32 v24, v5
	v_cvt_f16_f32_e32 v26, v4
	s_branch .LBB72_1481
.LBB72_1470:
	s_mov_b32 s0, -1
	s_mov_b32 s2, 0
                                        ; implicit-def: $vgpr26
                                        ; implicit-def: $vgpr24
	s_branch .LBB72_1550
.LBB72_1471:
	s_mov_b32 s3, -1
	s_mov_b32 s2, 0
	s_mov_b32 s0, 0
                                        ; implicit-def: $vgpr26
                                        ; implicit-def: $vgpr24
	s_branch .LBB72_1514
.LBB72_1472:
	s_mov_b32 s3, -1
	s_mov_b32 s2, 0
	s_mov_b32 s0, 0
                                        ; implicit-def: $vgpr26
                                        ; implicit-def: $vgpr24
	s_branch .LBB72_1493
.LBB72_1473:
	s_mov_b32 s3, -1
	s_mov_b32 s2, 0
	s_mov_b32 s0, 0
                                        ; implicit-def: $vgpr26
                                        ; implicit-def: $vgpr24
	s_branch .LBB72_1487
.LBB72_1474:
	s_cbranch_execnz .LBB72_1477
; %bb.1475:
	s_or_b32 s9, s9, exec_lo
                                        ; implicit-def: $vgpr25
                                        ; implicit-def: $vgpr22
	s_cbranch_execz .LBB72_1460
	s_branch .LBB72_1461
.LBB72_1476:
	s_mov_b32 s3, -1
	s_mov_b32 s2, 0
	s_mov_b32 s0, 0
	s_branch .LBB72_1480
.LBB72_1477:
	s_trap 2
	s_sendmsg_rtn_b32 s0, sendmsg(MSG_RTN_GET_DOORBELL)
	s_mov_b32 ttmp2, m0
	s_waitcnt lgkmcnt(0)
	s_and_b32 s0, s0, 0x3ff
	s_delay_alu instid0(SALU_CYCLE_1) | instskip(NEXT) | instid1(SALU_CYCLE_1)
	s_bitset1_b32 s0, 10
	s_mov_b32 m0, s0
	s_sendmsg sendmsg(MSG_INTERRUPT)
	s_mov_b32 m0, ttmp2
.LBB72_1478:                            ; =>This Inner Loop Header: Depth=1
	s_sethalt 5
	s_branch .LBB72_1478
.LBB72_1479:
	s_mov_b32 s0, -1
	s_mov_b32 s2, 0
.LBB72_1480:
                                        ; implicit-def: $vgpr26
                                        ; implicit-def: $vgpr24
.LBB72_1481:
	s_and_b32 vcc_lo, exec_lo, s3
	s_cbranch_vccz .LBB72_1486
; %bb.1482:
	v_cmp_eq_u16_e32 vcc_lo, 44, v19
	s_cbranch_vccz .LBB72_1484
; %bb.1483:
	global_load_u8 v4, v[0:1], off
	s_mov_b32 s0, 0
	s_mov_b32 s2, -1
	s_waitcnt vmcnt(0)
	v_lshlrev_b32_e32 v5, 23, v4
	v_cmp_ne_u32_e32 vcc_lo, 0xff, v4
	s_delay_alu instid0(VALU_DEP_2) | instskip(NEXT) | instid1(VALU_DEP_1)
	v_cvt_f16_f32_e32 v5, v5
	v_cndmask_b32_e32 v5, 0x7e00, v5, vcc_lo
	v_cmp_ne_u32_e32 vcc_lo, 0, v4
	s_delay_alu instid0(VALU_DEP_2)
	v_cndmask_b32_e32 v24, 0, v5, vcc_lo
	s_branch .LBB72_1485
.LBB72_1484:
	s_mov_b32 s0, -1
                                        ; implicit-def: $vgpr24
.LBB72_1485:
	s_delay_alu instid0(SALU_CYCLE_1)
	v_mov_b32_e32 v26, s0
.LBB72_1486:
	s_mov_b32 s3, 0
.LBB72_1487:
	s_delay_alu instid0(SALU_CYCLE_1)
	s_and_b32 vcc_lo, exec_lo, s3
	s_cbranch_vccz .LBB72_1492
; %bb.1488:
	v_cmp_eq_u16_e32 vcc_lo, 29, v19
	s_cbranch_vccz .LBB72_1490
; %bb.1489:
	global_load_b64 v[4:5], v[0:1], off
	s_mov_b32 s0, 0
	s_mov_b32 s2, -1
	s_mov_b32 s3, 0
	s_waitcnt vmcnt(0)
	v_clz_i32_u32_e32 v6, v5
	s_delay_alu instid0(VALU_DEP_1) | instskip(NEXT) | instid1(VALU_DEP_1)
	v_min_u32_e32 v6, 32, v6
	v_lshlrev_b64 v[4:5], v6, v[4:5]
	s_delay_alu instid0(VALU_DEP_1) | instskip(NEXT) | instid1(VALU_DEP_1)
	v_min_u32_e32 v4, 1, v4
	v_or_b32_e32 v4, v5, v4
	v_sub_nc_u32_e32 v5, 32, v6
	s_delay_alu instid0(VALU_DEP_2) | instskip(NEXT) | instid1(VALU_DEP_1)
	v_cvt_f32_u32_e32 v4, v4
	v_ldexp_f32 v4, v4, v5
	s_delay_alu instid0(VALU_DEP_1)
	v_cvt_f16_f32_e32 v24, v4
	s_branch .LBB72_1491
.LBB72_1490:
	s_mov_b32 s0, -1
                                        ; implicit-def: $sgpr3
                                        ; implicit-def: $vgpr24
.LBB72_1491:
	v_mov_b32_e32 v26, s3
.LBB72_1492:
	s_mov_b32 s3, 0
.LBB72_1493:
	s_delay_alu instid0(SALU_CYCLE_1)
	s_and_b32 vcc_lo, exec_lo, s3
	s_cbranch_vccz .LBB72_1513
; %bb.1494:
	v_cmp_gt_i16_e32 vcc_lo, 27, v19
	s_cbranch_vccnz .LBB72_1497
; %bb.1495:
	v_cmp_lt_i16_e32 vcc_lo, 27, v19
	s_cbranch_vccz .LBB72_1498
; %bb.1496:
	global_load_b32 v4, v[0:1], off
	s_mov_b32 s3, 0
	s_mov_b32 s2, 0
	s_waitcnt vmcnt(0)
	v_cvt_f32_u32_e32 v4, v4
	s_delay_alu instid0(VALU_DEP_1)
	v_cvt_f16_f32_e32 v24, v4
	s_branch .LBB72_1499
.LBB72_1497:
	s_mov_b32 s3, -1
                                        ; implicit-def: $sgpr2
                                        ; implicit-def: $vgpr24
	s_branch .LBB72_1502
.LBB72_1498:
	s_mov_b32 s3, -1
                                        ; implicit-def: $sgpr2
                                        ; implicit-def: $vgpr24
.LBB72_1499:
	s_delay_alu instid0(SALU_CYCLE_1)
	s_and_not1_b32 vcc_lo, exec_lo, s3
	s_cbranch_vccnz .LBB72_1501
; %bb.1500:
	global_load_u16 v4, v[0:1], off
	s_mov_b32 s2, 0
	s_waitcnt vmcnt(0)
	v_cvt_f16_u16_e32 v24, v4
.LBB72_1501:
	s_mov_b32 s3, 0
.LBB72_1502:
	v_mov_b32_e32 v26, s2
	s_and_not1_b32 vcc_lo, exec_lo, s3
	s_cbranch_vccnz .LBB72_1512
; %bb.1503:
	global_load_u8 v4, v[0:1], off
	s_mov_b32 s2, 0
	s_mov_b32 s5, exec_lo
                                        ; implicit-def: $sgpr4
                                        ; implicit-def: $sgpr3
	s_waitcnt vmcnt(0)
	v_cmpx_lt_i16_e32 0x7f, v4
	s_xor_b32 s5, exec_lo, s5
	s_cbranch_execz .LBB72_1507
; %bb.1504:
	s_mov_b32 s2, -1
	s_mov_b32 s6, exec_lo
                                        ; implicit-def: $sgpr4
                                        ; implicit-def: $sgpr3
	v_cmpx_eq_u16_e32 0x80, v4
; %bb.1505:
	s_movk_i32 s3, 0x7e00
	s_mov_b32 s4, 0
	s_xor_b32 s2, exec_lo, -1
; %bb.1506:
	s_or_b32 exec_lo, exec_lo, s6
	s_delay_alu instid0(SALU_CYCLE_1)
	s_and_b32 s2, s2, exec_lo
.LBB72_1507:
	s_or_saveexec_b32 s5, s5
	v_mov_b32_e32 v26, s4
	v_mov_b32_e32 v24, s3
	s_xor_b32 exec_lo, exec_lo, s5
; %bb.1508:
	v_cmp_ne_u16_e32 vcc_lo, 0, v4
	v_mov_b32_e32 v26, 0
	v_mov_b32_e32 v24, v4
	s_and_not1_b32 s2, s2, exec_lo
	s_and_b32 s3, vcc_lo, exec_lo
	s_delay_alu instid0(SALU_CYCLE_1)
	s_or_b32 s2, s2, s3
; %bb.1509:
	s_or_b32 exec_lo, exec_lo, s5
	s_and_saveexec_b32 s3, s2
	s_cbranch_execz .LBB72_1511
; %bb.1510:
	v_dual_mov_b32 v26, 0 :: v_dual_and_b32 v5, 0xffff, v4
	v_lshlrev_b32_e32 v4, 24, v4
	s_delay_alu instid0(VALU_DEP_2) | instskip(NEXT) | instid1(VALU_DEP_2)
	v_and_b32_e32 v6, 7, v5
	v_and_b32_e32 v4, 0x80000000, v4
	s_delay_alu instid0(VALU_DEP_2) | instskip(NEXT) | instid1(VALU_DEP_1)
	v_clz_i32_u32_e32 v7, v6
	v_min_u32_e32 v7, 32, v7
	s_delay_alu instid0(VALU_DEP_1) | instskip(SKIP_1) | instid1(VALU_DEP_2)
	v_subrev_nc_u32_e32 v8, 28, v7
	v_sub_nc_u32_e32 v7, 29, v7
	v_lshlrev_b32_e32 v8, v8, v5
	v_bfe_u32 v5, v5, 3, 4
	s_delay_alu instid0(VALU_DEP_2) | instskip(NEXT) | instid1(VALU_DEP_2)
	v_and_b32_e32 v8, 7, v8
	v_cmp_eq_u32_e32 vcc_lo, 0, v5
	s_delay_alu instid0(VALU_DEP_2) | instskip(NEXT) | instid1(VALU_DEP_1)
	v_dual_cndmask_b32 v5, v5, v7 :: v_dual_cndmask_b32 v6, v6, v8
	v_lshl_add_u32 v5, v5, 23, 0x3b800000
	s_delay_alu instid0(VALU_DEP_2) | instskip(NEXT) | instid1(VALU_DEP_1)
	v_lshlrev_b32_e32 v6, 20, v6
	v_or3_b32 v4, v4, v5, v6
	s_delay_alu instid0(VALU_DEP_1)
	v_cvt_f16_f32_e32 v24, v4
.LBB72_1511:
	s_or_b32 exec_lo, exec_lo, s3
.LBB72_1512:
	s_mov_b32 s2, -1
.LBB72_1513:
	s_mov_b32 s3, 0
.LBB72_1514:
	s_delay_alu instid0(SALU_CYCLE_1)
	s_and_b32 vcc_lo, exec_lo, s3
	s_cbranch_vccz .LBB72_1546
; %bb.1515:
	v_cmp_lt_i16_e32 vcc_lo, 22, v19
	s_cbranch_vccz .LBB72_1527
; %bb.1516:
	v_cmp_gt_i16_e32 vcc_lo, 24, v19
	s_cbranch_vccnz .LBB72_1528
; %bb.1517:
	v_cmp_lt_i16_e32 vcc_lo, 24, v19
	s_cbranch_vccz .LBB72_1529
; %bb.1518:
	global_load_u8 v4, v[0:1], off
	s_mov_b32 s4, exec_lo
                                        ; implicit-def: $sgpr3
                                        ; implicit-def: $sgpr2
	s_waitcnt vmcnt(0)
	v_cmpx_lt_i16_e32 0x7f, v4
	s_xor_b32 s4, exec_lo, s4
	s_cbranch_execz .LBB72_1522
; %bb.1519:
	s_mov_b32 s1, -1
	s_mov_b32 s5, exec_lo
                                        ; implicit-def: $sgpr3
                                        ; implicit-def: $sgpr2
	v_cmpx_eq_u16_e32 0x80, v4
; %bb.1520:
	s_movk_i32 s2, 0x7e00
	s_mov_b32 s3, 0
	s_xor_b32 s1, exec_lo, -1
; %bb.1521:
	s_or_b32 exec_lo, exec_lo, s5
	s_delay_alu instid0(SALU_CYCLE_1)
	s_and_b32 s1, s1, exec_lo
.LBB72_1522:
	s_or_saveexec_b32 s4, s4
	v_mov_b32_e32 v26, s3
	v_mov_b32_e32 v24, s2
	s_xor_b32 exec_lo, exec_lo, s4
; %bb.1523:
	v_cmp_ne_u16_e32 vcc_lo, 0, v4
	v_mov_b32_e32 v26, 0
	v_mov_b32_e32 v24, v4
	s_and_not1_b32 s1, s1, exec_lo
	s_and_b32 s2, vcc_lo, exec_lo
	s_delay_alu instid0(SALU_CYCLE_1)
	s_or_b32 s1, s1, s2
; %bb.1524:
	s_or_b32 exec_lo, exec_lo, s4
	s_and_saveexec_b32 s2, s1
	s_cbranch_execz .LBB72_1526
; %bb.1525:
	v_dual_mov_b32 v26, 0 :: v_dual_and_b32 v5, 0xffff, v4
	v_lshlrev_b32_e32 v4, 24, v4
	s_delay_alu instid0(VALU_DEP_2) | instskip(NEXT) | instid1(VALU_DEP_2)
	v_and_b32_e32 v6, 3, v5
	v_and_b32_e32 v4, 0x80000000, v4
	s_delay_alu instid0(VALU_DEP_2) | instskip(NEXT) | instid1(VALU_DEP_1)
	v_clz_i32_u32_e32 v7, v6
	v_min_u32_e32 v7, 32, v7
	s_delay_alu instid0(VALU_DEP_1) | instskip(SKIP_1) | instid1(VALU_DEP_2)
	v_subrev_nc_u32_e32 v8, 29, v7
	v_sub_nc_u32_e32 v7, 30, v7
	v_lshlrev_b32_e32 v8, v8, v5
	v_bfe_u32 v5, v5, 2, 5
	s_delay_alu instid0(VALU_DEP_2) | instskip(NEXT) | instid1(VALU_DEP_2)
	v_and_b32_e32 v8, 3, v8
	v_cmp_eq_u32_e32 vcc_lo, 0, v5
	s_delay_alu instid0(VALU_DEP_2) | instskip(NEXT) | instid1(VALU_DEP_1)
	v_dual_cndmask_b32 v5, v5, v7 :: v_dual_cndmask_b32 v6, v6, v8
	v_lshl_add_u32 v5, v5, 23, 0x37800000
	s_delay_alu instid0(VALU_DEP_2) | instskip(NEXT) | instid1(VALU_DEP_1)
	v_lshlrev_b32_e32 v6, 21, v6
	v_or3_b32 v4, v4, v5, v6
	s_delay_alu instid0(VALU_DEP_1)
	v_cvt_f16_f32_e32 v24, v4
.LBB72_1526:
	s_or_b32 exec_lo, exec_lo, s2
	s_mov_b32 s1, 0
	s_branch .LBB72_1530
.LBB72_1527:
	s_mov_b32 s1, -1
                                        ; implicit-def: $vgpr26
                                        ; implicit-def: $vgpr24
	s_branch .LBB72_1536
.LBB72_1528:
	s_mov_b32 s1, -1
                                        ; implicit-def: $vgpr26
                                        ; implicit-def: $vgpr24
	s_branch .LBB72_1533
.LBB72_1529:
	s_mov_b32 s1, -1
                                        ; implicit-def: $vgpr26
                                        ; implicit-def: $vgpr24
.LBB72_1530:
	s_delay_alu instid0(SALU_CYCLE_1)
	s_and_b32 vcc_lo, exec_lo, s1
	s_cbranch_vccz .LBB72_1532
; %bb.1531:
	global_load_u8 v4, v[0:1], off
	v_mov_b32_e32 v26, 0
	s_waitcnt vmcnt(0)
	v_lshlrev_b32_e32 v4, 24, v4
	s_delay_alu instid0(VALU_DEP_1) | instskip(NEXT) | instid1(VALU_DEP_1)
	v_and_b32_e32 v5, 0x7f000000, v4
	v_clz_i32_u32_e32 v6, v5
	v_add_nc_u32_e32 v8, 0x1000000, v5
	v_cmp_ne_u32_e32 vcc_lo, 0, v5
	s_delay_alu instid0(VALU_DEP_3) | instskip(NEXT) | instid1(VALU_DEP_1)
	v_min_u32_e32 v6, 32, v6
	v_sub_nc_u32_e64 v6, v6, 4 clamp
	s_delay_alu instid0(VALU_DEP_1) | instskip(SKIP_1) | instid1(VALU_DEP_2)
	v_lshlrev_b32_e32 v7, v6, v5
	v_lshlrev_b32_e32 v6, 23, v6
	v_lshrrev_b32_e32 v7, 4, v7
	s_delay_alu instid0(VALU_DEP_1) | instskip(SKIP_1) | instid1(VALU_DEP_2)
	v_sub_nc_u32_e32 v6, v7, v6
	v_ashrrev_i32_e32 v7, 8, v8
	v_add_nc_u32_e32 v6, 0x3c000000, v6
	s_delay_alu instid0(VALU_DEP_1) | instskip(NEXT) | instid1(VALU_DEP_1)
	v_and_or_b32 v6, 0x7f800000, v7, v6
	v_cndmask_b32_e32 v5, 0, v6, vcc_lo
	s_delay_alu instid0(VALU_DEP_1) | instskip(NEXT) | instid1(VALU_DEP_1)
	v_and_or_b32 v4, 0x80000000, v4, v5
	v_cvt_f16_f32_e32 v24, v4
.LBB72_1532:
	s_mov_b32 s1, 0
.LBB72_1533:
	s_delay_alu instid0(SALU_CYCLE_1)
	s_and_not1_b32 vcc_lo, exec_lo, s1
	s_cbranch_vccnz .LBB72_1535
; %bb.1534:
	global_load_u8 v4, v[0:1], off
	s_waitcnt vmcnt(0)
	v_dual_mov_b32 v26, 0 :: v_dual_lshlrev_b32 v5, 25, v4
	v_lshlrev_b16 v4, 8, v4
	s_delay_alu instid0(VALU_DEP_2) | instskip(NEXT) | instid1(VALU_DEP_2)
	v_lshrrev_b32_e32 v6, 4, v5
	v_and_or_b32 v7, 0x7f00, v4, 0.5
	v_bfe_i32 v4, v4, 0, 16
	s_delay_alu instid0(VALU_DEP_3) | instskip(NEXT) | instid1(VALU_DEP_1)
	v_or_b32_e32 v6, 0x70000000, v6
	v_dual_add_f32 v7, -0.5, v7 :: v_dual_mul_f32 v6, 0x7800000, v6
	v_cmp_gt_u32_e32 vcc_lo, 0x8000000, v5
	s_delay_alu instid0(VALU_DEP_2) | instskip(NEXT) | instid1(VALU_DEP_1)
	v_cndmask_b32_e32 v5, v6, v7, vcc_lo
	v_and_or_b32 v4, 0x80000000, v4, v5
	s_delay_alu instid0(VALU_DEP_1)
	v_cvt_f16_f32_e32 v24, v4
.LBB72_1535:
	s_mov_b32 s1, 0
	s_mov_b32 s2, -1
.LBB72_1536:
	s_and_not1_b32 vcc_lo, exec_lo, s1
	s_mov_b32 s1, 0
	s_cbranch_vccnz .LBB72_1546
; %bb.1537:
	v_cmp_lt_i16_e32 vcc_lo, 14, v19
	s_cbranch_vccz .LBB72_1540
; %bb.1538:
	v_cmp_eq_u16_e32 vcc_lo, 15, v19
	s_cbranch_vccz .LBB72_1541
; %bb.1539:
	global_load_u16 v4, v[0:1], off
	s_mov_b32 s0, 0
	s_mov_b32 s2, -1
	s_mov_b32 s3, 0
	s_waitcnt vmcnt(0)
	v_lshlrev_b32_e32 v4, 16, v4
	s_delay_alu instid0(VALU_DEP_1)
	v_cvt_f16_f32_e32 v24, v4
	s_branch .LBB72_1543
.LBB72_1540:
	s_mov_b32 s1, -1
	s_branch .LBB72_1542
.LBB72_1541:
	s_mov_b32 s0, -1
.LBB72_1542:
                                        ; implicit-def: $sgpr3
                                        ; implicit-def: $vgpr24
.LBB72_1543:
	s_and_b32 vcc_lo, exec_lo, s1
	s_mov_b32 s1, 0
	s_cbranch_vccz .LBB72_1545
; %bb.1544:
	v_cmp_ne_u16_e64 s0, 11, v19
	s_mov_b32 s1, -1
                                        ; implicit-def: $sgpr3
                                        ; implicit-def: $vgpr24
.LBB72_1545:
	v_mov_b32_e32 v26, s3
.LBB72_1546:
	s_delay_alu instid0(VALU_DEP_2)
	s_and_b32 vcc_lo, exec_lo, s0
	s_cbranch_vccnz .LBB72_2082
; %bb.1547:
	s_and_not1_b32 vcc_lo, exec_lo, s1
	s_cbranch_vccnz .LBB72_1549
.LBB72_1548:
	global_load_u8 v4, v[0:1], off
	v_mov_b32_e32 v26, 0
	s_mov_b32 s2, -1
	s_waitcnt vmcnt(0)
	v_cmp_ne_u16_e32 vcc_lo, 0, v4
	v_cndmask_b32_e64 v24, 0, 0x3c00, vcc_lo
.LBB72_1549:
	s_mov_b32 s0, 0
.LBB72_1550:
	s_delay_alu instid0(SALU_CYCLE_1)
	s_and_b32 vcc_lo, exec_lo, s0
	s_cbranch_vccz .LBB72_1601
; %bb.1551:
	v_cmp_gt_i16_e32 vcc_lo, 5, v19
	s_cbranch_vccnz .LBB72_1556
; %bb.1552:
	v_cmp_gt_i16_e32 vcc_lo, 8, v19
	s_cbranch_vccnz .LBB72_1557
	;; [unrolled: 3-line block ×3, first 2 shown]
; %bb.1554:
	v_cmp_lt_i16_e32 vcc_lo, 9, v19
	s_cbranch_vccz .LBB72_1559
; %bb.1555:
	global_load_b128 v[4:7], v[0:1], off
	s_mov_b32 s0, 0
	s_waitcnt vmcnt(0)
	v_cvt_f32_f64_e32 v4, v[4:5]
	v_cvt_f32_f64_e32 v5, v[6:7]
	s_delay_alu instid0(VALU_DEP_2) | instskip(NEXT) | instid1(VALU_DEP_2)
	v_cvt_f16_f32_e32 v24, v4
	v_cvt_f16_f32_e32 v26, v5
	s_branch .LBB72_1560
.LBB72_1556:
	s_mov_b32 s0, -1
                                        ; implicit-def: $vgpr26
                                        ; implicit-def: $vgpr24
	s_branch .LBB72_1579
.LBB72_1557:
	s_mov_b32 s0, -1
                                        ; implicit-def: $vgpr26
                                        ; implicit-def: $vgpr24
	s_branch .LBB72_1566
.LBB72_1558:
	s_mov_b32 s0, -1
                                        ; implicit-def: $vgpr26
                                        ; implicit-def: $vgpr24
	s_branch .LBB72_1563
.LBB72_1559:
	s_mov_b32 s0, -1
                                        ; implicit-def: $vgpr26
                                        ; implicit-def: $vgpr24
.LBB72_1560:
	s_delay_alu instid0(SALU_CYCLE_1)
	s_and_not1_b32 vcc_lo, exec_lo, s0
	s_cbranch_vccnz .LBB72_1562
; %bb.1561:
	global_load_b64 v[4:5], v[0:1], off
	s_waitcnt vmcnt(0)
	v_cvt_f16_f32_e32 v24, v4
	v_cvt_f16_f32_e32 v26, v5
.LBB72_1562:
	s_mov_b32 s0, 0
.LBB72_1563:
	s_delay_alu instid0(SALU_CYCLE_1)
	s_and_not1_b32 vcc_lo, exec_lo, s0
	s_cbranch_vccnz .LBB72_1565
; %bb.1564:
	global_load_b32 v24, v[0:1], off
	s_waitcnt vmcnt(0)
	v_lshrrev_b32_e32 v26, 16, v24
.LBB72_1565:
	s_mov_b32 s0, 0
.LBB72_1566:
	s_delay_alu instid0(SALU_CYCLE_1)
	s_and_not1_b32 vcc_lo, exec_lo, s0
	s_cbranch_vccnz .LBB72_1578
; %bb.1567:
	v_cmp_gt_i16_e32 vcc_lo, 6, v19
	s_cbranch_vccnz .LBB72_1570
; %bb.1568:
	v_cmp_lt_i16_e32 vcc_lo, 6, v19
	s_cbranch_vccz .LBB72_1571
; %bb.1569:
	global_load_b64 v[4:5], v[0:1], off
	s_mov_b32 s1, 0
	s_mov_b32 s0, 0
	s_waitcnt vmcnt(0)
	v_cvt_f32_f64_e32 v4, v[4:5]
	s_delay_alu instid0(VALU_DEP_1)
	v_cvt_f16_f32_e32 v24, v4
	s_branch .LBB72_1572
.LBB72_1570:
	s_mov_b32 s1, -1
                                        ; implicit-def: $sgpr0
                                        ; implicit-def: $vgpr24
	s_branch .LBB72_1575
.LBB72_1571:
	s_mov_b32 s1, -1
                                        ; implicit-def: $sgpr0
                                        ; implicit-def: $vgpr24
.LBB72_1572:
	s_delay_alu instid0(SALU_CYCLE_1)
	s_and_not1_b32 vcc_lo, exec_lo, s1
	s_cbranch_vccnz .LBB72_1574
; %bb.1573:
	global_load_b32 v4, v[0:1], off
	s_mov_b32 s0, 0
	s_waitcnt vmcnt(0)
	v_cvt_f16_f32_e32 v24, v4
.LBB72_1574:
	s_mov_b32 s1, 0
.LBB72_1575:
	s_delay_alu instid0(SALU_CYCLE_1)
	s_and_not1_b32 vcc_lo, exec_lo, s1
	s_cbranch_vccnz .LBB72_1577
; %bb.1576:
	global_load_u16 v24, v[0:1], off
	s_mov_b32 s0, 0
.LBB72_1577:
	s_delay_alu instid0(SALU_CYCLE_1)
	v_mov_b32_e32 v26, s0
.LBB72_1578:
	s_mov_b32 s0, 0
.LBB72_1579:
	s_delay_alu instid0(SALU_CYCLE_1)
	s_and_not1_b32 vcc_lo, exec_lo, s0
	s_cbranch_vccnz .LBB72_1600
; %bb.1580:
	v_cmp_gt_i16_e32 vcc_lo, 2, v19
	s_cbranch_vccnz .LBB72_1584
; %bb.1581:
	v_cmp_gt_i16_e32 vcc_lo, 3, v19
	s_cbranch_vccnz .LBB72_1585
; %bb.1582:
	v_cmp_lt_i16_e32 vcc_lo, 3, v19
	s_cbranch_vccz .LBB72_1586
; %bb.1583:
	global_load_b64 v[4:5], v[0:1], off
	s_mov_b32 s1, 0
	s_mov_b32 s0, 0
	s_waitcnt vmcnt(0)
	v_xor_b32_e32 v6, v4, v5
	v_cls_i32_e32 v7, v5
	s_delay_alu instid0(VALU_DEP_2) | instskip(NEXT) | instid1(VALU_DEP_2)
	v_ashrrev_i32_e32 v6, 31, v6
	v_add_nc_u32_e32 v7, -1, v7
	s_delay_alu instid0(VALU_DEP_2) | instskip(NEXT) | instid1(VALU_DEP_1)
	v_add_nc_u32_e32 v6, 32, v6
	v_min_u32_e32 v6, v7, v6
	s_delay_alu instid0(VALU_DEP_1) | instskip(NEXT) | instid1(VALU_DEP_1)
	v_lshlrev_b64 v[4:5], v6, v[4:5]
	v_min_u32_e32 v4, 1, v4
	s_delay_alu instid0(VALU_DEP_1) | instskip(SKIP_1) | instid1(VALU_DEP_2)
	v_or_b32_e32 v4, v5, v4
	v_sub_nc_u32_e32 v5, 32, v6
	v_cvt_f32_i32_e32 v4, v4
	s_delay_alu instid0(VALU_DEP_1) | instskip(NEXT) | instid1(VALU_DEP_1)
	v_ldexp_f32 v4, v4, v5
	v_cvt_f16_f32_e32 v24, v4
	s_branch .LBB72_1587
.LBB72_1584:
	s_mov_b32 s1, -1
                                        ; implicit-def: $sgpr0
                                        ; implicit-def: $vgpr24
	s_branch .LBB72_1593
.LBB72_1585:
	s_mov_b32 s1, -1
                                        ; implicit-def: $sgpr0
                                        ; implicit-def: $vgpr24
	s_branch .LBB72_1590
.LBB72_1586:
	s_mov_b32 s1, -1
                                        ; implicit-def: $sgpr0
                                        ; implicit-def: $vgpr24
.LBB72_1587:
	s_delay_alu instid0(SALU_CYCLE_1)
	s_and_not1_b32 vcc_lo, exec_lo, s1
	s_cbranch_vccnz .LBB72_1589
; %bb.1588:
	global_load_b32 v4, v[0:1], off
	s_mov_b32 s0, 0
	s_waitcnt vmcnt(0)
	v_cvt_f32_i32_e32 v4, v4
	s_delay_alu instid0(VALU_DEP_1)
	v_cvt_f16_f32_e32 v24, v4
.LBB72_1589:
	s_mov_b32 s1, 0
.LBB72_1590:
	s_delay_alu instid0(SALU_CYCLE_1)
	s_and_not1_b32 vcc_lo, exec_lo, s1
	s_cbranch_vccnz .LBB72_1592
; %bb.1591:
	global_load_u16 v4, v[0:1], off
	s_mov_b32 s0, 0
	s_waitcnt vmcnt(0)
	v_cvt_f16_i16_e32 v24, v4
.LBB72_1592:
	s_mov_b32 s1, 0
.LBB72_1593:
	s_delay_alu instid0(SALU_CYCLE_1)
	s_and_not1_b32 vcc_lo, exec_lo, s1
	s_cbranch_vccnz .LBB72_1599
; %bb.1594:
	v_cmp_lt_i16_e32 vcc_lo, 0, v19
	s_mov_b32 s1, 0
	s_cbranch_vccz .LBB72_1596
; %bb.1595:
	global_load_i8 v4, v[0:1], off
	s_mov_b32 s0, 0
	s_waitcnt vmcnt(0)
	v_cvt_f16_i16_e32 v24, v4
	s_branch .LBB72_1597
.LBB72_1596:
	s_mov_b32 s1, -1
                                        ; implicit-def: $sgpr0
                                        ; implicit-def: $vgpr24
.LBB72_1597:
	s_delay_alu instid0(SALU_CYCLE_1)
	s_and_not1_b32 vcc_lo, exec_lo, s1
	s_cbranch_vccnz .LBB72_1599
; %bb.1598:
	global_load_u8 v0, v[0:1], off
	s_mov_b32 s0, 0
	s_waitcnt vmcnt(0)
	v_cvt_f16_u16_e32 v24, v0
.LBB72_1599:
	v_mov_b32_e32 v26, s0
.LBB72_1600:
	s_mov_b32 s2, -1
.LBB72_1601:
	s_delay_alu instid0(SALU_CYCLE_1)
	s_and_not1_b32 vcc_lo, exec_lo, s2
	s_cbranch_vccnz .LBB72_2035
; %bb.1602:
	s_waitcnt vmcnt(0)
	v_cvt_f32_f16_e32 v0, v2
	v_cvt_f32_f16_e32 v1, v3
	s_getpc_b64 s[0:1]
	s_add_u32 s0, s0, _ZN16c10_complex_math3expIfEEN3c107complexIT_EERKS4_@rel32@lo+4
	s_addc_u32 s1, s1, _ZN16c10_complex_math3expIfEEN3c107complexIT_EERKS4_@rel32@hi+12
	s_delay_alu instid0(SALU_CYCLE_1) | instskip(SKIP_4) | instid1(VALU_DEP_3)
	s_swappc_b64 s[30:31], s[0:1]
	v_mul_lo_u32 v18, s10, v18
	v_cvt_f16_f32_e32 v4, v1
	v_cvt_f16_f32_e32 v2, v0
	v_and_b32_e32 v21, 0xff, v17
	v_lshlrev_b32_e32 v3, 16, v4
	s_delay_alu instid0(VALU_DEP_3) | instskip(SKIP_1) | instid1(VALU_DEP_4)
	v_and_b32_e32 v5, 0xffff, v2
	v_ashrrev_i32_e32 v1, 31, v18
	v_cmp_gt_i16_e32 vcc_lo, 11, v21
	v_add_co_u32 v0, s0, s16, v18
	s_delay_alu instid0(VALU_DEP_4) | instskip(NEXT) | instid1(VALU_DEP_4)
	v_or_b32_e32 v3, v3, v5
	v_add_co_ci_u32_e64 v1, s0, s17, v1, s0
	s_cbranch_vccnz .LBB72_1680
; %bb.1603:
	v_cmp_lt_i16_e32 vcc_lo, 25, v21
	s_mov_b32 s3, -1
	s_mov_b32 s1, 0
	s_mov_b32 s2, 0
	;; [unrolled: 1-line block ×3, first 2 shown]
	s_cbranch_vccz .LBB72_1636
; %bb.1604:
	v_cmp_lt_i16_e32 vcc_lo, 28, v21
	s_cbranch_vccz .LBB72_1619
; %bb.1605:
	v_cmp_lt_i16_e32 vcc_lo, 43, v21
	;; [unrolled: 3-line block ×3, first 2 shown]
	s_cbranch_vccz .LBB72_1609
; %bb.1607:
	v_cmp_eq_u16_e32 vcc_lo, 46, v21
	s_mov_b32 s0, -1
	s_mov_b32 s3, 0
	s_cbranch_vccz .LBB72_1609
; %bb.1608:
	v_cvt_f32_f16_e32 v5, v4
	v_cvt_f32_f16_e32 v6, v2
	v_cmp_o_f16_e32 vcc_lo, v4, v4
	s_mov_b32 s0, 0
	s_mov_b32 s2, -1
	v_bfe_u32 v7, v5, 16, 1
	v_bfe_u32 v8, v6, 16, 1
	s_delay_alu instid0(VALU_DEP_2) | instskip(NEXT) | instid1(VALU_DEP_2)
	v_add3_u32 v5, v5, v7, 0x7fff
	v_add3_u32 v6, v6, v8, 0x7fff
	s_delay_alu instid0(VALU_DEP_2) | instskip(NEXT) | instid1(VALU_DEP_2)
	v_and_b32_e32 v5, 0xffff0000, v5
	v_lshrrev_b32_e32 v6, 16, v6
	s_delay_alu instid0(VALU_DEP_2) | instskip(SKIP_1) | instid1(VALU_DEP_3)
	v_cndmask_b32_e32 v5, 0x7fc00000, v5, vcc_lo
	v_cmp_o_f16_e32 vcc_lo, v2, v2
	v_cndmask_b32_e32 v6, 0x7fc0, v6, vcc_lo
	s_delay_alu instid0(VALU_DEP_1)
	v_or_b32_e32 v5, v5, v6
	global_store_b32 v[0:1], v5, off
.LBB72_1609:
	s_and_b32 vcc_lo, exec_lo, s3
	s_cbranch_vccz .LBB72_1614
; %bb.1610:
	v_cmp_eq_u16_e32 vcc_lo, 44, v21
	s_mov_b32 s0, -1
	s_cbranch_vccz .LBB72_1614
; %bb.1611:
	v_cvt_f32_f16_e32 v5, v2
	v_mov_b32_e32 v6, 0xff
	s_mov_b32 s2, exec_lo
	s_delay_alu instid0(VALU_DEP_2) | instskip(NEXT) | instid1(VALU_DEP_1)
	v_bfe_u32 v7, v5, 23, 8
	v_cmpx_ne_u32_e32 0xff, v7
; %bb.1612:
	v_and_b32_e32 v6, 0x400000, v5
	v_and_or_b32 v7, 0x3fffff, v5, v7
	v_lshrrev_b32_e32 v5, 23, v5
	s_delay_alu instid0(VALU_DEP_3) | instskip(NEXT) | instid1(VALU_DEP_3)
	v_cmp_ne_u32_e32 vcc_lo, 0, v6
	v_cmp_ne_u32_e64 s0, 0, v7
	s_delay_alu instid0(VALU_DEP_1) | instskip(NEXT) | instid1(SALU_CYCLE_1)
	s_and_b32 s0, vcc_lo, s0
	v_cndmask_b32_e64 v6, 0, 1, s0
	s_delay_alu instid0(VALU_DEP_1)
	v_add_nc_u32_e32 v6, v5, v6
; %bb.1613:
	s_or_b32 exec_lo, exec_lo, s2
	s_mov_b32 s0, 0
	s_mov_b32 s2, -1
	global_store_b8 v[0:1], v6, off
.LBB72_1614:
	s_mov_b32 s3, 0
.LBB72_1615:
	s_delay_alu instid0(SALU_CYCLE_1)
	s_and_b32 vcc_lo, exec_lo, s3
	s_cbranch_vccz .LBB72_1618
; %bb.1616:
	v_cmp_eq_u16_e32 vcc_lo, 29, v21
	s_mov_b32 s0, -1
	s_cbranch_vccz .LBB72_1618
; %bb.1617:
	v_cvt_f32_f16_e32 v5, v2
	v_mov_b32_e32 v6, 0
	s_mov_b32 s0, 0
	s_mov_b32 s2, -1
	s_delay_alu instid0(VALU_DEP_2)
	v_cvt_u32_f32_e32 v5, v5
	global_store_b64 v[0:1], v[5:6], off
.LBB72_1618:
	s_mov_b32 s3, 0
.LBB72_1619:
	s_delay_alu instid0(SALU_CYCLE_1)
	s_and_b32 vcc_lo, exec_lo, s3
	s_cbranch_vccz .LBB72_1635
; %bb.1620:
	v_cmp_gt_i16_e32 vcc_lo, 27, v21
	s_mov_b32 s2, -1
	s_cbranch_vccnz .LBB72_1626
; %bb.1621:
	v_cmp_lt_i16_e32 vcc_lo, 27, v21
	s_cbranch_vccz .LBB72_1623
; %bb.1622:
	v_cvt_f32_f16_e32 v5, v2
	s_mov_b32 s2, 0
	s_delay_alu instid0(VALU_DEP_1)
	v_cvt_u32_f32_e32 v5, v5
	global_store_b32 v[0:1], v5, off
.LBB72_1623:
	s_and_not1_b32 vcc_lo, exec_lo, s2
	s_cbranch_vccnz .LBB72_1625
; %bb.1624:
	v_cvt_u16_f16_e32 v5, v2
	global_store_b16 v[0:1], v5, off
.LBB72_1625:
	s_mov_b32 s2, 0
.LBB72_1626:
	s_delay_alu instid0(SALU_CYCLE_1)
	s_and_not1_b32 vcc_lo, exec_lo, s2
	s_cbranch_vccnz .LBB72_1634
; %bb.1627:
	v_cvt_f32_f16_e32 v5, v2
	v_mov_b32_e32 v7, 0x80
	s_mov_b32 s2, exec_lo
	s_delay_alu instid0(VALU_DEP_2) | instskip(NEXT) | instid1(VALU_DEP_1)
	v_and_b32_e32 v6, 0x7fffffff, v5
	v_cmpx_gt_u32_e32 0x43800000, v6
	s_cbranch_execz .LBB72_1633
; %bb.1628:
	v_cmp_lt_u32_e32 vcc_lo, 0x3bffffff, v6
	s_mov_b32 s3, 0
                                        ; implicit-def: $vgpr6
	s_and_saveexec_b32 s4, vcc_lo
	s_delay_alu instid0(SALU_CYCLE_1)
	s_xor_b32 s4, exec_lo, s4
	s_cbranch_execz .LBB72_2084
; %bb.1629:
	v_bfe_u32 v6, v5, 20, 1
	s_mov_b32 s3, exec_lo
	s_delay_alu instid0(VALU_DEP_1) | instskip(NEXT) | instid1(VALU_DEP_1)
	v_add3_u32 v6, v5, v6, 0x487ffff
	v_lshrrev_b32_e32 v6, 20, v6
	s_or_saveexec_b32 s4, s4
                                        ; implicit-def: $sgpr5
	s_delay_alu instid0(SALU_CYCLE_1)
	s_xor_b32 exec_lo, exec_lo, s4
	s_cbranch_execnz .LBB72_2085
.LBB72_1630:
	s_or_b32 exec_lo, exec_lo, s4
	v_mov_b32_e32 v7, s5
	s_and_saveexec_b32 s4, s3
.LBB72_1631:
	v_lshrrev_b32_e32 v5, 24, v5
	s_delay_alu instid0(VALU_DEP_1)
	v_and_or_b32 v7, 0x80, v5, v6
.LBB72_1632:
	s_or_b32 exec_lo, exec_lo, s4
.LBB72_1633:
	s_delay_alu instid0(SALU_CYCLE_1)
	s_or_b32 exec_lo, exec_lo, s2
	global_store_b8 v[0:1], v7, off
.LBB72_1634:
	s_mov_b32 s2, -1
.LBB72_1635:
	s_mov_b32 s3, 0
.LBB72_1636:
	s_delay_alu instid0(SALU_CYCLE_1)
	s_and_b32 vcc_lo, exec_lo, s3
	s_cbranch_vccz .LBB72_1676
; %bb.1637:
	v_cmp_lt_i16_e32 vcc_lo, 22, v21
	s_mov_b32 s1, -1
	s_cbranch_vccz .LBB72_1669
; %bb.1638:
	v_cmp_gt_i16_e32 vcc_lo, 24, v21
	s_cbranch_vccnz .LBB72_1658
; %bb.1639:
	v_cmp_lt_i16_e32 vcc_lo, 24, v21
	s_cbranch_vccz .LBB72_1647
; %bb.1640:
	v_cvt_f32_f16_e32 v5, v2
	v_mov_b32_e32 v7, 0x80
	s_mov_b32 s1, exec_lo
	s_delay_alu instid0(VALU_DEP_2) | instskip(NEXT) | instid1(VALU_DEP_1)
	v_and_b32_e32 v6, 0x7fffffff, v5
	v_cmpx_gt_u32_e32 0x47800000, v6
	s_cbranch_execz .LBB72_1646
; %bb.1641:
	v_cmp_lt_u32_e32 vcc_lo, 0x37ffffff, v6
	s_mov_b32 s2, 0
                                        ; implicit-def: $vgpr6
	s_and_saveexec_b32 s3, vcc_lo
	s_delay_alu instid0(SALU_CYCLE_1)
	s_xor_b32 s3, exec_lo, s3
	s_cbranch_execz .LBB72_2090
; %bb.1642:
	v_bfe_u32 v6, v5, 21, 1
	s_mov_b32 s2, exec_lo
	s_delay_alu instid0(VALU_DEP_1) | instskip(NEXT) | instid1(VALU_DEP_1)
	v_add3_u32 v6, v5, v6, 0x88fffff
	v_lshrrev_b32_e32 v6, 21, v6
	s_or_saveexec_b32 s3, s3
                                        ; implicit-def: $sgpr4
	s_delay_alu instid0(SALU_CYCLE_1)
	s_xor_b32 exec_lo, exec_lo, s3
	s_cbranch_execnz .LBB72_2091
.LBB72_1643:
	s_or_b32 exec_lo, exec_lo, s3
	v_mov_b32_e32 v7, s4
	s_and_saveexec_b32 s3, s2
.LBB72_1644:
	v_lshrrev_b32_e32 v5, 24, v5
	s_delay_alu instid0(VALU_DEP_1)
	v_and_or_b32 v7, 0x80, v5, v6
.LBB72_1645:
	s_or_b32 exec_lo, exec_lo, s3
.LBB72_1646:
	s_delay_alu instid0(SALU_CYCLE_1)
	s_or_b32 exec_lo, exec_lo, s1
	s_mov_b32 s1, 0
	global_store_b8 v[0:1], v7, off
.LBB72_1647:
	s_and_b32 vcc_lo, exec_lo, s1
	s_cbranch_vccz .LBB72_1657
; %bb.1648:
	v_cvt_f32_f16_e32 v5, v2
	s_mov_b32 s1, exec_lo
                                        ; implicit-def: $vgpr6
	s_delay_alu instid0(VALU_DEP_1) | instskip(NEXT) | instid1(VALU_DEP_1)
	v_and_b32_e32 v7, 0x7fffffff, v5
	v_cmpx_gt_u32_e32 0x43f00000, v7
	s_xor_b32 s1, exec_lo, s1
	s_cbranch_execz .LBB72_1654
; %bb.1649:
	s_mov_b32 s2, exec_lo
                                        ; implicit-def: $vgpr6
	v_cmpx_lt_u32_e32 0x3c7fffff, v7
	s_xor_b32 s2, exec_lo, s2
; %bb.1650:
	v_bfe_u32 v6, v5, 20, 1
	s_delay_alu instid0(VALU_DEP_1) | instskip(NEXT) | instid1(VALU_DEP_1)
	v_add3_u32 v6, v5, v6, 0x407ffff
	v_and_b32_e32 v7, 0xff00000, v6
	v_lshrrev_b32_e32 v6, 20, v6
	s_delay_alu instid0(VALU_DEP_2) | instskip(NEXT) | instid1(VALU_DEP_2)
	v_cmp_ne_u32_e32 vcc_lo, 0x7f00000, v7
	v_cndmask_b32_e32 v6, 0x7e, v6, vcc_lo
; %bb.1651:
	s_and_not1_saveexec_b32 s2, s2
; %bb.1652:
	v_add_f32_e64 v6, 0x46800000, |v5|
; %bb.1653:
	s_or_b32 exec_lo, exec_lo, s2
                                        ; implicit-def: $vgpr7
.LBB72_1654:
	s_and_not1_saveexec_b32 s1, s1
; %bb.1655:
	v_mov_b32_e32 v6, 0x7f
	v_cmp_lt_u32_e32 vcc_lo, 0x7f800000, v7
	s_delay_alu instid0(VALU_DEP_2)
	v_cndmask_b32_e32 v6, 0x7e, v6, vcc_lo
; %bb.1656:
	s_or_b32 exec_lo, exec_lo, s1
	v_lshrrev_b32_e32 v5, 24, v5
	s_delay_alu instid0(VALU_DEP_1)
	v_and_or_b32 v5, 0x80, v5, v6
	global_store_b8 v[0:1], v5, off
.LBB72_1657:
	s_mov_b32 s1, 0
.LBB72_1658:
	s_delay_alu instid0(SALU_CYCLE_1)
	s_and_not1_b32 vcc_lo, exec_lo, s1
	s_cbranch_vccnz .LBB72_1668
; %bb.1659:
	v_cvt_f32_f16_e32 v5, v2
	s_mov_b32 s1, exec_lo
                                        ; implicit-def: $vgpr6
	s_delay_alu instid0(VALU_DEP_1) | instskip(NEXT) | instid1(VALU_DEP_1)
	v_and_b32_e32 v7, 0x7fffffff, v5
	v_cmpx_gt_u32_e32 0x47800000, v7
	s_xor_b32 s1, exec_lo, s1
	s_cbranch_execz .LBB72_1665
; %bb.1660:
	s_mov_b32 s2, exec_lo
                                        ; implicit-def: $vgpr6
	v_cmpx_lt_u32_e32 0x387fffff, v7
	s_xor_b32 s2, exec_lo, s2
; %bb.1661:
	v_bfe_u32 v6, v5, 21, 1
	s_delay_alu instid0(VALU_DEP_1) | instskip(NEXT) | instid1(VALU_DEP_1)
	v_add3_u32 v6, v5, v6, 0x80fffff
	v_lshrrev_b32_e32 v6, 21, v6
; %bb.1662:
	s_and_not1_saveexec_b32 s2, s2
; %bb.1663:
	v_add_f32_e64 v6, 0x43000000, |v5|
; %bb.1664:
	s_or_b32 exec_lo, exec_lo, s2
                                        ; implicit-def: $vgpr7
.LBB72_1665:
	s_and_not1_saveexec_b32 s1, s1
; %bb.1666:
	v_mov_b32_e32 v6, 0x7f
	v_cmp_lt_u32_e32 vcc_lo, 0x7f800000, v7
	s_delay_alu instid0(VALU_DEP_2)
	v_cndmask_b32_e32 v6, 0x7c, v6, vcc_lo
; %bb.1667:
	s_or_b32 exec_lo, exec_lo, s1
	v_lshrrev_b32_e32 v5, 24, v5
	s_delay_alu instid0(VALU_DEP_1)
	v_and_or_b32 v5, 0x80, v5, v6
	global_store_b8 v[0:1], v5, off
.LBB72_1668:
	s_mov_b32 s1, 0
	s_mov_b32 s2, -1
.LBB72_1669:
	s_and_not1_b32 vcc_lo, exec_lo, s1
	s_mov_b32 s1, 0
	s_cbranch_vccnz .LBB72_1676
; %bb.1670:
	v_cmp_lt_i16_e32 vcc_lo, 14, v21
	s_mov_b32 s1, -1
	s_cbranch_vccz .LBB72_1674
; %bb.1671:
	v_cmp_eq_u16_e32 vcc_lo, 15, v21
	s_mov_b32 s0, -1
	s_cbranch_vccz .LBB72_1673
; %bb.1672:
	v_cvt_f32_f16_e32 v5, v2
	v_cmp_o_f16_e32 vcc_lo, v2, v2
	s_mov_b32 s0, 0
	s_mov_b32 s2, -1
	s_delay_alu instid0(VALU_DEP_2) | instskip(NEXT) | instid1(VALU_DEP_1)
	v_bfe_u32 v6, v5, 16, 1
	v_add3_u32 v5, v5, v6, 0x7fff
	s_delay_alu instid0(VALU_DEP_1) | instskip(NEXT) | instid1(VALU_DEP_1)
	v_lshrrev_b32_e32 v5, 16, v5
	v_cndmask_b32_e32 v5, 0x7fc0, v5, vcc_lo
	global_store_b16 v[0:1], v5, off
.LBB72_1673:
	s_mov_b32 s1, 0
.LBB72_1674:
	s_delay_alu instid0(SALU_CYCLE_1)
	s_and_b32 vcc_lo, exec_lo, s1
	s_mov_b32 s1, 0
	s_cbranch_vccz .LBB72_1676
; %bb.1675:
	v_cmp_ne_u16_e64 s0, 11, v21
	s_mov_b32 s1, -1
.LBB72_1676:
	s_delay_alu instid0(VALU_DEP_1)
	s_and_b32 vcc_lo, exec_lo, s0
	s_cbranch_vccnz .LBB72_2088
; %bb.1677:
	s_and_not1_b32 vcc_lo, exec_lo, s1
	s_cbranch_vccnz .LBB72_1679
.LBB72_1678:
	v_and_b32_e32 v5, 0x7fff7fff, v3
	s_mov_b32 s2, -1
	s_delay_alu instid0(VALU_DEP_1)
	v_cmp_ne_u32_e32 vcc_lo, 0, v5
	v_cndmask_b32_e64 v5, 0, 1, vcc_lo
	global_store_b8 v[0:1], v5, off
.LBB72_1679:
	s_mov_b32 s0, 0
	s_branch .LBB72_1681
.LBB72_1680:
	s_mov_b32 s0, -1
	s_mov_b32 s2, 0
.LBB72_1681:
	s_and_b32 vcc_lo, exec_lo, s0
	s_cbranch_vccz .LBB72_1720
; %bb.1682:
	v_cmp_gt_i16_e32 vcc_lo, 5, v21
	s_mov_b32 s0, -1
	s_cbranch_vccnz .LBB72_1703
; %bb.1683:
	v_cmp_gt_i16_e32 vcc_lo, 8, v21
	s_cbranch_vccnz .LBB72_1693
; %bb.1684:
	v_cmp_gt_i16_e32 vcc_lo, 9, v21
	s_cbranch_vccnz .LBB72_1690
; %bb.1685:
	v_cmp_lt_i16_e32 vcc_lo, 9, v21
	s_cbranch_vccz .LBB72_1687
; %bb.1686:
	v_cvt_f32_f16_e32 v5, v2
	v_cvt_f32_f16_e32 v7, v4
	s_mov_b32 s0, 0
	s_delay_alu instid0(VALU_DEP_2) | instskip(NEXT) | instid1(VALU_DEP_2)
	v_cvt_f64_f32_e32 v[5:6], v5
	v_cvt_f64_f32_e32 v[7:8], v7
	global_store_b128 v[0:1], v[5:8], off
.LBB72_1687:
	s_and_not1_b32 vcc_lo, exec_lo, s0
	s_cbranch_vccnz .LBB72_1689
; %bb.1688:
	v_cvt_f32_f16_e32 v5, v2
	v_cvt_f32_f16_e32 v6, v4
	global_store_b64 v[0:1], v[5:6], off
.LBB72_1689:
	s_mov_b32 s0, 0
.LBB72_1690:
	s_delay_alu instid0(SALU_CYCLE_1)
	s_and_not1_b32 vcc_lo, exec_lo, s0
	s_cbranch_vccnz .LBB72_1692
; %bb.1691:
	global_store_b32 v[0:1], v3, off
.LBB72_1692:
	s_mov_b32 s0, 0
.LBB72_1693:
	s_delay_alu instid0(SALU_CYCLE_1)
	s_and_not1_b32 vcc_lo, exec_lo, s0
	s_cbranch_vccnz .LBB72_1702
; %bb.1694:
	v_cmp_gt_i16_e32 vcc_lo, 6, v21
	s_mov_b32 s0, -1
	s_cbranch_vccnz .LBB72_1700
; %bb.1695:
	v_cmp_lt_i16_e32 vcc_lo, 6, v21
	s_cbranch_vccz .LBB72_1697
; %bb.1696:
	v_cvt_f32_f16_e32 v3, v2
	s_mov_b32 s0, 0
	s_delay_alu instid0(VALU_DEP_1)
	v_cvt_f64_f32_e32 v[3:4], v3
	global_store_b64 v[0:1], v[3:4], off
.LBB72_1697:
	s_and_not1_b32 vcc_lo, exec_lo, s0
	s_cbranch_vccnz .LBB72_1699
; %bb.1698:
	v_cvt_f32_f16_e32 v3, v2
	global_store_b32 v[0:1], v3, off
.LBB72_1699:
	s_mov_b32 s0, 0
.LBB72_1700:
	s_delay_alu instid0(SALU_CYCLE_1)
	s_and_not1_b32 vcc_lo, exec_lo, s0
	s_cbranch_vccnz .LBB72_1702
; %bb.1701:
	global_store_b16 v[0:1], v2, off
.LBB72_1702:
	s_mov_b32 s0, 0
.LBB72_1703:
	s_delay_alu instid0(SALU_CYCLE_1)
	s_and_not1_b32 vcc_lo, exec_lo, s0
	s_cbranch_vccnz .LBB72_1719
; %bb.1704:
	v_cmp_gt_i16_e32 vcc_lo, 2, v21
	s_mov_b32 s0, -1
	s_cbranch_vccnz .LBB72_1714
; %bb.1705:
	v_cmp_gt_i16_e32 vcc_lo, 3, v21
	s_cbranch_vccnz .LBB72_1711
; %bb.1706:
	v_cmp_lt_i16_e32 vcc_lo, 3, v21
	s_cbranch_vccz .LBB72_1708
; %bb.1707:
	v_cvt_f32_f16_e32 v3, v2
	s_mov_b32 s0, 0
	s_delay_alu instid0(VALU_DEP_1) | instskip(NEXT) | instid1(VALU_DEP_1)
	v_cvt_i32_f32_e32 v3, v3
	v_ashrrev_i32_e32 v4, 31, v3
	global_store_b64 v[0:1], v[3:4], off
.LBB72_1708:
	s_and_not1_b32 vcc_lo, exec_lo, s0
	s_cbranch_vccnz .LBB72_1710
; %bb.1709:
	v_cvt_f32_f16_e32 v3, v2
	s_delay_alu instid0(VALU_DEP_1)
	v_cvt_i32_f32_e32 v3, v3
	global_store_b32 v[0:1], v3, off
.LBB72_1710:
	s_mov_b32 s0, 0
.LBB72_1711:
	s_delay_alu instid0(SALU_CYCLE_1)
	s_and_not1_b32 vcc_lo, exec_lo, s0
	s_cbranch_vccnz .LBB72_1713
; %bb.1712:
	v_cvt_i16_f16_e32 v3, v2
	global_store_b16 v[0:1], v3, off
.LBB72_1713:
	s_mov_b32 s0, 0
.LBB72_1714:
	s_delay_alu instid0(SALU_CYCLE_1)
	s_and_not1_b32 vcc_lo, exec_lo, s0
	s_cbranch_vccnz .LBB72_1719
; %bb.1715:
	v_cmp_lt_i16_e32 vcc_lo, 0, v21
	s_mov_b32 s0, -1
	s_cbranch_vccz .LBB72_1717
; %bb.1716:
	v_cvt_i16_f16_e32 v3, v2
	s_mov_b32 s0, 0
	global_store_b8 v[0:1], v3, off
.LBB72_1717:
	s_and_not1_b32 vcc_lo, exec_lo, s0
	s_cbranch_vccnz .LBB72_1719
; %bb.1718:
	v_cvt_f32_f16_e32 v2, v2
	s_delay_alu instid0(VALU_DEP_1)
	v_cvt_i32_f32_e32 v2, v2
	global_store_b8 v[0:1], v2, off
.LBB72_1719:
	s_mov_b32 s2, -1
.LBB72_1720:
	s_delay_alu instid0(SALU_CYCLE_1)
	s_and_not1_b32 vcc_lo, exec_lo, s2
	s_cbranch_vccnz .LBB72_2035
; %bb.1721:
	v_cvt_f32_f16_e32 v0, v20
	v_cvt_f32_f16_e32 v1, v23
	s_getpc_b64 s[0:1]
	s_add_u32 s0, s0, _ZN16c10_complex_math3expIfEEN3c107complexIT_EERKS4_@rel32@lo+4
	s_addc_u32 s1, s1, _ZN16c10_complex_math3expIfEEN3c107complexIT_EERKS4_@rel32@hi+12
	s_delay_alu instid0(SALU_CYCLE_1)
	s_swappc_b64 s[30:31], s[0:1]
	s_lshl_b32 s10, s10, 7
	v_cvt_f16_f32_e32 v2, v1
	v_add_nc_u32_e32 v17, s10, v18
	v_cvt_f16_f32_e32 v4, v0
	v_cmp_gt_i16_e32 vcc_lo, 11, v21
	s_delay_alu instid0(VALU_DEP_4) | instskip(NEXT) | instid1(VALU_DEP_4)
	v_lshlrev_b32_e32 v3, 16, v2
	v_ashrrev_i32_e32 v1, 31, v17
	s_delay_alu instid0(VALU_DEP_4) | instskip(SKIP_1) | instid1(VALU_DEP_1)
	v_and_b32_e32 v5, 0xffff, v4
	v_add_co_u32 v0, s0, s16, v17
	v_add_co_ci_u32_e64 v1, s0, s17, v1, s0
	s_delay_alu instid0(VALU_DEP_3)
	v_or_b32_e32 v5, v3, v5
	s_cbranch_vccnz .LBB72_1799
; %bb.1722:
	v_cmp_lt_i16_e32 vcc_lo, 25, v21
	s_mov_b32 s3, -1
	s_mov_b32 s1, 0
	s_mov_b32 s2, 0
	;; [unrolled: 1-line block ×3, first 2 shown]
	s_cbranch_vccz .LBB72_1755
; %bb.1723:
	v_cmp_lt_i16_e32 vcc_lo, 28, v21
	s_cbranch_vccz .LBB72_1738
; %bb.1724:
	v_cmp_lt_i16_e32 vcc_lo, 43, v21
	;; [unrolled: 3-line block ×3, first 2 shown]
	s_cbranch_vccz .LBB72_1728
; %bb.1726:
	v_cmp_eq_u16_e32 vcc_lo, 46, v21
	s_mov_b32 s0, -1
	s_mov_b32 s3, 0
	s_cbranch_vccz .LBB72_1728
; %bb.1727:
	v_cvt_f32_f16_e32 v3, v2
	v_cvt_f32_f16_e32 v6, v4
	v_cmp_o_f16_e32 vcc_lo, v2, v2
	s_mov_b32 s0, 0
	s_mov_b32 s2, -1
	v_bfe_u32 v7, v3, 16, 1
	v_bfe_u32 v8, v6, 16, 1
	s_delay_alu instid0(VALU_DEP_2) | instskip(NEXT) | instid1(VALU_DEP_2)
	v_add3_u32 v3, v3, v7, 0x7fff
	v_add3_u32 v6, v6, v8, 0x7fff
	s_delay_alu instid0(VALU_DEP_2) | instskip(NEXT) | instid1(VALU_DEP_2)
	v_and_b32_e32 v3, 0xffff0000, v3
	v_lshrrev_b32_e32 v6, 16, v6
	s_delay_alu instid0(VALU_DEP_2) | instskip(SKIP_1) | instid1(VALU_DEP_3)
	v_cndmask_b32_e32 v3, 0x7fc00000, v3, vcc_lo
	v_cmp_o_f16_e32 vcc_lo, v4, v4
	v_cndmask_b32_e32 v6, 0x7fc0, v6, vcc_lo
	s_delay_alu instid0(VALU_DEP_1)
	v_or_b32_e32 v3, v3, v6
	global_store_b32 v[0:1], v3, off
.LBB72_1728:
	s_and_b32 vcc_lo, exec_lo, s3
	s_cbranch_vccz .LBB72_1733
; %bb.1729:
	v_cmp_eq_u16_e32 vcc_lo, 44, v21
	s_mov_b32 s0, -1
	s_cbranch_vccz .LBB72_1733
; %bb.1730:
	v_cvt_f32_f16_e32 v3, v4
	v_mov_b32_e32 v6, 0xff
	s_mov_b32 s2, exec_lo
	s_delay_alu instid0(VALU_DEP_2) | instskip(NEXT) | instid1(VALU_DEP_1)
	v_bfe_u32 v7, v3, 23, 8
	v_cmpx_ne_u32_e32 0xff, v7
; %bb.1731:
	v_and_b32_e32 v6, 0x400000, v3
	v_and_or_b32 v7, 0x3fffff, v3, v7
	v_lshrrev_b32_e32 v3, 23, v3
	s_delay_alu instid0(VALU_DEP_3) | instskip(NEXT) | instid1(VALU_DEP_3)
	v_cmp_ne_u32_e32 vcc_lo, 0, v6
	v_cmp_ne_u32_e64 s0, 0, v7
	s_delay_alu instid0(VALU_DEP_1) | instskip(NEXT) | instid1(SALU_CYCLE_1)
	s_and_b32 s0, vcc_lo, s0
	v_cndmask_b32_e64 v6, 0, 1, s0
	s_delay_alu instid0(VALU_DEP_1)
	v_add_nc_u32_e32 v6, v3, v6
; %bb.1732:
	s_or_b32 exec_lo, exec_lo, s2
	s_mov_b32 s0, 0
	s_mov_b32 s2, -1
	global_store_b8 v[0:1], v6, off
.LBB72_1733:
	s_mov_b32 s3, 0
.LBB72_1734:
	s_delay_alu instid0(SALU_CYCLE_1)
	s_and_b32 vcc_lo, exec_lo, s3
	s_cbranch_vccz .LBB72_1737
; %bb.1735:
	v_cmp_eq_u16_e32 vcc_lo, 29, v21
	s_mov_b32 s0, -1
	s_cbranch_vccz .LBB72_1737
; %bb.1736:
	v_cvt_f32_f16_e32 v3, v4
	v_mov_b32_e32 v7, 0
	s_mov_b32 s0, 0
	s_mov_b32 s2, -1
	s_delay_alu instid0(VALU_DEP_2)
	v_cvt_u32_f32_e32 v6, v3
	global_store_b64 v[0:1], v[6:7], off
.LBB72_1737:
	s_mov_b32 s3, 0
.LBB72_1738:
	s_delay_alu instid0(SALU_CYCLE_1)
	s_and_b32 vcc_lo, exec_lo, s3
	s_cbranch_vccz .LBB72_1754
; %bb.1739:
	v_cmp_gt_i16_e32 vcc_lo, 27, v21
	s_mov_b32 s2, -1
	s_cbranch_vccnz .LBB72_1745
; %bb.1740:
	v_cmp_lt_i16_e32 vcc_lo, 27, v21
	s_cbranch_vccz .LBB72_1742
; %bb.1741:
	v_cvt_f32_f16_e32 v3, v4
	s_mov_b32 s2, 0
	s_delay_alu instid0(VALU_DEP_1)
	v_cvt_u32_f32_e32 v3, v3
	global_store_b32 v[0:1], v3, off
.LBB72_1742:
	s_and_not1_b32 vcc_lo, exec_lo, s2
	s_cbranch_vccnz .LBB72_1744
; %bb.1743:
	v_cvt_u16_f16_e32 v3, v4
	global_store_b16 v[0:1], v3, off
.LBB72_1744:
	s_mov_b32 s2, 0
.LBB72_1745:
	s_delay_alu instid0(SALU_CYCLE_1)
	s_and_not1_b32 vcc_lo, exec_lo, s2
	s_cbranch_vccnz .LBB72_1753
; %bb.1746:
	v_cvt_f32_f16_e32 v3, v4
	v_mov_b32_e32 v7, 0x80
	s_mov_b32 s2, exec_lo
	s_delay_alu instid0(VALU_DEP_2) | instskip(NEXT) | instid1(VALU_DEP_1)
	v_and_b32_e32 v6, 0x7fffffff, v3
	v_cmpx_gt_u32_e32 0x43800000, v6
	s_cbranch_execz .LBB72_1752
; %bb.1747:
	v_cmp_lt_u32_e32 vcc_lo, 0x3bffffff, v6
	s_mov_b32 s3, 0
                                        ; implicit-def: $vgpr6
	s_and_saveexec_b32 s4, vcc_lo
	s_delay_alu instid0(SALU_CYCLE_1)
	s_xor_b32 s4, exec_lo, s4
	s_cbranch_execz .LBB72_2092
; %bb.1748:
	v_bfe_u32 v6, v3, 20, 1
	s_mov_b32 s3, exec_lo
	s_delay_alu instid0(VALU_DEP_1) | instskip(NEXT) | instid1(VALU_DEP_1)
	v_add3_u32 v6, v3, v6, 0x487ffff
	v_lshrrev_b32_e32 v6, 20, v6
	s_or_saveexec_b32 s4, s4
                                        ; implicit-def: $sgpr5
	s_delay_alu instid0(SALU_CYCLE_1)
	s_xor_b32 exec_lo, exec_lo, s4
	s_cbranch_execnz .LBB72_2093
.LBB72_1749:
	s_or_b32 exec_lo, exec_lo, s4
	v_mov_b32_e32 v7, s5
	s_and_saveexec_b32 s4, s3
.LBB72_1750:
	v_lshrrev_b32_e32 v3, 24, v3
	s_delay_alu instid0(VALU_DEP_1)
	v_and_or_b32 v7, 0x80, v3, v6
.LBB72_1751:
	s_or_b32 exec_lo, exec_lo, s4
.LBB72_1752:
	s_delay_alu instid0(SALU_CYCLE_1)
	s_or_b32 exec_lo, exec_lo, s2
	global_store_b8 v[0:1], v7, off
.LBB72_1753:
	s_mov_b32 s2, -1
.LBB72_1754:
	s_mov_b32 s3, 0
.LBB72_1755:
	s_delay_alu instid0(SALU_CYCLE_1)
	s_and_b32 vcc_lo, exec_lo, s3
	s_cbranch_vccz .LBB72_1795
; %bb.1756:
	v_cmp_lt_i16_e32 vcc_lo, 22, v21
	s_mov_b32 s1, -1
	s_cbranch_vccz .LBB72_1788
; %bb.1757:
	v_cmp_gt_i16_e32 vcc_lo, 24, v21
	s_cbranch_vccnz .LBB72_1777
; %bb.1758:
	v_cmp_lt_i16_e32 vcc_lo, 24, v21
	s_cbranch_vccz .LBB72_1766
; %bb.1759:
	v_cvt_f32_f16_e32 v3, v4
	v_mov_b32_e32 v7, 0x80
	s_mov_b32 s1, exec_lo
	s_delay_alu instid0(VALU_DEP_2) | instskip(NEXT) | instid1(VALU_DEP_1)
	v_and_b32_e32 v6, 0x7fffffff, v3
	v_cmpx_gt_u32_e32 0x47800000, v6
	s_cbranch_execz .LBB72_1765
; %bb.1760:
	v_cmp_lt_u32_e32 vcc_lo, 0x37ffffff, v6
	s_mov_b32 s2, 0
                                        ; implicit-def: $vgpr6
	s_and_saveexec_b32 s3, vcc_lo
	s_delay_alu instid0(SALU_CYCLE_1)
	s_xor_b32 s3, exec_lo, s3
	s_cbranch_execz .LBB72_2098
; %bb.1761:
	v_bfe_u32 v6, v3, 21, 1
	s_mov_b32 s2, exec_lo
	s_delay_alu instid0(VALU_DEP_1) | instskip(NEXT) | instid1(VALU_DEP_1)
	v_add3_u32 v6, v3, v6, 0x88fffff
	v_lshrrev_b32_e32 v6, 21, v6
	s_or_saveexec_b32 s3, s3
                                        ; implicit-def: $sgpr4
	s_delay_alu instid0(SALU_CYCLE_1)
	s_xor_b32 exec_lo, exec_lo, s3
	s_cbranch_execnz .LBB72_2099
.LBB72_1762:
	s_or_b32 exec_lo, exec_lo, s3
	v_mov_b32_e32 v7, s4
	s_and_saveexec_b32 s3, s2
.LBB72_1763:
	v_lshrrev_b32_e32 v3, 24, v3
	s_delay_alu instid0(VALU_DEP_1)
	v_and_or_b32 v7, 0x80, v3, v6
.LBB72_1764:
	s_or_b32 exec_lo, exec_lo, s3
.LBB72_1765:
	s_delay_alu instid0(SALU_CYCLE_1)
	s_or_b32 exec_lo, exec_lo, s1
	s_mov_b32 s1, 0
	global_store_b8 v[0:1], v7, off
.LBB72_1766:
	s_and_b32 vcc_lo, exec_lo, s1
	s_cbranch_vccz .LBB72_1776
; %bb.1767:
	v_cvt_f32_f16_e32 v3, v4
	s_mov_b32 s1, exec_lo
                                        ; implicit-def: $vgpr6
	s_delay_alu instid0(VALU_DEP_1) | instskip(NEXT) | instid1(VALU_DEP_1)
	v_and_b32_e32 v7, 0x7fffffff, v3
	v_cmpx_gt_u32_e32 0x43f00000, v7
	s_xor_b32 s1, exec_lo, s1
	s_cbranch_execz .LBB72_1773
; %bb.1768:
	s_mov_b32 s2, exec_lo
                                        ; implicit-def: $vgpr6
	v_cmpx_lt_u32_e32 0x3c7fffff, v7
	s_xor_b32 s2, exec_lo, s2
; %bb.1769:
	v_bfe_u32 v6, v3, 20, 1
	s_delay_alu instid0(VALU_DEP_1) | instskip(NEXT) | instid1(VALU_DEP_1)
	v_add3_u32 v6, v3, v6, 0x407ffff
	v_and_b32_e32 v7, 0xff00000, v6
	v_lshrrev_b32_e32 v6, 20, v6
	s_delay_alu instid0(VALU_DEP_2) | instskip(NEXT) | instid1(VALU_DEP_2)
	v_cmp_ne_u32_e32 vcc_lo, 0x7f00000, v7
	v_cndmask_b32_e32 v6, 0x7e, v6, vcc_lo
; %bb.1770:
	s_and_not1_saveexec_b32 s2, s2
; %bb.1771:
	v_add_f32_e64 v6, 0x46800000, |v3|
; %bb.1772:
	s_or_b32 exec_lo, exec_lo, s2
                                        ; implicit-def: $vgpr7
.LBB72_1773:
	s_and_not1_saveexec_b32 s1, s1
; %bb.1774:
	v_mov_b32_e32 v6, 0x7f
	v_cmp_lt_u32_e32 vcc_lo, 0x7f800000, v7
	s_delay_alu instid0(VALU_DEP_2)
	v_cndmask_b32_e32 v6, 0x7e, v6, vcc_lo
; %bb.1775:
	s_or_b32 exec_lo, exec_lo, s1
	v_lshrrev_b32_e32 v3, 24, v3
	s_delay_alu instid0(VALU_DEP_1)
	v_and_or_b32 v3, 0x80, v3, v6
	global_store_b8 v[0:1], v3, off
.LBB72_1776:
	s_mov_b32 s1, 0
.LBB72_1777:
	s_delay_alu instid0(SALU_CYCLE_1)
	s_and_not1_b32 vcc_lo, exec_lo, s1
	s_cbranch_vccnz .LBB72_1787
; %bb.1778:
	v_cvt_f32_f16_e32 v3, v4
	s_mov_b32 s1, exec_lo
                                        ; implicit-def: $vgpr6
	s_delay_alu instid0(VALU_DEP_1) | instskip(NEXT) | instid1(VALU_DEP_1)
	v_and_b32_e32 v7, 0x7fffffff, v3
	v_cmpx_gt_u32_e32 0x47800000, v7
	s_xor_b32 s1, exec_lo, s1
	s_cbranch_execz .LBB72_1784
; %bb.1779:
	s_mov_b32 s2, exec_lo
                                        ; implicit-def: $vgpr6
	v_cmpx_lt_u32_e32 0x387fffff, v7
	s_xor_b32 s2, exec_lo, s2
; %bb.1780:
	v_bfe_u32 v6, v3, 21, 1
	s_delay_alu instid0(VALU_DEP_1) | instskip(NEXT) | instid1(VALU_DEP_1)
	v_add3_u32 v6, v3, v6, 0x80fffff
	v_lshrrev_b32_e32 v6, 21, v6
; %bb.1781:
	s_and_not1_saveexec_b32 s2, s2
; %bb.1782:
	v_add_f32_e64 v6, 0x43000000, |v3|
; %bb.1783:
	s_or_b32 exec_lo, exec_lo, s2
                                        ; implicit-def: $vgpr7
.LBB72_1784:
	s_and_not1_saveexec_b32 s1, s1
; %bb.1785:
	v_mov_b32_e32 v6, 0x7f
	v_cmp_lt_u32_e32 vcc_lo, 0x7f800000, v7
	s_delay_alu instid0(VALU_DEP_2)
	v_cndmask_b32_e32 v6, 0x7c, v6, vcc_lo
; %bb.1786:
	s_or_b32 exec_lo, exec_lo, s1
	v_lshrrev_b32_e32 v3, 24, v3
	s_delay_alu instid0(VALU_DEP_1)
	v_and_or_b32 v3, 0x80, v3, v6
	global_store_b8 v[0:1], v3, off
.LBB72_1787:
	s_mov_b32 s1, 0
	s_mov_b32 s2, -1
.LBB72_1788:
	s_and_not1_b32 vcc_lo, exec_lo, s1
	s_mov_b32 s1, 0
	s_cbranch_vccnz .LBB72_1795
; %bb.1789:
	v_cmp_lt_i16_e32 vcc_lo, 14, v21
	s_mov_b32 s1, -1
	s_cbranch_vccz .LBB72_1793
; %bb.1790:
	v_cmp_eq_u16_e32 vcc_lo, 15, v21
	s_mov_b32 s0, -1
	s_cbranch_vccz .LBB72_1792
; %bb.1791:
	v_cvt_f32_f16_e32 v3, v4
	v_cmp_o_f16_e32 vcc_lo, v4, v4
	s_mov_b32 s0, 0
	s_mov_b32 s2, -1
	s_delay_alu instid0(VALU_DEP_2) | instskip(NEXT) | instid1(VALU_DEP_1)
	v_bfe_u32 v6, v3, 16, 1
	v_add3_u32 v3, v3, v6, 0x7fff
	s_delay_alu instid0(VALU_DEP_1) | instskip(NEXT) | instid1(VALU_DEP_1)
	v_lshrrev_b32_e32 v3, 16, v3
	v_cndmask_b32_e32 v3, 0x7fc0, v3, vcc_lo
	global_store_b16 v[0:1], v3, off
.LBB72_1792:
	s_mov_b32 s1, 0
.LBB72_1793:
	s_delay_alu instid0(SALU_CYCLE_1)
	s_and_b32 vcc_lo, exec_lo, s1
	s_mov_b32 s1, 0
	s_cbranch_vccz .LBB72_1795
; %bb.1794:
	v_cmp_ne_u16_e64 s0, 11, v21
	s_mov_b32 s1, -1
.LBB72_1795:
	s_delay_alu instid0(VALU_DEP_1)
	s_and_b32 vcc_lo, exec_lo, s0
	s_cbranch_vccnz .LBB72_2096
; %bb.1796:
	s_and_not1_b32 vcc_lo, exec_lo, s1
	s_cbranch_vccnz .LBB72_1798
.LBB72_1797:
	v_and_b32_e32 v3, 0x7fff7fff, v5
	s_mov_b32 s2, -1
	s_delay_alu instid0(VALU_DEP_1)
	v_cmp_ne_u32_e32 vcc_lo, 0, v3
	v_cndmask_b32_e64 v3, 0, 1, vcc_lo
	global_store_b8 v[0:1], v3, off
.LBB72_1798:
	s_mov_b32 s0, 0
	s_branch .LBB72_1800
.LBB72_1799:
	s_mov_b32 s0, -1
	s_mov_b32 s2, 0
.LBB72_1800:
	s_and_b32 vcc_lo, exec_lo, s0
	s_cbranch_vccz .LBB72_1839
; %bb.1801:
	v_cmp_gt_i16_e32 vcc_lo, 5, v21
	s_mov_b32 s0, -1
	s_cbranch_vccnz .LBB72_1822
; %bb.1802:
	v_cmp_gt_i16_e32 vcc_lo, 8, v21
	s_cbranch_vccnz .LBB72_1812
; %bb.1803:
	v_cmp_gt_i16_e32 vcc_lo, 9, v21
	s_cbranch_vccnz .LBB72_1809
; %bb.1804:
	v_cmp_lt_i16_e32 vcc_lo, 9, v21
	v_cvt_f32_f16_e32 v3, v2
	s_cbranch_vccz .LBB72_1806
; %bb.1805:
	v_cvt_f32_f16_e32 v2, v4
	s_delay_alu instid0(VALU_DEP_2) | instskip(SKIP_1) | instid1(VALU_DEP_2)
	v_cvt_f64_f32_e32 v[8:9], v3
	s_mov_b32 s0, 0
	v_cvt_f64_f32_e32 v[6:7], v2
	global_store_b128 v[0:1], v[6:9], off
.LBB72_1806:
	s_and_not1_b32 vcc_lo, exec_lo, s0
	s_cbranch_vccnz .LBB72_1808
; %bb.1807:
	v_cvt_f32_f16_e32 v2, v4
	global_store_b64 v[0:1], v[2:3], off
.LBB72_1808:
	s_mov_b32 s0, 0
.LBB72_1809:
	s_delay_alu instid0(SALU_CYCLE_1)
	s_and_not1_b32 vcc_lo, exec_lo, s0
	s_cbranch_vccnz .LBB72_1811
; %bb.1810:
	global_store_b32 v[0:1], v5, off
.LBB72_1811:
	s_mov_b32 s0, 0
.LBB72_1812:
	s_delay_alu instid0(SALU_CYCLE_1)
	s_and_not1_b32 vcc_lo, exec_lo, s0
	s_cbranch_vccnz .LBB72_1821
; %bb.1813:
	v_cmp_gt_i16_e32 vcc_lo, 6, v21
	s_mov_b32 s0, -1
	s_cbranch_vccnz .LBB72_1819
; %bb.1814:
	v_cmp_lt_i16_e32 vcc_lo, 6, v21
	s_cbranch_vccz .LBB72_1816
; %bb.1815:
	v_cvt_f32_f16_e32 v2, v4
	s_mov_b32 s0, 0
	s_delay_alu instid0(VALU_DEP_1)
	v_cvt_f64_f32_e32 v[2:3], v2
	global_store_b64 v[0:1], v[2:3], off
.LBB72_1816:
	s_and_not1_b32 vcc_lo, exec_lo, s0
	s_cbranch_vccnz .LBB72_1818
; %bb.1817:
	v_cvt_f32_f16_e32 v2, v4
	global_store_b32 v[0:1], v2, off
.LBB72_1818:
	s_mov_b32 s0, 0
.LBB72_1819:
	s_delay_alu instid0(SALU_CYCLE_1)
	s_and_not1_b32 vcc_lo, exec_lo, s0
	s_cbranch_vccnz .LBB72_1821
; %bb.1820:
	global_store_b16 v[0:1], v4, off
.LBB72_1821:
	s_mov_b32 s0, 0
.LBB72_1822:
	s_delay_alu instid0(SALU_CYCLE_1)
	s_and_not1_b32 vcc_lo, exec_lo, s0
	s_cbranch_vccnz .LBB72_1838
; %bb.1823:
	v_cmp_gt_i16_e32 vcc_lo, 2, v21
	s_mov_b32 s0, -1
	s_cbranch_vccnz .LBB72_1833
; %bb.1824:
	v_cmp_gt_i16_e32 vcc_lo, 3, v21
	s_cbranch_vccnz .LBB72_1830
; %bb.1825:
	v_cmp_lt_i16_e32 vcc_lo, 3, v21
	s_cbranch_vccz .LBB72_1827
; %bb.1826:
	v_cvt_f32_f16_e32 v2, v4
	s_mov_b32 s0, 0
	s_delay_alu instid0(VALU_DEP_1) | instskip(NEXT) | instid1(VALU_DEP_1)
	v_cvt_i32_f32_e32 v2, v2
	v_ashrrev_i32_e32 v3, 31, v2
	global_store_b64 v[0:1], v[2:3], off
.LBB72_1827:
	s_and_not1_b32 vcc_lo, exec_lo, s0
	s_cbranch_vccnz .LBB72_1829
; %bb.1828:
	v_cvt_f32_f16_e32 v2, v4
	s_delay_alu instid0(VALU_DEP_1)
	v_cvt_i32_f32_e32 v2, v2
	global_store_b32 v[0:1], v2, off
.LBB72_1829:
	s_mov_b32 s0, 0
.LBB72_1830:
	s_delay_alu instid0(SALU_CYCLE_1)
	s_and_not1_b32 vcc_lo, exec_lo, s0
	s_cbranch_vccnz .LBB72_1832
; %bb.1831:
	v_cvt_i16_f16_e32 v2, v4
	global_store_b16 v[0:1], v2, off
.LBB72_1832:
	s_mov_b32 s0, 0
.LBB72_1833:
	s_delay_alu instid0(SALU_CYCLE_1)
	s_and_not1_b32 vcc_lo, exec_lo, s0
	s_cbranch_vccnz .LBB72_1838
; %bb.1834:
	v_cmp_lt_i16_e32 vcc_lo, 0, v21
	s_mov_b32 s0, -1
	s_cbranch_vccz .LBB72_1836
; %bb.1835:
	v_cvt_i16_f16_e32 v2, v4
	s_mov_b32 s0, 0
	global_store_b8 v[0:1], v2, off
.LBB72_1836:
	s_and_not1_b32 vcc_lo, exec_lo, s0
	s_cbranch_vccnz .LBB72_1838
; %bb.1837:
	v_cvt_f32_f16_e32 v2, v4
	s_delay_alu instid0(VALU_DEP_1)
	v_cvt_i32_f32_e32 v2, v2
	global_store_b8 v[0:1], v2, off
.LBB72_1838:
	s_mov_b32 s2, -1
.LBB72_1839:
	s_delay_alu instid0(SALU_CYCLE_1)
	s_and_not1_b32 vcc_lo, exec_lo, s2
	s_cbranch_vccnz .LBB72_2035
; %bb.1840:
	v_cvt_f32_f16_e32 v0, v22
	v_cvt_f32_f16_e32 v1, v25
	s_getpc_b64 s[0:1]
	s_add_u32 s0, s0, _ZN16c10_complex_math3expIfEEN3c107complexIT_EERKS4_@rel32@lo+4
	s_addc_u32 s1, s1, _ZN16c10_complex_math3expIfEEN3c107complexIT_EERKS4_@rel32@hi+12
	s_delay_alu instid0(SALU_CYCLE_1) | instskip(SKIP_4) | instid1(VALU_DEP_4)
	s_swappc_b64 s[30:31], s[0:1]
	v_add_nc_u32_e32 v17, s10, v17
	v_cvt_f16_f32_e32 v2, v1
	v_cvt_f16_f32_e32 v4, v0
	v_cmp_gt_i16_e32 vcc_lo, 11, v21
	v_ashrrev_i32_e32 v1, 31, v17
	s_delay_alu instid0(VALU_DEP_4) | instskip(NEXT) | instid1(VALU_DEP_4)
	v_lshlrev_b32_e32 v3, 16, v2
	v_and_b32_e32 v5, 0xffff, v4
	v_add_co_u32 v0, s0, s16, v17
	s_delay_alu instid0(VALU_DEP_1) | instskip(NEXT) | instid1(VALU_DEP_3)
	v_add_co_ci_u32_e64 v1, s0, s17, v1, s0
	v_or_b32_e32 v5, v3, v5
	s_cbranch_vccnz .LBB72_1918
; %bb.1841:
	v_cmp_lt_i16_e32 vcc_lo, 25, v21
	s_mov_b32 s3, -1
	s_mov_b32 s1, 0
	s_mov_b32 s2, 0
	;; [unrolled: 1-line block ×3, first 2 shown]
	s_cbranch_vccz .LBB72_1874
; %bb.1842:
	v_cmp_lt_i16_e32 vcc_lo, 28, v21
	s_cbranch_vccz .LBB72_1857
; %bb.1843:
	v_cmp_lt_i16_e32 vcc_lo, 43, v21
	s_cbranch_vccz .LBB72_1853
; %bb.1844:
	v_cmp_lt_i16_e32 vcc_lo, 45, v21
	s_cbranch_vccz .LBB72_1847
; %bb.1845:
	v_cmp_eq_u16_e32 vcc_lo, 46, v21
	s_mov_b32 s0, -1
	s_mov_b32 s3, 0
	s_cbranch_vccz .LBB72_1847
; %bb.1846:
	v_cvt_f32_f16_e32 v3, v2
	v_cvt_f32_f16_e32 v6, v4
	v_cmp_o_f16_e32 vcc_lo, v2, v2
	s_mov_b32 s0, 0
	s_mov_b32 s2, -1
	v_bfe_u32 v7, v3, 16, 1
	v_bfe_u32 v8, v6, 16, 1
	s_delay_alu instid0(VALU_DEP_2) | instskip(NEXT) | instid1(VALU_DEP_2)
	v_add3_u32 v3, v3, v7, 0x7fff
	v_add3_u32 v6, v6, v8, 0x7fff
	s_delay_alu instid0(VALU_DEP_2) | instskip(NEXT) | instid1(VALU_DEP_2)
	v_and_b32_e32 v3, 0xffff0000, v3
	v_lshrrev_b32_e32 v6, 16, v6
	s_delay_alu instid0(VALU_DEP_2) | instskip(SKIP_1) | instid1(VALU_DEP_3)
	v_cndmask_b32_e32 v3, 0x7fc00000, v3, vcc_lo
	v_cmp_o_f16_e32 vcc_lo, v4, v4
	v_cndmask_b32_e32 v6, 0x7fc0, v6, vcc_lo
	s_delay_alu instid0(VALU_DEP_1)
	v_or_b32_e32 v3, v3, v6
	global_store_b32 v[0:1], v3, off
.LBB72_1847:
	s_and_b32 vcc_lo, exec_lo, s3
	s_cbranch_vccz .LBB72_1852
; %bb.1848:
	v_cmp_eq_u16_e32 vcc_lo, 44, v21
	s_mov_b32 s0, -1
	s_cbranch_vccz .LBB72_1852
; %bb.1849:
	v_cvt_f32_f16_e32 v3, v4
	v_mov_b32_e32 v6, 0xff
	s_mov_b32 s2, exec_lo
	s_delay_alu instid0(VALU_DEP_2) | instskip(NEXT) | instid1(VALU_DEP_1)
	v_bfe_u32 v7, v3, 23, 8
	v_cmpx_ne_u32_e32 0xff, v7
; %bb.1850:
	v_and_b32_e32 v6, 0x400000, v3
	v_and_or_b32 v7, 0x3fffff, v3, v7
	v_lshrrev_b32_e32 v3, 23, v3
	s_delay_alu instid0(VALU_DEP_3) | instskip(NEXT) | instid1(VALU_DEP_3)
	v_cmp_ne_u32_e32 vcc_lo, 0, v6
	v_cmp_ne_u32_e64 s0, 0, v7
	s_delay_alu instid0(VALU_DEP_1) | instskip(NEXT) | instid1(SALU_CYCLE_1)
	s_and_b32 s0, vcc_lo, s0
	v_cndmask_b32_e64 v6, 0, 1, s0
	s_delay_alu instid0(VALU_DEP_1)
	v_add_nc_u32_e32 v6, v3, v6
; %bb.1851:
	s_or_b32 exec_lo, exec_lo, s2
	s_mov_b32 s0, 0
	s_mov_b32 s2, -1
	global_store_b8 v[0:1], v6, off
.LBB72_1852:
	s_mov_b32 s3, 0
.LBB72_1853:
	s_delay_alu instid0(SALU_CYCLE_1)
	s_and_b32 vcc_lo, exec_lo, s3
	s_cbranch_vccz .LBB72_1856
; %bb.1854:
	v_cmp_eq_u16_e32 vcc_lo, 29, v21
	s_mov_b32 s0, -1
	s_cbranch_vccz .LBB72_1856
; %bb.1855:
	v_cvt_f32_f16_e32 v3, v4
	v_mov_b32_e32 v7, 0
	s_mov_b32 s0, 0
	s_mov_b32 s2, -1
	s_delay_alu instid0(VALU_DEP_2)
	v_cvt_u32_f32_e32 v6, v3
	global_store_b64 v[0:1], v[6:7], off
.LBB72_1856:
	s_mov_b32 s3, 0
.LBB72_1857:
	s_delay_alu instid0(SALU_CYCLE_1)
	s_and_b32 vcc_lo, exec_lo, s3
	s_cbranch_vccz .LBB72_1873
; %bb.1858:
	v_cmp_gt_i16_e32 vcc_lo, 27, v21
	s_mov_b32 s2, -1
	s_cbranch_vccnz .LBB72_1864
; %bb.1859:
	v_cmp_lt_i16_e32 vcc_lo, 27, v21
	s_cbranch_vccz .LBB72_1861
; %bb.1860:
	v_cvt_f32_f16_e32 v3, v4
	s_mov_b32 s2, 0
	s_delay_alu instid0(VALU_DEP_1)
	v_cvt_u32_f32_e32 v3, v3
	global_store_b32 v[0:1], v3, off
.LBB72_1861:
	s_and_not1_b32 vcc_lo, exec_lo, s2
	s_cbranch_vccnz .LBB72_1863
; %bb.1862:
	v_cvt_u16_f16_e32 v3, v4
	global_store_b16 v[0:1], v3, off
.LBB72_1863:
	s_mov_b32 s2, 0
.LBB72_1864:
	s_delay_alu instid0(SALU_CYCLE_1)
	s_and_not1_b32 vcc_lo, exec_lo, s2
	s_cbranch_vccnz .LBB72_1872
; %bb.1865:
	v_cvt_f32_f16_e32 v3, v4
	v_mov_b32_e32 v7, 0x80
	s_mov_b32 s2, exec_lo
	s_delay_alu instid0(VALU_DEP_2) | instskip(NEXT) | instid1(VALU_DEP_1)
	v_and_b32_e32 v6, 0x7fffffff, v3
	v_cmpx_gt_u32_e32 0x43800000, v6
	s_cbranch_execz .LBB72_1871
; %bb.1866:
	v_cmp_lt_u32_e32 vcc_lo, 0x3bffffff, v6
	s_mov_b32 s3, 0
                                        ; implicit-def: $vgpr6
	s_and_saveexec_b32 s4, vcc_lo
	s_delay_alu instid0(SALU_CYCLE_1)
	s_xor_b32 s4, exec_lo, s4
	s_cbranch_execz .LBB72_2100
; %bb.1867:
	v_bfe_u32 v6, v3, 20, 1
	s_mov_b32 s3, exec_lo
	s_delay_alu instid0(VALU_DEP_1) | instskip(NEXT) | instid1(VALU_DEP_1)
	v_add3_u32 v6, v3, v6, 0x487ffff
	v_lshrrev_b32_e32 v6, 20, v6
	s_or_saveexec_b32 s4, s4
                                        ; implicit-def: $sgpr5
	s_delay_alu instid0(SALU_CYCLE_1)
	s_xor_b32 exec_lo, exec_lo, s4
	s_cbranch_execnz .LBB72_2101
.LBB72_1868:
	s_or_b32 exec_lo, exec_lo, s4
	v_mov_b32_e32 v7, s5
	s_and_saveexec_b32 s4, s3
.LBB72_1869:
	v_lshrrev_b32_e32 v3, 24, v3
	s_delay_alu instid0(VALU_DEP_1)
	v_and_or_b32 v7, 0x80, v3, v6
.LBB72_1870:
	s_or_b32 exec_lo, exec_lo, s4
.LBB72_1871:
	s_delay_alu instid0(SALU_CYCLE_1)
	s_or_b32 exec_lo, exec_lo, s2
	global_store_b8 v[0:1], v7, off
.LBB72_1872:
	s_mov_b32 s2, -1
.LBB72_1873:
	s_mov_b32 s3, 0
.LBB72_1874:
	s_delay_alu instid0(SALU_CYCLE_1)
	s_and_b32 vcc_lo, exec_lo, s3
	s_cbranch_vccz .LBB72_1914
; %bb.1875:
	v_cmp_lt_i16_e32 vcc_lo, 22, v21
	s_mov_b32 s1, -1
	s_cbranch_vccz .LBB72_1907
; %bb.1876:
	v_cmp_gt_i16_e32 vcc_lo, 24, v21
	s_cbranch_vccnz .LBB72_1896
; %bb.1877:
	v_cmp_lt_i16_e32 vcc_lo, 24, v21
	s_cbranch_vccz .LBB72_1885
; %bb.1878:
	v_cvt_f32_f16_e32 v3, v4
	v_mov_b32_e32 v7, 0x80
	s_mov_b32 s1, exec_lo
	s_delay_alu instid0(VALU_DEP_2) | instskip(NEXT) | instid1(VALU_DEP_1)
	v_and_b32_e32 v6, 0x7fffffff, v3
	v_cmpx_gt_u32_e32 0x47800000, v6
	s_cbranch_execz .LBB72_1884
; %bb.1879:
	v_cmp_lt_u32_e32 vcc_lo, 0x37ffffff, v6
	s_mov_b32 s2, 0
                                        ; implicit-def: $vgpr6
	s_and_saveexec_b32 s3, vcc_lo
	s_delay_alu instid0(SALU_CYCLE_1)
	s_xor_b32 s3, exec_lo, s3
	s_cbranch_execz .LBB72_2106
; %bb.1880:
	v_bfe_u32 v6, v3, 21, 1
	s_mov_b32 s2, exec_lo
	s_delay_alu instid0(VALU_DEP_1) | instskip(NEXT) | instid1(VALU_DEP_1)
	v_add3_u32 v6, v3, v6, 0x88fffff
	v_lshrrev_b32_e32 v6, 21, v6
	s_or_saveexec_b32 s3, s3
                                        ; implicit-def: $sgpr4
	s_delay_alu instid0(SALU_CYCLE_1)
	s_xor_b32 exec_lo, exec_lo, s3
	s_cbranch_execnz .LBB72_2107
.LBB72_1881:
	s_or_b32 exec_lo, exec_lo, s3
	v_mov_b32_e32 v7, s4
	s_and_saveexec_b32 s3, s2
.LBB72_1882:
	v_lshrrev_b32_e32 v3, 24, v3
	s_delay_alu instid0(VALU_DEP_1)
	v_and_or_b32 v7, 0x80, v3, v6
.LBB72_1883:
	s_or_b32 exec_lo, exec_lo, s3
.LBB72_1884:
	s_delay_alu instid0(SALU_CYCLE_1)
	s_or_b32 exec_lo, exec_lo, s1
	s_mov_b32 s1, 0
	global_store_b8 v[0:1], v7, off
.LBB72_1885:
	s_and_b32 vcc_lo, exec_lo, s1
	s_cbranch_vccz .LBB72_1895
; %bb.1886:
	v_cvt_f32_f16_e32 v3, v4
	s_mov_b32 s1, exec_lo
                                        ; implicit-def: $vgpr6
	s_delay_alu instid0(VALU_DEP_1) | instskip(NEXT) | instid1(VALU_DEP_1)
	v_and_b32_e32 v7, 0x7fffffff, v3
	v_cmpx_gt_u32_e32 0x43f00000, v7
	s_xor_b32 s1, exec_lo, s1
	s_cbranch_execz .LBB72_1892
; %bb.1887:
	s_mov_b32 s2, exec_lo
                                        ; implicit-def: $vgpr6
	v_cmpx_lt_u32_e32 0x3c7fffff, v7
	s_xor_b32 s2, exec_lo, s2
; %bb.1888:
	v_bfe_u32 v6, v3, 20, 1
	s_delay_alu instid0(VALU_DEP_1) | instskip(NEXT) | instid1(VALU_DEP_1)
	v_add3_u32 v6, v3, v6, 0x407ffff
	v_and_b32_e32 v7, 0xff00000, v6
	v_lshrrev_b32_e32 v6, 20, v6
	s_delay_alu instid0(VALU_DEP_2) | instskip(NEXT) | instid1(VALU_DEP_2)
	v_cmp_ne_u32_e32 vcc_lo, 0x7f00000, v7
	v_cndmask_b32_e32 v6, 0x7e, v6, vcc_lo
; %bb.1889:
	s_and_not1_saveexec_b32 s2, s2
; %bb.1890:
	v_add_f32_e64 v6, 0x46800000, |v3|
; %bb.1891:
	s_or_b32 exec_lo, exec_lo, s2
                                        ; implicit-def: $vgpr7
.LBB72_1892:
	s_and_not1_saveexec_b32 s1, s1
; %bb.1893:
	v_mov_b32_e32 v6, 0x7f
	v_cmp_lt_u32_e32 vcc_lo, 0x7f800000, v7
	s_delay_alu instid0(VALU_DEP_2)
	v_cndmask_b32_e32 v6, 0x7e, v6, vcc_lo
; %bb.1894:
	s_or_b32 exec_lo, exec_lo, s1
	v_lshrrev_b32_e32 v3, 24, v3
	s_delay_alu instid0(VALU_DEP_1)
	v_and_or_b32 v3, 0x80, v3, v6
	global_store_b8 v[0:1], v3, off
.LBB72_1895:
	s_mov_b32 s1, 0
.LBB72_1896:
	s_delay_alu instid0(SALU_CYCLE_1)
	s_and_not1_b32 vcc_lo, exec_lo, s1
	s_cbranch_vccnz .LBB72_1906
; %bb.1897:
	v_cvt_f32_f16_e32 v3, v4
	s_mov_b32 s1, exec_lo
                                        ; implicit-def: $vgpr6
	s_delay_alu instid0(VALU_DEP_1) | instskip(NEXT) | instid1(VALU_DEP_1)
	v_and_b32_e32 v7, 0x7fffffff, v3
	v_cmpx_gt_u32_e32 0x47800000, v7
	s_xor_b32 s1, exec_lo, s1
	s_cbranch_execz .LBB72_1903
; %bb.1898:
	s_mov_b32 s2, exec_lo
                                        ; implicit-def: $vgpr6
	v_cmpx_lt_u32_e32 0x387fffff, v7
	s_xor_b32 s2, exec_lo, s2
; %bb.1899:
	v_bfe_u32 v6, v3, 21, 1
	s_delay_alu instid0(VALU_DEP_1) | instskip(NEXT) | instid1(VALU_DEP_1)
	v_add3_u32 v6, v3, v6, 0x80fffff
	v_lshrrev_b32_e32 v6, 21, v6
; %bb.1900:
	s_and_not1_saveexec_b32 s2, s2
; %bb.1901:
	v_add_f32_e64 v6, 0x43000000, |v3|
; %bb.1902:
	s_or_b32 exec_lo, exec_lo, s2
                                        ; implicit-def: $vgpr7
.LBB72_1903:
	s_and_not1_saveexec_b32 s1, s1
; %bb.1904:
	v_mov_b32_e32 v6, 0x7f
	v_cmp_lt_u32_e32 vcc_lo, 0x7f800000, v7
	s_delay_alu instid0(VALU_DEP_2)
	v_cndmask_b32_e32 v6, 0x7c, v6, vcc_lo
; %bb.1905:
	s_or_b32 exec_lo, exec_lo, s1
	v_lshrrev_b32_e32 v3, 24, v3
	s_delay_alu instid0(VALU_DEP_1)
	v_and_or_b32 v3, 0x80, v3, v6
	global_store_b8 v[0:1], v3, off
.LBB72_1906:
	s_mov_b32 s1, 0
	s_mov_b32 s2, -1
.LBB72_1907:
	s_and_not1_b32 vcc_lo, exec_lo, s1
	s_mov_b32 s1, 0
	s_cbranch_vccnz .LBB72_1914
; %bb.1908:
	v_cmp_lt_i16_e32 vcc_lo, 14, v21
	s_mov_b32 s1, -1
	s_cbranch_vccz .LBB72_1912
; %bb.1909:
	v_cmp_eq_u16_e32 vcc_lo, 15, v21
	s_mov_b32 s0, -1
	s_cbranch_vccz .LBB72_1911
; %bb.1910:
	v_cvt_f32_f16_e32 v3, v4
	v_cmp_o_f16_e32 vcc_lo, v4, v4
	s_mov_b32 s0, 0
	s_mov_b32 s2, -1
	s_delay_alu instid0(VALU_DEP_2) | instskip(NEXT) | instid1(VALU_DEP_1)
	v_bfe_u32 v6, v3, 16, 1
	v_add3_u32 v3, v3, v6, 0x7fff
	s_delay_alu instid0(VALU_DEP_1) | instskip(NEXT) | instid1(VALU_DEP_1)
	v_lshrrev_b32_e32 v3, 16, v3
	v_cndmask_b32_e32 v3, 0x7fc0, v3, vcc_lo
	global_store_b16 v[0:1], v3, off
.LBB72_1911:
	s_mov_b32 s1, 0
.LBB72_1912:
	s_delay_alu instid0(SALU_CYCLE_1)
	s_and_b32 vcc_lo, exec_lo, s1
	s_mov_b32 s1, 0
	s_cbranch_vccz .LBB72_1914
; %bb.1913:
	v_cmp_ne_u16_e64 s0, 11, v21
	s_mov_b32 s1, -1
.LBB72_1914:
	s_delay_alu instid0(VALU_DEP_1)
	s_and_b32 vcc_lo, exec_lo, s0
	s_cbranch_vccnz .LBB72_2104
; %bb.1915:
	s_and_not1_b32 vcc_lo, exec_lo, s1
	s_cbranch_vccnz .LBB72_1917
.LBB72_1916:
	v_and_b32_e32 v3, 0x7fff7fff, v5
	s_mov_b32 s2, -1
	s_delay_alu instid0(VALU_DEP_1)
	v_cmp_ne_u32_e32 vcc_lo, 0, v3
	v_cndmask_b32_e64 v3, 0, 1, vcc_lo
	global_store_b8 v[0:1], v3, off
.LBB72_1917:
	s_mov_b32 s0, 0
	s_branch .LBB72_1919
.LBB72_1918:
	s_mov_b32 s0, -1
	s_mov_b32 s2, 0
.LBB72_1919:
	s_and_b32 vcc_lo, exec_lo, s0
	s_cbranch_vccz .LBB72_1958
; %bb.1920:
	v_cmp_gt_i16_e32 vcc_lo, 5, v21
	s_mov_b32 s0, -1
	s_cbranch_vccnz .LBB72_1941
; %bb.1921:
	v_cmp_gt_i16_e32 vcc_lo, 8, v21
	s_cbranch_vccnz .LBB72_1931
; %bb.1922:
	v_cmp_gt_i16_e32 vcc_lo, 9, v21
	s_cbranch_vccnz .LBB72_1928
; %bb.1923:
	v_cmp_lt_i16_e32 vcc_lo, 9, v21
	v_cvt_f32_f16_e32 v3, v2
	s_cbranch_vccz .LBB72_1925
; %bb.1924:
	v_cvt_f32_f16_e32 v2, v4
	s_delay_alu instid0(VALU_DEP_2) | instskip(SKIP_1) | instid1(VALU_DEP_2)
	v_cvt_f64_f32_e32 v[8:9], v3
	s_mov_b32 s0, 0
	v_cvt_f64_f32_e32 v[6:7], v2
	global_store_b128 v[0:1], v[6:9], off
.LBB72_1925:
	s_and_not1_b32 vcc_lo, exec_lo, s0
	s_cbranch_vccnz .LBB72_1927
; %bb.1926:
	v_cvt_f32_f16_e32 v2, v4
	global_store_b64 v[0:1], v[2:3], off
.LBB72_1927:
	s_mov_b32 s0, 0
.LBB72_1928:
	s_delay_alu instid0(SALU_CYCLE_1)
	s_and_not1_b32 vcc_lo, exec_lo, s0
	s_cbranch_vccnz .LBB72_1930
; %bb.1929:
	global_store_b32 v[0:1], v5, off
.LBB72_1930:
	s_mov_b32 s0, 0
.LBB72_1931:
	s_delay_alu instid0(SALU_CYCLE_1)
	s_and_not1_b32 vcc_lo, exec_lo, s0
	s_cbranch_vccnz .LBB72_1940
; %bb.1932:
	v_cmp_gt_i16_e32 vcc_lo, 6, v21
	s_mov_b32 s0, -1
	s_cbranch_vccnz .LBB72_1938
; %bb.1933:
	v_cmp_lt_i16_e32 vcc_lo, 6, v21
	s_cbranch_vccz .LBB72_1935
; %bb.1934:
	v_cvt_f32_f16_e32 v2, v4
	s_mov_b32 s0, 0
	s_delay_alu instid0(VALU_DEP_1)
	v_cvt_f64_f32_e32 v[2:3], v2
	global_store_b64 v[0:1], v[2:3], off
.LBB72_1935:
	s_and_not1_b32 vcc_lo, exec_lo, s0
	s_cbranch_vccnz .LBB72_1937
; %bb.1936:
	v_cvt_f32_f16_e32 v2, v4
	global_store_b32 v[0:1], v2, off
.LBB72_1937:
	s_mov_b32 s0, 0
.LBB72_1938:
	s_delay_alu instid0(SALU_CYCLE_1)
	s_and_not1_b32 vcc_lo, exec_lo, s0
	s_cbranch_vccnz .LBB72_1940
; %bb.1939:
	global_store_b16 v[0:1], v4, off
.LBB72_1940:
	s_mov_b32 s0, 0
.LBB72_1941:
	s_delay_alu instid0(SALU_CYCLE_1)
	s_and_not1_b32 vcc_lo, exec_lo, s0
	s_cbranch_vccnz .LBB72_1957
; %bb.1942:
	v_cmp_gt_i16_e32 vcc_lo, 2, v21
	s_mov_b32 s0, -1
	s_cbranch_vccnz .LBB72_1952
; %bb.1943:
	v_cmp_gt_i16_e32 vcc_lo, 3, v21
	s_cbranch_vccnz .LBB72_1949
; %bb.1944:
	v_cmp_lt_i16_e32 vcc_lo, 3, v21
	s_cbranch_vccz .LBB72_1946
; %bb.1945:
	v_cvt_f32_f16_e32 v2, v4
	s_mov_b32 s0, 0
	s_delay_alu instid0(VALU_DEP_1) | instskip(NEXT) | instid1(VALU_DEP_1)
	v_cvt_i32_f32_e32 v2, v2
	v_ashrrev_i32_e32 v3, 31, v2
	global_store_b64 v[0:1], v[2:3], off
.LBB72_1946:
	s_and_not1_b32 vcc_lo, exec_lo, s0
	s_cbranch_vccnz .LBB72_1948
; %bb.1947:
	v_cvt_f32_f16_e32 v2, v4
	s_delay_alu instid0(VALU_DEP_1)
	v_cvt_i32_f32_e32 v2, v2
	global_store_b32 v[0:1], v2, off
.LBB72_1948:
	s_mov_b32 s0, 0
.LBB72_1949:
	s_delay_alu instid0(SALU_CYCLE_1)
	s_and_not1_b32 vcc_lo, exec_lo, s0
	s_cbranch_vccnz .LBB72_1951
; %bb.1950:
	v_cvt_i16_f16_e32 v2, v4
	global_store_b16 v[0:1], v2, off
.LBB72_1951:
	s_mov_b32 s0, 0
.LBB72_1952:
	s_delay_alu instid0(SALU_CYCLE_1)
	s_and_not1_b32 vcc_lo, exec_lo, s0
	s_cbranch_vccnz .LBB72_1957
; %bb.1953:
	v_cmp_lt_i16_e32 vcc_lo, 0, v21
	s_mov_b32 s0, -1
	s_cbranch_vccz .LBB72_1955
; %bb.1954:
	v_cvt_i16_f16_e32 v2, v4
	s_mov_b32 s0, 0
	global_store_b8 v[0:1], v2, off
.LBB72_1955:
	s_and_not1_b32 vcc_lo, exec_lo, s0
	s_cbranch_vccnz .LBB72_1957
; %bb.1956:
	v_cvt_f32_f16_e32 v2, v4
	s_delay_alu instid0(VALU_DEP_1)
	v_cvt_i32_f32_e32 v2, v2
	global_store_b8 v[0:1], v2, off
.LBB72_1957:
	s_mov_b32 s2, -1
.LBB72_1958:
	s_delay_alu instid0(SALU_CYCLE_1)
	s_and_not1_b32 vcc_lo, exec_lo, s2
	s_cbranch_vccnz .LBB72_2035
; %bb.1959:
	v_cvt_f32_f16_e32 v0, v24
	v_cvt_f32_f16_e32 v1, v26
	s_getpc_b64 s[0:1]
	s_add_u32 s0, s0, _ZN16c10_complex_math3expIfEEN3c107complexIT_EERKS4_@rel32@lo+4
	s_addc_u32 s1, s1, _ZN16c10_complex_math3expIfEEN3c107complexIT_EERKS4_@rel32@hi+12
	s_delay_alu instid0(SALU_CYCLE_1) | instskip(SKIP_4) | instid1(VALU_DEP_4)
	s_swappc_b64 s[30:31], s[0:1]
	v_add_nc_u32_e32 v4, s10, v17
	v_cmp_gt_i16_e32 vcc_lo, 11, v21
	v_cvt_f16_f32_e32 v2, v0
	v_cvt_f16_f32_e32 v3, v1
	v_ashrrev_i32_e32 v5, 31, v4
	v_add_co_u32 v0, s0, s16, v4
	s_delay_alu instid0(VALU_DEP_1)
	v_add_co_ci_u32_e64 v1, s0, s17, v5, s0
	s_cbranch_vccnz .LBB72_2080
; %bb.1960:
	v_cmp_lt_i16_e32 vcc_lo, 25, v21
	s_mov_b32 s2, -1
	s_mov_b32 s1, 0
	s_mov_b32 s0, 0
	s_cbranch_vccz .LBB72_1993
; %bb.1961:
	v_cmp_lt_i16_e32 vcc_lo, 28, v21
	s_cbranch_vccz .LBB72_1977
; %bb.1962:
	v_cmp_lt_i16_e32 vcc_lo, 43, v21
	;; [unrolled: 3-line block ×3, first 2 shown]
	s_cbranch_vccz .LBB72_1967
; %bb.1964:
	v_cmp_eq_u16_e32 vcc_lo, 46, v21
	s_mov_b32 s0, -1
	s_cbranch_vccz .LBB72_1966
; %bb.1965:
	v_cvt_f32_f16_e32 v4, v3
	v_cvt_f32_f16_e32 v5, v2
	v_cmp_o_f16_e32 vcc_lo, v3, v3
	s_mov_b32 s0, 0
	s_delay_alu instid0(VALU_DEP_3) | instskip(NEXT) | instid1(VALU_DEP_3)
	v_bfe_u32 v6, v4, 16, 1
	v_bfe_u32 v7, v5, 16, 1
	s_delay_alu instid0(VALU_DEP_2) | instskip(NEXT) | instid1(VALU_DEP_2)
	v_add3_u32 v4, v4, v6, 0x7fff
	v_add3_u32 v5, v5, v7, 0x7fff
	s_delay_alu instid0(VALU_DEP_2) | instskip(NEXT) | instid1(VALU_DEP_2)
	v_and_b32_e32 v4, 0xffff0000, v4
	v_lshrrev_b32_e32 v5, 16, v5
	s_delay_alu instid0(VALU_DEP_2) | instskip(SKIP_1) | instid1(VALU_DEP_3)
	v_cndmask_b32_e32 v4, 0x7fc00000, v4, vcc_lo
	v_cmp_o_f16_e32 vcc_lo, v2, v2
	v_cndmask_b32_e32 v5, 0x7fc0, v5, vcc_lo
	s_delay_alu instid0(VALU_DEP_1)
	v_or_b32_e32 v4, v4, v5
	global_store_b32 v[0:1], v4, off
.LBB72_1966:
	s_mov_b32 s2, 0
.LBB72_1967:
	s_delay_alu instid0(SALU_CYCLE_1)
	s_and_b32 vcc_lo, exec_lo, s2
	s_cbranch_vccz .LBB72_1972
; %bb.1968:
	v_cmp_eq_u16_e32 vcc_lo, 44, v21
	s_mov_b32 s0, -1
	s_cbranch_vccz .LBB72_1972
; %bb.1969:
	v_cvt_f32_f16_e32 v4, v2
	v_mov_b32_e32 v5, 0xff
	s_mov_b32 s2, exec_lo
	s_delay_alu instid0(VALU_DEP_2) | instskip(NEXT) | instid1(VALU_DEP_1)
	v_bfe_u32 v6, v4, 23, 8
	v_cmpx_ne_u32_e32 0xff, v6
; %bb.1970:
	v_and_b32_e32 v5, 0x400000, v4
	v_and_or_b32 v6, 0x3fffff, v4, v6
	v_lshrrev_b32_e32 v4, 23, v4
	s_delay_alu instid0(VALU_DEP_3) | instskip(NEXT) | instid1(VALU_DEP_3)
	v_cmp_ne_u32_e32 vcc_lo, 0, v5
	v_cmp_ne_u32_e64 s0, 0, v6
	s_delay_alu instid0(VALU_DEP_1) | instskip(NEXT) | instid1(SALU_CYCLE_1)
	s_and_b32 s0, vcc_lo, s0
	v_cndmask_b32_e64 v5, 0, 1, s0
	s_delay_alu instid0(VALU_DEP_1)
	v_add_nc_u32_e32 v5, v4, v5
; %bb.1971:
	s_or_b32 exec_lo, exec_lo, s2
	s_mov_b32 s0, 0
	global_store_b8 v[0:1], v5, off
.LBB72_1972:
	s_mov_b32 s2, 0
.LBB72_1973:
	s_delay_alu instid0(SALU_CYCLE_1)
	s_and_b32 vcc_lo, exec_lo, s2
	s_cbranch_vccz .LBB72_1976
; %bb.1974:
	v_cmp_eq_u16_e32 vcc_lo, 29, v21
	s_mov_b32 s0, -1
	s_cbranch_vccz .LBB72_1976
; %bb.1975:
	v_cvt_f32_f16_e32 v4, v2
	v_mov_b32_e32 v5, 0
	s_mov_b32 s0, 0
	s_delay_alu instid0(VALU_DEP_2)
	v_cvt_u32_f32_e32 v4, v4
	global_store_b64 v[0:1], v[4:5], off
.LBB72_1976:
	s_mov_b32 s2, 0
.LBB72_1977:
	s_delay_alu instid0(SALU_CYCLE_1)
	s_and_b32 vcc_lo, exec_lo, s2
	s_cbranch_vccz .LBB72_1992
; %bb.1978:
	v_cmp_gt_i16_e32 vcc_lo, 27, v21
	s_mov_b32 s2, -1
	s_cbranch_vccnz .LBB72_1984
; %bb.1979:
	v_cmp_lt_i16_e32 vcc_lo, 27, v21
	s_cbranch_vccz .LBB72_1981
; %bb.1980:
	v_cvt_f32_f16_e32 v4, v2
	s_mov_b32 s2, 0
	s_delay_alu instid0(VALU_DEP_1)
	v_cvt_u32_f32_e32 v4, v4
	global_store_b32 v[0:1], v4, off
.LBB72_1981:
	s_and_not1_b32 vcc_lo, exec_lo, s2
	s_cbranch_vccnz .LBB72_1983
; %bb.1982:
	v_cvt_u16_f16_e32 v4, v2
	global_store_b16 v[0:1], v4, off
.LBB72_1983:
	s_mov_b32 s2, 0
.LBB72_1984:
	s_delay_alu instid0(SALU_CYCLE_1)
	s_and_not1_b32 vcc_lo, exec_lo, s2
	s_cbranch_vccnz .LBB72_1992
; %bb.1985:
	v_cvt_f32_f16_e32 v4, v2
	v_mov_b32_e32 v6, 0x80
	s_mov_b32 s2, exec_lo
	s_delay_alu instid0(VALU_DEP_2) | instskip(NEXT) | instid1(VALU_DEP_1)
	v_and_b32_e32 v5, 0x7fffffff, v4
	v_cmpx_gt_u32_e32 0x43800000, v5
	s_cbranch_execz .LBB72_1991
; %bb.1986:
	v_cmp_lt_u32_e32 vcc_lo, 0x3bffffff, v5
	s_mov_b32 s3, 0
                                        ; implicit-def: $vgpr5
	s_and_saveexec_b32 s4, vcc_lo
	s_delay_alu instid0(SALU_CYCLE_1)
	s_xor_b32 s4, exec_lo, s4
	s_cbranch_execz .LBB72_2108
; %bb.1987:
	v_bfe_u32 v5, v4, 20, 1
	s_mov_b32 s3, exec_lo
	s_delay_alu instid0(VALU_DEP_1) | instskip(NEXT) | instid1(VALU_DEP_1)
	v_add3_u32 v5, v4, v5, 0x487ffff
	v_lshrrev_b32_e32 v5, 20, v5
	s_or_saveexec_b32 s4, s4
                                        ; implicit-def: $sgpr5
	s_delay_alu instid0(SALU_CYCLE_1)
	s_xor_b32 exec_lo, exec_lo, s4
	s_cbranch_execnz .LBB72_2109
.LBB72_1988:
	s_or_b32 exec_lo, exec_lo, s4
	v_mov_b32_e32 v6, s5
	s_and_saveexec_b32 s4, s3
.LBB72_1989:
	v_lshrrev_b32_e32 v4, 24, v4
	s_delay_alu instid0(VALU_DEP_1)
	v_and_or_b32 v6, 0x80, v4, v5
.LBB72_1990:
	s_or_b32 exec_lo, exec_lo, s4
.LBB72_1991:
	s_delay_alu instid0(SALU_CYCLE_1)
	s_or_b32 exec_lo, exec_lo, s2
	global_store_b8 v[0:1], v6, off
.LBB72_1992:
	s_mov_b32 s2, 0
.LBB72_1993:
	s_delay_alu instid0(SALU_CYCLE_1)
	s_and_b32 vcc_lo, exec_lo, s2
	s_cbranch_vccz .LBB72_2033
; %bb.1994:
	v_cmp_lt_i16_e32 vcc_lo, 22, v21
	s_mov_b32 s1, -1
	s_cbranch_vccz .LBB72_2026
; %bb.1995:
	v_cmp_gt_i16_e32 vcc_lo, 24, v21
	s_cbranch_vccnz .LBB72_2015
; %bb.1996:
	v_cmp_lt_i16_e32 vcc_lo, 24, v21
	s_cbranch_vccz .LBB72_2004
; %bb.1997:
	v_cvt_f32_f16_e32 v4, v2
	v_mov_b32_e32 v6, 0x80
	s_mov_b32 s1, exec_lo
	s_delay_alu instid0(VALU_DEP_2) | instskip(NEXT) | instid1(VALU_DEP_1)
	v_and_b32_e32 v5, 0x7fffffff, v4
	v_cmpx_gt_u32_e32 0x47800000, v5
	s_cbranch_execz .LBB72_2003
; %bb.1998:
	v_cmp_lt_u32_e32 vcc_lo, 0x37ffffff, v5
	s_mov_b32 s2, 0
                                        ; implicit-def: $vgpr5
	s_and_saveexec_b32 s3, vcc_lo
	s_delay_alu instid0(SALU_CYCLE_1)
	s_xor_b32 s3, exec_lo, s3
	s_cbranch_execz .LBB72_2114
; %bb.1999:
	v_bfe_u32 v5, v4, 21, 1
	s_mov_b32 s2, exec_lo
	s_delay_alu instid0(VALU_DEP_1) | instskip(NEXT) | instid1(VALU_DEP_1)
	v_add3_u32 v5, v4, v5, 0x88fffff
	v_lshrrev_b32_e32 v5, 21, v5
	s_or_saveexec_b32 s3, s3
                                        ; implicit-def: $sgpr4
	s_delay_alu instid0(SALU_CYCLE_1)
	s_xor_b32 exec_lo, exec_lo, s3
	s_cbranch_execnz .LBB72_2115
.LBB72_2000:
	s_or_b32 exec_lo, exec_lo, s3
	v_mov_b32_e32 v6, s4
	s_and_saveexec_b32 s3, s2
.LBB72_2001:
	v_lshrrev_b32_e32 v4, 24, v4
	s_delay_alu instid0(VALU_DEP_1)
	v_and_or_b32 v6, 0x80, v4, v5
.LBB72_2002:
	s_or_b32 exec_lo, exec_lo, s3
.LBB72_2003:
	s_delay_alu instid0(SALU_CYCLE_1)
	s_or_b32 exec_lo, exec_lo, s1
	s_mov_b32 s1, 0
	global_store_b8 v[0:1], v6, off
.LBB72_2004:
	s_and_b32 vcc_lo, exec_lo, s1
	s_cbranch_vccz .LBB72_2014
; %bb.2005:
	v_cvt_f32_f16_e32 v4, v2
	s_mov_b32 s1, exec_lo
                                        ; implicit-def: $vgpr5
	s_delay_alu instid0(VALU_DEP_1) | instskip(NEXT) | instid1(VALU_DEP_1)
	v_and_b32_e32 v6, 0x7fffffff, v4
	v_cmpx_gt_u32_e32 0x43f00000, v6
	s_xor_b32 s1, exec_lo, s1
	s_cbranch_execz .LBB72_2011
; %bb.2006:
	s_mov_b32 s2, exec_lo
                                        ; implicit-def: $vgpr5
	v_cmpx_lt_u32_e32 0x3c7fffff, v6
	s_xor_b32 s2, exec_lo, s2
; %bb.2007:
	v_bfe_u32 v5, v4, 20, 1
	s_delay_alu instid0(VALU_DEP_1) | instskip(NEXT) | instid1(VALU_DEP_1)
	v_add3_u32 v5, v4, v5, 0x407ffff
	v_and_b32_e32 v6, 0xff00000, v5
	v_lshrrev_b32_e32 v5, 20, v5
	s_delay_alu instid0(VALU_DEP_2) | instskip(NEXT) | instid1(VALU_DEP_2)
	v_cmp_ne_u32_e32 vcc_lo, 0x7f00000, v6
	v_cndmask_b32_e32 v5, 0x7e, v5, vcc_lo
; %bb.2008:
	s_and_not1_saveexec_b32 s2, s2
; %bb.2009:
	v_add_f32_e64 v5, 0x46800000, |v4|
; %bb.2010:
	s_or_b32 exec_lo, exec_lo, s2
                                        ; implicit-def: $vgpr6
.LBB72_2011:
	s_and_not1_saveexec_b32 s1, s1
; %bb.2012:
	v_mov_b32_e32 v5, 0x7f
	v_cmp_lt_u32_e32 vcc_lo, 0x7f800000, v6
	s_delay_alu instid0(VALU_DEP_2)
	v_cndmask_b32_e32 v5, 0x7e, v5, vcc_lo
; %bb.2013:
	s_or_b32 exec_lo, exec_lo, s1
	v_lshrrev_b32_e32 v4, 24, v4
	s_delay_alu instid0(VALU_DEP_1)
	v_and_or_b32 v4, 0x80, v4, v5
	global_store_b8 v[0:1], v4, off
.LBB72_2014:
	s_mov_b32 s1, 0
.LBB72_2015:
	s_delay_alu instid0(SALU_CYCLE_1)
	s_and_not1_b32 vcc_lo, exec_lo, s1
	s_cbranch_vccnz .LBB72_2025
; %bb.2016:
	v_cvt_f32_f16_e32 v4, v2
	s_mov_b32 s1, exec_lo
                                        ; implicit-def: $vgpr5
	s_delay_alu instid0(VALU_DEP_1) | instskip(NEXT) | instid1(VALU_DEP_1)
	v_and_b32_e32 v6, 0x7fffffff, v4
	v_cmpx_gt_u32_e32 0x47800000, v6
	s_xor_b32 s1, exec_lo, s1
	s_cbranch_execz .LBB72_2022
; %bb.2017:
	s_mov_b32 s2, exec_lo
                                        ; implicit-def: $vgpr5
	v_cmpx_lt_u32_e32 0x387fffff, v6
	s_xor_b32 s2, exec_lo, s2
; %bb.2018:
	v_bfe_u32 v5, v4, 21, 1
	s_delay_alu instid0(VALU_DEP_1) | instskip(NEXT) | instid1(VALU_DEP_1)
	v_add3_u32 v5, v4, v5, 0x80fffff
	v_lshrrev_b32_e32 v5, 21, v5
; %bb.2019:
	s_and_not1_saveexec_b32 s2, s2
; %bb.2020:
	v_add_f32_e64 v5, 0x43000000, |v4|
; %bb.2021:
	s_or_b32 exec_lo, exec_lo, s2
                                        ; implicit-def: $vgpr6
.LBB72_2022:
	s_and_not1_saveexec_b32 s1, s1
; %bb.2023:
	v_mov_b32_e32 v5, 0x7f
	v_cmp_lt_u32_e32 vcc_lo, 0x7f800000, v6
	s_delay_alu instid0(VALU_DEP_2)
	v_cndmask_b32_e32 v5, 0x7c, v5, vcc_lo
; %bb.2024:
	s_or_b32 exec_lo, exec_lo, s1
	v_lshrrev_b32_e32 v4, 24, v4
	s_delay_alu instid0(VALU_DEP_1)
	v_and_or_b32 v4, 0x80, v4, v5
	global_store_b8 v[0:1], v4, off
.LBB72_2025:
	s_mov_b32 s1, 0
.LBB72_2026:
	s_delay_alu instid0(SALU_CYCLE_1)
	s_and_not1_b32 vcc_lo, exec_lo, s1
	s_mov_b32 s1, 0
	s_cbranch_vccnz .LBB72_2033
; %bb.2027:
	v_cmp_lt_i16_e32 vcc_lo, 14, v21
	s_mov_b32 s1, -1
	s_cbranch_vccz .LBB72_2031
; %bb.2028:
	v_cmp_eq_u16_e32 vcc_lo, 15, v21
	s_mov_b32 s0, -1
	s_cbranch_vccz .LBB72_2030
; %bb.2029:
	v_cvt_f32_f16_e32 v4, v2
	v_cmp_o_f16_e32 vcc_lo, v2, v2
	s_mov_b32 s0, 0
	s_delay_alu instid0(VALU_DEP_2) | instskip(NEXT) | instid1(VALU_DEP_1)
	v_bfe_u32 v5, v4, 16, 1
	v_add3_u32 v4, v4, v5, 0x7fff
	s_delay_alu instid0(VALU_DEP_1) | instskip(NEXT) | instid1(VALU_DEP_1)
	v_lshrrev_b32_e32 v4, 16, v4
	v_cndmask_b32_e32 v4, 0x7fc0, v4, vcc_lo
	global_store_b16 v[0:1], v4, off
.LBB72_2030:
	s_mov_b32 s1, 0
.LBB72_2031:
	s_delay_alu instid0(SALU_CYCLE_1)
	s_and_b32 vcc_lo, exec_lo, s1
	s_mov_b32 s1, 0
	s_cbranch_vccz .LBB72_2033
; %bb.2032:
	v_cmp_ne_u16_e64 s0, 11, v21
	s_mov_b32 s1, -1
.LBB72_2033:
	s_delay_alu instid0(VALU_DEP_1)
	s_and_b32 vcc_lo, exec_lo, s0
	s_cbranch_vccnz .LBB72_2112
.LBB72_2034:
	s_mov_b32 s0, 0
	s_branch .LBB72_2081
.LBB72_2035:
	s_mov_b32 s0, 0
	s_mov_b32 s1, 0
                                        ; implicit-def: $vgpr21
                                        ; implicit-def: $vgpr0_vgpr1
                                        ; implicit-def: $vgpr4
                                        ; implicit-def: $vgpr3
                                        ; implicit-def: $vgpr2
.LBB72_2036:
	s_and_not1_b32 s2, s13, exec_lo
	s_and_b32 s3, s9, exec_lo
	s_and_b32 s0, s0, exec_lo
	;; [unrolled: 1-line block ×3, first 2 shown]
	s_or_b32 s13, s2, s3
.LBB72_2037:
	s_or_b32 exec_lo, exec_lo, s12
	s_and_saveexec_b32 s1, s13
	s_cbranch_execz .LBB72_2040
; %bb.2038:
	; divergent unreachable
	s_or_b32 exec_lo, exec_lo, s1
	s_and_saveexec_b32 s1, s9
	s_delay_alu instid0(SALU_CYCLE_1)
	s_xor_b32 s1, exec_lo, s1
	s_cbranch_execnz .LBB72_2041
.LBB72_2039:
	s_or_b32 exec_lo, exec_lo, s1
	s_and_saveexec_b32 s1, s0
	s_cbranch_execnz .LBB72_2042
	s_branch .LBB72_2079
.LBB72_2040:
	s_or_b32 exec_lo, exec_lo, s1
	s_and_saveexec_b32 s1, s9
	s_delay_alu instid0(SALU_CYCLE_1)
	s_xor_b32 s1, exec_lo, s1
	s_cbranch_execz .LBB72_2039
.LBB72_2041:
	s_waitcnt vmcnt(0)
	v_and_b32_e32 v5, 0x7fff7fff, v4
	s_delay_alu instid0(VALU_DEP_1)
	v_cmp_ne_u32_e32 vcc_lo, 0, v5
	v_cndmask_b32_e64 v5, 0, 1, vcc_lo
	global_store_b8 v[0:1], v5, off
	s_or_b32 exec_lo, exec_lo, s1
	s_and_saveexec_b32 s1, s0
	s_cbranch_execz .LBB72_2079
.LBB72_2042:
	v_cmp_gt_i16_e32 vcc_lo, 5, v21
	s_mov_b32 s0, -1
	s_cbranch_vccnz .LBB72_2063
; %bb.2043:
	v_cmp_gt_i16_e32 vcc_lo, 8, v21
	s_cbranch_vccnz .LBB72_2053
; %bb.2044:
	v_cmp_gt_i16_e32 vcc_lo, 9, v21
	s_cbranch_vccnz .LBB72_2050
; %bb.2045:
	v_cmp_lt_i16_e32 vcc_lo, 9, v21
	s_cbranch_vccz .LBB72_2047
; %bb.2046:
	s_waitcnt vmcnt(0)
	v_cvt_f32_f16_e32 v5, v2
	v_cvt_f32_f16_e32 v7, v3
	s_mov_b32 s0, 0
	s_delay_alu instid0(VALU_DEP_2) | instskip(NEXT) | instid1(VALU_DEP_2)
	v_cvt_f64_f32_e32 v[5:6], v5
	v_cvt_f64_f32_e32 v[7:8], v7
	global_store_b128 v[0:1], v[5:8], off
.LBB72_2047:
	s_and_not1_b32 vcc_lo, exec_lo, s0
	s_cbranch_vccnz .LBB72_2049
; %bb.2048:
	s_waitcnt vmcnt(0)
	v_cvt_f32_f16_e32 v5, v2
	v_cvt_f32_f16_e32 v6, v3
	global_store_b64 v[0:1], v[5:6], off
.LBB72_2049:
	s_mov_b32 s0, 0
.LBB72_2050:
	s_delay_alu instid0(SALU_CYCLE_1)
	s_and_not1_b32 vcc_lo, exec_lo, s0
	s_cbranch_vccnz .LBB72_2052
; %bb.2051:
	s_waitcnt vmcnt(0)
	global_store_b32 v[0:1], v4, off
.LBB72_2052:
	s_mov_b32 s0, 0
.LBB72_2053:
	s_delay_alu instid0(SALU_CYCLE_1)
	s_and_not1_b32 vcc_lo, exec_lo, s0
	s_cbranch_vccnz .LBB72_2062
; %bb.2054:
	v_cmp_gt_i16_e32 vcc_lo, 6, v21
	s_mov_b32 s0, -1
	s_cbranch_vccnz .LBB72_2060
; %bb.2055:
	v_cmp_lt_i16_e32 vcc_lo, 6, v21
	s_cbranch_vccz .LBB72_2057
; %bb.2056:
	s_waitcnt vmcnt(0)
	v_cvt_f32_f16_e32 v3, v2
	s_mov_b32 s0, 0
	s_delay_alu instid0(VALU_DEP_1)
	v_cvt_f64_f32_e32 v[3:4], v3
	global_store_b64 v[0:1], v[3:4], off
.LBB72_2057:
	s_and_not1_b32 vcc_lo, exec_lo, s0
	s_cbranch_vccnz .LBB72_2059
; %bb.2058:
	s_waitcnt vmcnt(0)
	v_cvt_f32_f16_e32 v3, v2
	global_store_b32 v[0:1], v3, off
.LBB72_2059:
	s_mov_b32 s0, 0
.LBB72_2060:
	s_delay_alu instid0(SALU_CYCLE_1)
	s_and_not1_b32 vcc_lo, exec_lo, s0
	s_cbranch_vccnz .LBB72_2062
; %bb.2061:
	s_waitcnt vmcnt(0)
	global_store_b16 v[0:1], v2, off
.LBB72_2062:
	s_mov_b32 s0, 0
.LBB72_2063:
	s_delay_alu instid0(SALU_CYCLE_1)
	s_and_not1_b32 vcc_lo, exec_lo, s0
	s_cbranch_vccnz .LBB72_2079
; %bb.2064:
	v_cmp_gt_i16_e32 vcc_lo, 2, v21
	s_mov_b32 s0, -1
	s_cbranch_vccnz .LBB72_2074
; %bb.2065:
	v_cmp_gt_i16_e32 vcc_lo, 3, v21
	s_cbranch_vccnz .LBB72_2071
; %bb.2066:
	v_cmp_lt_i16_e32 vcc_lo, 3, v21
	s_cbranch_vccz .LBB72_2068
; %bb.2067:
	s_waitcnt vmcnt(0)
	v_cvt_f32_f16_e32 v3, v2
	s_mov_b32 s0, 0
	s_delay_alu instid0(VALU_DEP_1) | instskip(NEXT) | instid1(VALU_DEP_1)
	v_cvt_i32_f32_e32 v3, v3
	v_ashrrev_i32_e32 v4, 31, v3
	global_store_b64 v[0:1], v[3:4], off
.LBB72_2068:
	s_and_not1_b32 vcc_lo, exec_lo, s0
	s_cbranch_vccnz .LBB72_2070
; %bb.2069:
	s_waitcnt vmcnt(0)
	v_cvt_f32_f16_e32 v3, v2
	s_delay_alu instid0(VALU_DEP_1)
	v_cvt_i32_f32_e32 v3, v3
	global_store_b32 v[0:1], v3, off
.LBB72_2070:
	s_mov_b32 s0, 0
.LBB72_2071:
	s_delay_alu instid0(SALU_CYCLE_1)
	s_and_not1_b32 vcc_lo, exec_lo, s0
	s_cbranch_vccnz .LBB72_2073
; %bb.2072:
	s_waitcnt vmcnt(0)
	v_cvt_i16_f16_e32 v3, v2
	global_store_b16 v[0:1], v3, off
.LBB72_2073:
	s_mov_b32 s0, 0
.LBB72_2074:
	s_delay_alu instid0(SALU_CYCLE_1)
	s_and_not1_b32 vcc_lo, exec_lo, s0
	s_cbranch_vccnz .LBB72_2079
; %bb.2075:
	v_cmp_lt_i16_e32 vcc_lo, 0, v21
	s_mov_b32 s0, -1
	s_cbranch_vccz .LBB72_2077
; %bb.2076:
	s_waitcnt vmcnt(0)
	v_cvt_i16_f16_e32 v3, v2
	s_mov_b32 s0, 0
	global_store_b8 v[0:1], v3, off
.LBB72_2077:
	s_and_not1_b32 vcc_lo, exec_lo, s0
	s_cbranch_vccnz .LBB72_2079
; %bb.2078:
	s_waitcnt vmcnt(0)
	v_cvt_f32_f16_e32 v2, v2
	s_delay_alu instid0(VALU_DEP_1)
	v_cvt_i32_f32_e32 v2, v2
	global_store_b8 v[0:1], v2, off
	s_endpgm
.LBB72_2079:
	s_endpgm
.LBB72_2080:
	s_mov_b32 s1, 0
	s_mov_b32 s0, -1
.LBB72_2081:
	v_lshlrev_b32_e32 v4, 16, v3
	v_and_b32_e32 v5, 0xffff, v2
	s_delay_alu instid0(VALU_DEP_1)
	v_or_b32_e32 v4, v4, v5
	s_branch .LBB72_2036
.LBB72_2082:
	s_cbranch_execnz .LBB72_2086
; %bb.2083:
	s_or_b32 s9, s9, exec_lo
                                        ; implicit-def: $vgpr26
                                        ; implicit-def: $vgpr24
	s_cbranch_execz .LBB72_1548
	s_branch .LBB72_1549
.LBB72_2084:
	s_or_saveexec_b32 s4, s4
                                        ; implicit-def: $sgpr5
	s_delay_alu instid0(SALU_CYCLE_1)
	s_xor_b32 exec_lo, exec_lo, s4
	s_cbranch_execz .LBB72_1630
.LBB72_2085:
	v_add_f32_e64 v6, 0x46000000, |v5|
	s_and_not1_b32 s3, s3, exec_lo
	s_mov_b32 s5, 0
	s_delay_alu instid0(VALU_DEP_1) | instskip(NEXT) | instid1(VALU_DEP_1)
	v_and_b32_e32 v6, 0xff, v6
	v_cmp_ne_u32_e32 vcc_lo, 0, v6
	s_and_b32 s6, vcc_lo, exec_lo
	s_delay_alu instid0(SALU_CYCLE_1)
	s_or_b32 s3, s3, s6
	s_or_b32 exec_lo, exec_lo, s4
	v_mov_b32_e32 v7, s5
	s_and_saveexec_b32 s4, s3
	s_cbranch_execnz .LBB72_1631
	s_branch .LBB72_1632
.LBB72_2086:
	s_trap 2
	s_sendmsg_rtn_b32 s0, sendmsg(MSG_RTN_GET_DOORBELL)
	s_mov_b32 ttmp2, m0
	s_waitcnt lgkmcnt(0)
	s_and_b32 s0, s0, 0x3ff
	s_delay_alu instid0(SALU_CYCLE_1) | instskip(NEXT) | instid1(SALU_CYCLE_1)
	s_bitset1_b32 s0, 10
	s_mov_b32 m0, s0
	s_sendmsg sendmsg(MSG_INTERRUPT)
	s_mov_b32 m0, ttmp2
.LBB72_2087:                            ; =>This Inner Loop Header: Depth=1
	s_sethalt 5
	s_branch .LBB72_2087
.LBB72_2088:
	s_cbranch_execnz .LBB72_2094
; %bb.2089:
	s_or_b32 s9, s9, exec_lo
	s_cbranch_execz .LBB72_1678
	s_branch .LBB72_1679
.LBB72_2090:
	s_or_saveexec_b32 s3, s3
                                        ; implicit-def: $sgpr4
	s_delay_alu instid0(SALU_CYCLE_1)
	s_xor_b32 exec_lo, exec_lo, s3
	s_cbranch_execz .LBB72_1643
.LBB72_2091:
	v_add_f32_e64 v6, 0x42800000, |v5|
	s_and_not1_b32 s2, s2, exec_lo
	s_mov_b32 s4, 0
	s_delay_alu instid0(VALU_DEP_1) | instskip(NEXT) | instid1(VALU_DEP_1)
	v_and_b32_e32 v6, 0xff, v6
	v_cmp_ne_u32_e32 vcc_lo, 0, v6
	s_and_b32 s5, vcc_lo, exec_lo
	s_delay_alu instid0(SALU_CYCLE_1)
	s_or_b32 s2, s2, s5
	s_or_b32 exec_lo, exec_lo, s3
	v_mov_b32_e32 v7, s4
	s_and_saveexec_b32 s3, s2
	s_cbranch_execnz .LBB72_1644
	s_branch .LBB72_1645
.LBB72_2092:
	s_or_saveexec_b32 s4, s4
                                        ; implicit-def: $sgpr5
	s_delay_alu instid0(SALU_CYCLE_1)
	s_xor_b32 exec_lo, exec_lo, s4
	s_cbranch_execz .LBB72_1749
.LBB72_2093:
	v_add_f32_e64 v6, 0x46000000, |v3|
	s_and_not1_b32 s3, s3, exec_lo
	s_mov_b32 s5, 0
	s_delay_alu instid0(VALU_DEP_1) | instskip(NEXT) | instid1(VALU_DEP_1)
	v_and_b32_e32 v6, 0xff, v6
	v_cmp_ne_u32_e32 vcc_lo, 0, v6
	s_and_b32 s6, vcc_lo, exec_lo
	s_delay_alu instid0(SALU_CYCLE_1)
	s_or_b32 s3, s3, s6
	s_or_b32 exec_lo, exec_lo, s4
	v_mov_b32_e32 v7, s5
	s_and_saveexec_b32 s4, s3
	s_cbranch_execnz .LBB72_1750
	s_branch .LBB72_1751
.LBB72_2094:
	s_trap 2
	s_sendmsg_rtn_b32 s0, sendmsg(MSG_RTN_GET_DOORBELL)
	s_mov_b32 ttmp2, m0
	s_waitcnt lgkmcnt(0)
	s_and_b32 s0, s0, 0x3ff
	s_delay_alu instid0(SALU_CYCLE_1) | instskip(NEXT) | instid1(SALU_CYCLE_1)
	s_bitset1_b32 s0, 10
	s_mov_b32 m0, s0
	s_sendmsg sendmsg(MSG_INTERRUPT)
	s_mov_b32 m0, ttmp2
.LBB72_2095:                            ; =>This Inner Loop Header: Depth=1
	s_sethalt 5
	s_branch .LBB72_2095
.LBB72_2096:
	s_cbranch_execnz .LBB72_2102
; %bb.2097:
	s_or_b32 s9, s9, exec_lo
	s_cbranch_execz .LBB72_1797
	s_branch .LBB72_1798
.LBB72_2098:
	s_or_saveexec_b32 s3, s3
                                        ; implicit-def: $sgpr4
	s_delay_alu instid0(SALU_CYCLE_1)
	s_xor_b32 exec_lo, exec_lo, s3
	s_cbranch_execz .LBB72_1762
.LBB72_2099:
	v_add_f32_e64 v6, 0x42800000, |v3|
	s_and_not1_b32 s2, s2, exec_lo
	s_mov_b32 s4, 0
	s_delay_alu instid0(VALU_DEP_1) | instskip(NEXT) | instid1(VALU_DEP_1)
	v_and_b32_e32 v6, 0xff, v6
	v_cmp_ne_u32_e32 vcc_lo, 0, v6
	s_and_b32 s5, vcc_lo, exec_lo
	s_delay_alu instid0(SALU_CYCLE_1)
	s_or_b32 s2, s2, s5
	s_or_b32 exec_lo, exec_lo, s3
	v_mov_b32_e32 v7, s4
	s_and_saveexec_b32 s3, s2
	s_cbranch_execnz .LBB72_1763
	s_branch .LBB72_1764
.LBB72_2100:
	s_or_saveexec_b32 s4, s4
                                        ; implicit-def: $sgpr5
	s_delay_alu instid0(SALU_CYCLE_1)
	s_xor_b32 exec_lo, exec_lo, s4
	s_cbranch_execz .LBB72_1868
.LBB72_2101:
	v_add_f32_e64 v6, 0x46000000, |v3|
	s_and_not1_b32 s3, s3, exec_lo
	s_mov_b32 s5, 0
	s_delay_alu instid0(VALU_DEP_1) | instskip(NEXT) | instid1(VALU_DEP_1)
	v_and_b32_e32 v6, 0xff, v6
	v_cmp_ne_u32_e32 vcc_lo, 0, v6
	s_and_b32 s6, vcc_lo, exec_lo
	s_delay_alu instid0(SALU_CYCLE_1)
	s_or_b32 s3, s3, s6
	s_or_b32 exec_lo, exec_lo, s4
	v_mov_b32_e32 v7, s5
	s_and_saveexec_b32 s4, s3
	s_cbranch_execnz .LBB72_1869
	s_branch .LBB72_1870
.LBB72_2102:
	s_trap 2
	s_sendmsg_rtn_b32 s0, sendmsg(MSG_RTN_GET_DOORBELL)
	s_mov_b32 ttmp2, m0
	s_waitcnt lgkmcnt(0)
	s_and_b32 s0, s0, 0x3ff
	s_delay_alu instid0(SALU_CYCLE_1) | instskip(NEXT) | instid1(SALU_CYCLE_1)
	s_bitset1_b32 s0, 10
	s_mov_b32 m0, s0
	s_sendmsg sendmsg(MSG_INTERRUPT)
	s_mov_b32 m0, ttmp2
.LBB72_2103:                            ; =>This Inner Loop Header: Depth=1
	s_sethalt 5
	s_branch .LBB72_2103
.LBB72_2104:
	s_cbranch_execnz .LBB72_2110
; %bb.2105:
	s_or_b32 s9, s9, exec_lo
	s_cbranch_execz .LBB72_1916
	s_branch .LBB72_1917
.LBB72_2106:
	s_or_saveexec_b32 s3, s3
                                        ; implicit-def: $sgpr4
	s_delay_alu instid0(SALU_CYCLE_1)
	s_xor_b32 exec_lo, exec_lo, s3
	s_cbranch_execz .LBB72_1881
.LBB72_2107:
	v_add_f32_e64 v6, 0x42800000, |v3|
	s_and_not1_b32 s2, s2, exec_lo
	s_mov_b32 s4, 0
	s_delay_alu instid0(VALU_DEP_1) | instskip(NEXT) | instid1(VALU_DEP_1)
	v_and_b32_e32 v6, 0xff, v6
	v_cmp_ne_u32_e32 vcc_lo, 0, v6
	s_and_b32 s5, vcc_lo, exec_lo
	s_delay_alu instid0(SALU_CYCLE_1)
	s_or_b32 s2, s2, s5
	s_or_b32 exec_lo, exec_lo, s3
	v_mov_b32_e32 v7, s4
	s_and_saveexec_b32 s3, s2
	s_cbranch_execnz .LBB72_1882
	s_branch .LBB72_1883
.LBB72_2108:
	s_or_saveexec_b32 s4, s4
                                        ; implicit-def: $sgpr5
	s_delay_alu instid0(SALU_CYCLE_1)
	s_xor_b32 exec_lo, exec_lo, s4
	s_cbranch_execz .LBB72_1988
.LBB72_2109:
	v_add_f32_e64 v5, 0x46000000, |v4|
	s_and_not1_b32 s3, s3, exec_lo
	s_mov_b32 s5, 0
	s_delay_alu instid0(VALU_DEP_1) | instskip(NEXT) | instid1(VALU_DEP_1)
	v_and_b32_e32 v5, 0xff, v5
	v_cmp_ne_u32_e32 vcc_lo, 0, v5
	s_and_b32 s6, vcc_lo, exec_lo
	s_delay_alu instid0(SALU_CYCLE_1)
	s_or_b32 s3, s3, s6
	s_or_b32 exec_lo, exec_lo, s4
	v_mov_b32_e32 v6, s5
	s_and_saveexec_b32 s4, s3
	s_cbranch_execnz .LBB72_1989
	s_branch .LBB72_1990
.LBB72_2110:
	s_trap 2
	s_sendmsg_rtn_b32 s0, sendmsg(MSG_RTN_GET_DOORBELL)
	s_mov_b32 ttmp2, m0
	s_waitcnt lgkmcnt(0)
	s_and_b32 s0, s0, 0x3ff
	s_delay_alu instid0(SALU_CYCLE_1) | instskip(NEXT) | instid1(SALU_CYCLE_1)
	s_bitset1_b32 s0, 10
	s_mov_b32 m0, s0
	s_sendmsg sendmsg(MSG_INTERRUPT)
	s_mov_b32 m0, ttmp2
.LBB72_2111:                            ; =>This Inner Loop Header: Depth=1
	s_sethalt 5
	s_branch .LBB72_2111
.LBB72_2112:
	s_cbranch_execnz .LBB72_2116
; %bb.2113:
	s_mov_b32 s1, 0
	s_or_b32 s9, s9, exec_lo
	s_branch .LBB72_2034
.LBB72_2114:
	s_or_saveexec_b32 s3, s3
                                        ; implicit-def: $sgpr4
	s_delay_alu instid0(SALU_CYCLE_1)
	s_xor_b32 exec_lo, exec_lo, s3
	s_cbranch_execz .LBB72_2000
.LBB72_2115:
	v_add_f32_e64 v5, 0x42800000, |v4|
	s_and_not1_b32 s2, s2, exec_lo
	s_mov_b32 s4, 0
	s_delay_alu instid0(VALU_DEP_1) | instskip(NEXT) | instid1(VALU_DEP_1)
	v_and_b32_e32 v5, 0xff, v5
	v_cmp_ne_u32_e32 vcc_lo, 0, v5
	s_and_b32 s5, vcc_lo, exec_lo
	s_delay_alu instid0(SALU_CYCLE_1)
	s_or_b32 s2, s2, s5
	s_or_b32 exec_lo, exec_lo, s3
	v_mov_b32_e32 v6, s4
	s_and_saveexec_b32 s3, s2
	s_cbranch_execnz .LBB72_2001
	s_branch .LBB72_2002
.LBB72_2116:
	s_trap 2
	s_sendmsg_rtn_b32 s0, sendmsg(MSG_RTN_GET_DOORBELL)
	s_mov_b32 ttmp2, m0
	s_waitcnt lgkmcnt(0)
	s_and_b32 s0, s0, 0x3ff
	s_delay_alu instid0(SALU_CYCLE_1) | instskip(NEXT) | instid1(SALU_CYCLE_1)
	s_bitset1_b32 s0, 10
	s_mov_b32 m0, s0
	s_sendmsg sendmsg(MSG_INTERRUPT)
	s_mov_b32 m0, ttmp2
.LBB72_2117:                            ; =>This Inner Loop Header: Depth=1
	s_sethalt 5
	s_branch .LBB72_2117
	.section	.rodata,"a",@progbits
	.p2align	6, 0x0
	.amdhsa_kernel _ZN2at6native32elementwise_kernel_manual_unrollILi128ELi4EZNS0_15gpu_kernel_implIZZZNS0_15exp_kernel_cudaERNS_18TensorIteratorBaseEENKUlvE_clEvENKUlvE1_clEvEUlN3c107complexINS7_4HalfEEEE_EEvS4_RKT_EUlibE_EEviT1_
		.amdhsa_group_segment_fixed_size 0
		.amdhsa_private_segment_fixed_size 0
		.amdhsa_kernarg_size 40
		.amdhsa_user_sgpr_count 15
		.amdhsa_user_sgpr_dispatch_ptr 0
		.amdhsa_user_sgpr_queue_ptr 0
		.amdhsa_user_sgpr_kernarg_segment_ptr 1
		.amdhsa_user_sgpr_dispatch_id 0
		.amdhsa_user_sgpr_private_segment_size 0
		.amdhsa_wavefront_size32 1
		.amdhsa_uses_dynamic_stack 0
		.amdhsa_enable_private_segment 0
		.amdhsa_system_sgpr_workgroup_id_x 1
		.amdhsa_system_sgpr_workgroup_id_y 0
		.amdhsa_system_sgpr_workgroup_id_z 0
		.amdhsa_system_sgpr_workgroup_info 0
		.amdhsa_system_vgpr_workitem_id 0
		.amdhsa_next_free_vgpr 27
		.amdhsa_next_free_sgpr 33
		.amdhsa_reserve_vcc 1
		.amdhsa_float_round_mode_32 0
		.amdhsa_float_round_mode_16_64 0
		.amdhsa_float_denorm_mode_32 3
		.amdhsa_float_denorm_mode_16_64 3
		.amdhsa_dx10_clamp 1
		.amdhsa_ieee_mode 1
		.amdhsa_fp16_overflow 0
		.amdhsa_workgroup_processor_mode 1
		.amdhsa_memory_ordered 1
		.amdhsa_forward_progress 0
		.amdhsa_shared_vgpr_count 0
		.amdhsa_exception_fp_ieee_invalid_op 0
		.amdhsa_exception_fp_denorm_src 0
		.amdhsa_exception_fp_ieee_div_zero 0
		.amdhsa_exception_fp_ieee_overflow 0
		.amdhsa_exception_fp_ieee_underflow 0
		.amdhsa_exception_fp_ieee_inexact 0
		.amdhsa_exception_int_div_zero 0
	.end_amdhsa_kernel
	.section	.text._ZN2at6native32elementwise_kernel_manual_unrollILi128ELi4EZNS0_15gpu_kernel_implIZZZNS0_15exp_kernel_cudaERNS_18TensorIteratorBaseEENKUlvE_clEvENKUlvE1_clEvEUlN3c107complexINS7_4HalfEEEE_EEvS4_RKT_EUlibE_EEviT1_,"axG",@progbits,_ZN2at6native32elementwise_kernel_manual_unrollILi128ELi4EZNS0_15gpu_kernel_implIZZZNS0_15exp_kernel_cudaERNS_18TensorIteratorBaseEENKUlvE_clEvENKUlvE1_clEvEUlN3c107complexINS7_4HalfEEEE_EEvS4_RKT_EUlibE_EEviT1_,comdat
.Lfunc_end72:
	.size	_ZN2at6native32elementwise_kernel_manual_unrollILi128ELi4EZNS0_15gpu_kernel_implIZZZNS0_15exp_kernel_cudaERNS_18TensorIteratorBaseEENKUlvE_clEvENKUlvE1_clEvEUlN3c107complexINS7_4HalfEEEE_EEvS4_RKT_EUlibE_EEviT1_, .Lfunc_end72-_ZN2at6native32elementwise_kernel_manual_unrollILi128ELi4EZNS0_15gpu_kernel_implIZZZNS0_15exp_kernel_cudaERNS_18TensorIteratorBaseEENKUlvE_clEvENKUlvE1_clEvEUlN3c107complexINS7_4HalfEEEE_EEvS4_RKT_EUlibE_EEviT1_
                                        ; -- End function
	.section	.AMDGPU.csdata,"",@progbits
; Kernel info:
; codeLenInByte = 37084
; NumSgprs: 35
; NumVgprs: 27
; ScratchSize: 0
; MemoryBound: 0
; FloatMode: 240
; IeeeMode: 1
; LDSByteSize: 0 bytes/workgroup (compile time only)
; SGPRBlocks: 4
; VGPRBlocks: 3
; NumSGPRsForWavesPerEU: 35
; NumVGPRsForWavesPerEU: 27
; Occupancy: 16
; WaveLimiterHint : 0
; COMPUTE_PGM_RSRC2:SCRATCH_EN: 0
; COMPUTE_PGM_RSRC2:USER_SGPR: 15
; COMPUTE_PGM_RSRC2:TRAP_HANDLER: 0
; COMPUTE_PGM_RSRC2:TGID_X_EN: 1
; COMPUTE_PGM_RSRC2:TGID_Y_EN: 0
; COMPUTE_PGM_RSRC2:TGID_Z_EN: 0
; COMPUTE_PGM_RSRC2:TIDIG_COMP_CNT: 0
	.section	.text._ZN2at6native32elementwise_kernel_manual_unrollILi128ELi4EZNS0_15gpu_kernel_implIZZZNS0_15exp_kernel_cudaERNS_18TensorIteratorBaseEENKUlvE_clEvENKUlvE1_clEvEUlN3c107complexINS7_4HalfEEEE_EEvS4_RKT_EUlibE0_EEviT1_,"axG",@progbits,_ZN2at6native32elementwise_kernel_manual_unrollILi128ELi4EZNS0_15gpu_kernel_implIZZZNS0_15exp_kernel_cudaERNS_18TensorIteratorBaseEENKUlvE_clEvENKUlvE1_clEvEUlN3c107complexINS7_4HalfEEEE_EEvS4_RKT_EUlibE0_EEviT1_,comdat
	.globl	_ZN2at6native32elementwise_kernel_manual_unrollILi128ELi4EZNS0_15gpu_kernel_implIZZZNS0_15exp_kernel_cudaERNS_18TensorIteratorBaseEENKUlvE_clEvENKUlvE1_clEvEUlN3c107complexINS7_4HalfEEEE_EEvS4_RKT_EUlibE0_EEviT1_ ; -- Begin function _ZN2at6native32elementwise_kernel_manual_unrollILi128ELi4EZNS0_15gpu_kernel_implIZZZNS0_15exp_kernel_cudaERNS_18TensorIteratorBaseEENKUlvE_clEvENKUlvE1_clEvEUlN3c107complexINS7_4HalfEEEE_EEvS4_RKT_EUlibE0_EEviT1_
	.p2align	8
	.type	_ZN2at6native32elementwise_kernel_manual_unrollILi128ELi4EZNS0_15gpu_kernel_implIZZZNS0_15exp_kernel_cudaERNS_18TensorIteratorBaseEENKUlvE_clEvENKUlvE1_clEvEUlN3c107complexINS7_4HalfEEEE_EEvS4_RKT_EUlibE0_EEviT1_,@function
_ZN2at6native32elementwise_kernel_manual_unrollILi128ELi4EZNS0_15gpu_kernel_implIZZZNS0_15exp_kernel_cudaERNS_18TensorIteratorBaseEENKUlvE_clEvENKUlvE1_clEvEUlN3c107complexINS7_4HalfEEEE_EEvS4_RKT_EUlibE0_EEviT1_: ; @_ZN2at6native32elementwise_kernel_manual_unrollILi128ELi4EZNS0_15gpu_kernel_implIZZZNS0_15exp_kernel_cudaERNS_18TensorIteratorBaseEENKUlvE_clEvENKUlvE1_clEvEUlN3c107complexINS7_4HalfEEEE_EEvS4_RKT_EUlibE0_EEviT1_
; %bb.0:
	s_clause 0x1
	s_load_b32 s9, s[0:1], 0x8
	s_load_b32 s38, s[0:1], 0x0
	v_lshl_or_b32 v21, s15, 9, v0
	s_mov_b64 s[10:11], s[0:1]
	s_mov_b32 s1, -1
	s_or_b32 s24, s10, 8
	s_mov_b32 s34, 0
	v_or_b32_e32 v4, 0x180, v21
	s_mov_b32 s25, s11
	s_mov_b32 s16, 0
	;; [unrolled: 1-line block ×3, first 2 shown]
	s_mov_b32 s0, exec_lo
	s_waitcnt lgkmcnt(0)
	s_add_i32 s33, s9, -1
	s_delay_alu instid0(SALU_CYCLE_1)
	s_cmp_gt_u32 s33, 1
	s_cselect_b32 s35, -1, 0
	v_cmpx_le_i32_e64 s38, v4
	s_xor_b32 s36, exec_lo, s0
	s_cbranch_execz .LBB73_1096
; %bb.1:
	v_mov_b32_e32 v0, 0
	s_clause 0x3
	s_load_b128 s[20:23], s[24:25], 0x4
	s_load_b64 s[26:27], s[24:25], 0x14
	s_load_b128 s[16:19], s[24:25], 0xc4
	s_load_b128 s[12:15], s[24:25], 0x148
	s_cmp_lg_u32 s9, 0
	s_mov_b32 s44, 0
	s_cselect_b32 s40, -1, 0
	global_load_u16 v18, v0, s[24:25] offset:345
	s_add_u32 s28, s24, 0xc4
	s_addc_u32 s29, s25, 0
	s_min_u32 s39, s33, 15
	s_cmp_gt_u32 s9, 1
	s_mov_b32 s42, 0
	s_cselect_b32 s37, -1, 0
	s_mov_b32 s41, 0
	s_mov_b32 s43, exec_lo
	s_waitcnt vmcnt(0)
	v_lshrrev_b16 v19, 8, v18
	v_cmpx_gt_i32_e64 s38, v21
	s_cbranch_execz .LBB73_268
; %bb.2:
	s_and_not1_b32 vcc_lo, exec_lo, s35
	s_cbranch_vccnz .LBB73_7
; %bb.3:
	v_dual_mov_b32 v17, 0 :: v_dual_mov_b32 v0, 0
	s_and_not1_b32 vcc_lo, exec_lo, s40
	s_mov_b32 s4, 0
	s_cbranch_vccnz .LBB73_12
; %bb.4:
	v_mov_b32_e32 v17, 0
	s_add_i32 s6, s39, 1
	s_cmp_eq_u32 s33, 2
	s_mov_b32 s5, 0
	s_cbranch_scc1 .LBB73_8
; %bb.5:
	v_dual_mov_b32 v0, 0 :: v_dual_mov_b32 v17, 0
	v_mov_b32_e32 v1, v21
	s_and_b32 s5, s6, 28
	s_mov_b32 s7, 0
	s_mov_b64 s[0:1], s[28:29]
	s_mov_b64 s[2:3], s[24:25]
.LBB73_6:                               ; =>This Inner Loop Header: Depth=1
	s_clause 0x1
	s_load_b256 s[48:55], s[2:3], 0x4
	s_load_b128 s[64:67], s[2:3], 0x24
	s_load_b256 s[56:63], s[0:1], 0x0
	s_add_u32 s2, s2, 48
	s_addc_u32 s3, s3, 0
	s_add_i32 s7, s7, 4
	s_add_u32 s0, s0, 32
	s_addc_u32 s1, s1, 0
	s_cmp_lg_u32 s5, s7
	s_waitcnt lgkmcnt(0)
	v_mul_hi_u32 v2, s49, v1
	s_delay_alu instid0(VALU_DEP_1) | instskip(NEXT) | instid1(VALU_DEP_1)
	v_add_nc_u32_e32 v2, v1, v2
	v_lshrrev_b32_e32 v2, s50, v2
	s_delay_alu instid0(VALU_DEP_1) | instskip(SKIP_1) | instid1(VALU_DEP_2)
	v_mul_hi_u32 v3, s52, v2
	v_mul_lo_u32 v5, v2, s48
	v_add_nc_u32_e32 v3, v2, v3
	s_delay_alu instid0(VALU_DEP_2) | instskip(NEXT) | instid1(VALU_DEP_2)
	v_sub_nc_u32_e32 v1, v1, v5
	v_lshrrev_b32_e32 v3, s53, v3
	s_delay_alu instid0(VALU_DEP_2) | instskip(SKIP_1) | instid1(VALU_DEP_3)
	v_mul_lo_u32 v5, v1, s56
	v_mul_lo_u32 v7, v1, s57
	v_mul_hi_u32 v4, s55, v3
	s_delay_alu instid0(VALU_DEP_1) | instskip(NEXT) | instid1(VALU_DEP_1)
	v_add_nc_u32_e32 v4, v3, v4
	v_lshrrev_b32_e32 v4, s64, v4
	s_delay_alu instid0(VALU_DEP_1) | instskip(SKIP_1) | instid1(VALU_DEP_2)
	v_mul_hi_u32 v6, s66, v4
	v_mul_lo_u32 v8, v4, s54
	v_add_nc_u32_e32 v1, v4, v6
	v_mul_lo_u32 v6, v3, s51
	s_delay_alu instid0(VALU_DEP_3) | instskip(NEXT) | instid1(VALU_DEP_3)
	v_sub_nc_u32_e32 v3, v3, v8
	v_lshrrev_b32_e32 v1, s67, v1
	s_delay_alu instid0(VALU_DEP_2) | instskip(SKIP_2) | instid1(VALU_DEP_4)
	v_mul_lo_u32 v8, v3, s60
	v_mul_lo_u32 v3, v3, s61
	v_sub_nc_u32_e32 v2, v2, v6
	v_mul_lo_u32 v9, v1, s65
	s_delay_alu instid0(VALU_DEP_2) | instskip(SKIP_1) | instid1(VALU_DEP_3)
	v_mul_lo_u32 v6, v2, s58
	v_mul_lo_u32 v2, v2, s59
	v_sub_nc_u32_e32 v4, v4, v9
	s_delay_alu instid0(VALU_DEP_3) | instskip(NEXT) | instid1(VALU_DEP_2)
	v_add3_u32 v5, v5, v17, v6
	v_mul_lo_u32 v9, v4, s62
	v_mul_lo_u32 v4, v4, s63
	v_add3_u32 v0, v7, v0, v2
	s_delay_alu instid0(VALU_DEP_3) | instskip(NEXT) | instid1(VALU_DEP_2)
	v_add3_u32 v17, v8, v5, v9
	v_add3_u32 v0, v3, v0, v4
	s_cbranch_scc1 .LBB73_6
	s_branch .LBB73_9
.LBB73_7:
	s_mov_b32 s4, -1
                                        ; implicit-def: $vgpr17
                                        ; implicit-def: $vgpr0
	s_branch .LBB73_12
.LBB73_8:
	v_dual_mov_b32 v1, v21 :: v_dual_mov_b32 v0, 0
.LBB73_9:
	s_and_b32 s6, s6, 3
	s_delay_alu instid0(SALU_CYCLE_1)
	s_cmp_eq_u32 s6, 0
	s_cbranch_scc1 .LBB73_12
; %bb.10:
	s_lshl_b32 s0, s5, 3
	s_mul_i32 s2, s5, 12
	s_add_u32 s0, s0, s24
	s_addc_u32 s1, s25, 0
	s_add_u32 s0, s0, 0xc4
	s_addc_u32 s1, s1, 0
	;; [unrolled: 2-line block ×3, first 2 shown]
	.p2align	6
.LBB73_11:                              ; =>This Inner Loop Header: Depth=1
	s_clause 0x1
	s_load_b64 s[30:31], s[2:3], 0x4
	s_load_b32 s5, s[2:3], 0xc
	s_load_b64 s[46:47], s[0:1], 0x0
	s_add_u32 s2, s2, 12
	s_addc_u32 s3, s3, 0
	s_add_u32 s0, s0, 8
	s_addc_u32 s1, s1, 0
	s_add_i32 s6, s6, -1
	s_delay_alu instid0(SALU_CYCLE_1) | instskip(SKIP_2) | instid1(VALU_DEP_1)
	s_cmp_lg_u32 s6, 0
	s_waitcnt lgkmcnt(0)
	v_mul_hi_u32 v2, s31, v1
	v_add_nc_u32_e32 v2, v1, v2
	s_delay_alu instid0(VALU_DEP_1) | instskip(NEXT) | instid1(VALU_DEP_1)
	v_lshrrev_b32_e32 v5, s5, v2
	v_mul_lo_u32 v2, v5, s30
	s_delay_alu instid0(VALU_DEP_1) | instskip(NEXT) | instid1(VALU_DEP_1)
	v_sub_nc_u32_e32 v1, v1, v2
	v_mad_u64_u32 v[2:3], null, v1, s46, v[17:18]
	v_mad_u64_u32 v[3:4], null, v1, s47, v[0:1]
	v_mov_b32_e32 v1, v5
	s_delay_alu instid0(VALU_DEP_2)
	v_dual_mov_b32 v17, v2 :: v_dual_mov_b32 v0, v3
	s_cbranch_scc1 .LBB73_11
.LBB73_12:
	s_and_not1_b32 vcc_lo, exec_lo, s4
	s_cbranch_vccnz .LBB73_15
; %bb.13:
	s_waitcnt lgkmcnt(0)
	v_mul_hi_u32 v0, s21, v21
	s_and_not1_b32 vcc_lo, exec_lo, s37
	s_delay_alu instid0(VALU_DEP_1) | instskip(NEXT) | instid1(VALU_DEP_1)
	v_add_nc_u32_e32 v0, v21, v0
	v_lshrrev_b32_e32 v1, s22, v0
	s_delay_alu instid0(VALU_DEP_1) | instskip(NEXT) | instid1(VALU_DEP_1)
	v_mul_lo_u32 v0, v1, s20
	v_sub_nc_u32_e32 v0, v21, v0
	s_delay_alu instid0(VALU_DEP_1)
	v_mul_lo_u32 v17, v0, s16
	v_mul_lo_u32 v0, v0, s17
	s_cbranch_vccnz .LBB73_15
; %bb.14:
	v_mul_hi_u32 v2, s26, v1
	s_delay_alu instid0(VALU_DEP_1) | instskip(NEXT) | instid1(VALU_DEP_1)
	v_add_nc_u32_e32 v2, v1, v2
	v_lshrrev_b32_e32 v2, s27, v2
	s_delay_alu instid0(VALU_DEP_1) | instskip(NEXT) | instid1(VALU_DEP_1)
	v_mul_lo_u32 v2, v2, s23
	v_sub_nc_u32_e32 v4, v1, v2
	s_delay_alu instid0(VALU_DEP_1) | instskip(NEXT) | instid1(VALU_DEP_1)
	v_mad_u64_u32 v[1:2], null, v4, s18, v[17:18]
	v_mad_u64_u32 v[2:3], null, v4, s19, v[0:1]
	s_delay_alu instid0(VALU_DEP_1)
	v_dual_mov_b32 v17, v1 :: v_dual_mov_b32 v0, v2
.LBB73_15:
	v_cmp_gt_i16_e32 vcc_lo, 11, v19
	s_waitcnt lgkmcnt(0)
	s_delay_alu instid0(VALU_DEP_2) | instskip(NEXT) | instid1(VALU_DEP_1)
	v_add_co_u32 v0, s0, s14, v0
	v_add_co_ci_u32_e64 v1, null, s15, 0, s0
	s_mov_b32 s42, 0
	s_cbranch_vccnz .LBB73_22
; %bb.16:
	v_cmp_lt_i16_e32 vcc_lo, 25, v19
	s_cbranch_vccz .LBB73_141
; %bb.17:
	v_cmp_lt_i16_e32 vcc_lo, 28, v19
	s_cbranch_vccz .LBB73_142
	;; [unrolled: 3-line block ×4, first 2 shown]
; %bb.20:
	v_cmp_eq_u16_e32 vcc_lo, 46, v19
	s_mov_b32 s1, 0
	s_cbranch_vccz .LBB73_145
; %bb.21:
	global_load_b32 v2, v[0:1], off
	s_mov_b32 s0, -1
	s_waitcnt vmcnt(0)
	v_lshlrev_b32_e32 v3, 16, v2
	v_and_b32_e32 v4, 0xffff0000, v2
	s_delay_alu instid0(VALU_DEP_2) | instskip(NEXT) | instid1(VALU_DEP_2)
	v_cvt_f16_f32_e32 v2, v3
	v_cvt_f16_f32_e32 v3, v4
	s_branch .LBB73_147
.LBB73_22:
	s_mov_b32 s0, 0
                                        ; implicit-def: $vgpr3
                                        ; implicit-def: $vgpr2
	s_cbranch_execnz .LBB73_216
.LBB73_23:
	s_and_not1_b32 vcc_lo, exec_lo, s0
	s_cbranch_vccnz .LBB73_265
.LBB73_24:
	s_waitcnt vmcnt(0)
	s_delay_alu instid0(VALU_DEP_2) | instskip(NEXT) | instid1(VALU_DEP_2)
	v_cvt_f32_f16_e32 v0, v2
	v_cvt_f32_f16_e32 v1, v3
	s_getpc_b64 s[0:1]
	s_add_u32 s0, s0, _ZN16c10_complex_math3expIfEEN3c107complexIT_EERKS4_@rel32@lo+4
	s_addc_u32 s1, s1, _ZN16c10_complex_math3expIfEEN3c107complexIT_EERKS4_@rel32@hi+12
	s_delay_alu instid0(SALU_CYCLE_1) | instskip(SKIP_4) | instid1(VALU_DEP_4)
	s_swappc_b64 s[30:31], s[0:1]
	v_cvt_f16_f32_e32 v5, v1
	v_cvt_f16_f32_e32 v2, v0
	v_and_b32_e32 v3, 0xff, v18
	v_add_co_u32 v0, s1, s12, v17
	v_lshlrev_b32_e32 v4, 16, v5
	s_delay_alu instid0(VALU_DEP_4) | instskip(NEXT) | instid1(VALU_DEP_4)
	v_and_b32_e32 v6, 0xffff, v2
	v_cmp_gt_i16_e32 vcc_lo, 11, v3
	v_add_co_ci_u32_e64 v1, null, s13, 0, s1
	s_mov_b32 s0, 0
	s_delay_alu instid0(VALU_DEP_3)
	v_or_b32_e32 v4, v4, v6
	s_mov_b32 s2, -1
	s_mov_b32 s1, 0
	s_cbranch_vccnz .LBB73_101
; %bb.25:
	v_cmp_lt_i16_e32 vcc_lo, 25, v3
	s_cbranch_vccz .LBB73_58
; %bb.26:
	v_cmp_lt_i16_e32 vcc_lo, 28, v3
	s_cbranch_vccz .LBB73_41
	;; [unrolled: 3-line block ×4, first 2 shown]
; %bb.29:
	v_cmp_eq_u16_e32 vcc_lo, 46, v3
	s_mov_b32 s2, 0
	s_mov_b32 s0, -1
	s_cbranch_vccz .LBB73_31
; %bb.30:
	v_cvt_f32_f16_e32 v6, v5
	v_cvt_f32_f16_e32 v7, v2
	v_cmp_o_f16_e32 vcc_lo, v5, v5
	s_mov_b32 s1, -1
	s_mov_b32 s0, 0
	v_bfe_u32 v8, v6, 16, 1
	v_bfe_u32 v9, v7, 16, 1
	s_delay_alu instid0(VALU_DEP_2) | instskip(NEXT) | instid1(VALU_DEP_2)
	v_add3_u32 v6, v6, v8, 0x7fff
	v_add3_u32 v7, v7, v9, 0x7fff
	s_delay_alu instid0(VALU_DEP_2) | instskip(NEXT) | instid1(VALU_DEP_2)
	v_and_b32_e32 v6, 0xffff0000, v6
	v_lshrrev_b32_e32 v7, 16, v7
	s_delay_alu instid0(VALU_DEP_2) | instskip(SKIP_1) | instid1(VALU_DEP_3)
	v_cndmask_b32_e32 v6, 0x7fc00000, v6, vcc_lo
	v_cmp_o_f16_e32 vcc_lo, v2, v2
	v_cndmask_b32_e32 v7, 0x7fc0, v7, vcc_lo
	s_delay_alu instid0(VALU_DEP_1)
	v_or_b32_e32 v6, v6, v7
	global_store_b32 v[0:1], v6, off
.LBB73_31:
	s_and_b32 vcc_lo, exec_lo, s2
	s_cbranch_vccz .LBB73_36
; %bb.32:
	v_cmp_eq_u16_e32 vcc_lo, 44, v3
	s_mov_b32 s0, -1
	s_cbranch_vccz .LBB73_36
; %bb.33:
	v_cvt_f32_f16_e32 v6, v2
	v_mov_b32_e32 v7, 0xff
	s_mov_b32 s1, exec_lo
	s_delay_alu instid0(VALU_DEP_2) | instskip(NEXT) | instid1(VALU_DEP_1)
	v_bfe_u32 v8, v6, 23, 8
	v_cmpx_ne_u32_e32 0xff, v8
; %bb.34:
	v_and_b32_e32 v7, 0x400000, v6
	v_and_or_b32 v8, 0x3fffff, v6, v8
	v_lshrrev_b32_e32 v6, 23, v6
	s_delay_alu instid0(VALU_DEP_3) | instskip(NEXT) | instid1(VALU_DEP_3)
	v_cmp_ne_u32_e32 vcc_lo, 0, v7
	v_cmp_ne_u32_e64 s0, 0, v8
	s_delay_alu instid0(VALU_DEP_1) | instskip(NEXT) | instid1(SALU_CYCLE_1)
	s_and_b32 s0, vcc_lo, s0
	v_cndmask_b32_e64 v7, 0, 1, s0
	s_delay_alu instid0(VALU_DEP_1)
	v_add_nc_u32_e32 v7, v6, v7
; %bb.35:
	s_or_b32 exec_lo, exec_lo, s1
	s_mov_b32 s1, -1
	s_mov_b32 s0, 0
	global_store_b8 v[0:1], v7, off
.LBB73_36:
	s_mov_b32 s2, 0
.LBB73_37:
	s_delay_alu instid0(SALU_CYCLE_1)
	s_and_b32 vcc_lo, exec_lo, s2
	s_cbranch_vccz .LBB73_40
; %bb.38:
	v_cmp_eq_u16_e32 vcc_lo, 29, v3
	s_mov_b32 s0, -1
	s_cbranch_vccz .LBB73_40
; %bb.39:
	v_cvt_f32_f16_e32 v6, v2
	v_mov_b32_e32 v7, 0
	s_mov_b32 s0, 0
	s_mov_b32 s1, -1
	s_delay_alu instid0(VALU_DEP_2)
	v_cvt_u32_f32_e32 v6, v6
	global_store_b64 v[0:1], v[6:7], off
.LBB73_40:
	s_mov_b32 s2, 0
.LBB73_41:
	s_delay_alu instid0(SALU_CYCLE_1)
	s_and_b32 vcc_lo, exec_lo, s2
	s_cbranch_vccz .LBB73_57
; %bb.42:
	v_cmp_gt_i16_e32 vcc_lo, 27, v3
	s_mov_b32 s1, -1
	s_cbranch_vccnz .LBB73_48
; %bb.43:
	v_cmp_lt_i16_e32 vcc_lo, 27, v3
	s_cbranch_vccz .LBB73_45
; %bb.44:
	v_cvt_f32_f16_e32 v6, v2
	s_mov_b32 s1, 0
	s_delay_alu instid0(VALU_DEP_1)
	v_cvt_u32_f32_e32 v6, v6
	global_store_b32 v[0:1], v6, off
.LBB73_45:
	s_and_not1_b32 vcc_lo, exec_lo, s1
	s_cbranch_vccnz .LBB73_47
; %bb.46:
	v_cvt_u16_f16_e32 v6, v2
	global_store_b16 v[0:1], v6, off
.LBB73_47:
	s_mov_b32 s1, 0
.LBB73_48:
	s_delay_alu instid0(SALU_CYCLE_1)
	s_and_not1_b32 vcc_lo, exec_lo, s1
	s_cbranch_vccnz .LBB73_56
; %bb.49:
	v_cvt_f32_f16_e32 v6, v2
	v_mov_b32_e32 v8, 0x80
	s_mov_b32 s1, exec_lo
	s_delay_alu instid0(VALU_DEP_2) | instskip(NEXT) | instid1(VALU_DEP_1)
	v_and_b32_e32 v7, 0x7fffffff, v6
	v_cmpx_gt_u32_e32 0x43800000, v7
	s_cbranch_execz .LBB73_55
; %bb.50:
	v_cmp_lt_u32_e32 vcc_lo, 0x3bffffff, v7
	s_mov_b32 s2, 0
                                        ; implicit-def: $vgpr7
	s_and_saveexec_b32 s3, vcc_lo
	s_delay_alu instid0(SALU_CYCLE_1)
	s_xor_b32 s3, exec_lo, s3
	s_cbranch_execz .LBB73_150
; %bb.51:
	v_bfe_u32 v7, v6, 20, 1
	s_mov_b32 s2, exec_lo
	s_delay_alu instid0(VALU_DEP_1) | instskip(NEXT) | instid1(VALU_DEP_1)
	v_add3_u32 v7, v6, v7, 0x487ffff
	v_lshrrev_b32_e32 v7, 20, v7
	s_or_saveexec_b32 s3, s3
                                        ; implicit-def: $sgpr4
	s_delay_alu instid0(SALU_CYCLE_1)
	s_xor_b32 exec_lo, exec_lo, s3
	s_cbranch_execnz .LBB73_151
.LBB73_52:
	s_or_b32 exec_lo, exec_lo, s3
	v_mov_b32_e32 v8, s4
	s_and_saveexec_b32 s3, s2
.LBB73_53:
	v_lshrrev_b32_e32 v6, 24, v6
	s_delay_alu instid0(VALU_DEP_1)
	v_and_or_b32 v8, 0x80, v6, v7
.LBB73_54:
	s_or_b32 exec_lo, exec_lo, s3
.LBB73_55:
	s_delay_alu instid0(SALU_CYCLE_1)
	s_or_b32 exec_lo, exec_lo, s1
	global_store_b8 v[0:1], v8, off
.LBB73_56:
	s_mov_b32 s1, -1
.LBB73_57:
	s_mov_b32 s2, 0
.LBB73_58:
	s_delay_alu instid0(SALU_CYCLE_1)
	s_and_b32 vcc_lo, exec_lo, s2
	s_cbranch_vccz .LBB73_99
; %bb.59:
	v_cmp_lt_i16_e32 vcc_lo, 22, v3
	s_mov_b32 s2, -1
	s_cbranch_vccz .LBB73_91
; %bb.60:
	v_cmp_gt_i16_e32 vcc_lo, 24, v3
	s_mov_b32 s1, -1
	s_cbranch_vccnz .LBB73_80
; %bb.61:
	v_cmp_lt_i16_e32 vcc_lo, 24, v3
	s_cbranch_vccz .LBB73_69
; %bb.62:
	v_cvt_f32_f16_e32 v6, v2
	v_mov_b32_e32 v8, 0x80
	s_mov_b32 s1, exec_lo
	s_delay_alu instid0(VALU_DEP_2) | instskip(NEXT) | instid1(VALU_DEP_1)
	v_and_b32_e32 v7, 0x7fffffff, v6
	v_cmpx_gt_u32_e32 0x47800000, v7
	s_cbranch_execz .LBB73_68
; %bb.63:
	v_cmp_lt_u32_e32 vcc_lo, 0x37ffffff, v7
	s_mov_b32 s2, 0
                                        ; implicit-def: $vgpr7
	s_and_saveexec_b32 s3, vcc_lo
	s_delay_alu instid0(SALU_CYCLE_1)
	s_xor_b32 s3, exec_lo, s3
	s_cbranch_execz .LBB73_346
; %bb.64:
	v_bfe_u32 v7, v6, 21, 1
	s_mov_b32 s2, exec_lo
	s_delay_alu instid0(VALU_DEP_1) | instskip(NEXT) | instid1(VALU_DEP_1)
	v_add3_u32 v7, v6, v7, 0x88fffff
	v_lshrrev_b32_e32 v7, 21, v7
	s_or_saveexec_b32 s3, s3
                                        ; implicit-def: $sgpr4
	s_delay_alu instid0(SALU_CYCLE_1)
	s_xor_b32 exec_lo, exec_lo, s3
	s_cbranch_execnz .LBB73_347
.LBB73_65:
	s_or_b32 exec_lo, exec_lo, s3
	v_mov_b32_e32 v8, s4
	s_and_saveexec_b32 s3, s2
.LBB73_66:
	v_lshrrev_b32_e32 v6, 24, v6
	s_delay_alu instid0(VALU_DEP_1)
	v_and_or_b32 v8, 0x80, v6, v7
.LBB73_67:
	s_or_b32 exec_lo, exec_lo, s3
.LBB73_68:
	s_delay_alu instid0(SALU_CYCLE_1)
	s_or_b32 exec_lo, exec_lo, s1
	s_mov_b32 s1, 0
	global_store_b8 v[0:1], v8, off
.LBB73_69:
	s_and_b32 vcc_lo, exec_lo, s1
	s_cbranch_vccz .LBB73_79
; %bb.70:
	v_cvt_f32_f16_e32 v6, v2
	s_mov_b32 s1, exec_lo
                                        ; implicit-def: $vgpr7
	s_delay_alu instid0(VALU_DEP_1) | instskip(NEXT) | instid1(VALU_DEP_1)
	v_and_b32_e32 v8, 0x7fffffff, v6
	v_cmpx_gt_u32_e32 0x43f00000, v8
	s_xor_b32 s1, exec_lo, s1
	s_cbranch_execz .LBB73_76
; %bb.71:
	s_mov_b32 s2, exec_lo
                                        ; implicit-def: $vgpr7
	v_cmpx_lt_u32_e32 0x3c7fffff, v8
	s_xor_b32 s2, exec_lo, s2
; %bb.72:
	v_bfe_u32 v7, v6, 20, 1
	s_delay_alu instid0(VALU_DEP_1) | instskip(NEXT) | instid1(VALU_DEP_1)
	v_add3_u32 v7, v6, v7, 0x407ffff
	v_and_b32_e32 v8, 0xff00000, v7
	v_lshrrev_b32_e32 v7, 20, v7
	s_delay_alu instid0(VALU_DEP_2) | instskip(NEXT) | instid1(VALU_DEP_2)
	v_cmp_ne_u32_e32 vcc_lo, 0x7f00000, v8
	v_cndmask_b32_e32 v7, 0x7e, v7, vcc_lo
; %bb.73:
	s_and_not1_saveexec_b32 s2, s2
; %bb.74:
	v_add_f32_e64 v7, 0x46800000, |v6|
; %bb.75:
	s_or_b32 exec_lo, exec_lo, s2
                                        ; implicit-def: $vgpr8
.LBB73_76:
	s_and_not1_saveexec_b32 s1, s1
; %bb.77:
	v_mov_b32_e32 v7, 0x7f
	v_cmp_lt_u32_e32 vcc_lo, 0x7f800000, v8
	s_delay_alu instid0(VALU_DEP_2)
	v_cndmask_b32_e32 v7, 0x7e, v7, vcc_lo
; %bb.78:
	s_or_b32 exec_lo, exec_lo, s1
	v_lshrrev_b32_e32 v6, 24, v6
	s_delay_alu instid0(VALU_DEP_1)
	v_and_or_b32 v6, 0x80, v6, v7
	global_store_b8 v[0:1], v6, off
.LBB73_79:
	s_mov_b32 s1, 0
.LBB73_80:
	s_delay_alu instid0(SALU_CYCLE_1)
	s_and_not1_b32 vcc_lo, exec_lo, s1
	s_cbranch_vccnz .LBB73_90
; %bb.81:
	v_cvt_f32_f16_e32 v6, v2
	s_mov_b32 s1, exec_lo
                                        ; implicit-def: $vgpr7
	s_delay_alu instid0(VALU_DEP_1) | instskip(NEXT) | instid1(VALU_DEP_1)
	v_and_b32_e32 v8, 0x7fffffff, v6
	v_cmpx_gt_u32_e32 0x47800000, v8
	s_xor_b32 s1, exec_lo, s1
	s_cbranch_execz .LBB73_87
; %bb.82:
	s_mov_b32 s2, exec_lo
                                        ; implicit-def: $vgpr7
	v_cmpx_lt_u32_e32 0x387fffff, v8
	s_xor_b32 s2, exec_lo, s2
; %bb.83:
	v_bfe_u32 v7, v6, 21, 1
	s_delay_alu instid0(VALU_DEP_1) | instskip(NEXT) | instid1(VALU_DEP_1)
	v_add3_u32 v7, v6, v7, 0x80fffff
	v_lshrrev_b32_e32 v7, 21, v7
; %bb.84:
	s_and_not1_saveexec_b32 s2, s2
; %bb.85:
	v_add_f32_e64 v7, 0x43000000, |v6|
; %bb.86:
	s_or_b32 exec_lo, exec_lo, s2
                                        ; implicit-def: $vgpr8
.LBB73_87:
	s_and_not1_saveexec_b32 s1, s1
; %bb.88:
	v_mov_b32_e32 v7, 0x7f
	v_cmp_lt_u32_e32 vcc_lo, 0x7f800000, v8
	s_delay_alu instid0(VALU_DEP_2)
	v_cndmask_b32_e32 v7, 0x7c, v7, vcc_lo
; %bb.89:
	s_or_b32 exec_lo, exec_lo, s1
	v_lshrrev_b32_e32 v6, 24, v6
	s_delay_alu instid0(VALU_DEP_1)
	v_and_or_b32 v6, 0x80, v6, v7
	global_store_b8 v[0:1], v6, off
.LBB73_90:
	s_mov_b32 s2, 0
	s_mov_b32 s1, -1
.LBB73_91:
	s_and_not1_b32 vcc_lo, exec_lo, s2
	s_cbranch_vccnz .LBB73_99
; %bb.92:
	v_cmp_lt_i16_e32 vcc_lo, 14, v3
	s_mov_b32 s2, -1
	s_cbranch_vccz .LBB73_96
; %bb.93:
	v_cmp_eq_u16_e32 vcc_lo, 15, v3
	s_mov_b32 s0, -1
	s_cbranch_vccz .LBB73_95
; %bb.94:
	v_cvt_f32_f16_e32 v6, v2
	v_cmp_o_f16_e32 vcc_lo, v2, v2
	s_mov_b32 s1, -1
	s_mov_b32 s0, 0
	s_delay_alu instid0(VALU_DEP_2) | instskip(NEXT) | instid1(VALU_DEP_1)
	v_bfe_u32 v7, v6, 16, 1
	v_add3_u32 v6, v6, v7, 0x7fff
	s_delay_alu instid0(VALU_DEP_1) | instskip(NEXT) | instid1(VALU_DEP_1)
	v_lshrrev_b32_e32 v6, 16, v6
	v_cndmask_b32_e32 v6, 0x7fc0, v6, vcc_lo
	global_store_b16 v[0:1], v6, off
.LBB73_95:
	s_mov_b32 s2, 0
.LBB73_96:
	s_delay_alu instid0(SALU_CYCLE_1)
	s_and_b32 vcc_lo, exec_lo, s2
	s_cbranch_vccz .LBB73_99
; %bb.97:
	v_cmp_eq_u16_e32 vcc_lo, 11, v3
	s_mov_b32 s0, -1
	s_cbranch_vccz .LBB73_99
; %bb.98:
	v_and_b32_e32 v6, 0x7fff7fff, v4
	s_mov_b32 s0, 0
	s_mov_b32 s1, -1
	s_delay_alu instid0(VALU_DEP_1)
	v_cmp_ne_u32_e32 vcc_lo, 0, v6
	v_cndmask_b32_e64 v6, 0, 1, vcc_lo
	global_store_b8 v[0:1], v6, off
.LBB73_99:
.LBB73_100:
	s_and_not1_b32 vcc_lo, exec_lo, s1
	s_cbranch_vccz .LBB73_140
	s_branch .LBB73_266
.LBB73_101:
	s_and_b32 vcc_lo, exec_lo, s2
	s_cbranch_vccz .LBB73_100
; %bb.102:
	v_cmp_gt_i16_e32 vcc_lo, 5, v3
	s_mov_b32 s1, -1
	s_cbranch_vccnz .LBB73_123
; %bb.103:
	v_cmp_gt_i16_e32 vcc_lo, 8, v3
	s_cbranch_vccnz .LBB73_113
; %bb.104:
	v_cmp_gt_i16_e32 vcc_lo, 9, v3
	s_cbranch_vccnz .LBB73_110
; %bb.105:
	v_cmp_lt_i16_e32 vcc_lo, 9, v3
	s_cbranch_vccz .LBB73_107
; %bb.106:
	v_cvt_f32_f16_e32 v6, v2
	v_cvt_f32_f16_e32 v8, v5
	s_mov_b32 s1, 0
	s_delay_alu instid0(VALU_DEP_2) | instskip(NEXT) | instid1(VALU_DEP_2)
	v_cvt_f64_f32_e32 v[6:7], v6
	v_cvt_f64_f32_e32 v[8:9], v8
	global_store_b128 v[0:1], v[6:9], off
.LBB73_107:
	s_and_not1_b32 vcc_lo, exec_lo, s1
	s_cbranch_vccnz .LBB73_109
; %bb.108:
	v_cvt_f32_f16_e32 v6, v2
	v_cvt_f32_f16_e32 v7, v5
	global_store_b64 v[0:1], v[6:7], off
.LBB73_109:
	s_mov_b32 s1, 0
.LBB73_110:
	s_delay_alu instid0(SALU_CYCLE_1)
	s_and_not1_b32 vcc_lo, exec_lo, s1
	s_cbranch_vccnz .LBB73_112
; %bb.111:
	global_store_b32 v[0:1], v4, off
.LBB73_112:
	s_mov_b32 s1, 0
.LBB73_113:
	s_delay_alu instid0(SALU_CYCLE_1)
	s_and_not1_b32 vcc_lo, exec_lo, s1
	s_cbranch_vccnz .LBB73_122
; %bb.114:
	v_cmp_gt_i16_e32 vcc_lo, 6, v3
	s_mov_b32 s1, -1
	s_cbranch_vccnz .LBB73_120
; %bb.115:
	v_cmp_lt_i16_e32 vcc_lo, 6, v3
	s_cbranch_vccz .LBB73_117
; %bb.116:
	v_cvt_f32_f16_e32 v4, v2
	s_mov_b32 s1, 0
	s_delay_alu instid0(VALU_DEP_1)
	v_cvt_f64_f32_e32 v[4:5], v4
	global_store_b64 v[0:1], v[4:5], off
.LBB73_117:
	s_and_not1_b32 vcc_lo, exec_lo, s1
	s_cbranch_vccnz .LBB73_119
; %bb.118:
	v_cvt_f32_f16_e32 v4, v2
	global_store_b32 v[0:1], v4, off
.LBB73_119:
	s_mov_b32 s1, 0
.LBB73_120:
	s_delay_alu instid0(SALU_CYCLE_1)
	s_and_not1_b32 vcc_lo, exec_lo, s1
	s_cbranch_vccnz .LBB73_122
; %bb.121:
	global_store_b16 v[0:1], v2, off
.LBB73_122:
	s_mov_b32 s1, 0
.LBB73_123:
	s_delay_alu instid0(SALU_CYCLE_1)
	s_and_not1_b32 vcc_lo, exec_lo, s1
	s_cbranch_vccnz .LBB73_139
; %bb.124:
	v_cmp_gt_i16_e32 vcc_lo, 2, v3
	s_mov_b32 s1, -1
	s_cbranch_vccnz .LBB73_134
; %bb.125:
	v_cmp_gt_i16_e32 vcc_lo, 3, v3
	s_cbranch_vccnz .LBB73_131
; %bb.126:
	v_cmp_lt_i16_e32 vcc_lo, 3, v3
	s_cbranch_vccz .LBB73_128
; %bb.127:
	v_cvt_f32_f16_e32 v4, v2
	s_mov_b32 s1, 0
	s_delay_alu instid0(VALU_DEP_1) | instskip(NEXT) | instid1(VALU_DEP_1)
	v_cvt_i32_f32_e32 v4, v4
	v_ashrrev_i32_e32 v5, 31, v4
	global_store_b64 v[0:1], v[4:5], off
.LBB73_128:
	s_and_not1_b32 vcc_lo, exec_lo, s1
	s_cbranch_vccnz .LBB73_130
; %bb.129:
	v_cvt_f32_f16_e32 v4, v2
	s_delay_alu instid0(VALU_DEP_1)
	v_cvt_i32_f32_e32 v4, v4
	global_store_b32 v[0:1], v4, off
.LBB73_130:
	s_mov_b32 s1, 0
.LBB73_131:
	s_delay_alu instid0(SALU_CYCLE_1)
	s_and_not1_b32 vcc_lo, exec_lo, s1
	s_cbranch_vccnz .LBB73_133
; %bb.132:
	v_cvt_i16_f16_e32 v4, v2
	global_store_b16 v[0:1], v4, off
.LBB73_133:
	s_mov_b32 s1, 0
.LBB73_134:
	s_delay_alu instid0(SALU_CYCLE_1)
	s_and_not1_b32 vcc_lo, exec_lo, s1
	s_cbranch_vccnz .LBB73_139
; %bb.135:
	v_cmp_lt_i16_e32 vcc_lo, 0, v3
	s_mov_b32 s1, -1
	s_cbranch_vccz .LBB73_137
; %bb.136:
	v_cvt_i16_f16_e32 v3, v2
	s_mov_b32 s1, 0
	global_store_b8 v[0:1], v3, off
.LBB73_137:
	s_and_not1_b32 vcc_lo, exec_lo, s1
	s_cbranch_vccnz .LBB73_139
; %bb.138:
	v_cvt_f32_f16_e32 v2, v2
	s_delay_alu instid0(VALU_DEP_1)
	v_cvt_i32_f32_e32 v2, v2
	global_store_b8 v[0:1], v2, off
.LBB73_139:
.LBB73_140:
	v_add_nc_u32_e32 v21, 0x80, v21
	s_mov_b32 s1, -1
	s_branch .LBB73_267
.LBB73_141:
	s_mov_b32 s0, 0
                                        ; implicit-def: $vgpr3
                                        ; implicit-def: $vgpr2
	s_cbranch_execnz .LBB73_182
	s_branch .LBB73_215
.LBB73_142:
	s_mov_b32 s1, -1
	s_mov_b32 s0, 0
                                        ; implicit-def: $vgpr3
                                        ; implicit-def: $vgpr2
	s_branch .LBB73_161
.LBB73_143:
	s_mov_b32 s1, -1
	s_mov_b32 s0, 0
                                        ; implicit-def: $vgpr3
                                        ; implicit-def: $vgpr2
	s_branch .LBB73_155
.LBB73_144:
	s_mov_b32 s1, -1
	s_branch .LBB73_146
.LBB73_145:
	s_mov_b32 s42, -1
.LBB73_146:
	s_mov_b32 s0, 0
                                        ; implicit-def: $vgpr3
                                        ; implicit-def: $vgpr2
.LBB73_147:
	s_and_b32 vcc_lo, exec_lo, s1
	s_cbranch_vccz .LBB73_154
; %bb.148:
	v_cmp_eq_u16_e32 vcc_lo, 44, v19
	s_cbranch_vccz .LBB73_152
; %bb.149:
	global_load_u8 v2, v[0:1], off
	s_mov_b32 s42, 0
	s_mov_b32 s0, -1
	s_waitcnt vmcnt(0)
	v_lshlrev_b32_e32 v3, 23, v2
	v_cmp_ne_u32_e32 vcc_lo, 0xff, v2
	s_delay_alu instid0(VALU_DEP_2) | instskip(NEXT) | instid1(VALU_DEP_1)
	v_cvt_f16_f32_e32 v3, v3
	v_cndmask_b32_e32 v3, 0x7e00, v3, vcc_lo
	v_cmp_ne_u32_e32 vcc_lo, 0, v2
	s_delay_alu instid0(VALU_DEP_2)
	v_cndmask_b32_e32 v2, 0, v3, vcc_lo
	s_branch .LBB73_153
.LBB73_150:
	s_or_saveexec_b32 s3, s3
                                        ; implicit-def: $sgpr4
	s_delay_alu instid0(SALU_CYCLE_1)
	s_xor_b32 exec_lo, exec_lo, s3
	s_cbranch_execz .LBB73_52
.LBB73_151:
	v_add_f32_e64 v7, 0x46000000, |v6|
	s_and_not1_b32 s2, s2, exec_lo
	s_mov_b32 s4, 0
	s_delay_alu instid0(VALU_DEP_1) | instskip(NEXT) | instid1(VALU_DEP_1)
	v_and_b32_e32 v7, 0xff, v7
	v_cmp_ne_u32_e32 vcc_lo, 0, v7
	s_and_b32 s5, vcc_lo, exec_lo
	s_delay_alu instid0(SALU_CYCLE_1)
	s_or_b32 s2, s2, s5
	s_or_b32 exec_lo, exec_lo, s3
	v_mov_b32_e32 v8, s4
	s_and_saveexec_b32 s3, s2
	s_cbranch_execnz .LBB73_53
	s_branch .LBB73_54
.LBB73_152:
	s_mov_b32 s42, -1
                                        ; implicit-def: $vgpr2
.LBB73_153:
	s_delay_alu instid0(SALU_CYCLE_1)
	v_mov_b32_e32 v3, s42
.LBB73_154:
	s_mov_b32 s1, 0
.LBB73_155:
	s_delay_alu instid0(SALU_CYCLE_1)
	s_and_b32 vcc_lo, exec_lo, s1
	s_cbranch_vccz .LBB73_160
; %bb.156:
	v_cmp_eq_u16_e32 vcc_lo, 29, v19
	s_cbranch_vccz .LBB73_158
; %bb.157:
	global_load_b64 v[2:3], v[0:1], off
	s_mov_b32 s0, -1
	s_mov_b32 s42, 0
	s_mov_b32 s1, 0
	s_waitcnt vmcnt(0)
	v_clz_i32_u32_e32 v4, v3
	s_delay_alu instid0(VALU_DEP_1) | instskip(NEXT) | instid1(VALU_DEP_1)
	v_min_u32_e32 v4, 32, v4
	v_lshlrev_b64 v[2:3], v4, v[2:3]
	s_delay_alu instid0(VALU_DEP_1) | instskip(NEXT) | instid1(VALU_DEP_1)
	v_min_u32_e32 v2, 1, v2
	v_or_b32_e32 v2, v3, v2
	v_sub_nc_u32_e32 v3, 32, v4
	s_delay_alu instid0(VALU_DEP_2) | instskip(NEXT) | instid1(VALU_DEP_1)
	v_cvt_f32_u32_e32 v2, v2
	v_ldexp_f32 v2, v2, v3
	s_delay_alu instid0(VALU_DEP_1)
	v_cvt_f16_f32_e32 v2, v2
	s_branch .LBB73_159
.LBB73_158:
	s_mov_b32 s42, -1
                                        ; implicit-def: $sgpr1
                                        ; implicit-def: $vgpr2
.LBB73_159:
	v_mov_b32_e32 v3, s1
.LBB73_160:
	s_mov_b32 s1, 0
.LBB73_161:
	s_delay_alu instid0(SALU_CYCLE_1)
	s_and_b32 vcc_lo, exec_lo, s1
	s_cbranch_vccz .LBB73_181
; %bb.162:
	v_cmp_gt_i16_e32 vcc_lo, 27, v19
	s_cbranch_vccnz .LBB73_165
; %bb.163:
	v_cmp_lt_i16_e32 vcc_lo, 27, v19
	s_cbranch_vccz .LBB73_166
; %bb.164:
	global_load_b32 v2, v[0:1], off
	s_mov_b32 s1, 0
	s_mov_b32 s0, 0
	s_waitcnt vmcnt(0)
	v_cvt_f32_u32_e32 v2, v2
	s_delay_alu instid0(VALU_DEP_1)
	v_cvt_f16_f32_e32 v2, v2
	s_branch .LBB73_167
.LBB73_165:
	s_mov_b32 s1, -1
                                        ; implicit-def: $sgpr0
                                        ; implicit-def: $vgpr2
	s_branch .LBB73_170
.LBB73_166:
	s_mov_b32 s1, -1
                                        ; implicit-def: $sgpr0
                                        ; implicit-def: $vgpr2
.LBB73_167:
	s_delay_alu instid0(SALU_CYCLE_1)
	s_and_not1_b32 vcc_lo, exec_lo, s1
	s_cbranch_vccnz .LBB73_169
; %bb.168:
	global_load_u16 v2, v[0:1], off
	s_mov_b32 s0, 0
	s_waitcnt vmcnt(0)
	v_cvt_f16_u16_e32 v2, v2
.LBB73_169:
	s_mov_b32 s1, 0
.LBB73_170:
	v_mov_b32_e32 v3, s0
	s_and_not1_b32 vcc_lo, exec_lo, s1
	s_cbranch_vccnz .LBB73_180
; %bb.171:
	global_load_u8 v4, v[0:1], off
	s_mov_b32 s0, 0
	s_mov_b32 s3, exec_lo
                                        ; implicit-def: $sgpr2
                                        ; implicit-def: $sgpr1
	s_waitcnt vmcnt(0)
	v_cmpx_lt_i16_e32 0x7f, v4
	s_xor_b32 s3, exec_lo, s3
	s_cbranch_execz .LBB73_175
; %bb.172:
	s_mov_b32 s0, -1
	s_mov_b32 s4, exec_lo
                                        ; implicit-def: $sgpr2
                                        ; implicit-def: $sgpr1
	v_cmpx_eq_u16_e32 0x80, v4
; %bb.173:
	s_movk_i32 s1, 0x7e00
	s_mov_b32 s2, 0
	s_xor_b32 s0, exec_lo, -1
; %bb.174:
	s_or_b32 exec_lo, exec_lo, s4
	s_delay_alu instid0(SALU_CYCLE_1)
	s_and_b32 s0, s0, exec_lo
.LBB73_175:
	s_or_saveexec_b32 s3, s3
	v_dual_mov_b32 v3, s2 :: v_dual_mov_b32 v2, s1
	s_xor_b32 exec_lo, exec_lo, s3
; %bb.176:
	v_cmp_ne_u16_e32 vcc_lo, 0, v4
	v_dual_mov_b32 v3, 0 :: v_dual_mov_b32 v2, v4
	s_and_not1_b32 s0, s0, exec_lo
	s_and_b32 s1, vcc_lo, exec_lo
	s_delay_alu instid0(SALU_CYCLE_1)
	s_or_b32 s0, s0, s1
; %bb.177:
	s_or_b32 exec_lo, exec_lo, s3
	s_and_saveexec_b32 s1, s0
	s_cbranch_execz .LBB73_179
; %bb.178:
	v_and_b32_e32 v2, 0xffff, v4
	v_lshlrev_b32_e32 v4, 24, v4
	s_delay_alu instid0(VALU_DEP_2) | instskip(NEXT) | instid1(VALU_DEP_2)
	v_and_b32_e32 v3, 7, v2
	v_and_b32_e32 v4, 0x80000000, v4
	s_delay_alu instid0(VALU_DEP_2) | instskip(NEXT) | instid1(VALU_DEP_1)
	v_clz_i32_u32_e32 v5, v3
	v_min_u32_e32 v5, 32, v5
	s_delay_alu instid0(VALU_DEP_1) | instskip(SKIP_1) | instid1(VALU_DEP_2)
	v_subrev_nc_u32_e32 v6, 28, v5
	v_sub_nc_u32_e32 v5, 29, v5
	v_lshlrev_b32_e32 v6, v6, v2
	v_bfe_u32 v2, v2, 3, 4
	s_delay_alu instid0(VALU_DEP_2) | instskip(NEXT) | instid1(VALU_DEP_2)
	v_and_b32_e32 v6, 7, v6
	v_cmp_eq_u32_e32 vcc_lo, 0, v2
	s_delay_alu instid0(VALU_DEP_2) | instskip(NEXT) | instid1(VALU_DEP_1)
	v_dual_cndmask_b32 v2, v2, v5 :: v_dual_cndmask_b32 v3, v3, v6
	v_lshl_add_u32 v2, v2, 23, 0x3b800000
	s_delay_alu instid0(VALU_DEP_2) | instskip(NEXT) | instid1(VALU_DEP_1)
	v_lshlrev_b32_e32 v3, 20, v3
	v_or3_b32 v2, v4, v2, v3
	v_mov_b32_e32 v3, 0
	s_delay_alu instid0(VALU_DEP_2)
	v_cvt_f16_f32_e32 v2, v2
.LBB73_179:
	s_or_b32 exec_lo, exec_lo, s1
.LBB73_180:
	s_mov_b32 s0, -1
.LBB73_181:
	s_branch .LBB73_215
.LBB73_182:
	v_cmp_lt_i16_e32 vcc_lo, 22, v19
	s_cbranch_vccz .LBB73_194
; %bb.183:
	v_cmp_gt_i16_e32 vcc_lo, 24, v19
	s_cbranch_vccnz .LBB73_195
; %bb.184:
	v_cmp_lt_i16_e32 vcc_lo, 24, v19
	s_cbranch_vccz .LBB73_196
; %bb.185:
	global_load_u8 v4, v[0:1], off
	s_mov_b32 s0, 0
	s_mov_b32 s3, exec_lo
                                        ; implicit-def: $sgpr2
                                        ; implicit-def: $sgpr1
	s_waitcnt vmcnt(0)
	v_cmpx_lt_i16_e32 0x7f, v4
	s_xor_b32 s3, exec_lo, s3
	s_cbranch_execz .LBB73_189
; %bb.186:
	s_mov_b32 s0, -1
	s_mov_b32 s4, exec_lo
                                        ; implicit-def: $sgpr2
                                        ; implicit-def: $sgpr1
	v_cmpx_eq_u16_e32 0x80, v4
; %bb.187:
	s_movk_i32 s1, 0x7e00
	s_mov_b32 s2, 0
	s_xor_b32 s0, exec_lo, -1
; %bb.188:
	s_or_b32 exec_lo, exec_lo, s4
	s_delay_alu instid0(SALU_CYCLE_1)
	s_and_b32 s0, s0, exec_lo
.LBB73_189:
	s_or_saveexec_b32 s3, s3
	v_dual_mov_b32 v3, s2 :: v_dual_mov_b32 v2, s1
	s_xor_b32 exec_lo, exec_lo, s3
; %bb.190:
	v_cmp_ne_u16_e32 vcc_lo, 0, v4
	v_dual_mov_b32 v3, 0 :: v_dual_mov_b32 v2, v4
	s_and_not1_b32 s0, s0, exec_lo
	s_and_b32 s1, vcc_lo, exec_lo
	s_delay_alu instid0(SALU_CYCLE_1)
	s_or_b32 s0, s0, s1
; %bb.191:
	s_or_b32 exec_lo, exec_lo, s3
	s_and_saveexec_b32 s1, s0
	s_cbranch_execz .LBB73_193
; %bb.192:
	v_and_b32_e32 v2, 0xffff, v4
	v_lshlrev_b32_e32 v4, 24, v4
	s_delay_alu instid0(VALU_DEP_2) | instskip(NEXT) | instid1(VALU_DEP_2)
	v_and_b32_e32 v3, 3, v2
	v_and_b32_e32 v4, 0x80000000, v4
	s_delay_alu instid0(VALU_DEP_2) | instskip(NEXT) | instid1(VALU_DEP_1)
	v_clz_i32_u32_e32 v5, v3
	v_min_u32_e32 v5, 32, v5
	s_delay_alu instid0(VALU_DEP_1) | instskip(SKIP_1) | instid1(VALU_DEP_2)
	v_subrev_nc_u32_e32 v6, 29, v5
	v_sub_nc_u32_e32 v5, 30, v5
	v_lshlrev_b32_e32 v6, v6, v2
	v_bfe_u32 v2, v2, 2, 5
	s_delay_alu instid0(VALU_DEP_2) | instskip(NEXT) | instid1(VALU_DEP_2)
	v_and_b32_e32 v6, 3, v6
	v_cmp_eq_u32_e32 vcc_lo, 0, v2
	s_delay_alu instid0(VALU_DEP_2) | instskip(NEXT) | instid1(VALU_DEP_1)
	v_dual_cndmask_b32 v2, v2, v5 :: v_dual_cndmask_b32 v3, v3, v6
	v_lshl_add_u32 v2, v2, 23, 0x37800000
	s_delay_alu instid0(VALU_DEP_2) | instskip(NEXT) | instid1(VALU_DEP_1)
	v_lshlrev_b32_e32 v3, 21, v3
	v_or3_b32 v2, v4, v2, v3
	v_mov_b32_e32 v3, 0
	s_delay_alu instid0(VALU_DEP_2)
	v_cvt_f16_f32_e32 v2, v2
.LBB73_193:
	s_or_b32 exec_lo, exec_lo, s1
	s_mov_b32 s0, 0
	s_branch .LBB73_197
.LBB73_194:
	s_mov_b32 s1, -1
                                        ; implicit-def: $vgpr3
                                        ; implicit-def: $vgpr2
	s_branch .LBB73_203
.LBB73_195:
	s_mov_b32 s0, -1
                                        ; implicit-def: $vgpr3
                                        ; implicit-def: $vgpr2
	s_branch .LBB73_200
.LBB73_196:
	s_mov_b32 s0, -1
                                        ; implicit-def: $vgpr3
                                        ; implicit-def: $vgpr2
.LBB73_197:
	s_delay_alu instid0(SALU_CYCLE_1)
	s_and_b32 vcc_lo, exec_lo, s0
	s_cbranch_vccz .LBB73_199
; %bb.198:
	global_load_u8 v2, v[0:1], off
	s_waitcnt vmcnt(0)
	v_lshlrev_b32_e32 v2, 24, v2
	s_delay_alu instid0(VALU_DEP_1) | instskip(NEXT) | instid1(VALU_DEP_1)
	v_and_b32_e32 v3, 0x7f000000, v2
	v_clz_i32_u32_e32 v4, v3
	v_add_nc_u32_e32 v6, 0x1000000, v3
	v_cmp_ne_u32_e32 vcc_lo, 0, v3
	s_delay_alu instid0(VALU_DEP_3) | instskip(NEXT) | instid1(VALU_DEP_1)
	v_min_u32_e32 v4, 32, v4
	v_sub_nc_u32_e64 v4, v4, 4 clamp
	s_delay_alu instid0(VALU_DEP_1) | instskip(SKIP_1) | instid1(VALU_DEP_2)
	v_lshlrev_b32_e32 v5, v4, v3
	v_lshlrev_b32_e32 v4, 23, v4
	v_lshrrev_b32_e32 v5, 4, v5
	s_delay_alu instid0(VALU_DEP_1) | instskip(SKIP_1) | instid1(VALU_DEP_2)
	v_sub_nc_u32_e32 v4, v5, v4
	v_ashrrev_i32_e32 v5, 8, v6
	v_add_nc_u32_e32 v4, 0x3c000000, v4
	s_delay_alu instid0(VALU_DEP_1) | instskip(NEXT) | instid1(VALU_DEP_1)
	v_and_or_b32 v4, 0x7f800000, v5, v4
	v_cndmask_b32_e32 v3, 0, v4, vcc_lo
	s_delay_alu instid0(VALU_DEP_1) | instskip(SKIP_1) | instid1(VALU_DEP_2)
	v_and_or_b32 v2, 0x80000000, v2, v3
	v_mov_b32_e32 v3, 0
	v_cvt_f16_f32_e32 v2, v2
.LBB73_199:
	s_mov_b32 s0, 0
.LBB73_200:
	s_delay_alu instid0(SALU_CYCLE_1)
	s_and_not1_b32 vcc_lo, exec_lo, s0
	s_cbranch_vccnz .LBB73_202
; %bb.201:
	global_load_u8 v2, v[0:1], off
	s_waitcnt vmcnt(0)
	v_lshlrev_b32_e32 v3, 25, v2
	v_lshlrev_b16 v2, 8, v2
	s_delay_alu instid0(VALU_DEP_2) | instskip(NEXT) | instid1(VALU_DEP_2)
	v_lshrrev_b32_e32 v4, 4, v3
	v_and_or_b32 v5, 0x7f00, v2, 0.5
	v_bfe_i32 v2, v2, 0, 16
	s_delay_alu instid0(VALU_DEP_3) | instskip(NEXT) | instid1(VALU_DEP_1)
	v_or_b32_e32 v4, 0x70000000, v4
	v_dual_add_f32 v5, -0.5, v5 :: v_dual_mul_f32 v4, 0x7800000, v4
	v_cmp_gt_u32_e32 vcc_lo, 0x8000000, v3
	s_delay_alu instid0(VALU_DEP_2) | instskip(NEXT) | instid1(VALU_DEP_1)
	v_cndmask_b32_e32 v3, v4, v5, vcc_lo
	v_and_or_b32 v2, 0x80000000, v2, v3
	v_mov_b32_e32 v3, 0
	s_delay_alu instid0(VALU_DEP_2)
	v_cvt_f16_f32_e32 v2, v2
.LBB73_202:
	s_mov_b32 s1, 0
	s_mov_b32 s0, -1
.LBB73_203:
	s_and_not1_b32 vcc_lo, exec_lo, s1
	s_cbranch_vccnz .LBB73_215
; %bb.204:
	v_cmp_lt_i16_e32 vcc_lo, 14, v19
	s_cbranch_vccz .LBB73_207
; %bb.205:
	v_cmp_eq_u16_e32 vcc_lo, 15, v19
	s_cbranch_vccz .LBB73_208
; %bb.206:
	global_load_u16 v2, v[0:1], off
	s_mov_b32 s0, -1
	s_mov_b32 s42, 0
	s_mov_b32 s1, 0
	s_waitcnt vmcnt(0)
	v_lshlrev_b32_e32 v2, 16, v2
	s_delay_alu instid0(VALU_DEP_1)
	v_cvt_f16_f32_e32 v2, v2
	s_branch .LBB73_209
.LBB73_207:
	s_mov_b32 s2, -1
                                        ; implicit-def: $sgpr1
                                        ; implicit-def: $vgpr2
	s_branch .LBB73_210
.LBB73_208:
	s_mov_b32 s42, -1
                                        ; implicit-def: $sgpr1
                                        ; implicit-def: $vgpr2
.LBB73_209:
	s_mov_b32 s2, 0
.LBB73_210:
	s_delay_alu instid0(SALU_CYCLE_1)
	s_and_b32 vcc_lo, exec_lo, s2
	s_cbranch_vccz .LBB73_214
; %bb.211:
	v_cmp_eq_u16_e32 vcc_lo, 11, v19
	s_cbranch_vccz .LBB73_213
; %bb.212:
	global_load_u8 v2, v[0:1], off
	s_mov_b32 s1, 0
	s_mov_b32 s0, -1
	s_mov_b32 s42, 0
	s_waitcnt vmcnt(0)
	v_cmp_ne_u16_e32 vcc_lo, 0, v2
	v_cndmask_b32_e64 v2, 0, 0x3c00, vcc_lo
	s_branch .LBB73_214
.LBB73_213:
	s_mov_b32 s42, -1
                                        ; implicit-def: $sgpr1
                                        ; implicit-def: $vgpr2
.LBB73_214:
	v_mov_b32_e32 v3, s1
.LBB73_215:
	s_branch .LBB73_23
.LBB73_216:
	v_cmp_gt_i16_e32 vcc_lo, 5, v19
	s_cbranch_vccnz .LBB73_221
; %bb.217:
	v_cmp_gt_i16_e32 vcc_lo, 8, v19
	s_cbranch_vccnz .LBB73_222
; %bb.218:
	;; [unrolled: 3-line block ×3, first 2 shown]
	v_cmp_lt_i16_e32 vcc_lo, 9, v19
	s_cbranch_vccz .LBB73_224
; %bb.220:
	global_load_b128 v[2:5], v[0:1], off
	s_mov_b32 s0, 0
	s_waitcnt vmcnt(0)
	v_cvt_f32_f64_e32 v2, v[2:3]
	v_cvt_f32_f64_e32 v3, v[4:5]
	s_delay_alu instid0(VALU_DEP_2) | instskip(NEXT) | instid1(VALU_DEP_2)
	v_cvt_f16_f32_e32 v2, v2
	v_cvt_f16_f32_e32 v3, v3
	s_branch .LBB73_225
.LBB73_221:
                                        ; implicit-def: $vgpr3
                                        ; implicit-def: $vgpr2
	s_branch .LBB73_244
.LBB73_222:
	s_mov_b32 s0, -1
                                        ; implicit-def: $vgpr3
                                        ; implicit-def: $vgpr2
	s_branch .LBB73_231
.LBB73_223:
	s_mov_b32 s0, -1
                                        ; implicit-def: $vgpr3
                                        ; implicit-def: $vgpr2
	s_branch .LBB73_228
.LBB73_224:
	s_mov_b32 s0, -1
                                        ; implicit-def: $vgpr3
                                        ; implicit-def: $vgpr2
.LBB73_225:
	s_delay_alu instid0(SALU_CYCLE_1)
	s_and_not1_b32 vcc_lo, exec_lo, s0
	s_cbranch_vccnz .LBB73_227
; %bb.226:
	global_load_b64 v[2:3], v[0:1], off
	s_waitcnt vmcnt(0)
	v_cvt_f16_f32_e32 v2, v2
	v_cvt_f16_f32_e32 v3, v3
.LBB73_227:
	s_mov_b32 s0, 0
.LBB73_228:
	s_delay_alu instid0(SALU_CYCLE_1)
	s_and_not1_b32 vcc_lo, exec_lo, s0
	s_cbranch_vccnz .LBB73_230
; %bb.229:
	global_load_b32 v2, v[0:1], off
	s_waitcnt vmcnt(0)
	v_lshrrev_b32_e32 v3, 16, v2
.LBB73_230:
	s_mov_b32 s0, 0
.LBB73_231:
	s_delay_alu instid0(SALU_CYCLE_1)
	s_and_not1_b32 vcc_lo, exec_lo, s0
	s_cbranch_vccnz .LBB73_243
; %bb.232:
	v_cmp_gt_i16_e32 vcc_lo, 6, v19
	s_cbranch_vccnz .LBB73_235
; %bb.233:
	v_cmp_lt_i16_e32 vcc_lo, 6, v19
	s_cbranch_vccz .LBB73_236
; %bb.234:
	global_load_b64 v[2:3], v[0:1], off
	s_mov_b32 s1, 0
	s_mov_b32 s0, 0
	s_waitcnt vmcnt(0)
	v_cvt_f32_f64_e32 v2, v[2:3]
	s_delay_alu instid0(VALU_DEP_1)
	v_cvt_f16_f32_e32 v2, v2
	s_branch .LBB73_237
.LBB73_235:
	s_mov_b32 s1, -1
                                        ; implicit-def: $sgpr0
                                        ; implicit-def: $vgpr2
	s_branch .LBB73_240
.LBB73_236:
	s_mov_b32 s1, -1
                                        ; implicit-def: $sgpr0
                                        ; implicit-def: $vgpr2
.LBB73_237:
	s_delay_alu instid0(SALU_CYCLE_1)
	s_and_not1_b32 vcc_lo, exec_lo, s1
	s_cbranch_vccnz .LBB73_239
; %bb.238:
	global_load_b32 v2, v[0:1], off
	s_mov_b32 s0, 0
	s_waitcnt vmcnt(0)
	v_cvt_f16_f32_e32 v2, v2
.LBB73_239:
	s_mov_b32 s1, 0
.LBB73_240:
	s_delay_alu instid0(SALU_CYCLE_1)
	s_and_not1_b32 vcc_lo, exec_lo, s1
	s_cbranch_vccnz .LBB73_242
; %bb.241:
	global_load_u16 v2, v[0:1], off
	s_mov_b32 s0, 0
.LBB73_242:
	s_delay_alu instid0(SALU_CYCLE_1)
	v_mov_b32_e32 v3, s0
.LBB73_243:
	s_cbranch_execnz .LBB73_264
.LBB73_244:
	v_cmp_gt_i16_e32 vcc_lo, 2, v19
	s_cbranch_vccnz .LBB73_248
; %bb.245:
	v_cmp_gt_i16_e32 vcc_lo, 3, v19
	s_cbranch_vccnz .LBB73_249
; %bb.246:
	v_cmp_lt_i16_e32 vcc_lo, 3, v19
	s_cbranch_vccz .LBB73_250
; %bb.247:
	global_load_b64 v[2:3], v[0:1], off
	s_mov_b32 s1, 0
	s_mov_b32 s0, 0
	s_waitcnt vmcnt(0)
	v_xor_b32_e32 v4, v2, v3
	v_cls_i32_e32 v5, v3
	s_delay_alu instid0(VALU_DEP_2) | instskip(NEXT) | instid1(VALU_DEP_2)
	v_ashrrev_i32_e32 v4, 31, v4
	v_add_nc_u32_e32 v5, -1, v5
	s_delay_alu instid0(VALU_DEP_2) | instskip(NEXT) | instid1(VALU_DEP_1)
	v_add_nc_u32_e32 v4, 32, v4
	v_min_u32_e32 v4, v5, v4
	s_delay_alu instid0(VALU_DEP_1) | instskip(NEXT) | instid1(VALU_DEP_1)
	v_lshlrev_b64 v[2:3], v4, v[2:3]
	v_min_u32_e32 v2, 1, v2
	s_delay_alu instid0(VALU_DEP_1) | instskip(SKIP_1) | instid1(VALU_DEP_2)
	v_or_b32_e32 v2, v3, v2
	v_sub_nc_u32_e32 v3, 32, v4
	v_cvt_f32_i32_e32 v2, v2
	s_delay_alu instid0(VALU_DEP_1) | instskip(NEXT) | instid1(VALU_DEP_1)
	v_ldexp_f32 v2, v2, v3
	v_cvt_f16_f32_e32 v2, v2
	s_branch .LBB73_251
.LBB73_248:
	s_mov_b32 s1, -1
                                        ; implicit-def: $sgpr0
                                        ; implicit-def: $vgpr2
	s_branch .LBB73_257
.LBB73_249:
	s_mov_b32 s1, -1
                                        ; implicit-def: $sgpr0
                                        ; implicit-def: $vgpr2
	s_branch .LBB73_254
.LBB73_250:
	s_mov_b32 s1, -1
                                        ; implicit-def: $sgpr0
                                        ; implicit-def: $vgpr2
.LBB73_251:
	s_delay_alu instid0(SALU_CYCLE_1)
	s_and_not1_b32 vcc_lo, exec_lo, s1
	s_cbranch_vccnz .LBB73_253
; %bb.252:
	global_load_b32 v2, v[0:1], off
	s_mov_b32 s0, 0
	s_waitcnt vmcnt(0)
	v_cvt_f32_i32_e32 v2, v2
	s_delay_alu instid0(VALU_DEP_1)
	v_cvt_f16_f32_e32 v2, v2
.LBB73_253:
	s_mov_b32 s1, 0
.LBB73_254:
	s_delay_alu instid0(SALU_CYCLE_1)
	s_and_not1_b32 vcc_lo, exec_lo, s1
	s_cbranch_vccnz .LBB73_256
; %bb.255:
	global_load_u16 v2, v[0:1], off
	s_mov_b32 s0, 0
	s_waitcnt vmcnt(0)
	v_cvt_f16_i16_e32 v2, v2
.LBB73_256:
	s_mov_b32 s1, 0
.LBB73_257:
	s_delay_alu instid0(SALU_CYCLE_1)
	s_and_not1_b32 vcc_lo, exec_lo, s1
	s_cbranch_vccnz .LBB73_263
; %bb.258:
	v_cmp_lt_i16_e32 vcc_lo, 0, v19
	s_mov_b32 s1, 0
	s_cbranch_vccz .LBB73_260
; %bb.259:
	global_load_i8 v2, v[0:1], off
	s_mov_b32 s0, 0
	s_waitcnt vmcnt(0)
	v_cvt_f16_i16_e32 v2, v2
	s_branch .LBB73_261
.LBB73_260:
	s_mov_b32 s1, -1
                                        ; implicit-def: $sgpr0
                                        ; implicit-def: $vgpr2
.LBB73_261:
	s_delay_alu instid0(SALU_CYCLE_1)
	s_and_not1_b32 vcc_lo, exec_lo, s1
	s_cbranch_vccnz .LBB73_263
; %bb.262:
	global_load_u8 v0, v[0:1], off
	s_mov_b32 s0, 0
	s_waitcnt vmcnt(0)
	v_cvt_f16_u16_e32 v2, v0
.LBB73_263:
	v_mov_b32_e32 v3, s0
.LBB73_264:
	s_branch .LBB73_24
.LBB73_265:
	s_mov_b32 s0, 0
.LBB73_266:
	s_mov_b32 s1, 0
                                        ; implicit-def: $vgpr21
.LBB73_267:
	s_and_b32 s41, s0, exec_lo
	s_and_b32 s42, s42, exec_lo
	s_or_not1_b32 s1, s1, exec_lo
.LBB73_268:
	s_or_b32 exec_lo, exec_lo, s43
	s_mov_b32 s2, 0
	s_mov_b32 s0, 0
                                        ; implicit-def: $vgpr0_vgpr1
                                        ; implicit-def: $vgpr17
                                        ; implicit-def: $vgpr6
                                        ; implicit-def: $vgpr4
	s_and_saveexec_b32 s43, s1
	s_cbranch_execz .LBB73_924
; %bb.269:
	s_mov_b32 s0, -1
	s_mov_b32 s44, s42
	s_mov_b32 s45, s41
	s_mov_b32 s46, exec_lo
	v_cmpx_gt_i32_e64 s38, v21
	s_cbranch_execz .LBB73_543
; %bb.270:
	s_and_not1_b32 vcc_lo, exec_lo, s35
	s_cbranch_vccnz .LBB73_275
; %bb.271:
	v_dual_mov_b32 v17, 0 :: v_dual_mov_b32 v0, 0
	s_and_not1_b32 vcc_lo, exec_lo, s40
	s_mov_b32 s4, 0
	s_cbranch_vccnz .LBB73_280
; %bb.272:
	v_mov_b32_e32 v17, 0
	s_add_i32 s6, s39, 1
	s_cmp_eq_u32 s33, 2
	s_mov_b32 s5, 0
	s_cbranch_scc1 .LBB73_276
; %bb.273:
	v_dual_mov_b32 v0, 0 :: v_dual_mov_b32 v17, 0
	v_mov_b32_e32 v1, v21
	s_and_b32 s5, s6, 28
	s_mov_b32 s7, 0
	s_mov_b64 s[0:1], s[28:29]
	s_mov_b64 s[2:3], s[24:25]
.LBB73_274:                             ; =>This Inner Loop Header: Depth=1
	s_clause 0x1
	s_load_b256 s[48:55], s[2:3], 0x4
	s_load_b128 s[64:67], s[2:3], 0x24
	s_load_b256 s[56:63], s[0:1], 0x0
	s_add_u32 s2, s2, 48
	s_addc_u32 s3, s3, 0
	s_add_i32 s7, s7, 4
	s_add_u32 s0, s0, 32
	s_addc_u32 s1, s1, 0
	s_cmp_eq_u32 s5, s7
	s_waitcnt vmcnt(0) lgkmcnt(0)
	v_mul_hi_u32 v2, s49, v1
	s_delay_alu instid0(VALU_DEP_1) | instskip(NEXT) | instid1(VALU_DEP_1)
	v_add_nc_u32_e32 v2, v1, v2
	v_lshrrev_b32_e32 v2, s50, v2
	s_delay_alu instid0(VALU_DEP_1) | instskip(SKIP_1) | instid1(VALU_DEP_2)
	v_mul_hi_u32 v3, s52, v2
	v_mul_lo_u32 v5, v2, s48
	v_add_nc_u32_e32 v3, v2, v3
	s_delay_alu instid0(VALU_DEP_2) | instskip(NEXT) | instid1(VALU_DEP_2)
	v_sub_nc_u32_e32 v1, v1, v5
	v_lshrrev_b32_e32 v3, s53, v3
	s_delay_alu instid0(VALU_DEP_2) | instskip(SKIP_1) | instid1(VALU_DEP_3)
	v_mul_lo_u32 v5, v1, s56
	v_mul_lo_u32 v7, v1, s57
	v_mul_hi_u32 v4, s55, v3
	s_delay_alu instid0(VALU_DEP_1) | instskip(NEXT) | instid1(VALU_DEP_1)
	v_add_nc_u32_e32 v4, v3, v4
	v_lshrrev_b32_e32 v4, s64, v4
	s_delay_alu instid0(VALU_DEP_1) | instskip(SKIP_1) | instid1(VALU_DEP_2)
	v_mul_hi_u32 v6, s66, v4
	v_mul_lo_u32 v8, v4, s54
	v_add_nc_u32_e32 v1, v4, v6
	v_mul_lo_u32 v6, v3, s51
	s_delay_alu instid0(VALU_DEP_3) | instskip(NEXT) | instid1(VALU_DEP_3)
	v_sub_nc_u32_e32 v3, v3, v8
	v_lshrrev_b32_e32 v1, s67, v1
	s_delay_alu instid0(VALU_DEP_2) | instskip(SKIP_2) | instid1(VALU_DEP_4)
	v_mul_lo_u32 v8, v3, s60
	v_mul_lo_u32 v3, v3, s61
	v_sub_nc_u32_e32 v2, v2, v6
	v_mul_lo_u32 v9, v1, s65
	s_delay_alu instid0(VALU_DEP_2) | instskip(SKIP_1) | instid1(VALU_DEP_3)
	v_mul_lo_u32 v6, v2, s58
	v_mul_lo_u32 v2, v2, s59
	v_sub_nc_u32_e32 v4, v4, v9
	s_delay_alu instid0(VALU_DEP_3) | instskip(NEXT) | instid1(VALU_DEP_2)
	v_add3_u32 v5, v5, v17, v6
	v_mul_lo_u32 v9, v4, s62
	v_mul_lo_u32 v4, v4, s63
	v_add3_u32 v0, v7, v0, v2
	s_delay_alu instid0(VALU_DEP_3) | instskip(NEXT) | instid1(VALU_DEP_2)
	v_add3_u32 v17, v8, v5, v9
	v_add3_u32 v0, v3, v0, v4
	s_cbranch_scc0 .LBB73_274
	s_branch .LBB73_277
.LBB73_275:
	s_mov_b32 s4, -1
                                        ; implicit-def: $vgpr17
                                        ; implicit-def: $vgpr0
	s_branch .LBB73_280
.LBB73_276:
	v_dual_mov_b32 v1, v21 :: v_dual_mov_b32 v0, 0
.LBB73_277:
	s_and_b32 s6, s6, 3
	s_delay_alu instid0(SALU_CYCLE_1)
	s_cmp_eq_u32 s6, 0
	s_cbranch_scc1 .LBB73_280
; %bb.278:
	s_lshl_b32 s0, s5, 3
	s_mul_i32 s2, s5, 12
	s_add_u32 s0, s0, s24
	s_addc_u32 s1, s25, 0
	s_add_u32 s0, s0, 0xc4
	s_addc_u32 s1, s1, 0
	;; [unrolled: 2-line block ×3, first 2 shown]
	.p2align	6
.LBB73_279:                             ; =>This Inner Loop Header: Depth=1
	s_clause 0x1
	s_load_b64 s[30:31], s[2:3], 0x4
	s_load_b32 s5, s[2:3], 0xc
	s_load_b64 s[44:45], s[0:1], 0x0
	s_add_u32 s2, s2, 12
	s_addc_u32 s3, s3, 0
	s_add_u32 s0, s0, 8
	s_addc_u32 s1, s1, 0
	s_add_i32 s6, s6, -1
	s_delay_alu instid0(SALU_CYCLE_1) | instskip(SKIP_2) | instid1(VALU_DEP_1)
	s_cmp_lg_u32 s6, 0
	s_waitcnt vmcnt(0) lgkmcnt(0)
	v_mul_hi_u32 v2, s31, v1
	v_add_nc_u32_e32 v2, v1, v2
	s_delay_alu instid0(VALU_DEP_1) | instskip(NEXT) | instid1(VALU_DEP_1)
	v_lshrrev_b32_e32 v5, s5, v2
	v_mul_lo_u32 v2, v5, s30
	s_delay_alu instid0(VALU_DEP_1) | instskip(NEXT) | instid1(VALU_DEP_1)
	v_sub_nc_u32_e32 v1, v1, v2
	v_mad_u64_u32 v[2:3], null, v1, s44, v[17:18]
	v_mad_u64_u32 v[3:4], null, v1, s45, v[0:1]
	v_mov_b32_e32 v1, v5
	s_delay_alu instid0(VALU_DEP_2)
	v_dual_mov_b32 v17, v2 :: v_dual_mov_b32 v0, v3
	s_cbranch_scc1 .LBB73_279
.LBB73_280:
	s_and_not1_b32 vcc_lo, exec_lo, s4
	s_cbranch_vccnz .LBB73_283
; %bb.281:
	s_waitcnt lgkmcnt(0)
	v_mul_hi_u32 v0, s21, v21
	s_and_not1_b32 vcc_lo, exec_lo, s37
	s_delay_alu instid0(VALU_DEP_1) | instskip(NEXT) | instid1(VALU_DEP_1)
	v_add_nc_u32_e32 v0, v21, v0
	v_lshrrev_b32_e32 v1, s22, v0
	s_delay_alu instid0(VALU_DEP_1) | instskip(NEXT) | instid1(VALU_DEP_1)
	v_mul_lo_u32 v0, v1, s20
	v_sub_nc_u32_e32 v0, v21, v0
	s_delay_alu instid0(VALU_DEP_1)
	v_mul_lo_u32 v17, v0, s16
	v_mul_lo_u32 v0, v0, s17
	s_cbranch_vccnz .LBB73_283
; %bb.282:
	s_waitcnt vmcnt(0)
	v_mul_hi_u32 v2, s26, v1
	s_delay_alu instid0(VALU_DEP_1) | instskip(NEXT) | instid1(VALU_DEP_1)
	v_add_nc_u32_e32 v2, v1, v2
	v_lshrrev_b32_e32 v2, s27, v2
	s_delay_alu instid0(VALU_DEP_1) | instskip(NEXT) | instid1(VALU_DEP_1)
	v_mul_lo_u32 v2, v2, s23
	v_sub_nc_u32_e32 v4, v1, v2
	s_delay_alu instid0(VALU_DEP_1) | instskip(NEXT) | instid1(VALU_DEP_1)
	v_mad_u64_u32 v[1:2], null, v4, s18, v[17:18]
	v_mad_u64_u32 v[2:3], null, v4, s19, v[0:1]
	s_delay_alu instid0(VALU_DEP_1)
	v_dual_mov_b32 v17, v1 :: v_dual_mov_b32 v0, v2
.LBB73_283:
	v_cmp_gt_i16_e32 vcc_lo, 11, v19
	s_waitcnt lgkmcnt(0)
	s_delay_alu instid0(VALU_DEP_2) | instskip(NEXT) | instid1(VALU_DEP_1)
	v_add_co_u32 v0, s0, s14, v0
	v_add_co_ci_u32_e64 v1, null, s15, 0, s0
	s_mov_b32 s0, 0
	s_cbranch_vccnz .LBB73_290
; %bb.284:
	v_cmp_lt_i16_e32 vcc_lo, 25, v19
	s_cbranch_vccz .LBB73_339
; %bb.285:
	v_cmp_lt_i16_e32 vcc_lo, 28, v19
	s_cbranch_vccz .LBB73_340
	;; [unrolled: 3-line block ×4, first 2 shown]
; %bb.288:
	v_cmp_eq_u16_e32 vcc_lo, 46, v19
	s_mov_b32 s1, 0
	s_cbranch_vccz .LBB73_348
; %bb.289:
	global_load_b32 v2, v[0:1], off
	s_mov_b32 s0, -1
	s_mov_b32 s44, 0
	s_waitcnt vmcnt(0)
	v_lshlrev_b32_e32 v3, 16, v2
	v_and_b32_e32 v4, 0xffff0000, v2
	s_delay_alu instid0(VALU_DEP_2) | instskip(NEXT) | instid1(VALU_DEP_2)
	v_cvt_f16_f32_e32 v2, v3
	v_cvt_f16_f32_e32 v3, v4
	s_branch .LBB73_350
.LBB73_290:
	s_mov_b32 s44, s42
                                        ; implicit-def: $vgpr3
                                        ; implicit-def: $vgpr2
	s_cbranch_execnz .LBB73_490
.LBB73_291:
	s_and_not1_b32 vcc_lo, exec_lo, s0
	s_cbranch_vccnz .LBB73_540
.LBB73_292:
	s_waitcnt vmcnt(0)
	s_delay_alu instid0(VALU_DEP_2) | instskip(NEXT) | instid1(VALU_DEP_2)
	v_cvt_f32_f16_e32 v0, v2
	v_cvt_f32_f16_e32 v1, v3
	s_getpc_b64 s[0:1]
	s_add_u32 s0, s0, _ZN16c10_complex_math3expIfEEN3c107complexIT_EERKS4_@rel32@lo+4
	s_addc_u32 s1, s1, _ZN16c10_complex_math3expIfEEN3c107complexIT_EERKS4_@rel32@hi+12
	s_delay_alu instid0(SALU_CYCLE_1) | instskip(SKIP_4) | instid1(VALU_DEP_4)
	s_swappc_b64 s[30:31], s[0:1]
	v_cvt_f16_f32_e32 v5, v1
	v_cvt_f16_f32_e32 v2, v0
	v_and_b32_e32 v3, 0xff, v18
	v_add_co_u32 v0, s0, s12, v17
	v_lshlrev_b32_e32 v4, 16, v5
	s_delay_alu instid0(VALU_DEP_4) | instskip(NEXT) | instid1(VALU_DEP_4)
	v_and_b32_e32 v6, 0xffff, v2
	v_cmp_gt_i16_e32 vcc_lo, 11, v3
	v_add_co_ci_u32_e64 v1, null, s13, 0, s0
	s_mov_b32 s1, 0
	s_delay_alu instid0(VALU_DEP_3)
	v_or_b32_e32 v4, v4, v6
	s_mov_b32 s2, -1
	s_mov_b32 s0, s41
	s_cbranch_vccnz .LBB73_299
; %bb.293:
	v_cmp_lt_i16_e32 vcc_lo, 25, v3
	s_cbranch_vccz .LBB73_341
; %bb.294:
	v_cmp_lt_i16_e32 vcc_lo, 28, v3
	s_cbranch_vccz .LBB73_343
	;; [unrolled: 3-line block ×4, first 2 shown]
; %bb.297:
	v_cmp_eq_u16_e32 vcc_lo, 46, v3
	s_mov_b32 s2, 0
	s_mov_b32 s0, -1
	s_cbranch_vccz .LBB73_354
; %bb.298:
	v_cvt_f32_f16_e32 v6, v5
	v_cvt_f32_f16_e32 v7, v2
	v_cmp_o_f16_e32 vcc_lo, v5, v5
	s_mov_b32 s1, -1
	s_mov_b32 s0, 0
	v_bfe_u32 v8, v6, 16, 1
	v_bfe_u32 v9, v7, 16, 1
	s_delay_alu instid0(VALU_DEP_2) | instskip(NEXT) | instid1(VALU_DEP_2)
	v_add3_u32 v6, v6, v8, 0x7fff
	v_add3_u32 v7, v7, v9, 0x7fff
	s_delay_alu instid0(VALU_DEP_2) | instskip(NEXT) | instid1(VALU_DEP_2)
	v_and_b32_e32 v6, 0xffff0000, v6
	v_lshrrev_b32_e32 v7, 16, v7
	s_delay_alu instid0(VALU_DEP_2) | instskip(SKIP_1) | instid1(VALU_DEP_3)
	v_cndmask_b32_e32 v6, 0x7fc00000, v6, vcc_lo
	v_cmp_o_f16_e32 vcc_lo, v2, v2
	v_cndmask_b32_e32 v7, 0x7fc0, v7, vcc_lo
	s_delay_alu instid0(VALU_DEP_1)
	v_or_b32_e32 v6, v6, v7
	global_store_b32 v[0:1], v6, off
	s_branch .LBB73_354
.LBB73_299:
	s_and_b32 vcc_lo, exec_lo, s2
	s_cbranch_vccz .LBB73_423
; %bb.300:
	v_cmp_gt_i16_e32 vcc_lo, 5, v3
	s_mov_b32 s1, -1
	s_cbranch_vccnz .LBB73_321
; %bb.301:
	v_cmp_gt_i16_e32 vcc_lo, 8, v3
	s_cbranch_vccnz .LBB73_311
; %bb.302:
	v_cmp_gt_i16_e32 vcc_lo, 9, v3
	s_cbranch_vccnz .LBB73_308
; %bb.303:
	v_cmp_lt_i16_e32 vcc_lo, 9, v3
	s_cbranch_vccz .LBB73_305
; %bb.304:
	v_cvt_f32_f16_e32 v6, v2
	v_cvt_f32_f16_e32 v8, v5
	s_mov_b32 s1, 0
	s_delay_alu instid0(VALU_DEP_2) | instskip(NEXT) | instid1(VALU_DEP_2)
	v_cvt_f64_f32_e32 v[6:7], v6
	v_cvt_f64_f32_e32 v[8:9], v8
	global_store_b128 v[0:1], v[6:9], off
.LBB73_305:
	s_and_not1_b32 vcc_lo, exec_lo, s1
	s_cbranch_vccnz .LBB73_307
; %bb.306:
	v_cvt_f32_f16_e32 v6, v2
	v_cvt_f32_f16_e32 v7, v5
	global_store_b64 v[0:1], v[6:7], off
.LBB73_307:
	s_mov_b32 s1, 0
.LBB73_308:
	s_delay_alu instid0(SALU_CYCLE_1)
	s_and_not1_b32 vcc_lo, exec_lo, s1
	s_cbranch_vccnz .LBB73_310
; %bb.309:
	global_store_b32 v[0:1], v4, off
.LBB73_310:
	s_mov_b32 s1, 0
.LBB73_311:
	s_delay_alu instid0(SALU_CYCLE_1)
	s_and_not1_b32 vcc_lo, exec_lo, s1
	s_cbranch_vccnz .LBB73_320
; %bb.312:
	v_cmp_gt_i16_e32 vcc_lo, 6, v3
	s_mov_b32 s1, -1
	s_cbranch_vccnz .LBB73_318
; %bb.313:
	v_cmp_lt_i16_e32 vcc_lo, 6, v3
	s_cbranch_vccz .LBB73_315
; %bb.314:
	v_cvt_f32_f16_e32 v4, v2
	s_mov_b32 s1, 0
	s_delay_alu instid0(VALU_DEP_1)
	v_cvt_f64_f32_e32 v[4:5], v4
	global_store_b64 v[0:1], v[4:5], off
.LBB73_315:
	s_and_not1_b32 vcc_lo, exec_lo, s1
	s_cbranch_vccnz .LBB73_317
; %bb.316:
	v_cvt_f32_f16_e32 v4, v2
	global_store_b32 v[0:1], v4, off
.LBB73_317:
	s_mov_b32 s1, 0
.LBB73_318:
	s_delay_alu instid0(SALU_CYCLE_1)
	s_and_not1_b32 vcc_lo, exec_lo, s1
	s_cbranch_vccnz .LBB73_320
; %bb.319:
	global_store_b16 v[0:1], v2, off
.LBB73_320:
	s_mov_b32 s1, 0
.LBB73_321:
	s_delay_alu instid0(SALU_CYCLE_1)
	s_and_not1_b32 vcc_lo, exec_lo, s1
	s_cbranch_vccnz .LBB73_337
; %bb.322:
	v_cmp_gt_i16_e32 vcc_lo, 2, v3
	s_mov_b32 s1, -1
	s_cbranch_vccnz .LBB73_332
; %bb.323:
	v_cmp_gt_i16_e32 vcc_lo, 3, v3
	s_cbranch_vccnz .LBB73_329
; %bb.324:
	v_cmp_lt_i16_e32 vcc_lo, 3, v3
	s_cbranch_vccz .LBB73_326
; %bb.325:
	v_cvt_f32_f16_e32 v4, v2
	s_mov_b32 s1, 0
	s_delay_alu instid0(VALU_DEP_1) | instskip(NEXT) | instid1(VALU_DEP_1)
	v_cvt_i32_f32_e32 v4, v4
	v_ashrrev_i32_e32 v5, 31, v4
	global_store_b64 v[0:1], v[4:5], off
.LBB73_326:
	s_and_not1_b32 vcc_lo, exec_lo, s1
	s_cbranch_vccnz .LBB73_328
; %bb.327:
	v_cvt_f32_f16_e32 v4, v2
	s_delay_alu instid0(VALU_DEP_1)
	v_cvt_i32_f32_e32 v4, v4
	global_store_b32 v[0:1], v4, off
.LBB73_328:
	s_mov_b32 s1, 0
.LBB73_329:
	s_delay_alu instid0(SALU_CYCLE_1)
	s_and_not1_b32 vcc_lo, exec_lo, s1
	s_cbranch_vccnz .LBB73_331
; %bb.330:
	v_cvt_i16_f16_e32 v4, v2
	global_store_b16 v[0:1], v4, off
.LBB73_331:
	s_mov_b32 s1, 0
.LBB73_332:
	s_delay_alu instid0(SALU_CYCLE_1)
	s_and_not1_b32 vcc_lo, exec_lo, s1
	s_cbranch_vccnz .LBB73_337
; %bb.333:
	v_cmp_lt_i16_e32 vcc_lo, 0, v3
	s_mov_b32 s1, -1
	s_cbranch_vccz .LBB73_335
; %bb.334:
	v_cvt_i16_f16_e32 v3, v2
	s_mov_b32 s1, 0
	global_store_b8 v[0:1], v3, off
.LBB73_335:
	s_and_not1_b32 vcc_lo, exec_lo, s1
	s_cbranch_vccnz .LBB73_337
; %bb.336:
	v_cvt_f32_f16_e32 v2, v2
	s_delay_alu instid0(VALU_DEP_1)
	v_cvt_i32_f32_e32 v2, v2
	global_store_b8 v[0:1], v2, off
.LBB73_337:
	s_branch .LBB73_424
.LBB73_338:
	s_mov_b32 s1, 0
	s_branch .LBB73_541
.LBB73_339:
	s_mov_b32 s1, -1
	s_mov_b32 s44, s42
                                        ; implicit-def: $vgpr3
                                        ; implicit-def: $vgpr2
	s_branch .LBB73_455
.LBB73_340:
	s_mov_b32 s1, -1
	s_mov_b32 s44, s42
                                        ; implicit-def: $vgpr3
                                        ; implicit-def: $vgpr2
	s_branch .LBB73_434
.LBB73_341:
	s_mov_b32 s0, s41
	s_branch .LBB73_381
.LBB73_342:
	s_mov_b32 s1, -1
	s_mov_b32 s44, s42
                                        ; implicit-def: $vgpr3
                                        ; implicit-def: $vgpr2
	s_branch .LBB73_428
.LBB73_343:
	s_mov_b32 s0, s41
	s_branch .LBB73_364
.LBB73_344:
	s_mov_b32 s1, -1
	s_mov_b32 s44, s42
	s_branch .LBB73_349
.LBB73_345:
	s_mov_b32 s0, s41
	s_branch .LBB73_360
.LBB73_346:
	s_or_saveexec_b32 s3, s3
                                        ; implicit-def: $sgpr4
	s_delay_alu instid0(SALU_CYCLE_1)
	s_xor_b32 exec_lo, exec_lo, s3
	s_cbranch_execz .LBB73_65
.LBB73_347:
	v_add_f32_e64 v7, 0x42800000, |v6|
	s_and_not1_b32 s2, s2, exec_lo
	s_mov_b32 s4, 0
	s_delay_alu instid0(VALU_DEP_1) | instskip(NEXT) | instid1(VALU_DEP_1)
	v_and_b32_e32 v7, 0xff, v7
	v_cmp_ne_u32_e32 vcc_lo, 0, v7
	s_and_b32 s5, vcc_lo, exec_lo
	s_delay_alu instid0(SALU_CYCLE_1)
	s_or_b32 s2, s2, s5
	s_or_b32 exec_lo, exec_lo, s3
	v_mov_b32_e32 v8, s4
	s_and_saveexec_b32 s3, s2
	s_cbranch_execnz .LBB73_66
	s_branch .LBB73_67
.LBB73_348:
	s_mov_b32 s44, -1
.LBB73_349:
                                        ; implicit-def: $vgpr3
                                        ; implicit-def: $vgpr2
.LBB73_350:
	s_and_b32 vcc_lo, exec_lo, s1
	s_cbranch_vccz .LBB73_427
; %bb.351:
	v_cmp_eq_u16_e32 vcc_lo, 44, v19
	s_cbranch_vccz .LBB73_425
; %bb.352:
	global_load_u8 v2, v[0:1], off
	s_mov_b32 s44, 0
	s_mov_b32 s0, -1
	s_waitcnt vmcnt(0)
	v_lshlrev_b32_e32 v3, 23, v2
	v_cmp_ne_u32_e32 vcc_lo, 0xff, v2
	s_delay_alu instid0(VALU_DEP_2) | instskip(NEXT) | instid1(VALU_DEP_1)
	v_cvt_f16_f32_e32 v3, v3
	v_cndmask_b32_e32 v3, 0x7e00, v3, vcc_lo
	v_cmp_ne_u32_e32 vcc_lo, 0, v2
	s_delay_alu instid0(VALU_DEP_2)
	v_cndmask_b32_e32 v2, 0, v3, vcc_lo
	s_branch .LBB73_426
.LBB73_353:
	s_mov_b32 s0, s41
.LBB73_354:
	s_and_b32 vcc_lo, exec_lo, s2
	s_cbranch_vccz .LBB73_359
; %bb.355:
	v_cmp_eq_u16_e32 vcc_lo, 44, v3
	s_mov_b32 s0, -1
	s_cbranch_vccz .LBB73_359
; %bb.356:
	v_cvt_f32_f16_e32 v6, v2
	v_mov_b32_e32 v7, 0xff
	s_mov_b32 s1, exec_lo
	s_delay_alu instid0(VALU_DEP_2) | instskip(NEXT) | instid1(VALU_DEP_1)
	v_bfe_u32 v8, v6, 23, 8
	v_cmpx_ne_u32_e32 0xff, v8
; %bb.357:
	v_and_b32_e32 v7, 0x400000, v6
	v_and_or_b32 v8, 0x3fffff, v6, v8
	v_lshrrev_b32_e32 v6, 23, v6
	s_delay_alu instid0(VALU_DEP_3) | instskip(NEXT) | instid1(VALU_DEP_3)
	v_cmp_ne_u32_e32 vcc_lo, 0, v7
	v_cmp_ne_u32_e64 s0, 0, v8
	s_delay_alu instid0(VALU_DEP_1) | instskip(NEXT) | instid1(SALU_CYCLE_1)
	s_and_b32 s0, vcc_lo, s0
	v_cndmask_b32_e64 v7, 0, 1, s0
	s_delay_alu instid0(VALU_DEP_1)
	v_add_nc_u32_e32 v7, v6, v7
; %bb.358:
	s_or_b32 exec_lo, exec_lo, s1
	s_mov_b32 s1, -1
	s_mov_b32 s0, 0
	global_store_b8 v[0:1], v7, off
.LBB73_359:
	s_mov_b32 s2, 0
.LBB73_360:
	s_delay_alu instid0(SALU_CYCLE_1)
	s_and_b32 vcc_lo, exec_lo, s2
	s_cbranch_vccz .LBB73_363
; %bb.361:
	v_cmp_eq_u16_e32 vcc_lo, 29, v3
	s_mov_b32 s0, -1
	s_cbranch_vccz .LBB73_363
; %bb.362:
	v_cvt_f32_f16_e32 v6, v2
	v_mov_b32_e32 v7, 0
	s_mov_b32 s0, 0
	s_mov_b32 s1, -1
	s_mov_b32 s2, 0
	v_cvt_u32_f32_e32 v6, v6
	global_store_b64 v[0:1], v[6:7], off
	s_branch .LBB73_364
.LBB73_363:
	s_mov_b32 s2, 0
.LBB73_364:
	s_delay_alu instid0(SALU_CYCLE_1)
	s_and_b32 vcc_lo, exec_lo, s2
	s_cbranch_vccz .LBB73_380
; %bb.365:
	v_cmp_gt_i16_e32 vcc_lo, 27, v3
	s_mov_b32 s1, -1
	s_cbranch_vccnz .LBB73_371
; %bb.366:
	v_cmp_lt_i16_e32 vcc_lo, 27, v3
	s_cbranch_vccz .LBB73_368
; %bb.367:
	v_cvt_f32_f16_e32 v6, v2
	s_mov_b32 s1, 0
	s_delay_alu instid0(VALU_DEP_1)
	v_cvt_u32_f32_e32 v6, v6
	global_store_b32 v[0:1], v6, off
.LBB73_368:
	s_and_not1_b32 vcc_lo, exec_lo, s1
	s_cbranch_vccnz .LBB73_370
; %bb.369:
	v_cvt_u16_f16_e32 v6, v2
	global_store_b16 v[0:1], v6, off
.LBB73_370:
	s_mov_b32 s1, 0
.LBB73_371:
	s_delay_alu instid0(SALU_CYCLE_1)
	s_and_not1_b32 vcc_lo, exec_lo, s1
	s_cbranch_vccnz .LBB73_379
; %bb.372:
	v_cvt_f32_f16_e32 v6, v2
	v_mov_b32_e32 v8, 0x80
	s_mov_b32 s1, exec_lo
	s_delay_alu instid0(VALU_DEP_2) | instskip(NEXT) | instid1(VALU_DEP_1)
	v_and_b32_e32 v7, 0x7fffffff, v6
	v_cmpx_gt_u32_e32 0x43800000, v7
	s_cbranch_execz .LBB73_378
; %bb.373:
	v_cmp_lt_u32_e32 vcc_lo, 0x3bffffff, v7
	s_mov_b32 s2, 0
                                        ; implicit-def: $vgpr7
	s_and_saveexec_b32 s3, vcc_lo
	s_delay_alu instid0(SALU_CYCLE_1)
	s_xor_b32 s3, exec_lo, s3
	s_cbranch_execz .LBB73_569
; %bb.374:
	v_bfe_u32 v7, v6, 20, 1
	s_mov_b32 s2, exec_lo
	s_delay_alu instid0(VALU_DEP_1) | instskip(NEXT) | instid1(VALU_DEP_1)
	v_add3_u32 v7, v6, v7, 0x487ffff
	v_lshrrev_b32_e32 v7, 20, v7
	s_or_saveexec_b32 s3, s3
                                        ; implicit-def: $sgpr4
	s_delay_alu instid0(SALU_CYCLE_1)
	s_xor_b32 exec_lo, exec_lo, s3
	s_cbranch_execnz .LBB73_570
.LBB73_375:
	s_or_b32 exec_lo, exec_lo, s3
	v_mov_b32_e32 v8, s4
	s_and_saveexec_b32 s3, s2
.LBB73_376:
	v_lshrrev_b32_e32 v6, 24, v6
	s_delay_alu instid0(VALU_DEP_1)
	v_and_or_b32 v8, 0x80, v6, v7
.LBB73_377:
	s_or_b32 exec_lo, exec_lo, s3
.LBB73_378:
	s_delay_alu instid0(SALU_CYCLE_1)
	s_or_b32 exec_lo, exec_lo, s1
	global_store_b8 v[0:1], v8, off
.LBB73_379:
	s_mov_b32 s1, -1
.LBB73_380:
	s_mov_b32 s2, 0
.LBB73_381:
	s_delay_alu instid0(SALU_CYCLE_1)
	s_and_b32 vcc_lo, exec_lo, s2
	s_cbranch_vccz .LBB73_422
; %bb.382:
	v_cmp_lt_i16_e32 vcc_lo, 22, v3
	s_mov_b32 s2, -1
	s_cbranch_vccz .LBB73_414
; %bb.383:
	v_cmp_gt_i16_e32 vcc_lo, 24, v3
	s_mov_b32 s1, -1
	s_cbranch_vccnz .LBB73_403
; %bb.384:
	v_cmp_lt_i16_e32 vcc_lo, 24, v3
	s_cbranch_vccz .LBB73_392
; %bb.385:
	v_cvt_f32_f16_e32 v6, v2
	v_mov_b32_e32 v8, 0x80
	s_mov_b32 s1, exec_lo
	s_delay_alu instid0(VALU_DEP_2) | instskip(NEXT) | instid1(VALU_DEP_1)
	v_and_b32_e32 v7, 0x7fffffff, v6
	v_cmpx_gt_u32_e32 0x47800000, v7
	s_cbranch_execz .LBB73_391
; %bb.386:
	v_cmp_lt_u32_e32 vcc_lo, 0x37ffffff, v7
	s_mov_b32 s2, 0
                                        ; implicit-def: $vgpr7
	s_and_saveexec_b32 s3, vcc_lo
	s_delay_alu instid0(SALU_CYCLE_1)
	s_xor_b32 s3, exec_lo, s3
	s_cbranch_execz .LBB73_572
; %bb.387:
	v_bfe_u32 v7, v6, 21, 1
	s_mov_b32 s2, exec_lo
	s_delay_alu instid0(VALU_DEP_1) | instskip(NEXT) | instid1(VALU_DEP_1)
	v_add3_u32 v7, v6, v7, 0x88fffff
	v_lshrrev_b32_e32 v7, 21, v7
	s_or_saveexec_b32 s3, s3
                                        ; implicit-def: $sgpr4
	s_delay_alu instid0(SALU_CYCLE_1)
	s_xor_b32 exec_lo, exec_lo, s3
	s_cbranch_execnz .LBB73_573
.LBB73_388:
	s_or_b32 exec_lo, exec_lo, s3
	v_mov_b32_e32 v8, s4
	s_and_saveexec_b32 s3, s2
.LBB73_389:
	v_lshrrev_b32_e32 v6, 24, v6
	s_delay_alu instid0(VALU_DEP_1)
	v_and_or_b32 v8, 0x80, v6, v7
.LBB73_390:
	s_or_b32 exec_lo, exec_lo, s3
.LBB73_391:
	s_delay_alu instid0(SALU_CYCLE_1)
	s_or_b32 exec_lo, exec_lo, s1
	s_mov_b32 s1, 0
	global_store_b8 v[0:1], v8, off
.LBB73_392:
	s_and_b32 vcc_lo, exec_lo, s1
	s_cbranch_vccz .LBB73_402
; %bb.393:
	v_cvt_f32_f16_e32 v6, v2
	s_mov_b32 s1, exec_lo
                                        ; implicit-def: $vgpr7
	s_delay_alu instid0(VALU_DEP_1) | instskip(NEXT) | instid1(VALU_DEP_1)
	v_and_b32_e32 v8, 0x7fffffff, v6
	v_cmpx_gt_u32_e32 0x43f00000, v8
	s_xor_b32 s1, exec_lo, s1
	s_cbranch_execz .LBB73_399
; %bb.394:
	s_mov_b32 s2, exec_lo
                                        ; implicit-def: $vgpr7
	v_cmpx_lt_u32_e32 0x3c7fffff, v8
	s_xor_b32 s2, exec_lo, s2
; %bb.395:
	v_bfe_u32 v7, v6, 20, 1
	s_delay_alu instid0(VALU_DEP_1) | instskip(NEXT) | instid1(VALU_DEP_1)
	v_add3_u32 v7, v6, v7, 0x407ffff
	v_and_b32_e32 v8, 0xff00000, v7
	v_lshrrev_b32_e32 v7, 20, v7
	s_delay_alu instid0(VALU_DEP_2) | instskip(NEXT) | instid1(VALU_DEP_2)
	v_cmp_ne_u32_e32 vcc_lo, 0x7f00000, v8
	v_cndmask_b32_e32 v7, 0x7e, v7, vcc_lo
; %bb.396:
	s_and_not1_saveexec_b32 s2, s2
; %bb.397:
	v_add_f32_e64 v7, 0x46800000, |v6|
; %bb.398:
	s_or_b32 exec_lo, exec_lo, s2
                                        ; implicit-def: $vgpr8
.LBB73_399:
	s_and_not1_saveexec_b32 s1, s1
; %bb.400:
	v_mov_b32_e32 v7, 0x7f
	v_cmp_lt_u32_e32 vcc_lo, 0x7f800000, v8
	s_delay_alu instid0(VALU_DEP_2)
	v_cndmask_b32_e32 v7, 0x7e, v7, vcc_lo
; %bb.401:
	s_or_b32 exec_lo, exec_lo, s1
	v_lshrrev_b32_e32 v6, 24, v6
	s_delay_alu instid0(VALU_DEP_1)
	v_and_or_b32 v6, 0x80, v6, v7
	global_store_b8 v[0:1], v6, off
.LBB73_402:
	s_mov_b32 s1, 0
.LBB73_403:
	s_delay_alu instid0(SALU_CYCLE_1)
	s_and_not1_b32 vcc_lo, exec_lo, s1
	s_cbranch_vccnz .LBB73_413
; %bb.404:
	v_cvt_f32_f16_e32 v6, v2
	s_mov_b32 s1, exec_lo
                                        ; implicit-def: $vgpr7
	s_delay_alu instid0(VALU_DEP_1) | instskip(NEXT) | instid1(VALU_DEP_1)
	v_and_b32_e32 v8, 0x7fffffff, v6
	v_cmpx_gt_u32_e32 0x47800000, v8
	s_xor_b32 s1, exec_lo, s1
	s_cbranch_execz .LBB73_410
; %bb.405:
	s_mov_b32 s2, exec_lo
                                        ; implicit-def: $vgpr7
	v_cmpx_lt_u32_e32 0x387fffff, v8
	s_xor_b32 s2, exec_lo, s2
; %bb.406:
	v_bfe_u32 v7, v6, 21, 1
	s_delay_alu instid0(VALU_DEP_1) | instskip(NEXT) | instid1(VALU_DEP_1)
	v_add3_u32 v7, v6, v7, 0x80fffff
	v_lshrrev_b32_e32 v7, 21, v7
; %bb.407:
	s_and_not1_saveexec_b32 s2, s2
; %bb.408:
	v_add_f32_e64 v7, 0x43000000, |v6|
; %bb.409:
	s_or_b32 exec_lo, exec_lo, s2
                                        ; implicit-def: $vgpr8
.LBB73_410:
	s_and_not1_saveexec_b32 s1, s1
; %bb.411:
	v_mov_b32_e32 v7, 0x7f
	v_cmp_lt_u32_e32 vcc_lo, 0x7f800000, v8
	s_delay_alu instid0(VALU_DEP_2)
	v_cndmask_b32_e32 v7, 0x7c, v7, vcc_lo
; %bb.412:
	s_or_b32 exec_lo, exec_lo, s1
	v_lshrrev_b32_e32 v6, 24, v6
	s_delay_alu instid0(VALU_DEP_1)
	v_and_or_b32 v6, 0x80, v6, v7
	global_store_b8 v[0:1], v6, off
.LBB73_413:
	s_mov_b32 s2, 0
	s_mov_b32 s1, -1
.LBB73_414:
	s_and_not1_b32 vcc_lo, exec_lo, s2
	s_cbranch_vccnz .LBB73_422
; %bb.415:
	v_cmp_lt_i16_e32 vcc_lo, 14, v3
	s_mov_b32 s2, -1
	s_cbranch_vccz .LBB73_419
; %bb.416:
	v_cmp_eq_u16_e32 vcc_lo, 15, v3
	s_mov_b32 s0, -1
	s_cbranch_vccz .LBB73_418
; %bb.417:
	v_cvt_f32_f16_e32 v6, v2
	v_cmp_o_f16_e32 vcc_lo, v2, v2
	s_mov_b32 s1, -1
	s_mov_b32 s0, 0
	s_delay_alu instid0(VALU_DEP_2) | instskip(NEXT) | instid1(VALU_DEP_1)
	v_bfe_u32 v7, v6, 16, 1
	v_add3_u32 v6, v6, v7, 0x7fff
	s_delay_alu instid0(VALU_DEP_1) | instskip(NEXT) | instid1(VALU_DEP_1)
	v_lshrrev_b32_e32 v6, 16, v6
	v_cndmask_b32_e32 v6, 0x7fc0, v6, vcc_lo
	global_store_b16 v[0:1], v6, off
.LBB73_418:
	s_mov_b32 s2, 0
.LBB73_419:
	s_delay_alu instid0(SALU_CYCLE_1)
	s_and_b32 vcc_lo, exec_lo, s2
	s_cbranch_vccz .LBB73_422
; %bb.420:
	v_cmp_eq_u16_e32 vcc_lo, 11, v3
	s_mov_b32 s0, -1
	s_cbranch_vccz .LBB73_422
; %bb.421:
	v_and_b32_e32 v6, 0x7fff7fff, v4
	s_mov_b32 s0, 0
	s_mov_b32 s1, -1
	s_delay_alu instid0(VALU_DEP_1)
	v_cmp_ne_u32_e32 vcc_lo, 0, v6
	v_cndmask_b32_e64 v6, 0, 1, vcc_lo
	global_store_b8 v[0:1], v6, off
.LBB73_422:
.LBB73_423:
	s_and_not1_b32 vcc_lo, exec_lo, s1
	s_cbranch_vccnz .LBB73_338
.LBB73_424:
	v_add_nc_u32_e32 v21, 0x80, v21
	s_mov_b32 s1, -1
	s_branch .LBB73_542
.LBB73_425:
	s_mov_b32 s44, -1
                                        ; implicit-def: $vgpr2
.LBB73_426:
	s_delay_alu instid0(SALU_CYCLE_1)
	v_mov_b32_e32 v3, s44
.LBB73_427:
	s_mov_b32 s1, 0
.LBB73_428:
	s_delay_alu instid0(SALU_CYCLE_1)
	s_and_b32 vcc_lo, exec_lo, s1
	s_cbranch_vccz .LBB73_433
; %bb.429:
	v_cmp_eq_u16_e32 vcc_lo, 29, v19
	s_cbranch_vccz .LBB73_431
; %bb.430:
	global_load_b64 v[2:3], v[0:1], off
	s_mov_b32 s0, -1
	s_mov_b32 s44, 0
	s_mov_b32 s1, 0
	s_waitcnt vmcnt(0)
	v_clz_i32_u32_e32 v4, v3
	s_delay_alu instid0(VALU_DEP_1) | instskip(NEXT) | instid1(VALU_DEP_1)
	v_min_u32_e32 v4, 32, v4
	v_lshlrev_b64 v[2:3], v4, v[2:3]
	s_delay_alu instid0(VALU_DEP_1) | instskip(NEXT) | instid1(VALU_DEP_1)
	v_min_u32_e32 v2, 1, v2
	v_or_b32_e32 v2, v3, v2
	v_sub_nc_u32_e32 v3, 32, v4
	s_delay_alu instid0(VALU_DEP_2) | instskip(NEXT) | instid1(VALU_DEP_1)
	v_cvt_f32_u32_e32 v2, v2
	v_ldexp_f32 v2, v2, v3
	s_delay_alu instid0(VALU_DEP_1)
	v_cvt_f16_f32_e32 v2, v2
	s_branch .LBB73_432
.LBB73_431:
	s_mov_b32 s44, -1
                                        ; implicit-def: $sgpr1
                                        ; implicit-def: $vgpr2
.LBB73_432:
	v_mov_b32_e32 v3, s1
.LBB73_433:
	s_mov_b32 s1, 0
.LBB73_434:
	s_delay_alu instid0(SALU_CYCLE_1)
	s_and_b32 vcc_lo, exec_lo, s1
	s_cbranch_vccz .LBB73_454
; %bb.435:
	v_cmp_gt_i16_e32 vcc_lo, 27, v19
	s_cbranch_vccnz .LBB73_438
; %bb.436:
	v_cmp_lt_i16_e32 vcc_lo, 27, v19
	s_cbranch_vccz .LBB73_439
; %bb.437:
	global_load_b32 v2, v[0:1], off
	s_mov_b32 s1, 0
	s_mov_b32 s0, 0
	s_waitcnt vmcnt(0)
	v_cvt_f32_u32_e32 v2, v2
	s_delay_alu instid0(VALU_DEP_1)
	v_cvt_f16_f32_e32 v2, v2
	s_branch .LBB73_440
.LBB73_438:
	s_mov_b32 s1, -1
                                        ; implicit-def: $sgpr0
                                        ; implicit-def: $vgpr2
	s_branch .LBB73_443
.LBB73_439:
	s_mov_b32 s1, -1
                                        ; implicit-def: $sgpr0
                                        ; implicit-def: $vgpr2
.LBB73_440:
	s_delay_alu instid0(SALU_CYCLE_1)
	s_and_not1_b32 vcc_lo, exec_lo, s1
	s_cbranch_vccnz .LBB73_442
; %bb.441:
	global_load_u16 v2, v[0:1], off
	s_mov_b32 s0, 0
	s_waitcnt vmcnt(0)
	v_cvt_f16_u16_e32 v2, v2
.LBB73_442:
	s_mov_b32 s1, 0
.LBB73_443:
	v_mov_b32_e32 v3, s0
	s_and_not1_b32 vcc_lo, exec_lo, s1
	s_cbranch_vccnz .LBB73_453
; %bb.444:
	global_load_u8 v4, v[0:1], off
	s_mov_b32 s0, 0
	s_mov_b32 s3, exec_lo
                                        ; implicit-def: $sgpr2
                                        ; implicit-def: $sgpr1
	s_waitcnt vmcnt(0)
	v_cmpx_lt_i16_e32 0x7f, v4
	s_xor_b32 s3, exec_lo, s3
	s_cbranch_execz .LBB73_448
; %bb.445:
	s_mov_b32 s0, -1
	s_mov_b32 s4, exec_lo
                                        ; implicit-def: $sgpr2
                                        ; implicit-def: $sgpr1
	v_cmpx_eq_u16_e32 0x80, v4
; %bb.446:
	s_movk_i32 s1, 0x7e00
	s_mov_b32 s2, 0
	s_xor_b32 s0, exec_lo, -1
; %bb.447:
	s_or_b32 exec_lo, exec_lo, s4
	s_delay_alu instid0(SALU_CYCLE_1)
	s_and_b32 s0, s0, exec_lo
.LBB73_448:
	s_or_saveexec_b32 s3, s3
	v_dual_mov_b32 v3, s2 :: v_dual_mov_b32 v2, s1
	s_xor_b32 exec_lo, exec_lo, s3
; %bb.449:
	v_cmp_ne_u16_e32 vcc_lo, 0, v4
	v_dual_mov_b32 v3, 0 :: v_dual_mov_b32 v2, v4
	s_and_not1_b32 s0, s0, exec_lo
	s_and_b32 s1, vcc_lo, exec_lo
	s_delay_alu instid0(SALU_CYCLE_1)
	s_or_b32 s0, s0, s1
; %bb.450:
	s_or_b32 exec_lo, exec_lo, s3
	s_and_saveexec_b32 s1, s0
	s_cbranch_execz .LBB73_452
; %bb.451:
	v_and_b32_e32 v2, 0xffff, v4
	v_lshlrev_b32_e32 v4, 24, v4
	s_delay_alu instid0(VALU_DEP_2) | instskip(NEXT) | instid1(VALU_DEP_2)
	v_and_b32_e32 v3, 7, v2
	v_and_b32_e32 v4, 0x80000000, v4
	s_delay_alu instid0(VALU_DEP_2) | instskip(NEXT) | instid1(VALU_DEP_1)
	v_clz_i32_u32_e32 v5, v3
	v_min_u32_e32 v5, 32, v5
	s_delay_alu instid0(VALU_DEP_1) | instskip(SKIP_1) | instid1(VALU_DEP_2)
	v_subrev_nc_u32_e32 v6, 28, v5
	v_sub_nc_u32_e32 v5, 29, v5
	v_lshlrev_b32_e32 v6, v6, v2
	v_bfe_u32 v2, v2, 3, 4
	s_delay_alu instid0(VALU_DEP_2) | instskip(NEXT) | instid1(VALU_DEP_2)
	v_and_b32_e32 v6, 7, v6
	v_cmp_eq_u32_e32 vcc_lo, 0, v2
	s_delay_alu instid0(VALU_DEP_2) | instskip(NEXT) | instid1(VALU_DEP_1)
	v_dual_cndmask_b32 v2, v2, v5 :: v_dual_cndmask_b32 v3, v3, v6
	v_lshl_add_u32 v2, v2, 23, 0x3b800000
	s_delay_alu instid0(VALU_DEP_2) | instskip(NEXT) | instid1(VALU_DEP_1)
	v_lshlrev_b32_e32 v3, 20, v3
	v_or3_b32 v2, v4, v2, v3
	v_mov_b32_e32 v3, 0
	s_delay_alu instid0(VALU_DEP_2)
	v_cvt_f16_f32_e32 v2, v2
.LBB73_452:
	s_or_b32 exec_lo, exec_lo, s1
.LBB73_453:
	s_mov_b32 s0, -1
.LBB73_454:
	s_mov_b32 s1, 0
.LBB73_455:
	s_delay_alu instid0(SALU_CYCLE_1)
	s_and_b32 vcc_lo, exec_lo, s1
	s_cbranch_vccz .LBB73_489
; %bb.456:
	v_cmp_lt_i16_e32 vcc_lo, 22, v19
	s_cbranch_vccz .LBB73_468
; %bb.457:
	v_cmp_gt_i16_e32 vcc_lo, 24, v19
	s_cbranch_vccnz .LBB73_469
; %bb.458:
	v_cmp_lt_i16_e32 vcc_lo, 24, v19
	s_cbranch_vccz .LBB73_470
; %bb.459:
	global_load_u8 v4, v[0:1], off
	s_mov_b32 s0, 0
	s_mov_b32 s3, exec_lo
                                        ; implicit-def: $sgpr2
                                        ; implicit-def: $sgpr1
	s_waitcnt vmcnt(0)
	v_cmpx_lt_i16_e32 0x7f, v4
	s_xor_b32 s3, exec_lo, s3
	s_cbranch_execz .LBB73_463
; %bb.460:
	s_mov_b32 s0, -1
	s_mov_b32 s4, exec_lo
                                        ; implicit-def: $sgpr2
                                        ; implicit-def: $sgpr1
	v_cmpx_eq_u16_e32 0x80, v4
; %bb.461:
	s_movk_i32 s1, 0x7e00
	s_mov_b32 s2, 0
	s_xor_b32 s0, exec_lo, -1
; %bb.462:
	s_or_b32 exec_lo, exec_lo, s4
	s_delay_alu instid0(SALU_CYCLE_1)
	s_and_b32 s0, s0, exec_lo
.LBB73_463:
	s_or_saveexec_b32 s3, s3
	v_dual_mov_b32 v3, s2 :: v_dual_mov_b32 v2, s1
	s_xor_b32 exec_lo, exec_lo, s3
; %bb.464:
	v_cmp_ne_u16_e32 vcc_lo, 0, v4
	v_dual_mov_b32 v3, 0 :: v_dual_mov_b32 v2, v4
	s_and_not1_b32 s0, s0, exec_lo
	s_and_b32 s1, vcc_lo, exec_lo
	s_delay_alu instid0(SALU_CYCLE_1)
	s_or_b32 s0, s0, s1
; %bb.465:
	s_or_b32 exec_lo, exec_lo, s3
	s_and_saveexec_b32 s1, s0
	s_cbranch_execz .LBB73_467
; %bb.466:
	v_and_b32_e32 v2, 0xffff, v4
	v_lshlrev_b32_e32 v4, 24, v4
	s_delay_alu instid0(VALU_DEP_2) | instskip(NEXT) | instid1(VALU_DEP_2)
	v_and_b32_e32 v3, 3, v2
	v_and_b32_e32 v4, 0x80000000, v4
	s_delay_alu instid0(VALU_DEP_2) | instskip(NEXT) | instid1(VALU_DEP_1)
	v_clz_i32_u32_e32 v5, v3
	v_min_u32_e32 v5, 32, v5
	s_delay_alu instid0(VALU_DEP_1) | instskip(SKIP_1) | instid1(VALU_DEP_2)
	v_subrev_nc_u32_e32 v6, 29, v5
	v_sub_nc_u32_e32 v5, 30, v5
	v_lshlrev_b32_e32 v6, v6, v2
	v_bfe_u32 v2, v2, 2, 5
	s_delay_alu instid0(VALU_DEP_2) | instskip(NEXT) | instid1(VALU_DEP_2)
	v_and_b32_e32 v6, 3, v6
	v_cmp_eq_u32_e32 vcc_lo, 0, v2
	s_delay_alu instid0(VALU_DEP_2) | instskip(NEXT) | instid1(VALU_DEP_1)
	v_dual_cndmask_b32 v2, v2, v5 :: v_dual_cndmask_b32 v3, v3, v6
	v_lshl_add_u32 v2, v2, 23, 0x37800000
	s_delay_alu instid0(VALU_DEP_2) | instskip(NEXT) | instid1(VALU_DEP_1)
	v_lshlrev_b32_e32 v3, 21, v3
	v_or3_b32 v2, v4, v2, v3
	v_mov_b32_e32 v3, 0
	s_delay_alu instid0(VALU_DEP_2)
	v_cvt_f16_f32_e32 v2, v2
.LBB73_467:
	s_or_b32 exec_lo, exec_lo, s1
	s_mov_b32 s0, 0
	s_branch .LBB73_471
.LBB73_468:
	s_mov_b32 s1, -1
                                        ; implicit-def: $vgpr3
                                        ; implicit-def: $vgpr2
	s_branch .LBB73_477
.LBB73_469:
	s_mov_b32 s0, -1
                                        ; implicit-def: $vgpr3
                                        ; implicit-def: $vgpr2
	s_branch .LBB73_474
.LBB73_470:
	s_mov_b32 s0, -1
                                        ; implicit-def: $vgpr3
                                        ; implicit-def: $vgpr2
.LBB73_471:
	s_delay_alu instid0(SALU_CYCLE_1)
	s_and_b32 vcc_lo, exec_lo, s0
	s_cbranch_vccz .LBB73_473
; %bb.472:
	global_load_u8 v2, v[0:1], off
	s_waitcnt vmcnt(0)
	v_lshlrev_b32_e32 v2, 24, v2
	s_delay_alu instid0(VALU_DEP_1) | instskip(NEXT) | instid1(VALU_DEP_1)
	v_and_b32_e32 v3, 0x7f000000, v2
	v_clz_i32_u32_e32 v4, v3
	v_add_nc_u32_e32 v6, 0x1000000, v3
	v_cmp_ne_u32_e32 vcc_lo, 0, v3
	s_delay_alu instid0(VALU_DEP_3) | instskip(NEXT) | instid1(VALU_DEP_1)
	v_min_u32_e32 v4, 32, v4
	v_sub_nc_u32_e64 v4, v4, 4 clamp
	s_delay_alu instid0(VALU_DEP_1) | instskip(SKIP_1) | instid1(VALU_DEP_2)
	v_lshlrev_b32_e32 v5, v4, v3
	v_lshlrev_b32_e32 v4, 23, v4
	v_lshrrev_b32_e32 v5, 4, v5
	s_delay_alu instid0(VALU_DEP_1) | instskip(SKIP_1) | instid1(VALU_DEP_2)
	v_sub_nc_u32_e32 v4, v5, v4
	v_ashrrev_i32_e32 v5, 8, v6
	v_add_nc_u32_e32 v4, 0x3c000000, v4
	s_delay_alu instid0(VALU_DEP_1) | instskip(NEXT) | instid1(VALU_DEP_1)
	v_and_or_b32 v4, 0x7f800000, v5, v4
	v_cndmask_b32_e32 v3, 0, v4, vcc_lo
	s_delay_alu instid0(VALU_DEP_1) | instskip(SKIP_1) | instid1(VALU_DEP_2)
	v_and_or_b32 v2, 0x80000000, v2, v3
	v_mov_b32_e32 v3, 0
	v_cvt_f16_f32_e32 v2, v2
.LBB73_473:
	s_mov_b32 s0, 0
.LBB73_474:
	s_delay_alu instid0(SALU_CYCLE_1)
	s_and_not1_b32 vcc_lo, exec_lo, s0
	s_cbranch_vccnz .LBB73_476
; %bb.475:
	global_load_u8 v2, v[0:1], off
	s_waitcnt vmcnt(0)
	v_lshlrev_b32_e32 v3, 25, v2
	v_lshlrev_b16 v2, 8, v2
	s_delay_alu instid0(VALU_DEP_2) | instskip(NEXT) | instid1(VALU_DEP_2)
	v_lshrrev_b32_e32 v4, 4, v3
	v_and_or_b32 v5, 0x7f00, v2, 0.5
	v_bfe_i32 v2, v2, 0, 16
	s_delay_alu instid0(VALU_DEP_3) | instskip(NEXT) | instid1(VALU_DEP_1)
	v_or_b32_e32 v4, 0x70000000, v4
	v_dual_add_f32 v5, -0.5, v5 :: v_dual_mul_f32 v4, 0x7800000, v4
	v_cmp_gt_u32_e32 vcc_lo, 0x8000000, v3
	s_delay_alu instid0(VALU_DEP_2) | instskip(NEXT) | instid1(VALU_DEP_1)
	v_cndmask_b32_e32 v3, v4, v5, vcc_lo
	v_and_or_b32 v2, 0x80000000, v2, v3
	v_mov_b32_e32 v3, 0
	s_delay_alu instid0(VALU_DEP_2)
	v_cvt_f16_f32_e32 v2, v2
.LBB73_476:
	s_mov_b32 s1, 0
	s_mov_b32 s0, -1
.LBB73_477:
	s_and_not1_b32 vcc_lo, exec_lo, s1
	s_cbranch_vccnz .LBB73_489
; %bb.478:
	v_cmp_lt_i16_e32 vcc_lo, 14, v19
	s_cbranch_vccz .LBB73_481
; %bb.479:
	v_cmp_eq_u16_e32 vcc_lo, 15, v19
	s_cbranch_vccz .LBB73_482
; %bb.480:
	global_load_u16 v2, v[0:1], off
	s_mov_b32 s0, -1
	s_mov_b32 s44, 0
	s_mov_b32 s1, 0
	s_waitcnt vmcnt(0)
	v_lshlrev_b32_e32 v2, 16, v2
	s_delay_alu instid0(VALU_DEP_1)
	v_cvt_f16_f32_e32 v2, v2
	s_branch .LBB73_483
.LBB73_481:
	s_mov_b32 s2, -1
                                        ; implicit-def: $sgpr1
                                        ; implicit-def: $vgpr2
	s_branch .LBB73_484
.LBB73_482:
	s_mov_b32 s44, -1
                                        ; implicit-def: $sgpr1
                                        ; implicit-def: $vgpr2
.LBB73_483:
	s_mov_b32 s2, 0
.LBB73_484:
	s_delay_alu instid0(SALU_CYCLE_1)
	s_and_b32 vcc_lo, exec_lo, s2
	s_cbranch_vccz .LBB73_488
; %bb.485:
	v_cmp_eq_u16_e32 vcc_lo, 11, v19
	s_cbranch_vccz .LBB73_487
; %bb.486:
	global_load_u8 v2, v[0:1], off
	s_mov_b32 s1, 0
	s_mov_b32 s0, -1
	s_mov_b32 s44, 0
	s_waitcnt vmcnt(0)
	v_cmp_ne_u16_e32 vcc_lo, 0, v2
	v_cndmask_b32_e64 v2, 0, 0x3c00, vcc_lo
	s_branch .LBB73_488
.LBB73_487:
	s_mov_b32 s44, -1
                                        ; implicit-def: $sgpr1
                                        ; implicit-def: $vgpr2
.LBB73_488:
	v_mov_b32_e32 v3, s1
.LBB73_489:
	s_branch .LBB73_291
.LBB73_490:
	v_cmp_gt_i16_e32 vcc_lo, 5, v19
	s_cbranch_vccnz .LBB73_495
; %bb.491:
	v_cmp_gt_i16_e32 vcc_lo, 8, v19
	s_cbranch_vccnz .LBB73_496
; %bb.492:
	;; [unrolled: 3-line block ×3, first 2 shown]
	v_cmp_lt_i16_e32 vcc_lo, 9, v19
	s_cbranch_vccz .LBB73_498
; %bb.494:
	global_load_b128 v[2:5], v[0:1], off
	s_mov_b32 s0, 0
	s_waitcnt vmcnt(0)
	v_cvt_f32_f64_e32 v2, v[2:3]
	v_cvt_f32_f64_e32 v3, v[4:5]
	s_delay_alu instid0(VALU_DEP_2) | instskip(NEXT) | instid1(VALU_DEP_2)
	v_cvt_f16_f32_e32 v2, v2
	v_cvt_f16_f32_e32 v3, v3
	s_branch .LBB73_499
.LBB73_495:
	s_mov_b32 s0, -1
                                        ; implicit-def: $vgpr3
                                        ; implicit-def: $vgpr2
	s_branch .LBB73_518
.LBB73_496:
	s_mov_b32 s0, -1
                                        ; implicit-def: $vgpr3
                                        ; implicit-def: $vgpr2
	s_branch .LBB73_505
.LBB73_497:
	s_mov_b32 s0, -1
                                        ; implicit-def: $vgpr3
                                        ; implicit-def: $vgpr2
	s_branch .LBB73_502
.LBB73_498:
	s_mov_b32 s0, -1
                                        ; implicit-def: $vgpr3
                                        ; implicit-def: $vgpr2
.LBB73_499:
	s_delay_alu instid0(SALU_CYCLE_1)
	s_and_not1_b32 vcc_lo, exec_lo, s0
	s_cbranch_vccnz .LBB73_501
; %bb.500:
	global_load_b64 v[2:3], v[0:1], off
	s_waitcnt vmcnt(0)
	v_cvt_f16_f32_e32 v2, v2
	v_cvt_f16_f32_e32 v3, v3
.LBB73_501:
	s_mov_b32 s0, 0
.LBB73_502:
	s_delay_alu instid0(SALU_CYCLE_1)
	s_and_not1_b32 vcc_lo, exec_lo, s0
	s_cbranch_vccnz .LBB73_504
; %bb.503:
	global_load_b32 v2, v[0:1], off
	s_waitcnt vmcnt(0)
	v_lshrrev_b32_e32 v3, 16, v2
.LBB73_504:
	s_mov_b32 s0, 0
.LBB73_505:
	s_delay_alu instid0(SALU_CYCLE_1)
	s_and_not1_b32 vcc_lo, exec_lo, s0
	s_cbranch_vccnz .LBB73_517
; %bb.506:
	v_cmp_gt_i16_e32 vcc_lo, 6, v19
	s_cbranch_vccnz .LBB73_509
; %bb.507:
	v_cmp_lt_i16_e32 vcc_lo, 6, v19
	s_cbranch_vccz .LBB73_510
; %bb.508:
	global_load_b64 v[2:3], v[0:1], off
	s_mov_b32 s1, 0
	s_mov_b32 s0, 0
	s_waitcnt vmcnt(0)
	v_cvt_f32_f64_e32 v2, v[2:3]
	s_delay_alu instid0(VALU_DEP_1)
	v_cvt_f16_f32_e32 v2, v2
	s_branch .LBB73_511
.LBB73_509:
	s_mov_b32 s1, -1
                                        ; implicit-def: $sgpr0
                                        ; implicit-def: $vgpr2
	s_branch .LBB73_514
.LBB73_510:
	s_mov_b32 s1, -1
                                        ; implicit-def: $sgpr0
                                        ; implicit-def: $vgpr2
.LBB73_511:
	s_delay_alu instid0(SALU_CYCLE_1)
	s_and_not1_b32 vcc_lo, exec_lo, s1
	s_cbranch_vccnz .LBB73_513
; %bb.512:
	global_load_b32 v2, v[0:1], off
	s_mov_b32 s0, 0
	s_waitcnt vmcnt(0)
	v_cvt_f16_f32_e32 v2, v2
.LBB73_513:
	s_mov_b32 s1, 0
.LBB73_514:
	s_delay_alu instid0(SALU_CYCLE_1)
	s_and_not1_b32 vcc_lo, exec_lo, s1
	s_cbranch_vccnz .LBB73_516
; %bb.515:
	global_load_u16 v2, v[0:1], off
	s_mov_b32 s0, 0
.LBB73_516:
	s_delay_alu instid0(SALU_CYCLE_1)
	v_mov_b32_e32 v3, s0
.LBB73_517:
	s_mov_b32 s0, 0
.LBB73_518:
	s_delay_alu instid0(SALU_CYCLE_1)
	s_and_not1_b32 vcc_lo, exec_lo, s0
	s_cbranch_vccnz .LBB73_539
; %bb.519:
	v_cmp_gt_i16_e32 vcc_lo, 2, v19
	s_cbranch_vccnz .LBB73_523
; %bb.520:
	v_cmp_gt_i16_e32 vcc_lo, 3, v19
	s_cbranch_vccnz .LBB73_524
; %bb.521:
	v_cmp_lt_i16_e32 vcc_lo, 3, v19
	s_cbranch_vccz .LBB73_525
; %bb.522:
	global_load_b64 v[2:3], v[0:1], off
	s_mov_b32 s1, 0
	s_mov_b32 s0, 0
	s_waitcnt vmcnt(0)
	v_xor_b32_e32 v4, v2, v3
	v_cls_i32_e32 v5, v3
	s_delay_alu instid0(VALU_DEP_2) | instskip(NEXT) | instid1(VALU_DEP_2)
	v_ashrrev_i32_e32 v4, 31, v4
	v_add_nc_u32_e32 v5, -1, v5
	s_delay_alu instid0(VALU_DEP_2) | instskip(NEXT) | instid1(VALU_DEP_1)
	v_add_nc_u32_e32 v4, 32, v4
	v_min_u32_e32 v4, v5, v4
	s_delay_alu instid0(VALU_DEP_1) | instskip(NEXT) | instid1(VALU_DEP_1)
	v_lshlrev_b64 v[2:3], v4, v[2:3]
	v_min_u32_e32 v2, 1, v2
	s_delay_alu instid0(VALU_DEP_1) | instskip(SKIP_1) | instid1(VALU_DEP_2)
	v_or_b32_e32 v2, v3, v2
	v_sub_nc_u32_e32 v3, 32, v4
	v_cvt_f32_i32_e32 v2, v2
	s_delay_alu instid0(VALU_DEP_1) | instskip(NEXT) | instid1(VALU_DEP_1)
	v_ldexp_f32 v2, v2, v3
	v_cvt_f16_f32_e32 v2, v2
	s_branch .LBB73_526
.LBB73_523:
	s_mov_b32 s1, -1
                                        ; implicit-def: $sgpr0
                                        ; implicit-def: $vgpr2
	s_branch .LBB73_532
.LBB73_524:
	s_mov_b32 s1, -1
                                        ; implicit-def: $sgpr0
                                        ; implicit-def: $vgpr2
	s_branch .LBB73_529
.LBB73_525:
	s_mov_b32 s1, -1
                                        ; implicit-def: $sgpr0
                                        ; implicit-def: $vgpr2
.LBB73_526:
	s_delay_alu instid0(SALU_CYCLE_1)
	s_and_not1_b32 vcc_lo, exec_lo, s1
	s_cbranch_vccnz .LBB73_528
; %bb.527:
	global_load_b32 v2, v[0:1], off
	s_mov_b32 s0, 0
	s_waitcnt vmcnt(0)
	v_cvt_f32_i32_e32 v2, v2
	s_delay_alu instid0(VALU_DEP_1)
	v_cvt_f16_f32_e32 v2, v2
.LBB73_528:
	s_mov_b32 s1, 0
.LBB73_529:
	s_delay_alu instid0(SALU_CYCLE_1)
	s_and_not1_b32 vcc_lo, exec_lo, s1
	s_cbranch_vccnz .LBB73_531
; %bb.530:
	global_load_u16 v2, v[0:1], off
	s_mov_b32 s0, 0
	s_waitcnt vmcnt(0)
	v_cvt_f16_i16_e32 v2, v2
.LBB73_531:
	s_mov_b32 s1, 0
.LBB73_532:
	s_delay_alu instid0(SALU_CYCLE_1)
	s_and_not1_b32 vcc_lo, exec_lo, s1
	s_cbranch_vccnz .LBB73_538
; %bb.533:
	v_cmp_lt_i16_e32 vcc_lo, 0, v19
	s_mov_b32 s1, 0
	s_cbranch_vccz .LBB73_535
; %bb.534:
	global_load_i8 v2, v[0:1], off
	s_mov_b32 s0, 0
	s_waitcnt vmcnt(0)
	v_cvt_f16_i16_e32 v2, v2
	s_branch .LBB73_536
.LBB73_535:
	s_mov_b32 s1, -1
                                        ; implicit-def: $sgpr0
                                        ; implicit-def: $vgpr2
.LBB73_536:
	s_delay_alu instid0(SALU_CYCLE_1)
	s_and_not1_b32 vcc_lo, exec_lo, s1
	s_cbranch_vccnz .LBB73_538
; %bb.537:
	global_load_u8 v0, v[0:1], off
	s_mov_b32 s0, 0
	s_waitcnt vmcnt(0)
	v_cvt_f16_u16_e32 v2, v0
.LBB73_538:
	v_mov_b32_e32 v3, s0
.LBB73_539:
	s_branch .LBB73_292
.LBB73_540:
	s_mov_b32 s1, 0
	s_mov_b32 s0, s41
.LBB73_541:
                                        ; implicit-def: $vgpr21
.LBB73_542:
	s_and_not1_b32 s2, s41, exec_lo
	s_and_b32 s0, s0, exec_lo
	s_and_not1_b32 s3, s42, exec_lo
	s_and_b32 s4, s44, exec_lo
	s_or_b32 s45, s2, s0
	s_or_b32 s44, s3, s4
	s_or_not1_b32 s0, s1, exec_lo
.LBB73_543:
	s_or_b32 exec_lo, exec_lo, s46
	s_mov_b32 s1, 0
	s_mov_b32 s2, 0
	;; [unrolled: 1-line block ×3, first 2 shown]
                                        ; implicit-def: $vgpr0_vgpr1
                                        ; implicit-def: $vgpr17
                                        ; implicit-def: $vgpr6
                                        ; implicit-def: $vgpr4
	s_and_saveexec_b32 s46, s0
	s_cbranch_execz .LBB73_923
; %bb.544:
	s_mov_b32 s3, -1
	s_mov_b32 s4, s44
	s_mov_b32 s5, s45
	s_mov_b32 s47, exec_lo
	v_cmpx_gt_i32_e64 s38, v21
	s_cbranch_execz .LBB73_821
; %bb.545:
	s_and_not1_b32 vcc_lo, exec_lo, s35
	s_cbranch_vccnz .LBB73_550
; %bb.546:
	v_dual_mov_b32 v17, 0 :: v_dual_mov_b32 v0, 0
	s_and_not1_b32 vcc_lo, exec_lo, s40
	s_mov_b32 s4, 0
	s_cbranch_vccnz .LBB73_555
; %bb.547:
	v_mov_b32_e32 v17, 0
	s_add_i32 s6, s39, 1
	s_cmp_eq_u32 s33, 2
	s_mov_b32 s5, 0
	s_cbranch_scc1 .LBB73_551
; %bb.548:
	v_dual_mov_b32 v0, 0 :: v_dual_mov_b32 v17, 0
	v_mov_b32_e32 v1, v21
	s_and_b32 s5, s6, 28
	s_mov_b32 s7, 0
	s_mov_b64 s[0:1], s[28:29]
	s_mov_b64 s[2:3], s[24:25]
.LBB73_549:                             ; =>This Inner Loop Header: Depth=1
	s_clause 0x1
	s_load_b256 s[48:55], s[2:3], 0x4
	s_load_b128 s[64:67], s[2:3], 0x24
	s_load_b256 s[56:63], s[0:1], 0x0
	s_add_u32 s2, s2, 48
	s_addc_u32 s3, s3, 0
	s_add_i32 s7, s7, 4
	s_add_u32 s0, s0, 32
	s_addc_u32 s1, s1, 0
	s_cmp_eq_u32 s5, s7
	s_waitcnt vmcnt(0) lgkmcnt(0)
	v_mul_hi_u32 v2, s49, v1
	s_delay_alu instid0(VALU_DEP_1) | instskip(NEXT) | instid1(VALU_DEP_1)
	v_add_nc_u32_e32 v2, v1, v2
	v_lshrrev_b32_e32 v2, s50, v2
	s_delay_alu instid0(VALU_DEP_1) | instskip(SKIP_1) | instid1(VALU_DEP_2)
	v_mul_hi_u32 v3, s52, v2
	v_mul_lo_u32 v5, v2, s48
	v_add_nc_u32_e32 v3, v2, v3
	s_delay_alu instid0(VALU_DEP_2) | instskip(NEXT) | instid1(VALU_DEP_2)
	v_sub_nc_u32_e32 v1, v1, v5
	v_lshrrev_b32_e32 v3, s53, v3
	s_delay_alu instid0(VALU_DEP_2) | instskip(SKIP_1) | instid1(VALU_DEP_3)
	v_mul_lo_u32 v5, v1, s56
	v_mul_lo_u32 v7, v1, s57
	v_mul_hi_u32 v4, s55, v3
	s_delay_alu instid0(VALU_DEP_1) | instskip(NEXT) | instid1(VALU_DEP_1)
	v_add_nc_u32_e32 v4, v3, v4
	v_lshrrev_b32_e32 v4, s64, v4
	s_delay_alu instid0(VALU_DEP_1) | instskip(SKIP_1) | instid1(VALU_DEP_2)
	v_mul_hi_u32 v6, s66, v4
	v_mul_lo_u32 v8, v4, s54
	v_add_nc_u32_e32 v1, v4, v6
	v_mul_lo_u32 v6, v3, s51
	s_delay_alu instid0(VALU_DEP_3) | instskip(NEXT) | instid1(VALU_DEP_3)
	v_sub_nc_u32_e32 v3, v3, v8
	v_lshrrev_b32_e32 v1, s67, v1
	s_delay_alu instid0(VALU_DEP_2) | instskip(SKIP_2) | instid1(VALU_DEP_4)
	v_mul_lo_u32 v8, v3, s60
	v_mul_lo_u32 v3, v3, s61
	v_sub_nc_u32_e32 v2, v2, v6
	v_mul_lo_u32 v9, v1, s65
	s_delay_alu instid0(VALU_DEP_2) | instskip(SKIP_1) | instid1(VALU_DEP_3)
	v_mul_lo_u32 v6, v2, s58
	v_mul_lo_u32 v2, v2, s59
	v_sub_nc_u32_e32 v4, v4, v9
	s_delay_alu instid0(VALU_DEP_3) | instskip(NEXT) | instid1(VALU_DEP_2)
	v_add3_u32 v5, v5, v17, v6
	v_mul_lo_u32 v9, v4, s62
	v_mul_lo_u32 v4, v4, s63
	v_add3_u32 v0, v7, v0, v2
	s_delay_alu instid0(VALU_DEP_3) | instskip(NEXT) | instid1(VALU_DEP_2)
	v_add3_u32 v17, v8, v5, v9
	v_add3_u32 v0, v3, v0, v4
	s_cbranch_scc0 .LBB73_549
	s_branch .LBB73_552
.LBB73_550:
	s_mov_b32 s4, -1
                                        ; implicit-def: $vgpr17
                                        ; implicit-def: $vgpr0
	s_branch .LBB73_555
.LBB73_551:
	v_dual_mov_b32 v1, v21 :: v_dual_mov_b32 v0, 0
.LBB73_552:
	s_and_b32 s6, s6, 3
	s_delay_alu instid0(SALU_CYCLE_1)
	s_cmp_eq_u32 s6, 0
	s_cbranch_scc1 .LBB73_555
; %bb.553:
	s_lshl_b32 s0, s5, 3
	s_mul_i32 s2, s5, 12
	s_add_u32 s0, s0, s24
	s_addc_u32 s1, s25, 0
	s_add_u32 s0, s0, 0xc4
	s_addc_u32 s1, s1, 0
	;; [unrolled: 2-line block ×3, first 2 shown]
	.p2align	6
.LBB73_554:                             ; =>This Inner Loop Header: Depth=1
	s_clause 0x1
	s_load_b64 s[30:31], s[2:3], 0x4
	s_load_b32 s5, s[2:3], 0xc
	s_load_b64 s[48:49], s[0:1], 0x0
	s_add_u32 s2, s2, 12
	s_addc_u32 s3, s3, 0
	s_add_u32 s0, s0, 8
	s_addc_u32 s1, s1, 0
	s_add_i32 s6, s6, -1
	s_delay_alu instid0(SALU_CYCLE_1) | instskip(SKIP_2) | instid1(VALU_DEP_1)
	s_cmp_lg_u32 s6, 0
	s_waitcnt vmcnt(0) lgkmcnt(0)
	v_mul_hi_u32 v2, s31, v1
	v_add_nc_u32_e32 v2, v1, v2
	s_delay_alu instid0(VALU_DEP_1) | instskip(NEXT) | instid1(VALU_DEP_1)
	v_lshrrev_b32_e32 v5, s5, v2
	v_mul_lo_u32 v2, v5, s30
	s_delay_alu instid0(VALU_DEP_1) | instskip(NEXT) | instid1(VALU_DEP_1)
	v_sub_nc_u32_e32 v1, v1, v2
	v_mad_u64_u32 v[2:3], null, v1, s48, v[17:18]
	v_mad_u64_u32 v[3:4], null, v1, s49, v[0:1]
	v_mov_b32_e32 v1, v5
	s_delay_alu instid0(VALU_DEP_2)
	v_dual_mov_b32 v17, v2 :: v_dual_mov_b32 v0, v3
	s_cbranch_scc1 .LBB73_554
.LBB73_555:
	s_and_not1_b32 vcc_lo, exec_lo, s4
	s_cbranch_vccnz .LBB73_558
; %bb.556:
	s_waitcnt lgkmcnt(0)
	v_mul_hi_u32 v0, s21, v21
	s_and_not1_b32 vcc_lo, exec_lo, s37
	s_delay_alu instid0(VALU_DEP_1) | instskip(NEXT) | instid1(VALU_DEP_1)
	v_add_nc_u32_e32 v0, v21, v0
	v_lshrrev_b32_e32 v1, s22, v0
	s_delay_alu instid0(VALU_DEP_1) | instskip(NEXT) | instid1(VALU_DEP_1)
	v_mul_lo_u32 v0, v1, s20
	v_sub_nc_u32_e32 v0, v21, v0
	s_delay_alu instid0(VALU_DEP_1)
	v_mul_lo_u32 v17, v0, s16
	v_mul_lo_u32 v0, v0, s17
	s_cbranch_vccnz .LBB73_558
; %bb.557:
	s_waitcnt vmcnt(0)
	v_mul_hi_u32 v2, s26, v1
	s_delay_alu instid0(VALU_DEP_1) | instskip(NEXT) | instid1(VALU_DEP_1)
	v_add_nc_u32_e32 v2, v1, v2
	v_lshrrev_b32_e32 v2, s27, v2
	s_delay_alu instid0(VALU_DEP_1) | instskip(NEXT) | instid1(VALU_DEP_1)
	v_mul_lo_u32 v2, v2, s23
	v_sub_nc_u32_e32 v4, v1, v2
	s_delay_alu instid0(VALU_DEP_1) | instskip(NEXT) | instid1(VALU_DEP_1)
	v_mad_u64_u32 v[1:2], null, v4, s18, v[17:18]
	v_mad_u64_u32 v[2:3], null, v4, s19, v[0:1]
	s_delay_alu instid0(VALU_DEP_1)
	v_dual_mov_b32 v17, v1 :: v_dual_mov_b32 v0, v2
.LBB73_558:
	v_cmp_gt_i16_e32 vcc_lo, 11, v19
	s_waitcnt lgkmcnt(0)
	s_delay_alu instid0(VALU_DEP_2) | instskip(NEXT) | instid1(VALU_DEP_1)
	v_add_co_u32 v0, s0, s14, v0
	v_add_co_ci_u32_e64 v1, null, s15, 0, s0
	s_mov_b32 s0, 0
	s_cbranch_vccnz .LBB73_565
; %bb.559:
	v_cmp_lt_i16_e32 vcc_lo, 25, v19
	s_cbranch_vccz .LBB73_566
; %bb.560:
	v_cmp_lt_i16_e32 vcc_lo, 28, v19
	s_cbranch_vccz .LBB73_567
	;; [unrolled: 3-line block ×4, first 2 shown]
; %bb.563:
	v_cmp_eq_u16_e32 vcc_lo, 46, v19
	s_mov_b32 s1, 0
	s_cbranch_vccz .LBB73_574
; %bb.564:
	global_load_b32 v2, v[0:1], off
	s_mov_b32 s0, -1
	s_mov_b32 s48, 0
	s_waitcnt vmcnt(0)
	v_lshlrev_b32_e32 v3, 16, v2
	v_and_b32_e32 v4, 0xffff0000, v2
	s_delay_alu instid0(VALU_DEP_2) | instskip(NEXT) | instid1(VALU_DEP_2)
	v_cvt_f16_f32_e32 v2, v3
	v_cvt_f16_f32_e32 v3, v4
	s_branch .LBB73_576
.LBB73_565:
	s_mov_b32 s1, -1
	s_mov_b32 s48, s44
                                        ; implicit-def: $vgpr3
                                        ; implicit-def: $vgpr2
	s_branch .LBB73_644
.LBB73_566:
	s_mov_b32 s1, -1
	s_mov_b32 s48, s44
                                        ; implicit-def: $vgpr3
                                        ; implicit-def: $vgpr2
	s_branch .LBB73_609
.LBB73_567:
	s_mov_b32 s1, -1
	s_mov_b32 s48, s44
                                        ; implicit-def: $vgpr3
                                        ; implicit-def: $vgpr2
	s_branch .LBB73_588
.LBB73_568:
	s_mov_b32 s1, -1
	s_mov_b32 s48, s44
                                        ; implicit-def: $vgpr3
                                        ; implicit-def: $vgpr2
	s_branch .LBB73_582
.LBB73_569:
	s_or_saveexec_b32 s3, s3
                                        ; implicit-def: $sgpr4
	s_delay_alu instid0(SALU_CYCLE_1)
	s_xor_b32 exec_lo, exec_lo, s3
	s_cbranch_execz .LBB73_375
.LBB73_570:
	v_add_f32_e64 v7, 0x46000000, |v6|
	s_and_not1_b32 s2, s2, exec_lo
	s_mov_b32 s4, 0
	s_delay_alu instid0(VALU_DEP_1) | instskip(NEXT) | instid1(VALU_DEP_1)
	v_and_b32_e32 v7, 0xff, v7
	v_cmp_ne_u32_e32 vcc_lo, 0, v7
	s_and_b32 s5, vcc_lo, exec_lo
	s_delay_alu instid0(SALU_CYCLE_1)
	s_or_b32 s2, s2, s5
	s_or_b32 exec_lo, exec_lo, s3
	v_mov_b32_e32 v8, s4
	s_and_saveexec_b32 s3, s2
	s_cbranch_execnz .LBB73_376
	s_branch .LBB73_377
.LBB73_571:
	s_mov_b32 s1, -1
	s_mov_b32 s48, s44
	s_branch .LBB73_575
.LBB73_572:
	s_or_saveexec_b32 s3, s3
                                        ; implicit-def: $sgpr4
	s_delay_alu instid0(SALU_CYCLE_1)
	s_xor_b32 exec_lo, exec_lo, s3
	s_cbranch_execz .LBB73_388
.LBB73_573:
	v_add_f32_e64 v7, 0x42800000, |v6|
	s_and_not1_b32 s2, s2, exec_lo
	s_mov_b32 s4, 0
	s_delay_alu instid0(VALU_DEP_1) | instskip(NEXT) | instid1(VALU_DEP_1)
	v_and_b32_e32 v7, 0xff, v7
	v_cmp_ne_u32_e32 vcc_lo, 0, v7
	s_and_b32 s5, vcc_lo, exec_lo
	s_delay_alu instid0(SALU_CYCLE_1)
	s_or_b32 s2, s2, s5
	s_or_b32 exec_lo, exec_lo, s3
	v_mov_b32_e32 v8, s4
	s_and_saveexec_b32 s3, s2
	s_cbranch_execnz .LBB73_389
	s_branch .LBB73_390
.LBB73_574:
	s_mov_b32 s48, -1
.LBB73_575:
                                        ; implicit-def: $vgpr3
                                        ; implicit-def: $vgpr2
.LBB73_576:
	s_and_b32 vcc_lo, exec_lo, s1
	s_cbranch_vccz .LBB73_581
; %bb.577:
	v_cmp_eq_u16_e32 vcc_lo, 44, v19
	s_cbranch_vccz .LBB73_579
; %bb.578:
	global_load_u8 v2, v[0:1], off
	s_mov_b32 s48, 0
	s_mov_b32 s0, -1
	s_waitcnt vmcnt(0)
	v_lshlrev_b32_e32 v3, 23, v2
	v_cmp_ne_u32_e32 vcc_lo, 0xff, v2
	s_delay_alu instid0(VALU_DEP_2) | instskip(NEXT) | instid1(VALU_DEP_1)
	v_cvt_f16_f32_e32 v3, v3
	v_cndmask_b32_e32 v3, 0x7e00, v3, vcc_lo
	v_cmp_ne_u32_e32 vcc_lo, 0, v2
	s_delay_alu instid0(VALU_DEP_2)
	v_cndmask_b32_e32 v2, 0, v3, vcc_lo
	s_branch .LBB73_580
.LBB73_579:
	s_mov_b32 s48, -1
                                        ; implicit-def: $vgpr2
.LBB73_580:
	s_delay_alu instid0(SALU_CYCLE_1)
	v_mov_b32_e32 v3, s48
.LBB73_581:
	s_mov_b32 s1, 0
.LBB73_582:
	s_delay_alu instid0(SALU_CYCLE_1)
	s_and_b32 vcc_lo, exec_lo, s1
	s_cbranch_vccz .LBB73_587
; %bb.583:
	v_cmp_eq_u16_e32 vcc_lo, 29, v19
	s_cbranch_vccz .LBB73_585
; %bb.584:
	global_load_b64 v[2:3], v[0:1], off
	s_mov_b32 s0, -1
	s_mov_b32 s48, 0
	s_mov_b32 s1, 0
	s_waitcnt vmcnt(0)
	v_clz_i32_u32_e32 v4, v3
	s_delay_alu instid0(VALU_DEP_1) | instskip(NEXT) | instid1(VALU_DEP_1)
	v_min_u32_e32 v4, 32, v4
	v_lshlrev_b64 v[2:3], v4, v[2:3]
	s_delay_alu instid0(VALU_DEP_1) | instskip(NEXT) | instid1(VALU_DEP_1)
	v_min_u32_e32 v2, 1, v2
	v_or_b32_e32 v2, v3, v2
	v_sub_nc_u32_e32 v3, 32, v4
	s_delay_alu instid0(VALU_DEP_2) | instskip(NEXT) | instid1(VALU_DEP_1)
	v_cvt_f32_u32_e32 v2, v2
	v_ldexp_f32 v2, v2, v3
	s_delay_alu instid0(VALU_DEP_1)
	v_cvt_f16_f32_e32 v2, v2
	s_branch .LBB73_586
.LBB73_585:
	s_mov_b32 s48, -1
                                        ; implicit-def: $sgpr1
                                        ; implicit-def: $vgpr2
.LBB73_586:
	v_mov_b32_e32 v3, s1
.LBB73_587:
	s_mov_b32 s1, 0
.LBB73_588:
	s_delay_alu instid0(SALU_CYCLE_1)
	s_and_b32 vcc_lo, exec_lo, s1
	s_cbranch_vccz .LBB73_608
; %bb.589:
	v_cmp_gt_i16_e32 vcc_lo, 27, v19
	s_cbranch_vccnz .LBB73_592
; %bb.590:
	v_cmp_lt_i16_e32 vcc_lo, 27, v19
	s_cbranch_vccz .LBB73_593
; %bb.591:
	global_load_b32 v2, v[0:1], off
	s_mov_b32 s1, 0
	s_mov_b32 s0, 0
	s_waitcnt vmcnt(0)
	v_cvt_f32_u32_e32 v2, v2
	s_delay_alu instid0(VALU_DEP_1)
	v_cvt_f16_f32_e32 v2, v2
	s_branch .LBB73_594
.LBB73_592:
	s_mov_b32 s1, -1
                                        ; implicit-def: $sgpr0
                                        ; implicit-def: $vgpr2
	s_branch .LBB73_597
.LBB73_593:
	s_mov_b32 s1, -1
                                        ; implicit-def: $sgpr0
                                        ; implicit-def: $vgpr2
.LBB73_594:
	s_delay_alu instid0(SALU_CYCLE_1)
	s_and_not1_b32 vcc_lo, exec_lo, s1
	s_cbranch_vccnz .LBB73_596
; %bb.595:
	global_load_u16 v2, v[0:1], off
	s_mov_b32 s0, 0
	s_waitcnt vmcnt(0)
	v_cvt_f16_u16_e32 v2, v2
.LBB73_596:
	s_mov_b32 s1, 0
.LBB73_597:
	v_mov_b32_e32 v3, s0
	s_and_not1_b32 vcc_lo, exec_lo, s1
	s_cbranch_vccnz .LBB73_607
; %bb.598:
	global_load_u8 v4, v[0:1], off
	s_mov_b32 s0, 0
	s_mov_b32 s3, exec_lo
                                        ; implicit-def: $sgpr2
                                        ; implicit-def: $sgpr1
	s_waitcnt vmcnt(0)
	v_cmpx_lt_i16_e32 0x7f, v4
	s_xor_b32 s3, exec_lo, s3
	s_cbranch_execz .LBB73_602
; %bb.599:
	s_mov_b32 s0, -1
	s_mov_b32 s4, exec_lo
                                        ; implicit-def: $sgpr2
                                        ; implicit-def: $sgpr1
	v_cmpx_eq_u16_e32 0x80, v4
; %bb.600:
	s_movk_i32 s1, 0x7e00
	s_mov_b32 s2, 0
	s_xor_b32 s0, exec_lo, -1
; %bb.601:
	s_or_b32 exec_lo, exec_lo, s4
	s_delay_alu instid0(SALU_CYCLE_1)
	s_and_b32 s0, s0, exec_lo
.LBB73_602:
	s_or_saveexec_b32 s3, s3
	v_dual_mov_b32 v3, s2 :: v_dual_mov_b32 v2, s1
	s_xor_b32 exec_lo, exec_lo, s3
; %bb.603:
	v_cmp_ne_u16_e32 vcc_lo, 0, v4
	v_dual_mov_b32 v3, 0 :: v_dual_mov_b32 v2, v4
	s_and_not1_b32 s0, s0, exec_lo
	s_and_b32 s1, vcc_lo, exec_lo
	s_delay_alu instid0(SALU_CYCLE_1)
	s_or_b32 s0, s0, s1
; %bb.604:
	s_or_b32 exec_lo, exec_lo, s3
	s_and_saveexec_b32 s1, s0
	s_cbranch_execz .LBB73_606
; %bb.605:
	v_and_b32_e32 v2, 0xffff, v4
	v_lshlrev_b32_e32 v4, 24, v4
	s_delay_alu instid0(VALU_DEP_2) | instskip(NEXT) | instid1(VALU_DEP_2)
	v_and_b32_e32 v3, 7, v2
	v_and_b32_e32 v4, 0x80000000, v4
	s_delay_alu instid0(VALU_DEP_2) | instskip(NEXT) | instid1(VALU_DEP_1)
	v_clz_i32_u32_e32 v5, v3
	v_min_u32_e32 v5, 32, v5
	s_delay_alu instid0(VALU_DEP_1) | instskip(SKIP_1) | instid1(VALU_DEP_2)
	v_subrev_nc_u32_e32 v6, 28, v5
	v_sub_nc_u32_e32 v5, 29, v5
	v_lshlrev_b32_e32 v6, v6, v2
	v_bfe_u32 v2, v2, 3, 4
	s_delay_alu instid0(VALU_DEP_2) | instskip(NEXT) | instid1(VALU_DEP_2)
	v_and_b32_e32 v6, 7, v6
	v_cmp_eq_u32_e32 vcc_lo, 0, v2
	s_delay_alu instid0(VALU_DEP_2) | instskip(NEXT) | instid1(VALU_DEP_1)
	v_dual_cndmask_b32 v2, v2, v5 :: v_dual_cndmask_b32 v3, v3, v6
	v_lshl_add_u32 v2, v2, 23, 0x3b800000
	s_delay_alu instid0(VALU_DEP_2) | instskip(NEXT) | instid1(VALU_DEP_1)
	v_lshlrev_b32_e32 v3, 20, v3
	v_or3_b32 v2, v4, v2, v3
	v_mov_b32_e32 v3, 0
	s_delay_alu instid0(VALU_DEP_2)
	v_cvt_f16_f32_e32 v2, v2
.LBB73_606:
	s_or_b32 exec_lo, exec_lo, s1
.LBB73_607:
	s_mov_b32 s0, -1
.LBB73_608:
	s_mov_b32 s1, 0
.LBB73_609:
	s_delay_alu instid0(SALU_CYCLE_1)
	s_and_b32 vcc_lo, exec_lo, s1
	s_cbranch_vccz .LBB73_643
; %bb.610:
	v_cmp_lt_i16_e32 vcc_lo, 22, v19
	s_cbranch_vccz .LBB73_622
; %bb.611:
	v_cmp_gt_i16_e32 vcc_lo, 24, v19
	s_cbranch_vccnz .LBB73_623
; %bb.612:
	v_cmp_lt_i16_e32 vcc_lo, 24, v19
	s_cbranch_vccz .LBB73_624
; %bb.613:
	global_load_u8 v4, v[0:1], off
	s_mov_b32 s0, 0
	s_mov_b32 s3, exec_lo
                                        ; implicit-def: $sgpr2
                                        ; implicit-def: $sgpr1
	s_waitcnt vmcnt(0)
	v_cmpx_lt_i16_e32 0x7f, v4
	s_xor_b32 s3, exec_lo, s3
	s_cbranch_execz .LBB73_617
; %bb.614:
	s_mov_b32 s0, -1
	s_mov_b32 s4, exec_lo
                                        ; implicit-def: $sgpr2
                                        ; implicit-def: $sgpr1
	v_cmpx_eq_u16_e32 0x80, v4
; %bb.615:
	s_movk_i32 s1, 0x7e00
	s_mov_b32 s2, 0
	s_xor_b32 s0, exec_lo, -1
; %bb.616:
	s_or_b32 exec_lo, exec_lo, s4
	s_delay_alu instid0(SALU_CYCLE_1)
	s_and_b32 s0, s0, exec_lo
.LBB73_617:
	s_or_saveexec_b32 s3, s3
	v_dual_mov_b32 v3, s2 :: v_dual_mov_b32 v2, s1
	s_xor_b32 exec_lo, exec_lo, s3
; %bb.618:
	v_cmp_ne_u16_e32 vcc_lo, 0, v4
	v_dual_mov_b32 v3, 0 :: v_dual_mov_b32 v2, v4
	s_and_not1_b32 s0, s0, exec_lo
	s_and_b32 s1, vcc_lo, exec_lo
	s_delay_alu instid0(SALU_CYCLE_1)
	s_or_b32 s0, s0, s1
; %bb.619:
	s_or_b32 exec_lo, exec_lo, s3
	s_and_saveexec_b32 s1, s0
	s_cbranch_execz .LBB73_621
; %bb.620:
	v_and_b32_e32 v2, 0xffff, v4
	v_lshlrev_b32_e32 v4, 24, v4
	s_delay_alu instid0(VALU_DEP_2) | instskip(NEXT) | instid1(VALU_DEP_2)
	v_and_b32_e32 v3, 3, v2
	v_and_b32_e32 v4, 0x80000000, v4
	s_delay_alu instid0(VALU_DEP_2) | instskip(NEXT) | instid1(VALU_DEP_1)
	v_clz_i32_u32_e32 v5, v3
	v_min_u32_e32 v5, 32, v5
	s_delay_alu instid0(VALU_DEP_1) | instskip(SKIP_1) | instid1(VALU_DEP_2)
	v_subrev_nc_u32_e32 v6, 29, v5
	v_sub_nc_u32_e32 v5, 30, v5
	v_lshlrev_b32_e32 v6, v6, v2
	v_bfe_u32 v2, v2, 2, 5
	s_delay_alu instid0(VALU_DEP_2) | instskip(NEXT) | instid1(VALU_DEP_2)
	v_and_b32_e32 v6, 3, v6
	v_cmp_eq_u32_e32 vcc_lo, 0, v2
	s_delay_alu instid0(VALU_DEP_2) | instskip(NEXT) | instid1(VALU_DEP_1)
	v_dual_cndmask_b32 v2, v2, v5 :: v_dual_cndmask_b32 v3, v3, v6
	v_lshl_add_u32 v2, v2, 23, 0x37800000
	s_delay_alu instid0(VALU_DEP_2) | instskip(NEXT) | instid1(VALU_DEP_1)
	v_lshlrev_b32_e32 v3, 21, v3
	v_or3_b32 v2, v4, v2, v3
	v_mov_b32_e32 v3, 0
	s_delay_alu instid0(VALU_DEP_2)
	v_cvt_f16_f32_e32 v2, v2
.LBB73_621:
	s_or_b32 exec_lo, exec_lo, s1
	s_mov_b32 s0, 0
	s_branch .LBB73_625
.LBB73_622:
	s_mov_b32 s1, -1
                                        ; implicit-def: $vgpr3
                                        ; implicit-def: $vgpr2
	s_branch .LBB73_631
.LBB73_623:
	s_mov_b32 s0, -1
                                        ; implicit-def: $vgpr3
                                        ; implicit-def: $vgpr2
	s_branch .LBB73_628
.LBB73_624:
	s_mov_b32 s0, -1
                                        ; implicit-def: $vgpr3
                                        ; implicit-def: $vgpr2
.LBB73_625:
	s_delay_alu instid0(SALU_CYCLE_1)
	s_and_b32 vcc_lo, exec_lo, s0
	s_cbranch_vccz .LBB73_627
; %bb.626:
	global_load_u8 v2, v[0:1], off
	s_waitcnt vmcnt(0)
	v_lshlrev_b32_e32 v2, 24, v2
	s_delay_alu instid0(VALU_DEP_1) | instskip(NEXT) | instid1(VALU_DEP_1)
	v_and_b32_e32 v3, 0x7f000000, v2
	v_clz_i32_u32_e32 v4, v3
	v_add_nc_u32_e32 v6, 0x1000000, v3
	v_cmp_ne_u32_e32 vcc_lo, 0, v3
	s_delay_alu instid0(VALU_DEP_3) | instskip(NEXT) | instid1(VALU_DEP_1)
	v_min_u32_e32 v4, 32, v4
	v_sub_nc_u32_e64 v4, v4, 4 clamp
	s_delay_alu instid0(VALU_DEP_1) | instskip(SKIP_1) | instid1(VALU_DEP_2)
	v_lshlrev_b32_e32 v5, v4, v3
	v_lshlrev_b32_e32 v4, 23, v4
	v_lshrrev_b32_e32 v5, 4, v5
	s_delay_alu instid0(VALU_DEP_1) | instskip(SKIP_1) | instid1(VALU_DEP_2)
	v_sub_nc_u32_e32 v4, v5, v4
	v_ashrrev_i32_e32 v5, 8, v6
	v_add_nc_u32_e32 v4, 0x3c000000, v4
	s_delay_alu instid0(VALU_DEP_1) | instskip(NEXT) | instid1(VALU_DEP_1)
	v_and_or_b32 v4, 0x7f800000, v5, v4
	v_cndmask_b32_e32 v3, 0, v4, vcc_lo
	s_delay_alu instid0(VALU_DEP_1) | instskip(SKIP_1) | instid1(VALU_DEP_2)
	v_and_or_b32 v2, 0x80000000, v2, v3
	v_mov_b32_e32 v3, 0
	v_cvt_f16_f32_e32 v2, v2
.LBB73_627:
	s_mov_b32 s0, 0
.LBB73_628:
	s_delay_alu instid0(SALU_CYCLE_1)
	s_and_not1_b32 vcc_lo, exec_lo, s0
	s_cbranch_vccnz .LBB73_630
; %bb.629:
	global_load_u8 v2, v[0:1], off
	s_waitcnt vmcnt(0)
	v_lshlrev_b32_e32 v3, 25, v2
	v_lshlrev_b16 v2, 8, v2
	s_delay_alu instid0(VALU_DEP_2) | instskip(NEXT) | instid1(VALU_DEP_2)
	v_lshrrev_b32_e32 v4, 4, v3
	v_and_or_b32 v5, 0x7f00, v2, 0.5
	v_bfe_i32 v2, v2, 0, 16
	s_delay_alu instid0(VALU_DEP_3) | instskip(NEXT) | instid1(VALU_DEP_1)
	v_or_b32_e32 v4, 0x70000000, v4
	v_dual_add_f32 v5, -0.5, v5 :: v_dual_mul_f32 v4, 0x7800000, v4
	v_cmp_gt_u32_e32 vcc_lo, 0x8000000, v3
	s_delay_alu instid0(VALU_DEP_2) | instskip(NEXT) | instid1(VALU_DEP_1)
	v_cndmask_b32_e32 v3, v4, v5, vcc_lo
	v_and_or_b32 v2, 0x80000000, v2, v3
	v_mov_b32_e32 v3, 0
	s_delay_alu instid0(VALU_DEP_2)
	v_cvt_f16_f32_e32 v2, v2
.LBB73_630:
	s_mov_b32 s1, 0
	s_mov_b32 s0, -1
.LBB73_631:
	s_and_not1_b32 vcc_lo, exec_lo, s1
	s_cbranch_vccnz .LBB73_643
; %bb.632:
	v_cmp_lt_i16_e32 vcc_lo, 14, v19
	s_cbranch_vccz .LBB73_635
; %bb.633:
	v_cmp_eq_u16_e32 vcc_lo, 15, v19
	s_cbranch_vccz .LBB73_636
; %bb.634:
	global_load_u16 v2, v[0:1], off
	s_mov_b32 s0, -1
	s_mov_b32 s48, 0
	s_mov_b32 s1, 0
	s_waitcnt vmcnt(0)
	v_lshlrev_b32_e32 v2, 16, v2
	s_delay_alu instid0(VALU_DEP_1)
	v_cvt_f16_f32_e32 v2, v2
	s_branch .LBB73_637
.LBB73_635:
	s_mov_b32 s2, -1
                                        ; implicit-def: $sgpr1
                                        ; implicit-def: $vgpr2
	s_branch .LBB73_638
.LBB73_636:
	s_mov_b32 s48, -1
                                        ; implicit-def: $sgpr1
                                        ; implicit-def: $vgpr2
.LBB73_637:
	s_mov_b32 s2, 0
.LBB73_638:
	s_delay_alu instid0(SALU_CYCLE_1)
	s_and_b32 vcc_lo, exec_lo, s2
	s_cbranch_vccz .LBB73_642
; %bb.639:
	v_cmp_eq_u16_e32 vcc_lo, 11, v19
	s_cbranch_vccz .LBB73_641
; %bb.640:
	global_load_u8 v2, v[0:1], off
	s_mov_b32 s1, 0
	s_mov_b32 s0, -1
	s_mov_b32 s48, 0
	s_waitcnt vmcnt(0)
	v_cmp_ne_u16_e32 vcc_lo, 0, v2
	v_cndmask_b32_e64 v2, 0, 0x3c00, vcc_lo
	s_branch .LBB73_642
.LBB73_641:
	s_mov_b32 s48, -1
                                        ; implicit-def: $sgpr1
                                        ; implicit-def: $vgpr2
.LBB73_642:
	v_mov_b32_e32 v3, s1
.LBB73_643:
	s_mov_b32 s1, 0
.LBB73_644:
	s_delay_alu instid0(SALU_CYCLE_1)
	s_and_b32 vcc_lo, exec_lo, s1
	s_cbranch_vccz .LBB73_695
; %bb.645:
	v_cmp_gt_i16_e32 vcc_lo, 5, v19
	s_cbranch_vccnz .LBB73_650
; %bb.646:
	v_cmp_gt_i16_e32 vcc_lo, 8, v19
	s_cbranch_vccnz .LBB73_651
	;; [unrolled: 3-line block ×3, first 2 shown]
; %bb.648:
	v_cmp_lt_i16_e32 vcc_lo, 9, v19
	s_cbranch_vccz .LBB73_653
; %bb.649:
	global_load_b128 v[2:5], v[0:1], off
	s_mov_b32 s0, 0
	s_waitcnt vmcnt(0)
	v_cvt_f32_f64_e32 v2, v[2:3]
	v_cvt_f32_f64_e32 v3, v[4:5]
	s_delay_alu instid0(VALU_DEP_2) | instskip(NEXT) | instid1(VALU_DEP_2)
	v_cvt_f16_f32_e32 v2, v2
	v_cvt_f16_f32_e32 v3, v3
	s_branch .LBB73_654
.LBB73_650:
	s_mov_b32 s0, -1
                                        ; implicit-def: $vgpr3
                                        ; implicit-def: $vgpr2
	s_branch .LBB73_673
.LBB73_651:
	s_mov_b32 s0, -1
                                        ; implicit-def: $vgpr3
                                        ; implicit-def: $vgpr2
	s_branch .LBB73_660
.LBB73_652:
	s_mov_b32 s0, -1
                                        ; implicit-def: $vgpr3
                                        ; implicit-def: $vgpr2
	s_branch .LBB73_657
.LBB73_653:
	s_mov_b32 s0, -1
                                        ; implicit-def: $vgpr3
                                        ; implicit-def: $vgpr2
.LBB73_654:
	s_delay_alu instid0(SALU_CYCLE_1)
	s_and_not1_b32 vcc_lo, exec_lo, s0
	s_cbranch_vccnz .LBB73_656
; %bb.655:
	global_load_b64 v[2:3], v[0:1], off
	s_waitcnt vmcnt(0)
	v_cvt_f16_f32_e32 v2, v2
	v_cvt_f16_f32_e32 v3, v3
.LBB73_656:
	s_mov_b32 s0, 0
.LBB73_657:
	s_delay_alu instid0(SALU_CYCLE_1)
	s_and_not1_b32 vcc_lo, exec_lo, s0
	s_cbranch_vccnz .LBB73_659
; %bb.658:
	global_load_b32 v2, v[0:1], off
	s_waitcnt vmcnt(0)
	v_lshrrev_b32_e32 v3, 16, v2
.LBB73_659:
	s_mov_b32 s0, 0
.LBB73_660:
	s_delay_alu instid0(SALU_CYCLE_1)
	s_and_not1_b32 vcc_lo, exec_lo, s0
	s_cbranch_vccnz .LBB73_672
; %bb.661:
	v_cmp_gt_i16_e32 vcc_lo, 6, v19
	s_cbranch_vccnz .LBB73_664
; %bb.662:
	v_cmp_lt_i16_e32 vcc_lo, 6, v19
	s_cbranch_vccz .LBB73_665
; %bb.663:
	global_load_b64 v[2:3], v[0:1], off
	s_mov_b32 s1, 0
	s_mov_b32 s0, 0
	s_waitcnt vmcnt(0)
	v_cvt_f32_f64_e32 v2, v[2:3]
	s_delay_alu instid0(VALU_DEP_1)
	v_cvt_f16_f32_e32 v2, v2
	s_branch .LBB73_666
.LBB73_664:
	s_mov_b32 s1, -1
                                        ; implicit-def: $sgpr0
                                        ; implicit-def: $vgpr2
	s_branch .LBB73_669
.LBB73_665:
	s_mov_b32 s1, -1
                                        ; implicit-def: $sgpr0
                                        ; implicit-def: $vgpr2
.LBB73_666:
	s_delay_alu instid0(SALU_CYCLE_1)
	s_and_not1_b32 vcc_lo, exec_lo, s1
	s_cbranch_vccnz .LBB73_668
; %bb.667:
	global_load_b32 v2, v[0:1], off
	s_mov_b32 s0, 0
	s_waitcnt vmcnt(0)
	v_cvt_f16_f32_e32 v2, v2
.LBB73_668:
	s_mov_b32 s1, 0
.LBB73_669:
	s_delay_alu instid0(SALU_CYCLE_1)
	s_and_not1_b32 vcc_lo, exec_lo, s1
	s_cbranch_vccnz .LBB73_671
; %bb.670:
	global_load_u16 v2, v[0:1], off
	s_mov_b32 s0, 0
.LBB73_671:
	s_delay_alu instid0(SALU_CYCLE_1)
	v_mov_b32_e32 v3, s0
.LBB73_672:
	s_mov_b32 s0, 0
.LBB73_673:
	s_delay_alu instid0(SALU_CYCLE_1)
	s_and_not1_b32 vcc_lo, exec_lo, s0
	s_cbranch_vccnz .LBB73_694
; %bb.674:
	v_cmp_gt_i16_e32 vcc_lo, 2, v19
	s_cbranch_vccnz .LBB73_678
; %bb.675:
	v_cmp_gt_i16_e32 vcc_lo, 3, v19
	s_cbranch_vccnz .LBB73_679
; %bb.676:
	v_cmp_lt_i16_e32 vcc_lo, 3, v19
	s_cbranch_vccz .LBB73_680
; %bb.677:
	global_load_b64 v[2:3], v[0:1], off
	s_mov_b32 s1, 0
	s_mov_b32 s0, 0
	s_waitcnt vmcnt(0)
	v_xor_b32_e32 v4, v2, v3
	v_cls_i32_e32 v5, v3
	s_delay_alu instid0(VALU_DEP_2) | instskip(NEXT) | instid1(VALU_DEP_2)
	v_ashrrev_i32_e32 v4, 31, v4
	v_add_nc_u32_e32 v5, -1, v5
	s_delay_alu instid0(VALU_DEP_2) | instskip(NEXT) | instid1(VALU_DEP_1)
	v_add_nc_u32_e32 v4, 32, v4
	v_min_u32_e32 v4, v5, v4
	s_delay_alu instid0(VALU_DEP_1) | instskip(NEXT) | instid1(VALU_DEP_1)
	v_lshlrev_b64 v[2:3], v4, v[2:3]
	v_min_u32_e32 v2, 1, v2
	s_delay_alu instid0(VALU_DEP_1) | instskip(SKIP_1) | instid1(VALU_DEP_2)
	v_or_b32_e32 v2, v3, v2
	v_sub_nc_u32_e32 v3, 32, v4
	v_cvt_f32_i32_e32 v2, v2
	s_delay_alu instid0(VALU_DEP_1) | instskip(NEXT) | instid1(VALU_DEP_1)
	v_ldexp_f32 v2, v2, v3
	v_cvt_f16_f32_e32 v2, v2
	s_branch .LBB73_681
.LBB73_678:
	s_mov_b32 s1, -1
                                        ; implicit-def: $sgpr0
                                        ; implicit-def: $vgpr2
	s_branch .LBB73_687
.LBB73_679:
	s_mov_b32 s1, -1
                                        ; implicit-def: $sgpr0
                                        ; implicit-def: $vgpr2
	s_branch .LBB73_684
.LBB73_680:
	s_mov_b32 s1, -1
                                        ; implicit-def: $sgpr0
                                        ; implicit-def: $vgpr2
.LBB73_681:
	s_delay_alu instid0(SALU_CYCLE_1)
	s_and_not1_b32 vcc_lo, exec_lo, s1
	s_cbranch_vccnz .LBB73_683
; %bb.682:
	global_load_b32 v2, v[0:1], off
	s_mov_b32 s0, 0
	s_waitcnt vmcnt(0)
	v_cvt_f32_i32_e32 v2, v2
	s_delay_alu instid0(VALU_DEP_1)
	v_cvt_f16_f32_e32 v2, v2
.LBB73_683:
	s_mov_b32 s1, 0
.LBB73_684:
	s_delay_alu instid0(SALU_CYCLE_1)
	s_and_not1_b32 vcc_lo, exec_lo, s1
	s_cbranch_vccnz .LBB73_686
; %bb.685:
	global_load_u16 v2, v[0:1], off
	s_mov_b32 s0, 0
	s_waitcnt vmcnt(0)
	v_cvt_f16_i16_e32 v2, v2
.LBB73_686:
	s_mov_b32 s1, 0
.LBB73_687:
	s_delay_alu instid0(SALU_CYCLE_1)
	s_and_not1_b32 vcc_lo, exec_lo, s1
	s_cbranch_vccnz .LBB73_693
; %bb.688:
	v_cmp_lt_i16_e32 vcc_lo, 0, v19
	s_mov_b32 s1, 0
	s_cbranch_vccz .LBB73_690
; %bb.689:
	global_load_i8 v2, v[0:1], off
	s_mov_b32 s0, 0
	s_waitcnt vmcnt(0)
	v_cvt_f16_i16_e32 v2, v2
	s_branch .LBB73_691
.LBB73_690:
	s_mov_b32 s1, -1
                                        ; implicit-def: $sgpr0
                                        ; implicit-def: $vgpr2
.LBB73_691:
	s_delay_alu instid0(SALU_CYCLE_1)
	s_and_not1_b32 vcc_lo, exec_lo, s1
	s_cbranch_vccnz .LBB73_693
; %bb.692:
	global_load_u8 v0, v[0:1], off
	s_mov_b32 s0, 0
	s_waitcnt vmcnt(0)
	v_cvt_f16_u16_e32 v2, v0
.LBB73_693:
	v_mov_b32_e32 v3, s0
.LBB73_694:
	s_mov_b32 s0, -1
.LBB73_695:
	s_delay_alu instid0(SALU_CYCLE_1)
	s_and_not1_b32 vcc_lo, exec_lo, s0
	s_cbranch_vccnz .LBB73_703
; %bb.696:
	s_waitcnt vmcnt(0)
	v_cvt_f32_f16_e32 v0, v2
	v_cvt_f32_f16_e32 v1, v3
	s_getpc_b64 s[0:1]
	s_add_u32 s0, s0, _ZN16c10_complex_math3expIfEEN3c107complexIT_EERKS4_@rel32@lo+4
	s_addc_u32 s1, s1, _ZN16c10_complex_math3expIfEEN3c107complexIT_EERKS4_@rel32@hi+12
	s_delay_alu instid0(SALU_CYCLE_1) | instskip(SKIP_4) | instid1(VALU_DEP_4)
	s_swappc_b64 s[30:31], s[0:1]
	v_cvt_f16_f32_e32 v5, v1
	v_cvt_f16_f32_e32 v2, v0
	v_and_b32_e32 v3, 0xff, v18
	v_add_co_u32 v0, s0, s12, v17
	v_lshlrev_b32_e32 v4, 16, v5
	s_delay_alu instid0(VALU_DEP_4) | instskip(NEXT) | instid1(VALU_DEP_4)
	v_and_b32_e32 v6, 0xffff, v2
	v_cmp_gt_i16_e32 vcc_lo, 11, v3
	v_add_co_ci_u32_e64 v1, null, s13, 0, s0
	s_mov_b32 s1, 0
	s_delay_alu instid0(VALU_DEP_3)
	v_or_b32_e32 v4, v4, v6
	s_mov_b32 s2, -1
	s_mov_b32 s0, s45
	s_cbranch_vccnz .LBB73_704
; %bb.697:
	v_cmp_lt_i16_e32 vcc_lo, 25, v3
	s_cbranch_vccz .LBB73_745
; %bb.698:
	v_cmp_lt_i16_e32 vcc_lo, 28, v3
	s_cbranch_vccz .LBB73_746
	;; [unrolled: 3-line block ×4, first 2 shown]
; %bb.701:
	v_cmp_eq_u16_e32 vcc_lo, 46, v3
	s_mov_b32 s2, 0
	s_mov_b32 s0, -1
	s_cbranch_vccz .LBB73_749
; %bb.702:
	v_cvt_f32_f16_e32 v6, v5
	v_cvt_f32_f16_e32 v7, v2
	v_cmp_o_f16_e32 vcc_lo, v5, v5
	s_mov_b32 s1, -1
	s_mov_b32 s0, 0
	v_bfe_u32 v8, v6, 16, 1
	v_bfe_u32 v9, v7, 16, 1
	s_delay_alu instid0(VALU_DEP_2) | instskip(NEXT) | instid1(VALU_DEP_2)
	v_add3_u32 v6, v6, v8, 0x7fff
	v_add3_u32 v7, v7, v9, 0x7fff
	s_delay_alu instid0(VALU_DEP_2) | instskip(NEXT) | instid1(VALU_DEP_2)
	v_and_b32_e32 v6, 0xffff0000, v6
	v_lshrrev_b32_e32 v7, 16, v7
	s_delay_alu instid0(VALU_DEP_2) | instskip(SKIP_1) | instid1(VALU_DEP_3)
	v_cndmask_b32_e32 v6, 0x7fc00000, v6, vcc_lo
	v_cmp_o_f16_e32 vcc_lo, v2, v2
	v_cndmask_b32_e32 v7, 0x7fc0, v7, vcc_lo
	s_delay_alu instid0(VALU_DEP_1)
	v_or_b32_e32 v6, v6, v7
	global_store_b32 v[0:1], v6, off
	s_branch .LBB73_749
.LBB73_703:
	s_mov_b32 s1, 0
	s_mov_b32 s0, s45
	s_branch .LBB73_744
.LBB73_704:
	s_and_b32 vcc_lo, exec_lo, s2
	s_cbranch_vccz .LBB73_818
; %bb.705:
	v_cmp_gt_i16_e32 vcc_lo, 5, v3
	s_mov_b32 s1, -1
	s_cbranch_vccnz .LBB73_726
; %bb.706:
	v_cmp_gt_i16_e32 vcc_lo, 8, v3
	s_cbranch_vccnz .LBB73_716
; %bb.707:
	v_cmp_gt_i16_e32 vcc_lo, 9, v3
	s_cbranch_vccnz .LBB73_713
; %bb.708:
	v_cmp_lt_i16_e32 vcc_lo, 9, v3
	s_cbranch_vccz .LBB73_710
; %bb.709:
	v_cvt_f32_f16_e32 v6, v2
	v_cvt_f32_f16_e32 v8, v5
	s_mov_b32 s1, 0
	s_delay_alu instid0(VALU_DEP_2) | instskip(NEXT) | instid1(VALU_DEP_2)
	v_cvt_f64_f32_e32 v[6:7], v6
	v_cvt_f64_f32_e32 v[8:9], v8
	global_store_b128 v[0:1], v[6:9], off
.LBB73_710:
	s_and_not1_b32 vcc_lo, exec_lo, s1
	s_cbranch_vccnz .LBB73_712
; %bb.711:
	v_cvt_f32_f16_e32 v6, v2
	v_cvt_f32_f16_e32 v7, v5
	global_store_b64 v[0:1], v[6:7], off
.LBB73_712:
	s_mov_b32 s1, 0
.LBB73_713:
	s_delay_alu instid0(SALU_CYCLE_1)
	s_and_not1_b32 vcc_lo, exec_lo, s1
	s_cbranch_vccnz .LBB73_715
; %bb.714:
	global_store_b32 v[0:1], v4, off
.LBB73_715:
	s_mov_b32 s1, 0
.LBB73_716:
	s_delay_alu instid0(SALU_CYCLE_1)
	s_and_not1_b32 vcc_lo, exec_lo, s1
	s_cbranch_vccnz .LBB73_725
; %bb.717:
	v_cmp_gt_i16_e32 vcc_lo, 6, v3
	s_mov_b32 s1, -1
	s_cbranch_vccnz .LBB73_723
; %bb.718:
	v_cmp_lt_i16_e32 vcc_lo, 6, v3
	s_cbranch_vccz .LBB73_720
; %bb.719:
	v_cvt_f32_f16_e32 v4, v2
	s_mov_b32 s1, 0
	s_delay_alu instid0(VALU_DEP_1)
	v_cvt_f64_f32_e32 v[4:5], v4
	global_store_b64 v[0:1], v[4:5], off
.LBB73_720:
	s_and_not1_b32 vcc_lo, exec_lo, s1
	s_cbranch_vccnz .LBB73_722
; %bb.721:
	v_cvt_f32_f16_e32 v4, v2
	global_store_b32 v[0:1], v4, off
.LBB73_722:
	s_mov_b32 s1, 0
.LBB73_723:
	s_delay_alu instid0(SALU_CYCLE_1)
	s_and_not1_b32 vcc_lo, exec_lo, s1
	s_cbranch_vccnz .LBB73_725
; %bb.724:
	global_store_b16 v[0:1], v2, off
.LBB73_725:
	s_mov_b32 s1, 0
.LBB73_726:
	s_delay_alu instid0(SALU_CYCLE_1)
	s_and_not1_b32 vcc_lo, exec_lo, s1
	s_cbranch_vccnz .LBB73_742
; %bb.727:
	v_cmp_gt_i16_e32 vcc_lo, 2, v3
	s_mov_b32 s1, -1
	s_cbranch_vccnz .LBB73_737
; %bb.728:
	v_cmp_gt_i16_e32 vcc_lo, 3, v3
	s_cbranch_vccnz .LBB73_734
; %bb.729:
	v_cmp_lt_i16_e32 vcc_lo, 3, v3
	s_cbranch_vccz .LBB73_731
; %bb.730:
	v_cvt_f32_f16_e32 v4, v2
	s_mov_b32 s1, 0
	s_delay_alu instid0(VALU_DEP_1) | instskip(NEXT) | instid1(VALU_DEP_1)
	v_cvt_i32_f32_e32 v4, v4
	v_ashrrev_i32_e32 v5, 31, v4
	global_store_b64 v[0:1], v[4:5], off
.LBB73_731:
	s_and_not1_b32 vcc_lo, exec_lo, s1
	s_cbranch_vccnz .LBB73_733
; %bb.732:
	v_cvt_f32_f16_e32 v4, v2
	s_delay_alu instid0(VALU_DEP_1)
	v_cvt_i32_f32_e32 v4, v4
	global_store_b32 v[0:1], v4, off
.LBB73_733:
	s_mov_b32 s1, 0
.LBB73_734:
	s_delay_alu instid0(SALU_CYCLE_1)
	s_and_not1_b32 vcc_lo, exec_lo, s1
	s_cbranch_vccnz .LBB73_736
; %bb.735:
	v_cvt_i16_f16_e32 v4, v2
	global_store_b16 v[0:1], v4, off
.LBB73_736:
	s_mov_b32 s1, 0
.LBB73_737:
	s_delay_alu instid0(SALU_CYCLE_1)
	s_and_not1_b32 vcc_lo, exec_lo, s1
	s_cbranch_vccnz .LBB73_742
; %bb.738:
	v_cmp_lt_i16_e32 vcc_lo, 0, v3
	s_mov_b32 s1, -1
	s_cbranch_vccz .LBB73_740
; %bb.739:
	v_cvt_i16_f16_e32 v3, v2
	s_mov_b32 s1, 0
	global_store_b8 v[0:1], v3, off
.LBB73_740:
	s_and_not1_b32 vcc_lo, exec_lo, s1
	s_cbranch_vccnz .LBB73_742
; %bb.741:
	v_cvt_f32_f16_e32 v2, v2
	s_delay_alu instid0(VALU_DEP_1)
	v_cvt_i32_f32_e32 v2, v2
	global_store_b8 v[0:1], v2, off
.LBB73_742:
	s_branch .LBB73_819
.LBB73_743:
	s_mov_b32 s1, 0
.LBB73_744:
                                        ; implicit-def: $vgpr21
	s_branch .LBB73_820
.LBB73_745:
	s_mov_b32 s0, s45
	s_branch .LBB73_776
.LBB73_746:
	s_mov_b32 s0, s45
	s_branch .LBB73_759
.LBB73_747:
	s_mov_b32 s0, s45
	s_branch .LBB73_755
.LBB73_748:
	s_mov_b32 s0, s45
.LBB73_749:
	s_and_b32 vcc_lo, exec_lo, s2
	s_cbranch_vccz .LBB73_754
; %bb.750:
	v_cmp_eq_u16_e32 vcc_lo, 44, v3
	s_mov_b32 s0, -1
	s_cbranch_vccz .LBB73_754
; %bb.751:
	v_cvt_f32_f16_e32 v6, v2
	v_mov_b32_e32 v7, 0xff
	s_mov_b32 s1, exec_lo
	s_delay_alu instid0(VALU_DEP_2) | instskip(NEXT) | instid1(VALU_DEP_1)
	v_bfe_u32 v8, v6, 23, 8
	v_cmpx_ne_u32_e32 0xff, v8
; %bb.752:
	v_and_b32_e32 v7, 0x400000, v6
	v_and_or_b32 v8, 0x3fffff, v6, v8
	v_lshrrev_b32_e32 v6, 23, v6
	s_delay_alu instid0(VALU_DEP_3) | instskip(NEXT) | instid1(VALU_DEP_3)
	v_cmp_ne_u32_e32 vcc_lo, 0, v7
	v_cmp_ne_u32_e64 s0, 0, v8
	s_delay_alu instid0(VALU_DEP_1) | instskip(NEXT) | instid1(SALU_CYCLE_1)
	s_and_b32 s0, vcc_lo, s0
	v_cndmask_b32_e64 v7, 0, 1, s0
	s_delay_alu instid0(VALU_DEP_1)
	v_add_nc_u32_e32 v7, v6, v7
; %bb.753:
	s_or_b32 exec_lo, exec_lo, s1
	s_mov_b32 s1, -1
	s_mov_b32 s0, 0
	global_store_b8 v[0:1], v7, off
.LBB73_754:
	s_mov_b32 s2, 0
.LBB73_755:
	s_delay_alu instid0(SALU_CYCLE_1)
	s_and_b32 vcc_lo, exec_lo, s2
	s_cbranch_vccz .LBB73_758
; %bb.756:
	v_cmp_eq_u16_e32 vcc_lo, 29, v3
	s_mov_b32 s0, -1
	s_cbranch_vccz .LBB73_758
; %bb.757:
	v_cvt_f32_f16_e32 v6, v2
	v_mov_b32_e32 v7, 0
	s_mov_b32 s0, 0
	s_mov_b32 s1, -1
	s_mov_b32 s2, 0
	v_cvt_u32_f32_e32 v6, v6
	global_store_b64 v[0:1], v[6:7], off
	s_branch .LBB73_759
.LBB73_758:
	s_mov_b32 s2, 0
.LBB73_759:
	s_delay_alu instid0(SALU_CYCLE_1)
	s_and_b32 vcc_lo, exec_lo, s2
	s_cbranch_vccz .LBB73_775
; %bb.760:
	v_cmp_gt_i16_e32 vcc_lo, 27, v3
	s_mov_b32 s1, -1
	s_cbranch_vccnz .LBB73_766
; %bb.761:
	v_cmp_lt_i16_e32 vcc_lo, 27, v3
	s_cbranch_vccz .LBB73_763
; %bb.762:
	v_cvt_f32_f16_e32 v6, v2
	s_mov_b32 s1, 0
	s_delay_alu instid0(VALU_DEP_1)
	v_cvt_u32_f32_e32 v6, v6
	global_store_b32 v[0:1], v6, off
.LBB73_763:
	s_and_not1_b32 vcc_lo, exec_lo, s1
	s_cbranch_vccnz .LBB73_765
; %bb.764:
	v_cvt_u16_f16_e32 v6, v2
	global_store_b16 v[0:1], v6, off
.LBB73_765:
	s_mov_b32 s1, 0
.LBB73_766:
	s_delay_alu instid0(SALU_CYCLE_1)
	s_and_not1_b32 vcc_lo, exec_lo, s1
	s_cbranch_vccnz .LBB73_774
; %bb.767:
	v_cvt_f32_f16_e32 v6, v2
	v_mov_b32_e32 v8, 0x80
	s_mov_b32 s1, exec_lo
	s_delay_alu instid0(VALU_DEP_2) | instskip(NEXT) | instid1(VALU_DEP_1)
	v_and_b32_e32 v7, 0x7fffffff, v6
	v_cmpx_gt_u32_e32 0x43800000, v7
	s_cbranch_execz .LBB73_773
; %bb.768:
	v_cmp_lt_u32_e32 vcc_lo, 0x3bffffff, v7
	s_mov_b32 s2, 0
                                        ; implicit-def: $vgpr7
	s_and_saveexec_b32 s3, vcc_lo
	s_delay_alu instid0(SALU_CYCLE_1)
	s_xor_b32 s3, exec_lo, s3
	s_cbranch_execz .LBB73_847
; %bb.769:
	v_bfe_u32 v7, v6, 20, 1
	s_mov_b32 s2, exec_lo
	s_delay_alu instid0(VALU_DEP_1) | instskip(NEXT) | instid1(VALU_DEP_1)
	v_add3_u32 v7, v6, v7, 0x487ffff
	v_lshrrev_b32_e32 v7, 20, v7
	s_or_saveexec_b32 s3, s3
                                        ; implicit-def: $sgpr4
	s_delay_alu instid0(SALU_CYCLE_1)
	s_xor_b32 exec_lo, exec_lo, s3
	s_cbranch_execnz .LBB73_848
.LBB73_770:
	s_or_b32 exec_lo, exec_lo, s3
	v_mov_b32_e32 v8, s4
	s_and_saveexec_b32 s3, s2
.LBB73_771:
	v_lshrrev_b32_e32 v6, 24, v6
	s_delay_alu instid0(VALU_DEP_1)
	v_and_or_b32 v8, 0x80, v6, v7
.LBB73_772:
	s_or_b32 exec_lo, exec_lo, s3
.LBB73_773:
	s_delay_alu instid0(SALU_CYCLE_1)
	s_or_b32 exec_lo, exec_lo, s1
	global_store_b8 v[0:1], v8, off
.LBB73_774:
	s_mov_b32 s1, -1
.LBB73_775:
	s_mov_b32 s2, 0
.LBB73_776:
	s_delay_alu instid0(SALU_CYCLE_1)
	s_and_b32 vcc_lo, exec_lo, s2
	s_cbranch_vccz .LBB73_817
; %bb.777:
	v_cmp_lt_i16_e32 vcc_lo, 22, v3
	s_mov_b32 s2, -1
	s_cbranch_vccz .LBB73_809
; %bb.778:
	v_cmp_gt_i16_e32 vcc_lo, 24, v3
	s_mov_b32 s1, -1
	s_cbranch_vccnz .LBB73_798
; %bb.779:
	v_cmp_lt_i16_e32 vcc_lo, 24, v3
	s_cbranch_vccz .LBB73_787
; %bb.780:
	v_cvt_f32_f16_e32 v6, v2
	v_mov_b32_e32 v8, 0x80
	s_mov_b32 s1, exec_lo
	s_delay_alu instid0(VALU_DEP_2) | instskip(NEXT) | instid1(VALU_DEP_1)
	v_and_b32_e32 v7, 0x7fffffff, v6
	v_cmpx_gt_u32_e32 0x47800000, v7
	s_cbranch_execz .LBB73_786
; %bb.781:
	v_cmp_lt_u32_e32 vcc_lo, 0x37ffffff, v7
	s_mov_b32 s2, 0
                                        ; implicit-def: $vgpr7
	s_and_saveexec_b32 s3, vcc_lo
	s_delay_alu instid0(SALU_CYCLE_1)
	s_xor_b32 s3, exec_lo, s3
	s_cbranch_execz .LBB73_850
; %bb.782:
	v_bfe_u32 v7, v6, 21, 1
	s_mov_b32 s2, exec_lo
	s_delay_alu instid0(VALU_DEP_1) | instskip(NEXT) | instid1(VALU_DEP_1)
	v_add3_u32 v7, v6, v7, 0x88fffff
	v_lshrrev_b32_e32 v7, 21, v7
	s_or_saveexec_b32 s3, s3
                                        ; implicit-def: $sgpr4
	s_delay_alu instid0(SALU_CYCLE_1)
	s_xor_b32 exec_lo, exec_lo, s3
	s_cbranch_execnz .LBB73_851
.LBB73_783:
	s_or_b32 exec_lo, exec_lo, s3
	v_mov_b32_e32 v8, s4
	s_and_saveexec_b32 s3, s2
.LBB73_784:
	v_lshrrev_b32_e32 v6, 24, v6
	s_delay_alu instid0(VALU_DEP_1)
	v_and_or_b32 v8, 0x80, v6, v7
.LBB73_785:
	s_or_b32 exec_lo, exec_lo, s3
.LBB73_786:
	s_delay_alu instid0(SALU_CYCLE_1)
	s_or_b32 exec_lo, exec_lo, s1
	s_mov_b32 s1, 0
	global_store_b8 v[0:1], v8, off
.LBB73_787:
	s_and_b32 vcc_lo, exec_lo, s1
	s_cbranch_vccz .LBB73_797
; %bb.788:
	v_cvt_f32_f16_e32 v6, v2
	s_mov_b32 s1, exec_lo
                                        ; implicit-def: $vgpr7
	s_delay_alu instid0(VALU_DEP_1) | instskip(NEXT) | instid1(VALU_DEP_1)
	v_and_b32_e32 v8, 0x7fffffff, v6
	v_cmpx_gt_u32_e32 0x43f00000, v8
	s_xor_b32 s1, exec_lo, s1
	s_cbranch_execz .LBB73_794
; %bb.789:
	s_mov_b32 s2, exec_lo
                                        ; implicit-def: $vgpr7
	v_cmpx_lt_u32_e32 0x3c7fffff, v8
	s_xor_b32 s2, exec_lo, s2
; %bb.790:
	v_bfe_u32 v7, v6, 20, 1
	s_delay_alu instid0(VALU_DEP_1) | instskip(NEXT) | instid1(VALU_DEP_1)
	v_add3_u32 v7, v6, v7, 0x407ffff
	v_and_b32_e32 v8, 0xff00000, v7
	v_lshrrev_b32_e32 v7, 20, v7
	s_delay_alu instid0(VALU_DEP_2) | instskip(NEXT) | instid1(VALU_DEP_2)
	v_cmp_ne_u32_e32 vcc_lo, 0x7f00000, v8
	v_cndmask_b32_e32 v7, 0x7e, v7, vcc_lo
; %bb.791:
	s_and_not1_saveexec_b32 s2, s2
; %bb.792:
	v_add_f32_e64 v7, 0x46800000, |v6|
; %bb.793:
	s_or_b32 exec_lo, exec_lo, s2
                                        ; implicit-def: $vgpr8
.LBB73_794:
	s_and_not1_saveexec_b32 s1, s1
; %bb.795:
	v_mov_b32_e32 v7, 0x7f
	v_cmp_lt_u32_e32 vcc_lo, 0x7f800000, v8
	s_delay_alu instid0(VALU_DEP_2)
	v_cndmask_b32_e32 v7, 0x7e, v7, vcc_lo
; %bb.796:
	s_or_b32 exec_lo, exec_lo, s1
	v_lshrrev_b32_e32 v6, 24, v6
	s_delay_alu instid0(VALU_DEP_1)
	v_and_or_b32 v6, 0x80, v6, v7
	global_store_b8 v[0:1], v6, off
.LBB73_797:
	s_mov_b32 s1, 0
.LBB73_798:
	s_delay_alu instid0(SALU_CYCLE_1)
	s_and_not1_b32 vcc_lo, exec_lo, s1
	s_cbranch_vccnz .LBB73_808
; %bb.799:
	v_cvt_f32_f16_e32 v6, v2
	s_mov_b32 s1, exec_lo
                                        ; implicit-def: $vgpr7
	s_delay_alu instid0(VALU_DEP_1) | instskip(NEXT) | instid1(VALU_DEP_1)
	v_and_b32_e32 v8, 0x7fffffff, v6
	v_cmpx_gt_u32_e32 0x47800000, v8
	s_xor_b32 s1, exec_lo, s1
	s_cbranch_execz .LBB73_805
; %bb.800:
	s_mov_b32 s2, exec_lo
                                        ; implicit-def: $vgpr7
	v_cmpx_lt_u32_e32 0x387fffff, v8
	s_xor_b32 s2, exec_lo, s2
; %bb.801:
	v_bfe_u32 v7, v6, 21, 1
	s_delay_alu instid0(VALU_DEP_1) | instskip(NEXT) | instid1(VALU_DEP_1)
	v_add3_u32 v7, v6, v7, 0x80fffff
	v_lshrrev_b32_e32 v7, 21, v7
; %bb.802:
	s_and_not1_saveexec_b32 s2, s2
; %bb.803:
	v_add_f32_e64 v7, 0x43000000, |v6|
; %bb.804:
	s_or_b32 exec_lo, exec_lo, s2
                                        ; implicit-def: $vgpr8
.LBB73_805:
	s_and_not1_saveexec_b32 s1, s1
; %bb.806:
	v_mov_b32_e32 v7, 0x7f
	v_cmp_lt_u32_e32 vcc_lo, 0x7f800000, v8
	s_delay_alu instid0(VALU_DEP_2)
	v_cndmask_b32_e32 v7, 0x7c, v7, vcc_lo
; %bb.807:
	s_or_b32 exec_lo, exec_lo, s1
	v_lshrrev_b32_e32 v6, 24, v6
	s_delay_alu instid0(VALU_DEP_1)
	v_and_or_b32 v6, 0x80, v6, v7
	global_store_b8 v[0:1], v6, off
.LBB73_808:
	s_mov_b32 s2, 0
	s_mov_b32 s1, -1
.LBB73_809:
	s_and_not1_b32 vcc_lo, exec_lo, s2
	s_cbranch_vccnz .LBB73_817
; %bb.810:
	v_cmp_lt_i16_e32 vcc_lo, 14, v3
	s_mov_b32 s2, -1
	s_cbranch_vccz .LBB73_814
; %bb.811:
	v_cmp_eq_u16_e32 vcc_lo, 15, v3
	s_mov_b32 s0, -1
	s_cbranch_vccz .LBB73_813
; %bb.812:
	v_cvt_f32_f16_e32 v6, v2
	v_cmp_o_f16_e32 vcc_lo, v2, v2
	s_mov_b32 s1, -1
	s_mov_b32 s0, 0
	s_delay_alu instid0(VALU_DEP_2) | instskip(NEXT) | instid1(VALU_DEP_1)
	v_bfe_u32 v7, v6, 16, 1
	v_add3_u32 v6, v6, v7, 0x7fff
	s_delay_alu instid0(VALU_DEP_1) | instskip(NEXT) | instid1(VALU_DEP_1)
	v_lshrrev_b32_e32 v6, 16, v6
	v_cndmask_b32_e32 v6, 0x7fc0, v6, vcc_lo
	global_store_b16 v[0:1], v6, off
.LBB73_813:
	s_mov_b32 s2, 0
.LBB73_814:
	s_delay_alu instid0(SALU_CYCLE_1)
	s_and_b32 vcc_lo, exec_lo, s2
	s_cbranch_vccz .LBB73_817
; %bb.815:
	v_cmp_eq_u16_e32 vcc_lo, 11, v3
	s_mov_b32 s0, -1
	s_cbranch_vccz .LBB73_817
; %bb.816:
	v_and_b32_e32 v6, 0x7fff7fff, v4
	s_mov_b32 s0, 0
	s_mov_b32 s1, -1
	s_delay_alu instid0(VALU_DEP_1)
	v_cmp_ne_u32_e32 vcc_lo, 0, v6
	v_cndmask_b32_e64 v6, 0, 1, vcc_lo
	global_store_b8 v[0:1], v6, off
.LBB73_817:
.LBB73_818:
	s_and_not1_b32 vcc_lo, exec_lo, s1
	s_cbranch_vccnz .LBB73_743
.LBB73_819:
	v_add_nc_u32_e32 v21, 0x80, v21
	s_mov_b32 s1, -1
.LBB73_820:
	s_and_not1_b32 s2, s45, exec_lo
	s_and_b32 s0, s0, exec_lo
	s_and_not1_b32 s3, s44, exec_lo
	s_and_b32 s4, s48, exec_lo
	s_or_b32 s5, s2, s0
	s_or_b32 s4, s3, s4
	s_or_not1_b32 s3, s1, exec_lo
.LBB73_821:
	s_or_b32 exec_lo, exec_lo, s47
	s_mov_b32 s0, 0
	s_mov_b32 s1, 0
	;; [unrolled: 1-line block ×3, first 2 shown]
                                        ; implicit-def: $vgpr0_vgpr1
                                        ; implicit-def: $vgpr17
                                        ; implicit-def: $vgpr6
                                        ; implicit-def: $vgpr4
	s_and_saveexec_b32 s6, s3
	s_cbranch_execz .LBB73_922
; %bb.822:
	s_mov_b32 s8, s4
	s_mov_b32 s3, 0
	s_mov_b32 s7, exec_lo
                                        ; implicit-def: $vgpr0_vgpr1
                                        ; implicit-def: $vgpr17
                                        ; implicit-def: $vgpr6
                                        ; implicit-def: $vgpr4
	v_cmpx_gt_i32_e64 s38, v21
	s_cbranch_execz .LBB73_921
; %bb.823:
	s_and_not1_b32 vcc_lo, exec_lo, s35
	s_cbranch_vccnz .LBB73_828
; %bb.824:
	v_dual_mov_b32 v17, 0 :: v_dual_mov_b32 v0, 0
	s_and_not1_b32 vcc_lo, exec_lo, s40
	s_mov_b32 s8, 0
	s_cbranch_vccnz .LBB73_833
; %bb.825:
	v_mov_b32_e32 v17, 0
	s_add_i32 s39, s39, 1
	s_cmp_eq_u32 s33, 2
	s_cbranch_scc1 .LBB73_829
; %bb.826:
	v_dual_mov_b32 v0, 0 :: v_dual_mov_b32 v17, 0
	v_mov_b32_e32 v1, v21
	s_and_b32 s2, s39, 28
	s_mov_b64 s[0:1], s[24:25]
.LBB73_827:                             ; =>This Inner Loop Header: Depth=1
	s_clause 0x1
	s_load_b256 s[48:55], s[0:1], 0x4
	s_load_b128 s[64:67], s[0:1], 0x24
	s_load_b256 s[56:63], s[28:29], 0x0
	s_add_u32 s0, s0, 48
	s_addc_u32 s1, s1, 0
	s_add_i32 s3, s3, 4
	s_add_u32 s28, s28, 32
	s_addc_u32 s29, s29, 0
	s_cmp_eq_u32 s2, s3
	s_waitcnt vmcnt(0) lgkmcnt(0)
	v_mul_hi_u32 v2, s49, v1
	s_delay_alu instid0(VALU_DEP_1) | instskip(NEXT) | instid1(VALU_DEP_1)
	v_add_nc_u32_e32 v2, v1, v2
	v_lshrrev_b32_e32 v2, s50, v2
	s_delay_alu instid0(VALU_DEP_1) | instskip(SKIP_1) | instid1(VALU_DEP_2)
	v_mul_hi_u32 v3, s52, v2
	v_mul_lo_u32 v5, v2, s48
	v_add_nc_u32_e32 v3, v2, v3
	s_delay_alu instid0(VALU_DEP_2) | instskip(NEXT) | instid1(VALU_DEP_2)
	v_sub_nc_u32_e32 v1, v1, v5
	v_lshrrev_b32_e32 v3, s53, v3
	s_delay_alu instid0(VALU_DEP_2) | instskip(SKIP_1) | instid1(VALU_DEP_3)
	v_mul_lo_u32 v5, v1, s56
	v_mul_lo_u32 v7, v1, s57
	v_mul_hi_u32 v4, s55, v3
	s_delay_alu instid0(VALU_DEP_1) | instskip(NEXT) | instid1(VALU_DEP_1)
	v_add_nc_u32_e32 v4, v3, v4
	v_lshrrev_b32_e32 v4, s64, v4
	s_delay_alu instid0(VALU_DEP_1) | instskip(SKIP_1) | instid1(VALU_DEP_2)
	v_mul_hi_u32 v6, s66, v4
	v_mul_lo_u32 v8, v4, s54
	v_add_nc_u32_e32 v1, v4, v6
	v_mul_lo_u32 v6, v3, s51
	s_delay_alu instid0(VALU_DEP_3) | instskip(NEXT) | instid1(VALU_DEP_3)
	v_sub_nc_u32_e32 v3, v3, v8
	v_lshrrev_b32_e32 v1, s67, v1
	s_delay_alu instid0(VALU_DEP_2) | instskip(SKIP_2) | instid1(VALU_DEP_4)
	v_mul_lo_u32 v8, v3, s60
	v_mul_lo_u32 v3, v3, s61
	v_sub_nc_u32_e32 v2, v2, v6
	v_mul_lo_u32 v9, v1, s65
	s_delay_alu instid0(VALU_DEP_2) | instskip(SKIP_1) | instid1(VALU_DEP_3)
	v_mul_lo_u32 v6, v2, s58
	v_mul_lo_u32 v2, v2, s59
	v_sub_nc_u32_e32 v4, v4, v9
	s_delay_alu instid0(VALU_DEP_3) | instskip(NEXT) | instid1(VALU_DEP_2)
	v_add3_u32 v5, v5, v17, v6
	v_mul_lo_u32 v9, v4, s62
	v_mul_lo_u32 v4, v4, s63
	v_add3_u32 v0, v7, v0, v2
	s_delay_alu instid0(VALU_DEP_3) | instskip(NEXT) | instid1(VALU_DEP_2)
	v_add3_u32 v17, v8, v5, v9
	v_add3_u32 v0, v3, v0, v4
	s_cbranch_scc0 .LBB73_827
	s_branch .LBB73_830
.LBB73_828:
	s_mov_b32 s8, -1
                                        ; implicit-def: $vgpr17
                                        ; implicit-def: $vgpr0
	s_branch .LBB73_833
.LBB73_829:
	v_dual_mov_b32 v1, v21 :: v_dual_mov_b32 v0, 0
.LBB73_830:
	s_and_b32 s28, s39, 3
	s_delay_alu instid0(SALU_CYCLE_1)
	s_cmp_eq_u32 s28, 0
	s_cbranch_scc1 .LBB73_833
; %bb.831:
	s_lshl_b32 s0, s2, 3
	s_mul_i32 s2, s2, 12
	s_add_u32 s0, s0, s24
	s_addc_u32 s1, s25, 0
	s_add_u32 s0, s0, 0xc4
	s_addc_u32 s1, s1, 0
	;; [unrolled: 2-line block ×3, first 2 shown]
.LBB73_832:                             ; =>This Inner Loop Header: Depth=1
	s_clause 0x1
	s_load_b64 s[30:31], s[2:3], 0x4
	s_load_b32 s29, s[2:3], 0xc
	s_load_b64 s[38:39], s[0:1], 0x0
	s_add_u32 s2, s2, 12
	s_addc_u32 s3, s3, 0
	s_add_u32 s0, s0, 8
	s_addc_u32 s1, s1, 0
	s_add_i32 s28, s28, -1
	s_delay_alu instid0(SALU_CYCLE_1) | instskip(SKIP_2) | instid1(VALU_DEP_1)
	s_cmp_lg_u32 s28, 0
	s_waitcnt vmcnt(0) lgkmcnt(0)
	v_mul_hi_u32 v2, s31, v1
	v_add_nc_u32_e32 v2, v1, v2
	s_delay_alu instid0(VALU_DEP_1) | instskip(NEXT) | instid1(VALU_DEP_1)
	v_lshrrev_b32_e32 v5, s29, v2
	v_mul_lo_u32 v2, v5, s30
	s_delay_alu instid0(VALU_DEP_1) | instskip(NEXT) | instid1(VALU_DEP_1)
	v_sub_nc_u32_e32 v1, v1, v2
	v_mad_u64_u32 v[2:3], null, v1, s38, v[17:18]
	v_mad_u64_u32 v[3:4], null, v1, s39, v[0:1]
	v_mov_b32_e32 v1, v5
	s_delay_alu instid0(VALU_DEP_2)
	v_dual_mov_b32 v17, v2 :: v_dual_mov_b32 v0, v3
	s_cbranch_scc1 .LBB73_832
.LBB73_833:
	s_and_not1_b32 vcc_lo, exec_lo, s8
	s_cbranch_vccnz .LBB73_836
; %bb.834:
	s_waitcnt lgkmcnt(0)
	v_mul_hi_u32 v0, s21, v21
	s_and_not1_b32 vcc_lo, exec_lo, s37
	s_delay_alu instid0(VALU_DEP_1) | instskip(NEXT) | instid1(VALU_DEP_1)
	v_add_nc_u32_e32 v0, v21, v0
	v_lshrrev_b32_e32 v1, s22, v0
	s_delay_alu instid0(VALU_DEP_1) | instskip(NEXT) | instid1(VALU_DEP_1)
	v_mul_lo_u32 v0, v1, s20
	v_sub_nc_u32_e32 v0, v21, v0
	s_delay_alu instid0(VALU_DEP_1)
	v_mul_lo_u32 v17, v0, s16
	v_mul_lo_u32 v0, v0, s17
	s_cbranch_vccnz .LBB73_836
; %bb.835:
	s_waitcnt vmcnt(0)
	v_mul_hi_u32 v2, s26, v1
	s_delay_alu instid0(VALU_DEP_1) | instskip(NEXT) | instid1(VALU_DEP_1)
	v_add_nc_u32_e32 v2, v1, v2
	v_lshrrev_b32_e32 v2, s27, v2
	s_delay_alu instid0(VALU_DEP_1) | instskip(NEXT) | instid1(VALU_DEP_1)
	v_mul_lo_u32 v2, v2, s23
	v_sub_nc_u32_e32 v4, v1, v2
	s_delay_alu instid0(VALU_DEP_1) | instskip(NEXT) | instid1(VALU_DEP_1)
	v_mad_u64_u32 v[1:2], null, v4, s18, v[17:18]
	v_mad_u64_u32 v[2:3], null, v4, s19, v[0:1]
	s_delay_alu instid0(VALU_DEP_1)
	v_dual_mov_b32 v17, v1 :: v_dual_mov_b32 v0, v2
.LBB73_836:
	v_cmp_gt_i16_e32 vcc_lo, 11, v19
	s_waitcnt lgkmcnt(0)
	s_delay_alu instid0(VALU_DEP_2) | instskip(NEXT) | instid1(VALU_DEP_1)
	v_add_co_u32 v0, s0, s14, v0
	v_add_co_ci_u32_e64 v1, null, s15, 0, s0
	s_mov_b32 s2, 0
	s_cbranch_vccnz .LBB73_843
; %bb.837:
	v_cmp_lt_i16_e32 vcc_lo, 25, v19
	s_mov_b32 s1, 0
	s_cbranch_vccz .LBB73_844
; %bb.838:
	v_cmp_lt_i16_e32 vcc_lo, 28, v19
	s_cbranch_vccz .LBB73_845
; %bb.839:
	v_cmp_lt_i16_e32 vcc_lo, 43, v19
	;; [unrolled: 3-line block ×3, first 2 shown]
	s_cbranch_vccz .LBB73_849
; %bb.841:
	v_cmp_eq_u16_e32 vcc_lo, 46, v19
	s_mov_b32 s3, 0
	s_cbranch_vccz .LBB73_852
; %bb.842:
	global_load_b32 v2, v[0:1], off
	s_mov_b32 s0, 0
	s_mov_b32 s2, -1
	s_waitcnt vmcnt(0)
	v_lshlrev_b32_e32 v3, 16, v2
	v_and_b32_e32 v2, 0xffff0000, v2
	s_delay_alu instid0(VALU_DEP_2) | instskip(NEXT) | instid1(VALU_DEP_2)
	v_cvt_f16_f32_e32 v4, v3
	v_cvt_f16_f32_e32 v6, v2
	s_branch .LBB73_854
.LBB73_843:
	s_mov_b32 s3, -1
	s_mov_b32 s1, 0
	s_mov_b32 s0, s4
                                        ; implicit-def: $vgpr6
                                        ; implicit-def: $vgpr4
	s_branch .LBB73_920
.LBB73_844:
	s_mov_b32 s3, -1
	s_mov_b32 s0, s4
                                        ; implicit-def: $vgpr6
                                        ; implicit-def: $vgpr4
	s_branch .LBB73_887
.LBB73_845:
	s_mov_b32 s3, -1
	s_mov_b32 s0, s4
                                        ; implicit-def: $vgpr6
                                        ; implicit-def: $vgpr4
	s_branch .LBB73_866
.LBB73_846:
	s_mov_b32 s3, -1
	s_mov_b32 s0, s4
                                        ; implicit-def: $vgpr6
                                        ; implicit-def: $vgpr4
	s_branch .LBB73_860
.LBB73_847:
	s_or_saveexec_b32 s3, s3
                                        ; implicit-def: $sgpr4
	s_delay_alu instid0(SALU_CYCLE_1)
	s_xor_b32 exec_lo, exec_lo, s3
	s_cbranch_execz .LBB73_770
.LBB73_848:
	v_add_f32_e64 v7, 0x46000000, |v6|
	s_and_not1_b32 s2, s2, exec_lo
	s_mov_b32 s4, 0
	s_delay_alu instid0(VALU_DEP_1) | instskip(NEXT) | instid1(VALU_DEP_1)
	v_and_b32_e32 v7, 0xff, v7
	v_cmp_ne_u32_e32 vcc_lo, 0, v7
	s_and_b32 s5, vcc_lo, exec_lo
	s_delay_alu instid0(SALU_CYCLE_1)
	s_or_b32 s2, s2, s5
	s_or_b32 exec_lo, exec_lo, s3
	v_mov_b32_e32 v8, s4
	s_and_saveexec_b32 s3, s2
	s_cbranch_execnz .LBB73_771
	s_branch .LBB73_772
.LBB73_849:
	s_mov_b32 s3, -1
	s_mov_b32 s0, s4
	s_branch .LBB73_853
.LBB73_850:
	s_or_saveexec_b32 s3, s3
                                        ; implicit-def: $sgpr4
	s_delay_alu instid0(SALU_CYCLE_1)
	s_xor_b32 exec_lo, exec_lo, s3
	s_cbranch_execz .LBB73_783
.LBB73_851:
	v_add_f32_e64 v7, 0x42800000, |v6|
	s_and_not1_b32 s2, s2, exec_lo
	s_mov_b32 s4, 0
	s_delay_alu instid0(VALU_DEP_1) | instskip(NEXT) | instid1(VALU_DEP_1)
	v_and_b32_e32 v7, 0xff, v7
	v_cmp_ne_u32_e32 vcc_lo, 0, v7
	s_and_b32 s5, vcc_lo, exec_lo
	s_delay_alu instid0(SALU_CYCLE_1)
	s_or_b32 s2, s2, s5
	s_or_b32 exec_lo, exec_lo, s3
	v_mov_b32_e32 v8, s4
	s_and_saveexec_b32 s3, s2
	s_cbranch_execnz .LBB73_784
	s_branch .LBB73_785
.LBB73_852:
	s_mov_b32 s0, -1
.LBB73_853:
                                        ; implicit-def: $vgpr6
                                        ; implicit-def: $vgpr4
.LBB73_854:
	s_and_b32 vcc_lo, exec_lo, s3
	s_cbranch_vccz .LBB73_859
; %bb.855:
	v_cmp_eq_u16_e32 vcc_lo, 44, v19
	s_cbranch_vccz .LBB73_857
; %bb.856:
	global_load_u8 v2, v[0:1], off
	s_mov_b32 s0, 0
	s_mov_b32 s2, -1
	s_waitcnt vmcnt(0)
	v_lshlrev_b32_e32 v3, 23, v2
	v_cmp_ne_u32_e32 vcc_lo, 0xff, v2
	s_delay_alu instid0(VALU_DEP_2) | instskip(NEXT) | instid1(VALU_DEP_1)
	v_cvt_f16_f32_e32 v3, v3
	v_cndmask_b32_e32 v3, 0x7e00, v3, vcc_lo
	v_cmp_ne_u32_e32 vcc_lo, 0, v2
	s_delay_alu instid0(VALU_DEP_2)
	v_cndmask_b32_e32 v4, 0, v3, vcc_lo
	s_branch .LBB73_858
.LBB73_857:
	s_mov_b32 s0, -1
                                        ; implicit-def: $vgpr4
.LBB73_858:
	s_delay_alu instid0(SALU_CYCLE_1)
	v_mov_b32_e32 v6, s0
.LBB73_859:
	s_mov_b32 s3, 0
.LBB73_860:
	s_delay_alu instid0(SALU_CYCLE_1)
	s_and_b32 vcc_lo, exec_lo, s3
	s_cbranch_vccz .LBB73_865
; %bb.861:
	v_cmp_eq_u16_e32 vcc_lo, 29, v19
	s_cbranch_vccz .LBB73_863
; %bb.862:
	global_load_b64 v[2:3], v[0:1], off
	s_mov_b32 s0, 0
	s_mov_b32 s2, -1
	s_mov_b32 s3, 0
	s_waitcnt vmcnt(0)
	v_clz_i32_u32_e32 v4, v3
	s_delay_alu instid0(VALU_DEP_1) | instskip(NEXT) | instid1(VALU_DEP_1)
	v_min_u32_e32 v4, 32, v4
	v_lshlrev_b64 v[2:3], v4, v[2:3]
	s_delay_alu instid0(VALU_DEP_1) | instskip(NEXT) | instid1(VALU_DEP_1)
	v_min_u32_e32 v2, 1, v2
	v_or_b32_e32 v2, v3, v2
	v_sub_nc_u32_e32 v3, 32, v4
	s_delay_alu instid0(VALU_DEP_2) | instskip(NEXT) | instid1(VALU_DEP_1)
	v_cvt_f32_u32_e32 v2, v2
	v_ldexp_f32 v2, v2, v3
	s_delay_alu instid0(VALU_DEP_1)
	v_cvt_f16_f32_e32 v4, v2
	s_branch .LBB73_864
.LBB73_863:
	s_mov_b32 s0, -1
                                        ; implicit-def: $sgpr3
                                        ; implicit-def: $vgpr4
.LBB73_864:
	v_mov_b32_e32 v6, s3
.LBB73_865:
	s_mov_b32 s3, 0
.LBB73_866:
	s_delay_alu instid0(SALU_CYCLE_1)
	s_and_b32 vcc_lo, exec_lo, s3
	s_cbranch_vccz .LBB73_886
; %bb.867:
	v_cmp_gt_i16_e32 vcc_lo, 27, v19
	s_cbranch_vccnz .LBB73_870
; %bb.868:
	v_cmp_lt_i16_e32 vcc_lo, 27, v19
	s_cbranch_vccz .LBB73_871
; %bb.869:
	global_load_b32 v2, v[0:1], off
	s_mov_b32 s3, 0
	s_mov_b32 s2, 0
	s_waitcnt vmcnt(0)
	v_cvt_f32_u32_e32 v2, v2
	s_delay_alu instid0(VALU_DEP_1)
	v_cvt_f16_f32_e32 v4, v2
	s_branch .LBB73_872
.LBB73_870:
	s_mov_b32 s3, -1
                                        ; implicit-def: $sgpr2
                                        ; implicit-def: $vgpr4
	s_branch .LBB73_875
.LBB73_871:
	s_mov_b32 s3, -1
                                        ; implicit-def: $sgpr2
                                        ; implicit-def: $vgpr4
.LBB73_872:
	s_delay_alu instid0(SALU_CYCLE_1)
	s_and_not1_b32 vcc_lo, exec_lo, s3
	s_cbranch_vccnz .LBB73_874
; %bb.873:
	global_load_u16 v2, v[0:1], off
	s_mov_b32 s2, 0
	s_waitcnt vmcnt(0)
	v_cvt_f16_u16_e32 v4, v2
.LBB73_874:
	s_mov_b32 s3, 0
.LBB73_875:
	v_mov_b32_e32 v6, s2
	s_and_not1_b32 vcc_lo, exec_lo, s3
	s_cbranch_vccnz .LBB73_885
; %bb.876:
	global_load_u8 v2, v[0:1], off
	s_mov_b32 s2, 0
	s_mov_b32 s14, exec_lo
                                        ; implicit-def: $sgpr8
                                        ; implicit-def: $sgpr3
	s_waitcnt vmcnt(0)
	v_cmpx_lt_i16_e32 0x7f, v2
	s_xor_b32 s14, exec_lo, s14
	s_cbranch_execz .LBB73_880
; %bb.877:
	s_mov_b32 s2, -1
	s_mov_b32 s15, exec_lo
                                        ; implicit-def: $sgpr8
                                        ; implicit-def: $sgpr3
	v_cmpx_eq_u16_e32 0x80, v2
; %bb.878:
	s_movk_i32 s3, 0x7e00
	s_mov_b32 s8, 0
	s_xor_b32 s2, exec_lo, -1
; %bb.879:
	s_or_b32 exec_lo, exec_lo, s15
	s_delay_alu instid0(SALU_CYCLE_1)
	s_and_b32 s2, s2, exec_lo
.LBB73_880:
	s_or_saveexec_b32 s14, s14
	v_mov_b32_e32 v6, s8
	v_mov_b32_e32 v4, s3
	s_xor_b32 exec_lo, exec_lo, s14
; %bb.881:
	v_cmp_ne_u16_e32 vcc_lo, 0, v2
	v_mov_b32_e32 v6, 0
	v_mov_b32_e32 v4, v2
	s_and_not1_b32 s2, s2, exec_lo
	s_and_b32 s3, vcc_lo, exec_lo
	s_delay_alu instid0(SALU_CYCLE_1)
	s_or_b32 s2, s2, s3
; %bb.882:
	s_or_b32 exec_lo, exec_lo, s14
	s_and_saveexec_b32 s3, s2
	s_cbranch_execz .LBB73_884
; %bb.883:
	v_and_b32_e32 v3, 0xffff, v2
	v_lshlrev_b32_e32 v2, 24, v2
	s_delay_alu instid0(VALU_DEP_2) | instskip(NEXT) | instid1(VALU_DEP_2)
	v_and_b32_e32 v4, 7, v3
	v_and_b32_e32 v2, 0x80000000, v2
	s_delay_alu instid0(VALU_DEP_2) | instskip(NEXT) | instid1(VALU_DEP_1)
	v_clz_i32_u32_e32 v5, v4
	v_min_u32_e32 v5, 32, v5
	s_delay_alu instid0(VALU_DEP_1) | instskip(SKIP_1) | instid1(VALU_DEP_2)
	v_subrev_nc_u32_e32 v6, 28, v5
	v_sub_nc_u32_e32 v5, 29, v5
	v_lshlrev_b32_e32 v6, v6, v3
	v_bfe_u32 v3, v3, 3, 4
	s_delay_alu instid0(VALU_DEP_2) | instskip(NEXT) | instid1(VALU_DEP_2)
	v_and_b32_e32 v6, 7, v6
	v_cmp_eq_u32_e32 vcc_lo, 0, v3
	s_delay_alu instid0(VALU_DEP_2) | instskip(SKIP_1) | instid1(VALU_DEP_2)
	v_dual_cndmask_b32 v3, v3, v5 :: v_dual_cndmask_b32 v4, v4, v6
	v_mov_b32_e32 v6, 0
	v_lshl_add_u32 v3, v3, 23, 0x3b800000
	s_delay_alu instid0(VALU_DEP_3) | instskip(NEXT) | instid1(VALU_DEP_1)
	v_lshlrev_b32_e32 v4, 20, v4
	v_or3_b32 v2, v2, v3, v4
	s_delay_alu instid0(VALU_DEP_1)
	v_cvt_f16_f32_e32 v4, v2
.LBB73_884:
	s_or_b32 exec_lo, exec_lo, s3
.LBB73_885:
	s_mov_b32 s2, -1
.LBB73_886:
	s_mov_b32 s3, 0
.LBB73_887:
	s_delay_alu instid0(SALU_CYCLE_1)
	s_and_b32 vcc_lo, exec_lo, s3
	s_cbranch_vccz .LBB73_919
; %bb.888:
	v_cmp_lt_i16_e32 vcc_lo, 22, v19
	s_cbranch_vccz .LBB73_900
; %bb.889:
	v_cmp_gt_i16_e32 vcc_lo, 24, v19
	s_cbranch_vccnz .LBB73_901
; %bb.890:
	v_cmp_lt_i16_e32 vcc_lo, 24, v19
	s_cbranch_vccz .LBB73_902
; %bb.891:
	global_load_u8 v2, v[0:1], off
	s_mov_b32 s8, exec_lo
                                        ; implicit-def: $sgpr3
                                        ; implicit-def: $sgpr2
	s_waitcnt vmcnt(0)
	v_cmpx_lt_i16_e32 0x7f, v2
	s_xor_b32 s8, exec_lo, s8
	s_cbranch_execz .LBB73_895
; %bb.892:
	s_mov_b32 s1, -1
	s_mov_b32 s14, exec_lo
                                        ; implicit-def: $sgpr3
                                        ; implicit-def: $sgpr2
	v_cmpx_eq_u16_e32 0x80, v2
; %bb.893:
	s_movk_i32 s2, 0x7e00
	s_mov_b32 s3, 0
	s_xor_b32 s1, exec_lo, -1
; %bb.894:
	s_or_b32 exec_lo, exec_lo, s14
	s_delay_alu instid0(SALU_CYCLE_1)
	s_and_b32 s1, s1, exec_lo
.LBB73_895:
	s_or_saveexec_b32 s8, s8
	v_mov_b32_e32 v6, s3
	v_mov_b32_e32 v4, s2
	s_xor_b32 exec_lo, exec_lo, s8
; %bb.896:
	v_cmp_ne_u16_e32 vcc_lo, 0, v2
	v_mov_b32_e32 v6, 0
	v_mov_b32_e32 v4, v2
	s_and_not1_b32 s1, s1, exec_lo
	s_and_b32 s2, vcc_lo, exec_lo
	s_delay_alu instid0(SALU_CYCLE_1)
	s_or_b32 s1, s1, s2
; %bb.897:
	s_or_b32 exec_lo, exec_lo, s8
	s_and_saveexec_b32 s2, s1
	s_cbranch_execz .LBB73_899
; %bb.898:
	v_and_b32_e32 v3, 0xffff, v2
	v_lshlrev_b32_e32 v2, 24, v2
	s_delay_alu instid0(VALU_DEP_2) | instskip(NEXT) | instid1(VALU_DEP_2)
	v_and_b32_e32 v4, 3, v3
	v_and_b32_e32 v2, 0x80000000, v2
	s_delay_alu instid0(VALU_DEP_2) | instskip(NEXT) | instid1(VALU_DEP_1)
	v_clz_i32_u32_e32 v5, v4
	v_min_u32_e32 v5, 32, v5
	s_delay_alu instid0(VALU_DEP_1) | instskip(SKIP_1) | instid1(VALU_DEP_2)
	v_subrev_nc_u32_e32 v6, 29, v5
	v_sub_nc_u32_e32 v5, 30, v5
	v_lshlrev_b32_e32 v6, v6, v3
	v_bfe_u32 v3, v3, 2, 5
	s_delay_alu instid0(VALU_DEP_2) | instskip(NEXT) | instid1(VALU_DEP_2)
	v_and_b32_e32 v6, 3, v6
	v_cmp_eq_u32_e32 vcc_lo, 0, v3
	s_delay_alu instid0(VALU_DEP_2) | instskip(SKIP_1) | instid1(VALU_DEP_2)
	v_dual_cndmask_b32 v3, v3, v5 :: v_dual_cndmask_b32 v4, v4, v6
	v_mov_b32_e32 v6, 0
	v_lshl_add_u32 v3, v3, 23, 0x37800000
	s_delay_alu instid0(VALU_DEP_3) | instskip(NEXT) | instid1(VALU_DEP_1)
	v_lshlrev_b32_e32 v4, 21, v4
	v_or3_b32 v2, v2, v3, v4
	s_delay_alu instid0(VALU_DEP_1)
	v_cvt_f16_f32_e32 v4, v2
.LBB73_899:
	s_or_b32 exec_lo, exec_lo, s2
	s_mov_b32 s1, 0
	s_branch .LBB73_903
.LBB73_900:
	s_mov_b32 s1, -1
                                        ; implicit-def: $vgpr6
                                        ; implicit-def: $vgpr4
	s_branch .LBB73_909
.LBB73_901:
	s_mov_b32 s1, -1
                                        ; implicit-def: $vgpr6
                                        ; implicit-def: $vgpr4
	s_branch .LBB73_906
.LBB73_902:
	s_mov_b32 s1, -1
                                        ; implicit-def: $vgpr6
                                        ; implicit-def: $vgpr4
.LBB73_903:
	s_delay_alu instid0(SALU_CYCLE_1)
	s_and_b32 vcc_lo, exec_lo, s1
	s_cbranch_vccz .LBB73_905
; %bb.904:
	global_load_u8 v2, v[0:1], off
	s_waitcnt vmcnt(0)
	v_lshlrev_b32_e32 v2, 24, v2
	s_delay_alu instid0(VALU_DEP_1) | instskip(NEXT) | instid1(VALU_DEP_1)
	v_and_b32_e32 v3, 0x7f000000, v2
	v_clz_i32_u32_e32 v4, v3
	v_add_nc_u32_e32 v6, 0x1000000, v3
	s_delay_alu instid0(VALU_DEP_2) | instskip(NEXT) | instid1(VALU_DEP_1)
	v_min_u32_e32 v4, 32, v4
	v_sub_nc_u32_e64 v4, v4, 4 clamp
	s_delay_alu instid0(VALU_DEP_1) | instskip(SKIP_1) | instid1(VALU_DEP_2)
	v_lshlrev_b32_e32 v5, v4, v3
	v_lshlrev_b32_e32 v4, 23, v4
	v_lshrrev_b32_e32 v5, 4, v5
	s_delay_alu instid0(VALU_DEP_1) | instskip(SKIP_3) | instid1(VALU_DEP_4)
	v_sub_nc_u32_e32 v4, v5, v4
	v_ashrrev_i32_e32 v5, 8, v6
	v_mov_b32_e32 v6, 0
	v_cmp_ne_u32_e32 vcc_lo, 0, v3
	v_add_nc_u32_e32 v4, 0x3c000000, v4
	s_delay_alu instid0(VALU_DEP_1) | instskip(NEXT) | instid1(VALU_DEP_1)
	v_and_or_b32 v4, 0x7f800000, v5, v4
	v_cndmask_b32_e32 v3, 0, v4, vcc_lo
	s_delay_alu instid0(VALU_DEP_1) | instskip(NEXT) | instid1(VALU_DEP_1)
	v_and_or_b32 v2, 0x80000000, v2, v3
	v_cvt_f16_f32_e32 v4, v2
.LBB73_905:
	s_mov_b32 s1, 0
.LBB73_906:
	s_delay_alu instid0(SALU_CYCLE_1)
	s_and_not1_b32 vcc_lo, exec_lo, s1
	s_cbranch_vccnz .LBB73_908
; %bb.907:
	global_load_u8 v2, v[0:1], off
	s_waitcnt vmcnt(0)
	v_dual_mov_b32 v6, 0 :: v_dual_lshlrev_b32 v3, 25, v2
	v_lshlrev_b16 v2, 8, v2
	s_delay_alu instid0(VALU_DEP_2) | instskip(NEXT) | instid1(VALU_DEP_2)
	v_lshrrev_b32_e32 v4, 4, v3
	v_and_or_b32 v5, 0x7f00, v2, 0.5
	v_bfe_i32 v2, v2, 0, 16
	s_delay_alu instid0(VALU_DEP_3) | instskip(NEXT) | instid1(VALU_DEP_1)
	v_or_b32_e32 v4, 0x70000000, v4
	v_dual_add_f32 v5, -0.5, v5 :: v_dual_mul_f32 v4, 0x7800000, v4
	v_cmp_gt_u32_e32 vcc_lo, 0x8000000, v3
	s_delay_alu instid0(VALU_DEP_2) | instskip(NEXT) | instid1(VALU_DEP_1)
	v_cndmask_b32_e32 v3, v4, v5, vcc_lo
	v_and_or_b32 v2, 0x80000000, v2, v3
	s_delay_alu instid0(VALU_DEP_1)
	v_cvt_f16_f32_e32 v4, v2
.LBB73_908:
	s_mov_b32 s1, 0
	s_mov_b32 s2, -1
.LBB73_909:
	s_and_not1_b32 vcc_lo, exec_lo, s1
	s_mov_b32 s1, 0
	s_cbranch_vccnz .LBB73_919
; %bb.910:
	v_cmp_lt_i16_e32 vcc_lo, 14, v19
	s_cbranch_vccz .LBB73_913
; %bb.911:
	v_cmp_eq_u16_e32 vcc_lo, 15, v19
	s_cbranch_vccz .LBB73_914
; %bb.912:
	global_load_u16 v2, v[0:1], off
	s_mov_b32 s0, 0
	s_mov_b32 s2, -1
	s_mov_b32 s3, 0
	s_waitcnt vmcnt(0)
	v_lshlrev_b32_e32 v2, 16, v2
	s_delay_alu instid0(VALU_DEP_1)
	v_cvt_f16_f32_e32 v4, v2
	s_branch .LBB73_916
.LBB73_913:
	s_mov_b32 s1, -1
	s_branch .LBB73_915
.LBB73_914:
	s_mov_b32 s0, -1
.LBB73_915:
                                        ; implicit-def: $sgpr3
                                        ; implicit-def: $vgpr4
.LBB73_916:
	s_and_b32 vcc_lo, exec_lo, s1
	s_mov_b32 s1, 0
	s_cbranch_vccz .LBB73_918
; %bb.917:
	v_cmp_ne_u16_e32 vcc_lo, 11, v19
	s_and_not1_b32 s0, s0, exec_lo
	s_mov_b32 s1, -1
                                        ; implicit-def: $vgpr4
	s_and_b32 s3, vcc_lo, exec_lo
	s_delay_alu instid0(SALU_CYCLE_1)
	s_or_b32 s0, s0, s3
                                        ; implicit-def: $sgpr3
.LBB73_918:
	v_mov_b32_e32 v6, s3
.LBB73_919:
	s_mov_b32 s3, 0
.LBB73_920:
	s_and_not1_b32 s8, s4, exec_lo
	s_and_b32 s14, s0, exec_lo
	s_and_b32 s2, s2, exec_lo
	s_and_b32 s3, s3, exec_lo
	s_and_b32 s0, s1, exec_lo
	s_or_b32 s8, s8, s14
.LBB73_921:
	s_or_b32 exec_lo, exec_lo, s7
	s_delay_alu instid0(SALU_CYCLE_1)
	s_and_b32 s1, s3, exec_lo
	s_and_not1_b32 s3, s4, exec_lo
	s_and_b32 s4, s8, exec_lo
	s_and_b32 s2, s2, exec_lo
	s_and_b32 s0, s0, exec_lo
	s_or_b32 s4, s3, s4
.LBB73_922:
	s_or_b32 exec_lo, exec_lo, s6
	s_delay_alu instid0(SALU_CYCLE_1)
	s_and_not1_b32 s3, s45, exec_lo
	s_and_b32 s5, s5, exec_lo
	s_and_b32 s4, s4, exec_lo
	s_or_b32 s45, s3, s5
	s_and_not1_b32 s5, s44, exec_lo
	s_and_b32 s3, s2, exec_lo
	s_and_b32 s2, s1, exec_lo
	;; [unrolled: 1-line block ×3, first 2 shown]
	s_or_b32 s44, s5, s4
.LBB73_923:
	s_or_b32 exec_lo, exec_lo, s46
	s_delay_alu instid0(SALU_CYCLE_1)
	s_and_not1_b32 s0, s41, exec_lo
	s_and_b32 s4, s45, exec_lo
	s_and_b32 s2, s2, exec_lo
	s_or_b32 s41, s0, s4
	s_and_b32 s0, s3, exec_lo
	s_and_not1_b32 s3, s42, exec_lo
	s_and_b32 s4, s44, exec_lo
	s_and_b32 s44, s1, exec_lo
	s_or_b32 s42, s3, s4
.LBB73_924:
	s_or_b32 exec_lo, exec_lo, s43
	s_waitcnt lgkmcnt(0)
	s_mov_b32 s14, 0
	s_and_saveexec_b32 s1, s42
	s_cbranch_execnz .LBB73_936
; %bb.925:
	s_or_b32 exec_lo, exec_lo, s1
	s_and_saveexec_b32 s1, s44
	s_delay_alu instid0(SALU_CYCLE_1)
	s_xor_b32 s1, exec_lo, s1
	s_cbranch_execz .LBB73_927
.LBB73_926:
	global_load_u8 v2, v[0:1], off
	v_mov_b32_e32 v6, 0
	s_or_b32 s0, s0, exec_lo
	s_waitcnt vmcnt(0)
	v_cmp_ne_u16_e32 vcc_lo, 0, v2
	v_cndmask_b32_e64 v4, 0, 0x3c00, vcc_lo
.LBB73_927:
	s_or_b32 exec_lo, exec_lo, s1
	s_and_saveexec_b32 s1, s2
	s_cbranch_execz .LBB73_977
; %bb.928:
	v_cmp_gt_i16_e32 vcc_lo, 5, v19
	s_cbranch_vccnz .LBB73_933
; %bb.929:
	v_cmp_gt_i16_e32 vcc_lo, 8, v19
	s_cbranch_vccnz .LBB73_934
	;; [unrolled: 3-line block ×3, first 2 shown]
; %bb.931:
	v_cmp_lt_i16_e32 vcc_lo, 9, v19
	s_cbranch_vccz .LBB73_938
; %bb.932:
	global_load_b128 v[2:5], v[0:1], off
	s_mov_b32 s2, 0
	s_waitcnt vmcnt(0)
	v_cvt_f32_f64_e32 v2, v[2:3]
	v_cvt_f32_f64_e32 v3, v[4:5]
	s_delay_alu instid0(VALU_DEP_2) | instskip(NEXT) | instid1(VALU_DEP_2)
	v_cvt_f16_f32_e32 v4, v2
	v_cvt_f16_f32_e32 v6, v3
	s_branch .LBB73_939
.LBB73_933:
                                        ; implicit-def: $vgpr6
                                        ; implicit-def: $vgpr4
	s_branch .LBB73_957
.LBB73_934:
                                        ; implicit-def: $vgpr6
                                        ; implicit-def: $vgpr4
	s_branch .LBB73_945
.LBB73_935:
	s_mov_b32 s2, -1
                                        ; implicit-def: $vgpr6
                                        ; implicit-def: $vgpr4
	s_branch .LBB73_942
.LBB73_936:
	s_cbranch_execnz .LBB73_1210
; %bb.937:
	s_mov_b32 s14, exec_lo
	s_and_not1_b32 s44, s44, exec_lo
                                        ; implicit-def: $vgpr6
                                        ; implicit-def: $vgpr4
	s_or_b32 exec_lo, exec_lo, s1
	s_and_saveexec_b32 s1, s44
	s_delay_alu instid0(SALU_CYCLE_1)
	s_xor_b32 s1, exec_lo, s1
	s_cbranch_execnz .LBB73_926
	s_branch .LBB73_927
.LBB73_938:
	s_mov_b32 s2, -1
                                        ; implicit-def: $vgpr6
                                        ; implicit-def: $vgpr4
.LBB73_939:
	s_delay_alu instid0(SALU_CYCLE_1)
	s_and_not1_b32 vcc_lo, exec_lo, s2
	s_cbranch_vccnz .LBB73_941
; %bb.940:
	global_load_b64 v[2:3], v[0:1], off
	s_waitcnt vmcnt(0)
	v_cvt_f16_f32_e32 v4, v2
	v_cvt_f16_f32_e32 v6, v3
.LBB73_941:
	s_mov_b32 s2, 0
.LBB73_942:
	s_delay_alu instid0(SALU_CYCLE_1)
	s_and_not1_b32 vcc_lo, exec_lo, s2
	s_cbranch_vccnz .LBB73_944
; %bb.943:
	global_load_b32 v4, v[0:1], off
	s_waitcnt vmcnt(0)
	v_lshrrev_b32_e32 v6, 16, v4
.LBB73_944:
	s_cbranch_execnz .LBB73_956
.LBB73_945:
	v_cmp_gt_i16_e32 vcc_lo, 6, v19
	s_cbranch_vccnz .LBB73_948
; %bb.946:
	v_cmp_lt_i16_e32 vcc_lo, 6, v19
	s_cbranch_vccz .LBB73_949
; %bb.947:
	global_load_b64 v[2:3], v[0:1], off
	s_mov_b32 s3, 0
	s_mov_b32 s2, 0
	s_waitcnt vmcnt(0)
	v_cvt_f32_f64_e32 v2, v[2:3]
	s_delay_alu instid0(VALU_DEP_1)
	v_cvt_f16_f32_e32 v4, v2
	s_branch .LBB73_950
.LBB73_948:
	s_mov_b32 s3, -1
                                        ; implicit-def: $sgpr2
                                        ; implicit-def: $vgpr4
	s_branch .LBB73_953
.LBB73_949:
	s_mov_b32 s3, -1
                                        ; implicit-def: $sgpr2
                                        ; implicit-def: $vgpr4
.LBB73_950:
	s_delay_alu instid0(SALU_CYCLE_1)
	s_and_not1_b32 vcc_lo, exec_lo, s3
	s_cbranch_vccnz .LBB73_952
; %bb.951:
	global_load_b32 v2, v[0:1], off
	s_mov_b32 s2, 0
	s_waitcnt vmcnt(0)
	v_cvt_f16_f32_e32 v4, v2
.LBB73_952:
	s_mov_b32 s3, 0
.LBB73_953:
	s_delay_alu instid0(SALU_CYCLE_1)
	s_and_not1_b32 vcc_lo, exec_lo, s3
	s_cbranch_vccnz .LBB73_955
; %bb.954:
	global_load_u16 v4, v[0:1], off
	s_mov_b32 s2, 0
.LBB73_955:
	s_delay_alu instid0(SALU_CYCLE_1)
	v_mov_b32_e32 v6, s2
.LBB73_956:
	s_cbranch_execnz .LBB73_976
.LBB73_957:
	v_cmp_gt_i16_e32 vcc_lo, 2, v19
	s_cbranch_vccnz .LBB73_961
; %bb.958:
	v_cmp_gt_i16_e32 vcc_lo, 3, v19
	s_cbranch_vccnz .LBB73_962
; %bb.959:
	v_cmp_lt_i16_e32 vcc_lo, 3, v19
	s_cbranch_vccz .LBB73_963
; %bb.960:
	global_load_b64 v[2:3], v[0:1], off
	s_mov_b32 s3, 0
	s_mov_b32 s2, 0
	s_waitcnt vmcnt(0)
	v_xor_b32_e32 v4, v2, v3
	v_cls_i32_e32 v5, v3
	s_delay_alu instid0(VALU_DEP_2) | instskip(NEXT) | instid1(VALU_DEP_2)
	v_ashrrev_i32_e32 v4, 31, v4
	v_add_nc_u32_e32 v5, -1, v5
	s_delay_alu instid0(VALU_DEP_2) | instskip(NEXT) | instid1(VALU_DEP_1)
	v_add_nc_u32_e32 v4, 32, v4
	v_min_u32_e32 v4, v5, v4
	s_delay_alu instid0(VALU_DEP_1) | instskip(NEXT) | instid1(VALU_DEP_1)
	v_lshlrev_b64 v[2:3], v4, v[2:3]
	v_min_u32_e32 v2, 1, v2
	s_delay_alu instid0(VALU_DEP_1) | instskip(SKIP_1) | instid1(VALU_DEP_2)
	v_or_b32_e32 v2, v3, v2
	v_sub_nc_u32_e32 v3, 32, v4
	v_cvt_f32_i32_e32 v2, v2
	s_delay_alu instid0(VALU_DEP_1) | instskip(NEXT) | instid1(VALU_DEP_1)
	v_ldexp_f32 v2, v2, v3
	v_cvt_f16_f32_e32 v4, v2
	s_branch .LBB73_964
.LBB73_961:
                                        ; implicit-def: $sgpr2
                                        ; implicit-def: $vgpr4
	s_branch .LBB73_970
.LBB73_962:
	s_mov_b32 s3, -1
                                        ; implicit-def: $sgpr2
                                        ; implicit-def: $vgpr4
	s_branch .LBB73_967
.LBB73_963:
	s_mov_b32 s3, -1
                                        ; implicit-def: $sgpr2
                                        ; implicit-def: $vgpr4
.LBB73_964:
	s_delay_alu instid0(SALU_CYCLE_1)
	s_and_not1_b32 vcc_lo, exec_lo, s3
	s_cbranch_vccnz .LBB73_966
; %bb.965:
	global_load_b32 v2, v[0:1], off
	s_mov_b32 s2, 0
	s_waitcnt vmcnt(0)
	v_cvt_f32_i32_e32 v2, v2
	s_delay_alu instid0(VALU_DEP_1)
	v_cvt_f16_f32_e32 v4, v2
.LBB73_966:
	s_mov_b32 s3, 0
.LBB73_967:
	s_delay_alu instid0(SALU_CYCLE_1)
	s_and_not1_b32 vcc_lo, exec_lo, s3
	s_cbranch_vccnz .LBB73_969
; %bb.968:
	global_load_u16 v2, v[0:1], off
	s_mov_b32 s2, 0
	s_waitcnt vmcnt(0)
	v_cvt_f16_i16_e32 v4, v2
.LBB73_969:
	s_cbranch_execnz .LBB73_975
.LBB73_970:
	v_cmp_lt_i16_e32 vcc_lo, 0, v19
	s_mov_b32 s3, 0
	s_cbranch_vccz .LBB73_972
; %bb.971:
	global_load_i8 v2, v[0:1], off
	s_mov_b32 s2, 0
	s_waitcnt vmcnt(0)
	v_cvt_f16_i16_e32 v4, v2
	s_branch .LBB73_973
.LBB73_972:
	s_mov_b32 s3, -1
                                        ; implicit-def: $sgpr2
                                        ; implicit-def: $vgpr4
.LBB73_973:
	s_delay_alu instid0(SALU_CYCLE_1)
	s_and_not1_b32 vcc_lo, exec_lo, s3
	s_cbranch_vccnz .LBB73_975
; %bb.974:
	global_load_u8 v0, v[0:1], off
	s_mov_b32 s2, 0
	s_waitcnt vmcnt(0)
	v_cvt_f16_u16_e32 v4, v0
.LBB73_975:
	v_mov_b32_e32 v6, s2
.LBB73_976:
	s_or_b32 s0, s0, exec_lo
.LBB73_977:
	s_or_b32 exec_lo, exec_lo, s1
	s_mov_b32 s2, 0
	s_mov_b32 s1, 0
                                        ; implicit-def: $vgpr3
                                        ; implicit-def: $vgpr0_vgpr1
                                        ; implicit-def: $vgpr7
                                        ; implicit-def: $vgpr5
                                        ; implicit-def: $vgpr2
	s_and_saveexec_b32 s15, s0
	s_cbranch_execz .LBB73_1054
; %bb.978:
	s_waitcnt vmcnt(0)
	v_cvt_f32_f16_e32 v0, v4
	v_cvt_f32_f16_e32 v1, v6
	s_getpc_b64 s[0:1]
	s_add_u32 s0, s0, _ZN16c10_complex_math3expIfEEN3c107complexIT_EERKS4_@rel32@lo+4
	s_addc_u32 s1, s1, _ZN16c10_complex_math3expIfEEN3c107complexIT_EERKS4_@rel32@hi+12
	s_delay_alu instid0(SALU_CYCLE_1) | instskip(SKIP_4) | instid1(VALU_DEP_4)
	s_swappc_b64 s[30:31], s[0:1]
	v_and_b32_e32 v3, 0xff, v18
	v_cvt_f16_f32_e32 v5, v1
	v_cvt_f16_f32_e32 v2, v0
	v_add_co_u32 v0, s0, s12, v17
	v_cmp_gt_i16_e32 vcc_lo, 11, v3
	s_delay_alu instid0(VALU_DEP_4) | instskip(NEXT) | instid1(VALU_DEP_4)
	v_lshlrev_b32_e32 v4, 16, v5
	v_and_b32_e32 v6, 0xffff, v2
	v_add_co_ci_u32_e64 v1, null, s13, 0, s0
	s_mov_b32 s2, 0
	s_mov_b32 s1, -1
	s_mov_b32 s0, s41
	s_cbranch_vccnz .LBB73_1053
; %bb.979:
	v_cmp_lt_i16_e32 vcc_lo, 25, v3
	s_mov_b32 s0, s41
	s_cbranch_vccz .LBB73_1012
; %bb.980:
	v_cmp_lt_i16_e32 vcc_lo, 28, v3
	s_mov_b32 s0, s41
	s_cbranch_vccz .LBB73_996
	;; [unrolled: 4-line block ×4, first 2 shown]
; %bb.983:
	v_cmp_eq_u16_e32 vcc_lo, 46, v3
	s_mov_b32 s0, -1
	s_cbranch_vccz .LBB73_985
; %bb.984:
	v_cvt_f32_f16_e32 v7, v5
	v_cvt_f32_f16_e32 v8, v2
	v_cmp_o_f16_e32 vcc_lo, v5, v5
	s_mov_b32 s0, 0
	s_delay_alu instid0(VALU_DEP_3) | instskip(NEXT) | instid1(VALU_DEP_3)
	v_bfe_u32 v9, v7, 16, 1
	v_bfe_u32 v10, v8, 16, 1
	s_delay_alu instid0(VALU_DEP_2) | instskip(NEXT) | instid1(VALU_DEP_2)
	v_add3_u32 v7, v7, v9, 0x7fff
	v_add3_u32 v8, v8, v10, 0x7fff
	s_delay_alu instid0(VALU_DEP_2) | instskip(NEXT) | instid1(VALU_DEP_2)
	v_and_b32_e32 v7, 0xffff0000, v7
	v_lshrrev_b32_e32 v8, 16, v8
	s_delay_alu instid0(VALU_DEP_2) | instskip(SKIP_1) | instid1(VALU_DEP_3)
	v_cndmask_b32_e32 v7, 0x7fc00000, v7, vcc_lo
	v_cmp_o_f16_e32 vcc_lo, v2, v2
	v_cndmask_b32_e32 v8, 0x7fc0, v8, vcc_lo
	s_delay_alu instid0(VALU_DEP_1)
	v_or_b32_e32 v7, v7, v8
	global_store_b32 v[0:1], v7, off
.LBB73_985:
	s_mov_b32 s1, 0
.LBB73_986:
	s_delay_alu instid0(SALU_CYCLE_1)
	s_and_b32 vcc_lo, exec_lo, s1
	s_cbranch_vccz .LBB73_991
; %bb.987:
	v_cmp_eq_u16_e32 vcc_lo, 44, v3
	s_mov_b32 s0, -1
	s_cbranch_vccz .LBB73_991
; %bb.988:
	v_cvt_f32_f16_e32 v7, v2
	v_mov_b32_e32 v8, 0xff
	s_mov_b32 s1, exec_lo
	s_delay_alu instid0(VALU_DEP_2) | instskip(NEXT) | instid1(VALU_DEP_1)
	v_bfe_u32 v9, v7, 23, 8
	v_cmpx_ne_u32_e32 0xff, v9
; %bb.989:
	v_and_b32_e32 v8, 0x400000, v7
	v_and_or_b32 v9, 0x3fffff, v7, v9
	v_lshrrev_b32_e32 v7, 23, v7
	s_delay_alu instid0(VALU_DEP_3) | instskip(NEXT) | instid1(VALU_DEP_3)
	v_cmp_ne_u32_e32 vcc_lo, 0, v8
	v_cmp_ne_u32_e64 s0, 0, v9
	s_delay_alu instid0(VALU_DEP_1) | instskip(NEXT) | instid1(SALU_CYCLE_1)
	s_and_b32 s0, vcc_lo, s0
	v_cndmask_b32_e64 v8, 0, 1, s0
	s_delay_alu instid0(VALU_DEP_1)
	v_add_nc_u32_e32 v8, v7, v8
; %bb.990:
	s_or_b32 exec_lo, exec_lo, s1
	s_mov_b32 s0, 0
	global_store_b8 v[0:1], v8, off
.LBB73_991:
	s_mov_b32 s1, 0
.LBB73_992:
	s_delay_alu instid0(SALU_CYCLE_1)
	s_and_b32 vcc_lo, exec_lo, s1
	s_cbranch_vccz .LBB73_995
; %bb.993:
	v_cmp_eq_u16_e32 vcc_lo, 29, v3
	s_mov_b32 s0, -1
	s_cbranch_vccz .LBB73_995
; %bb.994:
	v_cvt_f32_f16_e32 v7, v2
	v_mov_b32_e32 v8, 0
	s_mov_b32 s0, 0
	s_delay_alu instid0(VALU_DEP_2)
	v_cvt_u32_f32_e32 v7, v7
	global_store_b64 v[0:1], v[7:8], off
.LBB73_995:
	s_mov_b32 s1, 0
.LBB73_996:
	s_delay_alu instid0(SALU_CYCLE_1)
	s_and_b32 vcc_lo, exec_lo, s1
	s_cbranch_vccz .LBB73_1011
; %bb.997:
	v_cmp_gt_i16_e32 vcc_lo, 27, v3
	s_mov_b32 s1, -1
	s_cbranch_vccnz .LBB73_1003
; %bb.998:
	v_cmp_lt_i16_e32 vcc_lo, 27, v3
	s_cbranch_vccz .LBB73_1000
; %bb.999:
	v_cvt_f32_f16_e32 v7, v2
	s_mov_b32 s1, 0
	s_delay_alu instid0(VALU_DEP_1)
	v_cvt_u32_f32_e32 v7, v7
	global_store_b32 v[0:1], v7, off
.LBB73_1000:
	s_and_not1_b32 vcc_lo, exec_lo, s1
	s_cbranch_vccnz .LBB73_1002
; %bb.1001:
	v_cvt_u16_f16_e32 v7, v2
	global_store_b16 v[0:1], v7, off
.LBB73_1002:
	s_mov_b32 s1, 0
.LBB73_1003:
	s_delay_alu instid0(SALU_CYCLE_1)
	s_and_not1_b32 vcc_lo, exec_lo, s1
	s_cbranch_vccnz .LBB73_1011
; %bb.1004:
	v_cvt_f32_f16_e32 v7, v2
	v_mov_b32_e32 v9, 0x80
	s_mov_b32 s1, exec_lo
	s_delay_alu instid0(VALU_DEP_2) | instskip(NEXT) | instid1(VALU_DEP_1)
	v_and_b32_e32 v8, 0x7fffffff, v7
	v_cmpx_gt_u32_e32 0x43800000, v8
	s_cbranch_execz .LBB73_1010
; %bb.1005:
	v_cmp_lt_u32_e32 vcc_lo, 0x3bffffff, v8
                                        ; implicit-def: $vgpr8
	s_and_saveexec_b32 s3, vcc_lo
	s_delay_alu instid0(SALU_CYCLE_1)
	s_xor_b32 s3, exec_lo, s3
	s_cbranch_execz .LBB73_1305
; %bb.1006:
	v_bfe_u32 v8, v7, 20, 1
	s_mov_b32 s2, exec_lo
	s_delay_alu instid0(VALU_DEP_1) | instskip(NEXT) | instid1(VALU_DEP_1)
	v_add3_u32 v8, v7, v8, 0x487ffff
	v_lshrrev_b32_e32 v8, 20, v8
	s_or_saveexec_b32 s3, s3
                                        ; implicit-def: $sgpr4
	s_delay_alu instid0(SALU_CYCLE_1)
	s_xor_b32 exec_lo, exec_lo, s3
	s_cbranch_execnz .LBB73_1306
.LBB73_1007:
	s_or_b32 exec_lo, exec_lo, s3
	v_mov_b32_e32 v9, s4
	s_and_saveexec_b32 s3, s2
.LBB73_1008:
	v_lshrrev_b32_e32 v7, 24, v7
	s_delay_alu instid0(VALU_DEP_1)
	v_and_or_b32 v9, 0x80, v7, v8
.LBB73_1009:
	s_or_b32 exec_lo, exec_lo, s3
.LBB73_1010:
	s_delay_alu instid0(SALU_CYCLE_1)
	s_or_b32 exec_lo, exec_lo, s1
	global_store_b8 v[0:1], v9, off
.LBB73_1011:
	s_mov_b32 s1, 0
.LBB73_1012:
	s_delay_alu instid0(SALU_CYCLE_1)
	s_and_b32 vcc_lo, exec_lo, s1
	s_mov_b32 s1, 0
	s_cbranch_vccz .LBB73_1052
; %bb.1013:
	v_cmp_lt_i16_e32 vcc_lo, 22, v3
	s_mov_b32 s2, -1
	s_cbranch_vccz .LBB73_1045
; %bb.1014:
	v_cmp_gt_i16_e32 vcc_lo, 24, v3
	s_cbranch_vccnz .LBB73_1034
; %bb.1015:
	v_cmp_lt_i16_e32 vcc_lo, 24, v3
	s_cbranch_vccz .LBB73_1023
; %bb.1016:
	v_cvt_f32_f16_e32 v7, v2
	v_mov_b32_e32 v9, 0x80
	s_mov_b32 s2, exec_lo
	s_delay_alu instid0(VALU_DEP_2) | instskip(NEXT) | instid1(VALU_DEP_1)
	v_and_b32_e32 v8, 0x7fffffff, v7
	v_cmpx_gt_u32_e32 0x47800000, v8
	s_cbranch_execz .LBB73_1022
; %bb.1017:
	v_cmp_lt_u32_e32 vcc_lo, 0x37ffffff, v8
	s_mov_b32 s3, 0
                                        ; implicit-def: $vgpr8
	s_and_saveexec_b32 s4, vcc_lo
	s_delay_alu instid0(SALU_CYCLE_1)
	s_xor_b32 s4, exec_lo, s4
	s_cbranch_execz .LBB73_1350
; %bb.1018:
	v_bfe_u32 v8, v7, 21, 1
	s_mov_b32 s3, exec_lo
	s_delay_alu instid0(VALU_DEP_1) | instskip(NEXT) | instid1(VALU_DEP_1)
	v_add3_u32 v8, v7, v8, 0x88fffff
	v_lshrrev_b32_e32 v8, 21, v8
	s_or_saveexec_b32 s4, s4
                                        ; implicit-def: $sgpr5
	s_delay_alu instid0(SALU_CYCLE_1)
	s_xor_b32 exec_lo, exec_lo, s4
	s_cbranch_execnz .LBB73_1351
.LBB73_1019:
	s_or_b32 exec_lo, exec_lo, s4
	v_mov_b32_e32 v9, s5
	s_and_saveexec_b32 s4, s3
.LBB73_1020:
	v_lshrrev_b32_e32 v7, 24, v7
	s_delay_alu instid0(VALU_DEP_1)
	v_and_or_b32 v9, 0x80, v7, v8
.LBB73_1021:
	s_or_b32 exec_lo, exec_lo, s4
.LBB73_1022:
	s_delay_alu instid0(SALU_CYCLE_1)
	s_or_b32 exec_lo, exec_lo, s2
	s_mov_b32 s2, 0
	global_store_b8 v[0:1], v9, off
.LBB73_1023:
	s_and_b32 vcc_lo, exec_lo, s2
	s_cbranch_vccz .LBB73_1033
; %bb.1024:
	v_cvt_f32_f16_e32 v7, v2
	s_mov_b32 s2, exec_lo
                                        ; implicit-def: $vgpr8
	s_delay_alu instid0(VALU_DEP_1) | instskip(NEXT) | instid1(VALU_DEP_1)
	v_and_b32_e32 v9, 0x7fffffff, v7
	v_cmpx_gt_u32_e32 0x43f00000, v9
	s_xor_b32 s2, exec_lo, s2
	s_cbranch_execz .LBB73_1030
; %bb.1025:
	s_mov_b32 s3, exec_lo
                                        ; implicit-def: $vgpr8
	v_cmpx_lt_u32_e32 0x3c7fffff, v9
	s_xor_b32 s3, exec_lo, s3
; %bb.1026:
	v_bfe_u32 v8, v7, 20, 1
	s_delay_alu instid0(VALU_DEP_1) | instskip(NEXT) | instid1(VALU_DEP_1)
	v_add3_u32 v8, v7, v8, 0x407ffff
	v_and_b32_e32 v9, 0xff00000, v8
	v_lshrrev_b32_e32 v8, 20, v8
	s_delay_alu instid0(VALU_DEP_2) | instskip(NEXT) | instid1(VALU_DEP_2)
	v_cmp_ne_u32_e32 vcc_lo, 0x7f00000, v9
	v_cndmask_b32_e32 v8, 0x7e, v8, vcc_lo
; %bb.1027:
	s_and_not1_saveexec_b32 s3, s3
; %bb.1028:
	v_add_f32_e64 v8, 0x46800000, |v7|
; %bb.1029:
	s_or_b32 exec_lo, exec_lo, s3
                                        ; implicit-def: $vgpr9
.LBB73_1030:
	s_and_not1_saveexec_b32 s2, s2
; %bb.1031:
	v_mov_b32_e32 v8, 0x7f
	v_cmp_lt_u32_e32 vcc_lo, 0x7f800000, v9
	s_delay_alu instid0(VALU_DEP_2)
	v_cndmask_b32_e32 v8, 0x7e, v8, vcc_lo
; %bb.1032:
	s_or_b32 exec_lo, exec_lo, s2
	v_lshrrev_b32_e32 v7, 24, v7
	s_delay_alu instid0(VALU_DEP_1)
	v_and_or_b32 v7, 0x80, v7, v8
	global_store_b8 v[0:1], v7, off
.LBB73_1033:
	s_mov_b32 s2, 0
.LBB73_1034:
	s_delay_alu instid0(SALU_CYCLE_1)
	s_and_not1_b32 vcc_lo, exec_lo, s2
	s_cbranch_vccnz .LBB73_1044
; %bb.1035:
	v_cvt_f32_f16_e32 v7, v2
	s_mov_b32 s2, exec_lo
                                        ; implicit-def: $vgpr8
	s_delay_alu instid0(VALU_DEP_1) | instskip(NEXT) | instid1(VALU_DEP_1)
	v_and_b32_e32 v9, 0x7fffffff, v7
	v_cmpx_gt_u32_e32 0x47800000, v9
	s_xor_b32 s2, exec_lo, s2
	s_cbranch_execz .LBB73_1041
; %bb.1036:
	s_mov_b32 s3, exec_lo
                                        ; implicit-def: $vgpr8
	v_cmpx_lt_u32_e32 0x387fffff, v9
	s_xor_b32 s3, exec_lo, s3
; %bb.1037:
	v_bfe_u32 v8, v7, 21, 1
	s_delay_alu instid0(VALU_DEP_1) | instskip(NEXT) | instid1(VALU_DEP_1)
	v_add3_u32 v8, v7, v8, 0x80fffff
	v_lshrrev_b32_e32 v8, 21, v8
; %bb.1038:
	s_and_not1_saveexec_b32 s3, s3
; %bb.1039:
	v_add_f32_e64 v8, 0x43000000, |v7|
; %bb.1040:
	s_or_b32 exec_lo, exec_lo, s3
                                        ; implicit-def: $vgpr9
.LBB73_1041:
	s_and_not1_saveexec_b32 s2, s2
; %bb.1042:
	v_mov_b32_e32 v8, 0x7f
	v_cmp_lt_u32_e32 vcc_lo, 0x7f800000, v9
	s_delay_alu instid0(VALU_DEP_2)
	v_cndmask_b32_e32 v8, 0x7c, v8, vcc_lo
; %bb.1043:
	s_or_b32 exec_lo, exec_lo, s2
	v_lshrrev_b32_e32 v7, 24, v7
	s_delay_alu instid0(VALU_DEP_1)
	v_and_or_b32 v7, 0x80, v7, v8
	global_store_b8 v[0:1], v7, off
.LBB73_1044:
	s_mov_b32 s2, 0
.LBB73_1045:
	s_delay_alu instid0(SALU_CYCLE_1)
	s_and_not1_b32 vcc_lo, exec_lo, s2
	s_mov_b32 s2, 0
	s_cbranch_vccnz .LBB73_1053
; %bb.1046:
	v_cmp_lt_i16_e32 vcc_lo, 14, v3
	s_mov_b32 s2, -1
	s_cbranch_vccz .LBB73_1050
; %bb.1047:
	v_cmp_eq_u16_e32 vcc_lo, 15, v3
	s_mov_b32 s0, -1
	s_cbranch_vccz .LBB73_1049
; %bb.1048:
	v_cvt_f32_f16_e32 v7, v2
	v_cmp_o_f16_e32 vcc_lo, v2, v2
	s_mov_b32 s0, 0
	s_delay_alu instid0(VALU_DEP_2) | instskip(NEXT) | instid1(VALU_DEP_1)
	v_bfe_u32 v8, v7, 16, 1
	v_add3_u32 v7, v7, v8, 0x7fff
	s_delay_alu instid0(VALU_DEP_1) | instskip(NEXT) | instid1(VALU_DEP_1)
	v_lshrrev_b32_e32 v7, 16, v7
	v_cndmask_b32_e32 v7, 0x7fc0, v7, vcc_lo
	global_store_b16 v[0:1], v7, off
.LBB73_1049:
	s_mov_b32 s2, 0
.LBB73_1050:
	s_delay_alu instid0(SALU_CYCLE_1)
	s_and_b32 vcc_lo, exec_lo, s2
	s_mov_b32 s2, 0
	s_cbranch_vccz .LBB73_1053
; %bb.1051:
	v_cmp_ne_u16_e32 vcc_lo, 11, v3
	s_and_not1_b32 s0, s0, exec_lo
	s_mov_b32 s2, -1
	s_and_b32 s3, vcc_lo, exec_lo
	s_delay_alu instid0(SALU_CYCLE_1)
	s_or_b32 s0, s0, s3
	s_branch .LBB73_1053
.LBB73_1052:
	s_mov_b32 s2, 0
.LBB73_1053:
	s_and_not1_b32 s3, s41, exec_lo
	s_and_b32 s0, s0, exec_lo
	v_or_b32_e32 v7, v4, v6
	s_and_b32 s1, s1, exec_lo
	s_and_b32 s2, s2, exec_lo
	s_or_b32 s41, s3, s0
.LBB73_1054:
	s_or_b32 exec_lo, exec_lo, s15
	s_and_saveexec_b32 s0, s41
	s_cbranch_execnz .LBB73_1169
; %bb.1055:
	s_or_b32 exec_lo, exec_lo, s0
	s_and_saveexec_b32 s0, s2
	s_delay_alu instid0(SALU_CYCLE_1)
	s_xor_b32 s0, exec_lo, s0
	s_cbranch_execz .LBB73_1057
.LBB73_1056:
	s_waitcnt vmcnt(0)
	v_and_b32_e32 v4, 0x7fff7fff, v7
	s_delay_alu instid0(VALU_DEP_1)
	v_cmp_ne_u32_e32 vcc_lo, 0, v4
	v_cndmask_b32_e64 v4, 0, 1, vcc_lo
	global_store_b8 v[0:1], v4, off
.LBB73_1057:
	s_or_b32 exec_lo, exec_lo, s0
	s_and_saveexec_b32 s0, s1
	s_delay_alu instid0(SALU_CYCLE_1)
	s_xor_b32 s0, exec_lo, s0
	s_cbranch_execz .LBB73_1095
; %bb.1058:
	v_cmp_gt_i16_e32 vcc_lo, 5, v3
	s_mov_b32 s1, -1
	s_cbranch_vccnz .LBB73_1079
; %bb.1059:
	v_cmp_gt_i16_e32 vcc_lo, 8, v3
	s_cbranch_vccnz .LBB73_1069
; %bb.1060:
	v_cmp_gt_i16_e32 vcc_lo, 9, v3
	s_cbranch_vccnz .LBB73_1066
; %bb.1061:
	v_cmp_lt_i16_e32 vcc_lo, 9, v3
	s_cbranch_vccz .LBB73_1063
; %bb.1062:
	s_waitcnt vmcnt(0)
	v_cvt_f32_f16_e32 v4, v2
	v_cvt_f32_f16_e32 v6, v5
	s_mov_b32 s1, 0
	s_delay_alu instid0(VALU_DEP_2) | instskip(NEXT) | instid1(VALU_DEP_2)
	v_cvt_f64_f32_e32 v[8:9], v4
	v_cvt_f64_f32_e32 v[10:11], v6
	global_store_b128 v[0:1], v[8:11], off
.LBB73_1063:
	s_and_not1_b32 vcc_lo, exec_lo, s1
	s_cbranch_vccnz .LBB73_1065
; %bb.1064:
	s_waitcnt vmcnt(0)
	v_cvt_f32_f16_e32 v4, v2
	v_cvt_f32_f16_e32 v5, v5
	global_store_b64 v[0:1], v[4:5], off
.LBB73_1065:
	s_mov_b32 s1, 0
.LBB73_1066:
	s_delay_alu instid0(SALU_CYCLE_1)
	s_and_not1_b32 vcc_lo, exec_lo, s1
	s_cbranch_vccnz .LBB73_1068
; %bb.1067:
	global_store_b32 v[0:1], v7, off
.LBB73_1068:
	s_mov_b32 s1, 0
.LBB73_1069:
	s_delay_alu instid0(SALU_CYCLE_1)
	s_and_not1_b32 vcc_lo, exec_lo, s1
	s_cbranch_vccnz .LBB73_1078
; %bb.1070:
	v_cmp_gt_i16_e32 vcc_lo, 6, v3
	s_mov_b32 s1, -1
	s_cbranch_vccnz .LBB73_1076
; %bb.1071:
	v_cmp_lt_i16_e32 vcc_lo, 6, v3
	s_cbranch_vccz .LBB73_1073
; %bb.1072:
	s_waitcnt vmcnt(0)
	v_cvt_f32_f16_e32 v4, v2
	s_mov_b32 s1, 0
	s_delay_alu instid0(VALU_DEP_1)
	v_cvt_f64_f32_e32 v[4:5], v4
	global_store_b64 v[0:1], v[4:5], off
.LBB73_1073:
	s_and_not1_b32 vcc_lo, exec_lo, s1
	s_cbranch_vccnz .LBB73_1075
; %bb.1074:
	s_waitcnt vmcnt(0)
	v_cvt_f32_f16_e32 v4, v2
	global_store_b32 v[0:1], v4, off
.LBB73_1075:
	s_mov_b32 s1, 0
.LBB73_1076:
	s_delay_alu instid0(SALU_CYCLE_1)
	s_and_not1_b32 vcc_lo, exec_lo, s1
	s_cbranch_vccnz .LBB73_1078
; %bb.1077:
	s_waitcnt vmcnt(0)
	global_store_b16 v[0:1], v2, off
.LBB73_1078:
	s_mov_b32 s1, 0
.LBB73_1079:
	s_delay_alu instid0(SALU_CYCLE_1)
	s_and_not1_b32 vcc_lo, exec_lo, s1
	s_cbranch_vccnz .LBB73_1095
; %bb.1080:
	v_cmp_gt_i16_e32 vcc_lo, 2, v3
	s_mov_b32 s1, -1
	s_cbranch_vccnz .LBB73_1090
; %bb.1081:
	v_cmp_gt_i16_e32 vcc_lo, 3, v3
	s_cbranch_vccnz .LBB73_1087
; %bb.1082:
	v_cmp_lt_i16_e32 vcc_lo, 3, v3
	s_cbranch_vccz .LBB73_1084
; %bb.1083:
	s_waitcnt vmcnt(0)
	v_cvt_f32_f16_e32 v4, v2
	s_mov_b32 s1, 0
	s_delay_alu instid0(VALU_DEP_1) | instskip(NEXT) | instid1(VALU_DEP_1)
	v_cvt_i32_f32_e32 v4, v4
	v_ashrrev_i32_e32 v5, 31, v4
	global_store_b64 v[0:1], v[4:5], off
.LBB73_1084:
	s_and_not1_b32 vcc_lo, exec_lo, s1
	s_cbranch_vccnz .LBB73_1086
; %bb.1085:
	s_waitcnt vmcnt(0)
	v_cvt_f32_f16_e32 v4, v2
	s_delay_alu instid0(VALU_DEP_1)
	v_cvt_i32_f32_e32 v4, v4
	global_store_b32 v[0:1], v4, off
.LBB73_1086:
	s_mov_b32 s1, 0
.LBB73_1087:
	s_delay_alu instid0(SALU_CYCLE_1)
	s_and_not1_b32 vcc_lo, exec_lo, s1
	s_cbranch_vccnz .LBB73_1089
; %bb.1088:
	s_waitcnt vmcnt(0)
	v_cvt_i16_f16_e32 v4, v2
	global_store_b16 v[0:1], v4, off
.LBB73_1089:
	s_mov_b32 s1, 0
.LBB73_1090:
	s_delay_alu instid0(SALU_CYCLE_1)
	s_and_not1_b32 vcc_lo, exec_lo, s1
	s_cbranch_vccnz .LBB73_1095
; %bb.1091:
	v_cmp_lt_i16_e32 vcc_lo, 0, v3
	s_mov_b32 s1, -1
	s_cbranch_vccz .LBB73_1093
; %bb.1092:
	s_waitcnt vmcnt(0)
	v_cvt_i16_f16_e32 v3, v2
	s_mov_b32 s1, 0
	global_store_b8 v[0:1], v3, off
.LBB73_1093:
	s_and_not1_b32 vcc_lo, exec_lo, s1
	s_cbranch_vccnz .LBB73_1095
; %bb.1094:
	s_waitcnt vmcnt(0)
	v_cvt_f32_f16_e32 v2, v2
	s_delay_alu instid0(VALU_DEP_1)
	v_cvt_i32_f32_e32 v2, v2
	global_store_b8 v[0:1], v2, off
.LBB73_1095:
	s_or_b32 exec_lo, exec_lo, s0
	s_delay_alu instid0(SALU_CYCLE_1)
	s_and_b32 s16, s14, exec_lo
                                        ; implicit-def: $vgpr4
                                        ; implicit-def: $vgpr21
.LBB73_1096:
	s_or_saveexec_b32 s17, s36
	s_mov_b32 s0, 0
                                        ; implicit-def: $vgpr0_vgpr1
                                        ; implicit-def: $vgpr22
                                        ; implicit-def: $vgpr5
                                        ; implicit-def: $vgpr3
                                        ; implicit-def: $vgpr2
	s_xor_b32 exec_lo, exec_lo, s17
	s_cbranch_execz .LBB73_2133
; %bb.1097:
	v_cndmask_b32_e64 v0, 0, 1, s35
	s_and_not1_b32 vcc_lo, exec_lo, s35
	s_cbranch_vccnz .LBB73_1103
; %bb.1098:
	v_dual_mov_b32 v20, 0 :: v_dual_mov_b32 v3, 0
	s_cmp_lg_u32 s9, 0
	s_mov_b32 s4, 0
	s_cbranch_scc0 .LBB73_1107
; %bb.1099:
	s_min_u32 s5, s33, 15
	v_mov_b32_e32 v20, 0
	s_add_i32 s5, s5, 1
	s_cmp_eq_u32 s33, 2
	s_mov_b32 s6, 0
	s_cbranch_scc1 .LBB73_1104
; %bb.1100:
	v_dual_mov_b32 v3, 0 :: v_dual_mov_b32 v20, 0
	v_mov_b32_e32 v1, v21
	s_add_u32 s0, s24, 0xc4
	s_addc_u32 s1, s25, 0
	s_and_b32 s6, s5, 28
	s_mov_b32 s7, 0
	s_mov_b64 s[2:3], s[24:25]
.LBB73_1101:                            ; =>This Inner Loop Header: Depth=1
	s_clause 0x1
	s_load_b256 s[36:43], s[2:3], 0x4
	s_load_b128 s[12:15], s[2:3], 0x24
	s_load_b256 s[44:51], s[0:1], 0x0
	s_add_u32 s2, s2, 48
	s_addc_u32 s3, s3, 0
	s_add_i32 s7, s7, 4
	s_add_u32 s0, s0, 32
	s_addc_u32 s1, s1, 0
	s_cmp_lg_u32 s6, s7
	s_waitcnt vmcnt(0) lgkmcnt(0)
	v_mul_hi_u32 v2, s37, v1
	s_delay_alu instid0(VALU_DEP_1) | instskip(NEXT) | instid1(VALU_DEP_1)
	v_add_nc_u32_e32 v2, v1, v2
	v_lshrrev_b32_e32 v2, s38, v2
	s_delay_alu instid0(VALU_DEP_1) | instskip(SKIP_1) | instid1(VALU_DEP_2)
	v_mul_hi_u32 v5, s40, v2
	v_mul_lo_u32 v7, v2, s36
	v_add_nc_u32_e32 v5, v2, v5
	s_delay_alu instid0(VALU_DEP_2) | instskip(NEXT) | instid1(VALU_DEP_2)
	v_sub_nc_u32_e32 v1, v1, v7
	v_lshrrev_b32_e32 v5, s41, v5
	s_delay_alu instid0(VALU_DEP_2) | instskip(SKIP_1) | instid1(VALU_DEP_3)
	v_mul_lo_u32 v7, v1, s44
	v_mul_lo_u32 v9, v1, s45
	v_mul_hi_u32 v6, s43, v5
	s_delay_alu instid0(VALU_DEP_1) | instskip(NEXT) | instid1(VALU_DEP_1)
	v_add_nc_u32_e32 v6, v5, v6
	v_lshrrev_b32_e32 v6, s12, v6
	s_delay_alu instid0(VALU_DEP_1) | instskip(SKIP_1) | instid1(VALU_DEP_2)
	v_mul_hi_u32 v8, s14, v6
	v_mul_lo_u32 v10, v6, s42
	v_add_nc_u32_e32 v1, v6, v8
	v_mul_lo_u32 v8, v5, s39
	s_delay_alu instid0(VALU_DEP_3) | instskip(NEXT) | instid1(VALU_DEP_3)
	v_sub_nc_u32_e32 v5, v5, v10
	v_lshrrev_b32_e32 v1, s15, v1
	s_delay_alu instid0(VALU_DEP_2) | instskip(SKIP_2) | instid1(VALU_DEP_4)
	v_mul_lo_u32 v10, v5, s48
	v_mul_lo_u32 v5, v5, s49
	v_sub_nc_u32_e32 v2, v2, v8
	v_mul_lo_u32 v11, v1, s13
	s_delay_alu instid0(VALU_DEP_2) | instskip(SKIP_1) | instid1(VALU_DEP_3)
	v_mul_lo_u32 v8, v2, s46
	v_mul_lo_u32 v2, v2, s47
	v_sub_nc_u32_e32 v6, v6, v11
	s_delay_alu instid0(VALU_DEP_3) | instskip(NEXT) | instid1(VALU_DEP_2)
	v_add3_u32 v7, v7, v20, v8
	v_mul_lo_u32 v11, v6, s50
	v_mul_lo_u32 v6, v6, s51
	v_add3_u32 v2, v9, v3, v2
	s_delay_alu instid0(VALU_DEP_3) | instskip(NEXT) | instid1(VALU_DEP_2)
	v_add3_u32 v20, v10, v7, v11
	v_add3_u32 v3, v5, v2, v6
	s_cbranch_scc1 .LBB73_1101
; %bb.1102:
	s_and_b32 s5, s5, 3
	s_delay_alu instid0(SALU_CYCLE_1)
	s_cmp_eq_u32 s5, 0
	s_cbranch_scc0 .LBB73_1105
	s_branch .LBB73_1107
.LBB73_1103:
	s_mov_b32 s4, -1
                                        ; implicit-def: $vgpr20
                                        ; implicit-def: $vgpr3
	s_branch .LBB73_1107
.LBB73_1104:
	v_mov_b32_e32 v1, v21
	v_mov_b32_e32 v3, 0
	s_and_b32 s5, s5, 3
	s_delay_alu instid0(SALU_CYCLE_1)
	s_cmp_eq_u32 s5, 0
	s_cbranch_scc1 .LBB73_1107
.LBB73_1105:
	s_lshl_b32 s0, s6, 3
	s_mul_i32 s2, s6, 12
	s_add_u32 s0, s0, s24
	s_addc_u32 s1, 0, s25
	s_add_u32 s0, s0, 0xc4
	s_addc_u32 s1, s1, 0
	;; [unrolled: 2-line block ×3, first 2 shown]
	.p2align	6
.LBB73_1106:                            ; =>This Inner Loop Header: Depth=1
	s_clause 0x1
	s_load_b64 s[6:7], s[2:3], 0x4
	s_load_b32 s8, s[2:3], 0xc
	s_load_b64 s[12:13], s[0:1], 0x0
	s_add_u32 s2, s2, 12
	s_addc_u32 s3, s3, 0
	s_add_u32 s0, s0, 8
	s_addc_u32 s1, s1, 0
	s_add_i32 s5, s5, -1
	s_delay_alu instid0(SALU_CYCLE_1) | instskip(SKIP_2) | instid1(VALU_DEP_1)
	s_cmp_lg_u32 s5, 0
	s_waitcnt vmcnt(0) lgkmcnt(0)
	v_mul_hi_u32 v2, s7, v1
	v_add_nc_u32_e32 v2, v1, v2
	s_delay_alu instid0(VALU_DEP_1) | instskip(NEXT) | instid1(VALU_DEP_1)
	v_lshrrev_b32_e32 v2, s8, v2
	v_mul_lo_u32 v5, v2, s6
	s_delay_alu instid0(VALU_DEP_1) | instskip(NEXT) | instid1(VALU_DEP_1)
	v_sub_nc_u32_e32 v1, v1, v5
	v_mad_u64_u32 v[5:6], null, v1, s12, v[20:21]
	v_mad_u64_u32 v[6:7], null, v1, s13, v[3:4]
	s_delay_alu instid0(VALU_DEP_2) | instskip(NEXT) | instid1(VALU_DEP_2)
	v_dual_mov_b32 v1, v2 :: v_dual_mov_b32 v20, v5
	v_mov_b32_e32 v3, v6
	s_cbranch_scc1 .LBB73_1106
.LBB73_1107:
	s_and_not1_b32 vcc_lo, exec_lo, s4
	s_cbranch_vccnz .LBB73_1110
; %bb.1108:
	s_clause 0x1
	s_load_b128 s[0:3], s[24:25], 0x4
	s_load_b64 s[4:5], s[24:25], 0xc4
	s_cmp_lt_u32 s9, 2
	s_waitcnt lgkmcnt(0)
	v_mul_hi_u32 v1, s1, v21
	s_delay_alu instid0(VALU_DEP_1) | instskip(NEXT) | instid1(VALU_DEP_1)
	v_add_nc_u32_e32 v1, v21, v1
	v_lshrrev_b32_e32 v1, s2, v1
	s_waitcnt vmcnt(0)
	s_delay_alu instid0(VALU_DEP_1) | instskip(NEXT) | instid1(VALU_DEP_1)
	v_mul_lo_u32 v2, v1, s0
	v_sub_nc_u32_e32 v2, v21, v2
	s_delay_alu instid0(VALU_DEP_1)
	v_mul_lo_u32 v20, v2, s4
	v_mul_lo_u32 v3, v2, s5
	s_cbranch_scc1 .LBB73_1110
; %bb.1109:
	s_clause 0x1
	s_load_b128 s[0:3], s[24:25], 0x10
	s_load_b64 s[4:5], s[24:25], 0xcc
	s_waitcnt lgkmcnt(0)
	v_mul_hi_u32 v2, s1, v1
	s_delay_alu instid0(VALU_DEP_1) | instskip(NEXT) | instid1(VALU_DEP_1)
	v_add_nc_u32_e32 v2, v1, v2
	v_lshrrev_b32_e32 v2, s2, v2
	s_delay_alu instid0(VALU_DEP_1) | instskip(NEXT) | instid1(VALU_DEP_1)
	v_mul_lo_u32 v2, v2, s0
	v_sub_nc_u32_e32 v7, v1, v2
	s_delay_alu instid0(VALU_DEP_1) | instskip(SKIP_1) | instid1(VALU_DEP_2)
	v_mad_u64_u32 v[1:2], null, v7, s4, v[20:21]
	v_mad_u64_u32 v[5:6], null, v7, s5, v[3:4]
	v_mov_b32_e32 v20, v1
	s_delay_alu instid0(VALU_DEP_2)
	v_mov_b32_e32 v3, v5
.LBB73_1110:
	v_cmp_ne_u32_e32 vcc_lo, 1, v0
	v_add_nc_u32_e32 v1, 0x80, v21
	s_cbranch_vccnz .LBB73_1116
; %bb.1111:
	s_waitcnt vmcnt(0)
	v_dual_mov_b32 v19, 0 :: v_dual_mov_b32 v2, 0
	s_cmp_lg_u32 s9, 0
	s_mov_b32 s4, 0
	s_cbranch_scc0 .LBB73_1120
; %bb.1112:
	s_min_u32 s5, s33, 15
	v_mov_b32_e32 v19, 0
	s_add_i32 s5, s5, 1
	s_cmp_eq_u32 s33, 2
	s_mov_b32 s6, 0
	s_cbranch_scc1 .LBB73_1117
; %bb.1113:
	v_dual_mov_b32 v2, 0 :: v_dual_mov_b32 v19, 0
	v_mov_b32_e32 v5, v1
	s_add_u32 s0, s24, 0xc4
	s_addc_u32 s1, s25, 0
	s_and_b32 s6, s5, 28
	s_mov_b32 s7, 0
	s_mov_b64 s[2:3], s[24:25]
.LBB73_1114:                            ; =>This Inner Loop Header: Depth=1
	s_clause 0x1
	s_load_b256 s[36:43], s[2:3], 0x4
	s_load_b128 s[12:15], s[2:3], 0x24
	s_load_b256 s[44:51], s[0:1], 0x0
	s_add_u32 s2, s2, 48
	s_addc_u32 s3, s3, 0
	s_add_i32 s7, s7, 4
	s_add_u32 s0, s0, 32
	s_addc_u32 s1, s1, 0
	s_cmp_lg_u32 s6, s7
	s_waitcnt lgkmcnt(0)
	v_mul_hi_u32 v6, s37, v5
	s_delay_alu instid0(VALU_DEP_1) | instskip(NEXT) | instid1(VALU_DEP_1)
	v_add_nc_u32_e32 v6, v5, v6
	v_lshrrev_b32_e32 v6, s38, v6
	s_delay_alu instid0(VALU_DEP_1) | instskip(SKIP_1) | instid1(VALU_DEP_2)
	v_mul_hi_u32 v7, s40, v6
	v_mul_lo_u32 v9, v6, s36
	v_add_nc_u32_e32 v7, v6, v7
	s_delay_alu instid0(VALU_DEP_2) | instskip(NEXT) | instid1(VALU_DEP_2)
	v_sub_nc_u32_e32 v5, v5, v9
	v_lshrrev_b32_e32 v7, s41, v7
	s_delay_alu instid0(VALU_DEP_2) | instskip(SKIP_1) | instid1(VALU_DEP_3)
	v_mul_lo_u32 v9, v5, s44
	v_mul_lo_u32 v11, v5, s45
	v_mul_hi_u32 v8, s43, v7
	s_delay_alu instid0(VALU_DEP_1) | instskip(NEXT) | instid1(VALU_DEP_1)
	v_add_nc_u32_e32 v8, v7, v8
	v_lshrrev_b32_e32 v8, s12, v8
	s_delay_alu instid0(VALU_DEP_1) | instskip(SKIP_1) | instid1(VALU_DEP_2)
	v_mul_hi_u32 v10, s14, v8
	v_mul_lo_u32 v12, v8, s42
	v_add_nc_u32_e32 v5, v8, v10
	v_mul_lo_u32 v10, v7, s39
	s_delay_alu instid0(VALU_DEP_3) | instskip(NEXT) | instid1(VALU_DEP_3)
	v_sub_nc_u32_e32 v7, v7, v12
	v_lshrrev_b32_e32 v5, s15, v5
	s_delay_alu instid0(VALU_DEP_2) | instskip(SKIP_2) | instid1(VALU_DEP_4)
	v_mul_lo_u32 v12, v7, s48
	v_mul_lo_u32 v7, v7, s49
	v_sub_nc_u32_e32 v6, v6, v10
	v_mul_lo_u32 v13, v5, s13
	s_delay_alu instid0(VALU_DEP_2) | instskip(SKIP_1) | instid1(VALU_DEP_3)
	v_mul_lo_u32 v10, v6, s46
	v_mul_lo_u32 v6, v6, s47
	v_sub_nc_u32_e32 v8, v8, v13
	s_delay_alu instid0(VALU_DEP_3) | instskip(NEXT) | instid1(VALU_DEP_2)
	v_add3_u32 v9, v9, v19, v10
	v_mul_lo_u32 v13, v8, s50
	v_mul_lo_u32 v8, v8, s51
	v_add3_u32 v2, v11, v2, v6
	s_delay_alu instid0(VALU_DEP_3) | instskip(NEXT) | instid1(VALU_DEP_2)
	v_add3_u32 v19, v12, v9, v13
	v_add3_u32 v2, v7, v2, v8
	s_cbranch_scc1 .LBB73_1114
; %bb.1115:
	s_and_b32 s5, s5, 3
	s_delay_alu instid0(SALU_CYCLE_1)
	s_cmp_eq_u32 s5, 0
	s_cbranch_scc0 .LBB73_1118
	s_branch .LBB73_1120
.LBB73_1116:
	s_mov_b32 s4, -1
                                        ; implicit-def: $vgpr19
                                        ; implicit-def: $vgpr2
	s_branch .LBB73_1120
.LBB73_1117:
	v_dual_mov_b32 v5, v1 :: v_dual_mov_b32 v2, 0
	s_and_b32 s5, s5, 3
	s_delay_alu instid0(SALU_CYCLE_1)
	s_cmp_eq_u32 s5, 0
	s_cbranch_scc1 .LBB73_1120
.LBB73_1118:
	s_lshl_b32 s0, s6, 3
	s_mul_i32 s2, s6, 12
	s_add_u32 s0, s0, s24
	s_addc_u32 s1, 0, s25
	s_add_u32 s0, s0, 0xc4
	s_addc_u32 s1, s1, 0
	;; [unrolled: 2-line block ×3, first 2 shown]
	.p2align	6
.LBB73_1119:                            ; =>This Inner Loop Header: Depth=1
	s_clause 0x1
	s_load_b64 s[6:7], s[2:3], 0x4
	s_load_b32 s8, s[2:3], 0xc
	s_load_b64 s[12:13], s[0:1], 0x0
	s_add_u32 s2, s2, 12
	s_addc_u32 s3, s3, 0
	s_add_u32 s0, s0, 8
	s_addc_u32 s1, s1, 0
	s_add_i32 s5, s5, -1
	s_delay_alu instid0(SALU_CYCLE_1) | instskip(SKIP_2) | instid1(VALU_DEP_1)
	s_cmp_lg_u32 s5, 0
	s_waitcnt lgkmcnt(0)
	v_mul_hi_u32 v6, s7, v5
	v_add_nc_u32_e32 v6, v5, v6
	s_delay_alu instid0(VALU_DEP_1) | instskip(NEXT) | instid1(VALU_DEP_1)
	v_lshrrev_b32_e32 v9, s8, v6
	v_mul_lo_u32 v6, v9, s6
	s_delay_alu instid0(VALU_DEP_1) | instskip(NEXT) | instid1(VALU_DEP_1)
	v_sub_nc_u32_e32 v5, v5, v6
	v_mad_u64_u32 v[6:7], null, v5, s12, v[19:20]
	v_mad_u64_u32 v[7:8], null, v5, s13, v[2:3]
	v_mov_b32_e32 v5, v9
	s_delay_alu instid0(VALU_DEP_2)
	v_dual_mov_b32 v19, v6 :: v_dual_mov_b32 v2, v7
	s_cbranch_scc1 .LBB73_1119
.LBB73_1120:
	s_and_not1_b32 vcc_lo, exec_lo, s4
	s_cbranch_vccnz .LBB73_1123
; %bb.1121:
	s_clause 0x1
	s_load_b128 s[0:3], s[24:25], 0x4
	s_load_b64 s[4:5], s[24:25], 0xc4
	s_cmp_lt_u32 s9, 2
	s_waitcnt vmcnt(0) lgkmcnt(0)
	v_mul_hi_u32 v2, s1, v1
	s_delay_alu instid0(VALU_DEP_1) | instskip(NEXT) | instid1(VALU_DEP_1)
	v_add_nc_u32_e32 v2, v1, v2
	v_lshrrev_b32_e32 v5, s2, v2
	s_delay_alu instid0(VALU_DEP_1) | instskip(NEXT) | instid1(VALU_DEP_1)
	v_mul_lo_u32 v2, v5, s0
	v_sub_nc_u32_e32 v1, v1, v2
	s_delay_alu instid0(VALU_DEP_1)
	v_mul_lo_u32 v19, v1, s4
	v_mul_lo_u32 v2, v1, s5
	s_cbranch_scc1 .LBB73_1123
; %bb.1122:
	s_clause 0x1
	s_load_b128 s[0:3], s[24:25], 0x10
	s_load_b64 s[4:5], s[24:25], 0xcc
	s_waitcnt lgkmcnt(0)
	v_mul_hi_u32 v1, s1, v5
	s_delay_alu instid0(VALU_DEP_1) | instskip(NEXT) | instid1(VALU_DEP_1)
	v_add_nc_u32_e32 v1, v5, v1
	v_lshrrev_b32_e32 v1, s2, v1
	s_delay_alu instid0(VALU_DEP_1) | instskip(NEXT) | instid1(VALU_DEP_1)
	v_mul_lo_u32 v1, v1, s0
	v_sub_nc_u32_e32 v1, v5, v1
	s_delay_alu instid0(VALU_DEP_1) | instskip(SKIP_1) | instid1(VALU_DEP_1)
	v_mad_u64_u32 v[5:6], null, v1, s4, v[19:20]
	v_mad_u64_u32 v[6:7], null, v1, s5, v[2:3]
	v_dual_mov_b32 v19, v5 :: v_dual_mov_b32 v2, v6
.LBB73_1123:
	v_cmp_ne_u32_e32 vcc_lo, 1, v0
	v_add_nc_u32_e32 v5, 0x100, v21
	s_cbranch_vccnz .LBB73_1129
; %bb.1124:
	v_dual_mov_b32 v18, 0 :: v_dual_mov_b32 v1, 0
	s_cmp_lg_u32 s9, 0
	s_mov_b32 s4, 0
	s_cbranch_scc0 .LBB73_1133
; %bb.1125:
	s_min_u32 s5, s33, 15
	v_mov_b32_e32 v18, 0
	s_add_i32 s5, s5, 1
	s_cmp_eq_u32 s33, 2
	s_mov_b32 s6, 0
	s_cbranch_scc1 .LBB73_1130
; %bb.1126:
	v_dual_mov_b32 v1, 0 :: v_dual_mov_b32 v18, 0
	v_mov_b32_e32 v6, v5
	s_add_u32 s0, s24, 0xc4
	s_addc_u32 s1, s25, 0
	s_and_b32 s6, s5, 28
	s_mov_b32 s7, 0
	s_mov_b64 s[2:3], s[24:25]
.LBB73_1127:                            ; =>This Inner Loop Header: Depth=1
	s_clause 0x1
	s_load_b256 s[36:43], s[2:3], 0x4
	s_load_b128 s[12:15], s[2:3], 0x24
	s_load_b256 s[44:51], s[0:1], 0x0
	s_add_u32 s2, s2, 48
	s_addc_u32 s3, s3, 0
	s_add_i32 s7, s7, 4
	s_add_u32 s0, s0, 32
	s_addc_u32 s1, s1, 0
	s_cmp_lg_u32 s6, s7
	s_waitcnt lgkmcnt(0)
	v_mul_hi_u32 v7, s37, v6
	s_delay_alu instid0(VALU_DEP_1) | instskip(NEXT) | instid1(VALU_DEP_1)
	v_add_nc_u32_e32 v7, v6, v7
	v_lshrrev_b32_e32 v7, s38, v7
	s_delay_alu instid0(VALU_DEP_1) | instskip(SKIP_1) | instid1(VALU_DEP_2)
	v_mul_hi_u32 v8, s40, v7
	v_mul_lo_u32 v10, v7, s36
	v_add_nc_u32_e32 v8, v7, v8
	s_delay_alu instid0(VALU_DEP_2) | instskip(NEXT) | instid1(VALU_DEP_2)
	v_sub_nc_u32_e32 v6, v6, v10
	v_lshrrev_b32_e32 v8, s41, v8
	s_delay_alu instid0(VALU_DEP_2) | instskip(SKIP_1) | instid1(VALU_DEP_3)
	v_mul_lo_u32 v10, v6, s44
	v_mul_lo_u32 v12, v6, s45
	v_mul_hi_u32 v9, s43, v8
	s_delay_alu instid0(VALU_DEP_1) | instskip(NEXT) | instid1(VALU_DEP_1)
	v_add_nc_u32_e32 v9, v8, v9
	v_lshrrev_b32_e32 v9, s12, v9
	s_delay_alu instid0(VALU_DEP_1) | instskip(SKIP_1) | instid1(VALU_DEP_2)
	v_mul_hi_u32 v11, s14, v9
	v_mul_lo_u32 v13, v9, s42
	v_add_nc_u32_e32 v6, v9, v11
	v_mul_lo_u32 v11, v8, s39
	s_delay_alu instid0(VALU_DEP_3) | instskip(NEXT) | instid1(VALU_DEP_3)
	v_sub_nc_u32_e32 v8, v8, v13
	v_lshrrev_b32_e32 v6, s15, v6
	s_delay_alu instid0(VALU_DEP_2) | instskip(SKIP_2) | instid1(VALU_DEP_4)
	v_mul_lo_u32 v13, v8, s48
	v_mul_lo_u32 v8, v8, s49
	v_sub_nc_u32_e32 v7, v7, v11
	v_mul_lo_u32 v14, v6, s13
	s_delay_alu instid0(VALU_DEP_2) | instskip(SKIP_1) | instid1(VALU_DEP_3)
	v_mul_lo_u32 v11, v7, s46
	v_mul_lo_u32 v7, v7, s47
	v_sub_nc_u32_e32 v9, v9, v14
	s_delay_alu instid0(VALU_DEP_3) | instskip(NEXT) | instid1(VALU_DEP_2)
	v_add3_u32 v10, v10, v18, v11
	v_mul_lo_u32 v14, v9, s50
	v_mul_lo_u32 v9, v9, s51
	v_add3_u32 v1, v12, v1, v7
	s_delay_alu instid0(VALU_DEP_3) | instskip(NEXT) | instid1(VALU_DEP_2)
	v_add3_u32 v18, v13, v10, v14
	v_add3_u32 v1, v8, v1, v9
	s_cbranch_scc1 .LBB73_1127
; %bb.1128:
	s_and_b32 s5, s5, 3
	s_delay_alu instid0(SALU_CYCLE_1)
	s_cmp_eq_u32 s5, 0
	s_cbranch_scc0 .LBB73_1131
	s_branch .LBB73_1133
.LBB73_1129:
	s_mov_b32 s4, -1
                                        ; implicit-def: $vgpr18
                                        ; implicit-def: $vgpr1
	s_branch .LBB73_1133
.LBB73_1130:
	v_dual_mov_b32 v6, v5 :: v_dual_mov_b32 v1, 0
	s_and_b32 s5, s5, 3
	s_delay_alu instid0(SALU_CYCLE_1)
	s_cmp_eq_u32 s5, 0
	s_cbranch_scc1 .LBB73_1133
.LBB73_1131:
	s_lshl_b32 s0, s6, 3
	s_mul_i32 s2, s6, 12
	s_add_u32 s0, s0, s24
	s_addc_u32 s1, 0, s25
	s_add_u32 s0, s0, 0xc4
	s_addc_u32 s1, s1, 0
	;; [unrolled: 2-line block ×3, first 2 shown]
	.p2align	6
.LBB73_1132:                            ; =>This Inner Loop Header: Depth=1
	s_clause 0x1
	s_load_b64 s[6:7], s[2:3], 0x4
	s_load_b32 s8, s[2:3], 0xc
	s_load_b64 s[12:13], s[0:1], 0x0
	s_add_u32 s2, s2, 12
	s_addc_u32 s3, s3, 0
	s_add_u32 s0, s0, 8
	s_addc_u32 s1, s1, 0
	s_add_i32 s5, s5, -1
	s_delay_alu instid0(SALU_CYCLE_1) | instskip(SKIP_2) | instid1(VALU_DEP_1)
	s_cmp_lg_u32 s5, 0
	s_waitcnt lgkmcnt(0)
	v_mul_hi_u32 v7, s7, v6
	v_add_nc_u32_e32 v7, v6, v7
	s_delay_alu instid0(VALU_DEP_1) | instskip(NEXT) | instid1(VALU_DEP_1)
	v_lshrrev_b32_e32 v10, s8, v7
	v_mul_lo_u32 v7, v10, s6
	s_delay_alu instid0(VALU_DEP_1) | instskip(NEXT) | instid1(VALU_DEP_1)
	v_sub_nc_u32_e32 v6, v6, v7
	v_mad_u64_u32 v[7:8], null, v6, s12, v[18:19]
	s_waitcnt vmcnt(0)
	v_mad_u64_u32 v[8:9], null, v6, s13, v[1:2]
	v_mov_b32_e32 v6, v10
	s_delay_alu instid0(VALU_DEP_2)
	v_dual_mov_b32 v18, v7 :: v_dual_mov_b32 v1, v8
	s_cbranch_scc1 .LBB73_1132
.LBB73_1133:
	s_and_not1_b32 vcc_lo, exec_lo, s4
	s_cbranch_vccnz .LBB73_1136
; %bb.1134:
	s_clause 0x1
	s_load_b128 s[0:3], s[24:25], 0x4
	s_load_b64 s[4:5], s[24:25], 0xc4
	s_cmp_lt_u32 s9, 2
	s_waitcnt lgkmcnt(0)
	v_mul_hi_u32 v1, s1, v5
	s_delay_alu instid0(VALU_DEP_1) | instskip(NEXT) | instid1(VALU_DEP_1)
	v_add_nc_u32_e32 v1, v5, v1
	v_lshrrev_b32_e32 v6, s2, v1
	s_delay_alu instid0(VALU_DEP_1) | instskip(NEXT) | instid1(VALU_DEP_1)
	v_mul_lo_u32 v1, v6, s0
	v_sub_nc_u32_e32 v1, v5, v1
	s_delay_alu instid0(VALU_DEP_1)
	v_mul_lo_u32 v18, v1, s4
	v_mul_lo_u32 v1, v1, s5
	s_cbranch_scc1 .LBB73_1136
; %bb.1135:
	s_clause 0x1
	s_load_b128 s[0:3], s[24:25], 0x10
	s_load_b64 s[4:5], s[24:25], 0xcc
	s_waitcnt lgkmcnt(0)
	v_mul_hi_u32 v5, s1, v6
	s_delay_alu instid0(VALU_DEP_1) | instskip(NEXT) | instid1(VALU_DEP_1)
	v_add_nc_u32_e32 v5, v6, v5
	v_lshrrev_b32_e32 v5, s2, v5
	s_delay_alu instid0(VALU_DEP_1) | instskip(NEXT) | instid1(VALU_DEP_1)
	v_mul_lo_u32 v5, v5, s0
	v_sub_nc_u32_e32 v8, v6, v5
	s_delay_alu instid0(VALU_DEP_1) | instskip(SKIP_2) | instid1(VALU_DEP_1)
	v_mad_u64_u32 v[5:6], null, v8, s4, v[18:19]
	s_waitcnt vmcnt(0)
	v_mad_u64_u32 v[6:7], null, v8, s5, v[1:2]
	v_dual_mov_b32 v18, v5 :: v_dual_mov_b32 v1, v6
.LBB73_1136:
	v_cmp_ne_u32_e32 vcc_lo, 1, v0
	s_cbranch_vccnz .LBB73_1142
; %bb.1137:
	v_dual_mov_b32 v17, 0 :: v_dual_mov_b32 v0, 0
	s_cmp_lg_u32 s9, 0
	s_mov_b32 s4, 0
	s_cbranch_scc0 .LBB73_1146
; %bb.1138:
	s_min_u32 s5, s33, 15
	v_mov_b32_e32 v17, 0
	s_add_i32 s5, s5, 1
	s_cmp_eq_u32 s33, 2
	s_mov_b32 s6, 0
	s_cbranch_scc1 .LBB73_1143
; %bb.1139:
	v_dual_mov_b32 v0, 0 :: v_dual_mov_b32 v17, 0
	s_waitcnt vmcnt(0)
	v_mov_b32_e32 v5, v4
	s_add_u32 s0, s24, 0xc4
	s_addc_u32 s1, s25, 0
	s_and_b32 s6, s5, 28
	s_mov_b32 s7, 0
	s_mov_b64 s[2:3], s[24:25]
.LBB73_1140:                            ; =>This Inner Loop Header: Depth=1
	s_clause 0x1
	s_load_b256 s[36:43], s[2:3], 0x4
	s_load_b128 s[12:15], s[2:3], 0x24
	s_load_b256 s[44:51], s[0:1], 0x0
	s_add_u32 s2, s2, 48
	s_addc_u32 s3, s3, 0
	s_add_i32 s7, s7, 4
	s_add_u32 s0, s0, 32
	s_addc_u32 s1, s1, 0
	s_cmp_lg_u32 s6, s7
	s_waitcnt lgkmcnt(0)
	v_mul_hi_u32 v6, s37, v5
	s_delay_alu instid0(VALU_DEP_1) | instskip(NEXT) | instid1(VALU_DEP_1)
	v_add_nc_u32_e32 v6, v5, v6
	v_lshrrev_b32_e32 v6, s38, v6
	s_delay_alu instid0(VALU_DEP_1) | instskip(SKIP_1) | instid1(VALU_DEP_2)
	v_mul_hi_u32 v7, s40, v6
	v_mul_lo_u32 v9, v6, s36
	v_add_nc_u32_e32 v7, v6, v7
	s_delay_alu instid0(VALU_DEP_2) | instskip(NEXT) | instid1(VALU_DEP_2)
	v_sub_nc_u32_e32 v5, v5, v9
	v_lshrrev_b32_e32 v7, s41, v7
	s_delay_alu instid0(VALU_DEP_2) | instskip(SKIP_1) | instid1(VALU_DEP_3)
	v_mul_lo_u32 v9, v5, s44
	v_mul_lo_u32 v11, v5, s45
	v_mul_hi_u32 v8, s43, v7
	s_delay_alu instid0(VALU_DEP_1) | instskip(NEXT) | instid1(VALU_DEP_1)
	v_add_nc_u32_e32 v8, v7, v8
	v_lshrrev_b32_e32 v8, s12, v8
	s_delay_alu instid0(VALU_DEP_1) | instskip(SKIP_1) | instid1(VALU_DEP_2)
	v_mul_hi_u32 v10, s14, v8
	v_mul_lo_u32 v12, v8, s42
	v_add_nc_u32_e32 v5, v8, v10
	v_mul_lo_u32 v10, v7, s39
	s_delay_alu instid0(VALU_DEP_3) | instskip(NEXT) | instid1(VALU_DEP_3)
	v_sub_nc_u32_e32 v7, v7, v12
	v_lshrrev_b32_e32 v5, s15, v5
	s_delay_alu instid0(VALU_DEP_2) | instskip(SKIP_2) | instid1(VALU_DEP_4)
	v_mul_lo_u32 v12, v7, s48
	v_mul_lo_u32 v7, v7, s49
	v_sub_nc_u32_e32 v6, v6, v10
	v_mul_lo_u32 v13, v5, s13
	s_delay_alu instid0(VALU_DEP_2) | instskip(SKIP_1) | instid1(VALU_DEP_3)
	v_mul_lo_u32 v10, v6, s46
	v_mul_lo_u32 v6, v6, s47
	v_sub_nc_u32_e32 v8, v8, v13
	s_delay_alu instid0(VALU_DEP_3) | instskip(NEXT) | instid1(VALU_DEP_2)
	v_add3_u32 v9, v9, v17, v10
	v_mul_lo_u32 v13, v8, s50
	v_mul_lo_u32 v8, v8, s51
	v_add3_u32 v0, v11, v0, v6
	s_delay_alu instid0(VALU_DEP_3) | instskip(NEXT) | instid1(VALU_DEP_2)
	v_add3_u32 v17, v12, v9, v13
	v_add3_u32 v0, v7, v0, v8
	s_cbranch_scc1 .LBB73_1140
; %bb.1141:
	s_and_b32 s5, s5, 3
	s_delay_alu instid0(SALU_CYCLE_1)
	s_cmp_eq_u32 s5, 0
	s_cbranch_scc0 .LBB73_1144
	s_branch .LBB73_1146
.LBB73_1142:
	s_mov_b32 s4, -1
                                        ; implicit-def: $vgpr17
                                        ; implicit-def: $vgpr0
	s_branch .LBB73_1146
.LBB73_1143:
	s_waitcnt vmcnt(0)
	v_dual_mov_b32 v5, v4 :: v_dual_mov_b32 v0, 0
	s_and_b32 s5, s5, 3
	s_delay_alu instid0(SALU_CYCLE_1)
	s_cmp_eq_u32 s5, 0
	s_cbranch_scc1 .LBB73_1146
.LBB73_1144:
	s_lshl_b32 s0, s6, 3
	s_mul_i32 s2, s6, 12
	s_add_u32 s0, s0, s24
	s_addc_u32 s1, 0, s25
	s_add_u32 s0, s0, 0xc4
	s_addc_u32 s1, s1, 0
	;; [unrolled: 2-line block ×3, first 2 shown]
	.p2align	6
.LBB73_1145:                            ; =>This Inner Loop Header: Depth=1
	s_clause 0x1
	s_load_b64 s[6:7], s[2:3], 0x4
	s_load_b32 s8, s[2:3], 0xc
	s_load_b64 s[12:13], s[0:1], 0x0
	s_add_u32 s2, s2, 12
	s_addc_u32 s3, s3, 0
	s_add_u32 s0, s0, 8
	s_addc_u32 s1, s1, 0
	s_add_i32 s5, s5, -1
	s_delay_alu instid0(SALU_CYCLE_1) | instskip(SKIP_2) | instid1(VALU_DEP_1)
	s_cmp_lg_u32 s5, 0
	s_waitcnt lgkmcnt(0)
	v_mul_hi_u32 v6, s7, v5
	v_add_nc_u32_e32 v6, v5, v6
	s_delay_alu instid0(VALU_DEP_1) | instskip(NEXT) | instid1(VALU_DEP_1)
	v_lshrrev_b32_e32 v9, s8, v6
	v_mul_lo_u32 v6, v9, s6
	s_delay_alu instid0(VALU_DEP_1) | instskip(NEXT) | instid1(VALU_DEP_1)
	v_sub_nc_u32_e32 v5, v5, v6
	v_mad_u64_u32 v[6:7], null, v5, s12, v[17:18]
	v_mad_u64_u32 v[7:8], null, v5, s13, v[0:1]
	v_mov_b32_e32 v5, v9
	s_delay_alu instid0(VALU_DEP_2)
	v_dual_mov_b32 v17, v6 :: v_dual_mov_b32 v0, v7
	s_cbranch_scc1 .LBB73_1145
.LBB73_1146:
	s_and_not1_b32 vcc_lo, exec_lo, s4
	s_cbranch_vccnz .LBB73_1149
; %bb.1147:
	s_clause 0x1
	s_load_b128 s[0:3], s[24:25], 0x4
	s_load_b64 s[4:5], s[24:25], 0xc4
	s_cmp_lt_u32 s9, 2
	s_waitcnt vmcnt(0) lgkmcnt(0)
	v_mul_hi_u32 v0, s1, v4
	s_delay_alu instid0(VALU_DEP_1) | instskip(NEXT) | instid1(VALU_DEP_1)
	v_add_nc_u32_e32 v0, v4, v0
	v_lshrrev_b32_e32 v5, s2, v0
	s_delay_alu instid0(VALU_DEP_1) | instskip(NEXT) | instid1(VALU_DEP_1)
	v_mul_lo_u32 v0, v5, s0
	v_sub_nc_u32_e32 v0, v4, v0
	s_delay_alu instid0(VALU_DEP_1)
	v_mul_lo_u32 v17, v0, s4
	v_mul_lo_u32 v0, v0, s5
	s_cbranch_scc1 .LBB73_1149
; %bb.1148:
	s_clause 0x1
	s_load_b128 s[0:3], s[24:25], 0x10
	s_load_b64 s[4:5], s[24:25], 0xcc
	s_waitcnt lgkmcnt(0)
	v_mul_hi_u32 v4, s1, v5
	s_delay_alu instid0(VALU_DEP_1) | instskip(NEXT) | instid1(VALU_DEP_1)
	v_add_nc_u32_e32 v4, v5, v4
	v_lshrrev_b32_e32 v4, s2, v4
	s_delay_alu instid0(VALU_DEP_1) | instskip(NEXT) | instid1(VALU_DEP_1)
	v_mul_lo_u32 v4, v4, s0
	v_sub_nc_u32_e32 v7, v5, v4
	s_delay_alu instid0(VALU_DEP_1) | instskip(SKIP_1) | instid1(VALU_DEP_1)
	v_mad_u64_u32 v[4:5], null, v7, s4, v[17:18]
	v_mad_u64_u32 v[5:6], null, v7, s5, v[0:1]
	v_dual_mov_b32 v17, v4 :: v_dual_mov_b32 v0, v5
.LBB73_1149:
	s_clause 0x1
	s_load_b32 s0, s[10:11], 0x160
	s_load_b128 s[12:15], s[24:25], 0x148
	s_mov_b32 s3, 0
	s_waitcnt lgkmcnt(0)
	s_lshr_b32 s1, s0, 16
	s_delay_alu instid0(SALU_CYCLE_1) | instskip(SKIP_3) | instid1(VALU_DEP_3)
	v_and_b32_e64 v5, 0xff, s1
	v_add_co_u32 v3, s1, s14, v3
	s_waitcnt vmcnt(0)
	v_add_co_ci_u32_e64 v4, null, s15, 0, s1
	v_cmp_gt_i16_e32 vcc_lo, 11, v5
	s_cbranch_vccnz .LBB73_1156
; %bb.1150:
	v_cmp_lt_i16_e32 vcc_lo, 25, v5
	s_mov_b32 s2, 0
	s_cbranch_vccz .LBB73_1162
; %bb.1151:
	v_cmp_lt_i16_e32 vcc_lo, 28, v5
	s_cbranch_vccz .LBB73_1165
; %bb.1152:
	v_cmp_lt_i16_e32 vcc_lo, 43, v5
	;; [unrolled: 3-line block ×3, first 2 shown]
	s_cbranch_vccz .LBB73_1171
; %bb.1154:
	v_cmp_eq_u16_e32 vcc_lo, 46, v5
	s_mov_b32 s4, 0
	s_cbranch_vccz .LBB73_1214
; %bb.1155:
	global_load_b32 v6, v[3:4], off
	s_mov_b32 s1, 0
	s_mov_b32 s3, -1
	s_waitcnt vmcnt(0)
	v_lshlrev_b32_e32 v7, 16, v6
	v_and_b32_e32 v8, 0xffff0000, v6
	s_delay_alu instid0(VALU_DEP_2) | instskip(NEXT) | instid1(VALU_DEP_2)
	v_cvt_f16_f32_e32 v6, v7
	v_cvt_f16_f32_e32 v7, v8
	s_branch .LBB73_1216
.LBB73_1156:
	s_mov_b32 s9, s16
                                        ; implicit-def: $vgpr7
                                        ; implicit-def: $vgpr6
	s_cbranch_execz .LBB73_1282
; %bb.1157:
	v_cmp_gt_i16_e32 vcc_lo, 5, v5
	s_cbranch_vccnz .LBB73_1163
; %bb.1158:
	v_cmp_gt_i16_e32 vcc_lo, 8, v5
	s_cbranch_vccnz .LBB73_1166
	;; [unrolled: 3-line block ×3, first 2 shown]
; %bb.1160:
	v_cmp_lt_i16_e32 vcc_lo, 9, v5
	s_cbranch_vccz .LBB73_1172
; %bb.1161:
	global_load_b128 v[6:9], v[3:4], off
	s_mov_b32 s1, 0
	s_waitcnt vmcnt(0)
	v_cvt_f32_f64_e32 v6, v[6:7]
	v_cvt_f32_f64_e32 v7, v[8:9]
	s_delay_alu instid0(VALU_DEP_2) | instskip(NEXT) | instid1(VALU_DEP_2)
	v_cvt_f16_f32_e32 v6, v6
	v_cvt_f16_f32_e32 v7, v7
	s_branch .LBB73_1173
.LBB73_1162:
	s_mov_b32 s1, 0
                                        ; implicit-def: $vgpr7
                                        ; implicit-def: $vgpr6
	s_cbranch_execnz .LBB73_1248
	s_branch .LBB73_1278
.LBB73_1163:
                                        ; implicit-def: $vgpr7
                                        ; implicit-def: $vgpr6
	s_branch .LBB73_1191
.LBB73_1164:
	s_branch .LBB73_1283
.LBB73_1165:
	s_mov_b32 s1, 0
                                        ; implicit-def: $vgpr7
                                        ; implicit-def: $vgpr6
	s_cbranch_execnz .LBB73_1228
	s_branch .LBB73_1247
.LBB73_1166:
                                        ; implicit-def: $vgpr7
                                        ; implicit-def: $vgpr6
	s_branch .LBB73_1179
.LBB73_1167:
	s_mov_b32 s4, -1
	s_mov_b32 s1, 0
                                        ; implicit-def: $vgpr7
                                        ; implicit-def: $vgpr6
	s_branch .LBB73_1222
.LBB73_1168:
	s_mov_b32 s1, -1
                                        ; implicit-def: $vgpr7
                                        ; implicit-def: $vgpr6
	s_branch .LBB73_1176
.LBB73_1169:
	s_cbranch_execnz .LBB73_1212
; %bb.1170:
	s_or_b32 s14, s14, exec_lo
	s_and_not1_b32 s2, s2, exec_lo
	s_or_b32 exec_lo, exec_lo, s0
	s_and_saveexec_b32 s0, s2
	s_delay_alu instid0(SALU_CYCLE_1)
	s_xor_b32 s0, exec_lo, s0
	s_cbranch_execnz .LBB73_1056
	s_branch .LBB73_1057
.LBB73_1171:
	s_mov_b32 s4, -1
	s_mov_b32 s1, 0
	s_branch .LBB73_1215
.LBB73_1172:
	s_mov_b32 s1, -1
                                        ; implicit-def: $vgpr7
                                        ; implicit-def: $vgpr6
.LBB73_1173:
	s_delay_alu instid0(SALU_CYCLE_1)
	s_and_not1_b32 vcc_lo, exec_lo, s1
	s_cbranch_vccnz .LBB73_1175
; %bb.1174:
	global_load_b64 v[6:7], v[3:4], off
	s_waitcnt vmcnt(0)
	v_cvt_f16_f32_e32 v6, v6
	v_cvt_f16_f32_e32 v7, v7
.LBB73_1175:
	s_mov_b32 s1, 0
.LBB73_1176:
	s_delay_alu instid0(SALU_CYCLE_1)
	s_and_not1_b32 vcc_lo, exec_lo, s1
	s_cbranch_vccnz .LBB73_1178
; %bb.1177:
	global_load_b32 v6, v[3:4], off
	s_waitcnt vmcnt(0)
	v_lshrrev_b32_e32 v7, 16, v6
.LBB73_1178:
	s_cbranch_execnz .LBB73_1190
.LBB73_1179:
	v_cmp_gt_i16_e32 vcc_lo, 6, v5
	s_cbranch_vccnz .LBB73_1182
; %bb.1180:
	v_cmp_lt_i16_e32 vcc_lo, 6, v5
	s_cbranch_vccz .LBB73_1183
; %bb.1181:
	global_load_b64 v[6:7], v[3:4], off
	s_mov_b32 s2, 0
	s_mov_b32 s1, 0
	s_waitcnt vmcnt(0)
	v_cvt_f32_f64_e32 v6, v[6:7]
	s_delay_alu instid0(VALU_DEP_1)
	v_cvt_f16_f32_e32 v6, v6
	s_branch .LBB73_1184
.LBB73_1182:
	s_mov_b32 s2, -1
                                        ; implicit-def: $sgpr1
                                        ; implicit-def: $vgpr6
	s_branch .LBB73_1187
.LBB73_1183:
	s_mov_b32 s2, -1
                                        ; implicit-def: $sgpr1
                                        ; implicit-def: $vgpr6
.LBB73_1184:
	s_delay_alu instid0(SALU_CYCLE_1)
	s_and_not1_b32 vcc_lo, exec_lo, s2
	s_cbranch_vccnz .LBB73_1186
; %bb.1185:
	global_load_b32 v6, v[3:4], off
	s_mov_b32 s1, 0
	s_waitcnt vmcnt(0)
	v_cvt_f16_f32_e32 v6, v6
.LBB73_1186:
	s_mov_b32 s2, 0
.LBB73_1187:
	s_delay_alu instid0(SALU_CYCLE_1)
	s_and_not1_b32 vcc_lo, exec_lo, s2
	s_cbranch_vccnz .LBB73_1189
; %bb.1188:
	global_load_u16 v6, v[3:4], off
	s_mov_b32 s1, 0
.LBB73_1189:
	s_delay_alu instid0(SALU_CYCLE_1)
	v_mov_b32_e32 v7, s1
.LBB73_1190:
	s_cbranch_execnz .LBB73_1164
.LBB73_1191:
	v_cmp_gt_i16_e32 vcc_lo, 2, v5
	s_cbranch_vccnz .LBB73_1195
; %bb.1192:
	v_cmp_gt_i16_e32 vcc_lo, 3, v5
	s_cbranch_vccnz .LBB73_1196
; %bb.1193:
	v_cmp_lt_i16_e32 vcc_lo, 3, v5
	s_cbranch_vccz .LBB73_1197
; %bb.1194:
	global_load_b64 v[6:7], v[3:4], off
	s_mov_b32 s2, 0
	s_mov_b32 s1, 0
	s_waitcnt vmcnt(0)
	v_xor_b32_e32 v8, v6, v7
	v_cls_i32_e32 v9, v7
	s_delay_alu instid0(VALU_DEP_2) | instskip(NEXT) | instid1(VALU_DEP_2)
	v_ashrrev_i32_e32 v8, 31, v8
	v_add_nc_u32_e32 v9, -1, v9
	s_delay_alu instid0(VALU_DEP_2) | instskip(NEXT) | instid1(VALU_DEP_1)
	v_add_nc_u32_e32 v8, 32, v8
	v_min_u32_e32 v8, v9, v8
	s_delay_alu instid0(VALU_DEP_1) | instskip(NEXT) | instid1(VALU_DEP_1)
	v_lshlrev_b64 v[6:7], v8, v[6:7]
	v_min_u32_e32 v6, 1, v6
	s_delay_alu instid0(VALU_DEP_1) | instskip(SKIP_1) | instid1(VALU_DEP_2)
	v_or_b32_e32 v6, v7, v6
	v_sub_nc_u32_e32 v7, 32, v8
	v_cvt_f32_i32_e32 v6, v6
	s_delay_alu instid0(VALU_DEP_1) | instskip(NEXT) | instid1(VALU_DEP_1)
	v_ldexp_f32 v6, v6, v7
	v_cvt_f16_f32_e32 v6, v6
	s_branch .LBB73_1198
.LBB73_1195:
                                        ; implicit-def: $sgpr1
                                        ; implicit-def: $vgpr6
	s_branch .LBB73_1204
.LBB73_1196:
	s_mov_b32 s2, -1
                                        ; implicit-def: $sgpr1
                                        ; implicit-def: $vgpr6
	s_branch .LBB73_1201
.LBB73_1197:
	s_mov_b32 s2, -1
                                        ; implicit-def: $sgpr1
                                        ; implicit-def: $vgpr6
.LBB73_1198:
	s_delay_alu instid0(SALU_CYCLE_1)
	s_and_not1_b32 vcc_lo, exec_lo, s2
	s_cbranch_vccnz .LBB73_1200
; %bb.1199:
	global_load_b32 v6, v[3:4], off
	s_mov_b32 s1, 0
	s_waitcnt vmcnt(0)
	v_cvt_f32_i32_e32 v6, v6
	s_delay_alu instid0(VALU_DEP_1)
	v_cvt_f16_f32_e32 v6, v6
.LBB73_1200:
	s_mov_b32 s2, 0
.LBB73_1201:
	s_delay_alu instid0(SALU_CYCLE_1)
	s_and_not1_b32 vcc_lo, exec_lo, s2
	s_cbranch_vccnz .LBB73_1203
; %bb.1202:
	global_load_u16 v6, v[3:4], off
	s_mov_b32 s1, 0
	s_waitcnt vmcnt(0)
	v_cvt_f16_i16_e32 v6, v6
.LBB73_1203:
	s_cbranch_execnz .LBB73_1209
.LBB73_1204:
	v_cmp_lt_i16_e32 vcc_lo, 0, v5
	s_mov_b32 s2, 0
	s_cbranch_vccz .LBB73_1206
; %bb.1205:
	global_load_i8 v6, v[3:4], off
	s_mov_b32 s1, 0
	s_waitcnt vmcnt(0)
	v_cvt_f16_i16_e32 v6, v6
	s_branch .LBB73_1207
.LBB73_1206:
	s_mov_b32 s2, -1
                                        ; implicit-def: $sgpr1
                                        ; implicit-def: $vgpr6
.LBB73_1207:
	s_delay_alu instid0(SALU_CYCLE_1)
	s_and_not1_b32 vcc_lo, exec_lo, s2
	s_cbranch_vccnz .LBB73_1209
; %bb.1208:
	global_load_u8 v3, v[3:4], off
	s_mov_b32 s1, 0
	s_waitcnt vmcnt(0)
	v_cvt_f16_u16_e32 v6, v3
.LBB73_1209:
	v_mov_b32_e32 v7, s1
	s_branch .LBB73_1283
.LBB73_1210:
	s_trap 2
	s_sendmsg_rtn_b32 s0, sendmsg(MSG_RTN_GET_DOORBELL)
	s_mov_b32 ttmp2, m0
	s_waitcnt lgkmcnt(0)
	s_and_b32 s0, s0, 0x3ff
	s_delay_alu instid0(SALU_CYCLE_1) | instskip(NEXT) | instid1(SALU_CYCLE_1)
	s_bitset1_b32 s0, 10
	s_mov_b32 m0, s0
	s_sendmsg sendmsg(MSG_INTERRUPT)
	s_mov_b32 m0, ttmp2
.LBB73_1211:                            ; =>This Inner Loop Header: Depth=1
	s_sethalt 5
	s_branch .LBB73_1211
.LBB73_1212:
	s_trap 2
	s_sendmsg_rtn_b32 s0, sendmsg(MSG_RTN_GET_DOORBELL)
	s_mov_b32 ttmp2, m0
	s_waitcnt lgkmcnt(0)
	s_and_b32 s0, s0, 0x3ff
	s_delay_alu instid0(SALU_CYCLE_1) | instskip(NEXT) | instid1(SALU_CYCLE_1)
	s_bitset1_b32 s0, 10
	s_mov_b32 m0, s0
	s_sendmsg sendmsg(MSG_INTERRUPT)
	s_mov_b32 m0, ttmp2
.LBB73_1213:                            ; =>This Inner Loop Header: Depth=1
	s_sethalt 5
	s_branch .LBB73_1213
.LBB73_1214:
	s_mov_b32 s1, -1
.LBB73_1215:
                                        ; implicit-def: $vgpr7
                                        ; implicit-def: $vgpr6
.LBB73_1216:
	s_and_b32 vcc_lo, exec_lo, s4
	s_cbranch_vccz .LBB73_1221
; %bb.1217:
	v_cmp_eq_u16_e32 vcc_lo, 44, v5
	s_cbranch_vccz .LBB73_1219
; %bb.1218:
	global_load_u8 v6, v[3:4], off
	s_mov_b32 s1, 0
	s_mov_b32 s3, -1
	s_waitcnt vmcnt(0)
	v_lshlrev_b32_e32 v7, 23, v6
	v_cmp_ne_u32_e32 vcc_lo, 0xff, v6
	s_delay_alu instid0(VALU_DEP_2) | instskip(NEXT) | instid1(VALU_DEP_1)
	v_cvt_f16_f32_e32 v7, v7
	v_cndmask_b32_e32 v7, 0x7e00, v7, vcc_lo
	v_cmp_ne_u32_e32 vcc_lo, 0, v6
	s_delay_alu instid0(VALU_DEP_2)
	v_cndmask_b32_e32 v6, 0, v7, vcc_lo
	s_branch .LBB73_1220
.LBB73_1219:
	s_mov_b32 s1, -1
                                        ; implicit-def: $vgpr6
.LBB73_1220:
	s_delay_alu instid0(SALU_CYCLE_1)
	v_mov_b32_e32 v7, s1
.LBB73_1221:
	s_mov_b32 s4, 0
.LBB73_1222:
	s_delay_alu instid0(SALU_CYCLE_1)
	s_and_b32 vcc_lo, exec_lo, s4
	s_cbranch_vccz .LBB73_1227
; %bb.1223:
	v_cmp_eq_u16_e32 vcc_lo, 29, v5
	s_cbranch_vccz .LBB73_1225
; %bb.1224:
	global_load_b64 v[6:7], v[3:4], off
	s_mov_b32 s1, 0
	s_mov_b32 s3, -1
	s_mov_b32 s4, 0
	s_waitcnt vmcnt(0)
	v_clz_i32_u32_e32 v8, v7
	s_delay_alu instid0(VALU_DEP_1) | instskip(NEXT) | instid1(VALU_DEP_1)
	v_min_u32_e32 v8, 32, v8
	v_lshlrev_b64 v[6:7], v8, v[6:7]
	s_delay_alu instid0(VALU_DEP_1) | instskip(NEXT) | instid1(VALU_DEP_1)
	v_min_u32_e32 v6, 1, v6
	v_or_b32_e32 v6, v7, v6
	v_sub_nc_u32_e32 v7, 32, v8
	s_delay_alu instid0(VALU_DEP_2) | instskip(NEXT) | instid1(VALU_DEP_1)
	v_cvt_f32_u32_e32 v6, v6
	v_ldexp_f32 v6, v6, v7
	s_delay_alu instid0(VALU_DEP_1)
	v_cvt_f16_f32_e32 v6, v6
	s_branch .LBB73_1226
.LBB73_1225:
	s_mov_b32 s1, -1
                                        ; implicit-def: $sgpr4
                                        ; implicit-def: $vgpr6
.LBB73_1226:
	v_mov_b32_e32 v7, s4
.LBB73_1227:
	s_branch .LBB73_1247
.LBB73_1228:
	v_cmp_gt_i16_e32 vcc_lo, 27, v5
	s_cbranch_vccnz .LBB73_1231
; %bb.1229:
	v_cmp_lt_i16_e32 vcc_lo, 27, v5
	s_cbranch_vccz .LBB73_1232
; %bb.1230:
	global_load_b32 v6, v[3:4], off
	s_mov_b32 s4, 0
	s_mov_b32 s3, 0
	s_waitcnt vmcnt(0)
	v_cvt_f32_u32_e32 v6, v6
	s_delay_alu instid0(VALU_DEP_1)
	v_cvt_f16_f32_e32 v6, v6
	s_branch .LBB73_1233
.LBB73_1231:
	s_mov_b32 s4, -1
                                        ; implicit-def: $sgpr3
                                        ; implicit-def: $vgpr6
	s_branch .LBB73_1236
.LBB73_1232:
	s_mov_b32 s4, -1
                                        ; implicit-def: $sgpr3
                                        ; implicit-def: $vgpr6
.LBB73_1233:
	s_delay_alu instid0(SALU_CYCLE_1)
	s_and_not1_b32 vcc_lo, exec_lo, s4
	s_cbranch_vccnz .LBB73_1235
; %bb.1234:
	global_load_u16 v6, v[3:4], off
	s_mov_b32 s3, 0
	s_waitcnt vmcnt(0)
	v_cvt_f16_u16_e32 v6, v6
.LBB73_1235:
	s_mov_b32 s4, 0
.LBB73_1236:
	v_mov_b32_e32 v7, s3
	s_and_not1_b32 vcc_lo, exec_lo, s4
	s_cbranch_vccnz .LBB73_1246
; %bb.1237:
	global_load_u8 v8, v[3:4], off
	s_mov_b32 s3, 0
	s_mov_b32 s6, exec_lo
                                        ; implicit-def: $sgpr5
                                        ; implicit-def: $sgpr4
	s_waitcnt vmcnt(0)
	v_cmpx_lt_i16_e32 0x7f, v8
	s_xor_b32 s6, exec_lo, s6
	s_cbranch_execz .LBB73_1241
; %bb.1238:
	s_mov_b32 s3, -1
	s_mov_b32 s7, exec_lo
                                        ; implicit-def: $sgpr5
                                        ; implicit-def: $sgpr4
	v_cmpx_eq_u16_e32 0x80, v8
; %bb.1239:
	s_movk_i32 s4, 0x7e00
	s_mov_b32 s5, 0
	s_xor_b32 s3, exec_lo, -1
; %bb.1240:
	s_or_b32 exec_lo, exec_lo, s7
	s_delay_alu instid0(SALU_CYCLE_1)
	s_and_b32 s3, s3, exec_lo
.LBB73_1241:
	s_or_saveexec_b32 s6, s6
	v_dual_mov_b32 v7, s5 :: v_dual_mov_b32 v6, s4
	s_xor_b32 exec_lo, exec_lo, s6
; %bb.1242:
	v_cmp_ne_u16_e32 vcc_lo, 0, v8
	v_dual_mov_b32 v7, 0 :: v_dual_mov_b32 v6, v8
	s_and_not1_b32 s3, s3, exec_lo
	s_and_b32 s4, vcc_lo, exec_lo
	s_delay_alu instid0(SALU_CYCLE_1)
	s_or_b32 s3, s3, s4
; %bb.1243:
	s_or_b32 exec_lo, exec_lo, s6
	s_and_saveexec_b32 s4, s3
	s_cbranch_execz .LBB73_1245
; %bb.1244:
	v_and_b32_e32 v6, 0xffff, v8
	v_lshlrev_b32_e32 v8, 24, v8
	s_delay_alu instid0(VALU_DEP_2) | instskip(NEXT) | instid1(VALU_DEP_2)
	v_and_b32_e32 v7, 7, v6
	v_and_b32_e32 v8, 0x80000000, v8
	s_delay_alu instid0(VALU_DEP_2) | instskip(NEXT) | instid1(VALU_DEP_1)
	v_clz_i32_u32_e32 v9, v7
	v_min_u32_e32 v9, 32, v9
	s_delay_alu instid0(VALU_DEP_1) | instskip(SKIP_1) | instid1(VALU_DEP_2)
	v_subrev_nc_u32_e32 v10, 28, v9
	v_sub_nc_u32_e32 v9, 29, v9
	v_lshlrev_b32_e32 v10, v10, v6
	v_bfe_u32 v6, v6, 3, 4
	s_delay_alu instid0(VALU_DEP_2) | instskip(NEXT) | instid1(VALU_DEP_2)
	v_and_b32_e32 v10, 7, v10
	v_cmp_eq_u32_e32 vcc_lo, 0, v6
	s_delay_alu instid0(VALU_DEP_2) | instskip(NEXT) | instid1(VALU_DEP_1)
	v_dual_cndmask_b32 v6, v6, v9 :: v_dual_cndmask_b32 v7, v7, v10
	v_lshl_add_u32 v6, v6, 23, 0x3b800000
	s_delay_alu instid0(VALU_DEP_2) | instskip(NEXT) | instid1(VALU_DEP_1)
	v_lshlrev_b32_e32 v7, 20, v7
	v_or3_b32 v6, v8, v6, v7
	v_mov_b32_e32 v7, 0
	s_delay_alu instid0(VALU_DEP_2)
	v_cvt_f16_f32_e32 v6, v6
.LBB73_1245:
	s_or_b32 exec_lo, exec_lo, s4
.LBB73_1246:
	s_mov_b32 s3, -1
.LBB73_1247:
	s_branch .LBB73_1278
.LBB73_1248:
	v_cmp_lt_i16_e32 vcc_lo, 22, v5
	s_cbranch_vccz .LBB73_1260
; %bb.1249:
	v_cmp_gt_i16_e32 vcc_lo, 24, v5
	s_cbranch_vccnz .LBB73_1261
; %bb.1250:
	v_cmp_lt_i16_e32 vcc_lo, 24, v5
	s_cbranch_vccz .LBB73_1262
; %bb.1251:
	global_load_u8 v8, v[3:4], off
	s_mov_b32 s5, exec_lo
                                        ; implicit-def: $sgpr4
                                        ; implicit-def: $sgpr3
	s_waitcnt vmcnt(0)
	v_cmpx_lt_i16_e32 0x7f, v8
	s_xor_b32 s5, exec_lo, s5
	s_cbranch_execz .LBB73_1255
; %bb.1252:
	s_mov_b32 s2, -1
	s_mov_b32 s6, exec_lo
                                        ; implicit-def: $sgpr4
                                        ; implicit-def: $sgpr3
	v_cmpx_eq_u16_e32 0x80, v8
; %bb.1253:
	s_movk_i32 s3, 0x7e00
	s_mov_b32 s4, 0
	s_xor_b32 s2, exec_lo, -1
; %bb.1254:
	s_or_b32 exec_lo, exec_lo, s6
	s_delay_alu instid0(SALU_CYCLE_1)
	s_and_b32 s2, s2, exec_lo
.LBB73_1255:
	s_or_saveexec_b32 s5, s5
	v_dual_mov_b32 v7, s4 :: v_dual_mov_b32 v6, s3
	s_xor_b32 exec_lo, exec_lo, s5
; %bb.1256:
	v_cmp_ne_u16_e32 vcc_lo, 0, v8
	v_dual_mov_b32 v7, 0 :: v_dual_mov_b32 v6, v8
	s_and_not1_b32 s2, s2, exec_lo
	s_and_b32 s3, vcc_lo, exec_lo
	s_delay_alu instid0(SALU_CYCLE_1)
	s_or_b32 s2, s2, s3
; %bb.1257:
	s_or_b32 exec_lo, exec_lo, s5
	s_and_saveexec_b32 s3, s2
	s_cbranch_execz .LBB73_1259
; %bb.1258:
	v_and_b32_e32 v6, 0xffff, v8
	v_lshlrev_b32_e32 v8, 24, v8
	s_delay_alu instid0(VALU_DEP_2) | instskip(NEXT) | instid1(VALU_DEP_2)
	v_and_b32_e32 v7, 3, v6
	v_and_b32_e32 v8, 0x80000000, v8
	s_delay_alu instid0(VALU_DEP_2) | instskip(NEXT) | instid1(VALU_DEP_1)
	v_clz_i32_u32_e32 v9, v7
	v_min_u32_e32 v9, 32, v9
	s_delay_alu instid0(VALU_DEP_1) | instskip(SKIP_1) | instid1(VALU_DEP_2)
	v_subrev_nc_u32_e32 v10, 29, v9
	v_sub_nc_u32_e32 v9, 30, v9
	v_lshlrev_b32_e32 v10, v10, v6
	v_bfe_u32 v6, v6, 2, 5
	s_delay_alu instid0(VALU_DEP_2) | instskip(NEXT) | instid1(VALU_DEP_2)
	v_and_b32_e32 v10, 3, v10
	v_cmp_eq_u32_e32 vcc_lo, 0, v6
	s_delay_alu instid0(VALU_DEP_2) | instskip(NEXT) | instid1(VALU_DEP_1)
	v_dual_cndmask_b32 v6, v6, v9 :: v_dual_cndmask_b32 v7, v7, v10
	v_lshl_add_u32 v6, v6, 23, 0x37800000
	s_delay_alu instid0(VALU_DEP_2) | instskip(NEXT) | instid1(VALU_DEP_1)
	v_lshlrev_b32_e32 v7, 21, v7
	v_or3_b32 v6, v8, v6, v7
	v_mov_b32_e32 v7, 0
	s_delay_alu instid0(VALU_DEP_2)
	v_cvt_f16_f32_e32 v6, v6
.LBB73_1259:
	s_or_b32 exec_lo, exec_lo, s3
	s_mov_b32 s2, 0
	s_branch .LBB73_1263
.LBB73_1260:
                                        ; implicit-def: $vgpr7
                                        ; implicit-def: $vgpr6
	s_mov_b32 s2, 0
	s_branch .LBB73_1269
.LBB73_1261:
	s_mov_b32 s2, -1
                                        ; implicit-def: $vgpr7
                                        ; implicit-def: $vgpr6
	s_branch .LBB73_1266
.LBB73_1262:
	s_mov_b32 s2, -1
                                        ; implicit-def: $vgpr7
                                        ; implicit-def: $vgpr6
.LBB73_1263:
	s_delay_alu instid0(SALU_CYCLE_1)
	s_and_b32 vcc_lo, exec_lo, s2
	s_cbranch_vccz .LBB73_1265
; %bb.1264:
	global_load_u8 v6, v[3:4], off
	s_waitcnt vmcnt(0)
	v_lshlrev_b32_e32 v6, 24, v6
	s_delay_alu instid0(VALU_DEP_1) | instskip(NEXT) | instid1(VALU_DEP_1)
	v_and_b32_e32 v7, 0x7f000000, v6
	v_clz_i32_u32_e32 v8, v7
	v_add_nc_u32_e32 v10, 0x1000000, v7
	v_cmp_ne_u32_e32 vcc_lo, 0, v7
	s_delay_alu instid0(VALU_DEP_3) | instskip(NEXT) | instid1(VALU_DEP_1)
	v_min_u32_e32 v8, 32, v8
	v_sub_nc_u32_e64 v8, v8, 4 clamp
	s_delay_alu instid0(VALU_DEP_1) | instskip(SKIP_1) | instid1(VALU_DEP_2)
	v_lshlrev_b32_e32 v9, v8, v7
	v_lshlrev_b32_e32 v8, 23, v8
	v_lshrrev_b32_e32 v9, 4, v9
	s_delay_alu instid0(VALU_DEP_1) | instskip(SKIP_1) | instid1(VALU_DEP_2)
	v_sub_nc_u32_e32 v8, v9, v8
	v_ashrrev_i32_e32 v9, 8, v10
	v_add_nc_u32_e32 v8, 0x3c000000, v8
	s_delay_alu instid0(VALU_DEP_1) | instskip(NEXT) | instid1(VALU_DEP_1)
	v_and_or_b32 v8, 0x7f800000, v9, v8
	v_cndmask_b32_e32 v7, 0, v8, vcc_lo
	s_delay_alu instid0(VALU_DEP_1) | instskip(SKIP_1) | instid1(VALU_DEP_2)
	v_and_or_b32 v6, 0x80000000, v6, v7
	v_mov_b32_e32 v7, 0
	v_cvt_f16_f32_e32 v6, v6
.LBB73_1265:
	s_mov_b32 s2, 0
.LBB73_1266:
	s_delay_alu instid0(SALU_CYCLE_1)
	s_and_not1_b32 vcc_lo, exec_lo, s2
	s_cbranch_vccnz .LBB73_1268
; %bb.1267:
	global_load_u8 v6, v[3:4], off
	s_waitcnt vmcnt(0)
	v_lshlrev_b32_e32 v7, 25, v6
	v_lshlrev_b16 v6, 8, v6
	s_delay_alu instid0(VALU_DEP_2) | instskip(NEXT) | instid1(VALU_DEP_2)
	v_lshrrev_b32_e32 v8, 4, v7
	v_and_or_b32 v9, 0x7f00, v6, 0.5
	v_bfe_i32 v6, v6, 0, 16
	s_delay_alu instid0(VALU_DEP_3) | instskip(NEXT) | instid1(VALU_DEP_1)
	v_or_b32_e32 v8, 0x70000000, v8
	v_dual_add_f32 v9, -0.5, v9 :: v_dual_mul_f32 v8, 0x7800000, v8
	v_cmp_gt_u32_e32 vcc_lo, 0x8000000, v7
	s_delay_alu instid0(VALU_DEP_2) | instskip(NEXT) | instid1(VALU_DEP_1)
	v_cndmask_b32_e32 v7, v8, v9, vcc_lo
	v_and_or_b32 v6, 0x80000000, v6, v7
	v_mov_b32_e32 v7, 0
	s_delay_alu instid0(VALU_DEP_2)
	v_cvt_f16_f32_e32 v6, v6
.LBB73_1268:
	s_mov_b32 s3, -1
	s_mov_b32 s2, 0
	s_cbranch_execnz .LBB73_1278
.LBB73_1269:
	v_cmp_lt_i16_e32 vcc_lo, 14, v5
	s_cbranch_vccz .LBB73_1272
; %bb.1270:
	v_cmp_eq_u16_e32 vcc_lo, 15, v5
	s_cbranch_vccz .LBB73_1273
; %bb.1271:
	global_load_u16 v6, v[3:4], off
	s_mov_b32 s1, 0
	s_mov_b32 s3, -1
	s_mov_b32 s4, 0
	s_waitcnt vmcnt(0)
	v_lshlrev_b32_e32 v6, 16, v6
	s_delay_alu instid0(VALU_DEP_1)
	v_cvt_f16_f32_e32 v6, v6
	s_branch .LBB73_1275
.LBB73_1272:
	s_mov_b32 s2, -1
	s_branch .LBB73_1274
.LBB73_1273:
	s_mov_b32 s1, -1
.LBB73_1274:
                                        ; implicit-def: $sgpr4
                                        ; implicit-def: $vgpr6
.LBB73_1275:
	s_and_b32 vcc_lo, exec_lo, s2
	s_mov_b32 s2, 0
	s_cbranch_vccz .LBB73_1277
; %bb.1276:
	v_cmp_ne_u16_e64 s1, 11, v5
	s_mov_b32 s2, -1
                                        ; implicit-def: $sgpr4
                                        ; implicit-def: $vgpr6
.LBB73_1277:
	v_mov_b32_e32 v7, s4
.LBB73_1278:
	s_delay_alu instid0(VALU_DEP_2)
	s_and_b32 vcc_lo, exec_lo, s1
	s_mov_b32 s9, s16
	s_cbranch_vccnz .LBB73_1303
; %bb.1279:
	s_and_not1_b32 vcc_lo, exec_lo, s2
	s_cbranch_vccnz .LBB73_1281
.LBB73_1280:
	global_load_u8 v6, v[3:4], off
	v_mov_b32_e32 v7, 0
	s_mov_b32 s3, -1
	s_waitcnt vmcnt(0)
	v_cmp_ne_u16_e32 vcc_lo, 0, v6
	v_cndmask_b32_e64 v6, 0, 0x3c00, vcc_lo
.LBB73_1281:
.LBB73_1282:
	s_and_not1_b32 vcc_lo, exec_lo, s3
	s_cbranch_vccnz .LBB73_2131
.LBB73_1283:
	v_cmp_gt_i16_e32 vcc_lo, 11, v5
	v_add_co_u32 v2, s1, s14, v2
	s_delay_alu instid0(VALU_DEP_1)
	v_add_co_ci_u32_e64 v3, null, s15, 0, s1
	s_mov_b32 s3, 0
	s_cbranch_vccnz .LBB73_1290
; %bb.1284:
	v_cmp_lt_i16_e32 vcc_lo, 25, v5
	s_mov_b32 s2, 0
	s_cbranch_vccz .LBB73_1296
; %bb.1285:
	v_cmp_lt_i16_e32 vcc_lo, 28, v5
	s_cbranch_vccz .LBB73_1299
; %bb.1286:
	v_cmp_lt_i16_e32 vcc_lo, 43, v5
	;; [unrolled: 3-line block ×3, first 2 shown]
	s_cbranch_vccz .LBB73_1307
; %bb.1288:
	v_cmp_eq_u16_e32 vcc_lo, 46, v5
	s_mov_b32 s4, 0
	s_cbranch_vccz .LBB73_1352
; %bb.1289:
	global_load_b32 v4, v[2:3], off
	s_mov_b32 s1, 0
	s_mov_b32 s3, -1
	s_waitcnt vmcnt(0)
	v_lshlrev_b32_e32 v8, 16, v4
	v_and_b32_e32 v4, 0xffff0000, v4
	s_delay_alu instid0(VALU_DEP_2) | instskip(NEXT) | instid1(VALU_DEP_2)
	v_cvt_f16_f32_e32 v21, v8
	v_cvt_f16_f32_e32 v24, v4
	s_branch .LBB73_1354
.LBB73_1290:
                                        ; implicit-def: $vgpr24
                                        ; implicit-def: $vgpr21
	s_cbranch_execz .LBB73_1422
; %bb.1291:
	v_cmp_gt_i16_e32 vcc_lo, 5, v5
	s_cbranch_vccnz .LBB73_1297
; %bb.1292:
	v_cmp_gt_i16_e32 vcc_lo, 8, v5
	s_cbranch_vccnz .LBB73_1300
	;; [unrolled: 3-line block ×3, first 2 shown]
; %bb.1294:
	v_cmp_lt_i16_e32 vcc_lo, 9, v5
	s_cbranch_vccz .LBB73_1308
; %bb.1295:
	global_load_b128 v[8:11], v[2:3], off
	s_mov_b32 s1, 0
	s_waitcnt vmcnt(0)
	v_cvt_f32_f64_e32 v4, v[8:9]
	v_cvt_f32_f64_e32 v8, v[10:11]
	s_delay_alu instid0(VALU_DEP_2) | instskip(NEXT) | instid1(VALU_DEP_2)
	v_cvt_f16_f32_e32 v21, v4
	v_cvt_f16_f32_e32 v24, v8
	s_branch .LBB73_1309
.LBB73_1296:
	s_mov_b32 s1, 0
                                        ; implicit-def: $vgpr24
                                        ; implicit-def: $vgpr21
	s_cbranch_execnz .LBB73_1387
	s_branch .LBB73_1418
.LBB73_1297:
                                        ; implicit-def: $vgpr24
                                        ; implicit-def: $vgpr21
	s_branch .LBB73_1328
.LBB73_1298:
	s_branch .LBB73_1423
.LBB73_1299:
	s_mov_b32 s4, -1
	s_mov_b32 s1, 0
                                        ; implicit-def: $vgpr24
                                        ; implicit-def: $vgpr21
	s_branch .LBB73_1366
.LBB73_1300:
	s_mov_b32 s1, -1
                                        ; implicit-def: $vgpr24
                                        ; implicit-def: $vgpr21
	s_branch .LBB73_1315
.LBB73_1301:
	s_mov_b32 s4, -1
	s_mov_b32 s1, 0
                                        ; implicit-def: $vgpr24
                                        ; implicit-def: $vgpr21
	s_branch .LBB73_1360
.LBB73_1302:
	s_mov_b32 s1, -1
                                        ; implicit-def: $vgpr24
                                        ; implicit-def: $vgpr21
	s_branch .LBB73_1312
.LBB73_1303:
	s_cbranch_execnz .LBB73_1348
; %bb.1304:
	s_or_b32 s9, s16, exec_lo
                                        ; implicit-def: $vgpr7
                                        ; implicit-def: $vgpr6
	s_cbranch_execz .LBB73_1280
	s_branch .LBB73_1281
.LBB73_1305:
	s_or_saveexec_b32 s3, s3
                                        ; implicit-def: $sgpr4
	s_delay_alu instid0(SALU_CYCLE_1)
	s_xor_b32 exec_lo, exec_lo, s3
	s_cbranch_execz .LBB73_1007
.LBB73_1306:
	v_add_f32_e64 v8, 0x46000000, |v7|
	s_and_not1_b32 s2, s2, exec_lo
	s_mov_b32 s4, 0
	s_delay_alu instid0(VALU_DEP_1) | instskip(NEXT) | instid1(VALU_DEP_1)
	v_and_b32_e32 v8, 0xff, v8
	v_cmp_ne_u32_e32 vcc_lo, 0, v8
	s_and_b32 s5, vcc_lo, exec_lo
	s_delay_alu instid0(SALU_CYCLE_1)
	s_or_b32 s2, s2, s5
	s_or_b32 exec_lo, exec_lo, s3
	v_mov_b32_e32 v9, s4
	s_and_saveexec_b32 s3, s2
	s_cbranch_execnz .LBB73_1008
	s_branch .LBB73_1009
.LBB73_1307:
	s_mov_b32 s4, -1
	s_mov_b32 s1, 0
	s_branch .LBB73_1353
.LBB73_1308:
	s_mov_b32 s1, -1
                                        ; implicit-def: $vgpr24
                                        ; implicit-def: $vgpr21
.LBB73_1309:
	s_delay_alu instid0(SALU_CYCLE_1)
	s_and_not1_b32 vcc_lo, exec_lo, s1
	s_cbranch_vccnz .LBB73_1311
; %bb.1310:
	global_load_b64 v[8:9], v[2:3], off
	s_waitcnt vmcnt(0)
	v_cvt_f16_f32_e32 v21, v8
	v_cvt_f16_f32_e32 v24, v9
.LBB73_1311:
	s_mov_b32 s1, 0
.LBB73_1312:
	s_delay_alu instid0(SALU_CYCLE_1)
	s_and_not1_b32 vcc_lo, exec_lo, s1
	s_cbranch_vccnz .LBB73_1314
; %bb.1313:
	global_load_b32 v21, v[2:3], off
	s_waitcnt vmcnt(0)
	v_lshrrev_b32_e32 v24, 16, v21
.LBB73_1314:
	s_mov_b32 s1, 0
.LBB73_1315:
	s_delay_alu instid0(SALU_CYCLE_1)
	s_and_not1_b32 vcc_lo, exec_lo, s1
	s_cbranch_vccnz .LBB73_1327
; %bb.1316:
	v_cmp_gt_i16_e32 vcc_lo, 6, v5
	s_cbranch_vccnz .LBB73_1319
; %bb.1317:
	v_cmp_lt_i16_e32 vcc_lo, 6, v5
	s_cbranch_vccz .LBB73_1320
; %bb.1318:
	global_load_b64 v[8:9], v[2:3], off
	s_mov_b32 s2, 0
	s_mov_b32 s1, 0
	s_waitcnt vmcnt(0)
	v_cvt_f32_f64_e32 v4, v[8:9]
	s_delay_alu instid0(VALU_DEP_1)
	v_cvt_f16_f32_e32 v21, v4
	s_branch .LBB73_1321
.LBB73_1319:
	s_mov_b32 s2, -1
                                        ; implicit-def: $sgpr1
                                        ; implicit-def: $vgpr21
	s_branch .LBB73_1324
.LBB73_1320:
	s_mov_b32 s2, -1
                                        ; implicit-def: $sgpr1
                                        ; implicit-def: $vgpr21
.LBB73_1321:
	s_delay_alu instid0(SALU_CYCLE_1)
	s_and_not1_b32 vcc_lo, exec_lo, s2
	s_cbranch_vccnz .LBB73_1323
; %bb.1322:
	global_load_b32 v4, v[2:3], off
	s_mov_b32 s1, 0
	s_waitcnt vmcnt(0)
	v_cvt_f16_f32_e32 v21, v4
.LBB73_1323:
	s_mov_b32 s2, 0
.LBB73_1324:
	s_delay_alu instid0(SALU_CYCLE_1)
	s_and_not1_b32 vcc_lo, exec_lo, s2
	s_cbranch_vccnz .LBB73_1326
; %bb.1325:
	global_load_u16 v21, v[2:3], off
	s_mov_b32 s1, 0
.LBB73_1326:
	s_delay_alu instid0(SALU_CYCLE_1)
	v_mov_b32_e32 v24, s1
.LBB73_1327:
	s_cbranch_execnz .LBB73_1298
.LBB73_1328:
	v_cmp_gt_i16_e32 vcc_lo, 2, v5
	s_cbranch_vccnz .LBB73_1332
; %bb.1329:
	v_cmp_gt_i16_e32 vcc_lo, 3, v5
	s_cbranch_vccnz .LBB73_1333
; %bb.1330:
	v_cmp_lt_i16_e32 vcc_lo, 3, v5
	s_cbranch_vccz .LBB73_1334
; %bb.1331:
	global_load_b64 v[8:9], v[2:3], off
	s_mov_b32 s2, 0
	s_mov_b32 s1, 0
	s_waitcnt vmcnt(0)
	v_xor_b32_e32 v4, v8, v9
	v_cls_i32_e32 v10, v9
	s_delay_alu instid0(VALU_DEP_2) | instskip(NEXT) | instid1(VALU_DEP_2)
	v_ashrrev_i32_e32 v4, 31, v4
	v_add_nc_u32_e32 v10, -1, v10
	s_delay_alu instid0(VALU_DEP_2) | instskip(NEXT) | instid1(VALU_DEP_1)
	v_add_nc_u32_e32 v4, 32, v4
	v_min_u32_e32 v4, v10, v4
	s_delay_alu instid0(VALU_DEP_1) | instskip(SKIP_1) | instid1(VALU_DEP_2)
	v_lshlrev_b64 v[8:9], v4, v[8:9]
	v_sub_nc_u32_e32 v4, 32, v4
	v_min_u32_e32 v8, 1, v8
	s_delay_alu instid0(VALU_DEP_1) | instskip(NEXT) | instid1(VALU_DEP_1)
	v_or_b32_e32 v8, v9, v8
	v_cvt_f32_i32_e32 v8, v8
	s_delay_alu instid0(VALU_DEP_1) | instskip(NEXT) | instid1(VALU_DEP_1)
	v_ldexp_f32 v4, v8, v4
	v_cvt_f16_f32_e32 v21, v4
	s_branch .LBB73_1335
.LBB73_1332:
	s_mov_b32 s2, -1
                                        ; implicit-def: $sgpr1
                                        ; implicit-def: $vgpr21
	s_branch .LBB73_1341
.LBB73_1333:
	s_mov_b32 s2, -1
                                        ; implicit-def: $sgpr1
                                        ; implicit-def: $vgpr21
	s_branch .LBB73_1338
.LBB73_1334:
	s_mov_b32 s2, -1
                                        ; implicit-def: $sgpr1
                                        ; implicit-def: $vgpr21
.LBB73_1335:
	s_delay_alu instid0(SALU_CYCLE_1)
	s_and_not1_b32 vcc_lo, exec_lo, s2
	s_cbranch_vccnz .LBB73_1337
; %bb.1336:
	global_load_b32 v4, v[2:3], off
	s_mov_b32 s1, 0
	s_waitcnt vmcnt(0)
	v_cvt_f32_i32_e32 v4, v4
	s_delay_alu instid0(VALU_DEP_1)
	v_cvt_f16_f32_e32 v21, v4
.LBB73_1337:
	s_mov_b32 s2, 0
.LBB73_1338:
	s_delay_alu instid0(SALU_CYCLE_1)
	s_and_not1_b32 vcc_lo, exec_lo, s2
	s_cbranch_vccnz .LBB73_1340
; %bb.1339:
	global_load_u16 v4, v[2:3], off
	s_mov_b32 s1, 0
	s_waitcnt vmcnt(0)
	v_cvt_f16_i16_e32 v21, v4
.LBB73_1340:
	s_mov_b32 s2, 0
.LBB73_1341:
	s_delay_alu instid0(SALU_CYCLE_1)
	s_and_not1_b32 vcc_lo, exec_lo, s2
	s_cbranch_vccnz .LBB73_1347
; %bb.1342:
	v_cmp_lt_i16_e32 vcc_lo, 0, v5
	s_mov_b32 s2, 0
	s_cbranch_vccz .LBB73_1344
; %bb.1343:
	global_load_i8 v4, v[2:3], off
	s_mov_b32 s1, 0
	s_waitcnt vmcnt(0)
	v_cvt_f16_i16_e32 v21, v4
	s_branch .LBB73_1345
.LBB73_1344:
	s_mov_b32 s2, -1
                                        ; implicit-def: $sgpr1
                                        ; implicit-def: $vgpr21
.LBB73_1345:
	s_delay_alu instid0(SALU_CYCLE_1)
	s_and_not1_b32 vcc_lo, exec_lo, s2
	s_cbranch_vccnz .LBB73_1347
; %bb.1346:
	global_load_u8 v2, v[2:3], off
	s_mov_b32 s1, 0
	s_waitcnt vmcnt(0)
	v_cvt_f16_u16_e32 v21, v2
.LBB73_1347:
	v_mov_b32_e32 v24, s1
	s_branch .LBB73_1423
.LBB73_1348:
	s_trap 2
	s_sendmsg_rtn_b32 s0, sendmsg(MSG_RTN_GET_DOORBELL)
	s_mov_b32 ttmp2, m0
	s_waitcnt lgkmcnt(0)
	s_and_b32 s0, s0, 0x3ff
	s_delay_alu instid0(SALU_CYCLE_1) | instskip(NEXT) | instid1(SALU_CYCLE_1)
	s_bitset1_b32 s0, 10
	s_mov_b32 m0, s0
	s_sendmsg sendmsg(MSG_INTERRUPT)
	s_mov_b32 m0, ttmp2
.LBB73_1349:                            ; =>This Inner Loop Header: Depth=1
	s_sethalt 5
	s_branch .LBB73_1349
.LBB73_1350:
	s_or_saveexec_b32 s4, s4
                                        ; implicit-def: $sgpr5
	s_delay_alu instid0(SALU_CYCLE_1)
	s_xor_b32 exec_lo, exec_lo, s4
	s_cbranch_execz .LBB73_1019
.LBB73_1351:
	v_add_f32_e64 v8, 0x42800000, |v7|
	s_and_not1_b32 s3, s3, exec_lo
	s_mov_b32 s5, 0
	s_delay_alu instid0(VALU_DEP_1) | instskip(NEXT) | instid1(VALU_DEP_1)
	v_and_b32_e32 v8, 0xff, v8
	v_cmp_ne_u32_e32 vcc_lo, 0, v8
	s_and_b32 s6, vcc_lo, exec_lo
	s_delay_alu instid0(SALU_CYCLE_1)
	s_or_b32 s3, s3, s6
	s_or_b32 exec_lo, exec_lo, s4
	v_mov_b32_e32 v9, s5
	s_and_saveexec_b32 s4, s3
	s_cbranch_execnz .LBB73_1020
	s_branch .LBB73_1021
.LBB73_1352:
	s_mov_b32 s1, -1
.LBB73_1353:
                                        ; implicit-def: $vgpr24
                                        ; implicit-def: $vgpr21
.LBB73_1354:
	s_and_b32 vcc_lo, exec_lo, s4
	s_cbranch_vccz .LBB73_1359
; %bb.1355:
	v_cmp_eq_u16_e32 vcc_lo, 44, v5
	s_cbranch_vccz .LBB73_1357
; %bb.1356:
	global_load_u8 v4, v[2:3], off
	s_mov_b32 s1, 0
	s_mov_b32 s3, -1
	s_waitcnt vmcnt(0)
	v_lshlrev_b32_e32 v8, 23, v4
	v_cmp_ne_u32_e32 vcc_lo, 0xff, v4
	s_delay_alu instid0(VALU_DEP_2) | instskip(NEXT) | instid1(VALU_DEP_1)
	v_cvt_f16_f32_e32 v8, v8
	v_cndmask_b32_e32 v8, 0x7e00, v8, vcc_lo
	v_cmp_ne_u32_e32 vcc_lo, 0, v4
	s_delay_alu instid0(VALU_DEP_2)
	v_cndmask_b32_e32 v21, 0, v8, vcc_lo
	s_branch .LBB73_1358
.LBB73_1357:
	s_mov_b32 s1, -1
                                        ; implicit-def: $vgpr21
.LBB73_1358:
	s_delay_alu instid0(SALU_CYCLE_1)
	v_mov_b32_e32 v24, s1
.LBB73_1359:
	s_mov_b32 s4, 0
.LBB73_1360:
	s_delay_alu instid0(SALU_CYCLE_1)
	s_and_b32 vcc_lo, exec_lo, s4
	s_cbranch_vccz .LBB73_1365
; %bb.1361:
	v_cmp_eq_u16_e32 vcc_lo, 29, v5
	s_cbranch_vccz .LBB73_1363
; %bb.1362:
	global_load_b64 v[8:9], v[2:3], off
	s_mov_b32 s1, 0
	s_mov_b32 s3, -1
	s_mov_b32 s4, 0
	s_waitcnt vmcnt(0)
	v_clz_i32_u32_e32 v4, v9
	s_delay_alu instid0(VALU_DEP_1) | instskip(NEXT) | instid1(VALU_DEP_1)
	v_min_u32_e32 v4, 32, v4
	v_lshlrev_b64 v[8:9], v4, v[8:9]
	v_sub_nc_u32_e32 v4, 32, v4
	s_delay_alu instid0(VALU_DEP_2) | instskip(NEXT) | instid1(VALU_DEP_1)
	v_min_u32_e32 v8, 1, v8
	v_or_b32_e32 v8, v9, v8
	s_delay_alu instid0(VALU_DEP_1) | instskip(NEXT) | instid1(VALU_DEP_1)
	v_cvt_f32_u32_e32 v8, v8
	v_ldexp_f32 v4, v8, v4
	s_delay_alu instid0(VALU_DEP_1)
	v_cvt_f16_f32_e32 v21, v4
	s_branch .LBB73_1364
.LBB73_1363:
	s_mov_b32 s1, -1
                                        ; implicit-def: $sgpr4
                                        ; implicit-def: $vgpr21
.LBB73_1364:
	v_mov_b32_e32 v24, s4
.LBB73_1365:
	s_mov_b32 s4, 0
.LBB73_1366:
	s_delay_alu instid0(SALU_CYCLE_1)
	s_and_b32 vcc_lo, exec_lo, s4
	s_cbranch_vccz .LBB73_1386
; %bb.1367:
	v_cmp_gt_i16_e32 vcc_lo, 27, v5
	s_cbranch_vccnz .LBB73_1370
; %bb.1368:
	v_cmp_lt_i16_e32 vcc_lo, 27, v5
	s_cbranch_vccz .LBB73_1371
; %bb.1369:
	global_load_b32 v4, v[2:3], off
	s_mov_b32 s4, 0
	s_mov_b32 s3, 0
	s_waitcnt vmcnt(0)
	v_cvt_f32_u32_e32 v4, v4
	s_delay_alu instid0(VALU_DEP_1)
	v_cvt_f16_f32_e32 v21, v4
	s_branch .LBB73_1372
.LBB73_1370:
	s_mov_b32 s4, -1
                                        ; implicit-def: $sgpr3
                                        ; implicit-def: $vgpr21
	s_branch .LBB73_1375
.LBB73_1371:
	s_mov_b32 s4, -1
                                        ; implicit-def: $sgpr3
                                        ; implicit-def: $vgpr21
.LBB73_1372:
	s_delay_alu instid0(SALU_CYCLE_1)
	s_and_not1_b32 vcc_lo, exec_lo, s4
	s_cbranch_vccnz .LBB73_1374
; %bb.1373:
	global_load_u16 v4, v[2:3], off
	s_mov_b32 s3, 0
	s_waitcnt vmcnt(0)
	v_cvt_f16_u16_e32 v21, v4
.LBB73_1374:
	s_mov_b32 s4, 0
.LBB73_1375:
	v_mov_b32_e32 v24, s3
	s_and_not1_b32 vcc_lo, exec_lo, s4
	s_cbranch_vccnz .LBB73_1385
; %bb.1376:
	global_load_u8 v4, v[2:3], off
	s_mov_b32 s3, 0
	s_mov_b32 s6, exec_lo
                                        ; implicit-def: $sgpr5
                                        ; implicit-def: $sgpr4
	s_waitcnt vmcnt(0)
	v_cmpx_lt_i16_e32 0x7f, v4
	s_xor_b32 s6, exec_lo, s6
	s_cbranch_execz .LBB73_1380
; %bb.1377:
	s_mov_b32 s3, -1
	s_mov_b32 s7, exec_lo
                                        ; implicit-def: $sgpr5
                                        ; implicit-def: $sgpr4
	v_cmpx_eq_u16_e32 0x80, v4
; %bb.1378:
	s_movk_i32 s4, 0x7e00
	s_mov_b32 s5, 0
	s_xor_b32 s3, exec_lo, -1
; %bb.1379:
	s_or_b32 exec_lo, exec_lo, s7
	s_delay_alu instid0(SALU_CYCLE_1)
	s_and_b32 s3, s3, exec_lo
.LBB73_1380:
	s_or_saveexec_b32 s6, s6
	v_dual_mov_b32 v24, s5 :: v_dual_mov_b32 v21, s4
	s_xor_b32 exec_lo, exec_lo, s6
; %bb.1381:
	v_cmp_ne_u16_e32 vcc_lo, 0, v4
	v_dual_mov_b32 v24, 0 :: v_dual_mov_b32 v21, v4
	s_and_not1_b32 s3, s3, exec_lo
	s_and_b32 s4, vcc_lo, exec_lo
	s_delay_alu instid0(SALU_CYCLE_1)
	s_or_b32 s3, s3, s4
; %bb.1382:
	s_or_b32 exec_lo, exec_lo, s6
	s_and_saveexec_b32 s4, s3
	s_cbranch_execz .LBB73_1384
; %bb.1383:
	v_and_b32_e32 v8, 0xffff, v4
	v_lshlrev_b32_e32 v4, 24, v4
	s_delay_alu instid0(VALU_DEP_2) | instskip(NEXT) | instid1(VALU_DEP_2)
	v_dual_mov_b32 v24, 0 :: v_dual_and_b32 v9, 7, v8
	v_and_b32_e32 v4, 0x80000000, v4
	s_delay_alu instid0(VALU_DEP_2) | instskip(NEXT) | instid1(VALU_DEP_1)
	v_clz_i32_u32_e32 v10, v9
	v_min_u32_e32 v10, 32, v10
	s_delay_alu instid0(VALU_DEP_1) | instskip(SKIP_1) | instid1(VALU_DEP_2)
	v_subrev_nc_u32_e32 v11, 28, v10
	v_sub_nc_u32_e32 v10, 29, v10
	v_lshlrev_b32_e32 v11, v11, v8
	v_bfe_u32 v8, v8, 3, 4
	s_delay_alu instid0(VALU_DEP_2) | instskip(NEXT) | instid1(VALU_DEP_2)
	v_and_b32_e32 v11, 7, v11
	v_cmp_eq_u32_e32 vcc_lo, 0, v8
	s_delay_alu instid0(VALU_DEP_2) | instskip(NEXT) | instid1(VALU_DEP_1)
	v_dual_cndmask_b32 v8, v8, v10 :: v_dual_cndmask_b32 v9, v9, v11
	v_lshl_add_u32 v8, v8, 23, 0x3b800000
	s_delay_alu instid0(VALU_DEP_2) | instskip(NEXT) | instid1(VALU_DEP_1)
	v_lshlrev_b32_e32 v9, 20, v9
	v_or3_b32 v4, v4, v8, v9
	s_delay_alu instid0(VALU_DEP_1)
	v_cvt_f16_f32_e32 v21, v4
.LBB73_1384:
	s_or_b32 exec_lo, exec_lo, s4
.LBB73_1385:
	s_mov_b32 s3, -1
.LBB73_1386:
	s_branch .LBB73_1418
.LBB73_1387:
	v_cmp_lt_i16_e32 vcc_lo, 22, v5
	s_cbranch_vccz .LBB73_1399
; %bb.1388:
	v_cmp_gt_i16_e32 vcc_lo, 24, v5
	s_cbranch_vccnz .LBB73_1400
; %bb.1389:
	v_cmp_lt_i16_e32 vcc_lo, 24, v5
	s_cbranch_vccz .LBB73_1401
; %bb.1390:
	global_load_u8 v4, v[2:3], off
	s_mov_b32 s5, exec_lo
                                        ; implicit-def: $sgpr4
                                        ; implicit-def: $sgpr3
	s_waitcnt vmcnt(0)
	v_cmpx_lt_i16_e32 0x7f, v4
	s_xor_b32 s5, exec_lo, s5
	s_cbranch_execz .LBB73_1394
; %bb.1391:
	s_mov_b32 s2, -1
	s_mov_b32 s6, exec_lo
                                        ; implicit-def: $sgpr4
                                        ; implicit-def: $sgpr3
	v_cmpx_eq_u16_e32 0x80, v4
; %bb.1392:
	s_movk_i32 s3, 0x7e00
	s_mov_b32 s4, 0
	s_xor_b32 s2, exec_lo, -1
; %bb.1393:
	s_or_b32 exec_lo, exec_lo, s6
	s_delay_alu instid0(SALU_CYCLE_1)
	s_and_b32 s2, s2, exec_lo
.LBB73_1394:
	s_or_saveexec_b32 s5, s5
	v_dual_mov_b32 v24, s4 :: v_dual_mov_b32 v21, s3
	s_xor_b32 exec_lo, exec_lo, s5
; %bb.1395:
	v_cmp_ne_u16_e32 vcc_lo, 0, v4
	v_dual_mov_b32 v24, 0 :: v_dual_mov_b32 v21, v4
	s_and_not1_b32 s2, s2, exec_lo
	s_and_b32 s3, vcc_lo, exec_lo
	s_delay_alu instid0(SALU_CYCLE_1)
	s_or_b32 s2, s2, s3
; %bb.1396:
	s_or_b32 exec_lo, exec_lo, s5
	s_and_saveexec_b32 s3, s2
	s_cbranch_execz .LBB73_1398
; %bb.1397:
	v_and_b32_e32 v8, 0xffff, v4
	v_lshlrev_b32_e32 v4, 24, v4
	s_delay_alu instid0(VALU_DEP_2) | instskip(NEXT) | instid1(VALU_DEP_2)
	v_dual_mov_b32 v24, 0 :: v_dual_and_b32 v9, 3, v8
	v_and_b32_e32 v4, 0x80000000, v4
	s_delay_alu instid0(VALU_DEP_2) | instskip(NEXT) | instid1(VALU_DEP_1)
	v_clz_i32_u32_e32 v10, v9
	v_min_u32_e32 v10, 32, v10
	s_delay_alu instid0(VALU_DEP_1) | instskip(SKIP_1) | instid1(VALU_DEP_2)
	v_subrev_nc_u32_e32 v11, 29, v10
	v_sub_nc_u32_e32 v10, 30, v10
	v_lshlrev_b32_e32 v11, v11, v8
	v_bfe_u32 v8, v8, 2, 5
	s_delay_alu instid0(VALU_DEP_2) | instskip(NEXT) | instid1(VALU_DEP_2)
	v_and_b32_e32 v11, 3, v11
	v_cmp_eq_u32_e32 vcc_lo, 0, v8
	s_delay_alu instid0(VALU_DEP_2) | instskip(NEXT) | instid1(VALU_DEP_1)
	v_dual_cndmask_b32 v8, v8, v10 :: v_dual_cndmask_b32 v9, v9, v11
	v_lshl_add_u32 v8, v8, 23, 0x37800000
	s_delay_alu instid0(VALU_DEP_2) | instskip(NEXT) | instid1(VALU_DEP_1)
	v_lshlrev_b32_e32 v9, 21, v9
	v_or3_b32 v4, v4, v8, v9
	s_delay_alu instid0(VALU_DEP_1)
	v_cvt_f16_f32_e32 v21, v4
.LBB73_1398:
	s_or_b32 exec_lo, exec_lo, s3
	s_mov_b32 s2, 0
	s_branch .LBB73_1402
.LBB73_1399:
	s_mov_b32 s2, -1
                                        ; implicit-def: $vgpr24
                                        ; implicit-def: $vgpr21
	s_branch .LBB73_1408
.LBB73_1400:
	s_mov_b32 s2, -1
                                        ; implicit-def: $vgpr24
                                        ; implicit-def: $vgpr21
	s_branch .LBB73_1405
.LBB73_1401:
	s_mov_b32 s2, -1
                                        ; implicit-def: $vgpr24
                                        ; implicit-def: $vgpr21
.LBB73_1402:
	s_delay_alu instid0(SALU_CYCLE_1)
	s_and_b32 vcc_lo, exec_lo, s2
	s_cbranch_vccz .LBB73_1404
; %bb.1403:
	global_load_u8 v4, v[2:3], off
	v_mov_b32_e32 v24, 0
	s_waitcnt vmcnt(0)
	v_lshlrev_b32_e32 v4, 24, v4
	s_delay_alu instid0(VALU_DEP_1) | instskip(NEXT) | instid1(VALU_DEP_1)
	v_and_b32_e32 v8, 0x7f000000, v4
	v_clz_i32_u32_e32 v9, v8
	v_cmp_ne_u32_e32 vcc_lo, 0, v8
	v_add_nc_u32_e32 v11, 0x1000000, v8
	s_delay_alu instid0(VALU_DEP_3) | instskip(NEXT) | instid1(VALU_DEP_1)
	v_min_u32_e32 v9, 32, v9
	v_sub_nc_u32_e64 v9, v9, 4 clamp
	s_delay_alu instid0(VALU_DEP_1) | instskip(SKIP_1) | instid1(VALU_DEP_2)
	v_lshlrev_b32_e32 v10, v9, v8
	v_lshlrev_b32_e32 v9, 23, v9
	v_lshrrev_b32_e32 v10, 4, v10
	s_delay_alu instid0(VALU_DEP_1) | instskip(SKIP_1) | instid1(VALU_DEP_2)
	v_sub_nc_u32_e32 v9, v10, v9
	v_ashrrev_i32_e32 v10, 8, v11
	v_add_nc_u32_e32 v9, 0x3c000000, v9
	s_delay_alu instid0(VALU_DEP_1) | instskip(NEXT) | instid1(VALU_DEP_1)
	v_and_or_b32 v9, 0x7f800000, v10, v9
	v_cndmask_b32_e32 v8, 0, v9, vcc_lo
	s_delay_alu instid0(VALU_DEP_1) | instskip(NEXT) | instid1(VALU_DEP_1)
	v_and_or_b32 v4, 0x80000000, v4, v8
	v_cvt_f16_f32_e32 v21, v4
.LBB73_1404:
	s_mov_b32 s2, 0
.LBB73_1405:
	s_delay_alu instid0(SALU_CYCLE_1)
	s_and_not1_b32 vcc_lo, exec_lo, s2
	s_cbranch_vccnz .LBB73_1407
; %bb.1406:
	global_load_u8 v4, v[2:3], off
	v_mov_b32_e32 v24, 0
	s_waitcnt vmcnt(0)
	v_lshlrev_b32_e32 v8, 25, v4
	v_lshlrev_b16 v4, 8, v4
	s_delay_alu instid0(VALU_DEP_2) | instskip(NEXT) | instid1(VALU_DEP_2)
	v_lshrrev_b32_e32 v9, 4, v8
	v_and_or_b32 v10, 0x7f00, v4, 0.5
	v_bfe_i32 v4, v4, 0, 16
	s_delay_alu instid0(VALU_DEP_3) | instskip(NEXT) | instid1(VALU_DEP_1)
	v_or_b32_e32 v9, 0x70000000, v9
	v_dual_add_f32 v10, -0.5, v10 :: v_dual_mul_f32 v9, 0x7800000, v9
	v_cmp_gt_u32_e32 vcc_lo, 0x8000000, v8
	s_delay_alu instid0(VALU_DEP_2) | instskip(NEXT) | instid1(VALU_DEP_1)
	v_cndmask_b32_e32 v8, v9, v10, vcc_lo
	v_and_or_b32 v4, 0x80000000, v4, v8
	s_delay_alu instid0(VALU_DEP_1)
	v_cvt_f16_f32_e32 v21, v4
.LBB73_1407:
	s_mov_b32 s2, 0
	s_mov_b32 s3, -1
.LBB73_1408:
	s_and_not1_b32 vcc_lo, exec_lo, s2
	s_mov_b32 s2, 0
	s_cbranch_vccnz .LBB73_1418
; %bb.1409:
	v_cmp_lt_i16_e32 vcc_lo, 14, v5
	s_cbranch_vccz .LBB73_1412
; %bb.1410:
	v_cmp_eq_u16_e32 vcc_lo, 15, v5
	s_cbranch_vccz .LBB73_1413
; %bb.1411:
	global_load_u16 v4, v[2:3], off
	s_mov_b32 s1, 0
	s_mov_b32 s3, -1
	s_mov_b32 s4, 0
	s_waitcnt vmcnt(0)
	v_lshlrev_b32_e32 v4, 16, v4
	s_delay_alu instid0(VALU_DEP_1)
	v_cvt_f16_f32_e32 v21, v4
	s_branch .LBB73_1415
.LBB73_1412:
	s_mov_b32 s2, -1
	s_branch .LBB73_1414
.LBB73_1413:
	s_mov_b32 s1, -1
.LBB73_1414:
                                        ; implicit-def: $sgpr4
                                        ; implicit-def: $vgpr21
.LBB73_1415:
	s_and_b32 vcc_lo, exec_lo, s2
	s_mov_b32 s2, 0
	s_cbranch_vccz .LBB73_1417
; %bb.1416:
	v_cmp_ne_u16_e64 s1, 11, v5
	s_mov_b32 s2, -1
                                        ; implicit-def: $sgpr4
                                        ; implicit-def: $vgpr21
.LBB73_1417:
	v_mov_b32_e32 v24, s4
.LBB73_1418:
	s_delay_alu instid0(VALU_DEP_2)
	s_and_b32 vcc_lo, exec_lo, s1
	s_cbranch_vccnz .LBB73_1442
; %bb.1419:
	s_and_not1_b32 vcc_lo, exec_lo, s2
	s_cbranch_vccnz .LBB73_1421
.LBB73_1420:
	global_load_u8 v4, v[2:3], off
	v_mov_b32_e32 v24, 0
	s_mov_b32 s3, -1
	s_waitcnt vmcnt(0)
	v_cmp_ne_u16_e32 vcc_lo, 0, v4
	v_cndmask_b32_e64 v21, 0, 0x3c00, vcc_lo
.LBB73_1421:
.LBB73_1422:
	s_and_not1_b32 vcc_lo, exec_lo, s3
	s_cbranch_vccnz .LBB73_2131
.LBB73_1423:
	v_cmp_gt_i16_e32 vcc_lo, 11, v5
	v_add_co_u32 v1, s1, s14, v1
	s_delay_alu instid0(VALU_DEP_1)
	v_add_co_ci_u32_e64 v2, null, s15, 0, s1
	s_mov_b32 s3, 0
	s_cbranch_vccnz .LBB73_1430
; %bb.1424:
	v_cmp_lt_i16_e32 vcc_lo, 25, v5
	s_mov_b32 s2, 0
	s_cbranch_vccz .LBB73_1436
; %bb.1425:
	v_cmp_lt_i16_e32 vcc_lo, 28, v5
	s_cbranch_vccz .LBB73_1438
; %bb.1426:
	v_cmp_lt_i16_e32 vcc_lo, 43, v5
	;; [unrolled: 3-line block ×3, first 2 shown]
	s_cbranch_vccz .LBB73_1444
; %bb.1428:
	v_cmp_eq_u16_e32 vcc_lo, 46, v5
	s_mov_b32 s4, 0
	s_cbranch_vccz .LBB73_1489
; %bb.1429:
	global_load_b32 v3, v[1:2], off
	s_mov_b32 s1, 0
	s_mov_b32 s3, -1
	s_waitcnt vmcnt(0)
	v_lshlrev_b32_e32 v4, 16, v3
	v_and_b32_e32 v3, 0xffff0000, v3
	s_delay_alu instid0(VALU_DEP_2) | instskip(NEXT) | instid1(VALU_DEP_2)
	v_cvt_f16_f32_e32 v23, v4
	v_cvt_f16_f32_e32 v26, v3
	s_branch .LBB73_1491
.LBB73_1430:
                                        ; implicit-def: $vgpr26
                                        ; implicit-def: $vgpr23
	s_cbranch_execz .LBB73_1560
; %bb.1431:
	v_cmp_gt_i16_e32 vcc_lo, 5, v5
	s_cbranch_vccnz .LBB73_1437
; %bb.1432:
	v_cmp_gt_i16_e32 vcc_lo, 8, v5
	s_cbranch_vccnz .LBB73_1439
	;; [unrolled: 3-line block ×3, first 2 shown]
; %bb.1434:
	v_cmp_lt_i16_e32 vcc_lo, 9, v5
	s_cbranch_vccz .LBB73_1445
; %bb.1435:
	global_load_b128 v[8:11], v[1:2], off
	s_mov_b32 s1, 0
	s_waitcnt vmcnt(0)
	v_cvt_f32_f64_e32 v3, v[8:9]
	v_cvt_f32_f64_e32 v4, v[10:11]
	s_delay_alu instid0(VALU_DEP_2) | instskip(NEXT) | instid1(VALU_DEP_2)
	v_cvt_f16_f32_e32 v23, v3
	v_cvt_f16_f32_e32 v26, v4
	s_branch .LBB73_1446
.LBB73_1436:
	s_mov_b32 s4, -1
	s_mov_b32 s1, 0
                                        ; implicit-def: $vgpr26
                                        ; implicit-def: $vgpr23
	s_branch .LBB73_1524
.LBB73_1437:
	s_mov_b32 s1, -1
                                        ; implicit-def: $vgpr26
                                        ; implicit-def: $vgpr23
	s_branch .LBB73_1465
.LBB73_1438:
	s_mov_b32 s4, -1
	s_mov_b32 s1, 0
                                        ; implicit-def: $vgpr26
                                        ; implicit-def: $vgpr23
	s_branch .LBB73_1503
.LBB73_1439:
	s_mov_b32 s1, -1
                                        ; implicit-def: $vgpr26
                                        ; implicit-def: $vgpr23
	s_branch .LBB73_1452
.LBB73_1440:
	s_mov_b32 s4, -1
	s_mov_b32 s1, 0
                                        ; implicit-def: $vgpr26
                                        ; implicit-def: $vgpr23
	s_branch .LBB73_1497
.LBB73_1441:
	s_mov_b32 s1, -1
                                        ; implicit-def: $vgpr26
                                        ; implicit-def: $vgpr23
	s_branch .LBB73_1449
.LBB73_1442:
	s_cbranch_execnz .LBB73_1487
; %bb.1443:
	s_or_b32 s9, s9, exec_lo
                                        ; implicit-def: $vgpr24
                                        ; implicit-def: $vgpr21
	s_cbranch_execz .LBB73_1420
	s_branch .LBB73_1421
.LBB73_1444:
	s_mov_b32 s4, -1
	s_mov_b32 s1, 0
	s_branch .LBB73_1490
.LBB73_1445:
	s_mov_b32 s1, -1
                                        ; implicit-def: $vgpr26
                                        ; implicit-def: $vgpr23
.LBB73_1446:
	s_delay_alu instid0(SALU_CYCLE_1)
	s_and_not1_b32 vcc_lo, exec_lo, s1
	s_cbranch_vccnz .LBB73_1448
; %bb.1447:
	global_load_b64 v[3:4], v[1:2], off
	s_waitcnt vmcnt(0)
	v_cvt_f16_f32_e32 v23, v3
	v_cvt_f16_f32_e32 v26, v4
.LBB73_1448:
	s_mov_b32 s1, 0
.LBB73_1449:
	s_delay_alu instid0(SALU_CYCLE_1)
	s_and_not1_b32 vcc_lo, exec_lo, s1
	s_cbranch_vccnz .LBB73_1451
; %bb.1450:
	global_load_b32 v23, v[1:2], off
	s_waitcnt vmcnt(0)
	v_lshrrev_b32_e32 v26, 16, v23
.LBB73_1451:
	s_mov_b32 s1, 0
.LBB73_1452:
	s_delay_alu instid0(SALU_CYCLE_1)
	s_and_not1_b32 vcc_lo, exec_lo, s1
	s_cbranch_vccnz .LBB73_1464
; %bb.1453:
	v_cmp_gt_i16_e32 vcc_lo, 6, v5
	s_cbranch_vccnz .LBB73_1456
; %bb.1454:
	v_cmp_lt_i16_e32 vcc_lo, 6, v5
	s_cbranch_vccz .LBB73_1457
; %bb.1455:
	global_load_b64 v[3:4], v[1:2], off
	s_mov_b32 s2, 0
	s_mov_b32 s1, 0
	s_waitcnt vmcnt(0)
	v_cvt_f32_f64_e32 v3, v[3:4]
	s_delay_alu instid0(VALU_DEP_1)
	v_cvt_f16_f32_e32 v23, v3
	s_branch .LBB73_1458
.LBB73_1456:
	s_mov_b32 s2, -1
                                        ; implicit-def: $sgpr1
                                        ; implicit-def: $vgpr23
	s_branch .LBB73_1461
.LBB73_1457:
	s_mov_b32 s2, -1
                                        ; implicit-def: $sgpr1
                                        ; implicit-def: $vgpr23
.LBB73_1458:
	s_delay_alu instid0(SALU_CYCLE_1)
	s_and_not1_b32 vcc_lo, exec_lo, s2
	s_cbranch_vccnz .LBB73_1460
; %bb.1459:
	global_load_b32 v3, v[1:2], off
	s_mov_b32 s1, 0
	s_waitcnt vmcnt(0)
	v_cvt_f16_f32_e32 v23, v3
.LBB73_1460:
	s_mov_b32 s2, 0
.LBB73_1461:
	s_delay_alu instid0(SALU_CYCLE_1)
	s_and_not1_b32 vcc_lo, exec_lo, s2
	s_cbranch_vccnz .LBB73_1463
; %bb.1462:
	global_load_u16 v23, v[1:2], off
	s_mov_b32 s1, 0
.LBB73_1463:
	s_delay_alu instid0(SALU_CYCLE_1)
	v_mov_b32_e32 v26, s1
.LBB73_1464:
	s_mov_b32 s1, 0
.LBB73_1465:
	s_delay_alu instid0(SALU_CYCLE_1)
	s_and_not1_b32 vcc_lo, exec_lo, s1
	s_cbranch_vccnz .LBB73_1486
; %bb.1466:
	v_cmp_gt_i16_e32 vcc_lo, 2, v5
	s_cbranch_vccnz .LBB73_1470
; %bb.1467:
	v_cmp_gt_i16_e32 vcc_lo, 3, v5
	s_cbranch_vccnz .LBB73_1471
; %bb.1468:
	v_cmp_lt_i16_e32 vcc_lo, 3, v5
	s_cbranch_vccz .LBB73_1472
; %bb.1469:
	global_load_b64 v[3:4], v[1:2], off
	s_mov_b32 s2, 0
	s_mov_b32 s1, 0
	s_waitcnt vmcnt(0)
	v_xor_b32_e32 v8, v3, v4
	v_cls_i32_e32 v9, v4
	s_delay_alu instid0(VALU_DEP_2) | instskip(NEXT) | instid1(VALU_DEP_2)
	v_ashrrev_i32_e32 v8, 31, v8
	v_add_nc_u32_e32 v9, -1, v9
	s_delay_alu instid0(VALU_DEP_2) | instskip(NEXT) | instid1(VALU_DEP_1)
	v_add_nc_u32_e32 v8, 32, v8
	v_min_u32_e32 v8, v9, v8
	s_delay_alu instid0(VALU_DEP_1) | instskip(NEXT) | instid1(VALU_DEP_1)
	v_lshlrev_b64 v[3:4], v8, v[3:4]
	v_min_u32_e32 v3, 1, v3
	s_delay_alu instid0(VALU_DEP_1) | instskip(SKIP_1) | instid1(VALU_DEP_2)
	v_or_b32_e32 v3, v4, v3
	v_sub_nc_u32_e32 v4, 32, v8
	v_cvt_f32_i32_e32 v3, v3
	s_delay_alu instid0(VALU_DEP_1) | instskip(NEXT) | instid1(VALU_DEP_1)
	v_ldexp_f32 v3, v3, v4
	v_cvt_f16_f32_e32 v23, v3
	s_branch .LBB73_1473
.LBB73_1470:
	s_mov_b32 s2, -1
                                        ; implicit-def: $sgpr1
                                        ; implicit-def: $vgpr23
	s_branch .LBB73_1479
.LBB73_1471:
	s_mov_b32 s2, -1
                                        ; implicit-def: $sgpr1
                                        ; implicit-def: $vgpr23
	s_branch .LBB73_1476
.LBB73_1472:
	s_mov_b32 s2, -1
                                        ; implicit-def: $sgpr1
                                        ; implicit-def: $vgpr23
.LBB73_1473:
	s_delay_alu instid0(SALU_CYCLE_1)
	s_and_not1_b32 vcc_lo, exec_lo, s2
	s_cbranch_vccnz .LBB73_1475
; %bb.1474:
	global_load_b32 v3, v[1:2], off
	s_mov_b32 s1, 0
	s_waitcnt vmcnt(0)
	v_cvt_f32_i32_e32 v3, v3
	s_delay_alu instid0(VALU_DEP_1)
	v_cvt_f16_f32_e32 v23, v3
.LBB73_1475:
	s_mov_b32 s2, 0
.LBB73_1476:
	s_delay_alu instid0(SALU_CYCLE_1)
	s_and_not1_b32 vcc_lo, exec_lo, s2
	s_cbranch_vccnz .LBB73_1478
; %bb.1477:
	global_load_u16 v3, v[1:2], off
	s_mov_b32 s1, 0
	s_waitcnt vmcnt(0)
	v_cvt_f16_i16_e32 v23, v3
.LBB73_1478:
	s_mov_b32 s2, 0
.LBB73_1479:
	s_delay_alu instid0(SALU_CYCLE_1)
	s_and_not1_b32 vcc_lo, exec_lo, s2
	s_cbranch_vccnz .LBB73_1485
; %bb.1480:
	v_cmp_lt_i16_e32 vcc_lo, 0, v5
	s_mov_b32 s2, 0
	s_cbranch_vccz .LBB73_1482
; %bb.1481:
	global_load_i8 v3, v[1:2], off
	s_mov_b32 s1, 0
	s_waitcnt vmcnt(0)
	v_cvt_f16_i16_e32 v23, v3
	s_branch .LBB73_1483
.LBB73_1482:
	s_mov_b32 s2, -1
                                        ; implicit-def: $sgpr1
                                        ; implicit-def: $vgpr23
.LBB73_1483:
	s_delay_alu instid0(SALU_CYCLE_1)
	s_and_not1_b32 vcc_lo, exec_lo, s2
	s_cbranch_vccnz .LBB73_1485
; %bb.1484:
	global_load_u8 v1, v[1:2], off
	s_mov_b32 s1, 0
	s_waitcnt vmcnt(0)
	v_cvt_f16_u16_e32 v23, v1
.LBB73_1485:
	v_mov_b32_e32 v26, s1
.LBB73_1486:
	s_branch .LBB73_1561
.LBB73_1487:
	s_trap 2
	s_sendmsg_rtn_b32 s0, sendmsg(MSG_RTN_GET_DOORBELL)
	s_mov_b32 ttmp2, m0
	s_waitcnt lgkmcnt(0)
	s_and_b32 s0, s0, 0x3ff
	s_delay_alu instid0(SALU_CYCLE_1) | instskip(NEXT) | instid1(SALU_CYCLE_1)
	s_bitset1_b32 s0, 10
	s_mov_b32 m0, s0
	s_sendmsg sendmsg(MSG_INTERRUPT)
	s_mov_b32 m0, ttmp2
.LBB73_1488:                            ; =>This Inner Loop Header: Depth=1
	s_sethalt 5
	s_branch .LBB73_1488
.LBB73_1489:
	s_mov_b32 s1, -1
.LBB73_1490:
                                        ; implicit-def: $vgpr26
                                        ; implicit-def: $vgpr23
.LBB73_1491:
	s_and_b32 vcc_lo, exec_lo, s4
	s_cbranch_vccz .LBB73_1496
; %bb.1492:
	v_cmp_eq_u16_e32 vcc_lo, 44, v5
	s_cbranch_vccz .LBB73_1494
; %bb.1493:
	global_load_u8 v3, v[1:2], off
	s_mov_b32 s1, 0
	s_mov_b32 s3, -1
	s_waitcnt vmcnt(0)
	v_lshlrev_b32_e32 v4, 23, v3
	v_cmp_ne_u32_e32 vcc_lo, 0xff, v3
	s_delay_alu instid0(VALU_DEP_2) | instskip(NEXT) | instid1(VALU_DEP_1)
	v_cvt_f16_f32_e32 v4, v4
	v_cndmask_b32_e32 v4, 0x7e00, v4, vcc_lo
	v_cmp_ne_u32_e32 vcc_lo, 0, v3
	s_delay_alu instid0(VALU_DEP_2)
	v_cndmask_b32_e32 v23, 0, v4, vcc_lo
	s_branch .LBB73_1495
.LBB73_1494:
	s_mov_b32 s1, -1
                                        ; implicit-def: $vgpr23
.LBB73_1495:
	s_delay_alu instid0(SALU_CYCLE_1)
	v_mov_b32_e32 v26, s1
.LBB73_1496:
	s_mov_b32 s4, 0
.LBB73_1497:
	s_delay_alu instid0(SALU_CYCLE_1)
	s_and_b32 vcc_lo, exec_lo, s4
	s_cbranch_vccz .LBB73_1502
; %bb.1498:
	v_cmp_eq_u16_e32 vcc_lo, 29, v5
	s_cbranch_vccz .LBB73_1500
; %bb.1499:
	global_load_b64 v[3:4], v[1:2], off
	s_mov_b32 s1, 0
	s_mov_b32 s3, -1
	s_mov_b32 s4, 0
	s_waitcnt vmcnt(0)
	v_clz_i32_u32_e32 v8, v4
	s_delay_alu instid0(VALU_DEP_1) | instskip(NEXT) | instid1(VALU_DEP_1)
	v_min_u32_e32 v8, 32, v8
	v_lshlrev_b64 v[3:4], v8, v[3:4]
	s_delay_alu instid0(VALU_DEP_1) | instskip(NEXT) | instid1(VALU_DEP_1)
	v_min_u32_e32 v3, 1, v3
	v_or_b32_e32 v3, v4, v3
	v_sub_nc_u32_e32 v4, 32, v8
	s_delay_alu instid0(VALU_DEP_2) | instskip(NEXT) | instid1(VALU_DEP_1)
	v_cvt_f32_u32_e32 v3, v3
	v_ldexp_f32 v3, v3, v4
	s_delay_alu instid0(VALU_DEP_1)
	v_cvt_f16_f32_e32 v23, v3
	s_branch .LBB73_1501
.LBB73_1500:
	s_mov_b32 s1, -1
                                        ; implicit-def: $sgpr4
                                        ; implicit-def: $vgpr23
.LBB73_1501:
	v_mov_b32_e32 v26, s4
.LBB73_1502:
	s_mov_b32 s4, 0
.LBB73_1503:
	s_delay_alu instid0(SALU_CYCLE_1)
	s_and_b32 vcc_lo, exec_lo, s4
	s_cbranch_vccz .LBB73_1523
; %bb.1504:
	v_cmp_gt_i16_e32 vcc_lo, 27, v5
	s_cbranch_vccnz .LBB73_1507
; %bb.1505:
	v_cmp_lt_i16_e32 vcc_lo, 27, v5
	s_cbranch_vccz .LBB73_1508
; %bb.1506:
	global_load_b32 v3, v[1:2], off
	s_mov_b32 s4, 0
	s_mov_b32 s3, 0
	s_waitcnt vmcnt(0)
	v_cvt_f32_u32_e32 v3, v3
	s_delay_alu instid0(VALU_DEP_1)
	v_cvt_f16_f32_e32 v23, v3
	s_branch .LBB73_1509
.LBB73_1507:
	s_mov_b32 s4, -1
                                        ; implicit-def: $sgpr3
                                        ; implicit-def: $vgpr23
	s_branch .LBB73_1512
.LBB73_1508:
	s_mov_b32 s4, -1
                                        ; implicit-def: $sgpr3
                                        ; implicit-def: $vgpr23
.LBB73_1509:
	s_delay_alu instid0(SALU_CYCLE_1)
	s_and_not1_b32 vcc_lo, exec_lo, s4
	s_cbranch_vccnz .LBB73_1511
; %bb.1510:
	global_load_u16 v3, v[1:2], off
	s_mov_b32 s3, 0
	s_waitcnt vmcnt(0)
	v_cvt_f16_u16_e32 v23, v3
.LBB73_1511:
	s_mov_b32 s4, 0
.LBB73_1512:
	v_mov_b32_e32 v26, s3
	s_and_not1_b32 vcc_lo, exec_lo, s4
	s_cbranch_vccnz .LBB73_1522
; %bb.1513:
	global_load_u8 v3, v[1:2], off
	s_mov_b32 s3, 0
	s_mov_b32 s6, exec_lo
                                        ; implicit-def: $sgpr5
                                        ; implicit-def: $sgpr4
	s_waitcnt vmcnt(0)
	v_cmpx_lt_i16_e32 0x7f, v3
	s_xor_b32 s6, exec_lo, s6
	s_cbranch_execz .LBB73_1517
; %bb.1514:
	s_mov_b32 s3, -1
	s_mov_b32 s7, exec_lo
                                        ; implicit-def: $sgpr5
                                        ; implicit-def: $sgpr4
	v_cmpx_eq_u16_e32 0x80, v3
; %bb.1515:
	s_movk_i32 s4, 0x7e00
	s_mov_b32 s5, 0
	s_xor_b32 s3, exec_lo, -1
; %bb.1516:
	s_or_b32 exec_lo, exec_lo, s7
	s_delay_alu instid0(SALU_CYCLE_1)
	s_and_b32 s3, s3, exec_lo
.LBB73_1517:
	s_or_saveexec_b32 s6, s6
	v_dual_mov_b32 v26, s5 :: v_dual_mov_b32 v23, s4
	s_xor_b32 exec_lo, exec_lo, s6
; %bb.1518:
	v_cmp_ne_u16_e32 vcc_lo, 0, v3
	v_dual_mov_b32 v26, 0 :: v_dual_mov_b32 v23, v3
	s_and_not1_b32 s3, s3, exec_lo
	s_and_b32 s4, vcc_lo, exec_lo
	s_delay_alu instid0(SALU_CYCLE_1)
	s_or_b32 s3, s3, s4
; %bb.1519:
	s_or_b32 exec_lo, exec_lo, s6
	s_and_saveexec_b32 s4, s3
	s_cbranch_execz .LBB73_1521
; %bb.1520:
	v_and_b32_e32 v4, 0xffff, v3
	v_mov_b32_e32 v26, 0
	s_delay_alu instid0(VALU_DEP_2) | instskip(NEXT) | instid1(VALU_DEP_1)
	v_and_b32_e32 v8, 7, v4
	v_clz_i32_u32_e32 v9, v8
	s_delay_alu instid0(VALU_DEP_1) | instskip(NEXT) | instid1(VALU_DEP_1)
	v_min_u32_e32 v9, 32, v9
	v_subrev_nc_u32_e32 v10, 28, v9
	v_sub_nc_u32_e32 v9, 29, v9
	s_delay_alu instid0(VALU_DEP_2) | instskip(SKIP_1) | instid1(VALU_DEP_2)
	v_lshlrev_b32_e32 v10, v10, v4
	v_bfe_u32 v4, v4, 3, 4
	v_and_b32_e32 v10, 7, v10
	s_delay_alu instid0(VALU_DEP_2) | instskip(SKIP_1) | instid1(VALU_DEP_1)
	v_cmp_eq_u32_e32 vcc_lo, 0, v4
	v_dual_cndmask_b32 v4, v4, v9 :: v_dual_lshlrev_b32 v3, 24, v3
	v_dual_cndmask_b32 v8, v8, v10 :: v_dual_and_b32 v3, 0x80000000, v3
	s_delay_alu instid0(VALU_DEP_2) | instskip(NEXT) | instid1(VALU_DEP_2)
	v_lshl_add_u32 v4, v4, 23, 0x3b800000
	v_lshlrev_b32_e32 v8, 20, v8
	s_delay_alu instid0(VALU_DEP_1) | instskip(NEXT) | instid1(VALU_DEP_1)
	v_or3_b32 v3, v3, v4, v8
	v_cvt_f16_f32_e32 v23, v3
.LBB73_1521:
	s_or_b32 exec_lo, exec_lo, s4
.LBB73_1522:
	s_mov_b32 s3, -1
.LBB73_1523:
	s_mov_b32 s4, 0
.LBB73_1524:
	s_delay_alu instid0(SALU_CYCLE_1)
	s_and_b32 vcc_lo, exec_lo, s4
	s_cbranch_vccz .LBB73_1556
; %bb.1525:
	v_cmp_lt_i16_e32 vcc_lo, 22, v5
	s_cbranch_vccz .LBB73_1537
; %bb.1526:
	v_cmp_gt_i16_e32 vcc_lo, 24, v5
	s_cbranch_vccnz .LBB73_1538
; %bb.1527:
	v_cmp_lt_i16_e32 vcc_lo, 24, v5
	s_cbranch_vccz .LBB73_1539
; %bb.1528:
	global_load_u8 v3, v[1:2], off
	s_mov_b32 s5, exec_lo
                                        ; implicit-def: $sgpr4
                                        ; implicit-def: $sgpr3
	s_waitcnt vmcnt(0)
	v_cmpx_lt_i16_e32 0x7f, v3
	s_xor_b32 s5, exec_lo, s5
	s_cbranch_execz .LBB73_1532
; %bb.1529:
	s_mov_b32 s2, -1
	s_mov_b32 s6, exec_lo
                                        ; implicit-def: $sgpr4
                                        ; implicit-def: $sgpr3
	v_cmpx_eq_u16_e32 0x80, v3
; %bb.1530:
	s_movk_i32 s3, 0x7e00
	s_mov_b32 s4, 0
	s_xor_b32 s2, exec_lo, -1
; %bb.1531:
	s_or_b32 exec_lo, exec_lo, s6
	s_delay_alu instid0(SALU_CYCLE_1)
	s_and_b32 s2, s2, exec_lo
.LBB73_1532:
	s_or_saveexec_b32 s5, s5
	v_dual_mov_b32 v26, s4 :: v_dual_mov_b32 v23, s3
	s_xor_b32 exec_lo, exec_lo, s5
; %bb.1533:
	v_cmp_ne_u16_e32 vcc_lo, 0, v3
	v_dual_mov_b32 v26, 0 :: v_dual_mov_b32 v23, v3
	s_and_not1_b32 s2, s2, exec_lo
	s_and_b32 s3, vcc_lo, exec_lo
	s_delay_alu instid0(SALU_CYCLE_1)
	s_or_b32 s2, s2, s3
; %bb.1534:
	s_or_b32 exec_lo, exec_lo, s5
	s_and_saveexec_b32 s3, s2
	s_cbranch_execz .LBB73_1536
; %bb.1535:
	v_and_b32_e32 v4, 0xffff, v3
	v_mov_b32_e32 v26, 0
	s_delay_alu instid0(VALU_DEP_2) | instskip(NEXT) | instid1(VALU_DEP_1)
	v_and_b32_e32 v8, 3, v4
	v_clz_i32_u32_e32 v9, v8
	s_delay_alu instid0(VALU_DEP_1) | instskip(NEXT) | instid1(VALU_DEP_1)
	v_min_u32_e32 v9, 32, v9
	v_subrev_nc_u32_e32 v10, 29, v9
	v_sub_nc_u32_e32 v9, 30, v9
	s_delay_alu instid0(VALU_DEP_2) | instskip(SKIP_1) | instid1(VALU_DEP_2)
	v_lshlrev_b32_e32 v10, v10, v4
	v_bfe_u32 v4, v4, 2, 5
	v_and_b32_e32 v10, 3, v10
	s_delay_alu instid0(VALU_DEP_2) | instskip(SKIP_1) | instid1(VALU_DEP_1)
	v_cmp_eq_u32_e32 vcc_lo, 0, v4
	v_dual_cndmask_b32 v4, v4, v9 :: v_dual_lshlrev_b32 v3, 24, v3
	v_dual_cndmask_b32 v8, v8, v10 :: v_dual_and_b32 v3, 0x80000000, v3
	s_delay_alu instid0(VALU_DEP_2) | instskip(NEXT) | instid1(VALU_DEP_2)
	v_lshl_add_u32 v4, v4, 23, 0x37800000
	v_lshlrev_b32_e32 v8, 21, v8
	s_delay_alu instid0(VALU_DEP_1) | instskip(NEXT) | instid1(VALU_DEP_1)
	v_or3_b32 v3, v3, v4, v8
	v_cvt_f16_f32_e32 v23, v3
.LBB73_1536:
	s_or_b32 exec_lo, exec_lo, s3
	s_mov_b32 s2, 0
	s_branch .LBB73_1540
.LBB73_1537:
	s_mov_b32 s2, -1
                                        ; implicit-def: $vgpr26
                                        ; implicit-def: $vgpr23
	s_branch .LBB73_1546
.LBB73_1538:
	s_mov_b32 s2, -1
                                        ; implicit-def: $vgpr26
                                        ; implicit-def: $vgpr23
	s_branch .LBB73_1543
.LBB73_1539:
	s_mov_b32 s2, -1
                                        ; implicit-def: $vgpr26
                                        ; implicit-def: $vgpr23
.LBB73_1540:
	s_delay_alu instid0(SALU_CYCLE_1)
	s_and_b32 vcc_lo, exec_lo, s2
	s_cbranch_vccz .LBB73_1542
; %bb.1541:
	global_load_u8 v3, v[1:2], off
	s_waitcnt vmcnt(0)
	v_dual_mov_b32 v26, 0 :: v_dual_lshlrev_b32 v3, 24, v3
	s_delay_alu instid0(VALU_DEP_1) | instskip(NEXT) | instid1(VALU_DEP_1)
	v_and_b32_e32 v4, 0x7f000000, v3
	v_clz_i32_u32_e32 v8, v4
	v_add_nc_u32_e32 v10, 0x1000000, v4
	v_cmp_ne_u32_e32 vcc_lo, 0, v4
	s_delay_alu instid0(VALU_DEP_3) | instskip(NEXT) | instid1(VALU_DEP_1)
	v_min_u32_e32 v8, 32, v8
	v_sub_nc_u32_e64 v8, v8, 4 clamp
	s_delay_alu instid0(VALU_DEP_1) | instskip(SKIP_1) | instid1(VALU_DEP_2)
	v_lshlrev_b32_e32 v9, v8, v4
	v_lshlrev_b32_e32 v8, 23, v8
	v_lshrrev_b32_e32 v9, 4, v9
	s_delay_alu instid0(VALU_DEP_1) | instskip(SKIP_1) | instid1(VALU_DEP_2)
	v_sub_nc_u32_e32 v8, v9, v8
	v_ashrrev_i32_e32 v9, 8, v10
	v_add_nc_u32_e32 v8, 0x3c000000, v8
	s_delay_alu instid0(VALU_DEP_1) | instskip(NEXT) | instid1(VALU_DEP_1)
	v_and_or_b32 v8, 0x7f800000, v9, v8
	v_cndmask_b32_e32 v4, 0, v8, vcc_lo
	s_delay_alu instid0(VALU_DEP_1) | instskip(NEXT) | instid1(VALU_DEP_1)
	v_and_or_b32 v3, 0x80000000, v3, v4
	v_cvt_f16_f32_e32 v23, v3
.LBB73_1542:
	s_mov_b32 s2, 0
.LBB73_1543:
	s_delay_alu instid0(SALU_CYCLE_1)
	s_and_not1_b32 vcc_lo, exec_lo, s2
	s_cbranch_vccnz .LBB73_1545
; %bb.1544:
	global_load_u8 v3, v[1:2], off
	v_mov_b32_e32 v26, 0
	s_waitcnt vmcnt(0)
	v_lshlrev_b32_e32 v4, 25, v3
	v_lshlrev_b16 v3, 8, v3
	s_delay_alu instid0(VALU_DEP_1) | instskip(SKIP_1) | instid1(VALU_DEP_2)
	v_and_or_b32 v9, 0x7f00, v3, 0.5
	v_bfe_i32 v3, v3, 0, 16
	v_add_f32_e32 v9, -0.5, v9
	v_lshrrev_b32_e32 v8, 4, v4
	v_cmp_gt_u32_e32 vcc_lo, 0x8000000, v4
	s_delay_alu instid0(VALU_DEP_2) | instskip(NEXT) | instid1(VALU_DEP_1)
	v_or_b32_e32 v8, 0x70000000, v8
	v_mul_f32_e32 v8, 0x7800000, v8
	s_delay_alu instid0(VALU_DEP_1) | instskip(NEXT) | instid1(VALU_DEP_1)
	v_cndmask_b32_e32 v4, v8, v9, vcc_lo
	v_and_or_b32 v3, 0x80000000, v3, v4
	s_delay_alu instid0(VALU_DEP_1)
	v_cvt_f16_f32_e32 v23, v3
.LBB73_1545:
	s_mov_b32 s2, 0
	s_mov_b32 s3, -1
.LBB73_1546:
	s_and_not1_b32 vcc_lo, exec_lo, s2
	s_mov_b32 s2, 0
	s_cbranch_vccnz .LBB73_1556
; %bb.1547:
	v_cmp_lt_i16_e32 vcc_lo, 14, v5
	s_cbranch_vccz .LBB73_1550
; %bb.1548:
	v_cmp_eq_u16_e32 vcc_lo, 15, v5
	s_cbranch_vccz .LBB73_1551
; %bb.1549:
	global_load_u16 v3, v[1:2], off
	s_mov_b32 s1, 0
	s_mov_b32 s3, -1
	s_mov_b32 s4, 0
	s_waitcnt vmcnt(0)
	v_lshlrev_b32_e32 v3, 16, v3
	s_delay_alu instid0(VALU_DEP_1)
	v_cvt_f16_f32_e32 v23, v3
	s_branch .LBB73_1553
.LBB73_1550:
	s_mov_b32 s2, -1
	s_branch .LBB73_1552
.LBB73_1551:
	s_mov_b32 s1, -1
.LBB73_1552:
                                        ; implicit-def: $sgpr4
                                        ; implicit-def: $vgpr23
.LBB73_1553:
	s_and_b32 vcc_lo, exec_lo, s2
	s_mov_b32 s2, 0
	s_cbranch_vccz .LBB73_1555
; %bb.1554:
	v_cmp_ne_u16_e64 s1, 11, v5
	s_mov_b32 s2, -1
                                        ; implicit-def: $sgpr4
                                        ; implicit-def: $vgpr23
.LBB73_1555:
	v_mov_b32_e32 v26, s4
.LBB73_1556:
	s_delay_alu instid0(VALU_DEP_2)
	s_and_b32 vcc_lo, exec_lo, s1
	s_cbranch_vccnz .LBB73_1572
; %bb.1557:
	s_and_not1_b32 vcc_lo, exec_lo, s2
	s_cbranch_vccnz .LBB73_1559
.LBB73_1558:
	global_load_u8 v3, v[1:2], off
	v_mov_b32_e32 v26, 0
	s_mov_b32 s3, -1
	s_waitcnt vmcnt(0)
	v_cmp_ne_u16_e32 vcc_lo, 0, v3
	v_cndmask_b32_e64 v23, 0, 0x3c00, vcc_lo
.LBB73_1559:
.LBB73_1560:
	s_and_not1_b32 vcc_lo, exec_lo, s3
	s_cbranch_vccnz .LBB73_2131
.LBB73_1561:
	v_cmp_gt_i16_e32 vcc_lo, 11, v5
	v_add_co_u32 v0, s1, s14, v0
	s_delay_alu instid0(VALU_DEP_1)
	v_add_co_ci_u32_e64 v1, null, s15, 0, s1
	s_mov_b32 s3, 0
	s_cbranch_vccnz .LBB73_1568
; %bb.1562:
	v_cmp_lt_i16_e32 vcc_lo, 25, v5
	s_mov_b32 s2, 0
	s_cbranch_vccz .LBB73_1569
; %bb.1563:
	v_cmp_lt_i16_e32 vcc_lo, 28, v5
	s_cbranch_vccz .LBB73_1570
; %bb.1564:
	v_cmp_lt_i16_e32 vcc_lo, 43, v5
	;; [unrolled: 3-line block ×3, first 2 shown]
	s_cbranch_vccz .LBB73_1574
; %bb.1566:
	v_cmp_eq_u16_e32 vcc_lo, 46, v5
	s_mov_b32 s4, 0
	s_cbranch_vccz .LBB73_1577
; %bb.1567:
	global_load_b32 v2, v[0:1], off
	s_mov_b32 s1, 0
	s_mov_b32 s3, -1
	s_waitcnt vmcnt(0)
	v_lshlrev_b32_e32 v3, 16, v2
	v_and_b32_e32 v2, 0xffff0000, v2
	s_delay_alu instid0(VALU_DEP_2) | instskip(NEXT) | instid1(VALU_DEP_2)
	v_cvt_f16_f32_e32 v25, v3
	v_cvt_f16_f32_e32 v27, v2
	s_branch .LBB73_1579
.LBB73_1568:
	s_mov_b32 s1, -1
                                        ; implicit-def: $vgpr27
                                        ; implicit-def: $vgpr25
	s_branch .LBB73_1648
.LBB73_1569:
	s_mov_b32 s4, -1
	s_mov_b32 s1, 0
                                        ; implicit-def: $vgpr27
                                        ; implicit-def: $vgpr25
	s_branch .LBB73_1612
.LBB73_1570:
	s_mov_b32 s4, -1
	s_mov_b32 s1, 0
                                        ; implicit-def: $vgpr27
                                        ; implicit-def: $vgpr25
	s_branch .LBB73_1591
.LBB73_1571:
	s_mov_b32 s4, -1
	s_mov_b32 s1, 0
                                        ; implicit-def: $vgpr27
                                        ; implicit-def: $vgpr25
	s_branch .LBB73_1585
.LBB73_1572:
	s_cbranch_execnz .LBB73_1575
; %bb.1573:
	s_or_b32 s9, s9, exec_lo
                                        ; implicit-def: $vgpr26
                                        ; implicit-def: $vgpr23
	s_cbranch_execz .LBB73_1558
	s_branch .LBB73_1559
.LBB73_1574:
	s_mov_b32 s4, -1
	s_mov_b32 s1, 0
	s_branch .LBB73_1578
.LBB73_1575:
	s_trap 2
	s_sendmsg_rtn_b32 s0, sendmsg(MSG_RTN_GET_DOORBELL)
	s_mov_b32 ttmp2, m0
	s_waitcnt lgkmcnt(0)
	s_and_b32 s0, s0, 0x3ff
	s_delay_alu instid0(SALU_CYCLE_1) | instskip(NEXT) | instid1(SALU_CYCLE_1)
	s_bitset1_b32 s0, 10
	s_mov_b32 m0, s0
	s_sendmsg sendmsg(MSG_INTERRUPT)
	s_mov_b32 m0, ttmp2
.LBB73_1576:                            ; =>This Inner Loop Header: Depth=1
	s_sethalt 5
	s_branch .LBB73_1576
.LBB73_1577:
	s_mov_b32 s1, -1
.LBB73_1578:
                                        ; implicit-def: $vgpr27
                                        ; implicit-def: $vgpr25
.LBB73_1579:
	s_and_b32 vcc_lo, exec_lo, s4
	s_cbranch_vccz .LBB73_1584
; %bb.1580:
	v_cmp_eq_u16_e32 vcc_lo, 44, v5
	s_cbranch_vccz .LBB73_1582
; %bb.1581:
	global_load_u8 v2, v[0:1], off
	s_mov_b32 s1, 0
	s_mov_b32 s3, -1
	s_waitcnt vmcnt(0)
	v_lshlrev_b32_e32 v3, 23, v2
	v_cmp_ne_u32_e32 vcc_lo, 0xff, v2
	s_delay_alu instid0(VALU_DEP_2) | instskip(NEXT) | instid1(VALU_DEP_1)
	v_cvt_f16_f32_e32 v3, v3
	v_cndmask_b32_e32 v3, 0x7e00, v3, vcc_lo
	v_cmp_ne_u32_e32 vcc_lo, 0, v2
	s_delay_alu instid0(VALU_DEP_2)
	v_cndmask_b32_e32 v25, 0, v3, vcc_lo
	s_branch .LBB73_1583
.LBB73_1582:
	s_mov_b32 s1, -1
                                        ; implicit-def: $vgpr25
.LBB73_1583:
	s_delay_alu instid0(SALU_CYCLE_1)
	v_mov_b32_e32 v27, s1
.LBB73_1584:
	s_mov_b32 s4, 0
.LBB73_1585:
	s_delay_alu instid0(SALU_CYCLE_1)
	s_and_b32 vcc_lo, exec_lo, s4
	s_cbranch_vccz .LBB73_1590
; %bb.1586:
	v_cmp_eq_u16_e32 vcc_lo, 29, v5
	s_cbranch_vccz .LBB73_1588
; %bb.1587:
	global_load_b64 v[2:3], v[0:1], off
	s_mov_b32 s1, 0
	s_mov_b32 s3, -1
	s_mov_b32 s4, 0
	s_waitcnt vmcnt(0)
	v_clz_i32_u32_e32 v4, v3
	s_delay_alu instid0(VALU_DEP_1) | instskip(NEXT) | instid1(VALU_DEP_1)
	v_min_u32_e32 v4, 32, v4
	v_lshlrev_b64 v[2:3], v4, v[2:3]
	s_delay_alu instid0(VALU_DEP_1) | instskip(NEXT) | instid1(VALU_DEP_1)
	v_min_u32_e32 v2, 1, v2
	v_or_b32_e32 v2, v3, v2
	v_sub_nc_u32_e32 v3, 32, v4
	s_delay_alu instid0(VALU_DEP_2) | instskip(NEXT) | instid1(VALU_DEP_1)
	v_cvt_f32_u32_e32 v2, v2
	v_ldexp_f32 v2, v2, v3
	s_delay_alu instid0(VALU_DEP_1)
	v_cvt_f16_f32_e32 v25, v2
	s_branch .LBB73_1589
.LBB73_1588:
	s_mov_b32 s1, -1
                                        ; implicit-def: $sgpr4
                                        ; implicit-def: $vgpr25
.LBB73_1589:
	v_mov_b32_e32 v27, s4
.LBB73_1590:
	s_mov_b32 s4, 0
.LBB73_1591:
	s_delay_alu instid0(SALU_CYCLE_1)
	s_and_b32 vcc_lo, exec_lo, s4
	s_cbranch_vccz .LBB73_1611
; %bb.1592:
	v_cmp_gt_i16_e32 vcc_lo, 27, v5
	s_cbranch_vccnz .LBB73_1595
; %bb.1593:
	v_cmp_lt_i16_e32 vcc_lo, 27, v5
	s_cbranch_vccz .LBB73_1596
; %bb.1594:
	global_load_b32 v2, v[0:1], off
	s_mov_b32 s4, 0
	s_mov_b32 s3, 0
	s_waitcnt vmcnt(0)
	v_cvt_f32_u32_e32 v2, v2
	s_delay_alu instid0(VALU_DEP_1)
	v_cvt_f16_f32_e32 v25, v2
	s_branch .LBB73_1597
.LBB73_1595:
	s_mov_b32 s4, -1
                                        ; implicit-def: $sgpr3
                                        ; implicit-def: $vgpr25
	s_branch .LBB73_1600
.LBB73_1596:
	s_mov_b32 s4, -1
                                        ; implicit-def: $sgpr3
                                        ; implicit-def: $vgpr25
.LBB73_1597:
	s_delay_alu instid0(SALU_CYCLE_1)
	s_and_not1_b32 vcc_lo, exec_lo, s4
	s_cbranch_vccnz .LBB73_1599
; %bb.1598:
	global_load_u16 v2, v[0:1], off
	s_mov_b32 s3, 0
	s_waitcnt vmcnt(0)
	v_cvt_f16_u16_e32 v25, v2
.LBB73_1599:
	s_mov_b32 s4, 0
.LBB73_1600:
	v_mov_b32_e32 v27, s3
	s_and_not1_b32 vcc_lo, exec_lo, s4
	s_cbranch_vccnz .LBB73_1610
; %bb.1601:
	global_load_u8 v2, v[0:1], off
	s_mov_b32 s3, 0
	s_mov_b32 s6, exec_lo
                                        ; implicit-def: $sgpr5
                                        ; implicit-def: $sgpr4
	s_waitcnt vmcnt(0)
	v_cmpx_lt_i16_e32 0x7f, v2
	s_xor_b32 s6, exec_lo, s6
	s_cbranch_execz .LBB73_1605
; %bb.1602:
	s_mov_b32 s3, -1
	s_mov_b32 s7, exec_lo
                                        ; implicit-def: $sgpr5
                                        ; implicit-def: $sgpr4
	v_cmpx_eq_u16_e32 0x80, v2
; %bb.1603:
	s_movk_i32 s4, 0x7e00
	s_mov_b32 s5, 0
	s_xor_b32 s3, exec_lo, -1
; %bb.1604:
	s_or_b32 exec_lo, exec_lo, s7
	s_delay_alu instid0(SALU_CYCLE_1)
	s_and_b32 s3, s3, exec_lo
.LBB73_1605:
	s_or_saveexec_b32 s6, s6
	v_mov_b32_e32 v27, s5
	v_mov_b32_e32 v25, s4
	s_xor_b32 exec_lo, exec_lo, s6
; %bb.1606:
	v_cmp_ne_u16_e32 vcc_lo, 0, v2
	v_mov_b32_e32 v27, 0
	v_mov_b32_e32 v25, v2
	s_and_not1_b32 s3, s3, exec_lo
	s_and_b32 s4, vcc_lo, exec_lo
	s_delay_alu instid0(SALU_CYCLE_1)
	s_or_b32 s3, s3, s4
; %bb.1607:
	s_or_b32 exec_lo, exec_lo, s6
	s_and_saveexec_b32 s4, s3
	s_cbranch_execz .LBB73_1609
; %bb.1608:
	v_and_b32_e32 v3, 0xffff, v2
	v_dual_mov_b32 v27, 0 :: v_dual_lshlrev_b32 v2, 24, v2
	s_delay_alu instid0(VALU_DEP_2) | instskip(NEXT) | instid1(VALU_DEP_2)
	v_and_b32_e32 v4, 7, v3
	v_and_b32_e32 v2, 0x80000000, v2
	s_delay_alu instid0(VALU_DEP_2) | instskip(NEXT) | instid1(VALU_DEP_1)
	v_clz_i32_u32_e32 v8, v4
	v_min_u32_e32 v8, 32, v8
	s_delay_alu instid0(VALU_DEP_1) | instskip(SKIP_1) | instid1(VALU_DEP_2)
	v_subrev_nc_u32_e32 v9, 28, v8
	v_sub_nc_u32_e32 v8, 29, v8
	v_lshlrev_b32_e32 v9, v9, v3
	v_bfe_u32 v3, v3, 3, 4
	s_delay_alu instid0(VALU_DEP_2) | instskip(NEXT) | instid1(VALU_DEP_2)
	v_and_b32_e32 v9, 7, v9
	v_cmp_eq_u32_e32 vcc_lo, 0, v3
	s_delay_alu instid0(VALU_DEP_2) | instskip(NEXT) | instid1(VALU_DEP_1)
	v_dual_cndmask_b32 v3, v3, v8 :: v_dual_cndmask_b32 v4, v4, v9
	v_lshl_add_u32 v3, v3, 23, 0x3b800000
	s_delay_alu instid0(VALU_DEP_2) | instskip(NEXT) | instid1(VALU_DEP_1)
	v_lshlrev_b32_e32 v4, 20, v4
	v_or3_b32 v2, v2, v3, v4
	s_delay_alu instid0(VALU_DEP_1)
	v_cvt_f16_f32_e32 v25, v2
.LBB73_1609:
	s_or_b32 exec_lo, exec_lo, s4
.LBB73_1610:
	s_mov_b32 s3, -1
.LBB73_1611:
	s_mov_b32 s4, 0
.LBB73_1612:
	s_delay_alu instid0(SALU_CYCLE_1)
	s_and_b32 vcc_lo, exec_lo, s4
	s_cbranch_vccz .LBB73_1644
; %bb.1613:
	v_cmp_lt_i16_e32 vcc_lo, 22, v5
	s_cbranch_vccz .LBB73_1625
; %bb.1614:
	v_cmp_gt_i16_e32 vcc_lo, 24, v5
	s_cbranch_vccnz .LBB73_1626
; %bb.1615:
	v_cmp_lt_i16_e32 vcc_lo, 24, v5
	s_cbranch_vccz .LBB73_1627
; %bb.1616:
	global_load_u8 v2, v[0:1], off
	s_mov_b32 s5, exec_lo
                                        ; implicit-def: $sgpr4
                                        ; implicit-def: $sgpr3
	s_waitcnt vmcnt(0)
	v_cmpx_lt_i16_e32 0x7f, v2
	s_xor_b32 s5, exec_lo, s5
	s_cbranch_execz .LBB73_1620
; %bb.1617:
	s_mov_b32 s2, -1
	s_mov_b32 s6, exec_lo
                                        ; implicit-def: $sgpr4
                                        ; implicit-def: $sgpr3
	v_cmpx_eq_u16_e32 0x80, v2
; %bb.1618:
	s_movk_i32 s3, 0x7e00
	s_mov_b32 s4, 0
	s_xor_b32 s2, exec_lo, -1
; %bb.1619:
	s_or_b32 exec_lo, exec_lo, s6
	s_delay_alu instid0(SALU_CYCLE_1)
	s_and_b32 s2, s2, exec_lo
.LBB73_1620:
	s_or_saveexec_b32 s5, s5
	v_mov_b32_e32 v27, s4
	v_mov_b32_e32 v25, s3
	s_xor_b32 exec_lo, exec_lo, s5
; %bb.1621:
	v_cmp_ne_u16_e32 vcc_lo, 0, v2
	v_mov_b32_e32 v27, 0
	v_mov_b32_e32 v25, v2
	s_and_not1_b32 s2, s2, exec_lo
	s_and_b32 s3, vcc_lo, exec_lo
	s_delay_alu instid0(SALU_CYCLE_1)
	s_or_b32 s2, s2, s3
; %bb.1622:
	s_or_b32 exec_lo, exec_lo, s5
	s_and_saveexec_b32 s3, s2
	s_cbranch_execz .LBB73_1624
; %bb.1623:
	v_and_b32_e32 v3, 0xffff, v2
	v_dual_mov_b32 v27, 0 :: v_dual_lshlrev_b32 v2, 24, v2
	s_delay_alu instid0(VALU_DEP_2) | instskip(NEXT) | instid1(VALU_DEP_2)
	v_and_b32_e32 v4, 3, v3
	v_and_b32_e32 v2, 0x80000000, v2
	s_delay_alu instid0(VALU_DEP_2) | instskip(NEXT) | instid1(VALU_DEP_1)
	v_clz_i32_u32_e32 v8, v4
	v_min_u32_e32 v8, 32, v8
	s_delay_alu instid0(VALU_DEP_1) | instskip(SKIP_1) | instid1(VALU_DEP_2)
	v_subrev_nc_u32_e32 v9, 29, v8
	v_sub_nc_u32_e32 v8, 30, v8
	v_lshlrev_b32_e32 v9, v9, v3
	v_bfe_u32 v3, v3, 2, 5
	s_delay_alu instid0(VALU_DEP_2) | instskip(NEXT) | instid1(VALU_DEP_2)
	v_and_b32_e32 v9, 3, v9
	v_cmp_eq_u32_e32 vcc_lo, 0, v3
	s_delay_alu instid0(VALU_DEP_2) | instskip(NEXT) | instid1(VALU_DEP_1)
	v_dual_cndmask_b32 v3, v3, v8 :: v_dual_cndmask_b32 v4, v4, v9
	v_lshl_add_u32 v3, v3, 23, 0x37800000
	s_delay_alu instid0(VALU_DEP_2) | instskip(NEXT) | instid1(VALU_DEP_1)
	v_lshlrev_b32_e32 v4, 21, v4
	v_or3_b32 v2, v2, v3, v4
	s_delay_alu instid0(VALU_DEP_1)
	v_cvt_f16_f32_e32 v25, v2
.LBB73_1624:
	s_or_b32 exec_lo, exec_lo, s3
	s_mov_b32 s2, 0
	s_branch .LBB73_1628
.LBB73_1625:
	s_mov_b32 s2, -1
                                        ; implicit-def: $vgpr27
                                        ; implicit-def: $vgpr25
	s_branch .LBB73_1634
.LBB73_1626:
	s_mov_b32 s2, -1
                                        ; implicit-def: $vgpr27
                                        ; implicit-def: $vgpr25
	s_branch .LBB73_1631
.LBB73_1627:
	s_mov_b32 s2, -1
                                        ; implicit-def: $vgpr27
                                        ; implicit-def: $vgpr25
.LBB73_1628:
	s_delay_alu instid0(SALU_CYCLE_1)
	s_and_b32 vcc_lo, exec_lo, s2
	s_cbranch_vccz .LBB73_1630
; %bb.1629:
	global_load_u8 v2, v[0:1], off
	s_waitcnt vmcnt(0)
	v_dual_mov_b32 v27, 0 :: v_dual_lshlrev_b32 v2, 24, v2
	s_delay_alu instid0(VALU_DEP_1) | instskip(NEXT) | instid1(VALU_DEP_1)
	v_and_b32_e32 v3, 0x7f000000, v2
	v_clz_i32_u32_e32 v4, v3
	v_add_nc_u32_e32 v9, 0x1000000, v3
	v_cmp_ne_u32_e32 vcc_lo, 0, v3
	s_delay_alu instid0(VALU_DEP_3) | instskip(NEXT) | instid1(VALU_DEP_1)
	v_min_u32_e32 v4, 32, v4
	v_sub_nc_u32_e64 v4, v4, 4 clamp
	s_delay_alu instid0(VALU_DEP_1) | instskip(SKIP_1) | instid1(VALU_DEP_2)
	v_lshlrev_b32_e32 v8, v4, v3
	v_lshlrev_b32_e32 v4, 23, v4
	v_lshrrev_b32_e32 v8, 4, v8
	s_delay_alu instid0(VALU_DEP_1) | instskip(SKIP_1) | instid1(VALU_DEP_2)
	v_sub_nc_u32_e32 v4, v8, v4
	v_ashrrev_i32_e32 v8, 8, v9
	v_add_nc_u32_e32 v4, 0x3c000000, v4
	s_delay_alu instid0(VALU_DEP_1) | instskip(NEXT) | instid1(VALU_DEP_1)
	v_and_or_b32 v4, 0x7f800000, v8, v4
	v_cndmask_b32_e32 v3, 0, v4, vcc_lo
	s_delay_alu instid0(VALU_DEP_1) | instskip(NEXT) | instid1(VALU_DEP_1)
	v_and_or_b32 v2, 0x80000000, v2, v3
	v_cvt_f16_f32_e32 v25, v2
.LBB73_1630:
	s_mov_b32 s2, 0
.LBB73_1631:
	s_delay_alu instid0(SALU_CYCLE_1)
	s_and_not1_b32 vcc_lo, exec_lo, s2
	s_cbranch_vccnz .LBB73_1633
; %bb.1632:
	global_load_u8 v2, v[0:1], off
	v_mov_b32_e32 v27, 0
	s_waitcnt vmcnt(0)
	v_lshlrev_b32_e32 v3, 25, v2
	v_lshlrev_b16 v2, 8, v2
	s_delay_alu instid0(VALU_DEP_1) | instskip(SKIP_1) | instid1(VALU_DEP_2)
	v_and_or_b32 v8, 0x7f00, v2, 0.5
	v_bfe_i32 v2, v2, 0, 16
	v_add_f32_e32 v8, -0.5, v8
	v_lshrrev_b32_e32 v4, 4, v3
	v_cmp_gt_u32_e32 vcc_lo, 0x8000000, v3
	s_delay_alu instid0(VALU_DEP_2) | instskip(NEXT) | instid1(VALU_DEP_1)
	v_or_b32_e32 v4, 0x70000000, v4
	v_mul_f32_e32 v4, 0x7800000, v4
	s_delay_alu instid0(VALU_DEP_1) | instskip(NEXT) | instid1(VALU_DEP_1)
	v_cndmask_b32_e32 v3, v4, v8, vcc_lo
	v_and_or_b32 v2, 0x80000000, v2, v3
	s_delay_alu instid0(VALU_DEP_1)
	v_cvt_f16_f32_e32 v25, v2
.LBB73_1633:
	s_mov_b32 s2, 0
	s_mov_b32 s3, -1
.LBB73_1634:
	s_and_not1_b32 vcc_lo, exec_lo, s2
	s_mov_b32 s2, 0
	s_cbranch_vccnz .LBB73_1644
; %bb.1635:
	v_cmp_lt_i16_e32 vcc_lo, 14, v5
	s_cbranch_vccz .LBB73_1638
; %bb.1636:
	v_cmp_eq_u16_e32 vcc_lo, 15, v5
	s_cbranch_vccz .LBB73_1639
; %bb.1637:
	global_load_u16 v2, v[0:1], off
	s_mov_b32 s1, 0
	s_mov_b32 s3, -1
	s_mov_b32 s4, 0
	s_waitcnt vmcnt(0)
	v_lshlrev_b32_e32 v2, 16, v2
	s_delay_alu instid0(VALU_DEP_1)
	v_cvt_f16_f32_e32 v25, v2
	s_branch .LBB73_1641
.LBB73_1638:
	s_mov_b32 s2, -1
	s_branch .LBB73_1640
.LBB73_1639:
	s_mov_b32 s1, -1
.LBB73_1640:
                                        ; implicit-def: $sgpr4
                                        ; implicit-def: $vgpr25
.LBB73_1641:
	s_and_b32 vcc_lo, exec_lo, s2
	s_mov_b32 s2, 0
	s_cbranch_vccz .LBB73_1643
; %bb.1642:
	v_cmp_ne_u16_e64 s1, 11, v5
	s_mov_b32 s2, -1
                                        ; implicit-def: $sgpr4
                                        ; implicit-def: $vgpr25
.LBB73_1643:
	v_mov_b32_e32 v27, s4
.LBB73_1644:
	s_delay_alu instid0(VALU_DEP_2)
	s_and_b32 vcc_lo, exec_lo, s1
	s_cbranch_vccnz .LBB73_2176
; %bb.1645:
	s_and_not1_b32 vcc_lo, exec_lo, s2
	s_cbranch_vccnz .LBB73_1647
.LBB73_1646:
	global_load_u8 v2, v[0:1], off
	v_mov_b32_e32 v27, 0
	s_mov_b32 s3, -1
	s_waitcnt vmcnt(0)
	v_cmp_ne_u16_e32 vcc_lo, 0, v2
	v_cndmask_b32_e64 v25, 0, 0x3c00, vcc_lo
.LBB73_1647:
	s_mov_b32 s1, 0
.LBB73_1648:
	s_delay_alu instid0(SALU_CYCLE_1)
	s_and_b32 vcc_lo, exec_lo, s1
	s_cbranch_vccz .LBB73_1699
; %bb.1649:
	v_cmp_gt_i16_e32 vcc_lo, 5, v5
	s_cbranch_vccnz .LBB73_1654
; %bb.1650:
	v_cmp_gt_i16_e32 vcc_lo, 8, v5
	s_cbranch_vccnz .LBB73_1655
	;; [unrolled: 3-line block ×3, first 2 shown]
; %bb.1652:
	v_cmp_lt_i16_e32 vcc_lo, 9, v5
	s_cbranch_vccz .LBB73_1657
; %bb.1653:
	global_load_b128 v[8:11], v[0:1], off
	s_mov_b32 s1, 0
	s_waitcnt vmcnt(0)
	v_cvt_f32_f64_e32 v2, v[8:9]
	v_cvt_f32_f64_e32 v3, v[10:11]
	s_delay_alu instid0(VALU_DEP_2) | instskip(NEXT) | instid1(VALU_DEP_2)
	v_cvt_f16_f32_e32 v25, v2
	v_cvt_f16_f32_e32 v27, v3
	s_branch .LBB73_1658
.LBB73_1654:
	s_mov_b32 s1, -1
                                        ; implicit-def: $vgpr27
                                        ; implicit-def: $vgpr25
	s_branch .LBB73_1677
.LBB73_1655:
	s_mov_b32 s1, -1
                                        ; implicit-def: $vgpr27
                                        ; implicit-def: $vgpr25
	s_branch .LBB73_1664
.LBB73_1656:
	s_mov_b32 s1, -1
                                        ; implicit-def: $vgpr27
                                        ; implicit-def: $vgpr25
	s_branch .LBB73_1661
.LBB73_1657:
	s_mov_b32 s1, -1
                                        ; implicit-def: $vgpr27
                                        ; implicit-def: $vgpr25
.LBB73_1658:
	s_delay_alu instid0(SALU_CYCLE_1)
	s_and_not1_b32 vcc_lo, exec_lo, s1
	s_cbranch_vccnz .LBB73_1660
; %bb.1659:
	global_load_b64 v[2:3], v[0:1], off
	s_waitcnt vmcnt(0)
	v_cvt_f16_f32_e32 v25, v2
	v_cvt_f16_f32_e32 v27, v3
.LBB73_1660:
	s_mov_b32 s1, 0
.LBB73_1661:
	s_delay_alu instid0(SALU_CYCLE_1)
	s_and_not1_b32 vcc_lo, exec_lo, s1
	s_cbranch_vccnz .LBB73_1663
; %bb.1662:
	global_load_b32 v25, v[0:1], off
	s_waitcnt vmcnt(0)
	v_lshrrev_b32_e32 v27, 16, v25
.LBB73_1663:
	s_mov_b32 s1, 0
.LBB73_1664:
	s_delay_alu instid0(SALU_CYCLE_1)
	s_and_not1_b32 vcc_lo, exec_lo, s1
	s_cbranch_vccnz .LBB73_1676
; %bb.1665:
	v_cmp_gt_i16_e32 vcc_lo, 6, v5
	s_cbranch_vccnz .LBB73_1668
; %bb.1666:
	v_cmp_lt_i16_e32 vcc_lo, 6, v5
	s_cbranch_vccz .LBB73_1669
; %bb.1667:
	global_load_b64 v[2:3], v[0:1], off
	s_mov_b32 s2, 0
	s_mov_b32 s1, 0
	s_waitcnt vmcnt(0)
	v_cvt_f32_f64_e32 v2, v[2:3]
	s_delay_alu instid0(VALU_DEP_1)
	v_cvt_f16_f32_e32 v25, v2
	s_branch .LBB73_1670
.LBB73_1668:
	s_mov_b32 s2, -1
                                        ; implicit-def: $sgpr1
                                        ; implicit-def: $vgpr25
	s_branch .LBB73_1673
.LBB73_1669:
	s_mov_b32 s2, -1
                                        ; implicit-def: $sgpr1
                                        ; implicit-def: $vgpr25
.LBB73_1670:
	s_delay_alu instid0(SALU_CYCLE_1)
	s_and_not1_b32 vcc_lo, exec_lo, s2
	s_cbranch_vccnz .LBB73_1672
; %bb.1671:
	global_load_b32 v2, v[0:1], off
	s_mov_b32 s1, 0
	s_waitcnt vmcnt(0)
	v_cvt_f16_f32_e32 v25, v2
.LBB73_1672:
	s_mov_b32 s2, 0
.LBB73_1673:
	s_delay_alu instid0(SALU_CYCLE_1)
	s_and_not1_b32 vcc_lo, exec_lo, s2
	s_cbranch_vccnz .LBB73_1675
; %bb.1674:
	global_load_u16 v25, v[0:1], off
	s_mov_b32 s1, 0
.LBB73_1675:
	s_delay_alu instid0(SALU_CYCLE_1)
	v_mov_b32_e32 v27, s1
.LBB73_1676:
	s_mov_b32 s1, 0
.LBB73_1677:
	s_delay_alu instid0(SALU_CYCLE_1)
	s_and_not1_b32 vcc_lo, exec_lo, s1
	s_cbranch_vccnz .LBB73_1698
; %bb.1678:
	v_cmp_gt_i16_e32 vcc_lo, 2, v5
	s_cbranch_vccnz .LBB73_1682
; %bb.1679:
	v_cmp_gt_i16_e32 vcc_lo, 3, v5
	s_cbranch_vccnz .LBB73_1683
; %bb.1680:
	v_cmp_lt_i16_e32 vcc_lo, 3, v5
	s_cbranch_vccz .LBB73_1684
; %bb.1681:
	global_load_b64 v[2:3], v[0:1], off
	s_mov_b32 s2, 0
	s_mov_b32 s1, 0
	s_waitcnt vmcnt(0)
	v_xor_b32_e32 v4, v2, v3
	v_cls_i32_e32 v8, v3
	s_delay_alu instid0(VALU_DEP_2) | instskip(NEXT) | instid1(VALU_DEP_2)
	v_ashrrev_i32_e32 v4, 31, v4
	v_add_nc_u32_e32 v8, -1, v8
	s_delay_alu instid0(VALU_DEP_2) | instskip(NEXT) | instid1(VALU_DEP_1)
	v_add_nc_u32_e32 v4, 32, v4
	v_min_u32_e32 v4, v8, v4
	s_delay_alu instid0(VALU_DEP_1) | instskip(NEXT) | instid1(VALU_DEP_1)
	v_lshlrev_b64 v[2:3], v4, v[2:3]
	v_min_u32_e32 v2, 1, v2
	s_delay_alu instid0(VALU_DEP_1) | instskip(SKIP_1) | instid1(VALU_DEP_2)
	v_or_b32_e32 v2, v3, v2
	v_sub_nc_u32_e32 v3, 32, v4
	v_cvt_f32_i32_e32 v2, v2
	s_delay_alu instid0(VALU_DEP_1) | instskip(NEXT) | instid1(VALU_DEP_1)
	v_ldexp_f32 v2, v2, v3
	v_cvt_f16_f32_e32 v25, v2
	s_branch .LBB73_1685
.LBB73_1682:
	s_mov_b32 s2, -1
                                        ; implicit-def: $sgpr1
                                        ; implicit-def: $vgpr25
	s_branch .LBB73_1691
.LBB73_1683:
	s_mov_b32 s2, -1
                                        ; implicit-def: $sgpr1
                                        ; implicit-def: $vgpr25
	s_branch .LBB73_1688
.LBB73_1684:
	s_mov_b32 s2, -1
                                        ; implicit-def: $sgpr1
                                        ; implicit-def: $vgpr25
.LBB73_1685:
	s_delay_alu instid0(SALU_CYCLE_1)
	s_and_not1_b32 vcc_lo, exec_lo, s2
	s_cbranch_vccnz .LBB73_1687
; %bb.1686:
	global_load_b32 v2, v[0:1], off
	s_mov_b32 s1, 0
	s_waitcnt vmcnt(0)
	v_cvt_f32_i32_e32 v2, v2
	s_delay_alu instid0(VALU_DEP_1)
	v_cvt_f16_f32_e32 v25, v2
.LBB73_1687:
	s_mov_b32 s2, 0
.LBB73_1688:
	s_delay_alu instid0(SALU_CYCLE_1)
	s_and_not1_b32 vcc_lo, exec_lo, s2
	s_cbranch_vccnz .LBB73_1690
; %bb.1689:
	global_load_u16 v2, v[0:1], off
	s_mov_b32 s1, 0
	s_waitcnt vmcnt(0)
	v_cvt_f16_i16_e32 v25, v2
.LBB73_1690:
	s_mov_b32 s2, 0
.LBB73_1691:
	s_delay_alu instid0(SALU_CYCLE_1)
	s_and_not1_b32 vcc_lo, exec_lo, s2
	s_cbranch_vccnz .LBB73_1697
; %bb.1692:
	v_cmp_lt_i16_e32 vcc_lo, 0, v5
	s_mov_b32 s2, 0
	s_cbranch_vccz .LBB73_1694
; %bb.1693:
	global_load_i8 v2, v[0:1], off
	s_mov_b32 s1, 0
	s_waitcnt vmcnt(0)
	v_cvt_f16_i16_e32 v25, v2
	s_branch .LBB73_1695
.LBB73_1694:
	s_mov_b32 s2, -1
                                        ; implicit-def: $sgpr1
                                        ; implicit-def: $vgpr25
.LBB73_1695:
	s_delay_alu instid0(SALU_CYCLE_1)
	s_and_not1_b32 vcc_lo, exec_lo, s2
	s_cbranch_vccnz .LBB73_1697
; %bb.1696:
	global_load_u8 v0, v[0:1], off
	s_mov_b32 s1, 0
	s_waitcnt vmcnt(0)
	v_cvt_f16_u16_e32 v25, v0
.LBB73_1697:
	v_mov_b32_e32 v27, s1
.LBB73_1698:
	s_mov_b32 s3, -1
.LBB73_1699:
	s_delay_alu instid0(SALU_CYCLE_1)
	s_and_not1_b32 vcc_lo, exec_lo, s3
	s_cbranch_vccnz .LBB73_2131
; %bb.1700:
	s_waitcnt vmcnt(0)
	v_cvt_f32_f16_e32 v0, v6
	v_cvt_f32_f16_e32 v1, v7
	s_lshr_b32 s0, s0, 8
	s_delay_alu instid0(SALU_CYCLE_1) | instskip(SKIP_3) | instid1(SALU_CYCLE_1)
	v_and_b32_e64 v22, 0xff, s0
	s_getpc_b64 s[0:1]
	s_add_u32 s0, s0, _ZN16c10_complex_math3expIfEEN3c107complexIT_EERKS4_@rel32@lo+4
	s_addc_u32 s1, s1, _ZN16c10_complex_math3expIfEEN3c107complexIT_EERKS4_@rel32@hi+12
	s_swappc_b64 s[30:31], s[0:1]
	v_cvt_f16_f32_e32 v3, v1
	v_cvt_f16_f32_e32 v2, v0
	v_cmp_gt_i16_e32 vcc_lo, 11, v22
	v_add_co_u32 v0, s0, s12, v20
	s_delay_alu instid0(VALU_DEP_4) | instskip(NEXT) | instid1(VALU_DEP_4)
	v_lshlrev_b32_e32 v4, 16, v3
	v_and_b32_e32 v5, 0xffff, v2
	v_add_co_ci_u32_e64 v1, null, s13, 0, s0
	s_mov_b32 s2, 0
	s_delay_alu instid0(VALU_DEP_2)
	v_or_b32_e32 v4, v4, v5
	s_mov_b32 s0, -1
	s_cbranch_vccnz .LBB73_1778
; %bb.1701:
	v_cmp_lt_i16_e32 vcc_lo, 25, v22
	s_mov_b32 s3, -1
	s_mov_b32 s1, 0
	s_mov_b32 s0, 0
	s_cbranch_vccz .LBB73_1734
; %bb.1702:
	v_cmp_lt_i16_e32 vcc_lo, 28, v22
	s_cbranch_vccz .LBB73_1717
; %bb.1703:
	v_cmp_lt_i16_e32 vcc_lo, 43, v22
	s_cbranch_vccz .LBB73_1713
; %bb.1704:
	v_cmp_lt_i16_e32 vcc_lo, 45, v22
	s_cbranch_vccz .LBB73_1707
; %bb.1705:
	v_cmp_eq_u16_e32 vcc_lo, 46, v22
	s_mov_b32 s0, -1
	s_mov_b32 s3, 0
	s_cbranch_vccz .LBB73_1707
; %bb.1706:
	v_cvt_f32_f16_e32 v5, v3
	v_cvt_f32_f16_e32 v6, v2
	v_cmp_o_f16_e32 vcc_lo, v3, v3
	s_mov_b32 s0, 0
	s_mov_b32 s2, -1
	v_bfe_u32 v7, v5, 16, 1
	v_bfe_u32 v8, v6, 16, 1
	s_delay_alu instid0(VALU_DEP_2) | instskip(NEXT) | instid1(VALU_DEP_2)
	v_add3_u32 v5, v5, v7, 0x7fff
	v_add3_u32 v6, v6, v8, 0x7fff
	s_delay_alu instid0(VALU_DEP_2) | instskip(NEXT) | instid1(VALU_DEP_2)
	v_and_b32_e32 v5, 0xffff0000, v5
	v_lshrrev_b32_e32 v6, 16, v6
	s_delay_alu instid0(VALU_DEP_2) | instskip(SKIP_1) | instid1(VALU_DEP_3)
	v_cndmask_b32_e32 v5, 0x7fc00000, v5, vcc_lo
	v_cmp_o_f16_e32 vcc_lo, v2, v2
	v_cndmask_b32_e32 v6, 0x7fc0, v6, vcc_lo
	s_delay_alu instid0(VALU_DEP_1)
	v_or_b32_e32 v5, v5, v6
	global_store_b32 v[0:1], v5, off
.LBB73_1707:
	s_and_b32 vcc_lo, exec_lo, s3
	s_cbranch_vccz .LBB73_1712
; %bb.1708:
	v_cmp_eq_u16_e32 vcc_lo, 44, v22
	s_mov_b32 s0, -1
	s_cbranch_vccz .LBB73_1712
; %bb.1709:
	v_cvt_f32_f16_e32 v5, v2
	v_mov_b32_e32 v6, 0xff
	s_mov_b32 s2, exec_lo
	s_delay_alu instid0(VALU_DEP_2) | instskip(NEXT) | instid1(VALU_DEP_1)
	v_bfe_u32 v7, v5, 23, 8
	v_cmpx_ne_u32_e32 0xff, v7
; %bb.1710:
	v_and_b32_e32 v6, 0x400000, v5
	v_and_or_b32 v7, 0x3fffff, v5, v7
	v_lshrrev_b32_e32 v5, 23, v5
	s_delay_alu instid0(VALU_DEP_3) | instskip(NEXT) | instid1(VALU_DEP_3)
	v_cmp_ne_u32_e32 vcc_lo, 0, v6
	v_cmp_ne_u32_e64 s0, 0, v7
	s_delay_alu instid0(VALU_DEP_1) | instskip(NEXT) | instid1(SALU_CYCLE_1)
	s_and_b32 s0, vcc_lo, s0
	v_cndmask_b32_e64 v6, 0, 1, s0
	s_delay_alu instid0(VALU_DEP_1)
	v_add_nc_u32_e32 v6, v5, v6
; %bb.1711:
	s_or_b32 exec_lo, exec_lo, s2
	s_mov_b32 s0, 0
	s_mov_b32 s2, -1
	global_store_b8 v[0:1], v6, off
.LBB73_1712:
	s_mov_b32 s3, 0
.LBB73_1713:
	s_delay_alu instid0(SALU_CYCLE_1)
	s_and_b32 vcc_lo, exec_lo, s3
	s_cbranch_vccz .LBB73_1716
; %bb.1714:
	v_cmp_eq_u16_e32 vcc_lo, 29, v22
	s_mov_b32 s0, -1
	s_cbranch_vccz .LBB73_1716
; %bb.1715:
	v_cvt_f32_f16_e32 v5, v2
	v_mov_b32_e32 v6, 0
	s_mov_b32 s0, 0
	s_mov_b32 s2, -1
	s_delay_alu instid0(VALU_DEP_2)
	v_cvt_u32_f32_e32 v5, v5
	global_store_b64 v[0:1], v[5:6], off
.LBB73_1716:
	s_mov_b32 s3, 0
.LBB73_1717:
	s_delay_alu instid0(SALU_CYCLE_1)
	s_and_b32 vcc_lo, exec_lo, s3
	s_cbranch_vccz .LBB73_1733
; %bb.1718:
	v_cmp_gt_i16_e32 vcc_lo, 27, v22
	s_mov_b32 s2, -1
	s_cbranch_vccnz .LBB73_1724
; %bb.1719:
	v_cmp_lt_i16_e32 vcc_lo, 27, v22
	s_cbranch_vccz .LBB73_1721
; %bb.1720:
	v_cvt_f32_f16_e32 v5, v2
	s_mov_b32 s2, 0
	s_delay_alu instid0(VALU_DEP_1)
	v_cvt_u32_f32_e32 v5, v5
	global_store_b32 v[0:1], v5, off
.LBB73_1721:
	s_and_not1_b32 vcc_lo, exec_lo, s2
	s_cbranch_vccnz .LBB73_1723
; %bb.1722:
	v_cvt_u16_f16_e32 v5, v2
	global_store_b16 v[0:1], v5, off
.LBB73_1723:
	s_mov_b32 s2, 0
.LBB73_1724:
	s_delay_alu instid0(SALU_CYCLE_1)
	s_and_not1_b32 vcc_lo, exec_lo, s2
	s_cbranch_vccnz .LBB73_1732
; %bb.1725:
	v_cvt_f32_f16_e32 v5, v2
	v_mov_b32_e32 v7, 0x80
	s_mov_b32 s2, exec_lo
	s_delay_alu instid0(VALU_DEP_2) | instskip(NEXT) | instid1(VALU_DEP_1)
	v_and_b32_e32 v6, 0x7fffffff, v5
	v_cmpx_gt_u32_e32 0x43800000, v6
	s_cbranch_execz .LBB73_1731
; %bb.1726:
	v_cmp_lt_u32_e32 vcc_lo, 0x3bffffff, v6
	s_mov_b32 s3, 0
                                        ; implicit-def: $vgpr6
	s_and_saveexec_b32 s4, vcc_lo
	s_delay_alu instid0(SALU_CYCLE_1)
	s_xor_b32 s4, exec_lo, s4
	s_cbranch_execz .LBB73_2178
; %bb.1727:
	v_bfe_u32 v6, v5, 20, 1
	s_mov_b32 s3, exec_lo
	s_delay_alu instid0(VALU_DEP_1) | instskip(NEXT) | instid1(VALU_DEP_1)
	v_add3_u32 v6, v5, v6, 0x487ffff
	v_lshrrev_b32_e32 v6, 20, v6
	s_or_saveexec_b32 s4, s4
                                        ; implicit-def: $sgpr5
	s_delay_alu instid0(SALU_CYCLE_1)
	s_xor_b32 exec_lo, exec_lo, s4
	s_cbranch_execnz .LBB73_2179
.LBB73_1728:
	s_or_b32 exec_lo, exec_lo, s4
	v_mov_b32_e32 v7, s5
	s_and_saveexec_b32 s4, s3
.LBB73_1729:
	v_lshrrev_b32_e32 v5, 24, v5
	s_delay_alu instid0(VALU_DEP_1)
	v_and_or_b32 v7, 0x80, v5, v6
.LBB73_1730:
	s_or_b32 exec_lo, exec_lo, s4
.LBB73_1731:
	s_delay_alu instid0(SALU_CYCLE_1)
	s_or_b32 exec_lo, exec_lo, s2
	global_store_b8 v[0:1], v7, off
.LBB73_1732:
	s_mov_b32 s2, -1
.LBB73_1733:
	s_mov_b32 s3, 0
.LBB73_1734:
	s_delay_alu instid0(SALU_CYCLE_1)
	s_and_b32 vcc_lo, exec_lo, s3
	s_cbranch_vccz .LBB73_1774
; %bb.1735:
	v_cmp_lt_i16_e32 vcc_lo, 22, v22
	s_mov_b32 s1, -1
	s_cbranch_vccz .LBB73_1767
; %bb.1736:
	v_cmp_gt_i16_e32 vcc_lo, 24, v22
	s_cbranch_vccnz .LBB73_1756
; %bb.1737:
	v_cmp_lt_i16_e32 vcc_lo, 24, v22
	s_cbranch_vccz .LBB73_1745
; %bb.1738:
	v_cvt_f32_f16_e32 v5, v2
	v_mov_b32_e32 v7, 0x80
	s_mov_b32 s1, exec_lo
	s_delay_alu instid0(VALU_DEP_2) | instskip(NEXT) | instid1(VALU_DEP_1)
	v_and_b32_e32 v6, 0x7fffffff, v5
	v_cmpx_gt_u32_e32 0x47800000, v6
	s_cbranch_execz .LBB73_1744
; %bb.1739:
	v_cmp_lt_u32_e32 vcc_lo, 0x37ffffff, v6
	s_mov_b32 s2, 0
                                        ; implicit-def: $vgpr6
	s_and_saveexec_b32 s3, vcc_lo
	s_delay_alu instid0(SALU_CYCLE_1)
	s_xor_b32 s3, exec_lo, s3
	s_cbranch_execz .LBB73_2184
; %bb.1740:
	v_bfe_u32 v6, v5, 21, 1
	s_mov_b32 s2, exec_lo
	s_delay_alu instid0(VALU_DEP_1) | instskip(NEXT) | instid1(VALU_DEP_1)
	v_add3_u32 v6, v5, v6, 0x88fffff
	v_lshrrev_b32_e32 v6, 21, v6
	s_or_saveexec_b32 s3, s3
                                        ; implicit-def: $sgpr4
	s_delay_alu instid0(SALU_CYCLE_1)
	s_xor_b32 exec_lo, exec_lo, s3
	s_cbranch_execnz .LBB73_2185
.LBB73_1741:
	s_or_b32 exec_lo, exec_lo, s3
	v_mov_b32_e32 v7, s4
	s_and_saveexec_b32 s3, s2
.LBB73_1742:
	v_lshrrev_b32_e32 v5, 24, v5
	s_delay_alu instid0(VALU_DEP_1)
	v_and_or_b32 v7, 0x80, v5, v6
.LBB73_1743:
	s_or_b32 exec_lo, exec_lo, s3
.LBB73_1744:
	s_delay_alu instid0(SALU_CYCLE_1)
	s_or_b32 exec_lo, exec_lo, s1
	s_mov_b32 s1, 0
	global_store_b8 v[0:1], v7, off
.LBB73_1745:
	s_and_b32 vcc_lo, exec_lo, s1
	s_cbranch_vccz .LBB73_1755
; %bb.1746:
	v_cvt_f32_f16_e32 v5, v2
	s_mov_b32 s1, exec_lo
                                        ; implicit-def: $vgpr6
	s_delay_alu instid0(VALU_DEP_1) | instskip(NEXT) | instid1(VALU_DEP_1)
	v_and_b32_e32 v7, 0x7fffffff, v5
	v_cmpx_gt_u32_e32 0x43f00000, v7
	s_xor_b32 s1, exec_lo, s1
	s_cbranch_execz .LBB73_1752
; %bb.1747:
	s_mov_b32 s2, exec_lo
                                        ; implicit-def: $vgpr6
	v_cmpx_lt_u32_e32 0x3c7fffff, v7
	s_xor_b32 s2, exec_lo, s2
; %bb.1748:
	v_bfe_u32 v6, v5, 20, 1
	s_delay_alu instid0(VALU_DEP_1) | instskip(NEXT) | instid1(VALU_DEP_1)
	v_add3_u32 v6, v5, v6, 0x407ffff
	v_and_b32_e32 v7, 0xff00000, v6
	v_lshrrev_b32_e32 v6, 20, v6
	s_delay_alu instid0(VALU_DEP_2) | instskip(NEXT) | instid1(VALU_DEP_2)
	v_cmp_ne_u32_e32 vcc_lo, 0x7f00000, v7
	v_cndmask_b32_e32 v6, 0x7e, v6, vcc_lo
; %bb.1749:
	s_and_not1_saveexec_b32 s2, s2
; %bb.1750:
	v_add_f32_e64 v6, 0x46800000, |v5|
; %bb.1751:
	s_or_b32 exec_lo, exec_lo, s2
                                        ; implicit-def: $vgpr7
.LBB73_1752:
	s_and_not1_saveexec_b32 s1, s1
; %bb.1753:
	v_mov_b32_e32 v6, 0x7f
	v_cmp_lt_u32_e32 vcc_lo, 0x7f800000, v7
	s_delay_alu instid0(VALU_DEP_2)
	v_cndmask_b32_e32 v6, 0x7e, v6, vcc_lo
; %bb.1754:
	s_or_b32 exec_lo, exec_lo, s1
	v_lshrrev_b32_e32 v5, 24, v5
	s_delay_alu instid0(VALU_DEP_1)
	v_and_or_b32 v5, 0x80, v5, v6
	global_store_b8 v[0:1], v5, off
.LBB73_1755:
	s_mov_b32 s1, 0
.LBB73_1756:
	s_delay_alu instid0(SALU_CYCLE_1)
	s_and_not1_b32 vcc_lo, exec_lo, s1
	s_cbranch_vccnz .LBB73_1766
; %bb.1757:
	v_cvt_f32_f16_e32 v5, v2
	s_mov_b32 s1, exec_lo
                                        ; implicit-def: $vgpr6
	s_delay_alu instid0(VALU_DEP_1) | instskip(NEXT) | instid1(VALU_DEP_1)
	v_and_b32_e32 v7, 0x7fffffff, v5
	v_cmpx_gt_u32_e32 0x47800000, v7
	s_xor_b32 s1, exec_lo, s1
	s_cbranch_execz .LBB73_1763
; %bb.1758:
	s_mov_b32 s2, exec_lo
                                        ; implicit-def: $vgpr6
	v_cmpx_lt_u32_e32 0x387fffff, v7
	s_xor_b32 s2, exec_lo, s2
; %bb.1759:
	v_bfe_u32 v6, v5, 21, 1
	s_delay_alu instid0(VALU_DEP_1) | instskip(NEXT) | instid1(VALU_DEP_1)
	v_add3_u32 v6, v5, v6, 0x80fffff
	v_lshrrev_b32_e32 v6, 21, v6
; %bb.1760:
	s_and_not1_saveexec_b32 s2, s2
; %bb.1761:
	v_add_f32_e64 v6, 0x43000000, |v5|
; %bb.1762:
	s_or_b32 exec_lo, exec_lo, s2
                                        ; implicit-def: $vgpr7
.LBB73_1763:
	s_and_not1_saveexec_b32 s1, s1
; %bb.1764:
	v_mov_b32_e32 v6, 0x7f
	v_cmp_lt_u32_e32 vcc_lo, 0x7f800000, v7
	s_delay_alu instid0(VALU_DEP_2)
	v_cndmask_b32_e32 v6, 0x7c, v6, vcc_lo
; %bb.1765:
	s_or_b32 exec_lo, exec_lo, s1
	v_lshrrev_b32_e32 v5, 24, v5
	s_delay_alu instid0(VALU_DEP_1)
	v_and_or_b32 v5, 0x80, v5, v6
	global_store_b8 v[0:1], v5, off
.LBB73_1766:
	s_mov_b32 s1, 0
	s_mov_b32 s2, -1
.LBB73_1767:
	s_and_not1_b32 vcc_lo, exec_lo, s1
	s_mov_b32 s1, 0
	s_cbranch_vccnz .LBB73_1774
; %bb.1768:
	v_cmp_lt_i16_e32 vcc_lo, 14, v22
	s_mov_b32 s1, -1
	s_cbranch_vccz .LBB73_1772
; %bb.1769:
	v_cmp_eq_u16_e32 vcc_lo, 15, v22
	s_mov_b32 s0, -1
	s_cbranch_vccz .LBB73_1771
; %bb.1770:
	v_cvt_f32_f16_e32 v5, v2
	v_cmp_o_f16_e32 vcc_lo, v2, v2
	s_mov_b32 s0, 0
	s_mov_b32 s2, -1
	s_delay_alu instid0(VALU_DEP_2) | instskip(NEXT) | instid1(VALU_DEP_1)
	v_bfe_u32 v6, v5, 16, 1
	v_add3_u32 v5, v5, v6, 0x7fff
	s_delay_alu instid0(VALU_DEP_1) | instskip(NEXT) | instid1(VALU_DEP_1)
	v_lshrrev_b32_e32 v5, 16, v5
	v_cndmask_b32_e32 v5, 0x7fc0, v5, vcc_lo
	global_store_b16 v[0:1], v5, off
.LBB73_1771:
	s_mov_b32 s1, 0
.LBB73_1772:
	s_delay_alu instid0(SALU_CYCLE_1)
	s_and_b32 vcc_lo, exec_lo, s1
	s_mov_b32 s1, 0
	s_cbranch_vccz .LBB73_1774
; %bb.1773:
	v_cmp_ne_u16_e64 s0, 11, v22
	s_mov_b32 s1, -1
.LBB73_1774:
	s_delay_alu instid0(VALU_DEP_1)
	s_and_b32 vcc_lo, exec_lo, s0
	s_cbranch_vccnz .LBB73_2182
; %bb.1775:
	s_and_not1_b32 vcc_lo, exec_lo, s1
	s_cbranch_vccnz .LBB73_1777
.LBB73_1776:
	v_and_b32_e32 v5, 0x7fff7fff, v4
	s_mov_b32 s2, -1
	s_delay_alu instid0(VALU_DEP_1)
	v_cmp_ne_u32_e32 vcc_lo, 0, v5
	v_cndmask_b32_e64 v5, 0, 1, vcc_lo
	global_store_b8 v[0:1], v5, off
.LBB73_1777:
	s_mov_b32 s0, 0
.LBB73_1778:
	s_delay_alu instid0(SALU_CYCLE_1)
	s_and_b32 vcc_lo, exec_lo, s0
	s_cbranch_vccz .LBB73_1817
; %bb.1779:
	v_cmp_gt_i16_e32 vcc_lo, 5, v22
	s_mov_b32 s0, -1
	s_cbranch_vccnz .LBB73_1800
; %bb.1780:
	v_cmp_gt_i16_e32 vcc_lo, 8, v22
	s_cbranch_vccnz .LBB73_1790
; %bb.1781:
	v_cmp_gt_i16_e32 vcc_lo, 9, v22
	s_cbranch_vccnz .LBB73_1787
; %bb.1782:
	v_cmp_lt_i16_e32 vcc_lo, 9, v22
	s_cbranch_vccz .LBB73_1784
; %bb.1783:
	v_cvt_f32_f16_e32 v5, v2
	v_cvt_f32_f16_e32 v7, v3
	s_mov_b32 s0, 0
	s_delay_alu instid0(VALU_DEP_2) | instskip(NEXT) | instid1(VALU_DEP_2)
	v_cvt_f64_f32_e32 v[5:6], v5
	v_cvt_f64_f32_e32 v[7:8], v7
	global_store_b128 v[0:1], v[5:8], off
.LBB73_1784:
	s_and_not1_b32 vcc_lo, exec_lo, s0
	s_cbranch_vccnz .LBB73_1786
; %bb.1785:
	v_cvt_f32_f16_e32 v5, v2
	v_cvt_f32_f16_e32 v6, v3
	global_store_b64 v[0:1], v[5:6], off
.LBB73_1786:
	s_mov_b32 s0, 0
.LBB73_1787:
	s_delay_alu instid0(SALU_CYCLE_1)
	s_and_not1_b32 vcc_lo, exec_lo, s0
	s_cbranch_vccnz .LBB73_1789
; %bb.1788:
	global_store_b32 v[0:1], v4, off
.LBB73_1789:
	s_mov_b32 s0, 0
.LBB73_1790:
	s_delay_alu instid0(SALU_CYCLE_1)
	s_and_not1_b32 vcc_lo, exec_lo, s0
	s_cbranch_vccnz .LBB73_1799
; %bb.1791:
	v_cmp_gt_i16_e32 vcc_lo, 6, v22
	s_mov_b32 s0, -1
	s_cbranch_vccnz .LBB73_1797
; %bb.1792:
	v_cmp_lt_i16_e32 vcc_lo, 6, v22
	s_cbranch_vccz .LBB73_1794
; %bb.1793:
	v_cvt_f32_f16_e32 v3, v2
	s_mov_b32 s0, 0
	s_delay_alu instid0(VALU_DEP_1)
	v_cvt_f64_f32_e32 v[3:4], v3
	global_store_b64 v[0:1], v[3:4], off
.LBB73_1794:
	s_and_not1_b32 vcc_lo, exec_lo, s0
	s_cbranch_vccnz .LBB73_1796
; %bb.1795:
	v_cvt_f32_f16_e32 v3, v2
	global_store_b32 v[0:1], v3, off
.LBB73_1796:
	s_mov_b32 s0, 0
.LBB73_1797:
	s_delay_alu instid0(SALU_CYCLE_1)
	s_and_not1_b32 vcc_lo, exec_lo, s0
	s_cbranch_vccnz .LBB73_1799
; %bb.1798:
	global_store_b16 v[0:1], v2, off
.LBB73_1799:
	s_mov_b32 s0, 0
.LBB73_1800:
	s_delay_alu instid0(SALU_CYCLE_1)
	s_and_not1_b32 vcc_lo, exec_lo, s0
	s_cbranch_vccnz .LBB73_1816
; %bb.1801:
	v_cmp_gt_i16_e32 vcc_lo, 2, v22
	s_mov_b32 s0, -1
	s_cbranch_vccnz .LBB73_1811
; %bb.1802:
	v_cmp_gt_i16_e32 vcc_lo, 3, v22
	s_cbranch_vccnz .LBB73_1808
; %bb.1803:
	v_cmp_lt_i16_e32 vcc_lo, 3, v22
	s_cbranch_vccz .LBB73_1805
; %bb.1804:
	v_cvt_f32_f16_e32 v3, v2
	s_mov_b32 s0, 0
	s_delay_alu instid0(VALU_DEP_1) | instskip(NEXT) | instid1(VALU_DEP_1)
	v_cvt_i32_f32_e32 v3, v3
	v_ashrrev_i32_e32 v4, 31, v3
	global_store_b64 v[0:1], v[3:4], off
.LBB73_1805:
	s_and_not1_b32 vcc_lo, exec_lo, s0
	s_cbranch_vccnz .LBB73_1807
; %bb.1806:
	v_cvt_f32_f16_e32 v3, v2
	s_delay_alu instid0(VALU_DEP_1)
	v_cvt_i32_f32_e32 v3, v3
	global_store_b32 v[0:1], v3, off
.LBB73_1807:
	s_mov_b32 s0, 0
.LBB73_1808:
	s_delay_alu instid0(SALU_CYCLE_1)
	s_and_not1_b32 vcc_lo, exec_lo, s0
	s_cbranch_vccnz .LBB73_1810
; %bb.1809:
	v_cvt_i16_f16_e32 v3, v2
	global_store_b16 v[0:1], v3, off
.LBB73_1810:
	s_mov_b32 s0, 0
.LBB73_1811:
	s_delay_alu instid0(SALU_CYCLE_1)
	s_and_not1_b32 vcc_lo, exec_lo, s0
	s_cbranch_vccnz .LBB73_1816
; %bb.1812:
	v_cmp_lt_i16_e32 vcc_lo, 0, v22
	s_mov_b32 s0, -1
	s_cbranch_vccz .LBB73_1814
; %bb.1813:
	v_cvt_i16_f16_e32 v3, v2
	s_mov_b32 s0, 0
	global_store_b8 v[0:1], v3, off
.LBB73_1814:
	s_and_not1_b32 vcc_lo, exec_lo, s0
	s_cbranch_vccnz .LBB73_1816
; %bb.1815:
	v_cvt_f32_f16_e32 v2, v2
	s_delay_alu instid0(VALU_DEP_1)
	v_cvt_i32_f32_e32 v2, v2
	global_store_b8 v[0:1], v2, off
.LBB73_1816:
	s_mov_b32 s2, -1
.LBB73_1817:
	s_delay_alu instid0(SALU_CYCLE_1)
	s_and_not1_b32 vcc_lo, exec_lo, s2
	s_cbranch_vccnz .LBB73_2131
; %bb.1818:
	v_cvt_f32_f16_e32 v0, v21
	v_cvt_f32_f16_e32 v1, v24
	s_getpc_b64 s[0:1]
	s_add_u32 s0, s0, _ZN16c10_complex_math3expIfEEN3c107complexIT_EERKS4_@rel32@lo+4
	s_addc_u32 s1, s1, _ZN16c10_complex_math3expIfEEN3c107complexIT_EERKS4_@rel32@hi+12
	s_delay_alu instid0(SALU_CYCLE_1) | instskip(SKIP_4) | instid1(VALU_DEP_4)
	s_swappc_b64 s[30:31], s[0:1]
	v_cvt_f16_f32_e32 v2, v1
	v_cvt_f16_f32_e32 v4, v0
	v_cmp_gt_i16_e32 vcc_lo, 11, v22
	v_add_co_u32 v0, s0, s12, v19
	v_lshlrev_b32_e32 v3, 16, v2
	s_delay_alu instid0(VALU_DEP_4) | instskip(SKIP_2) | instid1(VALU_DEP_2)
	v_and_b32_e32 v5, 0xffff, v4
	v_add_co_ci_u32_e64 v1, null, s13, 0, s0
	s_mov_b32 s2, 0
	v_or_b32_e32 v5, v3, v5
	s_mov_b32 s0, -1
	s_cbranch_vccnz .LBB73_1896
; %bb.1819:
	v_cmp_lt_i16_e32 vcc_lo, 25, v22
	s_mov_b32 s3, -1
	s_mov_b32 s1, 0
	s_mov_b32 s0, 0
	s_cbranch_vccz .LBB73_1852
; %bb.1820:
	v_cmp_lt_i16_e32 vcc_lo, 28, v22
	s_cbranch_vccz .LBB73_1835
; %bb.1821:
	v_cmp_lt_i16_e32 vcc_lo, 43, v22
	;; [unrolled: 3-line block ×3, first 2 shown]
	s_cbranch_vccz .LBB73_1825
; %bb.1823:
	v_cmp_eq_u16_e32 vcc_lo, 46, v22
	s_mov_b32 s0, -1
	s_mov_b32 s3, 0
	s_cbranch_vccz .LBB73_1825
; %bb.1824:
	v_cvt_f32_f16_e32 v3, v2
	v_cvt_f32_f16_e32 v6, v4
	v_cmp_o_f16_e32 vcc_lo, v2, v2
	s_mov_b32 s0, 0
	s_mov_b32 s2, -1
	v_bfe_u32 v7, v3, 16, 1
	v_bfe_u32 v8, v6, 16, 1
	s_delay_alu instid0(VALU_DEP_2) | instskip(NEXT) | instid1(VALU_DEP_2)
	v_add3_u32 v3, v3, v7, 0x7fff
	v_add3_u32 v6, v6, v8, 0x7fff
	s_delay_alu instid0(VALU_DEP_2) | instskip(NEXT) | instid1(VALU_DEP_2)
	v_and_b32_e32 v3, 0xffff0000, v3
	v_lshrrev_b32_e32 v6, 16, v6
	s_delay_alu instid0(VALU_DEP_2) | instskip(SKIP_1) | instid1(VALU_DEP_3)
	v_cndmask_b32_e32 v3, 0x7fc00000, v3, vcc_lo
	v_cmp_o_f16_e32 vcc_lo, v4, v4
	v_cndmask_b32_e32 v6, 0x7fc0, v6, vcc_lo
	s_delay_alu instid0(VALU_DEP_1)
	v_or_b32_e32 v3, v3, v6
	global_store_b32 v[0:1], v3, off
.LBB73_1825:
	s_and_b32 vcc_lo, exec_lo, s3
	s_cbranch_vccz .LBB73_1830
; %bb.1826:
	v_cmp_eq_u16_e32 vcc_lo, 44, v22
	s_mov_b32 s0, -1
	s_cbranch_vccz .LBB73_1830
; %bb.1827:
	v_cvt_f32_f16_e32 v3, v4
	v_mov_b32_e32 v6, 0xff
	s_mov_b32 s2, exec_lo
	s_delay_alu instid0(VALU_DEP_2) | instskip(NEXT) | instid1(VALU_DEP_1)
	v_bfe_u32 v7, v3, 23, 8
	v_cmpx_ne_u32_e32 0xff, v7
; %bb.1828:
	v_and_b32_e32 v6, 0x400000, v3
	v_and_or_b32 v7, 0x3fffff, v3, v7
	v_lshrrev_b32_e32 v3, 23, v3
	s_delay_alu instid0(VALU_DEP_3) | instskip(NEXT) | instid1(VALU_DEP_3)
	v_cmp_ne_u32_e32 vcc_lo, 0, v6
	v_cmp_ne_u32_e64 s0, 0, v7
	s_delay_alu instid0(VALU_DEP_1) | instskip(NEXT) | instid1(SALU_CYCLE_1)
	s_and_b32 s0, vcc_lo, s0
	v_cndmask_b32_e64 v6, 0, 1, s0
	s_delay_alu instid0(VALU_DEP_1)
	v_add_nc_u32_e32 v6, v3, v6
; %bb.1829:
	s_or_b32 exec_lo, exec_lo, s2
	s_mov_b32 s0, 0
	s_mov_b32 s2, -1
	global_store_b8 v[0:1], v6, off
.LBB73_1830:
	s_mov_b32 s3, 0
.LBB73_1831:
	s_delay_alu instid0(SALU_CYCLE_1)
	s_and_b32 vcc_lo, exec_lo, s3
	s_cbranch_vccz .LBB73_1834
; %bb.1832:
	v_cmp_eq_u16_e32 vcc_lo, 29, v22
	s_mov_b32 s0, -1
	s_cbranch_vccz .LBB73_1834
; %bb.1833:
	v_cvt_f32_f16_e32 v3, v4
	v_mov_b32_e32 v7, 0
	s_mov_b32 s0, 0
	s_mov_b32 s2, -1
	s_delay_alu instid0(VALU_DEP_2)
	v_cvt_u32_f32_e32 v6, v3
	global_store_b64 v[0:1], v[6:7], off
.LBB73_1834:
	s_mov_b32 s3, 0
.LBB73_1835:
	s_delay_alu instid0(SALU_CYCLE_1)
	s_and_b32 vcc_lo, exec_lo, s3
	s_cbranch_vccz .LBB73_1851
; %bb.1836:
	v_cmp_gt_i16_e32 vcc_lo, 27, v22
	s_mov_b32 s2, -1
	s_cbranch_vccnz .LBB73_1842
; %bb.1837:
	v_cmp_lt_i16_e32 vcc_lo, 27, v22
	s_cbranch_vccz .LBB73_1839
; %bb.1838:
	v_cvt_f32_f16_e32 v3, v4
	s_mov_b32 s2, 0
	s_delay_alu instid0(VALU_DEP_1)
	v_cvt_u32_f32_e32 v3, v3
	global_store_b32 v[0:1], v3, off
.LBB73_1839:
	s_and_not1_b32 vcc_lo, exec_lo, s2
	s_cbranch_vccnz .LBB73_1841
; %bb.1840:
	v_cvt_u16_f16_e32 v3, v4
	global_store_b16 v[0:1], v3, off
.LBB73_1841:
	s_mov_b32 s2, 0
.LBB73_1842:
	s_delay_alu instid0(SALU_CYCLE_1)
	s_and_not1_b32 vcc_lo, exec_lo, s2
	s_cbranch_vccnz .LBB73_1850
; %bb.1843:
	v_cvt_f32_f16_e32 v3, v4
	v_mov_b32_e32 v7, 0x80
	s_mov_b32 s2, exec_lo
	s_delay_alu instid0(VALU_DEP_2) | instskip(NEXT) | instid1(VALU_DEP_1)
	v_and_b32_e32 v6, 0x7fffffff, v3
	v_cmpx_gt_u32_e32 0x43800000, v6
	s_cbranch_execz .LBB73_1849
; %bb.1844:
	v_cmp_lt_u32_e32 vcc_lo, 0x3bffffff, v6
	s_mov_b32 s3, 0
                                        ; implicit-def: $vgpr6
	s_and_saveexec_b32 s4, vcc_lo
	s_delay_alu instid0(SALU_CYCLE_1)
	s_xor_b32 s4, exec_lo, s4
	s_cbranch_execz .LBB73_2186
; %bb.1845:
	v_bfe_u32 v6, v3, 20, 1
	s_mov_b32 s3, exec_lo
	s_delay_alu instid0(VALU_DEP_1) | instskip(NEXT) | instid1(VALU_DEP_1)
	v_add3_u32 v6, v3, v6, 0x487ffff
	v_lshrrev_b32_e32 v6, 20, v6
	s_or_saveexec_b32 s4, s4
                                        ; implicit-def: $sgpr5
	s_delay_alu instid0(SALU_CYCLE_1)
	s_xor_b32 exec_lo, exec_lo, s4
	s_cbranch_execnz .LBB73_2187
.LBB73_1846:
	s_or_b32 exec_lo, exec_lo, s4
	v_mov_b32_e32 v7, s5
	s_and_saveexec_b32 s4, s3
.LBB73_1847:
	v_lshrrev_b32_e32 v3, 24, v3
	s_delay_alu instid0(VALU_DEP_1)
	v_and_or_b32 v7, 0x80, v3, v6
.LBB73_1848:
	s_or_b32 exec_lo, exec_lo, s4
.LBB73_1849:
	s_delay_alu instid0(SALU_CYCLE_1)
	s_or_b32 exec_lo, exec_lo, s2
	global_store_b8 v[0:1], v7, off
.LBB73_1850:
	s_mov_b32 s2, -1
.LBB73_1851:
	s_mov_b32 s3, 0
.LBB73_1852:
	s_delay_alu instid0(SALU_CYCLE_1)
	s_and_b32 vcc_lo, exec_lo, s3
	s_cbranch_vccz .LBB73_1892
; %bb.1853:
	v_cmp_lt_i16_e32 vcc_lo, 22, v22
	s_mov_b32 s1, -1
	s_cbranch_vccz .LBB73_1885
; %bb.1854:
	v_cmp_gt_i16_e32 vcc_lo, 24, v22
	s_cbranch_vccnz .LBB73_1874
; %bb.1855:
	v_cmp_lt_i16_e32 vcc_lo, 24, v22
	s_cbranch_vccz .LBB73_1863
; %bb.1856:
	v_cvt_f32_f16_e32 v3, v4
	v_mov_b32_e32 v7, 0x80
	s_mov_b32 s1, exec_lo
	s_delay_alu instid0(VALU_DEP_2) | instskip(NEXT) | instid1(VALU_DEP_1)
	v_and_b32_e32 v6, 0x7fffffff, v3
	v_cmpx_gt_u32_e32 0x47800000, v6
	s_cbranch_execz .LBB73_1862
; %bb.1857:
	v_cmp_lt_u32_e32 vcc_lo, 0x37ffffff, v6
	s_mov_b32 s2, 0
                                        ; implicit-def: $vgpr6
	s_and_saveexec_b32 s3, vcc_lo
	s_delay_alu instid0(SALU_CYCLE_1)
	s_xor_b32 s3, exec_lo, s3
	s_cbranch_execz .LBB73_2192
; %bb.1858:
	v_bfe_u32 v6, v3, 21, 1
	s_mov_b32 s2, exec_lo
	s_delay_alu instid0(VALU_DEP_1) | instskip(NEXT) | instid1(VALU_DEP_1)
	v_add3_u32 v6, v3, v6, 0x88fffff
	v_lshrrev_b32_e32 v6, 21, v6
	s_or_saveexec_b32 s3, s3
                                        ; implicit-def: $sgpr4
	s_delay_alu instid0(SALU_CYCLE_1)
	s_xor_b32 exec_lo, exec_lo, s3
	s_cbranch_execnz .LBB73_2193
.LBB73_1859:
	s_or_b32 exec_lo, exec_lo, s3
	v_mov_b32_e32 v7, s4
	s_and_saveexec_b32 s3, s2
.LBB73_1860:
	v_lshrrev_b32_e32 v3, 24, v3
	s_delay_alu instid0(VALU_DEP_1)
	v_and_or_b32 v7, 0x80, v3, v6
.LBB73_1861:
	s_or_b32 exec_lo, exec_lo, s3
.LBB73_1862:
	s_delay_alu instid0(SALU_CYCLE_1)
	s_or_b32 exec_lo, exec_lo, s1
	s_mov_b32 s1, 0
	global_store_b8 v[0:1], v7, off
.LBB73_1863:
	s_and_b32 vcc_lo, exec_lo, s1
	s_cbranch_vccz .LBB73_1873
; %bb.1864:
	v_cvt_f32_f16_e32 v3, v4
	s_mov_b32 s1, exec_lo
                                        ; implicit-def: $vgpr6
	s_delay_alu instid0(VALU_DEP_1) | instskip(NEXT) | instid1(VALU_DEP_1)
	v_and_b32_e32 v7, 0x7fffffff, v3
	v_cmpx_gt_u32_e32 0x43f00000, v7
	s_xor_b32 s1, exec_lo, s1
	s_cbranch_execz .LBB73_1870
; %bb.1865:
	s_mov_b32 s2, exec_lo
                                        ; implicit-def: $vgpr6
	v_cmpx_lt_u32_e32 0x3c7fffff, v7
	s_xor_b32 s2, exec_lo, s2
; %bb.1866:
	v_bfe_u32 v6, v3, 20, 1
	s_delay_alu instid0(VALU_DEP_1) | instskip(NEXT) | instid1(VALU_DEP_1)
	v_add3_u32 v6, v3, v6, 0x407ffff
	v_and_b32_e32 v7, 0xff00000, v6
	v_lshrrev_b32_e32 v6, 20, v6
	s_delay_alu instid0(VALU_DEP_2) | instskip(NEXT) | instid1(VALU_DEP_2)
	v_cmp_ne_u32_e32 vcc_lo, 0x7f00000, v7
	v_cndmask_b32_e32 v6, 0x7e, v6, vcc_lo
; %bb.1867:
	s_and_not1_saveexec_b32 s2, s2
; %bb.1868:
	v_add_f32_e64 v6, 0x46800000, |v3|
; %bb.1869:
	s_or_b32 exec_lo, exec_lo, s2
                                        ; implicit-def: $vgpr7
.LBB73_1870:
	s_and_not1_saveexec_b32 s1, s1
; %bb.1871:
	v_mov_b32_e32 v6, 0x7f
	v_cmp_lt_u32_e32 vcc_lo, 0x7f800000, v7
	s_delay_alu instid0(VALU_DEP_2)
	v_cndmask_b32_e32 v6, 0x7e, v6, vcc_lo
; %bb.1872:
	s_or_b32 exec_lo, exec_lo, s1
	v_lshrrev_b32_e32 v3, 24, v3
	s_delay_alu instid0(VALU_DEP_1)
	v_and_or_b32 v3, 0x80, v3, v6
	global_store_b8 v[0:1], v3, off
.LBB73_1873:
	s_mov_b32 s1, 0
.LBB73_1874:
	s_delay_alu instid0(SALU_CYCLE_1)
	s_and_not1_b32 vcc_lo, exec_lo, s1
	s_cbranch_vccnz .LBB73_1884
; %bb.1875:
	v_cvt_f32_f16_e32 v3, v4
	s_mov_b32 s1, exec_lo
                                        ; implicit-def: $vgpr6
	s_delay_alu instid0(VALU_DEP_1) | instskip(NEXT) | instid1(VALU_DEP_1)
	v_and_b32_e32 v7, 0x7fffffff, v3
	v_cmpx_gt_u32_e32 0x47800000, v7
	s_xor_b32 s1, exec_lo, s1
	s_cbranch_execz .LBB73_1881
; %bb.1876:
	s_mov_b32 s2, exec_lo
                                        ; implicit-def: $vgpr6
	v_cmpx_lt_u32_e32 0x387fffff, v7
	s_xor_b32 s2, exec_lo, s2
; %bb.1877:
	v_bfe_u32 v6, v3, 21, 1
	s_delay_alu instid0(VALU_DEP_1) | instskip(NEXT) | instid1(VALU_DEP_1)
	v_add3_u32 v6, v3, v6, 0x80fffff
	v_lshrrev_b32_e32 v6, 21, v6
; %bb.1878:
	s_and_not1_saveexec_b32 s2, s2
; %bb.1879:
	v_add_f32_e64 v6, 0x43000000, |v3|
; %bb.1880:
	s_or_b32 exec_lo, exec_lo, s2
                                        ; implicit-def: $vgpr7
.LBB73_1881:
	s_and_not1_saveexec_b32 s1, s1
; %bb.1882:
	v_mov_b32_e32 v6, 0x7f
	v_cmp_lt_u32_e32 vcc_lo, 0x7f800000, v7
	s_delay_alu instid0(VALU_DEP_2)
	v_cndmask_b32_e32 v6, 0x7c, v6, vcc_lo
; %bb.1883:
	s_or_b32 exec_lo, exec_lo, s1
	v_lshrrev_b32_e32 v3, 24, v3
	s_delay_alu instid0(VALU_DEP_1)
	v_and_or_b32 v3, 0x80, v3, v6
	global_store_b8 v[0:1], v3, off
.LBB73_1884:
	s_mov_b32 s1, 0
	s_mov_b32 s2, -1
.LBB73_1885:
	s_and_not1_b32 vcc_lo, exec_lo, s1
	s_mov_b32 s1, 0
	s_cbranch_vccnz .LBB73_1892
; %bb.1886:
	v_cmp_lt_i16_e32 vcc_lo, 14, v22
	s_mov_b32 s1, -1
	s_cbranch_vccz .LBB73_1890
; %bb.1887:
	v_cmp_eq_u16_e32 vcc_lo, 15, v22
	s_mov_b32 s0, -1
	s_cbranch_vccz .LBB73_1889
; %bb.1888:
	v_cvt_f32_f16_e32 v3, v4
	v_cmp_o_f16_e32 vcc_lo, v4, v4
	s_mov_b32 s0, 0
	s_mov_b32 s2, -1
	s_delay_alu instid0(VALU_DEP_2) | instskip(NEXT) | instid1(VALU_DEP_1)
	v_bfe_u32 v6, v3, 16, 1
	v_add3_u32 v3, v3, v6, 0x7fff
	s_delay_alu instid0(VALU_DEP_1) | instskip(NEXT) | instid1(VALU_DEP_1)
	v_lshrrev_b32_e32 v3, 16, v3
	v_cndmask_b32_e32 v3, 0x7fc0, v3, vcc_lo
	global_store_b16 v[0:1], v3, off
.LBB73_1889:
	s_mov_b32 s1, 0
.LBB73_1890:
	s_delay_alu instid0(SALU_CYCLE_1)
	s_and_b32 vcc_lo, exec_lo, s1
	s_mov_b32 s1, 0
	s_cbranch_vccz .LBB73_1892
; %bb.1891:
	v_cmp_ne_u16_e64 s0, 11, v22
	s_mov_b32 s1, -1
.LBB73_1892:
	s_delay_alu instid0(VALU_DEP_1)
	s_and_b32 vcc_lo, exec_lo, s0
	s_cbranch_vccnz .LBB73_2190
; %bb.1893:
	s_and_not1_b32 vcc_lo, exec_lo, s1
	s_cbranch_vccnz .LBB73_1895
.LBB73_1894:
	v_and_b32_e32 v3, 0x7fff7fff, v5
	s_mov_b32 s2, -1
	s_delay_alu instid0(VALU_DEP_1)
	v_cmp_ne_u32_e32 vcc_lo, 0, v3
	v_cndmask_b32_e64 v3, 0, 1, vcc_lo
	global_store_b8 v[0:1], v3, off
.LBB73_1895:
	s_mov_b32 s0, 0
.LBB73_1896:
	s_delay_alu instid0(SALU_CYCLE_1)
	s_and_b32 vcc_lo, exec_lo, s0
	s_cbranch_vccz .LBB73_1935
; %bb.1897:
	v_cmp_gt_i16_e32 vcc_lo, 5, v22
	s_mov_b32 s0, -1
	s_cbranch_vccnz .LBB73_1918
; %bb.1898:
	v_cmp_gt_i16_e32 vcc_lo, 8, v22
	s_cbranch_vccnz .LBB73_1908
; %bb.1899:
	v_cmp_gt_i16_e32 vcc_lo, 9, v22
	s_cbranch_vccnz .LBB73_1905
; %bb.1900:
	v_cmp_lt_i16_e32 vcc_lo, 9, v22
	v_cvt_f32_f16_e32 v3, v2
	s_cbranch_vccz .LBB73_1902
; %bb.1901:
	v_cvt_f32_f16_e32 v2, v4
	s_delay_alu instid0(VALU_DEP_2) | instskip(SKIP_1) | instid1(VALU_DEP_2)
	v_cvt_f64_f32_e32 v[8:9], v3
	s_mov_b32 s0, 0
	v_cvt_f64_f32_e32 v[6:7], v2
	global_store_b128 v[0:1], v[6:9], off
.LBB73_1902:
	s_and_not1_b32 vcc_lo, exec_lo, s0
	s_cbranch_vccnz .LBB73_1904
; %bb.1903:
	v_cvt_f32_f16_e32 v2, v4
	global_store_b64 v[0:1], v[2:3], off
.LBB73_1904:
	s_mov_b32 s0, 0
.LBB73_1905:
	s_delay_alu instid0(SALU_CYCLE_1)
	s_and_not1_b32 vcc_lo, exec_lo, s0
	s_cbranch_vccnz .LBB73_1907
; %bb.1906:
	global_store_b32 v[0:1], v5, off
.LBB73_1907:
	s_mov_b32 s0, 0
.LBB73_1908:
	s_delay_alu instid0(SALU_CYCLE_1)
	s_and_not1_b32 vcc_lo, exec_lo, s0
	s_cbranch_vccnz .LBB73_1917
; %bb.1909:
	v_cmp_gt_i16_e32 vcc_lo, 6, v22
	s_mov_b32 s0, -1
	s_cbranch_vccnz .LBB73_1915
; %bb.1910:
	v_cmp_lt_i16_e32 vcc_lo, 6, v22
	s_cbranch_vccz .LBB73_1912
; %bb.1911:
	v_cvt_f32_f16_e32 v2, v4
	s_mov_b32 s0, 0
	s_delay_alu instid0(VALU_DEP_1)
	v_cvt_f64_f32_e32 v[2:3], v2
	global_store_b64 v[0:1], v[2:3], off
.LBB73_1912:
	s_and_not1_b32 vcc_lo, exec_lo, s0
	s_cbranch_vccnz .LBB73_1914
; %bb.1913:
	v_cvt_f32_f16_e32 v2, v4
	global_store_b32 v[0:1], v2, off
.LBB73_1914:
	s_mov_b32 s0, 0
.LBB73_1915:
	s_delay_alu instid0(SALU_CYCLE_1)
	s_and_not1_b32 vcc_lo, exec_lo, s0
	s_cbranch_vccnz .LBB73_1917
; %bb.1916:
	global_store_b16 v[0:1], v4, off
.LBB73_1917:
	s_mov_b32 s0, 0
.LBB73_1918:
	s_delay_alu instid0(SALU_CYCLE_1)
	s_and_not1_b32 vcc_lo, exec_lo, s0
	s_cbranch_vccnz .LBB73_1934
; %bb.1919:
	v_cmp_gt_i16_e32 vcc_lo, 2, v22
	s_mov_b32 s0, -1
	s_cbranch_vccnz .LBB73_1929
; %bb.1920:
	v_cmp_gt_i16_e32 vcc_lo, 3, v22
	s_cbranch_vccnz .LBB73_1926
; %bb.1921:
	v_cmp_lt_i16_e32 vcc_lo, 3, v22
	s_cbranch_vccz .LBB73_1923
; %bb.1922:
	v_cvt_f32_f16_e32 v2, v4
	s_mov_b32 s0, 0
	s_delay_alu instid0(VALU_DEP_1) | instskip(NEXT) | instid1(VALU_DEP_1)
	v_cvt_i32_f32_e32 v2, v2
	v_ashrrev_i32_e32 v3, 31, v2
	global_store_b64 v[0:1], v[2:3], off
.LBB73_1923:
	s_and_not1_b32 vcc_lo, exec_lo, s0
	s_cbranch_vccnz .LBB73_1925
; %bb.1924:
	v_cvt_f32_f16_e32 v2, v4
	s_delay_alu instid0(VALU_DEP_1)
	v_cvt_i32_f32_e32 v2, v2
	global_store_b32 v[0:1], v2, off
.LBB73_1925:
	s_mov_b32 s0, 0
.LBB73_1926:
	s_delay_alu instid0(SALU_CYCLE_1)
	s_and_not1_b32 vcc_lo, exec_lo, s0
	s_cbranch_vccnz .LBB73_1928
; %bb.1927:
	v_cvt_i16_f16_e32 v2, v4
	global_store_b16 v[0:1], v2, off
.LBB73_1928:
	s_mov_b32 s0, 0
.LBB73_1929:
	s_delay_alu instid0(SALU_CYCLE_1)
	s_and_not1_b32 vcc_lo, exec_lo, s0
	s_cbranch_vccnz .LBB73_1934
; %bb.1930:
	v_cmp_lt_i16_e32 vcc_lo, 0, v22
	s_mov_b32 s0, -1
	s_cbranch_vccz .LBB73_1932
; %bb.1931:
	v_cvt_i16_f16_e32 v2, v4
	s_mov_b32 s0, 0
	global_store_b8 v[0:1], v2, off
.LBB73_1932:
	s_and_not1_b32 vcc_lo, exec_lo, s0
	s_cbranch_vccnz .LBB73_1934
; %bb.1933:
	v_cvt_f32_f16_e32 v2, v4
	s_delay_alu instid0(VALU_DEP_1)
	v_cvt_i32_f32_e32 v2, v2
	global_store_b8 v[0:1], v2, off
.LBB73_1934:
	s_mov_b32 s2, -1
.LBB73_1935:
	s_delay_alu instid0(SALU_CYCLE_1)
	s_and_not1_b32 vcc_lo, exec_lo, s2
	s_cbranch_vccnz .LBB73_2131
; %bb.1936:
	v_cvt_f32_f16_e32 v0, v23
	v_cvt_f32_f16_e32 v1, v26
	s_getpc_b64 s[0:1]
	s_add_u32 s0, s0, _ZN16c10_complex_math3expIfEEN3c107complexIT_EERKS4_@rel32@lo+4
	s_addc_u32 s1, s1, _ZN16c10_complex_math3expIfEEN3c107complexIT_EERKS4_@rel32@hi+12
	s_delay_alu instid0(SALU_CYCLE_1) | instskip(SKIP_4) | instid1(VALU_DEP_4)
	s_swappc_b64 s[30:31], s[0:1]
	v_cvt_f16_f32_e32 v2, v1
	v_cvt_f16_f32_e32 v4, v0
	v_cmp_gt_i16_e32 vcc_lo, 11, v22
	v_add_co_u32 v0, s0, s12, v18
	v_lshlrev_b32_e32 v3, 16, v2
	s_delay_alu instid0(VALU_DEP_4) | instskip(SKIP_2) | instid1(VALU_DEP_2)
	v_and_b32_e32 v5, 0xffff, v4
	v_add_co_ci_u32_e64 v1, null, s13, 0, s0
	s_mov_b32 s2, 0
	v_or_b32_e32 v5, v3, v5
	s_mov_b32 s0, -1
	s_cbranch_vccnz .LBB73_2014
; %bb.1937:
	v_cmp_lt_i16_e32 vcc_lo, 25, v22
	s_mov_b32 s3, -1
	s_mov_b32 s1, 0
	s_mov_b32 s0, 0
	s_cbranch_vccz .LBB73_1970
; %bb.1938:
	v_cmp_lt_i16_e32 vcc_lo, 28, v22
	s_cbranch_vccz .LBB73_1953
; %bb.1939:
	v_cmp_lt_i16_e32 vcc_lo, 43, v22
	;; [unrolled: 3-line block ×3, first 2 shown]
	s_cbranch_vccz .LBB73_1943
; %bb.1941:
	v_cmp_eq_u16_e32 vcc_lo, 46, v22
	s_mov_b32 s0, -1
	s_mov_b32 s3, 0
	s_cbranch_vccz .LBB73_1943
; %bb.1942:
	v_cvt_f32_f16_e32 v3, v2
	v_cvt_f32_f16_e32 v6, v4
	v_cmp_o_f16_e32 vcc_lo, v2, v2
	s_mov_b32 s0, 0
	s_mov_b32 s2, -1
	v_bfe_u32 v7, v3, 16, 1
	v_bfe_u32 v8, v6, 16, 1
	s_delay_alu instid0(VALU_DEP_2) | instskip(NEXT) | instid1(VALU_DEP_2)
	v_add3_u32 v3, v3, v7, 0x7fff
	v_add3_u32 v6, v6, v8, 0x7fff
	s_delay_alu instid0(VALU_DEP_2) | instskip(NEXT) | instid1(VALU_DEP_2)
	v_and_b32_e32 v3, 0xffff0000, v3
	v_lshrrev_b32_e32 v6, 16, v6
	s_delay_alu instid0(VALU_DEP_2) | instskip(SKIP_1) | instid1(VALU_DEP_3)
	v_cndmask_b32_e32 v3, 0x7fc00000, v3, vcc_lo
	v_cmp_o_f16_e32 vcc_lo, v4, v4
	v_cndmask_b32_e32 v6, 0x7fc0, v6, vcc_lo
	s_delay_alu instid0(VALU_DEP_1)
	v_or_b32_e32 v3, v3, v6
	global_store_b32 v[0:1], v3, off
.LBB73_1943:
	s_and_b32 vcc_lo, exec_lo, s3
	s_cbranch_vccz .LBB73_1948
; %bb.1944:
	v_cmp_eq_u16_e32 vcc_lo, 44, v22
	s_mov_b32 s0, -1
	s_cbranch_vccz .LBB73_1948
; %bb.1945:
	v_cvt_f32_f16_e32 v3, v4
	v_mov_b32_e32 v6, 0xff
	s_mov_b32 s2, exec_lo
	s_delay_alu instid0(VALU_DEP_2) | instskip(NEXT) | instid1(VALU_DEP_1)
	v_bfe_u32 v7, v3, 23, 8
	v_cmpx_ne_u32_e32 0xff, v7
; %bb.1946:
	v_and_b32_e32 v6, 0x400000, v3
	v_and_or_b32 v7, 0x3fffff, v3, v7
	v_lshrrev_b32_e32 v3, 23, v3
	s_delay_alu instid0(VALU_DEP_3) | instskip(NEXT) | instid1(VALU_DEP_3)
	v_cmp_ne_u32_e32 vcc_lo, 0, v6
	v_cmp_ne_u32_e64 s0, 0, v7
	s_delay_alu instid0(VALU_DEP_1) | instskip(NEXT) | instid1(SALU_CYCLE_1)
	s_and_b32 s0, vcc_lo, s0
	v_cndmask_b32_e64 v6, 0, 1, s0
	s_delay_alu instid0(VALU_DEP_1)
	v_add_nc_u32_e32 v6, v3, v6
; %bb.1947:
	s_or_b32 exec_lo, exec_lo, s2
	s_mov_b32 s0, 0
	s_mov_b32 s2, -1
	global_store_b8 v[0:1], v6, off
.LBB73_1948:
	s_mov_b32 s3, 0
.LBB73_1949:
	s_delay_alu instid0(SALU_CYCLE_1)
	s_and_b32 vcc_lo, exec_lo, s3
	s_cbranch_vccz .LBB73_1952
; %bb.1950:
	v_cmp_eq_u16_e32 vcc_lo, 29, v22
	s_mov_b32 s0, -1
	s_cbranch_vccz .LBB73_1952
; %bb.1951:
	v_cvt_f32_f16_e32 v3, v4
	v_mov_b32_e32 v7, 0
	s_mov_b32 s0, 0
	s_mov_b32 s2, -1
	s_delay_alu instid0(VALU_DEP_2)
	v_cvt_u32_f32_e32 v6, v3
	global_store_b64 v[0:1], v[6:7], off
.LBB73_1952:
	s_mov_b32 s3, 0
.LBB73_1953:
	s_delay_alu instid0(SALU_CYCLE_1)
	s_and_b32 vcc_lo, exec_lo, s3
	s_cbranch_vccz .LBB73_1969
; %bb.1954:
	v_cmp_gt_i16_e32 vcc_lo, 27, v22
	s_mov_b32 s2, -1
	s_cbranch_vccnz .LBB73_1960
; %bb.1955:
	v_cmp_lt_i16_e32 vcc_lo, 27, v22
	s_cbranch_vccz .LBB73_1957
; %bb.1956:
	v_cvt_f32_f16_e32 v3, v4
	s_mov_b32 s2, 0
	s_delay_alu instid0(VALU_DEP_1)
	v_cvt_u32_f32_e32 v3, v3
	global_store_b32 v[0:1], v3, off
.LBB73_1957:
	s_and_not1_b32 vcc_lo, exec_lo, s2
	s_cbranch_vccnz .LBB73_1959
; %bb.1958:
	v_cvt_u16_f16_e32 v3, v4
	global_store_b16 v[0:1], v3, off
.LBB73_1959:
	s_mov_b32 s2, 0
.LBB73_1960:
	s_delay_alu instid0(SALU_CYCLE_1)
	s_and_not1_b32 vcc_lo, exec_lo, s2
	s_cbranch_vccnz .LBB73_1968
; %bb.1961:
	v_cvt_f32_f16_e32 v3, v4
	v_mov_b32_e32 v7, 0x80
	s_mov_b32 s2, exec_lo
	s_delay_alu instid0(VALU_DEP_2) | instskip(NEXT) | instid1(VALU_DEP_1)
	v_and_b32_e32 v6, 0x7fffffff, v3
	v_cmpx_gt_u32_e32 0x43800000, v6
	s_cbranch_execz .LBB73_1967
; %bb.1962:
	v_cmp_lt_u32_e32 vcc_lo, 0x3bffffff, v6
	s_mov_b32 s3, 0
                                        ; implicit-def: $vgpr6
	s_and_saveexec_b32 s4, vcc_lo
	s_delay_alu instid0(SALU_CYCLE_1)
	s_xor_b32 s4, exec_lo, s4
	s_cbranch_execz .LBB73_2194
; %bb.1963:
	v_bfe_u32 v6, v3, 20, 1
	s_mov_b32 s3, exec_lo
	s_delay_alu instid0(VALU_DEP_1) | instskip(NEXT) | instid1(VALU_DEP_1)
	v_add3_u32 v6, v3, v6, 0x487ffff
	v_lshrrev_b32_e32 v6, 20, v6
	s_or_saveexec_b32 s4, s4
                                        ; implicit-def: $sgpr5
	s_delay_alu instid0(SALU_CYCLE_1)
	s_xor_b32 exec_lo, exec_lo, s4
	s_cbranch_execnz .LBB73_2195
.LBB73_1964:
	s_or_b32 exec_lo, exec_lo, s4
	v_mov_b32_e32 v7, s5
	s_and_saveexec_b32 s4, s3
.LBB73_1965:
	v_lshrrev_b32_e32 v3, 24, v3
	s_delay_alu instid0(VALU_DEP_1)
	v_and_or_b32 v7, 0x80, v3, v6
.LBB73_1966:
	s_or_b32 exec_lo, exec_lo, s4
.LBB73_1967:
	s_delay_alu instid0(SALU_CYCLE_1)
	s_or_b32 exec_lo, exec_lo, s2
	global_store_b8 v[0:1], v7, off
.LBB73_1968:
	s_mov_b32 s2, -1
.LBB73_1969:
	s_mov_b32 s3, 0
.LBB73_1970:
	s_delay_alu instid0(SALU_CYCLE_1)
	s_and_b32 vcc_lo, exec_lo, s3
	s_cbranch_vccz .LBB73_2010
; %bb.1971:
	v_cmp_lt_i16_e32 vcc_lo, 22, v22
	s_mov_b32 s1, -1
	s_cbranch_vccz .LBB73_2003
; %bb.1972:
	v_cmp_gt_i16_e32 vcc_lo, 24, v22
	s_cbranch_vccnz .LBB73_1992
; %bb.1973:
	v_cmp_lt_i16_e32 vcc_lo, 24, v22
	s_cbranch_vccz .LBB73_1981
; %bb.1974:
	v_cvt_f32_f16_e32 v3, v4
	v_mov_b32_e32 v7, 0x80
	s_mov_b32 s1, exec_lo
	s_delay_alu instid0(VALU_DEP_2) | instskip(NEXT) | instid1(VALU_DEP_1)
	v_and_b32_e32 v6, 0x7fffffff, v3
	v_cmpx_gt_u32_e32 0x47800000, v6
	s_cbranch_execz .LBB73_1980
; %bb.1975:
	v_cmp_lt_u32_e32 vcc_lo, 0x37ffffff, v6
	s_mov_b32 s2, 0
                                        ; implicit-def: $vgpr6
	s_and_saveexec_b32 s3, vcc_lo
	s_delay_alu instid0(SALU_CYCLE_1)
	s_xor_b32 s3, exec_lo, s3
	s_cbranch_execz .LBB73_2200
; %bb.1976:
	v_bfe_u32 v6, v3, 21, 1
	s_mov_b32 s2, exec_lo
	s_delay_alu instid0(VALU_DEP_1) | instskip(NEXT) | instid1(VALU_DEP_1)
	v_add3_u32 v6, v3, v6, 0x88fffff
	v_lshrrev_b32_e32 v6, 21, v6
	s_or_saveexec_b32 s3, s3
                                        ; implicit-def: $sgpr4
	s_delay_alu instid0(SALU_CYCLE_1)
	s_xor_b32 exec_lo, exec_lo, s3
	s_cbranch_execnz .LBB73_2201
.LBB73_1977:
	s_or_b32 exec_lo, exec_lo, s3
	v_mov_b32_e32 v7, s4
	s_and_saveexec_b32 s3, s2
.LBB73_1978:
	v_lshrrev_b32_e32 v3, 24, v3
	s_delay_alu instid0(VALU_DEP_1)
	v_and_or_b32 v7, 0x80, v3, v6
.LBB73_1979:
	s_or_b32 exec_lo, exec_lo, s3
.LBB73_1980:
	s_delay_alu instid0(SALU_CYCLE_1)
	s_or_b32 exec_lo, exec_lo, s1
	s_mov_b32 s1, 0
	global_store_b8 v[0:1], v7, off
.LBB73_1981:
	s_and_b32 vcc_lo, exec_lo, s1
	s_cbranch_vccz .LBB73_1991
; %bb.1982:
	v_cvt_f32_f16_e32 v3, v4
	s_mov_b32 s1, exec_lo
                                        ; implicit-def: $vgpr6
	s_delay_alu instid0(VALU_DEP_1) | instskip(NEXT) | instid1(VALU_DEP_1)
	v_and_b32_e32 v7, 0x7fffffff, v3
	v_cmpx_gt_u32_e32 0x43f00000, v7
	s_xor_b32 s1, exec_lo, s1
	s_cbranch_execz .LBB73_1988
; %bb.1983:
	s_mov_b32 s2, exec_lo
                                        ; implicit-def: $vgpr6
	v_cmpx_lt_u32_e32 0x3c7fffff, v7
	s_xor_b32 s2, exec_lo, s2
; %bb.1984:
	v_bfe_u32 v6, v3, 20, 1
	s_delay_alu instid0(VALU_DEP_1) | instskip(NEXT) | instid1(VALU_DEP_1)
	v_add3_u32 v6, v3, v6, 0x407ffff
	v_and_b32_e32 v7, 0xff00000, v6
	v_lshrrev_b32_e32 v6, 20, v6
	s_delay_alu instid0(VALU_DEP_2) | instskip(NEXT) | instid1(VALU_DEP_2)
	v_cmp_ne_u32_e32 vcc_lo, 0x7f00000, v7
	v_cndmask_b32_e32 v6, 0x7e, v6, vcc_lo
; %bb.1985:
	s_and_not1_saveexec_b32 s2, s2
; %bb.1986:
	v_add_f32_e64 v6, 0x46800000, |v3|
; %bb.1987:
	s_or_b32 exec_lo, exec_lo, s2
                                        ; implicit-def: $vgpr7
.LBB73_1988:
	s_and_not1_saveexec_b32 s1, s1
; %bb.1989:
	v_mov_b32_e32 v6, 0x7f
	v_cmp_lt_u32_e32 vcc_lo, 0x7f800000, v7
	s_delay_alu instid0(VALU_DEP_2)
	v_cndmask_b32_e32 v6, 0x7e, v6, vcc_lo
; %bb.1990:
	s_or_b32 exec_lo, exec_lo, s1
	v_lshrrev_b32_e32 v3, 24, v3
	s_delay_alu instid0(VALU_DEP_1)
	v_and_or_b32 v3, 0x80, v3, v6
	global_store_b8 v[0:1], v3, off
.LBB73_1991:
	s_mov_b32 s1, 0
.LBB73_1992:
	s_delay_alu instid0(SALU_CYCLE_1)
	s_and_not1_b32 vcc_lo, exec_lo, s1
	s_cbranch_vccnz .LBB73_2002
; %bb.1993:
	v_cvt_f32_f16_e32 v3, v4
	s_mov_b32 s1, exec_lo
                                        ; implicit-def: $vgpr6
	s_delay_alu instid0(VALU_DEP_1) | instskip(NEXT) | instid1(VALU_DEP_1)
	v_and_b32_e32 v7, 0x7fffffff, v3
	v_cmpx_gt_u32_e32 0x47800000, v7
	s_xor_b32 s1, exec_lo, s1
	s_cbranch_execz .LBB73_1999
; %bb.1994:
	s_mov_b32 s2, exec_lo
                                        ; implicit-def: $vgpr6
	v_cmpx_lt_u32_e32 0x387fffff, v7
	s_xor_b32 s2, exec_lo, s2
; %bb.1995:
	v_bfe_u32 v6, v3, 21, 1
	s_delay_alu instid0(VALU_DEP_1) | instskip(NEXT) | instid1(VALU_DEP_1)
	v_add3_u32 v6, v3, v6, 0x80fffff
	v_lshrrev_b32_e32 v6, 21, v6
; %bb.1996:
	s_and_not1_saveexec_b32 s2, s2
; %bb.1997:
	v_add_f32_e64 v6, 0x43000000, |v3|
; %bb.1998:
	s_or_b32 exec_lo, exec_lo, s2
                                        ; implicit-def: $vgpr7
.LBB73_1999:
	s_and_not1_saveexec_b32 s1, s1
; %bb.2000:
	v_mov_b32_e32 v6, 0x7f
	v_cmp_lt_u32_e32 vcc_lo, 0x7f800000, v7
	s_delay_alu instid0(VALU_DEP_2)
	v_cndmask_b32_e32 v6, 0x7c, v6, vcc_lo
; %bb.2001:
	s_or_b32 exec_lo, exec_lo, s1
	v_lshrrev_b32_e32 v3, 24, v3
	s_delay_alu instid0(VALU_DEP_1)
	v_and_or_b32 v3, 0x80, v3, v6
	global_store_b8 v[0:1], v3, off
.LBB73_2002:
	s_mov_b32 s1, 0
	s_mov_b32 s2, -1
.LBB73_2003:
	s_and_not1_b32 vcc_lo, exec_lo, s1
	s_mov_b32 s1, 0
	s_cbranch_vccnz .LBB73_2010
; %bb.2004:
	v_cmp_lt_i16_e32 vcc_lo, 14, v22
	s_mov_b32 s1, -1
	s_cbranch_vccz .LBB73_2008
; %bb.2005:
	v_cmp_eq_u16_e32 vcc_lo, 15, v22
	s_mov_b32 s0, -1
	s_cbranch_vccz .LBB73_2007
; %bb.2006:
	v_cvt_f32_f16_e32 v3, v4
	v_cmp_o_f16_e32 vcc_lo, v4, v4
	s_mov_b32 s0, 0
	s_mov_b32 s2, -1
	s_delay_alu instid0(VALU_DEP_2) | instskip(NEXT) | instid1(VALU_DEP_1)
	v_bfe_u32 v6, v3, 16, 1
	v_add3_u32 v3, v3, v6, 0x7fff
	s_delay_alu instid0(VALU_DEP_1) | instskip(NEXT) | instid1(VALU_DEP_1)
	v_lshrrev_b32_e32 v3, 16, v3
	v_cndmask_b32_e32 v3, 0x7fc0, v3, vcc_lo
	global_store_b16 v[0:1], v3, off
.LBB73_2007:
	s_mov_b32 s1, 0
.LBB73_2008:
	s_delay_alu instid0(SALU_CYCLE_1)
	s_and_b32 vcc_lo, exec_lo, s1
	s_mov_b32 s1, 0
	s_cbranch_vccz .LBB73_2010
; %bb.2009:
	v_cmp_ne_u16_e64 s0, 11, v22
	s_mov_b32 s1, -1
.LBB73_2010:
	s_delay_alu instid0(VALU_DEP_1)
	s_and_b32 vcc_lo, exec_lo, s0
	s_cbranch_vccnz .LBB73_2198
; %bb.2011:
	s_and_not1_b32 vcc_lo, exec_lo, s1
	s_cbranch_vccnz .LBB73_2013
.LBB73_2012:
	v_and_b32_e32 v3, 0x7fff7fff, v5
	s_mov_b32 s2, -1
	s_delay_alu instid0(VALU_DEP_1)
	v_cmp_ne_u32_e32 vcc_lo, 0, v3
	v_cndmask_b32_e64 v3, 0, 1, vcc_lo
	global_store_b8 v[0:1], v3, off
.LBB73_2013:
	s_mov_b32 s0, 0
.LBB73_2014:
	s_delay_alu instid0(SALU_CYCLE_1)
	s_and_b32 vcc_lo, exec_lo, s0
	s_cbranch_vccz .LBB73_2053
; %bb.2015:
	v_cmp_gt_i16_e32 vcc_lo, 5, v22
	s_mov_b32 s0, -1
	s_cbranch_vccnz .LBB73_2036
; %bb.2016:
	v_cmp_gt_i16_e32 vcc_lo, 8, v22
	s_cbranch_vccnz .LBB73_2026
; %bb.2017:
	v_cmp_gt_i16_e32 vcc_lo, 9, v22
	s_cbranch_vccnz .LBB73_2023
; %bb.2018:
	v_cmp_lt_i16_e32 vcc_lo, 9, v22
	v_cvt_f32_f16_e32 v3, v2
	s_cbranch_vccz .LBB73_2020
; %bb.2019:
	v_cvt_f32_f16_e32 v2, v4
	s_delay_alu instid0(VALU_DEP_2) | instskip(SKIP_1) | instid1(VALU_DEP_2)
	v_cvt_f64_f32_e32 v[8:9], v3
	s_mov_b32 s0, 0
	v_cvt_f64_f32_e32 v[6:7], v2
	global_store_b128 v[0:1], v[6:9], off
.LBB73_2020:
	s_and_not1_b32 vcc_lo, exec_lo, s0
	s_cbranch_vccnz .LBB73_2022
; %bb.2021:
	v_cvt_f32_f16_e32 v2, v4
	global_store_b64 v[0:1], v[2:3], off
.LBB73_2022:
	s_mov_b32 s0, 0
.LBB73_2023:
	s_delay_alu instid0(SALU_CYCLE_1)
	s_and_not1_b32 vcc_lo, exec_lo, s0
	s_cbranch_vccnz .LBB73_2025
; %bb.2024:
	global_store_b32 v[0:1], v5, off
.LBB73_2025:
	s_mov_b32 s0, 0
.LBB73_2026:
	s_delay_alu instid0(SALU_CYCLE_1)
	s_and_not1_b32 vcc_lo, exec_lo, s0
	s_cbranch_vccnz .LBB73_2035
; %bb.2027:
	v_cmp_gt_i16_e32 vcc_lo, 6, v22
	s_mov_b32 s0, -1
	s_cbranch_vccnz .LBB73_2033
; %bb.2028:
	v_cmp_lt_i16_e32 vcc_lo, 6, v22
	s_cbranch_vccz .LBB73_2030
; %bb.2029:
	v_cvt_f32_f16_e32 v2, v4
	s_mov_b32 s0, 0
	s_delay_alu instid0(VALU_DEP_1)
	v_cvt_f64_f32_e32 v[2:3], v2
	global_store_b64 v[0:1], v[2:3], off
.LBB73_2030:
	s_and_not1_b32 vcc_lo, exec_lo, s0
	s_cbranch_vccnz .LBB73_2032
; %bb.2031:
	v_cvt_f32_f16_e32 v2, v4
	global_store_b32 v[0:1], v2, off
.LBB73_2032:
	s_mov_b32 s0, 0
.LBB73_2033:
	s_delay_alu instid0(SALU_CYCLE_1)
	s_and_not1_b32 vcc_lo, exec_lo, s0
	s_cbranch_vccnz .LBB73_2035
; %bb.2034:
	global_store_b16 v[0:1], v4, off
.LBB73_2035:
	s_mov_b32 s0, 0
.LBB73_2036:
	s_delay_alu instid0(SALU_CYCLE_1)
	s_and_not1_b32 vcc_lo, exec_lo, s0
	s_cbranch_vccnz .LBB73_2052
; %bb.2037:
	v_cmp_gt_i16_e32 vcc_lo, 2, v22
	s_mov_b32 s0, -1
	s_cbranch_vccnz .LBB73_2047
; %bb.2038:
	v_cmp_gt_i16_e32 vcc_lo, 3, v22
	s_cbranch_vccnz .LBB73_2044
; %bb.2039:
	v_cmp_lt_i16_e32 vcc_lo, 3, v22
	s_cbranch_vccz .LBB73_2041
; %bb.2040:
	v_cvt_f32_f16_e32 v2, v4
	s_mov_b32 s0, 0
	s_delay_alu instid0(VALU_DEP_1) | instskip(NEXT) | instid1(VALU_DEP_1)
	v_cvt_i32_f32_e32 v2, v2
	v_ashrrev_i32_e32 v3, 31, v2
	global_store_b64 v[0:1], v[2:3], off
.LBB73_2041:
	s_and_not1_b32 vcc_lo, exec_lo, s0
	s_cbranch_vccnz .LBB73_2043
; %bb.2042:
	v_cvt_f32_f16_e32 v2, v4
	s_delay_alu instid0(VALU_DEP_1)
	v_cvt_i32_f32_e32 v2, v2
	global_store_b32 v[0:1], v2, off
.LBB73_2043:
	s_mov_b32 s0, 0
.LBB73_2044:
	s_delay_alu instid0(SALU_CYCLE_1)
	s_and_not1_b32 vcc_lo, exec_lo, s0
	s_cbranch_vccnz .LBB73_2046
; %bb.2045:
	v_cvt_i16_f16_e32 v2, v4
	global_store_b16 v[0:1], v2, off
.LBB73_2046:
	s_mov_b32 s0, 0
.LBB73_2047:
	s_delay_alu instid0(SALU_CYCLE_1)
	s_and_not1_b32 vcc_lo, exec_lo, s0
	s_cbranch_vccnz .LBB73_2052
; %bb.2048:
	v_cmp_lt_i16_e32 vcc_lo, 0, v22
	s_mov_b32 s0, -1
	s_cbranch_vccz .LBB73_2050
; %bb.2049:
	v_cvt_i16_f16_e32 v2, v4
	s_mov_b32 s0, 0
	global_store_b8 v[0:1], v2, off
.LBB73_2050:
	s_and_not1_b32 vcc_lo, exec_lo, s0
	s_cbranch_vccnz .LBB73_2052
; %bb.2051:
	v_cvt_f32_f16_e32 v2, v4
	s_delay_alu instid0(VALU_DEP_1)
	v_cvt_i32_f32_e32 v2, v2
	global_store_b8 v[0:1], v2, off
.LBB73_2052:
	s_mov_b32 s2, -1
.LBB73_2053:
	s_delay_alu instid0(SALU_CYCLE_1)
	s_and_not1_b32 vcc_lo, exec_lo, s2
	s_cbranch_vccnz .LBB73_2131
; %bb.2054:
	v_cvt_f32_f16_e32 v0, v25
	v_cvt_f32_f16_e32 v1, v27
	s_getpc_b64 s[0:1]
	s_add_u32 s0, s0, _ZN16c10_complex_math3expIfEEN3c107complexIT_EERKS4_@rel32@lo+4
	s_addc_u32 s1, s1, _ZN16c10_complex_math3expIfEEN3c107complexIT_EERKS4_@rel32@hi+12
	s_delay_alu instid0(SALU_CYCLE_1)
	s_swappc_b64 s[30:31], s[0:1]
	v_cvt_f16_f32_e32 v2, v0
	v_cmp_gt_i16_e32 vcc_lo, 11, v22
	v_add_co_u32 v0, s0, s12, v17
	v_cvt_f16_f32_e32 v3, v1
	v_add_co_ci_u32_e64 v1, null, s13, 0, s0
	s_mov_b32 s1, 0
	s_mov_b32 s0, -1
	s_cbranch_vccnz .LBB73_2130
; %bb.2055:
	v_cmp_lt_i16_e32 vcc_lo, 25, v22
	s_mov_b32 s2, -1
	s_mov_b32 s0, 0
	s_cbranch_vccz .LBB73_2088
; %bb.2056:
	v_cmp_lt_i16_e32 vcc_lo, 28, v22
	s_cbranch_vccz .LBB73_2072
; %bb.2057:
	v_cmp_lt_i16_e32 vcc_lo, 43, v22
	s_cbranch_vccz .LBB73_2068
; %bb.2058:
	v_cmp_lt_i16_e32 vcc_lo, 45, v22
	s_cbranch_vccz .LBB73_2062
; %bb.2059:
	v_cmp_eq_u16_e32 vcc_lo, 46, v22
	s_mov_b32 s0, -1
	s_cbranch_vccz .LBB73_2061
; %bb.2060:
	v_cvt_f32_f16_e32 v4, v3
	v_cvt_f32_f16_e32 v5, v2
	v_cmp_o_f16_e32 vcc_lo, v3, v3
	s_mov_b32 s0, 0
	s_delay_alu instid0(VALU_DEP_3) | instskip(NEXT) | instid1(VALU_DEP_3)
	v_bfe_u32 v6, v4, 16, 1
	v_bfe_u32 v7, v5, 16, 1
	s_delay_alu instid0(VALU_DEP_2) | instskip(NEXT) | instid1(VALU_DEP_2)
	v_add3_u32 v4, v4, v6, 0x7fff
	v_add3_u32 v5, v5, v7, 0x7fff
	s_delay_alu instid0(VALU_DEP_2) | instskip(NEXT) | instid1(VALU_DEP_2)
	v_and_b32_e32 v4, 0xffff0000, v4
	v_lshrrev_b32_e32 v5, 16, v5
	s_delay_alu instid0(VALU_DEP_2) | instskip(SKIP_1) | instid1(VALU_DEP_3)
	v_cndmask_b32_e32 v4, 0x7fc00000, v4, vcc_lo
	v_cmp_o_f16_e32 vcc_lo, v2, v2
	v_cndmask_b32_e32 v5, 0x7fc0, v5, vcc_lo
	s_delay_alu instid0(VALU_DEP_1)
	v_or_b32_e32 v4, v4, v5
	global_store_b32 v[0:1], v4, off
.LBB73_2061:
	s_mov_b32 s2, 0
.LBB73_2062:
	s_delay_alu instid0(SALU_CYCLE_1)
	s_and_b32 vcc_lo, exec_lo, s2
	s_cbranch_vccz .LBB73_2067
; %bb.2063:
	v_cmp_eq_u16_e32 vcc_lo, 44, v22
	s_mov_b32 s0, -1
	s_cbranch_vccz .LBB73_2067
; %bb.2064:
	v_cvt_f32_f16_e32 v4, v2
	v_mov_b32_e32 v5, 0xff
	s_mov_b32 s2, exec_lo
	s_delay_alu instid0(VALU_DEP_2) | instskip(NEXT) | instid1(VALU_DEP_1)
	v_bfe_u32 v6, v4, 23, 8
	v_cmpx_ne_u32_e32 0xff, v6
; %bb.2065:
	v_and_b32_e32 v5, 0x400000, v4
	v_and_or_b32 v6, 0x3fffff, v4, v6
	v_lshrrev_b32_e32 v4, 23, v4
	s_delay_alu instid0(VALU_DEP_3) | instskip(NEXT) | instid1(VALU_DEP_3)
	v_cmp_ne_u32_e32 vcc_lo, 0, v5
	v_cmp_ne_u32_e64 s0, 0, v6
	s_delay_alu instid0(VALU_DEP_1) | instskip(NEXT) | instid1(SALU_CYCLE_1)
	s_and_b32 s0, vcc_lo, s0
	v_cndmask_b32_e64 v5, 0, 1, s0
	s_delay_alu instid0(VALU_DEP_1)
	v_add_nc_u32_e32 v5, v4, v5
; %bb.2066:
	s_or_b32 exec_lo, exec_lo, s2
	s_mov_b32 s0, 0
	global_store_b8 v[0:1], v5, off
.LBB73_2067:
	s_mov_b32 s2, 0
.LBB73_2068:
	s_delay_alu instid0(SALU_CYCLE_1)
	s_and_b32 vcc_lo, exec_lo, s2
	s_cbranch_vccz .LBB73_2071
; %bb.2069:
	v_cmp_eq_u16_e32 vcc_lo, 29, v22
	s_mov_b32 s0, -1
	s_cbranch_vccz .LBB73_2071
; %bb.2070:
	v_cvt_f32_f16_e32 v4, v2
	v_mov_b32_e32 v5, 0
	s_mov_b32 s0, 0
	s_delay_alu instid0(VALU_DEP_2)
	v_cvt_u32_f32_e32 v4, v4
	global_store_b64 v[0:1], v[4:5], off
.LBB73_2071:
	s_mov_b32 s2, 0
.LBB73_2072:
	s_delay_alu instid0(SALU_CYCLE_1)
	s_and_b32 vcc_lo, exec_lo, s2
	s_cbranch_vccz .LBB73_2087
; %bb.2073:
	v_cmp_gt_i16_e32 vcc_lo, 27, v22
	s_mov_b32 s2, -1
	s_cbranch_vccnz .LBB73_2079
; %bb.2074:
	v_cmp_lt_i16_e32 vcc_lo, 27, v22
	s_cbranch_vccz .LBB73_2076
; %bb.2075:
	v_cvt_f32_f16_e32 v4, v2
	s_mov_b32 s2, 0
	s_delay_alu instid0(VALU_DEP_1)
	v_cvt_u32_f32_e32 v4, v4
	global_store_b32 v[0:1], v4, off
.LBB73_2076:
	s_and_not1_b32 vcc_lo, exec_lo, s2
	s_cbranch_vccnz .LBB73_2078
; %bb.2077:
	v_cvt_u16_f16_e32 v4, v2
	global_store_b16 v[0:1], v4, off
.LBB73_2078:
	s_mov_b32 s2, 0
.LBB73_2079:
	s_delay_alu instid0(SALU_CYCLE_1)
	s_and_not1_b32 vcc_lo, exec_lo, s2
	s_cbranch_vccnz .LBB73_2087
; %bb.2080:
	v_cvt_f32_f16_e32 v4, v2
	v_mov_b32_e32 v6, 0x80
	s_mov_b32 s2, exec_lo
	s_delay_alu instid0(VALU_DEP_2) | instskip(NEXT) | instid1(VALU_DEP_1)
	v_and_b32_e32 v5, 0x7fffffff, v4
	v_cmpx_gt_u32_e32 0x43800000, v5
	s_cbranch_execz .LBB73_2086
; %bb.2081:
	v_cmp_lt_u32_e32 vcc_lo, 0x3bffffff, v5
	s_mov_b32 s3, 0
                                        ; implicit-def: $vgpr5
	s_and_saveexec_b32 s4, vcc_lo
	s_delay_alu instid0(SALU_CYCLE_1)
	s_xor_b32 s4, exec_lo, s4
	s_cbranch_execz .LBB73_2202
; %bb.2082:
	v_bfe_u32 v5, v4, 20, 1
	s_mov_b32 s3, exec_lo
	s_delay_alu instid0(VALU_DEP_1) | instskip(NEXT) | instid1(VALU_DEP_1)
	v_add3_u32 v5, v4, v5, 0x487ffff
	v_lshrrev_b32_e32 v5, 20, v5
	s_or_saveexec_b32 s4, s4
                                        ; implicit-def: $sgpr5
	s_delay_alu instid0(SALU_CYCLE_1)
	s_xor_b32 exec_lo, exec_lo, s4
	s_cbranch_execnz .LBB73_2203
.LBB73_2083:
	s_or_b32 exec_lo, exec_lo, s4
	v_mov_b32_e32 v6, s5
	s_and_saveexec_b32 s4, s3
.LBB73_2084:
	v_lshrrev_b32_e32 v4, 24, v4
	s_delay_alu instid0(VALU_DEP_1)
	v_and_or_b32 v6, 0x80, v4, v5
.LBB73_2085:
	s_or_b32 exec_lo, exec_lo, s4
.LBB73_2086:
	s_delay_alu instid0(SALU_CYCLE_1)
	s_or_b32 exec_lo, exec_lo, s2
	global_store_b8 v[0:1], v6, off
.LBB73_2087:
	s_mov_b32 s2, 0
.LBB73_2088:
	s_delay_alu instid0(SALU_CYCLE_1)
	s_and_b32 vcc_lo, exec_lo, s2
	s_cbranch_vccz .LBB73_2128
; %bb.2089:
	v_cmp_lt_i16_e32 vcc_lo, 22, v22
	s_mov_b32 s1, -1
	s_cbranch_vccz .LBB73_2121
; %bb.2090:
	v_cmp_gt_i16_e32 vcc_lo, 24, v22
	s_cbranch_vccnz .LBB73_2110
; %bb.2091:
	v_cmp_lt_i16_e32 vcc_lo, 24, v22
	s_cbranch_vccz .LBB73_2099
; %bb.2092:
	v_cvt_f32_f16_e32 v4, v2
	v_mov_b32_e32 v6, 0x80
	s_mov_b32 s1, exec_lo
	s_delay_alu instid0(VALU_DEP_2) | instskip(NEXT) | instid1(VALU_DEP_1)
	v_and_b32_e32 v5, 0x7fffffff, v4
	v_cmpx_gt_u32_e32 0x47800000, v5
	s_cbranch_execz .LBB73_2098
; %bb.2093:
	v_cmp_lt_u32_e32 vcc_lo, 0x37ffffff, v5
	s_mov_b32 s2, 0
                                        ; implicit-def: $vgpr5
	s_and_saveexec_b32 s3, vcc_lo
	s_delay_alu instid0(SALU_CYCLE_1)
	s_xor_b32 s3, exec_lo, s3
	s_cbranch_execz .LBB73_2208
; %bb.2094:
	v_bfe_u32 v5, v4, 21, 1
	s_mov_b32 s2, exec_lo
	s_delay_alu instid0(VALU_DEP_1) | instskip(NEXT) | instid1(VALU_DEP_1)
	v_add3_u32 v5, v4, v5, 0x88fffff
	v_lshrrev_b32_e32 v5, 21, v5
	s_or_saveexec_b32 s3, s3
                                        ; implicit-def: $sgpr4
	s_delay_alu instid0(SALU_CYCLE_1)
	s_xor_b32 exec_lo, exec_lo, s3
	s_cbranch_execnz .LBB73_2209
.LBB73_2095:
	s_or_b32 exec_lo, exec_lo, s3
	v_mov_b32_e32 v6, s4
	s_and_saveexec_b32 s3, s2
.LBB73_2096:
	v_lshrrev_b32_e32 v4, 24, v4
	s_delay_alu instid0(VALU_DEP_1)
	v_and_or_b32 v6, 0x80, v4, v5
.LBB73_2097:
	s_or_b32 exec_lo, exec_lo, s3
.LBB73_2098:
	s_delay_alu instid0(SALU_CYCLE_1)
	s_or_b32 exec_lo, exec_lo, s1
	s_mov_b32 s1, 0
	global_store_b8 v[0:1], v6, off
.LBB73_2099:
	s_and_b32 vcc_lo, exec_lo, s1
	s_cbranch_vccz .LBB73_2109
; %bb.2100:
	v_cvt_f32_f16_e32 v4, v2
	s_mov_b32 s1, exec_lo
                                        ; implicit-def: $vgpr5
	s_delay_alu instid0(VALU_DEP_1) | instskip(NEXT) | instid1(VALU_DEP_1)
	v_and_b32_e32 v6, 0x7fffffff, v4
	v_cmpx_gt_u32_e32 0x43f00000, v6
	s_xor_b32 s1, exec_lo, s1
	s_cbranch_execz .LBB73_2106
; %bb.2101:
	s_mov_b32 s2, exec_lo
                                        ; implicit-def: $vgpr5
	v_cmpx_lt_u32_e32 0x3c7fffff, v6
	s_xor_b32 s2, exec_lo, s2
; %bb.2102:
	v_bfe_u32 v5, v4, 20, 1
	s_delay_alu instid0(VALU_DEP_1) | instskip(NEXT) | instid1(VALU_DEP_1)
	v_add3_u32 v5, v4, v5, 0x407ffff
	v_and_b32_e32 v6, 0xff00000, v5
	v_lshrrev_b32_e32 v5, 20, v5
	s_delay_alu instid0(VALU_DEP_2) | instskip(NEXT) | instid1(VALU_DEP_2)
	v_cmp_ne_u32_e32 vcc_lo, 0x7f00000, v6
	v_cndmask_b32_e32 v5, 0x7e, v5, vcc_lo
; %bb.2103:
	s_and_not1_saveexec_b32 s2, s2
; %bb.2104:
	v_add_f32_e64 v5, 0x46800000, |v4|
; %bb.2105:
	s_or_b32 exec_lo, exec_lo, s2
                                        ; implicit-def: $vgpr6
.LBB73_2106:
	s_and_not1_saveexec_b32 s1, s1
; %bb.2107:
	v_mov_b32_e32 v5, 0x7f
	v_cmp_lt_u32_e32 vcc_lo, 0x7f800000, v6
	s_delay_alu instid0(VALU_DEP_2)
	v_cndmask_b32_e32 v5, 0x7e, v5, vcc_lo
; %bb.2108:
	s_or_b32 exec_lo, exec_lo, s1
	v_lshrrev_b32_e32 v4, 24, v4
	s_delay_alu instid0(VALU_DEP_1)
	v_and_or_b32 v4, 0x80, v4, v5
	global_store_b8 v[0:1], v4, off
.LBB73_2109:
	s_mov_b32 s1, 0
.LBB73_2110:
	s_delay_alu instid0(SALU_CYCLE_1)
	s_and_not1_b32 vcc_lo, exec_lo, s1
	s_cbranch_vccnz .LBB73_2120
; %bb.2111:
	v_cvt_f32_f16_e32 v4, v2
	s_mov_b32 s1, exec_lo
                                        ; implicit-def: $vgpr5
	s_delay_alu instid0(VALU_DEP_1) | instskip(NEXT) | instid1(VALU_DEP_1)
	v_and_b32_e32 v6, 0x7fffffff, v4
	v_cmpx_gt_u32_e32 0x47800000, v6
	s_xor_b32 s1, exec_lo, s1
	s_cbranch_execz .LBB73_2117
; %bb.2112:
	s_mov_b32 s2, exec_lo
                                        ; implicit-def: $vgpr5
	v_cmpx_lt_u32_e32 0x387fffff, v6
	s_xor_b32 s2, exec_lo, s2
; %bb.2113:
	v_bfe_u32 v5, v4, 21, 1
	s_delay_alu instid0(VALU_DEP_1) | instskip(NEXT) | instid1(VALU_DEP_1)
	v_add3_u32 v5, v4, v5, 0x80fffff
	v_lshrrev_b32_e32 v5, 21, v5
; %bb.2114:
	s_and_not1_saveexec_b32 s2, s2
; %bb.2115:
	v_add_f32_e64 v5, 0x43000000, |v4|
; %bb.2116:
	s_or_b32 exec_lo, exec_lo, s2
                                        ; implicit-def: $vgpr6
.LBB73_2117:
	s_and_not1_saveexec_b32 s1, s1
; %bb.2118:
	v_mov_b32_e32 v5, 0x7f
	v_cmp_lt_u32_e32 vcc_lo, 0x7f800000, v6
	s_delay_alu instid0(VALU_DEP_2)
	v_cndmask_b32_e32 v5, 0x7c, v5, vcc_lo
; %bb.2119:
	s_or_b32 exec_lo, exec_lo, s1
	v_lshrrev_b32_e32 v4, 24, v4
	s_delay_alu instid0(VALU_DEP_1)
	v_and_or_b32 v4, 0x80, v4, v5
	global_store_b8 v[0:1], v4, off
.LBB73_2120:
	s_mov_b32 s1, 0
.LBB73_2121:
	s_delay_alu instid0(SALU_CYCLE_1)
	s_and_not1_b32 vcc_lo, exec_lo, s1
	s_mov_b32 s1, 0
	s_cbranch_vccnz .LBB73_2128
; %bb.2122:
	v_cmp_lt_i16_e32 vcc_lo, 14, v22
	s_mov_b32 s1, -1
	s_cbranch_vccz .LBB73_2126
; %bb.2123:
	v_cmp_eq_u16_e32 vcc_lo, 15, v22
	s_mov_b32 s0, -1
	s_cbranch_vccz .LBB73_2125
; %bb.2124:
	v_cvt_f32_f16_e32 v4, v2
	v_cmp_o_f16_e32 vcc_lo, v2, v2
	s_mov_b32 s0, 0
	s_delay_alu instid0(VALU_DEP_2) | instskip(NEXT) | instid1(VALU_DEP_1)
	v_bfe_u32 v5, v4, 16, 1
	v_add3_u32 v4, v4, v5, 0x7fff
	s_delay_alu instid0(VALU_DEP_1) | instskip(NEXT) | instid1(VALU_DEP_1)
	v_lshrrev_b32_e32 v4, 16, v4
	v_cndmask_b32_e32 v4, 0x7fc0, v4, vcc_lo
	global_store_b16 v[0:1], v4, off
.LBB73_2125:
	s_mov_b32 s1, 0
.LBB73_2126:
	s_delay_alu instid0(SALU_CYCLE_1)
	s_and_b32 vcc_lo, exec_lo, s1
	s_mov_b32 s1, 0
	s_cbranch_vccz .LBB73_2128
; %bb.2127:
	v_cmp_ne_u16_e64 s0, 11, v22
	s_mov_b32 s1, -1
.LBB73_2128:
	s_delay_alu instid0(VALU_DEP_1)
	s_and_b32 vcc_lo, exec_lo, s0
	s_cbranch_vccnz .LBB73_2206
.LBB73_2129:
	s_mov_b32 s0, 0
.LBB73_2130:
	v_lshlrev_b32_e32 v4, 16, v3
	v_and_b32_e32 v5, 0xffff, v2
	s_delay_alu instid0(VALU_DEP_1)
	v_or_b32_e32 v5, v4, v5
	s_branch .LBB73_2132
.LBB73_2131:
	s_mov_b32 s0, 0
	s_mov_b32 s1, 0
                                        ; implicit-def: $vgpr0_vgpr1
                                        ; implicit-def: $vgpr22
                                        ; implicit-def: $vgpr5
                                        ; implicit-def: $vgpr3
                                        ; implicit-def: $vgpr2
.LBB73_2132:
	s_and_not1_b32 s2, s16, exec_lo
	s_and_b32 s3, s9, exec_lo
	s_and_b32 s0, s0, exec_lo
	;; [unrolled: 1-line block ×3, first 2 shown]
	s_or_b32 s16, s2, s3
.LBB73_2133:
	s_or_b32 exec_lo, exec_lo, s17
	s_and_saveexec_b32 s1, s16
	s_cbranch_execz .LBB73_2136
; %bb.2134:
	; divergent unreachable
	s_or_b32 exec_lo, exec_lo, s1
	s_and_saveexec_b32 s1, s34
	s_delay_alu instid0(SALU_CYCLE_1)
	s_xor_b32 s1, exec_lo, s1
	s_cbranch_execnz .LBB73_2137
.LBB73_2135:
	s_or_b32 exec_lo, exec_lo, s1
	s_and_saveexec_b32 s1, s0
	s_cbranch_execnz .LBB73_2138
	s_branch .LBB73_2175
.LBB73_2136:
	s_or_b32 exec_lo, exec_lo, s1
	s_and_saveexec_b32 s1, s34
	s_delay_alu instid0(SALU_CYCLE_1)
	s_xor_b32 s1, exec_lo, s1
	s_cbranch_execz .LBB73_2135
.LBB73_2137:
	s_waitcnt vmcnt(0)
	v_and_b32_e32 v4, 0x7fff7fff, v5
	s_delay_alu instid0(VALU_DEP_1)
	v_cmp_ne_u32_e32 vcc_lo, 0, v4
	v_cndmask_b32_e64 v4, 0, 1, vcc_lo
	global_store_b8 v[0:1], v4, off
	s_or_b32 exec_lo, exec_lo, s1
	s_and_saveexec_b32 s1, s0
	s_cbranch_execz .LBB73_2175
.LBB73_2138:
	v_cmp_gt_i16_e32 vcc_lo, 5, v22
	s_mov_b32 s0, -1
	s_cbranch_vccnz .LBB73_2159
; %bb.2139:
	v_cmp_gt_i16_e32 vcc_lo, 8, v22
	s_cbranch_vccnz .LBB73_2149
; %bb.2140:
	v_cmp_gt_i16_e32 vcc_lo, 9, v22
	s_cbranch_vccnz .LBB73_2146
; %bb.2141:
	v_cmp_lt_i16_e32 vcc_lo, 9, v22
	s_cbranch_vccz .LBB73_2143
; %bb.2142:
	s_waitcnt vmcnt(0)
	v_cvt_f32_f16_e32 v4, v2
	v_cvt_f32_f16_e32 v8, v3
	s_mov_b32 s0, 0
	s_delay_alu instid0(VALU_DEP_2) | instskip(NEXT) | instid1(VALU_DEP_2)
	v_cvt_f64_f32_e32 v[6:7], v4
	v_cvt_f64_f32_e32 v[8:9], v8
	global_store_b128 v[0:1], v[6:9], off
.LBB73_2143:
	s_and_not1_b32 vcc_lo, exec_lo, s0
	s_cbranch_vccnz .LBB73_2145
; %bb.2144:
	s_waitcnt vmcnt(0)
	v_cvt_f32_f16_e32 v6, v2
	v_cvt_f32_f16_e32 v7, v3
	global_store_b64 v[0:1], v[6:7], off
.LBB73_2145:
	s_mov_b32 s0, 0
.LBB73_2146:
	s_delay_alu instid0(SALU_CYCLE_1)
	s_and_not1_b32 vcc_lo, exec_lo, s0
	s_cbranch_vccnz .LBB73_2148
; %bb.2147:
	global_store_b32 v[0:1], v5, off
.LBB73_2148:
	s_mov_b32 s0, 0
.LBB73_2149:
	s_delay_alu instid0(SALU_CYCLE_1)
	s_and_not1_b32 vcc_lo, exec_lo, s0
	s_cbranch_vccnz .LBB73_2158
; %bb.2150:
	v_cmp_gt_i16_e32 vcc_lo, 6, v22
	s_mov_b32 s0, -1
	s_cbranch_vccnz .LBB73_2156
; %bb.2151:
	v_cmp_lt_i16_e32 vcc_lo, 6, v22
	s_cbranch_vccz .LBB73_2153
; %bb.2152:
	s_waitcnt vmcnt(0)
	v_cvt_f32_f16_e32 v3, v2
	s_mov_b32 s0, 0
	s_delay_alu instid0(VALU_DEP_1)
	v_cvt_f64_f32_e32 v[3:4], v3
	global_store_b64 v[0:1], v[3:4], off
.LBB73_2153:
	s_and_not1_b32 vcc_lo, exec_lo, s0
	s_cbranch_vccnz .LBB73_2155
; %bb.2154:
	s_waitcnt vmcnt(0)
	v_cvt_f32_f16_e32 v3, v2
	global_store_b32 v[0:1], v3, off
.LBB73_2155:
	s_mov_b32 s0, 0
.LBB73_2156:
	s_delay_alu instid0(SALU_CYCLE_1)
	s_and_not1_b32 vcc_lo, exec_lo, s0
	s_cbranch_vccnz .LBB73_2158
; %bb.2157:
	s_waitcnt vmcnt(0)
	global_store_b16 v[0:1], v2, off
.LBB73_2158:
	s_mov_b32 s0, 0
.LBB73_2159:
	s_delay_alu instid0(SALU_CYCLE_1)
	s_and_not1_b32 vcc_lo, exec_lo, s0
	s_cbranch_vccnz .LBB73_2175
; %bb.2160:
	v_cmp_gt_i16_e32 vcc_lo, 2, v22
	s_mov_b32 s0, -1
	s_cbranch_vccnz .LBB73_2170
; %bb.2161:
	v_cmp_gt_i16_e32 vcc_lo, 3, v22
	s_cbranch_vccnz .LBB73_2167
; %bb.2162:
	v_cmp_lt_i16_e32 vcc_lo, 3, v22
	s_cbranch_vccz .LBB73_2164
; %bb.2163:
	s_waitcnt vmcnt(0)
	v_cvt_f32_f16_e32 v3, v2
	s_mov_b32 s0, 0
	s_delay_alu instid0(VALU_DEP_1) | instskip(NEXT) | instid1(VALU_DEP_1)
	v_cvt_i32_f32_e32 v3, v3
	v_ashrrev_i32_e32 v4, 31, v3
	global_store_b64 v[0:1], v[3:4], off
.LBB73_2164:
	s_and_not1_b32 vcc_lo, exec_lo, s0
	s_cbranch_vccnz .LBB73_2166
; %bb.2165:
	s_waitcnt vmcnt(0)
	v_cvt_f32_f16_e32 v3, v2
	s_delay_alu instid0(VALU_DEP_1)
	v_cvt_i32_f32_e32 v3, v3
	global_store_b32 v[0:1], v3, off
.LBB73_2166:
	s_mov_b32 s0, 0
.LBB73_2167:
	s_delay_alu instid0(SALU_CYCLE_1)
	s_and_not1_b32 vcc_lo, exec_lo, s0
	s_cbranch_vccnz .LBB73_2169
; %bb.2168:
	s_waitcnt vmcnt(0)
	v_cvt_i16_f16_e32 v3, v2
	global_store_b16 v[0:1], v3, off
.LBB73_2169:
	s_mov_b32 s0, 0
.LBB73_2170:
	s_delay_alu instid0(SALU_CYCLE_1)
	s_and_not1_b32 vcc_lo, exec_lo, s0
	s_cbranch_vccnz .LBB73_2175
; %bb.2171:
	v_cmp_lt_i16_e32 vcc_lo, 0, v22
	s_mov_b32 s0, -1
	s_cbranch_vccz .LBB73_2173
; %bb.2172:
	s_waitcnt vmcnt(0)
	v_cvt_i16_f16_e32 v3, v2
	s_mov_b32 s0, 0
	global_store_b8 v[0:1], v3, off
.LBB73_2173:
	s_and_not1_b32 vcc_lo, exec_lo, s0
	s_cbranch_vccnz .LBB73_2175
; %bb.2174:
	s_waitcnt vmcnt(0)
	v_cvt_f32_f16_e32 v2, v2
	s_delay_alu instid0(VALU_DEP_1)
	v_cvt_i32_f32_e32 v2, v2
	global_store_b8 v[0:1], v2, off
	s_endpgm
.LBB73_2175:
	s_endpgm
.LBB73_2176:
	s_cbranch_execnz .LBB73_2180
; %bb.2177:
	s_or_b32 s9, s9, exec_lo
                                        ; implicit-def: $vgpr27
                                        ; implicit-def: $vgpr25
	s_cbranch_execz .LBB73_1646
	s_branch .LBB73_1647
.LBB73_2178:
	s_or_saveexec_b32 s4, s4
                                        ; implicit-def: $sgpr5
	s_delay_alu instid0(SALU_CYCLE_1)
	s_xor_b32 exec_lo, exec_lo, s4
	s_cbranch_execz .LBB73_1728
.LBB73_2179:
	v_add_f32_e64 v6, 0x46000000, |v5|
	s_and_not1_b32 s3, s3, exec_lo
	s_mov_b32 s5, 0
	s_delay_alu instid0(VALU_DEP_1) | instskip(NEXT) | instid1(VALU_DEP_1)
	v_and_b32_e32 v6, 0xff, v6
	v_cmp_ne_u32_e32 vcc_lo, 0, v6
	s_and_b32 s6, vcc_lo, exec_lo
	s_delay_alu instid0(SALU_CYCLE_1)
	s_or_b32 s3, s3, s6
	s_or_b32 exec_lo, exec_lo, s4
	v_mov_b32_e32 v7, s5
	s_and_saveexec_b32 s4, s3
	s_cbranch_execnz .LBB73_1729
	s_branch .LBB73_1730
.LBB73_2180:
	s_trap 2
	s_sendmsg_rtn_b32 s0, sendmsg(MSG_RTN_GET_DOORBELL)
	s_mov_b32 ttmp2, m0
	s_waitcnt lgkmcnt(0)
	s_and_b32 s0, s0, 0x3ff
	s_delay_alu instid0(SALU_CYCLE_1) | instskip(NEXT) | instid1(SALU_CYCLE_1)
	s_bitset1_b32 s0, 10
	s_mov_b32 m0, s0
	s_sendmsg sendmsg(MSG_INTERRUPT)
	s_mov_b32 m0, ttmp2
.LBB73_2181:                            ; =>This Inner Loop Header: Depth=1
	s_sethalt 5
	s_branch .LBB73_2181
.LBB73_2182:
	s_cbranch_execnz .LBB73_2188
; %bb.2183:
	s_or_b32 s9, s9, exec_lo
	s_cbranch_execz .LBB73_1776
	s_branch .LBB73_1777
.LBB73_2184:
	s_or_saveexec_b32 s3, s3
                                        ; implicit-def: $sgpr4
	s_delay_alu instid0(SALU_CYCLE_1)
	s_xor_b32 exec_lo, exec_lo, s3
	s_cbranch_execz .LBB73_1741
.LBB73_2185:
	v_add_f32_e64 v6, 0x42800000, |v5|
	s_and_not1_b32 s2, s2, exec_lo
	s_mov_b32 s4, 0
	s_delay_alu instid0(VALU_DEP_1) | instskip(NEXT) | instid1(VALU_DEP_1)
	v_and_b32_e32 v6, 0xff, v6
	v_cmp_ne_u32_e32 vcc_lo, 0, v6
	s_and_b32 s5, vcc_lo, exec_lo
	s_delay_alu instid0(SALU_CYCLE_1)
	s_or_b32 s2, s2, s5
	s_or_b32 exec_lo, exec_lo, s3
	v_mov_b32_e32 v7, s4
	s_and_saveexec_b32 s3, s2
	s_cbranch_execnz .LBB73_1742
	s_branch .LBB73_1743
.LBB73_2186:
	s_or_saveexec_b32 s4, s4
                                        ; implicit-def: $sgpr5
	s_delay_alu instid0(SALU_CYCLE_1)
	s_xor_b32 exec_lo, exec_lo, s4
	s_cbranch_execz .LBB73_1846
.LBB73_2187:
	v_add_f32_e64 v6, 0x46000000, |v3|
	s_and_not1_b32 s3, s3, exec_lo
	s_mov_b32 s5, 0
	s_delay_alu instid0(VALU_DEP_1) | instskip(NEXT) | instid1(VALU_DEP_1)
	v_and_b32_e32 v6, 0xff, v6
	v_cmp_ne_u32_e32 vcc_lo, 0, v6
	s_and_b32 s6, vcc_lo, exec_lo
	s_delay_alu instid0(SALU_CYCLE_1)
	s_or_b32 s3, s3, s6
	s_or_b32 exec_lo, exec_lo, s4
	v_mov_b32_e32 v7, s5
	s_and_saveexec_b32 s4, s3
	s_cbranch_execnz .LBB73_1847
	s_branch .LBB73_1848
.LBB73_2188:
	s_trap 2
	s_sendmsg_rtn_b32 s0, sendmsg(MSG_RTN_GET_DOORBELL)
	s_mov_b32 ttmp2, m0
	s_waitcnt lgkmcnt(0)
	s_and_b32 s0, s0, 0x3ff
	s_delay_alu instid0(SALU_CYCLE_1) | instskip(NEXT) | instid1(SALU_CYCLE_1)
	s_bitset1_b32 s0, 10
	s_mov_b32 m0, s0
	s_sendmsg sendmsg(MSG_INTERRUPT)
	s_mov_b32 m0, ttmp2
.LBB73_2189:                            ; =>This Inner Loop Header: Depth=1
	s_sethalt 5
	s_branch .LBB73_2189
.LBB73_2190:
	s_cbranch_execnz .LBB73_2196
; %bb.2191:
	s_or_b32 s9, s9, exec_lo
	s_cbranch_execz .LBB73_1894
	s_branch .LBB73_1895
.LBB73_2192:
	s_or_saveexec_b32 s3, s3
                                        ; implicit-def: $sgpr4
	s_delay_alu instid0(SALU_CYCLE_1)
	s_xor_b32 exec_lo, exec_lo, s3
	s_cbranch_execz .LBB73_1859
.LBB73_2193:
	v_add_f32_e64 v6, 0x42800000, |v3|
	s_and_not1_b32 s2, s2, exec_lo
	s_mov_b32 s4, 0
	s_delay_alu instid0(VALU_DEP_1) | instskip(NEXT) | instid1(VALU_DEP_1)
	v_and_b32_e32 v6, 0xff, v6
	v_cmp_ne_u32_e32 vcc_lo, 0, v6
	s_and_b32 s5, vcc_lo, exec_lo
	s_delay_alu instid0(SALU_CYCLE_1)
	s_or_b32 s2, s2, s5
	s_or_b32 exec_lo, exec_lo, s3
	v_mov_b32_e32 v7, s4
	s_and_saveexec_b32 s3, s2
	s_cbranch_execnz .LBB73_1860
	s_branch .LBB73_1861
.LBB73_2194:
	s_or_saveexec_b32 s4, s4
                                        ; implicit-def: $sgpr5
	s_delay_alu instid0(SALU_CYCLE_1)
	s_xor_b32 exec_lo, exec_lo, s4
	s_cbranch_execz .LBB73_1964
.LBB73_2195:
	v_add_f32_e64 v6, 0x46000000, |v3|
	s_and_not1_b32 s3, s3, exec_lo
	s_mov_b32 s5, 0
	s_delay_alu instid0(VALU_DEP_1) | instskip(NEXT) | instid1(VALU_DEP_1)
	v_and_b32_e32 v6, 0xff, v6
	v_cmp_ne_u32_e32 vcc_lo, 0, v6
	s_and_b32 s6, vcc_lo, exec_lo
	s_delay_alu instid0(SALU_CYCLE_1)
	s_or_b32 s3, s3, s6
	s_or_b32 exec_lo, exec_lo, s4
	v_mov_b32_e32 v7, s5
	s_and_saveexec_b32 s4, s3
	s_cbranch_execnz .LBB73_1965
	s_branch .LBB73_1966
.LBB73_2196:
	s_trap 2
	s_sendmsg_rtn_b32 s0, sendmsg(MSG_RTN_GET_DOORBELL)
	s_mov_b32 ttmp2, m0
	s_waitcnt lgkmcnt(0)
	s_and_b32 s0, s0, 0x3ff
	s_delay_alu instid0(SALU_CYCLE_1) | instskip(NEXT) | instid1(SALU_CYCLE_1)
	s_bitset1_b32 s0, 10
	s_mov_b32 m0, s0
	s_sendmsg sendmsg(MSG_INTERRUPT)
	s_mov_b32 m0, ttmp2
.LBB73_2197:                            ; =>This Inner Loop Header: Depth=1
	s_sethalt 5
	s_branch .LBB73_2197
.LBB73_2198:
	s_cbranch_execnz .LBB73_2204
; %bb.2199:
	s_or_b32 s9, s9, exec_lo
	s_cbranch_execz .LBB73_2012
	s_branch .LBB73_2013
.LBB73_2200:
	s_or_saveexec_b32 s3, s3
                                        ; implicit-def: $sgpr4
	s_delay_alu instid0(SALU_CYCLE_1)
	s_xor_b32 exec_lo, exec_lo, s3
	s_cbranch_execz .LBB73_1977
.LBB73_2201:
	v_add_f32_e64 v6, 0x42800000, |v3|
	s_and_not1_b32 s2, s2, exec_lo
	s_mov_b32 s4, 0
	s_delay_alu instid0(VALU_DEP_1) | instskip(NEXT) | instid1(VALU_DEP_1)
	v_and_b32_e32 v6, 0xff, v6
	v_cmp_ne_u32_e32 vcc_lo, 0, v6
	s_and_b32 s5, vcc_lo, exec_lo
	s_delay_alu instid0(SALU_CYCLE_1)
	s_or_b32 s2, s2, s5
	s_or_b32 exec_lo, exec_lo, s3
	v_mov_b32_e32 v7, s4
	s_and_saveexec_b32 s3, s2
	s_cbranch_execnz .LBB73_1978
	s_branch .LBB73_1979
.LBB73_2202:
	s_or_saveexec_b32 s4, s4
                                        ; implicit-def: $sgpr5
	s_delay_alu instid0(SALU_CYCLE_1)
	s_xor_b32 exec_lo, exec_lo, s4
	s_cbranch_execz .LBB73_2083
.LBB73_2203:
	v_add_f32_e64 v5, 0x46000000, |v4|
	s_and_not1_b32 s3, s3, exec_lo
	s_mov_b32 s5, 0
	s_delay_alu instid0(VALU_DEP_1) | instskip(NEXT) | instid1(VALU_DEP_1)
	v_and_b32_e32 v5, 0xff, v5
	v_cmp_ne_u32_e32 vcc_lo, 0, v5
	s_and_b32 s6, vcc_lo, exec_lo
	s_delay_alu instid0(SALU_CYCLE_1)
	s_or_b32 s3, s3, s6
	s_or_b32 exec_lo, exec_lo, s4
	v_mov_b32_e32 v6, s5
	s_and_saveexec_b32 s4, s3
	s_cbranch_execnz .LBB73_2084
	s_branch .LBB73_2085
.LBB73_2204:
	s_trap 2
	s_sendmsg_rtn_b32 s0, sendmsg(MSG_RTN_GET_DOORBELL)
	s_mov_b32 ttmp2, m0
	s_waitcnt lgkmcnt(0)
	s_and_b32 s0, s0, 0x3ff
	s_delay_alu instid0(SALU_CYCLE_1) | instskip(NEXT) | instid1(SALU_CYCLE_1)
	s_bitset1_b32 s0, 10
	s_mov_b32 m0, s0
	s_sendmsg sendmsg(MSG_INTERRUPT)
	s_mov_b32 m0, ttmp2
.LBB73_2205:                            ; =>This Inner Loop Header: Depth=1
	s_sethalt 5
	s_branch .LBB73_2205
.LBB73_2206:
	s_cbranch_execnz .LBB73_2210
; %bb.2207:
	s_mov_b32 s1, 0
	s_or_b32 s9, s9, exec_lo
	s_branch .LBB73_2129
.LBB73_2208:
	s_or_saveexec_b32 s3, s3
                                        ; implicit-def: $sgpr4
	s_delay_alu instid0(SALU_CYCLE_1)
	s_xor_b32 exec_lo, exec_lo, s3
	s_cbranch_execz .LBB73_2095
.LBB73_2209:
	v_add_f32_e64 v5, 0x42800000, |v4|
	s_and_not1_b32 s2, s2, exec_lo
	s_mov_b32 s4, 0
	s_delay_alu instid0(VALU_DEP_1) | instskip(NEXT) | instid1(VALU_DEP_1)
	v_and_b32_e32 v5, 0xff, v5
	v_cmp_ne_u32_e32 vcc_lo, 0, v5
	s_and_b32 s5, vcc_lo, exec_lo
	s_delay_alu instid0(SALU_CYCLE_1)
	s_or_b32 s2, s2, s5
	s_or_b32 exec_lo, exec_lo, s3
	v_mov_b32_e32 v6, s4
	s_and_saveexec_b32 s3, s2
	s_cbranch_execnz .LBB73_2096
	s_branch .LBB73_2097
.LBB73_2210:
	s_trap 2
	s_sendmsg_rtn_b32 s0, sendmsg(MSG_RTN_GET_DOORBELL)
	s_mov_b32 ttmp2, m0
	s_waitcnt lgkmcnt(0)
	s_and_b32 s0, s0, 0x3ff
	s_delay_alu instid0(SALU_CYCLE_1) | instskip(NEXT) | instid1(SALU_CYCLE_1)
	s_bitset1_b32 s0, 10
	s_mov_b32 m0, s0
	s_sendmsg sendmsg(MSG_INTERRUPT)
	s_mov_b32 m0, ttmp2
.LBB73_2211:                            ; =>This Inner Loop Header: Depth=1
	s_sethalt 5
	s_branch .LBB73_2211
	.section	.rodata,"a",@progbits
	.p2align	6, 0x0
	.amdhsa_kernel _ZN2at6native32elementwise_kernel_manual_unrollILi128ELi4EZNS0_15gpu_kernel_implIZZZNS0_15exp_kernel_cudaERNS_18TensorIteratorBaseEENKUlvE_clEvENKUlvE1_clEvEUlN3c107complexINS7_4HalfEEEE_EEvS4_RKT_EUlibE0_EEviT1_
		.amdhsa_group_segment_fixed_size 0
		.amdhsa_private_segment_fixed_size 0
		.amdhsa_kernarg_size 360
		.amdhsa_user_sgpr_count 15
		.amdhsa_user_sgpr_dispatch_ptr 0
		.amdhsa_user_sgpr_queue_ptr 0
		.amdhsa_user_sgpr_kernarg_segment_ptr 1
		.amdhsa_user_sgpr_dispatch_id 0
		.amdhsa_user_sgpr_private_segment_size 0
		.amdhsa_wavefront_size32 1
		.amdhsa_uses_dynamic_stack 0
		.amdhsa_enable_private_segment 0
		.amdhsa_system_sgpr_workgroup_id_x 1
		.amdhsa_system_sgpr_workgroup_id_y 0
		.amdhsa_system_sgpr_workgroup_id_z 0
		.amdhsa_system_sgpr_workgroup_info 0
		.amdhsa_system_vgpr_workitem_id 0
		.amdhsa_next_free_vgpr 28
		.amdhsa_next_free_sgpr 68
		.amdhsa_reserve_vcc 1
		.amdhsa_float_round_mode_32 0
		.amdhsa_float_round_mode_16_64 0
		.amdhsa_float_denorm_mode_32 3
		.amdhsa_float_denorm_mode_16_64 3
		.amdhsa_dx10_clamp 1
		.amdhsa_ieee_mode 1
		.amdhsa_fp16_overflow 0
		.amdhsa_workgroup_processor_mode 1
		.amdhsa_memory_ordered 1
		.amdhsa_forward_progress 0
		.amdhsa_shared_vgpr_count 0
		.amdhsa_exception_fp_ieee_invalid_op 0
		.amdhsa_exception_fp_denorm_src 0
		.amdhsa_exception_fp_ieee_div_zero 0
		.amdhsa_exception_fp_ieee_overflow 0
		.amdhsa_exception_fp_ieee_underflow 0
		.amdhsa_exception_fp_ieee_inexact 0
		.amdhsa_exception_int_div_zero 0
	.end_amdhsa_kernel
	.section	.text._ZN2at6native32elementwise_kernel_manual_unrollILi128ELi4EZNS0_15gpu_kernel_implIZZZNS0_15exp_kernel_cudaERNS_18TensorIteratorBaseEENKUlvE_clEvENKUlvE1_clEvEUlN3c107complexINS7_4HalfEEEE_EEvS4_RKT_EUlibE0_EEviT1_,"axG",@progbits,_ZN2at6native32elementwise_kernel_manual_unrollILi128ELi4EZNS0_15gpu_kernel_implIZZZNS0_15exp_kernel_cudaERNS_18TensorIteratorBaseEENKUlvE_clEvENKUlvE1_clEvEUlN3c107complexINS7_4HalfEEEE_EEvS4_RKT_EUlibE0_EEviT1_,comdat
.Lfunc_end73:
	.size	_ZN2at6native32elementwise_kernel_manual_unrollILi128ELi4EZNS0_15gpu_kernel_implIZZZNS0_15exp_kernel_cudaERNS_18TensorIteratorBaseEENKUlvE_clEvENKUlvE1_clEvEUlN3c107complexINS7_4HalfEEEE_EEvS4_RKT_EUlibE0_EEviT1_, .Lfunc_end73-_ZN2at6native32elementwise_kernel_manual_unrollILi128ELi4EZNS0_15gpu_kernel_implIZZZNS0_15exp_kernel_cudaERNS_18TensorIteratorBaseEENKUlvE_clEvENKUlvE1_clEvEUlN3c107complexINS7_4HalfEEEE_EEvS4_RKT_EUlibE0_EEviT1_
                                        ; -- End function
	.section	.AMDGPU.csdata,"",@progbits
; Kernel info:
; codeLenInByte = 42940
; NumSgprs: 70
; NumVgprs: 28
; ScratchSize: 0
; MemoryBound: 0
; FloatMode: 240
; IeeeMode: 1
; LDSByteSize: 0 bytes/workgroup (compile time only)
; SGPRBlocks: 8
; VGPRBlocks: 3
; NumSGPRsForWavesPerEU: 70
; NumVGPRsForWavesPerEU: 28
; Occupancy: 16
; WaveLimiterHint : 1
; COMPUTE_PGM_RSRC2:SCRATCH_EN: 0
; COMPUTE_PGM_RSRC2:USER_SGPR: 15
; COMPUTE_PGM_RSRC2:TRAP_HANDLER: 0
; COMPUTE_PGM_RSRC2:TGID_X_EN: 1
; COMPUTE_PGM_RSRC2:TGID_Y_EN: 0
; COMPUTE_PGM_RSRC2:TGID_Z_EN: 0
; COMPUTE_PGM_RSRC2:TIDIG_COMP_CNT: 0
	.section	.text._ZN2at6native29vectorized_elementwise_kernelILi16EZZZNS0_15exp_kernel_cudaERNS_18TensorIteratorBaseEENKUlvE0_clEvENKUlvE_clEvEUldE_St5arrayIPcLm2EEEEviT0_T1_,"axG",@progbits,_ZN2at6native29vectorized_elementwise_kernelILi16EZZZNS0_15exp_kernel_cudaERNS_18TensorIteratorBaseEENKUlvE0_clEvENKUlvE_clEvEUldE_St5arrayIPcLm2EEEEviT0_T1_,comdat
	.globl	_ZN2at6native29vectorized_elementwise_kernelILi16EZZZNS0_15exp_kernel_cudaERNS_18TensorIteratorBaseEENKUlvE0_clEvENKUlvE_clEvEUldE_St5arrayIPcLm2EEEEviT0_T1_ ; -- Begin function _ZN2at6native29vectorized_elementwise_kernelILi16EZZZNS0_15exp_kernel_cudaERNS_18TensorIteratorBaseEENKUlvE0_clEvENKUlvE_clEvEUldE_St5arrayIPcLm2EEEEviT0_T1_
	.p2align	8
	.type	_ZN2at6native29vectorized_elementwise_kernelILi16EZZZNS0_15exp_kernel_cudaERNS_18TensorIteratorBaseEENKUlvE0_clEvENKUlvE_clEvEUldE_St5arrayIPcLm2EEEEviT0_T1_,@function
_ZN2at6native29vectorized_elementwise_kernelILi16EZZZNS0_15exp_kernel_cudaERNS_18TensorIteratorBaseEENKUlvE0_clEvENKUlvE_clEvEUldE_St5arrayIPcLm2EEEEviT0_T1_: ; @_ZN2at6native29vectorized_elementwise_kernelILi16EZZZNS0_15exp_kernel_cudaERNS_18TensorIteratorBaseEENKUlvE0_clEvENKUlvE_clEvEUldE_St5arrayIPcLm2EEEEviT0_T1_
; %bb.0:
	s_clause 0x1
	s_load_b32 s2, s[0:1], 0x0
	s_load_b128 s[8:11], s[0:1], 0x8
	s_lshl_b32 s12, s15, 10
	s_mov_b32 s0, -1
	s_waitcnt lgkmcnt(0)
	s_sub_i32 s7, s2, s12
	s_delay_alu instid0(SALU_CYCLE_1)
	s_cmpk_gt_i32 s7, 0x3ff
	s_cbranch_scc0 .LBB74_2
; %bb.1:
	s_ashr_i32 s13, s12, 31
	v_lshlrev_b32_e32 v33, 5, v0
	s_lshl_b64 s[14:15], s[12:13], 3
	s_mov_b32 s2, 0x6a5dcb37
	s_add_u32 s0, s10, s14
	s_addc_u32 s1, s11, s15
	s_mov_b32 s3, 0x3e5ade15
	s_clause 0x1
	global_load_b128 v[1:4], v33, s[0:1]
	global_load_b128 v[5:8], v33, s[0:1] offset:16
	s_mov_b32 s0, 0x652b82fe
	s_mov_b32 s1, 0x3ff71547
	s_waitcnt vmcnt(1)
	v_mul_f64 v[9:10], v[1:2], s[0:1]
	v_mul_f64 v[11:12], v[3:4], s[0:1]
	s_waitcnt vmcnt(0)
	v_mul_f64 v[13:14], v[5:6], s[0:1]
	v_mul_f64 v[15:16], v[7:8], s[0:1]
	s_mov_b32 s0, 0xfefa39ef
	s_mov_b32 s1, 0xbfe62e42
	v_cmp_nlt_f64_e32 vcc_lo, 0x40900000, v[1:2]
	v_cmp_nlt_f64_e64 s5, 0x40900000, v[7:8]
	v_cmp_ngt_f64_e64 s4, 0xc090cc00, v[5:6]
	v_cmp_ngt_f64_e64 s6, 0xc090cc00, v[7:8]
	v_rndne_f64_e32 v[9:10], v[9:10]
	v_rndne_f64_e32 v[11:12], v[11:12]
	;; [unrolled: 1-line block ×4, first 2 shown]
	s_delay_alu instid0(VALU_DEP_4) | instskip(NEXT) | instid1(VALU_DEP_4)
	v_fma_f64 v[17:18], v[9:10], s[0:1], v[1:2]
	v_fma_f64 v[19:20], v[11:12], s[0:1], v[3:4]
	s_delay_alu instid0(VALU_DEP_4) | instskip(NEXT) | instid1(VALU_DEP_4)
	v_fma_f64 v[21:22], v[13:14], s[0:1], v[5:6]
	v_fma_f64 v[23:24], v[15:16], s[0:1], v[7:8]
	s_mov_b32 s0, 0x3b39803f
	s_mov_b32 s1, 0xbc7abc9e
	v_cvt_i32_f64_e32 v34, v[9:10]
	v_fma_f64 v[17:18], v[9:10], s[0:1], v[17:18]
	v_fma_f64 v[19:20], v[11:12], s[0:1], v[19:20]
	;; [unrolled: 1-line block ×4, first 2 shown]
	s_mov_b32 s0, 0xfca7ab0c
	s_mov_b32 s1, 0x3e928af3
	s_delay_alu instid0(VALU_DEP_4) | instid1(SALU_CYCLE_1)
	v_fma_f64 v[25:26], v[17:18], s[2:3], s[0:1]
	s_delay_alu instid0(VALU_DEP_4) | instskip(NEXT) | instid1(VALU_DEP_4)
	v_fma_f64 v[27:28], v[19:20], s[2:3], s[0:1]
	v_fma_f64 v[29:30], v[21:22], s[2:3], s[0:1]
	s_delay_alu instid0(VALU_DEP_4)
	v_fma_f64 v[31:32], v[23:24], s[2:3], s[0:1]
	s_mov_b32 s0, 0x623fde64
	s_mov_b32 s1, 0x3ec71dee
	v_cmp_nlt_f64_e64 s3, 0x40900000, v[5:6]
	v_cmp_ngt_f64_e64 s2, 0xc090cc00, v[3:4]
	v_fma_f64 v[25:26], v[17:18], v[25:26], s[0:1]
	v_fma_f64 v[27:28], v[19:20], v[27:28], s[0:1]
	;; [unrolled: 1-line block ×4, first 2 shown]
	s_mov_b32 s0, 0x7c89e6b0
	s_mov_b32 s1, 0x3efa0199
	s_delay_alu instid0(VALU_DEP_4) | instid1(SALU_CYCLE_1)
	v_fma_f64 v[25:26], v[17:18], v[25:26], s[0:1]
	s_delay_alu instid0(VALU_DEP_4) | instskip(NEXT) | instid1(VALU_DEP_4)
	v_fma_f64 v[27:28], v[19:20], v[27:28], s[0:1]
	v_fma_f64 v[29:30], v[21:22], v[29:30], s[0:1]
	s_delay_alu instid0(VALU_DEP_4)
	v_fma_f64 v[31:32], v[23:24], v[31:32], s[0:1]
	s_mov_b32 s0, 0x14761f6e
	s_mov_b32 s1, 0x3f2a01a0
	s_delay_alu instid0(VALU_DEP_4) | instid1(SALU_CYCLE_1)
	v_fma_f64 v[25:26], v[17:18], v[25:26], s[0:1]
	s_delay_alu instid0(VALU_DEP_4) | instskip(NEXT) | instid1(VALU_DEP_4)
	v_fma_f64 v[27:28], v[19:20], v[27:28], s[0:1]
	v_fma_f64 v[29:30], v[21:22], v[29:30], s[0:1]
	s_delay_alu instid0(VALU_DEP_4)
	v_fma_f64 v[31:32], v[23:24], v[31:32], s[0:1]
	;; [unrolled: 9-line block ×7, first 2 shown]
	v_cmp_nlt_f64_e64 s1, 0x40900000, v[3:4]
	v_cmp_ngt_f64_e64 s0, 0xc090cc00, v[1:2]
	v_fma_f64 v[25:26], v[17:18], v[25:26], 1.0
	v_fma_f64 v[27:28], v[19:20], v[27:28], 1.0
	;; [unrolled: 1-line block ×4, first 2 shown]
	s_delay_alu instid0(VALU_DEP_4)
	v_fma_f64 v[9:10], v[17:18], v[25:26], 1.0
	v_cvt_i32_f64_e32 v17, v[11:12]
	v_fma_f64 v[11:12], v[19:20], v[27:28], 1.0
	v_cvt_i32_f64_e32 v18, v[13:14]
	;; [unrolled: 2-line block ×3, first 2 shown]
	v_fma_f64 v[15:16], v[23:24], v[31:32], 1.0
	v_ldexp_f64 v[9:10], v[9:10], v34
	v_ldexp_f64 v[11:12], v[11:12], v17
	;; [unrolled: 1-line block ×3, first 2 shown]
	s_delay_alu instid0(VALU_DEP_4) | instskip(NEXT) | instid1(VALU_DEP_4)
	v_ldexp_f64 v[15:16], v[15:16], v19
	v_cndmask_b32_e32 v10, 0x7ff00000, v10, vcc_lo
	s_and_b32 vcc_lo, s0, vcc_lo
	s_delay_alu instid0(VALU_DEP_4) | instskip(NEXT) | instid1(VALU_DEP_4)
	v_cndmask_b32_e64 v1, 0x7ff00000, v12, s1
	v_cndmask_b32_e64 v3, 0x7ff00000, v14, s3
	s_delay_alu instid0(VALU_DEP_3) | instskip(SKIP_1) | instid1(VALU_DEP_4)
	v_cndmask_b32_e64 v2, 0, v10, s0
	v_cndmask_b32_e64 v5, 0x7ff00000, v16, s5
	;; [unrolled: 1-line block ×3, first 2 shown]
	v_cndmask_b32_e32 v1, 0, v9, vcc_lo
	s_and_b32 vcc_lo, s2, s1
	v_cndmask_b32_e64 v6, 0, v3, s4
	v_cndmask_b32_e32 v3, 0, v11, vcc_lo
	s_and_b32 vcc_lo, s4, s3
	v_cndmask_b32_e64 v8, 0, v5, s6
	v_cndmask_b32_e32 v5, 0, v13, vcc_lo
	s_and_b32 vcc_lo, s6, s5
	s_add_u32 s2, s8, s14
	v_cndmask_b32_e32 v7, 0, v15, vcc_lo
	s_addc_u32 s3, s9, s15
	s_mov_b32 s0, 0
	s_clause 0x1
	global_store_b128 v33, v[1:4], s[2:3]
	global_store_b128 v33, v[5:8], s[2:3] offset:16
.LBB74_2:
	s_and_not1_b32 vcc_lo, exec_lo, s0
	s_cbranch_vccnz .LBB74_20
; %bb.3:
	v_dual_mov_b32 v14, 0 :: v_dual_mov_b32 v1, v0
	v_mov_b32_e32 v15, 0
	v_cmp_gt_i32_e32 vcc_lo, s7, v0
	v_or_b32_e32 v9, s12, v0
	v_or_b32_e32 v18, 0x100, v0
	s_delay_alu instid0(VALU_DEP_4)
	v_dual_mov_b32 v17, v15 :: v_dual_mov_b32 v16, v14
	s_and_saveexec_b32 s1, vcc_lo
	s_cbranch_execz .LBB74_5
; %bb.4:
	v_mov_b32_e32 v10, 0
	s_delay_alu instid0(VALU_DEP_1) | instskip(NEXT) | instid1(VALU_DEP_1)
	v_lshlrev_b64 v[1:2], 3, v[9:10]
	v_add_co_u32 v1, s0, s10, v1
	s_delay_alu instid0(VALU_DEP_1)
	v_add_co_ci_u32_e64 v2, s0, s11, v2, s0
	global_load_b64 v[16:17], v[1:2], off
	v_or_b32_e32 v1, 0x100, v0
.LBB74_5:
	s_or_b32 exec_lo, exec_lo, s1
	s_delay_alu instid0(SALU_CYCLE_1) | instskip(NEXT) | instid1(VALU_DEP_1)
	s_mov_b32 s1, exec_lo
	v_cmpx_gt_i32_e64 s7, v1
	s_cbranch_execz .LBB74_7
; %bb.6:
	v_dual_mov_b32 v3, 0 :: v_dual_add_nc_u32 v2, s12, v1
	v_add_nc_u32_e32 v1, 0x100, v1
	s_delay_alu instid0(VALU_DEP_2) | instskip(NEXT) | instid1(VALU_DEP_1)
	v_lshlrev_b64 v[2:3], 3, v[2:3]
	v_add_co_u32 v2, s0, s10, v2
	s_delay_alu instid0(VALU_DEP_1)
	v_add_co_ci_u32_e64 v3, s0, s11, v3, s0
	global_load_b64 v[14:15], v[2:3], off
.LBB74_7:
	s_or_b32 exec_lo, exec_lo, s1
	v_mov_b32_e32 v10, 0
	v_mov_b32_e32 v11, 0
	s_mov_b32 s1, exec_lo
	s_delay_alu instid0(VALU_DEP_1)
	v_dual_mov_b32 v13, v11 :: v_dual_mov_b32 v12, v10
	v_cmpx_gt_i32_e64 s7, v1
	s_cbranch_execnz .LBB74_21
; %bb.8:
	s_or_b32 exec_lo, exec_lo, s1
	s_delay_alu instid0(SALU_CYCLE_1)
	s_mov_b32 s1, exec_lo
	v_cmpx_gt_i32_e64 s7, v1
	s_cbranch_execnz .LBB74_22
.LBB74_9:
	s_or_b32 exec_lo, exec_lo, s1
                                        ; implicit-def: $vgpr1_vgpr2_vgpr3_vgpr4_vgpr5_vgpr6_vgpr7_vgpr8
	s_and_saveexec_b32 s2, vcc_lo
	s_cbranch_execnz .LBB74_23
.LBB74_10:
	s_or_b32 exec_lo, exec_lo, s2
	s_delay_alu instid0(SALU_CYCLE_1)
	s_mov_b32 s2, exec_lo
	v_cmpx_gt_i32_e64 s7, v18
	s_cbranch_execz .LBB74_12
.LBB74_11:
	s_mov_b32 s0, 0x652b82fe
	s_mov_b32 s1, 0x3ff71547
	;; [unrolled: 1-line block ×3, first 2 shown]
	s_waitcnt vmcnt(0)
	v_mul_f64 v[3:4], v[14:15], s[0:1]
	s_mov_b32 s0, 0xfefa39ef
	s_mov_b32 s1, 0xbfe62e42
	;; [unrolled: 1-line block ×3, first 2 shown]
	s_delay_alu instid0(VALU_DEP_1) | instskip(NEXT) | instid1(VALU_DEP_1)
	v_rndne_f64_e32 v[3:4], v[3:4]
	v_fma_f64 v[16:17], v[3:4], s[0:1], v[14:15]
	s_mov_b32 s0, 0x3b39803f
	s_mov_b32 s1, 0xbc7abc9e
	v_cvt_i32_f64_e32 v21, v[3:4]
	s_delay_alu instid0(VALU_DEP_2)
	v_fma_f64 v[16:17], v[3:4], s[0:1], v[16:17]
	s_mov_b32 s0, 0xfca7ab0c
	s_mov_b32 s1, 0x3e928af3
	s_delay_alu instid0(VALU_DEP_1) | instid1(SALU_CYCLE_1)
	v_fma_f64 v[19:20], v[16:17], s[4:5], s[0:1]
	s_mov_b32 s0, 0x623fde64
	s_mov_b32 s1, 0x3ec71dee
	s_delay_alu instid0(VALU_DEP_1) | instid1(SALU_CYCLE_1)
	;; [unrolled: 4-line block ×9, first 2 shown]
	v_fma_f64 v[19:20], v[16:17], v[19:20], s[0:1]
	v_cmp_nlt_f64_e64 s0, 0x40900000, v[14:15]
	v_cmp_ngt_f64_e64 s1, 0xc090cc00, v[14:15]
	s_delay_alu instid0(VALU_DEP_3) | instskip(NEXT) | instid1(VALU_DEP_1)
	v_fma_f64 v[19:20], v[16:17], v[19:20], 1.0
	v_fma_f64 v[3:4], v[16:17], v[19:20], 1.0
	s_delay_alu instid0(VALU_DEP_1) | instskip(NEXT) | instid1(VALU_DEP_1)
	v_ldexp_f64 v[3:4], v[3:4], v21
	v_cndmask_b32_e64 v4, 0x7ff00000, v4, s0
	s_and_b32 s0, s1, s0
	s_delay_alu instid0(VALU_DEP_2) | instid1(SALU_CYCLE_1)
	v_cndmask_b32_e64 v3, 0, v3, s0
	s_delay_alu instid0(VALU_DEP_2)
	v_cndmask_b32_e64 v4, 0, v4, s1
.LBB74_12:
	s_or_b32 exec_lo, exec_lo, s2
	s_waitcnt vmcnt(0)
	v_or_b32_e32 v14, 0x200, v0
	s_mov_b32 s2, exec_lo
	s_delay_alu instid0(VALU_DEP_1)
	v_cmpx_gt_i32_e64 s7, v14
	s_cbranch_execz .LBB74_14
; %bb.13:
	s_mov_b32 s0, 0x652b82fe
	s_mov_b32 s1, 0x3ff71547
	;; [unrolled: 1-line block ×3, first 2 shown]
	v_mul_f64 v[5:6], v[12:13], s[0:1]
	s_mov_b32 s0, 0xfefa39ef
	s_mov_b32 s1, 0xbfe62e42
	;; [unrolled: 1-line block ×3, first 2 shown]
	s_delay_alu instid0(VALU_DEP_1) | instskip(NEXT) | instid1(VALU_DEP_1)
	v_rndne_f64_e32 v[5:6], v[5:6]
	v_fma_f64 v[14:15], v[5:6], s[0:1], v[12:13]
	s_mov_b32 s0, 0x3b39803f
	s_mov_b32 s1, 0xbc7abc9e
	v_cvt_i32_f64_e32 v19, v[5:6]
	s_delay_alu instid0(VALU_DEP_2)
	v_fma_f64 v[14:15], v[5:6], s[0:1], v[14:15]
	s_mov_b32 s0, 0xfca7ab0c
	s_mov_b32 s1, 0x3e928af3
	s_delay_alu instid0(VALU_DEP_1) | instid1(SALU_CYCLE_1)
	v_fma_f64 v[16:17], v[14:15], s[4:5], s[0:1]
	s_mov_b32 s0, 0x623fde64
	s_mov_b32 s1, 0x3ec71dee
	s_delay_alu instid0(VALU_DEP_1) | instid1(SALU_CYCLE_1)
	;; [unrolled: 4-line block ×9, first 2 shown]
	v_fma_f64 v[16:17], v[14:15], v[16:17], s[0:1]
	v_cmp_nlt_f64_e64 s0, 0x40900000, v[12:13]
	v_cmp_ngt_f64_e64 s1, 0xc090cc00, v[12:13]
	s_delay_alu instid0(VALU_DEP_3) | instskip(NEXT) | instid1(VALU_DEP_1)
	v_fma_f64 v[16:17], v[14:15], v[16:17], 1.0
	v_fma_f64 v[5:6], v[14:15], v[16:17], 1.0
	s_delay_alu instid0(VALU_DEP_1) | instskip(NEXT) | instid1(VALU_DEP_1)
	v_ldexp_f64 v[5:6], v[5:6], v19
	v_cndmask_b32_e64 v6, 0x7ff00000, v6, s0
	s_and_b32 s0, s1, s0
	s_delay_alu instid0(VALU_DEP_2) | instid1(SALU_CYCLE_1)
	v_cndmask_b32_e64 v5, 0, v5, s0
	s_delay_alu instid0(VALU_DEP_2)
	v_cndmask_b32_e64 v6, 0, v6, s1
.LBB74_14:
	s_or_b32 exec_lo, exec_lo, s2
	v_or_b32_e32 v12, 0x300, v0
	s_mov_b32 s2, exec_lo
	s_delay_alu instid0(VALU_DEP_1)
	v_cmpx_gt_i32_e64 s7, v12
	s_cbranch_execnz .LBB74_24
; %bb.15:
	s_or_b32 exec_lo, exec_lo, s2
	s_and_saveexec_b32 s0, vcc_lo
	s_delay_alu instid0(SALU_CYCLE_1)
	s_xor_b32 s0, exec_lo, s0
	s_cbranch_execnz .LBB74_25
.LBB74_16:
	s_or_b32 exec_lo, exec_lo, s0
	s_delay_alu instid0(SALU_CYCLE_1)
	s_mov_b32 s0, exec_lo
	v_cmpx_gt_i32_e64 s7, v0
	s_cbranch_execnz .LBB74_26
.LBB74_17:
	s_or_b32 exec_lo, exec_lo, s0
	s_delay_alu instid0(SALU_CYCLE_1)
	s_mov_b32 s0, exec_lo
	v_cmpx_gt_i32_e64 s7, v0
	s_cbranch_execnz .LBB74_27
.LBB74_18:
	s_or_b32 exec_lo, exec_lo, s0
	s_delay_alu instid0(SALU_CYCLE_1)
	s_mov_b32 s0, exec_lo
	v_cmpx_gt_i32_e64 s7, v0
	s_cbranch_execz .LBB74_20
.LBB74_19:
	v_dual_mov_b32 v1, 0 :: v_dual_add_nc_u32 v0, s12, v0
	s_delay_alu instid0(VALU_DEP_1) | instskip(NEXT) | instid1(VALU_DEP_1)
	v_lshlrev_b64 v[0:1], 3, v[0:1]
	v_add_co_u32 v0, vcc_lo, s8, v0
	s_delay_alu instid0(VALU_DEP_2)
	v_add_co_ci_u32_e32 v1, vcc_lo, s9, v1, vcc_lo
	global_store_b64 v[0:1], v[7:8], off
.LBB74_20:
	s_nop 0
	s_sendmsg sendmsg(MSG_DEALLOC_VGPRS)
	s_endpgm
.LBB74_21:
	v_dual_mov_b32 v3, 0 :: v_dual_add_nc_u32 v2, s12, v1
	v_add_nc_u32_e32 v1, 0x100, v1
	s_delay_alu instid0(VALU_DEP_2) | instskip(NEXT) | instid1(VALU_DEP_1)
	v_lshlrev_b64 v[2:3], 3, v[2:3]
	v_add_co_u32 v2, s0, s10, v2
	s_delay_alu instid0(VALU_DEP_1) | instskip(SKIP_2) | instid1(SALU_CYCLE_1)
	v_add_co_ci_u32_e64 v3, s0, s11, v3, s0
	global_load_b64 v[12:13], v[2:3], off
	s_or_b32 exec_lo, exec_lo, s1
	s_mov_b32 s1, exec_lo
	v_cmpx_gt_i32_e64 s7, v1
	s_cbranch_execz .LBB74_9
.LBB74_22:
	v_dual_mov_b32 v2, 0 :: v_dual_add_nc_u32 v1, s12, v1
	s_delay_alu instid0(VALU_DEP_1) | instskip(NEXT) | instid1(VALU_DEP_1)
	v_lshlrev_b64 v[1:2], 3, v[1:2]
	v_add_co_u32 v1, s0, s10, v1
	s_delay_alu instid0(VALU_DEP_1)
	v_add_co_ci_u32_e64 v2, s0, s11, v2, s0
	global_load_b64 v[10:11], v[1:2], off
	s_or_b32 exec_lo, exec_lo, s1
                                        ; implicit-def: $vgpr1_vgpr2_vgpr3_vgpr4_vgpr5_vgpr6_vgpr7_vgpr8
	s_and_saveexec_b32 s2, vcc_lo
	s_cbranch_execz .LBB74_10
.LBB74_23:
	s_mov_b32 s0, 0x652b82fe
	s_mov_b32 s1, 0x3ff71547
	;; [unrolled: 1-line block ×3, first 2 shown]
	s_waitcnt vmcnt(0)
	v_mul_f64 v[1:2], v[16:17], s[0:1]
	s_mov_b32 s0, 0xfefa39ef
	s_mov_b32 s1, 0xbfe62e42
	;; [unrolled: 1-line block ×3, first 2 shown]
	s_delay_alu instid0(VALU_DEP_1) | instskip(NEXT) | instid1(VALU_DEP_1)
	v_rndne_f64_e32 v[1:2], v[1:2]
	v_fma_f64 v[3:4], v[1:2], s[0:1], v[16:17]
	s_mov_b32 s0, 0x3b39803f
	s_mov_b32 s1, 0xbc7abc9e
	v_cvt_i32_f64_e32 v7, v[1:2]
	s_delay_alu instid0(VALU_DEP_2)
	v_fma_f64 v[3:4], v[1:2], s[0:1], v[3:4]
	s_mov_b32 s0, 0xfca7ab0c
	s_mov_b32 s1, 0x3e928af3
	s_delay_alu instid0(VALU_DEP_1) | instid1(SALU_CYCLE_1)
	v_fma_f64 v[5:6], v[3:4], s[4:5], s[0:1]
	s_mov_b32 s0, 0x623fde64
	s_mov_b32 s1, 0x3ec71dee
	s_delay_alu instid0(VALU_DEP_1) | instid1(SALU_CYCLE_1)
	;; [unrolled: 4-line block ×9, first 2 shown]
	v_fma_f64 v[5:6], v[3:4], v[5:6], s[0:1]
	v_cmp_nlt_f64_e64 s0, 0x40900000, v[16:17]
	v_cmp_ngt_f64_e64 s1, 0xc090cc00, v[16:17]
	s_delay_alu instid0(VALU_DEP_3) | instskip(NEXT) | instid1(VALU_DEP_1)
	v_fma_f64 v[5:6], v[3:4], v[5:6], 1.0
	v_fma_f64 v[1:2], v[3:4], v[5:6], 1.0
	s_delay_alu instid0(VALU_DEP_1) | instskip(NEXT) | instid1(VALU_DEP_1)
	v_ldexp_f64 v[1:2], v[1:2], v7
	v_cndmask_b32_e64 v2, 0x7ff00000, v2, s0
	s_and_b32 s0, s1, s0
	s_delay_alu instid0(VALU_DEP_2) | instid1(SALU_CYCLE_1)
	v_cndmask_b32_e64 v1, 0, v1, s0
	s_delay_alu instid0(VALU_DEP_2) | instskip(SKIP_1) | instid1(SALU_CYCLE_1)
	v_cndmask_b32_e64 v2, 0, v2, s1
	s_or_b32 exec_lo, exec_lo, s2
	s_mov_b32 s2, exec_lo
	v_cmpx_gt_i32_e64 s7, v18
	s_cbranch_execnz .LBB74_11
	s_branch .LBB74_12
.LBB74_24:
	s_mov_b32 s0, 0x652b82fe
	s_mov_b32 s1, 0x3ff71547
	;; [unrolled: 1-line block ×3, first 2 shown]
	v_mul_f64 v[7:8], v[10:11], s[0:1]
	s_mov_b32 s0, 0xfefa39ef
	s_mov_b32 s1, 0xbfe62e42
	;; [unrolled: 1-line block ×3, first 2 shown]
	s_delay_alu instid0(VALU_DEP_1) | instskip(NEXT) | instid1(VALU_DEP_1)
	v_rndne_f64_e32 v[7:8], v[7:8]
	v_fma_f64 v[12:13], v[7:8], s[0:1], v[10:11]
	s_mov_b32 s0, 0x3b39803f
	s_mov_b32 s1, 0xbc7abc9e
	v_cvt_i32_f64_e32 v16, v[7:8]
	s_delay_alu instid0(VALU_DEP_2)
	v_fma_f64 v[12:13], v[7:8], s[0:1], v[12:13]
	s_mov_b32 s0, 0xfca7ab0c
	s_mov_b32 s1, 0x3e928af3
	s_delay_alu instid0(VALU_DEP_1) | instid1(SALU_CYCLE_1)
	v_fma_f64 v[14:15], v[12:13], s[4:5], s[0:1]
	s_mov_b32 s0, 0x623fde64
	s_mov_b32 s1, 0x3ec71dee
	s_delay_alu instid0(VALU_DEP_1) | instid1(SALU_CYCLE_1)
	;; [unrolled: 4-line block ×9, first 2 shown]
	v_fma_f64 v[14:15], v[12:13], v[14:15], s[0:1]
	v_cmp_nlt_f64_e64 s0, 0x40900000, v[10:11]
	v_cmp_ngt_f64_e64 s1, 0xc090cc00, v[10:11]
	s_delay_alu instid0(VALU_DEP_3) | instskip(NEXT) | instid1(VALU_DEP_1)
	v_fma_f64 v[14:15], v[12:13], v[14:15], 1.0
	v_fma_f64 v[7:8], v[12:13], v[14:15], 1.0
	s_delay_alu instid0(VALU_DEP_1) | instskip(NEXT) | instid1(VALU_DEP_1)
	v_ldexp_f64 v[7:8], v[7:8], v16
	v_cndmask_b32_e64 v8, 0x7ff00000, v8, s0
	s_and_b32 s0, s1, s0
	s_delay_alu instid0(VALU_DEP_2) | instid1(SALU_CYCLE_1)
	v_cndmask_b32_e64 v7, 0, v7, s0
	s_delay_alu instid0(VALU_DEP_2) | instskip(SKIP_2) | instid1(SALU_CYCLE_1)
	v_cndmask_b32_e64 v8, 0, v8, s1
	s_or_b32 exec_lo, exec_lo, s2
	s_and_saveexec_b32 s0, vcc_lo
	s_xor_b32 s0, exec_lo, s0
	s_cbranch_execz .LBB74_16
.LBB74_25:
	v_mov_b32_e32 v10, 0
	v_mov_b32_e32 v0, v18
	s_delay_alu instid0(VALU_DEP_2) | instskip(NEXT) | instid1(VALU_DEP_1)
	v_lshlrev_b64 v[9:10], 3, v[9:10]
	v_add_co_u32 v9, vcc_lo, s8, v9
	s_delay_alu instid0(VALU_DEP_2) | instskip(SKIP_2) | instid1(SALU_CYCLE_1)
	v_add_co_ci_u32_e32 v10, vcc_lo, s9, v10, vcc_lo
	global_store_b64 v[9:10], v[1:2], off
	s_or_b32 exec_lo, exec_lo, s0
	s_mov_b32 s0, exec_lo
	v_cmpx_gt_i32_e64 s7, v0
	s_cbranch_execz .LBB74_17
.LBB74_26:
	v_dual_mov_b32 v2, 0 :: v_dual_add_nc_u32 v1, s12, v0
	v_add_nc_u32_e32 v0, 0x100, v0
	s_delay_alu instid0(VALU_DEP_2) | instskip(NEXT) | instid1(VALU_DEP_1)
	v_lshlrev_b64 v[1:2], 3, v[1:2]
	v_add_co_u32 v1, vcc_lo, s8, v1
	s_delay_alu instid0(VALU_DEP_2) | instskip(SKIP_2) | instid1(SALU_CYCLE_1)
	v_add_co_ci_u32_e32 v2, vcc_lo, s9, v2, vcc_lo
	global_store_b64 v[1:2], v[3:4], off
	s_or_b32 exec_lo, exec_lo, s0
	s_mov_b32 s0, exec_lo
	v_cmpx_gt_i32_e64 s7, v0
	s_cbranch_execz .LBB74_18
.LBB74_27:
	v_dual_mov_b32 v2, 0 :: v_dual_add_nc_u32 v1, s12, v0
	v_add_nc_u32_e32 v0, 0x100, v0
	s_delay_alu instid0(VALU_DEP_2) | instskip(NEXT) | instid1(VALU_DEP_1)
	v_lshlrev_b64 v[1:2], 3, v[1:2]
	v_add_co_u32 v1, vcc_lo, s8, v1
	s_delay_alu instid0(VALU_DEP_2) | instskip(SKIP_2) | instid1(SALU_CYCLE_1)
	v_add_co_ci_u32_e32 v2, vcc_lo, s9, v2, vcc_lo
	global_store_b64 v[1:2], v[5:6], off
	s_or_b32 exec_lo, exec_lo, s0
	s_mov_b32 s0, exec_lo
	v_cmpx_gt_i32_e64 s7, v0
	s_cbranch_execnz .LBB74_19
	s_branch .LBB74_20
	.section	.rodata,"a",@progbits
	.p2align	6, 0x0
	.amdhsa_kernel _ZN2at6native29vectorized_elementwise_kernelILi16EZZZNS0_15exp_kernel_cudaERNS_18TensorIteratorBaseEENKUlvE0_clEvENKUlvE_clEvEUldE_St5arrayIPcLm2EEEEviT0_T1_
		.amdhsa_group_segment_fixed_size 0
		.amdhsa_private_segment_fixed_size 0
		.amdhsa_kernarg_size 24
		.amdhsa_user_sgpr_count 15
		.amdhsa_user_sgpr_dispatch_ptr 0
		.amdhsa_user_sgpr_queue_ptr 0
		.amdhsa_user_sgpr_kernarg_segment_ptr 1
		.amdhsa_user_sgpr_dispatch_id 0
		.amdhsa_user_sgpr_private_segment_size 0
		.amdhsa_wavefront_size32 1
		.amdhsa_uses_dynamic_stack 0
		.amdhsa_enable_private_segment 0
		.amdhsa_system_sgpr_workgroup_id_x 1
		.amdhsa_system_sgpr_workgroup_id_y 0
		.amdhsa_system_sgpr_workgroup_id_z 0
		.amdhsa_system_sgpr_workgroup_info 0
		.amdhsa_system_vgpr_workitem_id 0
		.amdhsa_next_free_vgpr 35
		.amdhsa_next_free_sgpr 16
		.amdhsa_reserve_vcc 1
		.amdhsa_float_round_mode_32 0
		.amdhsa_float_round_mode_16_64 0
		.amdhsa_float_denorm_mode_32 3
		.amdhsa_float_denorm_mode_16_64 3
		.amdhsa_dx10_clamp 1
		.amdhsa_ieee_mode 1
		.amdhsa_fp16_overflow 0
		.amdhsa_workgroup_processor_mode 1
		.amdhsa_memory_ordered 1
		.amdhsa_forward_progress 0
		.amdhsa_shared_vgpr_count 0
		.amdhsa_exception_fp_ieee_invalid_op 0
		.amdhsa_exception_fp_denorm_src 0
		.amdhsa_exception_fp_ieee_div_zero 0
		.amdhsa_exception_fp_ieee_overflow 0
		.amdhsa_exception_fp_ieee_underflow 0
		.amdhsa_exception_fp_ieee_inexact 0
		.amdhsa_exception_int_div_zero 0
	.end_amdhsa_kernel
	.section	.text._ZN2at6native29vectorized_elementwise_kernelILi16EZZZNS0_15exp_kernel_cudaERNS_18TensorIteratorBaseEENKUlvE0_clEvENKUlvE_clEvEUldE_St5arrayIPcLm2EEEEviT0_T1_,"axG",@progbits,_ZN2at6native29vectorized_elementwise_kernelILi16EZZZNS0_15exp_kernel_cudaERNS_18TensorIteratorBaseEENKUlvE0_clEvENKUlvE_clEvEUldE_St5arrayIPcLm2EEEEviT0_T1_,comdat
.Lfunc_end74:
	.size	_ZN2at6native29vectorized_elementwise_kernelILi16EZZZNS0_15exp_kernel_cudaERNS_18TensorIteratorBaseEENKUlvE0_clEvENKUlvE_clEvEUldE_St5arrayIPcLm2EEEEviT0_T1_, .Lfunc_end74-_ZN2at6native29vectorized_elementwise_kernelILi16EZZZNS0_15exp_kernel_cudaERNS_18TensorIteratorBaseEENKUlvE0_clEvENKUlvE_clEvEUldE_St5arrayIPcLm2EEEEviT0_T1_
                                        ; -- End function
	.section	.AMDGPU.csdata,"",@progbits
; Kernel info:
; codeLenInByte = 3856
; NumSgprs: 18
; NumVgprs: 35
; ScratchSize: 0
; MemoryBound: 0
; FloatMode: 240
; IeeeMode: 1
; LDSByteSize: 0 bytes/workgroup (compile time only)
; SGPRBlocks: 2
; VGPRBlocks: 4
; NumSGPRsForWavesPerEU: 18
; NumVGPRsForWavesPerEU: 35
; Occupancy: 16
; WaveLimiterHint : 0
; COMPUTE_PGM_RSRC2:SCRATCH_EN: 0
; COMPUTE_PGM_RSRC2:USER_SGPR: 15
; COMPUTE_PGM_RSRC2:TRAP_HANDLER: 0
; COMPUTE_PGM_RSRC2:TGID_X_EN: 1
; COMPUTE_PGM_RSRC2:TGID_Y_EN: 0
; COMPUTE_PGM_RSRC2:TGID_Z_EN: 0
; COMPUTE_PGM_RSRC2:TIDIG_COMP_CNT: 0
	.section	.text._ZN2at6native29vectorized_elementwise_kernelILi8EZZZNS0_15exp_kernel_cudaERNS_18TensorIteratorBaseEENKUlvE0_clEvENKUlvE_clEvEUldE_St5arrayIPcLm2EEEEviT0_T1_,"axG",@progbits,_ZN2at6native29vectorized_elementwise_kernelILi8EZZZNS0_15exp_kernel_cudaERNS_18TensorIteratorBaseEENKUlvE0_clEvENKUlvE_clEvEUldE_St5arrayIPcLm2EEEEviT0_T1_,comdat
	.globl	_ZN2at6native29vectorized_elementwise_kernelILi8EZZZNS0_15exp_kernel_cudaERNS_18TensorIteratorBaseEENKUlvE0_clEvENKUlvE_clEvEUldE_St5arrayIPcLm2EEEEviT0_T1_ ; -- Begin function _ZN2at6native29vectorized_elementwise_kernelILi8EZZZNS0_15exp_kernel_cudaERNS_18TensorIteratorBaseEENKUlvE0_clEvENKUlvE_clEvEUldE_St5arrayIPcLm2EEEEviT0_T1_
	.p2align	8
	.type	_ZN2at6native29vectorized_elementwise_kernelILi8EZZZNS0_15exp_kernel_cudaERNS_18TensorIteratorBaseEENKUlvE0_clEvENKUlvE_clEvEUldE_St5arrayIPcLm2EEEEviT0_T1_,@function
_ZN2at6native29vectorized_elementwise_kernelILi8EZZZNS0_15exp_kernel_cudaERNS_18TensorIteratorBaseEENKUlvE0_clEvENKUlvE_clEvEUldE_St5arrayIPcLm2EEEEviT0_T1_: ; @_ZN2at6native29vectorized_elementwise_kernelILi8EZZZNS0_15exp_kernel_cudaERNS_18TensorIteratorBaseEENKUlvE0_clEvENKUlvE_clEvEUldE_St5arrayIPcLm2EEEEviT0_T1_
; %bb.0:
	s_clause 0x1
	s_load_b32 s2, s[0:1], 0x0
	s_load_b128 s[8:11], s[0:1], 0x8
	s_lshl_b32 s12, s15, 10
	s_mov_b32 s0, -1
	s_waitcnt lgkmcnt(0)
	s_sub_i32 s7, s2, s12
	s_delay_alu instid0(SALU_CYCLE_1)
	s_cmpk_gt_i32 s7, 0x3ff
	s_cbranch_scc0 .LBB75_2
; %bb.1:
	s_ashr_i32 s13, s12, 31
	v_lshlrev_b32_e32 v33, 5, v0
	s_lshl_b64 s[14:15], s[12:13], 3
	s_mov_b32 s2, 0x6a5dcb37
	s_add_u32 s0, s10, s14
	s_addc_u32 s1, s11, s15
	s_mov_b32 s3, 0x3e5ade15
	s_clause 0x1
	global_load_b128 v[1:4], v33, s[0:1]
	global_load_b128 v[5:8], v33, s[0:1] offset:16
	s_mov_b32 s0, 0x652b82fe
	s_mov_b32 s1, 0x3ff71547
	s_waitcnt vmcnt(1)
	v_mul_f64 v[9:10], v[1:2], s[0:1]
	v_mul_f64 v[11:12], v[3:4], s[0:1]
	s_waitcnt vmcnt(0)
	v_mul_f64 v[13:14], v[5:6], s[0:1]
	v_mul_f64 v[15:16], v[7:8], s[0:1]
	s_mov_b32 s0, 0xfefa39ef
	s_mov_b32 s1, 0xbfe62e42
	v_cmp_nlt_f64_e32 vcc_lo, 0x40900000, v[1:2]
	v_cmp_nlt_f64_e64 s5, 0x40900000, v[7:8]
	v_cmp_ngt_f64_e64 s4, 0xc090cc00, v[5:6]
	v_cmp_ngt_f64_e64 s6, 0xc090cc00, v[7:8]
	v_rndne_f64_e32 v[9:10], v[9:10]
	v_rndne_f64_e32 v[11:12], v[11:12]
	;; [unrolled: 1-line block ×4, first 2 shown]
	s_delay_alu instid0(VALU_DEP_4) | instskip(NEXT) | instid1(VALU_DEP_4)
	v_fma_f64 v[17:18], v[9:10], s[0:1], v[1:2]
	v_fma_f64 v[19:20], v[11:12], s[0:1], v[3:4]
	s_delay_alu instid0(VALU_DEP_4) | instskip(NEXT) | instid1(VALU_DEP_4)
	v_fma_f64 v[21:22], v[13:14], s[0:1], v[5:6]
	v_fma_f64 v[23:24], v[15:16], s[0:1], v[7:8]
	s_mov_b32 s0, 0x3b39803f
	s_mov_b32 s1, 0xbc7abc9e
	v_cvt_i32_f64_e32 v34, v[9:10]
	v_fma_f64 v[17:18], v[9:10], s[0:1], v[17:18]
	v_fma_f64 v[19:20], v[11:12], s[0:1], v[19:20]
	;; [unrolled: 1-line block ×4, first 2 shown]
	s_mov_b32 s0, 0xfca7ab0c
	s_mov_b32 s1, 0x3e928af3
	s_delay_alu instid0(VALU_DEP_4) | instid1(SALU_CYCLE_1)
	v_fma_f64 v[25:26], v[17:18], s[2:3], s[0:1]
	s_delay_alu instid0(VALU_DEP_4) | instskip(NEXT) | instid1(VALU_DEP_4)
	v_fma_f64 v[27:28], v[19:20], s[2:3], s[0:1]
	v_fma_f64 v[29:30], v[21:22], s[2:3], s[0:1]
	s_delay_alu instid0(VALU_DEP_4)
	v_fma_f64 v[31:32], v[23:24], s[2:3], s[0:1]
	s_mov_b32 s0, 0x623fde64
	s_mov_b32 s1, 0x3ec71dee
	v_cmp_nlt_f64_e64 s3, 0x40900000, v[5:6]
	v_cmp_ngt_f64_e64 s2, 0xc090cc00, v[3:4]
	v_fma_f64 v[25:26], v[17:18], v[25:26], s[0:1]
	v_fma_f64 v[27:28], v[19:20], v[27:28], s[0:1]
	v_fma_f64 v[29:30], v[21:22], v[29:30], s[0:1]
	v_fma_f64 v[31:32], v[23:24], v[31:32], s[0:1]
	s_mov_b32 s0, 0x7c89e6b0
	s_mov_b32 s1, 0x3efa0199
	s_delay_alu instid0(VALU_DEP_4) | instid1(SALU_CYCLE_1)
	v_fma_f64 v[25:26], v[17:18], v[25:26], s[0:1]
	s_delay_alu instid0(VALU_DEP_4) | instskip(NEXT) | instid1(VALU_DEP_4)
	v_fma_f64 v[27:28], v[19:20], v[27:28], s[0:1]
	v_fma_f64 v[29:30], v[21:22], v[29:30], s[0:1]
	s_delay_alu instid0(VALU_DEP_4)
	v_fma_f64 v[31:32], v[23:24], v[31:32], s[0:1]
	s_mov_b32 s0, 0x14761f6e
	s_mov_b32 s1, 0x3f2a01a0
	s_delay_alu instid0(VALU_DEP_4) | instid1(SALU_CYCLE_1)
	v_fma_f64 v[25:26], v[17:18], v[25:26], s[0:1]
	s_delay_alu instid0(VALU_DEP_4) | instskip(NEXT) | instid1(VALU_DEP_4)
	v_fma_f64 v[27:28], v[19:20], v[27:28], s[0:1]
	v_fma_f64 v[29:30], v[21:22], v[29:30], s[0:1]
	s_delay_alu instid0(VALU_DEP_4)
	v_fma_f64 v[31:32], v[23:24], v[31:32], s[0:1]
	;; [unrolled: 9-line block ×7, first 2 shown]
	v_cmp_nlt_f64_e64 s1, 0x40900000, v[3:4]
	v_cmp_ngt_f64_e64 s0, 0xc090cc00, v[1:2]
	v_fma_f64 v[25:26], v[17:18], v[25:26], 1.0
	v_fma_f64 v[27:28], v[19:20], v[27:28], 1.0
	v_fma_f64 v[29:30], v[21:22], v[29:30], 1.0
	v_fma_f64 v[31:32], v[23:24], v[31:32], 1.0
	s_delay_alu instid0(VALU_DEP_4)
	v_fma_f64 v[9:10], v[17:18], v[25:26], 1.0
	v_cvt_i32_f64_e32 v17, v[11:12]
	v_fma_f64 v[11:12], v[19:20], v[27:28], 1.0
	v_cvt_i32_f64_e32 v18, v[13:14]
	;; [unrolled: 2-line block ×3, first 2 shown]
	v_fma_f64 v[15:16], v[23:24], v[31:32], 1.0
	v_ldexp_f64 v[9:10], v[9:10], v34
	v_ldexp_f64 v[11:12], v[11:12], v17
	;; [unrolled: 1-line block ×3, first 2 shown]
	s_delay_alu instid0(VALU_DEP_4) | instskip(NEXT) | instid1(VALU_DEP_4)
	v_ldexp_f64 v[15:16], v[15:16], v19
	v_cndmask_b32_e32 v10, 0x7ff00000, v10, vcc_lo
	s_and_b32 vcc_lo, s0, vcc_lo
	s_delay_alu instid0(VALU_DEP_4) | instskip(NEXT) | instid1(VALU_DEP_4)
	v_cndmask_b32_e64 v1, 0x7ff00000, v12, s1
	v_cndmask_b32_e64 v3, 0x7ff00000, v14, s3
	s_delay_alu instid0(VALU_DEP_3) | instskip(SKIP_1) | instid1(VALU_DEP_4)
	v_cndmask_b32_e64 v2, 0, v10, s0
	v_cndmask_b32_e64 v5, 0x7ff00000, v16, s5
	v_cndmask_b32_e64 v4, 0, v1, s2
	v_cndmask_b32_e32 v1, 0, v9, vcc_lo
	s_and_b32 vcc_lo, s2, s1
	v_cndmask_b32_e64 v6, 0, v3, s4
	v_cndmask_b32_e32 v3, 0, v11, vcc_lo
	s_and_b32 vcc_lo, s4, s3
	v_cndmask_b32_e64 v8, 0, v5, s6
	v_cndmask_b32_e32 v5, 0, v13, vcc_lo
	s_and_b32 vcc_lo, s6, s5
	s_add_u32 s2, s8, s14
	v_cndmask_b32_e32 v7, 0, v15, vcc_lo
	s_addc_u32 s3, s9, s15
	s_mov_b32 s0, 0
	s_clause 0x1
	global_store_b128 v33, v[1:4], s[2:3]
	global_store_b128 v33, v[5:8], s[2:3] offset:16
.LBB75_2:
	s_and_not1_b32 vcc_lo, exec_lo, s0
	s_cbranch_vccnz .LBB75_20
; %bb.3:
	v_dual_mov_b32 v14, 0 :: v_dual_mov_b32 v1, v0
	v_mov_b32_e32 v15, 0
	v_cmp_gt_i32_e32 vcc_lo, s7, v0
	v_or_b32_e32 v9, s12, v0
	v_or_b32_e32 v18, 0x100, v0
	s_delay_alu instid0(VALU_DEP_4)
	v_dual_mov_b32 v17, v15 :: v_dual_mov_b32 v16, v14
	s_and_saveexec_b32 s1, vcc_lo
	s_cbranch_execz .LBB75_5
; %bb.4:
	v_mov_b32_e32 v10, 0
	s_delay_alu instid0(VALU_DEP_1) | instskip(NEXT) | instid1(VALU_DEP_1)
	v_lshlrev_b64 v[1:2], 3, v[9:10]
	v_add_co_u32 v1, s0, s10, v1
	s_delay_alu instid0(VALU_DEP_1)
	v_add_co_ci_u32_e64 v2, s0, s11, v2, s0
	global_load_b64 v[16:17], v[1:2], off
	v_or_b32_e32 v1, 0x100, v0
.LBB75_5:
	s_or_b32 exec_lo, exec_lo, s1
	s_delay_alu instid0(SALU_CYCLE_1) | instskip(NEXT) | instid1(VALU_DEP_1)
	s_mov_b32 s1, exec_lo
	v_cmpx_gt_i32_e64 s7, v1
	s_cbranch_execz .LBB75_7
; %bb.6:
	v_dual_mov_b32 v3, 0 :: v_dual_add_nc_u32 v2, s12, v1
	v_add_nc_u32_e32 v1, 0x100, v1
	s_delay_alu instid0(VALU_DEP_2) | instskip(NEXT) | instid1(VALU_DEP_1)
	v_lshlrev_b64 v[2:3], 3, v[2:3]
	v_add_co_u32 v2, s0, s10, v2
	s_delay_alu instid0(VALU_DEP_1)
	v_add_co_ci_u32_e64 v3, s0, s11, v3, s0
	global_load_b64 v[14:15], v[2:3], off
.LBB75_7:
	s_or_b32 exec_lo, exec_lo, s1
	v_mov_b32_e32 v10, 0
	v_mov_b32_e32 v11, 0
	s_mov_b32 s1, exec_lo
	s_delay_alu instid0(VALU_DEP_1)
	v_dual_mov_b32 v13, v11 :: v_dual_mov_b32 v12, v10
	v_cmpx_gt_i32_e64 s7, v1
	s_cbranch_execnz .LBB75_21
; %bb.8:
	s_or_b32 exec_lo, exec_lo, s1
	s_delay_alu instid0(SALU_CYCLE_1)
	s_mov_b32 s1, exec_lo
	v_cmpx_gt_i32_e64 s7, v1
	s_cbranch_execnz .LBB75_22
.LBB75_9:
	s_or_b32 exec_lo, exec_lo, s1
                                        ; implicit-def: $vgpr1_vgpr2_vgpr3_vgpr4_vgpr5_vgpr6_vgpr7_vgpr8
	s_and_saveexec_b32 s2, vcc_lo
	s_cbranch_execnz .LBB75_23
.LBB75_10:
	s_or_b32 exec_lo, exec_lo, s2
	s_delay_alu instid0(SALU_CYCLE_1)
	s_mov_b32 s2, exec_lo
	v_cmpx_gt_i32_e64 s7, v18
	s_cbranch_execz .LBB75_12
.LBB75_11:
	s_mov_b32 s0, 0x652b82fe
	s_mov_b32 s1, 0x3ff71547
	;; [unrolled: 1-line block ×3, first 2 shown]
	s_waitcnt vmcnt(0)
	v_mul_f64 v[3:4], v[14:15], s[0:1]
	s_mov_b32 s0, 0xfefa39ef
	s_mov_b32 s1, 0xbfe62e42
	;; [unrolled: 1-line block ×3, first 2 shown]
	s_delay_alu instid0(VALU_DEP_1) | instskip(NEXT) | instid1(VALU_DEP_1)
	v_rndne_f64_e32 v[3:4], v[3:4]
	v_fma_f64 v[16:17], v[3:4], s[0:1], v[14:15]
	s_mov_b32 s0, 0x3b39803f
	s_mov_b32 s1, 0xbc7abc9e
	v_cvt_i32_f64_e32 v21, v[3:4]
	s_delay_alu instid0(VALU_DEP_2)
	v_fma_f64 v[16:17], v[3:4], s[0:1], v[16:17]
	s_mov_b32 s0, 0xfca7ab0c
	s_mov_b32 s1, 0x3e928af3
	s_delay_alu instid0(VALU_DEP_1) | instid1(SALU_CYCLE_1)
	v_fma_f64 v[19:20], v[16:17], s[4:5], s[0:1]
	s_mov_b32 s0, 0x623fde64
	s_mov_b32 s1, 0x3ec71dee
	s_delay_alu instid0(VALU_DEP_1) | instid1(SALU_CYCLE_1)
	;; [unrolled: 4-line block ×9, first 2 shown]
	v_fma_f64 v[19:20], v[16:17], v[19:20], s[0:1]
	v_cmp_nlt_f64_e64 s0, 0x40900000, v[14:15]
	v_cmp_ngt_f64_e64 s1, 0xc090cc00, v[14:15]
	s_delay_alu instid0(VALU_DEP_3) | instskip(NEXT) | instid1(VALU_DEP_1)
	v_fma_f64 v[19:20], v[16:17], v[19:20], 1.0
	v_fma_f64 v[3:4], v[16:17], v[19:20], 1.0
	s_delay_alu instid0(VALU_DEP_1) | instskip(NEXT) | instid1(VALU_DEP_1)
	v_ldexp_f64 v[3:4], v[3:4], v21
	v_cndmask_b32_e64 v4, 0x7ff00000, v4, s0
	s_and_b32 s0, s1, s0
	s_delay_alu instid0(VALU_DEP_2) | instid1(SALU_CYCLE_1)
	v_cndmask_b32_e64 v3, 0, v3, s0
	s_delay_alu instid0(VALU_DEP_2)
	v_cndmask_b32_e64 v4, 0, v4, s1
.LBB75_12:
	s_or_b32 exec_lo, exec_lo, s2
	s_waitcnt vmcnt(0)
	v_or_b32_e32 v14, 0x200, v0
	s_mov_b32 s2, exec_lo
	s_delay_alu instid0(VALU_DEP_1)
	v_cmpx_gt_i32_e64 s7, v14
	s_cbranch_execz .LBB75_14
; %bb.13:
	s_mov_b32 s0, 0x652b82fe
	s_mov_b32 s1, 0x3ff71547
	;; [unrolled: 1-line block ×3, first 2 shown]
	v_mul_f64 v[5:6], v[12:13], s[0:1]
	s_mov_b32 s0, 0xfefa39ef
	s_mov_b32 s1, 0xbfe62e42
	;; [unrolled: 1-line block ×3, first 2 shown]
	s_delay_alu instid0(VALU_DEP_1) | instskip(NEXT) | instid1(VALU_DEP_1)
	v_rndne_f64_e32 v[5:6], v[5:6]
	v_fma_f64 v[14:15], v[5:6], s[0:1], v[12:13]
	s_mov_b32 s0, 0x3b39803f
	s_mov_b32 s1, 0xbc7abc9e
	v_cvt_i32_f64_e32 v19, v[5:6]
	s_delay_alu instid0(VALU_DEP_2)
	v_fma_f64 v[14:15], v[5:6], s[0:1], v[14:15]
	s_mov_b32 s0, 0xfca7ab0c
	s_mov_b32 s1, 0x3e928af3
	s_delay_alu instid0(VALU_DEP_1) | instid1(SALU_CYCLE_1)
	v_fma_f64 v[16:17], v[14:15], s[4:5], s[0:1]
	s_mov_b32 s0, 0x623fde64
	s_mov_b32 s1, 0x3ec71dee
	s_delay_alu instid0(VALU_DEP_1) | instid1(SALU_CYCLE_1)
	;; [unrolled: 4-line block ×9, first 2 shown]
	v_fma_f64 v[16:17], v[14:15], v[16:17], s[0:1]
	v_cmp_nlt_f64_e64 s0, 0x40900000, v[12:13]
	v_cmp_ngt_f64_e64 s1, 0xc090cc00, v[12:13]
	s_delay_alu instid0(VALU_DEP_3) | instskip(NEXT) | instid1(VALU_DEP_1)
	v_fma_f64 v[16:17], v[14:15], v[16:17], 1.0
	v_fma_f64 v[5:6], v[14:15], v[16:17], 1.0
	s_delay_alu instid0(VALU_DEP_1) | instskip(NEXT) | instid1(VALU_DEP_1)
	v_ldexp_f64 v[5:6], v[5:6], v19
	v_cndmask_b32_e64 v6, 0x7ff00000, v6, s0
	s_and_b32 s0, s1, s0
	s_delay_alu instid0(VALU_DEP_2) | instid1(SALU_CYCLE_1)
	v_cndmask_b32_e64 v5, 0, v5, s0
	s_delay_alu instid0(VALU_DEP_2)
	v_cndmask_b32_e64 v6, 0, v6, s1
.LBB75_14:
	s_or_b32 exec_lo, exec_lo, s2
	v_or_b32_e32 v12, 0x300, v0
	s_mov_b32 s2, exec_lo
	s_delay_alu instid0(VALU_DEP_1)
	v_cmpx_gt_i32_e64 s7, v12
	s_cbranch_execnz .LBB75_24
; %bb.15:
	s_or_b32 exec_lo, exec_lo, s2
	s_and_saveexec_b32 s0, vcc_lo
	s_delay_alu instid0(SALU_CYCLE_1)
	s_xor_b32 s0, exec_lo, s0
	s_cbranch_execnz .LBB75_25
.LBB75_16:
	s_or_b32 exec_lo, exec_lo, s0
	s_delay_alu instid0(SALU_CYCLE_1)
	s_mov_b32 s0, exec_lo
	v_cmpx_gt_i32_e64 s7, v0
	s_cbranch_execnz .LBB75_26
.LBB75_17:
	s_or_b32 exec_lo, exec_lo, s0
	s_delay_alu instid0(SALU_CYCLE_1)
	s_mov_b32 s0, exec_lo
	v_cmpx_gt_i32_e64 s7, v0
	s_cbranch_execnz .LBB75_27
.LBB75_18:
	s_or_b32 exec_lo, exec_lo, s0
	s_delay_alu instid0(SALU_CYCLE_1)
	s_mov_b32 s0, exec_lo
	v_cmpx_gt_i32_e64 s7, v0
	s_cbranch_execz .LBB75_20
.LBB75_19:
	v_dual_mov_b32 v1, 0 :: v_dual_add_nc_u32 v0, s12, v0
	s_delay_alu instid0(VALU_DEP_1) | instskip(NEXT) | instid1(VALU_DEP_1)
	v_lshlrev_b64 v[0:1], 3, v[0:1]
	v_add_co_u32 v0, vcc_lo, s8, v0
	s_delay_alu instid0(VALU_DEP_2)
	v_add_co_ci_u32_e32 v1, vcc_lo, s9, v1, vcc_lo
	global_store_b64 v[0:1], v[7:8], off
.LBB75_20:
	s_nop 0
	s_sendmsg sendmsg(MSG_DEALLOC_VGPRS)
	s_endpgm
.LBB75_21:
	v_dual_mov_b32 v3, 0 :: v_dual_add_nc_u32 v2, s12, v1
	v_add_nc_u32_e32 v1, 0x100, v1
	s_delay_alu instid0(VALU_DEP_2) | instskip(NEXT) | instid1(VALU_DEP_1)
	v_lshlrev_b64 v[2:3], 3, v[2:3]
	v_add_co_u32 v2, s0, s10, v2
	s_delay_alu instid0(VALU_DEP_1) | instskip(SKIP_2) | instid1(SALU_CYCLE_1)
	v_add_co_ci_u32_e64 v3, s0, s11, v3, s0
	global_load_b64 v[12:13], v[2:3], off
	s_or_b32 exec_lo, exec_lo, s1
	s_mov_b32 s1, exec_lo
	v_cmpx_gt_i32_e64 s7, v1
	s_cbranch_execz .LBB75_9
.LBB75_22:
	v_dual_mov_b32 v2, 0 :: v_dual_add_nc_u32 v1, s12, v1
	s_delay_alu instid0(VALU_DEP_1) | instskip(NEXT) | instid1(VALU_DEP_1)
	v_lshlrev_b64 v[1:2], 3, v[1:2]
	v_add_co_u32 v1, s0, s10, v1
	s_delay_alu instid0(VALU_DEP_1)
	v_add_co_ci_u32_e64 v2, s0, s11, v2, s0
	global_load_b64 v[10:11], v[1:2], off
	s_or_b32 exec_lo, exec_lo, s1
                                        ; implicit-def: $vgpr1_vgpr2_vgpr3_vgpr4_vgpr5_vgpr6_vgpr7_vgpr8
	s_and_saveexec_b32 s2, vcc_lo
	s_cbranch_execz .LBB75_10
.LBB75_23:
	s_mov_b32 s0, 0x652b82fe
	s_mov_b32 s1, 0x3ff71547
	;; [unrolled: 1-line block ×3, first 2 shown]
	s_waitcnt vmcnt(0)
	v_mul_f64 v[1:2], v[16:17], s[0:1]
	s_mov_b32 s0, 0xfefa39ef
	s_mov_b32 s1, 0xbfe62e42
	s_mov_b32 s5, 0x3e5ade15
	s_delay_alu instid0(VALU_DEP_1) | instskip(NEXT) | instid1(VALU_DEP_1)
	v_rndne_f64_e32 v[1:2], v[1:2]
	v_fma_f64 v[3:4], v[1:2], s[0:1], v[16:17]
	s_mov_b32 s0, 0x3b39803f
	s_mov_b32 s1, 0xbc7abc9e
	v_cvt_i32_f64_e32 v7, v[1:2]
	s_delay_alu instid0(VALU_DEP_2)
	v_fma_f64 v[3:4], v[1:2], s[0:1], v[3:4]
	s_mov_b32 s0, 0xfca7ab0c
	s_mov_b32 s1, 0x3e928af3
	s_delay_alu instid0(VALU_DEP_1) | instid1(SALU_CYCLE_1)
	v_fma_f64 v[5:6], v[3:4], s[4:5], s[0:1]
	s_mov_b32 s0, 0x623fde64
	s_mov_b32 s1, 0x3ec71dee
	s_delay_alu instid0(VALU_DEP_1) | instid1(SALU_CYCLE_1)
	;; [unrolled: 4-line block ×9, first 2 shown]
	v_fma_f64 v[5:6], v[3:4], v[5:6], s[0:1]
	v_cmp_nlt_f64_e64 s0, 0x40900000, v[16:17]
	v_cmp_ngt_f64_e64 s1, 0xc090cc00, v[16:17]
	s_delay_alu instid0(VALU_DEP_3) | instskip(NEXT) | instid1(VALU_DEP_1)
	v_fma_f64 v[5:6], v[3:4], v[5:6], 1.0
	v_fma_f64 v[1:2], v[3:4], v[5:6], 1.0
	s_delay_alu instid0(VALU_DEP_1) | instskip(NEXT) | instid1(VALU_DEP_1)
	v_ldexp_f64 v[1:2], v[1:2], v7
	v_cndmask_b32_e64 v2, 0x7ff00000, v2, s0
	s_and_b32 s0, s1, s0
	s_delay_alu instid0(VALU_DEP_2) | instid1(SALU_CYCLE_1)
	v_cndmask_b32_e64 v1, 0, v1, s0
	s_delay_alu instid0(VALU_DEP_2) | instskip(SKIP_1) | instid1(SALU_CYCLE_1)
	v_cndmask_b32_e64 v2, 0, v2, s1
	s_or_b32 exec_lo, exec_lo, s2
	s_mov_b32 s2, exec_lo
	v_cmpx_gt_i32_e64 s7, v18
	s_cbranch_execnz .LBB75_11
	s_branch .LBB75_12
.LBB75_24:
	s_mov_b32 s0, 0x652b82fe
	s_mov_b32 s1, 0x3ff71547
	;; [unrolled: 1-line block ×3, first 2 shown]
	v_mul_f64 v[7:8], v[10:11], s[0:1]
	s_mov_b32 s0, 0xfefa39ef
	s_mov_b32 s1, 0xbfe62e42
	;; [unrolled: 1-line block ×3, first 2 shown]
	s_delay_alu instid0(VALU_DEP_1) | instskip(NEXT) | instid1(VALU_DEP_1)
	v_rndne_f64_e32 v[7:8], v[7:8]
	v_fma_f64 v[12:13], v[7:8], s[0:1], v[10:11]
	s_mov_b32 s0, 0x3b39803f
	s_mov_b32 s1, 0xbc7abc9e
	v_cvt_i32_f64_e32 v16, v[7:8]
	s_delay_alu instid0(VALU_DEP_2)
	v_fma_f64 v[12:13], v[7:8], s[0:1], v[12:13]
	s_mov_b32 s0, 0xfca7ab0c
	s_mov_b32 s1, 0x3e928af3
	s_delay_alu instid0(VALU_DEP_1) | instid1(SALU_CYCLE_1)
	v_fma_f64 v[14:15], v[12:13], s[4:5], s[0:1]
	s_mov_b32 s0, 0x623fde64
	s_mov_b32 s1, 0x3ec71dee
	s_delay_alu instid0(VALU_DEP_1) | instid1(SALU_CYCLE_1)
	;; [unrolled: 4-line block ×9, first 2 shown]
	v_fma_f64 v[14:15], v[12:13], v[14:15], s[0:1]
	v_cmp_nlt_f64_e64 s0, 0x40900000, v[10:11]
	v_cmp_ngt_f64_e64 s1, 0xc090cc00, v[10:11]
	s_delay_alu instid0(VALU_DEP_3) | instskip(NEXT) | instid1(VALU_DEP_1)
	v_fma_f64 v[14:15], v[12:13], v[14:15], 1.0
	v_fma_f64 v[7:8], v[12:13], v[14:15], 1.0
	s_delay_alu instid0(VALU_DEP_1) | instskip(NEXT) | instid1(VALU_DEP_1)
	v_ldexp_f64 v[7:8], v[7:8], v16
	v_cndmask_b32_e64 v8, 0x7ff00000, v8, s0
	s_and_b32 s0, s1, s0
	s_delay_alu instid0(VALU_DEP_2) | instid1(SALU_CYCLE_1)
	v_cndmask_b32_e64 v7, 0, v7, s0
	s_delay_alu instid0(VALU_DEP_2) | instskip(SKIP_2) | instid1(SALU_CYCLE_1)
	v_cndmask_b32_e64 v8, 0, v8, s1
	s_or_b32 exec_lo, exec_lo, s2
	s_and_saveexec_b32 s0, vcc_lo
	s_xor_b32 s0, exec_lo, s0
	s_cbranch_execz .LBB75_16
.LBB75_25:
	v_mov_b32_e32 v10, 0
	v_mov_b32_e32 v0, v18
	s_delay_alu instid0(VALU_DEP_2) | instskip(NEXT) | instid1(VALU_DEP_1)
	v_lshlrev_b64 v[9:10], 3, v[9:10]
	v_add_co_u32 v9, vcc_lo, s8, v9
	s_delay_alu instid0(VALU_DEP_2) | instskip(SKIP_2) | instid1(SALU_CYCLE_1)
	v_add_co_ci_u32_e32 v10, vcc_lo, s9, v10, vcc_lo
	global_store_b64 v[9:10], v[1:2], off
	s_or_b32 exec_lo, exec_lo, s0
	s_mov_b32 s0, exec_lo
	v_cmpx_gt_i32_e64 s7, v0
	s_cbranch_execz .LBB75_17
.LBB75_26:
	v_dual_mov_b32 v2, 0 :: v_dual_add_nc_u32 v1, s12, v0
	v_add_nc_u32_e32 v0, 0x100, v0
	s_delay_alu instid0(VALU_DEP_2) | instskip(NEXT) | instid1(VALU_DEP_1)
	v_lshlrev_b64 v[1:2], 3, v[1:2]
	v_add_co_u32 v1, vcc_lo, s8, v1
	s_delay_alu instid0(VALU_DEP_2) | instskip(SKIP_2) | instid1(SALU_CYCLE_1)
	v_add_co_ci_u32_e32 v2, vcc_lo, s9, v2, vcc_lo
	global_store_b64 v[1:2], v[3:4], off
	s_or_b32 exec_lo, exec_lo, s0
	s_mov_b32 s0, exec_lo
	v_cmpx_gt_i32_e64 s7, v0
	s_cbranch_execz .LBB75_18
.LBB75_27:
	v_dual_mov_b32 v2, 0 :: v_dual_add_nc_u32 v1, s12, v0
	v_add_nc_u32_e32 v0, 0x100, v0
	s_delay_alu instid0(VALU_DEP_2) | instskip(NEXT) | instid1(VALU_DEP_1)
	v_lshlrev_b64 v[1:2], 3, v[1:2]
	v_add_co_u32 v1, vcc_lo, s8, v1
	s_delay_alu instid0(VALU_DEP_2) | instskip(SKIP_2) | instid1(SALU_CYCLE_1)
	v_add_co_ci_u32_e32 v2, vcc_lo, s9, v2, vcc_lo
	global_store_b64 v[1:2], v[5:6], off
	s_or_b32 exec_lo, exec_lo, s0
	s_mov_b32 s0, exec_lo
	v_cmpx_gt_i32_e64 s7, v0
	s_cbranch_execnz .LBB75_19
	s_branch .LBB75_20
	.section	.rodata,"a",@progbits
	.p2align	6, 0x0
	.amdhsa_kernel _ZN2at6native29vectorized_elementwise_kernelILi8EZZZNS0_15exp_kernel_cudaERNS_18TensorIteratorBaseEENKUlvE0_clEvENKUlvE_clEvEUldE_St5arrayIPcLm2EEEEviT0_T1_
		.amdhsa_group_segment_fixed_size 0
		.amdhsa_private_segment_fixed_size 0
		.amdhsa_kernarg_size 24
		.amdhsa_user_sgpr_count 15
		.amdhsa_user_sgpr_dispatch_ptr 0
		.amdhsa_user_sgpr_queue_ptr 0
		.amdhsa_user_sgpr_kernarg_segment_ptr 1
		.amdhsa_user_sgpr_dispatch_id 0
		.amdhsa_user_sgpr_private_segment_size 0
		.amdhsa_wavefront_size32 1
		.amdhsa_uses_dynamic_stack 0
		.amdhsa_enable_private_segment 0
		.amdhsa_system_sgpr_workgroup_id_x 1
		.amdhsa_system_sgpr_workgroup_id_y 0
		.amdhsa_system_sgpr_workgroup_id_z 0
		.amdhsa_system_sgpr_workgroup_info 0
		.amdhsa_system_vgpr_workitem_id 0
		.amdhsa_next_free_vgpr 35
		.amdhsa_next_free_sgpr 16
		.amdhsa_reserve_vcc 1
		.amdhsa_float_round_mode_32 0
		.amdhsa_float_round_mode_16_64 0
		.amdhsa_float_denorm_mode_32 3
		.amdhsa_float_denorm_mode_16_64 3
		.amdhsa_dx10_clamp 1
		.amdhsa_ieee_mode 1
		.amdhsa_fp16_overflow 0
		.amdhsa_workgroup_processor_mode 1
		.amdhsa_memory_ordered 1
		.amdhsa_forward_progress 0
		.amdhsa_shared_vgpr_count 0
		.amdhsa_exception_fp_ieee_invalid_op 0
		.amdhsa_exception_fp_denorm_src 0
		.amdhsa_exception_fp_ieee_div_zero 0
		.amdhsa_exception_fp_ieee_overflow 0
		.amdhsa_exception_fp_ieee_underflow 0
		.amdhsa_exception_fp_ieee_inexact 0
		.amdhsa_exception_int_div_zero 0
	.end_amdhsa_kernel
	.section	.text._ZN2at6native29vectorized_elementwise_kernelILi8EZZZNS0_15exp_kernel_cudaERNS_18TensorIteratorBaseEENKUlvE0_clEvENKUlvE_clEvEUldE_St5arrayIPcLm2EEEEviT0_T1_,"axG",@progbits,_ZN2at6native29vectorized_elementwise_kernelILi8EZZZNS0_15exp_kernel_cudaERNS_18TensorIteratorBaseEENKUlvE0_clEvENKUlvE_clEvEUldE_St5arrayIPcLm2EEEEviT0_T1_,comdat
.Lfunc_end75:
	.size	_ZN2at6native29vectorized_elementwise_kernelILi8EZZZNS0_15exp_kernel_cudaERNS_18TensorIteratorBaseEENKUlvE0_clEvENKUlvE_clEvEUldE_St5arrayIPcLm2EEEEviT0_T1_, .Lfunc_end75-_ZN2at6native29vectorized_elementwise_kernelILi8EZZZNS0_15exp_kernel_cudaERNS_18TensorIteratorBaseEENKUlvE0_clEvENKUlvE_clEvEUldE_St5arrayIPcLm2EEEEviT0_T1_
                                        ; -- End function
	.section	.AMDGPU.csdata,"",@progbits
; Kernel info:
; codeLenInByte = 3856
; NumSgprs: 18
; NumVgprs: 35
; ScratchSize: 0
; MemoryBound: 0
; FloatMode: 240
; IeeeMode: 1
; LDSByteSize: 0 bytes/workgroup (compile time only)
; SGPRBlocks: 2
; VGPRBlocks: 4
; NumSGPRsForWavesPerEU: 18
; NumVGPRsForWavesPerEU: 35
; Occupancy: 16
; WaveLimiterHint : 0
; COMPUTE_PGM_RSRC2:SCRATCH_EN: 0
; COMPUTE_PGM_RSRC2:USER_SGPR: 15
; COMPUTE_PGM_RSRC2:TRAP_HANDLER: 0
; COMPUTE_PGM_RSRC2:TGID_X_EN: 1
; COMPUTE_PGM_RSRC2:TGID_Y_EN: 0
; COMPUTE_PGM_RSRC2:TGID_Z_EN: 0
; COMPUTE_PGM_RSRC2:TIDIG_COMP_CNT: 0
	.section	.text._ZN2at6native29vectorized_elementwise_kernelILi4EZZZNS0_15exp_kernel_cudaERNS_18TensorIteratorBaseEENKUlvE0_clEvENKUlvE_clEvEUldE_St5arrayIPcLm2EEEEviT0_T1_,"axG",@progbits,_ZN2at6native29vectorized_elementwise_kernelILi4EZZZNS0_15exp_kernel_cudaERNS_18TensorIteratorBaseEENKUlvE0_clEvENKUlvE_clEvEUldE_St5arrayIPcLm2EEEEviT0_T1_,comdat
	.globl	_ZN2at6native29vectorized_elementwise_kernelILi4EZZZNS0_15exp_kernel_cudaERNS_18TensorIteratorBaseEENKUlvE0_clEvENKUlvE_clEvEUldE_St5arrayIPcLm2EEEEviT0_T1_ ; -- Begin function _ZN2at6native29vectorized_elementwise_kernelILi4EZZZNS0_15exp_kernel_cudaERNS_18TensorIteratorBaseEENKUlvE0_clEvENKUlvE_clEvEUldE_St5arrayIPcLm2EEEEviT0_T1_
	.p2align	8
	.type	_ZN2at6native29vectorized_elementwise_kernelILi4EZZZNS0_15exp_kernel_cudaERNS_18TensorIteratorBaseEENKUlvE0_clEvENKUlvE_clEvEUldE_St5arrayIPcLm2EEEEviT0_T1_,@function
_ZN2at6native29vectorized_elementwise_kernelILi4EZZZNS0_15exp_kernel_cudaERNS_18TensorIteratorBaseEENKUlvE0_clEvENKUlvE_clEvEUldE_St5arrayIPcLm2EEEEviT0_T1_: ; @_ZN2at6native29vectorized_elementwise_kernelILi4EZZZNS0_15exp_kernel_cudaERNS_18TensorIteratorBaseEENKUlvE0_clEvENKUlvE_clEvEUldE_St5arrayIPcLm2EEEEviT0_T1_
; %bb.0:
	s_clause 0x1
	s_load_b32 s2, s[0:1], 0x0
	s_load_b128 s[8:11], s[0:1], 0x8
	s_lshl_b32 s12, s15, 10
	s_mov_b32 s0, -1
	s_waitcnt lgkmcnt(0)
	s_sub_i32 s7, s2, s12
	s_delay_alu instid0(SALU_CYCLE_1)
	s_cmpk_gt_i32 s7, 0x3ff
	s_cbranch_scc0 .LBB76_2
; %bb.1:
	s_ashr_i32 s13, s12, 31
	v_lshlrev_b32_e32 v33, 5, v0
	s_lshl_b64 s[14:15], s[12:13], 3
	s_mov_b32 s2, 0x6a5dcb37
	s_add_u32 s0, s10, s14
	s_addc_u32 s1, s11, s15
	s_mov_b32 s3, 0x3e5ade15
	s_clause 0x1
	global_load_b128 v[1:4], v33, s[0:1]
	global_load_b128 v[5:8], v33, s[0:1] offset:16
	s_mov_b32 s0, 0x652b82fe
	s_mov_b32 s1, 0x3ff71547
	s_waitcnt vmcnt(1)
	v_mul_f64 v[9:10], v[1:2], s[0:1]
	v_mul_f64 v[11:12], v[3:4], s[0:1]
	s_waitcnt vmcnt(0)
	v_mul_f64 v[13:14], v[5:6], s[0:1]
	v_mul_f64 v[15:16], v[7:8], s[0:1]
	s_mov_b32 s0, 0xfefa39ef
	s_mov_b32 s1, 0xbfe62e42
	v_cmp_nlt_f64_e32 vcc_lo, 0x40900000, v[1:2]
	v_cmp_nlt_f64_e64 s5, 0x40900000, v[7:8]
	v_cmp_ngt_f64_e64 s4, 0xc090cc00, v[5:6]
	v_cmp_ngt_f64_e64 s6, 0xc090cc00, v[7:8]
	v_rndne_f64_e32 v[9:10], v[9:10]
	v_rndne_f64_e32 v[11:12], v[11:12]
	;; [unrolled: 1-line block ×4, first 2 shown]
	s_delay_alu instid0(VALU_DEP_4) | instskip(NEXT) | instid1(VALU_DEP_4)
	v_fma_f64 v[17:18], v[9:10], s[0:1], v[1:2]
	v_fma_f64 v[19:20], v[11:12], s[0:1], v[3:4]
	s_delay_alu instid0(VALU_DEP_4) | instskip(NEXT) | instid1(VALU_DEP_4)
	v_fma_f64 v[21:22], v[13:14], s[0:1], v[5:6]
	v_fma_f64 v[23:24], v[15:16], s[0:1], v[7:8]
	s_mov_b32 s0, 0x3b39803f
	s_mov_b32 s1, 0xbc7abc9e
	v_cvt_i32_f64_e32 v34, v[9:10]
	v_fma_f64 v[17:18], v[9:10], s[0:1], v[17:18]
	v_fma_f64 v[19:20], v[11:12], s[0:1], v[19:20]
	v_fma_f64 v[21:22], v[13:14], s[0:1], v[21:22]
	v_fma_f64 v[23:24], v[15:16], s[0:1], v[23:24]
	s_mov_b32 s0, 0xfca7ab0c
	s_mov_b32 s1, 0x3e928af3
	s_delay_alu instid0(VALU_DEP_4) | instid1(SALU_CYCLE_1)
	v_fma_f64 v[25:26], v[17:18], s[2:3], s[0:1]
	s_delay_alu instid0(VALU_DEP_4) | instskip(NEXT) | instid1(VALU_DEP_4)
	v_fma_f64 v[27:28], v[19:20], s[2:3], s[0:1]
	v_fma_f64 v[29:30], v[21:22], s[2:3], s[0:1]
	s_delay_alu instid0(VALU_DEP_4)
	v_fma_f64 v[31:32], v[23:24], s[2:3], s[0:1]
	s_mov_b32 s0, 0x623fde64
	s_mov_b32 s1, 0x3ec71dee
	v_cmp_nlt_f64_e64 s3, 0x40900000, v[5:6]
	v_cmp_ngt_f64_e64 s2, 0xc090cc00, v[3:4]
	v_fma_f64 v[25:26], v[17:18], v[25:26], s[0:1]
	v_fma_f64 v[27:28], v[19:20], v[27:28], s[0:1]
	;; [unrolled: 1-line block ×4, first 2 shown]
	s_mov_b32 s0, 0x7c89e6b0
	s_mov_b32 s1, 0x3efa0199
	s_delay_alu instid0(VALU_DEP_4) | instid1(SALU_CYCLE_1)
	v_fma_f64 v[25:26], v[17:18], v[25:26], s[0:1]
	s_delay_alu instid0(VALU_DEP_4) | instskip(NEXT) | instid1(VALU_DEP_4)
	v_fma_f64 v[27:28], v[19:20], v[27:28], s[0:1]
	v_fma_f64 v[29:30], v[21:22], v[29:30], s[0:1]
	s_delay_alu instid0(VALU_DEP_4)
	v_fma_f64 v[31:32], v[23:24], v[31:32], s[0:1]
	s_mov_b32 s0, 0x14761f6e
	s_mov_b32 s1, 0x3f2a01a0
	s_delay_alu instid0(VALU_DEP_4) | instid1(SALU_CYCLE_1)
	v_fma_f64 v[25:26], v[17:18], v[25:26], s[0:1]
	s_delay_alu instid0(VALU_DEP_4) | instskip(NEXT) | instid1(VALU_DEP_4)
	v_fma_f64 v[27:28], v[19:20], v[27:28], s[0:1]
	v_fma_f64 v[29:30], v[21:22], v[29:30], s[0:1]
	s_delay_alu instid0(VALU_DEP_4)
	v_fma_f64 v[31:32], v[23:24], v[31:32], s[0:1]
	s_mov_b32 s0, 0x1852b7b0
	s_mov_b32 s1, 0x3f56c16c
	s_delay_alu instid0(VALU_DEP_4) | instid1(SALU_CYCLE_1)
	v_fma_f64 v[25:26], v[17:18], v[25:26], s[0:1]
	s_delay_alu instid0(VALU_DEP_4) | instskip(NEXT) | instid1(VALU_DEP_4)
	v_fma_f64 v[27:28], v[19:20], v[27:28], s[0:1]
	v_fma_f64 v[29:30], v[21:22], v[29:30], s[0:1]
	s_delay_alu instid0(VALU_DEP_4)
	v_fma_f64 v[31:32], v[23:24], v[31:32], s[0:1]
	s_mov_b32 s0, 0x11122322
	s_mov_b32 s1, 0x3f811111
	s_delay_alu instid0(VALU_DEP_4) | instid1(SALU_CYCLE_1)
	v_fma_f64 v[25:26], v[17:18], v[25:26], s[0:1]
	s_delay_alu instid0(VALU_DEP_4) | instskip(NEXT) | instid1(VALU_DEP_4)
	v_fma_f64 v[27:28], v[19:20], v[27:28], s[0:1]
	v_fma_f64 v[29:30], v[21:22], v[29:30], s[0:1]
	s_delay_alu instid0(VALU_DEP_4)
	v_fma_f64 v[31:32], v[23:24], v[31:32], s[0:1]
	s_mov_b32 s0, 0x555502a1
	s_mov_b32 s1, 0x3fa55555
	s_delay_alu instid0(VALU_DEP_4) | instid1(SALU_CYCLE_1)
	v_fma_f64 v[25:26], v[17:18], v[25:26], s[0:1]
	s_delay_alu instid0(VALU_DEP_4) | instskip(NEXT) | instid1(VALU_DEP_4)
	v_fma_f64 v[27:28], v[19:20], v[27:28], s[0:1]
	v_fma_f64 v[29:30], v[21:22], v[29:30], s[0:1]
	s_delay_alu instid0(VALU_DEP_4)
	v_fma_f64 v[31:32], v[23:24], v[31:32], s[0:1]
	s_mov_b32 s0, 0x55555511
	s_mov_b32 s1, 0x3fc55555
	s_delay_alu instid0(VALU_DEP_4) | instid1(SALU_CYCLE_1)
	v_fma_f64 v[25:26], v[17:18], v[25:26], s[0:1]
	s_delay_alu instid0(VALU_DEP_4) | instskip(NEXT) | instid1(VALU_DEP_4)
	v_fma_f64 v[27:28], v[19:20], v[27:28], s[0:1]
	v_fma_f64 v[29:30], v[21:22], v[29:30], s[0:1]
	s_delay_alu instid0(VALU_DEP_4)
	v_fma_f64 v[31:32], v[23:24], v[31:32], s[0:1]
	s_mov_b32 s0, 11
	s_mov_b32 s1, 0x3fe00000
	s_delay_alu instid0(VALU_DEP_4) | instid1(SALU_CYCLE_1)
	v_fma_f64 v[25:26], v[17:18], v[25:26], s[0:1]
	s_delay_alu instid0(VALU_DEP_4) | instskip(NEXT) | instid1(VALU_DEP_4)
	v_fma_f64 v[27:28], v[19:20], v[27:28], s[0:1]
	v_fma_f64 v[29:30], v[21:22], v[29:30], s[0:1]
	s_delay_alu instid0(VALU_DEP_4)
	v_fma_f64 v[31:32], v[23:24], v[31:32], s[0:1]
	v_cmp_nlt_f64_e64 s1, 0x40900000, v[3:4]
	v_cmp_ngt_f64_e64 s0, 0xc090cc00, v[1:2]
	v_fma_f64 v[25:26], v[17:18], v[25:26], 1.0
	v_fma_f64 v[27:28], v[19:20], v[27:28], 1.0
	;; [unrolled: 1-line block ×4, first 2 shown]
	s_delay_alu instid0(VALU_DEP_4)
	v_fma_f64 v[9:10], v[17:18], v[25:26], 1.0
	v_cvt_i32_f64_e32 v17, v[11:12]
	v_fma_f64 v[11:12], v[19:20], v[27:28], 1.0
	v_cvt_i32_f64_e32 v18, v[13:14]
	;; [unrolled: 2-line block ×3, first 2 shown]
	v_fma_f64 v[15:16], v[23:24], v[31:32], 1.0
	v_ldexp_f64 v[9:10], v[9:10], v34
	v_ldexp_f64 v[11:12], v[11:12], v17
	;; [unrolled: 1-line block ×3, first 2 shown]
	s_delay_alu instid0(VALU_DEP_4) | instskip(NEXT) | instid1(VALU_DEP_4)
	v_ldexp_f64 v[15:16], v[15:16], v19
	v_cndmask_b32_e32 v10, 0x7ff00000, v10, vcc_lo
	s_and_b32 vcc_lo, s0, vcc_lo
	s_delay_alu instid0(VALU_DEP_4) | instskip(NEXT) | instid1(VALU_DEP_4)
	v_cndmask_b32_e64 v1, 0x7ff00000, v12, s1
	v_cndmask_b32_e64 v3, 0x7ff00000, v14, s3
	s_delay_alu instid0(VALU_DEP_3) | instskip(SKIP_1) | instid1(VALU_DEP_4)
	v_cndmask_b32_e64 v2, 0, v10, s0
	v_cndmask_b32_e64 v5, 0x7ff00000, v16, s5
	;; [unrolled: 1-line block ×3, first 2 shown]
	v_cndmask_b32_e32 v1, 0, v9, vcc_lo
	s_and_b32 vcc_lo, s2, s1
	v_cndmask_b32_e64 v6, 0, v3, s4
	v_cndmask_b32_e32 v3, 0, v11, vcc_lo
	s_and_b32 vcc_lo, s4, s3
	v_cndmask_b32_e64 v8, 0, v5, s6
	v_cndmask_b32_e32 v5, 0, v13, vcc_lo
	s_and_b32 vcc_lo, s6, s5
	s_add_u32 s2, s8, s14
	v_cndmask_b32_e32 v7, 0, v15, vcc_lo
	s_addc_u32 s3, s9, s15
	s_mov_b32 s0, 0
	s_clause 0x1
	global_store_b128 v33, v[1:4], s[2:3]
	global_store_b128 v33, v[5:8], s[2:3] offset:16
.LBB76_2:
	s_and_not1_b32 vcc_lo, exec_lo, s0
	s_cbranch_vccnz .LBB76_20
; %bb.3:
	v_dual_mov_b32 v14, 0 :: v_dual_mov_b32 v1, v0
	v_mov_b32_e32 v15, 0
	v_cmp_gt_i32_e32 vcc_lo, s7, v0
	v_or_b32_e32 v9, s12, v0
	v_or_b32_e32 v18, 0x100, v0
	s_delay_alu instid0(VALU_DEP_4)
	v_dual_mov_b32 v17, v15 :: v_dual_mov_b32 v16, v14
	s_and_saveexec_b32 s1, vcc_lo
	s_cbranch_execz .LBB76_5
; %bb.4:
	v_mov_b32_e32 v10, 0
	s_delay_alu instid0(VALU_DEP_1) | instskip(NEXT) | instid1(VALU_DEP_1)
	v_lshlrev_b64 v[1:2], 3, v[9:10]
	v_add_co_u32 v1, s0, s10, v1
	s_delay_alu instid0(VALU_DEP_1)
	v_add_co_ci_u32_e64 v2, s0, s11, v2, s0
	global_load_b64 v[16:17], v[1:2], off
	v_or_b32_e32 v1, 0x100, v0
.LBB76_5:
	s_or_b32 exec_lo, exec_lo, s1
	s_delay_alu instid0(SALU_CYCLE_1) | instskip(NEXT) | instid1(VALU_DEP_1)
	s_mov_b32 s1, exec_lo
	v_cmpx_gt_i32_e64 s7, v1
	s_cbranch_execz .LBB76_7
; %bb.6:
	v_dual_mov_b32 v3, 0 :: v_dual_add_nc_u32 v2, s12, v1
	v_add_nc_u32_e32 v1, 0x100, v1
	s_delay_alu instid0(VALU_DEP_2) | instskip(NEXT) | instid1(VALU_DEP_1)
	v_lshlrev_b64 v[2:3], 3, v[2:3]
	v_add_co_u32 v2, s0, s10, v2
	s_delay_alu instid0(VALU_DEP_1)
	v_add_co_ci_u32_e64 v3, s0, s11, v3, s0
	global_load_b64 v[14:15], v[2:3], off
.LBB76_7:
	s_or_b32 exec_lo, exec_lo, s1
	v_mov_b32_e32 v10, 0
	v_mov_b32_e32 v11, 0
	s_mov_b32 s1, exec_lo
	s_delay_alu instid0(VALU_DEP_1)
	v_dual_mov_b32 v13, v11 :: v_dual_mov_b32 v12, v10
	v_cmpx_gt_i32_e64 s7, v1
	s_cbranch_execnz .LBB76_21
; %bb.8:
	s_or_b32 exec_lo, exec_lo, s1
	s_delay_alu instid0(SALU_CYCLE_1)
	s_mov_b32 s1, exec_lo
	v_cmpx_gt_i32_e64 s7, v1
	s_cbranch_execnz .LBB76_22
.LBB76_9:
	s_or_b32 exec_lo, exec_lo, s1
                                        ; implicit-def: $vgpr1_vgpr2_vgpr3_vgpr4_vgpr5_vgpr6_vgpr7_vgpr8
	s_and_saveexec_b32 s2, vcc_lo
	s_cbranch_execnz .LBB76_23
.LBB76_10:
	s_or_b32 exec_lo, exec_lo, s2
	s_delay_alu instid0(SALU_CYCLE_1)
	s_mov_b32 s2, exec_lo
	v_cmpx_gt_i32_e64 s7, v18
	s_cbranch_execz .LBB76_12
.LBB76_11:
	s_mov_b32 s0, 0x652b82fe
	s_mov_b32 s1, 0x3ff71547
	;; [unrolled: 1-line block ×3, first 2 shown]
	s_waitcnt vmcnt(0)
	v_mul_f64 v[3:4], v[14:15], s[0:1]
	s_mov_b32 s0, 0xfefa39ef
	s_mov_b32 s1, 0xbfe62e42
	;; [unrolled: 1-line block ×3, first 2 shown]
	s_delay_alu instid0(VALU_DEP_1) | instskip(NEXT) | instid1(VALU_DEP_1)
	v_rndne_f64_e32 v[3:4], v[3:4]
	v_fma_f64 v[16:17], v[3:4], s[0:1], v[14:15]
	s_mov_b32 s0, 0x3b39803f
	s_mov_b32 s1, 0xbc7abc9e
	v_cvt_i32_f64_e32 v21, v[3:4]
	s_delay_alu instid0(VALU_DEP_2)
	v_fma_f64 v[16:17], v[3:4], s[0:1], v[16:17]
	s_mov_b32 s0, 0xfca7ab0c
	s_mov_b32 s1, 0x3e928af3
	s_delay_alu instid0(VALU_DEP_1) | instid1(SALU_CYCLE_1)
	v_fma_f64 v[19:20], v[16:17], s[4:5], s[0:1]
	s_mov_b32 s0, 0x623fde64
	s_mov_b32 s1, 0x3ec71dee
	s_delay_alu instid0(VALU_DEP_1) | instid1(SALU_CYCLE_1)
	;; [unrolled: 4-line block ×9, first 2 shown]
	v_fma_f64 v[19:20], v[16:17], v[19:20], s[0:1]
	v_cmp_nlt_f64_e64 s0, 0x40900000, v[14:15]
	v_cmp_ngt_f64_e64 s1, 0xc090cc00, v[14:15]
	s_delay_alu instid0(VALU_DEP_3) | instskip(NEXT) | instid1(VALU_DEP_1)
	v_fma_f64 v[19:20], v[16:17], v[19:20], 1.0
	v_fma_f64 v[3:4], v[16:17], v[19:20], 1.0
	s_delay_alu instid0(VALU_DEP_1) | instskip(NEXT) | instid1(VALU_DEP_1)
	v_ldexp_f64 v[3:4], v[3:4], v21
	v_cndmask_b32_e64 v4, 0x7ff00000, v4, s0
	s_and_b32 s0, s1, s0
	s_delay_alu instid0(VALU_DEP_2) | instid1(SALU_CYCLE_1)
	v_cndmask_b32_e64 v3, 0, v3, s0
	s_delay_alu instid0(VALU_DEP_2)
	v_cndmask_b32_e64 v4, 0, v4, s1
.LBB76_12:
	s_or_b32 exec_lo, exec_lo, s2
	s_waitcnt vmcnt(0)
	v_or_b32_e32 v14, 0x200, v0
	s_mov_b32 s2, exec_lo
	s_delay_alu instid0(VALU_DEP_1)
	v_cmpx_gt_i32_e64 s7, v14
	s_cbranch_execz .LBB76_14
; %bb.13:
	s_mov_b32 s0, 0x652b82fe
	s_mov_b32 s1, 0x3ff71547
	;; [unrolled: 1-line block ×3, first 2 shown]
	v_mul_f64 v[5:6], v[12:13], s[0:1]
	s_mov_b32 s0, 0xfefa39ef
	s_mov_b32 s1, 0xbfe62e42
	;; [unrolled: 1-line block ×3, first 2 shown]
	s_delay_alu instid0(VALU_DEP_1) | instskip(NEXT) | instid1(VALU_DEP_1)
	v_rndne_f64_e32 v[5:6], v[5:6]
	v_fma_f64 v[14:15], v[5:6], s[0:1], v[12:13]
	s_mov_b32 s0, 0x3b39803f
	s_mov_b32 s1, 0xbc7abc9e
	v_cvt_i32_f64_e32 v19, v[5:6]
	s_delay_alu instid0(VALU_DEP_2)
	v_fma_f64 v[14:15], v[5:6], s[0:1], v[14:15]
	s_mov_b32 s0, 0xfca7ab0c
	s_mov_b32 s1, 0x3e928af3
	s_delay_alu instid0(VALU_DEP_1) | instid1(SALU_CYCLE_1)
	v_fma_f64 v[16:17], v[14:15], s[4:5], s[0:1]
	s_mov_b32 s0, 0x623fde64
	s_mov_b32 s1, 0x3ec71dee
	s_delay_alu instid0(VALU_DEP_1) | instid1(SALU_CYCLE_1)
	;; [unrolled: 4-line block ×9, first 2 shown]
	v_fma_f64 v[16:17], v[14:15], v[16:17], s[0:1]
	v_cmp_nlt_f64_e64 s0, 0x40900000, v[12:13]
	v_cmp_ngt_f64_e64 s1, 0xc090cc00, v[12:13]
	s_delay_alu instid0(VALU_DEP_3) | instskip(NEXT) | instid1(VALU_DEP_1)
	v_fma_f64 v[16:17], v[14:15], v[16:17], 1.0
	v_fma_f64 v[5:6], v[14:15], v[16:17], 1.0
	s_delay_alu instid0(VALU_DEP_1) | instskip(NEXT) | instid1(VALU_DEP_1)
	v_ldexp_f64 v[5:6], v[5:6], v19
	v_cndmask_b32_e64 v6, 0x7ff00000, v6, s0
	s_and_b32 s0, s1, s0
	s_delay_alu instid0(VALU_DEP_2) | instid1(SALU_CYCLE_1)
	v_cndmask_b32_e64 v5, 0, v5, s0
	s_delay_alu instid0(VALU_DEP_2)
	v_cndmask_b32_e64 v6, 0, v6, s1
.LBB76_14:
	s_or_b32 exec_lo, exec_lo, s2
	v_or_b32_e32 v12, 0x300, v0
	s_mov_b32 s2, exec_lo
	s_delay_alu instid0(VALU_DEP_1)
	v_cmpx_gt_i32_e64 s7, v12
	s_cbranch_execnz .LBB76_24
; %bb.15:
	s_or_b32 exec_lo, exec_lo, s2
	s_and_saveexec_b32 s0, vcc_lo
	s_delay_alu instid0(SALU_CYCLE_1)
	s_xor_b32 s0, exec_lo, s0
	s_cbranch_execnz .LBB76_25
.LBB76_16:
	s_or_b32 exec_lo, exec_lo, s0
	s_delay_alu instid0(SALU_CYCLE_1)
	s_mov_b32 s0, exec_lo
	v_cmpx_gt_i32_e64 s7, v0
	s_cbranch_execnz .LBB76_26
.LBB76_17:
	s_or_b32 exec_lo, exec_lo, s0
	s_delay_alu instid0(SALU_CYCLE_1)
	s_mov_b32 s0, exec_lo
	v_cmpx_gt_i32_e64 s7, v0
	s_cbranch_execnz .LBB76_27
.LBB76_18:
	s_or_b32 exec_lo, exec_lo, s0
	s_delay_alu instid0(SALU_CYCLE_1)
	s_mov_b32 s0, exec_lo
	v_cmpx_gt_i32_e64 s7, v0
	s_cbranch_execz .LBB76_20
.LBB76_19:
	v_dual_mov_b32 v1, 0 :: v_dual_add_nc_u32 v0, s12, v0
	s_delay_alu instid0(VALU_DEP_1) | instskip(NEXT) | instid1(VALU_DEP_1)
	v_lshlrev_b64 v[0:1], 3, v[0:1]
	v_add_co_u32 v0, vcc_lo, s8, v0
	s_delay_alu instid0(VALU_DEP_2)
	v_add_co_ci_u32_e32 v1, vcc_lo, s9, v1, vcc_lo
	global_store_b64 v[0:1], v[7:8], off
.LBB76_20:
	s_nop 0
	s_sendmsg sendmsg(MSG_DEALLOC_VGPRS)
	s_endpgm
.LBB76_21:
	v_dual_mov_b32 v3, 0 :: v_dual_add_nc_u32 v2, s12, v1
	v_add_nc_u32_e32 v1, 0x100, v1
	s_delay_alu instid0(VALU_DEP_2) | instskip(NEXT) | instid1(VALU_DEP_1)
	v_lshlrev_b64 v[2:3], 3, v[2:3]
	v_add_co_u32 v2, s0, s10, v2
	s_delay_alu instid0(VALU_DEP_1) | instskip(SKIP_2) | instid1(SALU_CYCLE_1)
	v_add_co_ci_u32_e64 v3, s0, s11, v3, s0
	global_load_b64 v[12:13], v[2:3], off
	s_or_b32 exec_lo, exec_lo, s1
	s_mov_b32 s1, exec_lo
	v_cmpx_gt_i32_e64 s7, v1
	s_cbranch_execz .LBB76_9
.LBB76_22:
	v_dual_mov_b32 v2, 0 :: v_dual_add_nc_u32 v1, s12, v1
	s_delay_alu instid0(VALU_DEP_1) | instskip(NEXT) | instid1(VALU_DEP_1)
	v_lshlrev_b64 v[1:2], 3, v[1:2]
	v_add_co_u32 v1, s0, s10, v1
	s_delay_alu instid0(VALU_DEP_1)
	v_add_co_ci_u32_e64 v2, s0, s11, v2, s0
	global_load_b64 v[10:11], v[1:2], off
	s_or_b32 exec_lo, exec_lo, s1
                                        ; implicit-def: $vgpr1_vgpr2_vgpr3_vgpr4_vgpr5_vgpr6_vgpr7_vgpr8
	s_and_saveexec_b32 s2, vcc_lo
	s_cbranch_execz .LBB76_10
.LBB76_23:
	s_mov_b32 s0, 0x652b82fe
	s_mov_b32 s1, 0x3ff71547
	;; [unrolled: 1-line block ×3, first 2 shown]
	s_waitcnt vmcnt(0)
	v_mul_f64 v[1:2], v[16:17], s[0:1]
	s_mov_b32 s0, 0xfefa39ef
	s_mov_b32 s1, 0xbfe62e42
	;; [unrolled: 1-line block ×3, first 2 shown]
	s_delay_alu instid0(VALU_DEP_1) | instskip(NEXT) | instid1(VALU_DEP_1)
	v_rndne_f64_e32 v[1:2], v[1:2]
	v_fma_f64 v[3:4], v[1:2], s[0:1], v[16:17]
	s_mov_b32 s0, 0x3b39803f
	s_mov_b32 s1, 0xbc7abc9e
	v_cvt_i32_f64_e32 v7, v[1:2]
	s_delay_alu instid0(VALU_DEP_2)
	v_fma_f64 v[3:4], v[1:2], s[0:1], v[3:4]
	s_mov_b32 s0, 0xfca7ab0c
	s_mov_b32 s1, 0x3e928af3
	s_delay_alu instid0(VALU_DEP_1) | instid1(SALU_CYCLE_1)
	v_fma_f64 v[5:6], v[3:4], s[4:5], s[0:1]
	s_mov_b32 s0, 0x623fde64
	s_mov_b32 s1, 0x3ec71dee
	s_delay_alu instid0(VALU_DEP_1) | instid1(SALU_CYCLE_1)
	;; [unrolled: 4-line block ×9, first 2 shown]
	v_fma_f64 v[5:6], v[3:4], v[5:6], s[0:1]
	v_cmp_nlt_f64_e64 s0, 0x40900000, v[16:17]
	v_cmp_ngt_f64_e64 s1, 0xc090cc00, v[16:17]
	s_delay_alu instid0(VALU_DEP_3) | instskip(NEXT) | instid1(VALU_DEP_1)
	v_fma_f64 v[5:6], v[3:4], v[5:6], 1.0
	v_fma_f64 v[1:2], v[3:4], v[5:6], 1.0
	s_delay_alu instid0(VALU_DEP_1) | instskip(NEXT) | instid1(VALU_DEP_1)
	v_ldexp_f64 v[1:2], v[1:2], v7
	v_cndmask_b32_e64 v2, 0x7ff00000, v2, s0
	s_and_b32 s0, s1, s0
	s_delay_alu instid0(VALU_DEP_2) | instid1(SALU_CYCLE_1)
	v_cndmask_b32_e64 v1, 0, v1, s0
	s_delay_alu instid0(VALU_DEP_2) | instskip(SKIP_1) | instid1(SALU_CYCLE_1)
	v_cndmask_b32_e64 v2, 0, v2, s1
	s_or_b32 exec_lo, exec_lo, s2
	s_mov_b32 s2, exec_lo
	v_cmpx_gt_i32_e64 s7, v18
	s_cbranch_execnz .LBB76_11
	s_branch .LBB76_12
.LBB76_24:
	s_mov_b32 s0, 0x652b82fe
	s_mov_b32 s1, 0x3ff71547
	;; [unrolled: 1-line block ×3, first 2 shown]
	v_mul_f64 v[7:8], v[10:11], s[0:1]
	s_mov_b32 s0, 0xfefa39ef
	s_mov_b32 s1, 0xbfe62e42
	;; [unrolled: 1-line block ×3, first 2 shown]
	s_delay_alu instid0(VALU_DEP_1) | instskip(NEXT) | instid1(VALU_DEP_1)
	v_rndne_f64_e32 v[7:8], v[7:8]
	v_fma_f64 v[12:13], v[7:8], s[0:1], v[10:11]
	s_mov_b32 s0, 0x3b39803f
	s_mov_b32 s1, 0xbc7abc9e
	v_cvt_i32_f64_e32 v16, v[7:8]
	s_delay_alu instid0(VALU_DEP_2)
	v_fma_f64 v[12:13], v[7:8], s[0:1], v[12:13]
	s_mov_b32 s0, 0xfca7ab0c
	s_mov_b32 s1, 0x3e928af3
	s_delay_alu instid0(VALU_DEP_1) | instid1(SALU_CYCLE_1)
	v_fma_f64 v[14:15], v[12:13], s[4:5], s[0:1]
	s_mov_b32 s0, 0x623fde64
	s_mov_b32 s1, 0x3ec71dee
	s_delay_alu instid0(VALU_DEP_1) | instid1(SALU_CYCLE_1)
	;; [unrolled: 4-line block ×9, first 2 shown]
	v_fma_f64 v[14:15], v[12:13], v[14:15], s[0:1]
	v_cmp_nlt_f64_e64 s0, 0x40900000, v[10:11]
	v_cmp_ngt_f64_e64 s1, 0xc090cc00, v[10:11]
	s_delay_alu instid0(VALU_DEP_3) | instskip(NEXT) | instid1(VALU_DEP_1)
	v_fma_f64 v[14:15], v[12:13], v[14:15], 1.0
	v_fma_f64 v[7:8], v[12:13], v[14:15], 1.0
	s_delay_alu instid0(VALU_DEP_1) | instskip(NEXT) | instid1(VALU_DEP_1)
	v_ldexp_f64 v[7:8], v[7:8], v16
	v_cndmask_b32_e64 v8, 0x7ff00000, v8, s0
	s_and_b32 s0, s1, s0
	s_delay_alu instid0(VALU_DEP_2) | instid1(SALU_CYCLE_1)
	v_cndmask_b32_e64 v7, 0, v7, s0
	s_delay_alu instid0(VALU_DEP_2) | instskip(SKIP_2) | instid1(SALU_CYCLE_1)
	v_cndmask_b32_e64 v8, 0, v8, s1
	s_or_b32 exec_lo, exec_lo, s2
	s_and_saveexec_b32 s0, vcc_lo
	s_xor_b32 s0, exec_lo, s0
	s_cbranch_execz .LBB76_16
.LBB76_25:
	v_mov_b32_e32 v10, 0
	v_mov_b32_e32 v0, v18
	s_delay_alu instid0(VALU_DEP_2) | instskip(NEXT) | instid1(VALU_DEP_1)
	v_lshlrev_b64 v[9:10], 3, v[9:10]
	v_add_co_u32 v9, vcc_lo, s8, v9
	s_delay_alu instid0(VALU_DEP_2) | instskip(SKIP_2) | instid1(SALU_CYCLE_1)
	v_add_co_ci_u32_e32 v10, vcc_lo, s9, v10, vcc_lo
	global_store_b64 v[9:10], v[1:2], off
	s_or_b32 exec_lo, exec_lo, s0
	s_mov_b32 s0, exec_lo
	v_cmpx_gt_i32_e64 s7, v0
	s_cbranch_execz .LBB76_17
.LBB76_26:
	v_dual_mov_b32 v2, 0 :: v_dual_add_nc_u32 v1, s12, v0
	v_add_nc_u32_e32 v0, 0x100, v0
	s_delay_alu instid0(VALU_DEP_2) | instskip(NEXT) | instid1(VALU_DEP_1)
	v_lshlrev_b64 v[1:2], 3, v[1:2]
	v_add_co_u32 v1, vcc_lo, s8, v1
	s_delay_alu instid0(VALU_DEP_2) | instskip(SKIP_2) | instid1(SALU_CYCLE_1)
	v_add_co_ci_u32_e32 v2, vcc_lo, s9, v2, vcc_lo
	global_store_b64 v[1:2], v[3:4], off
	s_or_b32 exec_lo, exec_lo, s0
	s_mov_b32 s0, exec_lo
	v_cmpx_gt_i32_e64 s7, v0
	s_cbranch_execz .LBB76_18
.LBB76_27:
	v_dual_mov_b32 v2, 0 :: v_dual_add_nc_u32 v1, s12, v0
	v_add_nc_u32_e32 v0, 0x100, v0
	s_delay_alu instid0(VALU_DEP_2) | instskip(NEXT) | instid1(VALU_DEP_1)
	v_lshlrev_b64 v[1:2], 3, v[1:2]
	v_add_co_u32 v1, vcc_lo, s8, v1
	s_delay_alu instid0(VALU_DEP_2) | instskip(SKIP_2) | instid1(SALU_CYCLE_1)
	v_add_co_ci_u32_e32 v2, vcc_lo, s9, v2, vcc_lo
	global_store_b64 v[1:2], v[5:6], off
	s_or_b32 exec_lo, exec_lo, s0
	s_mov_b32 s0, exec_lo
	v_cmpx_gt_i32_e64 s7, v0
	s_cbranch_execnz .LBB76_19
	s_branch .LBB76_20
	.section	.rodata,"a",@progbits
	.p2align	6, 0x0
	.amdhsa_kernel _ZN2at6native29vectorized_elementwise_kernelILi4EZZZNS0_15exp_kernel_cudaERNS_18TensorIteratorBaseEENKUlvE0_clEvENKUlvE_clEvEUldE_St5arrayIPcLm2EEEEviT0_T1_
		.amdhsa_group_segment_fixed_size 0
		.amdhsa_private_segment_fixed_size 0
		.amdhsa_kernarg_size 24
		.amdhsa_user_sgpr_count 15
		.amdhsa_user_sgpr_dispatch_ptr 0
		.amdhsa_user_sgpr_queue_ptr 0
		.amdhsa_user_sgpr_kernarg_segment_ptr 1
		.amdhsa_user_sgpr_dispatch_id 0
		.amdhsa_user_sgpr_private_segment_size 0
		.amdhsa_wavefront_size32 1
		.amdhsa_uses_dynamic_stack 0
		.amdhsa_enable_private_segment 0
		.amdhsa_system_sgpr_workgroup_id_x 1
		.amdhsa_system_sgpr_workgroup_id_y 0
		.amdhsa_system_sgpr_workgroup_id_z 0
		.amdhsa_system_sgpr_workgroup_info 0
		.amdhsa_system_vgpr_workitem_id 0
		.amdhsa_next_free_vgpr 35
		.amdhsa_next_free_sgpr 16
		.amdhsa_reserve_vcc 1
		.amdhsa_float_round_mode_32 0
		.amdhsa_float_round_mode_16_64 0
		.amdhsa_float_denorm_mode_32 3
		.amdhsa_float_denorm_mode_16_64 3
		.amdhsa_dx10_clamp 1
		.amdhsa_ieee_mode 1
		.amdhsa_fp16_overflow 0
		.amdhsa_workgroup_processor_mode 1
		.amdhsa_memory_ordered 1
		.amdhsa_forward_progress 0
		.amdhsa_shared_vgpr_count 0
		.amdhsa_exception_fp_ieee_invalid_op 0
		.amdhsa_exception_fp_denorm_src 0
		.amdhsa_exception_fp_ieee_div_zero 0
		.amdhsa_exception_fp_ieee_overflow 0
		.amdhsa_exception_fp_ieee_underflow 0
		.amdhsa_exception_fp_ieee_inexact 0
		.amdhsa_exception_int_div_zero 0
	.end_amdhsa_kernel
	.section	.text._ZN2at6native29vectorized_elementwise_kernelILi4EZZZNS0_15exp_kernel_cudaERNS_18TensorIteratorBaseEENKUlvE0_clEvENKUlvE_clEvEUldE_St5arrayIPcLm2EEEEviT0_T1_,"axG",@progbits,_ZN2at6native29vectorized_elementwise_kernelILi4EZZZNS0_15exp_kernel_cudaERNS_18TensorIteratorBaseEENKUlvE0_clEvENKUlvE_clEvEUldE_St5arrayIPcLm2EEEEviT0_T1_,comdat
.Lfunc_end76:
	.size	_ZN2at6native29vectorized_elementwise_kernelILi4EZZZNS0_15exp_kernel_cudaERNS_18TensorIteratorBaseEENKUlvE0_clEvENKUlvE_clEvEUldE_St5arrayIPcLm2EEEEviT0_T1_, .Lfunc_end76-_ZN2at6native29vectorized_elementwise_kernelILi4EZZZNS0_15exp_kernel_cudaERNS_18TensorIteratorBaseEENKUlvE0_clEvENKUlvE_clEvEUldE_St5arrayIPcLm2EEEEviT0_T1_
                                        ; -- End function
	.section	.AMDGPU.csdata,"",@progbits
; Kernel info:
; codeLenInByte = 3856
; NumSgprs: 18
; NumVgprs: 35
; ScratchSize: 0
; MemoryBound: 0
; FloatMode: 240
; IeeeMode: 1
; LDSByteSize: 0 bytes/workgroup (compile time only)
; SGPRBlocks: 2
; VGPRBlocks: 4
; NumSGPRsForWavesPerEU: 18
; NumVGPRsForWavesPerEU: 35
; Occupancy: 16
; WaveLimiterHint : 0
; COMPUTE_PGM_RSRC2:SCRATCH_EN: 0
; COMPUTE_PGM_RSRC2:USER_SGPR: 15
; COMPUTE_PGM_RSRC2:TRAP_HANDLER: 0
; COMPUTE_PGM_RSRC2:TGID_X_EN: 1
; COMPUTE_PGM_RSRC2:TGID_Y_EN: 0
; COMPUTE_PGM_RSRC2:TGID_Z_EN: 0
; COMPUTE_PGM_RSRC2:TIDIG_COMP_CNT: 0
	.section	.text._ZN2at6native29vectorized_elementwise_kernelILi2EZZZNS0_15exp_kernel_cudaERNS_18TensorIteratorBaseEENKUlvE0_clEvENKUlvE_clEvEUldE_St5arrayIPcLm2EEEEviT0_T1_,"axG",@progbits,_ZN2at6native29vectorized_elementwise_kernelILi2EZZZNS0_15exp_kernel_cudaERNS_18TensorIteratorBaseEENKUlvE0_clEvENKUlvE_clEvEUldE_St5arrayIPcLm2EEEEviT0_T1_,comdat
	.globl	_ZN2at6native29vectorized_elementwise_kernelILi2EZZZNS0_15exp_kernel_cudaERNS_18TensorIteratorBaseEENKUlvE0_clEvENKUlvE_clEvEUldE_St5arrayIPcLm2EEEEviT0_T1_ ; -- Begin function _ZN2at6native29vectorized_elementwise_kernelILi2EZZZNS0_15exp_kernel_cudaERNS_18TensorIteratorBaseEENKUlvE0_clEvENKUlvE_clEvEUldE_St5arrayIPcLm2EEEEviT0_T1_
	.p2align	8
	.type	_ZN2at6native29vectorized_elementwise_kernelILi2EZZZNS0_15exp_kernel_cudaERNS_18TensorIteratorBaseEENKUlvE0_clEvENKUlvE_clEvEUldE_St5arrayIPcLm2EEEEviT0_T1_,@function
_ZN2at6native29vectorized_elementwise_kernelILi2EZZZNS0_15exp_kernel_cudaERNS_18TensorIteratorBaseEENKUlvE0_clEvENKUlvE_clEvEUldE_St5arrayIPcLm2EEEEviT0_T1_: ; @_ZN2at6native29vectorized_elementwise_kernelILi2EZZZNS0_15exp_kernel_cudaERNS_18TensorIteratorBaseEENKUlvE0_clEvENKUlvE_clEvEUldE_St5arrayIPcLm2EEEEviT0_T1_
; %bb.0:
	s_clause 0x1
	s_load_b32 s2, s[0:1], 0x0
	s_load_b128 s[8:11], s[0:1], 0x8
	s_lshl_b32 s12, s15, 10
	s_mov_b32 s0, -1
	s_waitcnt lgkmcnt(0)
	s_sub_i32 s7, s2, s12
	s_delay_alu instid0(SALU_CYCLE_1)
	s_cmpk_gt_i32 s7, 0x3ff
	s_cbranch_scc0 .LBB77_2
; %bb.1:
	s_ashr_i32 s13, s12, 31
	v_lshlrev_b32_e32 v33, 4, v0
	s_lshl_b64 s[14:15], s[12:13], 3
	s_delay_alu instid0(SALU_CYCLE_1) | instskip(SKIP_1) | instid1(VALU_DEP_1)
	s_add_u32 s0, s10, s14
	s_addc_u32 s1, s11, s15
	v_add_co_u32 v5, s2, s0, v33
	s_delay_alu instid0(VALU_DEP_1)
	v_add_co_ci_u32_e64 v6, null, s1, 0, s2
	global_load_b128 v[1:4], v33, s[0:1]
	v_add_co_u32 v5, vcc_lo, 0x1000, v5
	v_add_co_ci_u32_e32 v6, vcc_lo, 0, v6, vcc_lo
	s_mov_b32 s2, 0x6a5dcb37
	s_mov_b32 s3, 0x3e5ade15
	global_load_b128 v[5:8], v[5:6], off
	s_mov_b32 s0, 0x652b82fe
	s_mov_b32 s1, 0x3ff71547
	s_waitcnt vmcnt(1)
	v_mul_f64 v[9:10], v[1:2], s[0:1]
	v_mul_f64 v[11:12], v[3:4], s[0:1]
	v_cmp_nlt_f64_e32 vcc_lo, 0x40900000, v[1:2]
	s_waitcnt vmcnt(0)
	v_mul_f64 v[13:14], v[5:6], s[0:1]
	v_mul_f64 v[15:16], v[7:8], s[0:1]
	s_mov_b32 s0, 0xfefa39ef
	s_mov_b32 s1, 0xbfe62e42
	v_cmp_nlt_f64_e64 s5, 0x40900000, v[7:8]
	v_cmp_ngt_f64_e64 s4, 0xc090cc00, v[5:6]
	v_cmp_ngt_f64_e64 s6, 0xc090cc00, v[7:8]
	v_rndne_f64_e32 v[9:10], v[9:10]
	v_rndne_f64_e32 v[11:12], v[11:12]
	;; [unrolled: 1-line block ×4, first 2 shown]
	s_delay_alu instid0(VALU_DEP_4) | instskip(NEXT) | instid1(VALU_DEP_4)
	v_fma_f64 v[17:18], v[9:10], s[0:1], v[1:2]
	v_fma_f64 v[19:20], v[11:12], s[0:1], v[3:4]
	v_cvt_i32_f64_e32 v34, v[9:10]
	v_fma_f64 v[21:22], v[13:14], s[0:1], v[5:6]
	v_fma_f64 v[23:24], v[15:16], s[0:1], v[7:8]
	s_mov_b32 s0, 0x3b39803f
	s_mov_b32 s1, 0xbc7abc9e
	s_delay_alu instid0(SALU_CYCLE_1) | instskip(SKIP_1) | instid1(VALU_DEP_4)
	v_fma_f64 v[17:18], v[9:10], s[0:1], v[17:18]
	v_fma_f64 v[19:20], v[11:12], s[0:1], v[19:20]
	v_fma_f64 v[21:22], v[13:14], s[0:1], v[21:22]
	s_delay_alu instid0(VALU_DEP_4)
	v_fma_f64 v[23:24], v[15:16], s[0:1], v[23:24]
	s_mov_b32 s0, 0xfca7ab0c
	s_mov_b32 s1, 0x3e928af3
	s_delay_alu instid0(VALU_DEP_4) | instid1(SALU_CYCLE_1)
	v_fma_f64 v[25:26], v[17:18], s[2:3], s[0:1]
	s_delay_alu instid0(VALU_DEP_4) | instskip(NEXT) | instid1(VALU_DEP_4)
	v_fma_f64 v[27:28], v[19:20], s[2:3], s[0:1]
	v_fma_f64 v[29:30], v[21:22], s[2:3], s[0:1]
	s_delay_alu instid0(VALU_DEP_4)
	v_fma_f64 v[31:32], v[23:24], s[2:3], s[0:1]
	s_mov_b32 s0, 0x623fde64
	s_mov_b32 s1, 0x3ec71dee
	v_cmp_nlt_f64_e64 s3, 0x40900000, v[5:6]
	v_cmp_ngt_f64_e64 s2, 0xc090cc00, v[3:4]
	v_fma_f64 v[25:26], v[17:18], v[25:26], s[0:1]
	v_fma_f64 v[27:28], v[19:20], v[27:28], s[0:1]
	;; [unrolled: 1-line block ×4, first 2 shown]
	s_mov_b32 s0, 0x7c89e6b0
	s_mov_b32 s1, 0x3efa0199
	s_delay_alu instid0(VALU_DEP_4) | instid1(SALU_CYCLE_1)
	v_fma_f64 v[25:26], v[17:18], v[25:26], s[0:1]
	s_delay_alu instid0(VALU_DEP_4) | instskip(NEXT) | instid1(VALU_DEP_4)
	v_fma_f64 v[27:28], v[19:20], v[27:28], s[0:1]
	v_fma_f64 v[29:30], v[21:22], v[29:30], s[0:1]
	s_delay_alu instid0(VALU_DEP_4)
	v_fma_f64 v[31:32], v[23:24], v[31:32], s[0:1]
	s_mov_b32 s0, 0x14761f6e
	s_mov_b32 s1, 0x3f2a01a0
	s_delay_alu instid0(VALU_DEP_4) | instid1(SALU_CYCLE_1)
	v_fma_f64 v[25:26], v[17:18], v[25:26], s[0:1]
	s_delay_alu instid0(VALU_DEP_4) | instskip(NEXT) | instid1(VALU_DEP_4)
	v_fma_f64 v[27:28], v[19:20], v[27:28], s[0:1]
	v_fma_f64 v[29:30], v[21:22], v[29:30], s[0:1]
	s_delay_alu instid0(VALU_DEP_4)
	v_fma_f64 v[31:32], v[23:24], v[31:32], s[0:1]
	;; [unrolled: 9-line block ×7, first 2 shown]
	v_cmp_nlt_f64_e64 s1, 0x40900000, v[3:4]
	v_cmp_ngt_f64_e64 s0, 0xc090cc00, v[1:2]
	v_fma_f64 v[25:26], v[17:18], v[25:26], 1.0
	v_fma_f64 v[27:28], v[19:20], v[27:28], 1.0
	;; [unrolled: 1-line block ×4, first 2 shown]
	s_delay_alu instid0(VALU_DEP_4)
	v_fma_f64 v[9:10], v[17:18], v[25:26], 1.0
	v_cvt_i32_f64_e32 v17, v[11:12]
	v_fma_f64 v[11:12], v[19:20], v[27:28], 1.0
	v_cvt_i32_f64_e32 v18, v[13:14]
	v_cvt_i32_f64_e32 v19, v[15:16]
	v_fma_f64 v[13:14], v[21:22], v[29:30], 1.0
	v_fma_f64 v[15:16], v[23:24], v[31:32], 1.0
	v_ldexp_f64 v[9:10], v[9:10], v34
	v_ldexp_f64 v[11:12], v[11:12], v17
	s_delay_alu instid0(VALU_DEP_4) | instskip(NEXT) | instid1(VALU_DEP_4)
	v_ldexp_f64 v[13:14], v[13:14], v18
	v_ldexp_f64 v[15:16], v[15:16], v19
	s_delay_alu instid0(VALU_DEP_4) | instskip(SKIP_1) | instid1(VALU_DEP_4)
	v_cndmask_b32_e32 v10, 0x7ff00000, v10, vcc_lo
	s_and_b32 vcc_lo, s0, vcc_lo
	v_cndmask_b32_e64 v1, 0x7ff00000, v12, s1
	s_delay_alu instid0(VALU_DEP_2) | instskip(NEXT) | instid1(VALU_DEP_2)
	v_cndmask_b32_e64 v2, 0, v10, s0
	v_cndmask_b32_e64 v4, 0, v1, s2
	;; [unrolled: 1-line block ×4, first 2 shown]
	v_cndmask_b32_e32 v1, 0, v9, vcc_lo
	s_and_b32 vcc_lo, s2, s1
	s_delay_alu instid0(VALU_DEP_3)
	v_cndmask_b32_e64 v6, 0, v3, s4
	v_cndmask_b32_e32 v3, 0, v11, vcc_lo
	s_and_b32 vcc_lo, s4, s3
	v_cndmask_b32_e64 v8, 0, v5, s6
	v_cndmask_b32_e32 v5, 0, v13, vcc_lo
	s_and_b32 vcc_lo, s6, s5
	s_add_u32 s2, s8, s14
	s_addc_u32 s3, s9, s15
	v_add_co_u32 v9, s0, s2, v33
	s_delay_alu instid0(VALU_DEP_1) | instskip(SKIP_1) | instid1(VALU_DEP_3)
	v_add_co_ci_u32_e64 v10, null, s3, 0, s0
	v_cndmask_b32_e32 v7, 0, v15, vcc_lo
	v_add_co_u32 v9, vcc_lo, 0x1000, v9
	s_delay_alu instid0(VALU_DEP_3)
	v_add_co_ci_u32_e32 v10, vcc_lo, 0, v10, vcc_lo
	s_mov_b32 s0, 0
	s_clause 0x1
	global_store_b128 v33, v[1:4], s[2:3]
	global_store_b128 v[9:10], v[5:8], off
.LBB77_2:
	s_and_not1_b32 vcc_lo, exec_lo, s0
	s_cbranch_vccnz .LBB77_20
; %bb.3:
	v_dual_mov_b32 v14, 0 :: v_dual_mov_b32 v1, v0
	v_mov_b32_e32 v15, 0
	v_cmp_gt_i32_e32 vcc_lo, s7, v0
	v_or_b32_e32 v9, s12, v0
	v_or_b32_e32 v18, 0x100, v0
	s_delay_alu instid0(VALU_DEP_4)
	v_dual_mov_b32 v17, v15 :: v_dual_mov_b32 v16, v14
	s_and_saveexec_b32 s1, vcc_lo
	s_cbranch_execz .LBB77_5
; %bb.4:
	v_mov_b32_e32 v10, 0
	s_delay_alu instid0(VALU_DEP_1) | instskip(NEXT) | instid1(VALU_DEP_1)
	v_lshlrev_b64 v[1:2], 3, v[9:10]
	v_add_co_u32 v1, s0, s10, v1
	s_delay_alu instid0(VALU_DEP_1)
	v_add_co_ci_u32_e64 v2, s0, s11, v2, s0
	global_load_b64 v[16:17], v[1:2], off
	v_or_b32_e32 v1, 0x100, v0
.LBB77_5:
	s_or_b32 exec_lo, exec_lo, s1
	s_delay_alu instid0(SALU_CYCLE_1) | instskip(NEXT) | instid1(VALU_DEP_1)
	s_mov_b32 s1, exec_lo
	v_cmpx_gt_i32_e64 s7, v1
	s_cbranch_execz .LBB77_7
; %bb.6:
	v_dual_mov_b32 v3, 0 :: v_dual_add_nc_u32 v2, s12, v1
	v_add_nc_u32_e32 v1, 0x100, v1
	s_delay_alu instid0(VALU_DEP_2) | instskip(NEXT) | instid1(VALU_DEP_1)
	v_lshlrev_b64 v[2:3], 3, v[2:3]
	v_add_co_u32 v2, s0, s10, v2
	s_delay_alu instid0(VALU_DEP_1)
	v_add_co_ci_u32_e64 v3, s0, s11, v3, s0
	global_load_b64 v[14:15], v[2:3], off
.LBB77_7:
	s_or_b32 exec_lo, exec_lo, s1
	v_mov_b32_e32 v10, 0
	v_mov_b32_e32 v11, 0
	s_mov_b32 s1, exec_lo
	s_delay_alu instid0(VALU_DEP_1)
	v_dual_mov_b32 v13, v11 :: v_dual_mov_b32 v12, v10
	v_cmpx_gt_i32_e64 s7, v1
	s_cbranch_execnz .LBB77_21
; %bb.8:
	s_or_b32 exec_lo, exec_lo, s1
	s_delay_alu instid0(SALU_CYCLE_1)
	s_mov_b32 s1, exec_lo
	v_cmpx_gt_i32_e64 s7, v1
	s_cbranch_execnz .LBB77_22
.LBB77_9:
	s_or_b32 exec_lo, exec_lo, s1
                                        ; implicit-def: $vgpr1_vgpr2_vgpr3_vgpr4_vgpr5_vgpr6_vgpr7_vgpr8
	s_and_saveexec_b32 s2, vcc_lo
	s_cbranch_execnz .LBB77_23
.LBB77_10:
	s_or_b32 exec_lo, exec_lo, s2
	s_delay_alu instid0(SALU_CYCLE_1)
	s_mov_b32 s2, exec_lo
	v_cmpx_gt_i32_e64 s7, v18
	s_cbranch_execz .LBB77_12
.LBB77_11:
	s_mov_b32 s0, 0x652b82fe
	s_mov_b32 s1, 0x3ff71547
	;; [unrolled: 1-line block ×3, first 2 shown]
	s_waitcnt vmcnt(0)
	v_mul_f64 v[3:4], v[14:15], s[0:1]
	s_mov_b32 s0, 0xfefa39ef
	s_mov_b32 s1, 0xbfe62e42
	s_mov_b32 s5, 0x3e5ade15
	s_delay_alu instid0(VALU_DEP_1) | instskip(NEXT) | instid1(VALU_DEP_1)
	v_rndne_f64_e32 v[3:4], v[3:4]
	v_fma_f64 v[16:17], v[3:4], s[0:1], v[14:15]
	s_mov_b32 s0, 0x3b39803f
	s_mov_b32 s1, 0xbc7abc9e
	v_cvt_i32_f64_e32 v21, v[3:4]
	s_delay_alu instid0(VALU_DEP_2)
	v_fma_f64 v[16:17], v[3:4], s[0:1], v[16:17]
	s_mov_b32 s0, 0xfca7ab0c
	s_mov_b32 s1, 0x3e928af3
	s_delay_alu instid0(VALU_DEP_1) | instid1(SALU_CYCLE_1)
	v_fma_f64 v[19:20], v[16:17], s[4:5], s[0:1]
	s_mov_b32 s0, 0x623fde64
	s_mov_b32 s1, 0x3ec71dee
	s_delay_alu instid0(VALU_DEP_1) | instid1(SALU_CYCLE_1)
	;; [unrolled: 4-line block ×9, first 2 shown]
	v_fma_f64 v[19:20], v[16:17], v[19:20], s[0:1]
	v_cmp_nlt_f64_e64 s0, 0x40900000, v[14:15]
	v_cmp_ngt_f64_e64 s1, 0xc090cc00, v[14:15]
	s_delay_alu instid0(VALU_DEP_3) | instskip(NEXT) | instid1(VALU_DEP_1)
	v_fma_f64 v[19:20], v[16:17], v[19:20], 1.0
	v_fma_f64 v[3:4], v[16:17], v[19:20], 1.0
	s_delay_alu instid0(VALU_DEP_1) | instskip(NEXT) | instid1(VALU_DEP_1)
	v_ldexp_f64 v[3:4], v[3:4], v21
	v_cndmask_b32_e64 v4, 0x7ff00000, v4, s0
	s_and_b32 s0, s1, s0
	s_delay_alu instid0(VALU_DEP_2) | instid1(SALU_CYCLE_1)
	v_cndmask_b32_e64 v3, 0, v3, s0
	s_delay_alu instid0(VALU_DEP_2)
	v_cndmask_b32_e64 v4, 0, v4, s1
.LBB77_12:
	s_or_b32 exec_lo, exec_lo, s2
	s_waitcnt vmcnt(0)
	v_or_b32_e32 v14, 0x200, v0
	s_mov_b32 s2, exec_lo
	s_delay_alu instid0(VALU_DEP_1)
	v_cmpx_gt_i32_e64 s7, v14
	s_cbranch_execz .LBB77_14
; %bb.13:
	s_mov_b32 s0, 0x652b82fe
	s_mov_b32 s1, 0x3ff71547
	;; [unrolled: 1-line block ×3, first 2 shown]
	v_mul_f64 v[5:6], v[12:13], s[0:1]
	s_mov_b32 s0, 0xfefa39ef
	s_mov_b32 s1, 0xbfe62e42
	;; [unrolled: 1-line block ×3, first 2 shown]
	s_delay_alu instid0(VALU_DEP_1) | instskip(NEXT) | instid1(VALU_DEP_1)
	v_rndne_f64_e32 v[5:6], v[5:6]
	v_fma_f64 v[14:15], v[5:6], s[0:1], v[12:13]
	s_mov_b32 s0, 0x3b39803f
	s_mov_b32 s1, 0xbc7abc9e
	v_cvt_i32_f64_e32 v19, v[5:6]
	s_delay_alu instid0(VALU_DEP_2)
	v_fma_f64 v[14:15], v[5:6], s[0:1], v[14:15]
	s_mov_b32 s0, 0xfca7ab0c
	s_mov_b32 s1, 0x3e928af3
	s_delay_alu instid0(VALU_DEP_1) | instid1(SALU_CYCLE_1)
	v_fma_f64 v[16:17], v[14:15], s[4:5], s[0:1]
	s_mov_b32 s0, 0x623fde64
	s_mov_b32 s1, 0x3ec71dee
	s_delay_alu instid0(VALU_DEP_1) | instid1(SALU_CYCLE_1)
	;; [unrolled: 4-line block ×9, first 2 shown]
	v_fma_f64 v[16:17], v[14:15], v[16:17], s[0:1]
	v_cmp_nlt_f64_e64 s0, 0x40900000, v[12:13]
	v_cmp_ngt_f64_e64 s1, 0xc090cc00, v[12:13]
	s_delay_alu instid0(VALU_DEP_3) | instskip(NEXT) | instid1(VALU_DEP_1)
	v_fma_f64 v[16:17], v[14:15], v[16:17], 1.0
	v_fma_f64 v[5:6], v[14:15], v[16:17], 1.0
	s_delay_alu instid0(VALU_DEP_1) | instskip(NEXT) | instid1(VALU_DEP_1)
	v_ldexp_f64 v[5:6], v[5:6], v19
	v_cndmask_b32_e64 v6, 0x7ff00000, v6, s0
	s_and_b32 s0, s1, s0
	s_delay_alu instid0(VALU_DEP_2) | instid1(SALU_CYCLE_1)
	v_cndmask_b32_e64 v5, 0, v5, s0
	s_delay_alu instid0(VALU_DEP_2)
	v_cndmask_b32_e64 v6, 0, v6, s1
.LBB77_14:
	s_or_b32 exec_lo, exec_lo, s2
	v_or_b32_e32 v12, 0x300, v0
	s_mov_b32 s2, exec_lo
	s_delay_alu instid0(VALU_DEP_1)
	v_cmpx_gt_i32_e64 s7, v12
	s_cbranch_execnz .LBB77_24
; %bb.15:
	s_or_b32 exec_lo, exec_lo, s2
	s_and_saveexec_b32 s0, vcc_lo
	s_delay_alu instid0(SALU_CYCLE_1)
	s_xor_b32 s0, exec_lo, s0
	s_cbranch_execnz .LBB77_25
.LBB77_16:
	s_or_b32 exec_lo, exec_lo, s0
	s_delay_alu instid0(SALU_CYCLE_1)
	s_mov_b32 s0, exec_lo
	v_cmpx_gt_i32_e64 s7, v0
	s_cbranch_execnz .LBB77_26
.LBB77_17:
	s_or_b32 exec_lo, exec_lo, s0
	s_delay_alu instid0(SALU_CYCLE_1)
	s_mov_b32 s0, exec_lo
	v_cmpx_gt_i32_e64 s7, v0
	s_cbranch_execnz .LBB77_27
.LBB77_18:
	s_or_b32 exec_lo, exec_lo, s0
	s_delay_alu instid0(SALU_CYCLE_1)
	s_mov_b32 s0, exec_lo
	v_cmpx_gt_i32_e64 s7, v0
	s_cbranch_execz .LBB77_20
.LBB77_19:
	v_dual_mov_b32 v1, 0 :: v_dual_add_nc_u32 v0, s12, v0
	s_delay_alu instid0(VALU_DEP_1) | instskip(NEXT) | instid1(VALU_DEP_1)
	v_lshlrev_b64 v[0:1], 3, v[0:1]
	v_add_co_u32 v0, vcc_lo, s8, v0
	s_delay_alu instid0(VALU_DEP_2)
	v_add_co_ci_u32_e32 v1, vcc_lo, s9, v1, vcc_lo
	global_store_b64 v[0:1], v[7:8], off
.LBB77_20:
	s_nop 0
	s_sendmsg sendmsg(MSG_DEALLOC_VGPRS)
	s_endpgm
.LBB77_21:
	v_dual_mov_b32 v3, 0 :: v_dual_add_nc_u32 v2, s12, v1
	v_add_nc_u32_e32 v1, 0x100, v1
	s_delay_alu instid0(VALU_DEP_2) | instskip(NEXT) | instid1(VALU_DEP_1)
	v_lshlrev_b64 v[2:3], 3, v[2:3]
	v_add_co_u32 v2, s0, s10, v2
	s_delay_alu instid0(VALU_DEP_1) | instskip(SKIP_2) | instid1(SALU_CYCLE_1)
	v_add_co_ci_u32_e64 v3, s0, s11, v3, s0
	global_load_b64 v[12:13], v[2:3], off
	s_or_b32 exec_lo, exec_lo, s1
	s_mov_b32 s1, exec_lo
	v_cmpx_gt_i32_e64 s7, v1
	s_cbranch_execz .LBB77_9
.LBB77_22:
	v_dual_mov_b32 v2, 0 :: v_dual_add_nc_u32 v1, s12, v1
	s_delay_alu instid0(VALU_DEP_1) | instskip(NEXT) | instid1(VALU_DEP_1)
	v_lshlrev_b64 v[1:2], 3, v[1:2]
	v_add_co_u32 v1, s0, s10, v1
	s_delay_alu instid0(VALU_DEP_1)
	v_add_co_ci_u32_e64 v2, s0, s11, v2, s0
	global_load_b64 v[10:11], v[1:2], off
	s_or_b32 exec_lo, exec_lo, s1
                                        ; implicit-def: $vgpr1_vgpr2_vgpr3_vgpr4_vgpr5_vgpr6_vgpr7_vgpr8
	s_and_saveexec_b32 s2, vcc_lo
	s_cbranch_execz .LBB77_10
.LBB77_23:
	s_mov_b32 s0, 0x652b82fe
	s_mov_b32 s1, 0x3ff71547
	s_mov_b32 s4, 0x6a5dcb37
	s_waitcnt vmcnt(0)
	v_mul_f64 v[1:2], v[16:17], s[0:1]
	s_mov_b32 s0, 0xfefa39ef
	s_mov_b32 s1, 0xbfe62e42
	;; [unrolled: 1-line block ×3, first 2 shown]
	s_delay_alu instid0(VALU_DEP_1) | instskip(NEXT) | instid1(VALU_DEP_1)
	v_rndne_f64_e32 v[1:2], v[1:2]
	v_fma_f64 v[3:4], v[1:2], s[0:1], v[16:17]
	s_mov_b32 s0, 0x3b39803f
	s_mov_b32 s1, 0xbc7abc9e
	v_cvt_i32_f64_e32 v7, v[1:2]
	s_delay_alu instid0(VALU_DEP_2)
	v_fma_f64 v[3:4], v[1:2], s[0:1], v[3:4]
	s_mov_b32 s0, 0xfca7ab0c
	s_mov_b32 s1, 0x3e928af3
	s_delay_alu instid0(VALU_DEP_1) | instid1(SALU_CYCLE_1)
	v_fma_f64 v[5:6], v[3:4], s[4:5], s[0:1]
	s_mov_b32 s0, 0x623fde64
	s_mov_b32 s1, 0x3ec71dee
	s_delay_alu instid0(VALU_DEP_1) | instid1(SALU_CYCLE_1)
	;; [unrolled: 4-line block ×9, first 2 shown]
	v_fma_f64 v[5:6], v[3:4], v[5:6], s[0:1]
	v_cmp_nlt_f64_e64 s0, 0x40900000, v[16:17]
	v_cmp_ngt_f64_e64 s1, 0xc090cc00, v[16:17]
	s_delay_alu instid0(VALU_DEP_3) | instskip(NEXT) | instid1(VALU_DEP_1)
	v_fma_f64 v[5:6], v[3:4], v[5:6], 1.0
	v_fma_f64 v[1:2], v[3:4], v[5:6], 1.0
	s_delay_alu instid0(VALU_DEP_1) | instskip(NEXT) | instid1(VALU_DEP_1)
	v_ldexp_f64 v[1:2], v[1:2], v7
	v_cndmask_b32_e64 v2, 0x7ff00000, v2, s0
	s_and_b32 s0, s1, s0
	s_delay_alu instid0(VALU_DEP_2) | instid1(SALU_CYCLE_1)
	v_cndmask_b32_e64 v1, 0, v1, s0
	s_delay_alu instid0(VALU_DEP_2) | instskip(SKIP_1) | instid1(SALU_CYCLE_1)
	v_cndmask_b32_e64 v2, 0, v2, s1
	s_or_b32 exec_lo, exec_lo, s2
	s_mov_b32 s2, exec_lo
	v_cmpx_gt_i32_e64 s7, v18
	s_cbranch_execnz .LBB77_11
	s_branch .LBB77_12
.LBB77_24:
	s_mov_b32 s0, 0x652b82fe
	s_mov_b32 s1, 0x3ff71547
	;; [unrolled: 1-line block ×3, first 2 shown]
	v_mul_f64 v[7:8], v[10:11], s[0:1]
	s_mov_b32 s0, 0xfefa39ef
	s_mov_b32 s1, 0xbfe62e42
	s_mov_b32 s5, 0x3e5ade15
	s_delay_alu instid0(VALU_DEP_1) | instskip(NEXT) | instid1(VALU_DEP_1)
	v_rndne_f64_e32 v[7:8], v[7:8]
	v_fma_f64 v[12:13], v[7:8], s[0:1], v[10:11]
	s_mov_b32 s0, 0x3b39803f
	s_mov_b32 s1, 0xbc7abc9e
	v_cvt_i32_f64_e32 v16, v[7:8]
	s_delay_alu instid0(VALU_DEP_2)
	v_fma_f64 v[12:13], v[7:8], s[0:1], v[12:13]
	s_mov_b32 s0, 0xfca7ab0c
	s_mov_b32 s1, 0x3e928af3
	s_delay_alu instid0(VALU_DEP_1) | instid1(SALU_CYCLE_1)
	v_fma_f64 v[14:15], v[12:13], s[4:5], s[0:1]
	s_mov_b32 s0, 0x623fde64
	s_mov_b32 s1, 0x3ec71dee
	s_delay_alu instid0(VALU_DEP_1) | instid1(SALU_CYCLE_1)
	;; [unrolled: 4-line block ×9, first 2 shown]
	v_fma_f64 v[14:15], v[12:13], v[14:15], s[0:1]
	v_cmp_nlt_f64_e64 s0, 0x40900000, v[10:11]
	v_cmp_ngt_f64_e64 s1, 0xc090cc00, v[10:11]
	s_delay_alu instid0(VALU_DEP_3) | instskip(NEXT) | instid1(VALU_DEP_1)
	v_fma_f64 v[14:15], v[12:13], v[14:15], 1.0
	v_fma_f64 v[7:8], v[12:13], v[14:15], 1.0
	s_delay_alu instid0(VALU_DEP_1) | instskip(NEXT) | instid1(VALU_DEP_1)
	v_ldexp_f64 v[7:8], v[7:8], v16
	v_cndmask_b32_e64 v8, 0x7ff00000, v8, s0
	s_and_b32 s0, s1, s0
	s_delay_alu instid0(VALU_DEP_2) | instid1(SALU_CYCLE_1)
	v_cndmask_b32_e64 v7, 0, v7, s0
	s_delay_alu instid0(VALU_DEP_2) | instskip(SKIP_2) | instid1(SALU_CYCLE_1)
	v_cndmask_b32_e64 v8, 0, v8, s1
	s_or_b32 exec_lo, exec_lo, s2
	s_and_saveexec_b32 s0, vcc_lo
	s_xor_b32 s0, exec_lo, s0
	s_cbranch_execz .LBB77_16
.LBB77_25:
	v_mov_b32_e32 v10, 0
	v_mov_b32_e32 v0, v18
	s_delay_alu instid0(VALU_DEP_2) | instskip(NEXT) | instid1(VALU_DEP_1)
	v_lshlrev_b64 v[9:10], 3, v[9:10]
	v_add_co_u32 v9, vcc_lo, s8, v9
	s_delay_alu instid0(VALU_DEP_2) | instskip(SKIP_2) | instid1(SALU_CYCLE_1)
	v_add_co_ci_u32_e32 v10, vcc_lo, s9, v10, vcc_lo
	global_store_b64 v[9:10], v[1:2], off
	s_or_b32 exec_lo, exec_lo, s0
	s_mov_b32 s0, exec_lo
	v_cmpx_gt_i32_e64 s7, v0
	s_cbranch_execz .LBB77_17
.LBB77_26:
	v_dual_mov_b32 v2, 0 :: v_dual_add_nc_u32 v1, s12, v0
	v_add_nc_u32_e32 v0, 0x100, v0
	s_delay_alu instid0(VALU_DEP_2) | instskip(NEXT) | instid1(VALU_DEP_1)
	v_lshlrev_b64 v[1:2], 3, v[1:2]
	v_add_co_u32 v1, vcc_lo, s8, v1
	s_delay_alu instid0(VALU_DEP_2) | instskip(SKIP_2) | instid1(SALU_CYCLE_1)
	v_add_co_ci_u32_e32 v2, vcc_lo, s9, v2, vcc_lo
	global_store_b64 v[1:2], v[3:4], off
	s_or_b32 exec_lo, exec_lo, s0
	s_mov_b32 s0, exec_lo
	v_cmpx_gt_i32_e64 s7, v0
	s_cbranch_execz .LBB77_18
.LBB77_27:
	v_dual_mov_b32 v2, 0 :: v_dual_add_nc_u32 v1, s12, v0
	v_add_nc_u32_e32 v0, 0x100, v0
	s_delay_alu instid0(VALU_DEP_2) | instskip(NEXT) | instid1(VALU_DEP_1)
	v_lshlrev_b64 v[1:2], 3, v[1:2]
	v_add_co_u32 v1, vcc_lo, s8, v1
	s_delay_alu instid0(VALU_DEP_2) | instskip(SKIP_2) | instid1(SALU_CYCLE_1)
	v_add_co_ci_u32_e32 v2, vcc_lo, s9, v2, vcc_lo
	global_store_b64 v[1:2], v[5:6], off
	s_or_b32 exec_lo, exec_lo, s0
	s_mov_b32 s0, exec_lo
	v_cmpx_gt_i32_e64 s7, v0
	s_cbranch_execnz .LBB77_19
	s_branch .LBB77_20
	.section	.rodata,"a",@progbits
	.p2align	6, 0x0
	.amdhsa_kernel _ZN2at6native29vectorized_elementwise_kernelILi2EZZZNS0_15exp_kernel_cudaERNS_18TensorIteratorBaseEENKUlvE0_clEvENKUlvE_clEvEUldE_St5arrayIPcLm2EEEEviT0_T1_
		.amdhsa_group_segment_fixed_size 0
		.amdhsa_private_segment_fixed_size 0
		.amdhsa_kernarg_size 24
		.amdhsa_user_sgpr_count 15
		.amdhsa_user_sgpr_dispatch_ptr 0
		.amdhsa_user_sgpr_queue_ptr 0
		.amdhsa_user_sgpr_kernarg_segment_ptr 1
		.amdhsa_user_sgpr_dispatch_id 0
		.amdhsa_user_sgpr_private_segment_size 0
		.amdhsa_wavefront_size32 1
		.amdhsa_uses_dynamic_stack 0
		.amdhsa_enable_private_segment 0
		.amdhsa_system_sgpr_workgroup_id_x 1
		.amdhsa_system_sgpr_workgroup_id_y 0
		.amdhsa_system_sgpr_workgroup_id_z 0
		.amdhsa_system_sgpr_workgroup_info 0
		.amdhsa_system_vgpr_workitem_id 0
		.amdhsa_next_free_vgpr 35
		.amdhsa_next_free_sgpr 16
		.amdhsa_reserve_vcc 1
		.amdhsa_float_round_mode_32 0
		.amdhsa_float_round_mode_16_64 0
		.amdhsa_float_denorm_mode_32 3
		.amdhsa_float_denorm_mode_16_64 3
		.amdhsa_dx10_clamp 1
		.amdhsa_ieee_mode 1
		.amdhsa_fp16_overflow 0
		.amdhsa_workgroup_processor_mode 1
		.amdhsa_memory_ordered 1
		.amdhsa_forward_progress 0
		.amdhsa_shared_vgpr_count 0
		.amdhsa_exception_fp_ieee_invalid_op 0
		.amdhsa_exception_fp_denorm_src 0
		.amdhsa_exception_fp_ieee_div_zero 0
		.amdhsa_exception_fp_ieee_overflow 0
		.amdhsa_exception_fp_ieee_underflow 0
		.amdhsa_exception_fp_ieee_inexact 0
		.amdhsa_exception_int_div_zero 0
	.end_amdhsa_kernel
	.section	.text._ZN2at6native29vectorized_elementwise_kernelILi2EZZZNS0_15exp_kernel_cudaERNS_18TensorIteratorBaseEENKUlvE0_clEvENKUlvE_clEvEUldE_St5arrayIPcLm2EEEEviT0_T1_,"axG",@progbits,_ZN2at6native29vectorized_elementwise_kernelILi2EZZZNS0_15exp_kernel_cudaERNS_18TensorIteratorBaseEENKUlvE0_clEvENKUlvE_clEvEUldE_St5arrayIPcLm2EEEEviT0_T1_,comdat
.Lfunc_end77:
	.size	_ZN2at6native29vectorized_elementwise_kernelILi2EZZZNS0_15exp_kernel_cudaERNS_18TensorIteratorBaseEENKUlvE0_clEvENKUlvE_clEvEUldE_St5arrayIPcLm2EEEEviT0_T1_, .Lfunc_end77-_ZN2at6native29vectorized_elementwise_kernelILi2EZZZNS0_15exp_kernel_cudaERNS_18TensorIteratorBaseEENKUlvE0_clEvENKUlvE_clEvEUldE_St5arrayIPcLm2EEEEviT0_T1_
                                        ; -- End function
	.section	.AMDGPU.csdata,"",@progbits
; Kernel info:
; codeLenInByte = 3940
; NumSgprs: 18
; NumVgprs: 35
; ScratchSize: 0
; MemoryBound: 0
; FloatMode: 240
; IeeeMode: 1
; LDSByteSize: 0 bytes/workgroup (compile time only)
; SGPRBlocks: 2
; VGPRBlocks: 4
; NumSGPRsForWavesPerEU: 18
; NumVGPRsForWavesPerEU: 35
; Occupancy: 16
; WaveLimiterHint : 1
; COMPUTE_PGM_RSRC2:SCRATCH_EN: 0
; COMPUTE_PGM_RSRC2:USER_SGPR: 15
; COMPUTE_PGM_RSRC2:TRAP_HANDLER: 0
; COMPUTE_PGM_RSRC2:TGID_X_EN: 1
; COMPUTE_PGM_RSRC2:TGID_Y_EN: 0
; COMPUTE_PGM_RSRC2:TGID_Z_EN: 0
; COMPUTE_PGM_RSRC2:TIDIG_COMP_CNT: 0
	.section	.text._ZN2at6native27unrolled_elementwise_kernelIZZZNS0_15exp_kernel_cudaERNS_18TensorIteratorBaseEENKUlvE0_clEvENKUlvE_clEvEUldE_St5arrayIPcLm2EELi4E23TrivialOffsetCalculatorILi1EjESB_NS0_6memory15LoadWithoutCastENSC_16StoreWithoutCastEEEviT_T0_T2_T3_T4_T5_,"axG",@progbits,_ZN2at6native27unrolled_elementwise_kernelIZZZNS0_15exp_kernel_cudaERNS_18TensorIteratorBaseEENKUlvE0_clEvENKUlvE_clEvEUldE_St5arrayIPcLm2EELi4E23TrivialOffsetCalculatorILi1EjESB_NS0_6memory15LoadWithoutCastENSC_16StoreWithoutCastEEEviT_T0_T2_T3_T4_T5_,comdat
	.globl	_ZN2at6native27unrolled_elementwise_kernelIZZZNS0_15exp_kernel_cudaERNS_18TensorIteratorBaseEENKUlvE0_clEvENKUlvE_clEvEUldE_St5arrayIPcLm2EELi4E23TrivialOffsetCalculatorILi1EjESB_NS0_6memory15LoadWithoutCastENSC_16StoreWithoutCastEEEviT_T0_T2_T3_T4_T5_ ; -- Begin function _ZN2at6native27unrolled_elementwise_kernelIZZZNS0_15exp_kernel_cudaERNS_18TensorIteratorBaseEENKUlvE0_clEvENKUlvE_clEvEUldE_St5arrayIPcLm2EELi4E23TrivialOffsetCalculatorILi1EjESB_NS0_6memory15LoadWithoutCastENSC_16StoreWithoutCastEEEviT_T0_T2_T3_T4_T5_
	.p2align	8
	.type	_ZN2at6native27unrolled_elementwise_kernelIZZZNS0_15exp_kernel_cudaERNS_18TensorIteratorBaseEENKUlvE0_clEvENKUlvE_clEvEUldE_St5arrayIPcLm2EELi4E23TrivialOffsetCalculatorILi1EjESB_NS0_6memory15LoadWithoutCastENSC_16StoreWithoutCastEEEviT_T0_T2_T3_T4_T5_,@function
_ZN2at6native27unrolled_elementwise_kernelIZZZNS0_15exp_kernel_cudaERNS_18TensorIteratorBaseEENKUlvE0_clEvENKUlvE_clEvEUldE_St5arrayIPcLm2EELi4E23TrivialOffsetCalculatorILi1EjESB_NS0_6memory15LoadWithoutCastENSC_16StoreWithoutCastEEEviT_T0_T2_T3_T4_T5_: ; @_ZN2at6native27unrolled_elementwise_kernelIZZZNS0_15exp_kernel_cudaERNS_18TensorIteratorBaseEENKUlvE0_clEvENKUlvE_clEvEUldE_St5arrayIPcLm2EELi4E23TrivialOffsetCalculatorILi1EjESB_NS0_6memory15LoadWithoutCastENSC_16StoreWithoutCastEEEviT_T0_T2_T3_T4_T5_
; %bb.0:
	s_clause 0x1
	s_load_b32 s3, s[0:1], 0x0
	s_load_b128 s[4:7], s[0:1], 0x8
	v_dual_mov_b32 v14, 0 :: v_dual_mov_b32 v1, v0
	v_mov_b32_e32 v15, 0
	s_lshl_b32 s2, s15, 10
	v_or_b32_e32 v18, 0x100, v0
	v_or_b32_e32 v9, s2, v0
	s_delay_alu instid0(VALU_DEP_3) | instskip(SKIP_2) | instid1(SALU_CYCLE_1)
	v_dual_mov_b32 v17, v15 :: v_dual_mov_b32 v16, v14
	s_waitcnt lgkmcnt(0)
	s_sub_i32 s3, s3, s2
	v_cmp_gt_i32_e32 vcc_lo, s3, v0
	s_and_saveexec_b32 s1, vcc_lo
	s_cbranch_execz .LBB78_2
; %bb.1:
	v_mov_b32_e32 v10, 0
	s_delay_alu instid0(VALU_DEP_1) | instskip(NEXT) | instid1(VALU_DEP_1)
	v_lshlrev_b64 v[1:2], 3, v[9:10]
	v_add_co_u32 v1, s0, s6, v1
	s_delay_alu instid0(VALU_DEP_1)
	v_add_co_ci_u32_e64 v2, s0, s7, v2, s0
	global_load_b64 v[16:17], v[1:2], off
	v_or_b32_e32 v1, 0x100, v0
.LBB78_2:
	s_or_b32 exec_lo, exec_lo, s1
	s_delay_alu instid0(SALU_CYCLE_1) | instskip(NEXT) | instid1(VALU_DEP_1)
	s_mov_b32 s1, exec_lo
	v_cmpx_gt_i32_e64 s3, v1
	s_cbranch_execz .LBB78_4
; %bb.3:
	v_dual_mov_b32 v3, 0 :: v_dual_add_nc_u32 v2, s2, v1
	v_add_nc_u32_e32 v1, 0x100, v1
	s_delay_alu instid0(VALU_DEP_2) | instskip(NEXT) | instid1(VALU_DEP_1)
	v_lshlrev_b64 v[2:3], 3, v[2:3]
	v_add_co_u32 v2, s0, s6, v2
	s_delay_alu instid0(VALU_DEP_1)
	v_add_co_ci_u32_e64 v3, s0, s7, v3, s0
	global_load_b64 v[14:15], v[2:3], off
.LBB78_4:
	s_or_b32 exec_lo, exec_lo, s1
	v_mov_b32_e32 v10, 0
	v_mov_b32_e32 v11, 0
	s_mov_b32 s1, exec_lo
	s_delay_alu instid0(VALU_DEP_1)
	v_dual_mov_b32 v13, v11 :: v_dual_mov_b32 v12, v10
	v_cmpx_gt_i32_e64 s3, v1
	s_cbranch_execnz .LBB78_17
; %bb.5:
	s_or_b32 exec_lo, exec_lo, s1
	s_delay_alu instid0(SALU_CYCLE_1)
	s_mov_b32 s1, exec_lo
	v_cmpx_gt_i32_e64 s3, v1
	s_cbranch_execnz .LBB78_18
.LBB78_6:
	s_or_b32 exec_lo, exec_lo, s1
                                        ; implicit-def: $vgpr1_vgpr2_vgpr3_vgpr4_vgpr5_vgpr6_vgpr7_vgpr8
	s_and_saveexec_b32 s6, vcc_lo
	s_cbranch_execnz .LBB78_19
.LBB78_7:
	s_or_b32 exec_lo, exec_lo, s6
	s_delay_alu instid0(SALU_CYCLE_1)
	s_mov_b32 s6, exec_lo
	v_cmpx_gt_i32_e64 s3, v18
	s_cbranch_execz .LBB78_9
.LBB78_8:
	s_mov_b32 s0, 0x652b82fe
	s_mov_b32 s1, 0x3ff71547
	;; [unrolled: 1-line block ×3, first 2 shown]
	s_waitcnt vmcnt(0)
	v_mul_f64 v[3:4], v[14:15], s[0:1]
	s_mov_b32 s0, 0xfefa39ef
	s_mov_b32 s1, 0xbfe62e42
	;; [unrolled: 1-line block ×3, first 2 shown]
	s_delay_alu instid0(VALU_DEP_1) | instskip(NEXT) | instid1(VALU_DEP_1)
	v_rndne_f64_e32 v[3:4], v[3:4]
	v_fma_f64 v[16:17], v[3:4], s[0:1], v[14:15]
	s_mov_b32 s0, 0x3b39803f
	s_mov_b32 s1, 0xbc7abc9e
	v_cvt_i32_f64_e32 v21, v[3:4]
	s_delay_alu instid0(VALU_DEP_2)
	v_fma_f64 v[16:17], v[3:4], s[0:1], v[16:17]
	s_mov_b32 s0, 0xfca7ab0c
	s_mov_b32 s1, 0x3e928af3
	s_delay_alu instid0(VALU_DEP_1) | instid1(SALU_CYCLE_1)
	v_fma_f64 v[19:20], v[16:17], s[8:9], s[0:1]
	s_mov_b32 s0, 0x623fde64
	s_mov_b32 s1, 0x3ec71dee
	s_delay_alu instid0(VALU_DEP_1) | instid1(SALU_CYCLE_1)
	;; [unrolled: 4-line block ×9, first 2 shown]
	v_fma_f64 v[19:20], v[16:17], v[19:20], s[0:1]
	v_cmp_nlt_f64_e64 s0, 0x40900000, v[14:15]
	v_cmp_ngt_f64_e64 s1, 0xc090cc00, v[14:15]
	s_delay_alu instid0(VALU_DEP_3) | instskip(NEXT) | instid1(VALU_DEP_1)
	v_fma_f64 v[19:20], v[16:17], v[19:20], 1.0
	v_fma_f64 v[3:4], v[16:17], v[19:20], 1.0
	s_delay_alu instid0(VALU_DEP_1) | instskip(NEXT) | instid1(VALU_DEP_1)
	v_ldexp_f64 v[3:4], v[3:4], v21
	v_cndmask_b32_e64 v4, 0x7ff00000, v4, s0
	s_and_b32 s0, s1, s0
	s_delay_alu instid0(VALU_DEP_2) | instid1(SALU_CYCLE_1)
	v_cndmask_b32_e64 v3, 0, v3, s0
	s_delay_alu instid0(VALU_DEP_2)
	v_cndmask_b32_e64 v4, 0, v4, s1
.LBB78_9:
	s_or_b32 exec_lo, exec_lo, s6
	s_waitcnt vmcnt(0)
	v_or_b32_e32 v14, 0x200, v0
	s_mov_b32 s6, exec_lo
	s_delay_alu instid0(VALU_DEP_1)
	v_cmpx_gt_i32_e64 s3, v14
	s_cbranch_execz .LBB78_11
; %bb.10:
	s_mov_b32 s0, 0x652b82fe
	s_mov_b32 s1, 0x3ff71547
	;; [unrolled: 1-line block ×3, first 2 shown]
	v_mul_f64 v[5:6], v[12:13], s[0:1]
	s_mov_b32 s0, 0xfefa39ef
	s_mov_b32 s1, 0xbfe62e42
	;; [unrolled: 1-line block ×3, first 2 shown]
	s_delay_alu instid0(VALU_DEP_1) | instskip(NEXT) | instid1(VALU_DEP_1)
	v_rndne_f64_e32 v[5:6], v[5:6]
	v_fma_f64 v[14:15], v[5:6], s[0:1], v[12:13]
	s_mov_b32 s0, 0x3b39803f
	s_mov_b32 s1, 0xbc7abc9e
	v_cvt_i32_f64_e32 v19, v[5:6]
	s_delay_alu instid0(VALU_DEP_2)
	v_fma_f64 v[14:15], v[5:6], s[0:1], v[14:15]
	s_mov_b32 s0, 0xfca7ab0c
	s_mov_b32 s1, 0x3e928af3
	s_delay_alu instid0(VALU_DEP_1) | instid1(SALU_CYCLE_1)
	v_fma_f64 v[16:17], v[14:15], s[8:9], s[0:1]
	s_mov_b32 s0, 0x623fde64
	s_mov_b32 s1, 0x3ec71dee
	s_delay_alu instid0(VALU_DEP_1) | instid1(SALU_CYCLE_1)
	;; [unrolled: 4-line block ×9, first 2 shown]
	v_fma_f64 v[16:17], v[14:15], v[16:17], s[0:1]
	v_cmp_nlt_f64_e64 s0, 0x40900000, v[12:13]
	v_cmp_ngt_f64_e64 s1, 0xc090cc00, v[12:13]
	s_delay_alu instid0(VALU_DEP_3) | instskip(NEXT) | instid1(VALU_DEP_1)
	v_fma_f64 v[16:17], v[14:15], v[16:17], 1.0
	v_fma_f64 v[5:6], v[14:15], v[16:17], 1.0
	s_delay_alu instid0(VALU_DEP_1) | instskip(NEXT) | instid1(VALU_DEP_1)
	v_ldexp_f64 v[5:6], v[5:6], v19
	v_cndmask_b32_e64 v6, 0x7ff00000, v6, s0
	s_and_b32 s0, s1, s0
	s_delay_alu instid0(VALU_DEP_2) | instid1(SALU_CYCLE_1)
	v_cndmask_b32_e64 v5, 0, v5, s0
	s_delay_alu instid0(VALU_DEP_2)
	v_cndmask_b32_e64 v6, 0, v6, s1
.LBB78_11:
	s_or_b32 exec_lo, exec_lo, s6
	v_or_b32_e32 v12, 0x300, v0
	s_mov_b32 s6, exec_lo
	s_delay_alu instid0(VALU_DEP_1)
	v_cmpx_gt_i32_e64 s3, v12
	s_cbranch_execnz .LBB78_20
; %bb.12:
	s_or_b32 exec_lo, exec_lo, s6
	s_and_saveexec_b32 s0, vcc_lo
	s_delay_alu instid0(SALU_CYCLE_1)
	s_xor_b32 s0, exec_lo, s0
	s_cbranch_execnz .LBB78_21
.LBB78_13:
	s_or_b32 exec_lo, exec_lo, s0
	s_delay_alu instid0(SALU_CYCLE_1)
	s_mov_b32 s0, exec_lo
	v_cmpx_gt_i32_e64 s3, v0
	s_cbranch_execnz .LBB78_22
.LBB78_14:
	s_or_b32 exec_lo, exec_lo, s0
	s_delay_alu instid0(SALU_CYCLE_1)
	s_mov_b32 s0, exec_lo
	v_cmpx_gt_i32_e64 s3, v0
	s_cbranch_execnz .LBB78_23
.LBB78_15:
	s_or_b32 exec_lo, exec_lo, s0
	s_delay_alu instid0(SALU_CYCLE_1)
	s_mov_b32 s0, exec_lo
	v_cmpx_gt_i32_e64 s3, v0
	s_cbranch_execnz .LBB78_24
.LBB78_16:
	s_nop 0
	s_sendmsg sendmsg(MSG_DEALLOC_VGPRS)
	s_endpgm
.LBB78_17:
	v_dual_mov_b32 v3, 0 :: v_dual_add_nc_u32 v2, s2, v1
	v_add_nc_u32_e32 v1, 0x100, v1
	s_delay_alu instid0(VALU_DEP_2) | instskip(NEXT) | instid1(VALU_DEP_1)
	v_lshlrev_b64 v[2:3], 3, v[2:3]
	v_add_co_u32 v2, s0, s6, v2
	s_delay_alu instid0(VALU_DEP_1) | instskip(SKIP_2) | instid1(SALU_CYCLE_1)
	v_add_co_ci_u32_e64 v3, s0, s7, v3, s0
	global_load_b64 v[12:13], v[2:3], off
	s_or_b32 exec_lo, exec_lo, s1
	s_mov_b32 s1, exec_lo
	v_cmpx_gt_i32_e64 s3, v1
	s_cbranch_execz .LBB78_6
.LBB78_18:
	v_dual_mov_b32 v2, 0 :: v_dual_add_nc_u32 v1, s2, v1
	s_delay_alu instid0(VALU_DEP_1) | instskip(NEXT) | instid1(VALU_DEP_1)
	v_lshlrev_b64 v[1:2], 3, v[1:2]
	v_add_co_u32 v1, s0, s6, v1
	s_delay_alu instid0(VALU_DEP_1)
	v_add_co_ci_u32_e64 v2, s0, s7, v2, s0
	global_load_b64 v[10:11], v[1:2], off
	s_or_b32 exec_lo, exec_lo, s1
                                        ; implicit-def: $vgpr1_vgpr2_vgpr3_vgpr4_vgpr5_vgpr6_vgpr7_vgpr8
	s_and_saveexec_b32 s6, vcc_lo
	s_cbranch_execz .LBB78_7
.LBB78_19:
	s_mov_b32 s0, 0x652b82fe
	s_mov_b32 s1, 0x3ff71547
	;; [unrolled: 1-line block ×3, first 2 shown]
	s_waitcnt vmcnt(0)
	v_mul_f64 v[1:2], v[16:17], s[0:1]
	s_mov_b32 s0, 0xfefa39ef
	s_mov_b32 s1, 0xbfe62e42
	;; [unrolled: 1-line block ×3, first 2 shown]
	s_delay_alu instid0(VALU_DEP_1) | instskip(NEXT) | instid1(VALU_DEP_1)
	v_rndne_f64_e32 v[1:2], v[1:2]
	v_fma_f64 v[3:4], v[1:2], s[0:1], v[16:17]
	s_mov_b32 s0, 0x3b39803f
	s_mov_b32 s1, 0xbc7abc9e
	v_cvt_i32_f64_e32 v7, v[1:2]
	s_delay_alu instid0(VALU_DEP_2)
	v_fma_f64 v[3:4], v[1:2], s[0:1], v[3:4]
	s_mov_b32 s0, 0xfca7ab0c
	s_mov_b32 s1, 0x3e928af3
	s_delay_alu instid0(VALU_DEP_1) | instid1(SALU_CYCLE_1)
	v_fma_f64 v[5:6], v[3:4], s[8:9], s[0:1]
	s_mov_b32 s0, 0x623fde64
	s_mov_b32 s1, 0x3ec71dee
	s_delay_alu instid0(VALU_DEP_1) | instid1(SALU_CYCLE_1)
	;; [unrolled: 4-line block ×9, first 2 shown]
	v_fma_f64 v[5:6], v[3:4], v[5:6], s[0:1]
	v_cmp_nlt_f64_e64 s0, 0x40900000, v[16:17]
	v_cmp_ngt_f64_e64 s1, 0xc090cc00, v[16:17]
	s_delay_alu instid0(VALU_DEP_3) | instskip(NEXT) | instid1(VALU_DEP_1)
	v_fma_f64 v[5:6], v[3:4], v[5:6], 1.0
	v_fma_f64 v[1:2], v[3:4], v[5:6], 1.0
	s_delay_alu instid0(VALU_DEP_1) | instskip(NEXT) | instid1(VALU_DEP_1)
	v_ldexp_f64 v[1:2], v[1:2], v7
	v_cndmask_b32_e64 v2, 0x7ff00000, v2, s0
	s_and_b32 s0, s1, s0
	s_delay_alu instid0(VALU_DEP_2) | instid1(SALU_CYCLE_1)
	v_cndmask_b32_e64 v1, 0, v1, s0
	s_delay_alu instid0(VALU_DEP_2) | instskip(SKIP_1) | instid1(SALU_CYCLE_1)
	v_cndmask_b32_e64 v2, 0, v2, s1
	s_or_b32 exec_lo, exec_lo, s6
	s_mov_b32 s6, exec_lo
	v_cmpx_gt_i32_e64 s3, v18
	s_cbranch_execnz .LBB78_8
	s_branch .LBB78_9
.LBB78_20:
	s_mov_b32 s0, 0x652b82fe
	s_mov_b32 s1, 0x3ff71547
	;; [unrolled: 1-line block ×3, first 2 shown]
	v_mul_f64 v[7:8], v[10:11], s[0:1]
	s_mov_b32 s0, 0xfefa39ef
	s_mov_b32 s1, 0xbfe62e42
	;; [unrolled: 1-line block ×3, first 2 shown]
	s_delay_alu instid0(VALU_DEP_1) | instskip(NEXT) | instid1(VALU_DEP_1)
	v_rndne_f64_e32 v[7:8], v[7:8]
	v_fma_f64 v[12:13], v[7:8], s[0:1], v[10:11]
	s_mov_b32 s0, 0x3b39803f
	s_mov_b32 s1, 0xbc7abc9e
	v_cvt_i32_f64_e32 v16, v[7:8]
	s_delay_alu instid0(VALU_DEP_2)
	v_fma_f64 v[12:13], v[7:8], s[0:1], v[12:13]
	s_mov_b32 s0, 0xfca7ab0c
	s_mov_b32 s1, 0x3e928af3
	s_delay_alu instid0(VALU_DEP_1) | instid1(SALU_CYCLE_1)
	v_fma_f64 v[14:15], v[12:13], s[8:9], s[0:1]
	s_mov_b32 s0, 0x623fde64
	s_mov_b32 s1, 0x3ec71dee
	s_delay_alu instid0(VALU_DEP_1) | instid1(SALU_CYCLE_1)
	;; [unrolled: 4-line block ×9, first 2 shown]
	v_fma_f64 v[14:15], v[12:13], v[14:15], s[0:1]
	v_cmp_nlt_f64_e64 s0, 0x40900000, v[10:11]
	v_cmp_ngt_f64_e64 s1, 0xc090cc00, v[10:11]
	s_delay_alu instid0(VALU_DEP_3) | instskip(NEXT) | instid1(VALU_DEP_1)
	v_fma_f64 v[14:15], v[12:13], v[14:15], 1.0
	v_fma_f64 v[7:8], v[12:13], v[14:15], 1.0
	s_delay_alu instid0(VALU_DEP_1) | instskip(NEXT) | instid1(VALU_DEP_1)
	v_ldexp_f64 v[7:8], v[7:8], v16
	v_cndmask_b32_e64 v8, 0x7ff00000, v8, s0
	s_and_b32 s0, s1, s0
	s_delay_alu instid0(VALU_DEP_2) | instid1(SALU_CYCLE_1)
	v_cndmask_b32_e64 v7, 0, v7, s0
	s_delay_alu instid0(VALU_DEP_2) | instskip(SKIP_2) | instid1(SALU_CYCLE_1)
	v_cndmask_b32_e64 v8, 0, v8, s1
	s_or_b32 exec_lo, exec_lo, s6
	s_and_saveexec_b32 s0, vcc_lo
	s_xor_b32 s0, exec_lo, s0
	s_cbranch_execz .LBB78_13
.LBB78_21:
	v_mov_b32_e32 v10, 0
	v_mov_b32_e32 v0, v18
	s_delay_alu instid0(VALU_DEP_2) | instskip(NEXT) | instid1(VALU_DEP_1)
	v_lshlrev_b64 v[9:10], 3, v[9:10]
	v_add_co_u32 v9, vcc_lo, s4, v9
	s_delay_alu instid0(VALU_DEP_2) | instskip(SKIP_2) | instid1(SALU_CYCLE_1)
	v_add_co_ci_u32_e32 v10, vcc_lo, s5, v10, vcc_lo
	global_store_b64 v[9:10], v[1:2], off
	s_or_b32 exec_lo, exec_lo, s0
	s_mov_b32 s0, exec_lo
	v_cmpx_gt_i32_e64 s3, v0
	s_cbranch_execz .LBB78_14
.LBB78_22:
	v_dual_mov_b32 v2, 0 :: v_dual_add_nc_u32 v1, s2, v0
	v_add_nc_u32_e32 v0, 0x100, v0
	s_delay_alu instid0(VALU_DEP_2) | instskip(NEXT) | instid1(VALU_DEP_1)
	v_lshlrev_b64 v[1:2], 3, v[1:2]
	v_add_co_u32 v1, vcc_lo, s4, v1
	s_delay_alu instid0(VALU_DEP_2) | instskip(SKIP_2) | instid1(SALU_CYCLE_1)
	v_add_co_ci_u32_e32 v2, vcc_lo, s5, v2, vcc_lo
	global_store_b64 v[1:2], v[3:4], off
	s_or_b32 exec_lo, exec_lo, s0
	s_mov_b32 s0, exec_lo
	v_cmpx_gt_i32_e64 s3, v0
	s_cbranch_execz .LBB78_15
.LBB78_23:
	v_dual_mov_b32 v2, 0 :: v_dual_add_nc_u32 v1, s2, v0
	v_add_nc_u32_e32 v0, 0x100, v0
	s_delay_alu instid0(VALU_DEP_2) | instskip(NEXT) | instid1(VALU_DEP_1)
	v_lshlrev_b64 v[1:2], 3, v[1:2]
	v_add_co_u32 v1, vcc_lo, s4, v1
	s_delay_alu instid0(VALU_DEP_2) | instskip(SKIP_2) | instid1(SALU_CYCLE_1)
	v_add_co_ci_u32_e32 v2, vcc_lo, s5, v2, vcc_lo
	global_store_b64 v[1:2], v[5:6], off
	s_or_b32 exec_lo, exec_lo, s0
	s_mov_b32 s0, exec_lo
	v_cmpx_gt_i32_e64 s3, v0
	s_cbranch_execz .LBB78_16
.LBB78_24:
	v_dual_mov_b32 v1, 0 :: v_dual_add_nc_u32 v0, s2, v0
	s_delay_alu instid0(VALU_DEP_1) | instskip(NEXT) | instid1(VALU_DEP_1)
	v_lshlrev_b64 v[0:1], 3, v[0:1]
	v_add_co_u32 v0, vcc_lo, s4, v0
	s_delay_alu instid0(VALU_DEP_2)
	v_add_co_ci_u32_e32 v1, vcc_lo, s5, v1, vcc_lo
	global_store_b64 v[0:1], v[7:8], off
	s_nop 0
	s_sendmsg sendmsg(MSG_DEALLOC_VGPRS)
	s_endpgm
	.section	.rodata,"a",@progbits
	.p2align	6, 0x0
	.amdhsa_kernel _ZN2at6native27unrolled_elementwise_kernelIZZZNS0_15exp_kernel_cudaERNS_18TensorIteratorBaseEENKUlvE0_clEvENKUlvE_clEvEUldE_St5arrayIPcLm2EELi4E23TrivialOffsetCalculatorILi1EjESB_NS0_6memory15LoadWithoutCastENSC_16StoreWithoutCastEEEviT_T0_T2_T3_T4_T5_
		.amdhsa_group_segment_fixed_size 0
		.amdhsa_private_segment_fixed_size 0
		.amdhsa_kernarg_size 28
		.amdhsa_user_sgpr_count 15
		.amdhsa_user_sgpr_dispatch_ptr 0
		.amdhsa_user_sgpr_queue_ptr 0
		.amdhsa_user_sgpr_kernarg_segment_ptr 1
		.amdhsa_user_sgpr_dispatch_id 0
		.amdhsa_user_sgpr_private_segment_size 0
		.amdhsa_wavefront_size32 1
		.amdhsa_uses_dynamic_stack 0
		.amdhsa_enable_private_segment 0
		.amdhsa_system_sgpr_workgroup_id_x 1
		.amdhsa_system_sgpr_workgroup_id_y 0
		.amdhsa_system_sgpr_workgroup_id_z 0
		.amdhsa_system_sgpr_workgroup_info 0
		.amdhsa_system_vgpr_workitem_id 0
		.amdhsa_next_free_vgpr 22
		.amdhsa_next_free_sgpr 16
		.amdhsa_reserve_vcc 1
		.amdhsa_float_round_mode_32 0
		.amdhsa_float_round_mode_16_64 0
		.amdhsa_float_denorm_mode_32 3
		.amdhsa_float_denorm_mode_16_64 3
		.amdhsa_dx10_clamp 1
		.amdhsa_ieee_mode 1
		.amdhsa_fp16_overflow 0
		.amdhsa_workgroup_processor_mode 1
		.amdhsa_memory_ordered 1
		.amdhsa_forward_progress 0
		.amdhsa_shared_vgpr_count 0
		.amdhsa_exception_fp_ieee_invalid_op 0
		.amdhsa_exception_fp_denorm_src 0
		.amdhsa_exception_fp_ieee_div_zero 0
		.amdhsa_exception_fp_ieee_overflow 0
		.amdhsa_exception_fp_ieee_underflow 0
		.amdhsa_exception_fp_ieee_inexact 0
		.amdhsa_exception_int_div_zero 0
	.end_amdhsa_kernel
	.section	.text._ZN2at6native27unrolled_elementwise_kernelIZZZNS0_15exp_kernel_cudaERNS_18TensorIteratorBaseEENKUlvE0_clEvENKUlvE_clEvEUldE_St5arrayIPcLm2EELi4E23TrivialOffsetCalculatorILi1EjESB_NS0_6memory15LoadWithoutCastENSC_16StoreWithoutCastEEEviT_T0_T2_T3_T4_T5_,"axG",@progbits,_ZN2at6native27unrolled_elementwise_kernelIZZZNS0_15exp_kernel_cudaERNS_18TensorIteratorBaseEENKUlvE0_clEvENKUlvE_clEvEUldE_St5arrayIPcLm2EELi4E23TrivialOffsetCalculatorILi1EjESB_NS0_6memory15LoadWithoutCastENSC_16StoreWithoutCastEEEviT_T0_T2_T3_T4_T5_,comdat
.Lfunc_end78:
	.size	_ZN2at6native27unrolled_elementwise_kernelIZZZNS0_15exp_kernel_cudaERNS_18TensorIteratorBaseEENKUlvE0_clEvENKUlvE_clEvEUldE_St5arrayIPcLm2EELi4E23TrivialOffsetCalculatorILi1EjESB_NS0_6memory15LoadWithoutCastENSC_16StoreWithoutCastEEEviT_T0_T2_T3_T4_T5_, .Lfunc_end78-_ZN2at6native27unrolled_elementwise_kernelIZZZNS0_15exp_kernel_cudaERNS_18TensorIteratorBaseEENKUlvE0_clEvENKUlvE_clEvEUldE_St5arrayIPcLm2EELi4E23TrivialOffsetCalculatorILi1EjESB_NS0_6memory15LoadWithoutCastENSC_16StoreWithoutCastEEEviT_T0_T2_T3_T4_T5_
                                        ; -- End function
	.section	.AMDGPU.csdata,"",@progbits
; Kernel info:
; codeLenInByte = 2724
; NumSgprs: 18
; NumVgprs: 22
; ScratchSize: 0
; MemoryBound: 0
; FloatMode: 240
; IeeeMode: 1
; LDSByteSize: 0 bytes/workgroup (compile time only)
; SGPRBlocks: 2
; VGPRBlocks: 2
; NumSGPRsForWavesPerEU: 18
; NumVGPRsForWavesPerEU: 22
; Occupancy: 16
; WaveLimiterHint : 0
; COMPUTE_PGM_RSRC2:SCRATCH_EN: 0
; COMPUTE_PGM_RSRC2:USER_SGPR: 15
; COMPUTE_PGM_RSRC2:TRAP_HANDLER: 0
; COMPUTE_PGM_RSRC2:TGID_X_EN: 1
; COMPUTE_PGM_RSRC2:TGID_Y_EN: 0
; COMPUTE_PGM_RSRC2:TGID_Z_EN: 0
; COMPUTE_PGM_RSRC2:TIDIG_COMP_CNT: 0
	.section	.text._ZN2at6native32elementwise_kernel_manual_unrollILi128ELi4EZNS0_22gpu_kernel_impl_nocastIZZZNS0_15exp_kernel_cudaERNS_18TensorIteratorBaseEENKUlvE0_clEvENKUlvE_clEvEUldE_EEvS4_RKT_EUlibE_EEviT1_,"axG",@progbits,_ZN2at6native32elementwise_kernel_manual_unrollILi128ELi4EZNS0_22gpu_kernel_impl_nocastIZZZNS0_15exp_kernel_cudaERNS_18TensorIteratorBaseEENKUlvE0_clEvENKUlvE_clEvEUldE_EEvS4_RKT_EUlibE_EEviT1_,comdat
	.globl	_ZN2at6native32elementwise_kernel_manual_unrollILi128ELi4EZNS0_22gpu_kernel_impl_nocastIZZZNS0_15exp_kernel_cudaERNS_18TensorIteratorBaseEENKUlvE0_clEvENKUlvE_clEvEUldE_EEvS4_RKT_EUlibE_EEviT1_ ; -- Begin function _ZN2at6native32elementwise_kernel_manual_unrollILi128ELi4EZNS0_22gpu_kernel_impl_nocastIZZZNS0_15exp_kernel_cudaERNS_18TensorIteratorBaseEENKUlvE0_clEvENKUlvE_clEvEUldE_EEvS4_RKT_EUlibE_EEviT1_
	.p2align	8
	.type	_ZN2at6native32elementwise_kernel_manual_unrollILi128ELi4EZNS0_22gpu_kernel_impl_nocastIZZZNS0_15exp_kernel_cudaERNS_18TensorIteratorBaseEENKUlvE0_clEvENKUlvE_clEvEUldE_EEvS4_RKT_EUlibE_EEviT1_,@function
_ZN2at6native32elementwise_kernel_manual_unrollILi128ELi4EZNS0_22gpu_kernel_impl_nocastIZZZNS0_15exp_kernel_cudaERNS_18TensorIteratorBaseEENKUlvE0_clEvENKUlvE_clEvEUldE_EEvS4_RKT_EUlibE_EEviT1_: ; @_ZN2at6native32elementwise_kernel_manual_unrollILi128ELi4EZNS0_22gpu_kernel_impl_nocastIZZZNS0_15exp_kernel_cudaERNS_18TensorIteratorBaseEENKUlvE0_clEvENKUlvE_clEvEUldE_EEvS4_RKT_EUlibE_EEviT1_
; %bb.0:
	s_clause 0x1
	s_load_b32 s22, s[0:1], 0x8
	s_load_b32 s27, s[0:1], 0x0
	v_lshl_or_b32 v4, s15, 9, v0
	s_or_b32 s0, s0, 8
	s_mov_b32 s2, exec_lo
	s_delay_alu instid0(VALU_DEP_1) | instskip(SKIP_2) | instid1(SALU_CYCLE_1)
	v_or_b32_e32 v8, 0x180, v4
	s_waitcnt lgkmcnt(0)
	s_add_i32 s23, s22, -1
	s_cmp_gt_u32 s23, 1
	s_cselect_b32 s24, -1, 0
	v_cmpx_le_i32_e64 s27, v8
	s_xor_b32 s25, exec_lo, s2
	s_cbranch_execz .LBB79_7
; %bb.1:
	s_clause 0x3
	s_load_b128 s[12:15], s[0:1], 0x4
	s_load_b64 s[16:17], s[0:1], 0x14
	s_load_b128 s[8:11], s[0:1], 0xc4
	s_load_b128 s[4:7], s[0:1], 0x148
	s_cmp_lg_u32 s22, 0
	s_mov_b32 s30, exec_lo
	s_cselect_b32 s29, -1, 0
	s_add_u32 s18, s0, 0xc4
	s_addc_u32 s19, s1, 0
	s_min_u32 s28, s23, 15
	s_cmp_gt_u32 s22, 1
	s_cselect_b32 s26, -1, 0
	v_cmpx_gt_i32_e64 s27, v4
	s_cbranch_execz .LBB79_14
; %bb.2:
	s_and_not1_b32 vcc_lo, exec_lo, s24
	s_cbranch_vccnz .LBB79_21
; %bb.3:
	v_dual_mov_b32 v0, 0 :: v_dual_mov_b32 v1, 0
	s_and_not1_b32 vcc_lo, exec_lo, s29
	s_mov_b32 s31, 0
	s_cbranch_vccnz .LBB79_73
; %bb.4:
	v_mov_b32_e32 v0, 0
	s_add_i32 s34, s28, 1
	s_cmp_eq_u32 s23, 2
	s_mov_b32 s33, 0
	s_cbranch_scc1 .LBB79_69
; %bb.5:
	v_dual_mov_b32 v1, 0 :: v_dual_mov_b32 v0, 0
	v_mov_b32_e32 v2, v4
	s_and_b32 s33, s34, 28
	s_mov_b32 s35, 0
	s_mov_b64 s[2:3], s[18:19]
	s_mov_b64 s[20:21], s[0:1]
.LBB79_6:                               ; =>This Inner Loop Header: Depth=1
	s_clause 0x1
	s_load_b256 s[36:43], s[20:21], 0x4
	s_load_b128 s[52:55], s[20:21], 0x24
	s_load_b256 s[44:51], s[2:3], 0x0
	s_add_u32 s20, s20, 48
	s_addc_u32 s21, s21, 0
	s_add_i32 s35, s35, 4
	s_add_u32 s2, s2, 32
	s_addc_u32 s3, s3, 0
	s_cmp_lg_u32 s33, s35
	s_waitcnt lgkmcnt(0)
	v_mul_hi_u32 v3, s37, v2
	s_delay_alu instid0(VALU_DEP_1) | instskip(NEXT) | instid1(VALU_DEP_1)
	v_add_nc_u32_e32 v3, v2, v3
	v_lshrrev_b32_e32 v3, s38, v3
	s_delay_alu instid0(VALU_DEP_1) | instskip(SKIP_1) | instid1(VALU_DEP_2)
	v_mul_hi_u32 v5, s40, v3
	v_mul_lo_u32 v7, v3, s36
	v_add_nc_u32_e32 v5, v3, v5
	s_delay_alu instid0(VALU_DEP_2) | instskip(NEXT) | instid1(VALU_DEP_2)
	v_sub_nc_u32_e32 v2, v2, v7
	v_lshrrev_b32_e32 v5, s41, v5
	s_delay_alu instid0(VALU_DEP_2) | instskip(SKIP_1) | instid1(VALU_DEP_3)
	v_mul_lo_u32 v7, v2, s44
	v_mul_lo_u32 v9, v2, s45
	v_mul_hi_u32 v6, s43, v5
	s_delay_alu instid0(VALU_DEP_1) | instskip(NEXT) | instid1(VALU_DEP_1)
	v_add_nc_u32_e32 v6, v5, v6
	v_lshrrev_b32_e32 v6, s52, v6
	s_delay_alu instid0(VALU_DEP_1) | instskip(SKIP_1) | instid1(VALU_DEP_2)
	v_mul_hi_u32 v8, s54, v6
	v_mul_lo_u32 v10, v6, s42
	v_add_nc_u32_e32 v2, v6, v8
	v_mul_lo_u32 v8, v5, s39
	s_delay_alu instid0(VALU_DEP_3) | instskip(NEXT) | instid1(VALU_DEP_3)
	v_sub_nc_u32_e32 v5, v5, v10
	v_lshrrev_b32_e32 v2, s55, v2
	s_delay_alu instid0(VALU_DEP_2) | instskip(SKIP_2) | instid1(VALU_DEP_4)
	v_mul_lo_u32 v10, v5, s48
	v_mul_lo_u32 v5, v5, s49
	v_sub_nc_u32_e32 v3, v3, v8
	v_mul_lo_u32 v11, v2, s53
	s_delay_alu instid0(VALU_DEP_2) | instskip(SKIP_1) | instid1(VALU_DEP_3)
	v_mul_lo_u32 v8, v3, s46
	v_mul_lo_u32 v3, v3, s47
	v_sub_nc_u32_e32 v6, v6, v11
	s_delay_alu instid0(VALU_DEP_3) | instskip(NEXT) | instid1(VALU_DEP_2)
	v_add3_u32 v0, v7, v0, v8
	v_mul_lo_u32 v11, v6, s50
	v_mul_lo_u32 v6, v6, s51
	v_add3_u32 v1, v9, v1, v3
	s_delay_alu instid0(VALU_DEP_3) | instskip(NEXT) | instid1(VALU_DEP_2)
	v_add3_u32 v0, v10, v0, v11
	v_add3_u32 v1, v5, v1, v6
	s_cbranch_scc1 .LBB79_6
	s_branch .LBB79_70
.LBB79_7:
	s_and_not1_saveexec_b32 s2, s25
	s_cbranch_execz .LBB79_94
.LBB79_8:
	v_cndmask_b32_e64 v6, 0, 1, s24
	s_and_not1_b32 vcc_lo, exec_lo, s24
	s_cbranch_vccnz .LBB79_20
; %bb.9:
	v_dual_mov_b32 v0, 0 :: v_dual_mov_b32 v1, 0
	s_cmp_lg_u32 s22, 0
	s_waitcnt lgkmcnt(0)
	s_mov_b32 s6, 0
	s_cbranch_scc0 .LBB79_26
; %bb.10:
	s_min_u32 s7, s23, 15
	v_mov_b32_e32 v0, 0
	s_add_i32 s7, s7, 1
	s_cmp_eq_u32 s23, 2
	s_mov_b32 s8, 0
	s_cbranch_scc1 .LBB79_23
; %bb.11:
	v_dual_mov_b32 v1, 0 :: v_dual_mov_b32 v0, 0
	v_mov_b32_e32 v2, v4
	s_add_u32 s2, s0, 0xc4
	s_addc_u32 s3, s1, 0
	s_and_b32 s8, s7, 28
	s_mov_b32 s9, 0
	s_mov_b64 s[4:5], s[0:1]
.LBB79_12:                              ; =>This Inner Loop Header: Depth=1
	s_clause 0x1
	s_load_b256 s[12:19], s[4:5], 0x4
	s_load_b128 s[36:39], s[4:5], 0x24
	s_load_b256 s[24:31], s[2:3], 0x0
	s_add_u32 s4, s4, 48
	s_addc_u32 s5, s5, 0
	s_add_i32 s9, s9, 4
	s_add_u32 s2, s2, 32
	s_addc_u32 s3, s3, 0
	s_cmp_lg_u32 s8, s9
	s_waitcnt lgkmcnt(0)
	v_mul_hi_u32 v3, s13, v2
	s_delay_alu instid0(VALU_DEP_1) | instskip(NEXT) | instid1(VALU_DEP_1)
	v_add_nc_u32_e32 v3, v2, v3
	v_lshrrev_b32_e32 v3, s14, v3
	s_delay_alu instid0(VALU_DEP_1) | instskip(SKIP_1) | instid1(VALU_DEP_2)
	v_mul_hi_u32 v5, s16, v3
	v_mul_lo_u32 v9, v3, s12
	v_add_nc_u32_e32 v5, v3, v5
	s_delay_alu instid0(VALU_DEP_2) | instskip(NEXT) | instid1(VALU_DEP_2)
	v_sub_nc_u32_e32 v2, v2, v9
	v_lshrrev_b32_e32 v5, s17, v5
	s_delay_alu instid0(VALU_DEP_2) | instskip(SKIP_1) | instid1(VALU_DEP_3)
	v_mul_lo_u32 v9, v2, s24
	v_mul_lo_u32 v11, v2, s25
	v_mul_hi_u32 v7, s19, v5
	s_delay_alu instid0(VALU_DEP_1) | instskip(NEXT) | instid1(VALU_DEP_1)
	v_add_nc_u32_e32 v7, v5, v7
	v_lshrrev_b32_e32 v7, s36, v7
	s_delay_alu instid0(VALU_DEP_1) | instskip(SKIP_1) | instid1(VALU_DEP_2)
	v_mul_hi_u32 v10, s38, v7
	v_mul_lo_u32 v12, v7, s18
	v_add_nc_u32_e32 v2, v7, v10
	v_mul_lo_u32 v10, v5, s15
	s_delay_alu instid0(VALU_DEP_3) | instskip(NEXT) | instid1(VALU_DEP_3)
	v_sub_nc_u32_e32 v5, v5, v12
	v_lshrrev_b32_e32 v2, s39, v2
	s_delay_alu instid0(VALU_DEP_2) | instskip(SKIP_2) | instid1(VALU_DEP_4)
	v_mul_lo_u32 v12, v5, s28
	v_mul_lo_u32 v5, v5, s29
	v_sub_nc_u32_e32 v3, v3, v10
	v_mul_lo_u32 v13, v2, s37
	s_delay_alu instid0(VALU_DEP_2) | instskip(SKIP_1) | instid1(VALU_DEP_3)
	v_mul_lo_u32 v10, v3, s26
	v_mul_lo_u32 v3, v3, s27
	v_sub_nc_u32_e32 v7, v7, v13
	s_delay_alu instid0(VALU_DEP_3) | instskip(NEXT) | instid1(VALU_DEP_2)
	v_add3_u32 v0, v9, v0, v10
	v_mul_lo_u32 v13, v7, s30
	v_mul_lo_u32 v7, v7, s31
	v_add3_u32 v1, v11, v1, v3
	s_delay_alu instid0(VALU_DEP_3) | instskip(NEXT) | instid1(VALU_DEP_2)
	v_add3_u32 v0, v12, v0, v13
	v_add3_u32 v1, v5, v1, v7
	s_cbranch_scc1 .LBB79_12
; %bb.13:
	s_and_b32 s7, s7, 3
	s_delay_alu instid0(SALU_CYCLE_1)
	s_cmp_eq_u32 s7, 0
	s_cbranch_scc0 .LBB79_24
	s_branch .LBB79_26
.LBB79_14:
	s_or_b32 exec_lo, exec_lo, s30
	s_delay_alu instid0(SALU_CYCLE_1)
	s_mov_b32 s30, exec_lo
	v_cmpx_gt_i32_e64 s27, v4
	s_cbranch_execz .LBB79_77
.LBB79_15:
	s_and_not1_b32 vcc_lo, exec_lo, s24
	s_cbranch_vccnz .LBB79_22
; %bb.16:
	v_dual_mov_b32 v0, 0 :: v_dual_mov_b32 v1, 0
	s_and_not1_b32 vcc_lo, exec_lo, s29
	s_mov_b32 s31, 0
	s_cbranch_vccnz .LBB79_88
; %bb.17:
	v_mov_b32_e32 v0, 0
	s_add_i32 s34, s28, 1
	s_cmp_eq_u32 s23, 2
	s_mov_b32 s33, 0
	s_cbranch_scc1 .LBB79_84
; %bb.18:
	v_dual_mov_b32 v1, 0 :: v_dual_mov_b32 v0, 0
	v_mov_b32_e32 v2, v4
	s_and_b32 s33, s34, 28
	s_mov_b32 s35, 0
	s_mov_b64 s[2:3], s[18:19]
	s_mov_b64 s[20:21], s[0:1]
.LBB79_19:                              ; =>This Inner Loop Header: Depth=1
	s_clause 0x1
	s_load_b256 s[36:43], s[20:21], 0x4
	s_load_b128 s[52:55], s[20:21], 0x24
	s_load_b256 s[44:51], s[2:3], 0x0
	s_add_u32 s20, s20, 48
	s_addc_u32 s21, s21, 0
	s_add_i32 s35, s35, 4
	s_add_u32 s2, s2, 32
	s_addc_u32 s3, s3, 0
	s_cmp_eq_u32 s33, s35
	s_waitcnt lgkmcnt(0)
	v_mul_hi_u32 v3, s37, v2
	s_delay_alu instid0(VALU_DEP_1) | instskip(NEXT) | instid1(VALU_DEP_1)
	v_add_nc_u32_e32 v3, v2, v3
	v_lshrrev_b32_e32 v3, s38, v3
	s_delay_alu instid0(VALU_DEP_1) | instskip(SKIP_1) | instid1(VALU_DEP_2)
	v_mul_hi_u32 v5, s40, v3
	v_mul_lo_u32 v7, v3, s36
	v_add_nc_u32_e32 v5, v3, v5
	s_delay_alu instid0(VALU_DEP_2) | instskip(NEXT) | instid1(VALU_DEP_2)
	v_sub_nc_u32_e32 v2, v2, v7
	v_lshrrev_b32_e32 v5, s41, v5
	s_delay_alu instid0(VALU_DEP_2) | instskip(SKIP_1) | instid1(VALU_DEP_3)
	v_mul_lo_u32 v7, v2, s44
	v_mul_lo_u32 v9, v2, s45
	v_mul_hi_u32 v6, s43, v5
	s_delay_alu instid0(VALU_DEP_1) | instskip(NEXT) | instid1(VALU_DEP_1)
	v_add_nc_u32_e32 v6, v5, v6
	v_lshrrev_b32_e32 v6, s52, v6
	s_delay_alu instid0(VALU_DEP_1) | instskip(SKIP_1) | instid1(VALU_DEP_2)
	v_mul_hi_u32 v8, s54, v6
	v_mul_lo_u32 v10, v6, s42
	v_add_nc_u32_e32 v2, v6, v8
	v_mul_lo_u32 v8, v5, s39
	s_delay_alu instid0(VALU_DEP_3) | instskip(NEXT) | instid1(VALU_DEP_3)
	v_sub_nc_u32_e32 v5, v5, v10
	v_lshrrev_b32_e32 v2, s55, v2
	s_delay_alu instid0(VALU_DEP_2) | instskip(SKIP_2) | instid1(VALU_DEP_4)
	v_mul_lo_u32 v10, v5, s48
	v_mul_lo_u32 v5, v5, s49
	v_sub_nc_u32_e32 v3, v3, v8
	v_mul_lo_u32 v11, v2, s53
	s_delay_alu instid0(VALU_DEP_2) | instskip(SKIP_1) | instid1(VALU_DEP_3)
	v_mul_lo_u32 v8, v3, s46
	v_mul_lo_u32 v3, v3, s47
	v_sub_nc_u32_e32 v6, v6, v11
	s_delay_alu instid0(VALU_DEP_3) | instskip(NEXT) | instid1(VALU_DEP_2)
	v_add3_u32 v0, v7, v0, v8
	v_mul_lo_u32 v11, v6, s50
	v_mul_lo_u32 v6, v6, s51
	v_add3_u32 v1, v9, v1, v3
	s_delay_alu instid0(VALU_DEP_3) | instskip(NEXT) | instid1(VALU_DEP_2)
	v_add3_u32 v0, v10, v0, v11
	v_add3_u32 v1, v5, v1, v6
	s_cbranch_scc0 .LBB79_19
	s_branch .LBB79_85
.LBB79_20:
	s_waitcnt lgkmcnt(0)
	s_mov_b32 s6, -1
                                        ; implicit-def: $vgpr0
                                        ; implicit-def: $vgpr1
	s_branch .LBB79_26
.LBB79_21:
	s_mov_b32 s31, -1
                                        ; implicit-def: $vgpr0
                                        ; implicit-def: $vgpr1
	s_branch .LBB79_73
.LBB79_22:
	s_mov_b32 s31, -1
                                        ; implicit-def: $vgpr0
                                        ; implicit-def: $vgpr1
	s_branch .LBB79_88
.LBB79_23:
	v_dual_mov_b32 v2, v4 :: v_dual_mov_b32 v1, 0
	s_and_b32 s7, s7, 3
	s_delay_alu instid0(SALU_CYCLE_1)
	s_cmp_eq_u32 s7, 0
	s_cbranch_scc1 .LBB79_26
.LBB79_24:
	s_lshl_b32 s2, s8, 3
	s_mul_i32 s4, s8, 12
	s_add_u32 s2, s2, s0
	s_addc_u32 s3, 0, s1
	s_add_u32 s2, s2, 0xc4
	s_addc_u32 s3, s3, 0
	;; [unrolled: 2-line block ×3, first 2 shown]
	.p2align	6
.LBB79_25:                              ; =>This Inner Loop Header: Depth=1
	s_clause 0x1
	s_load_b64 s[8:9], s[4:5], 0x4
	s_load_b32 s12, s[4:5], 0xc
	s_load_b64 s[10:11], s[2:3], 0x0
	s_add_u32 s4, s4, 12
	s_addc_u32 s5, s5, 0
	s_add_u32 s2, s2, 8
	s_addc_u32 s3, s3, 0
	s_add_i32 s7, s7, -1
	s_delay_alu instid0(SALU_CYCLE_1) | instskip(SKIP_2) | instid1(VALU_DEP_1)
	s_cmp_lg_u32 s7, 0
	s_waitcnt lgkmcnt(0)
	v_mul_hi_u32 v3, s9, v2
	v_add_nc_u32_e32 v3, v2, v3
	s_delay_alu instid0(VALU_DEP_1) | instskip(NEXT) | instid1(VALU_DEP_1)
	v_lshrrev_b32_e32 v3, s12, v3
	v_mul_lo_u32 v5, v3, s8
	s_delay_alu instid0(VALU_DEP_1) | instskip(NEXT) | instid1(VALU_DEP_1)
	v_sub_nc_u32_e32 v2, v2, v5
	v_mad_u64_u32 v[9:10], null, v2, s10, v[0:1]
	v_mad_u64_u32 v[10:11], null, v2, s11, v[1:2]
	v_mov_b32_e32 v2, v3
	s_delay_alu instid0(VALU_DEP_2)
	v_dual_mov_b32 v0, v9 :: v_dual_mov_b32 v1, v10
	s_cbranch_scc1 .LBB79_25
.LBB79_26:
	s_and_not1_b32 vcc_lo, exec_lo, s6
	s_cbranch_vccnz .LBB79_29
; %bb.27:
	s_clause 0x1
	s_load_b128 s[4:7], s[0:1], 0x4
	s_load_b64 s[2:3], s[0:1], 0xc4
	s_cmp_lt_u32 s22, 2
	s_waitcnt lgkmcnt(0)
	v_mul_hi_u32 v0, s5, v4
	s_delay_alu instid0(VALU_DEP_1) | instskip(NEXT) | instid1(VALU_DEP_1)
	v_add_nc_u32_e32 v0, v4, v0
	v_lshrrev_b32_e32 v2, s6, v0
	s_delay_alu instid0(VALU_DEP_1) | instskip(NEXT) | instid1(VALU_DEP_1)
	v_mul_lo_u32 v0, v2, s4
	v_sub_nc_u32_e32 v1, v4, v0
	s_delay_alu instid0(VALU_DEP_1)
	v_mul_lo_u32 v0, v1, s2
	v_mul_lo_u32 v1, v1, s3
	s_cbranch_scc1 .LBB79_29
; %bb.28:
	s_clause 0x1
	s_load_b128 s[4:7], s[0:1], 0x10
	s_load_b64 s[2:3], s[0:1], 0xcc
	s_waitcnt lgkmcnt(0)
	v_mul_hi_u32 v3, s5, v2
	s_delay_alu instid0(VALU_DEP_1) | instskip(NEXT) | instid1(VALU_DEP_1)
	v_add_nc_u32_e32 v3, v2, v3
	v_lshrrev_b32_e32 v3, s6, v3
	s_delay_alu instid0(VALU_DEP_1) | instskip(NEXT) | instid1(VALU_DEP_1)
	v_mul_lo_u32 v3, v3, s4
	v_sub_nc_u32_e32 v5, v2, v3
	s_delay_alu instid0(VALU_DEP_1) | instskip(NEXT) | instid1(VALU_DEP_1)
	v_mad_u64_u32 v[2:3], null, v5, s2, v[0:1]
	v_mad_u64_u32 v[9:10], null, v5, s3, v[1:2]
	s_delay_alu instid0(VALU_DEP_1)
	v_dual_mov_b32 v0, v2 :: v_dual_mov_b32 v1, v9
.LBB79_29:
	v_cmp_ne_u32_e32 vcc_lo, 1, v6
	v_add_nc_u32_e32 v5, 0x80, v4
	s_cbranch_vccnz .LBB79_35
; %bb.30:
	v_dual_mov_b32 v2, 0 :: v_dual_mov_b32 v3, 0
	s_cmp_lg_u32 s22, 0
	s_mov_b32 s6, 0
	s_cbranch_scc0 .LBB79_39
; %bb.31:
	s_min_u32 s7, s23, 15
	v_mov_b32_e32 v2, 0
	s_add_i32 s7, s7, 1
	s_cmp_eq_u32 s23, 2
	s_mov_b32 s8, 0
	s_cbranch_scc1 .LBB79_36
; %bb.32:
	v_dual_mov_b32 v3, 0 :: v_dual_mov_b32 v2, 0
	v_mov_b32_e32 v7, v5
	s_add_u32 s2, s0, 0xc4
	s_addc_u32 s3, s1, 0
	s_and_b32 s8, s7, 28
	s_mov_b32 s9, 0
	s_mov_b64 s[4:5], s[0:1]
.LBB79_33:                              ; =>This Inner Loop Header: Depth=1
	s_clause 0x1
	s_load_b256 s[12:19], s[4:5], 0x4
	s_load_b128 s[36:39], s[4:5], 0x24
	s_load_b256 s[24:31], s[2:3], 0x0
	s_add_u32 s4, s4, 48
	s_addc_u32 s5, s5, 0
	s_add_i32 s9, s9, 4
	s_add_u32 s2, s2, 32
	s_addc_u32 s3, s3, 0
	s_cmp_lg_u32 s8, s9
	s_waitcnt lgkmcnt(0)
	v_mul_hi_u32 v9, s13, v7
	s_delay_alu instid0(VALU_DEP_1) | instskip(NEXT) | instid1(VALU_DEP_1)
	v_add_nc_u32_e32 v9, v7, v9
	v_lshrrev_b32_e32 v9, s14, v9
	s_delay_alu instid0(VALU_DEP_1) | instskip(SKIP_1) | instid1(VALU_DEP_2)
	v_mul_hi_u32 v10, s16, v9
	v_mul_lo_u32 v12, v9, s12
	v_add_nc_u32_e32 v10, v9, v10
	s_delay_alu instid0(VALU_DEP_2) | instskip(NEXT) | instid1(VALU_DEP_2)
	v_sub_nc_u32_e32 v7, v7, v12
	v_lshrrev_b32_e32 v10, s17, v10
	s_delay_alu instid0(VALU_DEP_2) | instskip(SKIP_1) | instid1(VALU_DEP_3)
	v_mul_lo_u32 v12, v7, s24
	v_mul_lo_u32 v14, v7, s25
	v_mul_hi_u32 v11, s19, v10
	s_delay_alu instid0(VALU_DEP_1) | instskip(NEXT) | instid1(VALU_DEP_1)
	v_add_nc_u32_e32 v11, v10, v11
	v_lshrrev_b32_e32 v11, s36, v11
	s_delay_alu instid0(VALU_DEP_1) | instskip(SKIP_1) | instid1(VALU_DEP_2)
	v_mul_hi_u32 v13, s38, v11
	v_mul_lo_u32 v15, v11, s18
	v_add_nc_u32_e32 v7, v11, v13
	v_mul_lo_u32 v13, v10, s15
	s_delay_alu instid0(VALU_DEP_3) | instskip(NEXT) | instid1(VALU_DEP_3)
	v_sub_nc_u32_e32 v10, v10, v15
	v_lshrrev_b32_e32 v7, s39, v7
	s_delay_alu instid0(VALU_DEP_2) | instskip(SKIP_2) | instid1(VALU_DEP_4)
	v_mul_lo_u32 v15, v10, s28
	v_mul_lo_u32 v10, v10, s29
	v_sub_nc_u32_e32 v9, v9, v13
	v_mul_lo_u32 v16, v7, s37
	s_delay_alu instid0(VALU_DEP_2) | instskip(SKIP_1) | instid1(VALU_DEP_3)
	v_mul_lo_u32 v13, v9, s26
	v_mul_lo_u32 v9, v9, s27
	v_sub_nc_u32_e32 v11, v11, v16
	s_delay_alu instid0(VALU_DEP_3) | instskip(NEXT) | instid1(VALU_DEP_2)
	v_add3_u32 v2, v12, v2, v13
	v_mul_lo_u32 v16, v11, s30
	v_mul_lo_u32 v11, v11, s31
	v_add3_u32 v3, v14, v3, v9
	s_delay_alu instid0(VALU_DEP_3) | instskip(NEXT) | instid1(VALU_DEP_2)
	v_add3_u32 v2, v15, v2, v16
	v_add3_u32 v3, v10, v3, v11
	s_cbranch_scc1 .LBB79_33
; %bb.34:
	s_and_b32 s7, s7, 3
	s_delay_alu instid0(SALU_CYCLE_1)
	s_cmp_eq_u32 s7, 0
	s_cbranch_scc0 .LBB79_37
	s_branch .LBB79_39
.LBB79_35:
	s_mov_b32 s6, -1
                                        ; implicit-def: $vgpr2
                                        ; implicit-def: $vgpr3
	s_branch .LBB79_39
.LBB79_36:
	v_mov_b32_e32 v7, v5
	v_mov_b32_e32 v3, 0
	s_and_b32 s7, s7, 3
	s_delay_alu instid0(SALU_CYCLE_1)
	s_cmp_eq_u32 s7, 0
	s_cbranch_scc1 .LBB79_39
.LBB79_37:
	s_lshl_b32 s2, s8, 3
	s_mul_i32 s4, s8, 12
	s_add_u32 s2, s2, s0
	s_addc_u32 s3, 0, s1
	s_add_u32 s2, s2, 0xc4
	s_addc_u32 s3, s3, 0
	;; [unrolled: 2-line block ×3, first 2 shown]
	.p2align	6
.LBB79_38:                              ; =>This Inner Loop Header: Depth=1
	s_clause 0x1
	s_load_b64 s[8:9], s[4:5], 0x4
	s_load_b32 s12, s[4:5], 0xc
	s_load_b64 s[10:11], s[2:3], 0x0
	s_add_u32 s4, s4, 12
	s_addc_u32 s5, s5, 0
	s_add_u32 s2, s2, 8
	s_addc_u32 s3, s3, 0
	s_add_i32 s7, s7, -1
	s_delay_alu instid0(SALU_CYCLE_1) | instskip(SKIP_2) | instid1(VALU_DEP_1)
	s_cmp_lg_u32 s7, 0
	s_waitcnt lgkmcnt(0)
	v_mul_hi_u32 v9, s9, v7
	v_add_nc_u32_e32 v9, v7, v9
	s_delay_alu instid0(VALU_DEP_1) | instskip(NEXT) | instid1(VALU_DEP_1)
	v_lshrrev_b32_e32 v12, s12, v9
	v_mul_lo_u32 v9, v12, s8
	s_delay_alu instid0(VALU_DEP_1) | instskip(NEXT) | instid1(VALU_DEP_1)
	v_sub_nc_u32_e32 v7, v7, v9
	v_mad_u64_u32 v[9:10], null, v7, s10, v[2:3]
	v_mad_u64_u32 v[10:11], null, v7, s11, v[3:4]
	s_delay_alu instid0(VALU_DEP_2) | instskip(NEXT) | instid1(VALU_DEP_2)
	v_dual_mov_b32 v7, v12 :: v_dual_mov_b32 v2, v9
	v_mov_b32_e32 v3, v10
	s_cbranch_scc1 .LBB79_38
.LBB79_39:
	s_and_not1_b32 vcc_lo, exec_lo, s6
	s_cbranch_vccnz .LBB79_42
; %bb.40:
	s_clause 0x1
	s_load_b128 s[4:7], s[0:1], 0x4
	s_load_b64 s[2:3], s[0:1], 0xc4
	s_cmp_lt_u32 s22, 2
	s_waitcnt lgkmcnt(0)
	v_mul_hi_u32 v2, s5, v5
	s_delay_alu instid0(VALU_DEP_1) | instskip(NEXT) | instid1(VALU_DEP_1)
	v_add_nc_u32_e32 v2, v5, v2
	v_lshrrev_b32_e32 v7, s6, v2
	s_delay_alu instid0(VALU_DEP_1) | instskip(NEXT) | instid1(VALU_DEP_1)
	v_mul_lo_u32 v2, v7, s4
	v_sub_nc_u32_e32 v3, v5, v2
	s_delay_alu instid0(VALU_DEP_1)
	v_mul_lo_u32 v2, v3, s2
	v_mul_lo_u32 v3, v3, s3
	s_cbranch_scc1 .LBB79_42
; %bb.41:
	s_clause 0x1
	s_load_b128 s[4:7], s[0:1], 0x10
	s_load_b64 s[2:3], s[0:1], 0xcc
	s_waitcnt lgkmcnt(0)
	v_mul_hi_u32 v5, s5, v7
	s_delay_alu instid0(VALU_DEP_1) | instskip(NEXT) | instid1(VALU_DEP_1)
	v_add_nc_u32_e32 v5, v7, v5
	v_lshrrev_b32_e32 v5, s6, v5
	s_delay_alu instid0(VALU_DEP_1) | instskip(NEXT) | instid1(VALU_DEP_1)
	v_mul_lo_u32 v5, v5, s4
	v_sub_nc_u32_e32 v5, v7, v5
	s_delay_alu instid0(VALU_DEP_1) | instskip(SKIP_1) | instid1(VALU_DEP_1)
	v_mad_u64_u32 v[9:10], null, v5, s2, v[2:3]
	v_mad_u64_u32 v[10:11], null, v5, s3, v[3:4]
	v_dual_mov_b32 v2, v9 :: v_dual_mov_b32 v3, v10
.LBB79_42:
	v_cmp_ne_u32_e32 vcc_lo, 1, v6
	v_add_nc_u32_e32 v7, 0x100, v4
	s_cbranch_vccnz .LBB79_48
; %bb.43:
	v_dual_mov_b32 v4, 0 :: v_dual_mov_b32 v5, 0
	s_cmp_lg_u32 s22, 0
	s_mov_b32 s6, 0
	s_cbranch_scc0 .LBB79_52
; %bb.44:
	s_min_u32 s7, s23, 15
	v_mov_b32_e32 v4, 0
	s_add_i32 s7, s7, 1
	s_cmp_eq_u32 s23, 2
	s_mov_b32 s8, 0
	s_cbranch_scc1 .LBB79_49
; %bb.45:
	v_dual_mov_b32 v5, 0 :: v_dual_mov_b32 v4, 0
	v_mov_b32_e32 v9, v7
	s_add_u32 s2, s0, 0xc4
	s_addc_u32 s3, s1, 0
	s_and_b32 s8, s7, 28
	s_mov_b32 s9, 0
	s_mov_b64 s[4:5], s[0:1]
.LBB79_46:                              ; =>This Inner Loop Header: Depth=1
	s_clause 0x1
	s_load_b256 s[12:19], s[4:5], 0x4
	s_load_b128 s[36:39], s[4:5], 0x24
	s_load_b256 s[24:31], s[2:3], 0x0
	s_add_u32 s4, s4, 48
	s_addc_u32 s5, s5, 0
	s_add_i32 s9, s9, 4
	s_add_u32 s2, s2, 32
	s_addc_u32 s3, s3, 0
	s_cmp_lg_u32 s8, s9
	s_waitcnt lgkmcnt(0)
	v_mul_hi_u32 v10, s13, v9
	s_delay_alu instid0(VALU_DEP_1) | instskip(NEXT) | instid1(VALU_DEP_1)
	v_add_nc_u32_e32 v10, v9, v10
	v_lshrrev_b32_e32 v10, s14, v10
	s_delay_alu instid0(VALU_DEP_1) | instskip(SKIP_1) | instid1(VALU_DEP_2)
	v_mul_hi_u32 v11, s16, v10
	v_mul_lo_u32 v13, v10, s12
	v_add_nc_u32_e32 v11, v10, v11
	s_delay_alu instid0(VALU_DEP_2) | instskip(NEXT) | instid1(VALU_DEP_2)
	v_sub_nc_u32_e32 v9, v9, v13
	v_lshrrev_b32_e32 v11, s17, v11
	s_delay_alu instid0(VALU_DEP_2) | instskip(SKIP_1) | instid1(VALU_DEP_3)
	v_mul_lo_u32 v13, v9, s24
	v_mul_lo_u32 v15, v9, s25
	v_mul_hi_u32 v12, s19, v11
	s_delay_alu instid0(VALU_DEP_1) | instskip(NEXT) | instid1(VALU_DEP_1)
	v_add_nc_u32_e32 v12, v11, v12
	v_lshrrev_b32_e32 v12, s36, v12
	s_delay_alu instid0(VALU_DEP_1) | instskip(SKIP_1) | instid1(VALU_DEP_2)
	v_mul_hi_u32 v14, s38, v12
	v_mul_lo_u32 v16, v12, s18
	v_add_nc_u32_e32 v9, v12, v14
	v_mul_lo_u32 v14, v11, s15
	s_delay_alu instid0(VALU_DEP_3) | instskip(NEXT) | instid1(VALU_DEP_3)
	v_sub_nc_u32_e32 v11, v11, v16
	v_lshrrev_b32_e32 v9, s39, v9
	s_delay_alu instid0(VALU_DEP_2) | instskip(SKIP_2) | instid1(VALU_DEP_4)
	v_mul_lo_u32 v16, v11, s28
	v_mul_lo_u32 v11, v11, s29
	v_sub_nc_u32_e32 v10, v10, v14
	v_mul_lo_u32 v17, v9, s37
	s_delay_alu instid0(VALU_DEP_2) | instskip(SKIP_1) | instid1(VALU_DEP_3)
	v_mul_lo_u32 v14, v10, s26
	v_mul_lo_u32 v10, v10, s27
	v_sub_nc_u32_e32 v12, v12, v17
	s_delay_alu instid0(VALU_DEP_3) | instskip(NEXT) | instid1(VALU_DEP_2)
	v_add3_u32 v4, v13, v4, v14
	v_mul_lo_u32 v17, v12, s30
	v_mul_lo_u32 v12, v12, s31
	v_add3_u32 v5, v15, v5, v10
	s_delay_alu instid0(VALU_DEP_3) | instskip(NEXT) | instid1(VALU_DEP_2)
	v_add3_u32 v4, v16, v4, v17
	v_add3_u32 v5, v11, v5, v12
	s_cbranch_scc1 .LBB79_46
; %bb.47:
	s_and_b32 s7, s7, 3
	s_delay_alu instid0(SALU_CYCLE_1)
	s_cmp_eq_u32 s7, 0
	s_cbranch_scc0 .LBB79_50
	s_branch .LBB79_52
.LBB79_48:
	s_mov_b32 s6, -1
                                        ; implicit-def: $vgpr4
                                        ; implicit-def: $vgpr5
	s_branch .LBB79_52
.LBB79_49:
	v_mov_b32_e32 v9, v7
	v_mov_b32_e32 v5, 0
	s_and_b32 s7, s7, 3
	s_delay_alu instid0(SALU_CYCLE_1)
	s_cmp_eq_u32 s7, 0
	s_cbranch_scc1 .LBB79_52
.LBB79_50:
	s_lshl_b32 s2, s8, 3
	s_mul_i32 s4, s8, 12
	s_add_u32 s2, s2, s0
	s_addc_u32 s3, 0, s1
	s_add_u32 s2, s2, 0xc4
	s_addc_u32 s3, s3, 0
	;; [unrolled: 2-line block ×3, first 2 shown]
	.p2align	6
.LBB79_51:                              ; =>This Inner Loop Header: Depth=1
	s_clause 0x1
	s_load_b64 s[8:9], s[4:5], 0x4
	s_load_b32 s12, s[4:5], 0xc
	s_load_b64 s[10:11], s[2:3], 0x0
	s_add_u32 s4, s4, 12
	s_addc_u32 s5, s5, 0
	s_add_u32 s2, s2, 8
	s_addc_u32 s3, s3, 0
	s_add_i32 s7, s7, -1
	s_delay_alu instid0(SALU_CYCLE_1) | instskip(SKIP_2) | instid1(VALU_DEP_1)
	s_cmp_lg_u32 s7, 0
	s_waitcnt lgkmcnt(0)
	v_mul_hi_u32 v10, s9, v9
	v_add_nc_u32_e32 v10, v9, v10
	s_delay_alu instid0(VALU_DEP_1) | instskip(NEXT) | instid1(VALU_DEP_1)
	v_lshrrev_b32_e32 v13, s12, v10
	v_mul_lo_u32 v10, v13, s8
	s_delay_alu instid0(VALU_DEP_1) | instskip(NEXT) | instid1(VALU_DEP_1)
	v_sub_nc_u32_e32 v9, v9, v10
	v_mad_u64_u32 v[10:11], null, v9, s10, v[4:5]
	v_mad_u64_u32 v[11:12], null, v9, s11, v[5:6]
	s_delay_alu instid0(VALU_DEP_2) | instskip(NEXT) | instid1(VALU_DEP_2)
	v_dual_mov_b32 v9, v13 :: v_dual_mov_b32 v4, v10
	v_mov_b32_e32 v5, v11
	s_cbranch_scc1 .LBB79_51
.LBB79_52:
	s_and_not1_b32 vcc_lo, exec_lo, s6
	s_cbranch_vccnz .LBB79_55
; %bb.53:
	s_clause 0x1
	s_load_b128 s[4:7], s[0:1], 0x4
	s_load_b64 s[2:3], s[0:1], 0xc4
	s_cmp_lt_u32 s22, 2
	s_waitcnt lgkmcnt(0)
	v_mul_hi_u32 v4, s5, v7
	s_delay_alu instid0(VALU_DEP_1) | instskip(NEXT) | instid1(VALU_DEP_1)
	v_add_nc_u32_e32 v4, v7, v4
	v_lshrrev_b32_e32 v9, s6, v4
	s_delay_alu instid0(VALU_DEP_1) | instskip(NEXT) | instid1(VALU_DEP_1)
	v_mul_lo_u32 v4, v9, s4
	v_sub_nc_u32_e32 v5, v7, v4
	s_delay_alu instid0(VALU_DEP_1)
	v_mul_lo_u32 v4, v5, s2
	v_mul_lo_u32 v5, v5, s3
	s_cbranch_scc1 .LBB79_55
; %bb.54:
	s_clause 0x1
	s_load_b128 s[4:7], s[0:1], 0x10
	s_load_b64 s[2:3], s[0:1], 0xcc
	s_waitcnt lgkmcnt(0)
	v_mul_hi_u32 v7, s5, v9
	s_delay_alu instid0(VALU_DEP_1) | instskip(NEXT) | instid1(VALU_DEP_1)
	v_add_nc_u32_e32 v7, v9, v7
	v_lshrrev_b32_e32 v7, s6, v7
	s_delay_alu instid0(VALU_DEP_1) | instskip(NEXT) | instid1(VALU_DEP_1)
	v_mul_lo_u32 v7, v7, s4
	v_sub_nc_u32_e32 v7, v9, v7
	s_delay_alu instid0(VALU_DEP_1) | instskip(SKIP_1) | instid1(VALU_DEP_1)
	v_mad_u64_u32 v[9:10], null, v7, s2, v[4:5]
	v_mad_u64_u32 v[10:11], null, v7, s3, v[5:6]
	v_dual_mov_b32 v4, v9 :: v_dual_mov_b32 v5, v10
.LBB79_55:
	v_cmp_ne_u32_e32 vcc_lo, 1, v6
	s_cbranch_vccnz .LBB79_61
; %bb.56:
	v_dual_mov_b32 v6, 0 :: v_dual_mov_b32 v7, 0
	s_cmp_lg_u32 s22, 0
	s_mov_b32 s6, 0
	s_cbranch_scc0 .LBB79_65
; %bb.57:
	s_min_u32 s7, s23, 15
	v_mov_b32_e32 v6, 0
	s_add_i32 s7, s7, 1
	s_cmp_eq_u32 s23, 2
	s_mov_b32 s8, 0
	s_cbranch_scc1 .LBB79_62
; %bb.58:
	v_dual_mov_b32 v7, 0 :: v_dual_mov_b32 v6, 0
	v_mov_b32_e32 v9, v8
	s_add_u32 s2, s0, 0xc4
	s_addc_u32 s3, s1, 0
	s_and_b32 s8, s7, 28
	s_mov_b32 s9, 0
	s_mov_b64 s[4:5], s[0:1]
.LBB79_59:                              ; =>This Inner Loop Header: Depth=1
	s_clause 0x1
	s_load_b256 s[12:19], s[4:5], 0x4
	s_load_b128 s[36:39], s[4:5], 0x24
	s_load_b256 s[24:31], s[2:3], 0x0
	s_add_u32 s4, s4, 48
	s_addc_u32 s5, s5, 0
	s_add_i32 s9, s9, 4
	s_add_u32 s2, s2, 32
	s_addc_u32 s3, s3, 0
	s_cmp_lg_u32 s8, s9
	s_waitcnt lgkmcnt(0)
	v_mul_hi_u32 v10, s13, v9
	s_delay_alu instid0(VALU_DEP_1) | instskip(NEXT) | instid1(VALU_DEP_1)
	v_add_nc_u32_e32 v10, v9, v10
	v_lshrrev_b32_e32 v10, s14, v10
	s_delay_alu instid0(VALU_DEP_1) | instskip(SKIP_1) | instid1(VALU_DEP_2)
	v_mul_hi_u32 v11, s16, v10
	v_mul_lo_u32 v13, v10, s12
	v_add_nc_u32_e32 v11, v10, v11
	s_delay_alu instid0(VALU_DEP_2) | instskip(NEXT) | instid1(VALU_DEP_2)
	v_sub_nc_u32_e32 v9, v9, v13
	v_lshrrev_b32_e32 v11, s17, v11
	s_delay_alu instid0(VALU_DEP_2) | instskip(SKIP_1) | instid1(VALU_DEP_3)
	v_mul_lo_u32 v13, v9, s24
	v_mul_lo_u32 v15, v9, s25
	v_mul_hi_u32 v12, s19, v11
	s_delay_alu instid0(VALU_DEP_1) | instskip(NEXT) | instid1(VALU_DEP_1)
	v_add_nc_u32_e32 v12, v11, v12
	v_lshrrev_b32_e32 v12, s36, v12
	s_delay_alu instid0(VALU_DEP_1) | instskip(SKIP_1) | instid1(VALU_DEP_2)
	v_mul_hi_u32 v14, s38, v12
	v_mul_lo_u32 v16, v12, s18
	v_add_nc_u32_e32 v9, v12, v14
	v_mul_lo_u32 v14, v11, s15
	s_delay_alu instid0(VALU_DEP_3) | instskip(NEXT) | instid1(VALU_DEP_3)
	v_sub_nc_u32_e32 v11, v11, v16
	v_lshrrev_b32_e32 v9, s39, v9
	s_delay_alu instid0(VALU_DEP_2) | instskip(SKIP_2) | instid1(VALU_DEP_4)
	v_mul_lo_u32 v16, v11, s28
	v_mul_lo_u32 v11, v11, s29
	v_sub_nc_u32_e32 v10, v10, v14
	v_mul_lo_u32 v17, v9, s37
	s_delay_alu instid0(VALU_DEP_2) | instskip(SKIP_1) | instid1(VALU_DEP_3)
	v_mul_lo_u32 v14, v10, s26
	v_mul_lo_u32 v10, v10, s27
	v_sub_nc_u32_e32 v12, v12, v17
	s_delay_alu instid0(VALU_DEP_3) | instskip(NEXT) | instid1(VALU_DEP_2)
	v_add3_u32 v6, v13, v6, v14
	v_mul_lo_u32 v17, v12, s30
	v_mul_lo_u32 v12, v12, s31
	v_add3_u32 v7, v15, v7, v10
	s_delay_alu instid0(VALU_DEP_3) | instskip(NEXT) | instid1(VALU_DEP_2)
	v_add3_u32 v6, v16, v6, v17
	v_add3_u32 v7, v11, v7, v12
	s_cbranch_scc1 .LBB79_59
; %bb.60:
	s_and_b32 s7, s7, 3
	s_delay_alu instid0(SALU_CYCLE_1)
	s_cmp_eq_u32 s7, 0
	s_cbranch_scc0 .LBB79_63
	s_branch .LBB79_65
.LBB79_61:
	s_mov_b32 s6, -1
                                        ; implicit-def: $vgpr6
                                        ; implicit-def: $vgpr7
	s_branch .LBB79_65
.LBB79_62:
	v_mov_b32_e32 v9, v8
	v_mov_b32_e32 v7, 0
	s_and_b32 s7, s7, 3
	s_delay_alu instid0(SALU_CYCLE_1)
	s_cmp_eq_u32 s7, 0
	s_cbranch_scc1 .LBB79_65
.LBB79_63:
	s_lshl_b32 s2, s8, 3
	s_mul_i32 s4, s8, 12
	s_add_u32 s2, s2, s0
	s_addc_u32 s3, 0, s1
	s_add_u32 s2, s2, 0xc4
	s_addc_u32 s3, s3, 0
	;; [unrolled: 2-line block ×3, first 2 shown]
	.p2align	6
.LBB79_64:                              ; =>This Inner Loop Header: Depth=1
	s_clause 0x1
	s_load_b64 s[8:9], s[4:5], 0x4
	s_load_b32 s12, s[4:5], 0xc
	s_load_b64 s[10:11], s[2:3], 0x0
	s_add_u32 s4, s4, 12
	s_addc_u32 s5, s5, 0
	s_add_u32 s2, s2, 8
	s_addc_u32 s3, s3, 0
	s_add_i32 s7, s7, -1
	s_delay_alu instid0(SALU_CYCLE_1) | instskip(SKIP_2) | instid1(VALU_DEP_1)
	s_cmp_lg_u32 s7, 0
	s_waitcnt lgkmcnt(0)
	v_mul_hi_u32 v10, s9, v9
	v_add_nc_u32_e32 v10, v9, v10
	s_delay_alu instid0(VALU_DEP_1) | instskip(NEXT) | instid1(VALU_DEP_1)
	v_lshrrev_b32_e32 v13, s12, v10
	v_mul_lo_u32 v10, v13, s8
	s_delay_alu instid0(VALU_DEP_1) | instskip(NEXT) | instid1(VALU_DEP_1)
	v_sub_nc_u32_e32 v9, v9, v10
	v_mad_u64_u32 v[10:11], null, v9, s10, v[6:7]
	v_mad_u64_u32 v[11:12], null, v9, s11, v[7:8]
	s_delay_alu instid0(VALU_DEP_2) | instskip(NEXT) | instid1(VALU_DEP_2)
	v_dual_mov_b32 v9, v13 :: v_dual_mov_b32 v6, v10
	v_mov_b32_e32 v7, v11
	s_cbranch_scc1 .LBB79_64
.LBB79_65:
	s_and_not1_b32 vcc_lo, exec_lo, s6
	s_cbranch_vccnz .LBB79_68
; %bb.66:
	s_clause 0x1
	s_load_b128 s[4:7], s[0:1], 0x4
	s_load_b64 s[2:3], s[0:1], 0xc4
	s_cmp_lt_u32 s22, 2
	s_waitcnt lgkmcnt(0)
	v_mul_hi_u32 v6, s5, v8
	s_delay_alu instid0(VALU_DEP_1) | instskip(NEXT) | instid1(VALU_DEP_1)
	v_add_nc_u32_e32 v6, v8, v6
	v_lshrrev_b32_e32 v9, s6, v6
	s_delay_alu instid0(VALU_DEP_1) | instskip(NEXT) | instid1(VALU_DEP_1)
	v_mul_lo_u32 v6, v9, s4
	v_sub_nc_u32_e32 v7, v8, v6
	s_delay_alu instid0(VALU_DEP_1)
	v_mul_lo_u32 v6, v7, s2
	v_mul_lo_u32 v7, v7, s3
	s_cbranch_scc1 .LBB79_68
; %bb.67:
	s_clause 0x1
	s_load_b128 s[4:7], s[0:1], 0x10
	s_load_b64 s[2:3], s[0:1], 0xcc
	s_waitcnt lgkmcnt(0)
	v_mul_hi_u32 v8, s5, v9
	s_delay_alu instid0(VALU_DEP_1) | instskip(NEXT) | instid1(VALU_DEP_1)
	v_add_nc_u32_e32 v8, v9, v8
	v_lshrrev_b32_e32 v8, s6, v8
	s_delay_alu instid0(VALU_DEP_1) | instskip(NEXT) | instid1(VALU_DEP_1)
	v_mul_lo_u32 v8, v8, s4
	v_sub_nc_u32_e32 v11, v9, v8
	s_delay_alu instid0(VALU_DEP_1) | instskip(NEXT) | instid1(VALU_DEP_1)
	v_mad_u64_u32 v[8:9], null, v11, s2, v[6:7]
	v_mad_u64_u32 v[9:10], null, v11, s3, v[7:8]
	s_delay_alu instid0(VALU_DEP_1)
	v_dual_mov_b32 v6, v8 :: v_dual_mov_b32 v7, v9
.LBB79_68:
	s_load_b128 s[8:11], s[0:1], 0x148
	s_mov_b32 s0, 0x652b82fe
	s_mov_b32 s1, 0x3ff71547
	;; [unrolled: 1-line block ×4, first 2 shown]
	s_waitcnt lgkmcnt(0)
	s_clause 0x3
	global_load_b64 v[8:9], v1, s[10:11]
	global_load_b64 v[10:11], v3, s[10:11]
	;; [unrolled: 1-line block ×4, first 2 shown]
	s_waitcnt vmcnt(3)
	v_mul_f64 v[16:17], v[8:9], s[0:1]
	s_waitcnt vmcnt(2)
	v_mul_f64 v[18:19], v[10:11], s[0:1]
	;; [unrolled: 2-line block ×4, first 2 shown]
	s_mov_b32 s0, 0xfefa39ef
	s_mov_b32 s1, 0xbfe62e42
	v_cmp_nlt_f64_e64 s5, 0x40900000, v[14:15]
	v_cmp_nlt_f64_e32 vcc_lo, 0x40900000, v[8:9]
	v_cmp_ngt_f64_e64 s6, 0xc090cc00, v[14:15]
	v_cmp_ngt_f64_e64 s4, 0xc090cc00, v[12:13]
	v_rndne_f64_e32 v[16:17], v[16:17]
	v_rndne_f64_e32 v[18:19], v[18:19]
	;; [unrolled: 1-line block ×4, first 2 shown]
	s_delay_alu instid0(VALU_DEP_4) | instskip(NEXT) | instid1(VALU_DEP_4)
	v_fma_f64 v[24:25], v[16:17], s[0:1], v[8:9]
	v_fma_f64 v[26:27], v[18:19], s[0:1], v[10:11]
	s_delay_alu instid0(VALU_DEP_4) | instskip(NEXT) | instid1(VALU_DEP_4)
	v_fma_f64 v[28:29], v[20:21], s[0:1], v[12:13]
	v_fma_f64 v[30:31], v[22:23], s[0:1], v[14:15]
	s_mov_b32 s0, 0x3b39803f
	s_mov_b32 s1, 0xbc7abc9e
	v_cvt_i32_f64_e32 v7, v[22:23]
	v_cvt_i32_f64_e32 v1, v[16:17]
	;; [unrolled: 1-line block ×4, first 2 shown]
	v_fma_f64 v[24:25], v[16:17], s[0:1], v[24:25]
	v_fma_f64 v[26:27], v[18:19], s[0:1], v[26:27]
	;; [unrolled: 1-line block ×4, first 2 shown]
	s_mov_b32 s0, 0xfca7ab0c
	s_mov_b32 s1, 0x3e928af3
	s_delay_alu instid0(VALU_DEP_4) | instid1(SALU_CYCLE_1)
	v_fma_f64 v[32:33], v[24:25], s[2:3], s[0:1]
	s_delay_alu instid0(VALU_DEP_4) | instskip(NEXT) | instid1(VALU_DEP_4)
	v_fma_f64 v[34:35], v[26:27], s[2:3], s[0:1]
	v_fma_f64 v[36:37], v[28:29], s[2:3], s[0:1]
	s_delay_alu instid0(VALU_DEP_4)
	v_fma_f64 v[38:39], v[30:31], s[2:3], s[0:1]
	s_mov_b32 s0, 0x623fde64
	s_mov_b32 s1, 0x3ec71dee
	v_cmp_ngt_f64_e64 s2, 0xc090cc00, v[10:11]
	v_cmp_nlt_f64_e64 s3, 0x40900000, v[12:13]
	v_fma_f64 v[32:33], v[24:25], v[32:33], s[0:1]
	v_fma_f64 v[34:35], v[26:27], v[34:35], s[0:1]
	v_fma_f64 v[36:37], v[28:29], v[36:37], s[0:1]
	v_fma_f64 v[38:39], v[30:31], v[38:39], s[0:1]
	s_mov_b32 s0, 0x7c89e6b0
	s_mov_b32 s1, 0x3efa0199
	s_delay_alu instid0(VALU_DEP_4) | instid1(SALU_CYCLE_1)
	v_fma_f64 v[32:33], v[24:25], v[32:33], s[0:1]
	s_delay_alu instid0(VALU_DEP_4) | instskip(NEXT) | instid1(VALU_DEP_4)
	v_fma_f64 v[34:35], v[26:27], v[34:35], s[0:1]
	v_fma_f64 v[36:37], v[28:29], v[36:37], s[0:1]
	s_delay_alu instid0(VALU_DEP_4)
	v_fma_f64 v[38:39], v[30:31], v[38:39], s[0:1]
	s_mov_b32 s0, 0x14761f6e
	s_mov_b32 s1, 0x3f2a01a0
	s_delay_alu instid0(VALU_DEP_4) | instid1(SALU_CYCLE_1)
	v_fma_f64 v[32:33], v[24:25], v[32:33], s[0:1]
	s_delay_alu instid0(VALU_DEP_4) | instskip(NEXT) | instid1(VALU_DEP_4)
	v_fma_f64 v[34:35], v[26:27], v[34:35], s[0:1]
	v_fma_f64 v[36:37], v[28:29], v[36:37], s[0:1]
	s_delay_alu instid0(VALU_DEP_4)
	v_fma_f64 v[38:39], v[30:31], v[38:39], s[0:1]
	s_mov_b32 s0, 0x1852b7b0
	s_mov_b32 s1, 0x3f56c16c
	s_delay_alu instid0(VALU_DEP_4) | instid1(SALU_CYCLE_1)
	v_fma_f64 v[32:33], v[24:25], v[32:33], s[0:1]
	s_delay_alu instid0(VALU_DEP_4) | instskip(NEXT) | instid1(VALU_DEP_4)
	v_fma_f64 v[34:35], v[26:27], v[34:35], s[0:1]
	v_fma_f64 v[36:37], v[28:29], v[36:37], s[0:1]
	s_delay_alu instid0(VALU_DEP_4)
	v_fma_f64 v[38:39], v[30:31], v[38:39], s[0:1]
	s_mov_b32 s0, 0x11122322
	s_mov_b32 s1, 0x3f811111
	s_delay_alu instid0(VALU_DEP_4) | instid1(SALU_CYCLE_1)
	v_fma_f64 v[32:33], v[24:25], v[32:33], s[0:1]
	s_delay_alu instid0(VALU_DEP_4) | instskip(NEXT) | instid1(VALU_DEP_4)
	v_fma_f64 v[34:35], v[26:27], v[34:35], s[0:1]
	v_fma_f64 v[36:37], v[28:29], v[36:37], s[0:1]
	s_delay_alu instid0(VALU_DEP_4)
	v_fma_f64 v[38:39], v[30:31], v[38:39], s[0:1]
	s_mov_b32 s0, 0x555502a1
	s_mov_b32 s1, 0x3fa55555
	s_delay_alu instid0(VALU_DEP_4) | instid1(SALU_CYCLE_1)
	v_fma_f64 v[32:33], v[24:25], v[32:33], s[0:1]
	s_delay_alu instid0(VALU_DEP_4) | instskip(NEXT) | instid1(VALU_DEP_4)
	v_fma_f64 v[34:35], v[26:27], v[34:35], s[0:1]
	v_fma_f64 v[36:37], v[28:29], v[36:37], s[0:1]
	s_delay_alu instid0(VALU_DEP_4)
	v_fma_f64 v[38:39], v[30:31], v[38:39], s[0:1]
	s_mov_b32 s0, 0x55555511
	s_mov_b32 s1, 0x3fc55555
	s_delay_alu instid0(VALU_DEP_4) | instid1(SALU_CYCLE_1)
	v_fma_f64 v[32:33], v[24:25], v[32:33], s[0:1]
	s_delay_alu instid0(VALU_DEP_4) | instskip(NEXT) | instid1(VALU_DEP_4)
	v_fma_f64 v[34:35], v[26:27], v[34:35], s[0:1]
	v_fma_f64 v[36:37], v[28:29], v[36:37], s[0:1]
	s_delay_alu instid0(VALU_DEP_4)
	v_fma_f64 v[38:39], v[30:31], v[38:39], s[0:1]
	s_mov_b32 s0, 11
	s_mov_b32 s1, 0x3fe00000
	s_delay_alu instid0(VALU_DEP_4) | instid1(SALU_CYCLE_1)
	v_fma_f64 v[32:33], v[24:25], v[32:33], s[0:1]
	s_delay_alu instid0(VALU_DEP_4) | instskip(NEXT) | instid1(VALU_DEP_4)
	v_fma_f64 v[34:35], v[26:27], v[34:35], s[0:1]
	v_fma_f64 v[36:37], v[28:29], v[36:37], s[0:1]
	s_delay_alu instid0(VALU_DEP_4)
	v_fma_f64 v[38:39], v[30:31], v[38:39], s[0:1]
	v_cmp_ngt_f64_e64 s0, 0xc090cc00, v[8:9]
	v_cmp_nlt_f64_e64 s1, 0x40900000, v[10:11]
	v_fma_f64 v[32:33], v[24:25], v[32:33], 1.0
	v_fma_f64 v[34:35], v[26:27], v[34:35], 1.0
	;; [unrolled: 1-line block ×4, first 2 shown]
	s_delay_alu instid0(VALU_DEP_4) | instskip(NEXT) | instid1(VALU_DEP_4)
	v_fma_f64 v[16:17], v[24:25], v[32:33], 1.0
	v_fma_f64 v[18:19], v[26:27], v[34:35], 1.0
	s_delay_alu instid0(VALU_DEP_4) | instskip(NEXT) | instid1(VALU_DEP_4)
	v_fma_f64 v[20:21], v[28:29], v[36:37], 1.0
	v_fma_f64 v[22:23], v[30:31], v[38:39], 1.0
	s_delay_alu instid0(VALU_DEP_4) | instskip(NEXT) | instid1(VALU_DEP_4)
	v_ldexp_f64 v[16:17], v[16:17], v1
	v_ldexp_f64 v[18:19], v[18:19], v3
	s_delay_alu instid0(VALU_DEP_4) | instskip(NEXT) | instid1(VALU_DEP_4)
	v_ldexp_f64 v[20:21], v[20:21], v5
	v_ldexp_f64 v[22:23], v[22:23], v7
	s_delay_alu instid0(VALU_DEP_4) | instskip(SKIP_1) | instid1(VALU_DEP_4)
	v_cndmask_b32_e32 v1, 0x7ff00000, v17, vcc_lo
	s_and_b32 vcc_lo, s0, vcc_lo
	v_cndmask_b32_e64 v3, 0x7ff00000, v19, s1
	s_delay_alu instid0(VALU_DEP_3) | instskip(SKIP_2) | instid1(VALU_DEP_4)
	v_cndmask_b32_e64 v7, 0x7ff00000, v23, s5
	v_cndmask_b32_e64 v5, 0x7ff00000, v21, s3
	;; [unrolled: 1-line block ×4, first 2 shown]
	s_delay_alu instid0(VALU_DEP_4)
	v_cndmask_b32_e64 v14, 0, v7, s6
	v_cndmask_b32_e32 v7, 0, v16, vcc_lo
	s_and_b32 vcc_lo, s2, s1
	v_cndmask_b32_e64 v12, 0, v5, s4
	v_cndmask_b32_e32 v9, 0, v18, vcc_lo
	s_and_b32 vcc_lo, s4, s3
	v_cndmask_b32_e32 v11, 0, v20, vcc_lo
	s_and_b32 vcc_lo, s6, s5
	v_cndmask_b32_e32 v13, 0, v22, vcc_lo
	s_clause 0x3
	global_store_b64 v0, v[7:8], s[8:9]
	global_store_b64 v2, v[9:10], s[8:9]
	;; [unrolled: 1-line block ×4, first 2 shown]
	s_nop 0
	s_sendmsg sendmsg(MSG_DEALLOC_VGPRS)
	s_endpgm
.LBB79_69:
	v_dual_mov_b32 v2, v4 :: v_dual_mov_b32 v1, 0
.LBB79_70:
	s_and_b32 s34, s34, 3
	s_delay_alu instid0(SALU_CYCLE_1)
	s_cmp_eq_u32 s34, 0
	s_cbranch_scc1 .LBB79_73
; %bb.71:
	s_lshl_b32 s2, s33, 3
	s_mul_i32 s20, s33, 12
	s_add_u32 s2, s2, s0
	s_addc_u32 s3, s1, 0
	s_add_u32 s2, s2, 0xc4
	s_addc_u32 s3, s3, 0
	;; [unrolled: 2-line block ×3, first 2 shown]
	.p2align	6
.LBB79_72:                              ; =>This Inner Loop Header: Depth=1
	s_clause 0x1
	s_load_b64 s[36:37], s[20:21], 0x4
	s_load_b32 s33, s[20:21], 0xc
	s_load_b64 s[38:39], s[2:3], 0x0
	s_add_u32 s20, s20, 12
	s_addc_u32 s21, s21, 0
	s_add_u32 s2, s2, 8
	s_addc_u32 s3, s3, 0
	s_add_i32 s34, s34, -1
	s_delay_alu instid0(SALU_CYCLE_1) | instskip(SKIP_2) | instid1(VALU_DEP_1)
	s_cmp_lg_u32 s34, 0
	s_waitcnt lgkmcnt(0)
	v_mul_hi_u32 v3, s37, v2
	v_add_nc_u32_e32 v3, v2, v3
	s_delay_alu instid0(VALU_DEP_1) | instskip(NEXT) | instid1(VALU_DEP_1)
	v_lshrrev_b32_e32 v3, s33, v3
	v_mul_lo_u32 v5, v3, s36
	s_delay_alu instid0(VALU_DEP_1) | instskip(NEXT) | instid1(VALU_DEP_1)
	v_sub_nc_u32_e32 v2, v2, v5
	v_mad_u64_u32 v[5:6], null, v2, s38, v[0:1]
	v_mad_u64_u32 v[6:7], null, v2, s39, v[1:2]
	v_mov_b32_e32 v2, v3
	s_delay_alu instid0(VALU_DEP_2)
	v_dual_mov_b32 v0, v5 :: v_dual_mov_b32 v1, v6
	s_cbranch_scc1 .LBB79_72
.LBB79_73:
	s_and_not1_b32 vcc_lo, exec_lo, s31
	s_cbranch_vccnz .LBB79_76
; %bb.74:
	s_waitcnt lgkmcnt(0)
	v_mul_hi_u32 v0, s13, v4
	s_and_not1_b32 vcc_lo, exec_lo, s26
	s_delay_alu instid0(VALU_DEP_1) | instskip(NEXT) | instid1(VALU_DEP_1)
	v_add_nc_u32_e32 v0, v4, v0
	v_lshrrev_b32_e32 v2, s14, v0
	s_delay_alu instid0(VALU_DEP_1) | instskip(NEXT) | instid1(VALU_DEP_1)
	v_mul_lo_u32 v0, v2, s12
	v_sub_nc_u32_e32 v1, v4, v0
	s_delay_alu instid0(VALU_DEP_1)
	v_mul_lo_u32 v0, v1, s8
	v_mul_lo_u32 v1, v1, s9
	s_cbranch_vccnz .LBB79_76
; %bb.75:
	v_mul_hi_u32 v3, s16, v2
	s_delay_alu instid0(VALU_DEP_1) | instskip(NEXT) | instid1(VALU_DEP_1)
	v_add_nc_u32_e32 v3, v2, v3
	v_lshrrev_b32_e32 v3, s17, v3
	s_delay_alu instid0(VALU_DEP_1) | instskip(NEXT) | instid1(VALU_DEP_1)
	v_mul_lo_u32 v3, v3, s15
	v_sub_nc_u32_e32 v7, v2, v3
	s_delay_alu instid0(VALU_DEP_1) | instskip(NEXT) | instid1(VALU_DEP_1)
	v_mad_u64_u32 v[2:3], null, v7, s10, v[0:1]
	v_mad_u64_u32 v[5:6], null, v7, s11, v[1:2]
	s_delay_alu instid0(VALU_DEP_1)
	v_dual_mov_b32 v0, v2 :: v_dual_mov_b32 v1, v5
.LBB79_76:
	s_waitcnt lgkmcnt(0)
	global_load_b64 v[1:2], v1, s[6:7]
	s_mov_b32 s2, 0x652b82fe
	s_mov_b32 s3, 0x3ff71547
	;; [unrolled: 1-line block ×4, first 2 shown]
	v_add_nc_u32_e32 v4, 0x80, v4
	s_waitcnt vmcnt(0)
	v_mul_f64 v[5:6], v[1:2], s[2:3]
	s_mov_b32 s2, 0xfefa39ef
	s_mov_b32 s3, 0xbfe62e42
	v_cmp_nlt_f64_e32 vcc_lo, 0x40900000, v[1:2]
	s_delay_alu instid0(VALU_DEP_2) | instskip(NEXT) | instid1(VALU_DEP_1)
	v_rndne_f64_e32 v[5:6], v[5:6]
	v_fma_f64 v[7:8], v[5:6], s[2:3], v[1:2]
	s_mov_b32 s2, 0x3b39803f
	s_mov_b32 s3, 0xbc7abc9e
	v_cvt_i32_f64_e32 v3, v[5:6]
	s_delay_alu instid0(VALU_DEP_2)
	v_fma_f64 v[7:8], v[5:6], s[2:3], v[7:8]
	s_mov_b32 s2, 0xfca7ab0c
	s_mov_b32 s3, 0x3e928af3
	s_delay_alu instid0(VALU_DEP_1) | instid1(SALU_CYCLE_1)
	v_fma_f64 v[9:10], v[7:8], s[20:21], s[2:3]
	s_mov_b32 s2, 0x623fde64
	s_mov_b32 s3, 0x3ec71dee
	s_delay_alu instid0(VALU_DEP_1) | instid1(SALU_CYCLE_1)
	;; [unrolled: 4-line block ×9, first 2 shown]
	v_fma_f64 v[9:10], v[7:8], v[9:10], s[2:3]
	v_cmp_ngt_f64_e64 s2, 0xc090cc00, v[1:2]
	s_delay_alu instid0(VALU_DEP_2) | instskip(NEXT) | instid1(VALU_DEP_1)
	v_fma_f64 v[9:10], v[7:8], v[9:10], 1.0
	v_fma_f64 v[5:6], v[7:8], v[9:10], 1.0
	s_delay_alu instid0(VALU_DEP_1) | instskip(NEXT) | instid1(VALU_DEP_1)
	v_ldexp_f64 v[5:6], v[5:6], v3
	v_cndmask_b32_e32 v3, 0x7ff00000, v6, vcc_lo
	s_and_b32 vcc_lo, s2, vcc_lo
	s_delay_alu instid0(VALU_DEP_2) | instskip(NEXT) | instid1(VALU_DEP_2)
	v_cndmask_b32_e32 v1, 0, v5, vcc_lo
	v_cndmask_b32_e64 v2, 0, v3, s2
	global_store_b64 v0, v[1:2], s[4:5]
	s_or_b32 exec_lo, exec_lo, s30
	s_delay_alu instid0(SALU_CYCLE_1)
	s_mov_b32 s30, exec_lo
	v_cmpx_gt_i32_e64 s27, v4
	s_cbranch_execnz .LBB79_15
.LBB79_77:
	s_or_b32 exec_lo, exec_lo, s30
	s_delay_alu instid0(SALU_CYCLE_1)
	s_mov_b32 s30, exec_lo
	v_cmpx_gt_i32_e64 s27, v4
	s_cbranch_execz .LBB79_92
.LBB79_78:
	s_and_not1_b32 vcc_lo, exec_lo, s24
	s_cbranch_vccnz .LBB79_83
; %bb.79:
	v_dual_mov_b32 v0, 0 :: v_dual_mov_b32 v1, 0
	s_and_not1_b32 vcc_lo, exec_lo, s29
	s_mov_b32 s31, 0
	s_cbranch_vccnz .LBB79_99
; %bb.80:
	v_mov_b32_e32 v0, 0
	s_add_i32 s34, s28, 1
	s_cmp_eq_u32 s23, 2
	s_mov_b32 s33, 0
	s_cbranch_scc1 .LBB79_95
; %bb.81:
	v_dual_mov_b32 v1, 0 :: v_dual_mov_b32 v0, 0
	v_mov_b32_e32 v2, v4
	s_and_b32 s33, s34, 28
	s_mov_b32 s35, 0
	s_mov_b64 s[2:3], s[18:19]
	s_mov_b64 s[20:21], s[0:1]
.LBB79_82:                              ; =>This Inner Loop Header: Depth=1
	s_clause 0x1
	s_load_b256 s[36:43], s[20:21], 0x4
	s_load_b128 s[52:55], s[20:21], 0x24
	s_load_b256 s[44:51], s[2:3], 0x0
	s_add_u32 s20, s20, 48
	s_addc_u32 s21, s21, 0
	s_add_i32 s35, s35, 4
	s_add_u32 s2, s2, 32
	s_addc_u32 s3, s3, 0
	s_cmp_eq_u32 s33, s35
	s_waitcnt lgkmcnt(0)
	v_mul_hi_u32 v3, s37, v2
	s_delay_alu instid0(VALU_DEP_1) | instskip(NEXT) | instid1(VALU_DEP_1)
	v_add_nc_u32_e32 v3, v2, v3
	v_lshrrev_b32_e32 v3, s38, v3
	s_delay_alu instid0(VALU_DEP_1) | instskip(SKIP_1) | instid1(VALU_DEP_2)
	v_mul_hi_u32 v5, s40, v3
	v_mul_lo_u32 v7, v3, s36
	v_add_nc_u32_e32 v5, v3, v5
	s_delay_alu instid0(VALU_DEP_2) | instskip(NEXT) | instid1(VALU_DEP_2)
	v_sub_nc_u32_e32 v2, v2, v7
	v_lshrrev_b32_e32 v5, s41, v5
	s_delay_alu instid0(VALU_DEP_2) | instskip(SKIP_1) | instid1(VALU_DEP_3)
	v_mul_lo_u32 v7, v2, s44
	v_mul_lo_u32 v9, v2, s45
	v_mul_hi_u32 v6, s43, v5
	s_delay_alu instid0(VALU_DEP_1) | instskip(NEXT) | instid1(VALU_DEP_1)
	v_add_nc_u32_e32 v6, v5, v6
	v_lshrrev_b32_e32 v6, s52, v6
	s_delay_alu instid0(VALU_DEP_1) | instskip(SKIP_1) | instid1(VALU_DEP_2)
	v_mul_hi_u32 v8, s54, v6
	v_mul_lo_u32 v10, v6, s42
	v_add_nc_u32_e32 v2, v6, v8
	v_mul_lo_u32 v8, v5, s39
	s_delay_alu instid0(VALU_DEP_3) | instskip(NEXT) | instid1(VALU_DEP_3)
	v_sub_nc_u32_e32 v5, v5, v10
	v_lshrrev_b32_e32 v2, s55, v2
	s_delay_alu instid0(VALU_DEP_2) | instskip(SKIP_2) | instid1(VALU_DEP_4)
	v_mul_lo_u32 v10, v5, s48
	v_mul_lo_u32 v5, v5, s49
	v_sub_nc_u32_e32 v3, v3, v8
	v_mul_lo_u32 v11, v2, s53
	s_delay_alu instid0(VALU_DEP_2) | instskip(SKIP_1) | instid1(VALU_DEP_3)
	v_mul_lo_u32 v8, v3, s46
	v_mul_lo_u32 v3, v3, s47
	v_sub_nc_u32_e32 v6, v6, v11
	s_delay_alu instid0(VALU_DEP_3) | instskip(NEXT) | instid1(VALU_DEP_2)
	v_add3_u32 v0, v7, v0, v8
	v_mul_lo_u32 v11, v6, s50
	v_mul_lo_u32 v6, v6, s51
	v_add3_u32 v1, v9, v1, v3
	s_delay_alu instid0(VALU_DEP_3) | instskip(NEXT) | instid1(VALU_DEP_2)
	v_add3_u32 v0, v10, v0, v11
	v_add3_u32 v1, v5, v1, v6
	s_cbranch_scc0 .LBB79_82
	s_branch .LBB79_96
.LBB79_83:
	s_mov_b32 s31, -1
                                        ; implicit-def: $vgpr0
                                        ; implicit-def: $vgpr1
	s_branch .LBB79_99
.LBB79_84:
	v_dual_mov_b32 v2, v4 :: v_dual_mov_b32 v1, 0
.LBB79_85:
	s_and_b32 s34, s34, 3
	s_delay_alu instid0(SALU_CYCLE_1)
	s_cmp_eq_u32 s34, 0
	s_cbranch_scc1 .LBB79_88
; %bb.86:
	s_lshl_b32 s2, s33, 3
	s_mul_i32 s20, s33, 12
	s_add_u32 s2, s2, s0
	s_addc_u32 s3, s1, 0
	s_add_u32 s2, s2, 0xc4
	s_addc_u32 s3, s3, 0
	;; [unrolled: 2-line block ×3, first 2 shown]
	.p2align	6
.LBB79_87:                              ; =>This Inner Loop Header: Depth=1
	s_clause 0x1
	s_load_b64 s[36:37], s[20:21], 0x4
	s_load_b32 s33, s[20:21], 0xc
	s_load_b64 s[38:39], s[2:3], 0x0
	s_add_u32 s20, s20, 12
	s_addc_u32 s21, s21, 0
	s_add_u32 s2, s2, 8
	s_addc_u32 s3, s3, 0
	s_add_i32 s34, s34, -1
	s_delay_alu instid0(SALU_CYCLE_1) | instskip(SKIP_2) | instid1(VALU_DEP_1)
	s_cmp_lg_u32 s34, 0
	s_waitcnt lgkmcnt(0)
	v_mul_hi_u32 v3, s37, v2
	v_add_nc_u32_e32 v3, v2, v3
	s_delay_alu instid0(VALU_DEP_1) | instskip(NEXT) | instid1(VALU_DEP_1)
	v_lshrrev_b32_e32 v3, s33, v3
	v_mul_lo_u32 v5, v3, s36
	s_delay_alu instid0(VALU_DEP_1) | instskip(NEXT) | instid1(VALU_DEP_1)
	v_sub_nc_u32_e32 v2, v2, v5
	v_mad_u64_u32 v[5:6], null, v2, s38, v[0:1]
	v_mad_u64_u32 v[6:7], null, v2, s39, v[1:2]
	v_mov_b32_e32 v2, v3
	s_delay_alu instid0(VALU_DEP_2)
	v_dual_mov_b32 v0, v5 :: v_dual_mov_b32 v1, v6
	s_cbranch_scc1 .LBB79_87
.LBB79_88:
	s_and_not1_b32 vcc_lo, exec_lo, s31
	s_cbranch_vccnz .LBB79_91
; %bb.89:
	s_waitcnt lgkmcnt(0)
	v_mul_hi_u32 v0, s13, v4
	s_and_not1_b32 vcc_lo, exec_lo, s26
	s_delay_alu instid0(VALU_DEP_1) | instskip(NEXT) | instid1(VALU_DEP_1)
	v_add_nc_u32_e32 v0, v4, v0
	v_lshrrev_b32_e32 v2, s14, v0
	s_delay_alu instid0(VALU_DEP_1) | instskip(NEXT) | instid1(VALU_DEP_1)
	v_mul_lo_u32 v0, v2, s12
	v_sub_nc_u32_e32 v1, v4, v0
	s_delay_alu instid0(VALU_DEP_1)
	v_mul_lo_u32 v0, v1, s8
	v_mul_lo_u32 v1, v1, s9
	s_cbranch_vccnz .LBB79_91
; %bb.90:
	v_mul_hi_u32 v3, s16, v2
	s_delay_alu instid0(VALU_DEP_1) | instskip(NEXT) | instid1(VALU_DEP_1)
	v_add_nc_u32_e32 v3, v2, v3
	v_lshrrev_b32_e32 v3, s17, v3
	s_delay_alu instid0(VALU_DEP_1) | instskip(NEXT) | instid1(VALU_DEP_1)
	v_mul_lo_u32 v3, v3, s15
	v_sub_nc_u32_e32 v7, v2, v3
	s_delay_alu instid0(VALU_DEP_1) | instskip(NEXT) | instid1(VALU_DEP_1)
	v_mad_u64_u32 v[2:3], null, v7, s10, v[0:1]
	v_mad_u64_u32 v[5:6], null, v7, s11, v[1:2]
	s_delay_alu instid0(VALU_DEP_1)
	v_dual_mov_b32 v0, v2 :: v_dual_mov_b32 v1, v5
.LBB79_91:
	s_waitcnt lgkmcnt(0)
	global_load_b64 v[1:2], v1, s[6:7]
	s_mov_b32 s2, 0x652b82fe
	s_mov_b32 s3, 0x3ff71547
	;; [unrolled: 1-line block ×4, first 2 shown]
	v_add_nc_u32_e32 v4, 0x80, v4
	s_waitcnt vmcnt(0)
	v_mul_f64 v[5:6], v[1:2], s[2:3]
	s_mov_b32 s2, 0xfefa39ef
	s_mov_b32 s3, 0xbfe62e42
	v_cmp_nlt_f64_e32 vcc_lo, 0x40900000, v[1:2]
	s_delay_alu instid0(VALU_DEP_2) | instskip(NEXT) | instid1(VALU_DEP_1)
	v_rndne_f64_e32 v[5:6], v[5:6]
	v_fma_f64 v[7:8], v[5:6], s[2:3], v[1:2]
	s_mov_b32 s2, 0x3b39803f
	s_mov_b32 s3, 0xbc7abc9e
	v_cvt_i32_f64_e32 v3, v[5:6]
	s_delay_alu instid0(VALU_DEP_2)
	v_fma_f64 v[7:8], v[5:6], s[2:3], v[7:8]
	s_mov_b32 s2, 0xfca7ab0c
	s_mov_b32 s3, 0x3e928af3
	s_delay_alu instid0(VALU_DEP_1) | instid1(SALU_CYCLE_1)
	v_fma_f64 v[9:10], v[7:8], s[20:21], s[2:3]
	s_mov_b32 s2, 0x623fde64
	s_mov_b32 s3, 0x3ec71dee
	s_delay_alu instid0(VALU_DEP_1) | instid1(SALU_CYCLE_1)
	;; [unrolled: 4-line block ×9, first 2 shown]
	v_fma_f64 v[9:10], v[7:8], v[9:10], s[2:3]
	v_cmp_ngt_f64_e64 s2, 0xc090cc00, v[1:2]
	s_delay_alu instid0(VALU_DEP_2) | instskip(NEXT) | instid1(VALU_DEP_1)
	v_fma_f64 v[9:10], v[7:8], v[9:10], 1.0
	v_fma_f64 v[5:6], v[7:8], v[9:10], 1.0
	s_delay_alu instid0(VALU_DEP_1) | instskip(NEXT) | instid1(VALU_DEP_1)
	v_ldexp_f64 v[5:6], v[5:6], v3
	v_cndmask_b32_e32 v3, 0x7ff00000, v6, vcc_lo
	s_and_b32 vcc_lo, s2, vcc_lo
	s_delay_alu instid0(VALU_DEP_2) | instskip(NEXT) | instid1(VALU_DEP_2)
	v_cndmask_b32_e32 v1, 0, v5, vcc_lo
	v_cndmask_b32_e64 v2, 0, v3, s2
	global_store_b64 v0, v[1:2], s[4:5]
	s_or_b32 exec_lo, exec_lo, s30
	s_delay_alu instid0(SALU_CYCLE_1)
	s_mov_b32 s30, exec_lo
	v_cmpx_gt_i32_e64 s27, v4
	s_cbranch_execnz .LBB79_78
.LBB79_92:
	s_or_b32 exec_lo, exec_lo, s30
	s_delay_alu instid0(SALU_CYCLE_1)
	s_mov_b32 s20, exec_lo
	v_cmpx_gt_i32_e64 s27, v4
	s_cbranch_execnz .LBB79_103
.LBB79_93:
	s_or_b32 exec_lo, exec_lo, s20
                                        ; implicit-def: $vgpr8
                                        ; implicit-def: $vgpr4
	s_and_not1_saveexec_b32 s2, s25
	s_cbranch_execnz .LBB79_8
.LBB79_94:
	s_nop 0
	s_sendmsg sendmsg(MSG_DEALLOC_VGPRS)
	s_endpgm
.LBB79_95:
	v_dual_mov_b32 v2, v4 :: v_dual_mov_b32 v1, 0
.LBB79_96:
	s_and_b32 s34, s34, 3
	s_delay_alu instid0(SALU_CYCLE_1)
	s_cmp_eq_u32 s34, 0
	s_cbranch_scc1 .LBB79_99
; %bb.97:
	s_lshl_b32 s2, s33, 3
	s_mul_i32 s20, s33, 12
	s_add_u32 s2, s2, s0
	s_addc_u32 s3, s1, 0
	s_add_u32 s2, s2, 0xc4
	s_addc_u32 s3, s3, 0
	s_add_u32 s20, s0, s20
	s_addc_u32 s21, s1, 0
	.p2align	6
.LBB79_98:                              ; =>This Inner Loop Header: Depth=1
	s_clause 0x1
	s_load_b64 s[36:37], s[20:21], 0x4
	s_load_b32 s33, s[20:21], 0xc
	s_load_b64 s[38:39], s[2:3], 0x0
	s_add_u32 s20, s20, 12
	s_addc_u32 s21, s21, 0
	s_add_u32 s2, s2, 8
	s_addc_u32 s3, s3, 0
	s_add_i32 s34, s34, -1
	s_delay_alu instid0(SALU_CYCLE_1) | instskip(SKIP_2) | instid1(VALU_DEP_1)
	s_cmp_lg_u32 s34, 0
	s_waitcnt lgkmcnt(0)
	v_mul_hi_u32 v3, s37, v2
	v_add_nc_u32_e32 v3, v2, v3
	s_delay_alu instid0(VALU_DEP_1) | instskip(NEXT) | instid1(VALU_DEP_1)
	v_lshrrev_b32_e32 v3, s33, v3
	v_mul_lo_u32 v5, v3, s36
	s_delay_alu instid0(VALU_DEP_1) | instskip(NEXT) | instid1(VALU_DEP_1)
	v_sub_nc_u32_e32 v2, v2, v5
	v_mad_u64_u32 v[5:6], null, v2, s38, v[0:1]
	v_mad_u64_u32 v[6:7], null, v2, s39, v[1:2]
	v_mov_b32_e32 v2, v3
	s_delay_alu instid0(VALU_DEP_2)
	v_dual_mov_b32 v0, v5 :: v_dual_mov_b32 v1, v6
	s_cbranch_scc1 .LBB79_98
.LBB79_99:
	s_and_not1_b32 vcc_lo, exec_lo, s31
	s_cbranch_vccnz .LBB79_102
; %bb.100:
	s_waitcnt lgkmcnt(0)
	v_mul_hi_u32 v0, s13, v4
	s_and_not1_b32 vcc_lo, exec_lo, s26
	s_delay_alu instid0(VALU_DEP_1) | instskip(NEXT) | instid1(VALU_DEP_1)
	v_add_nc_u32_e32 v0, v4, v0
	v_lshrrev_b32_e32 v2, s14, v0
	s_delay_alu instid0(VALU_DEP_1) | instskip(NEXT) | instid1(VALU_DEP_1)
	v_mul_lo_u32 v0, v2, s12
	v_sub_nc_u32_e32 v1, v4, v0
	s_delay_alu instid0(VALU_DEP_1)
	v_mul_lo_u32 v0, v1, s8
	v_mul_lo_u32 v1, v1, s9
	s_cbranch_vccnz .LBB79_102
; %bb.101:
	v_mul_hi_u32 v3, s16, v2
	s_delay_alu instid0(VALU_DEP_1) | instskip(NEXT) | instid1(VALU_DEP_1)
	v_add_nc_u32_e32 v3, v2, v3
	v_lshrrev_b32_e32 v3, s17, v3
	s_delay_alu instid0(VALU_DEP_1) | instskip(NEXT) | instid1(VALU_DEP_1)
	v_mul_lo_u32 v3, v3, s15
	v_sub_nc_u32_e32 v7, v2, v3
	s_delay_alu instid0(VALU_DEP_1) | instskip(NEXT) | instid1(VALU_DEP_1)
	v_mad_u64_u32 v[2:3], null, v7, s10, v[0:1]
	v_mad_u64_u32 v[5:6], null, v7, s11, v[1:2]
	s_delay_alu instid0(VALU_DEP_1)
	v_dual_mov_b32 v0, v2 :: v_dual_mov_b32 v1, v5
.LBB79_102:
	s_waitcnt lgkmcnt(0)
	global_load_b64 v[1:2], v1, s[6:7]
	s_mov_b32 s2, 0x652b82fe
	s_mov_b32 s3, 0x3ff71547
	;; [unrolled: 1-line block ×4, first 2 shown]
	v_add_nc_u32_e32 v4, 0x80, v4
	s_waitcnt vmcnt(0)
	v_mul_f64 v[5:6], v[1:2], s[2:3]
	s_mov_b32 s2, 0xfefa39ef
	s_mov_b32 s3, 0xbfe62e42
	v_cmp_nlt_f64_e32 vcc_lo, 0x40900000, v[1:2]
	s_delay_alu instid0(VALU_DEP_2) | instskip(NEXT) | instid1(VALU_DEP_1)
	v_rndne_f64_e32 v[5:6], v[5:6]
	v_fma_f64 v[7:8], v[5:6], s[2:3], v[1:2]
	s_mov_b32 s2, 0x3b39803f
	s_mov_b32 s3, 0xbc7abc9e
	v_cvt_i32_f64_e32 v3, v[5:6]
	s_delay_alu instid0(VALU_DEP_2)
	v_fma_f64 v[7:8], v[5:6], s[2:3], v[7:8]
	s_mov_b32 s2, 0xfca7ab0c
	s_mov_b32 s3, 0x3e928af3
	s_delay_alu instid0(VALU_DEP_1) | instid1(SALU_CYCLE_1)
	v_fma_f64 v[9:10], v[7:8], s[20:21], s[2:3]
	s_mov_b32 s2, 0x623fde64
	s_mov_b32 s3, 0x3ec71dee
	s_delay_alu instid0(VALU_DEP_1) | instid1(SALU_CYCLE_1)
	v_fma_f64 v[9:10], v[7:8], v[9:10], s[2:3]
	s_mov_b32 s2, 0x7c89e6b0
	s_mov_b32 s3, 0x3efa0199
	s_delay_alu instid0(VALU_DEP_1) | instid1(SALU_CYCLE_1)
	v_fma_f64 v[9:10], v[7:8], v[9:10], s[2:3]
	s_mov_b32 s2, 0x14761f6e
	s_mov_b32 s3, 0x3f2a01a0
	s_delay_alu instid0(VALU_DEP_1) | instid1(SALU_CYCLE_1)
	v_fma_f64 v[9:10], v[7:8], v[9:10], s[2:3]
	s_mov_b32 s2, 0x1852b7b0
	s_mov_b32 s3, 0x3f56c16c
	s_delay_alu instid0(VALU_DEP_1) | instid1(SALU_CYCLE_1)
	v_fma_f64 v[9:10], v[7:8], v[9:10], s[2:3]
	s_mov_b32 s2, 0x11122322
	s_mov_b32 s3, 0x3f811111
	s_delay_alu instid0(VALU_DEP_1) | instid1(SALU_CYCLE_1)
	v_fma_f64 v[9:10], v[7:8], v[9:10], s[2:3]
	s_mov_b32 s2, 0x555502a1
	s_mov_b32 s3, 0x3fa55555
	s_delay_alu instid0(VALU_DEP_1) | instid1(SALU_CYCLE_1)
	v_fma_f64 v[9:10], v[7:8], v[9:10], s[2:3]
	s_mov_b32 s2, 0x55555511
	s_mov_b32 s3, 0x3fc55555
	s_delay_alu instid0(VALU_DEP_1) | instid1(SALU_CYCLE_1)
	v_fma_f64 v[9:10], v[7:8], v[9:10], s[2:3]
	s_mov_b32 s2, 11
	s_mov_b32 s3, 0x3fe00000
	s_delay_alu instid0(VALU_DEP_1) | instid1(SALU_CYCLE_1)
	v_fma_f64 v[9:10], v[7:8], v[9:10], s[2:3]
	v_cmp_ngt_f64_e64 s2, 0xc090cc00, v[1:2]
	s_delay_alu instid0(VALU_DEP_2) | instskip(NEXT) | instid1(VALU_DEP_1)
	v_fma_f64 v[9:10], v[7:8], v[9:10], 1.0
	v_fma_f64 v[5:6], v[7:8], v[9:10], 1.0
	s_delay_alu instid0(VALU_DEP_1) | instskip(NEXT) | instid1(VALU_DEP_1)
	v_ldexp_f64 v[5:6], v[5:6], v3
	v_cndmask_b32_e32 v3, 0x7ff00000, v6, vcc_lo
	s_and_b32 vcc_lo, s2, vcc_lo
	s_delay_alu instid0(VALU_DEP_2) | instskip(NEXT) | instid1(VALU_DEP_2)
	v_cndmask_b32_e32 v1, 0, v5, vcc_lo
	v_cndmask_b32_e64 v2, 0, v3, s2
	global_store_b64 v0, v[1:2], s[4:5]
	s_or_b32 exec_lo, exec_lo, s30
	s_delay_alu instid0(SALU_CYCLE_1)
	s_mov_b32 s20, exec_lo
	v_cmpx_gt_i32_e64 s27, v4
	s_cbranch_execz .LBB79_93
.LBB79_103:
	s_and_not1_b32 vcc_lo, exec_lo, s24
	s_cbranch_vccnz .LBB79_108
; %bb.104:
	v_dual_mov_b32 v0, 0 :: v_dual_mov_b32 v1, 0
	s_and_not1_b32 vcc_lo, exec_lo, s29
	s_mov_b32 s21, 0
	s_cbranch_vccnz .LBB79_113
; %bb.105:
	v_mov_b32_e32 v0, 0
	s_add_i32 s28, s28, 1
	s_cmp_eq_u32 s23, 2
	s_mov_b32 s27, 0
	s_cbranch_scc1 .LBB79_109
; %bb.106:
	v_dual_mov_b32 v1, 0 :: v_dual_mov_b32 v0, 0
	v_mov_b32_e32 v2, v4
	s_and_b32 s27, s28, 28
	s_mov_b32 s29, 0
	s_mov_b64 s[2:3], s[0:1]
.LBB79_107:                             ; =>This Inner Loop Header: Depth=1
	s_clause 0x1
	s_load_b256 s[36:43], s[2:3], 0x4
	s_load_b128 s[52:55], s[2:3], 0x24
	s_load_b256 s[44:51], s[18:19], 0x0
	s_add_u32 s2, s2, 48
	s_addc_u32 s3, s3, 0
	s_add_i32 s29, s29, 4
	s_add_u32 s18, s18, 32
	s_addc_u32 s19, s19, 0
	s_cmp_eq_u32 s27, s29
	s_waitcnt lgkmcnt(0)
	v_mul_hi_u32 v3, s37, v2
	s_delay_alu instid0(VALU_DEP_1) | instskip(NEXT) | instid1(VALU_DEP_1)
	v_add_nc_u32_e32 v3, v2, v3
	v_lshrrev_b32_e32 v3, s38, v3
	s_delay_alu instid0(VALU_DEP_1) | instskip(SKIP_1) | instid1(VALU_DEP_2)
	v_mul_hi_u32 v5, s40, v3
	v_mul_lo_u32 v7, v3, s36
	v_add_nc_u32_e32 v5, v3, v5
	s_delay_alu instid0(VALU_DEP_2) | instskip(NEXT) | instid1(VALU_DEP_2)
	v_sub_nc_u32_e32 v2, v2, v7
	v_lshrrev_b32_e32 v5, s41, v5
	s_delay_alu instid0(VALU_DEP_2) | instskip(SKIP_1) | instid1(VALU_DEP_3)
	v_mul_lo_u32 v7, v2, s44
	v_mul_lo_u32 v9, v2, s45
	v_mul_hi_u32 v6, s43, v5
	s_delay_alu instid0(VALU_DEP_1) | instskip(NEXT) | instid1(VALU_DEP_1)
	v_add_nc_u32_e32 v6, v5, v6
	v_lshrrev_b32_e32 v6, s52, v6
	s_delay_alu instid0(VALU_DEP_1) | instskip(SKIP_1) | instid1(VALU_DEP_2)
	v_mul_hi_u32 v8, s54, v6
	v_mul_lo_u32 v10, v6, s42
	v_add_nc_u32_e32 v2, v6, v8
	v_mul_lo_u32 v8, v5, s39
	s_delay_alu instid0(VALU_DEP_3) | instskip(NEXT) | instid1(VALU_DEP_3)
	v_sub_nc_u32_e32 v5, v5, v10
	v_lshrrev_b32_e32 v2, s55, v2
	s_delay_alu instid0(VALU_DEP_2) | instskip(SKIP_2) | instid1(VALU_DEP_4)
	v_mul_lo_u32 v10, v5, s48
	v_mul_lo_u32 v5, v5, s49
	v_sub_nc_u32_e32 v3, v3, v8
	v_mul_lo_u32 v11, v2, s53
	s_delay_alu instid0(VALU_DEP_2) | instskip(SKIP_1) | instid1(VALU_DEP_3)
	v_mul_lo_u32 v8, v3, s46
	v_mul_lo_u32 v3, v3, s47
	v_sub_nc_u32_e32 v6, v6, v11
	s_delay_alu instid0(VALU_DEP_3) | instskip(NEXT) | instid1(VALU_DEP_2)
	v_add3_u32 v0, v7, v0, v8
	v_mul_lo_u32 v11, v6, s50
	v_mul_lo_u32 v6, v6, s51
	v_add3_u32 v1, v9, v1, v3
	s_delay_alu instid0(VALU_DEP_3) | instskip(NEXT) | instid1(VALU_DEP_2)
	v_add3_u32 v0, v10, v0, v11
	v_add3_u32 v1, v5, v1, v6
	s_cbranch_scc0 .LBB79_107
	s_branch .LBB79_110
.LBB79_108:
	s_mov_b32 s21, -1
                                        ; implicit-def: $vgpr0
                                        ; implicit-def: $vgpr1
	s_branch .LBB79_113
.LBB79_109:
	v_dual_mov_b32 v2, v4 :: v_dual_mov_b32 v1, 0
.LBB79_110:
	s_and_b32 s28, s28, 3
	s_delay_alu instid0(SALU_CYCLE_1)
	s_cmp_eq_u32 s28, 0
	s_cbranch_scc1 .LBB79_113
; %bb.111:
	s_lshl_b32 s2, s27, 3
	s_mul_i32 s18, s27, 12
	s_add_u32 s2, s2, s0
	s_addc_u32 s3, s1, 0
	s_add_u32 s2, s2, 0xc4
	s_addc_u32 s3, s3, 0
	;; [unrolled: 2-line block ×3, first 2 shown]
	.p2align	6
.LBB79_112:                             ; =>This Inner Loop Header: Depth=1
	s_clause 0x1
	s_load_b64 s[30:31], s[18:19], 0x4
	s_load_b32 s27, s[18:19], 0xc
	s_load_b64 s[34:35], s[2:3], 0x0
	s_add_u32 s18, s18, 12
	s_addc_u32 s19, s19, 0
	s_add_u32 s2, s2, 8
	s_addc_u32 s3, s3, 0
	s_add_i32 s28, s28, -1
	s_delay_alu instid0(SALU_CYCLE_1) | instskip(SKIP_2) | instid1(VALU_DEP_1)
	s_cmp_lg_u32 s28, 0
	s_waitcnt lgkmcnt(0)
	v_mul_hi_u32 v3, s31, v2
	v_add_nc_u32_e32 v3, v2, v3
	s_delay_alu instid0(VALU_DEP_1) | instskip(NEXT) | instid1(VALU_DEP_1)
	v_lshrrev_b32_e32 v3, s27, v3
	v_mul_lo_u32 v5, v3, s30
	s_delay_alu instid0(VALU_DEP_1) | instskip(NEXT) | instid1(VALU_DEP_1)
	v_sub_nc_u32_e32 v2, v2, v5
	v_mad_u64_u32 v[5:6], null, v2, s34, v[0:1]
	v_mad_u64_u32 v[6:7], null, v2, s35, v[1:2]
	v_mov_b32_e32 v2, v3
	s_delay_alu instid0(VALU_DEP_2)
	v_dual_mov_b32 v0, v5 :: v_dual_mov_b32 v1, v6
	s_cbranch_scc1 .LBB79_112
.LBB79_113:
	s_and_not1_b32 vcc_lo, exec_lo, s21
	s_cbranch_vccnz .LBB79_116
; %bb.114:
	s_waitcnt lgkmcnt(0)
	v_mul_hi_u32 v0, s13, v4
	s_and_not1_b32 vcc_lo, exec_lo, s26
	s_delay_alu instid0(VALU_DEP_1) | instskip(NEXT) | instid1(VALU_DEP_1)
	v_add_nc_u32_e32 v0, v4, v0
	v_lshrrev_b32_e32 v2, s14, v0
	s_delay_alu instid0(VALU_DEP_1) | instskip(NEXT) | instid1(VALU_DEP_1)
	v_mul_lo_u32 v0, v2, s12
	v_sub_nc_u32_e32 v1, v4, v0
	s_delay_alu instid0(VALU_DEP_1)
	v_mul_lo_u32 v0, v1, s8
	v_mul_lo_u32 v1, v1, s9
	s_cbranch_vccnz .LBB79_116
; %bb.115:
	v_mul_hi_u32 v3, s16, v2
	s_delay_alu instid0(VALU_DEP_1) | instskip(NEXT) | instid1(VALU_DEP_1)
	v_add_nc_u32_e32 v3, v2, v3
	v_lshrrev_b32_e32 v3, s17, v3
	s_delay_alu instid0(VALU_DEP_1) | instskip(NEXT) | instid1(VALU_DEP_1)
	v_mul_lo_u32 v3, v3, s15
	v_sub_nc_u32_e32 v5, v2, v3
	s_delay_alu instid0(VALU_DEP_1) | instskip(NEXT) | instid1(VALU_DEP_1)
	v_mad_u64_u32 v[2:3], null, v5, s10, v[0:1]
	v_mad_u64_u32 v[3:4], null, v5, s11, v[1:2]
	s_delay_alu instid0(VALU_DEP_1)
	v_dual_mov_b32 v0, v2 :: v_dual_mov_b32 v1, v3
.LBB79_116:
	s_waitcnt lgkmcnt(0)
	global_load_b64 v[1:2], v1, s[6:7]
	s_mov_b32 s2, 0x652b82fe
	s_mov_b32 s3, 0x3ff71547
	;; [unrolled: 1-line block ×4, first 2 shown]
	s_waitcnt vmcnt(0)
	v_mul_f64 v[3:4], v[1:2], s[2:3]
	s_mov_b32 s2, 0xfefa39ef
	s_mov_b32 s3, 0xbfe62e42
	v_cmp_nlt_f64_e32 vcc_lo, 0x40900000, v[1:2]
	s_delay_alu instid0(VALU_DEP_2) | instskip(NEXT) | instid1(VALU_DEP_1)
	v_rndne_f64_e32 v[3:4], v[3:4]
	v_fma_f64 v[5:6], v[3:4], s[2:3], v[1:2]
	s_mov_b32 s2, 0x3b39803f
	s_mov_b32 s3, 0xbc7abc9e
	v_cvt_i32_f64_e32 v9, v[3:4]
	s_delay_alu instid0(VALU_DEP_2)
	v_fma_f64 v[5:6], v[3:4], s[2:3], v[5:6]
	s_mov_b32 s2, 0xfca7ab0c
	s_mov_b32 s3, 0x3e928af3
	s_delay_alu instid0(VALU_DEP_1) | instid1(SALU_CYCLE_1)
	v_fma_f64 v[7:8], v[5:6], s[6:7], s[2:3]
	s_mov_b32 s2, 0x623fde64
	s_mov_b32 s3, 0x3ec71dee
	s_delay_alu instid0(VALU_DEP_1) | instid1(SALU_CYCLE_1)
	;; [unrolled: 4-line block ×9, first 2 shown]
	v_fma_f64 v[7:8], v[5:6], v[7:8], s[2:3]
	v_cmp_ngt_f64_e64 s2, 0xc090cc00, v[1:2]
	s_delay_alu instid0(VALU_DEP_2) | instskip(NEXT) | instid1(VALU_DEP_1)
	v_fma_f64 v[7:8], v[5:6], v[7:8], 1.0
	v_fma_f64 v[3:4], v[5:6], v[7:8], 1.0
	s_delay_alu instid0(VALU_DEP_1) | instskip(NEXT) | instid1(VALU_DEP_1)
	v_ldexp_f64 v[3:4], v[3:4], v9
	v_cndmask_b32_e32 v4, 0x7ff00000, v4, vcc_lo
	s_and_b32 vcc_lo, s2, vcc_lo
	s_delay_alu instid0(VALU_DEP_2) | instskip(NEXT) | instid1(VALU_DEP_2)
	v_cndmask_b32_e32 v1, 0, v3, vcc_lo
	v_cndmask_b32_e64 v2, 0, v4, s2
	global_store_b64 v0, v[1:2], s[4:5]
	s_or_b32 exec_lo, exec_lo, s20
                                        ; implicit-def: $vgpr8
                                        ; implicit-def: $vgpr4
	s_and_not1_saveexec_b32 s2, s25
	s_cbranch_execz .LBB79_94
	s_branch .LBB79_8
	.section	.rodata,"a",@progbits
	.p2align	6, 0x0
	.amdhsa_kernel _ZN2at6native32elementwise_kernel_manual_unrollILi128ELi4EZNS0_22gpu_kernel_impl_nocastIZZZNS0_15exp_kernel_cudaERNS_18TensorIteratorBaseEENKUlvE0_clEvENKUlvE_clEvEUldE_EEvS4_RKT_EUlibE_EEviT1_
		.amdhsa_group_segment_fixed_size 0
		.amdhsa_private_segment_fixed_size 0
		.amdhsa_kernarg_size 360
		.amdhsa_user_sgpr_count 15
		.amdhsa_user_sgpr_dispatch_ptr 0
		.amdhsa_user_sgpr_queue_ptr 0
		.amdhsa_user_sgpr_kernarg_segment_ptr 1
		.amdhsa_user_sgpr_dispatch_id 0
		.amdhsa_user_sgpr_private_segment_size 0
		.amdhsa_wavefront_size32 1
		.amdhsa_uses_dynamic_stack 0
		.amdhsa_enable_private_segment 0
		.amdhsa_system_sgpr_workgroup_id_x 1
		.amdhsa_system_sgpr_workgroup_id_y 0
		.amdhsa_system_sgpr_workgroup_id_z 0
		.amdhsa_system_sgpr_workgroup_info 0
		.amdhsa_system_vgpr_workitem_id 0
		.amdhsa_next_free_vgpr 40
		.amdhsa_next_free_sgpr 56
		.amdhsa_reserve_vcc 1
		.amdhsa_float_round_mode_32 0
		.amdhsa_float_round_mode_16_64 0
		.amdhsa_float_denorm_mode_32 3
		.amdhsa_float_denorm_mode_16_64 3
		.amdhsa_dx10_clamp 1
		.amdhsa_ieee_mode 1
		.amdhsa_fp16_overflow 0
		.amdhsa_workgroup_processor_mode 1
		.amdhsa_memory_ordered 1
		.amdhsa_forward_progress 0
		.amdhsa_shared_vgpr_count 0
		.amdhsa_exception_fp_ieee_invalid_op 0
		.amdhsa_exception_fp_denorm_src 0
		.amdhsa_exception_fp_ieee_div_zero 0
		.amdhsa_exception_fp_ieee_overflow 0
		.amdhsa_exception_fp_ieee_underflow 0
		.amdhsa_exception_fp_ieee_inexact 0
		.amdhsa_exception_int_div_zero 0
	.end_amdhsa_kernel
	.section	.text._ZN2at6native32elementwise_kernel_manual_unrollILi128ELi4EZNS0_22gpu_kernel_impl_nocastIZZZNS0_15exp_kernel_cudaERNS_18TensorIteratorBaseEENKUlvE0_clEvENKUlvE_clEvEUldE_EEvS4_RKT_EUlibE_EEviT1_,"axG",@progbits,_ZN2at6native32elementwise_kernel_manual_unrollILi128ELi4EZNS0_22gpu_kernel_impl_nocastIZZZNS0_15exp_kernel_cudaERNS_18TensorIteratorBaseEENKUlvE0_clEvENKUlvE_clEvEUldE_EEvS4_RKT_EUlibE_EEviT1_,comdat
.Lfunc_end79:
	.size	_ZN2at6native32elementwise_kernel_manual_unrollILi128ELi4EZNS0_22gpu_kernel_impl_nocastIZZZNS0_15exp_kernel_cudaERNS_18TensorIteratorBaseEENKUlvE0_clEvENKUlvE_clEvEUldE_EEvS4_RKT_EUlibE_EEviT1_, .Lfunc_end79-_ZN2at6native32elementwise_kernel_manual_unrollILi128ELi4EZNS0_22gpu_kernel_impl_nocastIZZZNS0_15exp_kernel_cudaERNS_18TensorIteratorBaseEENKUlvE0_clEvENKUlvE_clEvEUldE_EEvS4_RKT_EUlibE_EEviT1_
                                        ; -- End function
	.section	.AMDGPU.csdata,"",@progbits
; Kernel info:
; codeLenInByte = 9560
; NumSgprs: 58
; NumVgprs: 40
; ScratchSize: 0
; MemoryBound: 0
; FloatMode: 240
; IeeeMode: 1
; LDSByteSize: 0 bytes/workgroup (compile time only)
; SGPRBlocks: 7
; VGPRBlocks: 4
; NumSGPRsForWavesPerEU: 58
; NumVGPRsForWavesPerEU: 40
; Occupancy: 16
; WaveLimiterHint : 1
; COMPUTE_PGM_RSRC2:SCRATCH_EN: 0
; COMPUTE_PGM_RSRC2:USER_SGPR: 15
; COMPUTE_PGM_RSRC2:TRAP_HANDLER: 0
; COMPUTE_PGM_RSRC2:TGID_X_EN: 1
; COMPUTE_PGM_RSRC2:TGID_Y_EN: 0
; COMPUTE_PGM_RSRC2:TGID_Z_EN: 0
; COMPUTE_PGM_RSRC2:TIDIG_COMP_CNT: 0
	.section	.text._ZN2at6native32elementwise_kernel_manual_unrollILi128ELi4EZNS0_15gpu_kernel_implIZZZNS0_15exp_kernel_cudaERNS_18TensorIteratorBaseEENKUlvE0_clEvENKUlvE_clEvEUldE_EEvS4_RKT_EUlibE_EEviT1_,"axG",@progbits,_ZN2at6native32elementwise_kernel_manual_unrollILi128ELi4EZNS0_15gpu_kernel_implIZZZNS0_15exp_kernel_cudaERNS_18TensorIteratorBaseEENKUlvE0_clEvENKUlvE_clEvEUldE_EEvS4_RKT_EUlibE_EEviT1_,comdat
	.globl	_ZN2at6native32elementwise_kernel_manual_unrollILi128ELi4EZNS0_15gpu_kernel_implIZZZNS0_15exp_kernel_cudaERNS_18TensorIteratorBaseEENKUlvE0_clEvENKUlvE_clEvEUldE_EEvS4_RKT_EUlibE_EEviT1_ ; -- Begin function _ZN2at6native32elementwise_kernel_manual_unrollILi128ELi4EZNS0_15gpu_kernel_implIZZZNS0_15exp_kernel_cudaERNS_18TensorIteratorBaseEENKUlvE0_clEvENKUlvE_clEvEUldE_EEvS4_RKT_EUlibE_EEviT1_
	.p2align	8
	.type	_ZN2at6native32elementwise_kernel_manual_unrollILi128ELi4EZNS0_15gpu_kernel_implIZZZNS0_15exp_kernel_cudaERNS_18TensorIteratorBaseEENKUlvE0_clEvENKUlvE_clEvEUldE_EEvS4_RKT_EUlibE_EEviT1_,@function
_ZN2at6native32elementwise_kernel_manual_unrollILi128ELi4EZNS0_15gpu_kernel_implIZZZNS0_15exp_kernel_cudaERNS_18TensorIteratorBaseEENKUlvE0_clEvENKUlvE_clEvEUldE_EEvS4_RKT_EUlibE_EEviT1_: ; @_ZN2at6native32elementwise_kernel_manual_unrollILi128ELi4EZNS0_15gpu_kernel_implIZZZNS0_15exp_kernel_cudaERNS_18TensorIteratorBaseEENKUlvE0_clEvENKUlvE_clEvEUldE_EEvS4_RKT_EUlibE_EEviT1_
; %bb.0:
	v_mov_b32_e32 v1, 0
	s_clause 0x2
	s_load_b32 s12, s[0:1], 0x0
	s_load_b64 s[8:9], s[0:1], 0x18
	s_load_b128 s[4:7], s[0:1], 0x8
	v_lshl_or_b32 v11, s15, 9, v0
	s_mov_b32 s3, 0
	s_mov_b32 s11, 0
	global_load_u16 v10, v1, s[0:1] offset:33
	s_mov_b32 s0, exec_lo
	v_or_b32_e32 v0, 0x180, v11
	s_waitcnt vmcnt(0)
	v_lshrrev_b16 v12, 8, v10
	s_waitcnt lgkmcnt(0)
	s_delay_alu instid0(VALU_DEP_2)
	v_cmpx_le_i32_e64 s12, v0
	s_xor_b32 s10, exec_lo, s0
	s_cbranch_execz .LBB80_1027
; %bb.1:
	s_mov_b32 s1, -1
	s_mov_b32 s15, 0
	s_mov_b32 s13, 0
	s_mov_b32 s14, exec_lo
	v_cmpx_gt_i32_e64 s12, v11
	s_cbranch_execz .LBB80_251
; %bb.2:
	v_mul_lo_u32 v0, v11, s9
	v_cmp_gt_i16_e32 vcc_lo, 11, v12
	s_delay_alu instid0(VALU_DEP_2) | instskip(SKIP_1) | instid1(VALU_DEP_1)
	v_ashrrev_i32_e32 v1, 31, v0
	v_add_co_u32 v0, s0, s6, v0
	v_add_co_ci_u32_e64 v1, s0, s7, v1, s0
	s_cbranch_vccnz .LBB80_9
; %bb.3:
	v_cmp_lt_i16_e32 vcc_lo, 25, v12
	s_cbranch_vccz .LBB80_57
; %bb.4:
	v_cmp_lt_i16_e32 vcc_lo, 28, v12
	s_cbranch_vccz .LBB80_58
	;; [unrolled: 3-line block ×4, first 2 shown]
; %bb.7:
	v_cmp_eq_u16_e32 vcc_lo, 46, v12
	s_mov_b32 s1, 0
	s_cbranch_vccz .LBB80_63
; %bb.8:
	global_load_b32 v2, v[0:1], off
	s_mov_b32 s0, -1
	s_waitcnt vmcnt(0)
	v_lshlrev_b32_e32 v2, 16, v2
	s_delay_alu instid0(VALU_DEP_1)
	v_cvt_f64_f32_e32 v[2:3], v2
	s_branch .LBB80_65
.LBB80_9:
	s_mov_b32 s0, 0
                                        ; implicit-def: $vgpr2_vgpr3
	s_and_b32 vcc_lo, exec_lo, s1
	s_cbranch_vccnz .LBB80_201
.LBB80_10:
	s_and_not1_b32 vcc_lo, exec_lo, s0
	s_cbranch_vccnz .LBB80_248
.LBB80_11:
	s_mov_b32 s0, 0x652b82fe
	s_mov_b32 s1, 0x3ff71547
	;; [unrolled: 1-line block ×3, first 2 shown]
	s_waitcnt vmcnt(0)
	s_delay_alu instid0(VALU_DEP_1)
	v_mul_f64 v[0:1], v[2:3], s[0:1]
	s_mov_b32 s0, 0xfefa39ef
	s_mov_b32 s1, 0xbfe62e42
	;; [unrolled: 1-line block ×3, first 2 shown]
	v_cmp_nlt_f64_e32 vcc_lo, 0x40900000, v[2:3]
	s_mov_b32 s11, 0
	s_delay_alu instid0(VALU_DEP_2) | instskip(NEXT) | instid1(VALU_DEP_1)
	v_rndne_f64_e32 v[0:1], v[0:1]
	v_fma_f64 v[4:5], v[0:1], s[0:1], v[2:3]
	s_mov_b32 s0, 0x3b39803f
	s_mov_b32 s1, 0xbc7abc9e
	v_cvt_i32_f64_e32 v8, v[0:1]
	s_delay_alu instid0(VALU_DEP_2)
	v_fma_f64 v[4:5], v[0:1], s[0:1], v[4:5]
	s_mov_b32 s0, 0xfca7ab0c
	s_mov_b32 s1, 0x3e928af3
	s_delay_alu instid0(VALU_DEP_1) | instid1(SALU_CYCLE_1)
	v_fma_f64 v[6:7], v[4:5], s[16:17], s[0:1]
	s_mov_b32 s0, 0x623fde64
	s_mov_b32 s1, 0x3ec71dee
	s_mov_b32 s16, -1
	s_delay_alu instid0(VALU_DEP_1)
	v_fma_f64 v[6:7], v[4:5], v[6:7], s[0:1]
	s_mov_b32 s0, 0x7c89e6b0
	s_mov_b32 s1, 0x3efa0199
	s_delay_alu instid0(VALU_DEP_1) | instid1(SALU_CYCLE_1)
	v_fma_f64 v[6:7], v[4:5], v[6:7], s[0:1]
	s_mov_b32 s0, 0x14761f6e
	s_mov_b32 s1, 0x3f2a01a0
	s_delay_alu instid0(VALU_DEP_1) | instid1(SALU_CYCLE_1)
	;; [unrolled: 4-line block ×7, first 2 shown]
	v_fma_f64 v[6:7], v[4:5], v[6:7], s[0:1]
	v_cmp_ngt_f64_e64 s0, 0xc090cc00, v[2:3]
	v_mul_lo_u32 v2, v11, s8
	s_delay_alu instid0(VALU_DEP_1) | instskip(NEXT) | instid1(VALU_DEP_4)
	v_ashrrev_i32_e32 v3, 31, v2
	v_fma_f64 v[6:7], v[4:5], v[6:7], 1.0
	s_delay_alu instid0(VALU_DEP_1) | instskip(SKIP_2) | instid1(VALU_DEP_1)
	v_fma_f64 v[0:1], v[4:5], v[6:7], 1.0
	v_and_b32_e32 v6, 0xff, v10
	v_add_co_u32 v4, s2, s4, v2
	v_add_co_ci_u32_e64 v5, s2, s5, v3, s2
	s_delay_alu instid0(VALU_DEP_3) | instskip(SKIP_1) | instid1(VALU_DEP_1)
	v_cmp_gt_i16_e64 s1, 11, v6
	v_ldexp_f64 v[0:1], v[0:1], v8
	v_cndmask_b32_e32 v1, 0x7ff00000, v1, vcc_lo
	s_and_b32 vcc_lo, s0, vcc_lo
	s_delay_alu instid0(VALU_DEP_2) | instskip(SKIP_1) | instid1(VALU_DEP_2)
	v_cndmask_b32_e32 v0, 0, v0, vcc_lo
	s_and_b32 vcc_lo, exec_lo, s1
	v_cndmask_b32_e64 v1, 0, v1, s0
	s_mov_b32 s0, 0
	s_cbranch_vccnz .LBB80_18
; %bb.12:
	v_cmp_lt_i16_e32 vcc_lo, 25, v6
	s_cbranch_vccz .LBB80_59
; %bb.13:
	v_cmp_lt_i16_e32 vcc_lo, 28, v6
	s_cbranch_vccz .LBB80_61
	;; [unrolled: 3-line block ×4, first 2 shown]
; %bb.16:
	v_cmp_eq_u16_e32 vcc_lo, 46, v6
	s_mov_b32 s1, 0
	s_mov_b32 s11, -1
	s_cbranch_vccz .LBB80_69
; %bb.17:
	v_cvt_f32_f64_e32 v2, v[0:1]
	s_mov_b32 s0, -1
	s_mov_b32 s11, 0
	s_delay_alu instid0(VALU_DEP_1) | instskip(SKIP_1) | instid1(VALU_DEP_2)
	v_bfe_u32 v3, v2, 16, 1
	v_cmp_o_f32_e32 vcc_lo, v2, v2
	v_add3_u32 v3, v2, v3, 0x7fff
	s_delay_alu instid0(VALU_DEP_1) | instskip(NEXT) | instid1(VALU_DEP_1)
	v_lshrrev_b32_e32 v3, 16, v3
	v_cndmask_b32_e32 v2, 0x7fc0, v3, vcc_lo
	global_store_b32 v[4:5], v2, off
	s_branch .LBB80_69
.LBB80_18:
	s_and_b32 vcc_lo, exec_lo, s16
	s_cbranch_vccz .LBB80_138
; %bb.19:
	v_cmp_gt_i16_e32 vcc_lo, 5, v6
	s_mov_b32 s0, -1
	s_cbranch_vccnz .LBB80_40
; %bb.20:
	v_cmp_gt_i16_e32 vcc_lo, 8, v6
	s_cbranch_vccnz .LBB80_30
; %bb.21:
	v_cmp_gt_i16_e32 vcc_lo, 9, v6
	s_cbranch_vccnz .LBB80_27
; %bb.22:
	v_cmp_lt_i16_e32 vcc_lo, 9, v6
	s_cbranch_vccz .LBB80_24
; %bb.23:
	v_mov_b32_e32 v2, 0
	s_mov_b32 s0, 0
	s_delay_alu instid0(VALU_DEP_1)
	v_mov_b32_e32 v3, v2
	global_store_b128 v[4:5], v[0:3], off
.LBB80_24:
	s_and_not1_b32 vcc_lo, exec_lo, s0
	s_cbranch_vccnz .LBB80_26
; %bb.25:
	v_cvt_f32_f64_e32 v2, v[0:1]
	v_mov_b32_e32 v3, 0
	global_store_b64 v[4:5], v[2:3], off
.LBB80_26:
	s_mov_b32 s0, 0
.LBB80_27:
	s_delay_alu instid0(SALU_CYCLE_1)
	s_and_not1_b32 vcc_lo, exec_lo, s0
	s_cbranch_vccnz .LBB80_29
; %bb.28:
	v_cvt_f32_f64_e32 v2, v[0:1]
	s_delay_alu instid0(VALU_DEP_1) | instskip(NEXT) | instid1(VALU_DEP_1)
	v_cvt_f16_f32_e32 v2, v2
	v_and_b32_e32 v2, 0xffff, v2
	global_store_b32 v[4:5], v2, off
.LBB80_29:
	s_mov_b32 s0, 0
.LBB80_30:
	s_delay_alu instid0(SALU_CYCLE_1)
	s_and_not1_b32 vcc_lo, exec_lo, s0
	s_cbranch_vccnz .LBB80_39
; %bb.31:
	v_cmp_gt_i16_e32 vcc_lo, 6, v6
	s_mov_b32 s0, -1
	s_cbranch_vccnz .LBB80_37
; %bb.32:
	v_cmp_lt_i16_e32 vcc_lo, 6, v6
	s_cbranch_vccz .LBB80_34
; %bb.33:
	s_mov_b32 s0, 0
	global_store_b64 v[4:5], v[0:1], off
.LBB80_34:
	s_and_not1_b32 vcc_lo, exec_lo, s0
	s_cbranch_vccnz .LBB80_36
; %bb.35:
	v_cvt_f32_f64_e32 v2, v[0:1]
	global_store_b32 v[4:5], v2, off
.LBB80_36:
	s_mov_b32 s0, 0
.LBB80_37:
	s_delay_alu instid0(SALU_CYCLE_1)
	s_and_not1_b32 vcc_lo, exec_lo, s0
	s_cbranch_vccnz .LBB80_39
; %bb.38:
	v_cvt_f32_f64_e32 v2, v[0:1]
	s_delay_alu instid0(VALU_DEP_1)
	v_cvt_f16_f32_e32 v2, v2
	global_store_b16 v[4:5], v2, off
.LBB80_39:
	s_mov_b32 s0, 0
.LBB80_40:
	s_delay_alu instid0(SALU_CYCLE_1)
	s_and_not1_b32 vcc_lo, exec_lo, s0
	s_cbranch_vccnz .LBB80_56
; %bb.41:
	v_cmp_gt_i16_e32 vcc_lo, 2, v6
	s_mov_b32 s0, -1
	s_cbranch_vccnz .LBB80_51
; %bb.42:
	v_cmp_gt_i16_e32 vcc_lo, 3, v6
	s_cbranch_vccnz .LBB80_48
; %bb.43:
	v_cmp_lt_i16_e32 vcc_lo, 3, v6
	s_cbranch_vccz .LBB80_45
; %bb.44:
	v_trunc_f64_e32 v[2:3], v[0:1]
	s_mov_b32 s0, 0
	s_delay_alu instid0(VALU_DEP_1) | instskip(NEXT) | instid1(VALU_DEP_1)
	v_ldexp_f64 v[7:8], v[2:3], 0xffffffe0
	v_floor_f64_e32 v[7:8], v[7:8]
	s_delay_alu instid0(VALU_DEP_1) | instskip(SKIP_1) | instid1(VALU_DEP_2)
	v_fma_f64 v[2:3], 0xc1f00000, v[7:8], v[2:3]
	v_cvt_i32_f64_e32 v8, v[7:8]
	v_cvt_u32_f64_e32 v7, v[2:3]
	global_store_b64 v[4:5], v[7:8], off
.LBB80_45:
	s_and_not1_b32 vcc_lo, exec_lo, s0
	s_cbranch_vccnz .LBB80_47
; %bb.46:
	v_cvt_i32_f64_e32 v2, v[0:1]
	global_store_b32 v[4:5], v2, off
.LBB80_47:
	s_mov_b32 s0, 0
.LBB80_48:
	s_delay_alu instid0(SALU_CYCLE_1)
	s_and_not1_b32 vcc_lo, exec_lo, s0
	s_cbranch_vccnz .LBB80_50
; %bb.49:
	v_cvt_i32_f64_e32 v2, v[0:1]
	global_store_b16 v[4:5], v2, off
.LBB80_50:
	s_mov_b32 s0, 0
.LBB80_51:
	s_delay_alu instid0(SALU_CYCLE_1)
	s_and_not1_b32 vcc_lo, exec_lo, s0
	s_cbranch_vccnz .LBB80_56
; %bb.52:
	v_cmp_lt_i16_e32 vcc_lo, 0, v6
	s_mov_b32 s0, -1
	s_cbranch_vccz .LBB80_54
; %bb.53:
	v_cvt_i32_f64_e32 v2, v[0:1]
	s_mov_b32 s0, 0
	global_store_b8 v[4:5], v2, off
.LBB80_54:
	s_and_not1_b32 vcc_lo, exec_lo, s0
	s_cbranch_vccnz .LBB80_56
; %bb.55:
	v_trunc_f64_e32 v[0:1], v[0:1]
	s_delay_alu instid0(VALU_DEP_1) | instskip(NEXT) | instid1(VALU_DEP_1)
	v_ldexp_f64 v[2:3], v[0:1], 0xffffffe0
	v_floor_f64_e32 v[2:3], v[2:3]
	s_delay_alu instid0(VALU_DEP_1) | instskip(NEXT) | instid1(VALU_DEP_1)
	v_fma_f64 v[0:1], 0xc1f00000, v[2:3], v[0:1]
	v_cvt_u32_f64_e32 v0, v[0:1]
	global_store_b8 v[4:5], v0, off
.LBB80_56:
	s_branch .LBB80_139
.LBB80_57:
	s_mov_b32 s0, 0
                                        ; implicit-def: $vgpr2_vgpr3
	s_and_b32 vcc_lo, exec_lo, s1
	s_cbranch_vccnz .LBB80_168
	s_branch .LBB80_200
.LBB80_58:
	s_mov_b32 s0, 0
                                        ; implicit-def: $vgpr2_vgpr3
	s_branch .LBB80_147
.LBB80_59:
	s_mov_b32 s1, -1
	s_branch .LBB80_96
.LBB80_60:
	s_mov_b32 s0, 0
                                        ; implicit-def: $vgpr2_vgpr3
	s_branch .LBB80_142
.LBB80_61:
	s_mov_b32 s1, -1
	s_branch .LBB80_79
.LBB80_62:
	s_mov_b32 s1, -1
	s_branch .LBB80_75
.LBB80_63:
	s_mov_b32 s13, -1
.LBB80_64:
	s_mov_b32 s0, 0
                                        ; implicit-def: $vgpr2_vgpr3
.LBB80_65:
	s_and_b32 vcc_lo, exec_lo, s1
	s_cbranch_vccz .LBB80_141
; %bb.66:
	v_cmp_eq_u16_e32 vcc_lo, 44, v12
	s_cbranch_vccz .LBB80_140
; %bb.67:
	global_load_u8 v4, v[0:1], off
	s_mov_b32 s13, 0
	s_mov_b32 s0, -1
	s_waitcnt vmcnt(0)
	v_cmp_ne_u32_e32 vcc_lo, 0xff, v4
	v_lshlrev_b32_e32 v2, 23, v4
	s_delay_alu instid0(VALU_DEP_1) | instskip(NEXT) | instid1(VALU_DEP_1)
	v_cvt_f64_f32_e32 v[2:3], v2
	v_cndmask_b32_e32 v3, 0x7ff80000, v3, vcc_lo
	s_delay_alu instid0(VALU_DEP_2) | instskip(SKIP_1) | instid1(VALU_DEP_3)
	v_cndmask_b32_e32 v2, 0x20000000, v2, vcc_lo
	v_cmp_ne_u32_e32 vcc_lo, 0, v4
	v_cndmask_b32_e32 v3, 0x38000000, v3, vcc_lo
	s_delay_alu instid0(VALU_DEP_3)
	v_cndmask_b32_e32 v2, 0, v2, vcc_lo
	s_branch .LBB80_141
.LBB80_68:
	s_mov_b32 s1, -1
.LBB80_69:
	s_delay_alu instid0(SALU_CYCLE_1)
	s_and_b32 vcc_lo, exec_lo, s1
	s_cbranch_vccz .LBB80_74
; %bb.70:
	v_cmp_eq_u16_e32 vcc_lo, 44, v6
	s_mov_b32 s11, -1
	s_cbranch_vccz .LBB80_74
; %bb.71:
	v_cvt_f32_f64_e32 v2, v[0:1]
	v_mov_b32_e32 v3, 0xff
	s_mov_b32 s1, exec_lo
	s_delay_alu instid0(VALU_DEP_2) | instskip(NEXT) | instid1(VALU_DEP_1)
	v_bfe_u32 v7, v2, 23, 8
	v_cmpx_ne_u32_e32 0xff, v7
; %bb.72:
	v_and_b32_e32 v3, 0x400000, v2
	v_and_or_b32 v7, 0x3fffff, v2, v7
	v_lshrrev_b32_e32 v2, 23, v2
	s_delay_alu instid0(VALU_DEP_3) | instskip(NEXT) | instid1(VALU_DEP_3)
	v_cmp_ne_u32_e32 vcc_lo, 0, v3
	v_cmp_ne_u32_e64 s0, 0, v7
	s_delay_alu instid0(VALU_DEP_1) | instskip(NEXT) | instid1(SALU_CYCLE_1)
	s_and_b32 s0, vcc_lo, s0
	v_cndmask_b32_e64 v3, 0, 1, s0
	s_delay_alu instid0(VALU_DEP_1)
	v_add_nc_u32_e32 v3, v2, v3
; %bb.73:
	s_or_b32 exec_lo, exec_lo, s1
	s_mov_b32 s0, -1
	s_mov_b32 s11, 0
	global_store_b8 v[4:5], v3, off
.LBB80_74:
	s_mov_b32 s1, 0
.LBB80_75:
	s_delay_alu instid0(SALU_CYCLE_1)
	s_and_b32 vcc_lo, exec_lo, s1
	s_cbranch_vccz .LBB80_78
; %bb.76:
	v_cmp_eq_u16_e32 vcc_lo, 29, v6
	s_mov_b32 s11, -1
	s_cbranch_vccz .LBB80_78
; %bb.77:
	v_trunc_f64_e32 v[2:3], v[0:1]
	s_mov_b32 s0, -1
	s_mov_b32 s11, 0
	s_mov_b32 s1, 0
	s_delay_alu instid0(VALU_DEP_1) | instskip(NEXT) | instid1(VALU_DEP_1)
	v_ldexp_f64 v[7:8], v[2:3], 0xffffffe0
	v_floor_f64_e32 v[7:8], v[7:8]
	s_delay_alu instid0(VALU_DEP_1) | instskip(SKIP_1) | instid1(VALU_DEP_2)
	v_fma_f64 v[2:3], 0xc1f00000, v[7:8], v[2:3]
	v_cvt_u32_f64_e32 v8, v[7:8]
	v_cvt_u32_f64_e32 v7, v[2:3]
	global_store_b64 v[4:5], v[7:8], off
	s_branch .LBB80_79
.LBB80_78:
	s_mov_b32 s1, 0
.LBB80_79:
	s_delay_alu instid0(SALU_CYCLE_1)
	s_and_b32 vcc_lo, exec_lo, s1
	s_cbranch_vccz .LBB80_95
; %bb.80:
	v_cmp_gt_i16_e32 vcc_lo, 27, v6
	s_mov_b32 s0, -1
	s_cbranch_vccnz .LBB80_86
; %bb.81:
	v_cmp_lt_i16_e32 vcc_lo, 27, v6
	s_cbranch_vccz .LBB80_83
; %bb.82:
	v_cvt_u32_f64_e32 v2, v[0:1]
	s_mov_b32 s0, 0
	global_store_b32 v[4:5], v2, off
.LBB80_83:
	s_and_not1_b32 vcc_lo, exec_lo, s0
	s_cbranch_vccnz .LBB80_85
; %bb.84:
	v_cvt_u32_f64_e32 v2, v[0:1]
	global_store_b16 v[4:5], v2, off
.LBB80_85:
	s_mov_b32 s0, 0
.LBB80_86:
	s_delay_alu instid0(SALU_CYCLE_1)
	s_and_not1_b32 vcc_lo, exec_lo, s0
	s_cbranch_vccnz .LBB80_94
; %bb.87:
	v_cvt_f32_f64_e32 v2, v[0:1]
	v_mov_b32_e32 v7, 0x80
	s_mov_b32 s0, exec_lo
	s_delay_alu instid0(VALU_DEP_2) | instskip(NEXT) | instid1(VALU_DEP_1)
	v_and_b32_e32 v3, 0x7fffffff, v2
	v_cmpx_gt_u32_e32 0x43800000, v3
	s_cbranch_execz .LBB80_93
; %bb.88:
	v_cmp_lt_u32_e32 vcc_lo, 0x3bffffff, v3
	s_mov_b32 s1, 0
                                        ; implicit-def: $vgpr3
	s_and_saveexec_b32 s2, vcc_lo
	s_delay_alu instid0(SALU_CYCLE_1)
	s_xor_b32 s2, exec_lo, s2
	s_cbranch_execz .LBB80_314
; %bb.89:
	v_bfe_u32 v3, v2, 20, 1
	s_mov_b32 s1, exec_lo
	s_delay_alu instid0(VALU_DEP_1) | instskip(NEXT) | instid1(VALU_DEP_1)
	v_add3_u32 v3, v2, v3, 0x487ffff
	v_lshrrev_b32_e32 v3, 20, v3
	s_or_saveexec_b32 s2, s2
                                        ; implicit-def: $sgpr16
	s_delay_alu instid0(SALU_CYCLE_1)
	s_xor_b32 exec_lo, exec_lo, s2
	s_cbranch_execnz .LBB80_315
.LBB80_90:
	s_or_b32 exec_lo, exec_lo, s2
	v_mov_b32_e32 v7, s16
	s_and_saveexec_b32 s2, s1
.LBB80_91:
	v_lshrrev_b32_e32 v2, 24, v2
	s_delay_alu instid0(VALU_DEP_1)
	v_and_or_b32 v7, 0x80, v2, v3
.LBB80_92:
	s_or_b32 exec_lo, exec_lo, s2
.LBB80_93:
	s_delay_alu instid0(SALU_CYCLE_1)
	s_or_b32 exec_lo, exec_lo, s0
	global_store_b8 v[4:5], v7, off
.LBB80_94:
	s_mov_b32 s0, -1
.LBB80_95:
	s_mov_b32 s1, 0
.LBB80_96:
	s_delay_alu instid0(SALU_CYCLE_1)
	s_and_b32 vcc_lo, exec_lo, s1
	s_cbranch_vccz .LBB80_137
; %bb.97:
	v_cmp_lt_i16_e32 vcc_lo, 22, v6
	s_mov_b32 s1, -1
	s_cbranch_vccz .LBB80_129
; %bb.98:
	v_cmp_gt_i16_e32 vcc_lo, 24, v6
	s_mov_b32 s0, -1
	s_cbranch_vccnz .LBB80_118
; %bb.99:
	v_cmp_lt_i16_e32 vcc_lo, 24, v6
	s_cbranch_vccz .LBB80_107
; %bb.100:
	v_cvt_f32_f64_e32 v2, v[0:1]
	v_mov_b32_e32 v7, 0x80
	s_mov_b32 s0, exec_lo
	s_delay_alu instid0(VALU_DEP_2) | instskip(NEXT) | instid1(VALU_DEP_1)
	v_and_b32_e32 v3, 0x7fffffff, v2
	v_cmpx_gt_u32_e32 0x47800000, v3
	s_cbranch_execz .LBB80_106
; %bb.101:
	v_cmp_lt_u32_e32 vcc_lo, 0x37ffffff, v3
	s_mov_b32 s1, 0
                                        ; implicit-def: $vgpr3
	s_and_saveexec_b32 s2, vcc_lo
	s_delay_alu instid0(SALU_CYCLE_1)
	s_xor_b32 s2, exec_lo, s2
	s_cbranch_execz .LBB80_318
; %bb.102:
	v_bfe_u32 v3, v2, 21, 1
	s_mov_b32 s1, exec_lo
	s_delay_alu instid0(VALU_DEP_1) | instskip(NEXT) | instid1(VALU_DEP_1)
	v_add3_u32 v3, v2, v3, 0x88fffff
	v_lshrrev_b32_e32 v3, 21, v3
	s_or_saveexec_b32 s2, s2
                                        ; implicit-def: $sgpr16
	s_delay_alu instid0(SALU_CYCLE_1)
	s_xor_b32 exec_lo, exec_lo, s2
	s_cbranch_execnz .LBB80_319
.LBB80_103:
	s_or_b32 exec_lo, exec_lo, s2
	v_mov_b32_e32 v7, s16
	s_and_saveexec_b32 s2, s1
.LBB80_104:
	v_lshrrev_b32_e32 v2, 24, v2
	s_delay_alu instid0(VALU_DEP_1)
	v_and_or_b32 v7, 0x80, v2, v3
.LBB80_105:
	s_or_b32 exec_lo, exec_lo, s2
.LBB80_106:
	s_delay_alu instid0(SALU_CYCLE_1)
	s_or_b32 exec_lo, exec_lo, s0
	s_mov_b32 s0, 0
	global_store_b8 v[4:5], v7, off
.LBB80_107:
	s_and_b32 vcc_lo, exec_lo, s0
	s_cbranch_vccz .LBB80_117
; %bb.108:
	v_cvt_f32_f64_e32 v2, v[0:1]
	s_mov_b32 s0, exec_lo
                                        ; implicit-def: $vgpr3
	s_delay_alu instid0(VALU_DEP_1) | instskip(NEXT) | instid1(VALU_DEP_1)
	v_and_b32_e32 v7, 0x7fffffff, v2
	v_cmpx_gt_u32_e32 0x43f00000, v7
	s_xor_b32 s0, exec_lo, s0
	s_cbranch_execz .LBB80_114
; %bb.109:
	s_mov_b32 s1, exec_lo
                                        ; implicit-def: $vgpr3
	v_cmpx_lt_u32_e32 0x3c7fffff, v7
	s_xor_b32 s1, exec_lo, s1
; %bb.110:
	v_bfe_u32 v3, v2, 20, 1
	s_delay_alu instid0(VALU_DEP_1) | instskip(NEXT) | instid1(VALU_DEP_1)
	v_add3_u32 v3, v2, v3, 0x407ffff
	v_and_b32_e32 v7, 0xff00000, v3
	v_lshrrev_b32_e32 v3, 20, v3
	s_delay_alu instid0(VALU_DEP_2) | instskip(NEXT) | instid1(VALU_DEP_2)
	v_cmp_ne_u32_e32 vcc_lo, 0x7f00000, v7
	v_cndmask_b32_e32 v3, 0x7e, v3, vcc_lo
; %bb.111:
	s_and_not1_saveexec_b32 s1, s1
; %bb.112:
	v_add_f32_e64 v3, 0x46800000, |v2|
; %bb.113:
	s_or_b32 exec_lo, exec_lo, s1
                                        ; implicit-def: $vgpr7
.LBB80_114:
	s_and_not1_saveexec_b32 s0, s0
; %bb.115:
	v_mov_b32_e32 v3, 0x7f
	v_cmp_lt_u32_e32 vcc_lo, 0x7f800000, v7
	s_delay_alu instid0(VALU_DEP_2)
	v_cndmask_b32_e32 v3, 0x7e, v3, vcc_lo
; %bb.116:
	s_or_b32 exec_lo, exec_lo, s0
	v_lshrrev_b32_e32 v2, 24, v2
	s_delay_alu instid0(VALU_DEP_1)
	v_and_or_b32 v2, 0x80, v2, v3
	global_store_b8 v[4:5], v2, off
.LBB80_117:
	s_mov_b32 s0, 0
.LBB80_118:
	s_delay_alu instid0(SALU_CYCLE_1)
	s_and_not1_b32 vcc_lo, exec_lo, s0
	s_cbranch_vccnz .LBB80_128
; %bb.119:
	v_cvt_f32_f64_e32 v2, v[0:1]
	s_mov_b32 s0, exec_lo
                                        ; implicit-def: $vgpr3
	s_delay_alu instid0(VALU_DEP_1) | instskip(NEXT) | instid1(VALU_DEP_1)
	v_and_b32_e32 v7, 0x7fffffff, v2
	v_cmpx_gt_u32_e32 0x47800000, v7
	s_xor_b32 s0, exec_lo, s0
	s_cbranch_execz .LBB80_125
; %bb.120:
	s_mov_b32 s1, exec_lo
                                        ; implicit-def: $vgpr3
	v_cmpx_lt_u32_e32 0x387fffff, v7
	s_xor_b32 s1, exec_lo, s1
; %bb.121:
	v_bfe_u32 v3, v2, 21, 1
	s_delay_alu instid0(VALU_DEP_1) | instskip(NEXT) | instid1(VALU_DEP_1)
	v_add3_u32 v3, v2, v3, 0x80fffff
	v_lshrrev_b32_e32 v3, 21, v3
; %bb.122:
	s_and_not1_saveexec_b32 s1, s1
; %bb.123:
	v_add_f32_e64 v3, 0x43000000, |v2|
; %bb.124:
	s_or_b32 exec_lo, exec_lo, s1
                                        ; implicit-def: $vgpr7
.LBB80_125:
	s_and_not1_saveexec_b32 s0, s0
; %bb.126:
	v_mov_b32_e32 v3, 0x7f
	v_cmp_lt_u32_e32 vcc_lo, 0x7f800000, v7
	s_delay_alu instid0(VALU_DEP_2)
	v_cndmask_b32_e32 v3, 0x7c, v3, vcc_lo
; %bb.127:
	s_or_b32 exec_lo, exec_lo, s0
	v_lshrrev_b32_e32 v2, 24, v2
	s_delay_alu instid0(VALU_DEP_1)
	v_and_or_b32 v2, 0x80, v2, v3
	global_store_b8 v[4:5], v2, off
.LBB80_128:
	s_mov_b32 s1, 0
	s_mov_b32 s0, -1
.LBB80_129:
	s_and_not1_b32 vcc_lo, exec_lo, s1
	s_cbranch_vccnz .LBB80_137
; %bb.130:
	v_cmp_lt_i16_e32 vcc_lo, 14, v6
	s_mov_b32 s1, -1
	s_cbranch_vccz .LBB80_134
; %bb.131:
	v_cmp_eq_u16_e32 vcc_lo, 15, v6
	s_mov_b32 s11, -1
	s_cbranch_vccz .LBB80_133
; %bb.132:
	v_cvt_f32_f64_e32 v2, v[0:1]
	s_mov_b32 s0, -1
	s_mov_b32 s11, 0
	s_delay_alu instid0(VALU_DEP_1) | instskip(SKIP_1) | instid1(VALU_DEP_2)
	v_bfe_u32 v3, v2, 16, 1
	v_cmp_o_f32_e32 vcc_lo, v2, v2
	v_add3_u32 v3, v2, v3, 0x7fff
	s_delay_alu instid0(VALU_DEP_1) | instskip(NEXT) | instid1(VALU_DEP_1)
	v_lshrrev_b32_e32 v3, 16, v3
	v_cndmask_b32_e32 v2, 0x7fc0, v3, vcc_lo
	global_store_b16 v[4:5], v2, off
.LBB80_133:
	s_mov_b32 s1, 0
.LBB80_134:
	s_delay_alu instid0(SALU_CYCLE_1)
	s_and_b32 vcc_lo, exec_lo, s1
	s_cbranch_vccz .LBB80_137
; %bb.135:
	v_cmp_eq_u16_e32 vcc_lo, 11, v6
	s_mov_b32 s11, -1
	s_cbranch_vccz .LBB80_137
; %bb.136:
	v_cmp_neq_f64_e32 vcc_lo, 0, v[0:1]
	s_mov_b32 s0, -1
	s_mov_b32 s11, 0
	v_cndmask_b32_e64 v2, 0, 1, vcc_lo
	global_store_b8 v[4:5], v2, off
.LBB80_137:
.LBB80_138:
	s_and_not1_b32 vcc_lo, exec_lo, s0
	s_cbranch_vccnz .LBB80_249
.LBB80_139:
	v_add_nc_u32_e32 v11, 0x80, v11
	s_mov_b32 s0, -1
	s_branch .LBB80_250
.LBB80_140:
	s_mov_b32 s13, -1
                                        ; implicit-def: $vgpr2_vgpr3
.LBB80_141:
	s_mov_b32 s1, 0
.LBB80_142:
	s_delay_alu instid0(SALU_CYCLE_1)
	s_and_b32 vcc_lo, exec_lo, s1
	s_cbranch_vccz .LBB80_146
; %bb.143:
	v_cmp_eq_u16_e32 vcc_lo, 29, v12
	s_cbranch_vccz .LBB80_145
; %bb.144:
	global_load_b64 v[2:3], v[0:1], off
	s_mov_b32 s0, -1
	s_mov_b32 s13, 0
	s_mov_b32 s1, 0
	s_waitcnt vmcnt(0)
	v_cvt_f64_u32_e32 v[3:4], v3
	v_cvt_f64_u32_e32 v[5:6], v2
	s_delay_alu instid0(VALU_DEP_2) | instskip(NEXT) | instid1(VALU_DEP_1)
	v_ldexp_f64 v[3:4], v[3:4], 32
	v_add_f64 v[2:3], v[3:4], v[5:6]
	s_branch .LBB80_147
.LBB80_145:
	s_mov_b32 s13, -1
                                        ; implicit-def: $vgpr2_vgpr3
.LBB80_146:
	s_mov_b32 s1, 0
.LBB80_147:
	s_delay_alu instid0(SALU_CYCLE_1)
	s_and_b32 vcc_lo, exec_lo, s1
	s_cbranch_vccz .LBB80_167
; %bb.148:
	v_cmp_gt_i16_e32 vcc_lo, 27, v12
	s_cbranch_vccnz .LBB80_151
; %bb.149:
	v_cmp_lt_i16_e32 vcc_lo, 27, v12
	s_cbranch_vccz .LBB80_152
; %bb.150:
	global_load_b32 v2, v[0:1], off
	s_mov_b32 s0, 0
	s_waitcnt vmcnt(0)
	v_cvt_f64_u32_e32 v[2:3], v2
	s_branch .LBB80_153
.LBB80_151:
	s_mov_b32 s0, -1
                                        ; implicit-def: $vgpr2_vgpr3
	s_branch .LBB80_156
.LBB80_152:
	s_mov_b32 s0, -1
                                        ; implicit-def: $vgpr2_vgpr3
.LBB80_153:
	s_delay_alu instid0(SALU_CYCLE_1)
	s_and_not1_b32 vcc_lo, exec_lo, s0
	s_cbranch_vccnz .LBB80_155
; %bb.154:
	global_load_u16 v2, v[0:1], off
	s_waitcnt vmcnt(0)
	v_cvt_f64_u32_e32 v[2:3], v2
.LBB80_155:
	s_mov_b32 s0, 0
.LBB80_156:
	s_delay_alu instid0(SALU_CYCLE_1)
	s_and_not1_b32 vcc_lo, exec_lo, s0
	s_cbranch_vccnz .LBB80_166
; %bb.157:
	global_load_u8 v4, v[0:1], off
	s_mov_b32 s2, 0
	s_mov_b32 s11, exec_lo
                                        ; implicit-def: $sgpr0_sgpr1
	s_waitcnt vmcnt(0)
	v_cmpx_lt_i16_e32 0x7f, v4
	s_xor_b32 s11, exec_lo, s11
	s_cbranch_execz .LBB80_161
; %bb.158:
	s_mov_b32 s16, -1
	s_mov_b32 s2, exec_lo
                                        ; implicit-def: $sgpr0_sgpr1
	v_cmpx_eq_u16_e32 0x80, v4
; %bb.159:
	s_mov_b32 s1, 0x7ff80000
	s_brev_b32 s0, 4
	s_xor_b32 s16, exec_lo, -1
; %bb.160:
	s_or_b32 exec_lo, exec_lo, s2
	s_delay_alu instid0(SALU_CYCLE_1)
	s_and_b32 s2, s16, exec_lo
.LBB80_161:
	s_or_saveexec_b32 s11, s11
	v_dual_mov_b32 v3, s1 :: v_dual_mov_b32 v2, s0
	s_xor_b32 exec_lo, exec_lo, s11
; %bb.162:
	v_cmp_ne_u16_e32 vcc_lo, 0, v4
	v_mov_b32_e32 v2, 0
	v_mov_b32_e32 v3, 0
	s_and_not1_b32 s0, s2, exec_lo
	s_and_b32 s1, vcc_lo, exec_lo
	s_delay_alu instid0(SALU_CYCLE_1)
	s_or_b32 s2, s0, s1
; %bb.163:
	s_or_b32 exec_lo, exec_lo, s11
	s_and_saveexec_b32 s0, s2
	s_cbranch_execz .LBB80_165
; %bb.164:
	v_and_b32_e32 v2, 0xffff, v4
	v_lshlrev_b32_e32 v4, 24, v4
	s_delay_alu instid0(VALU_DEP_2) | instskip(NEXT) | instid1(VALU_DEP_2)
	v_and_b32_e32 v3, 7, v2
	v_and_b32_e32 v4, 0x80000000, v4
	s_delay_alu instid0(VALU_DEP_2) | instskip(NEXT) | instid1(VALU_DEP_1)
	v_clz_i32_u32_e32 v5, v3
	v_min_u32_e32 v5, 32, v5
	s_delay_alu instid0(VALU_DEP_1) | instskip(SKIP_1) | instid1(VALU_DEP_2)
	v_subrev_nc_u32_e32 v6, 28, v5
	v_sub_nc_u32_e32 v5, 29, v5
	v_lshlrev_b32_e32 v6, v6, v2
	v_bfe_u32 v2, v2, 3, 4
	s_delay_alu instid0(VALU_DEP_2) | instskip(NEXT) | instid1(VALU_DEP_2)
	v_and_b32_e32 v6, 7, v6
	v_cmp_eq_u32_e32 vcc_lo, 0, v2
	s_delay_alu instid0(VALU_DEP_2) | instskip(NEXT) | instid1(VALU_DEP_1)
	v_dual_cndmask_b32 v2, v2, v5 :: v_dual_cndmask_b32 v3, v3, v6
	v_lshl_add_u32 v2, v2, 23, 0x3b800000
	s_delay_alu instid0(VALU_DEP_2) | instskip(NEXT) | instid1(VALU_DEP_1)
	v_lshlrev_b32_e32 v3, 20, v3
	v_or3_b32 v2, v4, v2, v3
	s_delay_alu instid0(VALU_DEP_1)
	v_cvt_f64_f32_e32 v[2:3], v2
.LBB80_165:
	s_or_b32 exec_lo, exec_lo, s0
.LBB80_166:
	s_mov_b32 s0, -1
.LBB80_167:
	s_branch .LBB80_200
.LBB80_168:
	v_cmp_lt_i16_e32 vcc_lo, 22, v12
	s_cbranch_vccz .LBB80_180
; %bb.169:
	v_cmp_gt_i16_e32 vcc_lo, 24, v12
	s_cbranch_vccnz .LBB80_181
; %bb.170:
	v_cmp_lt_i16_e32 vcc_lo, 24, v12
	s_cbranch_vccz .LBB80_182
; %bb.171:
	global_load_u8 v4, v[0:1], off
	s_mov_b32 s2, 0
	s_mov_b32 s11, exec_lo
                                        ; implicit-def: $sgpr0_sgpr1
	s_waitcnt vmcnt(0)
	v_cmpx_lt_i16_e32 0x7f, v4
	s_xor_b32 s11, exec_lo, s11
	s_cbranch_execz .LBB80_175
; %bb.172:
	s_mov_b32 s16, -1
	s_mov_b32 s2, exec_lo
                                        ; implicit-def: $sgpr0_sgpr1
	v_cmpx_eq_u16_e32 0x80, v4
; %bb.173:
	s_mov_b32 s1, 0x7ff80000
	s_brev_b32 s0, 4
	s_xor_b32 s16, exec_lo, -1
; %bb.174:
	s_or_b32 exec_lo, exec_lo, s2
	s_delay_alu instid0(SALU_CYCLE_1)
	s_and_b32 s2, s16, exec_lo
.LBB80_175:
	s_or_saveexec_b32 s11, s11
	v_dual_mov_b32 v3, s1 :: v_dual_mov_b32 v2, s0
	s_xor_b32 exec_lo, exec_lo, s11
; %bb.176:
	v_cmp_ne_u16_e32 vcc_lo, 0, v4
	v_mov_b32_e32 v2, 0
	v_mov_b32_e32 v3, 0
	s_and_not1_b32 s0, s2, exec_lo
	s_and_b32 s1, vcc_lo, exec_lo
	s_delay_alu instid0(SALU_CYCLE_1)
	s_or_b32 s2, s0, s1
; %bb.177:
	s_or_b32 exec_lo, exec_lo, s11
	s_and_saveexec_b32 s0, s2
	s_cbranch_execz .LBB80_179
; %bb.178:
	v_and_b32_e32 v2, 0xffff, v4
	v_lshlrev_b32_e32 v4, 24, v4
	s_delay_alu instid0(VALU_DEP_2) | instskip(NEXT) | instid1(VALU_DEP_2)
	v_and_b32_e32 v3, 3, v2
	v_and_b32_e32 v4, 0x80000000, v4
	s_delay_alu instid0(VALU_DEP_2) | instskip(NEXT) | instid1(VALU_DEP_1)
	v_clz_i32_u32_e32 v5, v3
	v_min_u32_e32 v5, 32, v5
	s_delay_alu instid0(VALU_DEP_1) | instskip(SKIP_1) | instid1(VALU_DEP_2)
	v_subrev_nc_u32_e32 v6, 29, v5
	v_sub_nc_u32_e32 v5, 30, v5
	v_lshlrev_b32_e32 v6, v6, v2
	v_bfe_u32 v2, v2, 2, 5
	s_delay_alu instid0(VALU_DEP_2) | instskip(NEXT) | instid1(VALU_DEP_2)
	v_and_b32_e32 v6, 3, v6
	v_cmp_eq_u32_e32 vcc_lo, 0, v2
	s_delay_alu instid0(VALU_DEP_2) | instskip(NEXT) | instid1(VALU_DEP_1)
	v_dual_cndmask_b32 v2, v2, v5 :: v_dual_cndmask_b32 v3, v3, v6
	v_lshl_add_u32 v2, v2, 23, 0x37800000
	s_delay_alu instid0(VALU_DEP_2) | instskip(NEXT) | instid1(VALU_DEP_1)
	v_lshlrev_b32_e32 v3, 21, v3
	v_or3_b32 v2, v4, v2, v3
	s_delay_alu instid0(VALU_DEP_1)
	v_cvt_f64_f32_e32 v[2:3], v2
.LBB80_179:
	s_or_b32 exec_lo, exec_lo, s0
	s_mov_b32 s0, 0
	s_branch .LBB80_183
.LBB80_180:
	s_mov_b32 s1, -1
                                        ; implicit-def: $vgpr2_vgpr3
	s_branch .LBB80_189
.LBB80_181:
	s_mov_b32 s0, -1
                                        ; implicit-def: $vgpr2_vgpr3
	s_branch .LBB80_186
.LBB80_182:
	s_mov_b32 s0, -1
                                        ; implicit-def: $vgpr2_vgpr3
.LBB80_183:
	s_delay_alu instid0(SALU_CYCLE_1)
	s_and_b32 vcc_lo, exec_lo, s0
	s_cbranch_vccz .LBB80_185
; %bb.184:
	global_load_u8 v2, v[0:1], off
	s_waitcnt vmcnt(0)
	v_lshlrev_b32_e32 v2, 24, v2
	s_delay_alu instid0(VALU_DEP_1) | instskip(NEXT) | instid1(VALU_DEP_1)
	v_and_b32_e32 v3, 0x7f000000, v2
	v_clz_i32_u32_e32 v4, v3
	v_add_nc_u32_e32 v6, 0x1000000, v3
	v_cmp_ne_u32_e32 vcc_lo, 0, v3
	s_delay_alu instid0(VALU_DEP_3) | instskip(NEXT) | instid1(VALU_DEP_1)
	v_min_u32_e32 v4, 32, v4
	v_sub_nc_u32_e64 v4, v4, 4 clamp
	s_delay_alu instid0(VALU_DEP_1) | instskip(SKIP_1) | instid1(VALU_DEP_2)
	v_lshlrev_b32_e32 v5, v4, v3
	v_lshlrev_b32_e32 v4, 23, v4
	v_lshrrev_b32_e32 v5, 4, v5
	s_delay_alu instid0(VALU_DEP_1) | instskip(SKIP_1) | instid1(VALU_DEP_2)
	v_sub_nc_u32_e32 v4, v5, v4
	v_ashrrev_i32_e32 v5, 8, v6
	v_add_nc_u32_e32 v4, 0x3c000000, v4
	s_delay_alu instid0(VALU_DEP_1) | instskip(NEXT) | instid1(VALU_DEP_1)
	v_and_or_b32 v4, 0x7f800000, v5, v4
	v_cndmask_b32_e32 v3, 0, v4, vcc_lo
	s_delay_alu instid0(VALU_DEP_1) | instskip(NEXT) | instid1(VALU_DEP_1)
	v_and_or_b32 v2, 0x80000000, v2, v3
	v_cvt_f64_f32_e32 v[2:3], v2
.LBB80_185:
	s_mov_b32 s0, 0
.LBB80_186:
	s_delay_alu instid0(SALU_CYCLE_1)
	s_and_not1_b32 vcc_lo, exec_lo, s0
	s_cbranch_vccnz .LBB80_188
; %bb.187:
	global_load_u8 v2, v[0:1], off
	s_waitcnt vmcnt(0)
	v_lshlrev_b32_e32 v3, 25, v2
	v_lshlrev_b16 v2, 8, v2
	s_delay_alu instid0(VALU_DEP_2) | instskip(NEXT) | instid1(VALU_DEP_2)
	v_lshrrev_b32_e32 v4, 4, v3
	v_and_or_b32 v5, 0x7f00, v2, 0.5
	v_bfe_i32 v2, v2, 0, 16
	s_delay_alu instid0(VALU_DEP_3) | instskip(NEXT) | instid1(VALU_DEP_1)
	v_or_b32_e32 v4, 0x70000000, v4
	v_dual_add_f32 v5, -0.5, v5 :: v_dual_mul_f32 v4, 0x7800000, v4
	v_cmp_gt_u32_e32 vcc_lo, 0x8000000, v3
	s_delay_alu instid0(VALU_DEP_2) | instskip(NEXT) | instid1(VALU_DEP_1)
	v_cndmask_b32_e32 v3, v4, v5, vcc_lo
	v_and_or_b32 v2, 0x80000000, v2, v3
	s_delay_alu instid0(VALU_DEP_1)
	v_cvt_f64_f32_e32 v[2:3], v2
.LBB80_188:
	s_mov_b32 s1, 0
	s_mov_b32 s0, -1
.LBB80_189:
	s_and_not1_b32 vcc_lo, exec_lo, s1
	s_cbranch_vccnz .LBB80_200
; %bb.190:
	v_cmp_lt_i16_e32 vcc_lo, 14, v12
	s_cbranch_vccz .LBB80_193
; %bb.191:
	v_cmp_eq_u16_e32 vcc_lo, 15, v12
	s_cbranch_vccz .LBB80_194
; %bb.192:
	global_load_u16 v2, v[0:1], off
	s_mov_b32 s0, -1
	s_mov_b32 s13, 0
	s_waitcnt vmcnt(0)
	v_lshlrev_b32_e32 v2, 16, v2
	s_delay_alu instid0(VALU_DEP_1)
	v_cvt_f64_f32_e32 v[2:3], v2
	s_branch .LBB80_195
.LBB80_193:
	s_mov_b32 s1, -1
                                        ; implicit-def: $vgpr2_vgpr3
	s_branch .LBB80_196
.LBB80_194:
	s_mov_b32 s13, -1
                                        ; implicit-def: $vgpr2_vgpr3
.LBB80_195:
	s_mov_b32 s1, 0
.LBB80_196:
	s_delay_alu instid0(SALU_CYCLE_1)
	s_and_b32 vcc_lo, exec_lo, s1
	s_cbranch_vccz .LBB80_200
; %bb.197:
	v_cmp_eq_u16_e32 vcc_lo, 11, v12
	s_cbranch_vccz .LBB80_199
; %bb.198:
	global_load_u8 v2, v[0:1], off
	s_mov_b32 s13, 0
	s_mov_b32 s0, -1
	s_waitcnt vmcnt(0)
	v_cmp_ne_u16_e32 vcc_lo, 0, v2
	v_mov_b32_e32 v2, 0
	v_cndmask_b32_e64 v3, 0, 0x3ff00000, vcc_lo
	s_branch .LBB80_200
.LBB80_199:
	s_mov_b32 s13, -1
                                        ; implicit-def: $vgpr2_vgpr3
.LBB80_200:
	s_branch .LBB80_10
.LBB80_201:
	v_cmp_gt_i16_e32 vcc_lo, 5, v12
	s_cbranch_vccnz .LBB80_206
; %bb.202:
	v_cmp_gt_i16_e32 vcc_lo, 8, v12
	s_cbranch_vccnz .LBB80_207
; %bb.203:
	;; [unrolled: 3-line block ×3, first 2 shown]
	v_cmp_lt_i16_e32 vcc_lo, 9, v12
	s_cbranch_vccz .LBB80_209
; %bb.205:
	global_load_b64 v[2:3], v[0:1], off
	s_mov_b32 s0, 0
	s_branch .LBB80_210
.LBB80_206:
                                        ; implicit-def: $vgpr2_vgpr3
	s_branch .LBB80_228
.LBB80_207:
	s_mov_b32 s0, -1
                                        ; implicit-def: $vgpr2_vgpr3
	s_branch .LBB80_216
.LBB80_208:
	s_mov_b32 s0, -1
                                        ; implicit-def: $vgpr2_vgpr3
	s_branch .LBB80_213
.LBB80_209:
	s_mov_b32 s0, -1
                                        ; implicit-def: $vgpr2_vgpr3
.LBB80_210:
	s_delay_alu instid0(SALU_CYCLE_1)
	s_and_not1_b32 vcc_lo, exec_lo, s0
	s_cbranch_vccnz .LBB80_212
; %bb.211:
	global_load_b32 v2, v[0:1], off
	s_waitcnt vmcnt(0)
	v_cvt_f64_f32_e32 v[2:3], v2
.LBB80_212:
	s_mov_b32 s0, 0
.LBB80_213:
	s_delay_alu instid0(SALU_CYCLE_1)
	s_and_not1_b32 vcc_lo, exec_lo, s0
	s_cbranch_vccnz .LBB80_215
; %bb.214:
	global_load_b32 v2, v[0:1], off
	s_waitcnt vmcnt(0)
	v_cvt_f32_f16_e32 v2, v2
	s_delay_alu instid0(VALU_DEP_1)
	v_cvt_f64_f32_e32 v[2:3], v2
.LBB80_215:
	s_mov_b32 s0, 0
.LBB80_216:
	s_delay_alu instid0(SALU_CYCLE_1)
	s_and_not1_b32 vcc_lo, exec_lo, s0
	s_cbranch_vccnz .LBB80_227
; %bb.217:
	v_cmp_gt_i16_e32 vcc_lo, 6, v12
	s_cbranch_vccnz .LBB80_220
; %bb.218:
	v_cmp_lt_i16_e32 vcc_lo, 6, v12
	s_cbranch_vccz .LBB80_221
; %bb.219:
	global_load_b64 v[2:3], v[0:1], off
	s_mov_b32 s0, 0
	s_branch .LBB80_222
.LBB80_220:
	s_mov_b32 s0, -1
                                        ; implicit-def: $vgpr2_vgpr3
	s_branch .LBB80_225
.LBB80_221:
	s_mov_b32 s0, -1
                                        ; implicit-def: $vgpr2_vgpr3
.LBB80_222:
	s_delay_alu instid0(SALU_CYCLE_1)
	s_and_not1_b32 vcc_lo, exec_lo, s0
	s_cbranch_vccnz .LBB80_224
; %bb.223:
	global_load_b32 v2, v[0:1], off
	s_waitcnt vmcnt(0)
	v_cvt_f64_f32_e32 v[2:3], v2
.LBB80_224:
	s_mov_b32 s0, 0
.LBB80_225:
	s_delay_alu instid0(SALU_CYCLE_1)
	s_and_not1_b32 vcc_lo, exec_lo, s0
	s_cbranch_vccnz .LBB80_227
; %bb.226:
	global_load_u16 v2, v[0:1], off
	s_waitcnt vmcnt(0)
	v_cvt_f32_f16_e32 v2, v2
	s_delay_alu instid0(VALU_DEP_1)
	v_cvt_f64_f32_e32 v[2:3], v2
.LBB80_227:
	s_cbranch_execnz .LBB80_247
.LBB80_228:
	v_cmp_gt_i16_e32 vcc_lo, 2, v12
	s_cbranch_vccnz .LBB80_232
; %bb.229:
	v_cmp_gt_i16_e32 vcc_lo, 3, v12
	s_cbranch_vccnz .LBB80_233
; %bb.230:
	v_cmp_lt_i16_e32 vcc_lo, 3, v12
	s_cbranch_vccz .LBB80_234
; %bb.231:
	global_load_b64 v[2:3], v[0:1], off
	s_mov_b32 s0, 0
	s_waitcnt vmcnt(0)
	v_cvt_f64_i32_e32 v[3:4], v3
	v_cvt_f64_u32_e32 v[5:6], v2
	s_delay_alu instid0(VALU_DEP_2) | instskip(NEXT) | instid1(VALU_DEP_1)
	v_ldexp_f64 v[3:4], v[3:4], 32
	v_add_f64 v[2:3], v[3:4], v[5:6]
	s_branch .LBB80_235
.LBB80_232:
	s_mov_b32 s0, -1
                                        ; implicit-def: $vgpr2_vgpr3
	s_branch .LBB80_241
.LBB80_233:
	s_mov_b32 s0, -1
                                        ; implicit-def: $vgpr2_vgpr3
	s_branch .LBB80_238
.LBB80_234:
	s_mov_b32 s0, -1
                                        ; implicit-def: $vgpr2_vgpr3
.LBB80_235:
	s_delay_alu instid0(SALU_CYCLE_1)
	s_and_not1_b32 vcc_lo, exec_lo, s0
	s_cbranch_vccnz .LBB80_237
; %bb.236:
	global_load_b32 v2, v[0:1], off
	s_waitcnt vmcnt(0)
	v_cvt_f64_i32_e32 v[2:3], v2
.LBB80_237:
	s_mov_b32 s0, 0
.LBB80_238:
	s_delay_alu instid0(SALU_CYCLE_1)
	s_and_not1_b32 vcc_lo, exec_lo, s0
	s_cbranch_vccnz .LBB80_240
; %bb.239:
	global_load_i16 v2, v[0:1], off
	s_waitcnt vmcnt(0)
	v_cvt_f64_i32_e32 v[2:3], v2
.LBB80_240:
	s_mov_b32 s0, 0
.LBB80_241:
	s_delay_alu instid0(SALU_CYCLE_1)
	s_and_not1_b32 vcc_lo, exec_lo, s0
	s_cbranch_vccnz .LBB80_247
; %bb.242:
	v_cmp_lt_i16_e32 vcc_lo, 0, v12
	s_mov_b32 s0, 0
	s_cbranch_vccz .LBB80_244
; %bb.243:
	global_load_i8 v2, v[0:1], off
	s_waitcnt vmcnt(0)
	v_cvt_f64_i32_e32 v[2:3], v2
	s_branch .LBB80_245
.LBB80_244:
	s_mov_b32 s0, -1
                                        ; implicit-def: $vgpr2_vgpr3
.LBB80_245:
	s_delay_alu instid0(SALU_CYCLE_1)
	s_and_not1_b32 vcc_lo, exec_lo, s0
	s_cbranch_vccnz .LBB80_247
; %bb.246:
	global_load_u8 v0, v[0:1], off
	s_waitcnt vmcnt(0)
	v_cvt_f64_u32_e32 v[2:3], v0
.LBB80_247:
	s_branch .LBB80_11
.LBB80_248:
	s_mov_b32 s11, 0
.LBB80_249:
	s_mov_b32 s0, 0
                                        ; implicit-def: $vgpr11
.LBB80_250:
	s_and_b32 s11, s11, exec_lo
	s_and_b32 s13, s13, exec_lo
	s_or_not1_b32 s1, s0, exec_lo
.LBB80_251:
	s_or_b32 exec_lo, exec_lo, s14
	s_mov_b32 s2, 0
	s_mov_b32 s0, 0
                                        ; implicit-def: $vgpr0_vgpr1
                                        ; implicit-def: $vgpr2_vgpr3
	s_and_saveexec_b32 s14, s1
	s_cbranch_execz .LBB80_857
; %bb.252:
	s_mov_b32 s2, -1
	s_mov_b32 s15, s13
	s_mov_b32 s16, s11
	s_mov_b32 s17, exec_lo
	v_cmpx_gt_i32_e64 s12, v11
	s_cbranch_execz .LBB80_510
; %bb.253:
	v_mul_lo_u32 v0, v11, s9
	v_cmp_gt_i16_e32 vcc_lo, 11, v12
	s_delay_alu instid0(VALU_DEP_2) | instskip(SKIP_1) | instid1(VALU_DEP_1)
	v_ashrrev_i32_e32 v1, 31, v0
	v_add_co_u32 v0, s0, s6, v0
	v_add_co_ci_u32_e64 v1, s0, s7, v1, s0
	s_cbranch_vccnz .LBB80_260
; %bb.254:
	v_cmp_lt_i16_e32 vcc_lo, 25, v12
	s_cbranch_vccz .LBB80_309
; %bb.255:
	v_cmp_lt_i16_e32 vcc_lo, 28, v12
	s_cbranch_vccz .LBB80_310
	;; [unrolled: 3-line block ×4, first 2 shown]
; %bb.258:
	v_cmp_eq_u16_e32 vcc_lo, 46, v12
	s_mov_b32 s1, 0
	s_cbranch_vccz .LBB80_320
; %bb.259:
	global_load_b32 v2, v[0:1], off
	s_mov_b32 s0, -1
	s_mov_b32 s15, 0
	s_waitcnt vmcnt(0)
	v_lshlrev_b32_e32 v2, 16, v2
	s_delay_alu instid0(VALU_DEP_1)
	v_cvt_f64_f32_e32 v[2:3], v2
	s_branch .LBB80_322
.LBB80_260:
	s_mov_b32 s0, 0
	s_mov_b32 s15, s13
                                        ; implicit-def: $vgpr2_vgpr3
	s_cbranch_execnz .LBB80_459
.LBB80_261:
	s_and_not1_b32 vcc_lo, exec_lo, s0
	s_cbranch_vccnz .LBB80_507
.LBB80_262:
	s_mov_b32 s0, 0x652b82fe
	s_mov_b32 s1, 0x3ff71547
	;; [unrolled: 1-line block ×3, first 2 shown]
	s_waitcnt vmcnt(0)
	s_delay_alu instid0(VALU_DEP_1)
	v_mul_f64 v[0:1], v[2:3], s[0:1]
	s_mov_b32 s0, 0xfefa39ef
	s_mov_b32 s1, 0xbfe62e42
	;; [unrolled: 1-line block ×3, first 2 shown]
	v_cmp_nlt_f64_e32 vcc_lo, 0x40900000, v[2:3]
	s_mov_b32 s16, 0
	s_delay_alu instid0(VALU_DEP_2) | instskip(NEXT) | instid1(VALU_DEP_1)
	v_rndne_f64_e32 v[0:1], v[0:1]
	v_fma_f64 v[4:5], v[0:1], s[0:1], v[2:3]
	s_mov_b32 s0, 0x3b39803f
	s_mov_b32 s1, 0xbc7abc9e
	v_cvt_i32_f64_e32 v8, v[0:1]
	s_delay_alu instid0(VALU_DEP_2)
	v_fma_f64 v[4:5], v[0:1], s[0:1], v[4:5]
	s_mov_b32 s0, 0xfca7ab0c
	s_mov_b32 s1, 0x3e928af3
	s_delay_alu instid0(VALU_DEP_1) | instid1(SALU_CYCLE_1)
	v_fma_f64 v[6:7], v[4:5], s[18:19], s[0:1]
	s_mov_b32 s0, 0x623fde64
	s_mov_b32 s1, 0x3ec71dee
	s_mov_b32 s18, -1
	s_delay_alu instid0(VALU_DEP_1)
	v_fma_f64 v[6:7], v[4:5], v[6:7], s[0:1]
	s_mov_b32 s0, 0x7c89e6b0
	s_mov_b32 s1, 0x3efa0199
	s_delay_alu instid0(VALU_DEP_1) | instid1(SALU_CYCLE_1)
	v_fma_f64 v[6:7], v[4:5], v[6:7], s[0:1]
	s_mov_b32 s0, 0x14761f6e
	s_mov_b32 s1, 0x3f2a01a0
	s_delay_alu instid0(VALU_DEP_1) | instid1(SALU_CYCLE_1)
	;; [unrolled: 4-line block ×7, first 2 shown]
	v_fma_f64 v[6:7], v[4:5], v[6:7], s[0:1]
	v_cmp_ngt_f64_e64 s0, 0xc090cc00, v[2:3]
	v_mul_lo_u32 v2, v11, s8
	s_delay_alu instid0(VALU_DEP_1) | instskip(NEXT) | instid1(VALU_DEP_4)
	v_ashrrev_i32_e32 v3, 31, v2
	v_fma_f64 v[6:7], v[4:5], v[6:7], 1.0
	s_delay_alu instid0(VALU_DEP_1) | instskip(SKIP_2) | instid1(VALU_DEP_1)
	v_fma_f64 v[0:1], v[4:5], v[6:7], 1.0
	v_and_b32_e32 v6, 0xff, v10
	v_add_co_u32 v4, s2, s4, v2
	v_add_co_ci_u32_e64 v5, s2, s5, v3, s2
	s_delay_alu instid0(VALU_DEP_3) | instskip(SKIP_1) | instid1(VALU_DEP_1)
	v_cmp_gt_i16_e64 s1, 11, v6
	v_ldexp_f64 v[0:1], v[0:1], v8
	v_cndmask_b32_e32 v1, 0x7ff00000, v1, vcc_lo
	s_and_b32 vcc_lo, s0, vcc_lo
	s_delay_alu instid0(VALU_DEP_2) | instskip(SKIP_1) | instid1(VALU_DEP_2)
	v_cndmask_b32_e32 v0, 0, v0, vcc_lo
	s_and_b32 vcc_lo, exec_lo, s1
	v_cndmask_b32_e64 v1, 0, v1, s0
	s_mov_b32 s0, s11
	s_cbranch_vccnz .LBB80_269
; %bb.263:
	v_cmp_lt_i16_e32 vcc_lo, 25, v6
	s_cbranch_vccz .LBB80_311
; %bb.264:
	v_cmp_lt_i16_e32 vcc_lo, 28, v6
	s_cbranch_vccz .LBB80_313
; %bb.265:
	v_cmp_lt_i16_e32 vcc_lo, 43, v6
	s_cbranch_vccz .LBB80_317
; %bb.266:
	v_cmp_lt_i16_e32 vcc_lo, 45, v6
	s_cbranch_vccz .LBB80_325
; %bb.267:
	v_cmp_eq_u16_e32 vcc_lo, 46, v6
	s_mov_b32 s1, 0
	s_mov_b32 s0, -1
	s_cbranch_vccz .LBB80_326
; %bb.268:
	v_cvt_f32_f64_e32 v2, v[0:1]
	s_mov_b32 s16, -1
	s_mov_b32 s0, 0
	s_delay_alu instid0(VALU_DEP_1) | instskip(SKIP_1) | instid1(VALU_DEP_2)
	v_bfe_u32 v3, v2, 16, 1
	v_cmp_o_f32_e32 vcc_lo, v2, v2
	v_add3_u32 v3, v2, v3, 0x7fff
	s_delay_alu instid0(VALU_DEP_1) | instskip(NEXT) | instid1(VALU_DEP_1)
	v_lshrrev_b32_e32 v3, 16, v3
	v_cndmask_b32_e32 v2, 0x7fc0, v3, vcc_lo
	global_store_b32 v[4:5], v2, off
	s_branch .LBB80_326
.LBB80_269:
	s_and_b32 vcc_lo, exec_lo, s18
	s_cbranch_vccz .LBB80_395
; %bb.270:
	v_cmp_gt_i16_e32 vcc_lo, 5, v6
	s_mov_b32 s1, -1
	s_cbranch_vccnz .LBB80_291
; %bb.271:
	v_cmp_gt_i16_e32 vcc_lo, 8, v6
	s_cbranch_vccnz .LBB80_281
; %bb.272:
	v_cmp_gt_i16_e32 vcc_lo, 9, v6
	s_cbranch_vccnz .LBB80_278
; %bb.273:
	v_cmp_lt_i16_e32 vcc_lo, 9, v6
	s_cbranch_vccz .LBB80_275
; %bb.274:
	v_mov_b32_e32 v2, 0
	s_mov_b32 s1, 0
	s_delay_alu instid0(VALU_DEP_1)
	v_mov_b32_e32 v3, v2
	global_store_b128 v[4:5], v[0:3], off
.LBB80_275:
	s_and_not1_b32 vcc_lo, exec_lo, s1
	s_cbranch_vccnz .LBB80_277
; %bb.276:
	v_cvt_f32_f64_e32 v2, v[0:1]
	v_mov_b32_e32 v3, 0
	global_store_b64 v[4:5], v[2:3], off
.LBB80_277:
	s_mov_b32 s1, 0
.LBB80_278:
	s_delay_alu instid0(SALU_CYCLE_1)
	s_and_not1_b32 vcc_lo, exec_lo, s1
	s_cbranch_vccnz .LBB80_280
; %bb.279:
	v_cvt_f32_f64_e32 v2, v[0:1]
	s_delay_alu instid0(VALU_DEP_1) | instskip(NEXT) | instid1(VALU_DEP_1)
	v_cvt_f16_f32_e32 v2, v2
	v_and_b32_e32 v2, 0xffff, v2
	global_store_b32 v[4:5], v2, off
.LBB80_280:
	s_mov_b32 s1, 0
.LBB80_281:
	s_delay_alu instid0(SALU_CYCLE_1)
	s_and_not1_b32 vcc_lo, exec_lo, s1
	s_cbranch_vccnz .LBB80_290
; %bb.282:
	v_cmp_gt_i16_e32 vcc_lo, 6, v6
	s_mov_b32 s1, -1
	s_cbranch_vccnz .LBB80_288
; %bb.283:
	v_cmp_lt_i16_e32 vcc_lo, 6, v6
	s_cbranch_vccz .LBB80_285
; %bb.284:
	s_mov_b32 s1, 0
	global_store_b64 v[4:5], v[0:1], off
.LBB80_285:
	s_and_not1_b32 vcc_lo, exec_lo, s1
	s_cbranch_vccnz .LBB80_287
; %bb.286:
	v_cvt_f32_f64_e32 v2, v[0:1]
	global_store_b32 v[4:5], v2, off
.LBB80_287:
	s_mov_b32 s1, 0
.LBB80_288:
	s_delay_alu instid0(SALU_CYCLE_1)
	s_and_not1_b32 vcc_lo, exec_lo, s1
	s_cbranch_vccnz .LBB80_290
; %bb.289:
	v_cvt_f32_f64_e32 v2, v[0:1]
	s_delay_alu instid0(VALU_DEP_1)
	v_cvt_f16_f32_e32 v2, v2
	global_store_b16 v[4:5], v2, off
.LBB80_290:
	s_mov_b32 s1, 0
.LBB80_291:
	s_delay_alu instid0(SALU_CYCLE_1)
	s_and_not1_b32 vcc_lo, exec_lo, s1
	s_cbranch_vccnz .LBB80_307
; %bb.292:
	v_cmp_gt_i16_e32 vcc_lo, 2, v6
	s_mov_b32 s1, -1
	s_cbranch_vccnz .LBB80_302
; %bb.293:
	v_cmp_gt_i16_e32 vcc_lo, 3, v6
	s_cbranch_vccnz .LBB80_299
; %bb.294:
	v_cmp_lt_i16_e32 vcc_lo, 3, v6
	s_cbranch_vccz .LBB80_296
; %bb.295:
	v_trunc_f64_e32 v[2:3], v[0:1]
	s_mov_b32 s1, 0
	s_delay_alu instid0(VALU_DEP_1) | instskip(NEXT) | instid1(VALU_DEP_1)
	v_ldexp_f64 v[7:8], v[2:3], 0xffffffe0
	v_floor_f64_e32 v[7:8], v[7:8]
	s_delay_alu instid0(VALU_DEP_1) | instskip(SKIP_1) | instid1(VALU_DEP_2)
	v_fma_f64 v[2:3], 0xc1f00000, v[7:8], v[2:3]
	v_cvt_i32_f64_e32 v8, v[7:8]
	v_cvt_u32_f64_e32 v7, v[2:3]
	global_store_b64 v[4:5], v[7:8], off
.LBB80_296:
	s_and_not1_b32 vcc_lo, exec_lo, s1
	s_cbranch_vccnz .LBB80_298
; %bb.297:
	v_cvt_i32_f64_e32 v2, v[0:1]
	global_store_b32 v[4:5], v2, off
.LBB80_298:
	s_mov_b32 s1, 0
.LBB80_299:
	s_delay_alu instid0(SALU_CYCLE_1)
	s_and_not1_b32 vcc_lo, exec_lo, s1
	s_cbranch_vccnz .LBB80_301
; %bb.300:
	v_cvt_i32_f64_e32 v2, v[0:1]
	global_store_b16 v[4:5], v2, off
.LBB80_301:
	s_mov_b32 s1, 0
.LBB80_302:
	s_delay_alu instid0(SALU_CYCLE_1)
	s_and_not1_b32 vcc_lo, exec_lo, s1
	s_cbranch_vccnz .LBB80_307
; %bb.303:
	v_cmp_lt_i16_e32 vcc_lo, 0, v6
	s_mov_b32 s1, -1
	s_cbranch_vccz .LBB80_305
; %bb.304:
	v_cvt_i32_f64_e32 v2, v[0:1]
	s_mov_b32 s1, 0
	global_store_b8 v[4:5], v2, off
.LBB80_305:
	s_and_not1_b32 vcc_lo, exec_lo, s1
	s_cbranch_vccnz .LBB80_307
; %bb.306:
	v_trunc_f64_e32 v[0:1], v[0:1]
	s_delay_alu instid0(VALU_DEP_1) | instskip(NEXT) | instid1(VALU_DEP_1)
	v_ldexp_f64 v[2:3], v[0:1], 0xffffffe0
	v_floor_f64_e32 v[2:3], v[2:3]
	s_delay_alu instid0(VALU_DEP_1) | instskip(NEXT) | instid1(VALU_DEP_1)
	v_fma_f64 v[0:1], 0xc1f00000, v[2:3], v[0:1]
	v_cvt_u32_f64_e32 v0, v[0:1]
	global_store_b8 v[4:5], v0, off
.LBB80_307:
	s_branch .LBB80_396
.LBB80_308:
	s_mov_b32 s1, 0
	s_branch .LBB80_508
.LBB80_309:
	s_mov_b32 s1, -1
	s_mov_b32 s0, 0
	s_mov_b32 s15, s13
                                        ; implicit-def: $vgpr2_vgpr3
	s_branch .LBB80_425
.LBB80_310:
	s_mov_b32 s1, -1
	s_mov_b32 s0, 0
	s_mov_b32 s15, s13
                                        ; implicit-def: $vgpr2_vgpr3
	s_branch .LBB80_404
.LBB80_311:
	s_mov_b32 s1, -1
	s_mov_b32 s0, s11
	s_branch .LBB80_353
.LBB80_312:
	s_mov_b32 s1, -1
	s_mov_b32 s0, 0
	s_mov_b32 s15, s13
                                        ; implicit-def: $vgpr2_vgpr3
	s_branch .LBB80_399
.LBB80_313:
	s_mov_b32 s1, -1
	s_mov_b32 s0, s11
	s_branch .LBB80_336
.LBB80_314:
	s_or_saveexec_b32 s2, s2
                                        ; implicit-def: $sgpr16
	s_delay_alu instid0(SALU_CYCLE_1)
	s_xor_b32 exec_lo, exec_lo, s2
	s_cbranch_execz .LBB80_90
.LBB80_315:
	v_add_f32_e64 v3, 0x46000000, |v2|
	s_and_not1_b32 s1, s1, exec_lo
	s_mov_b32 s16, 0
	s_delay_alu instid0(VALU_DEP_1) | instskip(NEXT) | instid1(VALU_DEP_1)
	v_and_b32_e32 v3, 0xff, v3
	v_cmp_ne_u32_e32 vcc_lo, 0, v3
	s_and_b32 s17, vcc_lo, exec_lo
	s_delay_alu instid0(SALU_CYCLE_1)
	s_or_b32 s1, s1, s17
	s_or_b32 exec_lo, exec_lo, s2
	v_mov_b32_e32 v7, s16
	s_and_saveexec_b32 s2, s1
	s_cbranch_execnz .LBB80_91
	s_branch .LBB80_92
.LBB80_316:
	s_mov_b32 s1, -1
	s_mov_b32 s0, 0
	s_mov_b32 s15, s13
	s_branch .LBB80_321
.LBB80_317:
	s_mov_b32 s1, -1
	s_mov_b32 s0, s11
	s_branch .LBB80_332
.LBB80_318:
	s_or_saveexec_b32 s2, s2
                                        ; implicit-def: $sgpr16
	s_delay_alu instid0(SALU_CYCLE_1)
	s_xor_b32 exec_lo, exec_lo, s2
	s_cbranch_execz .LBB80_103
.LBB80_319:
	v_add_f32_e64 v3, 0x42800000, |v2|
	s_and_not1_b32 s1, s1, exec_lo
	s_mov_b32 s16, 0
	s_delay_alu instid0(VALU_DEP_1) | instskip(NEXT) | instid1(VALU_DEP_1)
	v_and_b32_e32 v3, 0xff, v3
	v_cmp_ne_u32_e32 vcc_lo, 0, v3
	s_and_b32 s17, vcc_lo, exec_lo
	s_delay_alu instid0(SALU_CYCLE_1)
	s_or_b32 s1, s1, s17
	s_or_b32 exec_lo, exec_lo, s2
	v_mov_b32_e32 v7, s16
	s_and_saveexec_b32 s2, s1
	s_cbranch_execnz .LBB80_104
	s_branch .LBB80_105
.LBB80_320:
	s_mov_b32 s15, -1
	s_mov_b32 s0, 0
.LBB80_321:
                                        ; implicit-def: $vgpr2_vgpr3
.LBB80_322:
	s_and_b32 vcc_lo, exec_lo, s1
	s_cbranch_vccz .LBB80_398
; %bb.323:
	v_cmp_eq_u16_e32 vcc_lo, 44, v12
	s_cbranch_vccz .LBB80_397
; %bb.324:
	global_load_u8 v4, v[0:1], off
	s_mov_b32 s15, 0
	s_mov_b32 s0, -1
	s_waitcnt vmcnt(0)
	v_cmp_ne_u32_e32 vcc_lo, 0xff, v4
	v_lshlrev_b32_e32 v2, 23, v4
	s_delay_alu instid0(VALU_DEP_1) | instskip(NEXT) | instid1(VALU_DEP_1)
	v_cvt_f64_f32_e32 v[2:3], v2
	v_cndmask_b32_e32 v3, 0x7ff80000, v3, vcc_lo
	s_delay_alu instid0(VALU_DEP_2) | instskip(SKIP_1) | instid1(VALU_DEP_3)
	v_cndmask_b32_e32 v2, 0x20000000, v2, vcc_lo
	v_cmp_ne_u32_e32 vcc_lo, 0, v4
	v_cndmask_b32_e32 v3, 0x38000000, v3, vcc_lo
	s_delay_alu instid0(VALU_DEP_3)
	v_cndmask_b32_e32 v2, 0, v2, vcc_lo
	s_branch .LBB80_398
.LBB80_325:
	s_mov_b32 s1, -1
	s_mov_b32 s0, s11
.LBB80_326:
	s_and_b32 vcc_lo, exec_lo, s1
	s_cbranch_vccz .LBB80_331
; %bb.327:
	v_cmp_eq_u16_e32 vcc_lo, 44, v6
	s_mov_b32 s0, -1
	s_cbranch_vccz .LBB80_331
; %bb.328:
	v_cvt_f32_f64_e32 v2, v[0:1]
	v_mov_b32_e32 v3, 0xff
	s_mov_b32 s1, exec_lo
	s_delay_alu instid0(VALU_DEP_2) | instskip(NEXT) | instid1(VALU_DEP_1)
	v_bfe_u32 v7, v2, 23, 8
	v_cmpx_ne_u32_e32 0xff, v7
; %bb.329:
	v_and_b32_e32 v3, 0x400000, v2
	v_and_or_b32 v7, 0x3fffff, v2, v7
	v_lshrrev_b32_e32 v2, 23, v2
	s_delay_alu instid0(VALU_DEP_3) | instskip(NEXT) | instid1(VALU_DEP_3)
	v_cmp_ne_u32_e32 vcc_lo, 0, v3
	v_cmp_ne_u32_e64 s0, 0, v7
	s_delay_alu instid0(VALU_DEP_1) | instskip(NEXT) | instid1(SALU_CYCLE_1)
	s_and_b32 s0, vcc_lo, s0
	v_cndmask_b32_e64 v3, 0, 1, s0
	s_delay_alu instid0(VALU_DEP_1)
	v_add_nc_u32_e32 v3, v2, v3
; %bb.330:
	s_or_b32 exec_lo, exec_lo, s1
	s_mov_b32 s16, -1
	s_mov_b32 s0, 0
	global_store_b8 v[4:5], v3, off
.LBB80_331:
	s_mov_b32 s1, 0
.LBB80_332:
	s_delay_alu instid0(SALU_CYCLE_1)
	s_and_b32 vcc_lo, exec_lo, s1
	s_cbranch_vccz .LBB80_335
; %bb.333:
	v_cmp_eq_u16_e32 vcc_lo, 29, v6
	s_mov_b32 s0, -1
	s_cbranch_vccz .LBB80_335
; %bb.334:
	v_trunc_f64_e32 v[2:3], v[0:1]
	s_mov_b32 s16, -1
	s_mov_b32 s0, 0
	s_mov_b32 s1, 0
	s_delay_alu instid0(VALU_DEP_1) | instskip(NEXT) | instid1(VALU_DEP_1)
	v_ldexp_f64 v[7:8], v[2:3], 0xffffffe0
	v_floor_f64_e32 v[7:8], v[7:8]
	s_delay_alu instid0(VALU_DEP_1) | instskip(SKIP_1) | instid1(VALU_DEP_2)
	v_fma_f64 v[2:3], 0xc1f00000, v[7:8], v[2:3]
	v_cvt_u32_f64_e32 v8, v[7:8]
	v_cvt_u32_f64_e32 v7, v[2:3]
	global_store_b64 v[4:5], v[7:8], off
	s_branch .LBB80_336
.LBB80_335:
	s_mov_b32 s1, 0
.LBB80_336:
	s_delay_alu instid0(SALU_CYCLE_1)
	s_and_b32 vcc_lo, exec_lo, s1
	s_cbranch_vccz .LBB80_352
; %bb.337:
	v_cmp_gt_i16_e32 vcc_lo, 27, v6
	s_mov_b32 s1, -1
	s_cbranch_vccnz .LBB80_343
; %bb.338:
	v_cmp_lt_i16_e32 vcc_lo, 27, v6
	s_cbranch_vccz .LBB80_340
; %bb.339:
	v_cvt_u32_f64_e32 v2, v[0:1]
	s_mov_b32 s1, 0
	global_store_b32 v[4:5], v2, off
.LBB80_340:
	s_and_not1_b32 vcc_lo, exec_lo, s1
	s_cbranch_vccnz .LBB80_342
; %bb.341:
	v_cvt_u32_f64_e32 v2, v[0:1]
	global_store_b16 v[4:5], v2, off
.LBB80_342:
	s_mov_b32 s1, 0
.LBB80_343:
	s_delay_alu instid0(SALU_CYCLE_1)
	s_and_not1_b32 vcc_lo, exec_lo, s1
	s_cbranch_vccnz .LBB80_351
; %bb.344:
	v_cvt_f32_f64_e32 v2, v[0:1]
	v_mov_b32_e32 v7, 0x80
	s_mov_b32 s1, exec_lo
	s_delay_alu instid0(VALU_DEP_2) | instskip(NEXT) | instid1(VALU_DEP_1)
	v_and_b32_e32 v3, 0x7fffffff, v2
	v_cmpx_gt_u32_e32 0x43800000, v3
	s_cbranch_execz .LBB80_350
; %bb.345:
	v_cmp_lt_u32_e32 vcc_lo, 0x3bffffff, v3
	s_mov_b32 s2, 0
                                        ; implicit-def: $vgpr3
	s_and_saveexec_b32 s16, vcc_lo
	s_delay_alu instid0(SALU_CYCLE_1)
	s_xor_b32 s16, exec_lo, s16
	s_cbranch_execz .LBB80_523
; %bb.346:
	v_bfe_u32 v3, v2, 20, 1
	s_mov_b32 s2, exec_lo
	s_delay_alu instid0(VALU_DEP_1) | instskip(NEXT) | instid1(VALU_DEP_1)
	v_add3_u32 v3, v2, v3, 0x487ffff
	v_lshrrev_b32_e32 v3, 20, v3
	s_or_saveexec_b32 s16, s16
                                        ; implicit-def: $sgpr18
	s_delay_alu instid0(SALU_CYCLE_1)
	s_xor_b32 exec_lo, exec_lo, s16
	s_cbranch_execnz .LBB80_524
.LBB80_347:
	s_or_b32 exec_lo, exec_lo, s16
	v_mov_b32_e32 v7, s18
	s_and_saveexec_b32 s16, s2
.LBB80_348:
	v_lshrrev_b32_e32 v2, 24, v2
	s_delay_alu instid0(VALU_DEP_1)
	v_and_or_b32 v7, 0x80, v2, v3
.LBB80_349:
	s_or_b32 exec_lo, exec_lo, s16
.LBB80_350:
	s_delay_alu instid0(SALU_CYCLE_1)
	s_or_b32 exec_lo, exec_lo, s1
	global_store_b8 v[4:5], v7, off
.LBB80_351:
	s_mov_b32 s16, -1
.LBB80_352:
	s_mov_b32 s1, 0
.LBB80_353:
	s_delay_alu instid0(SALU_CYCLE_1)
	s_and_b32 vcc_lo, exec_lo, s1
	s_cbranch_vccz .LBB80_394
; %bb.354:
	v_cmp_lt_i16_e32 vcc_lo, 22, v6
	s_mov_b32 s1, -1
	s_cbranch_vccz .LBB80_386
; %bb.355:
	v_cmp_gt_i16_e32 vcc_lo, 24, v6
	s_cbranch_vccnz .LBB80_375
; %bb.356:
	v_cmp_lt_i16_e32 vcc_lo, 24, v6
	s_cbranch_vccz .LBB80_364
; %bb.357:
	v_cvt_f32_f64_e32 v2, v[0:1]
	v_mov_b32_e32 v7, 0x80
	s_mov_b32 s1, exec_lo
	s_delay_alu instid0(VALU_DEP_2) | instskip(NEXT) | instid1(VALU_DEP_1)
	v_and_b32_e32 v3, 0x7fffffff, v2
	v_cmpx_gt_u32_e32 0x47800000, v3
	s_cbranch_execz .LBB80_363
; %bb.358:
	v_cmp_lt_u32_e32 vcc_lo, 0x37ffffff, v3
	s_mov_b32 s2, 0
                                        ; implicit-def: $vgpr3
	s_and_saveexec_b32 s16, vcc_lo
	s_delay_alu instid0(SALU_CYCLE_1)
	s_xor_b32 s16, exec_lo, s16
	s_cbranch_execz .LBB80_526
; %bb.359:
	v_bfe_u32 v3, v2, 21, 1
	s_mov_b32 s2, exec_lo
	s_delay_alu instid0(VALU_DEP_1) | instskip(NEXT) | instid1(VALU_DEP_1)
	v_add3_u32 v3, v2, v3, 0x88fffff
	v_lshrrev_b32_e32 v3, 21, v3
	s_or_saveexec_b32 s16, s16
                                        ; implicit-def: $sgpr18
	s_delay_alu instid0(SALU_CYCLE_1)
	s_xor_b32 exec_lo, exec_lo, s16
	s_cbranch_execnz .LBB80_527
.LBB80_360:
	s_or_b32 exec_lo, exec_lo, s16
	v_mov_b32_e32 v7, s18
	s_and_saveexec_b32 s16, s2
.LBB80_361:
	v_lshrrev_b32_e32 v2, 24, v2
	s_delay_alu instid0(VALU_DEP_1)
	v_and_or_b32 v7, 0x80, v2, v3
.LBB80_362:
	s_or_b32 exec_lo, exec_lo, s16
.LBB80_363:
	s_delay_alu instid0(SALU_CYCLE_1)
	s_or_b32 exec_lo, exec_lo, s1
	s_mov_b32 s1, 0
	global_store_b8 v[4:5], v7, off
.LBB80_364:
	s_and_b32 vcc_lo, exec_lo, s1
	s_cbranch_vccz .LBB80_374
; %bb.365:
	v_cvt_f32_f64_e32 v2, v[0:1]
	s_mov_b32 s1, exec_lo
                                        ; implicit-def: $vgpr3
	s_delay_alu instid0(VALU_DEP_1) | instskip(NEXT) | instid1(VALU_DEP_1)
	v_and_b32_e32 v7, 0x7fffffff, v2
	v_cmpx_gt_u32_e32 0x43f00000, v7
	s_xor_b32 s1, exec_lo, s1
	s_cbranch_execz .LBB80_371
; %bb.366:
	s_mov_b32 s2, exec_lo
                                        ; implicit-def: $vgpr3
	v_cmpx_lt_u32_e32 0x3c7fffff, v7
	s_xor_b32 s2, exec_lo, s2
; %bb.367:
	v_bfe_u32 v3, v2, 20, 1
	s_delay_alu instid0(VALU_DEP_1) | instskip(NEXT) | instid1(VALU_DEP_1)
	v_add3_u32 v3, v2, v3, 0x407ffff
	v_and_b32_e32 v7, 0xff00000, v3
	v_lshrrev_b32_e32 v3, 20, v3
	s_delay_alu instid0(VALU_DEP_2) | instskip(NEXT) | instid1(VALU_DEP_2)
	v_cmp_ne_u32_e32 vcc_lo, 0x7f00000, v7
	v_cndmask_b32_e32 v3, 0x7e, v3, vcc_lo
; %bb.368:
	s_and_not1_saveexec_b32 s2, s2
; %bb.369:
	v_add_f32_e64 v3, 0x46800000, |v2|
; %bb.370:
	s_or_b32 exec_lo, exec_lo, s2
                                        ; implicit-def: $vgpr7
.LBB80_371:
	s_and_not1_saveexec_b32 s1, s1
; %bb.372:
	v_mov_b32_e32 v3, 0x7f
	v_cmp_lt_u32_e32 vcc_lo, 0x7f800000, v7
	s_delay_alu instid0(VALU_DEP_2)
	v_cndmask_b32_e32 v3, 0x7e, v3, vcc_lo
; %bb.373:
	s_or_b32 exec_lo, exec_lo, s1
	v_lshrrev_b32_e32 v2, 24, v2
	s_delay_alu instid0(VALU_DEP_1)
	v_and_or_b32 v2, 0x80, v2, v3
	global_store_b8 v[4:5], v2, off
.LBB80_374:
	s_mov_b32 s1, 0
.LBB80_375:
	s_delay_alu instid0(SALU_CYCLE_1)
	s_and_not1_b32 vcc_lo, exec_lo, s1
	s_cbranch_vccnz .LBB80_385
; %bb.376:
	v_cvt_f32_f64_e32 v2, v[0:1]
	s_mov_b32 s1, exec_lo
                                        ; implicit-def: $vgpr3
	s_delay_alu instid0(VALU_DEP_1) | instskip(NEXT) | instid1(VALU_DEP_1)
	v_and_b32_e32 v7, 0x7fffffff, v2
	v_cmpx_gt_u32_e32 0x47800000, v7
	s_xor_b32 s1, exec_lo, s1
	s_cbranch_execz .LBB80_382
; %bb.377:
	s_mov_b32 s2, exec_lo
                                        ; implicit-def: $vgpr3
	v_cmpx_lt_u32_e32 0x387fffff, v7
	s_xor_b32 s2, exec_lo, s2
; %bb.378:
	v_bfe_u32 v3, v2, 21, 1
	s_delay_alu instid0(VALU_DEP_1) | instskip(NEXT) | instid1(VALU_DEP_1)
	v_add3_u32 v3, v2, v3, 0x80fffff
	v_lshrrev_b32_e32 v3, 21, v3
; %bb.379:
	s_and_not1_saveexec_b32 s2, s2
; %bb.380:
	v_add_f32_e64 v3, 0x43000000, |v2|
; %bb.381:
	s_or_b32 exec_lo, exec_lo, s2
                                        ; implicit-def: $vgpr7
.LBB80_382:
	s_and_not1_saveexec_b32 s1, s1
; %bb.383:
	v_mov_b32_e32 v3, 0x7f
	v_cmp_lt_u32_e32 vcc_lo, 0x7f800000, v7
	s_delay_alu instid0(VALU_DEP_2)
	v_cndmask_b32_e32 v3, 0x7c, v3, vcc_lo
; %bb.384:
	s_or_b32 exec_lo, exec_lo, s1
	v_lshrrev_b32_e32 v2, 24, v2
	s_delay_alu instid0(VALU_DEP_1)
	v_and_or_b32 v2, 0x80, v2, v3
	global_store_b8 v[4:5], v2, off
.LBB80_385:
	s_mov_b32 s1, 0
	s_mov_b32 s16, -1
.LBB80_386:
	s_and_not1_b32 vcc_lo, exec_lo, s1
	s_cbranch_vccnz .LBB80_394
; %bb.387:
	v_cmp_lt_i16_e32 vcc_lo, 14, v6
	s_mov_b32 s1, -1
	s_cbranch_vccz .LBB80_391
; %bb.388:
	v_cmp_eq_u16_e32 vcc_lo, 15, v6
	s_mov_b32 s0, -1
	s_cbranch_vccz .LBB80_390
; %bb.389:
	v_cvt_f32_f64_e32 v2, v[0:1]
	s_mov_b32 s16, -1
	s_mov_b32 s0, 0
	s_delay_alu instid0(VALU_DEP_1) | instskip(SKIP_1) | instid1(VALU_DEP_2)
	v_bfe_u32 v3, v2, 16, 1
	v_cmp_o_f32_e32 vcc_lo, v2, v2
	v_add3_u32 v3, v2, v3, 0x7fff
	s_delay_alu instid0(VALU_DEP_1) | instskip(NEXT) | instid1(VALU_DEP_1)
	v_lshrrev_b32_e32 v3, 16, v3
	v_cndmask_b32_e32 v2, 0x7fc0, v3, vcc_lo
	global_store_b16 v[4:5], v2, off
.LBB80_390:
	s_mov_b32 s1, 0
.LBB80_391:
	s_delay_alu instid0(SALU_CYCLE_1)
	s_and_b32 vcc_lo, exec_lo, s1
	s_cbranch_vccz .LBB80_394
; %bb.392:
	v_cmp_eq_u16_e32 vcc_lo, 11, v6
	s_mov_b32 s0, -1
	s_cbranch_vccz .LBB80_394
; %bb.393:
	v_cmp_neq_f64_e32 vcc_lo, 0, v[0:1]
	s_mov_b32 s16, -1
	s_mov_b32 s0, 0
	v_cndmask_b32_e64 v2, 0, 1, vcc_lo
	global_store_b8 v[4:5], v2, off
.LBB80_394:
.LBB80_395:
	s_and_not1_b32 vcc_lo, exec_lo, s16
	s_cbranch_vccnz .LBB80_308
.LBB80_396:
	v_add_nc_u32_e32 v11, 0x80, v11
	s_mov_b32 s1, -1
	s_branch .LBB80_509
.LBB80_397:
	s_mov_b32 s15, -1
                                        ; implicit-def: $vgpr2_vgpr3
.LBB80_398:
	s_mov_b32 s1, 0
.LBB80_399:
	s_delay_alu instid0(SALU_CYCLE_1)
	s_and_b32 vcc_lo, exec_lo, s1
	s_cbranch_vccz .LBB80_403
; %bb.400:
	v_cmp_eq_u16_e32 vcc_lo, 29, v12
	s_cbranch_vccz .LBB80_402
; %bb.401:
	global_load_b64 v[2:3], v[0:1], off
	s_mov_b32 s0, -1
	s_mov_b32 s15, 0
	s_mov_b32 s1, 0
	s_waitcnt vmcnt(0)
	v_cvt_f64_u32_e32 v[3:4], v3
	v_cvt_f64_u32_e32 v[5:6], v2
	s_delay_alu instid0(VALU_DEP_2) | instskip(NEXT) | instid1(VALU_DEP_1)
	v_ldexp_f64 v[3:4], v[3:4], 32
	v_add_f64 v[2:3], v[3:4], v[5:6]
	s_branch .LBB80_404
.LBB80_402:
	s_mov_b32 s15, -1
                                        ; implicit-def: $vgpr2_vgpr3
.LBB80_403:
	s_mov_b32 s1, 0
.LBB80_404:
	s_delay_alu instid0(SALU_CYCLE_1)
	s_and_b32 vcc_lo, exec_lo, s1
	s_cbranch_vccz .LBB80_424
; %bb.405:
	v_cmp_gt_i16_e32 vcc_lo, 27, v12
	s_cbranch_vccnz .LBB80_408
; %bb.406:
	v_cmp_lt_i16_e32 vcc_lo, 27, v12
	s_cbranch_vccz .LBB80_409
; %bb.407:
	global_load_b32 v2, v[0:1], off
	s_mov_b32 s0, 0
	s_waitcnt vmcnt(0)
	v_cvt_f64_u32_e32 v[2:3], v2
	s_branch .LBB80_410
.LBB80_408:
	s_mov_b32 s0, -1
                                        ; implicit-def: $vgpr2_vgpr3
	s_branch .LBB80_413
.LBB80_409:
	s_mov_b32 s0, -1
                                        ; implicit-def: $vgpr2_vgpr3
.LBB80_410:
	s_delay_alu instid0(SALU_CYCLE_1)
	s_and_not1_b32 vcc_lo, exec_lo, s0
	s_cbranch_vccnz .LBB80_412
; %bb.411:
	global_load_u16 v2, v[0:1], off
	s_waitcnt vmcnt(0)
	v_cvt_f64_u32_e32 v[2:3], v2
.LBB80_412:
	s_mov_b32 s0, 0
.LBB80_413:
	s_delay_alu instid0(SALU_CYCLE_1)
	s_and_not1_b32 vcc_lo, exec_lo, s0
	s_cbranch_vccnz .LBB80_423
; %bb.414:
	global_load_u8 v4, v[0:1], off
	s_mov_b32 s2, 0
	s_mov_b32 s16, exec_lo
                                        ; implicit-def: $sgpr0_sgpr1
	s_waitcnt vmcnt(0)
	v_cmpx_lt_i16_e32 0x7f, v4
	s_xor_b32 s16, exec_lo, s16
	s_cbranch_execz .LBB80_418
; %bb.415:
	s_mov_b32 s18, -1
	s_mov_b32 s2, exec_lo
                                        ; implicit-def: $sgpr0_sgpr1
	v_cmpx_eq_u16_e32 0x80, v4
; %bb.416:
	s_mov_b32 s1, 0x7ff80000
	s_brev_b32 s0, 4
	s_xor_b32 s18, exec_lo, -1
; %bb.417:
	s_or_b32 exec_lo, exec_lo, s2
	s_delay_alu instid0(SALU_CYCLE_1)
	s_and_b32 s2, s18, exec_lo
.LBB80_418:
	s_or_saveexec_b32 s16, s16
	v_dual_mov_b32 v3, s1 :: v_dual_mov_b32 v2, s0
	s_xor_b32 exec_lo, exec_lo, s16
; %bb.419:
	v_cmp_ne_u16_e32 vcc_lo, 0, v4
	v_mov_b32_e32 v2, 0
	v_mov_b32_e32 v3, 0
	s_and_not1_b32 s0, s2, exec_lo
	s_and_b32 s1, vcc_lo, exec_lo
	s_delay_alu instid0(SALU_CYCLE_1)
	s_or_b32 s2, s0, s1
; %bb.420:
	s_or_b32 exec_lo, exec_lo, s16
	s_and_saveexec_b32 s0, s2
	s_cbranch_execz .LBB80_422
; %bb.421:
	v_and_b32_e32 v2, 0xffff, v4
	v_lshlrev_b32_e32 v4, 24, v4
	s_delay_alu instid0(VALU_DEP_2) | instskip(NEXT) | instid1(VALU_DEP_2)
	v_and_b32_e32 v3, 7, v2
	v_and_b32_e32 v4, 0x80000000, v4
	s_delay_alu instid0(VALU_DEP_2) | instskip(NEXT) | instid1(VALU_DEP_1)
	v_clz_i32_u32_e32 v5, v3
	v_min_u32_e32 v5, 32, v5
	s_delay_alu instid0(VALU_DEP_1) | instskip(SKIP_1) | instid1(VALU_DEP_2)
	v_subrev_nc_u32_e32 v6, 28, v5
	v_sub_nc_u32_e32 v5, 29, v5
	v_lshlrev_b32_e32 v6, v6, v2
	v_bfe_u32 v2, v2, 3, 4
	s_delay_alu instid0(VALU_DEP_2) | instskip(NEXT) | instid1(VALU_DEP_2)
	v_and_b32_e32 v6, 7, v6
	v_cmp_eq_u32_e32 vcc_lo, 0, v2
	s_delay_alu instid0(VALU_DEP_2) | instskip(NEXT) | instid1(VALU_DEP_1)
	v_dual_cndmask_b32 v2, v2, v5 :: v_dual_cndmask_b32 v3, v3, v6
	v_lshl_add_u32 v2, v2, 23, 0x3b800000
	s_delay_alu instid0(VALU_DEP_2) | instskip(NEXT) | instid1(VALU_DEP_1)
	v_lshlrev_b32_e32 v3, 20, v3
	v_or3_b32 v2, v4, v2, v3
	s_delay_alu instid0(VALU_DEP_1)
	v_cvt_f64_f32_e32 v[2:3], v2
.LBB80_422:
	s_or_b32 exec_lo, exec_lo, s0
.LBB80_423:
	s_mov_b32 s0, -1
.LBB80_424:
	s_mov_b32 s1, 0
.LBB80_425:
	s_delay_alu instid0(SALU_CYCLE_1)
	s_and_b32 vcc_lo, exec_lo, s1
	s_cbranch_vccz .LBB80_458
; %bb.426:
	v_cmp_lt_i16_e32 vcc_lo, 22, v12
	s_cbranch_vccz .LBB80_438
; %bb.427:
	v_cmp_gt_i16_e32 vcc_lo, 24, v12
	s_cbranch_vccnz .LBB80_439
; %bb.428:
	v_cmp_lt_i16_e32 vcc_lo, 24, v12
	s_cbranch_vccz .LBB80_440
; %bb.429:
	global_load_u8 v4, v[0:1], off
	s_mov_b32 s2, 0
	s_mov_b32 s16, exec_lo
                                        ; implicit-def: $sgpr0_sgpr1
	s_waitcnt vmcnt(0)
	v_cmpx_lt_i16_e32 0x7f, v4
	s_xor_b32 s16, exec_lo, s16
	s_cbranch_execz .LBB80_433
; %bb.430:
	s_mov_b32 s18, -1
	s_mov_b32 s2, exec_lo
                                        ; implicit-def: $sgpr0_sgpr1
	v_cmpx_eq_u16_e32 0x80, v4
; %bb.431:
	s_mov_b32 s1, 0x7ff80000
	s_brev_b32 s0, 4
	s_xor_b32 s18, exec_lo, -1
; %bb.432:
	s_or_b32 exec_lo, exec_lo, s2
	s_delay_alu instid0(SALU_CYCLE_1)
	s_and_b32 s2, s18, exec_lo
.LBB80_433:
	s_or_saveexec_b32 s16, s16
	v_dual_mov_b32 v3, s1 :: v_dual_mov_b32 v2, s0
	s_xor_b32 exec_lo, exec_lo, s16
; %bb.434:
	v_cmp_ne_u16_e32 vcc_lo, 0, v4
	v_mov_b32_e32 v2, 0
	v_mov_b32_e32 v3, 0
	s_and_not1_b32 s0, s2, exec_lo
	s_and_b32 s1, vcc_lo, exec_lo
	s_delay_alu instid0(SALU_CYCLE_1)
	s_or_b32 s2, s0, s1
; %bb.435:
	s_or_b32 exec_lo, exec_lo, s16
	s_and_saveexec_b32 s0, s2
	s_cbranch_execz .LBB80_437
; %bb.436:
	v_and_b32_e32 v2, 0xffff, v4
	v_lshlrev_b32_e32 v4, 24, v4
	s_delay_alu instid0(VALU_DEP_2) | instskip(NEXT) | instid1(VALU_DEP_2)
	v_and_b32_e32 v3, 3, v2
	v_and_b32_e32 v4, 0x80000000, v4
	s_delay_alu instid0(VALU_DEP_2) | instskip(NEXT) | instid1(VALU_DEP_1)
	v_clz_i32_u32_e32 v5, v3
	v_min_u32_e32 v5, 32, v5
	s_delay_alu instid0(VALU_DEP_1) | instskip(SKIP_1) | instid1(VALU_DEP_2)
	v_subrev_nc_u32_e32 v6, 29, v5
	v_sub_nc_u32_e32 v5, 30, v5
	v_lshlrev_b32_e32 v6, v6, v2
	v_bfe_u32 v2, v2, 2, 5
	s_delay_alu instid0(VALU_DEP_2) | instskip(NEXT) | instid1(VALU_DEP_2)
	v_and_b32_e32 v6, 3, v6
	v_cmp_eq_u32_e32 vcc_lo, 0, v2
	s_delay_alu instid0(VALU_DEP_2) | instskip(NEXT) | instid1(VALU_DEP_1)
	v_dual_cndmask_b32 v2, v2, v5 :: v_dual_cndmask_b32 v3, v3, v6
	v_lshl_add_u32 v2, v2, 23, 0x37800000
	s_delay_alu instid0(VALU_DEP_2) | instskip(NEXT) | instid1(VALU_DEP_1)
	v_lshlrev_b32_e32 v3, 21, v3
	v_or3_b32 v2, v4, v2, v3
	s_delay_alu instid0(VALU_DEP_1)
	v_cvt_f64_f32_e32 v[2:3], v2
.LBB80_437:
	s_or_b32 exec_lo, exec_lo, s0
	s_mov_b32 s0, 0
	s_branch .LBB80_441
.LBB80_438:
	s_mov_b32 s1, -1
                                        ; implicit-def: $vgpr2_vgpr3
	s_branch .LBB80_447
.LBB80_439:
	s_mov_b32 s0, -1
                                        ; implicit-def: $vgpr2_vgpr3
	s_branch .LBB80_444
.LBB80_440:
	s_mov_b32 s0, -1
                                        ; implicit-def: $vgpr2_vgpr3
.LBB80_441:
	s_delay_alu instid0(SALU_CYCLE_1)
	s_and_b32 vcc_lo, exec_lo, s0
	s_cbranch_vccz .LBB80_443
; %bb.442:
	global_load_u8 v2, v[0:1], off
	s_waitcnt vmcnt(0)
	v_lshlrev_b32_e32 v2, 24, v2
	s_delay_alu instid0(VALU_DEP_1) | instskip(NEXT) | instid1(VALU_DEP_1)
	v_and_b32_e32 v3, 0x7f000000, v2
	v_clz_i32_u32_e32 v4, v3
	v_add_nc_u32_e32 v6, 0x1000000, v3
	v_cmp_ne_u32_e32 vcc_lo, 0, v3
	s_delay_alu instid0(VALU_DEP_3) | instskip(NEXT) | instid1(VALU_DEP_1)
	v_min_u32_e32 v4, 32, v4
	v_sub_nc_u32_e64 v4, v4, 4 clamp
	s_delay_alu instid0(VALU_DEP_1) | instskip(SKIP_1) | instid1(VALU_DEP_2)
	v_lshlrev_b32_e32 v5, v4, v3
	v_lshlrev_b32_e32 v4, 23, v4
	v_lshrrev_b32_e32 v5, 4, v5
	s_delay_alu instid0(VALU_DEP_1) | instskip(SKIP_1) | instid1(VALU_DEP_2)
	v_sub_nc_u32_e32 v4, v5, v4
	v_ashrrev_i32_e32 v5, 8, v6
	v_add_nc_u32_e32 v4, 0x3c000000, v4
	s_delay_alu instid0(VALU_DEP_1) | instskip(NEXT) | instid1(VALU_DEP_1)
	v_and_or_b32 v4, 0x7f800000, v5, v4
	v_cndmask_b32_e32 v3, 0, v4, vcc_lo
	s_delay_alu instid0(VALU_DEP_1) | instskip(NEXT) | instid1(VALU_DEP_1)
	v_and_or_b32 v2, 0x80000000, v2, v3
	v_cvt_f64_f32_e32 v[2:3], v2
.LBB80_443:
	s_mov_b32 s0, 0
.LBB80_444:
	s_delay_alu instid0(SALU_CYCLE_1)
	s_and_not1_b32 vcc_lo, exec_lo, s0
	s_cbranch_vccnz .LBB80_446
; %bb.445:
	global_load_u8 v2, v[0:1], off
	s_waitcnt vmcnt(0)
	v_lshlrev_b32_e32 v3, 25, v2
	v_lshlrev_b16 v2, 8, v2
	s_delay_alu instid0(VALU_DEP_2) | instskip(NEXT) | instid1(VALU_DEP_2)
	v_lshrrev_b32_e32 v4, 4, v3
	v_and_or_b32 v5, 0x7f00, v2, 0.5
	v_bfe_i32 v2, v2, 0, 16
	s_delay_alu instid0(VALU_DEP_3) | instskip(NEXT) | instid1(VALU_DEP_1)
	v_or_b32_e32 v4, 0x70000000, v4
	v_dual_add_f32 v5, -0.5, v5 :: v_dual_mul_f32 v4, 0x7800000, v4
	v_cmp_gt_u32_e32 vcc_lo, 0x8000000, v3
	s_delay_alu instid0(VALU_DEP_2) | instskip(NEXT) | instid1(VALU_DEP_1)
	v_cndmask_b32_e32 v3, v4, v5, vcc_lo
	v_and_or_b32 v2, 0x80000000, v2, v3
	s_delay_alu instid0(VALU_DEP_1)
	v_cvt_f64_f32_e32 v[2:3], v2
.LBB80_446:
	s_mov_b32 s1, 0
	s_mov_b32 s0, -1
.LBB80_447:
	s_and_not1_b32 vcc_lo, exec_lo, s1
	s_cbranch_vccnz .LBB80_458
; %bb.448:
	v_cmp_lt_i16_e32 vcc_lo, 14, v12
	s_cbranch_vccz .LBB80_451
; %bb.449:
	v_cmp_eq_u16_e32 vcc_lo, 15, v12
	s_cbranch_vccz .LBB80_452
; %bb.450:
	global_load_u16 v2, v[0:1], off
	s_mov_b32 s0, -1
	s_mov_b32 s15, 0
	s_waitcnt vmcnt(0)
	v_lshlrev_b32_e32 v2, 16, v2
	s_delay_alu instid0(VALU_DEP_1)
	v_cvt_f64_f32_e32 v[2:3], v2
	s_branch .LBB80_453
.LBB80_451:
	s_mov_b32 s1, -1
                                        ; implicit-def: $vgpr2_vgpr3
	s_branch .LBB80_454
.LBB80_452:
	s_mov_b32 s15, -1
                                        ; implicit-def: $vgpr2_vgpr3
.LBB80_453:
	s_mov_b32 s1, 0
.LBB80_454:
	s_delay_alu instid0(SALU_CYCLE_1)
	s_and_b32 vcc_lo, exec_lo, s1
	s_cbranch_vccz .LBB80_458
; %bb.455:
	v_cmp_eq_u16_e32 vcc_lo, 11, v12
	s_cbranch_vccz .LBB80_457
; %bb.456:
	global_load_u8 v2, v[0:1], off
	s_mov_b32 s15, 0
	s_mov_b32 s0, -1
	s_waitcnt vmcnt(0)
	v_cmp_ne_u16_e32 vcc_lo, 0, v2
	v_mov_b32_e32 v2, 0
	v_cndmask_b32_e64 v3, 0, 0x3ff00000, vcc_lo
	s_branch .LBB80_458
.LBB80_457:
	s_mov_b32 s15, -1
                                        ; implicit-def: $vgpr2_vgpr3
.LBB80_458:
	s_branch .LBB80_261
.LBB80_459:
	v_cmp_gt_i16_e32 vcc_lo, 5, v12
	s_cbranch_vccnz .LBB80_464
; %bb.460:
	v_cmp_gt_i16_e32 vcc_lo, 8, v12
	s_cbranch_vccnz .LBB80_465
; %bb.461:
	;; [unrolled: 3-line block ×3, first 2 shown]
	v_cmp_lt_i16_e32 vcc_lo, 9, v12
	s_cbranch_vccz .LBB80_467
; %bb.463:
	global_load_b64 v[2:3], v[0:1], off
	s_mov_b32 s0, 0
	s_branch .LBB80_468
.LBB80_464:
	s_mov_b32 s0, -1
                                        ; implicit-def: $vgpr2_vgpr3
	s_branch .LBB80_486
.LBB80_465:
	s_mov_b32 s0, -1
                                        ; implicit-def: $vgpr2_vgpr3
	s_branch .LBB80_474
.LBB80_466:
	s_mov_b32 s0, -1
                                        ; implicit-def: $vgpr2_vgpr3
	s_branch .LBB80_471
.LBB80_467:
	s_mov_b32 s0, -1
                                        ; implicit-def: $vgpr2_vgpr3
.LBB80_468:
	s_delay_alu instid0(SALU_CYCLE_1)
	s_and_not1_b32 vcc_lo, exec_lo, s0
	s_cbranch_vccnz .LBB80_470
; %bb.469:
	global_load_b32 v2, v[0:1], off
	s_waitcnt vmcnt(0)
	v_cvt_f64_f32_e32 v[2:3], v2
.LBB80_470:
	s_mov_b32 s0, 0
.LBB80_471:
	s_delay_alu instid0(SALU_CYCLE_1)
	s_and_not1_b32 vcc_lo, exec_lo, s0
	s_cbranch_vccnz .LBB80_473
; %bb.472:
	global_load_b32 v2, v[0:1], off
	s_waitcnt vmcnt(0)
	v_cvt_f32_f16_e32 v2, v2
	s_delay_alu instid0(VALU_DEP_1)
	v_cvt_f64_f32_e32 v[2:3], v2
.LBB80_473:
	s_mov_b32 s0, 0
.LBB80_474:
	s_delay_alu instid0(SALU_CYCLE_1)
	s_and_not1_b32 vcc_lo, exec_lo, s0
	s_cbranch_vccnz .LBB80_485
; %bb.475:
	v_cmp_gt_i16_e32 vcc_lo, 6, v12
	s_cbranch_vccnz .LBB80_478
; %bb.476:
	v_cmp_lt_i16_e32 vcc_lo, 6, v12
	s_cbranch_vccz .LBB80_479
; %bb.477:
	global_load_b64 v[2:3], v[0:1], off
	s_mov_b32 s0, 0
	s_branch .LBB80_480
.LBB80_478:
	s_mov_b32 s0, -1
                                        ; implicit-def: $vgpr2_vgpr3
	s_branch .LBB80_483
.LBB80_479:
	s_mov_b32 s0, -1
                                        ; implicit-def: $vgpr2_vgpr3
.LBB80_480:
	s_delay_alu instid0(SALU_CYCLE_1)
	s_and_not1_b32 vcc_lo, exec_lo, s0
	s_cbranch_vccnz .LBB80_482
; %bb.481:
	global_load_b32 v2, v[0:1], off
	s_waitcnt vmcnt(0)
	v_cvt_f64_f32_e32 v[2:3], v2
.LBB80_482:
	s_mov_b32 s0, 0
.LBB80_483:
	s_delay_alu instid0(SALU_CYCLE_1)
	s_and_not1_b32 vcc_lo, exec_lo, s0
	s_cbranch_vccnz .LBB80_485
; %bb.484:
	global_load_u16 v2, v[0:1], off
	s_waitcnt vmcnt(0)
	v_cvt_f32_f16_e32 v2, v2
	s_delay_alu instid0(VALU_DEP_1)
	v_cvt_f64_f32_e32 v[2:3], v2
.LBB80_485:
	s_mov_b32 s0, 0
.LBB80_486:
	s_delay_alu instid0(SALU_CYCLE_1)
	s_and_not1_b32 vcc_lo, exec_lo, s0
	s_cbranch_vccnz .LBB80_506
; %bb.487:
	v_cmp_gt_i16_e32 vcc_lo, 2, v12
	s_cbranch_vccnz .LBB80_491
; %bb.488:
	v_cmp_gt_i16_e32 vcc_lo, 3, v12
	s_cbranch_vccnz .LBB80_492
; %bb.489:
	v_cmp_lt_i16_e32 vcc_lo, 3, v12
	s_cbranch_vccz .LBB80_493
; %bb.490:
	global_load_b64 v[2:3], v[0:1], off
	s_mov_b32 s0, 0
	s_waitcnt vmcnt(0)
	v_cvt_f64_i32_e32 v[3:4], v3
	v_cvt_f64_u32_e32 v[5:6], v2
	s_delay_alu instid0(VALU_DEP_2) | instskip(NEXT) | instid1(VALU_DEP_1)
	v_ldexp_f64 v[3:4], v[3:4], 32
	v_add_f64 v[2:3], v[3:4], v[5:6]
	s_branch .LBB80_494
.LBB80_491:
	s_mov_b32 s0, -1
                                        ; implicit-def: $vgpr2_vgpr3
	s_branch .LBB80_500
.LBB80_492:
	s_mov_b32 s0, -1
                                        ; implicit-def: $vgpr2_vgpr3
	s_branch .LBB80_497
.LBB80_493:
	s_mov_b32 s0, -1
                                        ; implicit-def: $vgpr2_vgpr3
.LBB80_494:
	s_delay_alu instid0(SALU_CYCLE_1)
	s_and_not1_b32 vcc_lo, exec_lo, s0
	s_cbranch_vccnz .LBB80_496
; %bb.495:
	global_load_b32 v2, v[0:1], off
	s_waitcnt vmcnt(0)
	v_cvt_f64_i32_e32 v[2:3], v2
.LBB80_496:
	s_mov_b32 s0, 0
.LBB80_497:
	s_delay_alu instid0(SALU_CYCLE_1)
	s_and_not1_b32 vcc_lo, exec_lo, s0
	s_cbranch_vccnz .LBB80_499
; %bb.498:
	global_load_i16 v2, v[0:1], off
	s_waitcnt vmcnt(0)
	v_cvt_f64_i32_e32 v[2:3], v2
.LBB80_499:
	s_mov_b32 s0, 0
.LBB80_500:
	s_delay_alu instid0(SALU_CYCLE_1)
	s_and_not1_b32 vcc_lo, exec_lo, s0
	s_cbranch_vccnz .LBB80_506
; %bb.501:
	v_cmp_lt_i16_e32 vcc_lo, 0, v12
	s_mov_b32 s0, 0
	s_cbranch_vccz .LBB80_503
; %bb.502:
	global_load_i8 v2, v[0:1], off
	s_waitcnt vmcnt(0)
	v_cvt_f64_i32_e32 v[2:3], v2
	s_branch .LBB80_504
.LBB80_503:
	s_mov_b32 s0, -1
                                        ; implicit-def: $vgpr2_vgpr3
.LBB80_504:
	s_delay_alu instid0(SALU_CYCLE_1)
	s_and_not1_b32 vcc_lo, exec_lo, s0
	s_cbranch_vccnz .LBB80_506
; %bb.505:
	global_load_u8 v0, v[0:1], off
	s_waitcnt vmcnt(0)
	v_cvt_f64_u32_e32 v[2:3], v0
.LBB80_506:
	s_branch .LBB80_262
.LBB80_507:
	s_mov_b32 s1, 0
	s_mov_b32 s0, s11
.LBB80_508:
                                        ; implicit-def: $vgpr11
.LBB80_509:
	s_and_not1_b32 s2, s11, exec_lo
	s_and_b32 s0, s0, exec_lo
	s_and_not1_b32 s18, s13, exec_lo
	s_and_b32 s15, s15, exec_lo
	s_or_b32 s16, s2, s0
	s_or_b32 s15, s18, s15
	s_or_not1_b32 s2, s1, exec_lo
.LBB80_510:
	s_or_b32 exec_lo, exec_lo, s17
	s_mov_b32 s1, 0
	s_mov_b32 s18, 0
	;; [unrolled: 1-line block ×3, first 2 shown]
                                        ; implicit-def: $vgpr0_vgpr1
                                        ; implicit-def: $vgpr2_vgpr3
	s_and_saveexec_b32 s17, s2
	s_cbranch_execz .LBB80_856
; %bb.511:
	s_mov_b32 s0, -1
	s_mov_b32 s2, s15
	s_mov_b32 s19, s16
	s_mov_b32 s18, exec_lo
	v_cmpx_gt_i32_e64 s12, v11
	s_cbranch_execz .LBB80_770
; %bb.512:
	v_mul_lo_u32 v0, v11, s9
	v_cmp_gt_i16_e32 vcc_lo, 11, v12
	s_delay_alu instid0(VALU_DEP_2) | instskip(SKIP_1) | instid1(VALU_DEP_1)
	v_ashrrev_i32_e32 v1, 31, v0
	v_add_co_u32 v0, s0, s6, v0
	v_add_co_ci_u32_e64 v1, s0, s7, v1, s0
	s_cbranch_vccnz .LBB80_519
; %bb.513:
	v_cmp_lt_i16_e32 vcc_lo, 25, v12
	s_cbranch_vccz .LBB80_520
; %bb.514:
	v_cmp_lt_i16_e32 vcc_lo, 28, v12
	s_cbranch_vccz .LBB80_521
	;; [unrolled: 3-line block ×4, first 2 shown]
; %bb.517:
	v_cmp_eq_u16_e32 vcc_lo, 46, v12
	s_cbranch_vccz .LBB80_528
; %bb.518:
	global_load_b32 v2, v[0:1], off
	s_mov_b32 s0, -1
	s_mov_b32 s19, 0
	s_waitcnt vmcnt(0)
	v_lshlrev_b32_e32 v2, 16, v2
	s_delay_alu instid0(VALU_DEP_1)
	v_cvt_f64_f32_e32 v[2:3], v2
	s_branch .LBB80_530
.LBB80_519:
	s_mov_b32 s1, -1
	s_mov_b32 s0, 0
	s_mov_b32 s19, s15
                                        ; implicit-def: $vgpr2_vgpr3
	s_branch .LBB80_595
.LBB80_520:
	s_mov_b32 s1, -1
	s_mov_b32 s0, 0
	s_mov_b32 s19, s15
                                        ; implicit-def: $vgpr2_vgpr3
	s_branch .LBB80_561
.LBB80_521:
	s_mov_b32 s1, -1
	s_mov_b32 s0, 0
	s_mov_b32 s19, s15
                                        ; implicit-def: $vgpr2_vgpr3
	s_branch .LBB80_540
.LBB80_522:
	s_mov_b32 s1, -1
	s_mov_b32 s0, 0
	s_mov_b32 s19, s15
                                        ; implicit-def: $vgpr2_vgpr3
	s_branch .LBB80_535
.LBB80_523:
	s_or_saveexec_b32 s16, s16
                                        ; implicit-def: $sgpr18
	s_delay_alu instid0(SALU_CYCLE_1)
	s_xor_b32 exec_lo, exec_lo, s16
	s_cbranch_execz .LBB80_347
.LBB80_524:
	v_add_f32_e64 v3, 0x46000000, |v2|
	s_and_not1_b32 s2, s2, exec_lo
	s_mov_b32 s18, 0
	s_delay_alu instid0(VALU_DEP_1) | instskip(NEXT) | instid1(VALU_DEP_1)
	v_and_b32_e32 v3, 0xff, v3
	v_cmp_ne_u32_e32 vcc_lo, 0, v3
	s_and_b32 s19, vcc_lo, exec_lo
	s_delay_alu instid0(SALU_CYCLE_1)
	s_or_b32 s2, s2, s19
	s_or_b32 exec_lo, exec_lo, s16
	v_mov_b32_e32 v7, s18
	s_and_saveexec_b32 s16, s2
	s_cbranch_execnz .LBB80_348
	s_branch .LBB80_349
.LBB80_525:
	s_mov_b32 s1, -1
	s_mov_b32 s0, 0
	s_mov_b32 s19, s15
	s_branch .LBB80_529
.LBB80_526:
	s_or_saveexec_b32 s16, s16
                                        ; implicit-def: $sgpr18
	s_delay_alu instid0(SALU_CYCLE_1)
	s_xor_b32 exec_lo, exec_lo, s16
	s_cbranch_execz .LBB80_360
.LBB80_527:
	v_add_f32_e64 v3, 0x42800000, |v2|
	s_and_not1_b32 s2, s2, exec_lo
	s_mov_b32 s18, 0
	s_delay_alu instid0(VALU_DEP_1) | instskip(NEXT) | instid1(VALU_DEP_1)
	v_and_b32_e32 v3, 0xff, v3
	v_cmp_ne_u32_e32 vcc_lo, 0, v3
	s_and_b32 s19, vcc_lo, exec_lo
	s_delay_alu instid0(SALU_CYCLE_1)
	s_or_b32 s2, s2, s19
	s_or_b32 exec_lo, exec_lo, s16
	v_mov_b32_e32 v7, s18
	s_and_saveexec_b32 s16, s2
	s_cbranch_execnz .LBB80_361
	s_branch .LBB80_362
.LBB80_528:
	s_mov_b32 s19, -1
	s_mov_b32 s0, 0
.LBB80_529:
                                        ; implicit-def: $vgpr2_vgpr3
.LBB80_530:
	s_and_b32 vcc_lo, exec_lo, s1
	s_cbranch_vccz .LBB80_534
; %bb.531:
	v_cmp_eq_u16_e32 vcc_lo, 44, v12
	s_cbranch_vccz .LBB80_533
; %bb.532:
	global_load_u8 v4, v[0:1], off
	s_mov_b32 s19, 0
	s_mov_b32 s0, -1
	s_waitcnt vmcnt(0)
	v_cmp_ne_u32_e32 vcc_lo, 0xff, v4
	v_lshlrev_b32_e32 v2, 23, v4
	s_delay_alu instid0(VALU_DEP_1) | instskip(NEXT) | instid1(VALU_DEP_1)
	v_cvt_f64_f32_e32 v[2:3], v2
	v_cndmask_b32_e32 v3, 0x7ff80000, v3, vcc_lo
	s_delay_alu instid0(VALU_DEP_2) | instskip(SKIP_1) | instid1(VALU_DEP_3)
	v_cndmask_b32_e32 v2, 0x20000000, v2, vcc_lo
	v_cmp_ne_u32_e32 vcc_lo, 0, v4
	v_cndmask_b32_e32 v3, 0x38000000, v3, vcc_lo
	s_delay_alu instid0(VALU_DEP_3)
	v_cndmask_b32_e32 v2, 0, v2, vcc_lo
	s_branch .LBB80_534
.LBB80_533:
	s_mov_b32 s19, -1
                                        ; implicit-def: $vgpr2_vgpr3
.LBB80_534:
	s_mov_b32 s1, 0
.LBB80_535:
	s_delay_alu instid0(SALU_CYCLE_1)
	s_and_b32 vcc_lo, exec_lo, s1
	s_cbranch_vccz .LBB80_539
; %bb.536:
	v_cmp_eq_u16_e32 vcc_lo, 29, v12
	s_cbranch_vccz .LBB80_538
; %bb.537:
	global_load_b64 v[2:3], v[0:1], off
	s_mov_b32 s0, -1
	s_mov_b32 s19, 0
	s_mov_b32 s1, 0
	s_waitcnt vmcnt(0)
	v_cvt_f64_u32_e32 v[3:4], v3
	v_cvt_f64_u32_e32 v[5:6], v2
	s_delay_alu instid0(VALU_DEP_2) | instskip(NEXT) | instid1(VALU_DEP_1)
	v_ldexp_f64 v[3:4], v[3:4], 32
	v_add_f64 v[2:3], v[3:4], v[5:6]
	s_branch .LBB80_540
.LBB80_538:
	s_mov_b32 s19, -1
                                        ; implicit-def: $vgpr2_vgpr3
.LBB80_539:
	s_mov_b32 s1, 0
.LBB80_540:
	s_delay_alu instid0(SALU_CYCLE_1)
	s_and_b32 vcc_lo, exec_lo, s1
	s_cbranch_vccz .LBB80_560
; %bb.541:
	v_cmp_gt_i16_e32 vcc_lo, 27, v12
	s_cbranch_vccnz .LBB80_544
; %bb.542:
	v_cmp_lt_i16_e32 vcc_lo, 27, v12
	s_cbranch_vccz .LBB80_545
; %bb.543:
	global_load_b32 v2, v[0:1], off
	s_mov_b32 s0, 0
	s_waitcnt vmcnt(0)
	v_cvt_f64_u32_e32 v[2:3], v2
	s_branch .LBB80_546
.LBB80_544:
	s_mov_b32 s0, -1
                                        ; implicit-def: $vgpr2_vgpr3
	s_branch .LBB80_549
.LBB80_545:
	s_mov_b32 s0, -1
                                        ; implicit-def: $vgpr2_vgpr3
.LBB80_546:
	s_delay_alu instid0(SALU_CYCLE_1)
	s_and_not1_b32 vcc_lo, exec_lo, s0
	s_cbranch_vccnz .LBB80_548
; %bb.547:
	global_load_u16 v2, v[0:1], off
	s_waitcnt vmcnt(0)
	v_cvt_f64_u32_e32 v[2:3], v2
.LBB80_548:
	s_mov_b32 s0, 0
.LBB80_549:
	s_delay_alu instid0(SALU_CYCLE_1)
	s_and_not1_b32 vcc_lo, exec_lo, s0
	s_cbranch_vccnz .LBB80_559
; %bb.550:
	global_load_u8 v4, v[0:1], off
	s_mov_b32 s2, 0
	s_mov_b32 s20, exec_lo
                                        ; implicit-def: $sgpr0_sgpr1
	s_waitcnt vmcnt(0)
	v_cmpx_lt_i16_e32 0x7f, v4
	s_xor_b32 s20, exec_lo, s20
	s_cbranch_execz .LBB80_554
; %bb.551:
	s_mov_b32 s21, -1
	s_mov_b32 s2, exec_lo
                                        ; implicit-def: $sgpr0_sgpr1
	v_cmpx_eq_u16_e32 0x80, v4
; %bb.552:
	s_mov_b32 s1, 0x7ff80000
	s_brev_b32 s0, 4
	s_xor_b32 s21, exec_lo, -1
; %bb.553:
	s_or_b32 exec_lo, exec_lo, s2
	s_delay_alu instid0(SALU_CYCLE_1)
	s_and_b32 s2, s21, exec_lo
.LBB80_554:
	s_or_saveexec_b32 s20, s20
	v_dual_mov_b32 v3, s1 :: v_dual_mov_b32 v2, s0
	s_xor_b32 exec_lo, exec_lo, s20
; %bb.555:
	v_cmp_ne_u16_e32 vcc_lo, 0, v4
	v_mov_b32_e32 v2, 0
	v_mov_b32_e32 v3, 0
	s_and_not1_b32 s0, s2, exec_lo
	s_and_b32 s1, vcc_lo, exec_lo
	s_delay_alu instid0(SALU_CYCLE_1)
	s_or_b32 s2, s0, s1
; %bb.556:
	s_or_b32 exec_lo, exec_lo, s20
	s_and_saveexec_b32 s0, s2
	s_cbranch_execz .LBB80_558
; %bb.557:
	v_and_b32_e32 v2, 0xffff, v4
	v_lshlrev_b32_e32 v4, 24, v4
	s_delay_alu instid0(VALU_DEP_2) | instskip(NEXT) | instid1(VALU_DEP_2)
	v_and_b32_e32 v3, 7, v2
	v_and_b32_e32 v4, 0x80000000, v4
	s_delay_alu instid0(VALU_DEP_2) | instskip(NEXT) | instid1(VALU_DEP_1)
	v_clz_i32_u32_e32 v5, v3
	v_min_u32_e32 v5, 32, v5
	s_delay_alu instid0(VALU_DEP_1) | instskip(SKIP_1) | instid1(VALU_DEP_2)
	v_subrev_nc_u32_e32 v6, 28, v5
	v_sub_nc_u32_e32 v5, 29, v5
	v_lshlrev_b32_e32 v6, v6, v2
	v_bfe_u32 v2, v2, 3, 4
	s_delay_alu instid0(VALU_DEP_2) | instskip(NEXT) | instid1(VALU_DEP_2)
	v_and_b32_e32 v6, 7, v6
	v_cmp_eq_u32_e32 vcc_lo, 0, v2
	s_delay_alu instid0(VALU_DEP_2) | instskip(NEXT) | instid1(VALU_DEP_1)
	v_dual_cndmask_b32 v2, v2, v5 :: v_dual_cndmask_b32 v3, v3, v6
	v_lshl_add_u32 v2, v2, 23, 0x3b800000
	s_delay_alu instid0(VALU_DEP_2) | instskip(NEXT) | instid1(VALU_DEP_1)
	v_lshlrev_b32_e32 v3, 20, v3
	v_or3_b32 v2, v4, v2, v3
	s_delay_alu instid0(VALU_DEP_1)
	v_cvt_f64_f32_e32 v[2:3], v2
.LBB80_558:
	s_or_b32 exec_lo, exec_lo, s0
.LBB80_559:
	s_mov_b32 s0, -1
.LBB80_560:
	s_mov_b32 s1, 0
.LBB80_561:
	s_delay_alu instid0(SALU_CYCLE_1)
	s_and_b32 vcc_lo, exec_lo, s1
	s_cbranch_vccz .LBB80_594
; %bb.562:
	v_cmp_lt_i16_e32 vcc_lo, 22, v12
	s_cbranch_vccz .LBB80_574
; %bb.563:
	v_cmp_gt_i16_e32 vcc_lo, 24, v12
	s_cbranch_vccnz .LBB80_575
; %bb.564:
	v_cmp_lt_i16_e32 vcc_lo, 24, v12
	s_cbranch_vccz .LBB80_576
; %bb.565:
	global_load_u8 v4, v[0:1], off
	s_mov_b32 s2, 0
	s_mov_b32 s20, exec_lo
                                        ; implicit-def: $sgpr0_sgpr1
	s_waitcnt vmcnt(0)
	v_cmpx_lt_i16_e32 0x7f, v4
	s_xor_b32 s20, exec_lo, s20
	s_cbranch_execz .LBB80_569
; %bb.566:
	s_mov_b32 s21, -1
	s_mov_b32 s2, exec_lo
                                        ; implicit-def: $sgpr0_sgpr1
	v_cmpx_eq_u16_e32 0x80, v4
; %bb.567:
	s_mov_b32 s1, 0x7ff80000
	s_brev_b32 s0, 4
	s_xor_b32 s21, exec_lo, -1
; %bb.568:
	s_or_b32 exec_lo, exec_lo, s2
	s_delay_alu instid0(SALU_CYCLE_1)
	s_and_b32 s2, s21, exec_lo
.LBB80_569:
	s_or_saveexec_b32 s20, s20
	v_dual_mov_b32 v3, s1 :: v_dual_mov_b32 v2, s0
	s_xor_b32 exec_lo, exec_lo, s20
; %bb.570:
	v_cmp_ne_u16_e32 vcc_lo, 0, v4
	v_mov_b32_e32 v2, 0
	v_mov_b32_e32 v3, 0
	s_and_not1_b32 s0, s2, exec_lo
	s_and_b32 s1, vcc_lo, exec_lo
	s_delay_alu instid0(SALU_CYCLE_1)
	s_or_b32 s2, s0, s1
; %bb.571:
	s_or_b32 exec_lo, exec_lo, s20
	s_and_saveexec_b32 s0, s2
	s_cbranch_execz .LBB80_573
; %bb.572:
	v_and_b32_e32 v2, 0xffff, v4
	v_lshlrev_b32_e32 v4, 24, v4
	s_delay_alu instid0(VALU_DEP_2) | instskip(NEXT) | instid1(VALU_DEP_2)
	v_and_b32_e32 v3, 3, v2
	v_and_b32_e32 v4, 0x80000000, v4
	s_delay_alu instid0(VALU_DEP_2) | instskip(NEXT) | instid1(VALU_DEP_1)
	v_clz_i32_u32_e32 v5, v3
	v_min_u32_e32 v5, 32, v5
	s_delay_alu instid0(VALU_DEP_1) | instskip(SKIP_1) | instid1(VALU_DEP_2)
	v_subrev_nc_u32_e32 v6, 29, v5
	v_sub_nc_u32_e32 v5, 30, v5
	v_lshlrev_b32_e32 v6, v6, v2
	v_bfe_u32 v2, v2, 2, 5
	s_delay_alu instid0(VALU_DEP_2) | instskip(NEXT) | instid1(VALU_DEP_2)
	v_and_b32_e32 v6, 3, v6
	v_cmp_eq_u32_e32 vcc_lo, 0, v2
	s_delay_alu instid0(VALU_DEP_2) | instskip(NEXT) | instid1(VALU_DEP_1)
	v_dual_cndmask_b32 v2, v2, v5 :: v_dual_cndmask_b32 v3, v3, v6
	v_lshl_add_u32 v2, v2, 23, 0x37800000
	s_delay_alu instid0(VALU_DEP_2) | instskip(NEXT) | instid1(VALU_DEP_1)
	v_lshlrev_b32_e32 v3, 21, v3
	v_or3_b32 v2, v4, v2, v3
	s_delay_alu instid0(VALU_DEP_1)
	v_cvt_f64_f32_e32 v[2:3], v2
.LBB80_573:
	s_or_b32 exec_lo, exec_lo, s0
	s_mov_b32 s0, 0
	s_branch .LBB80_577
.LBB80_574:
	s_mov_b32 s1, -1
                                        ; implicit-def: $vgpr2_vgpr3
	s_branch .LBB80_583
.LBB80_575:
	s_mov_b32 s0, -1
                                        ; implicit-def: $vgpr2_vgpr3
	s_branch .LBB80_580
.LBB80_576:
	s_mov_b32 s0, -1
                                        ; implicit-def: $vgpr2_vgpr3
.LBB80_577:
	s_delay_alu instid0(SALU_CYCLE_1)
	s_and_b32 vcc_lo, exec_lo, s0
	s_cbranch_vccz .LBB80_579
; %bb.578:
	global_load_u8 v2, v[0:1], off
	s_waitcnt vmcnt(0)
	v_lshlrev_b32_e32 v2, 24, v2
	s_delay_alu instid0(VALU_DEP_1) | instskip(NEXT) | instid1(VALU_DEP_1)
	v_and_b32_e32 v3, 0x7f000000, v2
	v_clz_i32_u32_e32 v4, v3
	v_add_nc_u32_e32 v6, 0x1000000, v3
	v_cmp_ne_u32_e32 vcc_lo, 0, v3
	s_delay_alu instid0(VALU_DEP_3) | instskip(NEXT) | instid1(VALU_DEP_1)
	v_min_u32_e32 v4, 32, v4
	v_sub_nc_u32_e64 v4, v4, 4 clamp
	s_delay_alu instid0(VALU_DEP_1) | instskip(SKIP_1) | instid1(VALU_DEP_2)
	v_lshlrev_b32_e32 v5, v4, v3
	v_lshlrev_b32_e32 v4, 23, v4
	v_lshrrev_b32_e32 v5, 4, v5
	s_delay_alu instid0(VALU_DEP_1) | instskip(SKIP_1) | instid1(VALU_DEP_2)
	v_sub_nc_u32_e32 v4, v5, v4
	v_ashrrev_i32_e32 v5, 8, v6
	v_add_nc_u32_e32 v4, 0x3c000000, v4
	s_delay_alu instid0(VALU_DEP_1) | instskip(NEXT) | instid1(VALU_DEP_1)
	v_and_or_b32 v4, 0x7f800000, v5, v4
	v_cndmask_b32_e32 v3, 0, v4, vcc_lo
	s_delay_alu instid0(VALU_DEP_1) | instskip(NEXT) | instid1(VALU_DEP_1)
	v_and_or_b32 v2, 0x80000000, v2, v3
	v_cvt_f64_f32_e32 v[2:3], v2
.LBB80_579:
	s_mov_b32 s0, 0
.LBB80_580:
	s_delay_alu instid0(SALU_CYCLE_1)
	s_and_not1_b32 vcc_lo, exec_lo, s0
	s_cbranch_vccnz .LBB80_582
; %bb.581:
	global_load_u8 v2, v[0:1], off
	s_waitcnt vmcnt(0)
	v_lshlrev_b32_e32 v3, 25, v2
	v_lshlrev_b16 v2, 8, v2
	s_delay_alu instid0(VALU_DEP_2) | instskip(NEXT) | instid1(VALU_DEP_2)
	v_lshrrev_b32_e32 v4, 4, v3
	v_and_or_b32 v5, 0x7f00, v2, 0.5
	v_bfe_i32 v2, v2, 0, 16
	s_delay_alu instid0(VALU_DEP_3) | instskip(NEXT) | instid1(VALU_DEP_1)
	v_or_b32_e32 v4, 0x70000000, v4
	v_dual_add_f32 v5, -0.5, v5 :: v_dual_mul_f32 v4, 0x7800000, v4
	v_cmp_gt_u32_e32 vcc_lo, 0x8000000, v3
	s_delay_alu instid0(VALU_DEP_2) | instskip(NEXT) | instid1(VALU_DEP_1)
	v_cndmask_b32_e32 v3, v4, v5, vcc_lo
	v_and_or_b32 v2, 0x80000000, v2, v3
	s_delay_alu instid0(VALU_DEP_1)
	v_cvt_f64_f32_e32 v[2:3], v2
.LBB80_582:
	s_mov_b32 s1, 0
	s_mov_b32 s0, -1
.LBB80_583:
	s_and_not1_b32 vcc_lo, exec_lo, s1
	s_cbranch_vccnz .LBB80_594
; %bb.584:
	v_cmp_lt_i16_e32 vcc_lo, 14, v12
	s_cbranch_vccz .LBB80_587
; %bb.585:
	v_cmp_eq_u16_e32 vcc_lo, 15, v12
	s_cbranch_vccz .LBB80_588
; %bb.586:
	global_load_u16 v2, v[0:1], off
	s_mov_b32 s0, -1
	s_mov_b32 s19, 0
	s_waitcnt vmcnt(0)
	v_lshlrev_b32_e32 v2, 16, v2
	s_delay_alu instid0(VALU_DEP_1)
	v_cvt_f64_f32_e32 v[2:3], v2
	s_branch .LBB80_589
.LBB80_587:
	s_mov_b32 s1, -1
                                        ; implicit-def: $vgpr2_vgpr3
	s_branch .LBB80_590
.LBB80_588:
	s_mov_b32 s19, -1
                                        ; implicit-def: $vgpr2_vgpr3
.LBB80_589:
	s_mov_b32 s1, 0
.LBB80_590:
	s_delay_alu instid0(SALU_CYCLE_1)
	s_and_b32 vcc_lo, exec_lo, s1
	s_cbranch_vccz .LBB80_594
; %bb.591:
	v_cmp_eq_u16_e32 vcc_lo, 11, v12
	s_cbranch_vccz .LBB80_593
; %bb.592:
	global_load_u8 v2, v[0:1], off
	s_mov_b32 s19, 0
	s_mov_b32 s0, -1
	s_waitcnt vmcnt(0)
	v_cmp_ne_u16_e32 vcc_lo, 0, v2
	v_mov_b32_e32 v2, 0
	v_cndmask_b32_e64 v3, 0, 0x3ff00000, vcc_lo
	s_branch .LBB80_594
.LBB80_593:
	s_mov_b32 s19, -1
                                        ; implicit-def: $vgpr2_vgpr3
.LBB80_594:
	s_mov_b32 s1, 0
.LBB80_595:
	s_delay_alu instid0(SALU_CYCLE_1)
	s_and_b32 vcc_lo, exec_lo, s1
	s_cbranch_vccz .LBB80_644
; %bb.596:
	v_cmp_gt_i16_e32 vcc_lo, 5, v12
	s_cbranch_vccnz .LBB80_601
; %bb.597:
	v_cmp_gt_i16_e32 vcc_lo, 8, v12
	s_cbranch_vccnz .LBB80_602
	;; [unrolled: 3-line block ×3, first 2 shown]
; %bb.599:
	v_cmp_lt_i16_e32 vcc_lo, 9, v12
	s_cbranch_vccz .LBB80_604
; %bb.600:
	global_load_b64 v[2:3], v[0:1], off
	s_mov_b32 s0, 0
	s_branch .LBB80_605
.LBB80_601:
	s_mov_b32 s0, -1
                                        ; implicit-def: $vgpr2_vgpr3
	s_branch .LBB80_623
.LBB80_602:
	s_mov_b32 s0, -1
                                        ; implicit-def: $vgpr2_vgpr3
	s_branch .LBB80_611
.LBB80_603:
	s_mov_b32 s0, -1
                                        ; implicit-def: $vgpr2_vgpr3
	s_branch .LBB80_608
.LBB80_604:
	s_mov_b32 s0, -1
                                        ; implicit-def: $vgpr2_vgpr3
.LBB80_605:
	s_delay_alu instid0(SALU_CYCLE_1)
	s_and_not1_b32 vcc_lo, exec_lo, s0
	s_cbranch_vccnz .LBB80_607
; %bb.606:
	global_load_b32 v2, v[0:1], off
	s_waitcnt vmcnt(0)
	v_cvt_f64_f32_e32 v[2:3], v2
.LBB80_607:
	s_mov_b32 s0, 0
.LBB80_608:
	s_delay_alu instid0(SALU_CYCLE_1)
	s_and_not1_b32 vcc_lo, exec_lo, s0
	s_cbranch_vccnz .LBB80_610
; %bb.609:
	global_load_b32 v2, v[0:1], off
	s_waitcnt vmcnt(0)
	v_cvt_f32_f16_e32 v2, v2
	s_delay_alu instid0(VALU_DEP_1)
	v_cvt_f64_f32_e32 v[2:3], v2
.LBB80_610:
	s_mov_b32 s0, 0
.LBB80_611:
	s_delay_alu instid0(SALU_CYCLE_1)
	s_and_not1_b32 vcc_lo, exec_lo, s0
	s_cbranch_vccnz .LBB80_622
; %bb.612:
	v_cmp_gt_i16_e32 vcc_lo, 6, v12
	s_cbranch_vccnz .LBB80_615
; %bb.613:
	v_cmp_lt_i16_e32 vcc_lo, 6, v12
	s_cbranch_vccz .LBB80_616
; %bb.614:
	global_load_b64 v[2:3], v[0:1], off
	s_mov_b32 s0, 0
	s_branch .LBB80_617
.LBB80_615:
	s_mov_b32 s0, -1
                                        ; implicit-def: $vgpr2_vgpr3
	s_branch .LBB80_620
.LBB80_616:
	s_mov_b32 s0, -1
                                        ; implicit-def: $vgpr2_vgpr3
.LBB80_617:
	s_delay_alu instid0(SALU_CYCLE_1)
	s_and_not1_b32 vcc_lo, exec_lo, s0
	s_cbranch_vccnz .LBB80_619
; %bb.618:
	global_load_b32 v2, v[0:1], off
	s_waitcnt vmcnt(0)
	v_cvt_f64_f32_e32 v[2:3], v2
.LBB80_619:
	s_mov_b32 s0, 0
.LBB80_620:
	s_delay_alu instid0(SALU_CYCLE_1)
	s_and_not1_b32 vcc_lo, exec_lo, s0
	s_cbranch_vccnz .LBB80_622
; %bb.621:
	global_load_u16 v2, v[0:1], off
	s_waitcnt vmcnt(0)
	v_cvt_f32_f16_e32 v2, v2
	s_delay_alu instid0(VALU_DEP_1)
	v_cvt_f64_f32_e32 v[2:3], v2
.LBB80_622:
	s_mov_b32 s0, 0
.LBB80_623:
	s_delay_alu instid0(SALU_CYCLE_1)
	s_and_not1_b32 vcc_lo, exec_lo, s0
	s_cbranch_vccnz .LBB80_643
; %bb.624:
	v_cmp_gt_i16_e32 vcc_lo, 2, v12
	s_cbranch_vccnz .LBB80_628
; %bb.625:
	v_cmp_gt_i16_e32 vcc_lo, 3, v12
	s_cbranch_vccnz .LBB80_629
; %bb.626:
	v_cmp_lt_i16_e32 vcc_lo, 3, v12
	s_cbranch_vccz .LBB80_630
; %bb.627:
	global_load_b64 v[2:3], v[0:1], off
	s_mov_b32 s0, 0
	s_waitcnt vmcnt(0)
	v_cvt_f64_i32_e32 v[3:4], v3
	v_cvt_f64_u32_e32 v[5:6], v2
	s_delay_alu instid0(VALU_DEP_2) | instskip(NEXT) | instid1(VALU_DEP_1)
	v_ldexp_f64 v[3:4], v[3:4], 32
	v_add_f64 v[2:3], v[3:4], v[5:6]
	s_branch .LBB80_631
.LBB80_628:
	s_mov_b32 s0, -1
                                        ; implicit-def: $vgpr2_vgpr3
	s_branch .LBB80_637
.LBB80_629:
	s_mov_b32 s0, -1
                                        ; implicit-def: $vgpr2_vgpr3
	s_branch .LBB80_634
.LBB80_630:
	s_mov_b32 s0, -1
                                        ; implicit-def: $vgpr2_vgpr3
.LBB80_631:
	s_delay_alu instid0(SALU_CYCLE_1)
	s_and_not1_b32 vcc_lo, exec_lo, s0
	s_cbranch_vccnz .LBB80_633
; %bb.632:
	global_load_b32 v2, v[0:1], off
	s_waitcnt vmcnt(0)
	v_cvt_f64_i32_e32 v[2:3], v2
.LBB80_633:
	s_mov_b32 s0, 0
.LBB80_634:
	s_delay_alu instid0(SALU_CYCLE_1)
	s_and_not1_b32 vcc_lo, exec_lo, s0
	s_cbranch_vccnz .LBB80_636
; %bb.635:
	global_load_i16 v2, v[0:1], off
	s_waitcnt vmcnt(0)
	v_cvt_f64_i32_e32 v[2:3], v2
.LBB80_636:
	s_mov_b32 s0, 0
.LBB80_637:
	s_delay_alu instid0(SALU_CYCLE_1)
	s_and_not1_b32 vcc_lo, exec_lo, s0
	s_cbranch_vccnz .LBB80_643
; %bb.638:
	v_cmp_lt_i16_e32 vcc_lo, 0, v12
	s_mov_b32 s0, 0
	s_cbranch_vccz .LBB80_640
; %bb.639:
	global_load_i8 v2, v[0:1], off
	s_waitcnt vmcnt(0)
	v_cvt_f64_i32_e32 v[2:3], v2
	s_branch .LBB80_641
.LBB80_640:
	s_mov_b32 s0, -1
                                        ; implicit-def: $vgpr2_vgpr3
.LBB80_641:
	s_delay_alu instid0(SALU_CYCLE_1)
	s_and_not1_b32 vcc_lo, exec_lo, s0
	s_cbranch_vccnz .LBB80_643
; %bb.642:
	global_load_u8 v0, v[0:1], off
	s_waitcnt vmcnt(0)
	v_cvt_f64_u32_e32 v[2:3], v0
.LBB80_643:
	s_mov_b32 s0, -1
.LBB80_644:
	s_delay_alu instid0(SALU_CYCLE_1)
	s_and_not1_b32 vcc_lo, exec_lo, s0
	s_cbranch_vccnz .LBB80_652
; %bb.645:
	s_mov_b32 s0, 0x652b82fe
	s_mov_b32 s1, 0x3ff71547
	;; [unrolled: 1-line block ×3, first 2 shown]
	s_waitcnt vmcnt(0)
	s_delay_alu instid0(VALU_DEP_1) | instskip(SKIP_4) | instid1(VALU_DEP_2)
	v_mul_f64 v[0:1], v[2:3], s[0:1]
	s_mov_b32 s0, 0xfefa39ef
	s_mov_b32 s1, 0xbfe62e42
	;; [unrolled: 1-line block ×3, first 2 shown]
	v_cmp_nlt_f64_e32 vcc_lo, 0x40900000, v[2:3]
	v_rndne_f64_e32 v[0:1], v[0:1]
	s_delay_alu instid0(VALU_DEP_1) | instskip(SKIP_3) | instid1(VALU_DEP_2)
	v_fma_f64 v[4:5], v[0:1], s[0:1], v[2:3]
	s_mov_b32 s0, 0x3b39803f
	s_mov_b32 s1, 0xbc7abc9e
	v_cvt_i32_f64_e32 v8, v[0:1]
	v_fma_f64 v[4:5], v[0:1], s[0:1], v[4:5]
	s_mov_b32 s0, 0xfca7ab0c
	s_mov_b32 s1, 0x3e928af3
	s_delay_alu instid0(VALU_DEP_1) | instid1(SALU_CYCLE_1)
	v_fma_f64 v[6:7], v[4:5], s[20:21], s[0:1]
	s_mov_b32 s0, 0x623fde64
	s_mov_b32 s1, 0x3ec71dee
	;; [unrolled: 1-line block ×3, first 2 shown]
	s_mov_b32 s21, -1
	s_delay_alu instid0(VALU_DEP_1)
	v_fma_f64 v[6:7], v[4:5], v[6:7], s[0:1]
	s_mov_b32 s0, 0x7c89e6b0
	s_mov_b32 s1, 0x3efa0199
	s_delay_alu instid0(VALU_DEP_1) | instid1(SALU_CYCLE_1)
	v_fma_f64 v[6:7], v[4:5], v[6:7], s[0:1]
	s_mov_b32 s0, 0x14761f6e
	s_mov_b32 s1, 0x3f2a01a0
	s_delay_alu instid0(VALU_DEP_1) | instid1(SALU_CYCLE_1)
	;; [unrolled: 4-line block ×7, first 2 shown]
	v_fma_f64 v[6:7], v[4:5], v[6:7], s[0:1]
	v_cmp_ngt_f64_e64 s0, 0xc090cc00, v[2:3]
	v_mul_lo_u32 v2, v11, s8
	s_delay_alu instid0(VALU_DEP_1) | instskip(NEXT) | instid1(VALU_DEP_4)
	v_ashrrev_i32_e32 v3, 31, v2
	v_fma_f64 v[6:7], v[4:5], v[6:7], 1.0
	s_delay_alu instid0(VALU_DEP_1) | instskip(SKIP_2) | instid1(VALU_DEP_1)
	v_fma_f64 v[0:1], v[4:5], v[6:7], 1.0
	v_and_b32_e32 v6, 0xff, v10
	v_add_co_u32 v4, s2, s4, v2
	v_add_co_ci_u32_e64 v5, s2, s5, v3, s2
	s_delay_alu instid0(VALU_DEP_3) | instskip(SKIP_1) | instid1(VALU_DEP_1)
	v_cmp_gt_i16_e64 s1, 11, v6
	v_ldexp_f64 v[0:1], v[0:1], v8
	v_cndmask_b32_e32 v1, 0x7ff00000, v1, vcc_lo
	s_and_b32 vcc_lo, s0, vcc_lo
	s_delay_alu instid0(VALU_DEP_2) | instskip(SKIP_1) | instid1(VALU_DEP_2)
	v_cndmask_b32_e32 v0, 0, v0, vcc_lo
	s_and_b32 vcc_lo, exec_lo, s1
	v_cndmask_b32_e64 v1, 0, v1, s0
	s_mov_b32 s0, s16
	s_cbranch_vccnz .LBB80_653
; %bb.646:
	v_cmp_lt_i16_e32 vcc_lo, 25, v6
	s_cbranch_vccz .LBB80_694
; %bb.647:
	v_cmp_lt_i16_e32 vcc_lo, 28, v6
	s_cbranch_vccz .LBB80_695
	;; [unrolled: 3-line block ×4, first 2 shown]
; %bb.650:
	v_cmp_eq_u16_e32 vcc_lo, 46, v6
	s_mov_b32 s1, 0
	s_mov_b32 s0, -1
	s_cbranch_vccz .LBB80_698
; %bb.651:
	v_cvt_f32_f64_e32 v2, v[0:1]
	s_mov_b32 s20, -1
	s_mov_b32 s0, 0
	s_delay_alu instid0(VALU_DEP_1) | instskip(SKIP_1) | instid1(VALU_DEP_2)
	v_bfe_u32 v3, v2, 16, 1
	v_cmp_o_f32_e32 vcc_lo, v2, v2
	v_add3_u32 v3, v2, v3, 0x7fff
	s_delay_alu instid0(VALU_DEP_1) | instskip(NEXT) | instid1(VALU_DEP_1)
	v_lshrrev_b32_e32 v3, 16, v3
	v_cndmask_b32_e32 v2, 0x7fc0, v3, vcc_lo
	global_store_b32 v[4:5], v2, off
	s_branch .LBB80_698
.LBB80_652:
	s_mov_b32 s1, 0
	s_mov_b32 s0, s16
	s_branch .LBB80_693
.LBB80_653:
	s_and_b32 vcc_lo, exec_lo, s21
	s_cbranch_vccz .LBB80_767
; %bb.654:
	v_cmp_gt_i16_e32 vcc_lo, 5, v6
	s_mov_b32 s1, -1
	s_cbranch_vccnz .LBB80_675
; %bb.655:
	v_cmp_gt_i16_e32 vcc_lo, 8, v6
	s_cbranch_vccnz .LBB80_665
; %bb.656:
	v_cmp_gt_i16_e32 vcc_lo, 9, v6
	s_cbranch_vccnz .LBB80_662
; %bb.657:
	v_cmp_lt_i16_e32 vcc_lo, 9, v6
	s_cbranch_vccz .LBB80_659
; %bb.658:
	v_mov_b32_e32 v2, 0
	s_mov_b32 s1, 0
	s_delay_alu instid0(VALU_DEP_1)
	v_mov_b32_e32 v3, v2
	global_store_b128 v[4:5], v[0:3], off
.LBB80_659:
	s_and_not1_b32 vcc_lo, exec_lo, s1
	s_cbranch_vccnz .LBB80_661
; %bb.660:
	v_cvt_f32_f64_e32 v2, v[0:1]
	v_mov_b32_e32 v3, 0
	global_store_b64 v[4:5], v[2:3], off
.LBB80_661:
	s_mov_b32 s1, 0
.LBB80_662:
	s_delay_alu instid0(SALU_CYCLE_1)
	s_and_not1_b32 vcc_lo, exec_lo, s1
	s_cbranch_vccnz .LBB80_664
; %bb.663:
	v_cvt_f32_f64_e32 v2, v[0:1]
	s_delay_alu instid0(VALU_DEP_1) | instskip(NEXT) | instid1(VALU_DEP_1)
	v_cvt_f16_f32_e32 v2, v2
	v_and_b32_e32 v2, 0xffff, v2
	global_store_b32 v[4:5], v2, off
.LBB80_664:
	s_mov_b32 s1, 0
.LBB80_665:
	s_delay_alu instid0(SALU_CYCLE_1)
	s_and_not1_b32 vcc_lo, exec_lo, s1
	s_cbranch_vccnz .LBB80_674
; %bb.666:
	v_cmp_gt_i16_e32 vcc_lo, 6, v6
	s_mov_b32 s1, -1
	s_cbranch_vccnz .LBB80_672
; %bb.667:
	v_cmp_lt_i16_e32 vcc_lo, 6, v6
	s_cbranch_vccz .LBB80_669
; %bb.668:
	s_mov_b32 s1, 0
	global_store_b64 v[4:5], v[0:1], off
.LBB80_669:
	s_and_not1_b32 vcc_lo, exec_lo, s1
	s_cbranch_vccnz .LBB80_671
; %bb.670:
	v_cvt_f32_f64_e32 v2, v[0:1]
	global_store_b32 v[4:5], v2, off
.LBB80_671:
	s_mov_b32 s1, 0
.LBB80_672:
	s_delay_alu instid0(SALU_CYCLE_1)
	s_and_not1_b32 vcc_lo, exec_lo, s1
	s_cbranch_vccnz .LBB80_674
; %bb.673:
	v_cvt_f32_f64_e32 v2, v[0:1]
	s_delay_alu instid0(VALU_DEP_1)
	v_cvt_f16_f32_e32 v2, v2
	global_store_b16 v[4:5], v2, off
.LBB80_674:
	s_mov_b32 s1, 0
.LBB80_675:
	s_delay_alu instid0(SALU_CYCLE_1)
	s_and_not1_b32 vcc_lo, exec_lo, s1
	s_cbranch_vccnz .LBB80_691
; %bb.676:
	v_cmp_gt_i16_e32 vcc_lo, 2, v6
	s_mov_b32 s1, -1
	s_cbranch_vccnz .LBB80_686
; %bb.677:
	v_cmp_gt_i16_e32 vcc_lo, 3, v6
	s_cbranch_vccnz .LBB80_683
; %bb.678:
	v_cmp_lt_i16_e32 vcc_lo, 3, v6
	s_cbranch_vccz .LBB80_680
; %bb.679:
	v_trunc_f64_e32 v[2:3], v[0:1]
	s_mov_b32 s1, 0
	s_delay_alu instid0(VALU_DEP_1) | instskip(NEXT) | instid1(VALU_DEP_1)
	v_ldexp_f64 v[7:8], v[2:3], 0xffffffe0
	v_floor_f64_e32 v[7:8], v[7:8]
	s_delay_alu instid0(VALU_DEP_1) | instskip(SKIP_1) | instid1(VALU_DEP_2)
	v_fma_f64 v[2:3], 0xc1f00000, v[7:8], v[2:3]
	v_cvt_i32_f64_e32 v8, v[7:8]
	v_cvt_u32_f64_e32 v7, v[2:3]
	global_store_b64 v[4:5], v[7:8], off
.LBB80_680:
	s_and_not1_b32 vcc_lo, exec_lo, s1
	s_cbranch_vccnz .LBB80_682
; %bb.681:
	v_cvt_i32_f64_e32 v2, v[0:1]
	global_store_b32 v[4:5], v2, off
.LBB80_682:
	s_mov_b32 s1, 0
.LBB80_683:
	s_delay_alu instid0(SALU_CYCLE_1)
	s_and_not1_b32 vcc_lo, exec_lo, s1
	s_cbranch_vccnz .LBB80_685
; %bb.684:
	v_cvt_i32_f64_e32 v2, v[0:1]
	global_store_b16 v[4:5], v2, off
.LBB80_685:
	s_mov_b32 s1, 0
.LBB80_686:
	s_delay_alu instid0(SALU_CYCLE_1)
	s_and_not1_b32 vcc_lo, exec_lo, s1
	s_cbranch_vccnz .LBB80_691
; %bb.687:
	v_cmp_lt_i16_e32 vcc_lo, 0, v6
	s_mov_b32 s1, -1
	s_cbranch_vccz .LBB80_689
; %bb.688:
	v_cvt_i32_f64_e32 v2, v[0:1]
	s_mov_b32 s1, 0
	global_store_b8 v[4:5], v2, off
.LBB80_689:
	s_and_not1_b32 vcc_lo, exec_lo, s1
	s_cbranch_vccnz .LBB80_691
; %bb.690:
	v_trunc_f64_e32 v[0:1], v[0:1]
	s_delay_alu instid0(VALU_DEP_1) | instskip(NEXT) | instid1(VALU_DEP_1)
	v_ldexp_f64 v[2:3], v[0:1], 0xffffffe0
	v_floor_f64_e32 v[2:3], v[2:3]
	s_delay_alu instid0(VALU_DEP_1) | instskip(NEXT) | instid1(VALU_DEP_1)
	v_fma_f64 v[0:1], 0xc1f00000, v[2:3], v[0:1]
	v_cvt_u32_f64_e32 v0, v[0:1]
	global_store_b8 v[4:5], v0, off
.LBB80_691:
	s_branch .LBB80_768
.LBB80_692:
	s_mov_b32 s1, 0
.LBB80_693:
                                        ; implicit-def: $vgpr11
	s_branch .LBB80_769
.LBB80_694:
	s_mov_b32 s1, -1
	s_mov_b32 s0, s16
	s_branch .LBB80_725
.LBB80_695:
	s_mov_b32 s1, -1
	s_mov_b32 s0, s16
	s_branch .LBB80_708
.LBB80_696:
	s_mov_b32 s1, -1
	s_mov_b32 s0, s16
	s_branch .LBB80_704
.LBB80_697:
	s_mov_b32 s1, -1
	s_mov_b32 s0, s16
.LBB80_698:
	s_and_b32 vcc_lo, exec_lo, s1
	s_cbranch_vccz .LBB80_703
; %bb.699:
	v_cmp_eq_u16_e32 vcc_lo, 44, v6
	s_mov_b32 s0, -1
	s_cbranch_vccz .LBB80_703
; %bb.700:
	v_cvt_f32_f64_e32 v2, v[0:1]
	v_mov_b32_e32 v3, 0xff
	s_mov_b32 s1, exec_lo
	s_delay_alu instid0(VALU_DEP_2) | instskip(NEXT) | instid1(VALU_DEP_1)
	v_bfe_u32 v7, v2, 23, 8
	v_cmpx_ne_u32_e32 0xff, v7
; %bb.701:
	v_and_b32_e32 v3, 0x400000, v2
	v_and_or_b32 v7, 0x3fffff, v2, v7
	v_lshrrev_b32_e32 v2, 23, v2
	s_delay_alu instid0(VALU_DEP_3) | instskip(NEXT) | instid1(VALU_DEP_3)
	v_cmp_ne_u32_e32 vcc_lo, 0, v3
	v_cmp_ne_u32_e64 s0, 0, v7
	s_delay_alu instid0(VALU_DEP_1) | instskip(NEXT) | instid1(SALU_CYCLE_1)
	s_and_b32 s0, vcc_lo, s0
	v_cndmask_b32_e64 v3, 0, 1, s0
	s_delay_alu instid0(VALU_DEP_1)
	v_add_nc_u32_e32 v3, v2, v3
; %bb.702:
	s_or_b32 exec_lo, exec_lo, s1
	s_mov_b32 s20, -1
	s_mov_b32 s0, 0
	global_store_b8 v[4:5], v3, off
.LBB80_703:
	s_mov_b32 s1, 0
.LBB80_704:
	s_delay_alu instid0(SALU_CYCLE_1)
	s_and_b32 vcc_lo, exec_lo, s1
	s_cbranch_vccz .LBB80_707
; %bb.705:
	v_cmp_eq_u16_e32 vcc_lo, 29, v6
	s_mov_b32 s0, -1
	s_cbranch_vccz .LBB80_707
; %bb.706:
	v_trunc_f64_e32 v[2:3], v[0:1]
	s_mov_b32 s20, -1
	s_mov_b32 s0, 0
	s_mov_b32 s1, 0
	s_delay_alu instid0(VALU_DEP_1) | instskip(NEXT) | instid1(VALU_DEP_1)
	v_ldexp_f64 v[7:8], v[2:3], 0xffffffe0
	v_floor_f64_e32 v[7:8], v[7:8]
	s_delay_alu instid0(VALU_DEP_1) | instskip(SKIP_1) | instid1(VALU_DEP_2)
	v_fma_f64 v[2:3], 0xc1f00000, v[7:8], v[2:3]
	v_cvt_u32_f64_e32 v8, v[7:8]
	v_cvt_u32_f64_e32 v7, v[2:3]
	global_store_b64 v[4:5], v[7:8], off
	s_branch .LBB80_708
.LBB80_707:
	s_mov_b32 s1, 0
.LBB80_708:
	s_delay_alu instid0(SALU_CYCLE_1)
	s_and_b32 vcc_lo, exec_lo, s1
	s_cbranch_vccz .LBB80_724
; %bb.709:
	v_cmp_gt_i16_e32 vcc_lo, 27, v6
	s_mov_b32 s1, -1
	s_cbranch_vccnz .LBB80_715
; %bb.710:
	v_cmp_lt_i16_e32 vcc_lo, 27, v6
	s_cbranch_vccz .LBB80_712
; %bb.711:
	v_cvt_u32_f64_e32 v2, v[0:1]
	s_mov_b32 s1, 0
	global_store_b32 v[4:5], v2, off
.LBB80_712:
	s_and_not1_b32 vcc_lo, exec_lo, s1
	s_cbranch_vccnz .LBB80_714
; %bb.713:
	v_cvt_u32_f64_e32 v2, v[0:1]
	global_store_b16 v[4:5], v2, off
.LBB80_714:
	s_mov_b32 s1, 0
.LBB80_715:
	s_delay_alu instid0(SALU_CYCLE_1)
	s_and_not1_b32 vcc_lo, exec_lo, s1
	s_cbranch_vccnz .LBB80_723
; %bb.716:
	v_cvt_f32_f64_e32 v2, v[0:1]
	v_mov_b32_e32 v7, 0x80
	s_mov_b32 s1, exec_lo
	s_delay_alu instid0(VALU_DEP_2) | instskip(NEXT) | instid1(VALU_DEP_1)
	v_and_b32_e32 v3, 0x7fffffff, v2
	v_cmpx_gt_u32_e32 0x43800000, v3
	s_cbranch_execz .LBB80_722
; %bb.717:
	v_cmp_lt_u32_e32 vcc_lo, 0x3bffffff, v3
	s_mov_b32 s2, 0
                                        ; implicit-def: $vgpr3
	s_and_saveexec_b32 s20, vcc_lo
	s_delay_alu instid0(SALU_CYCLE_1)
	s_xor_b32 s20, exec_lo, s20
	s_cbranch_execz .LBB80_783
; %bb.718:
	v_bfe_u32 v3, v2, 20, 1
	s_mov_b32 s2, exec_lo
	s_delay_alu instid0(VALU_DEP_1) | instskip(NEXT) | instid1(VALU_DEP_1)
	v_add3_u32 v3, v2, v3, 0x487ffff
	v_lshrrev_b32_e32 v3, 20, v3
	s_or_saveexec_b32 s20, s20
                                        ; implicit-def: $sgpr21
	s_delay_alu instid0(SALU_CYCLE_1)
	s_xor_b32 exec_lo, exec_lo, s20
	s_cbranch_execnz .LBB80_784
.LBB80_719:
	s_or_b32 exec_lo, exec_lo, s20
	v_mov_b32_e32 v7, s21
	s_and_saveexec_b32 s20, s2
.LBB80_720:
	v_lshrrev_b32_e32 v2, 24, v2
	s_delay_alu instid0(VALU_DEP_1)
	v_and_or_b32 v7, 0x80, v2, v3
.LBB80_721:
	s_or_b32 exec_lo, exec_lo, s20
.LBB80_722:
	s_delay_alu instid0(SALU_CYCLE_1)
	s_or_b32 exec_lo, exec_lo, s1
	global_store_b8 v[4:5], v7, off
.LBB80_723:
	s_mov_b32 s20, -1
.LBB80_724:
	s_mov_b32 s1, 0
.LBB80_725:
	s_delay_alu instid0(SALU_CYCLE_1)
	s_and_b32 vcc_lo, exec_lo, s1
	s_cbranch_vccz .LBB80_766
; %bb.726:
	v_cmp_lt_i16_e32 vcc_lo, 22, v6
	s_mov_b32 s1, -1
	s_cbranch_vccz .LBB80_758
; %bb.727:
	v_cmp_gt_i16_e32 vcc_lo, 24, v6
	s_cbranch_vccnz .LBB80_747
; %bb.728:
	v_cmp_lt_i16_e32 vcc_lo, 24, v6
	s_cbranch_vccz .LBB80_736
; %bb.729:
	v_cvt_f32_f64_e32 v2, v[0:1]
	v_mov_b32_e32 v7, 0x80
	s_mov_b32 s1, exec_lo
	s_delay_alu instid0(VALU_DEP_2) | instskip(NEXT) | instid1(VALU_DEP_1)
	v_and_b32_e32 v3, 0x7fffffff, v2
	v_cmpx_gt_u32_e32 0x47800000, v3
	s_cbranch_execz .LBB80_735
; %bb.730:
	v_cmp_lt_u32_e32 vcc_lo, 0x37ffffff, v3
	s_mov_b32 s2, 0
                                        ; implicit-def: $vgpr3
	s_and_saveexec_b32 s20, vcc_lo
	s_delay_alu instid0(SALU_CYCLE_1)
	s_xor_b32 s20, exec_lo, s20
	s_cbranch_execz .LBB80_786
; %bb.731:
	v_bfe_u32 v3, v2, 21, 1
	s_mov_b32 s2, exec_lo
	s_delay_alu instid0(VALU_DEP_1) | instskip(NEXT) | instid1(VALU_DEP_1)
	v_add3_u32 v3, v2, v3, 0x88fffff
	v_lshrrev_b32_e32 v3, 21, v3
	s_or_saveexec_b32 s20, s20
                                        ; implicit-def: $sgpr21
	s_delay_alu instid0(SALU_CYCLE_1)
	s_xor_b32 exec_lo, exec_lo, s20
	s_cbranch_execnz .LBB80_787
.LBB80_732:
	s_or_b32 exec_lo, exec_lo, s20
	v_mov_b32_e32 v7, s21
	s_and_saveexec_b32 s20, s2
.LBB80_733:
	v_lshrrev_b32_e32 v2, 24, v2
	s_delay_alu instid0(VALU_DEP_1)
	v_and_or_b32 v7, 0x80, v2, v3
.LBB80_734:
	s_or_b32 exec_lo, exec_lo, s20
.LBB80_735:
	s_delay_alu instid0(SALU_CYCLE_1)
	s_or_b32 exec_lo, exec_lo, s1
	s_mov_b32 s1, 0
	global_store_b8 v[4:5], v7, off
.LBB80_736:
	s_and_b32 vcc_lo, exec_lo, s1
	s_cbranch_vccz .LBB80_746
; %bb.737:
	v_cvt_f32_f64_e32 v2, v[0:1]
	s_mov_b32 s1, exec_lo
                                        ; implicit-def: $vgpr3
	s_delay_alu instid0(VALU_DEP_1) | instskip(NEXT) | instid1(VALU_DEP_1)
	v_and_b32_e32 v7, 0x7fffffff, v2
	v_cmpx_gt_u32_e32 0x43f00000, v7
	s_xor_b32 s1, exec_lo, s1
	s_cbranch_execz .LBB80_743
; %bb.738:
	s_mov_b32 s2, exec_lo
                                        ; implicit-def: $vgpr3
	v_cmpx_lt_u32_e32 0x3c7fffff, v7
	s_xor_b32 s2, exec_lo, s2
; %bb.739:
	v_bfe_u32 v3, v2, 20, 1
	s_delay_alu instid0(VALU_DEP_1) | instskip(NEXT) | instid1(VALU_DEP_1)
	v_add3_u32 v3, v2, v3, 0x407ffff
	v_and_b32_e32 v7, 0xff00000, v3
	v_lshrrev_b32_e32 v3, 20, v3
	s_delay_alu instid0(VALU_DEP_2) | instskip(NEXT) | instid1(VALU_DEP_2)
	v_cmp_ne_u32_e32 vcc_lo, 0x7f00000, v7
	v_cndmask_b32_e32 v3, 0x7e, v3, vcc_lo
; %bb.740:
	s_and_not1_saveexec_b32 s2, s2
; %bb.741:
	v_add_f32_e64 v3, 0x46800000, |v2|
; %bb.742:
	s_or_b32 exec_lo, exec_lo, s2
                                        ; implicit-def: $vgpr7
.LBB80_743:
	s_and_not1_saveexec_b32 s1, s1
; %bb.744:
	v_mov_b32_e32 v3, 0x7f
	v_cmp_lt_u32_e32 vcc_lo, 0x7f800000, v7
	s_delay_alu instid0(VALU_DEP_2)
	v_cndmask_b32_e32 v3, 0x7e, v3, vcc_lo
; %bb.745:
	s_or_b32 exec_lo, exec_lo, s1
	v_lshrrev_b32_e32 v2, 24, v2
	s_delay_alu instid0(VALU_DEP_1)
	v_and_or_b32 v2, 0x80, v2, v3
	global_store_b8 v[4:5], v2, off
.LBB80_746:
	s_mov_b32 s1, 0
.LBB80_747:
	s_delay_alu instid0(SALU_CYCLE_1)
	s_and_not1_b32 vcc_lo, exec_lo, s1
	s_cbranch_vccnz .LBB80_757
; %bb.748:
	v_cvt_f32_f64_e32 v2, v[0:1]
	s_mov_b32 s1, exec_lo
                                        ; implicit-def: $vgpr3
	s_delay_alu instid0(VALU_DEP_1) | instskip(NEXT) | instid1(VALU_DEP_1)
	v_and_b32_e32 v7, 0x7fffffff, v2
	v_cmpx_gt_u32_e32 0x47800000, v7
	s_xor_b32 s1, exec_lo, s1
	s_cbranch_execz .LBB80_754
; %bb.749:
	s_mov_b32 s2, exec_lo
                                        ; implicit-def: $vgpr3
	v_cmpx_lt_u32_e32 0x387fffff, v7
	s_xor_b32 s2, exec_lo, s2
; %bb.750:
	v_bfe_u32 v3, v2, 21, 1
	s_delay_alu instid0(VALU_DEP_1) | instskip(NEXT) | instid1(VALU_DEP_1)
	v_add3_u32 v3, v2, v3, 0x80fffff
	v_lshrrev_b32_e32 v3, 21, v3
; %bb.751:
	s_and_not1_saveexec_b32 s2, s2
; %bb.752:
	v_add_f32_e64 v3, 0x43000000, |v2|
; %bb.753:
	s_or_b32 exec_lo, exec_lo, s2
                                        ; implicit-def: $vgpr7
.LBB80_754:
	s_and_not1_saveexec_b32 s1, s1
; %bb.755:
	v_mov_b32_e32 v3, 0x7f
	v_cmp_lt_u32_e32 vcc_lo, 0x7f800000, v7
	s_delay_alu instid0(VALU_DEP_2)
	v_cndmask_b32_e32 v3, 0x7c, v3, vcc_lo
; %bb.756:
	s_or_b32 exec_lo, exec_lo, s1
	v_lshrrev_b32_e32 v2, 24, v2
	s_delay_alu instid0(VALU_DEP_1)
	v_and_or_b32 v2, 0x80, v2, v3
	global_store_b8 v[4:5], v2, off
.LBB80_757:
	s_mov_b32 s1, 0
	s_mov_b32 s20, -1
.LBB80_758:
	s_and_not1_b32 vcc_lo, exec_lo, s1
	s_cbranch_vccnz .LBB80_766
; %bb.759:
	v_cmp_lt_i16_e32 vcc_lo, 14, v6
	s_mov_b32 s1, -1
	s_cbranch_vccz .LBB80_763
; %bb.760:
	v_cmp_eq_u16_e32 vcc_lo, 15, v6
	s_mov_b32 s0, -1
	s_cbranch_vccz .LBB80_762
; %bb.761:
	v_cvt_f32_f64_e32 v2, v[0:1]
	s_mov_b32 s20, -1
	s_mov_b32 s0, 0
	s_delay_alu instid0(VALU_DEP_1) | instskip(SKIP_1) | instid1(VALU_DEP_2)
	v_bfe_u32 v3, v2, 16, 1
	v_cmp_o_f32_e32 vcc_lo, v2, v2
	v_add3_u32 v3, v2, v3, 0x7fff
	s_delay_alu instid0(VALU_DEP_1) | instskip(NEXT) | instid1(VALU_DEP_1)
	v_lshrrev_b32_e32 v3, 16, v3
	v_cndmask_b32_e32 v2, 0x7fc0, v3, vcc_lo
	global_store_b16 v[4:5], v2, off
.LBB80_762:
	s_mov_b32 s1, 0
.LBB80_763:
	s_delay_alu instid0(SALU_CYCLE_1)
	s_and_b32 vcc_lo, exec_lo, s1
	s_cbranch_vccz .LBB80_766
; %bb.764:
	v_cmp_eq_u16_e32 vcc_lo, 11, v6
	s_mov_b32 s0, -1
	s_cbranch_vccz .LBB80_766
; %bb.765:
	v_cmp_neq_f64_e32 vcc_lo, 0, v[0:1]
	s_mov_b32 s20, -1
	s_mov_b32 s0, 0
	v_cndmask_b32_e64 v2, 0, 1, vcc_lo
	global_store_b8 v[4:5], v2, off
.LBB80_766:
.LBB80_767:
	s_and_not1_b32 vcc_lo, exec_lo, s20
	s_cbranch_vccnz .LBB80_692
.LBB80_768:
	v_add_nc_u32_e32 v11, 0x80, v11
	s_mov_b32 s1, -1
.LBB80_769:
	s_and_not1_b32 s2, s16, exec_lo
	s_and_b32 s0, s0, exec_lo
	s_and_not1_b32 s20, s15, exec_lo
	s_and_b32 s21, s19, exec_lo
	s_or_b32 s19, s2, s0
	s_or_b32 s2, s20, s21
	s_or_not1_b32 s0, s1, exec_lo
.LBB80_770:
	s_or_b32 exec_lo, exec_lo, s18
	s_mov_b32 s1, 0
	s_mov_b32 s20, 0
	;; [unrolled: 1-line block ×3, first 2 shown]
                                        ; implicit-def: $vgpr0_vgpr1
                                        ; implicit-def: $vgpr2_vgpr3
	s_and_saveexec_b32 s18, s0
	s_cbranch_execz .LBB80_855
; %bb.771:
	v_cmp_gt_i32_e32 vcc_lo, s12, v11
	s_mov_b32 s0, 0
	s_mov_b32 s22, s2
	;; [unrolled: 1-line block ×3, first 2 shown]
                                        ; implicit-def: $vgpr0_vgpr1
                                        ; implicit-def: $vgpr2_vgpr3
	s_and_saveexec_b32 s12, vcc_lo
	s_cbranch_execz .LBB80_854
; %bb.772:
	v_mul_lo_u32 v0, v11, s9
	v_cmp_gt_i16_e32 vcc_lo, 11, v12
	s_delay_alu instid0(VALU_DEP_2) | instskip(SKIP_1) | instid1(VALU_DEP_1)
	v_ashrrev_i32_e32 v1, 31, v0
	v_add_co_u32 v0, s0, s6, v0
	v_add_co_ci_u32_e64 v1, s0, s7, v1, s0
	s_cbranch_vccnz .LBB80_779
; %bb.773:
	v_cmp_lt_i16_e32 vcc_lo, 25, v12
	s_cbranch_vccz .LBB80_780
; %bb.774:
	v_cmp_lt_i16_e32 vcc_lo, 28, v12
	s_cbranch_vccz .LBB80_781
	;; [unrolled: 3-line block ×4, first 2 shown]
; %bb.777:
	v_cmp_eq_u16_e32 vcc_lo, 46, v12
	s_cbranch_vccz .LBB80_788
; %bb.778:
	global_load_b32 v2, v[0:1], off
	s_mov_b32 s0, -1
	s_waitcnt vmcnt(0)
	v_lshlrev_b32_e32 v2, 16, v2
	s_delay_alu instid0(VALU_DEP_1)
	v_cvt_f64_f32_e32 v[2:3], v2
	s_branch .LBB80_790
.LBB80_779:
	s_mov_b32 s1, -1
	s_mov_b32 s0, 0
	s_mov_b32 s20, s2
                                        ; implicit-def: $vgpr2_vgpr3
	s_branch .LBB80_853
.LBB80_780:
	s_mov_b32 s1, -1
	s_mov_b32 s0, 0
	s_mov_b32 s20, s2
                                        ; implicit-def: $vgpr2_vgpr3
	s_branch .LBB80_821
.LBB80_781:
	s_mov_b32 s1, -1
	s_mov_b32 s0, 0
	s_mov_b32 s20, s2
                                        ; implicit-def: $vgpr2_vgpr3
	s_branch .LBB80_800
.LBB80_782:
	s_mov_b32 s1, -1
	s_mov_b32 s0, 0
	s_mov_b32 s20, s2
                                        ; implicit-def: $vgpr2_vgpr3
	s_branch .LBB80_795
.LBB80_783:
	s_or_saveexec_b32 s20, s20
                                        ; implicit-def: $sgpr21
	s_delay_alu instid0(SALU_CYCLE_1)
	s_xor_b32 exec_lo, exec_lo, s20
	s_cbranch_execz .LBB80_719
.LBB80_784:
	v_add_f32_e64 v3, 0x46000000, |v2|
	s_and_not1_b32 s2, s2, exec_lo
	s_mov_b32 s21, 0
	s_delay_alu instid0(VALU_DEP_1) | instskip(NEXT) | instid1(VALU_DEP_1)
	v_and_b32_e32 v3, 0xff, v3
	v_cmp_ne_u32_e32 vcc_lo, 0, v3
	s_and_b32 s22, vcc_lo, exec_lo
	s_delay_alu instid0(SALU_CYCLE_1)
	s_or_b32 s2, s2, s22
	s_or_b32 exec_lo, exec_lo, s20
	v_mov_b32_e32 v7, s21
	s_and_saveexec_b32 s20, s2
	s_cbranch_execnz .LBB80_720
	s_branch .LBB80_721
.LBB80_785:
	s_mov_b32 s1, -1
	s_mov_b32 s0, 0
	s_mov_b32 s20, s2
	s_branch .LBB80_789
.LBB80_786:
	s_or_saveexec_b32 s20, s20
                                        ; implicit-def: $sgpr21
	s_delay_alu instid0(SALU_CYCLE_1)
	s_xor_b32 exec_lo, exec_lo, s20
	s_cbranch_execz .LBB80_732
.LBB80_787:
	v_add_f32_e64 v3, 0x42800000, |v2|
	s_and_not1_b32 s2, s2, exec_lo
	s_mov_b32 s21, 0
	s_delay_alu instid0(VALU_DEP_1) | instskip(NEXT) | instid1(VALU_DEP_1)
	v_and_b32_e32 v3, 0xff, v3
	v_cmp_ne_u32_e32 vcc_lo, 0, v3
	s_and_b32 s22, vcc_lo, exec_lo
	s_delay_alu instid0(SALU_CYCLE_1)
	s_or_b32 s2, s2, s22
	s_or_b32 exec_lo, exec_lo, s20
	v_mov_b32_e32 v7, s21
	s_and_saveexec_b32 s20, s2
	s_cbranch_execnz .LBB80_733
	s_branch .LBB80_734
.LBB80_788:
	s_mov_b32 s20, -1
	s_mov_b32 s0, 0
.LBB80_789:
                                        ; implicit-def: $vgpr2_vgpr3
.LBB80_790:
	s_and_b32 vcc_lo, exec_lo, s1
	s_cbranch_vccz .LBB80_794
; %bb.791:
	v_cmp_eq_u16_e32 vcc_lo, 44, v12
	s_cbranch_vccz .LBB80_793
; %bb.792:
	global_load_u8 v4, v[0:1], off
	s_mov_b32 s20, 0
	s_mov_b32 s0, -1
	s_waitcnt vmcnt(0)
	v_cmp_ne_u32_e32 vcc_lo, 0xff, v4
	v_lshlrev_b32_e32 v2, 23, v4
	s_delay_alu instid0(VALU_DEP_1) | instskip(NEXT) | instid1(VALU_DEP_1)
	v_cvt_f64_f32_e32 v[2:3], v2
	v_cndmask_b32_e32 v3, 0x7ff80000, v3, vcc_lo
	s_delay_alu instid0(VALU_DEP_2) | instskip(SKIP_1) | instid1(VALU_DEP_3)
	v_cndmask_b32_e32 v2, 0x20000000, v2, vcc_lo
	v_cmp_ne_u32_e32 vcc_lo, 0, v4
	v_cndmask_b32_e32 v3, 0x38000000, v3, vcc_lo
	s_delay_alu instid0(VALU_DEP_3)
	v_cndmask_b32_e32 v2, 0, v2, vcc_lo
	s_branch .LBB80_794
.LBB80_793:
	s_mov_b32 s20, -1
                                        ; implicit-def: $vgpr2_vgpr3
.LBB80_794:
	s_mov_b32 s1, 0
.LBB80_795:
	s_delay_alu instid0(SALU_CYCLE_1)
	s_and_b32 vcc_lo, exec_lo, s1
	s_cbranch_vccz .LBB80_799
; %bb.796:
	v_cmp_eq_u16_e32 vcc_lo, 29, v12
	s_cbranch_vccz .LBB80_798
; %bb.797:
	global_load_b64 v[2:3], v[0:1], off
	s_mov_b32 s20, 0
	s_mov_b32 s0, -1
	s_mov_b32 s1, 0
	s_waitcnt vmcnt(0)
	v_cvt_f64_u32_e32 v[3:4], v3
	v_cvt_f64_u32_e32 v[5:6], v2
	s_delay_alu instid0(VALU_DEP_2) | instskip(NEXT) | instid1(VALU_DEP_1)
	v_ldexp_f64 v[3:4], v[3:4], 32
	v_add_f64 v[2:3], v[3:4], v[5:6]
	s_branch .LBB80_800
.LBB80_798:
	s_mov_b32 s20, -1
                                        ; implicit-def: $vgpr2_vgpr3
.LBB80_799:
	s_mov_b32 s1, 0
.LBB80_800:
	s_delay_alu instid0(SALU_CYCLE_1)
	s_and_b32 vcc_lo, exec_lo, s1
	s_cbranch_vccz .LBB80_820
; %bb.801:
	v_cmp_gt_i16_e32 vcc_lo, 27, v12
	s_cbranch_vccnz .LBB80_804
; %bb.802:
	v_cmp_lt_i16_e32 vcc_lo, 27, v12
	s_cbranch_vccz .LBB80_805
; %bb.803:
	global_load_b32 v2, v[0:1], off
	s_mov_b32 s0, 0
	s_waitcnt vmcnt(0)
	v_cvt_f64_u32_e32 v[2:3], v2
	s_branch .LBB80_806
.LBB80_804:
	s_mov_b32 s0, -1
                                        ; implicit-def: $vgpr2_vgpr3
	s_branch .LBB80_809
.LBB80_805:
	s_mov_b32 s0, -1
                                        ; implicit-def: $vgpr2_vgpr3
.LBB80_806:
	s_delay_alu instid0(SALU_CYCLE_1)
	s_and_not1_b32 vcc_lo, exec_lo, s0
	s_cbranch_vccnz .LBB80_808
; %bb.807:
	global_load_u16 v2, v[0:1], off
	s_waitcnt vmcnt(0)
	v_cvt_f64_u32_e32 v[2:3], v2
.LBB80_808:
	s_mov_b32 s0, 0
.LBB80_809:
	s_delay_alu instid0(SALU_CYCLE_1)
	s_and_not1_b32 vcc_lo, exec_lo, s0
	s_cbranch_vccnz .LBB80_819
; %bb.810:
	global_load_u8 v4, v[0:1], off
	s_mov_b32 s22, 0
	s_mov_b32 s23, exec_lo
                                        ; implicit-def: $sgpr0_sgpr1
	s_waitcnt vmcnt(0)
	v_cmpx_lt_i16_e32 0x7f, v4
	s_xor_b32 s23, exec_lo, s23
	s_cbranch_execz .LBB80_814
; %bb.811:
	s_mov_b32 s24, -1
	s_mov_b32 s22, exec_lo
                                        ; implicit-def: $sgpr0_sgpr1
	v_cmpx_eq_u16_e32 0x80, v4
; %bb.812:
	s_mov_b32 s1, 0x7ff80000
	s_brev_b32 s0, 4
	s_xor_b32 s24, exec_lo, -1
; %bb.813:
	s_or_b32 exec_lo, exec_lo, s22
	s_delay_alu instid0(SALU_CYCLE_1)
	s_and_b32 s22, s24, exec_lo
.LBB80_814:
	s_or_saveexec_b32 s23, s23
	v_dual_mov_b32 v3, s1 :: v_dual_mov_b32 v2, s0
	s_xor_b32 exec_lo, exec_lo, s23
; %bb.815:
	v_cmp_ne_u16_e32 vcc_lo, 0, v4
	v_mov_b32_e32 v2, 0
	v_mov_b32_e32 v3, 0
	s_and_not1_b32 s0, s22, exec_lo
	s_and_b32 s1, vcc_lo, exec_lo
	s_delay_alu instid0(SALU_CYCLE_1)
	s_or_b32 s22, s0, s1
; %bb.816:
	s_or_b32 exec_lo, exec_lo, s23
	s_and_saveexec_b32 s0, s22
	s_cbranch_execz .LBB80_818
; %bb.817:
	v_and_b32_e32 v2, 0xffff, v4
	v_lshlrev_b32_e32 v4, 24, v4
	s_delay_alu instid0(VALU_DEP_2) | instskip(NEXT) | instid1(VALU_DEP_2)
	v_and_b32_e32 v3, 7, v2
	v_and_b32_e32 v4, 0x80000000, v4
	s_delay_alu instid0(VALU_DEP_2) | instskip(NEXT) | instid1(VALU_DEP_1)
	v_clz_i32_u32_e32 v5, v3
	v_min_u32_e32 v5, 32, v5
	s_delay_alu instid0(VALU_DEP_1) | instskip(SKIP_1) | instid1(VALU_DEP_2)
	v_subrev_nc_u32_e32 v6, 28, v5
	v_sub_nc_u32_e32 v5, 29, v5
	v_lshlrev_b32_e32 v6, v6, v2
	v_bfe_u32 v2, v2, 3, 4
	s_delay_alu instid0(VALU_DEP_2) | instskip(NEXT) | instid1(VALU_DEP_2)
	v_and_b32_e32 v6, 7, v6
	v_cmp_eq_u32_e32 vcc_lo, 0, v2
	s_delay_alu instid0(VALU_DEP_2) | instskip(NEXT) | instid1(VALU_DEP_1)
	v_dual_cndmask_b32 v2, v2, v5 :: v_dual_cndmask_b32 v3, v3, v6
	v_lshl_add_u32 v2, v2, 23, 0x3b800000
	s_delay_alu instid0(VALU_DEP_2) | instskip(NEXT) | instid1(VALU_DEP_1)
	v_lshlrev_b32_e32 v3, 20, v3
	v_or3_b32 v2, v4, v2, v3
	s_delay_alu instid0(VALU_DEP_1)
	v_cvt_f64_f32_e32 v[2:3], v2
.LBB80_818:
	s_or_b32 exec_lo, exec_lo, s0
.LBB80_819:
	s_mov_b32 s0, -1
.LBB80_820:
	s_mov_b32 s1, 0
.LBB80_821:
	s_delay_alu instid0(SALU_CYCLE_1)
	s_and_b32 vcc_lo, exec_lo, s1
	s_cbranch_vccz .LBB80_852
; %bb.822:
	v_cmp_lt_i16_e32 vcc_lo, 22, v12
	s_cbranch_vccz .LBB80_834
; %bb.823:
	v_cmp_gt_i16_e32 vcc_lo, 24, v12
	s_cbranch_vccnz .LBB80_835
; %bb.824:
	v_cmp_lt_i16_e32 vcc_lo, 24, v12
	s_cbranch_vccz .LBB80_836
; %bb.825:
	global_load_u8 v4, v[0:1], off
	s_mov_b32 s22, exec_lo
                                        ; implicit-def: $sgpr0_sgpr1
	s_waitcnt vmcnt(0)
	v_cmpx_lt_i16_e32 0x7f, v4
	s_xor_b32 s22, exec_lo, s22
	s_cbranch_execz .LBB80_829
; %bb.826:
	s_mov_b32 s23, -1
	s_mov_b32 s21, exec_lo
                                        ; implicit-def: $sgpr0_sgpr1
	v_cmpx_eq_u16_e32 0x80, v4
; %bb.827:
	s_mov_b32 s1, 0x7ff80000
	s_brev_b32 s0, 4
	s_xor_b32 s23, exec_lo, -1
; %bb.828:
	s_or_b32 exec_lo, exec_lo, s21
	s_delay_alu instid0(SALU_CYCLE_1)
	s_and_b32 s21, s23, exec_lo
.LBB80_829:
	s_or_saveexec_b32 s22, s22
	v_dual_mov_b32 v3, s1 :: v_dual_mov_b32 v2, s0
	s_xor_b32 exec_lo, exec_lo, s22
; %bb.830:
	v_cmp_ne_u16_e32 vcc_lo, 0, v4
	v_mov_b32_e32 v2, 0
	v_mov_b32_e32 v3, 0
	s_and_not1_b32 s0, s21, exec_lo
	s_and_b32 s1, vcc_lo, exec_lo
	s_delay_alu instid0(SALU_CYCLE_1)
	s_or_b32 s21, s0, s1
; %bb.831:
	s_or_b32 exec_lo, exec_lo, s22
	s_and_saveexec_b32 s0, s21
	s_cbranch_execz .LBB80_833
; %bb.832:
	v_and_b32_e32 v2, 0xffff, v4
	v_lshlrev_b32_e32 v4, 24, v4
	s_delay_alu instid0(VALU_DEP_2) | instskip(NEXT) | instid1(VALU_DEP_2)
	v_and_b32_e32 v3, 3, v2
	v_and_b32_e32 v4, 0x80000000, v4
	s_delay_alu instid0(VALU_DEP_2) | instskip(NEXT) | instid1(VALU_DEP_1)
	v_clz_i32_u32_e32 v5, v3
	v_min_u32_e32 v5, 32, v5
	s_delay_alu instid0(VALU_DEP_1) | instskip(SKIP_1) | instid1(VALU_DEP_2)
	v_subrev_nc_u32_e32 v6, 29, v5
	v_sub_nc_u32_e32 v5, 30, v5
	v_lshlrev_b32_e32 v6, v6, v2
	v_bfe_u32 v2, v2, 2, 5
	s_delay_alu instid0(VALU_DEP_2) | instskip(NEXT) | instid1(VALU_DEP_2)
	v_and_b32_e32 v6, 3, v6
	v_cmp_eq_u32_e32 vcc_lo, 0, v2
	s_delay_alu instid0(VALU_DEP_2) | instskip(NEXT) | instid1(VALU_DEP_1)
	v_dual_cndmask_b32 v2, v2, v5 :: v_dual_cndmask_b32 v3, v3, v6
	v_lshl_add_u32 v2, v2, 23, 0x37800000
	s_delay_alu instid0(VALU_DEP_2) | instskip(NEXT) | instid1(VALU_DEP_1)
	v_lshlrev_b32_e32 v3, 21, v3
	v_or3_b32 v2, v4, v2, v3
	s_delay_alu instid0(VALU_DEP_1)
	v_cvt_f64_f32_e32 v[2:3], v2
.LBB80_833:
	s_or_b32 exec_lo, exec_lo, s0
	s_mov_b32 s0, 0
	s_branch .LBB80_837
.LBB80_834:
	s_mov_b32 s1, -1
                                        ; implicit-def: $vgpr2_vgpr3
	s_branch .LBB80_843
.LBB80_835:
	s_mov_b32 s0, -1
                                        ; implicit-def: $vgpr2_vgpr3
	s_branch .LBB80_840
.LBB80_836:
	s_mov_b32 s0, -1
                                        ; implicit-def: $vgpr2_vgpr3
.LBB80_837:
	s_delay_alu instid0(SALU_CYCLE_1)
	s_and_b32 vcc_lo, exec_lo, s0
	s_cbranch_vccz .LBB80_839
; %bb.838:
	global_load_u8 v2, v[0:1], off
	s_waitcnt vmcnt(0)
	v_lshlrev_b32_e32 v2, 24, v2
	s_delay_alu instid0(VALU_DEP_1) | instskip(NEXT) | instid1(VALU_DEP_1)
	v_and_b32_e32 v3, 0x7f000000, v2
	v_clz_i32_u32_e32 v4, v3
	v_add_nc_u32_e32 v6, 0x1000000, v3
	v_cmp_ne_u32_e32 vcc_lo, 0, v3
	s_delay_alu instid0(VALU_DEP_3) | instskip(NEXT) | instid1(VALU_DEP_1)
	v_min_u32_e32 v4, 32, v4
	v_sub_nc_u32_e64 v4, v4, 4 clamp
	s_delay_alu instid0(VALU_DEP_1) | instskip(SKIP_1) | instid1(VALU_DEP_2)
	v_lshlrev_b32_e32 v5, v4, v3
	v_lshlrev_b32_e32 v4, 23, v4
	v_lshrrev_b32_e32 v5, 4, v5
	s_delay_alu instid0(VALU_DEP_1) | instskip(SKIP_1) | instid1(VALU_DEP_2)
	v_sub_nc_u32_e32 v4, v5, v4
	v_ashrrev_i32_e32 v5, 8, v6
	v_add_nc_u32_e32 v4, 0x3c000000, v4
	s_delay_alu instid0(VALU_DEP_1) | instskip(NEXT) | instid1(VALU_DEP_1)
	v_and_or_b32 v4, 0x7f800000, v5, v4
	v_cndmask_b32_e32 v3, 0, v4, vcc_lo
	s_delay_alu instid0(VALU_DEP_1) | instskip(NEXT) | instid1(VALU_DEP_1)
	v_and_or_b32 v2, 0x80000000, v2, v3
	v_cvt_f64_f32_e32 v[2:3], v2
.LBB80_839:
	s_mov_b32 s0, 0
.LBB80_840:
	s_delay_alu instid0(SALU_CYCLE_1)
	s_and_not1_b32 vcc_lo, exec_lo, s0
	s_cbranch_vccnz .LBB80_842
; %bb.841:
	global_load_u8 v2, v[0:1], off
	s_waitcnt vmcnt(0)
	v_lshlrev_b32_e32 v3, 25, v2
	v_lshlrev_b16 v2, 8, v2
	s_delay_alu instid0(VALU_DEP_2) | instskip(NEXT) | instid1(VALU_DEP_2)
	v_lshrrev_b32_e32 v4, 4, v3
	v_and_or_b32 v5, 0x7f00, v2, 0.5
	v_bfe_i32 v2, v2, 0, 16
	s_delay_alu instid0(VALU_DEP_3) | instskip(NEXT) | instid1(VALU_DEP_1)
	v_or_b32_e32 v4, 0x70000000, v4
	v_dual_add_f32 v5, -0.5, v5 :: v_dual_mul_f32 v4, 0x7800000, v4
	v_cmp_gt_u32_e32 vcc_lo, 0x8000000, v3
	s_delay_alu instid0(VALU_DEP_2) | instskip(NEXT) | instid1(VALU_DEP_1)
	v_cndmask_b32_e32 v3, v4, v5, vcc_lo
	v_and_or_b32 v2, 0x80000000, v2, v3
	s_delay_alu instid0(VALU_DEP_1)
	v_cvt_f64_f32_e32 v[2:3], v2
.LBB80_842:
	s_mov_b32 s1, 0
	s_mov_b32 s0, -1
.LBB80_843:
	s_and_not1_b32 vcc_lo, exec_lo, s1
	s_mov_b32 s21, 0
	s_cbranch_vccnz .LBB80_852
; %bb.844:
	v_cmp_lt_i16_e32 vcc_lo, 14, v12
	s_cbranch_vccz .LBB80_847
; %bb.845:
	v_cmp_eq_u16_e32 vcc_lo, 15, v12
	s_cbranch_vccz .LBB80_848
; %bb.846:
	global_load_u16 v2, v[0:1], off
	s_mov_b32 s20, 0
	s_mov_b32 s0, -1
	s_waitcnt vmcnt(0)
	v_lshlrev_b32_e32 v2, 16, v2
	s_delay_alu instid0(VALU_DEP_1)
	v_cvt_f64_f32_e32 v[2:3], v2
	s_branch .LBB80_849
.LBB80_847:
	s_mov_b32 s1, -1
                                        ; implicit-def: $vgpr2_vgpr3
	s_branch .LBB80_850
.LBB80_848:
	s_mov_b32 s20, -1
                                        ; implicit-def: $vgpr2_vgpr3
.LBB80_849:
	s_mov_b32 s1, 0
.LBB80_850:
	s_delay_alu instid0(SALU_CYCLE_1)
	s_and_b32 vcc_lo, exec_lo, s1
	s_cbranch_vccz .LBB80_852
; %bb.851:
	v_cmp_ne_u16_e32 vcc_lo, 11, v12
	s_and_not1_b32 s1, s20, exec_lo
	s_mov_b32 s21, -1
                                        ; implicit-def: $vgpr2_vgpr3
	s_and_b32 s20, vcc_lo, exec_lo
	s_delay_alu instid0(SALU_CYCLE_1)
	s_or_b32 s20, s1, s20
.LBB80_852:
	s_mov_b32 s1, 0
.LBB80_853:
	s_and_not1_b32 s22, s2, exec_lo
	s_and_b32 s20, s20, exec_lo
	s_and_b32 s23, s0, exec_lo
	;; [unrolled: 1-line block ×4, first 2 shown]
	s_or_b32 s22, s22, s20
.LBB80_854:
	s_or_b32 exec_lo, exec_lo, s12
	s_delay_alu instid0(SALU_CYCLE_1)
	s_and_not1_b32 s2, s2, exec_lo
	s_and_b32 s12, s22, exec_lo
	s_and_b32 s21, s23, exec_lo
	;; [unrolled: 1-line block ×4, first 2 shown]
	s_or_b32 s2, s2, s12
.LBB80_855:
	s_or_b32 exec_lo, exec_lo, s18
	s_delay_alu instid0(SALU_CYCLE_1)
	s_and_not1_b32 s0, s16, exec_lo
	s_and_b32 s12, s19, exec_lo
	s_and_b32 s2, s2, exec_lo
	s_or_b32 s16, s0, s12
	s_and_not1_b32 s12, s15, exec_lo
	s_and_b32 s0, s21, exec_lo
	s_and_b32 s18, s20, exec_lo
	;; [unrolled: 1-line block ×3, first 2 shown]
	s_or_b32 s15, s12, s2
.LBB80_856:
	s_or_b32 exec_lo, exec_lo, s17
	s_delay_alu instid0(SALU_CYCLE_1)
	s_and_not1_b32 s2, s11, exec_lo
	s_and_b32 s11, s16, exec_lo
	s_and_not1_b32 s12, s13, exec_lo
	s_and_b32 s13, s15, exec_lo
	s_or_b32 s11, s2, s11
	s_and_b32 s0, s0, exec_lo
	s_and_b32 s2, s18, exec_lo
	;; [unrolled: 1-line block ×3, first 2 shown]
	s_or_b32 s13, s12, s13
.LBB80_857:
	s_or_b32 exec_lo, exec_lo, s14
	s_mov_b32 s12, 0
	s_and_saveexec_b32 s1, s13
	s_cbranch_execnz .LBB80_869
; %bb.858:
	s_or_b32 exec_lo, exec_lo, s1
	s_and_saveexec_b32 s1, s15
	s_delay_alu instid0(SALU_CYCLE_1)
	s_xor_b32 s1, exec_lo, s1
	s_cbranch_execz .LBB80_860
.LBB80_859:
	global_load_u8 v2, v[0:1], off
	s_or_b32 s0, s0, exec_lo
	s_waitcnt vmcnt(0)
	v_cmp_ne_u16_e32 vcc_lo, 0, v2
	v_mov_b32_e32 v2, 0
	v_cndmask_b32_e64 v3, 0, 0x3ff00000, vcc_lo
.LBB80_860:
	s_or_b32 exec_lo, exec_lo, s1
	s_and_saveexec_b32 s1, s2
	s_cbranch_execz .LBB80_908
; %bb.861:
	v_cmp_gt_i16_e32 vcc_lo, 5, v12
	s_cbranch_vccnz .LBB80_866
; %bb.862:
	v_cmp_gt_i16_e32 vcc_lo, 8, v12
	s_cbranch_vccnz .LBB80_867
; %bb.863:
	v_cmp_gt_i16_e32 vcc_lo, 9, v12
	s_cbranch_vccnz .LBB80_868
; %bb.864:
	v_cmp_lt_i16_e32 vcc_lo, 9, v12
	s_cbranch_vccz .LBB80_871
; %bb.865:
	global_load_b64 v[2:3], v[0:1], off
	s_mov_b32 s2, 0
	s_branch .LBB80_872
.LBB80_866:
                                        ; implicit-def: $vgpr2_vgpr3
	s_branch .LBB80_889
.LBB80_867:
                                        ; implicit-def: $vgpr2_vgpr3
	s_branch .LBB80_878
.LBB80_868:
	s_mov_b32 s2, -1
                                        ; implicit-def: $vgpr2_vgpr3
	s_branch .LBB80_875
.LBB80_869:
	s_cbranch_execnz .LBB80_1087
; %bb.870:
	s_mov_b32 s12, exec_lo
	s_and_not1_b32 s15, s15, exec_lo
                                        ; implicit-def: $vgpr2_vgpr3
	s_or_b32 exec_lo, exec_lo, s1
	s_and_saveexec_b32 s1, s15
	s_delay_alu instid0(SALU_CYCLE_1)
	s_xor_b32 s1, exec_lo, s1
	s_cbranch_execnz .LBB80_859
	s_branch .LBB80_860
.LBB80_871:
	s_mov_b32 s2, -1
                                        ; implicit-def: $vgpr2_vgpr3
.LBB80_872:
	s_delay_alu instid0(SALU_CYCLE_1)
	s_and_not1_b32 vcc_lo, exec_lo, s2
	s_cbranch_vccnz .LBB80_874
; %bb.873:
	global_load_b32 v2, v[0:1], off
	s_waitcnt vmcnt(0)
	v_cvt_f64_f32_e32 v[2:3], v2
.LBB80_874:
	s_mov_b32 s2, 0
.LBB80_875:
	s_delay_alu instid0(SALU_CYCLE_1)
	s_and_not1_b32 vcc_lo, exec_lo, s2
	s_cbranch_vccnz .LBB80_877
; %bb.876:
	global_load_b32 v2, v[0:1], off
	s_waitcnt vmcnt(0)
	v_cvt_f32_f16_e32 v2, v2
	s_delay_alu instid0(VALU_DEP_1)
	v_cvt_f64_f32_e32 v[2:3], v2
.LBB80_877:
	s_cbranch_execnz .LBB80_888
.LBB80_878:
	v_cmp_gt_i16_e32 vcc_lo, 6, v12
	s_cbranch_vccnz .LBB80_881
; %bb.879:
	v_cmp_lt_i16_e32 vcc_lo, 6, v12
	s_cbranch_vccz .LBB80_882
; %bb.880:
	global_load_b64 v[2:3], v[0:1], off
	s_mov_b32 s2, 0
	s_branch .LBB80_883
.LBB80_881:
	s_mov_b32 s2, -1
                                        ; implicit-def: $vgpr2_vgpr3
	s_branch .LBB80_886
.LBB80_882:
	s_mov_b32 s2, -1
                                        ; implicit-def: $vgpr2_vgpr3
.LBB80_883:
	s_delay_alu instid0(SALU_CYCLE_1)
	s_and_not1_b32 vcc_lo, exec_lo, s2
	s_cbranch_vccnz .LBB80_885
; %bb.884:
	global_load_b32 v2, v[0:1], off
	s_waitcnt vmcnt(0)
	v_cvt_f64_f32_e32 v[2:3], v2
.LBB80_885:
	s_mov_b32 s2, 0
.LBB80_886:
	s_delay_alu instid0(SALU_CYCLE_1)
	s_and_not1_b32 vcc_lo, exec_lo, s2
	s_cbranch_vccnz .LBB80_888
; %bb.887:
	global_load_u16 v2, v[0:1], off
	s_waitcnt vmcnt(0)
	v_cvt_f32_f16_e32 v2, v2
	s_delay_alu instid0(VALU_DEP_1)
	v_cvt_f64_f32_e32 v[2:3], v2
.LBB80_888:
	s_cbranch_execnz .LBB80_907
.LBB80_889:
	v_cmp_gt_i16_e32 vcc_lo, 2, v12
	s_cbranch_vccnz .LBB80_893
; %bb.890:
	v_cmp_gt_i16_e32 vcc_lo, 3, v12
	s_cbranch_vccnz .LBB80_894
; %bb.891:
	v_cmp_lt_i16_e32 vcc_lo, 3, v12
	s_cbranch_vccz .LBB80_895
; %bb.892:
	global_load_b64 v[2:3], v[0:1], off
	s_mov_b32 s2, 0
	s_waitcnt vmcnt(0)
	v_cvt_f64_i32_e32 v[3:4], v3
	v_cvt_f64_u32_e32 v[5:6], v2
	s_delay_alu instid0(VALU_DEP_2) | instskip(NEXT) | instid1(VALU_DEP_1)
	v_ldexp_f64 v[3:4], v[3:4], 32
	v_add_f64 v[2:3], v[3:4], v[5:6]
	s_branch .LBB80_896
.LBB80_893:
                                        ; implicit-def: $vgpr2_vgpr3
	s_branch .LBB80_902
.LBB80_894:
	s_mov_b32 s2, -1
                                        ; implicit-def: $vgpr2_vgpr3
	s_branch .LBB80_899
.LBB80_895:
	s_mov_b32 s2, -1
                                        ; implicit-def: $vgpr2_vgpr3
.LBB80_896:
	s_delay_alu instid0(SALU_CYCLE_1)
	s_and_not1_b32 vcc_lo, exec_lo, s2
	s_cbranch_vccnz .LBB80_898
; %bb.897:
	global_load_b32 v2, v[0:1], off
	s_waitcnt vmcnt(0)
	v_cvt_f64_i32_e32 v[2:3], v2
.LBB80_898:
	s_mov_b32 s2, 0
.LBB80_899:
	s_delay_alu instid0(SALU_CYCLE_1)
	s_and_not1_b32 vcc_lo, exec_lo, s2
	s_cbranch_vccnz .LBB80_901
; %bb.900:
	global_load_i16 v2, v[0:1], off
	s_waitcnt vmcnt(0)
	v_cvt_f64_i32_e32 v[2:3], v2
.LBB80_901:
	s_cbranch_execnz .LBB80_907
.LBB80_902:
	v_cmp_lt_i16_e32 vcc_lo, 0, v12
	s_mov_b32 s2, 0
	s_cbranch_vccz .LBB80_904
; %bb.903:
	global_load_i8 v2, v[0:1], off
	s_waitcnt vmcnt(0)
	v_cvt_f64_i32_e32 v[2:3], v2
	s_branch .LBB80_905
.LBB80_904:
	s_mov_b32 s2, -1
                                        ; implicit-def: $vgpr2_vgpr3
.LBB80_905:
	s_delay_alu instid0(SALU_CYCLE_1)
	s_and_not1_b32 vcc_lo, exec_lo, s2
	s_cbranch_vccnz .LBB80_907
; %bb.906:
	global_load_u8 v0, v[0:1], off
	s_waitcnt vmcnt(0)
	v_cvt_f64_u32_e32 v[2:3], v0
.LBB80_907:
	s_or_b32 s0, s0, exec_lo
.LBB80_908:
	s_or_b32 exec_lo, exec_lo, s1
	s_mov_b32 s2, 0
	s_mov_b32 s1, 0
                                        ; implicit-def: $vgpr6
                                        ; implicit-def: $vgpr4_vgpr5
                                        ; implicit-def: $vgpr0_vgpr1
	s_and_saveexec_b32 s13, s0
	s_cbranch_execz .LBB80_985
; %bb.909:
	s_mov_b32 s0, 0x652b82fe
	s_mov_b32 s1, 0x3ff71547
	;; [unrolled: 1-line block ×3, first 2 shown]
	s_waitcnt vmcnt(0)
	s_delay_alu instid0(VALU_DEP_1) | instskip(SKIP_4) | instid1(VALU_DEP_2)
	v_mul_f64 v[0:1], v[2:3], s[0:1]
	s_mov_b32 s0, 0xfefa39ef
	s_mov_b32 s1, 0xbfe62e42
	s_mov_b32 s15, 0x3e5ade15
	v_cmp_nlt_f64_e32 vcc_lo, 0x40900000, v[2:3]
	v_rndne_f64_e32 v[0:1], v[0:1]
	s_delay_alu instid0(VALU_DEP_1) | instskip(SKIP_3) | instid1(VALU_DEP_2)
	v_fma_f64 v[4:5], v[0:1], s[0:1], v[2:3]
	s_mov_b32 s0, 0x3b39803f
	s_mov_b32 s1, 0xbc7abc9e
	v_cvt_i32_f64_e32 v8, v[0:1]
	v_fma_f64 v[4:5], v[0:1], s[0:1], v[4:5]
	s_mov_b32 s0, 0xfca7ab0c
	s_mov_b32 s1, 0x3e928af3
	s_delay_alu instid0(VALU_DEP_1) | instid1(SALU_CYCLE_1)
	v_fma_f64 v[6:7], v[4:5], s[14:15], s[0:1]
	s_mov_b32 s0, 0x623fde64
	s_mov_b32 s1, 0x3ec71dee
	;; [unrolled: 1-line block ×3, first 2 shown]
	s_mov_b32 s14, -1
	s_delay_alu instid0(VALU_DEP_1)
	v_fma_f64 v[6:7], v[4:5], v[6:7], s[0:1]
	s_mov_b32 s0, 0x7c89e6b0
	s_mov_b32 s1, 0x3efa0199
	s_delay_alu instid0(VALU_DEP_1) | instid1(SALU_CYCLE_1)
	v_fma_f64 v[6:7], v[4:5], v[6:7], s[0:1]
	s_mov_b32 s0, 0x14761f6e
	s_mov_b32 s1, 0x3f2a01a0
	s_delay_alu instid0(VALU_DEP_1) | instid1(SALU_CYCLE_1)
	v_fma_f64 v[6:7], v[4:5], v[6:7], s[0:1]
	s_mov_b32 s0, 0x1852b7b0
	s_mov_b32 s1, 0x3f56c16c
	s_delay_alu instid0(VALU_DEP_1) | instid1(SALU_CYCLE_1)
	v_fma_f64 v[6:7], v[4:5], v[6:7], s[0:1]
	s_mov_b32 s0, 0x11122322
	s_mov_b32 s1, 0x3f811111
	s_delay_alu instid0(VALU_DEP_1) | instid1(SALU_CYCLE_1)
	v_fma_f64 v[6:7], v[4:5], v[6:7], s[0:1]
	s_mov_b32 s0, 0x555502a1
	s_mov_b32 s1, 0x3fa55555
	s_delay_alu instid0(VALU_DEP_1) | instid1(SALU_CYCLE_1)
	v_fma_f64 v[6:7], v[4:5], v[6:7], s[0:1]
	s_mov_b32 s0, 0x55555511
	s_mov_b32 s1, 0x3fc55555
	s_delay_alu instid0(VALU_DEP_1) | instid1(SALU_CYCLE_1)
	v_fma_f64 v[6:7], v[4:5], v[6:7], s[0:1]
	s_mov_b32 s0, 11
	s_mov_b32 s1, 0x3fe00000
	s_delay_alu instid0(VALU_DEP_1) | instid1(SALU_CYCLE_1)
	v_fma_f64 v[6:7], v[4:5], v[6:7], s[0:1]
	v_cmp_ngt_f64_e64 s0, 0xc090cc00, v[2:3]
	v_mul_lo_u32 v2, v11, s8
	s_delay_alu instid0(VALU_DEP_1) | instskip(NEXT) | instid1(VALU_DEP_4)
	v_ashrrev_i32_e32 v3, 31, v2
	v_fma_f64 v[6:7], v[4:5], v[6:7], 1.0
	s_delay_alu instid0(VALU_DEP_1) | instskip(SKIP_2) | instid1(VALU_DEP_1)
	v_fma_f64 v[0:1], v[4:5], v[6:7], 1.0
	v_and_b32_e32 v6, 0xff, v10
	v_add_co_u32 v4, s2, s4, v2
	v_add_co_ci_u32_e64 v5, s2, s5, v3, s2
	s_delay_alu instid0(VALU_DEP_3) | instskip(SKIP_1) | instid1(VALU_DEP_1)
	v_cmp_gt_i16_e64 s1, 11, v6
	v_ldexp_f64 v[0:1], v[0:1], v8
	v_cndmask_b32_e32 v1, 0x7ff00000, v1, vcc_lo
	s_and_b32 vcc_lo, s0, vcc_lo
	s_delay_alu instid0(VALU_DEP_2) | instskip(SKIP_1) | instid1(VALU_DEP_2)
	v_cndmask_b32_e32 v0, 0, v0, vcc_lo
	s_and_b32 vcc_lo, exec_lo, s1
	v_cndmask_b32_e64 v1, 0, v1, s0
	s_mov_b32 s0, s11
	s_cbranch_vccnz .LBB80_984
; %bb.910:
	v_cmp_lt_i16_e32 vcc_lo, 25, v6
	s_mov_b32 s1, -1
	s_mov_b32 s0, s11
	s_cbranch_vccz .LBB80_943
; %bb.911:
	v_cmp_lt_i16_e32 vcc_lo, 28, v6
	s_mov_b32 s0, s11
	s_cbranch_vccz .LBB80_927
; %bb.912:
	v_cmp_lt_i16_e32 vcc_lo, 43, v6
	;; [unrolled: 4-line block ×3, first 2 shown]
	s_mov_b32 s0, s11
	s_cbranch_vccz .LBB80_917
; %bb.914:
	v_cmp_eq_u16_e32 vcc_lo, 46, v6
	s_mov_b32 s0, -1
	s_cbranch_vccz .LBB80_916
; %bb.915:
	v_cvt_f32_f64_e32 v2, v[0:1]
	s_mov_b32 s0, 0
	s_delay_alu instid0(VALU_DEP_1) | instskip(SKIP_1) | instid1(VALU_DEP_2)
	v_bfe_u32 v3, v2, 16, 1
	v_cmp_o_f32_e32 vcc_lo, v2, v2
	v_add3_u32 v3, v2, v3, 0x7fff
	s_delay_alu instid0(VALU_DEP_1) | instskip(NEXT) | instid1(VALU_DEP_1)
	v_lshrrev_b32_e32 v3, 16, v3
	v_cndmask_b32_e32 v2, 0x7fc0, v3, vcc_lo
	global_store_b32 v[4:5], v2, off
.LBB80_916:
	s_mov_b32 s1, 0
.LBB80_917:
	s_delay_alu instid0(SALU_CYCLE_1)
	s_and_b32 vcc_lo, exec_lo, s1
	s_cbranch_vccz .LBB80_922
; %bb.918:
	v_cmp_eq_u16_e32 vcc_lo, 44, v6
	s_mov_b32 s0, -1
	s_cbranch_vccz .LBB80_922
; %bb.919:
	v_cvt_f32_f64_e32 v2, v[0:1]
	v_mov_b32_e32 v3, 0xff
	s_mov_b32 s1, exec_lo
	s_delay_alu instid0(VALU_DEP_2) | instskip(NEXT) | instid1(VALU_DEP_1)
	v_bfe_u32 v7, v2, 23, 8
	v_cmpx_ne_u32_e32 0xff, v7
; %bb.920:
	v_and_b32_e32 v3, 0x400000, v2
	v_and_or_b32 v7, 0x3fffff, v2, v7
	v_lshrrev_b32_e32 v2, 23, v2
	s_delay_alu instid0(VALU_DEP_3) | instskip(NEXT) | instid1(VALU_DEP_3)
	v_cmp_ne_u32_e32 vcc_lo, 0, v3
	v_cmp_ne_u32_e64 s0, 0, v7
	s_delay_alu instid0(VALU_DEP_1) | instskip(NEXT) | instid1(SALU_CYCLE_1)
	s_and_b32 s0, vcc_lo, s0
	v_cndmask_b32_e64 v3, 0, 1, s0
	s_delay_alu instid0(VALU_DEP_1)
	v_add_nc_u32_e32 v3, v2, v3
; %bb.921:
	s_or_b32 exec_lo, exec_lo, s1
	s_mov_b32 s0, 0
	global_store_b8 v[4:5], v3, off
.LBB80_922:
	s_mov_b32 s1, 0
.LBB80_923:
	s_delay_alu instid0(SALU_CYCLE_1)
	s_and_b32 vcc_lo, exec_lo, s1
	s_cbranch_vccz .LBB80_926
; %bb.924:
	v_cmp_eq_u16_e32 vcc_lo, 29, v6
	s_mov_b32 s0, -1
	s_cbranch_vccz .LBB80_926
; %bb.925:
	v_trunc_f64_e32 v[2:3], v[0:1]
	s_mov_b32 s0, 0
	s_delay_alu instid0(VALU_DEP_1) | instskip(NEXT) | instid1(VALU_DEP_1)
	v_ldexp_f64 v[7:8], v[2:3], 0xffffffe0
	v_floor_f64_e32 v[7:8], v[7:8]
	s_delay_alu instid0(VALU_DEP_1) | instskip(SKIP_1) | instid1(VALU_DEP_2)
	v_fma_f64 v[2:3], 0xc1f00000, v[7:8], v[2:3]
	v_cvt_u32_f64_e32 v8, v[7:8]
	v_cvt_u32_f64_e32 v7, v[2:3]
	global_store_b64 v[4:5], v[7:8], off
.LBB80_926:
	s_mov_b32 s1, 0
.LBB80_927:
	s_delay_alu instid0(SALU_CYCLE_1)
	s_and_b32 vcc_lo, exec_lo, s1
	s_cbranch_vccz .LBB80_942
; %bb.928:
	v_cmp_gt_i16_e32 vcc_lo, 27, v6
	s_mov_b32 s1, -1
	s_cbranch_vccnz .LBB80_934
; %bb.929:
	v_cvt_u32_f64_e32 v2, v[0:1]
	v_cmp_lt_i16_e32 vcc_lo, 27, v6
	s_cbranch_vccz .LBB80_931
; %bb.930:
	s_mov_b32 s1, 0
	global_store_b32 v[4:5], v2, off
.LBB80_931:
	s_and_not1_b32 vcc_lo, exec_lo, s1
	s_cbranch_vccnz .LBB80_933
; %bb.932:
	global_store_b16 v[4:5], v2, off
.LBB80_933:
	s_mov_b32 s1, 0
.LBB80_934:
	s_delay_alu instid0(SALU_CYCLE_1)
	s_and_not1_b32 vcc_lo, exec_lo, s1
	s_cbranch_vccnz .LBB80_942
; %bb.935:
	v_cvt_f32_f64_e32 v2, v[0:1]
	v_mov_b32_e32 v7, 0x80
	s_mov_b32 s1, exec_lo
	s_delay_alu instid0(VALU_DEP_2) | instskip(NEXT) | instid1(VALU_DEP_1)
	v_and_b32_e32 v3, 0x7fffffff, v2
	v_cmpx_gt_u32_e32 0x43800000, v3
	s_cbranch_execz .LBB80_941
; %bb.936:
	v_cmp_lt_u32_e32 vcc_lo, 0x3bffffff, v3
	s_mov_b32 s2, 0
                                        ; implicit-def: $vgpr3
	s_and_saveexec_b32 s14, vcc_lo
	s_delay_alu instid0(SALU_CYCLE_1)
	s_xor_b32 s14, exec_lo, s14
	s_cbranch_execz .LBB80_1178
; %bb.937:
	v_bfe_u32 v3, v2, 20, 1
	s_mov_b32 s2, exec_lo
	s_delay_alu instid0(VALU_DEP_1) | instskip(NEXT) | instid1(VALU_DEP_1)
	v_add3_u32 v3, v2, v3, 0x487ffff
	v_lshrrev_b32_e32 v3, 20, v3
	s_or_saveexec_b32 s14, s14
                                        ; implicit-def: $sgpr15
	s_delay_alu instid0(SALU_CYCLE_1)
	s_xor_b32 exec_lo, exec_lo, s14
	s_cbranch_execnz .LBB80_1179
.LBB80_938:
	s_or_b32 exec_lo, exec_lo, s14
	v_mov_b32_e32 v7, s15
	s_and_saveexec_b32 s14, s2
.LBB80_939:
	v_lshrrev_b32_e32 v2, 24, v2
	s_delay_alu instid0(VALU_DEP_1)
	v_and_or_b32 v7, 0x80, v2, v3
.LBB80_940:
	s_or_b32 exec_lo, exec_lo, s14
.LBB80_941:
	s_delay_alu instid0(SALU_CYCLE_1)
	s_or_b32 exec_lo, exec_lo, s1
	global_store_b8 v[4:5], v7, off
.LBB80_942:
	s_mov_b32 s1, 0
.LBB80_943:
	s_delay_alu instid0(SALU_CYCLE_1)
	s_and_b32 vcc_lo, exec_lo, s1
	s_mov_b32 s14, 0
	s_cbranch_vccz .LBB80_983
; %bb.944:
	v_cmp_lt_i16_e32 vcc_lo, 22, v6
	s_mov_b32 s1, -1
	s_cbranch_vccz .LBB80_976
; %bb.945:
	v_cmp_gt_i16_e32 vcc_lo, 24, v6
	s_cbranch_vccnz .LBB80_965
; %bb.946:
	v_cmp_lt_i16_e32 vcc_lo, 24, v6
	s_cbranch_vccz .LBB80_954
; %bb.947:
	v_cvt_f32_f64_e32 v2, v[0:1]
	v_mov_b32_e32 v7, 0x80
	s_mov_b32 s1, exec_lo
	s_delay_alu instid0(VALU_DEP_2) | instskip(NEXT) | instid1(VALU_DEP_1)
	v_and_b32_e32 v3, 0x7fffffff, v2
	v_cmpx_gt_u32_e32 0x47800000, v3
	s_cbranch_execz .LBB80_953
; %bb.948:
	v_cmp_lt_u32_e32 vcc_lo, 0x37ffffff, v3
	s_mov_b32 s2, 0
                                        ; implicit-def: $vgpr3
	s_and_saveexec_b32 s15, vcc_lo
	s_delay_alu instid0(SALU_CYCLE_1)
	s_xor_b32 s15, exec_lo, s15
	s_cbranch_execz .LBB80_1222
; %bb.949:
	v_bfe_u32 v3, v2, 21, 1
	s_mov_b32 s2, exec_lo
	s_delay_alu instid0(VALU_DEP_1) | instskip(NEXT) | instid1(VALU_DEP_1)
	v_add3_u32 v3, v2, v3, 0x88fffff
	v_lshrrev_b32_e32 v3, 21, v3
	s_or_saveexec_b32 s15, s15
                                        ; implicit-def: $sgpr16
	s_delay_alu instid0(SALU_CYCLE_1)
	s_xor_b32 exec_lo, exec_lo, s15
	s_cbranch_execnz .LBB80_1223
.LBB80_950:
	s_or_b32 exec_lo, exec_lo, s15
	v_mov_b32_e32 v7, s16
	s_and_saveexec_b32 s15, s2
.LBB80_951:
	v_lshrrev_b32_e32 v2, 24, v2
	s_delay_alu instid0(VALU_DEP_1)
	v_and_or_b32 v7, 0x80, v2, v3
.LBB80_952:
	s_or_b32 exec_lo, exec_lo, s15
.LBB80_953:
	s_delay_alu instid0(SALU_CYCLE_1)
	s_or_b32 exec_lo, exec_lo, s1
	s_mov_b32 s1, 0
	global_store_b8 v[4:5], v7, off
.LBB80_954:
	s_and_b32 vcc_lo, exec_lo, s1
	s_cbranch_vccz .LBB80_964
; %bb.955:
	v_cvt_f32_f64_e32 v2, v[0:1]
	s_mov_b32 s1, exec_lo
                                        ; implicit-def: $vgpr3
	s_delay_alu instid0(VALU_DEP_1) | instskip(NEXT) | instid1(VALU_DEP_1)
	v_and_b32_e32 v7, 0x7fffffff, v2
	v_cmpx_gt_u32_e32 0x43f00000, v7
	s_xor_b32 s1, exec_lo, s1
	s_cbranch_execz .LBB80_961
; %bb.956:
	s_mov_b32 s2, exec_lo
                                        ; implicit-def: $vgpr3
	v_cmpx_lt_u32_e32 0x3c7fffff, v7
	s_xor_b32 s2, exec_lo, s2
; %bb.957:
	v_bfe_u32 v3, v2, 20, 1
	s_delay_alu instid0(VALU_DEP_1) | instskip(NEXT) | instid1(VALU_DEP_1)
	v_add3_u32 v3, v2, v3, 0x407ffff
	v_and_b32_e32 v7, 0xff00000, v3
	v_lshrrev_b32_e32 v3, 20, v3
	s_delay_alu instid0(VALU_DEP_2) | instskip(NEXT) | instid1(VALU_DEP_2)
	v_cmp_ne_u32_e32 vcc_lo, 0x7f00000, v7
	v_cndmask_b32_e32 v3, 0x7e, v3, vcc_lo
; %bb.958:
	s_and_not1_saveexec_b32 s2, s2
; %bb.959:
	v_add_f32_e64 v3, 0x46800000, |v2|
; %bb.960:
	s_or_b32 exec_lo, exec_lo, s2
                                        ; implicit-def: $vgpr7
.LBB80_961:
	s_and_not1_saveexec_b32 s1, s1
; %bb.962:
	v_mov_b32_e32 v3, 0x7f
	v_cmp_lt_u32_e32 vcc_lo, 0x7f800000, v7
	s_delay_alu instid0(VALU_DEP_2)
	v_cndmask_b32_e32 v3, 0x7e, v3, vcc_lo
; %bb.963:
	s_or_b32 exec_lo, exec_lo, s1
	v_lshrrev_b32_e32 v2, 24, v2
	s_delay_alu instid0(VALU_DEP_1)
	v_and_or_b32 v2, 0x80, v2, v3
	global_store_b8 v[4:5], v2, off
.LBB80_964:
	s_mov_b32 s1, 0
.LBB80_965:
	s_delay_alu instid0(SALU_CYCLE_1)
	s_and_not1_b32 vcc_lo, exec_lo, s1
	s_cbranch_vccnz .LBB80_975
; %bb.966:
	v_cvt_f32_f64_e32 v2, v[0:1]
	s_mov_b32 s1, exec_lo
                                        ; implicit-def: $vgpr3
	s_delay_alu instid0(VALU_DEP_1) | instskip(NEXT) | instid1(VALU_DEP_1)
	v_and_b32_e32 v7, 0x7fffffff, v2
	v_cmpx_gt_u32_e32 0x47800000, v7
	s_xor_b32 s1, exec_lo, s1
	s_cbranch_execz .LBB80_972
; %bb.967:
	s_mov_b32 s2, exec_lo
                                        ; implicit-def: $vgpr3
	v_cmpx_lt_u32_e32 0x387fffff, v7
	s_xor_b32 s2, exec_lo, s2
; %bb.968:
	v_bfe_u32 v3, v2, 21, 1
	s_delay_alu instid0(VALU_DEP_1) | instskip(NEXT) | instid1(VALU_DEP_1)
	v_add3_u32 v3, v2, v3, 0x80fffff
	v_lshrrev_b32_e32 v3, 21, v3
; %bb.969:
	s_and_not1_saveexec_b32 s2, s2
; %bb.970:
	v_add_f32_e64 v3, 0x43000000, |v2|
; %bb.971:
	s_or_b32 exec_lo, exec_lo, s2
                                        ; implicit-def: $vgpr7
.LBB80_972:
	s_and_not1_saveexec_b32 s1, s1
; %bb.973:
	v_mov_b32_e32 v3, 0x7f
	v_cmp_lt_u32_e32 vcc_lo, 0x7f800000, v7
	s_delay_alu instid0(VALU_DEP_2)
	v_cndmask_b32_e32 v3, 0x7c, v3, vcc_lo
; %bb.974:
	s_or_b32 exec_lo, exec_lo, s1
	v_lshrrev_b32_e32 v2, 24, v2
	s_delay_alu instid0(VALU_DEP_1)
	v_and_or_b32 v2, 0x80, v2, v3
	global_store_b8 v[4:5], v2, off
.LBB80_975:
	s_mov_b32 s1, 0
.LBB80_976:
	s_delay_alu instid0(SALU_CYCLE_1)
	s_and_not1_b32 vcc_lo, exec_lo, s1
	s_mov_b32 s15, 0
	s_cbranch_vccnz .LBB80_984
; %bb.977:
	v_cmp_lt_i16_e32 vcc_lo, 14, v6
	s_mov_b32 s1, -1
	s_cbranch_vccz .LBB80_981
; %bb.978:
	v_cmp_eq_u16_e32 vcc_lo, 15, v6
	s_mov_b32 s0, -1
	s_cbranch_vccz .LBB80_980
; %bb.979:
	v_cvt_f32_f64_e32 v2, v[0:1]
	s_mov_b32 s0, 0
	s_delay_alu instid0(VALU_DEP_1) | instskip(SKIP_1) | instid1(VALU_DEP_2)
	v_bfe_u32 v3, v2, 16, 1
	v_cmp_o_f32_e32 vcc_lo, v2, v2
	v_add3_u32 v3, v2, v3, 0x7fff
	s_delay_alu instid0(VALU_DEP_1) | instskip(NEXT) | instid1(VALU_DEP_1)
	v_lshrrev_b32_e32 v3, 16, v3
	v_cndmask_b32_e32 v2, 0x7fc0, v3, vcc_lo
	global_store_b16 v[4:5], v2, off
.LBB80_980:
	s_mov_b32 s1, 0
.LBB80_981:
	s_delay_alu instid0(SALU_CYCLE_1)
	s_and_b32 vcc_lo, exec_lo, s1
	s_cbranch_vccz .LBB80_984
; %bb.982:
	v_cmp_ne_u16_e32 vcc_lo, 11, v6
	s_and_not1_b32 s0, s0, exec_lo
	s_mov_b32 s15, -1
	s_and_b32 s1, vcc_lo, exec_lo
	s_delay_alu instid0(SALU_CYCLE_1)
	s_or_b32 s0, s0, s1
	s_branch .LBB80_984
.LBB80_983:
	s_mov_b32 s15, 0
.LBB80_984:
	s_and_not1_b32 s11, s11, exec_lo
	s_and_b32 s0, s0, exec_lo
	s_and_b32 s1, s14, exec_lo
	;; [unrolled: 1-line block ×3, first 2 shown]
	s_or_b32 s11, s11, s0
.LBB80_985:
	s_or_b32 exec_lo, exec_lo, s13
	s_and_saveexec_b32 s0, s11
	s_cbranch_execnz .LBB80_1047
; %bb.986:
	s_or_b32 exec_lo, exec_lo, s0
	s_and_saveexec_b32 s0, s2
	s_delay_alu instid0(SALU_CYCLE_1)
	s_xor_b32 s0, exec_lo, s0
	s_cbranch_execz .LBB80_988
.LBB80_987:
	v_cmp_neq_f64_e32 vcc_lo, 0, v[0:1]
	s_waitcnt vmcnt(0)
	v_cndmask_b32_e64 v2, 0, 1, vcc_lo
	global_store_b8 v[4:5], v2, off
.LBB80_988:
	s_or_b32 exec_lo, exec_lo, s0
	s_and_saveexec_b32 s0, s1
	s_delay_alu instid0(SALU_CYCLE_1)
	s_xor_b32 s0, exec_lo, s0
	s_cbranch_execz .LBB80_1026
; %bb.989:
	v_cmp_gt_i16_e32 vcc_lo, 5, v6
	s_mov_b32 s1, -1
	s_cbranch_vccnz .LBB80_1010
; %bb.990:
	v_cmp_gt_i16_e32 vcc_lo, 8, v6
	s_cbranch_vccnz .LBB80_1000
; %bb.991:
	v_cmp_gt_i16_e32 vcc_lo, 9, v6
	s_cbranch_vccnz .LBB80_997
; %bb.992:
	v_cmp_lt_i16_e32 vcc_lo, 9, v6
	s_cbranch_vccz .LBB80_994
; %bb.993:
	s_waitcnt vmcnt(0)
	v_mov_b32_e32 v2, 0
	s_mov_b32 s1, 0
	s_delay_alu instid0(VALU_DEP_1)
	v_mov_b32_e32 v3, v2
	global_store_b128 v[4:5], v[0:3], off
.LBB80_994:
	s_and_not1_b32 vcc_lo, exec_lo, s1
	s_cbranch_vccnz .LBB80_996
; %bb.995:
	s_waitcnt vmcnt(0)
	v_cvt_f32_f64_e32 v2, v[0:1]
	v_mov_b32_e32 v3, 0
	global_store_b64 v[4:5], v[2:3], off
.LBB80_996:
	s_mov_b32 s1, 0
.LBB80_997:
	s_delay_alu instid0(SALU_CYCLE_1)
	s_and_not1_b32 vcc_lo, exec_lo, s1
	s_cbranch_vccnz .LBB80_999
; %bb.998:
	s_waitcnt vmcnt(0)
	v_cvt_f32_f64_e32 v2, v[0:1]
	s_delay_alu instid0(VALU_DEP_1) | instskip(NEXT) | instid1(VALU_DEP_1)
	v_cvt_f16_f32_e32 v2, v2
	v_and_b32_e32 v2, 0xffff, v2
	global_store_b32 v[4:5], v2, off
.LBB80_999:
	s_mov_b32 s1, 0
.LBB80_1000:
	s_delay_alu instid0(SALU_CYCLE_1)
	s_and_not1_b32 vcc_lo, exec_lo, s1
	s_cbranch_vccnz .LBB80_1009
; %bb.1001:
	v_cmp_gt_i16_e32 vcc_lo, 6, v6
	s_mov_b32 s1, -1
	s_cbranch_vccnz .LBB80_1007
; %bb.1002:
	v_cmp_lt_i16_e32 vcc_lo, 6, v6
	s_cbranch_vccz .LBB80_1004
; %bb.1003:
	s_mov_b32 s1, 0
	global_store_b64 v[4:5], v[0:1], off
.LBB80_1004:
	s_and_not1_b32 vcc_lo, exec_lo, s1
	s_cbranch_vccnz .LBB80_1006
; %bb.1005:
	s_waitcnt vmcnt(0)
	v_cvt_f32_f64_e32 v2, v[0:1]
	global_store_b32 v[4:5], v2, off
.LBB80_1006:
	s_mov_b32 s1, 0
.LBB80_1007:
	s_delay_alu instid0(SALU_CYCLE_1)
	s_and_not1_b32 vcc_lo, exec_lo, s1
	s_cbranch_vccnz .LBB80_1009
; %bb.1008:
	s_waitcnt vmcnt(0)
	v_cvt_f32_f64_e32 v2, v[0:1]
	s_delay_alu instid0(VALU_DEP_1)
	v_cvt_f16_f32_e32 v2, v2
	global_store_b16 v[4:5], v2, off
.LBB80_1009:
	s_mov_b32 s1, 0
.LBB80_1010:
	s_delay_alu instid0(SALU_CYCLE_1)
	s_and_not1_b32 vcc_lo, exec_lo, s1
	s_cbranch_vccnz .LBB80_1026
; %bb.1011:
	v_cmp_gt_i16_e32 vcc_lo, 2, v6
	s_mov_b32 s1, -1
	s_cbranch_vccnz .LBB80_1021
; %bb.1012:
	v_cmp_gt_i16_e32 vcc_lo, 3, v6
	s_cbranch_vccnz .LBB80_1018
; %bb.1013:
	v_cmp_lt_i16_e32 vcc_lo, 3, v6
	s_cbranch_vccz .LBB80_1015
; %bb.1014:
	s_waitcnt vmcnt(0)
	v_trunc_f64_e32 v[2:3], v[0:1]
	s_mov_b32 s1, 0
	s_delay_alu instid0(VALU_DEP_1) | instskip(NEXT) | instid1(VALU_DEP_1)
	v_ldexp_f64 v[7:8], v[2:3], 0xffffffe0
	v_floor_f64_e32 v[7:8], v[7:8]
	s_delay_alu instid0(VALU_DEP_1) | instskip(SKIP_1) | instid1(VALU_DEP_2)
	v_fma_f64 v[2:3], 0xc1f00000, v[7:8], v[2:3]
	v_cvt_i32_f64_e32 v8, v[7:8]
	v_cvt_u32_f64_e32 v7, v[2:3]
	global_store_b64 v[4:5], v[7:8], off
.LBB80_1015:
	s_and_not1_b32 vcc_lo, exec_lo, s1
	s_cbranch_vccnz .LBB80_1017
; %bb.1016:
	s_waitcnt vmcnt(0)
	v_cvt_i32_f64_e32 v2, v[0:1]
	global_store_b32 v[4:5], v2, off
.LBB80_1017:
	s_mov_b32 s1, 0
.LBB80_1018:
	s_delay_alu instid0(SALU_CYCLE_1)
	s_and_not1_b32 vcc_lo, exec_lo, s1
	s_cbranch_vccnz .LBB80_1020
; %bb.1019:
	s_waitcnt vmcnt(0)
	v_cvt_i32_f64_e32 v2, v[0:1]
	global_store_b16 v[4:5], v2, off
.LBB80_1020:
	s_mov_b32 s1, 0
.LBB80_1021:
	s_delay_alu instid0(SALU_CYCLE_1)
	s_and_not1_b32 vcc_lo, exec_lo, s1
	s_cbranch_vccnz .LBB80_1026
; %bb.1022:
	v_cmp_lt_i16_e32 vcc_lo, 0, v6
	s_mov_b32 s1, -1
	s_cbranch_vccz .LBB80_1024
; %bb.1023:
	s_waitcnt vmcnt(0)
	v_cvt_i32_f64_e32 v2, v[0:1]
	s_mov_b32 s1, 0
	global_store_b8 v[4:5], v2, off
.LBB80_1024:
	s_and_not1_b32 vcc_lo, exec_lo, s1
	s_cbranch_vccnz .LBB80_1026
; %bb.1025:
	v_trunc_f64_e32 v[0:1], v[0:1]
	s_waitcnt vmcnt(0)
	s_delay_alu instid0(VALU_DEP_1) | instskip(NEXT) | instid1(VALU_DEP_1)
	v_ldexp_f64 v[2:3], v[0:1], 0xffffffe0
	v_floor_f64_e32 v[2:3], v[2:3]
	s_delay_alu instid0(VALU_DEP_1) | instskip(NEXT) | instid1(VALU_DEP_1)
	v_fma_f64 v[0:1], 0xc1f00000, v[2:3], v[0:1]
	v_cvt_u32_f64_e32 v0, v[0:1]
	global_store_b8 v[4:5], v0, off
.LBB80_1026:
	s_or_b32 exec_lo, exec_lo, s0
	s_delay_alu instid0(SALU_CYCLE_1)
	s_and_b32 s11, s12, exec_lo
                                        ; implicit-def: $vgpr11
                                        ; implicit-def: $vgpr12
                                        ; implicit-def: $vgpr10
.LBB80_1027:
	s_or_saveexec_b32 s10, s10
	s_mov_b32 s0, 0
                                        ; implicit-def: $vgpr13
                                        ; implicit-def: $vgpr4_vgpr5
                                        ; implicit-def: $vgpr0_vgpr1
	s_xor_b32 exec_lo, exec_lo, s10
	s_cbranch_execz .LBB80_1991
; %bb.1028:
	v_mul_lo_u32 v4, s9, v11
	v_cmp_gt_i16_e32 vcc_lo, 11, v12
	s_and_b32 vcc_lo, exec_lo, vcc_lo
	s_delay_alu instid0(VALU_DEP_2) | instskip(SKIP_2) | instid1(VALU_DEP_1)
	v_ashrrev_i32_e32 v0, 31, v4
	s_waitcnt vmcnt(0)
	v_add_co_u32 v2, s0, s6, v4
	v_add_co_ci_u32_e64 v3, s0, s7, v0, s0
	s_cbranch_vccnz .LBB80_1035
; %bb.1029:
	v_cmp_lt_i16_e32 vcc_lo, 25, v12
	s_mov_b32 s12, 0
	s_cbranch_vccz .LBB80_1041
; %bb.1030:
	v_cmp_lt_i16_e32 vcc_lo, 28, v12
	s_cbranch_vccz .LBB80_1043
; %bb.1031:
	v_cmp_lt_i16_e32 vcc_lo, 43, v12
	;; [unrolled: 3-line block ×3, first 2 shown]
	s_cbranch_vccz .LBB80_1049
; %bb.1033:
	v_cmp_eq_u16_e32 vcc_lo, 46, v12
	s_mov_b32 s1, 0
	s_cbranch_vccz .LBB80_1091
; %bb.1034:
	global_load_b32 v0, v[2:3], off
	s_mov_b32 s2, 0
	s_mov_b32 s0, -1
	s_waitcnt vmcnt(0)
	v_lshlrev_b32_e32 v0, 16, v0
	s_delay_alu instid0(VALU_DEP_1)
	v_cvt_f64_f32_e32 v[0:1], v0
	s_branch .LBB80_1093
.LBB80_1035:
	s_mov_b32 s0, 0
	s_mov_b32 s3, s11
                                        ; implicit-def: $vgpr0_vgpr1
	s_cbranch_execz .LBB80_1156
; %bb.1036:
	v_cmp_gt_i16_e32 vcc_lo, 5, v12
	s_cbranch_vccnz .LBB80_1042
; %bb.1037:
	v_cmp_gt_i16_e32 vcc_lo, 8, v12
	s_cbranch_vccnz .LBB80_1044
; %bb.1038:
	v_cmp_gt_i16_e32 vcc_lo, 9, v12
	s_cbranch_vccnz .LBB80_1046
; %bb.1039:
	v_cmp_lt_i16_e32 vcc_lo, 9, v12
	s_cbranch_vccz .LBB80_1050
; %bb.1040:
	global_load_b64 v[0:1], v[2:3], off
	s_mov_b32 s0, 0
	s_branch .LBB80_1051
.LBB80_1041:
	s_mov_b32 s0, 0
	s_mov_b32 s2, 0
                                        ; implicit-def: $vgpr0_vgpr1
	s_cbranch_execnz .LBB80_1123
	s_branch .LBB80_1152
.LBB80_1042:
                                        ; implicit-def: $vgpr0_vgpr1
	s_branch .LBB80_1068
.LBB80_1043:
	s_mov_b32 s1, -1
	s_mov_b32 s0, 0
	s_mov_b32 s2, 0
                                        ; implicit-def: $vgpr0_vgpr1
	s_branch .LBB80_1102
.LBB80_1044:
                                        ; implicit-def: $vgpr0_vgpr1
	s_branch .LBB80_1057
.LBB80_1045:
	s_mov_b32 s0, 0
	s_mov_b32 s2, 0
                                        ; implicit-def: $vgpr0_vgpr1
	s_cbranch_execnz .LBB80_1098
	s_branch .LBB80_1101
.LBB80_1046:
	s_mov_b32 s0, -1
                                        ; implicit-def: $vgpr0_vgpr1
	s_branch .LBB80_1054
.LBB80_1047:
	s_cbranch_execnz .LBB80_1089
; %bb.1048:
	s_or_b32 s12, s12, exec_lo
	s_and_not1_b32 s2, s2, exec_lo
	s_or_b32 exec_lo, exec_lo, s0
	s_and_saveexec_b32 s0, s2
	s_delay_alu instid0(SALU_CYCLE_1)
	s_xor_b32 s0, exec_lo, s0
	s_cbranch_execnz .LBB80_987
	s_branch .LBB80_988
.LBB80_1049:
	s_mov_b32 s1, -1
	s_mov_b32 s0, 0
	s_mov_b32 s2, 0
	s_branch .LBB80_1092
.LBB80_1050:
	s_mov_b32 s0, -1
                                        ; implicit-def: $vgpr0_vgpr1
.LBB80_1051:
	s_delay_alu instid0(SALU_CYCLE_1)
	s_and_not1_b32 vcc_lo, exec_lo, s0
	s_cbranch_vccnz .LBB80_1053
; %bb.1052:
	global_load_b32 v0, v[2:3], off
	s_waitcnt vmcnt(0)
	v_cvt_f64_f32_e32 v[0:1], v0
.LBB80_1053:
	s_mov_b32 s0, 0
.LBB80_1054:
	s_delay_alu instid0(SALU_CYCLE_1)
	s_and_not1_b32 vcc_lo, exec_lo, s0
	s_cbranch_vccnz .LBB80_1056
; %bb.1055:
	global_load_b32 v0, v[2:3], off
	s_waitcnt vmcnt(0)
	v_cvt_f32_f16_e32 v0, v0
	s_delay_alu instid0(VALU_DEP_1)
	v_cvt_f64_f32_e32 v[0:1], v0
.LBB80_1056:
	s_cbranch_execnz .LBB80_1067
.LBB80_1057:
	v_cmp_gt_i16_e32 vcc_lo, 6, v12
	s_cbranch_vccnz .LBB80_1060
; %bb.1058:
	v_cmp_lt_i16_e32 vcc_lo, 6, v12
	s_cbranch_vccz .LBB80_1061
; %bb.1059:
	global_load_b64 v[0:1], v[2:3], off
	s_mov_b32 s0, 0
	s_branch .LBB80_1062
.LBB80_1060:
	s_mov_b32 s0, -1
                                        ; implicit-def: $vgpr0_vgpr1
	s_branch .LBB80_1065
.LBB80_1061:
	s_mov_b32 s0, -1
                                        ; implicit-def: $vgpr0_vgpr1
.LBB80_1062:
	s_delay_alu instid0(SALU_CYCLE_1)
	s_and_not1_b32 vcc_lo, exec_lo, s0
	s_cbranch_vccnz .LBB80_1064
; %bb.1063:
	global_load_b32 v0, v[2:3], off
	s_waitcnt vmcnt(0)
	v_cvt_f64_f32_e32 v[0:1], v0
.LBB80_1064:
	s_mov_b32 s0, 0
.LBB80_1065:
	s_delay_alu instid0(SALU_CYCLE_1)
	s_and_not1_b32 vcc_lo, exec_lo, s0
	s_cbranch_vccnz .LBB80_1067
; %bb.1066:
	global_load_u16 v0, v[2:3], off
	s_waitcnt vmcnt(0)
	v_cvt_f32_f16_e32 v0, v0
	s_delay_alu instid0(VALU_DEP_1)
	v_cvt_f64_f32_e32 v[0:1], v0
.LBB80_1067:
	s_cbranch_execnz .LBB80_1086
.LBB80_1068:
	v_cmp_gt_i16_e32 vcc_lo, 2, v12
	s_cbranch_vccnz .LBB80_1072
; %bb.1069:
	v_cmp_gt_i16_e32 vcc_lo, 3, v12
	s_cbranch_vccnz .LBB80_1073
; %bb.1070:
	v_cmp_lt_i16_e32 vcc_lo, 3, v12
	s_cbranch_vccz .LBB80_1074
; %bb.1071:
	global_load_b64 v[0:1], v[2:3], off
	s_mov_b32 s0, 0
	s_waitcnt vmcnt(0)
	v_cvt_f64_i32_e32 v[5:6], v1
	v_cvt_f64_u32_e32 v[0:1], v0
	s_delay_alu instid0(VALU_DEP_2) | instskip(NEXT) | instid1(VALU_DEP_1)
	v_ldexp_f64 v[5:6], v[5:6], 32
	v_add_f64 v[0:1], v[5:6], v[0:1]
	s_branch .LBB80_1075
.LBB80_1072:
                                        ; implicit-def: $vgpr0_vgpr1
	s_branch .LBB80_1081
.LBB80_1073:
	s_mov_b32 s0, -1
                                        ; implicit-def: $vgpr0_vgpr1
	s_branch .LBB80_1078
.LBB80_1074:
	s_mov_b32 s0, -1
                                        ; implicit-def: $vgpr0_vgpr1
.LBB80_1075:
	s_delay_alu instid0(SALU_CYCLE_1)
	s_and_not1_b32 vcc_lo, exec_lo, s0
	s_cbranch_vccnz .LBB80_1077
; %bb.1076:
	global_load_b32 v0, v[2:3], off
	s_waitcnt vmcnt(0)
	v_cvt_f64_i32_e32 v[0:1], v0
.LBB80_1077:
	s_mov_b32 s0, 0
.LBB80_1078:
	s_delay_alu instid0(SALU_CYCLE_1)
	s_and_not1_b32 vcc_lo, exec_lo, s0
	s_cbranch_vccnz .LBB80_1080
; %bb.1079:
	global_load_i16 v0, v[2:3], off
	s_waitcnt vmcnt(0)
	v_cvt_f64_i32_e32 v[0:1], v0
.LBB80_1080:
	s_cbranch_execnz .LBB80_1086
.LBB80_1081:
	v_cmp_lt_i16_e32 vcc_lo, 0, v12
	s_mov_b32 s0, 0
	s_cbranch_vccz .LBB80_1083
; %bb.1082:
	global_load_i8 v0, v[2:3], off
	s_waitcnt vmcnt(0)
	v_cvt_f64_i32_e32 v[0:1], v0
	s_branch .LBB80_1084
.LBB80_1083:
	s_mov_b32 s0, -1
                                        ; implicit-def: $vgpr0_vgpr1
.LBB80_1084:
	s_delay_alu instid0(SALU_CYCLE_1)
	s_and_not1_b32 vcc_lo, exec_lo, s0
	s_cbranch_vccnz .LBB80_1086
; %bb.1085:
	global_load_u8 v0, v[2:3], off
	s_waitcnt vmcnt(0)
	v_cvt_f64_u32_e32 v[0:1], v0
.LBB80_1086:
                                        ; implicit-def: $vgpr2_vgpr3
	s_branch .LBB80_1157
.LBB80_1087:
	s_trap 2
	s_sendmsg_rtn_b32 s0, sendmsg(MSG_RTN_GET_DOORBELL)
	s_mov_b32 ttmp2, m0
	s_waitcnt lgkmcnt(0)
	s_and_b32 s0, s0, 0x3ff
	s_delay_alu instid0(SALU_CYCLE_1) | instskip(NEXT) | instid1(SALU_CYCLE_1)
	s_bitset1_b32 s0, 10
	s_mov_b32 m0, s0
	s_sendmsg sendmsg(MSG_INTERRUPT)
	s_mov_b32 m0, ttmp2
.LBB80_1088:                            ; =>This Inner Loop Header: Depth=1
	s_sethalt 5
	s_branch .LBB80_1088
.LBB80_1089:
	s_trap 2
	s_sendmsg_rtn_b32 s0, sendmsg(MSG_RTN_GET_DOORBELL)
	s_mov_b32 ttmp2, m0
	s_waitcnt lgkmcnt(0)
	s_and_b32 s0, s0, 0x3ff
	s_delay_alu instid0(SALU_CYCLE_1) | instskip(NEXT) | instid1(SALU_CYCLE_1)
	s_bitset1_b32 s0, 10
	s_mov_b32 m0, s0
	s_sendmsg sendmsg(MSG_INTERRUPT)
	s_mov_b32 m0, ttmp2
.LBB80_1090:                            ; =>This Inner Loop Header: Depth=1
	s_sethalt 5
	s_branch .LBB80_1090
.LBB80_1091:
	s_mov_b32 s2, -1
	s_mov_b32 s0, 0
.LBB80_1092:
                                        ; implicit-def: $vgpr0_vgpr1
.LBB80_1093:
	s_and_b32 vcc_lo, exec_lo, s1
	s_cbranch_vccz .LBB80_1096
; %bb.1094:
	v_cmp_eq_u16_e32 vcc_lo, 44, v12
	s_cbranch_vccz .LBB80_1097
; %bb.1095:
	global_load_u8 v5, v[2:3], off
	s_mov_b32 s2, 0
	s_mov_b32 s0, -1
	s_waitcnt vmcnt(0)
	v_lshlrev_b32_e32 v0, 23, v5
	v_cmp_ne_u32_e32 vcc_lo, 0xff, v5
	s_delay_alu instid0(VALU_DEP_2) | instskip(NEXT) | instid1(VALU_DEP_1)
	v_cvt_f64_f32_e32 v[0:1], v0
	v_cndmask_b32_e32 v0, 0x20000000, v0, vcc_lo
	s_delay_alu instid0(VALU_DEP_2) | instskip(SKIP_1) | instid1(VALU_DEP_2)
	v_cndmask_b32_e32 v1, 0x7ff80000, v1, vcc_lo
	v_cmp_ne_u32_e32 vcc_lo, 0, v5
	v_cndmask_b32_e32 v1, 0x38000000, v1, vcc_lo
	s_delay_alu instid0(VALU_DEP_4)
	v_cndmask_b32_e32 v0, 0, v0, vcc_lo
.LBB80_1096:
	s_branch .LBB80_1101
.LBB80_1097:
	s_mov_b32 s2, -1
                                        ; implicit-def: $vgpr0_vgpr1
	s_branch .LBB80_1101
.LBB80_1098:
	v_cmp_eq_u16_e32 vcc_lo, 29, v12
	s_cbranch_vccz .LBB80_1100
; %bb.1099:
	global_load_b64 v[0:1], v[2:3], off
	s_mov_b32 s2, 0
	s_mov_b32 s0, -1
	s_mov_b32 s1, 0
	s_waitcnt vmcnt(0)
	v_cvt_f64_u32_e32 v[5:6], v1
	v_cvt_f64_u32_e32 v[0:1], v0
	s_delay_alu instid0(VALU_DEP_2) | instskip(NEXT) | instid1(VALU_DEP_1)
	v_ldexp_f64 v[5:6], v[5:6], 32
	v_add_f64 v[0:1], v[5:6], v[0:1]
	s_branch .LBB80_1102
.LBB80_1100:
	s_mov_b32 s2, -1
                                        ; implicit-def: $vgpr0_vgpr1
.LBB80_1101:
	s_mov_b32 s1, 0
.LBB80_1102:
	s_delay_alu instid0(SALU_CYCLE_1)
	s_and_b32 vcc_lo, exec_lo, s1
	s_cbranch_vccz .LBB80_1122
; %bb.1103:
	v_cmp_gt_i16_e32 vcc_lo, 27, v12
	s_cbranch_vccnz .LBB80_1106
; %bb.1104:
	v_cmp_lt_i16_e32 vcc_lo, 27, v12
	s_cbranch_vccz .LBB80_1107
; %bb.1105:
	global_load_b32 v0, v[2:3], off
	s_mov_b32 s0, 0
	s_waitcnt vmcnt(0)
	v_cvt_f64_u32_e32 v[0:1], v0
	s_branch .LBB80_1108
.LBB80_1106:
	s_mov_b32 s0, -1
                                        ; implicit-def: $vgpr0_vgpr1
	s_branch .LBB80_1111
.LBB80_1107:
	s_mov_b32 s0, -1
                                        ; implicit-def: $vgpr0_vgpr1
.LBB80_1108:
	s_delay_alu instid0(SALU_CYCLE_1)
	s_and_not1_b32 vcc_lo, exec_lo, s0
	s_cbranch_vccnz .LBB80_1110
; %bb.1109:
	global_load_u16 v0, v[2:3], off
	s_waitcnt vmcnt(0)
	v_cvt_f64_u32_e32 v[0:1], v0
.LBB80_1110:
	s_mov_b32 s0, 0
.LBB80_1111:
	s_delay_alu instid0(SALU_CYCLE_1)
	s_and_not1_b32 vcc_lo, exec_lo, s0
	s_cbranch_vccnz .LBB80_1121
; %bb.1112:
	global_load_u8 v5, v[2:3], off
	s_mov_b32 s13, exec_lo
                                        ; implicit-def: $sgpr0_sgpr1
	s_waitcnt vmcnt(0)
	v_cmpx_lt_i16_e32 0x7f, v5
	s_xor_b32 s13, exec_lo, s13
	s_cbranch_execz .LBB80_1116
; %bb.1113:
	s_mov_b32 s14, -1
	s_mov_b32 s3, exec_lo
                                        ; implicit-def: $sgpr0_sgpr1
	v_cmpx_eq_u16_e32 0x80, v5
; %bb.1114:
	s_mov_b32 s1, 0x7ff80000
	s_brev_b32 s0, 4
	s_xor_b32 s14, exec_lo, -1
; %bb.1115:
	s_or_b32 exec_lo, exec_lo, s3
	s_delay_alu instid0(SALU_CYCLE_1)
	s_and_b32 s3, s14, exec_lo
.LBB80_1116:
	s_or_saveexec_b32 s13, s13
	v_dual_mov_b32 v0, s0 :: v_dual_mov_b32 v1, s1
	s_xor_b32 exec_lo, exec_lo, s13
; %bb.1117:
	v_cmp_ne_u16_e32 vcc_lo, 0, v5
	v_mov_b32_e32 v0, 0
	v_mov_b32_e32 v1, 0
	s_and_not1_b32 s0, s3, exec_lo
	s_and_b32 s1, vcc_lo, exec_lo
	s_delay_alu instid0(SALU_CYCLE_1)
	s_or_b32 s3, s0, s1
; %bb.1118:
	s_or_b32 exec_lo, exec_lo, s13
	s_and_saveexec_b32 s0, s3
	s_cbranch_execz .LBB80_1120
; %bb.1119:
	v_and_b32_e32 v0, 0xffff, v5
	v_lshlrev_b32_e32 v5, 24, v5
	s_delay_alu instid0(VALU_DEP_2) | instskip(NEXT) | instid1(VALU_DEP_2)
	v_and_b32_e32 v1, 7, v0
	v_and_b32_e32 v5, 0x80000000, v5
	s_delay_alu instid0(VALU_DEP_2) | instskip(NEXT) | instid1(VALU_DEP_1)
	v_clz_i32_u32_e32 v6, v1
	v_min_u32_e32 v6, 32, v6
	s_delay_alu instid0(VALU_DEP_1) | instskip(SKIP_1) | instid1(VALU_DEP_2)
	v_subrev_nc_u32_e32 v7, 28, v6
	v_sub_nc_u32_e32 v6, 29, v6
	v_lshlrev_b32_e32 v7, v7, v0
	v_bfe_u32 v0, v0, 3, 4
	s_delay_alu instid0(VALU_DEP_2) | instskip(NEXT) | instid1(VALU_DEP_2)
	v_and_b32_e32 v7, 7, v7
	v_cmp_eq_u32_e32 vcc_lo, 0, v0
	s_delay_alu instid0(VALU_DEP_2) | instskip(NEXT) | instid1(VALU_DEP_1)
	v_dual_cndmask_b32 v0, v0, v6 :: v_dual_cndmask_b32 v1, v1, v7
	v_lshl_add_u32 v0, v0, 23, 0x3b800000
	s_delay_alu instid0(VALU_DEP_2) | instskip(NEXT) | instid1(VALU_DEP_1)
	v_lshlrev_b32_e32 v1, 20, v1
	v_or3_b32 v0, v5, v0, v1
	s_delay_alu instid0(VALU_DEP_1)
	v_cvt_f64_f32_e32 v[0:1], v0
.LBB80_1120:
	s_or_b32 exec_lo, exec_lo, s0
.LBB80_1121:
	s_mov_b32 s0, -1
.LBB80_1122:
	s_branch .LBB80_1152
.LBB80_1123:
	v_cmp_lt_i16_e32 vcc_lo, 22, v12
	s_cbranch_vccz .LBB80_1135
; %bb.1124:
	v_cmp_gt_i16_e32 vcc_lo, 24, v12
	s_cbranch_vccnz .LBB80_1136
; %bb.1125:
	v_cmp_lt_i16_e32 vcc_lo, 24, v12
	s_cbranch_vccz .LBB80_1137
; %bb.1126:
	global_load_u8 v5, v[2:3], off
	s_mov_b32 s3, 0
	s_mov_b32 s12, exec_lo
                                        ; implicit-def: $sgpr0_sgpr1
	s_waitcnt vmcnt(0)
	v_cmpx_lt_i16_e32 0x7f, v5
	s_xor_b32 s12, exec_lo, s12
	s_cbranch_execz .LBB80_1130
; %bb.1127:
	s_mov_b32 s13, -1
	s_mov_b32 s3, exec_lo
                                        ; implicit-def: $sgpr0_sgpr1
	v_cmpx_eq_u16_e32 0x80, v5
; %bb.1128:
	s_mov_b32 s1, 0x7ff80000
	s_brev_b32 s0, 4
	s_xor_b32 s13, exec_lo, -1
; %bb.1129:
	s_or_b32 exec_lo, exec_lo, s3
	s_delay_alu instid0(SALU_CYCLE_1)
	s_and_b32 s3, s13, exec_lo
.LBB80_1130:
	s_or_saveexec_b32 s12, s12
	v_dual_mov_b32 v0, s0 :: v_dual_mov_b32 v1, s1
	s_xor_b32 exec_lo, exec_lo, s12
; %bb.1131:
	v_cmp_ne_u16_e32 vcc_lo, 0, v5
	v_mov_b32_e32 v0, 0
	v_mov_b32_e32 v1, 0
	s_and_not1_b32 s0, s3, exec_lo
	s_and_b32 s1, vcc_lo, exec_lo
	s_delay_alu instid0(SALU_CYCLE_1)
	s_or_b32 s3, s0, s1
; %bb.1132:
	s_or_b32 exec_lo, exec_lo, s12
	s_and_saveexec_b32 s0, s3
	s_cbranch_execz .LBB80_1134
; %bb.1133:
	v_and_b32_e32 v0, 0xffff, v5
	v_lshlrev_b32_e32 v5, 24, v5
	s_delay_alu instid0(VALU_DEP_2) | instskip(NEXT) | instid1(VALU_DEP_2)
	v_and_b32_e32 v1, 3, v0
	v_and_b32_e32 v5, 0x80000000, v5
	s_delay_alu instid0(VALU_DEP_2) | instskip(NEXT) | instid1(VALU_DEP_1)
	v_clz_i32_u32_e32 v6, v1
	v_min_u32_e32 v6, 32, v6
	s_delay_alu instid0(VALU_DEP_1) | instskip(SKIP_1) | instid1(VALU_DEP_2)
	v_subrev_nc_u32_e32 v7, 29, v6
	v_sub_nc_u32_e32 v6, 30, v6
	v_lshlrev_b32_e32 v7, v7, v0
	v_bfe_u32 v0, v0, 2, 5
	s_delay_alu instid0(VALU_DEP_2) | instskip(NEXT) | instid1(VALU_DEP_2)
	v_and_b32_e32 v7, 3, v7
	v_cmp_eq_u32_e32 vcc_lo, 0, v0
	s_delay_alu instid0(VALU_DEP_2) | instskip(NEXT) | instid1(VALU_DEP_1)
	v_dual_cndmask_b32 v0, v0, v6 :: v_dual_cndmask_b32 v1, v1, v7
	v_lshl_add_u32 v0, v0, 23, 0x37800000
	s_delay_alu instid0(VALU_DEP_2) | instskip(NEXT) | instid1(VALU_DEP_1)
	v_lshlrev_b32_e32 v1, 21, v1
	v_or3_b32 v0, v5, v0, v1
	s_delay_alu instid0(VALU_DEP_1)
	v_cvt_f64_f32_e32 v[0:1], v0
.LBB80_1134:
	s_or_b32 exec_lo, exec_lo, s0
	s_mov_b32 s0, 0
	s_branch .LBB80_1138
.LBB80_1135:
                                        ; implicit-def: $vgpr0_vgpr1
	s_mov_b32 s12, 0
	s_branch .LBB80_1144
.LBB80_1136:
	s_mov_b32 s0, -1
                                        ; implicit-def: $vgpr0_vgpr1
	s_branch .LBB80_1141
.LBB80_1137:
	s_mov_b32 s0, -1
                                        ; implicit-def: $vgpr0_vgpr1
.LBB80_1138:
	s_delay_alu instid0(SALU_CYCLE_1)
	s_and_b32 vcc_lo, exec_lo, s0
	s_cbranch_vccz .LBB80_1140
; %bb.1139:
	global_load_u8 v0, v[2:3], off
	s_waitcnt vmcnt(0)
	v_lshlrev_b32_e32 v0, 24, v0
	s_delay_alu instid0(VALU_DEP_1) | instskip(NEXT) | instid1(VALU_DEP_1)
	v_and_b32_e32 v1, 0x7f000000, v0
	v_clz_i32_u32_e32 v5, v1
	v_add_nc_u32_e32 v7, 0x1000000, v1
	v_cmp_ne_u32_e32 vcc_lo, 0, v1
	s_delay_alu instid0(VALU_DEP_3) | instskip(NEXT) | instid1(VALU_DEP_1)
	v_min_u32_e32 v5, 32, v5
	v_sub_nc_u32_e64 v5, v5, 4 clamp
	s_delay_alu instid0(VALU_DEP_1) | instskip(SKIP_1) | instid1(VALU_DEP_2)
	v_lshlrev_b32_e32 v6, v5, v1
	v_lshlrev_b32_e32 v5, 23, v5
	v_lshrrev_b32_e32 v6, 4, v6
	s_delay_alu instid0(VALU_DEP_1) | instskip(SKIP_1) | instid1(VALU_DEP_2)
	v_sub_nc_u32_e32 v5, v6, v5
	v_ashrrev_i32_e32 v6, 8, v7
	v_add_nc_u32_e32 v5, 0x3c000000, v5
	s_delay_alu instid0(VALU_DEP_1) | instskip(NEXT) | instid1(VALU_DEP_1)
	v_and_or_b32 v5, 0x7f800000, v6, v5
	v_cndmask_b32_e32 v1, 0, v5, vcc_lo
	s_delay_alu instid0(VALU_DEP_1) | instskip(NEXT) | instid1(VALU_DEP_1)
	v_and_or_b32 v0, 0x80000000, v0, v1
	v_cvt_f64_f32_e32 v[0:1], v0
.LBB80_1140:
	s_mov_b32 s0, 0
.LBB80_1141:
	s_delay_alu instid0(SALU_CYCLE_1)
	s_and_not1_b32 vcc_lo, exec_lo, s0
	s_cbranch_vccnz .LBB80_1143
; %bb.1142:
	global_load_u8 v0, v[2:3], off
	s_waitcnt vmcnt(0)
	v_lshlrev_b32_e32 v1, 25, v0
	v_lshlrev_b16 v0, 8, v0
	s_delay_alu instid0(VALU_DEP_1) | instskip(SKIP_1) | instid1(VALU_DEP_2)
	v_and_or_b32 v6, 0x7f00, v0, 0.5
	v_bfe_i32 v0, v0, 0, 16
	v_add_f32_e32 v6, -0.5, v6
	v_lshrrev_b32_e32 v5, 4, v1
	v_cmp_gt_u32_e32 vcc_lo, 0x8000000, v1
	s_delay_alu instid0(VALU_DEP_2) | instskip(NEXT) | instid1(VALU_DEP_1)
	v_or_b32_e32 v5, 0x70000000, v5
	v_mul_f32_e32 v5, 0x7800000, v5
	s_delay_alu instid0(VALU_DEP_1) | instskip(NEXT) | instid1(VALU_DEP_1)
	v_cndmask_b32_e32 v1, v5, v6, vcc_lo
	v_and_or_b32 v0, 0x80000000, v0, v1
	s_delay_alu instid0(VALU_DEP_1)
	v_cvt_f64_f32_e32 v[0:1], v0
.LBB80_1143:
	s_mov_b32 s0, -1
	s_mov_b32 s12, 0
	s_cbranch_execnz .LBB80_1152
.LBB80_1144:
	v_cmp_lt_i16_e32 vcc_lo, 14, v12
	s_cbranch_vccz .LBB80_1147
; %bb.1145:
	v_cmp_eq_u16_e32 vcc_lo, 15, v12
	s_cbranch_vccz .LBB80_1148
; %bb.1146:
	global_load_u16 v0, v[2:3], off
	s_mov_b32 s2, 0
	s_mov_b32 s0, -1
	s_waitcnt vmcnt(0)
	v_lshlrev_b32_e32 v0, 16, v0
	s_delay_alu instid0(VALU_DEP_1)
	v_cvt_f64_f32_e32 v[0:1], v0
	s_branch .LBB80_1149
.LBB80_1147:
	s_mov_b32 s1, -1
                                        ; implicit-def: $vgpr0_vgpr1
	s_branch .LBB80_1150
.LBB80_1148:
	s_mov_b32 s2, -1
                                        ; implicit-def: $vgpr0_vgpr1
.LBB80_1149:
	s_mov_b32 s1, 0
.LBB80_1150:
	s_delay_alu instid0(SALU_CYCLE_1)
	s_and_b32 vcc_lo, exec_lo, s1
	s_cbranch_vccz .LBB80_1152
; %bb.1151:
	v_cmp_ne_u16_e64 s2, 11, v12
	s_mov_b32 s12, -1
                                        ; implicit-def: $vgpr0_vgpr1
.LBB80_1152:
	s_delay_alu instid0(VALU_DEP_1)
	s_and_b32 vcc_lo, exec_lo, s2
	s_mov_b32 s3, s11
	s_cbranch_vccnz .LBB80_1176
; %bb.1153:
	s_and_not1_b32 vcc_lo, exec_lo, s12
	s_cbranch_vccnz .LBB80_1155
.LBB80_1154:
	global_load_u8 v0, v[2:3], off
	s_mov_b32 s0, -1
	s_waitcnt vmcnt(0)
	v_cmp_ne_u16_e32 vcc_lo, 0, v0
	v_mov_b32_e32 v0, 0
	v_cndmask_b32_e64 v1, 0, 0x3ff00000, vcc_lo
.LBB80_1155:
.LBB80_1156:
	s_and_not1_b32 vcc_lo, exec_lo, s0
                                        ; implicit-def: $vgpr2_vgpr3
	s_cbranch_vccnz .LBB80_1989
.LBB80_1157:
	s_lshl_b32 s2, s9, 7
	v_cmp_gt_i16_e32 vcc_lo, 11, v12
	v_add_nc_u32_e32 v4, s2, v4
	s_delay_alu instid0(VALU_DEP_1) | instskip(SKIP_1) | instid1(VALU_DEP_1)
	v_ashrrev_i32_e32 v3, 31, v4
	v_add_co_u32 v2, s0, s6, v4
	v_add_co_ci_u32_e64 v3, s0, s7, v3, s0
	s_cbranch_vccnz .LBB80_1164
; %bb.1158:
	v_cmp_lt_i16_e32 vcc_lo, 25, v12
	s_mov_b32 s12, 0
	s_cbranch_vccz .LBB80_1170
; %bb.1159:
	v_cmp_lt_i16_e32 vcc_lo, 28, v12
	s_cbranch_vccz .LBB80_1172
; %bb.1160:
	v_cmp_lt_i16_e32 vcc_lo, 43, v12
	;; [unrolled: 3-line block ×3, first 2 shown]
	s_cbranch_vccz .LBB80_1180
; %bb.1162:
	v_cmp_eq_u16_e32 vcc_lo, 46, v12
	s_mov_b32 s1, 0
	s_cbranch_vccz .LBB80_1224
; %bb.1163:
	global_load_b32 v5, v[2:3], off
	s_mov_b32 s9, 0
	s_mov_b32 s0, -1
	s_waitcnt vmcnt(0)
	v_lshlrev_b32_e32 v5, 16, v5
	s_delay_alu instid0(VALU_DEP_1)
	v_cvt_f64_f32_e32 v[8:9], v5
	s_branch .LBB80_1226
.LBB80_1164:
	s_mov_b32 s0, 0
                                        ; implicit-def: $vgpr8_vgpr9
	s_cbranch_execz .LBB80_1291
; %bb.1165:
	v_cmp_gt_i16_e32 vcc_lo, 5, v12
	s_cbranch_vccnz .LBB80_1171
; %bb.1166:
	v_cmp_gt_i16_e32 vcc_lo, 8, v12
	s_cbranch_vccnz .LBB80_1173
	;; [unrolled: 3-line block ×3, first 2 shown]
; %bb.1168:
	v_cmp_lt_i16_e32 vcc_lo, 9, v12
	s_cbranch_vccz .LBB80_1181
; %bb.1169:
	global_load_b64 v[8:9], v[2:3], off
	s_mov_b32 s0, 0
	s_branch .LBB80_1182
.LBB80_1170:
	s_mov_b32 s0, 0
	s_mov_b32 s9, 0
                                        ; implicit-def: $vgpr8_vgpr9
	s_cbranch_execnz .LBB80_1257
	s_branch .LBB80_1287
.LBB80_1171:
                                        ; implicit-def: $vgpr8_vgpr9
	s_branch .LBB80_1200
.LBB80_1172:
	s_mov_b32 s1, -1
	s_mov_b32 s0, 0
	s_mov_b32 s9, 0
                                        ; implicit-def: $vgpr8_vgpr9
	s_branch .LBB80_1236
.LBB80_1173:
	s_mov_b32 s0, -1
                                        ; implicit-def: $vgpr8_vgpr9
	s_branch .LBB80_1188
.LBB80_1174:
	s_mov_b32 s1, -1
	s_mov_b32 s0, 0
	s_mov_b32 s9, 0
                                        ; implicit-def: $vgpr8_vgpr9
	s_branch .LBB80_1231
.LBB80_1175:
	s_mov_b32 s0, -1
                                        ; implicit-def: $vgpr8_vgpr9
	s_branch .LBB80_1185
.LBB80_1176:
	s_cbranch_execnz .LBB80_1220
; %bb.1177:
	s_or_b32 s3, s11, exec_lo
                                        ; implicit-def: $vgpr0_vgpr1
	s_cbranch_execz .LBB80_1154
	s_branch .LBB80_1155
.LBB80_1178:
	s_or_saveexec_b32 s14, s14
                                        ; implicit-def: $sgpr15
	s_delay_alu instid0(SALU_CYCLE_1)
	s_xor_b32 exec_lo, exec_lo, s14
	s_cbranch_execz .LBB80_938
.LBB80_1179:
	v_add_f32_e64 v3, 0x46000000, |v2|
	s_and_not1_b32 s2, s2, exec_lo
	s_mov_b32 s15, 0
	s_delay_alu instid0(VALU_DEP_1) | instskip(NEXT) | instid1(VALU_DEP_1)
	v_and_b32_e32 v3, 0xff, v3
	v_cmp_ne_u32_e32 vcc_lo, 0, v3
	s_and_b32 s16, vcc_lo, exec_lo
	s_delay_alu instid0(SALU_CYCLE_1)
	s_or_b32 s2, s2, s16
	s_or_b32 exec_lo, exec_lo, s14
	v_mov_b32_e32 v7, s15
	s_and_saveexec_b32 s14, s2
	s_cbranch_execnz .LBB80_939
	s_branch .LBB80_940
.LBB80_1180:
	s_mov_b32 s1, -1
	s_mov_b32 s0, 0
	s_mov_b32 s9, 0
	s_branch .LBB80_1225
.LBB80_1181:
	s_mov_b32 s0, -1
                                        ; implicit-def: $vgpr8_vgpr9
.LBB80_1182:
	s_delay_alu instid0(SALU_CYCLE_1)
	s_and_not1_b32 vcc_lo, exec_lo, s0
	s_cbranch_vccnz .LBB80_1184
; %bb.1183:
	global_load_b32 v5, v[2:3], off
	s_waitcnt vmcnt(0)
	v_cvt_f64_f32_e32 v[8:9], v5
.LBB80_1184:
	s_mov_b32 s0, 0
.LBB80_1185:
	s_delay_alu instid0(SALU_CYCLE_1)
	s_and_not1_b32 vcc_lo, exec_lo, s0
	s_cbranch_vccnz .LBB80_1187
; %bb.1186:
	global_load_b32 v5, v[2:3], off
	s_waitcnt vmcnt(0)
	v_cvt_f32_f16_e32 v5, v5
	s_delay_alu instid0(VALU_DEP_1)
	v_cvt_f64_f32_e32 v[8:9], v5
.LBB80_1187:
	s_mov_b32 s0, 0
.LBB80_1188:
	s_delay_alu instid0(SALU_CYCLE_1)
	s_and_not1_b32 vcc_lo, exec_lo, s0
	s_cbranch_vccnz .LBB80_1199
; %bb.1189:
	v_cmp_gt_i16_e32 vcc_lo, 6, v12
	s_cbranch_vccnz .LBB80_1192
; %bb.1190:
	v_cmp_lt_i16_e32 vcc_lo, 6, v12
	s_cbranch_vccz .LBB80_1193
; %bb.1191:
	global_load_b64 v[8:9], v[2:3], off
	s_mov_b32 s0, 0
	s_branch .LBB80_1194
.LBB80_1192:
	s_mov_b32 s0, -1
                                        ; implicit-def: $vgpr8_vgpr9
	s_branch .LBB80_1197
.LBB80_1193:
	s_mov_b32 s0, -1
                                        ; implicit-def: $vgpr8_vgpr9
.LBB80_1194:
	s_delay_alu instid0(SALU_CYCLE_1)
	s_and_not1_b32 vcc_lo, exec_lo, s0
	s_cbranch_vccnz .LBB80_1196
; %bb.1195:
	global_load_b32 v5, v[2:3], off
	s_waitcnt vmcnt(0)
	v_cvt_f64_f32_e32 v[8:9], v5
.LBB80_1196:
	s_mov_b32 s0, 0
.LBB80_1197:
	s_delay_alu instid0(SALU_CYCLE_1)
	s_and_not1_b32 vcc_lo, exec_lo, s0
	s_cbranch_vccnz .LBB80_1199
; %bb.1198:
	global_load_u16 v5, v[2:3], off
	s_waitcnt vmcnt(0)
	v_cvt_f32_f16_e32 v5, v5
	s_delay_alu instid0(VALU_DEP_1)
	v_cvt_f64_f32_e32 v[8:9], v5
.LBB80_1199:
	s_cbranch_execnz .LBB80_1219
.LBB80_1200:
	v_cmp_gt_i16_e32 vcc_lo, 2, v12
	s_cbranch_vccnz .LBB80_1204
; %bb.1201:
	v_cmp_gt_i16_e32 vcc_lo, 3, v12
	s_cbranch_vccnz .LBB80_1205
; %bb.1202:
	v_cmp_lt_i16_e32 vcc_lo, 3, v12
	s_cbranch_vccz .LBB80_1206
; %bb.1203:
	global_load_b64 v[5:6], v[2:3], off
	s_mov_b32 s0, 0
	s_waitcnt vmcnt(0)
	v_cvt_f64_i32_e32 v[6:7], v6
	v_cvt_f64_u32_e32 v[8:9], v5
	s_delay_alu instid0(VALU_DEP_2) | instskip(NEXT) | instid1(VALU_DEP_1)
	v_ldexp_f64 v[6:7], v[6:7], 32
	v_add_f64 v[8:9], v[6:7], v[8:9]
	s_branch .LBB80_1207
.LBB80_1204:
	s_mov_b32 s0, -1
                                        ; implicit-def: $vgpr8_vgpr9
	s_branch .LBB80_1213
.LBB80_1205:
	s_mov_b32 s0, -1
                                        ; implicit-def: $vgpr8_vgpr9
	s_branch .LBB80_1210
.LBB80_1206:
	s_mov_b32 s0, -1
                                        ; implicit-def: $vgpr8_vgpr9
.LBB80_1207:
	s_delay_alu instid0(SALU_CYCLE_1)
	s_and_not1_b32 vcc_lo, exec_lo, s0
	s_cbranch_vccnz .LBB80_1209
; %bb.1208:
	global_load_b32 v5, v[2:3], off
	s_waitcnt vmcnt(0)
	v_cvt_f64_i32_e32 v[8:9], v5
.LBB80_1209:
	s_mov_b32 s0, 0
.LBB80_1210:
	s_delay_alu instid0(SALU_CYCLE_1)
	s_and_not1_b32 vcc_lo, exec_lo, s0
	s_cbranch_vccnz .LBB80_1212
; %bb.1211:
	global_load_i16 v5, v[2:3], off
	s_waitcnt vmcnt(0)
	v_cvt_f64_i32_e32 v[8:9], v5
.LBB80_1212:
	s_mov_b32 s0, 0
.LBB80_1213:
	s_delay_alu instid0(SALU_CYCLE_1)
	s_and_not1_b32 vcc_lo, exec_lo, s0
	s_cbranch_vccnz .LBB80_1219
; %bb.1214:
	v_cmp_lt_i16_e32 vcc_lo, 0, v12
	s_mov_b32 s0, 0
	s_cbranch_vccz .LBB80_1216
; %bb.1215:
	global_load_i8 v5, v[2:3], off
	s_waitcnt vmcnt(0)
	v_cvt_f64_i32_e32 v[8:9], v5
	s_branch .LBB80_1217
.LBB80_1216:
	s_mov_b32 s0, -1
                                        ; implicit-def: $vgpr8_vgpr9
.LBB80_1217:
	s_delay_alu instid0(SALU_CYCLE_1)
	s_and_not1_b32 vcc_lo, exec_lo, s0
	s_cbranch_vccnz .LBB80_1219
; %bb.1218:
	global_load_u8 v2, v[2:3], off
	s_waitcnt vmcnt(0)
	v_cvt_f64_u32_e32 v[8:9], v2
.LBB80_1219:
	s_branch .LBB80_1292
.LBB80_1220:
	s_trap 2
	s_sendmsg_rtn_b32 s0, sendmsg(MSG_RTN_GET_DOORBELL)
	s_mov_b32 ttmp2, m0
	s_waitcnt lgkmcnt(0)
	s_and_b32 s0, s0, 0x3ff
	s_delay_alu instid0(SALU_CYCLE_1) | instskip(NEXT) | instid1(SALU_CYCLE_1)
	s_bitset1_b32 s0, 10
	s_mov_b32 m0, s0
	s_sendmsg sendmsg(MSG_INTERRUPT)
	s_mov_b32 m0, ttmp2
.LBB80_1221:                            ; =>This Inner Loop Header: Depth=1
	s_sethalt 5
	s_branch .LBB80_1221
.LBB80_1222:
	s_or_saveexec_b32 s15, s15
                                        ; implicit-def: $sgpr16
	s_delay_alu instid0(SALU_CYCLE_1)
	s_xor_b32 exec_lo, exec_lo, s15
	s_cbranch_execz .LBB80_950
.LBB80_1223:
	v_add_f32_e64 v3, 0x42800000, |v2|
	s_and_not1_b32 s2, s2, exec_lo
	s_mov_b32 s16, 0
	s_delay_alu instid0(VALU_DEP_1) | instskip(NEXT) | instid1(VALU_DEP_1)
	v_and_b32_e32 v3, 0xff, v3
	v_cmp_ne_u32_e32 vcc_lo, 0, v3
	s_and_b32 s17, vcc_lo, exec_lo
	s_delay_alu instid0(SALU_CYCLE_1)
	s_or_b32 s2, s2, s17
	s_or_b32 exec_lo, exec_lo, s15
	v_mov_b32_e32 v7, s16
	s_and_saveexec_b32 s15, s2
	s_cbranch_execnz .LBB80_951
	s_branch .LBB80_952
.LBB80_1224:
	s_mov_b32 s9, -1
	s_mov_b32 s0, 0
.LBB80_1225:
                                        ; implicit-def: $vgpr8_vgpr9
.LBB80_1226:
	s_and_b32 vcc_lo, exec_lo, s1
	s_cbranch_vccz .LBB80_1230
; %bb.1227:
	v_cmp_eq_u16_e32 vcc_lo, 44, v12
	s_cbranch_vccz .LBB80_1229
; %bb.1228:
	global_load_u8 v7, v[2:3], off
	s_mov_b32 s9, 0
	s_mov_b32 s0, -1
	s_waitcnt vmcnt(0)
	v_cmp_ne_u32_e32 vcc_lo, 0xff, v7
	v_lshlrev_b32_e32 v5, 23, v7
	s_delay_alu instid0(VALU_DEP_1) | instskip(NEXT) | instid1(VALU_DEP_1)
	v_cvt_f64_f32_e32 v[5:6], v5
	v_cndmask_b32_e32 v6, 0x7ff80000, v6, vcc_lo
	s_delay_alu instid0(VALU_DEP_2) | instskip(SKIP_1) | instid1(VALU_DEP_3)
	v_cndmask_b32_e32 v5, 0x20000000, v5, vcc_lo
	v_cmp_ne_u32_e32 vcc_lo, 0, v7
	v_cndmask_b32_e32 v9, 0x38000000, v6, vcc_lo
	s_delay_alu instid0(VALU_DEP_3)
	v_cndmask_b32_e32 v8, 0, v5, vcc_lo
	s_branch .LBB80_1230
.LBB80_1229:
	s_mov_b32 s9, -1
                                        ; implicit-def: $vgpr8_vgpr9
.LBB80_1230:
	s_mov_b32 s1, 0
.LBB80_1231:
	s_delay_alu instid0(SALU_CYCLE_1)
	s_and_b32 vcc_lo, exec_lo, s1
	s_cbranch_vccz .LBB80_1235
; %bb.1232:
	v_cmp_eq_u16_e32 vcc_lo, 29, v12
	s_cbranch_vccz .LBB80_1234
; %bb.1233:
	global_load_b64 v[5:6], v[2:3], off
	s_mov_b32 s9, 0
	s_mov_b32 s0, -1
	s_mov_b32 s1, 0
	s_waitcnt vmcnt(0)
	v_cvt_f64_u32_e32 v[6:7], v6
	v_cvt_f64_u32_e32 v[8:9], v5
	s_delay_alu instid0(VALU_DEP_2) | instskip(NEXT) | instid1(VALU_DEP_1)
	v_ldexp_f64 v[6:7], v[6:7], 32
	v_add_f64 v[8:9], v[6:7], v[8:9]
	s_branch .LBB80_1236
.LBB80_1234:
	s_mov_b32 s9, -1
                                        ; implicit-def: $vgpr8_vgpr9
.LBB80_1235:
	s_mov_b32 s1, 0
.LBB80_1236:
	s_delay_alu instid0(SALU_CYCLE_1)
	s_and_b32 vcc_lo, exec_lo, s1
	s_cbranch_vccz .LBB80_1256
; %bb.1237:
	v_cmp_gt_i16_e32 vcc_lo, 27, v12
	s_cbranch_vccnz .LBB80_1240
; %bb.1238:
	v_cmp_lt_i16_e32 vcc_lo, 27, v12
	s_cbranch_vccz .LBB80_1241
; %bb.1239:
	global_load_b32 v5, v[2:3], off
	s_mov_b32 s0, 0
	s_waitcnt vmcnt(0)
	v_cvt_f64_u32_e32 v[8:9], v5
	s_branch .LBB80_1242
.LBB80_1240:
	s_mov_b32 s0, -1
                                        ; implicit-def: $vgpr8_vgpr9
	s_branch .LBB80_1245
.LBB80_1241:
	s_mov_b32 s0, -1
                                        ; implicit-def: $vgpr8_vgpr9
.LBB80_1242:
	s_delay_alu instid0(SALU_CYCLE_1)
	s_and_not1_b32 vcc_lo, exec_lo, s0
	s_cbranch_vccnz .LBB80_1244
; %bb.1243:
	global_load_u16 v5, v[2:3], off
	s_waitcnt vmcnt(0)
	v_cvt_f64_u32_e32 v[8:9], v5
.LBB80_1244:
	s_mov_b32 s0, 0
.LBB80_1245:
	s_delay_alu instid0(SALU_CYCLE_1)
	s_and_not1_b32 vcc_lo, exec_lo, s0
	s_cbranch_vccnz .LBB80_1255
; %bb.1246:
	global_load_u8 v5, v[2:3], off
	s_mov_b32 s13, 0
	s_mov_b32 s14, exec_lo
                                        ; implicit-def: $sgpr0_sgpr1
	s_waitcnt vmcnt(0)
	v_cmpx_lt_i16_e32 0x7f, v5
	s_xor_b32 s14, exec_lo, s14
	s_cbranch_execz .LBB80_1250
; %bb.1247:
	s_mov_b32 s15, -1
	s_mov_b32 s13, exec_lo
                                        ; implicit-def: $sgpr0_sgpr1
	v_cmpx_eq_u16_e32 0x80, v5
; %bb.1248:
	s_mov_b32 s1, 0x7ff80000
	s_brev_b32 s0, 4
	s_xor_b32 s15, exec_lo, -1
; %bb.1249:
	s_or_b32 exec_lo, exec_lo, s13
	s_delay_alu instid0(SALU_CYCLE_1)
	s_and_b32 s13, s15, exec_lo
.LBB80_1250:
	s_or_saveexec_b32 s14, s14
	v_dual_mov_b32 v9, s1 :: v_dual_mov_b32 v8, s0
	s_xor_b32 exec_lo, exec_lo, s14
; %bb.1251:
	v_cmp_ne_u16_e32 vcc_lo, 0, v5
	v_mov_b32_e32 v8, 0
	v_mov_b32_e32 v9, 0
	s_and_not1_b32 s0, s13, exec_lo
	s_and_b32 s1, vcc_lo, exec_lo
	s_delay_alu instid0(SALU_CYCLE_1)
	s_or_b32 s13, s0, s1
; %bb.1252:
	s_or_b32 exec_lo, exec_lo, s14
	s_and_saveexec_b32 s0, s13
	s_cbranch_execz .LBB80_1254
; %bb.1253:
	v_and_b32_e32 v6, 0xffff, v5
	v_lshlrev_b32_e32 v5, 24, v5
	s_delay_alu instid0(VALU_DEP_2) | instskip(NEXT) | instid1(VALU_DEP_2)
	v_and_b32_e32 v7, 7, v6
	v_and_b32_e32 v5, 0x80000000, v5
	s_delay_alu instid0(VALU_DEP_2) | instskip(NEXT) | instid1(VALU_DEP_1)
	v_clz_i32_u32_e32 v8, v7
	v_min_u32_e32 v8, 32, v8
	s_delay_alu instid0(VALU_DEP_1) | instskip(SKIP_1) | instid1(VALU_DEP_2)
	v_subrev_nc_u32_e32 v9, 28, v8
	v_sub_nc_u32_e32 v8, 29, v8
	v_lshlrev_b32_e32 v9, v9, v6
	v_bfe_u32 v6, v6, 3, 4
	s_delay_alu instid0(VALU_DEP_2) | instskip(NEXT) | instid1(VALU_DEP_2)
	v_and_b32_e32 v9, 7, v9
	v_cmp_eq_u32_e32 vcc_lo, 0, v6
	s_delay_alu instid0(VALU_DEP_2) | instskip(NEXT) | instid1(VALU_DEP_1)
	v_dual_cndmask_b32 v6, v6, v8 :: v_dual_cndmask_b32 v7, v7, v9
	v_lshl_add_u32 v6, v6, 23, 0x3b800000
	s_delay_alu instid0(VALU_DEP_2) | instskip(NEXT) | instid1(VALU_DEP_1)
	v_lshlrev_b32_e32 v7, 20, v7
	v_or3_b32 v5, v5, v6, v7
	s_delay_alu instid0(VALU_DEP_1)
	v_cvt_f64_f32_e32 v[8:9], v5
.LBB80_1254:
	s_or_b32 exec_lo, exec_lo, s0
.LBB80_1255:
	s_mov_b32 s0, -1
.LBB80_1256:
	s_branch .LBB80_1287
.LBB80_1257:
	v_cmp_lt_i16_e32 vcc_lo, 22, v12
	s_cbranch_vccz .LBB80_1269
; %bb.1258:
	v_cmp_gt_i16_e32 vcc_lo, 24, v12
	s_cbranch_vccnz .LBB80_1270
; %bb.1259:
	v_cmp_lt_i16_e32 vcc_lo, 24, v12
	s_cbranch_vccz .LBB80_1271
; %bb.1260:
	global_load_u8 v5, v[2:3], off
	s_mov_b32 s13, exec_lo
                                        ; implicit-def: $sgpr0_sgpr1
	s_waitcnt vmcnt(0)
	v_cmpx_lt_i16_e32 0x7f, v5
	s_xor_b32 s13, exec_lo, s13
	s_cbranch_execz .LBB80_1264
; %bb.1261:
	s_mov_b32 s14, -1
	s_mov_b32 s12, exec_lo
                                        ; implicit-def: $sgpr0_sgpr1
	v_cmpx_eq_u16_e32 0x80, v5
; %bb.1262:
	s_mov_b32 s1, 0x7ff80000
	s_brev_b32 s0, 4
	s_xor_b32 s14, exec_lo, -1
; %bb.1263:
	s_or_b32 exec_lo, exec_lo, s12
	s_delay_alu instid0(SALU_CYCLE_1)
	s_and_b32 s12, s14, exec_lo
.LBB80_1264:
	s_or_saveexec_b32 s13, s13
	v_dual_mov_b32 v9, s1 :: v_dual_mov_b32 v8, s0
	s_xor_b32 exec_lo, exec_lo, s13
; %bb.1265:
	v_cmp_ne_u16_e32 vcc_lo, 0, v5
	v_mov_b32_e32 v8, 0
	v_mov_b32_e32 v9, 0
	s_and_not1_b32 s0, s12, exec_lo
	s_and_b32 s1, vcc_lo, exec_lo
	s_delay_alu instid0(SALU_CYCLE_1)
	s_or_b32 s12, s0, s1
; %bb.1266:
	s_or_b32 exec_lo, exec_lo, s13
	s_and_saveexec_b32 s0, s12
	s_cbranch_execz .LBB80_1268
; %bb.1267:
	v_and_b32_e32 v6, 0xffff, v5
	v_lshlrev_b32_e32 v5, 24, v5
	s_delay_alu instid0(VALU_DEP_2) | instskip(NEXT) | instid1(VALU_DEP_2)
	v_and_b32_e32 v7, 3, v6
	v_and_b32_e32 v5, 0x80000000, v5
	s_delay_alu instid0(VALU_DEP_2) | instskip(NEXT) | instid1(VALU_DEP_1)
	v_clz_i32_u32_e32 v8, v7
	v_min_u32_e32 v8, 32, v8
	s_delay_alu instid0(VALU_DEP_1) | instskip(SKIP_1) | instid1(VALU_DEP_2)
	v_subrev_nc_u32_e32 v9, 29, v8
	v_sub_nc_u32_e32 v8, 30, v8
	v_lshlrev_b32_e32 v9, v9, v6
	v_bfe_u32 v6, v6, 2, 5
	s_delay_alu instid0(VALU_DEP_2) | instskip(NEXT) | instid1(VALU_DEP_2)
	v_and_b32_e32 v9, 3, v9
	v_cmp_eq_u32_e32 vcc_lo, 0, v6
	s_delay_alu instid0(VALU_DEP_2) | instskip(NEXT) | instid1(VALU_DEP_1)
	v_dual_cndmask_b32 v6, v6, v8 :: v_dual_cndmask_b32 v7, v7, v9
	v_lshl_add_u32 v6, v6, 23, 0x37800000
	s_delay_alu instid0(VALU_DEP_2) | instskip(NEXT) | instid1(VALU_DEP_1)
	v_lshlrev_b32_e32 v7, 21, v7
	v_or3_b32 v5, v5, v6, v7
	s_delay_alu instid0(VALU_DEP_1)
	v_cvt_f64_f32_e32 v[8:9], v5
.LBB80_1268:
	s_or_b32 exec_lo, exec_lo, s0
	s_mov_b32 s0, 0
	s_branch .LBB80_1272
.LBB80_1269:
	s_mov_b32 s1, -1
                                        ; implicit-def: $vgpr8_vgpr9
	s_branch .LBB80_1278
.LBB80_1270:
	s_mov_b32 s0, -1
                                        ; implicit-def: $vgpr8_vgpr9
	s_branch .LBB80_1275
.LBB80_1271:
	s_mov_b32 s0, -1
                                        ; implicit-def: $vgpr8_vgpr9
.LBB80_1272:
	s_delay_alu instid0(SALU_CYCLE_1)
	s_and_b32 vcc_lo, exec_lo, s0
	s_cbranch_vccz .LBB80_1274
; %bb.1273:
	global_load_u8 v5, v[2:3], off
	s_waitcnt vmcnt(0)
	v_lshlrev_b32_e32 v5, 24, v5
	s_delay_alu instid0(VALU_DEP_1) | instskip(NEXT) | instid1(VALU_DEP_1)
	v_and_b32_e32 v6, 0x7f000000, v5
	v_clz_i32_u32_e32 v7, v6
	v_add_nc_u32_e32 v9, 0x1000000, v6
	v_cmp_ne_u32_e32 vcc_lo, 0, v6
	s_delay_alu instid0(VALU_DEP_3) | instskip(NEXT) | instid1(VALU_DEP_1)
	v_min_u32_e32 v7, 32, v7
	v_sub_nc_u32_e64 v7, v7, 4 clamp
	s_delay_alu instid0(VALU_DEP_1) | instskip(SKIP_1) | instid1(VALU_DEP_2)
	v_lshlrev_b32_e32 v8, v7, v6
	v_lshlrev_b32_e32 v7, 23, v7
	v_lshrrev_b32_e32 v8, 4, v8
	s_delay_alu instid0(VALU_DEP_1) | instskip(SKIP_1) | instid1(VALU_DEP_2)
	v_sub_nc_u32_e32 v7, v8, v7
	v_ashrrev_i32_e32 v8, 8, v9
	v_add_nc_u32_e32 v7, 0x3c000000, v7
	s_delay_alu instid0(VALU_DEP_1) | instskip(NEXT) | instid1(VALU_DEP_1)
	v_and_or_b32 v7, 0x7f800000, v8, v7
	v_cndmask_b32_e32 v6, 0, v7, vcc_lo
	s_delay_alu instid0(VALU_DEP_1) | instskip(NEXT) | instid1(VALU_DEP_1)
	v_and_or_b32 v5, 0x80000000, v5, v6
	v_cvt_f64_f32_e32 v[8:9], v5
.LBB80_1274:
	s_mov_b32 s0, 0
.LBB80_1275:
	s_delay_alu instid0(SALU_CYCLE_1)
	s_and_not1_b32 vcc_lo, exec_lo, s0
	s_cbranch_vccnz .LBB80_1277
; %bb.1276:
	global_load_u8 v5, v[2:3], off
	s_waitcnt vmcnt(0)
	v_lshlrev_b32_e32 v6, 25, v5
	v_lshlrev_b16 v5, 8, v5
	s_delay_alu instid0(VALU_DEP_2) | instskip(NEXT) | instid1(VALU_DEP_2)
	v_lshrrev_b32_e32 v7, 4, v6
	v_and_or_b32 v8, 0x7f00, v5, 0.5
	v_bfe_i32 v5, v5, 0, 16
	s_delay_alu instid0(VALU_DEP_3) | instskip(NEXT) | instid1(VALU_DEP_1)
	v_or_b32_e32 v7, 0x70000000, v7
	v_dual_add_f32 v8, -0.5, v8 :: v_dual_mul_f32 v7, 0x7800000, v7
	v_cmp_gt_u32_e32 vcc_lo, 0x8000000, v6
	s_delay_alu instid0(VALU_DEP_2) | instskip(NEXT) | instid1(VALU_DEP_1)
	v_cndmask_b32_e32 v6, v7, v8, vcc_lo
	v_and_or_b32 v5, 0x80000000, v5, v6
	s_delay_alu instid0(VALU_DEP_1)
	v_cvt_f64_f32_e32 v[8:9], v5
.LBB80_1277:
	s_mov_b32 s1, 0
	s_mov_b32 s0, -1
.LBB80_1278:
	s_and_not1_b32 vcc_lo, exec_lo, s1
	s_mov_b32 s12, 0
	s_cbranch_vccnz .LBB80_1287
; %bb.1279:
	v_cmp_lt_i16_e32 vcc_lo, 14, v12
	s_cbranch_vccz .LBB80_1282
; %bb.1280:
	v_cmp_eq_u16_e32 vcc_lo, 15, v12
	s_cbranch_vccz .LBB80_1283
; %bb.1281:
	global_load_u16 v5, v[2:3], off
	s_mov_b32 s9, 0
	s_mov_b32 s0, -1
	s_waitcnt vmcnt(0)
	v_lshlrev_b32_e32 v5, 16, v5
	s_delay_alu instid0(VALU_DEP_1)
	v_cvt_f64_f32_e32 v[8:9], v5
	s_branch .LBB80_1284
.LBB80_1282:
	s_mov_b32 s1, -1
                                        ; implicit-def: $vgpr8_vgpr9
	s_branch .LBB80_1285
.LBB80_1283:
	s_mov_b32 s9, -1
                                        ; implicit-def: $vgpr8_vgpr9
.LBB80_1284:
	s_mov_b32 s1, 0
.LBB80_1285:
	s_delay_alu instid0(SALU_CYCLE_1)
	s_and_b32 vcc_lo, exec_lo, s1
	s_cbranch_vccz .LBB80_1287
; %bb.1286:
	v_cmp_ne_u16_e64 s9, 11, v12
	s_mov_b32 s12, -1
                                        ; implicit-def: $vgpr8_vgpr9
.LBB80_1287:
	s_delay_alu instid0(VALU_DEP_1)
	s_and_b32 vcc_lo, exec_lo, s9
	s_cbranch_vccnz .LBB80_1311
; %bb.1288:
	s_and_not1_b32 vcc_lo, exec_lo, s12
	s_cbranch_vccnz .LBB80_1290
.LBB80_1289:
	global_load_u8 v5, v[2:3], off
	v_mov_b32_e32 v8, 0
	s_mov_b32 s0, -1
	s_waitcnt vmcnt(0)
	v_cmp_ne_u16_e32 vcc_lo, 0, v5
	v_cndmask_b32_e64 v9, 0, 0x3ff00000, vcc_lo
.LBB80_1290:
.LBB80_1291:
	s_and_not1_b32 vcc_lo, exec_lo, s0
	s_cbranch_vccnz .LBB80_1989
.LBB80_1292:
	v_add_nc_u32_e32 v4, s2, v4
	v_cmp_gt_i16_e32 vcc_lo, 11, v12
	s_delay_alu instid0(VALU_DEP_2) | instskip(SKIP_1) | instid1(VALU_DEP_1)
	v_ashrrev_i32_e32 v3, 31, v4
	v_add_co_u32 v2, s0, s6, v4
	v_add_co_ci_u32_e64 v3, s0, s7, v3, s0
	s_cbranch_vccnz .LBB80_1299
; %bb.1293:
	v_cmp_lt_i16_e32 vcc_lo, 25, v12
	s_mov_b32 s12, 0
	s_cbranch_vccz .LBB80_1305
; %bb.1294:
	v_cmp_lt_i16_e32 vcc_lo, 28, v12
	s_cbranch_vccz .LBB80_1307
; %bb.1295:
	v_cmp_lt_i16_e32 vcc_lo, 43, v12
	;; [unrolled: 3-line block ×3, first 2 shown]
	s_cbranch_vccz .LBB80_1313
; %bb.1297:
	v_cmp_eq_u16_e32 vcc_lo, 46, v12
	s_mov_b32 s1, 0
	s_cbranch_vccz .LBB80_1356
; %bb.1298:
	global_load_b32 v5, v[2:3], off
	s_mov_b32 s9, 0
	s_mov_b32 s0, -1
	s_waitcnt vmcnt(0)
	v_lshlrev_b32_e32 v5, 16, v5
	s_delay_alu instid0(VALU_DEP_1)
	v_cvt_f64_f32_e32 v[6:7], v5
	s_branch .LBB80_1358
.LBB80_1299:
	s_mov_b32 s0, 0
                                        ; implicit-def: $vgpr6_vgpr7
	s_cbranch_execz .LBB80_1424
; %bb.1300:
	v_cmp_gt_i16_e32 vcc_lo, 5, v12
	s_cbranch_vccnz .LBB80_1306
; %bb.1301:
	v_cmp_gt_i16_e32 vcc_lo, 8, v12
	s_cbranch_vccnz .LBB80_1308
	;; [unrolled: 3-line block ×3, first 2 shown]
; %bb.1303:
	v_cmp_lt_i16_e32 vcc_lo, 9, v12
	s_cbranch_vccz .LBB80_1314
; %bb.1304:
	global_load_b64 v[6:7], v[2:3], off
	s_mov_b32 s0, 0
	s_branch .LBB80_1315
.LBB80_1305:
	s_mov_b32 s1, -1
	s_mov_b32 s0, 0
	s_mov_b32 s9, 0
                                        ; implicit-def: $vgpr6_vgpr7
	s_branch .LBB80_1389
.LBB80_1306:
	s_mov_b32 s0, -1
                                        ; implicit-def: $vgpr6_vgpr7
	s_branch .LBB80_1333
.LBB80_1307:
	s_mov_b32 s1, -1
	s_mov_b32 s0, 0
	s_mov_b32 s9, 0
                                        ; implicit-def: $vgpr6_vgpr7
	s_branch .LBB80_1368
.LBB80_1308:
	s_mov_b32 s0, -1
                                        ; implicit-def: $vgpr6_vgpr7
	s_branch .LBB80_1321
.LBB80_1309:
	s_mov_b32 s1, -1
	s_mov_b32 s0, 0
	s_mov_b32 s9, 0
                                        ; implicit-def: $vgpr6_vgpr7
	s_branch .LBB80_1363
.LBB80_1310:
	s_mov_b32 s0, -1
                                        ; implicit-def: $vgpr6_vgpr7
	s_branch .LBB80_1318
.LBB80_1311:
	s_cbranch_execnz .LBB80_1354
; %bb.1312:
	s_or_b32 s3, s3, exec_lo
                                        ; implicit-def: $vgpr8_vgpr9
	s_cbranch_execz .LBB80_1289
	s_branch .LBB80_1290
.LBB80_1313:
	s_mov_b32 s1, -1
	s_mov_b32 s0, 0
	s_mov_b32 s9, 0
	s_branch .LBB80_1357
.LBB80_1314:
	s_mov_b32 s0, -1
                                        ; implicit-def: $vgpr6_vgpr7
.LBB80_1315:
	s_delay_alu instid0(SALU_CYCLE_1)
	s_and_not1_b32 vcc_lo, exec_lo, s0
	s_cbranch_vccnz .LBB80_1317
; %bb.1316:
	global_load_b32 v5, v[2:3], off
	s_waitcnt vmcnt(0)
	v_cvt_f64_f32_e32 v[6:7], v5
.LBB80_1317:
	s_mov_b32 s0, 0
.LBB80_1318:
	s_delay_alu instid0(SALU_CYCLE_1)
	s_and_not1_b32 vcc_lo, exec_lo, s0
	s_cbranch_vccnz .LBB80_1320
; %bb.1319:
	global_load_b32 v5, v[2:3], off
	s_waitcnt vmcnt(0)
	v_cvt_f32_f16_e32 v5, v5
	s_delay_alu instid0(VALU_DEP_1)
	v_cvt_f64_f32_e32 v[6:7], v5
.LBB80_1320:
	s_mov_b32 s0, 0
.LBB80_1321:
	s_delay_alu instid0(SALU_CYCLE_1)
	s_and_not1_b32 vcc_lo, exec_lo, s0
	s_cbranch_vccnz .LBB80_1332
; %bb.1322:
	v_cmp_gt_i16_e32 vcc_lo, 6, v12
	s_cbranch_vccnz .LBB80_1325
; %bb.1323:
	v_cmp_lt_i16_e32 vcc_lo, 6, v12
	s_cbranch_vccz .LBB80_1326
; %bb.1324:
	global_load_b64 v[6:7], v[2:3], off
	s_mov_b32 s0, 0
	s_branch .LBB80_1327
.LBB80_1325:
	s_mov_b32 s0, -1
                                        ; implicit-def: $vgpr6_vgpr7
	s_branch .LBB80_1330
.LBB80_1326:
	s_mov_b32 s0, -1
                                        ; implicit-def: $vgpr6_vgpr7
.LBB80_1327:
	s_delay_alu instid0(SALU_CYCLE_1)
	s_and_not1_b32 vcc_lo, exec_lo, s0
	s_cbranch_vccnz .LBB80_1329
; %bb.1328:
	global_load_b32 v5, v[2:3], off
	s_waitcnt vmcnt(0)
	v_cvt_f64_f32_e32 v[6:7], v5
.LBB80_1329:
	s_mov_b32 s0, 0
.LBB80_1330:
	s_delay_alu instid0(SALU_CYCLE_1)
	s_and_not1_b32 vcc_lo, exec_lo, s0
	s_cbranch_vccnz .LBB80_1332
; %bb.1331:
	global_load_u16 v5, v[2:3], off
	s_waitcnt vmcnt(0)
	v_cvt_f32_f16_e32 v5, v5
	s_delay_alu instid0(VALU_DEP_1)
	v_cvt_f64_f32_e32 v[6:7], v5
.LBB80_1332:
	s_mov_b32 s0, 0
.LBB80_1333:
	s_delay_alu instid0(SALU_CYCLE_1)
	s_and_not1_b32 vcc_lo, exec_lo, s0
	s_cbranch_vccnz .LBB80_1353
; %bb.1334:
	v_cmp_gt_i16_e32 vcc_lo, 2, v12
	s_cbranch_vccnz .LBB80_1338
; %bb.1335:
	v_cmp_gt_i16_e32 vcc_lo, 3, v12
	s_cbranch_vccnz .LBB80_1339
; %bb.1336:
	v_cmp_lt_i16_e32 vcc_lo, 3, v12
	s_cbranch_vccz .LBB80_1340
; %bb.1337:
	global_load_b64 v[5:6], v[2:3], off
	s_mov_b32 s0, 0
	s_waitcnt vmcnt(0)
	v_cvt_f64_i32_e32 v[6:7], v6
	v_cvt_f64_u32_e32 v[13:14], v5
	s_delay_alu instid0(VALU_DEP_2) | instskip(NEXT) | instid1(VALU_DEP_1)
	v_ldexp_f64 v[6:7], v[6:7], 32
	v_add_f64 v[6:7], v[6:7], v[13:14]
	s_branch .LBB80_1341
.LBB80_1338:
	s_mov_b32 s0, -1
                                        ; implicit-def: $vgpr6_vgpr7
	s_branch .LBB80_1347
.LBB80_1339:
	s_mov_b32 s0, -1
                                        ; implicit-def: $vgpr6_vgpr7
	s_branch .LBB80_1344
.LBB80_1340:
	s_mov_b32 s0, -1
                                        ; implicit-def: $vgpr6_vgpr7
.LBB80_1341:
	s_delay_alu instid0(SALU_CYCLE_1)
	s_and_not1_b32 vcc_lo, exec_lo, s0
	s_cbranch_vccnz .LBB80_1343
; %bb.1342:
	global_load_b32 v5, v[2:3], off
	s_waitcnt vmcnt(0)
	v_cvt_f64_i32_e32 v[6:7], v5
.LBB80_1343:
	s_mov_b32 s0, 0
.LBB80_1344:
	s_delay_alu instid0(SALU_CYCLE_1)
	s_and_not1_b32 vcc_lo, exec_lo, s0
	s_cbranch_vccnz .LBB80_1346
; %bb.1345:
	global_load_i16 v5, v[2:3], off
	s_waitcnt vmcnt(0)
	v_cvt_f64_i32_e32 v[6:7], v5
.LBB80_1346:
	s_mov_b32 s0, 0
.LBB80_1347:
	s_delay_alu instid0(SALU_CYCLE_1)
	s_and_not1_b32 vcc_lo, exec_lo, s0
	s_cbranch_vccnz .LBB80_1353
; %bb.1348:
	v_cmp_lt_i16_e32 vcc_lo, 0, v12
	s_mov_b32 s0, 0
	s_cbranch_vccz .LBB80_1350
; %bb.1349:
	global_load_i8 v5, v[2:3], off
	s_waitcnt vmcnt(0)
	v_cvt_f64_i32_e32 v[6:7], v5
	s_branch .LBB80_1351
.LBB80_1350:
	s_mov_b32 s0, -1
                                        ; implicit-def: $vgpr6_vgpr7
.LBB80_1351:
	s_delay_alu instid0(SALU_CYCLE_1)
	s_and_not1_b32 vcc_lo, exec_lo, s0
	s_cbranch_vccnz .LBB80_1353
; %bb.1352:
	global_load_u8 v2, v[2:3], off
	s_waitcnt vmcnt(0)
	v_cvt_f64_u32_e32 v[6:7], v2
.LBB80_1353:
	s_branch .LBB80_1425
.LBB80_1354:
	s_trap 2
	s_sendmsg_rtn_b32 s0, sendmsg(MSG_RTN_GET_DOORBELL)
	s_mov_b32 ttmp2, m0
	s_waitcnt lgkmcnt(0)
	s_and_b32 s0, s0, 0x3ff
	s_delay_alu instid0(SALU_CYCLE_1) | instskip(NEXT) | instid1(SALU_CYCLE_1)
	s_bitset1_b32 s0, 10
	s_mov_b32 m0, s0
	s_sendmsg sendmsg(MSG_INTERRUPT)
	s_mov_b32 m0, ttmp2
.LBB80_1355:                            ; =>This Inner Loop Header: Depth=1
	s_sethalt 5
	s_branch .LBB80_1355
.LBB80_1356:
	s_mov_b32 s9, -1
	s_mov_b32 s0, 0
.LBB80_1357:
                                        ; implicit-def: $vgpr6_vgpr7
.LBB80_1358:
	s_and_b32 vcc_lo, exec_lo, s1
	s_cbranch_vccz .LBB80_1362
; %bb.1359:
	v_cmp_eq_u16_e32 vcc_lo, 44, v12
	s_cbranch_vccz .LBB80_1361
; %bb.1360:
	global_load_u8 v7, v[2:3], off
	s_mov_b32 s9, 0
	s_mov_b32 s0, -1
	s_waitcnt vmcnt(0)
	v_cmp_ne_u32_e32 vcc_lo, 0xff, v7
	v_lshlrev_b32_e32 v5, 23, v7
	s_delay_alu instid0(VALU_DEP_1) | instskip(NEXT) | instid1(VALU_DEP_1)
	v_cvt_f64_f32_e32 v[5:6], v5
	v_cndmask_b32_e32 v6, 0x7ff80000, v6, vcc_lo
	s_delay_alu instid0(VALU_DEP_2) | instskip(SKIP_1) | instid1(VALU_DEP_3)
	v_cndmask_b32_e32 v5, 0x20000000, v5, vcc_lo
	v_cmp_ne_u32_e32 vcc_lo, 0, v7
	v_cndmask_b32_e32 v7, 0x38000000, v6, vcc_lo
	s_delay_alu instid0(VALU_DEP_3)
	v_cndmask_b32_e32 v6, 0, v5, vcc_lo
	s_branch .LBB80_1362
.LBB80_1361:
	s_mov_b32 s9, -1
                                        ; implicit-def: $vgpr6_vgpr7
.LBB80_1362:
	s_mov_b32 s1, 0
.LBB80_1363:
	s_delay_alu instid0(SALU_CYCLE_1)
	s_and_b32 vcc_lo, exec_lo, s1
	s_cbranch_vccz .LBB80_1367
; %bb.1364:
	v_cmp_eq_u16_e32 vcc_lo, 29, v12
	s_cbranch_vccz .LBB80_1366
; %bb.1365:
	global_load_b64 v[5:6], v[2:3], off
	s_mov_b32 s9, 0
	s_mov_b32 s0, -1
	s_mov_b32 s1, 0
	s_waitcnt vmcnt(0)
	v_cvt_f64_u32_e32 v[6:7], v6
	v_cvt_f64_u32_e32 v[13:14], v5
	s_delay_alu instid0(VALU_DEP_2) | instskip(NEXT) | instid1(VALU_DEP_1)
	v_ldexp_f64 v[6:7], v[6:7], 32
	v_add_f64 v[6:7], v[6:7], v[13:14]
	s_branch .LBB80_1368
.LBB80_1366:
	s_mov_b32 s9, -1
                                        ; implicit-def: $vgpr6_vgpr7
.LBB80_1367:
	s_mov_b32 s1, 0
.LBB80_1368:
	s_delay_alu instid0(SALU_CYCLE_1)
	s_and_b32 vcc_lo, exec_lo, s1
	s_cbranch_vccz .LBB80_1388
; %bb.1369:
	v_cmp_gt_i16_e32 vcc_lo, 27, v12
	s_cbranch_vccnz .LBB80_1372
; %bb.1370:
	v_cmp_lt_i16_e32 vcc_lo, 27, v12
	s_cbranch_vccz .LBB80_1373
; %bb.1371:
	global_load_b32 v5, v[2:3], off
	s_mov_b32 s0, 0
	s_waitcnt vmcnt(0)
	v_cvt_f64_u32_e32 v[6:7], v5
	s_branch .LBB80_1374
.LBB80_1372:
	s_mov_b32 s0, -1
                                        ; implicit-def: $vgpr6_vgpr7
	s_branch .LBB80_1377
.LBB80_1373:
	s_mov_b32 s0, -1
                                        ; implicit-def: $vgpr6_vgpr7
.LBB80_1374:
	s_delay_alu instid0(SALU_CYCLE_1)
	s_and_not1_b32 vcc_lo, exec_lo, s0
	s_cbranch_vccnz .LBB80_1376
; %bb.1375:
	global_load_u16 v5, v[2:3], off
	s_waitcnt vmcnt(0)
	v_cvt_f64_u32_e32 v[6:7], v5
.LBB80_1376:
	s_mov_b32 s0, 0
.LBB80_1377:
	s_delay_alu instid0(SALU_CYCLE_1)
	s_and_not1_b32 vcc_lo, exec_lo, s0
	s_cbranch_vccnz .LBB80_1387
; %bb.1378:
	global_load_u8 v5, v[2:3], off
	s_mov_b32 s13, 0
	s_mov_b32 s14, exec_lo
                                        ; implicit-def: $sgpr0_sgpr1
	s_waitcnt vmcnt(0)
	v_cmpx_lt_i16_e32 0x7f, v5
	s_xor_b32 s14, exec_lo, s14
	s_cbranch_execz .LBB80_1382
; %bb.1379:
	s_mov_b32 s15, -1
	s_mov_b32 s13, exec_lo
                                        ; implicit-def: $sgpr0_sgpr1
	v_cmpx_eq_u16_e32 0x80, v5
; %bb.1380:
	s_mov_b32 s1, 0x7ff80000
	s_brev_b32 s0, 4
	s_xor_b32 s15, exec_lo, -1
; %bb.1381:
	s_or_b32 exec_lo, exec_lo, s13
	s_delay_alu instid0(SALU_CYCLE_1)
	s_and_b32 s13, s15, exec_lo
.LBB80_1382:
	s_or_saveexec_b32 s14, s14
	v_dual_mov_b32 v7, s1 :: v_dual_mov_b32 v6, s0
	s_xor_b32 exec_lo, exec_lo, s14
; %bb.1383:
	v_cmp_ne_u16_e32 vcc_lo, 0, v5
	v_mov_b32_e32 v6, 0
	v_mov_b32_e32 v7, 0
	s_and_not1_b32 s0, s13, exec_lo
	s_and_b32 s1, vcc_lo, exec_lo
	s_delay_alu instid0(SALU_CYCLE_1)
	s_or_b32 s13, s0, s1
; %bb.1384:
	s_or_b32 exec_lo, exec_lo, s14
	s_and_saveexec_b32 s0, s13
	s_cbranch_execz .LBB80_1386
; %bb.1385:
	v_and_b32_e32 v6, 0xffff, v5
	v_lshlrev_b32_e32 v5, 24, v5
	s_delay_alu instid0(VALU_DEP_2) | instskip(NEXT) | instid1(VALU_DEP_2)
	v_and_b32_e32 v7, 7, v6
	v_and_b32_e32 v5, 0x80000000, v5
	s_delay_alu instid0(VALU_DEP_2) | instskip(NEXT) | instid1(VALU_DEP_1)
	v_clz_i32_u32_e32 v13, v7
	v_min_u32_e32 v13, 32, v13
	s_delay_alu instid0(VALU_DEP_1) | instskip(SKIP_1) | instid1(VALU_DEP_2)
	v_subrev_nc_u32_e32 v14, 28, v13
	v_sub_nc_u32_e32 v13, 29, v13
	v_lshlrev_b32_e32 v14, v14, v6
	v_bfe_u32 v6, v6, 3, 4
	s_delay_alu instid0(VALU_DEP_2) | instskip(NEXT) | instid1(VALU_DEP_2)
	v_and_b32_e32 v14, 7, v14
	v_cmp_eq_u32_e32 vcc_lo, 0, v6
	s_delay_alu instid0(VALU_DEP_2) | instskip(NEXT) | instid1(VALU_DEP_1)
	v_dual_cndmask_b32 v6, v6, v13 :: v_dual_cndmask_b32 v7, v7, v14
	v_lshl_add_u32 v6, v6, 23, 0x3b800000
	s_delay_alu instid0(VALU_DEP_2) | instskip(NEXT) | instid1(VALU_DEP_1)
	v_lshlrev_b32_e32 v7, 20, v7
	v_or3_b32 v5, v5, v6, v7
	s_delay_alu instid0(VALU_DEP_1)
	v_cvt_f64_f32_e32 v[6:7], v5
.LBB80_1386:
	s_or_b32 exec_lo, exec_lo, s0
.LBB80_1387:
	s_mov_b32 s0, -1
.LBB80_1388:
	s_mov_b32 s1, 0
.LBB80_1389:
	s_delay_alu instid0(SALU_CYCLE_1)
	s_and_b32 vcc_lo, exec_lo, s1
	s_cbranch_vccz .LBB80_1420
; %bb.1390:
	v_cmp_lt_i16_e32 vcc_lo, 22, v12
	s_cbranch_vccz .LBB80_1402
; %bb.1391:
	v_cmp_gt_i16_e32 vcc_lo, 24, v12
	s_cbranch_vccnz .LBB80_1403
; %bb.1392:
	v_cmp_lt_i16_e32 vcc_lo, 24, v12
	s_cbranch_vccz .LBB80_1404
; %bb.1393:
	global_load_u8 v5, v[2:3], off
	s_mov_b32 s13, exec_lo
                                        ; implicit-def: $sgpr0_sgpr1
	s_waitcnt vmcnt(0)
	v_cmpx_lt_i16_e32 0x7f, v5
	s_xor_b32 s13, exec_lo, s13
	s_cbranch_execz .LBB80_1397
; %bb.1394:
	s_mov_b32 s14, -1
	s_mov_b32 s12, exec_lo
                                        ; implicit-def: $sgpr0_sgpr1
	v_cmpx_eq_u16_e32 0x80, v5
; %bb.1395:
	s_mov_b32 s1, 0x7ff80000
	s_brev_b32 s0, 4
	s_xor_b32 s14, exec_lo, -1
; %bb.1396:
	s_or_b32 exec_lo, exec_lo, s12
	s_delay_alu instid0(SALU_CYCLE_1)
	s_and_b32 s12, s14, exec_lo
.LBB80_1397:
	s_or_saveexec_b32 s13, s13
	v_dual_mov_b32 v7, s1 :: v_dual_mov_b32 v6, s0
	s_xor_b32 exec_lo, exec_lo, s13
; %bb.1398:
	v_cmp_ne_u16_e32 vcc_lo, 0, v5
	v_mov_b32_e32 v6, 0
	v_mov_b32_e32 v7, 0
	s_and_not1_b32 s0, s12, exec_lo
	s_and_b32 s1, vcc_lo, exec_lo
	s_delay_alu instid0(SALU_CYCLE_1)
	s_or_b32 s12, s0, s1
; %bb.1399:
	s_or_b32 exec_lo, exec_lo, s13
	s_and_saveexec_b32 s0, s12
	s_cbranch_execz .LBB80_1401
; %bb.1400:
	v_and_b32_e32 v6, 0xffff, v5
	v_lshlrev_b32_e32 v5, 24, v5
	s_delay_alu instid0(VALU_DEP_2) | instskip(NEXT) | instid1(VALU_DEP_2)
	v_and_b32_e32 v7, 3, v6
	v_and_b32_e32 v5, 0x80000000, v5
	s_delay_alu instid0(VALU_DEP_2) | instskip(NEXT) | instid1(VALU_DEP_1)
	v_clz_i32_u32_e32 v13, v7
	v_min_u32_e32 v13, 32, v13
	s_delay_alu instid0(VALU_DEP_1) | instskip(SKIP_1) | instid1(VALU_DEP_2)
	v_subrev_nc_u32_e32 v14, 29, v13
	v_sub_nc_u32_e32 v13, 30, v13
	v_lshlrev_b32_e32 v14, v14, v6
	v_bfe_u32 v6, v6, 2, 5
	s_delay_alu instid0(VALU_DEP_2) | instskip(NEXT) | instid1(VALU_DEP_2)
	v_and_b32_e32 v14, 3, v14
	v_cmp_eq_u32_e32 vcc_lo, 0, v6
	s_delay_alu instid0(VALU_DEP_2) | instskip(NEXT) | instid1(VALU_DEP_1)
	v_dual_cndmask_b32 v6, v6, v13 :: v_dual_cndmask_b32 v7, v7, v14
	v_lshl_add_u32 v6, v6, 23, 0x37800000
	s_delay_alu instid0(VALU_DEP_2) | instskip(NEXT) | instid1(VALU_DEP_1)
	v_lshlrev_b32_e32 v7, 21, v7
	v_or3_b32 v5, v5, v6, v7
	s_delay_alu instid0(VALU_DEP_1)
	v_cvt_f64_f32_e32 v[6:7], v5
.LBB80_1401:
	s_or_b32 exec_lo, exec_lo, s0
	s_mov_b32 s0, 0
	s_branch .LBB80_1405
.LBB80_1402:
	s_mov_b32 s1, -1
                                        ; implicit-def: $vgpr6_vgpr7
	s_branch .LBB80_1411
.LBB80_1403:
	s_mov_b32 s0, -1
                                        ; implicit-def: $vgpr6_vgpr7
	s_branch .LBB80_1408
.LBB80_1404:
	s_mov_b32 s0, -1
                                        ; implicit-def: $vgpr6_vgpr7
.LBB80_1405:
	s_delay_alu instid0(SALU_CYCLE_1)
	s_and_b32 vcc_lo, exec_lo, s0
	s_cbranch_vccz .LBB80_1407
; %bb.1406:
	global_load_u8 v5, v[2:3], off
	s_waitcnt vmcnt(0)
	v_lshlrev_b32_e32 v5, 24, v5
	s_delay_alu instid0(VALU_DEP_1) | instskip(NEXT) | instid1(VALU_DEP_1)
	v_and_b32_e32 v6, 0x7f000000, v5
	v_clz_i32_u32_e32 v7, v6
	v_add_nc_u32_e32 v14, 0x1000000, v6
	v_cmp_ne_u32_e32 vcc_lo, 0, v6
	s_delay_alu instid0(VALU_DEP_3) | instskip(NEXT) | instid1(VALU_DEP_1)
	v_min_u32_e32 v7, 32, v7
	v_sub_nc_u32_e64 v7, v7, 4 clamp
	s_delay_alu instid0(VALU_DEP_1) | instskip(SKIP_1) | instid1(VALU_DEP_2)
	v_lshlrev_b32_e32 v13, v7, v6
	v_lshlrev_b32_e32 v7, 23, v7
	v_lshrrev_b32_e32 v13, 4, v13
	s_delay_alu instid0(VALU_DEP_1) | instskip(SKIP_1) | instid1(VALU_DEP_2)
	v_sub_nc_u32_e32 v7, v13, v7
	v_ashrrev_i32_e32 v13, 8, v14
	v_add_nc_u32_e32 v7, 0x3c000000, v7
	s_delay_alu instid0(VALU_DEP_1) | instskip(NEXT) | instid1(VALU_DEP_1)
	v_and_or_b32 v7, 0x7f800000, v13, v7
	v_cndmask_b32_e32 v6, 0, v7, vcc_lo
	s_delay_alu instid0(VALU_DEP_1) | instskip(NEXT) | instid1(VALU_DEP_1)
	v_and_or_b32 v5, 0x80000000, v5, v6
	v_cvt_f64_f32_e32 v[6:7], v5
.LBB80_1407:
	s_mov_b32 s0, 0
.LBB80_1408:
	s_delay_alu instid0(SALU_CYCLE_1)
	s_and_not1_b32 vcc_lo, exec_lo, s0
	s_cbranch_vccnz .LBB80_1410
; %bb.1409:
	global_load_u8 v5, v[2:3], off
	s_waitcnt vmcnt(0)
	v_lshlrev_b32_e32 v6, 25, v5
	v_lshlrev_b16 v5, 8, v5
	s_delay_alu instid0(VALU_DEP_2) | instskip(NEXT) | instid1(VALU_DEP_2)
	v_lshrrev_b32_e32 v7, 4, v6
	v_and_or_b32 v13, 0x7f00, v5, 0.5
	v_bfe_i32 v5, v5, 0, 16
	s_delay_alu instid0(VALU_DEP_3) | instskip(NEXT) | instid1(VALU_DEP_3)
	v_or_b32_e32 v7, 0x70000000, v7
	v_add_f32_e32 v13, -0.5, v13
	s_delay_alu instid0(VALU_DEP_2) | instskip(SKIP_1) | instid1(VALU_DEP_2)
	v_mul_f32_e32 v7, 0x7800000, v7
	v_cmp_gt_u32_e32 vcc_lo, 0x8000000, v6
	v_cndmask_b32_e32 v6, v7, v13, vcc_lo
	s_delay_alu instid0(VALU_DEP_1) | instskip(NEXT) | instid1(VALU_DEP_1)
	v_and_or_b32 v5, 0x80000000, v5, v6
	v_cvt_f64_f32_e32 v[6:7], v5
.LBB80_1410:
	s_mov_b32 s1, 0
	s_mov_b32 s0, -1
.LBB80_1411:
	s_and_not1_b32 vcc_lo, exec_lo, s1
	s_mov_b32 s12, 0
	s_cbranch_vccnz .LBB80_1420
; %bb.1412:
	v_cmp_lt_i16_e32 vcc_lo, 14, v12
	s_cbranch_vccz .LBB80_1415
; %bb.1413:
	v_cmp_eq_u16_e32 vcc_lo, 15, v12
	s_cbranch_vccz .LBB80_1416
; %bb.1414:
	global_load_u16 v5, v[2:3], off
	s_mov_b32 s9, 0
	s_mov_b32 s0, -1
	s_waitcnt vmcnt(0)
	v_lshlrev_b32_e32 v5, 16, v5
	s_delay_alu instid0(VALU_DEP_1)
	v_cvt_f64_f32_e32 v[6:7], v5
	s_branch .LBB80_1417
.LBB80_1415:
	s_mov_b32 s1, -1
                                        ; implicit-def: $vgpr6_vgpr7
	s_branch .LBB80_1418
.LBB80_1416:
	s_mov_b32 s9, -1
                                        ; implicit-def: $vgpr6_vgpr7
.LBB80_1417:
	s_mov_b32 s1, 0
.LBB80_1418:
	s_delay_alu instid0(SALU_CYCLE_1)
	s_and_b32 vcc_lo, exec_lo, s1
	s_cbranch_vccz .LBB80_1420
; %bb.1419:
	v_cmp_ne_u16_e64 s9, 11, v12
	s_mov_b32 s12, -1
                                        ; implicit-def: $vgpr6_vgpr7
.LBB80_1420:
	s_delay_alu instid0(VALU_DEP_1)
	s_and_b32 vcc_lo, exec_lo, s9
	s_cbranch_vccnz .LBB80_1436
; %bb.1421:
	s_and_not1_b32 vcc_lo, exec_lo, s12
	s_cbranch_vccnz .LBB80_1423
.LBB80_1422:
	global_load_u8 v5, v[2:3], off
	v_mov_b32_e32 v6, 0
	s_mov_b32 s0, -1
	s_waitcnt vmcnt(0)
	v_cmp_ne_u16_e32 vcc_lo, 0, v5
	v_cndmask_b32_e64 v7, 0, 0x3ff00000, vcc_lo
.LBB80_1423:
.LBB80_1424:
	s_and_not1_b32 vcc_lo, exec_lo, s0
	s_cbranch_vccnz .LBB80_1989
.LBB80_1425:
	v_add_nc_u32_e32 v2, s2, v4
	v_cmp_gt_i16_e32 vcc_lo, 11, v12
	s_delay_alu instid0(VALU_DEP_2) | instskip(SKIP_1) | instid1(VALU_DEP_1)
	v_ashrrev_i32_e32 v3, 31, v2
	v_add_co_u32 v2, s0, s6, v2
	v_add_co_ci_u32_e64 v3, s0, s7, v3, s0
	s_cbranch_vccnz .LBB80_1432
; %bb.1426:
	v_cmp_lt_i16_e32 vcc_lo, 25, v12
	s_mov_b32 s6, 0
	s_cbranch_vccz .LBB80_1433
; %bb.1427:
	v_cmp_lt_i16_e32 vcc_lo, 28, v12
	s_cbranch_vccz .LBB80_1434
; %bb.1428:
	v_cmp_lt_i16_e32 vcc_lo, 43, v12
	;; [unrolled: 3-line block ×3, first 2 shown]
	s_cbranch_vccz .LBB80_1438
; %bb.1430:
	v_cmp_eq_u16_e32 vcc_lo, 46, v12
	s_mov_b32 s1, 0
	s_cbranch_vccz .LBB80_1441
; %bb.1431:
	global_load_b32 v4, v[2:3], off
	s_mov_b32 s2, 0
	s_mov_b32 s0, -1
	s_waitcnt vmcnt(0)
	v_lshlrev_b32_e32 v4, 16, v4
	s_delay_alu instid0(VALU_DEP_1)
	v_cvt_f64_f32_e32 v[4:5], v4
	s_branch .LBB80_1443
.LBB80_1432:
	s_mov_b32 s1, -1
	s_mov_b32 s0, 0
                                        ; implicit-def: $vgpr4_vgpr5
	s_branch .LBB80_1509
.LBB80_1433:
	s_mov_b32 s1, -1
	s_mov_b32 s0, 0
	s_mov_b32 s2, 0
                                        ; implicit-def: $vgpr4_vgpr5
	s_branch .LBB80_1474
.LBB80_1434:
	s_mov_b32 s1, -1
	s_mov_b32 s0, 0
	s_mov_b32 s2, 0
                                        ; implicit-def: $vgpr4_vgpr5
	s_branch .LBB80_1453
.LBB80_1435:
	s_mov_b32 s1, -1
	s_mov_b32 s0, 0
	s_mov_b32 s2, 0
                                        ; implicit-def: $vgpr4_vgpr5
	s_branch .LBB80_1448
.LBB80_1436:
	s_cbranch_execnz .LBB80_1439
; %bb.1437:
	s_or_b32 s3, s3, exec_lo
                                        ; implicit-def: $vgpr6_vgpr7
	s_cbranch_execz .LBB80_1422
	s_branch .LBB80_1423
.LBB80_1438:
	s_mov_b32 s1, -1
	s_mov_b32 s0, 0
	s_mov_b32 s2, 0
	s_branch .LBB80_1442
.LBB80_1439:
	s_trap 2
	s_sendmsg_rtn_b32 s0, sendmsg(MSG_RTN_GET_DOORBELL)
	s_mov_b32 ttmp2, m0
	s_waitcnt lgkmcnt(0)
	s_and_b32 s0, s0, 0x3ff
	s_delay_alu instid0(SALU_CYCLE_1) | instskip(NEXT) | instid1(SALU_CYCLE_1)
	s_bitset1_b32 s0, 10
	s_mov_b32 m0, s0
	s_sendmsg sendmsg(MSG_INTERRUPT)
	s_mov_b32 m0, ttmp2
.LBB80_1440:                            ; =>This Inner Loop Header: Depth=1
	s_sethalt 5
	s_branch .LBB80_1440
.LBB80_1441:
	s_mov_b32 s2, -1
	s_mov_b32 s0, 0
.LBB80_1442:
                                        ; implicit-def: $vgpr4_vgpr5
.LBB80_1443:
	s_and_b32 vcc_lo, exec_lo, s1
	s_cbranch_vccz .LBB80_1447
; %bb.1444:
	v_cmp_eq_u16_e32 vcc_lo, 44, v12
	s_cbranch_vccz .LBB80_1446
; %bb.1445:
	global_load_u8 v13, v[2:3], off
	s_mov_b32 s2, 0
	s_mov_b32 s0, -1
	s_waitcnt vmcnt(0)
	v_lshlrev_b32_e32 v4, 23, v13
	v_cmp_ne_u32_e32 vcc_lo, 0xff, v13
	s_delay_alu instid0(VALU_DEP_2) | instskip(NEXT) | instid1(VALU_DEP_1)
	v_cvt_f64_f32_e32 v[4:5], v4
	v_cndmask_b32_e32 v4, 0x20000000, v4, vcc_lo
	s_delay_alu instid0(VALU_DEP_2) | instskip(SKIP_1) | instid1(VALU_DEP_2)
	v_cndmask_b32_e32 v5, 0x7ff80000, v5, vcc_lo
	v_cmp_ne_u32_e32 vcc_lo, 0, v13
	v_cndmask_b32_e32 v5, 0x38000000, v5, vcc_lo
	s_delay_alu instid0(VALU_DEP_4)
	v_cndmask_b32_e32 v4, 0, v4, vcc_lo
	s_branch .LBB80_1447
.LBB80_1446:
	s_mov_b32 s2, -1
                                        ; implicit-def: $vgpr4_vgpr5
.LBB80_1447:
	s_mov_b32 s1, 0
.LBB80_1448:
	s_delay_alu instid0(SALU_CYCLE_1)
	s_and_b32 vcc_lo, exec_lo, s1
	s_cbranch_vccz .LBB80_1452
; %bb.1449:
	v_cmp_eq_u16_e32 vcc_lo, 29, v12
	s_cbranch_vccz .LBB80_1451
; %bb.1450:
	global_load_b64 v[4:5], v[2:3], off
	s_mov_b32 s2, 0
	s_mov_b32 s0, -1
	s_mov_b32 s1, 0
	s_waitcnt vmcnt(0)
	v_cvt_f64_u32_e32 v[13:14], v5
	v_cvt_f64_u32_e32 v[4:5], v4
	s_delay_alu instid0(VALU_DEP_2) | instskip(NEXT) | instid1(VALU_DEP_1)
	v_ldexp_f64 v[13:14], v[13:14], 32
	v_add_f64 v[4:5], v[13:14], v[4:5]
	s_branch .LBB80_1453
.LBB80_1451:
	s_mov_b32 s2, -1
                                        ; implicit-def: $vgpr4_vgpr5
.LBB80_1452:
	s_mov_b32 s1, 0
.LBB80_1453:
	s_delay_alu instid0(SALU_CYCLE_1)
	s_and_b32 vcc_lo, exec_lo, s1
	s_cbranch_vccz .LBB80_1473
; %bb.1454:
	v_cmp_gt_i16_e32 vcc_lo, 27, v12
	s_cbranch_vccnz .LBB80_1457
; %bb.1455:
	v_cmp_lt_i16_e32 vcc_lo, 27, v12
	s_cbranch_vccz .LBB80_1458
; %bb.1456:
	global_load_b32 v4, v[2:3], off
	s_mov_b32 s0, 0
	s_waitcnt vmcnt(0)
	v_cvt_f64_u32_e32 v[4:5], v4
	s_branch .LBB80_1459
.LBB80_1457:
	s_mov_b32 s0, -1
                                        ; implicit-def: $vgpr4_vgpr5
	s_branch .LBB80_1462
.LBB80_1458:
	s_mov_b32 s0, -1
                                        ; implicit-def: $vgpr4_vgpr5
.LBB80_1459:
	s_delay_alu instid0(SALU_CYCLE_1)
	s_and_not1_b32 vcc_lo, exec_lo, s0
	s_cbranch_vccnz .LBB80_1461
; %bb.1460:
	global_load_u16 v4, v[2:3], off
	s_waitcnt vmcnt(0)
	v_cvt_f64_u32_e32 v[4:5], v4
.LBB80_1461:
	s_mov_b32 s0, 0
.LBB80_1462:
	s_delay_alu instid0(SALU_CYCLE_1)
	s_and_not1_b32 vcc_lo, exec_lo, s0
	s_cbranch_vccnz .LBB80_1472
; %bb.1463:
	global_load_u8 v13, v[2:3], off
	s_mov_b32 s7, 0
	s_mov_b32 s9, exec_lo
                                        ; implicit-def: $sgpr0_sgpr1
	s_waitcnt vmcnt(0)
	v_cmpx_lt_i16_e32 0x7f, v13
	s_xor_b32 s9, exec_lo, s9
	s_cbranch_execz .LBB80_1467
; %bb.1464:
	s_mov_b32 s12, -1
	s_mov_b32 s7, exec_lo
                                        ; implicit-def: $sgpr0_sgpr1
	v_cmpx_eq_u16_e32 0x80, v13
; %bb.1465:
	s_mov_b32 s1, 0x7ff80000
	s_brev_b32 s0, 4
	s_xor_b32 s12, exec_lo, -1
; %bb.1466:
	s_or_b32 exec_lo, exec_lo, s7
	s_delay_alu instid0(SALU_CYCLE_1)
	s_and_b32 s7, s12, exec_lo
.LBB80_1467:
	s_or_saveexec_b32 s9, s9
	v_dual_mov_b32 v5, s1 :: v_dual_mov_b32 v4, s0
	s_xor_b32 exec_lo, exec_lo, s9
; %bb.1468:
	v_cmp_ne_u16_e32 vcc_lo, 0, v13
	v_mov_b32_e32 v4, 0
	v_mov_b32_e32 v5, 0
	s_and_not1_b32 s0, s7, exec_lo
	s_and_b32 s1, vcc_lo, exec_lo
	s_delay_alu instid0(SALU_CYCLE_1)
	s_or_b32 s7, s0, s1
; %bb.1469:
	s_or_b32 exec_lo, exec_lo, s9
	s_and_saveexec_b32 s0, s7
	s_cbranch_execz .LBB80_1471
; %bb.1470:
	v_and_b32_e32 v4, 0xffff, v13
	v_lshlrev_b32_e32 v13, 24, v13
	s_delay_alu instid0(VALU_DEP_2) | instskip(NEXT) | instid1(VALU_DEP_2)
	v_and_b32_e32 v5, 7, v4
	v_and_b32_e32 v13, 0x80000000, v13
	s_delay_alu instid0(VALU_DEP_2) | instskip(NEXT) | instid1(VALU_DEP_1)
	v_clz_i32_u32_e32 v14, v5
	v_min_u32_e32 v14, 32, v14
	s_delay_alu instid0(VALU_DEP_1) | instskip(SKIP_1) | instid1(VALU_DEP_2)
	v_subrev_nc_u32_e32 v15, 28, v14
	v_sub_nc_u32_e32 v14, 29, v14
	v_lshlrev_b32_e32 v15, v15, v4
	v_bfe_u32 v4, v4, 3, 4
	s_delay_alu instid0(VALU_DEP_2) | instskip(NEXT) | instid1(VALU_DEP_2)
	v_and_b32_e32 v15, 7, v15
	v_cmp_eq_u32_e32 vcc_lo, 0, v4
	s_delay_alu instid0(VALU_DEP_2) | instskip(NEXT) | instid1(VALU_DEP_1)
	v_dual_cndmask_b32 v4, v4, v14 :: v_dual_cndmask_b32 v5, v5, v15
	v_lshl_add_u32 v4, v4, 23, 0x3b800000
	s_delay_alu instid0(VALU_DEP_2) | instskip(NEXT) | instid1(VALU_DEP_1)
	v_lshlrev_b32_e32 v5, 20, v5
	v_or3_b32 v4, v13, v4, v5
	s_delay_alu instid0(VALU_DEP_1)
	v_cvt_f64_f32_e32 v[4:5], v4
.LBB80_1471:
	s_or_b32 exec_lo, exec_lo, s0
.LBB80_1472:
	s_mov_b32 s0, -1
.LBB80_1473:
	s_mov_b32 s1, 0
.LBB80_1474:
	s_delay_alu instid0(SALU_CYCLE_1)
	s_and_b32 vcc_lo, exec_lo, s1
	s_cbranch_vccz .LBB80_1505
; %bb.1475:
	v_cmp_lt_i16_e32 vcc_lo, 22, v12
	s_cbranch_vccz .LBB80_1487
; %bb.1476:
	v_cmp_gt_i16_e32 vcc_lo, 24, v12
	s_cbranch_vccnz .LBB80_1488
; %bb.1477:
	v_cmp_lt_i16_e32 vcc_lo, 24, v12
	s_cbranch_vccz .LBB80_1489
; %bb.1478:
	global_load_u8 v13, v[2:3], off
	s_mov_b32 s7, exec_lo
                                        ; implicit-def: $sgpr0_sgpr1
	s_waitcnt vmcnt(0)
	v_cmpx_lt_i16_e32 0x7f, v13
	s_xor_b32 s7, exec_lo, s7
	s_cbranch_execz .LBB80_1482
; %bb.1479:
	s_mov_b32 s9, -1
	s_mov_b32 s6, exec_lo
                                        ; implicit-def: $sgpr0_sgpr1
	v_cmpx_eq_u16_e32 0x80, v13
; %bb.1480:
	s_mov_b32 s1, 0x7ff80000
	s_brev_b32 s0, 4
	s_xor_b32 s9, exec_lo, -1
; %bb.1481:
	s_or_b32 exec_lo, exec_lo, s6
	s_delay_alu instid0(SALU_CYCLE_1)
	s_and_b32 s6, s9, exec_lo
.LBB80_1482:
	s_or_saveexec_b32 s7, s7
	v_dual_mov_b32 v5, s1 :: v_dual_mov_b32 v4, s0
	s_xor_b32 exec_lo, exec_lo, s7
; %bb.1483:
	v_cmp_ne_u16_e32 vcc_lo, 0, v13
	v_mov_b32_e32 v4, 0
	v_mov_b32_e32 v5, 0
	s_and_not1_b32 s0, s6, exec_lo
	s_and_b32 s1, vcc_lo, exec_lo
	s_delay_alu instid0(SALU_CYCLE_1)
	s_or_b32 s6, s0, s1
; %bb.1484:
	s_or_b32 exec_lo, exec_lo, s7
	s_and_saveexec_b32 s0, s6
	s_cbranch_execz .LBB80_1486
; %bb.1485:
	v_and_b32_e32 v4, 0xffff, v13
	v_lshlrev_b32_e32 v13, 24, v13
	s_delay_alu instid0(VALU_DEP_2) | instskip(NEXT) | instid1(VALU_DEP_2)
	v_and_b32_e32 v5, 3, v4
	v_and_b32_e32 v13, 0x80000000, v13
	s_delay_alu instid0(VALU_DEP_2) | instskip(NEXT) | instid1(VALU_DEP_1)
	v_clz_i32_u32_e32 v14, v5
	v_min_u32_e32 v14, 32, v14
	s_delay_alu instid0(VALU_DEP_1) | instskip(SKIP_1) | instid1(VALU_DEP_2)
	v_subrev_nc_u32_e32 v15, 29, v14
	v_sub_nc_u32_e32 v14, 30, v14
	v_lshlrev_b32_e32 v15, v15, v4
	v_bfe_u32 v4, v4, 2, 5
	s_delay_alu instid0(VALU_DEP_2) | instskip(NEXT) | instid1(VALU_DEP_2)
	v_and_b32_e32 v15, 3, v15
	v_cmp_eq_u32_e32 vcc_lo, 0, v4
	s_delay_alu instid0(VALU_DEP_2) | instskip(NEXT) | instid1(VALU_DEP_1)
	v_dual_cndmask_b32 v4, v4, v14 :: v_dual_cndmask_b32 v5, v5, v15
	v_lshl_add_u32 v4, v4, 23, 0x37800000
	s_delay_alu instid0(VALU_DEP_2) | instskip(NEXT) | instid1(VALU_DEP_1)
	v_lshlrev_b32_e32 v5, 21, v5
	v_or3_b32 v4, v13, v4, v5
	s_delay_alu instid0(VALU_DEP_1)
	v_cvt_f64_f32_e32 v[4:5], v4
.LBB80_1486:
	s_or_b32 exec_lo, exec_lo, s0
	s_mov_b32 s0, 0
	s_branch .LBB80_1490
.LBB80_1487:
	s_mov_b32 s1, -1
                                        ; implicit-def: $vgpr4_vgpr5
	s_branch .LBB80_1496
.LBB80_1488:
	s_mov_b32 s0, -1
                                        ; implicit-def: $vgpr4_vgpr5
	s_branch .LBB80_1493
.LBB80_1489:
	s_mov_b32 s0, -1
                                        ; implicit-def: $vgpr4_vgpr5
.LBB80_1490:
	s_delay_alu instid0(SALU_CYCLE_1)
	s_and_b32 vcc_lo, exec_lo, s0
	s_cbranch_vccz .LBB80_1492
; %bb.1491:
	global_load_u8 v4, v[2:3], off
	s_waitcnt vmcnt(0)
	v_lshlrev_b32_e32 v4, 24, v4
	s_delay_alu instid0(VALU_DEP_1) | instskip(NEXT) | instid1(VALU_DEP_1)
	v_and_b32_e32 v5, 0x7f000000, v4
	v_clz_i32_u32_e32 v13, v5
	v_add_nc_u32_e32 v15, 0x1000000, v5
	v_cmp_ne_u32_e32 vcc_lo, 0, v5
	s_delay_alu instid0(VALU_DEP_3) | instskip(NEXT) | instid1(VALU_DEP_1)
	v_min_u32_e32 v13, 32, v13
	v_sub_nc_u32_e64 v13, v13, 4 clamp
	s_delay_alu instid0(VALU_DEP_1) | instskip(SKIP_1) | instid1(VALU_DEP_2)
	v_lshlrev_b32_e32 v14, v13, v5
	v_lshlrev_b32_e32 v13, 23, v13
	v_lshrrev_b32_e32 v14, 4, v14
	s_delay_alu instid0(VALU_DEP_1) | instskip(SKIP_1) | instid1(VALU_DEP_2)
	v_sub_nc_u32_e32 v13, v14, v13
	v_ashrrev_i32_e32 v14, 8, v15
	v_add_nc_u32_e32 v13, 0x3c000000, v13
	s_delay_alu instid0(VALU_DEP_1) | instskip(NEXT) | instid1(VALU_DEP_1)
	v_and_or_b32 v13, 0x7f800000, v14, v13
	v_cndmask_b32_e32 v5, 0, v13, vcc_lo
	s_delay_alu instid0(VALU_DEP_1) | instskip(NEXT) | instid1(VALU_DEP_1)
	v_and_or_b32 v4, 0x80000000, v4, v5
	v_cvt_f64_f32_e32 v[4:5], v4
.LBB80_1492:
	s_mov_b32 s0, 0
.LBB80_1493:
	s_delay_alu instid0(SALU_CYCLE_1)
	s_and_not1_b32 vcc_lo, exec_lo, s0
	s_cbranch_vccnz .LBB80_1495
; %bb.1494:
	global_load_u8 v4, v[2:3], off
	s_waitcnt vmcnt(0)
	v_lshlrev_b32_e32 v5, 25, v4
	v_lshlrev_b16 v4, 8, v4
	s_delay_alu instid0(VALU_DEP_1) | instskip(SKIP_1) | instid1(VALU_DEP_2)
	v_and_or_b32 v14, 0x7f00, v4, 0.5
	v_bfe_i32 v4, v4, 0, 16
	v_add_f32_e32 v14, -0.5, v14
	v_lshrrev_b32_e32 v13, 4, v5
	v_cmp_gt_u32_e32 vcc_lo, 0x8000000, v5
	s_delay_alu instid0(VALU_DEP_2) | instskip(NEXT) | instid1(VALU_DEP_1)
	v_or_b32_e32 v13, 0x70000000, v13
	v_mul_f32_e32 v13, 0x7800000, v13
	s_delay_alu instid0(VALU_DEP_1) | instskip(NEXT) | instid1(VALU_DEP_1)
	v_cndmask_b32_e32 v5, v13, v14, vcc_lo
	v_and_or_b32 v4, 0x80000000, v4, v5
	s_delay_alu instid0(VALU_DEP_1)
	v_cvt_f64_f32_e32 v[4:5], v4
.LBB80_1495:
	s_mov_b32 s1, 0
	s_mov_b32 s0, -1
.LBB80_1496:
	s_and_not1_b32 vcc_lo, exec_lo, s1
	s_mov_b32 s6, 0
	s_cbranch_vccnz .LBB80_1505
; %bb.1497:
	v_cmp_lt_i16_e32 vcc_lo, 14, v12
	s_cbranch_vccz .LBB80_1500
; %bb.1498:
	v_cmp_eq_u16_e32 vcc_lo, 15, v12
	s_cbranch_vccz .LBB80_1501
; %bb.1499:
	global_load_u16 v4, v[2:3], off
	s_mov_b32 s2, 0
	s_mov_b32 s0, -1
	s_waitcnt vmcnt(0)
	v_lshlrev_b32_e32 v4, 16, v4
	s_delay_alu instid0(VALU_DEP_1)
	v_cvt_f64_f32_e32 v[4:5], v4
	s_branch .LBB80_1502
.LBB80_1500:
	s_mov_b32 s1, -1
                                        ; implicit-def: $vgpr4_vgpr5
	s_branch .LBB80_1503
.LBB80_1501:
	s_mov_b32 s2, -1
                                        ; implicit-def: $vgpr4_vgpr5
.LBB80_1502:
	s_mov_b32 s1, 0
.LBB80_1503:
	s_delay_alu instid0(SALU_CYCLE_1)
	s_and_b32 vcc_lo, exec_lo, s1
	s_cbranch_vccz .LBB80_1505
; %bb.1504:
	v_cmp_ne_u16_e64 s2, 11, v12
	s_mov_b32 s6, -1
                                        ; implicit-def: $vgpr4_vgpr5
.LBB80_1505:
	s_delay_alu instid0(VALU_DEP_1)
	s_and_b32 vcc_lo, exec_lo, s2
	s_cbranch_vccnz .LBB80_2034
; %bb.1506:
	s_and_not1_b32 vcc_lo, exec_lo, s6
	s_cbranch_vccnz .LBB80_1508
.LBB80_1507:
	global_load_u8 v4, v[2:3], off
	s_mov_b32 s0, -1
	s_waitcnt vmcnt(0)
	v_cmp_ne_u16_e32 vcc_lo, 0, v4
	v_mov_b32_e32 v4, 0
	v_cndmask_b32_e64 v5, 0, 0x3ff00000, vcc_lo
.LBB80_1508:
	s_mov_b32 s1, 0
.LBB80_1509:
	s_delay_alu instid0(SALU_CYCLE_1)
	s_and_b32 vcc_lo, exec_lo, s1
	s_cbranch_vccz .LBB80_1558
; %bb.1510:
	v_cmp_gt_i16_e32 vcc_lo, 5, v12
	s_cbranch_vccnz .LBB80_1515
; %bb.1511:
	v_cmp_gt_i16_e32 vcc_lo, 8, v12
	s_cbranch_vccnz .LBB80_1516
	;; [unrolled: 3-line block ×3, first 2 shown]
; %bb.1513:
	v_cmp_lt_i16_e32 vcc_lo, 9, v12
	s_cbranch_vccz .LBB80_1518
; %bb.1514:
	global_load_b64 v[4:5], v[2:3], off
	s_mov_b32 s0, 0
	s_branch .LBB80_1519
.LBB80_1515:
	s_mov_b32 s0, -1
                                        ; implicit-def: $vgpr4_vgpr5
	s_branch .LBB80_1537
.LBB80_1516:
	s_mov_b32 s0, -1
                                        ; implicit-def: $vgpr4_vgpr5
	s_branch .LBB80_1525
.LBB80_1517:
	s_mov_b32 s0, -1
                                        ; implicit-def: $vgpr4_vgpr5
	s_branch .LBB80_1522
.LBB80_1518:
	s_mov_b32 s0, -1
                                        ; implicit-def: $vgpr4_vgpr5
.LBB80_1519:
	s_delay_alu instid0(SALU_CYCLE_1)
	s_and_not1_b32 vcc_lo, exec_lo, s0
	s_cbranch_vccnz .LBB80_1521
; %bb.1520:
	global_load_b32 v4, v[2:3], off
	s_waitcnt vmcnt(0)
	v_cvt_f64_f32_e32 v[4:5], v4
.LBB80_1521:
	s_mov_b32 s0, 0
.LBB80_1522:
	s_delay_alu instid0(SALU_CYCLE_1)
	s_and_not1_b32 vcc_lo, exec_lo, s0
	s_cbranch_vccnz .LBB80_1524
; %bb.1523:
	global_load_b32 v4, v[2:3], off
	s_waitcnt vmcnt(0)
	v_cvt_f32_f16_e32 v4, v4
	s_delay_alu instid0(VALU_DEP_1)
	v_cvt_f64_f32_e32 v[4:5], v4
.LBB80_1524:
	s_mov_b32 s0, 0
.LBB80_1525:
	s_delay_alu instid0(SALU_CYCLE_1)
	s_and_not1_b32 vcc_lo, exec_lo, s0
	s_cbranch_vccnz .LBB80_1536
; %bb.1526:
	v_cmp_gt_i16_e32 vcc_lo, 6, v12
	s_cbranch_vccnz .LBB80_1529
; %bb.1527:
	v_cmp_lt_i16_e32 vcc_lo, 6, v12
	s_cbranch_vccz .LBB80_1530
; %bb.1528:
	global_load_b64 v[4:5], v[2:3], off
	s_mov_b32 s0, 0
	s_branch .LBB80_1531
.LBB80_1529:
	s_mov_b32 s0, -1
                                        ; implicit-def: $vgpr4_vgpr5
	s_branch .LBB80_1534
.LBB80_1530:
	s_mov_b32 s0, -1
                                        ; implicit-def: $vgpr4_vgpr5
.LBB80_1531:
	s_delay_alu instid0(SALU_CYCLE_1)
	s_and_not1_b32 vcc_lo, exec_lo, s0
	s_cbranch_vccnz .LBB80_1533
; %bb.1532:
	global_load_b32 v4, v[2:3], off
	s_waitcnt vmcnt(0)
	v_cvt_f64_f32_e32 v[4:5], v4
.LBB80_1533:
	s_mov_b32 s0, 0
.LBB80_1534:
	s_delay_alu instid0(SALU_CYCLE_1)
	s_and_not1_b32 vcc_lo, exec_lo, s0
	s_cbranch_vccnz .LBB80_1536
; %bb.1535:
	global_load_u16 v4, v[2:3], off
	s_waitcnt vmcnt(0)
	v_cvt_f32_f16_e32 v4, v4
	s_delay_alu instid0(VALU_DEP_1)
	v_cvt_f64_f32_e32 v[4:5], v4
.LBB80_1536:
	s_mov_b32 s0, 0
.LBB80_1537:
	s_delay_alu instid0(SALU_CYCLE_1)
	s_and_not1_b32 vcc_lo, exec_lo, s0
	s_cbranch_vccnz .LBB80_1557
; %bb.1538:
	v_cmp_gt_i16_e32 vcc_lo, 2, v12
	s_cbranch_vccnz .LBB80_1542
; %bb.1539:
	v_cmp_gt_i16_e32 vcc_lo, 3, v12
	s_cbranch_vccnz .LBB80_1543
; %bb.1540:
	v_cmp_lt_i16_e32 vcc_lo, 3, v12
	s_cbranch_vccz .LBB80_1544
; %bb.1541:
	global_load_b64 v[4:5], v[2:3], off
	s_mov_b32 s0, 0
	s_waitcnt vmcnt(0)
	v_cvt_f64_i32_e32 v[13:14], v5
	v_cvt_f64_u32_e32 v[4:5], v4
	s_delay_alu instid0(VALU_DEP_2) | instskip(NEXT) | instid1(VALU_DEP_1)
	v_ldexp_f64 v[13:14], v[13:14], 32
	v_add_f64 v[4:5], v[13:14], v[4:5]
	s_branch .LBB80_1545
.LBB80_1542:
	s_mov_b32 s0, -1
                                        ; implicit-def: $vgpr4_vgpr5
	s_branch .LBB80_1551
.LBB80_1543:
	s_mov_b32 s0, -1
                                        ; implicit-def: $vgpr4_vgpr5
	s_branch .LBB80_1548
.LBB80_1544:
	s_mov_b32 s0, -1
                                        ; implicit-def: $vgpr4_vgpr5
.LBB80_1545:
	s_delay_alu instid0(SALU_CYCLE_1)
	s_and_not1_b32 vcc_lo, exec_lo, s0
	s_cbranch_vccnz .LBB80_1547
; %bb.1546:
	global_load_b32 v4, v[2:3], off
	s_waitcnt vmcnt(0)
	v_cvt_f64_i32_e32 v[4:5], v4
.LBB80_1547:
	s_mov_b32 s0, 0
.LBB80_1548:
	s_delay_alu instid0(SALU_CYCLE_1)
	s_and_not1_b32 vcc_lo, exec_lo, s0
	s_cbranch_vccnz .LBB80_1550
; %bb.1549:
	global_load_i16 v4, v[2:3], off
	s_waitcnt vmcnt(0)
	v_cvt_f64_i32_e32 v[4:5], v4
.LBB80_1550:
	s_mov_b32 s0, 0
.LBB80_1551:
	s_delay_alu instid0(SALU_CYCLE_1)
	s_and_not1_b32 vcc_lo, exec_lo, s0
	s_cbranch_vccnz .LBB80_1557
; %bb.1552:
	v_cmp_lt_i16_e32 vcc_lo, 0, v12
	s_mov_b32 s0, 0
	s_cbranch_vccz .LBB80_1554
; %bb.1553:
	global_load_i8 v4, v[2:3], off
	s_waitcnt vmcnt(0)
	v_cvt_f64_i32_e32 v[4:5], v4
	s_branch .LBB80_1555
.LBB80_1554:
	s_mov_b32 s0, -1
                                        ; implicit-def: $vgpr4_vgpr5
.LBB80_1555:
	s_delay_alu instid0(SALU_CYCLE_1)
	s_and_not1_b32 vcc_lo, exec_lo, s0
	s_cbranch_vccnz .LBB80_1557
; %bb.1556:
	global_load_u8 v2, v[2:3], off
	s_waitcnt vmcnt(0)
	v_cvt_f64_u32_e32 v[4:5], v2
.LBB80_1557:
	s_mov_b32 s0, -1
.LBB80_1558:
	s_delay_alu instid0(SALU_CYCLE_1)
	s_and_not1_b32 vcc_lo, exec_lo, s0
	s_cbranch_vccnz .LBB80_1989
; %bb.1559:
	s_mov_b32 s0, 0x652b82fe
	s_mov_b32 s1, 0x3ff71547
	;; [unrolled: 1-line block ×3, first 2 shown]
	s_waitcnt vmcnt(0)
	v_mul_f64 v[2:3], v[0:1], s[0:1]
	s_mov_b32 s0, 0xfefa39ef
	s_mov_b32 s1, 0xbfe62e42
	;; [unrolled: 1-line block ×3, first 2 shown]
	v_cmp_nlt_f64_e32 vcc_lo, 0x40900000, v[0:1]
	s_delay_alu instid0(VALU_DEP_2) | instskip(NEXT) | instid1(VALU_DEP_1)
	v_rndne_f64_e32 v[2:3], v[2:3]
	v_fma_f64 v[12:13], v[2:3], s[0:1], v[0:1]
	s_mov_b32 s0, 0x3b39803f
	s_mov_b32 s1, 0xbc7abc9e
	v_cvt_i32_f64_e32 v16, v[2:3]
	s_delay_alu instid0(VALU_DEP_2)
	v_fma_f64 v[12:13], v[2:3], s[0:1], v[12:13]
	s_mov_b32 s0, 0xfca7ab0c
	s_mov_b32 s1, 0x3e928af3
	s_delay_alu instid0(VALU_DEP_1) | instid1(SALU_CYCLE_1)
	v_fma_f64 v[14:15], v[12:13], s[6:7], s[0:1]
	s_mov_b32 s0, 0x623fde64
	s_mov_b32 s1, 0x3ec71dee
	;; [unrolled: 1-line block ×3, first 2 shown]
	s_delay_alu instid0(VALU_DEP_1)
	v_fma_f64 v[14:15], v[12:13], v[14:15], s[0:1]
	s_mov_b32 s0, 0x7c89e6b0
	s_mov_b32 s1, 0x3efa0199
	s_delay_alu instid0(VALU_DEP_1) | instid1(SALU_CYCLE_1)
	v_fma_f64 v[14:15], v[12:13], v[14:15], s[0:1]
	s_mov_b32 s0, 0x14761f6e
	s_mov_b32 s1, 0x3f2a01a0
	s_delay_alu instid0(VALU_DEP_1) | instid1(SALU_CYCLE_1)
	;; [unrolled: 4-line block ×7, first 2 shown]
	v_fma_f64 v[14:15], v[12:13], v[14:15], s[0:1]
	v_cmp_ngt_f64_e64 s0, 0xc090cc00, v[0:1]
	s_delay_alu instid0(VALU_DEP_2) | instskip(NEXT) | instid1(VALU_DEP_1)
	v_fma_f64 v[14:15], v[12:13], v[14:15], 1.0
	v_fma_f64 v[2:3], v[12:13], v[14:15], 1.0
	v_mul_lo_u32 v12, s8, v11
	v_and_b32_e32 v13, 0xff, v10
	s_delay_alu instid0(VALU_DEP_1) | instskip(NEXT) | instid1(VALU_DEP_3)
	v_cmp_gt_i16_e64 s1, 11, v13
	v_ashrrev_i32_e32 v0, 31, v12
	v_add_co_u32 v10, s2, s4, v12
	s_delay_alu instid0(VALU_DEP_1) | instskip(SKIP_1) | instid1(VALU_DEP_1)
	v_add_co_ci_u32_e64 v11, s2, s5, v0, s2
	v_ldexp_f64 v[2:3], v[2:3], v16
	v_cndmask_b32_e32 v3, 0x7ff00000, v3, vcc_lo
	s_and_b32 vcc_lo, s0, vcc_lo
	s_delay_alu instid0(VALU_DEP_2) | instskip(SKIP_1) | instid1(VALU_DEP_2)
	v_cndmask_b32_e32 v0, 0, v2, vcc_lo
	s_and_b32 vcc_lo, exec_lo, s1
	v_cndmask_b32_e64 v1, 0, v3, s0
	s_mov_b32 s0, -1
	s_cbranch_vccnz .LBB80_1637
; %bb.1560:
	v_cmp_lt_i16_e32 vcc_lo, 25, v13
	s_mov_b32 s2, -1
	s_mov_b32 s1, 0
	s_mov_b32 s0, 0
	s_cbranch_vccz .LBB80_1593
; %bb.1561:
	v_cmp_lt_i16_e32 vcc_lo, 28, v13
	s_cbranch_vccz .LBB80_1576
; %bb.1562:
	v_cmp_lt_i16_e32 vcc_lo, 43, v13
	;; [unrolled: 3-line block ×3, first 2 shown]
	s_cbranch_vccz .LBB80_1566
; %bb.1564:
	v_cmp_eq_u16_e32 vcc_lo, 46, v13
	s_mov_b32 s0, -1
	s_mov_b32 s2, 0
	s_cbranch_vccz .LBB80_1566
; %bb.1565:
	v_cvt_f32_f64_e32 v2, v[0:1]
	s_mov_b32 s0, 0
	s_mov_b32 s6, -1
	s_delay_alu instid0(VALU_DEP_1) | instskip(SKIP_1) | instid1(VALU_DEP_2)
	v_bfe_u32 v3, v2, 16, 1
	v_cmp_o_f32_e32 vcc_lo, v2, v2
	v_add3_u32 v3, v2, v3, 0x7fff
	s_delay_alu instid0(VALU_DEP_1) | instskip(NEXT) | instid1(VALU_DEP_1)
	v_lshrrev_b32_e32 v3, 16, v3
	v_cndmask_b32_e32 v2, 0x7fc0, v3, vcc_lo
	global_store_b32 v[10:11], v2, off
.LBB80_1566:
	s_and_b32 vcc_lo, exec_lo, s2
	s_cbranch_vccz .LBB80_1571
; %bb.1567:
	v_cmp_eq_u16_e32 vcc_lo, 44, v13
	s_mov_b32 s0, -1
	s_cbranch_vccz .LBB80_1571
; %bb.1568:
	v_cvt_f32_f64_e32 v2, v[0:1]
	v_mov_b32_e32 v3, 0xff
	s_mov_b32 s2, exec_lo
	s_delay_alu instid0(VALU_DEP_2) | instskip(NEXT) | instid1(VALU_DEP_1)
	v_bfe_u32 v14, v2, 23, 8
	v_cmpx_ne_u32_e32 0xff, v14
; %bb.1569:
	v_and_b32_e32 v3, 0x400000, v2
	v_and_or_b32 v14, 0x3fffff, v2, v14
	v_lshrrev_b32_e32 v2, 23, v2
	s_delay_alu instid0(VALU_DEP_3) | instskip(NEXT) | instid1(VALU_DEP_3)
	v_cmp_ne_u32_e32 vcc_lo, 0, v3
	v_cmp_ne_u32_e64 s0, 0, v14
	s_delay_alu instid0(VALU_DEP_1) | instskip(NEXT) | instid1(SALU_CYCLE_1)
	s_and_b32 s0, vcc_lo, s0
	v_cndmask_b32_e64 v3, 0, 1, s0
	s_delay_alu instid0(VALU_DEP_1)
	v_add_nc_u32_e32 v3, v2, v3
; %bb.1570:
	s_or_b32 exec_lo, exec_lo, s2
	s_mov_b32 s0, 0
	s_mov_b32 s6, -1
	global_store_b8 v[10:11], v3, off
.LBB80_1571:
	s_mov_b32 s2, 0
.LBB80_1572:
	s_delay_alu instid0(SALU_CYCLE_1)
	s_and_b32 vcc_lo, exec_lo, s2
	s_cbranch_vccz .LBB80_1575
; %bb.1573:
	v_cmp_eq_u16_e32 vcc_lo, 29, v13
	s_mov_b32 s0, -1
	s_cbranch_vccz .LBB80_1575
; %bb.1574:
	v_trunc_f64_e32 v[2:3], v[0:1]
	s_mov_b32 s0, 0
	s_mov_b32 s6, -1
	s_delay_alu instid0(VALU_DEP_1) | instskip(NEXT) | instid1(VALU_DEP_1)
	v_ldexp_f64 v[14:15], v[2:3], 0xffffffe0
	v_floor_f64_e32 v[14:15], v[14:15]
	s_delay_alu instid0(VALU_DEP_1) | instskip(SKIP_1) | instid1(VALU_DEP_2)
	v_fma_f64 v[2:3], 0xc1f00000, v[14:15], v[2:3]
	v_cvt_u32_f64_e32 v15, v[14:15]
	v_cvt_u32_f64_e32 v14, v[2:3]
	global_store_b64 v[10:11], v[14:15], off
.LBB80_1575:
	s_mov_b32 s2, 0
.LBB80_1576:
	s_delay_alu instid0(SALU_CYCLE_1)
	s_and_b32 vcc_lo, exec_lo, s2
	s_cbranch_vccz .LBB80_1592
; %bb.1577:
	v_cmp_gt_i16_e32 vcc_lo, 27, v13
	s_mov_b32 s2, -1
	s_cbranch_vccnz .LBB80_1583
; %bb.1578:
	v_cvt_u32_f64_e32 v2, v[0:1]
	v_cmp_lt_i16_e32 vcc_lo, 27, v13
	s_cbranch_vccz .LBB80_1580
; %bb.1579:
	s_mov_b32 s2, 0
	global_store_b32 v[10:11], v2, off
.LBB80_1580:
	s_and_not1_b32 vcc_lo, exec_lo, s2
	s_cbranch_vccnz .LBB80_1582
; %bb.1581:
	global_store_b16 v[10:11], v2, off
.LBB80_1582:
	s_mov_b32 s2, 0
.LBB80_1583:
	s_delay_alu instid0(SALU_CYCLE_1)
	s_and_not1_b32 vcc_lo, exec_lo, s2
	s_cbranch_vccnz .LBB80_1591
; %bb.1584:
	v_cvt_f32_f64_e32 v2, v[0:1]
	v_mov_b32_e32 v14, 0x80
	s_mov_b32 s2, exec_lo
	s_delay_alu instid0(VALU_DEP_2) | instskip(NEXT) | instid1(VALU_DEP_1)
	v_and_b32_e32 v3, 0x7fffffff, v2
	v_cmpx_gt_u32_e32 0x43800000, v3
	s_cbranch_execz .LBB80_1590
; %bb.1585:
	v_cmp_lt_u32_e32 vcc_lo, 0x3bffffff, v3
	s_mov_b32 s6, 0
                                        ; implicit-def: $vgpr3
	s_and_saveexec_b32 s7, vcc_lo
	s_delay_alu instid0(SALU_CYCLE_1)
	s_xor_b32 s7, exec_lo, s7
	s_cbranch_execz .LBB80_2036
; %bb.1586:
	v_bfe_u32 v3, v2, 20, 1
	s_mov_b32 s6, exec_lo
	s_delay_alu instid0(VALU_DEP_1) | instskip(NEXT) | instid1(VALU_DEP_1)
	v_add3_u32 v3, v2, v3, 0x487ffff
	v_lshrrev_b32_e32 v3, 20, v3
	s_or_saveexec_b32 s7, s7
                                        ; implicit-def: $sgpr9
	s_delay_alu instid0(SALU_CYCLE_1)
	s_xor_b32 exec_lo, exec_lo, s7
	s_cbranch_execnz .LBB80_2037
.LBB80_1587:
	s_or_b32 exec_lo, exec_lo, s7
	v_mov_b32_e32 v14, s9
	s_and_saveexec_b32 s7, s6
.LBB80_1588:
	v_lshrrev_b32_e32 v2, 24, v2
	s_delay_alu instid0(VALU_DEP_1)
	v_and_or_b32 v14, 0x80, v2, v3
.LBB80_1589:
	s_or_b32 exec_lo, exec_lo, s7
.LBB80_1590:
	s_delay_alu instid0(SALU_CYCLE_1)
	s_or_b32 exec_lo, exec_lo, s2
	global_store_b8 v[10:11], v14, off
.LBB80_1591:
	s_mov_b32 s6, -1
.LBB80_1592:
	s_mov_b32 s2, 0
.LBB80_1593:
	s_delay_alu instid0(SALU_CYCLE_1)
	s_and_b32 vcc_lo, exec_lo, s2
	s_cbranch_vccz .LBB80_1633
; %bb.1594:
	v_cmp_lt_i16_e32 vcc_lo, 22, v13
	s_mov_b32 s1, -1
	s_cbranch_vccz .LBB80_1626
; %bb.1595:
	v_cmp_gt_i16_e32 vcc_lo, 24, v13
	s_cbranch_vccnz .LBB80_1615
; %bb.1596:
	v_cmp_lt_i16_e32 vcc_lo, 24, v13
	s_cbranch_vccz .LBB80_1604
; %bb.1597:
	v_cvt_f32_f64_e32 v2, v[0:1]
	v_mov_b32_e32 v14, 0x80
	s_mov_b32 s1, exec_lo
	s_delay_alu instid0(VALU_DEP_2) | instskip(NEXT) | instid1(VALU_DEP_1)
	v_and_b32_e32 v3, 0x7fffffff, v2
	v_cmpx_gt_u32_e32 0x47800000, v3
	s_cbranch_execz .LBB80_1603
; %bb.1598:
	v_cmp_lt_u32_e32 vcc_lo, 0x37ffffff, v3
	s_mov_b32 s2, 0
                                        ; implicit-def: $vgpr3
	s_and_saveexec_b32 s6, vcc_lo
	s_delay_alu instid0(SALU_CYCLE_1)
	s_xor_b32 s6, exec_lo, s6
	s_cbranch_execz .LBB80_2042
; %bb.1599:
	v_bfe_u32 v3, v2, 21, 1
	s_mov_b32 s2, exec_lo
	s_delay_alu instid0(VALU_DEP_1) | instskip(NEXT) | instid1(VALU_DEP_1)
	v_add3_u32 v3, v2, v3, 0x88fffff
	v_lshrrev_b32_e32 v3, 21, v3
	s_or_saveexec_b32 s6, s6
                                        ; implicit-def: $sgpr7
	s_delay_alu instid0(SALU_CYCLE_1)
	s_xor_b32 exec_lo, exec_lo, s6
	s_cbranch_execnz .LBB80_2043
.LBB80_1600:
	s_or_b32 exec_lo, exec_lo, s6
	v_mov_b32_e32 v14, s7
	s_and_saveexec_b32 s6, s2
.LBB80_1601:
	v_lshrrev_b32_e32 v2, 24, v2
	s_delay_alu instid0(VALU_DEP_1)
	v_and_or_b32 v14, 0x80, v2, v3
.LBB80_1602:
	s_or_b32 exec_lo, exec_lo, s6
.LBB80_1603:
	s_delay_alu instid0(SALU_CYCLE_1)
	s_or_b32 exec_lo, exec_lo, s1
	s_mov_b32 s1, 0
	global_store_b8 v[10:11], v14, off
.LBB80_1604:
	s_and_b32 vcc_lo, exec_lo, s1
	s_cbranch_vccz .LBB80_1614
; %bb.1605:
	v_cvt_f32_f64_e32 v2, v[0:1]
	s_mov_b32 s1, exec_lo
                                        ; implicit-def: $vgpr3
	s_delay_alu instid0(VALU_DEP_1) | instskip(NEXT) | instid1(VALU_DEP_1)
	v_and_b32_e32 v14, 0x7fffffff, v2
	v_cmpx_gt_u32_e32 0x43f00000, v14
	s_xor_b32 s1, exec_lo, s1
	s_cbranch_execz .LBB80_1611
; %bb.1606:
	s_mov_b32 s2, exec_lo
                                        ; implicit-def: $vgpr3
	v_cmpx_lt_u32_e32 0x3c7fffff, v14
	s_xor_b32 s2, exec_lo, s2
; %bb.1607:
	v_bfe_u32 v3, v2, 20, 1
	s_delay_alu instid0(VALU_DEP_1) | instskip(NEXT) | instid1(VALU_DEP_1)
	v_add3_u32 v3, v2, v3, 0x407ffff
	v_and_b32_e32 v14, 0xff00000, v3
	v_lshrrev_b32_e32 v3, 20, v3
	s_delay_alu instid0(VALU_DEP_2) | instskip(NEXT) | instid1(VALU_DEP_2)
	v_cmp_ne_u32_e32 vcc_lo, 0x7f00000, v14
	v_cndmask_b32_e32 v3, 0x7e, v3, vcc_lo
; %bb.1608:
	s_and_not1_saveexec_b32 s2, s2
; %bb.1609:
	v_add_f32_e64 v3, 0x46800000, |v2|
; %bb.1610:
	s_or_b32 exec_lo, exec_lo, s2
                                        ; implicit-def: $vgpr14
.LBB80_1611:
	s_and_not1_saveexec_b32 s1, s1
; %bb.1612:
	v_mov_b32_e32 v3, 0x7f
	v_cmp_lt_u32_e32 vcc_lo, 0x7f800000, v14
	s_delay_alu instid0(VALU_DEP_2)
	v_cndmask_b32_e32 v3, 0x7e, v3, vcc_lo
; %bb.1613:
	s_or_b32 exec_lo, exec_lo, s1
	v_lshrrev_b32_e32 v2, 24, v2
	s_delay_alu instid0(VALU_DEP_1)
	v_and_or_b32 v2, 0x80, v2, v3
	global_store_b8 v[10:11], v2, off
.LBB80_1614:
	s_mov_b32 s1, 0
.LBB80_1615:
	s_delay_alu instid0(SALU_CYCLE_1)
	s_and_not1_b32 vcc_lo, exec_lo, s1
	s_cbranch_vccnz .LBB80_1625
; %bb.1616:
	v_cvt_f32_f64_e32 v2, v[0:1]
	s_mov_b32 s1, exec_lo
                                        ; implicit-def: $vgpr3
	s_delay_alu instid0(VALU_DEP_1) | instskip(NEXT) | instid1(VALU_DEP_1)
	v_and_b32_e32 v14, 0x7fffffff, v2
	v_cmpx_gt_u32_e32 0x47800000, v14
	s_xor_b32 s1, exec_lo, s1
	s_cbranch_execz .LBB80_1622
; %bb.1617:
	s_mov_b32 s2, exec_lo
                                        ; implicit-def: $vgpr3
	v_cmpx_lt_u32_e32 0x387fffff, v14
	s_xor_b32 s2, exec_lo, s2
; %bb.1618:
	v_bfe_u32 v3, v2, 21, 1
	s_delay_alu instid0(VALU_DEP_1) | instskip(NEXT) | instid1(VALU_DEP_1)
	v_add3_u32 v3, v2, v3, 0x80fffff
	v_lshrrev_b32_e32 v3, 21, v3
; %bb.1619:
	s_and_not1_saveexec_b32 s2, s2
; %bb.1620:
	v_add_f32_e64 v3, 0x43000000, |v2|
; %bb.1621:
	s_or_b32 exec_lo, exec_lo, s2
                                        ; implicit-def: $vgpr14
.LBB80_1622:
	s_and_not1_saveexec_b32 s1, s1
; %bb.1623:
	v_mov_b32_e32 v3, 0x7f
	v_cmp_lt_u32_e32 vcc_lo, 0x7f800000, v14
	s_delay_alu instid0(VALU_DEP_2)
	v_cndmask_b32_e32 v3, 0x7c, v3, vcc_lo
; %bb.1624:
	s_or_b32 exec_lo, exec_lo, s1
	v_lshrrev_b32_e32 v2, 24, v2
	s_delay_alu instid0(VALU_DEP_1)
	v_and_or_b32 v2, 0x80, v2, v3
	global_store_b8 v[10:11], v2, off
.LBB80_1625:
	s_mov_b32 s1, 0
	s_mov_b32 s6, -1
.LBB80_1626:
	s_and_not1_b32 vcc_lo, exec_lo, s1
	s_mov_b32 s1, 0
	s_cbranch_vccnz .LBB80_1633
; %bb.1627:
	v_cmp_lt_i16_e32 vcc_lo, 14, v13
	s_mov_b32 s1, -1
	s_cbranch_vccz .LBB80_1631
; %bb.1628:
	v_cmp_eq_u16_e32 vcc_lo, 15, v13
	s_mov_b32 s0, -1
	s_cbranch_vccz .LBB80_1630
; %bb.1629:
	v_cvt_f32_f64_e32 v2, v[0:1]
	s_mov_b32 s0, 0
	s_mov_b32 s6, -1
	s_delay_alu instid0(VALU_DEP_1) | instskip(SKIP_1) | instid1(VALU_DEP_2)
	v_bfe_u32 v3, v2, 16, 1
	v_cmp_o_f32_e32 vcc_lo, v2, v2
	v_add3_u32 v3, v2, v3, 0x7fff
	s_delay_alu instid0(VALU_DEP_1) | instskip(NEXT) | instid1(VALU_DEP_1)
	v_lshrrev_b32_e32 v3, 16, v3
	v_cndmask_b32_e32 v2, 0x7fc0, v3, vcc_lo
	global_store_b16 v[10:11], v2, off
.LBB80_1630:
	s_mov_b32 s1, 0
.LBB80_1631:
	s_delay_alu instid0(SALU_CYCLE_1)
	s_and_b32 vcc_lo, exec_lo, s1
	s_mov_b32 s1, 0
	s_cbranch_vccz .LBB80_1633
; %bb.1632:
	v_cmp_ne_u16_e64 s0, 11, v13
	s_mov_b32 s1, -1
.LBB80_1633:
	s_delay_alu instid0(VALU_DEP_1)
	s_and_b32 vcc_lo, exec_lo, s0
	s_cbranch_vccnz .LBB80_2040
; %bb.1634:
	s_and_not1_b32 vcc_lo, exec_lo, s1
	s_cbranch_vccnz .LBB80_1636
.LBB80_1635:
	v_cmp_neq_f64_e32 vcc_lo, 0, v[0:1]
	s_mov_b32 s6, -1
	v_cndmask_b32_e64 v2, 0, 1, vcc_lo
	global_store_b8 v[10:11], v2, off
.LBB80_1636:
	s_mov_b32 s0, 0
.LBB80_1637:
	s_delay_alu instid0(SALU_CYCLE_1)
	s_and_b32 vcc_lo, exec_lo, s0
	s_cbranch_vccz .LBB80_1676
; %bb.1638:
	v_cmp_gt_i16_e32 vcc_lo, 5, v13
	s_mov_b32 s0, -1
	s_cbranch_vccnz .LBB80_1659
; %bb.1639:
	v_cmp_gt_i16_e32 vcc_lo, 8, v13
	s_cbranch_vccnz .LBB80_1649
; %bb.1640:
	v_cmp_gt_i16_e32 vcc_lo, 9, v13
	s_cbranch_vccnz .LBB80_1646
; %bb.1641:
	v_cmp_lt_i16_e32 vcc_lo, 9, v13
	s_cbranch_vccz .LBB80_1643
; %bb.1642:
	v_mov_b32_e32 v2, 0
	s_mov_b32 s0, 0
	s_delay_alu instid0(VALU_DEP_1)
	v_mov_b32_e32 v3, v2
	global_store_b128 v[10:11], v[0:3], off
.LBB80_1643:
	s_and_not1_b32 vcc_lo, exec_lo, s0
	s_cbranch_vccnz .LBB80_1645
; %bb.1644:
	v_cvt_f32_f64_e32 v2, v[0:1]
	v_mov_b32_e32 v3, 0
	global_store_b64 v[10:11], v[2:3], off
.LBB80_1645:
	s_mov_b32 s0, 0
.LBB80_1646:
	s_delay_alu instid0(SALU_CYCLE_1)
	s_and_not1_b32 vcc_lo, exec_lo, s0
	s_cbranch_vccnz .LBB80_1648
; %bb.1647:
	v_cvt_f32_f64_e32 v2, v[0:1]
	s_delay_alu instid0(VALU_DEP_1) | instskip(NEXT) | instid1(VALU_DEP_1)
	v_cvt_f16_f32_e32 v2, v2
	v_and_b32_e32 v2, 0xffff, v2
	global_store_b32 v[10:11], v2, off
.LBB80_1648:
	s_mov_b32 s0, 0
.LBB80_1649:
	s_delay_alu instid0(SALU_CYCLE_1)
	s_and_not1_b32 vcc_lo, exec_lo, s0
	s_cbranch_vccnz .LBB80_1658
; %bb.1650:
	v_cmp_gt_i16_e32 vcc_lo, 6, v13
	s_mov_b32 s0, -1
	s_cbranch_vccnz .LBB80_1656
; %bb.1651:
	v_cmp_lt_i16_e32 vcc_lo, 6, v13
	s_cbranch_vccz .LBB80_1653
; %bb.1652:
	s_mov_b32 s0, 0
	global_store_b64 v[10:11], v[0:1], off
.LBB80_1653:
	s_and_not1_b32 vcc_lo, exec_lo, s0
	s_cbranch_vccnz .LBB80_1655
; %bb.1654:
	v_cvt_f32_f64_e32 v2, v[0:1]
	global_store_b32 v[10:11], v2, off
.LBB80_1655:
	s_mov_b32 s0, 0
.LBB80_1656:
	s_delay_alu instid0(SALU_CYCLE_1)
	s_and_not1_b32 vcc_lo, exec_lo, s0
	s_cbranch_vccnz .LBB80_1658
; %bb.1657:
	v_cvt_f32_f64_e32 v2, v[0:1]
	s_delay_alu instid0(VALU_DEP_1)
	v_cvt_f16_f32_e32 v2, v2
	global_store_b16 v[10:11], v2, off
.LBB80_1658:
	s_mov_b32 s0, 0
.LBB80_1659:
	s_delay_alu instid0(SALU_CYCLE_1)
	s_and_not1_b32 vcc_lo, exec_lo, s0
	s_cbranch_vccnz .LBB80_1675
; %bb.1660:
	v_cmp_gt_i16_e32 vcc_lo, 2, v13
	s_mov_b32 s0, -1
	s_cbranch_vccnz .LBB80_1670
; %bb.1661:
	v_cmp_gt_i16_e32 vcc_lo, 3, v13
	s_cbranch_vccnz .LBB80_1667
; %bb.1662:
	v_cmp_lt_i16_e32 vcc_lo, 3, v13
	s_cbranch_vccz .LBB80_1664
; %bb.1663:
	v_trunc_f64_e32 v[2:3], v[0:1]
	s_mov_b32 s0, 0
	s_delay_alu instid0(VALU_DEP_1) | instskip(NEXT) | instid1(VALU_DEP_1)
	v_ldexp_f64 v[14:15], v[2:3], 0xffffffe0
	v_floor_f64_e32 v[14:15], v[14:15]
	s_delay_alu instid0(VALU_DEP_1) | instskip(SKIP_1) | instid1(VALU_DEP_2)
	v_fma_f64 v[2:3], 0xc1f00000, v[14:15], v[2:3]
	v_cvt_i32_f64_e32 v15, v[14:15]
	v_cvt_u32_f64_e32 v14, v[2:3]
	global_store_b64 v[10:11], v[14:15], off
.LBB80_1664:
	s_and_not1_b32 vcc_lo, exec_lo, s0
	s_cbranch_vccnz .LBB80_1666
; %bb.1665:
	v_cvt_i32_f64_e32 v2, v[0:1]
	global_store_b32 v[10:11], v2, off
.LBB80_1666:
	s_mov_b32 s0, 0
.LBB80_1667:
	s_delay_alu instid0(SALU_CYCLE_1)
	s_and_not1_b32 vcc_lo, exec_lo, s0
	s_cbranch_vccnz .LBB80_1669
; %bb.1668:
	v_cvt_i32_f64_e32 v2, v[0:1]
	global_store_b16 v[10:11], v2, off
.LBB80_1669:
	s_mov_b32 s0, 0
.LBB80_1670:
	s_delay_alu instid0(SALU_CYCLE_1)
	s_and_not1_b32 vcc_lo, exec_lo, s0
	s_cbranch_vccnz .LBB80_1675
; %bb.1671:
	v_cmp_lt_i16_e32 vcc_lo, 0, v13
	s_mov_b32 s0, -1
	s_cbranch_vccz .LBB80_1673
; %bb.1672:
	v_cvt_i32_f64_e32 v2, v[0:1]
	s_mov_b32 s0, 0
	global_store_b8 v[10:11], v2, off
.LBB80_1673:
	s_and_not1_b32 vcc_lo, exec_lo, s0
	s_cbranch_vccnz .LBB80_1675
; %bb.1674:
	v_trunc_f64_e32 v[0:1], v[0:1]
	s_delay_alu instid0(VALU_DEP_1) | instskip(NEXT) | instid1(VALU_DEP_1)
	v_ldexp_f64 v[2:3], v[0:1], 0xffffffe0
	v_floor_f64_e32 v[2:3], v[2:3]
	s_delay_alu instid0(VALU_DEP_1) | instskip(NEXT) | instid1(VALU_DEP_1)
	v_fma_f64 v[0:1], 0xc1f00000, v[2:3], v[0:1]
	v_cvt_u32_f64_e32 v0, v[0:1]
	global_store_b8 v[10:11], v0, off
.LBB80_1675:
	s_mov_b32 s6, -1
.LBB80_1676:
	s_delay_alu instid0(SALU_CYCLE_1)
	s_and_not1_b32 vcc_lo, exec_lo, s6
	s_cbranch_vccnz .LBB80_1989
; %bb.1677:
	s_mov_b32 s0, 0x652b82fe
	s_mov_b32 s1, 0x3ff71547
	;; [unrolled: 1-line block ×3, first 2 shown]
	v_mul_f64 v[0:1], v[8:9], s[0:1]
	s_mov_b32 s0, 0xfefa39ef
	s_mov_b32 s1, 0xbfe62e42
	;; [unrolled: 1-line block ×3, first 2 shown]
	v_cmp_nlt_f64_e32 vcc_lo, 0x40900000, v[8:9]
	s_delay_alu instid0(VALU_DEP_2) | instskip(NEXT) | instid1(VALU_DEP_1)
	v_rndne_f64_e32 v[0:1], v[0:1]
	v_fma_f64 v[2:3], v[0:1], s[0:1], v[8:9]
	s_mov_b32 s0, 0x3b39803f
	s_mov_b32 s1, 0xbc7abc9e
	v_cvt_i32_f64_e32 v14, v[0:1]
	s_delay_alu instid0(VALU_DEP_2)
	v_fma_f64 v[2:3], v[0:1], s[0:1], v[2:3]
	s_mov_b32 s0, 0xfca7ab0c
	s_mov_b32 s1, 0x3e928af3
	s_delay_alu instid0(VALU_DEP_1) | instid1(SALU_CYCLE_1)
	v_fma_f64 v[10:11], v[2:3], s[6:7], s[0:1]
	s_mov_b32 s0, 0x623fde64
	s_mov_b32 s1, 0x3ec71dee
	s_lshl_b32 s6, s8, 7
	s_mov_b32 s7, 0
	s_delay_alu instid0(VALU_DEP_1)
	v_fma_f64 v[10:11], v[2:3], v[10:11], s[0:1]
	s_mov_b32 s0, 0x7c89e6b0
	s_mov_b32 s1, 0x3efa0199
	s_delay_alu instid0(VALU_DEP_1) | instid1(SALU_CYCLE_1)
	v_fma_f64 v[10:11], v[2:3], v[10:11], s[0:1]
	s_mov_b32 s0, 0x14761f6e
	s_mov_b32 s1, 0x3f2a01a0
	s_delay_alu instid0(VALU_DEP_1) | instid1(SALU_CYCLE_1)
	;; [unrolled: 4-line block ×7, first 2 shown]
	v_fma_f64 v[10:11], v[2:3], v[10:11], s[0:1]
	v_cmp_ngt_f64_e64 s0, 0xc090cc00, v[8:9]
	v_cmp_gt_i16_e64 s1, 11, v13
	s_delay_alu instid0(VALU_DEP_3) | instskip(NEXT) | instid1(VALU_DEP_1)
	v_fma_f64 v[10:11], v[2:3], v[10:11], 1.0
	v_fma_f64 v[0:1], v[2:3], v[10:11], 1.0
	v_add_nc_u32_e32 v10, s6, v12
	s_delay_alu instid0(VALU_DEP_1) | instskip(SKIP_1) | instid1(VALU_DEP_1)
	v_ashrrev_i32_e32 v2, 31, v10
	v_add_co_u32 v8, s2, s4, v10
	v_add_co_ci_u32_e64 v9, s2, s5, v2, s2
	v_ldexp_f64 v[0:1], v[0:1], v14
	s_delay_alu instid0(VALU_DEP_1) | instskip(SKIP_1) | instid1(VALU_DEP_2)
	v_cndmask_b32_e32 v1, 0x7ff00000, v1, vcc_lo
	s_and_b32 vcc_lo, s0, vcc_lo
	v_cndmask_b32_e32 v0, 0, v0, vcc_lo
	s_and_b32 vcc_lo, exec_lo, s1
	s_delay_alu instid0(VALU_DEP_2)
	v_cndmask_b32_e64 v1, 0, v1, s0
	s_mov_b32 s0, -1
	s_cbranch_vccnz .LBB80_1755
; %bb.1678:
	v_cmp_lt_i16_e32 vcc_lo, 25, v13
	s_mov_b32 s2, -1
	s_mov_b32 s1, 0
	s_mov_b32 s0, 0
	s_cbranch_vccz .LBB80_1711
; %bb.1679:
	v_cmp_lt_i16_e32 vcc_lo, 28, v13
	s_cbranch_vccz .LBB80_1694
; %bb.1680:
	v_cmp_lt_i16_e32 vcc_lo, 43, v13
	;; [unrolled: 3-line block ×3, first 2 shown]
	s_cbranch_vccz .LBB80_1684
; %bb.1682:
	v_cmp_eq_u16_e32 vcc_lo, 46, v13
	s_mov_b32 s0, -1
	s_mov_b32 s2, 0
	s_cbranch_vccz .LBB80_1684
; %bb.1683:
	v_cvt_f32_f64_e32 v2, v[0:1]
	s_mov_b32 s0, 0
	s_mov_b32 s7, -1
	s_delay_alu instid0(VALU_DEP_1) | instskip(SKIP_1) | instid1(VALU_DEP_2)
	v_bfe_u32 v3, v2, 16, 1
	v_cmp_o_f32_e32 vcc_lo, v2, v2
	v_add3_u32 v3, v2, v3, 0x7fff
	s_delay_alu instid0(VALU_DEP_1) | instskip(NEXT) | instid1(VALU_DEP_1)
	v_lshrrev_b32_e32 v3, 16, v3
	v_cndmask_b32_e32 v2, 0x7fc0, v3, vcc_lo
	global_store_b32 v[8:9], v2, off
.LBB80_1684:
	s_and_b32 vcc_lo, exec_lo, s2
	s_cbranch_vccz .LBB80_1689
; %bb.1685:
	v_cmp_eq_u16_e32 vcc_lo, 44, v13
	s_mov_b32 s0, -1
	s_cbranch_vccz .LBB80_1689
; %bb.1686:
	v_cvt_f32_f64_e32 v2, v[0:1]
	v_mov_b32_e32 v3, 0xff
	s_mov_b32 s2, exec_lo
	s_delay_alu instid0(VALU_DEP_2) | instskip(NEXT) | instid1(VALU_DEP_1)
	v_bfe_u32 v11, v2, 23, 8
	v_cmpx_ne_u32_e32 0xff, v11
; %bb.1687:
	v_and_b32_e32 v3, 0x400000, v2
	v_and_or_b32 v11, 0x3fffff, v2, v11
	v_lshrrev_b32_e32 v2, 23, v2
	s_delay_alu instid0(VALU_DEP_3) | instskip(NEXT) | instid1(VALU_DEP_3)
	v_cmp_ne_u32_e32 vcc_lo, 0, v3
	v_cmp_ne_u32_e64 s0, 0, v11
	s_delay_alu instid0(VALU_DEP_1) | instskip(NEXT) | instid1(SALU_CYCLE_1)
	s_and_b32 s0, vcc_lo, s0
	v_cndmask_b32_e64 v3, 0, 1, s0
	s_delay_alu instid0(VALU_DEP_1)
	v_add_nc_u32_e32 v3, v2, v3
; %bb.1688:
	s_or_b32 exec_lo, exec_lo, s2
	s_mov_b32 s0, 0
	s_mov_b32 s7, -1
	global_store_b8 v[8:9], v3, off
.LBB80_1689:
	s_mov_b32 s2, 0
.LBB80_1690:
	s_delay_alu instid0(SALU_CYCLE_1)
	s_and_b32 vcc_lo, exec_lo, s2
	s_cbranch_vccz .LBB80_1693
; %bb.1691:
	v_cmp_eq_u16_e32 vcc_lo, 29, v13
	s_mov_b32 s0, -1
	s_cbranch_vccz .LBB80_1693
; %bb.1692:
	v_trunc_f64_e32 v[2:3], v[0:1]
	s_mov_b32 s0, 0
	s_mov_b32 s7, -1
	s_delay_alu instid0(VALU_DEP_1) | instskip(NEXT) | instid1(VALU_DEP_1)
	v_ldexp_f64 v[11:12], v[2:3], 0xffffffe0
	v_floor_f64_e32 v[11:12], v[11:12]
	s_delay_alu instid0(VALU_DEP_1) | instskip(SKIP_1) | instid1(VALU_DEP_2)
	v_fma_f64 v[2:3], 0xc1f00000, v[11:12], v[2:3]
	v_cvt_u32_f64_e32 v12, v[11:12]
	v_cvt_u32_f64_e32 v11, v[2:3]
	global_store_b64 v[8:9], v[11:12], off
.LBB80_1693:
	s_mov_b32 s2, 0
.LBB80_1694:
	s_delay_alu instid0(SALU_CYCLE_1)
	s_and_b32 vcc_lo, exec_lo, s2
	s_cbranch_vccz .LBB80_1710
; %bb.1695:
	v_cmp_gt_i16_e32 vcc_lo, 27, v13
	s_mov_b32 s2, -1
	s_cbranch_vccnz .LBB80_1701
; %bb.1696:
	v_cvt_u32_f64_e32 v2, v[0:1]
	v_cmp_lt_i16_e32 vcc_lo, 27, v13
	s_cbranch_vccz .LBB80_1698
; %bb.1697:
	s_mov_b32 s2, 0
	global_store_b32 v[8:9], v2, off
.LBB80_1698:
	s_and_not1_b32 vcc_lo, exec_lo, s2
	s_cbranch_vccnz .LBB80_1700
; %bb.1699:
	global_store_b16 v[8:9], v2, off
.LBB80_1700:
	s_mov_b32 s2, 0
.LBB80_1701:
	s_delay_alu instid0(SALU_CYCLE_1)
	s_and_not1_b32 vcc_lo, exec_lo, s2
	s_cbranch_vccnz .LBB80_1709
; %bb.1702:
	v_cvt_f32_f64_e32 v2, v[0:1]
	v_mov_b32_e32 v11, 0x80
	s_mov_b32 s2, exec_lo
	s_delay_alu instid0(VALU_DEP_2) | instskip(NEXT) | instid1(VALU_DEP_1)
	v_and_b32_e32 v3, 0x7fffffff, v2
	v_cmpx_gt_u32_e32 0x43800000, v3
	s_cbranch_execz .LBB80_1708
; %bb.1703:
	v_cmp_lt_u32_e32 vcc_lo, 0x3bffffff, v3
	s_mov_b32 s7, 0
                                        ; implicit-def: $vgpr3
	s_and_saveexec_b32 s8, vcc_lo
	s_delay_alu instid0(SALU_CYCLE_1)
	s_xor_b32 s8, exec_lo, s8
	s_cbranch_execz .LBB80_2044
; %bb.1704:
	v_bfe_u32 v3, v2, 20, 1
	s_mov_b32 s7, exec_lo
	s_delay_alu instid0(VALU_DEP_1) | instskip(NEXT) | instid1(VALU_DEP_1)
	v_add3_u32 v3, v2, v3, 0x487ffff
	v_lshrrev_b32_e32 v3, 20, v3
	s_or_saveexec_b32 s8, s8
                                        ; implicit-def: $sgpr9
	s_delay_alu instid0(SALU_CYCLE_1)
	s_xor_b32 exec_lo, exec_lo, s8
	s_cbranch_execnz .LBB80_2045
.LBB80_1705:
	s_or_b32 exec_lo, exec_lo, s8
	v_mov_b32_e32 v11, s9
	s_and_saveexec_b32 s8, s7
.LBB80_1706:
	v_lshrrev_b32_e32 v2, 24, v2
	s_delay_alu instid0(VALU_DEP_1)
	v_and_or_b32 v11, 0x80, v2, v3
.LBB80_1707:
	s_or_b32 exec_lo, exec_lo, s8
.LBB80_1708:
	s_delay_alu instid0(SALU_CYCLE_1)
	s_or_b32 exec_lo, exec_lo, s2
	global_store_b8 v[8:9], v11, off
.LBB80_1709:
	s_mov_b32 s7, -1
.LBB80_1710:
	s_mov_b32 s2, 0
.LBB80_1711:
	s_delay_alu instid0(SALU_CYCLE_1)
	s_and_b32 vcc_lo, exec_lo, s2
	s_cbranch_vccz .LBB80_1751
; %bb.1712:
	v_cmp_lt_i16_e32 vcc_lo, 22, v13
	s_mov_b32 s1, -1
	s_cbranch_vccz .LBB80_1744
; %bb.1713:
	v_cmp_gt_i16_e32 vcc_lo, 24, v13
	s_cbranch_vccnz .LBB80_1733
; %bb.1714:
	v_cmp_lt_i16_e32 vcc_lo, 24, v13
	s_cbranch_vccz .LBB80_1722
; %bb.1715:
	v_cvt_f32_f64_e32 v2, v[0:1]
	v_mov_b32_e32 v11, 0x80
	s_mov_b32 s1, exec_lo
	s_delay_alu instid0(VALU_DEP_2) | instskip(NEXT) | instid1(VALU_DEP_1)
	v_and_b32_e32 v3, 0x7fffffff, v2
	v_cmpx_gt_u32_e32 0x47800000, v3
	s_cbranch_execz .LBB80_1721
; %bb.1716:
	v_cmp_lt_u32_e32 vcc_lo, 0x37ffffff, v3
	s_mov_b32 s2, 0
                                        ; implicit-def: $vgpr3
	s_and_saveexec_b32 s7, vcc_lo
	s_delay_alu instid0(SALU_CYCLE_1)
	s_xor_b32 s7, exec_lo, s7
	s_cbranch_execz .LBB80_2050
; %bb.1717:
	v_bfe_u32 v3, v2, 21, 1
	s_mov_b32 s2, exec_lo
	s_delay_alu instid0(VALU_DEP_1) | instskip(NEXT) | instid1(VALU_DEP_1)
	v_add3_u32 v3, v2, v3, 0x88fffff
	v_lshrrev_b32_e32 v3, 21, v3
	s_or_saveexec_b32 s7, s7
                                        ; implicit-def: $sgpr8
	s_delay_alu instid0(SALU_CYCLE_1)
	s_xor_b32 exec_lo, exec_lo, s7
	s_cbranch_execnz .LBB80_2051
.LBB80_1718:
	s_or_b32 exec_lo, exec_lo, s7
	v_mov_b32_e32 v11, s8
	s_and_saveexec_b32 s7, s2
.LBB80_1719:
	v_lshrrev_b32_e32 v2, 24, v2
	s_delay_alu instid0(VALU_DEP_1)
	v_and_or_b32 v11, 0x80, v2, v3
.LBB80_1720:
	s_or_b32 exec_lo, exec_lo, s7
.LBB80_1721:
	s_delay_alu instid0(SALU_CYCLE_1)
	s_or_b32 exec_lo, exec_lo, s1
	s_mov_b32 s1, 0
	global_store_b8 v[8:9], v11, off
.LBB80_1722:
	s_and_b32 vcc_lo, exec_lo, s1
	s_cbranch_vccz .LBB80_1732
; %bb.1723:
	v_cvt_f32_f64_e32 v2, v[0:1]
	s_mov_b32 s1, exec_lo
                                        ; implicit-def: $vgpr3
	s_delay_alu instid0(VALU_DEP_1) | instskip(NEXT) | instid1(VALU_DEP_1)
	v_and_b32_e32 v11, 0x7fffffff, v2
	v_cmpx_gt_u32_e32 0x43f00000, v11
	s_xor_b32 s1, exec_lo, s1
	s_cbranch_execz .LBB80_1729
; %bb.1724:
	s_mov_b32 s2, exec_lo
                                        ; implicit-def: $vgpr3
	v_cmpx_lt_u32_e32 0x3c7fffff, v11
	s_xor_b32 s2, exec_lo, s2
; %bb.1725:
	v_bfe_u32 v3, v2, 20, 1
	s_delay_alu instid0(VALU_DEP_1) | instskip(NEXT) | instid1(VALU_DEP_1)
	v_add3_u32 v3, v2, v3, 0x407ffff
	v_and_b32_e32 v11, 0xff00000, v3
	v_lshrrev_b32_e32 v3, 20, v3
	s_delay_alu instid0(VALU_DEP_2) | instskip(NEXT) | instid1(VALU_DEP_2)
	v_cmp_ne_u32_e32 vcc_lo, 0x7f00000, v11
	v_cndmask_b32_e32 v3, 0x7e, v3, vcc_lo
; %bb.1726:
	s_and_not1_saveexec_b32 s2, s2
; %bb.1727:
	v_add_f32_e64 v3, 0x46800000, |v2|
; %bb.1728:
	s_or_b32 exec_lo, exec_lo, s2
                                        ; implicit-def: $vgpr11
.LBB80_1729:
	s_and_not1_saveexec_b32 s1, s1
; %bb.1730:
	v_mov_b32_e32 v3, 0x7f
	v_cmp_lt_u32_e32 vcc_lo, 0x7f800000, v11
	s_delay_alu instid0(VALU_DEP_2)
	v_cndmask_b32_e32 v3, 0x7e, v3, vcc_lo
; %bb.1731:
	s_or_b32 exec_lo, exec_lo, s1
	v_lshrrev_b32_e32 v2, 24, v2
	s_delay_alu instid0(VALU_DEP_1)
	v_and_or_b32 v2, 0x80, v2, v3
	global_store_b8 v[8:9], v2, off
.LBB80_1732:
	s_mov_b32 s1, 0
.LBB80_1733:
	s_delay_alu instid0(SALU_CYCLE_1)
	s_and_not1_b32 vcc_lo, exec_lo, s1
	s_cbranch_vccnz .LBB80_1743
; %bb.1734:
	v_cvt_f32_f64_e32 v2, v[0:1]
	s_mov_b32 s1, exec_lo
                                        ; implicit-def: $vgpr3
	s_delay_alu instid0(VALU_DEP_1) | instskip(NEXT) | instid1(VALU_DEP_1)
	v_and_b32_e32 v11, 0x7fffffff, v2
	v_cmpx_gt_u32_e32 0x47800000, v11
	s_xor_b32 s1, exec_lo, s1
	s_cbranch_execz .LBB80_1740
; %bb.1735:
	s_mov_b32 s2, exec_lo
                                        ; implicit-def: $vgpr3
	v_cmpx_lt_u32_e32 0x387fffff, v11
	s_xor_b32 s2, exec_lo, s2
; %bb.1736:
	v_bfe_u32 v3, v2, 21, 1
	s_delay_alu instid0(VALU_DEP_1) | instskip(NEXT) | instid1(VALU_DEP_1)
	v_add3_u32 v3, v2, v3, 0x80fffff
	v_lshrrev_b32_e32 v3, 21, v3
; %bb.1737:
	s_and_not1_saveexec_b32 s2, s2
; %bb.1738:
	v_add_f32_e64 v3, 0x43000000, |v2|
; %bb.1739:
	s_or_b32 exec_lo, exec_lo, s2
                                        ; implicit-def: $vgpr11
.LBB80_1740:
	s_and_not1_saveexec_b32 s1, s1
; %bb.1741:
	v_mov_b32_e32 v3, 0x7f
	v_cmp_lt_u32_e32 vcc_lo, 0x7f800000, v11
	s_delay_alu instid0(VALU_DEP_2)
	v_cndmask_b32_e32 v3, 0x7c, v3, vcc_lo
; %bb.1742:
	s_or_b32 exec_lo, exec_lo, s1
	v_lshrrev_b32_e32 v2, 24, v2
	s_delay_alu instid0(VALU_DEP_1)
	v_and_or_b32 v2, 0x80, v2, v3
	global_store_b8 v[8:9], v2, off
.LBB80_1743:
	s_mov_b32 s1, 0
	s_mov_b32 s7, -1
.LBB80_1744:
	s_and_not1_b32 vcc_lo, exec_lo, s1
	s_mov_b32 s1, 0
	s_cbranch_vccnz .LBB80_1751
; %bb.1745:
	v_cmp_lt_i16_e32 vcc_lo, 14, v13
	s_mov_b32 s1, -1
	s_cbranch_vccz .LBB80_1749
; %bb.1746:
	v_cmp_eq_u16_e32 vcc_lo, 15, v13
	s_mov_b32 s0, -1
	s_cbranch_vccz .LBB80_1748
; %bb.1747:
	v_cvt_f32_f64_e32 v2, v[0:1]
	s_mov_b32 s0, 0
	s_mov_b32 s7, -1
	s_delay_alu instid0(VALU_DEP_1) | instskip(SKIP_1) | instid1(VALU_DEP_2)
	v_bfe_u32 v3, v2, 16, 1
	v_cmp_o_f32_e32 vcc_lo, v2, v2
	v_add3_u32 v3, v2, v3, 0x7fff
	s_delay_alu instid0(VALU_DEP_1) | instskip(NEXT) | instid1(VALU_DEP_1)
	v_lshrrev_b32_e32 v3, 16, v3
	v_cndmask_b32_e32 v2, 0x7fc0, v3, vcc_lo
	global_store_b16 v[8:9], v2, off
.LBB80_1748:
	s_mov_b32 s1, 0
.LBB80_1749:
	s_delay_alu instid0(SALU_CYCLE_1)
	s_and_b32 vcc_lo, exec_lo, s1
	s_mov_b32 s1, 0
	s_cbranch_vccz .LBB80_1751
; %bb.1750:
	v_cmp_ne_u16_e64 s0, 11, v13
	s_mov_b32 s1, -1
.LBB80_1751:
	s_delay_alu instid0(VALU_DEP_1)
	s_and_b32 vcc_lo, exec_lo, s0
	s_cbranch_vccnz .LBB80_2048
; %bb.1752:
	s_and_not1_b32 vcc_lo, exec_lo, s1
	s_cbranch_vccnz .LBB80_1754
.LBB80_1753:
	v_cmp_neq_f64_e32 vcc_lo, 0, v[0:1]
	s_mov_b32 s7, -1
	v_cndmask_b32_e64 v2, 0, 1, vcc_lo
	global_store_b8 v[8:9], v2, off
.LBB80_1754:
	s_mov_b32 s0, 0
.LBB80_1755:
	s_delay_alu instid0(SALU_CYCLE_1)
	s_and_b32 vcc_lo, exec_lo, s0
	s_cbranch_vccz .LBB80_1794
; %bb.1756:
	v_cmp_gt_i16_e32 vcc_lo, 5, v13
	s_mov_b32 s0, -1
	s_cbranch_vccnz .LBB80_1777
; %bb.1757:
	v_cmp_gt_i16_e32 vcc_lo, 8, v13
	s_cbranch_vccnz .LBB80_1767
; %bb.1758:
	v_cmp_gt_i16_e32 vcc_lo, 9, v13
	s_cbranch_vccnz .LBB80_1764
; %bb.1759:
	v_cmp_lt_i16_e32 vcc_lo, 9, v13
	s_cbranch_vccz .LBB80_1761
; %bb.1760:
	v_mov_b32_e32 v2, 0
	s_mov_b32 s0, 0
	s_delay_alu instid0(VALU_DEP_1)
	v_mov_b32_e32 v3, v2
	global_store_b128 v[8:9], v[0:3], off
.LBB80_1761:
	s_and_not1_b32 vcc_lo, exec_lo, s0
	s_cbranch_vccnz .LBB80_1763
; %bb.1762:
	v_cvt_f32_f64_e32 v2, v[0:1]
	v_mov_b32_e32 v3, 0
	global_store_b64 v[8:9], v[2:3], off
.LBB80_1763:
	s_mov_b32 s0, 0
.LBB80_1764:
	s_delay_alu instid0(SALU_CYCLE_1)
	s_and_not1_b32 vcc_lo, exec_lo, s0
	s_cbranch_vccnz .LBB80_1766
; %bb.1765:
	v_cvt_f32_f64_e32 v2, v[0:1]
	s_delay_alu instid0(VALU_DEP_1) | instskip(NEXT) | instid1(VALU_DEP_1)
	v_cvt_f16_f32_e32 v2, v2
	v_and_b32_e32 v2, 0xffff, v2
	global_store_b32 v[8:9], v2, off
.LBB80_1766:
	s_mov_b32 s0, 0
.LBB80_1767:
	s_delay_alu instid0(SALU_CYCLE_1)
	s_and_not1_b32 vcc_lo, exec_lo, s0
	s_cbranch_vccnz .LBB80_1776
; %bb.1768:
	v_cmp_gt_i16_e32 vcc_lo, 6, v13
	s_mov_b32 s0, -1
	s_cbranch_vccnz .LBB80_1774
; %bb.1769:
	v_cmp_lt_i16_e32 vcc_lo, 6, v13
	s_cbranch_vccz .LBB80_1771
; %bb.1770:
	s_mov_b32 s0, 0
	global_store_b64 v[8:9], v[0:1], off
.LBB80_1771:
	s_and_not1_b32 vcc_lo, exec_lo, s0
	s_cbranch_vccnz .LBB80_1773
; %bb.1772:
	v_cvt_f32_f64_e32 v2, v[0:1]
	global_store_b32 v[8:9], v2, off
.LBB80_1773:
	s_mov_b32 s0, 0
.LBB80_1774:
	s_delay_alu instid0(SALU_CYCLE_1)
	s_and_not1_b32 vcc_lo, exec_lo, s0
	s_cbranch_vccnz .LBB80_1776
; %bb.1775:
	v_cvt_f32_f64_e32 v2, v[0:1]
	s_delay_alu instid0(VALU_DEP_1)
	v_cvt_f16_f32_e32 v2, v2
	global_store_b16 v[8:9], v2, off
.LBB80_1776:
	s_mov_b32 s0, 0
.LBB80_1777:
	s_delay_alu instid0(SALU_CYCLE_1)
	s_and_not1_b32 vcc_lo, exec_lo, s0
	s_cbranch_vccnz .LBB80_1793
; %bb.1778:
	v_cmp_gt_i16_e32 vcc_lo, 2, v13
	s_mov_b32 s0, -1
	s_cbranch_vccnz .LBB80_1788
; %bb.1779:
	v_cmp_gt_i16_e32 vcc_lo, 3, v13
	s_cbranch_vccnz .LBB80_1785
; %bb.1780:
	v_cmp_lt_i16_e32 vcc_lo, 3, v13
	s_cbranch_vccz .LBB80_1782
; %bb.1781:
	v_trunc_f64_e32 v[2:3], v[0:1]
	s_mov_b32 s0, 0
	s_delay_alu instid0(VALU_DEP_1) | instskip(NEXT) | instid1(VALU_DEP_1)
	v_ldexp_f64 v[11:12], v[2:3], 0xffffffe0
	v_floor_f64_e32 v[11:12], v[11:12]
	s_delay_alu instid0(VALU_DEP_1) | instskip(SKIP_1) | instid1(VALU_DEP_2)
	v_fma_f64 v[2:3], 0xc1f00000, v[11:12], v[2:3]
	v_cvt_i32_f64_e32 v12, v[11:12]
	v_cvt_u32_f64_e32 v11, v[2:3]
	global_store_b64 v[8:9], v[11:12], off
.LBB80_1782:
	s_and_not1_b32 vcc_lo, exec_lo, s0
	s_cbranch_vccnz .LBB80_1784
; %bb.1783:
	v_cvt_i32_f64_e32 v2, v[0:1]
	global_store_b32 v[8:9], v2, off
.LBB80_1784:
	s_mov_b32 s0, 0
.LBB80_1785:
	s_delay_alu instid0(SALU_CYCLE_1)
	s_and_not1_b32 vcc_lo, exec_lo, s0
	s_cbranch_vccnz .LBB80_1787
; %bb.1786:
	v_cvt_i32_f64_e32 v2, v[0:1]
	global_store_b16 v[8:9], v2, off
.LBB80_1787:
	s_mov_b32 s0, 0
.LBB80_1788:
	s_delay_alu instid0(SALU_CYCLE_1)
	s_and_not1_b32 vcc_lo, exec_lo, s0
	s_cbranch_vccnz .LBB80_1793
; %bb.1789:
	v_cmp_lt_i16_e32 vcc_lo, 0, v13
	s_mov_b32 s0, -1
	s_cbranch_vccz .LBB80_1791
; %bb.1790:
	v_cvt_i32_f64_e32 v2, v[0:1]
	s_mov_b32 s0, 0
	global_store_b8 v[8:9], v2, off
.LBB80_1791:
	s_and_not1_b32 vcc_lo, exec_lo, s0
	s_cbranch_vccnz .LBB80_1793
; %bb.1792:
	v_trunc_f64_e32 v[0:1], v[0:1]
	s_delay_alu instid0(VALU_DEP_1) | instskip(NEXT) | instid1(VALU_DEP_1)
	v_ldexp_f64 v[2:3], v[0:1], 0xffffffe0
	v_floor_f64_e32 v[2:3], v[2:3]
	s_delay_alu instid0(VALU_DEP_1) | instskip(NEXT) | instid1(VALU_DEP_1)
	v_fma_f64 v[0:1], 0xc1f00000, v[2:3], v[0:1]
	v_cvt_u32_f64_e32 v0, v[0:1]
	global_store_b8 v[8:9], v0, off
.LBB80_1793:
	s_mov_b32 s7, -1
.LBB80_1794:
	s_delay_alu instid0(SALU_CYCLE_1)
	s_and_not1_b32 vcc_lo, exec_lo, s7
	s_cbranch_vccnz .LBB80_1989
; %bb.1795:
	s_mov_b32 s0, 0x652b82fe
	s_mov_b32 s1, 0x3ff71547
	;; [unrolled: 1-line block ×3, first 2 shown]
	v_mul_f64 v[0:1], v[6:7], s[0:1]
	s_mov_b32 s0, 0xfefa39ef
	s_mov_b32 s1, 0xbfe62e42
	;; [unrolled: 1-line block ×3, first 2 shown]
	v_cmp_nlt_f64_e32 vcc_lo, 0x40900000, v[6:7]
	s_mov_b32 s7, 0
	s_delay_alu instid0(VALU_DEP_2) | instskip(NEXT) | instid1(VALU_DEP_1)
	v_rndne_f64_e32 v[0:1], v[0:1]
	v_fma_f64 v[2:3], v[0:1], s[0:1], v[6:7]
	s_mov_b32 s0, 0x3b39803f
	s_mov_b32 s1, 0xbc7abc9e
	v_cvt_i32_f64_e32 v11, v[0:1]
	s_delay_alu instid0(VALU_DEP_2)
	v_fma_f64 v[2:3], v[0:1], s[0:1], v[2:3]
	s_mov_b32 s0, 0xfca7ab0c
	s_mov_b32 s1, 0x3e928af3
	s_delay_alu instid0(VALU_DEP_1) | instid1(SALU_CYCLE_1)
	v_fma_f64 v[8:9], v[2:3], s[8:9], s[0:1]
	s_mov_b32 s0, 0x623fde64
	s_mov_b32 s1, 0x3ec71dee
	s_delay_alu instid0(VALU_DEP_1) | instid1(SALU_CYCLE_1)
	;; [unrolled: 4-line block ×9, first 2 shown]
	v_fma_f64 v[8:9], v[2:3], v[8:9], s[0:1]
	v_cmp_ngt_f64_e64 s0, 0xc090cc00, v[6:7]
	v_cmp_gt_i16_e64 s1, 11, v13
	s_delay_alu instid0(VALU_DEP_3) | instskip(NEXT) | instid1(VALU_DEP_1)
	v_fma_f64 v[8:9], v[2:3], v[8:9], 1.0
	v_fma_f64 v[0:1], v[2:3], v[8:9], 1.0
	v_add_nc_u32_e32 v8, s6, v10
	s_delay_alu instid0(VALU_DEP_1) | instskip(SKIP_1) | instid1(VALU_DEP_1)
	v_ashrrev_i32_e32 v2, 31, v8
	v_add_co_u32 v6, s2, s4, v8
	v_add_co_ci_u32_e64 v7, s2, s5, v2, s2
	v_ldexp_f64 v[0:1], v[0:1], v11
	s_delay_alu instid0(VALU_DEP_1) | instskip(SKIP_1) | instid1(VALU_DEP_2)
	v_cndmask_b32_e32 v1, 0x7ff00000, v1, vcc_lo
	s_and_b32 vcc_lo, s0, vcc_lo
	v_cndmask_b32_e32 v0, 0, v0, vcc_lo
	s_and_b32 vcc_lo, exec_lo, s1
	s_delay_alu instid0(VALU_DEP_2)
	v_cndmask_b32_e64 v1, 0, v1, s0
	s_mov_b32 s0, -1
	s_cbranch_vccnz .LBB80_1873
; %bb.1796:
	v_cmp_lt_i16_e32 vcc_lo, 25, v13
	s_mov_b32 s2, -1
	s_mov_b32 s1, 0
	s_mov_b32 s0, 0
	s_cbranch_vccz .LBB80_1829
; %bb.1797:
	v_cmp_lt_i16_e32 vcc_lo, 28, v13
	s_cbranch_vccz .LBB80_1812
; %bb.1798:
	v_cmp_lt_i16_e32 vcc_lo, 43, v13
	s_cbranch_vccz .LBB80_1808
; %bb.1799:
	v_cmp_lt_i16_e32 vcc_lo, 45, v13
	s_cbranch_vccz .LBB80_1802
; %bb.1800:
	v_cmp_eq_u16_e32 vcc_lo, 46, v13
	s_mov_b32 s0, -1
	s_mov_b32 s2, 0
	s_cbranch_vccz .LBB80_1802
; %bb.1801:
	v_cvt_f32_f64_e32 v2, v[0:1]
	s_mov_b32 s0, 0
	s_mov_b32 s7, -1
	s_delay_alu instid0(VALU_DEP_1) | instskip(SKIP_1) | instid1(VALU_DEP_2)
	v_bfe_u32 v3, v2, 16, 1
	v_cmp_o_f32_e32 vcc_lo, v2, v2
	v_add3_u32 v3, v2, v3, 0x7fff
	s_delay_alu instid0(VALU_DEP_1) | instskip(NEXT) | instid1(VALU_DEP_1)
	v_lshrrev_b32_e32 v3, 16, v3
	v_cndmask_b32_e32 v2, 0x7fc0, v3, vcc_lo
	global_store_b32 v[6:7], v2, off
.LBB80_1802:
	s_and_b32 vcc_lo, exec_lo, s2
	s_cbranch_vccz .LBB80_1807
; %bb.1803:
	v_cmp_eq_u16_e32 vcc_lo, 44, v13
	s_mov_b32 s0, -1
	s_cbranch_vccz .LBB80_1807
; %bb.1804:
	v_cvt_f32_f64_e32 v2, v[0:1]
	v_mov_b32_e32 v3, 0xff
	s_mov_b32 s2, exec_lo
	s_delay_alu instid0(VALU_DEP_2) | instskip(NEXT) | instid1(VALU_DEP_1)
	v_bfe_u32 v9, v2, 23, 8
	v_cmpx_ne_u32_e32 0xff, v9
; %bb.1805:
	v_and_b32_e32 v3, 0x400000, v2
	v_and_or_b32 v9, 0x3fffff, v2, v9
	v_lshrrev_b32_e32 v2, 23, v2
	s_delay_alu instid0(VALU_DEP_3) | instskip(NEXT) | instid1(VALU_DEP_3)
	v_cmp_ne_u32_e32 vcc_lo, 0, v3
	v_cmp_ne_u32_e64 s0, 0, v9
	s_delay_alu instid0(VALU_DEP_1) | instskip(NEXT) | instid1(SALU_CYCLE_1)
	s_and_b32 s0, vcc_lo, s0
	v_cndmask_b32_e64 v3, 0, 1, s0
	s_delay_alu instid0(VALU_DEP_1)
	v_add_nc_u32_e32 v3, v2, v3
; %bb.1806:
	s_or_b32 exec_lo, exec_lo, s2
	s_mov_b32 s0, 0
	s_mov_b32 s7, -1
	global_store_b8 v[6:7], v3, off
.LBB80_1807:
	s_mov_b32 s2, 0
.LBB80_1808:
	s_delay_alu instid0(SALU_CYCLE_1)
	s_and_b32 vcc_lo, exec_lo, s2
	s_cbranch_vccz .LBB80_1811
; %bb.1809:
	v_cmp_eq_u16_e32 vcc_lo, 29, v13
	s_mov_b32 s0, -1
	s_cbranch_vccz .LBB80_1811
; %bb.1810:
	v_trunc_f64_e32 v[2:3], v[0:1]
	s_mov_b32 s0, 0
	s_mov_b32 s7, -1
	s_delay_alu instid0(VALU_DEP_1) | instskip(NEXT) | instid1(VALU_DEP_1)
	v_ldexp_f64 v[9:10], v[2:3], 0xffffffe0
	v_floor_f64_e32 v[9:10], v[9:10]
	s_delay_alu instid0(VALU_DEP_1) | instskip(SKIP_1) | instid1(VALU_DEP_2)
	v_fma_f64 v[2:3], 0xc1f00000, v[9:10], v[2:3]
	v_cvt_u32_f64_e32 v10, v[9:10]
	v_cvt_u32_f64_e32 v9, v[2:3]
	global_store_b64 v[6:7], v[9:10], off
.LBB80_1811:
	s_mov_b32 s2, 0
.LBB80_1812:
	s_delay_alu instid0(SALU_CYCLE_1)
	s_and_b32 vcc_lo, exec_lo, s2
	s_cbranch_vccz .LBB80_1828
; %bb.1813:
	v_cmp_gt_i16_e32 vcc_lo, 27, v13
	s_mov_b32 s2, -1
	s_cbranch_vccnz .LBB80_1819
; %bb.1814:
	v_cvt_u32_f64_e32 v2, v[0:1]
	v_cmp_lt_i16_e32 vcc_lo, 27, v13
	s_cbranch_vccz .LBB80_1816
; %bb.1815:
	s_mov_b32 s2, 0
	global_store_b32 v[6:7], v2, off
.LBB80_1816:
	s_and_not1_b32 vcc_lo, exec_lo, s2
	s_cbranch_vccnz .LBB80_1818
; %bb.1817:
	global_store_b16 v[6:7], v2, off
.LBB80_1818:
	s_mov_b32 s2, 0
.LBB80_1819:
	s_delay_alu instid0(SALU_CYCLE_1)
	s_and_not1_b32 vcc_lo, exec_lo, s2
	s_cbranch_vccnz .LBB80_1827
; %bb.1820:
	v_cvt_f32_f64_e32 v2, v[0:1]
	v_mov_b32_e32 v9, 0x80
	s_mov_b32 s2, exec_lo
	s_delay_alu instid0(VALU_DEP_2) | instskip(NEXT) | instid1(VALU_DEP_1)
	v_and_b32_e32 v3, 0x7fffffff, v2
	v_cmpx_gt_u32_e32 0x43800000, v3
	s_cbranch_execz .LBB80_1826
; %bb.1821:
	v_cmp_lt_u32_e32 vcc_lo, 0x3bffffff, v3
	s_mov_b32 s7, 0
                                        ; implicit-def: $vgpr3
	s_and_saveexec_b32 s8, vcc_lo
	s_delay_alu instid0(SALU_CYCLE_1)
	s_xor_b32 s8, exec_lo, s8
	s_cbranch_execz .LBB80_2052
; %bb.1822:
	v_bfe_u32 v3, v2, 20, 1
	s_mov_b32 s7, exec_lo
	s_delay_alu instid0(VALU_DEP_1) | instskip(NEXT) | instid1(VALU_DEP_1)
	v_add3_u32 v3, v2, v3, 0x487ffff
	v_lshrrev_b32_e32 v3, 20, v3
	s_or_saveexec_b32 s8, s8
                                        ; implicit-def: $sgpr9
	s_delay_alu instid0(SALU_CYCLE_1)
	s_xor_b32 exec_lo, exec_lo, s8
	s_cbranch_execnz .LBB80_2053
.LBB80_1823:
	s_or_b32 exec_lo, exec_lo, s8
	v_mov_b32_e32 v9, s9
	s_and_saveexec_b32 s8, s7
.LBB80_1824:
	v_lshrrev_b32_e32 v2, 24, v2
	s_delay_alu instid0(VALU_DEP_1)
	v_and_or_b32 v9, 0x80, v2, v3
.LBB80_1825:
	s_or_b32 exec_lo, exec_lo, s8
.LBB80_1826:
	s_delay_alu instid0(SALU_CYCLE_1)
	s_or_b32 exec_lo, exec_lo, s2
	global_store_b8 v[6:7], v9, off
.LBB80_1827:
	s_mov_b32 s7, -1
.LBB80_1828:
	s_mov_b32 s2, 0
.LBB80_1829:
	s_delay_alu instid0(SALU_CYCLE_1)
	s_and_b32 vcc_lo, exec_lo, s2
	s_cbranch_vccz .LBB80_1869
; %bb.1830:
	v_cmp_lt_i16_e32 vcc_lo, 22, v13
	s_mov_b32 s1, -1
	s_cbranch_vccz .LBB80_1862
; %bb.1831:
	v_cmp_gt_i16_e32 vcc_lo, 24, v13
	s_cbranch_vccnz .LBB80_1851
; %bb.1832:
	v_cmp_lt_i16_e32 vcc_lo, 24, v13
	s_cbranch_vccz .LBB80_1840
; %bb.1833:
	v_cvt_f32_f64_e32 v2, v[0:1]
	v_mov_b32_e32 v9, 0x80
	s_mov_b32 s1, exec_lo
	s_delay_alu instid0(VALU_DEP_2) | instskip(NEXT) | instid1(VALU_DEP_1)
	v_and_b32_e32 v3, 0x7fffffff, v2
	v_cmpx_gt_u32_e32 0x47800000, v3
	s_cbranch_execz .LBB80_1839
; %bb.1834:
	v_cmp_lt_u32_e32 vcc_lo, 0x37ffffff, v3
	s_mov_b32 s2, 0
                                        ; implicit-def: $vgpr3
	s_and_saveexec_b32 s7, vcc_lo
	s_delay_alu instid0(SALU_CYCLE_1)
	s_xor_b32 s7, exec_lo, s7
	s_cbranch_execz .LBB80_2058
; %bb.1835:
	v_bfe_u32 v3, v2, 21, 1
	s_mov_b32 s2, exec_lo
	s_delay_alu instid0(VALU_DEP_1) | instskip(NEXT) | instid1(VALU_DEP_1)
	v_add3_u32 v3, v2, v3, 0x88fffff
	v_lshrrev_b32_e32 v3, 21, v3
	s_or_saveexec_b32 s7, s7
                                        ; implicit-def: $sgpr8
	s_delay_alu instid0(SALU_CYCLE_1)
	s_xor_b32 exec_lo, exec_lo, s7
	s_cbranch_execnz .LBB80_2059
.LBB80_1836:
	s_or_b32 exec_lo, exec_lo, s7
	v_mov_b32_e32 v9, s8
	s_and_saveexec_b32 s7, s2
.LBB80_1837:
	v_lshrrev_b32_e32 v2, 24, v2
	s_delay_alu instid0(VALU_DEP_1)
	v_and_or_b32 v9, 0x80, v2, v3
.LBB80_1838:
	s_or_b32 exec_lo, exec_lo, s7
.LBB80_1839:
	s_delay_alu instid0(SALU_CYCLE_1)
	s_or_b32 exec_lo, exec_lo, s1
	s_mov_b32 s1, 0
	global_store_b8 v[6:7], v9, off
.LBB80_1840:
	s_and_b32 vcc_lo, exec_lo, s1
	s_cbranch_vccz .LBB80_1850
; %bb.1841:
	v_cvt_f32_f64_e32 v2, v[0:1]
	s_mov_b32 s1, exec_lo
                                        ; implicit-def: $vgpr3
	s_delay_alu instid0(VALU_DEP_1) | instskip(NEXT) | instid1(VALU_DEP_1)
	v_and_b32_e32 v9, 0x7fffffff, v2
	v_cmpx_gt_u32_e32 0x43f00000, v9
	s_xor_b32 s1, exec_lo, s1
	s_cbranch_execz .LBB80_1847
; %bb.1842:
	s_mov_b32 s2, exec_lo
                                        ; implicit-def: $vgpr3
	v_cmpx_lt_u32_e32 0x3c7fffff, v9
	s_xor_b32 s2, exec_lo, s2
; %bb.1843:
	v_bfe_u32 v3, v2, 20, 1
	s_delay_alu instid0(VALU_DEP_1) | instskip(NEXT) | instid1(VALU_DEP_1)
	v_add3_u32 v3, v2, v3, 0x407ffff
	v_and_b32_e32 v9, 0xff00000, v3
	v_lshrrev_b32_e32 v3, 20, v3
	s_delay_alu instid0(VALU_DEP_2) | instskip(NEXT) | instid1(VALU_DEP_2)
	v_cmp_ne_u32_e32 vcc_lo, 0x7f00000, v9
	v_cndmask_b32_e32 v3, 0x7e, v3, vcc_lo
; %bb.1844:
	s_and_not1_saveexec_b32 s2, s2
; %bb.1845:
	v_add_f32_e64 v3, 0x46800000, |v2|
; %bb.1846:
	s_or_b32 exec_lo, exec_lo, s2
                                        ; implicit-def: $vgpr9
.LBB80_1847:
	s_and_not1_saveexec_b32 s1, s1
; %bb.1848:
	v_mov_b32_e32 v3, 0x7f
	v_cmp_lt_u32_e32 vcc_lo, 0x7f800000, v9
	s_delay_alu instid0(VALU_DEP_2)
	v_cndmask_b32_e32 v3, 0x7e, v3, vcc_lo
; %bb.1849:
	s_or_b32 exec_lo, exec_lo, s1
	v_lshrrev_b32_e32 v2, 24, v2
	s_delay_alu instid0(VALU_DEP_1)
	v_and_or_b32 v2, 0x80, v2, v3
	global_store_b8 v[6:7], v2, off
.LBB80_1850:
	s_mov_b32 s1, 0
.LBB80_1851:
	s_delay_alu instid0(SALU_CYCLE_1)
	s_and_not1_b32 vcc_lo, exec_lo, s1
	s_cbranch_vccnz .LBB80_1861
; %bb.1852:
	v_cvt_f32_f64_e32 v2, v[0:1]
	s_mov_b32 s1, exec_lo
                                        ; implicit-def: $vgpr3
	s_delay_alu instid0(VALU_DEP_1) | instskip(NEXT) | instid1(VALU_DEP_1)
	v_and_b32_e32 v9, 0x7fffffff, v2
	v_cmpx_gt_u32_e32 0x47800000, v9
	s_xor_b32 s1, exec_lo, s1
	s_cbranch_execz .LBB80_1858
; %bb.1853:
	s_mov_b32 s2, exec_lo
                                        ; implicit-def: $vgpr3
	v_cmpx_lt_u32_e32 0x387fffff, v9
	s_xor_b32 s2, exec_lo, s2
; %bb.1854:
	v_bfe_u32 v3, v2, 21, 1
	s_delay_alu instid0(VALU_DEP_1) | instskip(NEXT) | instid1(VALU_DEP_1)
	v_add3_u32 v3, v2, v3, 0x80fffff
	v_lshrrev_b32_e32 v3, 21, v3
; %bb.1855:
	s_and_not1_saveexec_b32 s2, s2
; %bb.1856:
	v_add_f32_e64 v3, 0x43000000, |v2|
; %bb.1857:
	s_or_b32 exec_lo, exec_lo, s2
                                        ; implicit-def: $vgpr9
.LBB80_1858:
	s_and_not1_saveexec_b32 s1, s1
; %bb.1859:
	v_mov_b32_e32 v3, 0x7f
	v_cmp_lt_u32_e32 vcc_lo, 0x7f800000, v9
	s_delay_alu instid0(VALU_DEP_2)
	v_cndmask_b32_e32 v3, 0x7c, v3, vcc_lo
; %bb.1860:
	s_or_b32 exec_lo, exec_lo, s1
	v_lshrrev_b32_e32 v2, 24, v2
	s_delay_alu instid0(VALU_DEP_1)
	v_and_or_b32 v2, 0x80, v2, v3
	global_store_b8 v[6:7], v2, off
.LBB80_1861:
	s_mov_b32 s1, 0
	s_mov_b32 s7, -1
.LBB80_1862:
	s_and_not1_b32 vcc_lo, exec_lo, s1
	s_mov_b32 s1, 0
	s_cbranch_vccnz .LBB80_1869
; %bb.1863:
	v_cmp_lt_i16_e32 vcc_lo, 14, v13
	s_mov_b32 s1, -1
	s_cbranch_vccz .LBB80_1867
; %bb.1864:
	v_cmp_eq_u16_e32 vcc_lo, 15, v13
	s_mov_b32 s0, -1
	s_cbranch_vccz .LBB80_1866
; %bb.1865:
	v_cvt_f32_f64_e32 v2, v[0:1]
	s_mov_b32 s0, 0
	s_mov_b32 s7, -1
	s_delay_alu instid0(VALU_DEP_1) | instskip(SKIP_1) | instid1(VALU_DEP_2)
	v_bfe_u32 v3, v2, 16, 1
	v_cmp_o_f32_e32 vcc_lo, v2, v2
	v_add3_u32 v3, v2, v3, 0x7fff
	s_delay_alu instid0(VALU_DEP_1) | instskip(NEXT) | instid1(VALU_DEP_1)
	v_lshrrev_b32_e32 v3, 16, v3
	v_cndmask_b32_e32 v2, 0x7fc0, v3, vcc_lo
	global_store_b16 v[6:7], v2, off
.LBB80_1866:
	s_mov_b32 s1, 0
.LBB80_1867:
	s_delay_alu instid0(SALU_CYCLE_1)
	s_and_b32 vcc_lo, exec_lo, s1
	s_mov_b32 s1, 0
	s_cbranch_vccz .LBB80_1869
; %bb.1868:
	v_cmp_ne_u16_e64 s0, 11, v13
	s_mov_b32 s1, -1
.LBB80_1869:
	s_delay_alu instid0(VALU_DEP_1)
	s_and_b32 vcc_lo, exec_lo, s0
	s_cbranch_vccnz .LBB80_2056
; %bb.1870:
	s_and_not1_b32 vcc_lo, exec_lo, s1
	s_cbranch_vccnz .LBB80_1872
.LBB80_1871:
	v_cmp_neq_f64_e32 vcc_lo, 0, v[0:1]
	s_mov_b32 s7, -1
	v_cndmask_b32_e64 v2, 0, 1, vcc_lo
	global_store_b8 v[6:7], v2, off
.LBB80_1872:
	s_mov_b32 s0, 0
.LBB80_1873:
	s_delay_alu instid0(SALU_CYCLE_1)
	s_and_b32 vcc_lo, exec_lo, s0
	s_cbranch_vccz .LBB80_1912
; %bb.1874:
	v_cmp_gt_i16_e32 vcc_lo, 5, v13
	s_mov_b32 s0, -1
	s_cbranch_vccnz .LBB80_1895
; %bb.1875:
	v_cmp_gt_i16_e32 vcc_lo, 8, v13
	s_cbranch_vccnz .LBB80_1885
; %bb.1876:
	v_cmp_gt_i16_e32 vcc_lo, 9, v13
	s_cbranch_vccnz .LBB80_1882
; %bb.1877:
	v_cmp_lt_i16_e32 vcc_lo, 9, v13
	s_cbranch_vccz .LBB80_1879
; %bb.1878:
	v_mov_b32_e32 v2, 0
	s_mov_b32 s0, 0
	s_delay_alu instid0(VALU_DEP_1)
	v_mov_b32_e32 v3, v2
	global_store_b128 v[6:7], v[0:3], off
.LBB80_1879:
	s_and_not1_b32 vcc_lo, exec_lo, s0
	s_cbranch_vccnz .LBB80_1881
; %bb.1880:
	v_cvt_f32_f64_e32 v2, v[0:1]
	v_mov_b32_e32 v3, 0
	global_store_b64 v[6:7], v[2:3], off
.LBB80_1881:
	s_mov_b32 s0, 0
.LBB80_1882:
	s_delay_alu instid0(SALU_CYCLE_1)
	s_and_not1_b32 vcc_lo, exec_lo, s0
	s_cbranch_vccnz .LBB80_1884
; %bb.1883:
	v_cvt_f32_f64_e32 v2, v[0:1]
	s_delay_alu instid0(VALU_DEP_1) | instskip(NEXT) | instid1(VALU_DEP_1)
	v_cvt_f16_f32_e32 v2, v2
	v_and_b32_e32 v2, 0xffff, v2
	global_store_b32 v[6:7], v2, off
.LBB80_1884:
	s_mov_b32 s0, 0
.LBB80_1885:
	s_delay_alu instid0(SALU_CYCLE_1)
	s_and_not1_b32 vcc_lo, exec_lo, s0
	s_cbranch_vccnz .LBB80_1894
; %bb.1886:
	v_cmp_gt_i16_e32 vcc_lo, 6, v13
	s_mov_b32 s0, -1
	s_cbranch_vccnz .LBB80_1892
; %bb.1887:
	v_cmp_lt_i16_e32 vcc_lo, 6, v13
	s_cbranch_vccz .LBB80_1889
; %bb.1888:
	s_mov_b32 s0, 0
	global_store_b64 v[6:7], v[0:1], off
.LBB80_1889:
	s_and_not1_b32 vcc_lo, exec_lo, s0
	s_cbranch_vccnz .LBB80_1891
; %bb.1890:
	v_cvt_f32_f64_e32 v2, v[0:1]
	global_store_b32 v[6:7], v2, off
.LBB80_1891:
	s_mov_b32 s0, 0
.LBB80_1892:
	s_delay_alu instid0(SALU_CYCLE_1)
	s_and_not1_b32 vcc_lo, exec_lo, s0
	s_cbranch_vccnz .LBB80_1894
; %bb.1893:
	v_cvt_f32_f64_e32 v2, v[0:1]
	s_delay_alu instid0(VALU_DEP_1)
	v_cvt_f16_f32_e32 v2, v2
	global_store_b16 v[6:7], v2, off
.LBB80_1894:
	s_mov_b32 s0, 0
.LBB80_1895:
	s_delay_alu instid0(SALU_CYCLE_1)
	s_and_not1_b32 vcc_lo, exec_lo, s0
	s_cbranch_vccnz .LBB80_1911
; %bb.1896:
	v_cmp_gt_i16_e32 vcc_lo, 2, v13
	s_mov_b32 s0, -1
	s_cbranch_vccnz .LBB80_1906
; %bb.1897:
	v_cmp_gt_i16_e32 vcc_lo, 3, v13
	s_cbranch_vccnz .LBB80_1903
; %bb.1898:
	v_cmp_lt_i16_e32 vcc_lo, 3, v13
	s_cbranch_vccz .LBB80_1900
; %bb.1899:
	v_trunc_f64_e32 v[2:3], v[0:1]
	s_mov_b32 s0, 0
	s_delay_alu instid0(VALU_DEP_1) | instskip(NEXT) | instid1(VALU_DEP_1)
	v_ldexp_f64 v[9:10], v[2:3], 0xffffffe0
	v_floor_f64_e32 v[9:10], v[9:10]
	s_delay_alu instid0(VALU_DEP_1) | instskip(SKIP_1) | instid1(VALU_DEP_2)
	v_fma_f64 v[2:3], 0xc1f00000, v[9:10], v[2:3]
	v_cvt_i32_f64_e32 v10, v[9:10]
	v_cvt_u32_f64_e32 v9, v[2:3]
	global_store_b64 v[6:7], v[9:10], off
.LBB80_1900:
	s_and_not1_b32 vcc_lo, exec_lo, s0
	s_cbranch_vccnz .LBB80_1902
; %bb.1901:
	v_cvt_i32_f64_e32 v2, v[0:1]
	global_store_b32 v[6:7], v2, off
.LBB80_1902:
	s_mov_b32 s0, 0
.LBB80_1903:
	s_delay_alu instid0(SALU_CYCLE_1)
	s_and_not1_b32 vcc_lo, exec_lo, s0
	s_cbranch_vccnz .LBB80_1905
; %bb.1904:
	v_cvt_i32_f64_e32 v2, v[0:1]
	global_store_b16 v[6:7], v2, off
.LBB80_1905:
	s_mov_b32 s0, 0
.LBB80_1906:
	s_delay_alu instid0(SALU_CYCLE_1)
	s_and_not1_b32 vcc_lo, exec_lo, s0
	s_cbranch_vccnz .LBB80_1911
; %bb.1907:
	v_cmp_lt_i16_e32 vcc_lo, 0, v13
	s_mov_b32 s0, -1
	s_cbranch_vccz .LBB80_1909
; %bb.1908:
	v_cvt_i32_f64_e32 v2, v[0:1]
	s_mov_b32 s0, 0
	global_store_b8 v[6:7], v2, off
.LBB80_1909:
	s_and_not1_b32 vcc_lo, exec_lo, s0
	s_cbranch_vccnz .LBB80_1911
; %bb.1910:
	v_trunc_f64_e32 v[0:1], v[0:1]
	s_delay_alu instid0(VALU_DEP_1) | instskip(NEXT) | instid1(VALU_DEP_1)
	v_ldexp_f64 v[2:3], v[0:1], 0xffffffe0
	v_floor_f64_e32 v[2:3], v[2:3]
	s_delay_alu instid0(VALU_DEP_1) | instskip(NEXT) | instid1(VALU_DEP_1)
	v_fma_f64 v[0:1], 0xc1f00000, v[2:3], v[0:1]
	v_cvt_u32_f64_e32 v0, v[0:1]
	global_store_b8 v[6:7], v0, off
.LBB80_1911:
	s_mov_b32 s7, -1
.LBB80_1912:
	s_delay_alu instid0(SALU_CYCLE_1)
	s_and_not1_b32 vcc_lo, exec_lo, s7
	s_cbranch_vccnz .LBB80_1989
; %bb.1913:
	s_mov_b32 s0, 0x652b82fe
	s_mov_b32 s1, 0x3ff71547
	;; [unrolled: 1-line block ×3, first 2 shown]
	v_mul_f64 v[0:1], v[4:5], s[0:1]
	s_mov_b32 s0, 0xfefa39ef
	s_mov_b32 s1, 0xbfe62e42
	;; [unrolled: 1-line block ×3, first 2 shown]
	v_cmp_nlt_f64_e32 vcc_lo, 0x40900000, v[4:5]
	s_delay_alu instid0(VALU_DEP_2) | instskip(NEXT) | instid1(VALU_DEP_1)
	v_rndne_f64_e32 v[0:1], v[0:1]
	v_fma_f64 v[2:3], v[0:1], s[0:1], v[4:5]
	s_mov_b32 s0, 0x3b39803f
	s_mov_b32 s1, 0xbc7abc9e
	v_cvt_i32_f64_e32 v9, v[0:1]
	s_delay_alu instid0(VALU_DEP_2)
	v_fma_f64 v[2:3], v[0:1], s[0:1], v[2:3]
	s_mov_b32 s0, 0xfca7ab0c
	s_mov_b32 s1, 0x3e928af3
	s_delay_alu instid0(VALU_DEP_1) | instid1(SALU_CYCLE_1)
	v_fma_f64 v[6:7], v[2:3], s[8:9], s[0:1]
	s_mov_b32 s0, 0x623fde64
	s_mov_b32 s1, 0x3ec71dee
	s_delay_alu instid0(VALU_DEP_1) | instid1(SALU_CYCLE_1)
	;; [unrolled: 4-line block ×9, first 2 shown]
	v_fma_f64 v[6:7], v[2:3], v[6:7], s[0:1]
	v_cmp_ngt_f64_e64 s0, 0xc090cc00, v[4:5]
	v_cmp_gt_i16_e64 s1, 11, v13
	s_delay_alu instid0(VALU_DEP_3) | instskip(NEXT) | instid1(VALU_DEP_1)
	v_fma_f64 v[6:7], v[2:3], v[6:7], 1.0
	v_fma_f64 v[0:1], v[2:3], v[6:7], 1.0
	v_add_nc_u32_e32 v2, s6, v8
	s_mov_b32 s6, 0
	s_delay_alu instid0(VALU_DEP_1) | instskip(SKIP_1) | instid1(VALU_DEP_1)
	v_ashrrev_i32_e32 v3, 31, v2
	v_add_co_u32 v4, s2, s4, v2
	v_add_co_ci_u32_e64 v5, s2, s5, v3, s2
	v_ldexp_f64 v[0:1], v[0:1], v9
	s_delay_alu instid0(VALU_DEP_1) | instskip(SKIP_1) | instid1(VALU_DEP_2)
	v_cndmask_b32_e32 v1, 0x7ff00000, v1, vcc_lo
	s_and_b32 vcc_lo, s0, vcc_lo
	v_cndmask_b32_e32 v0, 0, v0, vcc_lo
	s_and_b32 vcc_lo, exec_lo, s1
	s_delay_alu instid0(VALU_DEP_2)
	v_cndmask_b32_e64 v1, 0, v1, s0
	s_mov_b32 s0, -1
	s_cbranch_vccnz .LBB80_1990
; %bb.1914:
	v_cmp_lt_i16_e32 vcc_lo, 25, v13
	s_mov_b32 s1, -1
	s_mov_b32 s0, 0
	s_cbranch_vccz .LBB80_1947
; %bb.1915:
	v_cmp_lt_i16_e32 vcc_lo, 28, v13
	s_cbranch_vccz .LBB80_1931
; %bb.1916:
	v_cmp_lt_i16_e32 vcc_lo, 43, v13
	;; [unrolled: 3-line block ×3, first 2 shown]
	s_cbranch_vccz .LBB80_1921
; %bb.1918:
	v_cmp_eq_u16_e32 vcc_lo, 46, v13
	s_mov_b32 s0, -1
	s_cbranch_vccz .LBB80_1920
; %bb.1919:
	v_cvt_f32_f64_e32 v2, v[0:1]
	s_mov_b32 s0, 0
	s_delay_alu instid0(VALU_DEP_1) | instskip(SKIP_1) | instid1(VALU_DEP_2)
	v_bfe_u32 v3, v2, 16, 1
	v_cmp_o_f32_e32 vcc_lo, v2, v2
	v_add3_u32 v3, v2, v3, 0x7fff
	s_delay_alu instid0(VALU_DEP_1) | instskip(NEXT) | instid1(VALU_DEP_1)
	v_lshrrev_b32_e32 v3, 16, v3
	v_cndmask_b32_e32 v2, 0x7fc0, v3, vcc_lo
	global_store_b32 v[4:5], v2, off
.LBB80_1920:
	s_mov_b32 s1, 0
.LBB80_1921:
	s_delay_alu instid0(SALU_CYCLE_1)
	s_and_b32 vcc_lo, exec_lo, s1
	s_cbranch_vccz .LBB80_1926
; %bb.1922:
	v_cmp_eq_u16_e32 vcc_lo, 44, v13
	s_mov_b32 s0, -1
	s_cbranch_vccz .LBB80_1926
; %bb.1923:
	v_cvt_f32_f64_e32 v2, v[0:1]
	v_mov_b32_e32 v3, 0xff
	s_mov_b32 s1, exec_lo
	s_delay_alu instid0(VALU_DEP_2) | instskip(NEXT) | instid1(VALU_DEP_1)
	v_bfe_u32 v6, v2, 23, 8
	v_cmpx_ne_u32_e32 0xff, v6
; %bb.1924:
	v_and_b32_e32 v3, 0x400000, v2
	v_and_or_b32 v6, 0x3fffff, v2, v6
	v_lshrrev_b32_e32 v2, 23, v2
	s_delay_alu instid0(VALU_DEP_3) | instskip(NEXT) | instid1(VALU_DEP_3)
	v_cmp_ne_u32_e32 vcc_lo, 0, v3
	v_cmp_ne_u32_e64 s0, 0, v6
	s_delay_alu instid0(VALU_DEP_1) | instskip(NEXT) | instid1(SALU_CYCLE_1)
	s_and_b32 s0, vcc_lo, s0
	v_cndmask_b32_e64 v3, 0, 1, s0
	s_delay_alu instid0(VALU_DEP_1)
	v_add_nc_u32_e32 v3, v2, v3
; %bb.1925:
	s_or_b32 exec_lo, exec_lo, s1
	s_mov_b32 s0, 0
	global_store_b8 v[4:5], v3, off
.LBB80_1926:
	s_mov_b32 s1, 0
.LBB80_1927:
	s_delay_alu instid0(SALU_CYCLE_1)
	s_and_b32 vcc_lo, exec_lo, s1
	s_cbranch_vccz .LBB80_1930
; %bb.1928:
	v_cmp_eq_u16_e32 vcc_lo, 29, v13
	s_mov_b32 s0, -1
	s_cbranch_vccz .LBB80_1930
; %bb.1929:
	v_trunc_f64_e32 v[2:3], v[0:1]
	s_mov_b32 s0, 0
	s_delay_alu instid0(VALU_DEP_1) | instskip(NEXT) | instid1(VALU_DEP_1)
	v_ldexp_f64 v[6:7], v[2:3], 0xffffffe0
	v_floor_f64_e32 v[6:7], v[6:7]
	s_delay_alu instid0(VALU_DEP_1) | instskip(SKIP_1) | instid1(VALU_DEP_2)
	v_fma_f64 v[2:3], 0xc1f00000, v[6:7], v[2:3]
	v_cvt_u32_f64_e32 v7, v[6:7]
	v_cvt_u32_f64_e32 v6, v[2:3]
	global_store_b64 v[4:5], v[6:7], off
.LBB80_1930:
	s_mov_b32 s1, 0
.LBB80_1931:
	s_delay_alu instid0(SALU_CYCLE_1)
	s_and_b32 vcc_lo, exec_lo, s1
	s_cbranch_vccz .LBB80_1946
; %bb.1932:
	v_cmp_gt_i16_e32 vcc_lo, 27, v13
	s_mov_b32 s1, -1
	s_cbranch_vccnz .LBB80_1938
; %bb.1933:
	v_cvt_u32_f64_e32 v2, v[0:1]
	v_cmp_lt_i16_e32 vcc_lo, 27, v13
	s_cbranch_vccz .LBB80_1935
; %bb.1934:
	s_mov_b32 s1, 0
	global_store_b32 v[4:5], v2, off
.LBB80_1935:
	s_and_not1_b32 vcc_lo, exec_lo, s1
	s_cbranch_vccnz .LBB80_1937
; %bb.1936:
	global_store_b16 v[4:5], v2, off
.LBB80_1937:
	s_mov_b32 s1, 0
.LBB80_1938:
	s_delay_alu instid0(SALU_CYCLE_1)
	s_and_not1_b32 vcc_lo, exec_lo, s1
	s_cbranch_vccnz .LBB80_1946
; %bb.1939:
	v_cvt_f32_f64_e32 v2, v[0:1]
	v_mov_b32_e32 v6, 0x80
	s_mov_b32 s1, exec_lo
	s_delay_alu instid0(VALU_DEP_2) | instskip(NEXT) | instid1(VALU_DEP_1)
	v_and_b32_e32 v3, 0x7fffffff, v2
	v_cmpx_gt_u32_e32 0x43800000, v3
	s_cbranch_execz .LBB80_1945
; %bb.1940:
	v_cmp_lt_u32_e32 vcc_lo, 0x3bffffff, v3
	s_mov_b32 s2, 0
                                        ; implicit-def: $vgpr3
	s_and_saveexec_b32 s4, vcc_lo
	s_delay_alu instid0(SALU_CYCLE_1)
	s_xor_b32 s4, exec_lo, s4
	s_cbranch_execz .LBB80_2060
; %bb.1941:
	v_bfe_u32 v3, v2, 20, 1
	s_mov_b32 s2, exec_lo
	s_delay_alu instid0(VALU_DEP_1) | instskip(NEXT) | instid1(VALU_DEP_1)
	v_add3_u32 v3, v2, v3, 0x487ffff
	v_lshrrev_b32_e32 v3, 20, v3
	s_or_saveexec_b32 s4, s4
                                        ; implicit-def: $sgpr5
	s_delay_alu instid0(SALU_CYCLE_1)
	s_xor_b32 exec_lo, exec_lo, s4
	s_cbranch_execnz .LBB80_2061
.LBB80_1942:
	s_or_b32 exec_lo, exec_lo, s4
	v_mov_b32_e32 v6, s5
	s_and_saveexec_b32 s4, s2
.LBB80_1943:
	v_lshrrev_b32_e32 v2, 24, v2
	s_delay_alu instid0(VALU_DEP_1)
	v_and_or_b32 v6, 0x80, v2, v3
.LBB80_1944:
	s_or_b32 exec_lo, exec_lo, s4
.LBB80_1945:
	s_delay_alu instid0(SALU_CYCLE_1)
	s_or_b32 exec_lo, exec_lo, s1
	global_store_b8 v[4:5], v6, off
.LBB80_1946:
	s_mov_b32 s1, 0
.LBB80_1947:
	s_delay_alu instid0(SALU_CYCLE_1)
	s_and_b32 vcc_lo, exec_lo, s1
	s_cbranch_vccz .LBB80_1987
; %bb.1948:
	v_cmp_lt_i16_e32 vcc_lo, 22, v13
	s_mov_b32 s1, -1
	s_cbranch_vccz .LBB80_1980
; %bb.1949:
	v_cmp_gt_i16_e32 vcc_lo, 24, v13
	s_cbranch_vccnz .LBB80_1969
; %bb.1950:
	v_cmp_lt_i16_e32 vcc_lo, 24, v13
	s_cbranch_vccz .LBB80_1958
; %bb.1951:
	v_cvt_f32_f64_e32 v2, v[0:1]
	v_mov_b32_e32 v6, 0x80
	s_mov_b32 s1, exec_lo
	s_delay_alu instid0(VALU_DEP_2) | instskip(NEXT) | instid1(VALU_DEP_1)
	v_and_b32_e32 v3, 0x7fffffff, v2
	v_cmpx_gt_u32_e32 0x47800000, v3
	s_cbranch_execz .LBB80_1957
; %bb.1952:
	v_cmp_lt_u32_e32 vcc_lo, 0x37ffffff, v3
	s_mov_b32 s2, 0
                                        ; implicit-def: $vgpr3
	s_and_saveexec_b32 s4, vcc_lo
	s_delay_alu instid0(SALU_CYCLE_1)
	s_xor_b32 s4, exec_lo, s4
	s_cbranch_execz .LBB80_2066
; %bb.1953:
	v_bfe_u32 v3, v2, 21, 1
	s_mov_b32 s2, exec_lo
	s_delay_alu instid0(VALU_DEP_1) | instskip(NEXT) | instid1(VALU_DEP_1)
	v_add3_u32 v3, v2, v3, 0x88fffff
	v_lshrrev_b32_e32 v3, 21, v3
	s_or_saveexec_b32 s4, s4
                                        ; implicit-def: $sgpr5
	s_delay_alu instid0(SALU_CYCLE_1)
	s_xor_b32 exec_lo, exec_lo, s4
	s_cbranch_execnz .LBB80_2067
.LBB80_1954:
	s_or_b32 exec_lo, exec_lo, s4
	v_mov_b32_e32 v6, s5
	s_and_saveexec_b32 s4, s2
.LBB80_1955:
	v_lshrrev_b32_e32 v2, 24, v2
	s_delay_alu instid0(VALU_DEP_1)
	v_and_or_b32 v6, 0x80, v2, v3
.LBB80_1956:
	s_or_b32 exec_lo, exec_lo, s4
.LBB80_1957:
	s_delay_alu instid0(SALU_CYCLE_1)
	s_or_b32 exec_lo, exec_lo, s1
	s_mov_b32 s1, 0
	global_store_b8 v[4:5], v6, off
.LBB80_1958:
	s_and_b32 vcc_lo, exec_lo, s1
	s_cbranch_vccz .LBB80_1968
; %bb.1959:
	v_cvt_f32_f64_e32 v2, v[0:1]
	s_mov_b32 s1, exec_lo
                                        ; implicit-def: $vgpr3
	s_delay_alu instid0(VALU_DEP_1) | instskip(NEXT) | instid1(VALU_DEP_1)
	v_and_b32_e32 v6, 0x7fffffff, v2
	v_cmpx_gt_u32_e32 0x43f00000, v6
	s_xor_b32 s1, exec_lo, s1
	s_cbranch_execz .LBB80_1965
; %bb.1960:
	s_mov_b32 s2, exec_lo
                                        ; implicit-def: $vgpr3
	v_cmpx_lt_u32_e32 0x3c7fffff, v6
	s_xor_b32 s2, exec_lo, s2
; %bb.1961:
	v_bfe_u32 v3, v2, 20, 1
	s_delay_alu instid0(VALU_DEP_1) | instskip(NEXT) | instid1(VALU_DEP_1)
	v_add3_u32 v3, v2, v3, 0x407ffff
	v_and_b32_e32 v6, 0xff00000, v3
	v_lshrrev_b32_e32 v3, 20, v3
	s_delay_alu instid0(VALU_DEP_2) | instskip(NEXT) | instid1(VALU_DEP_2)
	v_cmp_ne_u32_e32 vcc_lo, 0x7f00000, v6
	v_cndmask_b32_e32 v3, 0x7e, v3, vcc_lo
; %bb.1962:
	s_and_not1_saveexec_b32 s2, s2
; %bb.1963:
	v_add_f32_e64 v3, 0x46800000, |v2|
; %bb.1964:
	s_or_b32 exec_lo, exec_lo, s2
                                        ; implicit-def: $vgpr6
.LBB80_1965:
	s_and_not1_saveexec_b32 s1, s1
; %bb.1966:
	v_mov_b32_e32 v3, 0x7f
	v_cmp_lt_u32_e32 vcc_lo, 0x7f800000, v6
	s_delay_alu instid0(VALU_DEP_2)
	v_cndmask_b32_e32 v3, 0x7e, v3, vcc_lo
; %bb.1967:
	s_or_b32 exec_lo, exec_lo, s1
	v_lshrrev_b32_e32 v2, 24, v2
	s_delay_alu instid0(VALU_DEP_1)
	v_and_or_b32 v2, 0x80, v2, v3
	global_store_b8 v[4:5], v2, off
.LBB80_1968:
	s_mov_b32 s1, 0
.LBB80_1969:
	s_delay_alu instid0(SALU_CYCLE_1)
	s_and_not1_b32 vcc_lo, exec_lo, s1
	s_cbranch_vccnz .LBB80_1979
; %bb.1970:
	v_cvt_f32_f64_e32 v2, v[0:1]
	s_mov_b32 s1, exec_lo
                                        ; implicit-def: $vgpr3
	s_delay_alu instid0(VALU_DEP_1) | instskip(NEXT) | instid1(VALU_DEP_1)
	v_and_b32_e32 v6, 0x7fffffff, v2
	v_cmpx_gt_u32_e32 0x47800000, v6
	s_xor_b32 s1, exec_lo, s1
	s_cbranch_execz .LBB80_1976
; %bb.1971:
	s_mov_b32 s2, exec_lo
                                        ; implicit-def: $vgpr3
	v_cmpx_lt_u32_e32 0x387fffff, v6
	s_xor_b32 s2, exec_lo, s2
; %bb.1972:
	v_bfe_u32 v3, v2, 21, 1
	s_delay_alu instid0(VALU_DEP_1) | instskip(NEXT) | instid1(VALU_DEP_1)
	v_add3_u32 v3, v2, v3, 0x80fffff
	v_lshrrev_b32_e32 v3, 21, v3
; %bb.1973:
	s_and_not1_saveexec_b32 s2, s2
; %bb.1974:
	v_add_f32_e64 v3, 0x43000000, |v2|
; %bb.1975:
	s_or_b32 exec_lo, exec_lo, s2
                                        ; implicit-def: $vgpr6
.LBB80_1976:
	s_and_not1_saveexec_b32 s1, s1
; %bb.1977:
	v_mov_b32_e32 v3, 0x7f
	v_cmp_lt_u32_e32 vcc_lo, 0x7f800000, v6
	s_delay_alu instid0(VALU_DEP_2)
	v_cndmask_b32_e32 v3, 0x7c, v3, vcc_lo
; %bb.1978:
	s_or_b32 exec_lo, exec_lo, s1
	v_lshrrev_b32_e32 v2, 24, v2
	s_delay_alu instid0(VALU_DEP_1)
	v_and_or_b32 v2, 0x80, v2, v3
	global_store_b8 v[4:5], v2, off
.LBB80_1979:
	s_mov_b32 s1, 0
.LBB80_1980:
	s_delay_alu instid0(SALU_CYCLE_1)
	s_and_not1_b32 vcc_lo, exec_lo, s1
	s_mov_b32 s6, 0
	s_cbranch_vccnz .LBB80_1987
; %bb.1981:
	v_cmp_lt_i16_e32 vcc_lo, 14, v13
	s_mov_b32 s1, -1
	s_cbranch_vccz .LBB80_1985
; %bb.1982:
	v_cmp_eq_u16_e32 vcc_lo, 15, v13
	s_mov_b32 s0, -1
	s_cbranch_vccz .LBB80_1984
; %bb.1983:
	v_cvt_f32_f64_e32 v2, v[0:1]
	s_mov_b32 s0, 0
	s_delay_alu instid0(VALU_DEP_1) | instskip(SKIP_1) | instid1(VALU_DEP_2)
	v_bfe_u32 v3, v2, 16, 1
	v_cmp_o_f32_e32 vcc_lo, v2, v2
	v_add3_u32 v3, v2, v3, 0x7fff
	s_delay_alu instid0(VALU_DEP_1) | instskip(NEXT) | instid1(VALU_DEP_1)
	v_lshrrev_b32_e32 v3, 16, v3
	v_cndmask_b32_e32 v2, 0x7fc0, v3, vcc_lo
	global_store_b16 v[4:5], v2, off
.LBB80_1984:
	s_mov_b32 s1, 0
.LBB80_1985:
	s_delay_alu instid0(SALU_CYCLE_1)
	s_and_b32 vcc_lo, exec_lo, s1
	s_cbranch_vccz .LBB80_1987
; %bb.1986:
	v_cmp_ne_u16_e64 s0, 11, v13
	s_mov_b32 s6, -1
.LBB80_1987:
	s_delay_alu instid0(VALU_DEP_1)
	s_and_b32 vcc_lo, exec_lo, s0
	s_cbranch_vccnz .LBB80_2064
.LBB80_1988:
	s_mov_b32 s0, 0
	s_branch .LBB80_1990
.LBB80_1989:
	s_mov_b32 s0, 0
	s_mov_b32 s6, 0
                                        ; implicit-def: $vgpr13
                                        ; implicit-def: $vgpr4_vgpr5
                                        ; implicit-def: $vgpr0_vgpr1
.LBB80_1990:
	s_and_not1_b32 s1, s11, exec_lo
	s_and_b32 s2, s3, exec_lo
	s_and_b32 s0, s0, exec_lo
	;; [unrolled: 1-line block ×3, first 2 shown]
	s_or_b32 s11, s1, s2
.LBB80_1991:
	s_or_b32 exec_lo, exec_lo, s10
	s_and_saveexec_b32 s1, s11
	s_cbranch_execz .LBB80_1994
; %bb.1992:
	; divergent unreachable
	s_or_b32 exec_lo, exec_lo, s1
	s_and_saveexec_b32 s1, s3
	s_delay_alu instid0(SALU_CYCLE_1)
	s_xor_b32 s1, exec_lo, s1
	s_cbranch_execnz .LBB80_1995
.LBB80_1993:
	s_or_b32 exec_lo, exec_lo, s1
	s_and_saveexec_b32 s1, s0
	s_cbranch_execnz .LBB80_1996
	s_branch .LBB80_2033
.LBB80_1994:
	s_or_b32 exec_lo, exec_lo, s1
	s_and_saveexec_b32 s1, s3
	s_delay_alu instid0(SALU_CYCLE_1)
	s_xor_b32 s1, exec_lo, s1
	s_cbranch_execz .LBB80_1993
.LBB80_1995:
	s_waitcnt vmcnt(0)
	s_delay_alu instid0(VALU_DEP_1)
	v_cmp_neq_f64_e32 vcc_lo, 0, v[0:1]
	v_cndmask_b32_e64 v2, 0, 1, vcc_lo
	global_store_b8 v[4:5], v2, off
	s_or_b32 exec_lo, exec_lo, s1
	s_and_saveexec_b32 s1, s0
	s_cbranch_execz .LBB80_2033
.LBB80_1996:
	v_cmp_gt_i16_e32 vcc_lo, 5, v13
	s_mov_b32 s0, -1
	s_cbranch_vccnz .LBB80_2017
; %bb.1997:
	v_cmp_gt_i16_e32 vcc_lo, 8, v13
	s_cbranch_vccnz .LBB80_2007
; %bb.1998:
	v_cmp_gt_i16_e32 vcc_lo, 9, v13
	s_cbranch_vccnz .LBB80_2004
; %bb.1999:
	v_cmp_lt_i16_e32 vcc_lo, 9, v13
	s_cbranch_vccz .LBB80_2001
; %bb.2000:
	s_waitcnt vmcnt(0)
	v_mov_b32_e32 v2, 0
	s_mov_b32 s0, 0
	s_delay_alu instid0(VALU_DEP_1)
	v_mov_b32_e32 v3, v2
	global_store_b128 v[4:5], v[0:3], off
.LBB80_2001:
	s_and_not1_b32 vcc_lo, exec_lo, s0
	s_cbranch_vccnz .LBB80_2003
; %bb.2002:
	s_waitcnt vmcnt(0)
	v_cvt_f32_f64_e32 v2, v[0:1]
	v_mov_b32_e32 v3, 0
	global_store_b64 v[4:5], v[2:3], off
.LBB80_2003:
	s_mov_b32 s0, 0
.LBB80_2004:
	s_delay_alu instid0(SALU_CYCLE_1)
	s_and_not1_b32 vcc_lo, exec_lo, s0
	s_cbranch_vccnz .LBB80_2006
; %bb.2005:
	s_waitcnt vmcnt(0)
	v_cvt_f32_f64_e32 v2, v[0:1]
	s_delay_alu instid0(VALU_DEP_1) | instskip(NEXT) | instid1(VALU_DEP_1)
	v_cvt_f16_f32_e32 v2, v2
	v_and_b32_e32 v2, 0xffff, v2
	global_store_b32 v[4:5], v2, off
.LBB80_2006:
	s_mov_b32 s0, 0
.LBB80_2007:
	s_delay_alu instid0(SALU_CYCLE_1)
	s_and_not1_b32 vcc_lo, exec_lo, s0
	s_cbranch_vccnz .LBB80_2016
; %bb.2008:
	v_cmp_gt_i16_e32 vcc_lo, 6, v13
	s_mov_b32 s0, -1
	s_cbranch_vccnz .LBB80_2014
; %bb.2009:
	v_cmp_lt_i16_e32 vcc_lo, 6, v13
	s_cbranch_vccz .LBB80_2011
; %bb.2010:
	s_mov_b32 s0, 0
	s_waitcnt vmcnt(0)
	global_store_b64 v[4:5], v[0:1], off
.LBB80_2011:
	s_and_not1_b32 vcc_lo, exec_lo, s0
	s_cbranch_vccnz .LBB80_2013
; %bb.2012:
	s_waitcnt vmcnt(0)
	v_cvt_f32_f64_e32 v2, v[0:1]
	global_store_b32 v[4:5], v2, off
.LBB80_2013:
	s_mov_b32 s0, 0
.LBB80_2014:
	s_delay_alu instid0(SALU_CYCLE_1)
	s_and_not1_b32 vcc_lo, exec_lo, s0
	s_cbranch_vccnz .LBB80_2016
; %bb.2015:
	s_waitcnt vmcnt(0)
	v_cvt_f32_f64_e32 v2, v[0:1]
	s_delay_alu instid0(VALU_DEP_1)
	v_cvt_f16_f32_e32 v2, v2
	global_store_b16 v[4:5], v2, off
.LBB80_2016:
	s_mov_b32 s0, 0
.LBB80_2017:
	s_delay_alu instid0(SALU_CYCLE_1)
	s_and_not1_b32 vcc_lo, exec_lo, s0
	s_cbranch_vccnz .LBB80_2033
; %bb.2018:
	v_cmp_gt_i16_e32 vcc_lo, 2, v13
	s_mov_b32 s0, -1
	s_cbranch_vccnz .LBB80_2028
; %bb.2019:
	v_cmp_gt_i16_e32 vcc_lo, 3, v13
	s_cbranch_vccnz .LBB80_2025
; %bb.2020:
	v_cmp_lt_i16_e32 vcc_lo, 3, v13
	s_cbranch_vccz .LBB80_2022
; %bb.2021:
	s_waitcnt vmcnt(0)
	v_trunc_f64_e32 v[2:3], v[0:1]
	s_mov_b32 s0, 0
	s_delay_alu instid0(VALU_DEP_1) | instskip(NEXT) | instid1(VALU_DEP_1)
	v_ldexp_f64 v[6:7], v[2:3], 0xffffffe0
	v_floor_f64_e32 v[6:7], v[6:7]
	s_delay_alu instid0(VALU_DEP_1) | instskip(SKIP_1) | instid1(VALU_DEP_2)
	v_fma_f64 v[2:3], 0xc1f00000, v[6:7], v[2:3]
	v_cvt_i32_f64_e32 v7, v[6:7]
	v_cvt_u32_f64_e32 v6, v[2:3]
	global_store_b64 v[4:5], v[6:7], off
.LBB80_2022:
	s_and_not1_b32 vcc_lo, exec_lo, s0
	s_cbranch_vccnz .LBB80_2024
; %bb.2023:
	s_waitcnt vmcnt(0)
	v_cvt_i32_f64_e32 v2, v[0:1]
	global_store_b32 v[4:5], v2, off
.LBB80_2024:
	s_mov_b32 s0, 0
.LBB80_2025:
	s_delay_alu instid0(SALU_CYCLE_1)
	s_and_not1_b32 vcc_lo, exec_lo, s0
	s_cbranch_vccnz .LBB80_2027
; %bb.2026:
	s_waitcnt vmcnt(0)
	v_cvt_i32_f64_e32 v2, v[0:1]
	global_store_b16 v[4:5], v2, off
.LBB80_2027:
	s_mov_b32 s0, 0
.LBB80_2028:
	s_delay_alu instid0(SALU_CYCLE_1)
	s_and_not1_b32 vcc_lo, exec_lo, s0
	s_cbranch_vccnz .LBB80_2033
; %bb.2029:
	v_cmp_lt_i16_e32 vcc_lo, 0, v13
	s_mov_b32 s0, -1
	s_cbranch_vccz .LBB80_2031
; %bb.2030:
	s_waitcnt vmcnt(0)
	v_cvt_i32_f64_e32 v2, v[0:1]
	s_mov_b32 s0, 0
	global_store_b8 v[4:5], v2, off
.LBB80_2031:
	s_and_not1_b32 vcc_lo, exec_lo, s0
	s_cbranch_vccnz .LBB80_2033
; %bb.2032:
	s_waitcnt vmcnt(0)
	v_trunc_f64_e32 v[0:1], v[0:1]
	s_delay_alu instid0(VALU_DEP_1) | instskip(NEXT) | instid1(VALU_DEP_1)
	v_ldexp_f64 v[2:3], v[0:1], 0xffffffe0
	v_floor_f64_e32 v[2:3], v[2:3]
	s_delay_alu instid0(VALU_DEP_1) | instskip(NEXT) | instid1(VALU_DEP_1)
	v_fma_f64 v[0:1], 0xc1f00000, v[2:3], v[0:1]
	v_cvt_u32_f64_e32 v0, v[0:1]
	global_store_b8 v[4:5], v0, off
	s_nop 0
	s_sendmsg sendmsg(MSG_DEALLOC_VGPRS)
	s_endpgm
.LBB80_2033:
	s_nop 0
	s_sendmsg sendmsg(MSG_DEALLOC_VGPRS)
	s_endpgm
.LBB80_2034:
	s_cbranch_execnz .LBB80_2038
; %bb.2035:
	s_or_b32 s3, s3, exec_lo
                                        ; implicit-def: $vgpr4_vgpr5
	s_cbranch_execz .LBB80_1507
	s_branch .LBB80_1508
.LBB80_2036:
	s_or_saveexec_b32 s7, s7
                                        ; implicit-def: $sgpr9
	s_delay_alu instid0(SALU_CYCLE_1)
	s_xor_b32 exec_lo, exec_lo, s7
	s_cbranch_execz .LBB80_1587
.LBB80_2037:
	v_add_f32_e64 v3, 0x46000000, |v2|
	s_and_not1_b32 s6, s6, exec_lo
	s_mov_b32 s9, 0
	s_delay_alu instid0(VALU_DEP_1) | instskip(NEXT) | instid1(VALU_DEP_1)
	v_and_b32_e32 v3, 0xff, v3
	v_cmp_ne_u32_e32 vcc_lo, 0, v3
	s_and_b32 s12, vcc_lo, exec_lo
	s_delay_alu instid0(SALU_CYCLE_1)
	s_or_b32 s6, s6, s12
	s_or_b32 exec_lo, exec_lo, s7
	v_mov_b32_e32 v14, s9
	s_and_saveexec_b32 s7, s6
	s_cbranch_execnz .LBB80_1588
	s_branch .LBB80_1589
.LBB80_2038:
	s_trap 2
	s_sendmsg_rtn_b32 s0, sendmsg(MSG_RTN_GET_DOORBELL)
	s_mov_b32 ttmp2, m0
	s_waitcnt lgkmcnt(0)
	s_and_b32 s0, s0, 0x3ff
	s_delay_alu instid0(SALU_CYCLE_1) | instskip(NEXT) | instid1(SALU_CYCLE_1)
	s_bitset1_b32 s0, 10
	s_mov_b32 m0, s0
	s_sendmsg sendmsg(MSG_INTERRUPT)
	s_mov_b32 m0, ttmp2
.LBB80_2039:                            ; =>This Inner Loop Header: Depth=1
	s_sethalt 5
	s_branch .LBB80_2039
.LBB80_2040:
	s_cbranch_execnz .LBB80_2046
; %bb.2041:
	s_or_b32 s3, s3, exec_lo
	s_cbranch_execz .LBB80_1635
	s_branch .LBB80_1636
.LBB80_2042:
	s_or_saveexec_b32 s6, s6
                                        ; implicit-def: $sgpr7
	s_delay_alu instid0(SALU_CYCLE_1)
	s_xor_b32 exec_lo, exec_lo, s6
	s_cbranch_execz .LBB80_1600
.LBB80_2043:
	v_add_f32_e64 v3, 0x42800000, |v2|
	s_and_not1_b32 s2, s2, exec_lo
	s_mov_b32 s7, 0
	s_delay_alu instid0(VALU_DEP_1) | instskip(NEXT) | instid1(VALU_DEP_1)
	v_and_b32_e32 v3, 0xff, v3
	v_cmp_ne_u32_e32 vcc_lo, 0, v3
	s_and_b32 s9, vcc_lo, exec_lo
	s_delay_alu instid0(SALU_CYCLE_1)
	s_or_b32 s2, s2, s9
	s_or_b32 exec_lo, exec_lo, s6
	v_mov_b32_e32 v14, s7
	s_and_saveexec_b32 s6, s2
	s_cbranch_execnz .LBB80_1601
	s_branch .LBB80_1602
.LBB80_2044:
	s_or_saveexec_b32 s8, s8
                                        ; implicit-def: $sgpr9
	s_delay_alu instid0(SALU_CYCLE_1)
	s_xor_b32 exec_lo, exec_lo, s8
	s_cbranch_execz .LBB80_1705
.LBB80_2045:
	v_add_f32_e64 v3, 0x46000000, |v2|
	s_and_not1_b32 s7, s7, exec_lo
	s_mov_b32 s9, 0
	s_delay_alu instid0(VALU_DEP_1) | instskip(NEXT) | instid1(VALU_DEP_1)
	v_and_b32_e32 v3, 0xff, v3
	v_cmp_ne_u32_e32 vcc_lo, 0, v3
	s_and_b32 s12, vcc_lo, exec_lo
	s_delay_alu instid0(SALU_CYCLE_1)
	s_or_b32 s7, s7, s12
	s_or_b32 exec_lo, exec_lo, s8
	v_mov_b32_e32 v11, s9
	s_and_saveexec_b32 s8, s7
	s_cbranch_execnz .LBB80_1706
	s_branch .LBB80_1707
.LBB80_2046:
	s_trap 2
	s_sendmsg_rtn_b32 s0, sendmsg(MSG_RTN_GET_DOORBELL)
	s_mov_b32 ttmp2, m0
	s_waitcnt lgkmcnt(0)
	s_and_b32 s0, s0, 0x3ff
	s_delay_alu instid0(SALU_CYCLE_1) | instskip(NEXT) | instid1(SALU_CYCLE_1)
	s_bitset1_b32 s0, 10
	s_mov_b32 m0, s0
	s_sendmsg sendmsg(MSG_INTERRUPT)
	s_mov_b32 m0, ttmp2
.LBB80_2047:                            ; =>This Inner Loop Header: Depth=1
	s_sethalt 5
	s_branch .LBB80_2047
.LBB80_2048:
	s_cbranch_execnz .LBB80_2054
; %bb.2049:
	s_or_b32 s3, s3, exec_lo
	s_cbranch_execz .LBB80_1753
	s_branch .LBB80_1754
.LBB80_2050:
	s_or_saveexec_b32 s7, s7
                                        ; implicit-def: $sgpr8
	s_delay_alu instid0(SALU_CYCLE_1)
	s_xor_b32 exec_lo, exec_lo, s7
	s_cbranch_execz .LBB80_1718
.LBB80_2051:
	v_add_f32_e64 v3, 0x42800000, |v2|
	s_and_not1_b32 s2, s2, exec_lo
	s_mov_b32 s8, 0
	s_delay_alu instid0(VALU_DEP_1) | instskip(NEXT) | instid1(VALU_DEP_1)
	v_and_b32_e32 v3, 0xff, v3
	v_cmp_ne_u32_e32 vcc_lo, 0, v3
	s_and_b32 s9, vcc_lo, exec_lo
	s_delay_alu instid0(SALU_CYCLE_1)
	s_or_b32 s2, s2, s9
	s_or_b32 exec_lo, exec_lo, s7
	v_mov_b32_e32 v11, s8
	s_and_saveexec_b32 s7, s2
	s_cbranch_execnz .LBB80_1719
	s_branch .LBB80_1720
.LBB80_2052:
	s_or_saveexec_b32 s8, s8
                                        ; implicit-def: $sgpr9
	s_delay_alu instid0(SALU_CYCLE_1)
	s_xor_b32 exec_lo, exec_lo, s8
	s_cbranch_execz .LBB80_1823
.LBB80_2053:
	v_add_f32_e64 v3, 0x46000000, |v2|
	s_and_not1_b32 s7, s7, exec_lo
	s_mov_b32 s9, 0
	s_delay_alu instid0(VALU_DEP_1) | instskip(NEXT) | instid1(VALU_DEP_1)
	v_and_b32_e32 v3, 0xff, v3
	v_cmp_ne_u32_e32 vcc_lo, 0, v3
	s_and_b32 s12, vcc_lo, exec_lo
	s_delay_alu instid0(SALU_CYCLE_1)
	s_or_b32 s7, s7, s12
	s_or_b32 exec_lo, exec_lo, s8
	v_mov_b32_e32 v9, s9
	s_and_saveexec_b32 s8, s7
	s_cbranch_execnz .LBB80_1824
	s_branch .LBB80_1825
.LBB80_2054:
	s_trap 2
	s_sendmsg_rtn_b32 s0, sendmsg(MSG_RTN_GET_DOORBELL)
	s_mov_b32 ttmp2, m0
	s_waitcnt lgkmcnt(0)
	s_and_b32 s0, s0, 0x3ff
	s_delay_alu instid0(SALU_CYCLE_1) | instskip(NEXT) | instid1(SALU_CYCLE_1)
	s_bitset1_b32 s0, 10
	s_mov_b32 m0, s0
	s_sendmsg sendmsg(MSG_INTERRUPT)
	s_mov_b32 m0, ttmp2
.LBB80_2055:                            ; =>This Inner Loop Header: Depth=1
	s_sethalt 5
	s_branch .LBB80_2055
.LBB80_2056:
	s_cbranch_execnz .LBB80_2062
; %bb.2057:
	s_or_b32 s3, s3, exec_lo
	s_cbranch_execz .LBB80_1871
	s_branch .LBB80_1872
.LBB80_2058:
	s_or_saveexec_b32 s7, s7
                                        ; implicit-def: $sgpr8
	s_delay_alu instid0(SALU_CYCLE_1)
	s_xor_b32 exec_lo, exec_lo, s7
	s_cbranch_execz .LBB80_1836
.LBB80_2059:
	v_add_f32_e64 v3, 0x42800000, |v2|
	s_and_not1_b32 s2, s2, exec_lo
	s_mov_b32 s8, 0
	s_delay_alu instid0(VALU_DEP_1) | instskip(NEXT) | instid1(VALU_DEP_1)
	v_and_b32_e32 v3, 0xff, v3
	v_cmp_ne_u32_e32 vcc_lo, 0, v3
	s_and_b32 s9, vcc_lo, exec_lo
	s_delay_alu instid0(SALU_CYCLE_1)
	s_or_b32 s2, s2, s9
	s_or_b32 exec_lo, exec_lo, s7
	v_mov_b32_e32 v9, s8
	s_and_saveexec_b32 s7, s2
	s_cbranch_execnz .LBB80_1837
	s_branch .LBB80_1838
.LBB80_2060:
	s_or_saveexec_b32 s4, s4
                                        ; implicit-def: $sgpr5
	s_delay_alu instid0(SALU_CYCLE_1)
	s_xor_b32 exec_lo, exec_lo, s4
	s_cbranch_execz .LBB80_1942
.LBB80_2061:
	v_add_f32_e64 v3, 0x46000000, |v2|
	s_and_not1_b32 s2, s2, exec_lo
	s_mov_b32 s5, 0
	s_delay_alu instid0(VALU_DEP_1) | instskip(NEXT) | instid1(VALU_DEP_1)
	v_and_b32_e32 v3, 0xff, v3
	v_cmp_ne_u32_e32 vcc_lo, 0, v3
	s_and_b32 s7, vcc_lo, exec_lo
	s_delay_alu instid0(SALU_CYCLE_1)
	s_or_b32 s2, s2, s7
	s_or_b32 exec_lo, exec_lo, s4
	v_mov_b32_e32 v6, s5
	s_and_saveexec_b32 s4, s2
	s_cbranch_execnz .LBB80_1943
	s_branch .LBB80_1944
.LBB80_2062:
	s_trap 2
	s_sendmsg_rtn_b32 s0, sendmsg(MSG_RTN_GET_DOORBELL)
	s_mov_b32 ttmp2, m0
	s_waitcnt lgkmcnt(0)
	s_and_b32 s0, s0, 0x3ff
	s_delay_alu instid0(SALU_CYCLE_1) | instskip(NEXT) | instid1(SALU_CYCLE_1)
	s_bitset1_b32 s0, 10
	s_mov_b32 m0, s0
	s_sendmsg sendmsg(MSG_INTERRUPT)
	s_mov_b32 m0, ttmp2
.LBB80_2063:                            ; =>This Inner Loop Header: Depth=1
	s_sethalt 5
	s_branch .LBB80_2063
.LBB80_2064:
	s_cbranch_execnz .LBB80_2068
; %bb.2065:
	s_mov_b32 s6, 0
	s_or_b32 s3, s3, exec_lo
	s_branch .LBB80_1988
.LBB80_2066:
	s_or_saveexec_b32 s4, s4
                                        ; implicit-def: $sgpr5
	s_delay_alu instid0(SALU_CYCLE_1)
	s_xor_b32 exec_lo, exec_lo, s4
	s_cbranch_execz .LBB80_1954
.LBB80_2067:
	v_add_f32_e64 v3, 0x42800000, |v2|
	s_and_not1_b32 s2, s2, exec_lo
	s_mov_b32 s5, 0
	s_delay_alu instid0(VALU_DEP_1) | instskip(NEXT) | instid1(VALU_DEP_1)
	v_and_b32_e32 v3, 0xff, v3
	v_cmp_ne_u32_e32 vcc_lo, 0, v3
	s_and_b32 s6, vcc_lo, exec_lo
	s_delay_alu instid0(SALU_CYCLE_1)
	s_or_b32 s2, s2, s6
	s_or_b32 exec_lo, exec_lo, s4
	v_mov_b32_e32 v6, s5
	s_and_saveexec_b32 s4, s2
	s_cbranch_execnz .LBB80_1955
	s_branch .LBB80_1956
.LBB80_2068:
	s_trap 2
	s_sendmsg_rtn_b32 s0, sendmsg(MSG_RTN_GET_DOORBELL)
	s_mov_b32 ttmp2, m0
	s_waitcnt lgkmcnt(0)
	s_and_b32 s0, s0, 0x3ff
	s_delay_alu instid0(SALU_CYCLE_1) | instskip(NEXT) | instid1(SALU_CYCLE_1)
	s_bitset1_b32 s0, 10
	s_mov_b32 m0, s0
	s_sendmsg sendmsg(MSG_INTERRUPT)
	s_mov_b32 m0, ttmp2
.LBB80_2069:                            ; =>This Inner Loop Header: Depth=1
	s_sethalt 5
	s_branch .LBB80_2069
	.section	.rodata,"a",@progbits
	.p2align	6, 0x0
	.amdhsa_kernel _ZN2at6native32elementwise_kernel_manual_unrollILi128ELi4EZNS0_15gpu_kernel_implIZZZNS0_15exp_kernel_cudaERNS_18TensorIteratorBaseEENKUlvE0_clEvENKUlvE_clEvEUldE_EEvS4_RKT_EUlibE_EEviT1_
		.amdhsa_group_segment_fixed_size 0
		.amdhsa_private_segment_fixed_size 0
		.amdhsa_kernarg_size 40
		.amdhsa_user_sgpr_count 15
		.amdhsa_user_sgpr_dispatch_ptr 0
		.amdhsa_user_sgpr_queue_ptr 0
		.amdhsa_user_sgpr_kernarg_segment_ptr 1
		.amdhsa_user_sgpr_dispatch_id 0
		.amdhsa_user_sgpr_private_segment_size 0
		.amdhsa_wavefront_size32 1
		.amdhsa_uses_dynamic_stack 0
		.amdhsa_enable_private_segment 0
		.amdhsa_system_sgpr_workgroup_id_x 1
		.amdhsa_system_sgpr_workgroup_id_y 0
		.amdhsa_system_sgpr_workgroup_id_z 0
		.amdhsa_system_sgpr_workgroup_info 0
		.amdhsa_system_vgpr_workitem_id 0
		.amdhsa_next_free_vgpr 17
		.amdhsa_next_free_sgpr 25
		.amdhsa_reserve_vcc 1
		.amdhsa_float_round_mode_32 0
		.amdhsa_float_round_mode_16_64 0
		.amdhsa_float_denorm_mode_32 3
		.amdhsa_float_denorm_mode_16_64 3
		.amdhsa_dx10_clamp 1
		.amdhsa_ieee_mode 1
		.amdhsa_fp16_overflow 0
		.amdhsa_workgroup_processor_mode 1
		.amdhsa_memory_ordered 1
		.amdhsa_forward_progress 0
		.amdhsa_shared_vgpr_count 0
		.amdhsa_exception_fp_ieee_invalid_op 0
		.amdhsa_exception_fp_denorm_src 0
		.amdhsa_exception_fp_ieee_div_zero 0
		.amdhsa_exception_fp_ieee_overflow 0
		.amdhsa_exception_fp_ieee_underflow 0
		.amdhsa_exception_fp_ieee_inexact 0
		.amdhsa_exception_int_div_zero 0
	.end_amdhsa_kernel
	.section	.text._ZN2at6native32elementwise_kernel_manual_unrollILi128ELi4EZNS0_15gpu_kernel_implIZZZNS0_15exp_kernel_cudaERNS_18TensorIteratorBaseEENKUlvE0_clEvENKUlvE_clEvEUldE_EEvS4_RKT_EUlibE_EEviT1_,"axG",@progbits,_ZN2at6native32elementwise_kernel_manual_unrollILi128ELi4EZNS0_15gpu_kernel_implIZZZNS0_15exp_kernel_cudaERNS_18TensorIteratorBaseEENKUlvE0_clEvENKUlvE_clEvEUldE_EEvS4_RKT_EUlibE_EEviT1_,comdat
.Lfunc_end80:
	.size	_ZN2at6native32elementwise_kernel_manual_unrollILi128ELi4EZNS0_15gpu_kernel_implIZZZNS0_15exp_kernel_cudaERNS_18TensorIteratorBaseEENKUlvE0_clEvENKUlvE_clEvEUldE_EEvS4_RKT_EUlibE_EEviT1_, .Lfunc_end80-_ZN2at6native32elementwise_kernel_manual_unrollILi128ELi4EZNS0_15gpu_kernel_implIZZZNS0_15exp_kernel_cudaERNS_18TensorIteratorBaseEENKUlvE0_clEvENKUlvE_clEvEUldE_EEvS4_RKT_EUlibE_EEviT1_
                                        ; -- End function
	.section	.AMDGPU.csdata,"",@progbits
; Kernel info:
; codeLenInByte = 38636
; NumSgprs: 27
; NumVgprs: 17
; ScratchSize: 0
; MemoryBound: 1
; FloatMode: 240
; IeeeMode: 1
; LDSByteSize: 0 bytes/workgroup (compile time only)
; SGPRBlocks: 3
; VGPRBlocks: 2
; NumSGPRsForWavesPerEU: 27
; NumVGPRsForWavesPerEU: 17
; Occupancy: 16
; WaveLimiterHint : 0
; COMPUTE_PGM_RSRC2:SCRATCH_EN: 0
; COMPUTE_PGM_RSRC2:USER_SGPR: 15
; COMPUTE_PGM_RSRC2:TRAP_HANDLER: 0
; COMPUTE_PGM_RSRC2:TGID_X_EN: 1
; COMPUTE_PGM_RSRC2:TGID_Y_EN: 0
; COMPUTE_PGM_RSRC2:TGID_Z_EN: 0
; COMPUTE_PGM_RSRC2:TIDIG_COMP_CNT: 0
	.section	.text._ZN2at6native32elementwise_kernel_manual_unrollILi128ELi4EZNS0_15gpu_kernel_implIZZZNS0_15exp_kernel_cudaERNS_18TensorIteratorBaseEENKUlvE0_clEvENKUlvE_clEvEUldE_EEvS4_RKT_EUlibE0_EEviT1_,"axG",@progbits,_ZN2at6native32elementwise_kernel_manual_unrollILi128ELi4EZNS0_15gpu_kernel_implIZZZNS0_15exp_kernel_cudaERNS_18TensorIteratorBaseEENKUlvE0_clEvENKUlvE_clEvEUldE_EEvS4_RKT_EUlibE0_EEviT1_,comdat
	.globl	_ZN2at6native32elementwise_kernel_manual_unrollILi128ELi4EZNS0_15gpu_kernel_implIZZZNS0_15exp_kernel_cudaERNS_18TensorIteratorBaseEENKUlvE0_clEvENKUlvE_clEvEUldE_EEvS4_RKT_EUlibE0_EEviT1_ ; -- Begin function _ZN2at6native32elementwise_kernel_manual_unrollILi128ELi4EZNS0_15gpu_kernel_implIZZZNS0_15exp_kernel_cudaERNS_18TensorIteratorBaseEENKUlvE0_clEvENKUlvE_clEvEUldE_EEvS4_RKT_EUlibE0_EEviT1_
	.p2align	8
	.type	_ZN2at6native32elementwise_kernel_manual_unrollILi128ELi4EZNS0_15gpu_kernel_implIZZZNS0_15exp_kernel_cudaERNS_18TensorIteratorBaseEENKUlvE0_clEvENKUlvE_clEvEUldE_EEvS4_RKT_EUlibE0_EEviT1_,@function
_ZN2at6native32elementwise_kernel_manual_unrollILi128ELi4EZNS0_15gpu_kernel_implIZZZNS0_15exp_kernel_cudaERNS_18TensorIteratorBaseEENKUlvE0_clEvENKUlvE_clEvEUldE_EEvS4_RKT_EUlibE0_EEviT1_: ; @_ZN2at6native32elementwise_kernel_manual_unrollILi128ELi4EZNS0_15gpu_kernel_implIZZZNS0_15exp_kernel_cudaERNS_18TensorIteratorBaseEENKUlvE0_clEvENKUlvE_clEvEUldE_EEvS4_RKT_EUlibE0_EEviT1_
; %bb.0:
	s_clause 0x1
	s_load_b32 s24, s[0:1], 0x8
	s_load_b32 s30, s[0:1], 0x0
	v_lshl_or_b32 v10, s15, 9, v0
	s_or_b32 s16, s0, 8
	s_mov_b32 s3, -1
	s_mov_b32 s26, 0
	s_mov_b32 s17, s1
	v_or_b32_e32 v2, 0x180, v10
	s_mov_b32 s8, 0
	s_mov_b32 s2, exec_lo
	s_waitcnt lgkmcnt(0)
	s_add_i32 s25, s24, -1
	s_delay_alu instid0(SALU_CYCLE_1)
	s_cmp_gt_u32 s25, 1
	s_cselect_b32 s27, -1, 0
	v_cmpx_le_i32_e64 s30, v2
	s_xor_b32 s28, exec_lo, s2
	s_cbranch_execz .LBB81_1080
; %bb.1:
	v_mov_b32_e32 v0, 0
	s_clause 0x3
	s_load_b128 s[12:15], s[16:17], 0x4
	s_load_b64 s[18:19], s[16:17], 0x14
	s_load_b128 s[8:11], s[16:17], 0xc4
	s_load_b128 s[4:7], s[16:17], 0x148
	s_cmp_lg_u32 s24, 0
	s_mov_b32 s37, 0
	s_cselect_b32 s33, -1, 0
	global_load_u16 v8, v0, s[16:17] offset:345
	s_add_u32 s20, s16, 0xc4
	s_addc_u32 s21, s17, 0
	s_min_u32 s31, s25, 15
	s_cmp_gt_u32 s24, 1
	s_mov_b32 s35, 0
	s_cselect_b32 s29, -1, 0
	s_mov_b32 s34, 0
	s_mov_b32 s36, exec_lo
	s_waitcnt vmcnt(0)
	v_lshrrev_b16 v9, 8, v8
	v_cmpx_gt_i32_e64 s30, v10
	s_cbranch_execz .LBB81_265
; %bb.2:
	s_and_not1_b32 vcc_lo, exec_lo, s27
	s_cbranch_vccnz .LBB81_7
; %bb.3:
	v_dual_mov_b32 v0, 0 :: v_dual_mov_b32 v1, 0
	s_and_not1_b32 vcc_lo, exec_lo, s33
	s_cbranch_vccnz .LBB81_12
; %bb.4:
	v_mov_b32_e32 v0, 0
	s_add_i32 s38, s31, 1
	s_cmp_eq_u32 s25, 2
	s_cbranch_scc1 .LBB81_8
; %bb.5:
	v_dual_mov_b32 v1, 0 :: v_dual_mov_b32 v0, 0
	v_mov_b32_e32 v2, v10
	s_and_b32 s35, s38, 28
	s_mov_b32 s39, 0
	s_mov_b64 s[2:3], s[20:21]
	s_mov_b64 s[22:23], s[16:17]
.LBB81_6:                               ; =>This Inner Loop Header: Depth=1
	s_clause 0x1
	s_load_b256 s[40:47], s[22:23], 0x4
	s_load_b128 s[56:59], s[22:23], 0x24
	s_load_b256 s[48:55], s[2:3], 0x0
	s_add_u32 s22, s22, 48
	s_addc_u32 s23, s23, 0
	s_add_i32 s39, s39, 4
	s_add_u32 s2, s2, 32
	s_addc_u32 s3, s3, 0
	s_cmp_lg_u32 s35, s39
	s_waitcnt lgkmcnt(0)
	v_mul_hi_u32 v3, s41, v2
	s_delay_alu instid0(VALU_DEP_1) | instskip(NEXT) | instid1(VALU_DEP_1)
	v_add_nc_u32_e32 v3, v2, v3
	v_lshrrev_b32_e32 v3, s42, v3
	s_delay_alu instid0(VALU_DEP_1) | instskip(SKIP_1) | instid1(VALU_DEP_2)
	v_mul_hi_u32 v4, s44, v3
	v_mul_lo_u32 v6, v3, s40
	v_add_nc_u32_e32 v4, v3, v4
	s_delay_alu instid0(VALU_DEP_2) | instskip(NEXT) | instid1(VALU_DEP_2)
	v_sub_nc_u32_e32 v2, v2, v6
	v_lshrrev_b32_e32 v4, s45, v4
	s_delay_alu instid0(VALU_DEP_2) | instskip(SKIP_1) | instid1(VALU_DEP_3)
	v_mul_lo_u32 v6, v2, s48
	v_mul_lo_u32 v11, v2, s49
	v_mul_hi_u32 v5, s47, v4
	s_delay_alu instid0(VALU_DEP_1) | instskip(NEXT) | instid1(VALU_DEP_1)
	v_add_nc_u32_e32 v5, v4, v5
	v_lshrrev_b32_e32 v5, s56, v5
	s_delay_alu instid0(VALU_DEP_1) | instskip(SKIP_1) | instid1(VALU_DEP_2)
	v_mul_hi_u32 v7, s58, v5
	v_mul_lo_u32 v12, v5, s46
	v_add_nc_u32_e32 v2, v5, v7
	v_mul_lo_u32 v7, v4, s43
	s_delay_alu instid0(VALU_DEP_3) | instskip(NEXT) | instid1(VALU_DEP_3)
	v_sub_nc_u32_e32 v4, v4, v12
	v_lshrrev_b32_e32 v2, s59, v2
	s_delay_alu instid0(VALU_DEP_2) | instskip(SKIP_2) | instid1(VALU_DEP_4)
	v_mul_lo_u32 v12, v4, s52
	v_mul_lo_u32 v4, v4, s53
	v_sub_nc_u32_e32 v3, v3, v7
	v_mul_lo_u32 v13, v2, s57
	s_delay_alu instid0(VALU_DEP_2) | instskip(SKIP_1) | instid1(VALU_DEP_3)
	v_mul_lo_u32 v7, v3, s50
	v_mul_lo_u32 v3, v3, s51
	v_sub_nc_u32_e32 v5, v5, v13
	s_delay_alu instid0(VALU_DEP_3) | instskip(NEXT) | instid1(VALU_DEP_2)
	v_add3_u32 v0, v6, v0, v7
	v_mul_lo_u32 v13, v5, s54
	v_mul_lo_u32 v5, v5, s55
	v_add3_u32 v1, v11, v1, v3
	s_delay_alu instid0(VALU_DEP_3) | instskip(NEXT) | instid1(VALU_DEP_2)
	v_add3_u32 v0, v12, v0, v13
	v_add3_u32 v1, v4, v1, v5
	s_cbranch_scc1 .LBB81_6
	s_branch .LBB81_9
.LBB81_7:
	s_mov_b32 s34, -1
                                        ; implicit-def: $vgpr0
                                        ; implicit-def: $vgpr1
	s_branch .LBB81_12
.LBB81_8:
	v_dual_mov_b32 v2, v10 :: v_dual_mov_b32 v1, 0
.LBB81_9:
	s_and_b32 s38, s38, 3
	s_delay_alu instid0(SALU_CYCLE_1)
	s_cmp_eq_u32 s38, 0
	s_cbranch_scc1 .LBB81_12
; %bb.10:
	s_lshl_b32 s2, s35, 3
	s_mul_i32 s22, s35, 12
	s_add_u32 s2, s2, s16
	s_addc_u32 s3, s17, 0
	s_add_u32 s2, s2, 0xc4
	s_addc_u32 s3, s3, 0
	;; [unrolled: 2-line block ×3, first 2 shown]
	.p2align	6
.LBB81_11:                              ; =>This Inner Loop Header: Depth=1
	s_clause 0x1
	s_load_b64 s[40:41], s[22:23], 0x4
	s_load_b32 s35, s[22:23], 0xc
	s_load_b64 s[42:43], s[2:3], 0x0
	s_add_u32 s22, s22, 12
	s_addc_u32 s23, s23, 0
	s_add_u32 s2, s2, 8
	s_addc_u32 s3, s3, 0
	s_add_i32 s38, s38, -1
	s_delay_alu instid0(SALU_CYCLE_1) | instskip(SKIP_2) | instid1(VALU_DEP_1)
	s_cmp_lg_u32 s38, 0
	s_waitcnt lgkmcnt(0)
	v_mul_hi_u32 v3, s41, v2
	v_add_nc_u32_e32 v3, v2, v3
	s_delay_alu instid0(VALU_DEP_1) | instskip(NEXT) | instid1(VALU_DEP_1)
	v_lshrrev_b32_e32 v6, s35, v3
	v_mul_lo_u32 v3, v6, s40
	s_delay_alu instid0(VALU_DEP_1) | instskip(NEXT) | instid1(VALU_DEP_1)
	v_sub_nc_u32_e32 v2, v2, v3
	v_mad_u64_u32 v[3:4], null, v2, s42, v[0:1]
	v_mad_u64_u32 v[4:5], null, v2, s43, v[1:2]
	v_mov_b32_e32 v2, v6
	s_delay_alu instid0(VALU_DEP_2)
	v_dual_mov_b32 v0, v3 :: v_dual_mov_b32 v1, v4
	s_cbranch_scc1 .LBB81_11
.LBB81_12:
	s_and_not1_b32 vcc_lo, exec_lo, s34
	s_cbranch_vccnz .LBB81_15
; %bb.13:
	s_waitcnt lgkmcnt(0)
	v_mul_hi_u32 v0, s13, v10
	s_and_not1_b32 vcc_lo, exec_lo, s29
	s_delay_alu instid0(VALU_DEP_1) | instskip(NEXT) | instid1(VALU_DEP_1)
	v_add_nc_u32_e32 v0, v10, v0
	v_lshrrev_b32_e32 v2, s14, v0
	s_delay_alu instid0(VALU_DEP_1) | instskip(NEXT) | instid1(VALU_DEP_1)
	v_mul_lo_u32 v0, v2, s12
	v_sub_nc_u32_e32 v1, v10, v0
	s_delay_alu instid0(VALU_DEP_1)
	v_mul_lo_u32 v0, v1, s8
	v_mul_lo_u32 v1, v1, s9
	s_cbranch_vccnz .LBB81_15
; %bb.14:
	v_mul_hi_u32 v3, s18, v2
	s_delay_alu instid0(VALU_DEP_1) | instskip(NEXT) | instid1(VALU_DEP_1)
	v_add_nc_u32_e32 v3, v2, v3
	v_lshrrev_b32_e32 v3, s19, v3
	s_delay_alu instid0(VALU_DEP_1) | instskip(NEXT) | instid1(VALU_DEP_1)
	v_mul_lo_u32 v3, v3, s15
	v_sub_nc_u32_e32 v5, v2, v3
	s_delay_alu instid0(VALU_DEP_1) | instskip(NEXT) | instid1(VALU_DEP_1)
	v_mad_u64_u32 v[2:3], null, v5, s10, v[0:1]
	v_mad_u64_u32 v[3:4], null, v5, s11, v[1:2]
	s_delay_alu instid0(VALU_DEP_1)
	v_dual_mov_b32 v0, v2 :: v_dual_mov_b32 v1, v3
.LBB81_15:
	v_cmp_gt_i16_e32 vcc_lo, 11, v9
	s_waitcnt lgkmcnt(0)
	s_delay_alu instid0(VALU_DEP_2) | instskip(NEXT) | instid1(VALU_DEP_1)
	v_add_co_u32 v1, s2, s6, v1
	v_add_co_ci_u32_e64 v2, null, s7, 0, s2
	s_mov_b32 s22, 0
	s_cbranch_vccnz .LBB81_22
; %bb.16:
	v_cmp_lt_i16_e32 vcc_lo, 25, v9
	s_cbranch_vccz .LBB81_70
; %bb.17:
	v_cmp_lt_i16_e32 vcc_lo, 28, v9
	s_cbranch_vccz .LBB81_71
	;; [unrolled: 3-line block ×4, first 2 shown]
; %bb.20:
	v_cmp_eq_u16_e32 vcc_lo, 46, v9
	s_mov_b32 s3, 0
	s_cbranch_vccz .LBB81_77
; %bb.21:
	global_load_b32 v3, v[1:2], off
	s_mov_b32 s2, -1
	s_waitcnt vmcnt(0)
	v_lshlrev_b32_e32 v3, 16, v3
	s_delay_alu instid0(VALU_DEP_1)
	v_cvt_f64_f32_e32 v[3:4], v3
	s_branch .LBB81_79
.LBB81_22:
	s_mov_b32 s2, 0
                                        ; implicit-def: $vgpr3_vgpr4
	s_cbranch_execnz .LBB81_215
.LBB81_23:
	s_and_not1_b32 vcc_lo, exec_lo, s2
	s_cbranch_vccnz .LBB81_262
.LBB81_24:
	s_mov_b32 s2, 0x652b82fe
	s_mov_b32 s3, 0x3ff71547
	;; [unrolled: 1-line block ×3, first 2 shown]
	s_waitcnt vmcnt(0)
	s_delay_alu instid0(VALU_DEP_1)
	v_mul_f64 v[1:2], v[3:4], s[2:3]
	s_mov_b32 s2, 0xfefa39ef
	s_mov_b32 s3, 0xbfe62e42
	;; [unrolled: 1-line block ×3, first 2 shown]
	v_cmp_nlt_f64_e32 vcc_lo, 0x40900000, v[3:4]
	s_mov_b32 s23, 0
	s_delay_alu instid0(VALU_DEP_2) | instskip(NEXT) | instid1(VALU_DEP_1)
	v_rndne_f64_e32 v[1:2], v[1:2]
	v_fma_f64 v[5:6], v[1:2], s[2:3], v[3:4]
	s_mov_b32 s2, 0x3b39803f
	s_mov_b32 s3, 0xbc7abc9e
	v_cvt_i32_f64_e32 v7, v[1:2]
	s_delay_alu instid0(VALU_DEP_2)
	v_fma_f64 v[5:6], v[1:2], s[2:3], v[5:6]
	s_mov_b32 s2, 0xfca7ab0c
	s_mov_b32 s3, 0x3e928af3
	s_delay_alu instid0(VALU_DEP_1) | instid1(SALU_CYCLE_1)
	v_fma_f64 v[11:12], v[5:6], s[34:35], s[2:3]
	s_mov_b32 s2, 0x623fde64
	s_mov_b32 s3, 0x3ec71dee
	s_mov_b32 s34, -1
	s_delay_alu instid0(VALU_DEP_1)
	v_fma_f64 v[11:12], v[5:6], v[11:12], s[2:3]
	s_mov_b32 s2, 0x7c89e6b0
	s_mov_b32 s3, 0x3efa0199
	s_delay_alu instid0(VALU_DEP_1) | instid1(SALU_CYCLE_1)
	v_fma_f64 v[11:12], v[5:6], v[11:12], s[2:3]
	s_mov_b32 s2, 0x14761f6e
	s_mov_b32 s3, 0x3f2a01a0
	s_delay_alu instid0(VALU_DEP_1) | instid1(SALU_CYCLE_1)
	;; [unrolled: 4-line block ×7, first 2 shown]
	v_fma_f64 v[11:12], v[5:6], v[11:12], s[2:3]
	v_cmp_ngt_f64_e64 s2, 0xc090cc00, v[3:4]
	v_add_co_u32 v4, s3, s4, v0
	s_delay_alu instid0(VALU_DEP_3) | instskip(NEXT) | instid1(VALU_DEP_1)
	v_fma_f64 v[11:12], v[5:6], v[11:12], 1.0
	v_fma_f64 v[1:2], v[5:6], v[11:12], 1.0
	v_and_b32_e32 v6, 0xff, v8
	v_add_co_ci_u32_e64 v5, null, s5, 0, s3
	s_delay_alu instid0(VALU_DEP_2) | instskip(NEXT) | instid1(VALU_DEP_4)
	v_cmp_gt_i16_e64 s3, 11, v6
	v_ldexp_f64 v[11:12], v[1:2], v7
	s_delay_alu instid0(VALU_DEP_1) | instskip(SKIP_1) | instid1(VALU_DEP_2)
	v_cndmask_b32_e32 v1, 0x7ff00000, v12, vcc_lo
	s_and_b32 vcc_lo, s2, vcc_lo
	v_cndmask_b32_e32 v0, 0, v11, vcc_lo
	s_and_b32 vcc_lo, exec_lo, s3
	s_delay_alu instid0(VALU_DEP_2)
	v_cndmask_b32_e64 v1, 0, v1, s2
	s_mov_b32 s2, 0
	s_cbranch_vccnz .LBB81_31
; %bb.25:
	v_cmp_lt_i16_e32 vcc_lo, 25, v6
	s_cbranch_vccz .LBB81_72
; %bb.26:
	v_cmp_lt_i16_e32 vcc_lo, 28, v6
	s_cbranch_vccz .LBB81_74
	;; [unrolled: 3-line block ×4, first 2 shown]
; %bb.29:
	v_cmp_eq_u16_e32 vcc_lo, 46, v6
	s_mov_b32 s3, 0
	s_mov_b32 s23, -1
	s_cbranch_vccz .LBB81_83
; %bb.30:
	v_cvt_f32_f64_e32 v2, v[0:1]
	s_mov_b32 s2, -1
	s_mov_b32 s23, 0
	s_delay_alu instid0(VALU_DEP_1) | instskip(SKIP_1) | instid1(VALU_DEP_2)
	v_bfe_u32 v3, v2, 16, 1
	v_cmp_o_f32_e32 vcc_lo, v2, v2
	v_add3_u32 v3, v2, v3, 0x7fff
	s_delay_alu instid0(VALU_DEP_1) | instskip(NEXT) | instid1(VALU_DEP_1)
	v_lshrrev_b32_e32 v3, 16, v3
	v_cndmask_b32_e32 v2, 0x7fc0, v3, vcc_lo
	global_store_b32 v[4:5], v2, off
	s_branch .LBB81_83
.LBB81_31:
	s_and_b32 vcc_lo, exec_lo, s34
	s_cbranch_vccz .LBB81_152
; %bb.32:
	v_cmp_gt_i16_e32 vcc_lo, 5, v6
	s_mov_b32 s2, -1
	s_cbranch_vccnz .LBB81_53
; %bb.33:
	v_cmp_gt_i16_e32 vcc_lo, 8, v6
	s_cbranch_vccnz .LBB81_43
; %bb.34:
	v_cmp_gt_i16_e32 vcc_lo, 9, v6
	s_cbranch_vccnz .LBB81_40
; %bb.35:
	v_cmp_lt_i16_e32 vcc_lo, 9, v6
	s_cbranch_vccz .LBB81_37
; %bb.36:
	v_mov_b32_e32 v2, 0
	s_mov_b32 s2, 0
	s_delay_alu instid0(VALU_DEP_1)
	v_mov_b32_e32 v3, v2
	global_store_b128 v[4:5], v[0:3], off
.LBB81_37:
	s_and_not1_b32 vcc_lo, exec_lo, s2
	s_cbranch_vccnz .LBB81_39
; %bb.38:
	v_cvt_f32_f64_e32 v2, v[0:1]
	v_mov_b32_e32 v3, 0
	global_store_b64 v[4:5], v[2:3], off
.LBB81_39:
	s_mov_b32 s2, 0
.LBB81_40:
	s_delay_alu instid0(SALU_CYCLE_1)
	s_and_not1_b32 vcc_lo, exec_lo, s2
	s_cbranch_vccnz .LBB81_42
; %bb.41:
	v_cvt_f32_f64_e32 v2, v[0:1]
	s_delay_alu instid0(VALU_DEP_1) | instskip(NEXT) | instid1(VALU_DEP_1)
	v_cvt_f16_f32_e32 v2, v2
	v_and_b32_e32 v2, 0xffff, v2
	global_store_b32 v[4:5], v2, off
.LBB81_42:
	s_mov_b32 s2, 0
.LBB81_43:
	s_delay_alu instid0(SALU_CYCLE_1)
	s_and_not1_b32 vcc_lo, exec_lo, s2
	s_cbranch_vccnz .LBB81_52
; %bb.44:
	v_cmp_gt_i16_e32 vcc_lo, 6, v6
	s_mov_b32 s2, -1
	s_cbranch_vccnz .LBB81_50
; %bb.45:
	v_cmp_lt_i16_e32 vcc_lo, 6, v6
	s_cbranch_vccz .LBB81_47
; %bb.46:
	s_mov_b32 s2, 0
	global_store_b64 v[4:5], v[0:1], off
.LBB81_47:
	s_and_not1_b32 vcc_lo, exec_lo, s2
	s_cbranch_vccnz .LBB81_49
; %bb.48:
	v_cvt_f32_f64_e32 v2, v[0:1]
	global_store_b32 v[4:5], v2, off
.LBB81_49:
	s_mov_b32 s2, 0
.LBB81_50:
	s_delay_alu instid0(SALU_CYCLE_1)
	s_and_not1_b32 vcc_lo, exec_lo, s2
	s_cbranch_vccnz .LBB81_52
; %bb.51:
	v_cvt_f32_f64_e32 v2, v[0:1]
	s_delay_alu instid0(VALU_DEP_1)
	v_cvt_f16_f32_e32 v2, v2
	global_store_b16 v[4:5], v2, off
.LBB81_52:
	s_mov_b32 s2, 0
.LBB81_53:
	s_delay_alu instid0(SALU_CYCLE_1)
	s_and_not1_b32 vcc_lo, exec_lo, s2
	s_cbranch_vccnz .LBB81_69
; %bb.54:
	v_cmp_gt_i16_e32 vcc_lo, 2, v6
	s_mov_b32 s2, -1
	s_cbranch_vccnz .LBB81_64
; %bb.55:
	v_cmp_gt_i16_e32 vcc_lo, 3, v6
	s_cbranch_vccnz .LBB81_61
; %bb.56:
	v_cmp_lt_i16_e32 vcc_lo, 3, v6
	s_cbranch_vccz .LBB81_58
; %bb.57:
	v_trunc_f64_e32 v[2:3], v[0:1]
	s_mov_b32 s2, 0
	s_delay_alu instid0(VALU_DEP_1) | instskip(NEXT) | instid1(VALU_DEP_1)
	v_ldexp_f64 v[11:12], v[2:3], 0xffffffe0
	v_floor_f64_e32 v[11:12], v[11:12]
	s_delay_alu instid0(VALU_DEP_1) | instskip(SKIP_1) | instid1(VALU_DEP_2)
	v_fma_f64 v[2:3], 0xc1f00000, v[11:12], v[2:3]
	v_cvt_i32_f64_e32 v12, v[11:12]
	v_cvt_u32_f64_e32 v11, v[2:3]
	global_store_b64 v[4:5], v[11:12], off
.LBB81_58:
	s_and_not1_b32 vcc_lo, exec_lo, s2
	s_cbranch_vccnz .LBB81_60
; %bb.59:
	v_cvt_i32_f64_e32 v2, v[0:1]
	global_store_b32 v[4:5], v2, off
.LBB81_60:
	s_mov_b32 s2, 0
.LBB81_61:
	s_delay_alu instid0(SALU_CYCLE_1)
	s_and_not1_b32 vcc_lo, exec_lo, s2
	s_cbranch_vccnz .LBB81_63
; %bb.62:
	v_cvt_i32_f64_e32 v2, v[0:1]
	global_store_b16 v[4:5], v2, off
.LBB81_63:
	s_mov_b32 s2, 0
.LBB81_64:
	s_delay_alu instid0(SALU_CYCLE_1)
	s_and_not1_b32 vcc_lo, exec_lo, s2
	s_cbranch_vccnz .LBB81_69
; %bb.65:
	v_cmp_lt_i16_e32 vcc_lo, 0, v6
	s_mov_b32 s2, -1
	s_cbranch_vccz .LBB81_67
; %bb.66:
	v_cvt_i32_f64_e32 v2, v[0:1]
	s_mov_b32 s2, 0
	global_store_b8 v[4:5], v2, off
.LBB81_67:
	s_and_not1_b32 vcc_lo, exec_lo, s2
	s_cbranch_vccnz .LBB81_69
; %bb.68:
	v_trunc_f64_e32 v[0:1], v[0:1]
	s_delay_alu instid0(VALU_DEP_1) | instskip(NEXT) | instid1(VALU_DEP_1)
	v_ldexp_f64 v[2:3], v[0:1], 0xffffffe0
	v_floor_f64_e32 v[2:3], v[2:3]
	s_delay_alu instid0(VALU_DEP_1) | instskip(NEXT) | instid1(VALU_DEP_1)
	v_fma_f64 v[0:1], 0xc1f00000, v[2:3], v[0:1]
	v_cvt_u32_f64_e32 v0, v[0:1]
	global_store_b8 v[4:5], v0, off
.LBB81_69:
	s_branch .LBB81_153
.LBB81_70:
	s_mov_b32 s2, 0
                                        ; implicit-def: $vgpr3_vgpr4
	s_cbranch_execnz .LBB81_182
	s_branch .LBB81_214
.LBB81_71:
	s_mov_b32 s3, -1
	s_mov_b32 s2, 0
                                        ; implicit-def: $vgpr3_vgpr4
	s_branch .LBB81_161
.LBB81_72:
	s_mov_b32 s3, -1
	s_branch .LBB81_110
.LBB81_73:
	s_mov_b32 s3, -1
	s_mov_b32 s2, 0
                                        ; implicit-def: $vgpr3_vgpr4
	s_branch .LBB81_156
.LBB81_74:
	s_mov_b32 s3, -1
	s_branch .LBB81_93
.LBB81_75:
	s_mov_b32 s3, -1
	s_branch .LBB81_78
.LBB81_76:
	s_mov_b32 s3, -1
	s_branch .LBB81_89
.LBB81_77:
	s_mov_b32 s22, -1
.LBB81_78:
	s_mov_b32 s2, 0
                                        ; implicit-def: $vgpr3_vgpr4
.LBB81_79:
	s_and_b32 vcc_lo, exec_lo, s3
	s_cbranch_vccz .LBB81_155
; %bb.80:
	v_cmp_eq_u16_e32 vcc_lo, 44, v9
	s_cbranch_vccz .LBB81_154
; %bb.81:
	global_load_u8 v5, v[1:2], off
	s_mov_b32 s22, 0
	s_mov_b32 s2, -1
	s_waitcnt vmcnt(0)
	v_cmp_ne_u32_e32 vcc_lo, 0xff, v5
	v_lshlrev_b32_e32 v3, 23, v5
	s_delay_alu instid0(VALU_DEP_1) | instskip(NEXT) | instid1(VALU_DEP_1)
	v_cvt_f64_f32_e32 v[3:4], v3
	v_cndmask_b32_e32 v4, 0x7ff80000, v4, vcc_lo
	s_delay_alu instid0(VALU_DEP_2) | instskip(SKIP_1) | instid1(VALU_DEP_3)
	v_cndmask_b32_e32 v3, 0x20000000, v3, vcc_lo
	v_cmp_ne_u32_e32 vcc_lo, 0, v5
	v_cndmask_b32_e32 v4, 0x38000000, v4, vcc_lo
	s_delay_alu instid0(VALU_DEP_3)
	v_cndmask_b32_e32 v3, 0, v3, vcc_lo
	s_branch .LBB81_155
.LBB81_82:
	s_mov_b32 s3, -1
.LBB81_83:
	s_delay_alu instid0(SALU_CYCLE_1)
	s_and_b32 vcc_lo, exec_lo, s3
	s_cbranch_vccz .LBB81_88
; %bb.84:
	v_cmp_eq_u16_e32 vcc_lo, 44, v6
	s_mov_b32 s23, -1
	s_cbranch_vccz .LBB81_88
; %bb.85:
	v_cvt_f32_f64_e32 v2, v[0:1]
	v_mov_b32_e32 v3, 0xff
	s_mov_b32 s3, exec_lo
	s_delay_alu instid0(VALU_DEP_2) | instskip(NEXT) | instid1(VALU_DEP_1)
	v_bfe_u32 v7, v2, 23, 8
	v_cmpx_ne_u32_e32 0xff, v7
; %bb.86:
	v_and_b32_e32 v3, 0x400000, v2
	v_and_or_b32 v7, 0x3fffff, v2, v7
	v_lshrrev_b32_e32 v2, 23, v2
	s_delay_alu instid0(VALU_DEP_3) | instskip(NEXT) | instid1(VALU_DEP_3)
	v_cmp_ne_u32_e32 vcc_lo, 0, v3
	v_cmp_ne_u32_e64 s2, 0, v7
	s_delay_alu instid0(VALU_DEP_1) | instskip(NEXT) | instid1(SALU_CYCLE_1)
	s_and_b32 s2, vcc_lo, s2
	v_cndmask_b32_e64 v3, 0, 1, s2
	s_delay_alu instid0(VALU_DEP_1)
	v_add_nc_u32_e32 v3, v2, v3
; %bb.87:
	s_or_b32 exec_lo, exec_lo, s3
	s_mov_b32 s2, -1
	s_mov_b32 s23, 0
	global_store_b8 v[4:5], v3, off
.LBB81_88:
	s_mov_b32 s3, 0
.LBB81_89:
	s_delay_alu instid0(SALU_CYCLE_1)
	s_and_b32 vcc_lo, exec_lo, s3
	s_cbranch_vccz .LBB81_92
; %bb.90:
	v_cmp_eq_u16_e32 vcc_lo, 29, v6
	s_mov_b32 s23, -1
	s_cbranch_vccz .LBB81_92
; %bb.91:
	v_trunc_f64_e32 v[2:3], v[0:1]
	s_mov_b32 s2, -1
	s_mov_b32 s23, 0
	s_mov_b32 s3, 0
	s_delay_alu instid0(VALU_DEP_1) | instskip(NEXT) | instid1(VALU_DEP_1)
	v_ldexp_f64 v[11:12], v[2:3], 0xffffffe0
	v_floor_f64_e32 v[11:12], v[11:12]
	s_delay_alu instid0(VALU_DEP_1) | instskip(SKIP_1) | instid1(VALU_DEP_2)
	v_fma_f64 v[2:3], 0xc1f00000, v[11:12], v[2:3]
	v_cvt_u32_f64_e32 v12, v[11:12]
	v_cvt_u32_f64_e32 v11, v[2:3]
	global_store_b64 v[4:5], v[11:12], off
	s_branch .LBB81_93
.LBB81_92:
	s_mov_b32 s3, 0
.LBB81_93:
	s_delay_alu instid0(SALU_CYCLE_1)
	s_and_b32 vcc_lo, exec_lo, s3
	s_cbranch_vccz .LBB81_109
; %bb.94:
	v_cmp_gt_i16_e32 vcc_lo, 27, v6
	s_mov_b32 s2, -1
	s_cbranch_vccnz .LBB81_100
; %bb.95:
	v_cmp_lt_i16_e32 vcc_lo, 27, v6
	s_cbranch_vccz .LBB81_97
; %bb.96:
	v_cvt_u32_f64_e32 v2, v[0:1]
	s_mov_b32 s2, 0
	global_store_b32 v[4:5], v2, off
.LBB81_97:
	s_and_not1_b32 vcc_lo, exec_lo, s2
	s_cbranch_vccnz .LBB81_99
; %bb.98:
	v_cvt_u32_f64_e32 v2, v[0:1]
	global_store_b16 v[4:5], v2, off
.LBB81_99:
	s_mov_b32 s2, 0
.LBB81_100:
	s_delay_alu instid0(SALU_CYCLE_1)
	s_and_not1_b32 vcc_lo, exec_lo, s2
	s_cbranch_vccnz .LBB81_108
; %bb.101:
	v_cvt_f32_f64_e32 v2, v[0:1]
	v_mov_b32_e32 v7, 0x80
	s_mov_b32 s2, exec_lo
	s_delay_alu instid0(VALU_DEP_2) | instskip(NEXT) | instid1(VALU_DEP_1)
	v_and_b32_e32 v3, 0x7fffffff, v2
	v_cmpx_gt_u32_e32 0x43800000, v3
	s_cbranch_execz .LBB81_107
; %bb.102:
	v_cmp_lt_u32_e32 vcc_lo, 0x3bffffff, v3
	s_mov_b32 s3, 0
                                        ; implicit-def: $vgpr3
	s_and_saveexec_b32 s34, vcc_lo
	s_delay_alu instid0(SALU_CYCLE_1)
	s_xor_b32 s34, exec_lo, s34
	s_cbranch_execz .LBB81_341
; %bb.103:
	v_bfe_u32 v3, v2, 20, 1
	s_mov_b32 s3, exec_lo
	s_delay_alu instid0(VALU_DEP_1) | instskip(NEXT) | instid1(VALU_DEP_1)
	v_add3_u32 v3, v2, v3, 0x487ffff
	v_lshrrev_b32_e32 v3, 20, v3
	s_or_saveexec_b32 s34, s34
                                        ; implicit-def: $sgpr35
	s_delay_alu instid0(SALU_CYCLE_1)
	s_xor_b32 exec_lo, exec_lo, s34
	s_cbranch_execnz .LBB81_342
.LBB81_104:
	s_or_b32 exec_lo, exec_lo, s34
	v_mov_b32_e32 v7, s35
	s_and_saveexec_b32 s34, s3
.LBB81_105:
	v_lshrrev_b32_e32 v2, 24, v2
	s_delay_alu instid0(VALU_DEP_1)
	v_and_or_b32 v7, 0x80, v2, v3
.LBB81_106:
	s_or_b32 exec_lo, exec_lo, s34
.LBB81_107:
	s_delay_alu instid0(SALU_CYCLE_1)
	s_or_b32 exec_lo, exec_lo, s2
	global_store_b8 v[4:5], v7, off
.LBB81_108:
	s_mov_b32 s2, -1
.LBB81_109:
	s_mov_b32 s3, 0
.LBB81_110:
	s_delay_alu instid0(SALU_CYCLE_1)
	s_and_b32 vcc_lo, exec_lo, s3
	s_cbranch_vccz .LBB81_151
; %bb.111:
	v_cmp_lt_i16_e32 vcc_lo, 22, v6
	s_mov_b32 s3, -1
	s_cbranch_vccz .LBB81_143
; %bb.112:
	v_cmp_gt_i16_e32 vcc_lo, 24, v6
	s_mov_b32 s2, -1
	s_cbranch_vccnz .LBB81_132
; %bb.113:
	v_cmp_lt_i16_e32 vcc_lo, 24, v6
	s_cbranch_vccz .LBB81_121
; %bb.114:
	v_cvt_f32_f64_e32 v2, v[0:1]
	v_mov_b32_e32 v7, 0x80
	s_mov_b32 s2, exec_lo
	s_delay_alu instid0(VALU_DEP_2) | instskip(NEXT) | instid1(VALU_DEP_1)
	v_and_b32_e32 v3, 0x7fffffff, v2
	v_cmpx_gt_u32_e32 0x47800000, v3
	s_cbranch_execz .LBB81_120
; %bb.115:
	v_cmp_lt_u32_e32 vcc_lo, 0x37ffffff, v3
	s_mov_b32 s3, 0
                                        ; implicit-def: $vgpr3
	s_and_saveexec_b32 s34, vcc_lo
	s_delay_alu instid0(SALU_CYCLE_1)
	s_xor_b32 s34, exec_lo, s34
	s_cbranch_execz .LBB81_345
; %bb.116:
	v_bfe_u32 v3, v2, 21, 1
	s_mov_b32 s3, exec_lo
	s_delay_alu instid0(VALU_DEP_1) | instskip(NEXT) | instid1(VALU_DEP_1)
	v_add3_u32 v3, v2, v3, 0x88fffff
	v_lshrrev_b32_e32 v3, 21, v3
	s_or_saveexec_b32 s34, s34
                                        ; implicit-def: $sgpr35
	s_delay_alu instid0(SALU_CYCLE_1)
	s_xor_b32 exec_lo, exec_lo, s34
	s_cbranch_execnz .LBB81_346
.LBB81_117:
	s_or_b32 exec_lo, exec_lo, s34
	v_mov_b32_e32 v7, s35
	s_and_saveexec_b32 s34, s3
.LBB81_118:
	v_lshrrev_b32_e32 v2, 24, v2
	s_delay_alu instid0(VALU_DEP_1)
	v_and_or_b32 v7, 0x80, v2, v3
.LBB81_119:
	s_or_b32 exec_lo, exec_lo, s34
.LBB81_120:
	s_delay_alu instid0(SALU_CYCLE_1)
	s_or_b32 exec_lo, exec_lo, s2
	s_mov_b32 s2, 0
	global_store_b8 v[4:5], v7, off
.LBB81_121:
	s_and_b32 vcc_lo, exec_lo, s2
	s_cbranch_vccz .LBB81_131
; %bb.122:
	v_cvt_f32_f64_e32 v2, v[0:1]
	s_mov_b32 s2, exec_lo
                                        ; implicit-def: $vgpr3
	s_delay_alu instid0(VALU_DEP_1) | instskip(NEXT) | instid1(VALU_DEP_1)
	v_and_b32_e32 v7, 0x7fffffff, v2
	v_cmpx_gt_u32_e32 0x43f00000, v7
	s_xor_b32 s2, exec_lo, s2
	s_cbranch_execz .LBB81_128
; %bb.123:
	s_mov_b32 s3, exec_lo
                                        ; implicit-def: $vgpr3
	v_cmpx_lt_u32_e32 0x3c7fffff, v7
	s_xor_b32 s3, exec_lo, s3
; %bb.124:
	v_bfe_u32 v3, v2, 20, 1
	s_delay_alu instid0(VALU_DEP_1) | instskip(NEXT) | instid1(VALU_DEP_1)
	v_add3_u32 v3, v2, v3, 0x407ffff
	v_and_b32_e32 v7, 0xff00000, v3
	v_lshrrev_b32_e32 v3, 20, v3
	s_delay_alu instid0(VALU_DEP_2) | instskip(NEXT) | instid1(VALU_DEP_2)
	v_cmp_ne_u32_e32 vcc_lo, 0x7f00000, v7
	v_cndmask_b32_e32 v3, 0x7e, v3, vcc_lo
; %bb.125:
	s_and_not1_saveexec_b32 s3, s3
; %bb.126:
	v_add_f32_e64 v3, 0x46800000, |v2|
; %bb.127:
	s_or_b32 exec_lo, exec_lo, s3
                                        ; implicit-def: $vgpr7
.LBB81_128:
	s_and_not1_saveexec_b32 s2, s2
; %bb.129:
	v_mov_b32_e32 v3, 0x7f
	v_cmp_lt_u32_e32 vcc_lo, 0x7f800000, v7
	s_delay_alu instid0(VALU_DEP_2)
	v_cndmask_b32_e32 v3, 0x7e, v3, vcc_lo
; %bb.130:
	s_or_b32 exec_lo, exec_lo, s2
	v_lshrrev_b32_e32 v2, 24, v2
	s_delay_alu instid0(VALU_DEP_1)
	v_and_or_b32 v2, 0x80, v2, v3
	global_store_b8 v[4:5], v2, off
.LBB81_131:
	s_mov_b32 s2, 0
.LBB81_132:
	s_delay_alu instid0(SALU_CYCLE_1)
	s_and_not1_b32 vcc_lo, exec_lo, s2
	s_cbranch_vccnz .LBB81_142
; %bb.133:
	v_cvt_f32_f64_e32 v2, v[0:1]
	s_mov_b32 s2, exec_lo
                                        ; implicit-def: $vgpr3
	s_delay_alu instid0(VALU_DEP_1) | instskip(NEXT) | instid1(VALU_DEP_1)
	v_and_b32_e32 v7, 0x7fffffff, v2
	v_cmpx_gt_u32_e32 0x47800000, v7
	s_xor_b32 s2, exec_lo, s2
	s_cbranch_execz .LBB81_139
; %bb.134:
	s_mov_b32 s3, exec_lo
                                        ; implicit-def: $vgpr3
	v_cmpx_lt_u32_e32 0x387fffff, v7
	s_xor_b32 s3, exec_lo, s3
; %bb.135:
	v_bfe_u32 v3, v2, 21, 1
	s_delay_alu instid0(VALU_DEP_1) | instskip(NEXT) | instid1(VALU_DEP_1)
	v_add3_u32 v3, v2, v3, 0x80fffff
	v_lshrrev_b32_e32 v3, 21, v3
; %bb.136:
	s_and_not1_saveexec_b32 s3, s3
; %bb.137:
	v_add_f32_e64 v3, 0x43000000, |v2|
; %bb.138:
	s_or_b32 exec_lo, exec_lo, s3
                                        ; implicit-def: $vgpr7
.LBB81_139:
	s_and_not1_saveexec_b32 s2, s2
; %bb.140:
	v_mov_b32_e32 v3, 0x7f
	v_cmp_lt_u32_e32 vcc_lo, 0x7f800000, v7
	s_delay_alu instid0(VALU_DEP_2)
	v_cndmask_b32_e32 v3, 0x7c, v3, vcc_lo
; %bb.141:
	s_or_b32 exec_lo, exec_lo, s2
	v_lshrrev_b32_e32 v2, 24, v2
	s_delay_alu instid0(VALU_DEP_1)
	v_and_or_b32 v2, 0x80, v2, v3
	global_store_b8 v[4:5], v2, off
.LBB81_142:
	s_mov_b32 s3, 0
	s_mov_b32 s2, -1
.LBB81_143:
	s_and_not1_b32 vcc_lo, exec_lo, s3
	s_cbranch_vccnz .LBB81_151
; %bb.144:
	v_cmp_lt_i16_e32 vcc_lo, 14, v6
	s_mov_b32 s3, -1
	s_cbranch_vccz .LBB81_148
; %bb.145:
	v_cmp_eq_u16_e32 vcc_lo, 15, v6
	s_mov_b32 s23, -1
	s_cbranch_vccz .LBB81_147
; %bb.146:
	v_cvt_f32_f64_e32 v2, v[0:1]
	s_mov_b32 s2, -1
	s_mov_b32 s23, 0
	s_delay_alu instid0(VALU_DEP_1) | instskip(SKIP_1) | instid1(VALU_DEP_2)
	v_bfe_u32 v3, v2, 16, 1
	v_cmp_o_f32_e32 vcc_lo, v2, v2
	v_add3_u32 v3, v2, v3, 0x7fff
	s_delay_alu instid0(VALU_DEP_1) | instskip(NEXT) | instid1(VALU_DEP_1)
	v_lshrrev_b32_e32 v3, 16, v3
	v_cndmask_b32_e32 v2, 0x7fc0, v3, vcc_lo
	global_store_b16 v[4:5], v2, off
.LBB81_147:
	s_mov_b32 s3, 0
.LBB81_148:
	s_delay_alu instid0(SALU_CYCLE_1)
	s_and_b32 vcc_lo, exec_lo, s3
	s_cbranch_vccz .LBB81_151
; %bb.149:
	v_cmp_eq_u16_e32 vcc_lo, 11, v6
	s_mov_b32 s23, -1
	s_cbranch_vccz .LBB81_151
; %bb.150:
	v_cmp_neq_f64_e32 vcc_lo, 0, v[0:1]
	s_mov_b32 s2, -1
	s_mov_b32 s23, 0
	v_cndmask_b32_e64 v2, 0, 1, vcc_lo
	global_store_b8 v[4:5], v2, off
.LBB81_151:
.LBB81_152:
	s_and_not1_b32 vcc_lo, exec_lo, s2
	s_cbranch_vccnz .LBB81_263
.LBB81_153:
	v_add_nc_u32_e32 v10, 0x80, v10
	s_mov_b32 s2, -1
	s_branch .LBB81_264
.LBB81_154:
	s_mov_b32 s22, -1
                                        ; implicit-def: $vgpr3_vgpr4
.LBB81_155:
	s_mov_b32 s3, 0
.LBB81_156:
	s_delay_alu instid0(SALU_CYCLE_1)
	s_and_b32 vcc_lo, exec_lo, s3
	s_cbranch_vccz .LBB81_160
; %bb.157:
	v_cmp_eq_u16_e32 vcc_lo, 29, v9
	s_cbranch_vccz .LBB81_159
; %bb.158:
	global_load_b64 v[3:4], v[1:2], off
	s_mov_b32 s2, -1
	s_mov_b32 s22, 0
	s_mov_b32 s3, 0
	s_waitcnt vmcnt(0)
	v_cvt_f64_u32_e32 v[4:5], v4
	v_cvt_f64_u32_e32 v[6:7], v3
	s_delay_alu instid0(VALU_DEP_2) | instskip(NEXT) | instid1(VALU_DEP_1)
	v_ldexp_f64 v[4:5], v[4:5], 32
	v_add_f64 v[3:4], v[4:5], v[6:7]
	s_branch .LBB81_161
.LBB81_159:
	s_mov_b32 s22, -1
                                        ; implicit-def: $vgpr3_vgpr4
.LBB81_160:
	s_mov_b32 s3, 0
.LBB81_161:
	s_delay_alu instid0(SALU_CYCLE_1)
	s_and_b32 vcc_lo, exec_lo, s3
	s_cbranch_vccz .LBB81_181
; %bb.162:
	v_cmp_gt_i16_e32 vcc_lo, 27, v9
	s_cbranch_vccnz .LBB81_165
; %bb.163:
	v_cmp_lt_i16_e32 vcc_lo, 27, v9
	s_cbranch_vccz .LBB81_166
; %bb.164:
	global_load_b32 v3, v[1:2], off
	s_mov_b32 s2, 0
	s_waitcnt vmcnt(0)
	v_cvt_f64_u32_e32 v[3:4], v3
	s_branch .LBB81_167
.LBB81_165:
	s_mov_b32 s2, -1
                                        ; implicit-def: $vgpr3_vgpr4
	s_branch .LBB81_170
.LBB81_166:
	s_mov_b32 s2, -1
                                        ; implicit-def: $vgpr3_vgpr4
.LBB81_167:
	s_delay_alu instid0(SALU_CYCLE_1)
	s_and_not1_b32 vcc_lo, exec_lo, s2
	s_cbranch_vccnz .LBB81_169
; %bb.168:
	global_load_u16 v3, v[1:2], off
	s_waitcnt vmcnt(0)
	v_cvt_f64_u32_e32 v[3:4], v3
.LBB81_169:
	s_mov_b32 s2, 0
.LBB81_170:
	s_delay_alu instid0(SALU_CYCLE_1)
	s_and_not1_b32 vcc_lo, exec_lo, s2
	s_cbranch_vccnz .LBB81_180
; %bb.171:
	global_load_u8 v5, v[1:2], off
	s_mov_b32 s23, 0
	s_mov_b32 s34, exec_lo
                                        ; implicit-def: $sgpr2_sgpr3
	s_waitcnt vmcnt(0)
	v_cmpx_lt_i16_e32 0x7f, v5
	s_xor_b32 s34, exec_lo, s34
	s_cbranch_execz .LBB81_175
; %bb.172:
	s_mov_b32 s35, -1
	s_mov_b32 s23, exec_lo
                                        ; implicit-def: $sgpr2_sgpr3
	v_cmpx_eq_u16_e32 0x80, v5
; %bb.173:
	s_mov_b32 s3, 0x7ff80000
	s_brev_b32 s2, 4
	s_xor_b32 s35, exec_lo, -1
; %bb.174:
	s_or_b32 exec_lo, exec_lo, s23
	s_delay_alu instid0(SALU_CYCLE_1)
	s_and_b32 s23, s35, exec_lo
.LBB81_175:
	s_or_saveexec_b32 s34, s34
	v_dual_mov_b32 v4, s3 :: v_dual_mov_b32 v3, s2
	s_xor_b32 exec_lo, exec_lo, s34
; %bb.176:
	v_cmp_ne_u16_e32 vcc_lo, 0, v5
	v_mov_b32_e32 v3, 0
	v_mov_b32_e32 v4, 0
	s_and_not1_b32 s2, s23, exec_lo
	s_and_b32 s3, vcc_lo, exec_lo
	s_delay_alu instid0(SALU_CYCLE_1)
	s_or_b32 s23, s2, s3
; %bb.177:
	s_or_b32 exec_lo, exec_lo, s34
	s_and_saveexec_b32 s2, s23
	s_cbranch_execz .LBB81_179
; %bb.178:
	v_and_b32_e32 v3, 0xffff, v5
	v_lshlrev_b32_e32 v5, 24, v5
	s_delay_alu instid0(VALU_DEP_2) | instskip(NEXT) | instid1(VALU_DEP_2)
	v_and_b32_e32 v4, 7, v3
	v_and_b32_e32 v5, 0x80000000, v5
	s_delay_alu instid0(VALU_DEP_2) | instskip(NEXT) | instid1(VALU_DEP_1)
	v_clz_i32_u32_e32 v6, v4
	v_min_u32_e32 v6, 32, v6
	s_delay_alu instid0(VALU_DEP_1) | instskip(SKIP_1) | instid1(VALU_DEP_2)
	v_subrev_nc_u32_e32 v7, 28, v6
	v_sub_nc_u32_e32 v6, 29, v6
	v_lshlrev_b32_e32 v7, v7, v3
	v_bfe_u32 v3, v3, 3, 4
	s_delay_alu instid0(VALU_DEP_2) | instskip(NEXT) | instid1(VALU_DEP_2)
	v_and_b32_e32 v7, 7, v7
	v_cmp_eq_u32_e32 vcc_lo, 0, v3
	s_delay_alu instid0(VALU_DEP_2) | instskip(NEXT) | instid1(VALU_DEP_1)
	v_dual_cndmask_b32 v3, v3, v6 :: v_dual_cndmask_b32 v4, v4, v7
	v_lshl_add_u32 v3, v3, 23, 0x3b800000
	s_delay_alu instid0(VALU_DEP_2) | instskip(NEXT) | instid1(VALU_DEP_1)
	v_lshlrev_b32_e32 v4, 20, v4
	v_or3_b32 v3, v5, v3, v4
	s_delay_alu instid0(VALU_DEP_1)
	v_cvt_f64_f32_e32 v[3:4], v3
.LBB81_179:
	s_or_b32 exec_lo, exec_lo, s2
.LBB81_180:
	s_mov_b32 s2, -1
.LBB81_181:
	s_branch .LBB81_214
.LBB81_182:
	v_cmp_lt_i16_e32 vcc_lo, 22, v9
	s_cbranch_vccz .LBB81_194
; %bb.183:
	v_cmp_gt_i16_e32 vcc_lo, 24, v9
	s_cbranch_vccnz .LBB81_195
; %bb.184:
	v_cmp_lt_i16_e32 vcc_lo, 24, v9
	s_cbranch_vccz .LBB81_196
; %bb.185:
	global_load_u8 v5, v[1:2], off
	s_mov_b32 s23, 0
	s_mov_b32 s34, exec_lo
                                        ; implicit-def: $sgpr2_sgpr3
	s_waitcnt vmcnt(0)
	v_cmpx_lt_i16_e32 0x7f, v5
	s_xor_b32 s34, exec_lo, s34
	s_cbranch_execz .LBB81_189
; %bb.186:
	s_mov_b32 s35, -1
	s_mov_b32 s23, exec_lo
                                        ; implicit-def: $sgpr2_sgpr3
	v_cmpx_eq_u16_e32 0x80, v5
; %bb.187:
	s_mov_b32 s3, 0x7ff80000
	s_brev_b32 s2, 4
	s_xor_b32 s35, exec_lo, -1
; %bb.188:
	s_or_b32 exec_lo, exec_lo, s23
	s_delay_alu instid0(SALU_CYCLE_1)
	s_and_b32 s23, s35, exec_lo
.LBB81_189:
	s_or_saveexec_b32 s34, s34
	v_dual_mov_b32 v4, s3 :: v_dual_mov_b32 v3, s2
	s_xor_b32 exec_lo, exec_lo, s34
; %bb.190:
	v_cmp_ne_u16_e32 vcc_lo, 0, v5
	v_mov_b32_e32 v3, 0
	v_mov_b32_e32 v4, 0
	s_and_not1_b32 s2, s23, exec_lo
	s_and_b32 s3, vcc_lo, exec_lo
	s_delay_alu instid0(SALU_CYCLE_1)
	s_or_b32 s23, s2, s3
; %bb.191:
	s_or_b32 exec_lo, exec_lo, s34
	s_and_saveexec_b32 s2, s23
	s_cbranch_execz .LBB81_193
; %bb.192:
	v_and_b32_e32 v3, 0xffff, v5
	v_lshlrev_b32_e32 v5, 24, v5
	s_delay_alu instid0(VALU_DEP_2) | instskip(NEXT) | instid1(VALU_DEP_2)
	v_and_b32_e32 v4, 3, v3
	v_and_b32_e32 v5, 0x80000000, v5
	s_delay_alu instid0(VALU_DEP_2) | instskip(NEXT) | instid1(VALU_DEP_1)
	v_clz_i32_u32_e32 v6, v4
	v_min_u32_e32 v6, 32, v6
	s_delay_alu instid0(VALU_DEP_1) | instskip(SKIP_1) | instid1(VALU_DEP_2)
	v_subrev_nc_u32_e32 v7, 29, v6
	v_sub_nc_u32_e32 v6, 30, v6
	v_lshlrev_b32_e32 v7, v7, v3
	v_bfe_u32 v3, v3, 2, 5
	s_delay_alu instid0(VALU_DEP_2) | instskip(NEXT) | instid1(VALU_DEP_2)
	v_and_b32_e32 v7, 3, v7
	v_cmp_eq_u32_e32 vcc_lo, 0, v3
	s_delay_alu instid0(VALU_DEP_2) | instskip(NEXT) | instid1(VALU_DEP_1)
	v_dual_cndmask_b32 v3, v3, v6 :: v_dual_cndmask_b32 v4, v4, v7
	v_lshl_add_u32 v3, v3, 23, 0x37800000
	s_delay_alu instid0(VALU_DEP_2) | instskip(NEXT) | instid1(VALU_DEP_1)
	v_lshlrev_b32_e32 v4, 21, v4
	v_or3_b32 v3, v5, v3, v4
	s_delay_alu instid0(VALU_DEP_1)
	v_cvt_f64_f32_e32 v[3:4], v3
.LBB81_193:
	s_or_b32 exec_lo, exec_lo, s2
	s_mov_b32 s2, 0
	s_branch .LBB81_197
.LBB81_194:
	s_mov_b32 s3, -1
                                        ; implicit-def: $vgpr3_vgpr4
	s_branch .LBB81_203
.LBB81_195:
	s_mov_b32 s2, -1
                                        ; implicit-def: $vgpr3_vgpr4
	s_branch .LBB81_200
.LBB81_196:
	s_mov_b32 s2, -1
                                        ; implicit-def: $vgpr3_vgpr4
.LBB81_197:
	s_delay_alu instid0(SALU_CYCLE_1)
	s_and_b32 vcc_lo, exec_lo, s2
	s_cbranch_vccz .LBB81_199
; %bb.198:
	global_load_u8 v3, v[1:2], off
	s_waitcnt vmcnt(0)
	v_lshlrev_b32_e32 v3, 24, v3
	s_delay_alu instid0(VALU_DEP_1) | instskip(NEXT) | instid1(VALU_DEP_1)
	v_and_b32_e32 v4, 0x7f000000, v3
	v_clz_i32_u32_e32 v5, v4
	v_add_nc_u32_e32 v7, 0x1000000, v4
	v_cmp_ne_u32_e32 vcc_lo, 0, v4
	s_delay_alu instid0(VALU_DEP_3) | instskip(NEXT) | instid1(VALU_DEP_1)
	v_min_u32_e32 v5, 32, v5
	v_sub_nc_u32_e64 v5, v5, 4 clamp
	s_delay_alu instid0(VALU_DEP_1) | instskip(SKIP_1) | instid1(VALU_DEP_2)
	v_lshlrev_b32_e32 v6, v5, v4
	v_lshlrev_b32_e32 v5, 23, v5
	v_lshrrev_b32_e32 v6, 4, v6
	s_delay_alu instid0(VALU_DEP_1) | instskip(SKIP_1) | instid1(VALU_DEP_2)
	v_sub_nc_u32_e32 v5, v6, v5
	v_ashrrev_i32_e32 v6, 8, v7
	v_add_nc_u32_e32 v5, 0x3c000000, v5
	s_delay_alu instid0(VALU_DEP_1) | instskip(NEXT) | instid1(VALU_DEP_1)
	v_and_or_b32 v5, 0x7f800000, v6, v5
	v_cndmask_b32_e32 v4, 0, v5, vcc_lo
	s_delay_alu instid0(VALU_DEP_1) | instskip(NEXT) | instid1(VALU_DEP_1)
	v_and_or_b32 v3, 0x80000000, v3, v4
	v_cvt_f64_f32_e32 v[3:4], v3
.LBB81_199:
	s_mov_b32 s2, 0
.LBB81_200:
	s_delay_alu instid0(SALU_CYCLE_1)
	s_and_not1_b32 vcc_lo, exec_lo, s2
	s_cbranch_vccnz .LBB81_202
; %bb.201:
	global_load_u8 v3, v[1:2], off
	s_waitcnt vmcnt(0)
	v_lshlrev_b32_e32 v4, 25, v3
	v_lshlrev_b16 v3, 8, v3
	s_delay_alu instid0(VALU_DEP_2) | instskip(NEXT) | instid1(VALU_DEP_2)
	v_lshrrev_b32_e32 v5, 4, v4
	v_and_or_b32 v6, 0x7f00, v3, 0.5
	v_bfe_i32 v3, v3, 0, 16
	s_delay_alu instid0(VALU_DEP_3) | instskip(NEXT) | instid1(VALU_DEP_1)
	v_or_b32_e32 v5, 0x70000000, v5
	v_dual_add_f32 v6, -0.5, v6 :: v_dual_mul_f32 v5, 0x7800000, v5
	v_cmp_gt_u32_e32 vcc_lo, 0x8000000, v4
	s_delay_alu instid0(VALU_DEP_2) | instskip(NEXT) | instid1(VALU_DEP_1)
	v_cndmask_b32_e32 v4, v5, v6, vcc_lo
	v_and_or_b32 v3, 0x80000000, v3, v4
	s_delay_alu instid0(VALU_DEP_1)
	v_cvt_f64_f32_e32 v[3:4], v3
.LBB81_202:
	s_mov_b32 s3, 0
	s_mov_b32 s2, -1
.LBB81_203:
	s_and_not1_b32 vcc_lo, exec_lo, s3
	s_cbranch_vccnz .LBB81_214
; %bb.204:
	v_cmp_lt_i16_e32 vcc_lo, 14, v9
	s_cbranch_vccz .LBB81_207
; %bb.205:
	v_cmp_eq_u16_e32 vcc_lo, 15, v9
	s_cbranch_vccz .LBB81_208
; %bb.206:
	global_load_u16 v3, v[1:2], off
	s_mov_b32 s2, -1
	s_mov_b32 s22, 0
	s_waitcnt vmcnt(0)
	v_lshlrev_b32_e32 v3, 16, v3
	s_delay_alu instid0(VALU_DEP_1)
	v_cvt_f64_f32_e32 v[3:4], v3
	s_branch .LBB81_209
.LBB81_207:
	s_mov_b32 s3, -1
                                        ; implicit-def: $vgpr3_vgpr4
	s_branch .LBB81_210
.LBB81_208:
	s_mov_b32 s22, -1
                                        ; implicit-def: $vgpr3_vgpr4
.LBB81_209:
	s_mov_b32 s3, 0
.LBB81_210:
	s_delay_alu instid0(SALU_CYCLE_1)
	s_and_b32 vcc_lo, exec_lo, s3
	s_cbranch_vccz .LBB81_214
; %bb.211:
	v_cmp_eq_u16_e32 vcc_lo, 11, v9
	s_cbranch_vccz .LBB81_213
; %bb.212:
	global_load_u8 v3, v[1:2], off
	s_mov_b32 s22, 0
	s_mov_b32 s2, -1
	s_waitcnt vmcnt(0)
	v_cmp_ne_u16_e32 vcc_lo, 0, v3
	v_mov_b32_e32 v3, 0
	v_cndmask_b32_e64 v4, 0, 0x3ff00000, vcc_lo
	s_branch .LBB81_214
.LBB81_213:
	s_mov_b32 s22, -1
                                        ; implicit-def: $vgpr3_vgpr4
.LBB81_214:
	s_branch .LBB81_23
.LBB81_215:
	v_cmp_gt_i16_e32 vcc_lo, 5, v9
	s_cbranch_vccnz .LBB81_220
; %bb.216:
	v_cmp_gt_i16_e32 vcc_lo, 8, v9
	s_cbranch_vccnz .LBB81_221
; %bb.217:
	;; [unrolled: 3-line block ×3, first 2 shown]
	v_cmp_lt_i16_e32 vcc_lo, 9, v9
	s_cbranch_vccz .LBB81_223
; %bb.219:
	global_load_b64 v[3:4], v[1:2], off
	s_mov_b32 s2, 0
	s_branch .LBB81_224
.LBB81_220:
                                        ; implicit-def: $vgpr3_vgpr4
	s_branch .LBB81_242
.LBB81_221:
	s_mov_b32 s2, -1
                                        ; implicit-def: $vgpr3_vgpr4
	s_branch .LBB81_230
.LBB81_222:
	s_mov_b32 s2, -1
                                        ; implicit-def: $vgpr3_vgpr4
	s_branch .LBB81_227
.LBB81_223:
	s_mov_b32 s2, -1
                                        ; implicit-def: $vgpr3_vgpr4
.LBB81_224:
	s_delay_alu instid0(SALU_CYCLE_1)
	s_and_not1_b32 vcc_lo, exec_lo, s2
	s_cbranch_vccnz .LBB81_226
; %bb.225:
	global_load_b32 v3, v[1:2], off
	s_waitcnt vmcnt(0)
	v_cvt_f64_f32_e32 v[3:4], v3
.LBB81_226:
	s_mov_b32 s2, 0
.LBB81_227:
	s_delay_alu instid0(SALU_CYCLE_1)
	s_and_not1_b32 vcc_lo, exec_lo, s2
	s_cbranch_vccnz .LBB81_229
; %bb.228:
	global_load_b32 v3, v[1:2], off
	s_waitcnt vmcnt(0)
	v_cvt_f32_f16_e32 v3, v3
	s_delay_alu instid0(VALU_DEP_1)
	v_cvt_f64_f32_e32 v[3:4], v3
.LBB81_229:
	s_mov_b32 s2, 0
.LBB81_230:
	s_delay_alu instid0(SALU_CYCLE_1)
	s_and_not1_b32 vcc_lo, exec_lo, s2
	s_cbranch_vccnz .LBB81_241
; %bb.231:
	v_cmp_gt_i16_e32 vcc_lo, 6, v9
	s_cbranch_vccnz .LBB81_234
; %bb.232:
	v_cmp_lt_i16_e32 vcc_lo, 6, v9
	s_cbranch_vccz .LBB81_235
; %bb.233:
	global_load_b64 v[3:4], v[1:2], off
	s_mov_b32 s2, 0
	s_branch .LBB81_236
.LBB81_234:
	s_mov_b32 s2, -1
                                        ; implicit-def: $vgpr3_vgpr4
	s_branch .LBB81_239
.LBB81_235:
	s_mov_b32 s2, -1
                                        ; implicit-def: $vgpr3_vgpr4
.LBB81_236:
	s_delay_alu instid0(SALU_CYCLE_1)
	s_and_not1_b32 vcc_lo, exec_lo, s2
	s_cbranch_vccnz .LBB81_238
; %bb.237:
	global_load_b32 v3, v[1:2], off
	s_waitcnt vmcnt(0)
	v_cvt_f64_f32_e32 v[3:4], v3
.LBB81_238:
	s_mov_b32 s2, 0
.LBB81_239:
	s_delay_alu instid0(SALU_CYCLE_1)
	s_and_not1_b32 vcc_lo, exec_lo, s2
	s_cbranch_vccnz .LBB81_241
; %bb.240:
	global_load_u16 v3, v[1:2], off
	s_waitcnt vmcnt(0)
	v_cvt_f32_f16_e32 v3, v3
	s_delay_alu instid0(VALU_DEP_1)
	v_cvt_f64_f32_e32 v[3:4], v3
.LBB81_241:
	s_cbranch_execnz .LBB81_261
.LBB81_242:
	v_cmp_gt_i16_e32 vcc_lo, 2, v9
	s_cbranch_vccnz .LBB81_246
; %bb.243:
	v_cmp_gt_i16_e32 vcc_lo, 3, v9
	s_cbranch_vccnz .LBB81_247
; %bb.244:
	v_cmp_lt_i16_e32 vcc_lo, 3, v9
	s_cbranch_vccz .LBB81_248
; %bb.245:
	global_load_b64 v[3:4], v[1:2], off
	s_mov_b32 s2, 0
	s_waitcnt vmcnt(0)
	v_cvt_f64_i32_e32 v[4:5], v4
	v_cvt_f64_u32_e32 v[6:7], v3
	s_delay_alu instid0(VALU_DEP_2) | instskip(NEXT) | instid1(VALU_DEP_1)
	v_ldexp_f64 v[4:5], v[4:5], 32
	v_add_f64 v[3:4], v[4:5], v[6:7]
	s_branch .LBB81_249
.LBB81_246:
	s_mov_b32 s2, -1
                                        ; implicit-def: $vgpr3_vgpr4
	s_branch .LBB81_255
.LBB81_247:
	s_mov_b32 s2, -1
                                        ; implicit-def: $vgpr3_vgpr4
	s_branch .LBB81_252
.LBB81_248:
	s_mov_b32 s2, -1
                                        ; implicit-def: $vgpr3_vgpr4
.LBB81_249:
	s_delay_alu instid0(SALU_CYCLE_1)
	s_and_not1_b32 vcc_lo, exec_lo, s2
	s_cbranch_vccnz .LBB81_251
; %bb.250:
	global_load_b32 v3, v[1:2], off
	s_waitcnt vmcnt(0)
	v_cvt_f64_i32_e32 v[3:4], v3
.LBB81_251:
	s_mov_b32 s2, 0
.LBB81_252:
	s_delay_alu instid0(SALU_CYCLE_1)
	s_and_not1_b32 vcc_lo, exec_lo, s2
	s_cbranch_vccnz .LBB81_254
; %bb.253:
	global_load_i16 v3, v[1:2], off
	s_waitcnt vmcnt(0)
	v_cvt_f64_i32_e32 v[3:4], v3
.LBB81_254:
	s_mov_b32 s2, 0
.LBB81_255:
	s_delay_alu instid0(SALU_CYCLE_1)
	s_and_not1_b32 vcc_lo, exec_lo, s2
	s_cbranch_vccnz .LBB81_261
; %bb.256:
	v_cmp_lt_i16_e32 vcc_lo, 0, v9
	s_mov_b32 s2, 0
	s_cbranch_vccz .LBB81_258
; %bb.257:
	global_load_i8 v3, v[1:2], off
	s_waitcnt vmcnt(0)
	v_cvt_f64_i32_e32 v[3:4], v3
	s_branch .LBB81_259
.LBB81_258:
	s_mov_b32 s2, -1
                                        ; implicit-def: $vgpr3_vgpr4
.LBB81_259:
	s_delay_alu instid0(SALU_CYCLE_1)
	s_and_not1_b32 vcc_lo, exec_lo, s2
	s_cbranch_vccnz .LBB81_261
; %bb.260:
	global_load_u8 v1, v[1:2], off
	s_waitcnt vmcnt(0)
	v_cvt_f64_u32_e32 v[3:4], v1
.LBB81_261:
	s_branch .LBB81_24
.LBB81_262:
	s_mov_b32 s23, 0
.LBB81_263:
	s_mov_b32 s2, 0
                                        ; implicit-def: $vgpr10
.LBB81_264:
	s_and_b32 s34, s23, exec_lo
	s_and_b32 s35, s22, exec_lo
	s_or_not1_b32 s3, s2, exec_lo
.LBB81_265:
	s_or_b32 exec_lo, exec_lo, s36
	s_mov_b32 s22, 0
	s_mov_b32 s2, 0
                                        ; implicit-def: $vgpr0_vgpr1
                                        ; implicit-def: $vgpr2
                                        ; implicit-def: $vgpr6_vgpr7
	s_and_saveexec_b32 s36, s3
	s_cbranch_execz .LBB81_910
; %bb.266:
	s_mov_b32 s2, -1
	s_mov_b32 s37, s35
	s_mov_b32 s38, s34
	s_mov_b32 s39, exec_lo
	v_cmpx_gt_i32_e64 s30, v10
	s_cbranch_execz .LBB81_537
; %bb.267:
	s_and_not1_b32 vcc_lo, exec_lo, s27
	s_cbranch_vccnz .LBB81_272
; %bb.268:
	v_dual_mov_b32 v0, 0 :: v_dual_mov_b32 v1, 0
	s_and_not1_b32 vcc_lo, exec_lo, s33
	s_mov_b32 s37, 0
	s_cbranch_vccnz .LBB81_277
; %bb.269:
	v_mov_b32_e32 v0, 0
	s_add_i32 s40, s31, 1
	s_cmp_eq_u32 s25, 2
	s_mov_b32 s38, 0
	s_cbranch_scc1 .LBB81_273
; %bb.270:
	v_dual_mov_b32 v1, 0 :: v_dual_mov_b32 v0, 0
	v_mov_b32_e32 v2, v10
	s_and_b32 s38, s40, 28
	s_mov_b32 s41, 0
	s_mov_b64 s[2:3], s[20:21]
	s_mov_b64 s[22:23], s[16:17]
.LBB81_271:                             ; =>This Inner Loop Header: Depth=1
	s_clause 0x1
	s_load_b256 s[44:51], s[22:23], 0x4
	s_load_b128 s[60:63], s[22:23], 0x24
	s_load_b256 s[52:59], s[2:3], 0x0
	s_add_u32 s22, s22, 48
	s_addc_u32 s23, s23, 0
	s_add_i32 s41, s41, 4
	s_add_u32 s2, s2, 32
	s_addc_u32 s3, s3, 0
	s_cmp_eq_u32 s38, s41
	s_waitcnt vmcnt(0) lgkmcnt(0)
	v_mul_hi_u32 v3, s45, v2
	s_delay_alu instid0(VALU_DEP_1) | instskip(NEXT) | instid1(VALU_DEP_1)
	v_add_nc_u32_e32 v3, v2, v3
	v_lshrrev_b32_e32 v3, s46, v3
	s_delay_alu instid0(VALU_DEP_1) | instskip(SKIP_1) | instid1(VALU_DEP_2)
	v_mul_hi_u32 v4, s48, v3
	v_mul_lo_u32 v6, v3, s44
	v_add_nc_u32_e32 v4, v3, v4
	s_delay_alu instid0(VALU_DEP_2) | instskip(NEXT) | instid1(VALU_DEP_2)
	v_sub_nc_u32_e32 v2, v2, v6
	v_lshrrev_b32_e32 v4, s49, v4
	s_delay_alu instid0(VALU_DEP_2) | instskip(SKIP_1) | instid1(VALU_DEP_3)
	v_mul_lo_u32 v6, v2, s52
	v_mul_lo_u32 v11, v2, s53
	v_mul_hi_u32 v5, s51, v4
	s_delay_alu instid0(VALU_DEP_1) | instskip(NEXT) | instid1(VALU_DEP_1)
	v_add_nc_u32_e32 v5, v4, v5
	v_lshrrev_b32_e32 v5, s60, v5
	s_delay_alu instid0(VALU_DEP_1) | instskip(SKIP_1) | instid1(VALU_DEP_2)
	v_mul_hi_u32 v7, s62, v5
	v_mul_lo_u32 v12, v5, s50
	v_add_nc_u32_e32 v2, v5, v7
	v_mul_lo_u32 v7, v4, s47
	s_delay_alu instid0(VALU_DEP_3) | instskip(NEXT) | instid1(VALU_DEP_3)
	v_sub_nc_u32_e32 v4, v4, v12
	v_lshrrev_b32_e32 v2, s63, v2
	s_delay_alu instid0(VALU_DEP_2) | instskip(SKIP_2) | instid1(VALU_DEP_4)
	v_mul_lo_u32 v12, v4, s56
	v_mul_lo_u32 v4, v4, s57
	v_sub_nc_u32_e32 v3, v3, v7
	v_mul_lo_u32 v13, v2, s61
	s_delay_alu instid0(VALU_DEP_2) | instskip(SKIP_1) | instid1(VALU_DEP_3)
	v_mul_lo_u32 v7, v3, s54
	v_mul_lo_u32 v3, v3, s55
	v_sub_nc_u32_e32 v5, v5, v13
	s_delay_alu instid0(VALU_DEP_3) | instskip(NEXT) | instid1(VALU_DEP_2)
	v_add3_u32 v0, v6, v0, v7
	v_mul_lo_u32 v13, v5, s58
	v_mul_lo_u32 v5, v5, s59
	v_add3_u32 v1, v11, v1, v3
	s_delay_alu instid0(VALU_DEP_3) | instskip(NEXT) | instid1(VALU_DEP_2)
	v_add3_u32 v0, v12, v0, v13
	v_add3_u32 v1, v4, v1, v5
	s_cbranch_scc0 .LBB81_271
	s_branch .LBB81_274
.LBB81_272:
	s_mov_b32 s37, -1
                                        ; implicit-def: $vgpr0
                                        ; implicit-def: $vgpr1
	s_branch .LBB81_277
.LBB81_273:
	v_dual_mov_b32 v2, v10 :: v_dual_mov_b32 v1, 0
.LBB81_274:
	s_and_b32 s40, s40, 3
	s_delay_alu instid0(SALU_CYCLE_1)
	s_cmp_eq_u32 s40, 0
	s_cbranch_scc1 .LBB81_277
; %bb.275:
	s_lshl_b32 s2, s38, 3
	s_mul_i32 s22, s38, 12
	s_add_u32 s2, s2, s16
	s_addc_u32 s3, s17, 0
	s_add_u32 s2, s2, 0xc4
	s_addc_u32 s3, s3, 0
	;; [unrolled: 2-line block ×3, first 2 shown]
	.p2align	6
.LBB81_276:                             ; =>This Inner Loop Header: Depth=1
	s_clause 0x1
	s_load_b64 s[42:43], s[22:23], 0x4
	s_load_b32 s38, s[22:23], 0xc
	s_load_b64 s[44:45], s[2:3], 0x0
	s_add_u32 s22, s22, 12
	s_addc_u32 s23, s23, 0
	s_add_u32 s2, s2, 8
	s_addc_u32 s3, s3, 0
	s_add_i32 s40, s40, -1
	s_delay_alu instid0(SALU_CYCLE_1) | instskip(SKIP_2) | instid1(VALU_DEP_1)
	s_cmp_lg_u32 s40, 0
	s_waitcnt vmcnt(0) lgkmcnt(0)
	v_mul_hi_u32 v3, s43, v2
	v_add_nc_u32_e32 v3, v2, v3
	s_delay_alu instid0(VALU_DEP_1) | instskip(NEXT) | instid1(VALU_DEP_1)
	v_lshrrev_b32_e32 v6, s38, v3
	v_mul_lo_u32 v3, v6, s42
	s_delay_alu instid0(VALU_DEP_1) | instskip(NEXT) | instid1(VALU_DEP_1)
	v_sub_nc_u32_e32 v2, v2, v3
	v_mad_u64_u32 v[3:4], null, v2, s44, v[0:1]
	v_mad_u64_u32 v[4:5], null, v2, s45, v[1:2]
	v_mov_b32_e32 v2, v6
	s_delay_alu instid0(VALU_DEP_2)
	v_dual_mov_b32 v0, v3 :: v_dual_mov_b32 v1, v4
	s_cbranch_scc1 .LBB81_276
.LBB81_277:
	s_and_not1_b32 vcc_lo, exec_lo, s37
	s_cbranch_vccnz .LBB81_280
; %bb.278:
	s_waitcnt lgkmcnt(0)
	v_mul_hi_u32 v0, s13, v10
	s_and_not1_b32 vcc_lo, exec_lo, s29
	s_delay_alu instid0(VALU_DEP_1) | instskip(NEXT) | instid1(VALU_DEP_1)
	v_add_nc_u32_e32 v0, v10, v0
	v_lshrrev_b32_e32 v2, s14, v0
	s_delay_alu instid0(VALU_DEP_1) | instskip(NEXT) | instid1(VALU_DEP_1)
	v_mul_lo_u32 v0, v2, s12
	v_sub_nc_u32_e32 v1, v10, v0
	s_delay_alu instid0(VALU_DEP_1)
	v_mul_lo_u32 v0, v1, s8
	v_mul_lo_u32 v1, v1, s9
	s_cbranch_vccnz .LBB81_280
; %bb.279:
	s_waitcnt vmcnt(0)
	v_mul_hi_u32 v3, s18, v2
	s_delay_alu instid0(VALU_DEP_1) | instskip(NEXT) | instid1(VALU_DEP_1)
	v_add_nc_u32_e32 v3, v2, v3
	v_lshrrev_b32_e32 v3, s19, v3
	s_delay_alu instid0(VALU_DEP_1) | instskip(NEXT) | instid1(VALU_DEP_1)
	v_mul_lo_u32 v3, v3, s15
	v_sub_nc_u32_e32 v5, v2, v3
	s_delay_alu instid0(VALU_DEP_1) | instskip(NEXT) | instid1(VALU_DEP_1)
	v_mad_u64_u32 v[2:3], null, v5, s10, v[0:1]
	v_mad_u64_u32 v[3:4], null, v5, s11, v[1:2]
	s_delay_alu instid0(VALU_DEP_1)
	v_dual_mov_b32 v0, v2 :: v_dual_mov_b32 v1, v3
.LBB81_280:
	v_cmp_gt_i16_e32 vcc_lo, 11, v9
	s_waitcnt lgkmcnt(0)
	s_delay_alu instid0(VALU_DEP_2) | instskip(NEXT) | instid1(VALU_DEP_1)
	v_add_co_u32 v1, s2, s6, v1
	v_add_co_ci_u32_e64 v2, null, s7, 0, s2
	s_mov_b32 s2, 0
	s_cbranch_vccnz .LBB81_287
; %bb.281:
	v_cmp_lt_i16_e32 vcc_lo, 25, v9
	s_cbranch_vccz .LBB81_336
; %bb.282:
	v_cmp_lt_i16_e32 vcc_lo, 28, v9
	s_cbranch_vccz .LBB81_337
	;; [unrolled: 3-line block ×4, first 2 shown]
; %bb.285:
	v_cmp_eq_u16_e32 vcc_lo, 46, v9
	s_mov_b32 s3, 0
	s_cbranch_vccz .LBB81_347
; %bb.286:
	global_load_b32 v3, v[1:2], off
	s_mov_b32 s2, -1
	s_mov_b32 s22, 0
	s_waitcnt vmcnt(0)
	v_lshlrev_b32_e32 v3, 16, v3
	s_delay_alu instid0(VALU_DEP_1)
	v_cvt_f64_f32_e32 v[3:4], v3
	s_branch .LBB81_349
.LBB81_287:
	s_mov_b32 s22, s35
                                        ; implicit-def: $vgpr3_vgpr4
	s_cbranch_execnz .LBB81_486
.LBB81_288:
	s_and_not1_b32 vcc_lo, exec_lo, s2
	s_cbranch_vccnz .LBB81_534
.LBB81_289:
	s_mov_b32 s2, 0x652b82fe
	s_mov_b32 s3, 0x3ff71547
	;; [unrolled: 1-line block ×3, first 2 shown]
	s_waitcnt vmcnt(0)
	s_delay_alu instid0(VALU_DEP_1)
	v_mul_f64 v[1:2], v[3:4], s[2:3]
	s_mov_b32 s2, 0xfefa39ef
	s_mov_b32 s3, 0xbfe62e42
	;; [unrolled: 1-line block ×3, first 2 shown]
	v_cmp_nlt_f64_e32 vcc_lo, 0x40900000, v[3:4]
	s_mov_b32 s23, 0
	s_mov_b32 s37, -1
	s_delay_alu instid0(VALU_DEP_2) | instskip(NEXT) | instid1(VALU_DEP_1)
	v_rndne_f64_e32 v[1:2], v[1:2]
	v_fma_f64 v[5:6], v[1:2], s[2:3], v[3:4]
	s_mov_b32 s2, 0x3b39803f
	s_mov_b32 s3, 0xbc7abc9e
	v_cvt_i32_f64_e32 v7, v[1:2]
	s_delay_alu instid0(VALU_DEP_2)
	v_fma_f64 v[5:6], v[1:2], s[2:3], v[5:6]
	s_mov_b32 s2, 0xfca7ab0c
	s_mov_b32 s3, 0x3e928af3
	s_delay_alu instid0(VALU_DEP_1) | instid1(SALU_CYCLE_1)
	v_fma_f64 v[11:12], v[5:6], s[40:41], s[2:3]
	s_mov_b32 s2, 0x623fde64
	s_mov_b32 s3, 0x3ec71dee
	s_delay_alu instid0(VALU_DEP_1) | instid1(SALU_CYCLE_1)
	;; [unrolled: 4-line block ×9, first 2 shown]
	v_fma_f64 v[11:12], v[5:6], v[11:12], s[2:3]
	v_cmp_ngt_f64_e64 s2, 0xc090cc00, v[3:4]
	v_add_co_u32 v4, s3, s4, v0
	s_delay_alu instid0(VALU_DEP_3) | instskip(NEXT) | instid1(VALU_DEP_1)
	v_fma_f64 v[11:12], v[5:6], v[11:12], 1.0
	v_fma_f64 v[1:2], v[5:6], v[11:12], 1.0
	v_and_b32_e32 v6, 0xff, v8
	v_add_co_ci_u32_e64 v5, null, s5, 0, s3
	s_delay_alu instid0(VALU_DEP_2) | instskip(NEXT) | instid1(VALU_DEP_4)
	v_cmp_gt_i16_e64 s3, 11, v6
	v_ldexp_f64 v[11:12], v[1:2], v7
	s_delay_alu instid0(VALU_DEP_1) | instskip(SKIP_1) | instid1(VALU_DEP_2)
	v_cndmask_b32_e32 v1, 0x7ff00000, v12, vcc_lo
	s_and_b32 vcc_lo, s2, vcc_lo
	v_cndmask_b32_e32 v0, 0, v11, vcc_lo
	s_and_b32 vcc_lo, exec_lo, s3
	s_delay_alu instid0(VALU_DEP_2)
	v_cndmask_b32_e64 v1, 0, v1, s2
	s_mov_b32 s2, s34
	s_cbranch_vccnz .LBB81_296
; %bb.290:
	v_cmp_lt_i16_e32 vcc_lo, 25, v6
	s_cbranch_vccz .LBB81_338
; %bb.291:
	v_cmp_lt_i16_e32 vcc_lo, 28, v6
	s_cbranch_vccz .LBB81_340
	;; [unrolled: 3-line block ×4, first 2 shown]
; %bb.294:
	v_cmp_eq_u16_e32 vcc_lo, 46, v6
	s_mov_b32 s3, 0
	s_mov_b32 s2, -1
	s_cbranch_vccz .LBB81_353
; %bb.295:
	v_cvt_f32_f64_e32 v2, v[0:1]
	s_mov_b32 s23, -1
	s_mov_b32 s2, 0
	s_delay_alu instid0(VALU_DEP_1) | instskip(SKIP_1) | instid1(VALU_DEP_2)
	v_bfe_u32 v3, v2, 16, 1
	v_cmp_o_f32_e32 vcc_lo, v2, v2
	v_add3_u32 v3, v2, v3, 0x7fff
	s_delay_alu instid0(VALU_DEP_1) | instskip(NEXT) | instid1(VALU_DEP_1)
	v_lshrrev_b32_e32 v3, 16, v3
	v_cndmask_b32_e32 v2, 0x7fc0, v3, vcc_lo
	global_store_b32 v[4:5], v2, off
	s_branch .LBB81_353
.LBB81_296:
	s_and_b32 vcc_lo, exec_lo, s37
	s_cbranch_vccz .LBB81_422
; %bb.297:
	v_cmp_gt_i16_e32 vcc_lo, 5, v6
	s_mov_b32 s3, -1
	s_cbranch_vccnz .LBB81_318
; %bb.298:
	v_cmp_gt_i16_e32 vcc_lo, 8, v6
	s_cbranch_vccnz .LBB81_308
; %bb.299:
	v_cmp_gt_i16_e32 vcc_lo, 9, v6
	s_cbranch_vccnz .LBB81_305
; %bb.300:
	v_cmp_lt_i16_e32 vcc_lo, 9, v6
	s_cbranch_vccz .LBB81_302
; %bb.301:
	v_mov_b32_e32 v2, 0
	s_mov_b32 s3, 0
	s_delay_alu instid0(VALU_DEP_1)
	v_mov_b32_e32 v3, v2
	global_store_b128 v[4:5], v[0:3], off
.LBB81_302:
	s_and_not1_b32 vcc_lo, exec_lo, s3
	s_cbranch_vccnz .LBB81_304
; %bb.303:
	v_cvt_f32_f64_e32 v2, v[0:1]
	v_mov_b32_e32 v3, 0
	global_store_b64 v[4:5], v[2:3], off
.LBB81_304:
	s_mov_b32 s3, 0
.LBB81_305:
	s_delay_alu instid0(SALU_CYCLE_1)
	s_and_not1_b32 vcc_lo, exec_lo, s3
	s_cbranch_vccnz .LBB81_307
; %bb.306:
	v_cvt_f32_f64_e32 v2, v[0:1]
	s_delay_alu instid0(VALU_DEP_1) | instskip(NEXT) | instid1(VALU_DEP_1)
	v_cvt_f16_f32_e32 v2, v2
	v_and_b32_e32 v2, 0xffff, v2
	global_store_b32 v[4:5], v2, off
.LBB81_307:
	s_mov_b32 s3, 0
.LBB81_308:
	s_delay_alu instid0(SALU_CYCLE_1)
	s_and_not1_b32 vcc_lo, exec_lo, s3
	s_cbranch_vccnz .LBB81_317
; %bb.309:
	v_cmp_gt_i16_e32 vcc_lo, 6, v6
	s_mov_b32 s3, -1
	s_cbranch_vccnz .LBB81_315
; %bb.310:
	v_cmp_lt_i16_e32 vcc_lo, 6, v6
	s_cbranch_vccz .LBB81_312
; %bb.311:
	s_mov_b32 s3, 0
	global_store_b64 v[4:5], v[0:1], off
.LBB81_312:
	s_and_not1_b32 vcc_lo, exec_lo, s3
	s_cbranch_vccnz .LBB81_314
; %bb.313:
	v_cvt_f32_f64_e32 v2, v[0:1]
	global_store_b32 v[4:5], v2, off
.LBB81_314:
	s_mov_b32 s3, 0
.LBB81_315:
	s_delay_alu instid0(SALU_CYCLE_1)
	s_and_not1_b32 vcc_lo, exec_lo, s3
	s_cbranch_vccnz .LBB81_317
; %bb.316:
	v_cvt_f32_f64_e32 v2, v[0:1]
	s_delay_alu instid0(VALU_DEP_1)
	v_cvt_f16_f32_e32 v2, v2
	global_store_b16 v[4:5], v2, off
.LBB81_317:
	s_mov_b32 s3, 0
.LBB81_318:
	s_delay_alu instid0(SALU_CYCLE_1)
	s_and_not1_b32 vcc_lo, exec_lo, s3
	s_cbranch_vccnz .LBB81_334
; %bb.319:
	v_cmp_gt_i16_e32 vcc_lo, 2, v6
	s_mov_b32 s3, -1
	s_cbranch_vccnz .LBB81_329
; %bb.320:
	v_cmp_gt_i16_e32 vcc_lo, 3, v6
	s_cbranch_vccnz .LBB81_326
; %bb.321:
	v_cmp_lt_i16_e32 vcc_lo, 3, v6
	s_cbranch_vccz .LBB81_323
; %bb.322:
	v_trunc_f64_e32 v[2:3], v[0:1]
	s_mov_b32 s3, 0
	s_delay_alu instid0(VALU_DEP_1) | instskip(NEXT) | instid1(VALU_DEP_1)
	v_ldexp_f64 v[11:12], v[2:3], 0xffffffe0
	v_floor_f64_e32 v[11:12], v[11:12]
	s_delay_alu instid0(VALU_DEP_1) | instskip(SKIP_1) | instid1(VALU_DEP_2)
	v_fma_f64 v[2:3], 0xc1f00000, v[11:12], v[2:3]
	v_cvt_i32_f64_e32 v12, v[11:12]
	v_cvt_u32_f64_e32 v11, v[2:3]
	global_store_b64 v[4:5], v[11:12], off
.LBB81_323:
	s_and_not1_b32 vcc_lo, exec_lo, s3
	s_cbranch_vccnz .LBB81_325
; %bb.324:
	v_cvt_i32_f64_e32 v2, v[0:1]
	global_store_b32 v[4:5], v2, off
.LBB81_325:
	s_mov_b32 s3, 0
.LBB81_326:
	s_delay_alu instid0(SALU_CYCLE_1)
	s_and_not1_b32 vcc_lo, exec_lo, s3
	s_cbranch_vccnz .LBB81_328
; %bb.327:
	v_cvt_i32_f64_e32 v2, v[0:1]
	global_store_b16 v[4:5], v2, off
.LBB81_328:
	s_mov_b32 s3, 0
.LBB81_329:
	s_delay_alu instid0(SALU_CYCLE_1)
	s_and_not1_b32 vcc_lo, exec_lo, s3
	s_cbranch_vccnz .LBB81_334
; %bb.330:
	v_cmp_lt_i16_e32 vcc_lo, 0, v6
	s_mov_b32 s3, -1
	s_cbranch_vccz .LBB81_332
; %bb.331:
	v_cvt_i32_f64_e32 v2, v[0:1]
	s_mov_b32 s3, 0
	global_store_b8 v[4:5], v2, off
.LBB81_332:
	s_and_not1_b32 vcc_lo, exec_lo, s3
	s_cbranch_vccnz .LBB81_334
; %bb.333:
	v_trunc_f64_e32 v[0:1], v[0:1]
	s_delay_alu instid0(VALU_DEP_1) | instskip(NEXT) | instid1(VALU_DEP_1)
	v_ldexp_f64 v[2:3], v[0:1], 0xffffffe0
	v_floor_f64_e32 v[2:3], v[2:3]
	s_delay_alu instid0(VALU_DEP_1) | instskip(NEXT) | instid1(VALU_DEP_1)
	v_fma_f64 v[0:1], 0xc1f00000, v[2:3], v[0:1]
	v_cvt_u32_f64_e32 v0, v[0:1]
	global_store_b8 v[4:5], v0, off
.LBB81_334:
	s_branch .LBB81_423
.LBB81_335:
	s_mov_b32 s3, 0
	s_branch .LBB81_535
.LBB81_336:
	s_mov_b32 s3, -1
	s_mov_b32 s22, s35
                                        ; implicit-def: $vgpr3_vgpr4
	s_branch .LBB81_452
.LBB81_337:
	s_mov_b32 s3, -1
	s_mov_b32 s22, s35
                                        ; implicit-def: $vgpr3_vgpr4
	s_branch .LBB81_431
.LBB81_338:
	s_mov_b32 s3, -1
	s_mov_b32 s2, s34
	s_branch .LBB81_380
.LBB81_339:
	s_mov_b32 s3, -1
	s_mov_b32 s22, s35
                                        ; implicit-def: $vgpr3_vgpr4
	s_branch .LBB81_426
.LBB81_340:
	s_mov_b32 s3, -1
	s_mov_b32 s2, s34
	s_branch .LBB81_363
.LBB81_341:
	s_or_saveexec_b32 s34, s34
                                        ; implicit-def: $sgpr35
	s_delay_alu instid0(SALU_CYCLE_1)
	s_xor_b32 exec_lo, exec_lo, s34
	s_cbranch_execz .LBB81_104
.LBB81_342:
	v_add_f32_e64 v3, 0x46000000, |v2|
	s_and_not1_b32 s3, s3, exec_lo
	s_mov_b32 s35, 0
	s_delay_alu instid0(VALU_DEP_1) | instskip(NEXT) | instid1(VALU_DEP_1)
	v_and_b32_e32 v3, 0xff, v3
	v_cmp_ne_u32_e32 vcc_lo, 0, v3
	s_and_b32 s38, vcc_lo, exec_lo
	s_delay_alu instid0(SALU_CYCLE_1)
	s_or_b32 s3, s3, s38
	s_or_b32 exec_lo, exec_lo, s34
	v_mov_b32_e32 v7, s35
	s_and_saveexec_b32 s34, s3
	s_cbranch_execnz .LBB81_105
	s_branch .LBB81_106
.LBB81_343:
	s_mov_b32 s3, -1
	s_mov_b32 s22, s35
	s_branch .LBB81_348
.LBB81_344:
	s_mov_b32 s3, -1
	s_mov_b32 s2, s34
	s_branch .LBB81_359
.LBB81_345:
	s_or_saveexec_b32 s34, s34
                                        ; implicit-def: $sgpr35
	s_delay_alu instid0(SALU_CYCLE_1)
	s_xor_b32 exec_lo, exec_lo, s34
	s_cbranch_execz .LBB81_117
.LBB81_346:
	v_add_f32_e64 v3, 0x42800000, |v2|
	s_and_not1_b32 s3, s3, exec_lo
	s_mov_b32 s35, 0
	s_delay_alu instid0(VALU_DEP_1) | instskip(NEXT) | instid1(VALU_DEP_1)
	v_and_b32_e32 v3, 0xff, v3
	v_cmp_ne_u32_e32 vcc_lo, 0, v3
	s_and_b32 s38, vcc_lo, exec_lo
	s_delay_alu instid0(SALU_CYCLE_1)
	s_or_b32 s3, s3, s38
	s_or_b32 exec_lo, exec_lo, s34
	v_mov_b32_e32 v7, s35
	s_and_saveexec_b32 s34, s3
	s_cbranch_execnz .LBB81_118
	s_branch .LBB81_119
.LBB81_347:
	s_mov_b32 s22, -1
.LBB81_348:
                                        ; implicit-def: $vgpr3_vgpr4
.LBB81_349:
	s_and_b32 vcc_lo, exec_lo, s3
	s_cbranch_vccz .LBB81_425
; %bb.350:
	v_cmp_eq_u16_e32 vcc_lo, 44, v9
	s_cbranch_vccz .LBB81_424
; %bb.351:
	global_load_u8 v5, v[1:2], off
	s_mov_b32 s22, 0
	s_mov_b32 s2, -1
	s_waitcnt vmcnt(0)
	v_cmp_ne_u32_e32 vcc_lo, 0xff, v5
	v_lshlrev_b32_e32 v3, 23, v5
	s_delay_alu instid0(VALU_DEP_1) | instskip(NEXT) | instid1(VALU_DEP_1)
	v_cvt_f64_f32_e32 v[3:4], v3
	v_cndmask_b32_e32 v4, 0x7ff80000, v4, vcc_lo
	s_delay_alu instid0(VALU_DEP_2) | instskip(SKIP_1) | instid1(VALU_DEP_3)
	v_cndmask_b32_e32 v3, 0x20000000, v3, vcc_lo
	v_cmp_ne_u32_e32 vcc_lo, 0, v5
	v_cndmask_b32_e32 v4, 0x38000000, v4, vcc_lo
	s_delay_alu instid0(VALU_DEP_3)
	v_cndmask_b32_e32 v3, 0, v3, vcc_lo
	s_branch .LBB81_425
.LBB81_352:
	s_mov_b32 s3, -1
	s_mov_b32 s2, s34
.LBB81_353:
	s_and_b32 vcc_lo, exec_lo, s3
	s_cbranch_vccz .LBB81_358
; %bb.354:
	v_cmp_eq_u16_e32 vcc_lo, 44, v6
	s_mov_b32 s2, -1
	s_cbranch_vccz .LBB81_358
; %bb.355:
	v_cvt_f32_f64_e32 v2, v[0:1]
	v_mov_b32_e32 v3, 0xff
	s_mov_b32 s3, exec_lo
	s_delay_alu instid0(VALU_DEP_2) | instskip(NEXT) | instid1(VALU_DEP_1)
	v_bfe_u32 v7, v2, 23, 8
	v_cmpx_ne_u32_e32 0xff, v7
; %bb.356:
	v_and_b32_e32 v3, 0x400000, v2
	v_and_or_b32 v7, 0x3fffff, v2, v7
	v_lshrrev_b32_e32 v2, 23, v2
	s_delay_alu instid0(VALU_DEP_3) | instskip(NEXT) | instid1(VALU_DEP_3)
	v_cmp_ne_u32_e32 vcc_lo, 0, v3
	v_cmp_ne_u32_e64 s2, 0, v7
	s_delay_alu instid0(VALU_DEP_1) | instskip(NEXT) | instid1(SALU_CYCLE_1)
	s_and_b32 s2, vcc_lo, s2
	v_cndmask_b32_e64 v3, 0, 1, s2
	s_delay_alu instid0(VALU_DEP_1)
	v_add_nc_u32_e32 v3, v2, v3
; %bb.357:
	s_or_b32 exec_lo, exec_lo, s3
	s_mov_b32 s23, -1
	s_mov_b32 s2, 0
	global_store_b8 v[4:5], v3, off
.LBB81_358:
	s_mov_b32 s3, 0
.LBB81_359:
	s_delay_alu instid0(SALU_CYCLE_1)
	s_and_b32 vcc_lo, exec_lo, s3
	s_cbranch_vccz .LBB81_362
; %bb.360:
	v_cmp_eq_u16_e32 vcc_lo, 29, v6
	s_mov_b32 s2, -1
	s_cbranch_vccz .LBB81_362
; %bb.361:
	v_trunc_f64_e32 v[2:3], v[0:1]
	s_mov_b32 s23, -1
	s_mov_b32 s2, 0
	s_mov_b32 s3, 0
	s_delay_alu instid0(VALU_DEP_1) | instskip(NEXT) | instid1(VALU_DEP_1)
	v_ldexp_f64 v[11:12], v[2:3], 0xffffffe0
	v_floor_f64_e32 v[11:12], v[11:12]
	s_delay_alu instid0(VALU_DEP_1) | instskip(SKIP_1) | instid1(VALU_DEP_2)
	v_fma_f64 v[2:3], 0xc1f00000, v[11:12], v[2:3]
	v_cvt_u32_f64_e32 v12, v[11:12]
	v_cvt_u32_f64_e32 v11, v[2:3]
	global_store_b64 v[4:5], v[11:12], off
	s_branch .LBB81_363
.LBB81_362:
	s_mov_b32 s3, 0
.LBB81_363:
	s_delay_alu instid0(SALU_CYCLE_1)
	s_and_b32 vcc_lo, exec_lo, s3
	s_cbranch_vccz .LBB81_379
; %bb.364:
	v_cmp_gt_i16_e32 vcc_lo, 27, v6
	s_mov_b32 s3, -1
	s_cbranch_vccnz .LBB81_370
; %bb.365:
	v_cmp_lt_i16_e32 vcc_lo, 27, v6
	s_cbranch_vccz .LBB81_367
; %bb.366:
	v_cvt_u32_f64_e32 v2, v[0:1]
	s_mov_b32 s3, 0
	global_store_b32 v[4:5], v2, off
.LBB81_367:
	s_and_not1_b32 vcc_lo, exec_lo, s3
	s_cbranch_vccnz .LBB81_369
; %bb.368:
	v_cvt_u32_f64_e32 v2, v[0:1]
	global_store_b16 v[4:5], v2, off
.LBB81_369:
	s_mov_b32 s3, 0
.LBB81_370:
	s_delay_alu instid0(SALU_CYCLE_1)
	s_and_not1_b32 vcc_lo, exec_lo, s3
	s_cbranch_vccnz .LBB81_378
; %bb.371:
	v_cvt_f32_f64_e32 v2, v[0:1]
	v_mov_b32_e32 v7, 0x80
	s_mov_b32 s3, exec_lo
	s_delay_alu instid0(VALU_DEP_2) | instskip(NEXT) | instid1(VALU_DEP_1)
	v_and_b32_e32 v3, 0x7fffffff, v2
	v_cmpx_gt_u32_e32 0x43800000, v3
	s_cbranch_execz .LBB81_377
; %bb.372:
	v_cmp_lt_u32_e32 vcc_lo, 0x3bffffff, v3
	s_mov_b32 s23, 0
                                        ; implicit-def: $vgpr3
	s_and_saveexec_b32 s37, vcc_lo
	s_delay_alu instid0(SALU_CYCLE_1)
	s_xor_b32 s37, exec_lo, s37
	s_cbranch_execz .LBB81_563
; %bb.373:
	v_bfe_u32 v3, v2, 20, 1
	s_mov_b32 s23, exec_lo
	s_delay_alu instid0(VALU_DEP_1) | instskip(NEXT) | instid1(VALU_DEP_1)
	v_add3_u32 v3, v2, v3, 0x487ffff
	v_lshrrev_b32_e32 v3, 20, v3
	s_or_saveexec_b32 s37, s37
                                        ; implicit-def: $sgpr38
	s_delay_alu instid0(SALU_CYCLE_1)
	s_xor_b32 exec_lo, exec_lo, s37
	s_cbranch_execnz .LBB81_564
.LBB81_374:
	s_or_b32 exec_lo, exec_lo, s37
	v_mov_b32_e32 v7, s38
	s_and_saveexec_b32 s37, s23
.LBB81_375:
	v_lshrrev_b32_e32 v2, 24, v2
	s_delay_alu instid0(VALU_DEP_1)
	v_and_or_b32 v7, 0x80, v2, v3
.LBB81_376:
	s_or_b32 exec_lo, exec_lo, s37
.LBB81_377:
	s_delay_alu instid0(SALU_CYCLE_1)
	s_or_b32 exec_lo, exec_lo, s3
	global_store_b8 v[4:5], v7, off
.LBB81_378:
	s_mov_b32 s23, -1
.LBB81_379:
	s_mov_b32 s3, 0
.LBB81_380:
	s_delay_alu instid0(SALU_CYCLE_1)
	s_and_b32 vcc_lo, exec_lo, s3
	s_cbranch_vccz .LBB81_421
; %bb.381:
	v_cmp_lt_i16_e32 vcc_lo, 22, v6
	s_mov_b32 s3, -1
	s_cbranch_vccz .LBB81_413
; %bb.382:
	v_cmp_gt_i16_e32 vcc_lo, 24, v6
	s_cbranch_vccnz .LBB81_402
; %bb.383:
	v_cmp_lt_i16_e32 vcc_lo, 24, v6
	s_cbranch_vccz .LBB81_391
; %bb.384:
	v_cvt_f32_f64_e32 v2, v[0:1]
	v_mov_b32_e32 v7, 0x80
	s_mov_b32 s3, exec_lo
	s_delay_alu instid0(VALU_DEP_2) | instskip(NEXT) | instid1(VALU_DEP_1)
	v_and_b32_e32 v3, 0x7fffffff, v2
	v_cmpx_gt_u32_e32 0x47800000, v3
	s_cbranch_execz .LBB81_390
; %bb.385:
	v_cmp_lt_u32_e32 vcc_lo, 0x37ffffff, v3
	s_mov_b32 s23, 0
                                        ; implicit-def: $vgpr3
	s_and_saveexec_b32 s37, vcc_lo
	s_delay_alu instid0(SALU_CYCLE_1)
	s_xor_b32 s37, exec_lo, s37
	s_cbranch_execz .LBB81_566
; %bb.386:
	v_bfe_u32 v3, v2, 21, 1
	s_mov_b32 s23, exec_lo
	s_delay_alu instid0(VALU_DEP_1) | instskip(NEXT) | instid1(VALU_DEP_1)
	v_add3_u32 v3, v2, v3, 0x88fffff
	v_lshrrev_b32_e32 v3, 21, v3
	s_or_saveexec_b32 s37, s37
                                        ; implicit-def: $sgpr38
	s_delay_alu instid0(SALU_CYCLE_1)
	s_xor_b32 exec_lo, exec_lo, s37
	s_cbranch_execnz .LBB81_567
.LBB81_387:
	s_or_b32 exec_lo, exec_lo, s37
	v_mov_b32_e32 v7, s38
	s_and_saveexec_b32 s37, s23
.LBB81_388:
	v_lshrrev_b32_e32 v2, 24, v2
	s_delay_alu instid0(VALU_DEP_1)
	v_and_or_b32 v7, 0x80, v2, v3
.LBB81_389:
	s_or_b32 exec_lo, exec_lo, s37
.LBB81_390:
	s_delay_alu instid0(SALU_CYCLE_1)
	s_or_b32 exec_lo, exec_lo, s3
	s_mov_b32 s3, 0
	global_store_b8 v[4:5], v7, off
.LBB81_391:
	s_and_b32 vcc_lo, exec_lo, s3
	s_cbranch_vccz .LBB81_401
; %bb.392:
	v_cvt_f32_f64_e32 v2, v[0:1]
	s_mov_b32 s3, exec_lo
                                        ; implicit-def: $vgpr3
	s_delay_alu instid0(VALU_DEP_1) | instskip(NEXT) | instid1(VALU_DEP_1)
	v_and_b32_e32 v7, 0x7fffffff, v2
	v_cmpx_gt_u32_e32 0x43f00000, v7
	s_xor_b32 s3, exec_lo, s3
	s_cbranch_execz .LBB81_398
; %bb.393:
	s_mov_b32 s23, exec_lo
                                        ; implicit-def: $vgpr3
	v_cmpx_lt_u32_e32 0x3c7fffff, v7
	s_xor_b32 s23, exec_lo, s23
; %bb.394:
	v_bfe_u32 v3, v2, 20, 1
	s_delay_alu instid0(VALU_DEP_1) | instskip(NEXT) | instid1(VALU_DEP_1)
	v_add3_u32 v3, v2, v3, 0x407ffff
	v_and_b32_e32 v7, 0xff00000, v3
	v_lshrrev_b32_e32 v3, 20, v3
	s_delay_alu instid0(VALU_DEP_2) | instskip(NEXT) | instid1(VALU_DEP_2)
	v_cmp_ne_u32_e32 vcc_lo, 0x7f00000, v7
	v_cndmask_b32_e32 v3, 0x7e, v3, vcc_lo
; %bb.395:
	s_and_not1_saveexec_b32 s23, s23
; %bb.396:
	v_add_f32_e64 v3, 0x46800000, |v2|
; %bb.397:
	s_or_b32 exec_lo, exec_lo, s23
                                        ; implicit-def: $vgpr7
.LBB81_398:
	s_and_not1_saveexec_b32 s3, s3
; %bb.399:
	v_mov_b32_e32 v3, 0x7f
	v_cmp_lt_u32_e32 vcc_lo, 0x7f800000, v7
	s_delay_alu instid0(VALU_DEP_2)
	v_cndmask_b32_e32 v3, 0x7e, v3, vcc_lo
; %bb.400:
	s_or_b32 exec_lo, exec_lo, s3
	v_lshrrev_b32_e32 v2, 24, v2
	s_delay_alu instid0(VALU_DEP_1)
	v_and_or_b32 v2, 0x80, v2, v3
	global_store_b8 v[4:5], v2, off
.LBB81_401:
	s_mov_b32 s3, 0
.LBB81_402:
	s_delay_alu instid0(SALU_CYCLE_1)
	s_and_not1_b32 vcc_lo, exec_lo, s3
	s_cbranch_vccnz .LBB81_412
; %bb.403:
	v_cvt_f32_f64_e32 v2, v[0:1]
	s_mov_b32 s3, exec_lo
                                        ; implicit-def: $vgpr3
	s_delay_alu instid0(VALU_DEP_1) | instskip(NEXT) | instid1(VALU_DEP_1)
	v_and_b32_e32 v7, 0x7fffffff, v2
	v_cmpx_gt_u32_e32 0x47800000, v7
	s_xor_b32 s3, exec_lo, s3
	s_cbranch_execz .LBB81_409
; %bb.404:
	s_mov_b32 s23, exec_lo
                                        ; implicit-def: $vgpr3
	v_cmpx_lt_u32_e32 0x387fffff, v7
	s_xor_b32 s23, exec_lo, s23
; %bb.405:
	v_bfe_u32 v3, v2, 21, 1
	s_delay_alu instid0(VALU_DEP_1) | instskip(NEXT) | instid1(VALU_DEP_1)
	v_add3_u32 v3, v2, v3, 0x80fffff
	v_lshrrev_b32_e32 v3, 21, v3
; %bb.406:
	s_and_not1_saveexec_b32 s23, s23
; %bb.407:
	v_add_f32_e64 v3, 0x43000000, |v2|
; %bb.408:
	s_or_b32 exec_lo, exec_lo, s23
                                        ; implicit-def: $vgpr7
.LBB81_409:
	s_and_not1_saveexec_b32 s3, s3
; %bb.410:
	v_mov_b32_e32 v3, 0x7f
	v_cmp_lt_u32_e32 vcc_lo, 0x7f800000, v7
	s_delay_alu instid0(VALU_DEP_2)
	v_cndmask_b32_e32 v3, 0x7c, v3, vcc_lo
; %bb.411:
	s_or_b32 exec_lo, exec_lo, s3
	v_lshrrev_b32_e32 v2, 24, v2
	s_delay_alu instid0(VALU_DEP_1)
	v_and_or_b32 v2, 0x80, v2, v3
	global_store_b8 v[4:5], v2, off
.LBB81_412:
	s_mov_b32 s3, 0
	s_mov_b32 s23, -1
.LBB81_413:
	s_and_not1_b32 vcc_lo, exec_lo, s3
	s_cbranch_vccnz .LBB81_421
; %bb.414:
	v_cmp_lt_i16_e32 vcc_lo, 14, v6
	s_mov_b32 s3, -1
	s_cbranch_vccz .LBB81_418
; %bb.415:
	v_cmp_eq_u16_e32 vcc_lo, 15, v6
	s_mov_b32 s2, -1
	s_cbranch_vccz .LBB81_417
; %bb.416:
	v_cvt_f32_f64_e32 v2, v[0:1]
	s_mov_b32 s23, -1
	s_mov_b32 s2, 0
	s_delay_alu instid0(VALU_DEP_1) | instskip(SKIP_1) | instid1(VALU_DEP_2)
	v_bfe_u32 v3, v2, 16, 1
	v_cmp_o_f32_e32 vcc_lo, v2, v2
	v_add3_u32 v3, v2, v3, 0x7fff
	s_delay_alu instid0(VALU_DEP_1) | instskip(NEXT) | instid1(VALU_DEP_1)
	v_lshrrev_b32_e32 v3, 16, v3
	v_cndmask_b32_e32 v2, 0x7fc0, v3, vcc_lo
	global_store_b16 v[4:5], v2, off
.LBB81_417:
	s_mov_b32 s3, 0
.LBB81_418:
	s_delay_alu instid0(SALU_CYCLE_1)
	s_and_b32 vcc_lo, exec_lo, s3
	s_cbranch_vccz .LBB81_421
; %bb.419:
	v_cmp_eq_u16_e32 vcc_lo, 11, v6
	s_mov_b32 s2, -1
	s_cbranch_vccz .LBB81_421
; %bb.420:
	v_cmp_neq_f64_e32 vcc_lo, 0, v[0:1]
	s_mov_b32 s23, -1
	s_mov_b32 s2, 0
	v_cndmask_b32_e64 v2, 0, 1, vcc_lo
	global_store_b8 v[4:5], v2, off
.LBB81_421:
.LBB81_422:
	s_and_not1_b32 vcc_lo, exec_lo, s23
	s_cbranch_vccnz .LBB81_335
.LBB81_423:
	v_add_nc_u32_e32 v10, 0x80, v10
	s_mov_b32 s3, -1
	s_branch .LBB81_536
.LBB81_424:
	s_mov_b32 s22, -1
                                        ; implicit-def: $vgpr3_vgpr4
.LBB81_425:
	s_mov_b32 s3, 0
.LBB81_426:
	s_delay_alu instid0(SALU_CYCLE_1)
	s_and_b32 vcc_lo, exec_lo, s3
	s_cbranch_vccz .LBB81_430
; %bb.427:
	v_cmp_eq_u16_e32 vcc_lo, 29, v9
	s_cbranch_vccz .LBB81_429
; %bb.428:
	global_load_b64 v[3:4], v[1:2], off
	s_mov_b32 s2, -1
	s_mov_b32 s22, 0
	s_mov_b32 s3, 0
	s_waitcnt vmcnt(0)
	v_cvt_f64_u32_e32 v[4:5], v4
	v_cvt_f64_u32_e32 v[6:7], v3
	s_delay_alu instid0(VALU_DEP_2) | instskip(NEXT) | instid1(VALU_DEP_1)
	v_ldexp_f64 v[4:5], v[4:5], 32
	v_add_f64 v[3:4], v[4:5], v[6:7]
	s_branch .LBB81_431
.LBB81_429:
	s_mov_b32 s22, -1
                                        ; implicit-def: $vgpr3_vgpr4
.LBB81_430:
	s_mov_b32 s3, 0
.LBB81_431:
	s_delay_alu instid0(SALU_CYCLE_1)
	s_and_b32 vcc_lo, exec_lo, s3
	s_cbranch_vccz .LBB81_451
; %bb.432:
	v_cmp_gt_i16_e32 vcc_lo, 27, v9
	s_cbranch_vccnz .LBB81_435
; %bb.433:
	v_cmp_lt_i16_e32 vcc_lo, 27, v9
	s_cbranch_vccz .LBB81_436
; %bb.434:
	global_load_b32 v3, v[1:2], off
	s_mov_b32 s2, 0
	s_waitcnt vmcnt(0)
	v_cvt_f64_u32_e32 v[3:4], v3
	s_branch .LBB81_437
.LBB81_435:
	s_mov_b32 s2, -1
                                        ; implicit-def: $vgpr3_vgpr4
	s_branch .LBB81_440
.LBB81_436:
	s_mov_b32 s2, -1
                                        ; implicit-def: $vgpr3_vgpr4
.LBB81_437:
	s_delay_alu instid0(SALU_CYCLE_1)
	s_and_not1_b32 vcc_lo, exec_lo, s2
	s_cbranch_vccnz .LBB81_439
; %bb.438:
	global_load_u16 v3, v[1:2], off
	s_waitcnt vmcnt(0)
	v_cvt_f64_u32_e32 v[3:4], v3
.LBB81_439:
	s_mov_b32 s2, 0
.LBB81_440:
	s_delay_alu instid0(SALU_CYCLE_1)
	s_and_not1_b32 vcc_lo, exec_lo, s2
	s_cbranch_vccnz .LBB81_450
; %bb.441:
	global_load_u8 v5, v[1:2], off
	s_mov_b32 s23, 0
	s_mov_b32 s37, exec_lo
                                        ; implicit-def: $sgpr2_sgpr3
	s_waitcnt vmcnt(0)
	v_cmpx_lt_i16_e32 0x7f, v5
	s_xor_b32 s37, exec_lo, s37
	s_cbranch_execz .LBB81_445
; %bb.442:
	s_mov_b32 s38, -1
	s_mov_b32 s23, exec_lo
                                        ; implicit-def: $sgpr2_sgpr3
	v_cmpx_eq_u16_e32 0x80, v5
; %bb.443:
	s_mov_b32 s3, 0x7ff80000
	s_brev_b32 s2, 4
	s_xor_b32 s38, exec_lo, -1
; %bb.444:
	s_or_b32 exec_lo, exec_lo, s23
	s_delay_alu instid0(SALU_CYCLE_1)
	s_and_b32 s23, s38, exec_lo
.LBB81_445:
	s_or_saveexec_b32 s37, s37
	v_dual_mov_b32 v4, s3 :: v_dual_mov_b32 v3, s2
	s_xor_b32 exec_lo, exec_lo, s37
; %bb.446:
	v_cmp_ne_u16_e32 vcc_lo, 0, v5
	v_mov_b32_e32 v3, 0
	v_mov_b32_e32 v4, 0
	s_and_not1_b32 s2, s23, exec_lo
	s_and_b32 s3, vcc_lo, exec_lo
	s_delay_alu instid0(SALU_CYCLE_1)
	s_or_b32 s23, s2, s3
; %bb.447:
	s_or_b32 exec_lo, exec_lo, s37
	s_and_saveexec_b32 s2, s23
	s_cbranch_execz .LBB81_449
; %bb.448:
	v_and_b32_e32 v3, 0xffff, v5
	v_lshlrev_b32_e32 v5, 24, v5
	s_delay_alu instid0(VALU_DEP_2) | instskip(NEXT) | instid1(VALU_DEP_2)
	v_and_b32_e32 v4, 7, v3
	v_and_b32_e32 v5, 0x80000000, v5
	s_delay_alu instid0(VALU_DEP_2) | instskip(NEXT) | instid1(VALU_DEP_1)
	v_clz_i32_u32_e32 v6, v4
	v_min_u32_e32 v6, 32, v6
	s_delay_alu instid0(VALU_DEP_1) | instskip(SKIP_1) | instid1(VALU_DEP_2)
	v_subrev_nc_u32_e32 v7, 28, v6
	v_sub_nc_u32_e32 v6, 29, v6
	v_lshlrev_b32_e32 v7, v7, v3
	v_bfe_u32 v3, v3, 3, 4
	s_delay_alu instid0(VALU_DEP_2) | instskip(NEXT) | instid1(VALU_DEP_2)
	v_and_b32_e32 v7, 7, v7
	v_cmp_eq_u32_e32 vcc_lo, 0, v3
	s_delay_alu instid0(VALU_DEP_2) | instskip(NEXT) | instid1(VALU_DEP_1)
	v_dual_cndmask_b32 v3, v3, v6 :: v_dual_cndmask_b32 v4, v4, v7
	v_lshl_add_u32 v3, v3, 23, 0x3b800000
	s_delay_alu instid0(VALU_DEP_2) | instskip(NEXT) | instid1(VALU_DEP_1)
	v_lshlrev_b32_e32 v4, 20, v4
	v_or3_b32 v3, v5, v3, v4
	s_delay_alu instid0(VALU_DEP_1)
	v_cvt_f64_f32_e32 v[3:4], v3
.LBB81_449:
	s_or_b32 exec_lo, exec_lo, s2
.LBB81_450:
	s_mov_b32 s2, -1
.LBB81_451:
	s_mov_b32 s3, 0
.LBB81_452:
	s_delay_alu instid0(SALU_CYCLE_1)
	s_and_b32 vcc_lo, exec_lo, s3
	s_cbranch_vccz .LBB81_485
; %bb.453:
	v_cmp_lt_i16_e32 vcc_lo, 22, v9
	s_cbranch_vccz .LBB81_465
; %bb.454:
	v_cmp_gt_i16_e32 vcc_lo, 24, v9
	s_cbranch_vccnz .LBB81_466
; %bb.455:
	v_cmp_lt_i16_e32 vcc_lo, 24, v9
	s_cbranch_vccz .LBB81_467
; %bb.456:
	global_load_u8 v5, v[1:2], off
	s_mov_b32 s23, 0
	s_mov_b32 s37, exec_lo
                                        ; implicit-def: $sgpr2_sgpr3
	s_waitcnt vmcnt(0)
	v_cmpx_lt_i16_e32 0x7f, v5
	s_xor_b32 s37, exec_lo, s37
	s_cbranch_execz .LBB81_460
; %bb.457:
	s_mov_b32 s38, -1
	s_mov_b32 s23, exec_lo
                                        ; implicit-def: $sgpr2_sgpr3
	v_cmpx_eq_u16_e32 0x80, v5
; %bb.458:
	s_mov_b32 s3, 0x7ff80000
	s_brev_b32 s2, 4
	s_xor_b32 s38, exec_lo, -1
; %bb.459:
	s_or_b32 exec_lo, exec_lo, s23
	s_delay_alu instid0(SALU_CYCLE_1)
	s_and_b32 s23, s38, exec_lo
.LBB81_460:
	s_or_saveexec_b32 s37, s37
	v_dual_mov_b32 v4, s3 :: v_dual_mov_b32 v3, s2
	s_xor_b32 exec_lo, exec_lo, s37
; %bb.461:
	v_cmp_ne_u16_e32 vcc_lo, 0, v5
	v_mov_b32_e32 v3, 0
	v_mov_b32_e32 v4, 0
	s_and_not1_b32 s2, s23, exec_lo
	s_and_b32 s3, vcc_lo, exec_lo
	s_delay_alu instid0(SALU_CYCLE_1)
	s_or_b32 s23, s2, s3
; %bb.462:
	s_or_b32 exec_lo, exec_lo, s37
	s_and_saveexec_b32 s2, s23
	s_cbranch_execz .LBB81_464
; %bb.463:
	v_and_b32_e32 v3, 0xffff, v5
	v_lshlrev_b32_e32 v5, 24, v5
	s_delay_alu instid0(VALU_DEP_2) | instskip(NEXT) | instid1(VALU_DEP_2)
	v_and_b32_e32 v4, 3, v3
	v_and_b32_e32 v5, 0x80000000, v5
	s_delay_alu instid0(VALU_DEP_2) | instskip(NEXT) | instid1(VALU_DEP_1)
	v_clz_i32_u32_e32 v6, v4
	v_min_u32_e32 v6, 32, v6
	s_delay_alu instid0(VALU_DEP_1) | instskip(SKIP_1) | instid1(VALU_DEP_2)
	v_subrev_nc_u32_e32 v7, 29, v6
	v_sub_nc_u32_e32 v6, 30, v6
	v_lshlrev_b32_e32 v7, v7, v3
	v_bfe_u32 v3, v3, 2, 5
	s_delay_alu instid0(VALU_DEP_2) | instskip(NEXT) | instid1(VALU_DEP_2)
	v_and_b32_e32 v7, 3, v7
	v_cmp_eq_u32_e32 vcc_lo, 0, v3
	s_delay_alu instid0(VALU_DEP_2) | instskip(NEXT) | instid1(VALU_DEP_1)
	v_dual_cndmask_b32 v3, v3, v6 :: v_dual_cndmask_b32 v4, v4, v7
	v_lshl_add_u32 v3, v3, 23, 0x37800000
	s_delay_alu instid0(VALU_DEP_2) | instskip(NEXT) | instid1(VALU_DEP_1)
	v_lshlrev_b32_e32 v4, 21, v4
	v_or3_b32 v3, v5, v3, v4
	s_delay_alu instid0(VALU_DEP_1)
	v_cvt_f64_f32_e32 v[3:4], v3
.LBB81_464:
	s_or_b32 exec_lo, exec_lo, s2
	s_mov_b32 s2, 0
	s_branch .LBB81_468
.LBB81_465:
	s_mov_b32 s3, -1
                                        ; implicit-def: $vgpr3_vgpr4
	s_branch .LBB81_474
.LBB81_466:
	s_mov_b32 s2, -1
                                        ; implicit-def: $vgpr3_vgpr4
	s_branch .LBB81_471
.LBB81_467:
	s_mov_b32 s2, -1
                                        ; implicit-def: $vgpr3_vgpr4
.LBB81_468:
	s_delay_alu instid0(SALU_CYCLE_1)
	s_and_b32 vcc_lo, exec_lo, s2
	s_cbranch_vccz .LBB81_470
; %bb.469:
	global_load_u8 v3, v[1:2], off
	s_waitcnt vmcnt(0)
	v_lshlrev_b32_e32 v3, 24, v3
	s_delay_alu instid0(VALU_DEP_1) | instskip(NEXT) | instid1(VALU_DEP_1)
	v_and_b32_e32 v4, 0x7f000000, v3
	v_clz_i32_u32_e32 v5, v4
	v_add_nc_u32_e32 v7, 0x1000000, v4
	v_cmp_ne_u32_e32 vcc_lo, 0, v4
	s_delay_alu instid0(VALU_DEP_3) | instskip(NEXT) | instid1(VALU_DEP_1)
	v_min_u32_e32 v5, 32, v5
	v_sub_nc_u32_e64 v5, v5, 4 clamp
	s_delay_alu instid0(VALU_DEP_1) | instskip(SKIP_1) | instid1(VALU_DEP_2)
	v_lshlrev_b32_e32 v6, v5, v4
	v_lshlrev_b32_e32 v5, 23, v5
	v_lshrrev_b32_e32 v6, 4, v6
	s_delay_alu instid0(VALU_DEP_1) | instskip(SKIP_1) | instid1(VALU_DEP_2)
	v_sub_nc_u32_e32 v5, v6, v5
	v_ashrrev_i32_e32 v6, 8, v7
	v_add_nc_u32_e32 v5, 0x3c000000, v5
	s_delay_alu instid0(VALU_DEP_1) | instskip(NEXT) | instid1(VALU_DEP_1)
	v_and_or_b32 v5, 0x7f800000, v6, v5
	v_cndmask_b32_e32 v4, 0, v5, vcc_lo
	s_delay_alu instid0(VALU_DEP_1) | instskip(NEXT) | instid1(VALU_DEP_1)
	v_and_or_b32 v3, 0x80000000, v3, v4
	v_cvt_f64_f32_e32 v[3:4], v3
.LBB81_470:
	s_mov_b32 s2, 0
.LBB81_471:
	s_delay_alu instid0(SALU_CYCLE_1)
	s_and_not1_b32 vcc_lo, exec_lo, s2
	s_cbranch_vccnz .LBB81_473
; %bb.472:
	global_load_u8 v3, v[1:2], off
	s_waitcnt vmcnt(0)
	v_lshlrev_b32_e32 v4, 25, v3
	v_lshlrev_b16 v3, 8, v3
	s_delay_alu instid0(VALU_DEP_2) | instskip(NEXT) | instid1(VALU_DEP_2)
	v_lshrrev_b32_e32 v5, 4, v4
	v_and_or_b32 v6, 0x7f00, v3, 0.5
	v_bfe_i32 v3, v3, 0, 16
	s_delay_alu instid0(VALU_DEP_3) | instskip(NEXT) | instid1(VALU_DEP_1)
	v_or_b32_e32 v5, 0x70000000, v5
	v_dual_add_f32 v6, -0.5, v6 :: v_dual_mul_f32 v5, 0x7800000, v5
	v_cmp_gt_u32_e32 vcc_lo, 0x8000000, v4
	s_delay_alu instid0(VALU_DEP_2) | instskip(NEXT) | instid1(VALU_DEP_1)
	v_cndmask_b32_e32 v4, v5, v6, vcc_lo
	v_and_or_b32 v3, 0x80000000, v3, v4
	s_delay_alu instid0(VALU_DEP_1)
	v_cvt_f64_f32_e32 v[3:4], v3
.LBB81_473:
	s_mov_b32 s3, 0
	s_mov_b32 s2, -1
.LBB81_474:
	s_and_not1_b32 vcc_lo, exec_lo, s3
	s_cbranch_vccnz .LBB81_485
; %bb.475:
	v_cmp_lt_i16_e32 vcc_lo, 14, v9
	s_cbranch_vccz .LBB81_478
; %bb.476:
	v_cmp_eq_u16_e32 vcc_lo, 15, v9
	s_cbranch_vccz .LBB81_479
; %bb.477:
	global_load_u16 v3, v[1:2], off
	s_mov_b32 s2, -1
	s_mov_b32 s22, 0
	s_waitcnt vmcnt(0)
	v_lshlrev_b32_e32 v3, 16, v3
	s_delay_alu instid0(VALU_DEP_1)
	v_cvt_f64_f32_e32 v[3:4], v3
	s_branch .LBB81_480
.LBB81_478:
	s_mov_b32 s3, -1
                                        ; implicit-def: $vgpr3_vgpr4
	s_branch .LBB81_481
.LBB81_479:
	s_mov_b32 s22, -1
                                        ; implicit-def: $vgpr3_vgpr4
.LBB81_480:
	s_mov_b32 s3, 0
.LBB81_481:
	s_delay_alu instid0(SALU_CYCLE_1)
	s_and_b32 vcc_lo, exec_lo, s3
	s_cbranch_vccz .LBB81_485
; %bb.482:
	v_cmp_eq_u16_e32 vcc_lo, 11, v9
	s_cbranch_vccz .LBB81_484
; %bb.483:
	global_load_u8 v3, v[1:2], off
	s_mov_b32 s22, 0
	s_mov_b32 s2, -1
	s_waitcnt vmcnt(0)
	v_cmp_ne_u16_e32 vcc_lo, 0, v3
	v_mov_b32_e32 v3, 0
	v_cndmask_b32_e64 v4, 0, 0x3ff00000, vcc_lo
	s_branch .LBB81_485
.LBB81_484:
	s_mov_b32 s22, -1
                                        ; implicit-def: $vgpr3_vgpr4
.LBB81_485:
	s_branch .LBB81_288
.LBB81_486:
	v_cmp_gt_i16_e32 vcc_lo, 5, v9
	s_cbranch_vccnz .LBB81_491
; %bb.487:
	v_cmp_gt_i16_e32 vcc_lo, 8, v9
	s_cbranch_vccnz .LBB81_492
; %bb.488:
	;; [unrolled: 3-line block ×3, first 2 shown]
	v_cmp_lt_i16_e32 vcc_lo, 9, v9
	s_cbranch_vccz .LBB81_494
; %bb.490:
	global_load_b64 v[3:4], v[1:2], off
	s_mov_b32 s2, 0
	s_branch .LBB81_495
.LBB81_491:
	s_mov_b32 s2, -1
                                        ; implicit-def: $vgpr3_vgpr4
	s_branch .LBB81_513
.LBB81_492:
	s_mov_b32 s2, -1
                                        ; implicit-def: $vgpr3_vgpr4
	s_branch .LBB81_501
.LBB81_493:
	s_mov_b32 s2, -1
                                        ; implicit-def: $vgpr3_vgpr4
	s_branch .LBB81_498
.LBB81_494:
	s_mov_b32 s2, -1
                                        ; implicit-def: $vgpr3_vgpr4
.LBB81_495:
	s_delay_alu instid0(SALU_CYCLE_1)
	s_and_not1_b32 vcc_lo, exec_lo, s2
	s_cbranch_vccnz .LBB81_497
; %bb.496:
	global_load_b32 v3, v[1:2], off
	s_waitcnt vmcnt(0)
	v_cvt_f64_f32_e32 v[3:4], v3
.LBB81_497:
	s_mov_b32 s2, 0
.LBB81_498:
	s_delay_alu instid0(SALU_CYCLE_1)
	s_and_not1_b32 vcc_lo, exec_lo, s2
	s_cbranch_vccnz .LBB81_500
; %bb.499:
	global_load_b32 v3, v[1:2], off
	s_waitcnt vmcnt(0)
	v_cvt_f32_f16_e32 v3, v3
	s_delay_alu instid0(VALU_DEP_1)
	v_cvt_f64_f32_e32 v[3:4], v3
.LBB81_500:
	s_mov_b32 s2, 0
.LBB81_501:
	s_delay_alu instid0(SALU_CYCLE_1)
	s_and_not1_b32 vcc_lo, exec_lo, s2
	s_cbranch_vccnz .LBB81_512
; %bb.502:
	v_cmp_gt_i16_e32 vcc_lo, 6, v9
	s_cbranch_vccnz .LBB81_505
; %bb.503:
	v_cmp_lt_i16_e32 vcc_lo, 6, v9
	s_cbranch_vccz .LBB81_506
; %bb.504:
	global_load_b64 v[3:4], v[1:2], off
	s_mov_b32 s2, 0
	s_branch .LBB81_507
.LBB81_505:
	s_mov_b32 s2, -1
                                        ; implicit-def: $vgpr3_vgpr4
	s_branch .LBB81_510
.LBB81_506:
	s_mov_b32 s2, -1
                                        ; implicit-def: $vgpr3_vgpr4
.LBB81_507:
	s_delay_alu instid0(SALU_CYCLE_1)
	s_and_not1_b32 vcc_lo, exec_lo, s2
	s_cbranch_vccnz .LBB81_509
; %bb.508:
	global_load_b32 v3, v[1:2], off
	s_waitcnt vmcnt(0)
	v_cvt_f64_f32_e32 v[3:4], v3
.LBB81_509:
	s_mov_b32 s2, 0
.LBB81_510:
	s_delay_alu instid0(SALU_CYCLE_1)
	s_and_not1_b32 vcc_lo, exec_lo, s2
	s_cbranch_vccnz .LBB81_512
; %bb.511:
	global_load_u16 v3, v[1:2], off
	s_waitcnt vmcnt(0)
	v_cvt_f32_f16_e32 v3, v3
	s_delay_alu instid0(VALU_DEP_1)
	v_cvt_f64_f32_e32 v[3:4], v3
.LBB81_512:
	s_mov_b32 s2, 0
.LBB81_513:
	s_delay_alu instid0(SALU_CYCLE_1)
	s_and_not1_b32 vcc_lo, exec_lo, s2
	s_cbranch_vccnz .LBB81_533
; %bb.514:
	v_cmp_gt_i16_e32 vcc_lo, 2, v9
	s_cbranch_vccnz .LBB81_518
; %bb.515:
	v_cmp_gt_i16_e32 vcc_lo, 3, v9
	s_cbranch_vccnz .LBB81_519
; %bb.516:
	v_cmp_lt_i16_e32 vcc_lo, 3, v9
	s_cbranch_vccz .LBB81_520
; %bb.517:
	global_load_b64 v[3:4], v[1:2], off
	s_mov_b32 s2, 0
	s_waitcnt vmcnt(0)
	v_cvt_f64_i32_e32 v[4:5], v4
	v_cvt_f64_u32_e32 v[6:7], v3
	s_delay_alu instid0(VALU_DEP_2) | instskip(NEXT) | instid1(VALU_DEP_1)
	v_ldexp_f64 v[4:5], v[4:5], 32
	v_add_f64 v[3:4], v[4:5], v[6:7]
	s_branch .LBB81_521
.LBB81_518:
	s_mov_b32 s2, -1
                                        ; implicit-def: $vgpr3_vgpr4
	s_branch .LBB81_527
.LBB81_519:
	s_mov_b32 s2, -1
                                        ; implicit-def: $vgpr3_vgpr4
	s_branch .LBB81_524
.LBB81_520:
	s_mov_b32 s2, -1
                                        ; implicit-def: $vgpr3_vgpr4
.LBB81_521:
	s_delay_alu instid0(SALU_CYCLE_1)
	s_and_not1_b32 vcc_lo, exec_lo, s2
	s_cbranch_vccnz .LBB81_523
; %bb.522:
	global_load_b32 v3, v[1:2], off
	s_waitcnt vmcnt(0)
	v_cvt_f64_i32_e32 v[3:4], v3
.LBB81_523:
	s_mov_b32 s2, 0
.LBB81_524:
	s_delay_alu instid0(SALU_CYCLE_1)
	s_and_not1_b32 vcc_lo, exec_lo, s2
	s_cbranch_vccnz .LBB81_526
; %bb.525:
	global_load_i16 v3, v[1:2], off
	s_waitcnt vmcnt(0)
	v_cvt_f64_i32_e32 v[3:4], v3
.LBB81_526:
	s_mov_b32 s2, 0
.LBB81_527:
	s_delay_alu instid0(SALU_CYCLE_1)
	s_and_not1_b32 vcc_lo, exec_lo, s2
	s_cbranch_vccnz .LBB81_533
; %bb.528:
	v_cmp_lt_i16_e32 vcc_lo, 0, v9
	s_mov_b32 s2, 0
	s_cbranch_vccz .LBB81_530
; %bb.529:
	global_load_i8 v3, v[1:2], off
	s_waitcnt vmcnt(0)
	v_cvt_f64_i32_e32 v[3:4], v3
	s_branch .LBB81_531
.LBB81_530:
	s_mov_b32 s2, -1
                                        ; implicit-def: $vgpr3_vgpr4
.LBB81_531:
	s_delay_alu instid0(SALU_CYCLE_1)
	s_and_not1_b32 vcc_lo, exec_lo, s2
	s_cbranch_vccnz .LBB81_533
; %bb.532:
	global_load_u8 v1, v[1:2], off
	s_waitcnt vmcnt(0)
	v_cvt_f64_u32_e32 v[3:4], v1
.LBB81_533:
	s_branch .LBB81_289
.LBB81_534:
	s_mov_b32 s3, 0
	s_mov_b32 s2, s34
.LBB81_535:
                                        ; implicit-def: $vgpr10
.LBB81_536:
	s_and_not1_b32 s23, s34, exec_lo
	s_and_b32 s2, s2, exec_lo
	s_and_not1_b32 s37, s35, exec_lo
	s_and_b32 s22, s22, exec_lo
	s_or_b32 s38, s23, s2
	s_or_b32 s37, s37, s22
	s_or_not1_b32 s2, s3, exec_lo
.LBB81_537:
	s_or_b32 exec_lo, exec_lo, s39
	s_mov_b32 s3, 0
	s_mov_b32 s23, 0
	;; [unrolled: 1-line block ×3, first 2 shown]
                                        ; implicit-def: $vgpr0_vgpr1
                                        ; implicit-def: $vgpr2
                                        ; implicit-def: $vgpr6_vgpr7
	s_and_saveexec_b32 s39, s2
	s_cbranch_execz .LBB81_909
; %bb.538:
	s_mov_b32 s42, -1
	s_mov_b32 s22, s37
	s_mov_b32 s23, s38
	s_mov_b32 s40, exec_lo
	v_cmpx_gt_i32_e64 s30, v10
	s_cbranch_execz .LBB81_810
; %bb.539:
	s_and_not1_b32 vcc_lo, exec_lo, s27
	s_cbranch_vccnz .LBB81_544
; %bb.540:
	v_dual_mov_b32 v0, 0 :: v_dual_mov_b32 v1, 0
	s_and_not1_b32 vcc_lo, exec_lo, s33
	s_mov_b32 s41, 0
	s_cbranch_vccnz .LBB81_549
; %bb.541:
	v_mov_b32_e32 v0, 0
	s_add_i32 s43, s31, 1
	s_cmp_eq_u32 s25, 2
	s_mov_b32 s42, 0
	s_cbranch_scc1 .LBB81_545
; %bb.542:
	v_dual_mov_b32 v1, 0 :: v_dual_mov_b32 v0, 0
	v_mov_b32_e32 v2, v10
	s_and_b32 s42, s43, 28
	s_mov_b32 s44, 0
	s_mov_b64 s[2:3], s[20:21]
	s_mov_b64 s[22:23], s[16:17]
.LBB81_543:                             ; =>This Inner Loop Header: Depth=1
	s_clause 0x1
	s_load_b256 s[48:55], s[22:23], 0x4
	s_load_b128 s[64:67], s[22:23], 0x24
	s_load_b256 s[56:63], s[2:3], 0x0
	s_add_u32 s22, s22, 48
	s_addc_u32 s23, s23, 0
	s_add_i32 s44, s44, 4
	s_add_u32 s2, s2, 32
	s_addc_u32 s3, s3, 0
	s_cmp_eq_u32 s42, s44
	s_waitcnt vmcnt(0) lgkmcnt(0)
	v_mul_hi_u32 v3, s49, v2
	s_delay_alu instid0(VALU_DEP_1) | instskip(NEXT) | instid1(VALU_DEP_1)
	v_add_nc_u32_e32 v3, v2, v3
	v_lshrrev_b32_e32 v3, s50, v3
	s_delay_alu instid0(VALU_DEP_1) | instskip(SKIP_1) | instid1(VALU_DEP_2)
	v_mul_hi_u32 v4, s52, v3
	v_mul_lo_u32 v6, v3, s48
	v_add_nc_u32_e32 v4, v3, v4
	s_delay_alu instid0(VALU_DEP_2) | instskip(NEXT) | instid1(VALU_DEP_2)
	v_sub_nc_u32_e32 v2, v2, v6
	v_lshrrev_b32_e32 v4, s53, v4
	s_delay_alu instid0(VALU_DEP_2) | instskip(SKIP_1) | instid1(VALU_DEP_3)
	v_mul_lo_u32 v6, v2, s56
	v_mul_lo_u32 v11, v2, s57
	v_mul_hi_u32 v5, s55, v4
	s_delay_alu instid0(VALU_DEP_1) | instskip(NEXT) | instid1(VALU_DEP_1)
	v_add_nc_u32_e32 v5, v4, v5
	v_lshrrev_b32_e32 v5, s64, v5
	s_delay_alu instid0(VALU_DEP_1) | instskip(SKIP_1) | instid1(VALU_DEP_2)
	v_mul_hi_u32 v7, s66, v5
	v_mul_lo_u32 v12, v5, s54
	v_add_nc_u32_e32 v2, v5, v7
	v_mul_lo_u32 v7, v4, s51
	s_delay_alu instid0(VALU_DEP_3) | instskip(NEXT) | instid1(VALU_DEP_3)
	v_sub_nc_u32_e32 v4, v4, v12
	v_lshrrev_b32_e32 v2, s67, v2
	s_delay_alu instid0(VALU_DEP_2) | instskip(SKIP_2) | instid1(VALU_DEP_4)
	v_mul_lo_u32 v12, v4, s60
	v_mul_lo_u32 v4, v4, s61
	v_sub_nc_u32_e32 v3, v3, v7
	v_mul_lo_u32 v13, v2, s65
	s_delay_alu instid0(VALU_DEP_2) | instskip(SKIP_1) | instid1(VALU_DEP_3)
	v_mul_lo_u32 v7, v3, s58
	v_mul_lo_u32 v3, v3, s59
	v_sub_nc_u32_e32 v5, v5, v13
	s_delay_alu instid0(VALU_DEP_3) | instskip(NEXT) | instid1(VALU_DEP_2)
	v_add3_u32 v0, v6, v0, v7
	v_mul_lo_u32 v13, v5, s62
	v_mul_lo_u32 v5, v5, s63
	v_add3_u32 v1, v11, v1, v3
	s_delay_alu instid0(VALU_DEP_3) | instskip(NEXT) | instid1(VALU_DEP_2)
	v_add3_u32 v0, v12, v0, v13
	v_add3_u32 v1, v4, v1, v5
	s_cbranch_scc0 .LBB81_543
	s_branch .LBB81_546
.LBB81_544:
	s_mov_b32 s41, -1
                                        ; implicit-def: $vgpr0
                                        ; implicit-def: $vgpr1
	s_branch .LBB81_549
.LBB81_545:
	v_dual_mov_b32 v2, v10 :: v_dual_mov_b32 v1, 0
.LBB81_546:
	s_and_b32 s43, s43, 3
	s_delay_alu instid0(SALU_CYCLE_1)
	s_cmp_eq_u32 s43, 0
	s_cbranch_scc1 .LBB81_549
; %bb.547:
	s_lshl_b32 s2, s42, 3
	s_mul_i32 s22, s42, 12
	s_add_u32 s2, s2, s16
	s_addc_u32 s3, s17, 0
	s_add_u32 s2, s2, 0xc4
	s_addc_u32 s3, s3, 0
	s_add_u32 s22, s16, s22
	s_addc_u32 s23, s17, 0
	.p2align	6
.LBB81_548:                             ; =>This Inner Loop Header: Depth=1
	s_clause 0x1
	s_load_b64 s[44:45], s[22:23], 0x4
	s_load_b32 s42, s[22:23], 0xc
	s_load_b64 s[46:47], s[2:3], 0x0
	s_add_u32 s22, s22, 12
	s_addc_u32 s23, s23, 0
	s_add_u32 s2, s2, 8
	s_addc_u32 s3, s3, 0
	s_add_i32 s43, s43, -1
	s_delay_alu instid0(SALU_CYCLE_1) | instskip(SKIP_2) | instid1(VALU_DEP_1)
	s_cmp_lg_u32 s43, 0
	s_waitcnt vmcnt(0) lgkmcnt(0)
	v_mul_hi_u32 v3, s45, v2
	v_add_nc_u32_e32 v3, v2, v3
	s_delay_alu instid0(VALU_DEP_1) | instskip(NEXT) | instid1(VALU_DEP_1)
	v_lshrrev_b32_e32 v6, s42, v3
	v_mul_lo_u32 v3, v6, s44
	s_delay_alu instid0(VALU_DEP_1) | instskip(NEXT) | instid1(VALU_DEP_1)
	v_sub_nc_u32_e32 v2, v2, v3
	v_mad_u64_u32 v[3:4], null, v2, s46, v[0:1]
	v_mad_u64_u32 v[4:5], null, v2, s47, v[1:2]
	v_mov_b32_e32 v2, v6
	s_delay_alu instid0(VALU_DEP_2)
	v_dual_mov_b32 v0, v3 :: v_dual_mov_b32 v1, v4
	s_cbranch_scc1 .LBB81_548
.LBB81_549:
	s_and_not1_b32 vcc_lo, exec_lo, s41
	s_cbranch_vccnz .LBB81_552
; %bb.550:
	s_waitcnt lgkmcnt(0)
	v_mul_hi_u32 v0, s13, v10
	s_and_not1_b32 vcc_lo, exec_lo, s29
	s_delay_alu instid0(VALU_DEP_1) | instskip(NEXT) | instid1(VALU_DEP_1)
	v_add_nc_u32_e32 v0, v10, v0
	v_lshrrev_b32_e32 v2, s14, v0
	s_delay_alu instid0(VALU_DEP_1) | instskip(NEXT) | instid1(VALU_DEP_1)
	v_mul_lo_u32 v0, v2, s12
	v_sub_nc_u32_e32 v1, v10, v0
	s_delay_alu instid0(VALU_DEP_1)
	v_mul_lo_u32 v0, v1, s8
	v_mul_lo_u32 v1, v1, s9
	s_cbranch_vccnz .LBB81_552
; %bb.551:
	s_waitcnt vmcnt(0)
	v_mul_hi_u32 v3, s18, v2
	s_delay_alu instid0(VALU_DEP_1) | instskip(NEXT) | instid1(VALU_DEP_1)
	v_add_nc_u32_e32 v3, v2, v3
	v_lshrrev_b32_e32 v3, s19, v3
	s_delay_alu instid0(VALU_DEP_1) | instskip(NEXT) | instid1(VALU_DEP_1)
	v_mul_lo_u32 v3, v3, s15
	v_sub_nc_u32_e32 v5, v2, v3
	s_delay_alu instid0(VALU_DEP_1) | instskip(NEXT) | instid1(VALU_DEP_1)
	v_mad_u64_u32 v[2:3], null, v5, s10, v[0:1]
	v_mad_u64_u32 v[3:4], null, v5, s11, v[1:2]
	s_delay_alu instid0(VALU_DEP_1)
	v_dual_mov_b32 v0, v2 :: v_dual_mov_b32 v1, v3
.LBB81_552:
	v_cmp_gt_i16_e32 vcc_lo, 11, v9
	s_waitcnt lgkmcnt(0)
	s_delay_alu instid0(VALU_DEP_2) | instskip(NEXT) | instid1(VALU_DEP_1)
	v_add_co_u32 v1, s2, s6, v1
	v_add_co_ci_u32_e64 v2, null, s7, 0, s2
	s_mov_b32 s2, 0
	s_cbranch_vccnz .LBB81_559
; %bb.553:
	v_cmp_lt_i16_e32 vcc_lo, 25, v9
	s_cbranch_vccz .LBB81_560
; %bb.554:
	v_cmp_lt_i16_e32 vcc_lo, 28, v9
	s_cbranch_vccz .LBB81_561
	;; [unrolled: 3-line block ×4, first 2 shown]
; %bb.557:
	v_cmp_eq_u16_e32 vcc_lo, 46, v9
	s_mov_b32 s3, 0
	s_cbranch_vccz .LBB81_568
; %bb.558:
	global_load_b32 v3, v[1:2], off
	s_mov_b32 s2, -1
	s_mov_b32 s22, 0
	s_waitcnt vmcnt(0)
	v_lshlrev_b32_e32 v3, 16, v3
	s_delay_alu instid0(VALU_DEP_1)
	v_cvt_f64_f32_e32 v[3:4], v3
	s_branch .LBB81_570
.LBB81_559:
	s_mov_b32 s3, -1
	s_mov_b32 s22, s37
                                        ; implicit-def: $vgpr3_vgpr4
	s_branch .LBB81_635
.LBB81_560:
	s_mov_b32 s3, -1
	s_mov_b32 s22, s37
                                        ; implicit-def: $vgpr3_vgpr4
	s_branch .LBB81_601
.LBB81_561:
	s_mov_b32 s3, -1
	s_mov_b32 s22, s37
                                        ; implicit-def: $vgpr3_vgpr4
	s_branch .LBB81_580
.LBB81_562:
	s_mov_b32 s3, -1
	s_mov_b32 s22, s37
                                        ; implicit-def: $vgpr3_vgpr4
	s_branch .LBB81_575
.LBB81_563:
	s_or_saveexec_b32 s37, s37
                                        ; implicit-def: $sgpr38
	s_delay_alu instid0(SALU_CYCLE_1)
	s_xor_b32 exec_lo, exec_lo, s37
	s_cbranch_execz .LBB81_374
.LBB81_564:
	v_add_f32_e64 v3, 0x46000000, |v2|
	s_and_not1_b32 s23, s23, exec_lo
	s_mov_b32 s38, 0
	s_delay_alu instid0(VALU_DEP_1) | instskip(NEXT) | instid1(VALU_DEP_1)
	v_and_b32_e32 v3, 0xff, v3
	v_cmp_ne_u32_e32 vcc_lo, 0, v3
	s_and_b32 s40, vcc_lo, exec_lo
	s_delay_alu instid0(SALU_CYCLE_1)
	s_or_b32 s23, s23, s40
	s_or_b32 exec_lo, exec_lo, s37
	v_mov_b32_e32 v7, s38
	s_and_saveexec_b32 s37, s23
	s_cbranch_execnz .LBB81_375
	s_branch .LBB81_376
.LBB81_565:
	s_mov_b32 s3, -1
	s_mov_b32 s22, s37
	s_branch .LBB81_569
.LBB81_566:
	s_or_saveexec_b32 s37, s37
                                        ; implicit-def: $sgpr38
	s_delay_alu instid0(SALU_CYCLE_1)
	s_xor_b32 exec_lo, exec_lo, s37
	s_cbranch_execz .LBB81_387
.LBB81_567:
	v_add_f32_e64 v3, 0x42800000, |v2|
	s_and_not1_b32 s23, s23, exec_lo
	s_mov_b32 s38, 0
	s_delay_alu instid0(VALU_DEP_1) | instskip(NEXT) | instid1(VALU_DEP_1)
	v_and_b32_e32 v3, 0xff, v3
	v_cmp_ne_u32_e32 vcc_lo, 0, v3
	s_and_b32 s40, vcc_lo, exec_lo
	s_delay_alu instid0(SALU_CYCLE_1)
	s_or_b32 s23, s23, s40
	s_or_b32 exec_lo, exec_lo, s37
	v_mov_b32_e32 v7, s38
	s_and_saveexec_b32 s37, s23
	s_cbranch_execnz .LBB81_388
	s_branch .LBB81_389
.LBB81_568:
	s_mov_b32 s22, -1
.LBB81_569:
                                        ; implicit-def: $vgpr3_vgpr4
.LBB81_570:
	s_and_b32 vcc_lo, exec_lo, s3
	s_cbranch_vccz .LBB81_574
; %bb.571:
	v_cmp_eq_u16_e32 vcc_lo, 44, v9
	s_cbranch_vccz .LBB81_573
; %bb.572:
	global_load_u8 v5, v[1:2], off
	s_mov_b32 s22, 0
	s_mov_b32 s2, -1
	s_waitcnt vmcnt(0)
	v_cmp_ne_u32_e32 vcc_lo, 0xff, v5
	v_lshlrev_b32_e32 v3, 23, v5
	s_delay_alu instid0(VALU_DEP_1) | instskip(NEXT) | instid1(VALU_DEP_1)
	v_cvt_f64_f32_e32 v[3:4], v3
	v_cndmask_b32_e32 v4, 0x7ff80000, v4, vcc_lo
	s_delay_alu instid0(VALU_DEP_2) | instskip(SKIP_1) | instid1(VALU_DEP_3)
	v_cndmask_b32_e32 v3, 0x20000000, v3, vcc_lo
	v_cmp_ne_u32_e32 vcc_lo, 0, v5
	v_cndmask_b32_e32 v4, 0x38000000, v4, vcc_lo
	s_delay_alu instid0(VALU_DEP_3)
	v_cndmask_b32_e32 v3, 0, v3, vcc_lo
	s_branch .LBB81_574
.LBB81_573:
	s_mov_b32 s22, -1
                                        ; implicit-def: $vgpr3_vgpr4
.LBB81_574:
	s_mov_b32 s3, 0
.LBB81_575:
	s_delay_alu instid0(SALU_CYCLE_1)
	s_and_b32 vcc_lo, exec_lo, s3
	s_cbranch_vccz .LBB81_579
; %bb.576:
	v_cmp_eq_u16_e32 vcc_lo, 29, v9
	s_cbranch_vccz .LBB81_578
; %bb.577:
	global_load_b64 v[3:4], v[1:2], off
	s_mov_b32 s2, -1
	s_mov_b32 s22, 0
	s_mov_b32 s3, 0
	s_waitcnt vmcnt(0)
	v_cvt_f64_u32_e32 v[4:5], v4
	v_cvt_f64_u32_e32 v[6:7], v3
	s_delay_alu instid0(VALU_DEP_2) | instskip(NEXT) | instid1(VALU_DEP_1)
	v_ldexp_f64 v[4:5], v[4:5], 32
	v_add_f64 v[3:4], v[4:5], v[6:7]
	s_branch .LBB81_580
.LBB81_578:
	s_mov_b32 s22, -1
                                        ; implicit-def: $vgpr3_vgpr4
.LBB81_579:
	s_mov_b32 s3, 0
.LBB81_580:
	s_delay_alu instid0(SALU_CYCLE_1)
	s_and_b32 vcc_lo, exec_lo, s3
	s_cbranch_vccz .LBB81_600
; %bb.581:
	v_cmp_gt_i16_e32 vcc_lo, 27, v9
	s_cbranch_vccnz .LBB81_584
; %bb.582:
	v_cmp_lt_i16_e32 vcc_lo, 27, v9
	s_cbranch_vccz .LBB81_585
; %bb.583:
	global_load_b32 v3, v[1:2], off
	s_mov_b32 s2, 0
	s_waitcnt vmcnt(0)
	v_cvt_f64_u32_e32 v[3:4], v3
	s_branch .LBB81_586
.LBB81_584:
	s_mov_b32 s2, -1
                                        ; implicit-def: $vgpr3_vgpr4
	s_branch .LBB81_589
.LBB81_585:
	s_mov_b32 s2, -1
                                        ; implicit-def: $vgpr3_vgpr4
.LBB81_586:
	s_delay_alu instid0(SALU_CYCLE_1)
	s_and_not1_b32 vcc_lo, exec_lo, s2
	s_cbranch_vccnz .LBB81_588
; %bb.587:
	global_load_u16 v3, v[1:2], off
	s_waitcnt vmcnt(0)
	v_cvt_f64_u32_e32 v[3:4], v3
.LBB81_588:
	s_mov_b32 s2, 0
.LBB81_589:
	s_delay_alu instid0(SALU_CYCLE_1)
	s_and_not1_b32 vcc_lo, exec_lo, s2
	s_cbranch_vccnz .LBB81_599
; %bb.590:
	global_load_u8 v5, v[1:2], off
	s_mov_b32 s23, 0
	s_mov_b32 s41, exec_lo
                                        ; implicit-def: $sgpr2_sgpr3
	s_waitcnt vmcnt(0)
	v_cmpx_lt_i16_e32 0x7f, v5
	s_xor_b32 s41, exec_lo, s41
	s_cbranch_execz .LBB81_594
; %bb.591:
	s_mov_b32 s42, -1
	s_mov_b32 s23, exec_lo
                                        ; implicit-def: $sgpr2_sgpr3
	v_cmpx_eq_u16_e32 0x80, v5
; %bb.592:
	s_mov_b32 s3, 0x7ff80000
	s_brev_b32 s2, 4
	s_xor_b32 s42, exec_lo, -1
; %bb.593:
	s_or_b32 exec_lo, exec_lo, s23
	s_delay_alu instid0(SALU_CYCLE_1)
	s_and_b32 s23, s42, exec_lo
.LBB81_594:
	s_or_saveexec_b32 s41, s41
	v_dual_mov_b32 v4, s3 :: v_dual_mov_b32 v3, s2
	s_xor_b32 exec_lo, exec_lo, s41
; %bb.595:
	v_cmp_ne_u16_e32 vcc_lo, 0, v5
	v_mov_b32_e32 v3, 0
	v_mov_b32_e32 v4, 0
	s_and_not1_b32 s2, s23, exec_lo
	s_and_b32 s3, vcc_lo, exec_lo
	s_delay_alu instid0(SALU_CYCLE_1)
	s_or_b32 s23, s2, s3
; %bb.596:
	s_or_b32 exec_lo, exec_lo, s41
	s_and_saveexec_b32 s2, s23
	s_cbranch_execz .LBB81_598
; %bb.597:
	v_and_b32_e32 v3, 0xffff, v5
	v_lshlrev_b32_e32 v5, 24, v5
	s_delay_alu instid0(VALU_DEP_2) | instskip(NEXT) | instid1(VALU_DEP_2)
	v_and_b32_e32 v4, 7, v3
	v_and_b32_e32 v5, 0x80000000, v5
	s_delay_alu instid0(VALU_DEP_2) | instskip(NEXT) | instid1(VALU_DEP_1)
	v_clz_i32_u32_e32 v6, v4
	v_min_u32_e32 v6, 32, v6
	s_delay_alu instid0(VALU_DEP_1) | instskip(SKIP_1) | instid1(VALU_DEP_2)
	v_subrev_nc_u32_e32 v7, 28, v6
	v_sub_nc_u32_e32 v6, 29, v6
	v_lshlrev_b32_e32 v7, v7, v3
	v_bfe_u32 v3, v3, 3, 4
	s_delay_alu instid0(VALU_DEP_2) | instskip(NEXT) | instid1(VALU_DEP_2)
	v_and_b32_e32 v7, 7, v7
	v_cmp_eq_u32_e32 vcc_lo, 0, v3
	s_delay_alu instid0(VALU_DEP_2) | instskip(NEXT) | instid1(VALU_DEP_1)
	v_dual_cndmask_b32 v3, v3, v6 :: v_dual_cndmask_b32 v4, v4, v7
	v_lshl_add_u32 v3, v3, 23, 0x3b800000
	s_delay_alu instid0(VALU_DEP_2) | instskip(NEXT) | instid1(VALU_DEP_1)
	v_lshlrev_b32_e32 v4, 20, v4
	v_or3_b32 v3, v5, v3, v4
	s_delay_alu instid0(VALU_DEP_1)
	v_cvt_f64_f32_e32 v[3:4], v3
.LBB81_598:
	s_or_b32 exec_lo, exec_lo, s2
.LBB81_599:
	s_mov_b32 s2, -1
.LBB81_600:
	s_mov_b32 s3, 0
.LBB81_601:
	s_delay_alu instid0(SALU_CYCLE_1)
	s_and_b32 vcc_lo, exec_lo, s3
	s_cbranch_vccz .LBB81_634
; %bb.602:
	v_cmp_lt_i16_e32 vcc_lo, 22, v9
	s_cbranch_vccz .LBB81_614
; %bb.603:
	v_cmp_gt_i16_e32 vcc_lo, 24, v9
	s_cbranch_vccnz .LBB81_615
; %bb.604:
	v_cmp_lt_i16_e32 vcc_lo, 24, v9
	s_cbranch_vccz .LBB81_616
; %bb.605:
	global_load_u8 v5, v[1:2], off
	s_mov_b32 s23, 0
	s_mov_b32 s41, exec_lo
                                        ; implicit-def: $sgpr2_sgpr3
	s_waitcnt vmcnt(0)
	v_cmpx_lt_i16_e32 0x7f, v5
	s_xor_b32 s41, exec_lo, s41
	s_cbranch_execz .LBB81_609
; %bb.606:
	s_mov_b32 s42, -1
	s_mov_b32 s23, exec_lo
                                        ; implicit-def: $sgpr2_sgpr3
	v_cmpx_eq_u16_e32 0x80, v5
; %bb.607:
	s_mov_b32 s3, 0x7ff80000
	s_brev_b32 s2, 4
	s_xor_b32 s42, exec_lo, -1
; %bb.608:
	s_or_b32 exec_lo, exec_lo, s23
	s_delay_alu instid0(SALU_CYCLE_1)
	s_and_b32 s23, s42, exec_lo
.LBB81_609:
	s_or_saveexec_b32 s41, s41
	v_dual_mov_b32 v4, s3 :: v_dual_mov_b32 v3, s2
	s_xor_b32 exec_lo, exec_lo, s41
; %bb.610:
	v_cmp_ne_u16_e32 vcc_lo, 0, v5
	v_mov_b32_e32 v3, 0
	v_mov_b32_e32 v4, 0
	s_and_not1_b32 s2, s23, exec_lo
	s_and_b32 s3, vcc_lo, exec_lo
	s_delay_alu instid0(SALU_CYCLE_1)
	s_or_b32 s23, s2, s3
; %bb.611:
	s_or_b32 exec_lo, exec_lo, s41
	s_and_saveexec_b32 s2, s23
	s_cbranch_execz .LBB81_613
; %bb.612:
	v_and_b32_e32 v3, 0xffff, v5
	v_lshlrev_b32_e32 v5, 24, v5
	s_delay_alu instid0(VALU_DEP_2) | instskip(NEXT) | instid1(VALU_DEP_2)
	v_and_b32_e32 v4, 3, v3
	v_and_b32_e32 v5, 0x80000000, v5
	s_delay_alu instid0(VALU_DEP_2) | instskip(NEXT) | instid1(VALU_DEP_1)
	v_clz_i32_u32_e32 v6, v4
	v_min_u32_e32 v6, 32, v6
	s_delay_alu instid0(VALU_DEP_1) | instskip(SKIP_1) | instid1(VALU_DEP_2)
	v_subrev_nc_u32_e32 v7, 29, v6
	v_sub_nc_u32_e32 v6, 30, v6
	v_lshlrev_b32_e32 v7, v7, v3
	v_bfe_u32 v3, v3, 2, 5
	s_delay_alu instid0(VALU_DEP_2) | instskip(NEXT) | instid1(VALU_DEP_2)
	v_and_b32_e32 v7, 3, v7
	v_cmp_eq_u32_e32 vcc_lo, 0, v3
	s_delay_alu instid0(VALU_DEP_2) | instskip(NEXT) | instid1(VALU_DEP_1)
	v_dual_cndmask_b32 v3, v3, v6 :: v_dual_cndmask_b32 v4, v4, v7
	v_lshl_add_u32 v3, v3, 23, 0x37800000
	s_delay_alu instid0(VALU_DEP_2) | instskip(NEXT) | instid1(VALU_DEP_1)
	v_lshlrev_b32_e32 v4, 21, v4
	v_or3_b32 v3, v5, v3, v4
	s_delay_alu instid0(VALU_DEP_1)
	v_cvt_f64_f32_e32 v[3:4], v3
.LBB81_613:
	s_or_b32 exec_lo, exec_lo, s2
	s_mov_b32 s2, 0
	s_branch .LBB81_617
.LBB81_614:
	s_mov_b32 s3, -1
                                        ; implicit-def: $vgpr3_vgpr4
	s_branch .LBB81_623
.LBB81_615:
	s_mov_b32 s2, -1
                                        ; implicit-def: $vgpr3_vgpr4
	s_branch .LBB81_620
.LBB81_616:
	s_mov_b32 s2, -1
                                        ; implicit-def: $vgpr3_vgpr4
.LBB81_617:
	s_delay_alu instid0(SALU_CYCLE_1)
	s_and_b32 vcc_lo, exec_lo, s2
	s_cbranch_vccz .LBB81_619
; %bb.618:
	global_load_u8 v3, v[1:2], off
	s_waitcnt vmcnt(0)
	v_lshlrev_b32_e32 v3, 24, v3
	s_delay_alu instid0(VALU_DEP_1) | instskip(NEXT) | instid1(VALU_DEP_1)
	v_and_b32_e32 v4, 0x7f000000, v3
	v_clz_i32_u32_e32 v5, v4
	v_add_nc_u32_e32 v7, 0x1000000, v4
	v_cmp_ne_u32_e32 vcc_lo, 0, v4
	s_delay_alu instid0(VALU_DEP_3) | instskip(NEXT) | instid1(VALU_DEP_1)
	v_min_u32_e32 v5, 32, v5
	v_sub_nc_u32_e64 v5, v5, 4 clamp
	s_delay_alu instid0(VALU_DEP_1) | instskip(SKIP_1) | instid1(VALU_DEP_2)
	v_lshlrev_b32_e32 v6, v5, v4
	v_lshlrev_b32_e32 v5, 23, v5
	v_lshrrev_b32_e32 v6, 4, v6
	s_delay_alu instid0(VALU_DEP_1) | instskip(SKIP_1) | instid1(VALU_DEP_2)
	v_sub_nc_u32_e32 v5, v6, v5
	v_ashrrev_i32_e32 v6, 8, v7
	v_add_nc_u32_e32 v5, 0x3c000000, v5
	s_delay_alu instid0(VALU_DEP_1) | instskip(NEXT) | instid1(VALU_DEP_1)
	v_and_or_b32 v5, 0x7f800000, v6, v5
	v_cndmask_b32_e32 v4, 0, v5, vcc_lo
	s_delay_alu instid0(VALU_DEP_1) | instskip(NEXT) | instid1(VALU_DEP_1)
	v_and_or_b32 v3, 0x80000000, v3, v4
	v_cvt_f64_f32_e32 v[3:4], v3
.LBB81_619:
	s_mov_b32 s2, 0
.LBB81_620:
	s_delay_alu instid0(SALU_CYCLE_1)
	s_and_not1_b32 vcc_lo, exec_lo, s2
	s_cbranch_vccnz .LBB81_622
; %bb.621:
	global_load_u8 v3, v[1:2], off
	s_waitcnt vmcnt(0)
	v_lshlrev_b32_e32 v4, 25, v3
	v_lshlrev_b16 v3, 8, v3
	s_delay_alu instid0(VALU_DEP_2) | instskip(NEXT) | instid1(VALU_DEP_2)
	v_lshrrev_b32_e32 v5, 4, v4
	v_and_or_b32 v6, 0x7f00, v3, 0.5
	v_bfe_i32 v3, v3, 0, 16
	s_delay_alu instid0(VALU_DEP_3) | instskip(NEXT) | instid1(VALU_DEP_1)
	v_or_b32_e32 v5, 0x70000000, v5
	v_dual_add_f32 v6, -0.5, v6 :: v_dual_mul_f32 v5, 0x7800000, v5
	v_cmp_gt_u32_e32 vcc_lo, 0x8000000, v4
	s_delay_alu instid0(VALU_DEP_2) | instskip(NEXT) | instid1(VALU_DEP_1)
	v_cndmask_b32_e32 v4, v5, v6, vcc_lo
	v_and_or_b32 v3, 0x80000000, v3, v4
	s_delay_alu instid0(VALU_DEP_1)
	v_cvt_f64_f32_e32 v[3:4], v3
.LBB81_622:
	s_mov_b32 s3, 0
	s_mov_b32 s2, -1
.LBB81_623:
	s_and_not1_b32 vcc_lo, exec_lo, s3
	s_cbranch_vccnz .LBB81_634
; %bb.624:
	v_cmp_lt_i16_e32 vcc_lo, 14, v9
	s_cbranch_vccz .LBB81_627
; %bb.625:
	v_cmp_eq_u16_e32 vcc_lo, 15, v9
	s_cbranch_vccz .LBB81_628
; %bb.626:
	global_load_u16 v3, v[1:2], off
	s_mov_b32 s2, -1
	s_mov_b32 s22, 0
	s_waitcnt vmcnt(0)
	v_lshlrev_b32_e32 v3, 16, v3
	s_delay_alu instid0(VALU_DEP_1)
	v_cvt_f64_f32_e32 v[3:4], v3
	s_branch .LBB81_629
.LBB81_627:
	s_mov_b32 s3, -1
                                        ; implicit-def: $vgpr3_vgpr4
	s_branch .LBB81_630
.LBB81_628:
	s_mov_b32 s22, -1
                                        ; implicit-def: $vgpr3_vgpr4
.LBB81_629:
	s_mov_b32 s3, 0
.LBB81_630:
	s_delay_alu instid0(SALU_CYCLE_1)
	s_and_b32 vcc_lo, exec_lo, s3
	s_cbranch_vccz .LBB81_634
; %bb.631:
	v_cmp_eq_u16_e32 vcc_lo, 11, v9
	s_cbranch_vccz .LBB81_633
; %bb.632:
	global_load_u8 v3, v[1:2], off
	s_mov_b32 s22, 0
	s_mov_b32 s2, -1
	s_waitcnt vmcnt(0)
	v_cmp_ne_u16_e32 vcc_lo, 0, v3
	v_mov_b32_e32 v3, 0
	v_cndmask_b32_e64 v4, 0, 0x3ff00000, vcc_lo
	s_branch .LBB81_634
.LBB81_633:
	s_mov_b32 s22, -1
                                        ; implicit-def: $vgpr3_vgpr4
.LBB81_634:
	s_mov_b32 s3, 0
.LBB81_635:
	s_delay_alu instid0(SALU_CYCLE_1)
	s_and_b32 vcc_lo, exec_lo, s3
	s_cbranch_vccz .LBB81_684
; %bb.636:
	v_cmp_gt_i16_e32 vcc_lo, 5, v9
	s_cbranch_vccnz .LBB81_641
; %bb.637:
	v_cmp_gt_i16_e32 vcc_lo, 8, v9
	s_cbranch_vccnz .LBB81_642
	;; [unrolled: 3-line block ×3, first 2 shown]
; %bb.639:
	v_cmp_lt_i16_e32 vcc_lo, 9, v9
	s_cbranch_vccz .LBB81_644
; %bb.640:
	global_load_b64 v[3:4], v[1:2], off
	s_mov_b32 s2, 0
	s_branch .LBB81_645
.LBB81_641:
	s_mov_b32 s2, -1
                                        ; implicit-def: $vgpr3_vgpr4
	s_branch .LBB81_663
.LBB81_642:
	s_mov_b32 s2, -1
                                        ; implicit-def: $vgpr3_vgpr4
	s_branch .LBB81_651
.LBB81_643:
	s_mov_b32 s2, -1
                                        ; implicit-def: $vgpr3_vgpr4
	s_branch .LBB81_648
.LBB81_644:
	s_mov_b32 s2, -1
                                        ; implicit-def: $vgpr3_vgpr4
.LBB81_645:
	s_delay_alu instid0(SALU_CYCLE_1)
	s_and_not1_b32 vcc_lo, exec_lo, s2
	s_cbranch_vccnz .LBB81_647
; %bb.646:
	global_load_b32 v3, v[1:2], off
	s_waitcnt vmcnt(0)
	v_cvt_f64_f32_e32 v[3:4], v3
.LBB81_647:
	s_mov_b32 s2, 0
.LBB81_648:
	s_delay_alu instid0(SALU_CYCLE_1)
	s_and_not1_b32 vcc_lo, exec_lo, s2
	s_cbranch_vccnz .LBB81_650
; %bb.649:
	global_load_b32 v3, v[1:2], off
	s_waitcnt vmcnt(0)
	v_cvt_f32_f16_e32 v3, v3
	s_delay_alu instid0(VALU_DEP_1)
	v_cvt_f64_f32_e32 v[3:4], v3
.LBB81_650:
	s_mov_b32 s2, 0
.LBB81_651:
	s_delay_alu instid0(SALU_CYCLE_1)
	s_and_not1_b32 vcc_lo, exec_lo, s2
	s_cbranch_vccnz .LBB81_662
; %bb.652:
	v_cmp_gt_i16_e32 vcc_lo, 6, v9
	s_cbranch_vccnz .LBB81_655
; %bb.653:
	v_cmp_lt_i16_e32 vcc_lo, 6, v9
	s_cbranch_vccz .LBB81_656
; %bb.654:
	global_load_b64 v[3:4], v[1:2], off
	s_mov_b32 s2, 0
	s_branch .LBB81_657
.LBB81_655:
	s_mov_b32 s2, -1
                                        ; implicit-def: $vgpr3_vgpr4
	s_branch .LBB81_660
.LBB81_656:
	s_mov_b32 s2, -1
                                        ; implicit-def: $vgpr3_vgpr4
.LBB81_657:
	s_delay_alu instid0(SALU_CYCLE_1)
	s_and_not1_b32 vcc_lo, exec_lo, s2
	s_cbranch_vccnz .LBB81_659
; %bb.658:
	global_load_b32 v3, v[1:2], off
	s_waitcnt vmcnt(0)
	v_cvt_f64_f32_e32 v[3:4], v3
.LBB81_659:
	s_mov_b32 s2, 0
.LBB81_660:
	s_delay_alu instid0(SALU_CYCLE_1)
	s_and_not1_b32 vcc_lo, exec_lo, s2
	s_cbranch_vccnz .LBB81_662
; %bb.661:
	global_load_u16 v3, v[1:2], off
	s_waitcnt vmcnt(0)
	v_cvt_f32_f16_e32 v3, v3
	s_delay_alu instid0(VALU_DEP_1)
	v_cvt_f64_f32_e32 v[3:4], v3
.LBB81_662:
	s_mov_b32 s2, 0
.LBB81_663:
	s_delay_alu instid0(SALU_CYCLE_1)
	s_and_not1_b32 vcc_lo, exec_lo, s2
	s_cbranch_vccnz .LBB81_683
; %bb.664:
	v_cmp_gt_i16_e32 vcc_lo, 2, v9
	s_cbranch_vccnz .LBB81_668
; %bb.665:
	v_cmp_gt_i16_e32 vcc_lo, 3, v9
	s_cbranch_vccnz .LBB81_669
; %bb.666:
	v_cmp_lt_i16_e32 vcc_lo, 3, v9
	s_cbranch_vccz .LBB81_670
; %bb.667:
	global_load_b64 v[3:4], v[1:2], off
	s_mov_b32 s2, 0
	s_waitcnt vmcnt(0)
	v_cvt_f64_i32_e32 v[4:5], v4
	v_cvt_f64_u32_e32 v[6:7], v3
	s_delay_alu instid0(VALU_DEP_2) | instskip(NEXT) | instid1(VALU_DEP_1)
	v_ldexp_f64 v[4:5], v[4:5], 32
	v_add_f64 v[3:4], v[4:5], v[6:7]
	s_branch .LBB81_671
.LBB81_668:
	s_mov_b32 s2, -1
                                        ; implicit-def: $vgpr3_vgpr4
	s_branch .LBB81_677
.LBB81_669:
	s_mov_b32 s2, -1
                                        ; implicit-def: $vgpr3_vgpr4
	s_branch .LBB81_674
.LBB81_670:
	s_mov_b32 s2, -1
                                        ; implicit-def: $vgpr3_vgpr4
.LBB81_671:
	s_delay_alu instid0(SALU_CYCLE_1)
	s_and_not1_b32 vcc_lo, exec_lo, s2
	s_cbranch_vccnz .LBB81_673
; %bb.672:
	global_load_b32 v3, v[1:2], off
	s_waitcnt vmcnt(0)
	v_cvt_f64_i32_e32 v[3:4], v3
.LBB81_673:
	s_mov_b32 s2, 0
.LBB81_674:
	s_delay_alu instid0(SALU_CYCLE_1)
	s_and_not1_b32 vcc_lo, exec_lo, s2
	s_cbranch_vccnz .LBB81_676
; %bb.675:
	global_load_i16 v3, v[1:2], off
	s_waitcnt vmcnt(0)
	v_cvt_f64_i32_e32 v[3:4], v3
.LBB81_676:
	s_mov_b32 s2, 0
.LBB81_677:
	s_delay_alu instid0(SALU_CYCLE_1)
	s_and_not1_b32 vcc_lo, exec_lo, s2
	s_cbranch_vccnz .LBB81_683
; %bb.678:
	v_cmp_lt_i16_e32 vcc_lo, 0, v9
	s_mov_b32 s2, 0
	s_cbranch_vccz .LBB81_680
; %bb.679:
	global_load_i8 v3, v[1:2], off
	s_waitcnt vmcnt(0)
	v_cvt_f64_i32_e32 v[3:4], v3
	s_branch .LBB81_681
.LBB81_680:
	s_mov_b32 s2, -1
                                        ; implicit-def: $vgpr3_vgpr4
.LBB81_681:
	s_delay_alu instid0(SALU_CYCLE_1)
	s_and_not1_b32 vcc_lo, exec_lo, s2
	s_cbranch_vccnz .LBB81_683
; %bb.682:
	global_load_u8 v1, v[1:2], off
	s_waitcnt vmcnt(0)
	v_cvt_f64_u32_e32 v[3:4], v1
.LBB81_683:
	s_mov_b32 s2, -1
.LBB81_684:
	s_delay_alu instid0(SALU_CYCLE_1)
	s_and_not1_b32 vcc_lo, exec_lo, s2
	s_cbranch_vccnz .LBB81_692
; %bb.685:
	s_mov_b32 s2, 0x652b82fe
	s_mov_b32 s3, 0x3ff71547
	;; [unrolled: 1-line block ×3, first 2 shown]
	s_waitcnt vmcnt(0)
	s_delay_alu instid0(VALU_DEP_1)
	v_mul_f64 v[1:2], v[3:4], s[2:3]
	s_mov_b32 s2, 0xfefa39ef
	s_mov_b32 s3, 0xbfe62e42
	;; [unrolled: 1-line block ×3, first 2 shown]
	v_cmp_nlt_f64_e32 vcc_lo, 0x40900000, v[3:4]
	s_mov_b32 s23, 0
	s_mov_b32 s41, -1
	s_delay_alu instid0(VALU_DEP_2) | instskip(NEXT) | instid1(VALU_DEP_1)
	v_rndne_f64_e32 v[1:2], v[1:2]
	v_fma_f64 v[5:6], v[1:2], s[2:3], v[3:4]
	s_mov_b32 s2, 0x3b39803f
	s_mov_b32 s3, 0xbc7abc9e
	v_cvt_i32_f64_e32 v7, v[1:2]
	s_delay_alu instid0(VALU_DEP_2)
	v_fma_f64 v[5:6], v[1:2], s[2:3], v[5:6]
	s_mov_b32 s2, 0xfca7ab0c
	s_mov_b32 s3, 0x3e928af3
	s_delay_alu instid0(VALU_DEP_1) | instid1(SALU_CYCLE_1)
	v_fma_f64 v[11:12], v[5:6], s[42:43], s[2:3]
	s_mov_b32 s2, 0x623fde64
	s_mov_b32 s3, 0x3ec71dee
	s_delay_alu instid0(VALU_DEP_1) | instid1(SALU_CYCLE_1)
	;; [unrolled: 4-line block ×9, first 2 shown]
	v_fma_f64 v[11:12], v[5:6], v[11:12], s[2:3]
	v_cmp_ngt_f64_e64 s2, 0xc090cc00, v[3:4]
	v_add_co_u32 v4, s3, s4, v0
	s_delay_alu instid0(VALU_DEP_3) | instskip(NEXT) | instid1(VALU_DEP_1)
	v_fma_f64 v[11:12], v[5:6], v[11:12], 1.0
	v_fma_f64 v[1:2], v[5:6], v[11:12], 1.0
	v_and_b32_e32 v6, 0xff, v8
	v_add_co_ci_u32_e64 v5, null, s5, 0, s3
	s_delay_alu instid0(VALU_DEP_2) | instskip(NEXT) | instid1(VALU_DEP_4)
	v_cmp_gt_i16_e64 s3, 11, v6
	v_ldexp_f64 v[11:12], v[1:2], v7
	s_delay_alu instid0(VALU_DEP_1) | instskip(SKIP_1) | instid1(VALU_DEP_2)
	v_cndmask_b32_e32 v1, 0x7ff00000, v12, vcc_lo
	s_and_b32 vcc_lo, s2, vcc_lo
	v_cndmask_b32_e32 v0, 0, v11, vcc_lo
	s_and_b32 vcc_lo, exec_lo, s3
	s_delay_alu instid0(VALU_DEP_2)
	v_cndmask_b32_e64 v1, 0, v1, s2
	s_mov_b32 s2, s38
	s_cbranch_vccnz .LBB81_693
; %bb.686:
	v_cmp_lt_i16_e32 vcc_lo, 25, v6
	s_cbranch_vccz .LBB81_734
; %bb.687:
	v_cmp_lt_i16_e32 vcc_lo, 28, v6
	s_cbranch_vccz .LBB81_735
	;; [unrolled: 3-line block ×4, first 2 shown]
; %bb.690:
	v_cmp_eq_u16_e32 vcc_lo, 46, v6
	s_mov_b32 s3, 0
	s_mov_b32 s2, -1
	s_cbranch_vccz .LBB81_738
; %bb.691:
	v_cvt_f32_f64_e32 v2, v[0:1]
	s_mov_b32 s23, -1
	s_mov_b32 s2, 0
	s_delay_alu instid0(VALU_DEP_1) | instskip(SKIP_1) | instid1(VALU_DEP_2)
	v_bfe_u32 v3, v2, 16, 1
	v_cmp_o_f32_e32 vcc_lo, v2, v2
	v_add3_u32 v3, v2, v3, 0x7fff
	s_delay_alu instid0(VALU_DEP_1) | instskip(NEXT) | instid1(VALU_DEP_1)
	v_lshrrev_b32_e32 v3, 16, v3
	v_cndmask_b32_e32 v2, 0x7fc0, v3, vcc_lo
	global_store_b32 v[4:5], v2, off
	s_branch .LBB81_738
.LBB81_692:
	s_mov_b32 s3, 0
	s_mov_b32 s2, s38
	s_branch .LBB81_733
.LBB81_693:
	s_and_b32 vcc_lo, exec_lo, s41
	s_cbranch_vccz .LBB81_807
; %bb.694:
	v_cmp_gt_i16_e32 vcc_lo, 5, v6
	s_mov_b32 s3, -1
	s_cbranch_vccnz .LBB81_715
; %bb.695:
	v_cmp_gt_i16_e32 vcc_lo, 8, v6
	s_cbranch_vccnz .LBB81_705
; %bb.696:
	v_cmp_gt_i16_e32 vcc_lo, 9, v6
	s_cbranch_vccnz .LBB81_702
; %bb.697:
	v_cmp_lt_i16_e32 vcc_lo, 9, v6
	s_cbranch_vccz .LBB81_699
; %bb.698:
	v_mov_b32_e32 v2, 0
	s_mov_b32 s3, 0
	s_delay_alu instid0(VALU_DEP_1)
	v_mov_b32_e32 v3, v2
	global_store_b128 v[4:5], v[0:3], off
.LBB81_699:
	s_and_not1_b32 vcc_lo, exec_lo, s3
	s_cbranch_vccnz .LBB81_701
; %bb.700:
	v_cvt_f32_f64_e32 v2, v[0:1]
	v_mov_b32_e32 v3, 0
	global_store_b64 v[4:5], v[2:3], off
.LBB81_701:
	s_mov_b32 s3, 0
.LBB81_702:
	s_delay_alu instid0(SALU_CYCLE_1)
	s_and_not1_b32 vcc_lo, exec_lo, s3
	s_cbranch_vccnz .LBB81_704
; %bb.703:
	v_cvt_f32_f64_e32 v2, v[0:1]
	s_delay_alu instid0(VALU_DEP_1) | instskip(NEXT) | instid1(VALU_DEP_1)
	v_cvt_f16_f32_e32 v2, v2
	v_and_b32_e32 v2, 0xffff, v2
	global_store_b32 v[4:5], v2, off
.LBB81_704:
	s_mov_b32 s3, 0
.LBB81_705:
	s_delay_alu instid0(SALU_CYCLE_1)
	s_and_not1_b32 vcc_lo, exec_lo, s3
	s_cbranch_vccnz .LBB81_714
; %bb.706:
	v_cmp_gt_i16_e32 vcc_lo, 6, v6
	s_mov_b32 s3, -1
	s_cbranch_vccnz .LBB81_712
; %bb.707:
	v_cmp_lt_i16_e32 vcc_lo, 6, v6
	s_cbranch_vccz .LBB81_709
; %bb.708:
	s_mov_b32 s3, 0
	global_store_b64 v[4:5], v[0:1], off
.LBB81_709:
	s_and_not1_b32 vcc_lo, exec_lo, s3
	s_cbranch_vccnz .LBB81_711
; %bb.710:
	v_cvt_f32_f64_e32 v2, v[0:1]
	global_store_b32 v[4:5], v2, off
.LBB81_711:
	s_mov_b32 s3, 0
.LBB81_712:
	s_delay_alu instid0(SALU_CYCLE_1)
	s_and_not1_b32 vcc_lo, exec_lo, s3
	s_cbranch_vccnz .LBB81_714
; %bb.713:
	v_cvt_f32_f64_e32 v2, v[0:1]
	s_delay_alu instid0(VALU_DEP_1)
	v_cvt_f16_f32_e32 v2, v2
	global_store_b16 v[4:5], v2, off
.LBB81_714:
	s_mov_b32 s3, 0
.LBB81_715:
	s_delay_alu instid0(SALU_CYCLE_1)
	s_and_not1_b32 vcc_lo, exec_lo, s3
	s_cbranch_vccnz .LBB81_731
; %bb.716:
	v_cmp_gt_i16_e32 vcc_lo, 2, v6
	s_mov_b32 s3, -1
	s_cbranch_vccnz .LBB81_726
; %bb.717:
	v_cmp_gt_i16_e32 vcc_lo, 3, v6
	s_cbranch_vccnz .LBB81_723
; %bb.718:
	v_cmp_lt_i16_e32 vcc_lo, 3, v6
	s_cbranch_vccz .LBB81_720
; %bb.719:
	v_trunc_f64_e32 v[2:3], v[0:1]
	s_mov_b32 s3, 0
	s_delay_alu instid0(VALU_DEP_1) | instskip(NEXT) | instid1(VALU_DEP_1)
	v_ldexp_f64 v[11:12], v[2:3], 0xffffffe0
	v_floor_f64_e32 v[11:12], v[11:12]
	s_delay_alu instid0(VALU_DEP_1) | instskip(SKIP_1) | instid1(VALU_DEP_2)
	v_fma_f64 v[2:3], 0xc1f00000, v[11:12], v[2:3]
	v_cvt_i32_f64_e32 v12, v[11:12]
	v_cvt_u32_f64_e32 v11, v[2:3]
	global_store_b64 v[4:5], v[11:12], off
.LBB81_720:
	s_and_not1_b32 vcc_lo, exec_lo, s3
	s_cbranch_vccnz .LBB81_722
; %bb.721:
	v_cvt_i32_f64_e32 v2, v[0:1]
	global_store_b32 v[4:5], v2, off
.LBB81_722:
	s_mov_b32 s3, 0
.LBB81_723:
	s_delay_alu instid0(SALU_CYCLE_1)
	s_and_not1_b32 vcc_lo, exec_lo, s3
	s_cbranch_vccnz .LBB81_725
; %bb.724:
	v_cvt_i32_f64_e32 v2, v[0:1]
	global_store_b16 v[4:5], v2, off
.LBB81_725:
	s_mov_b32 s3, 0
.LBB81_726:
	s_delay_alu instid0(SALU_CYCLE_1)
	s_and_not1_b32 vcc_lo, exec_lo, s3
	s_cbranch_vccnz .LBB81_731
; %bb.727:
	v_cmp_lt_i16_e32 vcc_lo, 0, v6
	s_mov_b32 s3, -1
	s_cbranch_vccz .LBB81_729
; %bb.728:
	v_cvt_i32_f64_e32 v2, v[0:1]
	s_mov_b32 s3, 0
	global_store_b8 v[4:5], v2, off
.LBB81_729:
	s_and_not1_b32 vcc_lo, exec_lo, s3
	s_cbranch_vccnz .LBB81_731
; %bb.730:
	v_trunc_f64_e32 v[0:1], v[0:1]
	s_delay_alu instid0(VALU_DEP_1) | instskip(NEXT) | instid1(VALU_DEP_1)
	v_ldexp_f64 v[2:3], v[0:1], 0xffffffe0
	v_floor_f64_e32 v[2:3], v[2:3]
	s_delay_alu instid0(VALU_DEP_1) | instskip(NEXT) | instid1(VALU_DEP_1)
	v_fma_f64 v[0:1], 0xc1f00000, v[2:3], v[0:1]
	v_cvt_u32_f64_e32 v0, v[0:1]
	global_store_b8 v[4:5], v0, off
.LBB81_731:
	s_branch .LBB81_808
.LBB81_732:
	s_mov_b32 s3, 0
.LBB81_733:
                                        ; implicit-def: $vgpr10
	s_branch .LBB81_809
.LBB81_734:
	s_mov_b32 s3, -1
	s_mov_b32 s2, s38
	s_branch .LBB81_765
.LBB81_735:
	s_mov_b32 s3, -1
	s_mov_b32 s2, s38
	s_branch .LBB81_748
.LBB81_736:
	s_mov_b32 s3, -1
	s_mov_b32 s2, s38
	s_branch .LBB81_744
.LBB81_737:
	s_mov_b32 s3, -1
	s_mov_b32 s2, s38
.LBB81_738:
	s_and_b32 vcc_lo, exec_lo, s3
	s_cbranch_vccz .LBB81_743
; %bb.739:
	v_cmp_eq_u16_e32 vcc_lo, 44, v6
	s_mov_b32 s2, -1
	s_cbranch_vccz .LBB81_743
; %bb.740:
	v_cvt_f32_f64_e32 v2, v[0:1]
	v_mov_b32_e32 v3, 0xff
	s_mov_b32 s3, exec_lo
	s_delay_alu instid0(VALU_DEP_2) | instskip(NEXT) | instid1(VALU_DEP_1)
	v_bfe_u32 v7, v2, 23, 8
	v_cmpx_ne_u32_e32 0xff, v7
; %bb.741:
	v_and_b32_e32 v3, 0x400000, v2
	v_and_or_b32 v7, 0x3fffff, v2, v7
	v_lshrrev_b32_e32 v2, 23, v2
	s_delay_alu instid0(VALU_DEP_3) | instskip(NEXT) | instid1(VALU_DEP_3)
	v_cmp_ne_u32_e32 vcc_lo, 0, v3
	v_cmp_ne_u32_e64 s2, 0, v7
	s_delay_alu instid0(VALU_DEP_1) | instskip(NEXT) | instid1(SALU_CYCLE_1)
	s_and_b32 s2, vcc_lo, s2
	v_cndmask_b32_e64 v3, 0, 1, s2
	s_delay_alu instid0(VALU_DEP_1)
	v_add_nc_u32_e32 v3, v2, v3
; %bb.742:
	s_or_b32 exec_lo, exec_lo, s3
	s_mov_b32 s23, -1
	s_mov_b32 s2, 0
	global_store_b8 v[4:5], v3, off
.LBB81_743:
	s_mov_b32 s3, 0
.LBB81_744:
	s_delay_alu instid0(SALU_CYCLE_1)
	s_and_b32 vcc_lo, exec_lo, s3
	s_cbranch_vccz .LBB81_747
; %bb.745:
	v_cmp_eq_u16_e32 vcc_lo, 29, v6
	s_mov_b32 s2, -1
	s_cbranch_vccz .LBB81_747
; %bb.746:
	v_trunc_f64_e32 v[2:3], v[0:1]
	s_mov_b32 s23, -1
	s_mov_b32 s2, 0
	s_mov_b32 s3, 0
	s_delay_alu instid0(VALU_DEP_1) | instskip(NEXT) | instid1(VALU_DEP_1)
	v_ldexp_f64 v[11:12], v[2:3], 0xffffffe0
	v_floor_f64_e32 v[11:12], v[11:12]
	s_delay_alu instid0(VALU_DEP_1) | instskip(SKIP_1) | instid1(VALU_DEP_2)
	v_fma_f64 v[2:3], 0xc1f00000, v[11:12], v[2:3]
	v_cvt_u32_f64_e32 v12, v[11:12]
	v_cvt_u32_f64_e32 v11, v[2:3]
	global_store_b64 v[4:5], v[11:12], off
	s_branch .LBB81_748
.LBB81_747:
	s_mov_b32 s3, 0
.LBB81_748:
	s_delay_alu instid0(SALU_CYCLE_1)
	s_and_b32 vcc_lo, exec_lo, s3
	s_cbranch_vccz .LBB81_764
; %bb.749:
	v_cmp_gt_i16_e32 vcc_lo, 27, v6
	s_mov_b32 s3, -1
	s_cbranch_vccnz .LBB81_755
; %bb.750:
	v_cmp_lt_i16_e32 vcc_lo, 27, v6
	s_cbranch_vccz .LBB81_752
; %bb.751:
	v_cvt_u32_f64_e32 v2, v[0:1]
	s_mov_b32 s3, 0
	global_store_b32 v[4:5], v2, off
.LBB81_752:
	s_and_not1_b32 vcc_lo, exec_lo, s3
	s_cbranch_vccnz .LBB81_754
; %bb.753:
	v_cvt_u32_f64_e32 v2, v[0:1]
	global_store_b16 v[4:5], v2, off
.LBB81_754:
	s_mov_b32 s3, 0
.LBB81_755:
	s_delay_alu instid0(SALU_CYCLE_1)
	s_and_not1_b32 vcc_lo, exec_lo, s3
	s_cbranch_vccnz .LBB81_763
; %bb.756:
	v_cvt_f32_f64_e32 v2, v[0:1]
	v_mov_b32_e32 v7, 0x80
	s_mov_b32 s3, exec_lo
	s_delay_alu instid0(VALU_DEP_2) | instskip(NEXT) | instid1(VALU_DEP_1)
	v_and_b32_e32 v3, 0x7fffffff, v2
	v_cmpx_gt_u32_e32 0x43800000, v3
	s_cbranch_execz .LBB81_762
; %bb.757:
	v_cmp_lt_u32_e32 vcc_lo, 0x3bffffff, v3
	s_mov_b32 s23, 0
                                        ; implicit-def: $vgpr3
	s_and_saveexec_b32 s41, vcc_lo
	s_delay_alu instid0(SALU_CYCLE_1)
	s_xor_b32 s41, exec_lo, s41
	s_cbranch_execz .LBB81_836
; %bb.758:
	v_bfe_u32 v3, v2, 20, 1
	s_mov_b32 s23, exec_lo
	s_delay_alu instid0(VALU_DEP_1) | instskip(NEXT) | instid1(VALU_DEP_1)
	v_add3_u32 v3, v2, v3, 0x487ffff
	v_lshrrev_b32_e32 v3, 20, v3
	s_or_saveexec_b32 s41, s41
                                        ; implicit-def: $sgpr42
	s_delay_alu instid0(SALU_CYCLE_1)
	s_xor_b32 exec_lo, exec_lo, s41
	s_cbranch_execnz .LBB81_837
.LBB81_759:
	s_or_b32 exec_lo, exec_lo, s41
	v_mov_b32_e32 v7, s42
	s_and_saveexec_b32 s41, s23
.LBB81_760:
	v_lshrrev_b32_e32 v2, 24, v2
	s_delay_alu instid0(VALU_DEP_1)
	v_and_or_b32 v7, 0x80, v2, v3
.LBB81_761:
	s_or_b32 exec_lo, exec_lo, s41
.LBB81_762:
	s_delay_alu instid0(SALU_CYCLE_1)
	s_or_b32 exec_lo, exec_lo, s3
	global_store_b8 v[4:5], v7, off
.LBB81_763:
	s_mov_b32 s23, -1
.LBB81_764:
	s_mov_b32 s3, 0
.LBB81_765:
	s_delay_alu instid0(SALU_CYCLE_1)
	s_and_b32 vcc_lo, exec_lo, s3
	s_cbranch_vccz .LBB81_806
; %bb.766:
	v_cmp_lt_i16_e32 vcc_lo, 22, v6
	s_mov_b32 s3, -1
	s_cbranch_vccz .LBB81_798
; %bb.767:
	v_cmp_gt_i16_e32 vcc_lo, 24, v6
	s_cbranch_vccnz .LBB81_787
; %bb.768:
	v_cmp_lt_i16_e32 vcc_lo, 24, v6
	s_cbranch_vccz .LBB81_776
; %bb.769:
	v_cvt_f32_f64_e32 v2, v[0:1]
	v_mov_b32_e32 v7, 0x80
	s_mov_b32 s3, exec_lo
	s_delay_alu instid0(VALU_DEP_2) | instskip(NEXT) | instid1(VALU_DEP_1)
	v_and_b32_e32 v3, 0x7fffffff, v2
	v_cmpx_gt_u32_e32 0x47800000, v3
	s_cbranch_execz .LBB81_775
; %bb.770:
	v_cmp_lt_u32_e32 vcc_lo, 0x37ffffff, v3
	s_mov_b32 s23, 0
                                        ; implicit-def: $vgpr3
	s_and_saveexec_b32 s41, vcc_lo
	s_delay_alu instid0(SALU_CYCLE_1)
	s_xor_b32 s41, exec_lo, s41
	s_cbranch_execz .LBB81_839
; %bb.771:
	v_bfe_u32 v3, v2, 21, 1
	s_mov_b32 s23, exec_lo
	s_delay_alu instid0(VALU_DEP_1) | instskip(NEXT) | instid1(VALU_DEP_1)
	v_add3_u32 v3, v2, v3, 0x88fffff
	v_lshrrev_b32_e32 v3, 21, v3
	s_or_saveexec_b32 s41, s41
                                        ; implicit-def: $sgpr42
	s_delay_alu instid0(SALU_CYCLE_1)
	s_xor_b32 exec_lo, exec_lo, s41
	s_cbranch_execnz .LBB81_840
.LBB81_772:
	s_or_b32 exec_lo, exec_lo, s41
	v_mov_b32_e32 v7, s42
	s_and_saveexec_b32 s41, s23
.LBB81_773:
	v_lshrrev_b32_e32 v2, 24, v2
	s_delay_alu instid0(VALU_DEP_1)
	v_and_or_b32 v7, 0x80, v2, v3
.LBB81_774:
	s_or_b32 exec_lo, exec_lo, s41
.LBB81_775:
	s_delay_alu instid0(SALU_CYCLE_1)
	s_or_b32 exec_lo, exec_lo, s3
	s_mov_b32 s3, 0
	global_store_b8 v[4:5], v7, off
.LBB81_776:
	s_and_b32 vcc_lo, exec_lo, s3
	s_cbranch_vccz .LBB81_786
; %bb.777:
	v_cvt_f32_f64_e32 v2, v[0:1]
	s_mov_b32 s3, exec_lo
                                        ; implicit-def: $vgpr3
	s_delay_alu instid0(VALU_DEP_1) | instskip(NEXT) | instid1(VALU_DEP_1)
	v_and_b32_e32 v7, 0x7fffffff, v2
	v_cmpx_gt_u32_e32 0x43f00000, v7
	s_xor_b32 s3, exec_lo, s3
	s_cbranch_execz .LBB81_783
; %bb.778:
	s_mov_b32 s23, exec_lo
                                        ; implicit-def: $vgpr3
	v_cmpx_lt_u32_e32 0x3c7fffff, v7
	s_xor_b32 s23, exec_lo, s23
; %bb.779:
	v_bfe_u32 v3, v2, 20, 1
	s_delay_alu instid0(VALU_DEP_1) | instskip(NEXT) | instid1(VALU_DEP_1)
	v_add3_u32 v3, v2, v3, 0x407ffff
	v_and_b32_e32 v7, 0xff00000, v3
	v_lshrrev_b32_e32 v3, 20, v3
	s_delay_alu instid0(VALU_DEP_2) | instskip(NEXT) | instid1(VALU_DEP_2)
	v_cmp_ne_u32_e32 vcc_lo, 0x7f00000, v7
	v_cndmask_b32_e32 v3, 0x7e, v3, vcc_lo
; %bb.780:
	s_and_not1_saveexec_b32 s23, s23
; %bb.781:
	v_add_f32_e64 v3, 0x46800000, |v2|
; %bb.782:
	s_or_b32 exec_lo, exec_lo, s23
                                        ; implicit-def: $vgpr7
.LBB81_783:
	s_and_not1_saveexec_b32 s3, s3
; %bb.784:
	v_mov_b32_e32 v3, 0x7f
	v_cmp_lt_u32_e32 vcc_lo, 0x7f800000, v7
	s_delay_alu instid0(VALU_DEP_2)
	v_cndmask_b32_e32 v3, 0x7e, v3, vcc_lo
; %bb.785:
	s_or_b32 exec_lo, exec_lo, s3
	v_lshrrev_b32_e32 v2, 24, v2
	s_delay_alu instid0(VALU_DEP_1)
	v_and_or_b32 v2, 0x80, v2, v3
	global_store_b8 v[4:5], v2, off
.LBB81_786:
	s_mov_b32 s3, 0
.LBB81_787:
	s_delay_alu instid0(SALU_CYCLE_1)
	s_and_not1_b32 vcc_lo, exec_lo, s3
	s_cbranch_vccnz .LBB81_797
; %bb.788:
	v_cvt_f32_f64_e32 v2, v[0:1]
	s_mov_b32 s3, exec_lo
                                        ; implicit-def: $vgpr3
	s_delay_alu instid0(VALU_DEP_1) | instskip(NEXT) | instid1(VALU_DEP_1)
	v_and_b32_e32 v7, 0x7fffffff, v2
	v_cmpx_gt_u32_e32 0x47800000, v7
	s_xor_b32 s3, exec_lo, s3
	s_cbranch_execz .LBB81_794
; %bb.789:
	s_mov_b32 s23, exec_lo
                                        ; implicit-def: $vgpr3
	v_cmpx_lt_u32_e32 0x387fffff, v7
	s_xor_b32 s23, exec_lo, s23
; %bb.790:
	v_bfe_u32 v3, v2, 21, 1
	s_delay_alu instid0(VALU_DEP_1) | instskip(NEXT) | instid1(VALU_DEP_1)
	v_add3_u32 v3, v2, v3, 0x80fffff
	v_lshrrev_b32_e32 v3, 21, v3
; %bb.791:
	s_and_not1_saveexec_b32 s23, s23
; %bb.792:
	v_add_f32_e64 v3, 0x43000000, |v2|
; %bb.793:
	s_or_b32 exec_lo, exec_lo, s23
                                        ; implicit-def: $vgpr7
.LBB81_794:
	s_and_not1_saveexec_b32 s3, s3
; %bb.795:
	v_mov_b32_e32 v3, 0x7f
	v_cmp_lt_u32_e32 vcc_lo, 0x7f800000, v7
	s_delay_alu instid0(VALU_DEP_2)
	v_cndmask_b32_e32 v3, 0x7c, v3, vcc_lo
; %bb.796:
	s_or_b32 exec_lo, exec_lo, s3
	v_lshrrev_b32_e32 v2, 24, v2
	s_delay_alu instid0(VALU_DEP_1)
	v_and_or_b32 v2, 0x80, v2, v3
	global_store_b8 v[4:5], v2, off
.LBB81_797:
	s_mov_b32 s3, 0
	s_mov_b32 s23, -1
.LBB81_798:
	s_and_not1_b32 vcc_lo, exec_lo, s3
	s_cbranch_vccnz .LBB81_806
; %bb.799:
	v_cmp_lt_i16_e32 vcc_lo, 14, v6
	s_mov_b32 s3, -1
	s_cbranch_vccz .LBB81_803
; %bb.800:
	v_cmp_eq_u16_e32 vcc_lo, 15, v6
	s_mov_b32 s2, -1
	s_cbranch_vccz .LBB81_802
; %bb.801:
	v_cvt_f32_f64_e32 v2, v[0:1]
	s_mov_b32 s23, -1
	s_mov_b32 s2, 0
	s_delay_alu instid0(VALU_DEP_1) | instskip(SKIP_1) | instid1(VALU_DEP_2)
	v_bfe_u32 v3, v2, 16, 1
	v_cmp_o_f32_e32 vcc_lo, v2, v2
	v_add3_u32 v3, v2, v3, 0x7fff
	s_delay_alu instid0(VALU_DEP_1) | instskip(NEXT) | instid1(VALU_DEP_1)
	v_lshrrev_b32_e32 v3, 16, v3
	v_cndmask_b32_e32 v2, 0x7fc0, v3, vcc_lo
	global_store_b16 v[4:5], v2, off
.LBB81_802:
	s_mov_b32 s3, 0
.LBB81_803:
	s_delay_alu instid0(SALU_CYCLE_1)
	s_and_b32 vcc_lo, exec_lo, s3
	s_cbranch_vccz .LBB81_806
; %bb.804:
	v_cmp_eq_u16_e32 vcc_lo, 11, v6
	s_mov_b32 s2, -1
	s_cbranch_vccz .LBB81_806
; %bb.805:
	v_cmp_neq_f64_e32 vcc_lo, 0, v[0:1]
	s_mov_b32 s23, -1
	s_mov_b32 s2, 0
	v_cndmask_b32_e64 v2, 0, 1, vcc_lo
	global_store_b8 v[4:5], v2, off
.LBB81_806:
.LBB81_807:
	s_and_not1_b32 vcc_lo, exec_lo, s23
	s_cbranch_vccnz .LBB81_732
.LBB81_808:
	v_add_nc_u32_e32 v10, 0x80, v10
	s_mov_b32 s3, -1
.LBB81_809:
	s_and_not1_b32 s23, s38, exec_lo
	s_and_b32 s2, s2, exec_lo
	s_and_not1_b32 s41, s37, exec_lo
	s_and_b32 s22, s22, exec_lo
	s_or_b32 s23, s23, s2
	s_or_b32 s22, s41, s22
	s_or_not1_b32 s42, s3, exec_lo
.LBB81_810:
	s_or_b32 exec_lo, exec_lo, s40
	s_mov_b32 s2, 0
	s_mov_b32 s3, 0
	;; [unrolled: 1-line block ×3, first 2 shown]
                                        ; implicit-def: $vgpr0_vgpr1
                                        ; implicit-def: $vgpr2
                                        ; implicit-def: $vgpr6_vgpr7
	s_and_saveexec_b32 s40, s42
	s_cbranch_execz .LBB81_908
; %bb.811:
	v_cmp_gt_i32_e32 vcc_lo, s30, v10
	s_mov_b32 s42, s22
                                        ; implicit-def: $vgpr0_vgpr1
                                        ; implicit-def: $vgpr2
                                        ; implicit-def: $vgpr6_vgpr7
	s_and_saveexec_b32 s30, vcc_lo
	s_cbranch_execz .LBB81_907
; %bb.812:
	s_and_not1_b32 vcc_lo, exec_lo, s27
	s_cbranch_vccnz .LBB81_817
; %bb.813:
	v_mov_b32_e32 v2, 0
	v_mov_b32_e32 v0, 0
	s_and_not1_b32 vcc_lo, exec_lo, s33
	s_mov_b32 s33, 0
	s_cbranch_vccnz .LBB81_822
; %bb.814:
	v_mov_b32_e32 v2, 0
	s_add_i32 s41, s31, 1
	s_cmp_eq_u32 s25, 2
	s_mov_b32 s31, 0
	s_cbranch_scc1 .LBB81_818
; %bb.815:
	v_dual_mov_b32 v0, 0 :: v_dual_mov_b32 v1, v10
	v_mov_b32_e32 v2, 0
	s_and_b32 s31, s41, 28
	s_mov_b32 s42, 0
	s_mov_b64 s[2:3], s[16:17]
.LBB81_816:                             ; =>This Inner Loop Header: Depth=1
	s_clause 0x1
	s_load_b256 s[44:51], s[2:3], 0x4
	s_load_b128 s[60:63], s[2:3], 0x24
	s_load_b256 s[52:59], s[20:21], 0x0
	s_add_u32 s2, s2, 48
	s_addc_u32 s3, s3, 0
	s_add_i32 s42, s42, 4
	s_add_u32 s20, s20, 32
	s_addc_u32 s21, s21, 0
	s_cmp_eq_u32 s31, s42
	s_waitcnt vmcnt(0) lgkmcnt(0)
	v_mul_hi_u32 v3, s45, v1
	s_delay_alu instid0(VALU_DEP_1) | instskip(NEXT) | instid1(VALU_DEP_1)
	v_add_nc_u32_e32 v3, v1, v3
	v_lshrrev_b32_e32 v3, s46, v3
	s_delay_alu instid0(VALU_DEP_1) | instskip(SKIP_1) | instid1(VALU_DEP_2)
	v_mul_hi_u32 v4, s48, v3
	v_mul_lo_u32 v6, v3, s44
	v_add_nc_u32_e32 v4, v3, v4
	s_delay_alu instid0(VALU_DEP_2) | instskip(NEXT) | instid1(VALU_DEP_2)
	v_sub_nc_u32_e32 v1, v1, v6
	v_lshrrev_b32_e32 v4, s49, v4
	s_delay_alu instid0(VALU_DEP_2) | instskip(SKIP_1) | instid1(VALU_DEP_3)
	v_mul_lo_u32 v6, v1, s52
	v_mul_lo_u32 v11, v1, s53
	v_mul_hi_u32 v5, s51, v4
	s_delay_alu instid0(VALU_DEP_1) | instskip(NEXT) | instid1(VALU_DEP_1)
	v_add_nc_u32_e32 v5, v4, v5
	v_lshrrev_b32_e32 v5, s60, v5
	s_delay_alu instid0(VALU_DEP_1) | instskip(SKIP_1) | instid1(VALU_DEP_2)
	v_mul_hi_u32 v7, s62, v5
	v_mul_lo_u32 v12, v5, s50
	v_add_nc_u32_e32 v1, v5, v7
	v_mul_lo_u32 v7, v4, s47
	s_delay_alu instid0(VALU_DEP_3) | instskip(NEXT) | instid1(VALU_DEP_3)
	v_sub_nc_u32_e32 v4, v4, v12
	v_lshrrev_b32_e32 v1, s63, v1
	s_delay_alu instid0(VALU_DEP_2) | instskip(SKIP_2) | instid1(VALU_DEP_4)
	v_mul_lo_u32 v12, v4, s56
	v_mul_lo_u32 v4, v4, s57
	v_sub_nc_u32_e32 v3, v3, v7
	v_mul_lo_u32 v13, v1, s61
	s_delay_alu instid0(VALU_DEP_2) | instskip(SKIP_1) | instid1(VALU_DEP_3)
	v_mul_lo_u32 v7, v3, s54
	v_mul_lo_u32 v3, v3, s55
	v_sub_nc_u32_e32 v5, v5, v13
	s_delay_alu instid0(VALU_DEP_3) | instskip(NEXT) | instid1(VALU_DEP_2)
	v_add3_u32 v2, v6, v2, v7
	v_mul_lo_u32 v13, v5, s58
	v_mul_lo_u32 v5, v5, s59
	v_add3_u32 v0, v11, v0, v3
	s_delay_alu instid0(VALU_DEP_3) | instskip(NEXT) | instid1(VALU_DEP_2)
	v_add3_u32 v2, v12, v2, v13
	v_add3_u32 v0, v4, v0, v5
	s_cbranch_scc0 .LBB81_816
	s_branch .LBB81_819
.LBB81_817:
	s_mov_b32 s33, -1
                                        ; implicit-def: $vgpr2
                                        ; implicit-def: $vgpr0
	s_branch .LBB81_822
.LBB81_818:
	v_dual_mov_b32 v1, v10 :: v_dual_mov_b32 v0, 0
.LBB81_819:
	s_and_b32 s41, s41, 3
	s_delay_alu instid0(SALU_CYCLE_1)
	s_cmp_eq_u32 s41, 0
	s_cbranch_scc1 .LBB81_822
; %bb.820:
	s_lshl_b32 s2, s31, 3
	s_mul_i32 s20, s31, 12
	s_add_u32 s2, s2, s16
	s_addc_u32 s3, s17, 0
	s_add_u32 s2, s2, 0xc4
	s_addc_u32 s3, s3, 0
	;; [unrolled: 2-line block ×3, first 2 shown]
.LBB81_821:                             ; =>This Inner Loop Header: Depth=1
	s_clause 0x1
	s_load_b64 s[42:43], s[20:21], 0x4
	s_load_b32 s31, s[20:21], 0xc
	s_load_b64 s[44:45], s[2:3], 0x0
	s_add_u32 s20, s20, 12
	s_addc_u32 s21, s21, 0
	s_add_u32 s2, s2, 8
	s_addc_u32 s3, s3, 0
	s_add_i32 s41, s41, -1
	s_delay_alu instid0(SALU_CYCLE_1) | instskip(SKIP_2) | instid1(VALU_DEP_1)
	s_cmp_lg_u32 s41, 0
	s_waitcnt vmcnt(0) lgkmcnt(0)
	v_mul_hi_u32 v3, s43, v1
	v_add_nc_u32_e32 v3, v1, v3
	s_delay_alu instid0(VALU_DEP_1) | instskip(NEXT) | instid1(VALU_DEP_1)
	v_lshrrev_b32_e32 v6, s31, v3
	v_mul_lo_u32 v3, v6, s42
	s_delay_alu instid0(VALU_DEP_1) | instskip(NEXT) | instid1(VALU_DEP_1)
	v_sub_nc_u32_e32 v1, v1, v3
	v_mad_u64_u32 v[3:4], null, v1, s44, v[2:3]
	v_mad_u64_u32 v[4:5], null, v1, s45, v[0:1]
	s_delay_alu instid0(VALU_DEP_2) | instskip(NEXT) | instid1(VALU_DEP_2)
	v_dual_mov_b32 v1, v6 :: v_dual_mov_b32 v2, v3
	v_mov_b32_e32 v0, v4
	s_cbranch_scc1 .LBB81_821
.LBB81_822:
	s_and_not1_b32 vcc_lo, exec_lo, s33
	s_cbranch_vccnz .LBB81_825
; %bb.823:
	s_waitcnt lgkmcnt(0)
	v_mul_hi_u32 v0, s13, v10
	s_and_not1_b32 vcc_lo, exec_lo, s29
	s_delay_alu instid0(VALU_DEP_1) | instskip(NEXT) | instid1(VALU_DEP_1)
	v_add_nc_u32_e32 v0, v10, v0
	v_lshrrev_b32_e32 v1, s14, v0
	s_delay_alu instid0(VALU_DEP_1) | instskip(NEXT) | instid1(VALU_DEP_1)
	v_mul_lo_u32 v0, v1, s12
	v_sub_nc_u32_e32 v0, v10, v0
	s_delay_alu instid0(VALU_DEP_1)
	v_mul_lo_u32 v2, v0, s8
	v_mul_lo_u32 v0, v0, s9
	s_cbranch_vccnz .LBB81_825
; %bb.824:
	s_waitcnt vmcnt(0)
	v_mul_hi_u32 v3, s18, v1
	s_delay_alu instid0(VALU_DEP_1) | instskip(NEXT) | instid1(VALU_DEP_1)
	v_add_nc_u32_e32 v3, v1, v3
	v_lshrrev_b32_e32 v3, s19, v3
	s_delay_alu instid0(VALU_DEP_1) | instskip(NEXT) | instid1(VALU_DEP_1)
	v_mul_lo_u32 v3, v3, s15
	v_sub_nc_u32_e32 v5, v1, v3
	s_delay_alu instid0(VALU_DEP_1) | instskip(SKIP_1) | instid1(VALU_DEP_2)
	v_mad_u64_u32 v[3:4], null, v5, s10, v[2:3]
	v_mad_u64_u32 v[1:2], null, v5, s11, v[0:1]
	v_mov_b32_e32 v2, v3
	s_delay_alu instid0(VALU_DEP_2)
	v_mov_b32_e32 v0, v1
.LBB81_825:
	v_cmp_gt_i16_e32 vcc_lo, 11, v9
	s_waitcnt lgkmcnt(0)
	s_delay_alu instid0(VALU_DEP_2) | instskip(NEXT) | instid1(VALU_DEP_1)
	v_add_co_u32 v0, s2, s6, v0
	v_add_co_ci_u32_e64 v1, null, s7, 0, s2
	s_mov_b32 s2, 0
	s_cbranch_vccnz .LBB81_832
; %bb.826:
	v_cmp_lt_i16_e32 vcc_lo, 25, v9
	s_mov_b32 s7, 0
	s_cbranch_vccz .LBB81_833
; %bb.827:
	v_cmp_lt_i16_e32 vcc_lo, 28, v9
	s_cbranch_vccz .LBB81_834
; %bb.828:
	v_cmp_lt_i16_e32 vcc_lo, 43, v9
	;; [unrolled: 3-line block ×3, first 2 shown]
	s_cbranch_vccz .LBB81_838
; %bb.830:
	v_cmp_eq_u16_e32 vcc_lo, 46, v9
	s_mov_b32 s3, 0
	s_cbranch_vccz .LBB81_841
; %bb.831:
	global_load_b32 v3, v[0:1], off
	s_mov_b32 s6, 0
	s_mov_b32 s2, -1
	s_waitcnt vmcnt(0)
	v_lshlrev_b32_e32 v3, 16, v3
	s_delay_alu instid0(VALU_DEP_1)
	v_cvt_f64_f32_e32 v[6:7], v3
	s_branch .LBB81_843
.LBB81_832:
	s_mov_b32 s3, -1
	s_mov_b32 s7, 0
	s_mov_b32 s6, s22
                                        ; implicit-def: $vgpr6_vgpr7
	s_branch .LBB81_906
.LBB81_833:
	s_mov_b32 s3, -1
	s_mov_b32 s6, s22
                                        ; implicit-def: $vgpr6_vgpr7
	s_branch .LBB81_874
.LBB81_834:
	s_mov_b32 s3, -1
	s_mov_b32 s6, s22
                                        ; implicit-def: $vgpr6_vgpr7
	s_branch .LBB81_853
.LBB81_835:
	s_mov_b32 s3, -1
	s_mov_b32 s6, s22
                                        ; implicit-def: $vgpr6_vgpr7
	s_branch .LBB81_848
.LBB81_836:
	s_or_saveexec_b32 s41, s41
                                        ; implicit-def: $sgpr42
	s_delay_alu instid0(SALU_CYCLE_1)
	s_xor_b32 exec_lo, exec_lo, s41
	s_cbranch_execz .LBB81_759
.LBB81_837:
	v_add_f32_e64 v3, 0x46000000, |v2|
	s_and_not1_b32 s23, s23, exec_lo
	s_mov_b32 s42, 0
	s_delay_alu instid0(VALU_DEP_1) | instskip(NEXT) | instid1(VALU_DEP_1)
	v_and_b32_e32 v3, 0xff, v3
	v_cmp_ne_u32_e32 vcc_lo, 0, v3
	s_and_b32 s43, vcc_lo, exec_lo
	s_delay_alu instid0(SALU_CYCLE_1)
	s_or_b32 s23, s23, s43
	s_or_b32 exec_lo, exec_lo, s41
	v_mov_b32_e32 v7, s42
	s_and_saveexec_b32 s41, s23
	s_cbranch_execnz .LBB81_760
	s_branch .LBB81_761
.LBB81_838:
	s_mov_b32 s3, -1
	s_mov_b32 s6, s22
	s_branch .LBB81_842
.LBB81_839:
	s_or_saveexec_b32 s41, s41
                                        ; implicit-def: $sgpr42
	s_delay_alu instid0(SALU_CYCLE_1)
	s_xor_b32 exec_lo, exec_lo, s41
	s_cbranch_execz .LBB81_772
.LBB81_840:
	v_add_f32_e64 v3, 0x42800000, |v2|
	s_and_not1_b32 s23, s23, exec_lo
	s_mov_b32 s42, 0
	s_delay_alu instid0(VALU_DEP_1) | instskip(NEXT) | instid1(VALU_DEP_1)
	v_and_b32_e32 v3, 0xff, v3
	v_cmp_ne_u32_e32 vcc_lo, 0, v3
	s_and_b32 s43, vcc_lo, exec_lo
	s_delay_alu instid0(SALU_CYCLE_1)
	s_or_b32 s23, s23, s43
	s_or_b32 exec_lo, exec_lo, s41
	v_mov_b32_e32 v7, s42
	s_and_saveexec_b32 s41, s23
	s_cbranch_execnz .LBB81_773
	s_branch .LBB81_774
.LBB81_841:
	s_mov_b32 s6, -1
.LBB81_842:
                                        ; implicit-def: $vgpr6_vgpr7
.LBB81_843:
	s_and_b32 vcc_lo, exec_lo, s3
	s_cbranch_vccz .LBB81_847
; %bb.844:
	v_cmp_eq_u16_e32 vcc_lo, 44, v9
	s_cbranch_vccz .LBB81_846
; %bb.845:
	global_load_u8 v5, v[0:1], off
	s_mov_b32 s6, 0
	s_mov_b32 s2, -1
	s_waitcnt vmcnt(0)
	v_cmp_ne_u32_e32 vcc_lo, 0xff, v5
	v_lshlrev_b32_e32 v3, 23, v5
	s_delay_alu instid0(VALU_DEP_1) | instskip(NEXT) | instid1(VALU_DEP_1)
	v_cvt_f64_f32_e32 v[3:4], v3
	v_cndmask_b32_e32 v4, 0x7ff80000, v4, vcc_lo
	s_delay_alu instid0(VALU_DEP_2) | instskip(SKIP_1) | instid1(VALU_DEP_3)
	v_cndmask_b32_e32 v3, 0x20000000, v3, vcc_lo
	v_cmp_ne_u32_e32 vcc_lo, 0, v5
	v_cndmask_b32_e32 v7, 0x38000000, v4, vcc_lo
	s_delay_alu instid0(VALU_DEP_3)
	v_cndmask_b32_e32 v6, 0, v3, vcc_lo
	s_branch .LBB81_847
.LBB81_846:
	s_mov_b32 s6, -1
                                        ; implicit-def: $vgpr6_vgpr7
.LBB81_847:
	s_mov_b32 s3, 0
.LBB81_848:
	s_delay_alu instid0(SALU_CYCLE_1)
	s_and_b32 vcc_lo, exec_lo, s3
	s_cbranch_vccz .LBB81_852
; %bb.849:
	v_cmp_eq_u16_e32 vcc_lo, 29, v9
	s_cbranch_vccz .LBB81_851
; %bb.850:
	global_load_b64 v[3:4], v[0:1], off
	s_mov_b32 s6, 0
	s_mov_b32 s2, -1
	s_mov_b32 s3, 0
	s_waitcnt vmcnt(0)
	v_cvt_f64_u32_e32 v[4:5], v4
	v_cvt_f64_u32_e32 v[6:7], v3
	s_delay_alu instid0(VALU_DEP_2) | instskip(NEXT) | instid1(VALU_DEP_1)
	v_ldexp_f64 v[4:5], v[4:5], 32
	v_add_f64 v[6:7], v[4:5], v[6:7]
	s_branch .LBB81_853
.LBB81_851:
	s_mov_b32 s6, -1
                                        ; implicit-def: $vgpr6_vgpr7
.LBB81_852:
	s_mov_b32 s3, 0
.LBB81_853:
	s_delay_alu instid0(SALU_CYCLE_1)
	s_and_b32 vcc_lo, exec_lo, s3
	s_cbranch_vccz .LBB81_873
; %bb.854:
	v_cmp_gt_i16_e32 vcc_lo, 27, v9
	s_cbranch_vccnz .LBB81_857
; %bb.855:
	v_cmp_lt_i16_e32 vcc_lo, 27, v9
	s_cbranch_vccz .LBB81_858
; %bb.856:
	global_load_b32 v3, v[0:1], off
	s_mov_b32 s2, 0
	s_waitcnt vmcnt(0)
	v_cvt_f64_u32_e32 v[6:7], v3
	s_branch .LBB81_859
.LBB81_857:
	s_mov_b32 s2, -1
                                        ; implicit-def: $vgpr6_vgpr7
	s_branch .LBB81_862
.LBB81_858:
	s_mov_b32 s2, -1
                                        ; implicit-def: $vgpr6_vgpr7
.LBB81_859:
	s_delay_alu instid0(SALU_CYCLE_1)
	s_and_not1_b32 vcc_lo, exec_lo, s2
	s_cbranch_vccnz .LBB81_861
; %bb.860:
	global_load_u16 v3, v[0:1], off
	s_waitcnt vmcnt(0)
	v_cvt_f64_u32_e32 v[6:7], v3
.LBB81_861:
	s_mov_b32 s2, 0
.LBB81_862:
	s_delay_alu instid0(SALU_CYCLE_1)
	s_and_not1_b32 vcc_lo, exec_lo, s2
	s_cbranch_vccnz .LBB81_872
; %bb.863:
	global_load_u8 v3, v[0:1], off
	s_mov_b32 s8, 0
	s_mov_b32 s9, exec_lo
                                        ; implicit-def: $sgpr2_sgpr3
	s_waitcnt vmcnt(0)
	v_cmpx_lt_i16_e32 0x7f, v3
	s_xor_b32 s9, exec_lo, s9
	s_cbranch_execz .LBB81_867
; %bb.864:
	s_mov_b32 s10, -1
	s_mov_b32 s8, exec_lo
                                        ; implicit-def: $sgpr2_sgpr3
	v_cmpx_eq_u16_e32 0x80, v3
; %bb.865:
	s_mov_b32 s3, 0x7ff80000
	s_brev_b32 s2, 4
	s_xor_b32 s10, exec_lo, -1
; %bb.866:
	s_or_b32 exec_lo, exec_lo, s8
	s_delay_alu instid0(SALU_CYCLE_1)
	s_and_b32 s8, s10, exec_lo
.LBB81_867:
	s_or_saveexec_b32 s9, s9
	v_dual_mov_b32 v7, s3 :: v_dual_mov_b32 v6, s2
	s_xor_b32 exec_lo, exec_lo, s9
; %bb.868:
	v_cmp_ne_u16_e32 vcc_lo, 0, v3
	v_mov_b32_e32 v6, 0
	v_mov_b32_e32 v7, 0
	s_and_not1_b32 s2, s8, exec_lo
	s_and_b32 s3, vcc_lo, exec_lo
	s_delay_alu instid0(SALU_CYCLE_1)
	s_or_b32 s8, s2, s3
; %bb.869:
	s_or_b32 exec_lo, exec_lo, s9
	s_and_saveexec_b32 s2, s8
	s_cbranch_execz .LBB81_871
; %bb.870:
	v_and_b32_e32 v4, 0xffff, v3
	v_lshlrev_b32_e32 v3, 24, v3
	s_delay_alu instid0(VALU_DEP_2) | instskip(NEXT) | instid1(VALU_DEP_2)
	v_and_b32_e32 v5, 7, v4
	v_and_b32_e32 v3, 0x80000000, v3
	s_delay_alu instid0(VALU_DEP_2) | instskip(NEXT) | instid1(VALU_DEP_1)
	v_clz_i32_u32_e32 v6, v5
	v_min_u32_e32 v6, 32, v6
	s_delay_alu instid0(VALU_DEP_1) | instskip(SKIP_1) | instid1(VALU_DEP_2)
	v_subrev_nc_u32_e32 v7, 28, v6
	v_sub_nc_u32_e32 v6, 29, v6
	v_lshlrev_b32_e32 v7, v7, v4
	v_bfe_u32 v4, v4, 3, 4
	s_delay_alu instid0(VALU_DEP_2) | instskip(NEXT) | instid1(VALU_DEP_2)
	v_and_b32_e32 v7, 7, v7
	v_cmp_eq_u32_e32 vcc_lo, 0, v4
	s_delay_alu instid0(VALU_DEP_2) | instskip(NEXT) | instid1(VALU_DEP_1)
	v_dual_cndmask_b32 v4, v4, v6 :: v_dual_cndmask_b32 v5, v5, v7
	v_lshl_add_u32 v4, v4, 23, 0x3b800000
	s_delay_alu instid0(VALU_DEP_2) | instskip(NEXT) | instid1(VALU_DEP_1)
	v_lshlrev_b32_e32 v5, 20, v5
	v_or3_b32 v3, v3, v4, v5
	s_delay_alu instid0(VALU_DEP_1)
	v_cvt_f64_f32_e32 v[6:7], v3
.LBB81_871:
	s_or_b32 exec_lo, exec_lo, s2
.LBB81_872:
	s_mov_b32 s2, -1
.LBB81_873:
	s_mov_b32 s3, 0
.LBB81_874:
	s_delay_alu instid0(SALU_CYCLE_1)
	s_and_b32 vcc_lo, exec_lo, s3
	s_cbranch_vccz .LBB81_905
; %bb.875:
	v_cmp_lt_i16_e32 vcc_lo, 22, v9
	s_cbranch_vccz .LBB81_887
; %bb.876:
	v_cmp_gt_i16_e32 vcc_lo, 24, v9
	s_cbranch_vccnz .LBB81_888
; %bb.877:
	v_cmp_lt_i16_e32 vcc_lo, 24, v9
	s_cbranch_vccz .LBB81_889
; %bb.878:
	global_load_u8 v3, v[0:1], off
	s_mov_b32 s8, exec_lo
                                        ; implicit-def: $sgpr2_sgpr3
	s_waitcnt vmcnt(0)
	v_cmpx_lt_i16_e32 0x7f, v3
	s_xor_b32 s8, exec_lo, s8
	s_cbranch_execz .LBB81_882
; %bb.879:
	s_mov_b32 s9, -1
	s_mov_b32 s7, exec_lo
                                        ; implicit-def: $sgpr2_sgpr3
	v_cmpx_eq_u16_e32 0x80, v3
; %bb.880:
	s_mov_b32 s3, 0x7ff80000
	s_brev_b32 s2, 4
	s_xor_b32 s9, exec_lo, -1
; %bb.881:
	s_or_b32 exec_lo, exec_lo, s7
	s_delay_alu instid0(SALU_CYCLE_1)
	s_and_b32 s7, s9, exec_lo
.LBB81_882:
	s_or_saveexec_b32 s8, s8
	v_dual_mov_b32 v7, s3 :: v_dual_mov_b32 v6, s2
	s_xor_b32 exec_lo, exec_lo, s8
; %bb.883:
	v_cmp_ne_u16_e32 vcc_lo, 0, v3
	v_mov_b32_e32 v6, 0
	v_mov_b32_e32 v7, 0
	s_and_not1_b32 s2, s7, exec_lo
	s_and_b32 s3, vcc_lo, exec_lo
	s_delay_alu instid0(SALU_CYCLE_1)
	s_or_b32 s7, s2, s3
; %bb.884:
	s_or_b32 exec_lo, exec_lo, s8
	s_and_saveexec_b32 s2, s7
	s_cbranch_execz .LBB81_886
; %bb.885:
	v_and_b32_e32 v4, 0xffff, v3
	v_lshlrev_b32_e32 v3, 24, v3
	s_delay_alu instid0(VALU_DEP_2) | instskip(NEXT) | instid1(VALU_DEP_2)
	v_and_b32_e32 v5, 3, v4
	v_and_b32_e32 v3, 0x80000000, v3
	s_delay_alu instid0(VALU_DEP_2) | instskip(NEXT) | instid1(VALU_DEP_1)
	v_clz_i32_u32_e32 v6, v5
	v_min_u32_e32 v6, 32, v6
	s_delay_alu instid0(VALU_DEP_1) | instskip(SKIP_1) | instid1(VALU_DEP_2)
	v_subrev_nc_u32_e32 v7, 29, v6
	v_sub_nc_u32_e32 v6, 30, v6
	v_lshlrev_b32_e32 v7, v7, v4
	v_bfe_u32 v4, v4, 2, 5
	s_delay_alu instid0(VALU_DEP_2) | instskip(NEXT) | instid1(VALU_DEP_2)
	v_and_b32_e32 v7, 3, v7
	v_cmp_eq_u32_e32 vcc_lo, 0, v4
	s_delay_alu instid0(VALU_DEP_2) | instskip(NEXT) | instid1(VALU_DEP_1)
	v_dual_cndmask_b32 v4, v4, v6 :: v_dual_cndmask_b32 v5, v5, v7
	v_lshl_add_u32 v4, v4, 23, 0x37800000
	s_delay_alu instid0(VALU_DEP_2) | instskip(NEXT) | instid1(VALU_DEP_1)
	v_lshlrev_b32_e32 v5, 21, v5
	v_or3_b32 v3, v3, v4, v5
	s_delay_alu instid0(VALU_DEP_1)
	v_cvt_f64_f32_e32 v[6:7], v3
.LBB81_886:
	s_or_b32 exec_lo, exec_lo, s2
	s_mov_b32 s2, 0
	s_branch .LBB81_890
.LBB81_887:
	s_mov_b32 s3, -1
                                        ; implicit-def: $vgpr6_vgpr7
	s_branch .LBB81_896
.LBB81_888:
	s_mov_b32 s2, -1
                                        ; implicit-def: $vgpr6_vgpr7
	s_branch .LBB81_893
.LBB81_889:
	s_mov_b32 s2, -1
                                        ; implicit-def: $vgpr6_vgpr7
.LBB81_890:
	s_delay_alu instid0(SALU_CYCLE_1)
	s_and_b32 vcc_lo, exec_lo, s2
	s_cbranch_vccz .LBB81_892
; %bb.891:
	global_load_u8 v3, v[0:1], off
	s_waitcnt vmcnt(0)
	v_lshlrev_b32_e32 v3, 24, v3
	s_delay_alu instid0(VALU_DEP_1) | instskip(NEXT) | instid1(VALU_DEP_1)
	v_and_b32_e32 v4, 0x7f000000, v3
	v_clz_i32_u32_e32 v5, v4
	v_add_nc_u32_e32 v7, 0x1000000, v4
	v_cmp_ne_u32_e32 vcc_lo, 0, v4
	s_delay_alu instid0(VALU_DEP_3) | instskip(NEXT) | instid1(VALU_DEP_1)
	v_min_u32_e32 v5, 32, v5
	v_sub_nc_u32_e64 v5, v5, 4 clamp
	s_delay_alu instid0(VALU_DEP_1) | instskip(SKIP_1) | instid1(VALU_DEP_2)
	v_lshlrev_b32_e32 v6, v5, v4
	v_lshlrev_b32_e32 v5, 23, v5
	v_lshrrev_b32_e32 v6, 4, v6
	s_delay_alu instid0(VALU_DEP_1) | instskip(SKIP_1) | instid1(VALU_DEP_2)
	v_sub_nc_u32_e32 v5, v6, v5
	v_ashrrev_i32_e32 v6, 8, v7
	v_add_nc_u32_e32 v5, 0x3c000000, v5
	s_delay_alu instid0(VALU_DEP_1) | instskip(NEXT) | instid1(VALU_DEP_1)
	v_and_or_b32 v5, 0x7f800000, v6, v5
	v_cndmask_b32_e32 v4, 0, v5, vcc_lo
	s_delay_alu instid0(VALU_DEP_1) | instskip(NEXT) | instid1(VALU_DEP_1)
	v_and_or_b32 v3, 0x80000000, v3, v4
	v_cvt_f64_f32_e32 v[6:7], v3
.LBB81_892:
	s_mov_b32 s2, 0
.LBB81_893:
	s_delay_alu instid0(SALU_CYCLE_1)
	s_and_not1_b32 vcc_lo, exec_lo, s2
	s_cbranch_vccnz .LBB81_895
; %bb.894:
	global_load_u8 v3, v[0:1], off
	s_waitcnt vmcnt(0)
	v_lshlrev_b32_e32 v4, 25, v3
	v_lshlrev_b16 v3, 8, v3
	s_delay_alu instid0(VALU_DEP_2) | instskip(NEXT) | instid1(VALU_DEP_2)
	v_lshrrev_b32_e32 v5, 4, v4
	v_and_or_b32 v6, 0x7f00, v3, 0.5
	v_bfe_i32 v3, v3, 0, 16
	s_delay_alu instid0(VALU_DEP_3) | instskip(NEXT) | instid1(VALU_DEP_1)
	v_or_b32_e32 v5, 0x70000000, v5
	v_dual_add_f32 v6, -0.5, v6 :: v_dual_mul_f32 v5, 0x7800000, v5
	v_cmp_gt_u32_e32 vcc_lo, 0x8000000, v4
	s_delay_alu instid0(VALU_DEP_2) | instskip(NEXT) | instid1(VALU_DEP_1)
	v_cndmask_b32_e32 v4, v5, v6, vcc_lo
	v_and_or_b32 v3, 0x80000000, v3, v4
	s_delay_alu instid0(VALU_DEP_1)
	v_cvt_f64_f32_e32 v[6:7], v3
.LBB81_895:
	s_mov_b32 s3, 0
	s_mov_b32 s2, -1
.LBB81_896:
	s_and_not1_b32 vcc_lo, exec_lo, s3
	s_mov_b32 s7, 0
	s_cbranch_vccnz .LBB81_905
; %bb.897:
	v_cmp_lt_i16_e32 vcc_lo, 14, v9
	s_cbranch_vccz .LBB81_900
; %bb.898:
	v_cmp_eq_u16_e32 vcc_lo, 15, v9
	s_cbranch_vccz .LBB81_901
; %bb.899:
	global_load_u16 v3, v[0:1], off
	s_mov_b32 s6, 0
	s_mov_b32 s2, -1
	s_waitcnt vmcnt(0)
	v_lshlrev_b32_e32 v3, 16, v3
	s_delay_alu instid0(VALU_DEP_1)
	v_cvt_f64_f32_e32 v[6:7], v3
	s_branch .LBB81_902
.LBB81_900:
	s_mov_b32 s3, -1
                                        ; implicit-def: $vgpr6_vgpr7
	s_branch .LBB81_903
.LBB81_901:
	s_mov_b32 s6, -1
                                        ; implicit-def: $vgpr6_vgpr7
.LBB81_902:
	s_mov_b32 s3, 0
.LBB81_903:
	s_delay_alu instid0(SALU_CYCLE_1)
	s_and_b32 vcc_lo, exec_lo, s3
	s_cbranch_vccz .LBB81_905
; %bb.904:
	v_cmp_ne_u16_e32 vcc_lo, 11, v9
	s_and_not1_b32 s3, s6, exec_lo
	s_mov_b32 s7, -1
                                        ; implicit-def: $vgpr6_vgpr7
	s_and_b32 s6, vcc_lo, exec_lo
	s_delay_alu instid0(SALU_CYCLE_1)
	s_or_b32 s6, s3, s6
.LBB81_905:
	s_mov_b32 s3, 0
.LBB81_906:
	s_and_not1_b32 s8, s22, exec_lo
	s_and_b32 s6, s6, exec_lo
	s_and_b32 s41, s2, exec_lo
	;; [unrolled: 1-line block ×4, first 2 shown]
	s_or_b32 s42, s8, s6
.LBB81_907:
	s_or_b32 exec_lo, exec_lo, s30
	s_waitcnt lgkmcnt(0)
	s_and_not1_b32 s6, s22, exec_lo
	s_and_b32 s7, s42, exec_lo
	s_and_b32 s41, s41, exec_lo
	;; [unrolled: 1-line block ×4, first 2 shown]
	s_or_b32 s22, s6, s7
.LBB81_908:
	s_or_b32 exec_lo, exec_lo, s40
	s_waitcnt lgkmcnt(0)
	s_and_not1_b32 s6, s38, exec_lo
	s_and_b32 s7, s23, exec_lo
	s_and_b32 s40, s41, exec_lo
	s_or_b32 s38, s6, s7
	s_and_not1_b32 s6, s37, exec_lo
	s_and_b32 s7, s22, exec_lo
	s_and_b32 s23, s3, exec_lo
	;; [unrolled: 1-line block ×3, first 2 shown]
	s_or_b32 s37, s6, s7
.LBB81_909:
	s_or_b32 exec_lo, exec_lo, s39
	s_delay_alu instid0(SALU_CYCLE_1)
	s_and_not1_b32 s2, s34, exec_lo
	s_waitcnt lgkmcnt(0)
	s_and_b32 s6, s38, exec_lo
	s_and_b32 s7, s37, exec_lo
	s_or_b32 s34, s2, s6
	s_and_not1_b32 s6, s35, exec_lo
	s_and_b32 s2, s40, exec_lo
	s_and_b32 s22, s23, exec_lo
	;; [unrolled: 1-line block ×3, first 2 shown]
	s_or_b32 s35, s6, s7
.LBB81_910:
	s_or_b32 exec_lo, exec_lo, s36
	s_waitcnt lgkmcnt(0)
	s_mov_b32 s6, 0
	s_and_saveexec_b32 s3, s35
	s_cbranch_execnz .LBB81_922
; %bb.911:
	s_or_b32 exec_lo, exec_lo, s3
	s_and_saveexec_b32 s3, s37
	s_delay_alu instid0(SALU_CYCLE_1)
	s_xor_b32 s3, exec_lo, s3
	s_cbranch_execz .LBB81_913
.LBB81_912:
	global_load_u8 v3, v[0:1], off
	v_mov_b32_e32 v6, 0
	s_or_b32 s2, s2, exec_lo
	s_waitcnt vmcnt(0)
	v_cmp_ne_u16_e32 vcc_lo, 0, v3
	v_cndmask_b32_e64 v7, 0, 0x3ff00000, vcc_lo
.LBB81_913:
	s_or_b32 exec_lo, exec_lo, s3
	s_and_saveexec_b32 s3, s22
	s_cbranch_execz .LBB81_961
; %bb.914:
	v_cmp_gt_i16_e32 vcc_lo, 5, v9
	s_cbranch_vccnz .LBB81_919
; %bb.915:
	v_cmp_gt_i16_e32 vcc_lo, 8, v9
	s_cbranch_vccnz .LBB81_920
	;; [unrolled: 3-line block ×3, first 2 shown]
; %bb.917:
	v_cmp_lt_i16_e32 vcc_lo, 9, v9
	s_cbranch_vccz .LBB81_924
; %bb.918:
	global_load_b64 v[6:7], v[0:1], off
	s_mov_b32 s7, 0
	s_branch .LBB81_925
.LBB81_919:
                                        ; implicit-def: $vgpr6_vgpr7
	s_branch .LBB81_942
.LBB81_920:
                                        ; implicit-def: $vgpr6_vgpr7
	s_branch .LBB81_931
.LBB81_921:
	s_mov_b32 s7, -1
                                        ; implicit-def: $vgpr6_vgpr7
	s_branch .LBB81_928
.LBB81_922:
	s_cbranch_execnz .LBB81_1192
; %bb.923:
	s_mov_b32 s6, exec_lo
	s_and_not1_b32 s37, s37, exec_lo
                                        ; implicit-def: $vgpr6_vgpr7
	s_or_b32 exec_lo, exec_lo, s3
	s_and_saveexec_b32 s3, s37
	s_delay_alu instid0(SALU_CYCLE_1)
	s_xor_b32 s3, exec_lo, s3
	s_cbranch_execnz .LBB81_912
	s_branch .LBB81_913
.LBB81_924:
	s_mov_b32 s7, -1
                                        ; implicit-def: $vgpr6_vgpr7
.LBB81_925:
	s_delay_alu instid0(SALU_CYCLE_1)
	s_and_not1_b32 vcc_lo, exec_lo, s7
	s_cbranch_vccnz .LBB81_927
; %bb.926:
	global_load_b32 v3, v[0:1], off
	s_waitcnt vmcnt(0)
	v_cvt_f64_f32_e32 v[6:7], v3
.LBB81_927:
	s_mov_b32 s7, 0
.LBB81_928:
	s_delay_alu instid0(SALU_CYCLE_1)
	s_and_not1_b32 vcc_lo, exec_lo, s7
	s_cbranch_vccnz .LBB81_930
; %bb.929:
	global_load_b32 v3, v[0:1], off
	s_waitcnt vmcnt(0)
	v_cvt_f32_f16_e32 v3, v3
	s_delay_alu instid0(VALU_DEP_1)
	v_cvt_f64_f32_e32 v[6:7], v3
.LBB81_930:
	s_cbranch_execnz .LBB81_941
.LBB81_931:
	v_cmp_gt_i16_e32 vcc_lo, 6, v9
	s_cbranch_vccnz .LBB81_934
; %bb.932:
	v_cmp_lt_i16_e32 vcc_lo, 6, v9
	s_cbranch_vccz .LBB81_935
; %bb.933:
	global_load_b64 v[6:7], v[0:1], off
	s_mov_b32 s7, 0
	s_branch .LBB81_936
.LBB81_934:
	s_mov_b32 s7, -1
                                        ; implicit-def: $vgpr6_vgpr7
	s_branch .LBB81_939
.LBB81_935:
	s_mov_b32 s7, -1
                                        ; implicit-def: $vgpr6_vgpr7
.LBB81_936:
	s_delay_alu instid0(SALU_CYCLE_1)
	s_and_not1_b32 vcc_lo, exec_lo, s7
	s_cbranch_vccnz .LBB81_938
; %bb.937:
	global_load_b32 v3, v[0:1], off
	s_waitcnt vmcnt(0)
	v_cvt_f64_f32_e32 v[6:7], v3
.LBB81_938:
	s_mov_b32 s7, 0
.LBB81_939:
	s_delay_alu instid0(SALU_CYCLE_1)
	s_and_not1_b32 vcc_lo, exec_lo, s7
	s_cbranch_vccnz .LBB81_941
; %bb.940:
	global_load_u16 v3, v[0:1], off
	s_waitcnt vmcnt(0)
	v_cvt_f32_f16_e32 v3, v3
	s_delay_alu instid0(VALU_DEP_1)
	v_cvt_f64_f32_e32 v[6:7], v3
.LBB81_941:
	s_cbranch_execnz .LBB81_960
.LBB81_942:
	v_cmp_gt_i16_e32 vcc_lo, 2, v9
	s_cbranch_vccnz .LBB81_946
; %bb.943:
	v_cmp_gt_i16_e32 vcc_lo, 3, v9
	s_cbranch_vccnz .LBB81_947
; %bb.944:
	v_cmp_lt_i16_e32 vcc_lo, 3, v9
	s_cbranch_vccz .LBB81_948
; %bb.945:
	global_load_b64 v[3:4], v[0:1], off
	s_mov_b32 s7, 0
	s_waitcnt vmcnt(0)
	v_cvt_f64_i32_e32 v[4:5], v4
	v_cvt_f64_u32_e32 v[6:7], v3
	s_delay_alu instid0(VALU_DEP_2) | instskip(NEXT) | instid1(VALU_DEP_1)
	v_ldexp_f64 v[4:5], v[4:5], 32
	v_add_f64 v[6:7], v[4:5], v[6:7]
	s_branch .LBB81_949
.LBB81_946:
                                        ; implicit-def: $vgpr6_vgpr7
	s_branch .LBB81_955
.LBB81_947:
	s_mov_b32 s7, -1
                                        ; implicit-def: $vgpr6_vgpr7
	s_branch .LBB81_952
.LBB81_948:
	s_mov_b32 s7, -1
                                        ; implicit-def: $vgpr6_vgpr7
.LBB81_949:
	s_delay_alu instid0(SALU_CYCLE_1)
	s_and_not1_b32 vcc_lo, exec_lo, s7
	s_cbranch_vccnz .LBB81_951
; %bb.950:
	global_load_b32 v3, v[0:1], off
	s_waitcnt vmcnt(0)
	v_cvt_f64_i32_e32 v[6:7], v3
.LBB81_951:
	s_mov_b32 s7, 0
.LBB81_952:
	s_delay_alu instid0(SALU_CYCLE_1)
	s_and_not1_b32 vcc_lo, exec_lo, s7
	s_cbranch_vccnz .LBB81_954
; %bb.953:
	global_load_i16 v3, v[0:1], off
	s_waitcnt vmcnt(0)
	v_cvt_f64_i32_e32 v[6:7], v3
.LBB81_954:
	s_cbranch_execnz .LBB81_960
.LBB81_955:
	v_cmp_lt_i16_e32 vcc_lo, 0, v9
	s_mov_b32 s7, 0
	s_cbranch_vccz .LBB81_957
; %bb.956:
	global_load_i8 v3, v[0:1], off
	s_waitcnt vmcnt(0)
	v_cvt_f64_i32_e32 v[6:7], v3
	s_branch .LBB81_958
.LBB81_957:
	s_mov_b32 s7, -1
                                        ; implicit-def: $vgpr6_vgpr7
.LBB81_958:
	s_delay_alu instid0(SALU_CYCLE_1)
	s_and_not1_b32 vcc_lo, exec_lo, s7
	s_cbranch_vccnz .LBB81_960
; %bb.959:
	global_load_u8 v0, v[0:1], off
	s_waitcnt vmcnt(0)
	v_cvt_f64_u32_e32 v[6:7], v0
.LBB81_960:
	s_or_b32 s2, s2, exec_lo
.LBB81_961:
	s_or_b32 exec_lo, exec_lo, s3
	s_mov_b32 s8, 0
	s_mov_b32 s3, 0
                                        ; implicit-def: $vgpr9
                                        ; implicit-def: $vgpr4_vgpr5
                                        ; implicit-def: $vgpr0_vgpr1
	s_and_saveexec_b32 s7, s2
	s_cbranch_execz .LBB81_1038
; %bb.962:
	s_mov_b32 s2, 0x652b82fe
	s_mov_b32 s3, 0x3ff71547
	;; [unrolled: 1-line block ×3, first 2 shown]
	s_waitcnt vmcnt(0)
	s_delay_alu instid0(VALU_DEP_1) | instskip(SKIP_4) | instid1(VALU_DEP_2)
	v_mul_f64 v[0:1], v[6:7], s[2:3]
	s_mov_b32 s2, 0xfefa39ef
	s_mov_b32 s3, 0xbfe62e42
	;; [unrolled: 1-line block ×3, first 2 shown]
	v_cmp_nlt_f64_e32 vcc_lo, 0x40900000, v[6:7]
	v_rndne_f64_e32 v[0:1], v[0:1]
	s_delay_alu instid0(VALU_DEP_1) | instskip(SKIP_3) | instid1(VALU_DEP_2)
	v_fma_f64 v[3:4], v[0:1], s[2:3], v[6:7]
	s_mov_b32 s2, 0x3b39803f
	s_mov_b32 s3, 0xbc7abc9e
	v_cvt_i32_f64_e32 v5, v[0:1]
	v_fma_f64 v[3:4], v[0:1], s[2:3], v[3:4]
	s_mov_b32 s2, 0xfca7ab0c
	s_mov_b32 s3, 0x3e928af3
	s_delay_alu instid0(VALU_DEP_1) | instid1(SALU_CYCLE_1)
	v_fma_f64 v[9:10], v[3:4], s[8:9], s[2:3]
	s_mov_b32 s2, 0x623fde64
	s_mov_b32 s3, 0x3ec71dee
	;; [unrolled: 1-line block ×3, first 2 shown]
	s_delay_alu instid0(VALU_DEP_1)
	v_fma_f64 v[9:10], v[3:4], v[9:10], s[2:3]
	s_mov_b32 s2, 0x7c89e6b0
	s_mov_b32 s3, 0x3efa0199
	s_delay_alu instid0(VALU_DEP_1) | instid1(SALU_CYCLE_1)
	v_fma_f64 v[9:10], v[3:4], v[9:10], s[2:3]
	s_mov_b32 s2, 0x14761f6e
	s_mov_b32 s3, 0x3f2a01a0
	s_delay_alu instid0(VALU_DEP_1) | instid1(SALU_CYCLE_1)
	;; [unrolled: 4-line block ×7, first 2 shown]
	v_fma_f64 v[9:10], v[3:4], v[9:10], s[2:3]
	v_cmp_ngt_f64_e64 s2, 0xc090cc00, v[6:7]
	s_delay_alu instid0(VALU_DEP_2) | instskip(NEXT) | instid1(VALU_DEP_1)
	v_fma_f64 v[9:10], v[3:4], v[9:10], 1.0
	v_fma_f64 v[0:1], v[3:4], v[9:10], 1.0
	v_and_b32_e32 v9, 0xff, v8
	v_add_co_u32 v4, s3, s4, v2
	s_mov_b32 s4, -1
	s_delay_alu instid0(VALU_DEP_3) | instskip(SKIP_2) | instid1(VALU_DEP_3)
	v_ldexp_f64 v[0:1], v[0:1], v5
	v_add_co_ci_u32_e64 v5, null, s5, 0, s3
	v_cmp_gt_i16_e64 s3, 11, v9
	v_cndmask_b32_e32 v1, 0x7ff00000, v1, vcc_lo
	s_and_b32 vcc_lo, s2, vcc_lo
	s_delay_alu instid0(VALU_DEP_4) | instskip(NEXT) | instid1(VALU_DEP_3)
	v_cndmask_b32_e32 v0, 0, v0, vcc_lo
	s_and_b32 vcc_lo, exec_lo, s3
	s_delay_alu instid0(VALU_DEP_2)
	v_cndmask_b32_e64 v1, 0, v1, s2
	s_mov_b32 s2, s34
	s_cbranch_vccnz .LBB81_1037
; %bb.963:
	v_cmp_lt_i16_e32 vcc_lo, 25, v9
	s_mov_b32 s3, -1
	s_mov_b32 s2, s34
	s_cbranch_vccz .LBB81_996
; %bb.964:
	v_cmp_lt_i16_e32 vcc_lo, 28, v9
	s_mov_b32 s2, s34
	s_cbranch_vccz .LBB81_980
; %bb.965:
	v_cmp_lt_i16_e32 vcc_lo, 43, v9
	;; [unrolled: 4-line block ×3, first 2 shown]
	s_mov_b32 s2, s34
	s_cbranch_vccz .LBB81_970
; %bb.967:
	v_cmp_eq_u16_e32 vcc_lo, 46, v9
	s_mov_b32 s2, -1
	s_cbranch_vccz .LBB81_969
; %bb.968:
	v_cvt_f32_f64_e32 v2, v[0:1]
	s_mov_b32 s2, 0
	s_delay_alu instid0(VALU_DEP_1) | instskip(SKIP_1) | instid1(VALU_DEP_2)
	v_bfe_u32 v3, v2, 16, 1
	v_cmp_o_f32_e32 vcc_lo, v2, v2
	v_add3_u32 v3, v2, v3, 0x7fff
	s_delay_alu instid0(VALU_DEP_1) | instskip(NEXT) | instid1(VALU_DEP_1)
	v_lshrrev_b32_e32 v3, 16, v3
	v_cndmask_b32_e32 v2, 0x7fc0, v3, vcc_lo
	global_store_b32 v[4:5], v2, off
.LBB81_969:
	s_mov_b32 s3, 0
.LBB81_970:
	s_delay_alu instid0(SALU_CYCLE_1)
	s_and_b32 vcc_lo, exec_lo, s3
	s_cbranch_vccz .LBB81_975
; %bb.971:
	v_cmp_eq_u16_e32 vcc_lo, 44, v9
	s_mov_b32 s2, -1
	s_cbranch_vccz .LBB81_975
; %bb.972:
	v_cvt_f32_f64_e32 v2, v[0:1]
	v_mov_b32_e32 v3, 0xff
	s_mov_b32 s3, exec_lo
	s_delay_alu instid0(VALU_DEP_2) | instskip(NEXT) | instid1(VALU_DEP_1)
	v_bfe_u32 v6, v2, 23, 8
	v_cmpx_ne_u32_e32 0xff, v6
; %bb.973:
	v_and_b32_e32 v3, 0x400000, v2
	v_and_or_b32 v6, 0x3fffff, v2, v6
	v_lshrrev_b32_e32 v2, 23, v2
	s_delay_alu instid0(VALU_DEP_3) | instskip(NEXT) | instid1(VALU_DEP_3)
	v_cmp_ne_u32_e32 vcc_lo, 0, v3
	v_cmp_ne_u32_e64 s2, 0, v6
	s_delay_alu instid0(VALU_DEP_1) | instskip(NEXT) | instid1(SALU_CYCLE_1)
	s_and_b32 s2, vcc_lo, s2
	v_cndmask_b32_e64 v3, 0, 1, s2
	s_delay_alu instid0(VALU_DEP_1)
	v_add_nc_u32_e32 v3, v2, v3
; %bb.974:
	s_or_b32 exec_lo, exec_lo, s3
	s_mov_b32 s2, 0
	global_store_b8 v[4:5], v3, off
.LBB81_975:
	s_mov_b32 s3, 0
.LBB81_976:
	s_delay_alu instid0(SALU_CYCLE_1)
	s_and_b32 vcc_lo, exec_lo, s3
	s_cbranch_vccz .LBB81_979
; %bb.977:
	v_cmp_eq_u16_e32 vcc_lo, 29, v9
	s_mov_b32 s2, -1
	s_cbranch_vccz .LBB81_979
; %bb.978:
	v_trunc_f64_e32 v[2:3], v[0:1]
	s_mov_b32 s2, 0
	s_delay_alu instid0(VALU_DEP_1) | instskip(NEXT) | instid1(VALU_DEP_1)
	v_ldexp_f64 v[6:7], v[2:3], 0xffffffe0
	v_floor_f64_e32 v[6:7], v[6:7]
	s_delay_alu instid0(VALU_DEP_1) | instskip(SKIP_1) | instid1(VALU_DEP_2)
	v_fma_f64 v[2:3], 0xc1f00000, v[6:7], v[2:3]
	v_cvt_u32_f64_e32 v7, v[6:7]
	v_cvt_u32_f64_e32 v6, v[2:3]
	global_store_b64 v[4:5], v[6:7], off
.LBB81_979:
	s_mov_b32 s3, 0
.LBB81_980:
	s_delay_alu instid0(SALU_CYCLE_1)
	s_and_b32 vcc_lo, exec_lo, s3
	s_cbranch_vccz .LBB81_995
; %bb.981:
	v_cmp_gt_i16_e32 vcc_lo, 27, v9
	s_mov_b32 s3, -1
	s_cbranch_vccnz .LBB81_987
; %bb.982:
	v_cvt_u32_f64_e32 v2, v[0:1]
	v_cmp_lt_i16_e32 vcc_lo, 27, v9
	s_cbranch_vccz .LBB81_984
; %bb.983:
	s_mov_b32 s3, 0
	global_store_b32 v[4:5], v2, off
.LBB81_984:
	s_and_not1_b32 vcc_lo, exec_lo, s3
	s_cbranch_vccnz .LBB81_986
; %bb.985:
	global_store_b16 v[4:5], v2, off
.LBB81_986:
	s_mov_b32 s3, 0
.LBB81_987:
	s_delay_alu instid0(SALU_CYCLE_1)
	s_and_not1_b32 vcc_lo, exec_lo, s3
	s_cbranch_vccnz .LBB81_995
; %bb.988:
	v_cvt_f32_f64_e32 v2, v[0:1]
	v_mov_b32_e32 v6, 0x80
	s_mov_b32 s3, exec_lo
	s_delay_alu instid0(VALU_DEP_2) | instskip(NEXT) | instid1(VALU_DEP_1)
	v_and_b32_e32 v3, 0x7fffffff, v2
	v_cmpx_gt_u32_e32 0x43800000, v3
	s_cbranch_execz .LBB81_994
; %bb.989:
	v_cmp_lt_u32_e32 vcc_lo, 0x3bffffff, v3
	s_mov_b32 s4, 0
                                        ; implicit-def: $vgpr3
	s_and_saveexec_b32 s5, vcc_lo
	s_delay_alu instid0(SALU_CYCLE_1)
	s_xor_b32 s5, exec_lo, s5
	s_cbranch_execz .LBB81_1283
; %bb.990:
	v_bfe_u32 v3, v2, 20, 1
	s_mov_b32 s4, exec_lo
	s_delay_alu instid0(VALU_DEP_1) | instskip(NEXT) | instid1(VALU_DEP_1)
	v_add3_u32 v3, v2, v3, 0x487ffff
	v_lshrrev_b32_e32 v3, 20, v3
	s_or_saveexec_b32 s5, s5
                                        ; implicit-def: $sgpr8
	s_delay_alu instid0(SALU_CYCLE_1)
	s_xor_b32 exec_lo, exec_lo, s5
	s_cbranch_execnz .LBB81_1284
.LBB81_991:
	s_or_b32 exec_lo, exec_lo, s5
	v_mov_b32_e32 v6, s8
	s_and_saveexec_b32 s5, s4
.LBB81_992:
	v_lshrrev_b32_e32 v2, 24, v2
	s_delay_alu instid0(VALU_DEP_1)
	v_and_or_b32 v6, 0x80, v2, v3
.LBB81_993:
	s_or_b32 exec_lo, exec_lo, s5
.LBB81_994:
	s_delay_alu instid0(SALU_CYCLE_1)
	s_or_b32 exec_lo, exec_lo, s3
	global_store_b8 v[4:5], v6, off
.LBB81_995:
	s_mov_b32 s3, 0
.LBB81_996:
	s_delay_alu instid0(SALU_CYCLE_1)
	s_and_b32 vcc_lo, exec_lo, s3
	s_mov_b32 s4, 0
	s_cbranch_vccz .LBB81_1036
; %bb.997:
	v_cmp_lt_i16_e32 vcc_lo, 22, v9
	s_mov_b32 s3, -1
	s_cbranch_vccz .LBB81_1029
; %bb.998:
	v_cmp_gt_i16_e32 vcc_lo, 24, v9
	s_cbranch_vccnz .LBB81_1018
; %bb.999:
	v_cmp_lt_i16_e32 vcc_lo, 24, v9
	s_cbranch_vccz .LBB81_1007
; %bb.1000:
	v_cvt_f32_f64_e32 v2, v[0:1]
	v_mov_b32_e32 v6, 0x80
	s_mov_b32 s3, exec_lo
	s_delay_alu instid0(VALU_DEP_2) | instskip(NEXT) | instid1(VALU_DEP_1)
	v_and_b32_e32 v3, 0x7fffffff, v2
	v_cmpx_gt_u32_e32 0x47800000, v3
	s_cbranch_execz .LBB81_1006
; %bb.1001:
	v_cmp_lt_u32_e32 vcc_lo, 0x37ffffff, v3
	s_mov_b32 s5, 0
                                        ; implicit-def: $vgpr3
	s_and_saveexec_b32 s8, vcc_lo
	s_delay_alu instid0(SALU_CYCLE_1)
	s_xor_b32 s8, exec_lo, s8
	s_cbranch_execz .LBB81_1327
; %bb.1002:
	v_bfe_u32 v3, v2, 21, 1
	s_mov_b32 s5, exec_lo
	s_delay_alu instid0(VALU_DEP_1) | instskip(NEXT) | instid1(VALU_DEP_1)
	v_add3_u32 v3, v2, v3, 0x88fffff
	v_lshrrev_b32_e32 v3, 21, v3
	s_or_saveexec_b32 s8, s8
                                        ; implicit-def: $sgpr9
	s_delay_alu instid0(SALU_CYCLE_1)
	s_xor_b32 exec_lo, exec_lo, s8
	s_cbranch_execnz .LBB81_1328
.LBB81_1003:
	s_or_b32 exec_lo, exec_lo, s8
	v_mov_b32_e32 v6, s9
	s_and_saveexec_b32 s8, s5
.LBB81_1004:
	v_lshrrev_b32_e32 v2, 24, v2
	s_delay_alu instid0(VALU_DEP_1)
	v_and_or_b32 v6, 0x80, v2, v3
.LBB81_1005:
	s_or_b32 exec_lo, exec_lo, s8
.LBB81_1006:
	s_delay_alu instid0(SALU_CYCLE_1)
	s_or_b32 exec_lo, exec_lo, s3
	s_mov_b32 s3, 0
	global_store_b8 v[4:5], v6, off
.LBB81_1007:
	s_and_b32 vcc_lo, exec_lo, s3
	s_cbranch_vccz .LBB81_1017
; %bb.1008:
	v_cvt_f32_f64_e32 v2, v[0:1]
	s_mov_b32 s3, exec_lo
                                        ; implicit-def: $vgpr3
	s_delay_alu instid0(VALU_DEP_1) | instskip(NEXT) | instid1(VALU_DEP_1)
	v_and_b32_e32 v6, 0x7fffffff, v2
	v_cmpx_gt_u32_e32 0x43f00000, v6
	s_xor_b32 s3, exec_lo, s3
	s_cbranch_execz .LBB81_1014
; %bb.1009:
	s_mov_b32 s5, exec_lo
                                        ; implicit-def: $vgpr3
	v_cmpx_lt_u32_e32 0x3c7fffff, v6
	s_xor_b32 s5, exec_lo, s5
; %bb.1010:
	v_bfe_u32 v3, v2, 20, 1
	s_delay_alu instid0(VALU_DEP_1) | instskip(NEXT) | instid1(VALU_DEP_1)
	v_add3_u32 v3, v2, v3, 0x407ffff
	v_and_b32_e32 v6, 0xff00000, v3
	v_lshrrev_b32_e32 v3, 20, v3
	s_delay_alu instid0(VALU_DEP_2) | instskip(NEXT) | instid1(VALU_DEP_2)
	v_cmp_ne_u32_e32 vcc_lo, 0x7f00000, v6
	v_cndmask_b32_e32 v3, 0x7e, v3, vcc_lo
; %bb.1011:
	s_and_not1_saveexec_b32 s5, s5
; %bb.1012:
	v_add_f32_e64 v3, 0x46800000, |v2|
; %bb.1013:
	s_or_b32 exec_lo, exec_lo, s5
                                        ; implicit-def: $vgpr6
.LBB81_1014:
	s_and_not1_saveexec_b32 s3, s3
; %bb.1015:
	v_mov_b32_e32 v3, 0x7f
	v_cmp_lt_u32_e32 vcc_lo, 0x7f800000, v6
	s_delay_alu instid0(VALU_DEP_2)
	v_cndmask_b32_e32 v3, 0x7e, v3, vcc_lo
; %bb.1016:
	s_or_b32 exec_lo, exec_lo, s3
	v_lshrrev_b32_e32 v2, 24, v2
	s_delay_alu instid0(VALU_DEP_1)
	v_and_or_b32 v2, 0x80, v2, v3
	global_store_b8 v[4:5], v2, off
.LBB81_1017:
	s_mov_b32 s3, 0
.LBB81_1018:
	s_delay_alu instid0(SALU_CYCLE_1)
	s_and_not1_b32 vcc_lo, exec_lo, s3
	s_cbranch_vccnz .LBB81_1028
; %bb.1019:
	v_cvt_f32_f64_e32 v2, v[0:1]
	s_mov_b32 s3, exec_lo
                                        ; implicit-def: $vgpr3
	s_delay_alu instid0(VALU_DEP_1) | instskip(NEXT) | instid1(VALU_DEP_1)
	v_and_b32_e32 v6, 0x7fffffff, v2
	v_cmpx_gt_u32_e32 0x47800000, v6
	s_xor_b32 s3, exec_lo, s3
	s_cbranch_execz .LBB81_1025
; %bb.1020:
	s_mov_b32 s5, exec_lo
                                        ; implicit-def: $vgpr3
	v_cmpx_lt_u32_e32 0x387fffff, v6
	s_xor_b32 s5, exec_lo, s5
; %bb.1021:
	v_bfe_u32 v3, v2, 21, 1
	s_delay_alu instid0(VALU_DEP_1) | instskip(NEXT) | instid1(VALU_DEP_1)
	v_add3_u32 v3, v2, v3, 0x80fffff
	v_lshrrev_b32_e32 v3, 21, v3
; %bb.1022:
	s_and_not1_saveexec_b32 s5, s5
; %bb.1023:
	v_add_f32_e64 v3, 0x43000000, |v2|
; %bb.1024:
	s_or_b32 exec_lo, exec_lo, s5
                                        ; implicit-def: $vgpr6
.LBB81_1025:
	s_and_not1_saveexec_b32 s3, s3
; %bb.1026:
	v_mov_b32_e32 v3, 0x7f
	v_cmp_lt_u32_e32 vcc_lo, 0x7f800000, v6
	s_delay_alu instid0(VALU_DEP_2)
	v_cndmask_b32_e32 v3, 0x7c, v3, vcc_lo
; %bb.1027:
	s_or_b32 exec_lo, exec_lo, s3
	v_lshrrev_b32_e32 v2, 24, v2
	s_delay_alu instid0(VALU_DEP_1)
	v_and_or_b32 v2, 0x80, v2, v3
	global_store_b8 v[4:5], v2, off
.LBB81_1028:
	s_mov_b32 s3, 0
.LBB81_1029:
	s_delay_alu instid0(SALU_CYCLE_1)
	s_and_not1_b32 vcc_lo, exec_lo, s3
	s_mov_b32 s8, 0
	s_cbranch_vccnz .LBB81_1037
; %bb.1030:
	v_cmp_lt_i16_e32 vcc_lo, 14, v9
	s_mov_b32 s3, -1
	s_cbranch_vccz .LBB81_1034
; %bb.1031:
	v_cmp_eq_u16_e32 vcc_lo, 15, v9
	s_mov_b32 s2, -1
	s_cbranch_vccz .LBB81_1033
; %bb.1032:
	v_cvt_f32_f64_e32 v2, v[0:1]
	s_mov_b32 s2, 0
	s_delay_alu instid0(VALU_DEP_1) | instskip(SKIP_1) | instid1(VALU_DEP_2)
	v_bfe_u32 v3, v2, 16, 1
	v_cmp_o_f32_e32 vcc_lo, v2, v2
	v_add3_u32 v3, v2, v3, 0x7fff
	s_delay_alu instid0(VALU_DEP_1) | instskip(NEXT) | instid1(VALU_DEP_1)
	v_lshrrev_b32_e32 v3, 16, v3
	v_cndmask_b32_e32 v2, 0x7fc0, v3, vcc_lo
	global_store_b16 v[4:5], v2, off
.LBB81_1033:
	s_mov_b32 s3, 0
.LBB81_1034:
	s_delay_alu instid0(SALU_CYCLE_1)
	s_and_b32 vcc_lo, exec_lo, s3
	s_cbranch_vccz .LBB81_1037
; %bb.1035:
	v_cmp_ne_u16_e32 vcc_lo, 11, v9
	s_and_not1_b32 s2, s2, exec_lo
	s_mov_b32 s8, -1
	s_and_b32 s3, vcc_lo, exec_lo
	s_delay_alu instid0(SALU_CYCLE_1)
	s_or_b32 s2, s2, s3
	s_branch .LBB81_1037
.LBB81_1036:
	s_mov_b32 s8, 0
.LBB81_1037:
	s_and_b32 s3, s4, exec_lo
	s_and_not1_b32 s4, s34, exec_lo
	s_and_b32 s2, s2, exec_lo
	s_and_b32 s8, s8, exec_lo
	s_or_b32 s34, s4, s2
.LBB81_1038:
	s_or_b32 exec_lo, exec_lo, s7
	s_and_saveexec_b32 s2, s34
	s_cbranch_execnz .LBB81_1152
; %bb.1039:
	s_or_b32 exec_lo, exec_lo, s2
	s_and_saveexec_b32 s2, s8
	s_delay_alu instid0(SALU_CYCLE_1)
	s_xor_b32 s2, exec_lo, s2
	s_cbranch_execz .LBB81_1041
.LBB81_1040:
	v_cmp_neq_f64_e32 vcc_lo, 0, v[0:1]
	v_cndmask_b32_e64 v2, 0, 1, vcc_lo
	s_waitcnt vmcnt(0)
	global_store_b8 v[4:5], v2, off
.LBB81_1041:
	s_or_b32 exec_lo, exec_lo, s2
	s_and_saveexec_b32 s2, s3
	s_delay_alu instid0(SALU_CYCLE_1)
	s_xor_b32 s2, exec_lo, s2
	s_cbranch_execz .LBB81_1079
; %bb.1042:
	v_cmp_gt_i16_e32 vcc_lo, 5, v9
	s_mov_b32 s3, -1
	s_cbranch_vccnz .LBB81_1063
; %bb.1043:
	v_cmp_gt_i16_e32 vcc_lo, 8, v9
	s_cbranch_vccnz .LBB81_1053
; %bb.1044:
	v_cmp_gt_i16_e32 vcc_lo, 9, v9
	s_cbranch_vccnz .LBB81_1050
; %bb.1045:
	v_cmp_lt_i16_e32 vcc_lo, 9, v9
	s_cbranch_vccz .LBB81_1047
; %bb.1046:
	v_mov_b32_e32 v2, 0
	s_mov_b32 s3, 0
	s_waitcnt vmcnt(0)
	s_delay_alu instid0(VALU_DEP_1)
	v_mov_b32_e32 v3, v2
	global_store_b128 v[4:5], v[0:3], off
.LBB81_1047:
	s_and_not1_b32 vcc_lo, exec_lo, s3
	s_cbranch_vccnz .LBB81_1049
; %bb.1048:
	v_cvt_f32_f64_e32 v2, v[0:1]
	s_waitcnt vmcnt(0)
	v_mov_b32_e32 v3, 0
	global_store_b64 v[4:5], v[2:3], off
.LBB81_1049:
	s_mov_b32 s3, 0
.LBB81_1050:
	s_delay_alu instid0(SALU_CYCLE_1)
	s_and_not1_b32 vcc_lo, exec_lo, s3
	s_cbranch_vccnz .LBB81_1052
; %bb.1051:
	v_cvt_f32_f64_e32 v2, v[0:1]
	s_delay_alu instid0(VALU_DEP_1) | instskip(NEXT) | instid1(VALU_DEP_1)
	v_cvt_f16_f32_e32 v2, v2
	v_and_b32_e32 v2, 0xffff, v2
	s_waitcnt vmcnt(0)
	global_store_b32 v[4:5], v2, off
.LBB81_1052:
	s_mov_b32 s3, 0
.LBB81_1053:
	s_delay_alu instid0(SALU_CYCLE_1)
	s_and_not1_b32 vcc_lo, exec_lo, s3
	s_cbranch_vccnz .LBB81_1062
; %bb.1054:
	v_cmp_gt_i16_e32 vcc_lo, 6, v9
	s_mov_b32 s3, -1
	s_cbranch_vccnz .LBB81_1060
; %bb.1055:
	v_cmp_lt_i16_e32 vcc_lo, 6, v9
	s_cbranch_vccz .LBB81_1057
; %bb.1056:
	s_mov_b32 s3, 0
	s_waitcnt vmcnt(0)
	global_store_b64 v[4:5], v[0:1], off
.LBB81_1057:
	s_and_not1_b32 vcc_lo, exec_lo, s3
	s_cbranch_vccnz .LBB81_1059
; %bb.1058:
	v_cvt_f32_f64_e32 v2, v[0:1]
	s_waitcnt vmcnt(0)
	global_store_b32 v[4:5], v2, off
.LBB81_1059:
	s_mov_b32 s3, 0
.LBB81_1060:
	s_delay_alu instid0(SALU_CYCLE_1)
	s_and_not1_b32 vcc_lo, exec_lo, s3
	s_cbranch_vccnz .LBB81_1062
; %bb.1061:
	v_cvt_f32_f64_e32 v2, v[0:1]
	s_delay_alu instid0(VALU_DEP_1)
	v_cvt_f16_f32_e32 v2, v2
	s_waitcnt vmcnt(0)
	global_store_b16 v[4:5], v2, off
.LBB81_1062:
	s_mov_b32 s3, 0
.LBB81_1063:
	s_delay_alu instid0(SALU_CYCLE_1)
	s_and_not1_b32 vcc_lo, exec_lo, s3
	s_cbranch_vccnz .LBB81_1079
; %bb.1064:
	v_cmp_gt_i16_e32 vcc_lo, 2, v9
	s_mov_b32 s3, -1
	s_cbranch_vccnz .LBB81_1074
; %bb.1065:
	v_cmp_gt_i16_e32 vcc_lo, 3, v9
	s_cbranch_vccnz .LBB81_1071
; %bb.1066:
	v_cmp_lt_i16_e32 vcc_lo, 3, v9
	s_cbranch_vccz .LBB81_1068
; %bb.1067:
	s_waitcnt vmcnt(0)
	v_trunc_f64_e32 v[2:3], v[0:1]
	s_mov_b32 s3, 0
	s_delay_alu instid0(VALU_DEP_1) | instskip(NEXT) | instid1(VALU_DEP_1)
	v_ldexp_f64 v[6:7], v[2:3], 0xffffffe0
	v_floor_f64_e32 v[6:7], v[6:7]
	s_delay_alu instid0(VALU_DEP_1) | instskip(SKIP_1) | instid1(VALU_DEP_2)
	v_fma_f64 v[2:3], 0xc1f00000, v[6:7], v[2:3]
	v_cvt_i32_f64_e32 v7, v[6:7]
	v_cvt_u32_f64_e32 v6, v[2:3]
	global_store_b64 v[4:5], v[6:7], off
.LBB81_1068:
	s_and_not1_b32 vcc_lo, exec_lo, s3
	s_cbranch_vccnz .LBB81_1070
; %bb.1069:
	v_cvt_i32_f64_e32 v2, v[0:1]
	s_waitcnt vmcnt(0)
	global_store_b32 v[4:5], v2, off
.LBB81_1070:
	s_mov_b32 s3, 0
.LBB81_1071:
	s_delay_alu instid0(SALU_CYCLE_1)
	s_and_not1_b32 vcc_lo, exec_lo, s3
	s_cbranch_vccnz .LBB81_1073
; %bb.1072:
	v_cvt_i32_f64_e32 v2, v[0:1]
	s_waitcnt vmcnt(0)
	global_store_b16 v[4:5], v2, off
.LBB81_1073:
	s_mov_b32 s3, 0
.LBB81_1074:
	s_delay_alu instid0(SALU_CYCLE_1)
	s_and_not1_b32 vcc_lo, exec_lo, s3
	s_cbranch_vccnz .LBB81_1079
; %bb.1075:
	v_cmp_lt_i16_e32 vcc_lo, 0, v9
	s_mov_b32 s3, -1
	s_cbranch_vccz .LBB81_1077
; %bb.1076:
	v_cvt_i32_f64_e32 v2, v[0:1]
	s_mov_b32 s3, 0
	s_waitcnt vmcnt(0)
	global_store_b8 v[4:5], v2, off
.LBB81_1077:
	s_and_not1_b32 vcc_lo, exec_lo, s3
	s_cbranch_vccnz .LBB81_1079
; %bb.1078:
	v_trunc_f64_e32 v[0:1], v[0:1]
	s_waitcnt vmcnt(0)
	s_delay_alu instid0(VALU_DEP_1) | instskip(NEXT) | instid1(VALU_DEP_1)
	v_ldexp_f64 v[2:3], v[0:1], 0xffffffe0
	v_floor_f64_e32 v[2:3], v[2:3]
	s_delay_alu instid0(VALU_DEP_1) | instskip(NEXT) | instid1(VALU_DEP_1)
	v_fma_f64 v[0:1], 0xc1f00000, v[2:3], v[0:1]
	v_cvt_u32_f64_e32 v0, v[0:1]
	global_store_b8 v[4:5], v0, off
.LBB81_1079:
	s_or_b32 exec_lo, exec_lo, s2
	s_delay_alu instid0(SALU_CYCLE_1)
	s_and_b32 s8, s6, exec_lo
                                        ; implicit-def: $vgpr2
                                        ; implicit-def: $vgpr10
.LBB81_1080:
	s_or_saveexec_b32 s9, s28
	s_mov_b32 s4, 0
                                        ; implicit-def: $vgpr4_vgpr5
                                        ; implicit-def: $vgpr15
                                        ; implicit-def: $vgpr0_vgpr1
	s_xor_b32 exec_lo, exec_lo, s9
	s_cbranch_execz .LBB81_2096
; %bb.1081:
	s_waitcnt vmcnt(0)
	v_cndmask_b32_e64 v3, 0, 1, s27
	s_and_not1_b32 vcc_lo, exec_lo, s27
	s_cbranch_vccnz .LBB81_1087
; %bb.1082:
	v_dual_mov_b32 v0, 0 :: v_dual_mov_b32 v1, 0
	s_cmp_lg_u32 s24, 0
	s_mov_b32 s6, 0
	s_cbranch_scc0 .LBB81_1091
; %bb.1083:
	s_min_u32 s7, s25, 15
	v_mov_b32_e32 v0, 0
	s_add_i32 s7, s7, 1
	s_cmp_eq_u32 s25, 2
	s_mov_b32 s10, 0
	s_cbranch_scc1 .LBB81_1088
; %bb.1084:
	v_dual_mov_b32 v1, 0 :: v_dual_mov_b32 v0, 0
	v_mov_b32_e32 v4, v10
	s_add_u32 s2, s16, 0xc4
	s_addc_u32 s3, s17, 0
	s_and_b32 s10, s7, 28
	s_mov_b32 s11, 0
	s_mov_b64 s[4:5], s[16:17]
.LBB81_1085:                            ; =>This Inner Loop Header: Depth=1
	s_clause 0x1
	s_load_b256 s[36:43], s[4:5], 0x4
	s_load_b128 s[12:15], s[4:5], 0x24
	s_load_b256 s[44:51], s[2:3], 0x0
	s_add_u32 s4, s4, 48
	s_addc_u32 s5, s5, 0
	s_add_i32 s11, s11, 4
	s_add_u32 s2, s2, 32
	s_addc_u32 s3, s3, 0
	s_cmp_lg_u32 s10, s11
	s_waitcnt lgkmcnt(0)
	v_mul_hi_u32 v5, s37, v4
	s_delay_alu instid0(VALU_DEP_1) | instskip(NEXT) | instid1(VALU_DEP_1)
	v_add_nc_u32_e32 v5, v4, v5
	v_lshrrev_b32_e32 v5, s38, v5
	s_delay_alu instid0(VALU_DEP_1) | instskip(SKIP_1) | instid1(VALU_DEP_2)
	v_mul_hi_u32 v6, s40, v5
	v_mul_lo_u32 v8, v5, s36
	v_add_nc_u32_e32 v6, v5, v6
	s_delay_alu instid0(VALU_DEP_2) | instskip(NEXT) | instid1(VALU_DEP_2)
	v_sub_nc_u32_e32 v4, v4, v8
	v_lshrrev_b32_e32 v6, s41, v6
	s_delay_alu instid0(VALU_DEP_2) | instskip(SKIP_1) | instid1(VALU_DEP_3)
	v_mul_lo_u32 v8, v4, s44
	v_mul_lo_u32 v11, v4, s45
	v_mul_hi_u32 v7, s43, v6
	s_delay_alu instid0(VALU_DEP_1) | instskip(NEXT) | instid1(VALU_DEP_1)
	v_add_nc_u32_e32 v7, v6, v7
	v_lshrrev_b32_e32 v7, s12, v7
	s_delay_alu instid0(VALU_DEP_1) | instskip(SKIP_1) | instid1(VALU_DEP_2)
	v_mul_hi_u32 v9, s14, v7
	v_mul_lo_u32 v12, v7, s42
	v_add_nc_u32_e32 v4, v7, v9
	v_mul_lo_u32 v9, v6, s39
	s_delay_alu instid0(VALU_DEP_3) | instskip(NEXT) | instid1(VALU_DEP_3)
	v_sub_nc_u32_e32 v6, v6, v12
	v_lshrrev_b32_e32 v4, s15, v4
	s_delay_alu instid0(VALU_DEP_2) | instskip(SKIP_2) | instid1(VALU_DEP_4)
	v_mul_lo_u32 v12, v6, s48
	v_mul_lo_u32 v6, v6, s49
	v_sub_nc_u32_e32 v5, v5, v9
	v_mul_lo_u32 v13, v4, s13
	s_delay_alu instid0(VALU_DEP_2) | instskip(SKIP_1) | instid1(VALU_DEP_3)
	v_mul_lo_u32 v9, v5, s46
	v_mul_lo_u32 v5, v5, s47
	v_sub_nc_u32_e32 v7, v7, v13
	s_delay_alu instid0(VALU_DEP_3) | instskip(NEXT) | instid1(VALU_DEP_2)
	v_add3_u32 v0, v8, v0, v9
	v_mul_lo_u32 v13, v7, s50
	v_mul_lo_u32 v7, v7, s51
	v_add3_u32 v1, v11, v1, v5
	s_delay_alu instid0(VALU_DEP_3) | instskip(NEXT) | instid1(VALU_DEP_2)
	v_add3_u32 v0, v12, v0, v13
	v_add3_u32 v1, v6, v1, v7
	s_cbranch_scc1 .LBB81_1085
; %bb.1086:
	s_and_b32 s7, s7, 3
	s_delay_alu instid0(SALU_CYCLE_1)
	s_cmp_eq_u32 s7, 0
	s_cbranch_scc0 .LBB81_1089
	s_branch .LBB81_1091
.LBB81_1087:
	s_mov_b32 s6, -1
                                        ; implicit-def: $vgpr0
                                        ; implicit-def: $vgpr1
	s_branch .LBB81_1091
.LBB81_1088:
	v_dual_mov_b32 v4, v10 :: v_dual_mov_b32 v1, 0
	s_and_b32 s7, s7, 3
	s_delay_alu instid0(SALU_CYCLE_1)
	s_cmp_eq_u32 s7, 0
	s_cbranch_scc1 .LBB81_1091
.LBB81_1089:
	s_lshl_b32 s2, s10, 3
	s_mul_i32 s4, s10, 12
	s_add_u32 s2, s2, s16
	s_addc_u32 s3, 0, s17
	s_add_u32 s2, s2, 0xc4
	s_addc_u32 s3, s3, 0
	s_add_u32 s4, s16, s4
	s_addc_u32 s5, 0, s17
	.p2align	6
.LBB81_1090:                            ; =>This Inner Loop Header: Depth=1
	s_clause 0x1
	s_load_b64 s[10:11], s[4:5], 0x4
	s_load_b32 s14, s[4:5], 0xc
	s_load_b64 s[12:13], s[2:3], 0x0
	s_add_u32 s4, s4, 12
	s_addc_u32 s5, s5, 0
	s_add_u32 s2, s2, 8
	s_addc_u32 s3, s3, 0
	s_add_i32 s7, s7, -1
	s_delay_alu instid0(SALU_CYCLE_1) | instskip(SKIP_2) | instid1(VALU_DEP_1)
	s_cmp_lg_u32 s7, 0
	s_waitcnt lgkmcnt(0)
	v_mul_hi_u32 v5, s11, v4
	v_add_nc_u32_e32 v5, v4, v5
	s_delay_alu instid0(VALU_DEP_1) | instskip(NEXT) | instid1(VALU_DEP_1)
	v_lshrrev_b32_e32 v8, s14, v5
	v_mul_lo_u32 v5, v8, s10
	s_delay_alu instid0(VALU_DEP_1) | instskip(NEXT) | instid1(VALU_DEP_1)
	v_sub_nc_u32_e32 v4, v4, v5
	v_mad_u64_u32 v[5:6], null, v4, s12, v[0:1]
	v_mad_u64_u32 v[6:7], null, v4, s13, v[1:2]
	v_mov_b32_e32 v4, v8
	s_delay_alu instid0(VALU_DEP_2)
	v_dual_mov_b32 v0, v5 :: v_dual_mov_b32 v1, v6
	s_cbranch_scc1 .LBB81_1090
.LBB81_1091:
	s_and_not1_b32 vcc_lo, exec_lo, s6
	s_cbranch_vccnz .LBB81_1094
; %bb.1092:
	s_clause 0x1
	s_load_b128 s[4:7], s[16:17], 0x4
	s_load_b64 s[2:3], s[16:17], 0xc4
	s_cmp_lt_u32 s24, 2
	s_waitcnt lgkmcnt(0)
	v_mul_hi_u32 v0, s5, v10
	s_delay_alu instid0(VALU_DEP_1) | instskip(NEXT) | instid1(VALU_DEP_1)
	v_add_nc_u32_e32 v0, v10, v0
	v_lshrrev_b32_e32 v4, s6, v0
	s_delay_alu instid0(VALU_DEP_1) | instskip(NEXT) | instid1(VALU_DEP_1)
	v_mul_lo_u32 v0, v4, s4
	v_sub_nc_u32_e32 v1, v10, v0
	s_delay_alu instid0(VALU_DEP_1)
	v_mul_lo_u32 v0, v1, s2
	v_mul_lo_u32 v1, v1, s3
	s_cbranch_scc1 .LBB81_1094
; %bb.1093:
	s_clause 0x1
	s_load_b128 s[4:7], s[16:17], 0x10
	s_load_b64 s[2:3], s[16:17], 0xcc
	s_waitcnt lgkmcnt(0)
	v_mul_hi_u32 v5, s5, v4
	s_delay_alu instid0(VALU_DEP_1) | instskip(NEXT) | instid1(VALU_DEP_1)
	v_add_nc_u32_e32 v5, v4, v5
	v_lshrrev_b32_e32 v5, s6, v5
	s_delay_alu instid0(VALU_DEP_1) | instskip(NEXT) | instid1(VALU_DEP_1)
	v_mul_lo_u32 v5, v5, s4
	v_sub_nc_u32_e32 v7, v4, v5
	s_delay_alu instid0(VALU_DEP_1) | instskip(SKIP_1) | instid1(VALU_DEP_1)
	v_mad_u64_u32 v[4:5], null, v7, s2, v[0:1]
	v_mad_u64_u32 v[5:6], null, v7, s3, v[1:2]
	v_dual_mov_b32 v0, v4 :: v_dual_mov_b32 v1, v5
.LBB81_1094:
	v_cmp_ne_u32_e32 vcc_lo, 1, v3
	v_add_nc_u32_e32 v4, 0x80, v10
	s_cbranch_vccnz .LBB81_1100
; %bb.1095:
	v_mov_b32_e32 v6, 0
	v_mov_b32_e32 v8, 0
	s_cmp_lg_u32 s24, 0
	s_mov_b32 s6, 0
	s_cbranch_scc0 .LBB81_1104
; %bb.1096:
	s_min_u32 s7, s25, 15
	v_mov_b32_e32 v6, 0
	s_add_i32 s7, s7, 1
	s_cmp_eq_u32 s25, 2
	s_mov_b32 s10, 0
	s_cbranch_scc1 .LBB81_1101
; %bb.1097:
	v_dual_mov_b32 v8, 0 :: v_dual_mov_b32 v5, v4
	v_mov_b32_e32 v6, 0
	s_add_u32 s2, s16, 0xc4
	s_addc_u32 s3, s17, 0
	s_and_b32 s10, s7, 28
	s_mov_b32 s11, 0
	s_mov_b64 s[4:5], s[16:17]
.LBB81_1098:                            ; =>This Inner Loop Header: Depth=1
	s_clause 0x1
	s_load_b256 s[36:43], s[4:5], 0x4
	s_load_b128 s[12:15], s[4:5], 0x24
	s_load_b256 s[44:51], s[2:3], 0x0
	s_add_u32 s4, s4, 48
	s_addc_u32 s5, s5, 0
	s_add_i32 s11, s11, 4
	s_add_u32 s2, s2, 32
	s_addc_u32 s3, s3, 0
	s_cmp_lg_u32 s10, s11
	s_waitcnt lgkmcnt(0)
	v_mul_hi_u32 v7, s37, v5
	s_delay_alu instid0(VALU_DEP_1) | instskip(NEXT) | instid1(VALU_DEP_1)
	v_add_nc_u32_e32 v7, v5, v7
	v_lshrrev_b32_e32 v7, s38, v7
	s_delay_alu instid0(VALU_DEP_1) | instskip(SKIP_1) | instid1(VALU_DEP_2)
	v_mul_hi_u32 v9, s40, v7
	v_mul_lo_u32 v12, v7, s36
	v_add_nc_u32_e32 v9, v7, v9
	s_delay_alu instid0(VALU_DEP_2) | instskip(NEXT) | instid1(VALU_DEP_2)
	v_sub_nc_u32_e32 v5, v5, v12
	v_lshrrev_b32_e32 v9, s41, v9
	s_delay_alu instid0(VALU_DEP_2) | instskip(SKIP_1) | instid1(VALU_DEP_3)
	v_mul_lo_u32 v12, v5, s44
	v_mul_lo_u32 v14, v5, s45
	v_mul_hi_u32 v11, s43, v9
	s_delay_alu instid0(VALU_DEP_1) | instskip(NEXT) | instid1(VALU_DEP_1)
	v_add_nc_u32_e32 v11, v9, v11
	v_lshrrev_b32_e32 v11, s12, v11
	s_delay_alu instid0(VALU_DEP_1) | instskip(SKIP_1) | instid1(VALU_DEP_2)
	v_mul_hi_u32 v13, s14, v11
	v_mul_lo_u32 v15, v11, s42
	v_add_nc_u32_e32 v5, v11, v13
	v_mul_lo_u32 v13, v9, s39
	s_delay_alu instid0(VALU_DEP_3) | instskip(NEXT) | instid1(VALU_DEP_3)
	v_sub_nc_u32_e32 v9, v9, v15
	v_lshrrev_b32_e32 v5, s15, v5
	s_delay_alu instid0(VALU_DEP_2) | instskip(SKIP_2) | instid1(VALU_DEP_4)
	v_mul_lo_u32 v15, v9, s48
	v_mul_lo_u32 v9, v9, s49
	v_sub_nc_u32_e32 v7, v7, v13
	v_mul_lo_u32 v16, v5, s13
	s_delay_alu instid0(VALU_DEP_2) | instskip(SKIP_1) | instid1(VALU_DEP_3)
	v_mul_lo_u32 v13, v7, s46
	v_mul_lo_u32 v7, v7, s47
	v_sub_nc_u32_e32 v11, v11, v16
	s_delay_alu instid0(VALU_DEP_3) | instskip(NEXT) | instid1(VALU_DEP_2)
	v_add3_u32 v6, v12, v6, v13
	v_mul_lo_u32 v16, v11, s50
	v_mul_lo_u32 v11, v11, s51
	v_add3_u32 v7, v14, v8, v7
	s_delay_alu instid0(VALU_DEP_3) | instskip(NEXT) | instid1(VALU_DEP_2)
	v_add3_u32 v6, v15, v6, v16
	v_add3_u32 v8, v9, v7, v11
	s_cbranch_scc1 .LBB81_1098
; %bb.1099:
	s_and_b32 s7, s7, 3
	s_delay_alu instid0(SALU_CYCLE_1)
	s_cmp_eq_u32 s7, 0
	s_cbranch_scc0 .LBB81_1102
	s_branch .LBB81_1104
.LBB81_1100:
	s_mov_b32 s6, -1
                                        ; implicit-def: $vgpr6
                                        ; implicit-def: $vgpr8
	s_branch .LBB81_1104
.LBB81_1101:
	v_dual_mov_b32 v5, v4 :: v_dual_mov_b32 v8, 0
	s_and_b32 s7, s7, 3
	s_delay_alu instid0(SALU_CYCLE_1)
	s_cmp_eq_u32 s7, 0
	s_cbranch_scc1 .LBB81_1104
.LBB81_1102:
	s_lshl_b32 s2, s10, 3
	s_mul_i32 s4, s10, 12
	s_add_u32 s2, s2, s16
	s_addc_u32 s3, 0, s17
	s_add_u32 s2, s2, 0xc4
	s_addc_u32 s3, s3, 0
	;; [unrolled: 2-line block ×3, first 2 shown]
	.p2align	6
.LBB81_1103:                            ; =>This Inner Loop Header: Depth=1
	s_clause 0x1
	s_load_b64 s[10:11], s[4:5], 0x4
	s_load_b32 s14, s[4:5], 0xc
	s_load_b64 s[12:13], s[2:3], 0x0
	s_add_u32 s4, s4, 12
	s_addc_u32 s5, s5, 0
	s_add_u32 s2, s2, 8
	s_addc_u32 s3, s3, 0
	s_add_i32 s7, s7, -1
	s_delay_alu instid0(SALU_CYCLE_1) | instskip(SKIP_2) | instid1(VALU_DEP_1)
	s_cmp_lg_u32 s7, 0
	s_waitcnt lgkmcnt(0)
	v_mul_hi_u32 v7, s11, v5
	v_add_nc_u32_e32 v7, v5, v7
	s_delay_alu instid0(VALU_DEP_1) | instskip(NEXT) | instid1(VALU_DEP_1)
	v_lshrrev_b32_e32 v7, s14, v7
	v_mul_lo_u32 v9, v7, s10
	s_delay_alu instid0(VALU_DEP_1) | instskip(NEXT) | instid1(VALU_DEP_1)
	v_sub_nc_u32_e32 v5, v5, v9
	v_mad_u64_u32 v[11:12], null, v5, s12, v[6:7]
	v_mad_u64_u32 v[12:13], null, v5, s13, v[8:9]
	v_mov_b32_e32 v5, v7
	s_delay_alu instid0(VALU_DEP_3) | instskip(NEXT) | instid1(VALU_DEP_3)
	v_mov_b32_e32 v6, v11
	v_mov_b32_e32 v8, v12
	s_cbranch_scc1 .LBB81_1103
.LBB81_1104:
	s_and_not1_b32 vcc_lo, exec_lo, s6
	s_cbranch_vccnz .LBB81_1107
; %bb.1105:
	s_clause 0x1
	s_load_b128 s[4:7], s[16:17], 0x4
	s_load_b64 s[2:3], s[16:17], 0xc4
	s_cmp_lt_u32 s24, 2
	s_waitcnt lgkmcnt(0)
	v_mul_hi_u32 v5, s5, v4
	s_delay_alu instid0(VALU_DEP_1) | instskip(NEXT) | instid1(VALU_DEP_1)
	v_add_nc_u32_e32 v5, v4, v5
	v_lshrrev_b32_e32 v5, s6, v5
	s_delay_alu instid0(VALU_DEP_1) | instskip(NEXT) | instid1(VALU_DEP_1)
	v_mul_lo_u32 v6, v5, s4
	v_sub_nc_u32_e32 v4, v4, v6
	s_delay_alu instid0(VALU_DEP_1)
	v_mul_lo_u32 v6, v4, s2
	v_mul_lo_u32 v8, v4, s3
	s_cbranch_scc1 .LBB81_1107
; %bb.1106:
	s_clause 0x1
	s_load_b128 s[4:7], s[16:17], 0x10
	s_load_b64 s[2:3], s[16:17], 0xcc
	s_waitcnt lgkmcnt(0)
	v_mul_hi_u32 v4, s5, v5
	s_delay_alu instid0(VALU_DEP_1) | instskip(NEXT) | instid1(VALU_DEP_1)
	v_add_nc_u32_e32 v4, v5, v4
	v_lshrrev_b32_e32 v4, s6, v4
	s_delay_alu instid0(VALU_DEP_1) | instskip(NEXT) | instid1(VALU_DEP_1)
	v_mul_lo_u32 v4, v4, s4
	v_sub_nc_u32_e32 v7, v5, v4
	s_delay_alu instid0(VALU_DEP_1) | instskip(SKIP_1) | instid1(VALU_DEP_2)
	v_mad_u64_u32 v[4:5], null, v7, s2, v[6:7]
	v_mad_u64_u32 v[5:6], null, v7, s3, v[8:9]
	v_mov_b32_e32 v6, v4
	s_delay_alu instid0(VALU_DEP_2)
	v_mov_b32_e32 v8, v5
.LBB81_1107:
	v_cmp_ne_u32_e32 vcc_lo, 1, v3
	v_add_nc_u32_e32 v4, 0x100, v10
	s_cbranch_vccnz .LBB81_1113
; %bb.1108:
	v_mov_b32_e32 v5, 0
	v_mov_b32_e32 v7, 0
	s_cmp_lg_u32 s24, 0
	s_mov_b32 s6, 0
	s_cbranch_scc0 .LBB81_1117
; %bb.1109:
	s_min_u32 s7, s25, 15
	v_mov_b32_e32 v5, 0
	s_add_i32 s7, s7, 1
	s_cmp_eq_u32 s25, 2
	s_mov_b32 s10, 0
	s_cbranch_scc1 .LBB81_1114
; %bb.1110:
	v_mov_b32_e32 v7, 0
	v_mov_b32_e32 v5, 0
	;; [unrolled: 1-line block ×3, first 2 shown]
	s_add_u32 s2, s16, 0xc4
	s_addc_u32 s3, s17, 0
	s_and_b32 s10, s7, 28
	s_mov_b32 s11, 0
	s_mov_b64 s[4:5], s[16:17]
.LBB81_1111:                            ; =>This Inner Loop Header: Depth=1
	s_clause 0x1
	s_load_b256 s[36:43], s[4:5], 0x4
	s_load_b128 s[12:15], s[4:5], 0x24
	s_load_b256 s[44:51], s[2:3], 0x0
	s_add_u32 s4, s4, 48
	s_addc_u32 s5, s5, 0
	s_add_i32 s11, s11, 4
	s_add_u32 s2, s2, 32
	s_addc_u32 s3, s3, 0
	s_cmp_lg_u32 s10, s11
	s_waitcnt lgkmcnt(0)
	v_mul_hi_u32 v10, s37, v9
	s_delay_alu instid0(VALU_DEP_1) | instskip(NEXT) | instid1(VALU_DEP_1)
	v_add_nc_u32_e32 v10, v9, v10
	v_lshrrev_b32_e32 v10, s38, v10
	s_delay_alu instid0(VALU_DEP_1) | instskip(SKIP_1) | instid1(VALU_DEP_2)
	v_mul_hi_u32 v11, s40, v10
	v_mul_lo_u32 v13, v10, s36
	v_add_nc_u32_e32 v11, v10, v11
	s_delay_alu instid0(VALU_DEP_2) | instskip(NEXT) | instid1(VALU_DEP_2)
	v_sub_nc_u32_e32 v9, v9, v13
	v_lshrrev_b32_e32 v11, s41, v11
	s_delay_alu instid0(VALU_DEP_2) | instskip(SKIP_1) | instid1(VALU_DEP_3)
	v_mul_lo_u32 v13, v9, s44
	v_mul_lo_u32 v15, v9, s45
	v_mul_hi_u32 v12, s43, v11
	s_delay_alu instid0(VALU_DEP_1) | instskip(NEXT) | instid1(VALU_DEP_1)
	v_add_nc_u32_e32 v12, v11, v12
	v_lshrrev_b32_e32 v12, s12, v12
	s_delay_alu instid0(VALU_DEP_1) | instskip(SKIP_1) | instid1(VALU_DEP_2)
	v_mul_hi_u32 v14, s14, v12
	v_mul_lo_u32 v16, v12, s42
	v_add_nc_u32_e32 v9, v12, v14
	v_mul_lo_u32 v14, v11, s39
	s_delay_alu instid0(VALU_DEP_3) | instskip(NEXT) | instid1(VALU_DEP_3)
	v_sub_nc_u32_e32 v11, v11, v16
	v_lshrrev_b32_e32 v9, s15, v9
	s_delay_alu instid0(VALU_DEP_2) | instskip(SKIP_2) | instid1(VALU_DEP_4)
	v_mul_lo_u32 v16, v11, s48
	v_mul_lo_u32 v11, v11, s49
	v_sub_nc_u32_e32 v10, v10, v14
	v_mul_lo_u32 v17, v9, s13
	s_delay_alu instid0(VALU_DEP_2) | instskip(SKIP_1) | instid1(VALU_DEP_3)
	v_mul_lo_u32 v14, v10, s46
	v_mul_lo_u32 v10, v10, s47
	v_sub_nc_u32_e32 v12, v12, v17
	s_delay_alu instid0(VALU_DEP_3) | instskip(NEXT) | instid1(VALU_DEP_2)
	v_add3_u32 v5, v13, v5, v14
	v_mul_lo_u32 v17, v12, s50
	v_mul_lo_u32 v12, v12, s51
	v_add3_u32 v7, v15, v7, v10
	s_delay_alu instid0(VALU_DEP_3) | instskip(NEXT) | instid1(VALU_DEP_2)
	v_add3_u32 v5, v16, v5, v17
	v_add3_u32 v7, v11, v7, v12
	s_cbranch_scc1 .LBB81_1111
; %bb.1112:
	s_and_b32 s7, s7, 3
	s_delay_alu instid0(SALU_CYCLE_1)
	s_cmp_eq_u32 s7, 0
	s_cbranch_scc0 .LBB81_1115
	s_branch .LBB81_1117
.LBB81_1113:
	s_mov_b32 s6, -1
                                        ; implicit-def: $vgpr5
                                        ; implicit-def: $vgpr7
	s_branch .LBB81_1117
.LBB81_1114:
	v_mov_b32_e32 v9, v4
	v_mov_b32_e32 v7, 0
	s_and_b32 s7, s7, 3
	s_delay_alu instid0(SALU_CYCLE_1)
	s_cmp_eq_u32 s7, 0
	s_cbranch_scc1 .LBB81_1117
.LBB81_1115:
	s_lshl_b32 s2, s10, 3
	s_mul_i32 s4, s10, 12
	s_add_u32 s2, s2, s16
	s_addc_u32 s3, 0, s17
	s_add_u32 s2, s2, 0xc4
	s_addc_u32 s3, s3, 0
	s_add_u32 s4, s16, s4
	s_addc_u32 s5, 0, s17
	.p2align	6
.LBB81_1116:                            ; =>This Inner Loop Header: Depth=1
	s_clause 0x1
	s_load_b64 s[10:11], s[4:5], 0x4
	s_load_b32 s14, s[4:5], 0xc
	s_load_b64 s[12:13], s[2:3], 0x0
	s_add_u32 s4, s4, 12
	s_addc_u32 s5, s5, 0
	s_add_u32 s2, s2, 8
	s_addc_u32 s3, s3, 0
	s_add_i32 s7, s7, -1
	s_delay_alu instid0(SALU_CYCLE_1) | instskip(SKIP_2) | instid1(VALU_DEP_1)
	s_cmp_lg_u32 s7, 0
	s_waitcnt lgkmcnt(0)
	v_mul_hi_u32 v10, s11, v9
	v_add_nc_u32_e32 v10, v9, v10
	s_delay_alu instid0(VALU_DEP_1) | instskip(NEXT) | instid1(VALU_DEP_1)
	v_lshrrev_b32_e32 v13, s14, v10
	v_mul_lo_u32 v10, v13, s10
	s_delay_alu instid0(VALU_DEP_1) | instskip(NEXT) | instid1(VALU_DEP_1)
	v_sub_nc_u32_e32 v9, v9, v10
	v_mad_u64_u32 v[10:11], null, v9, s12, v[5:6]
	v_mad_u64_u32 v[11:12], null, v9, s13, v[7:8]
	v_mov_b32_e32 v9, v13
	s_delay_alu instid0(VALU_DEP_3) | instskip(NEXT) | instid1(VALU_DEP_3)
	v_mov_b32_e32 v5, v10
	v_mov_b32_e32 v7, v11
	s_cbranch_scc1 .LBB81_1116
.LBB81_1117:
	s_and_not1_b32 vcc_lo, exec_lo, s6
	s_cbranch_vccnz .LBB81_1120
; %bb.1118:
	s_clause 0x1
	s_load_b128 s[4:7], s[16:17], 0x4
	s_load_b64 s[2:3], s[16:17], 0xc4
	s_cmp_lt_u32 s24, 2
	s_waitcnt lgkmcnt(0)
	v_mul_hi_u32 v5, s5, v4
	s_delay_alu instid0(VALU_DEP_1) | instskip(NEXT) | instid1(VALU_DEP_1)
	v_add_nc_u32_e32 v5, v4, v5
	v_lshrrev_b32_e32 v9, s6, v5
	s_delay_alu instid0(VALU_DEP_1) | instskip(NEXT) | instid1(VALU_DEP_1)
	v_mul_lo_u32 v5, v9, s4
	v_sub_nc_u32_e32 v4, v4, v5
	s_delay_alu instid0(VALU_DEP_1)
	v_mul_lo_u32 v5, v4, s2
	v_mul_lo_u32 v7, v4, s3
	s_cbranch_scc1 .LBB81_1120
; %bb.1119:
	s_clause 0x1
	s_load_b128 s[4:7], s[16:17], 0x10
	s_load_b64 s[2:3], s[16:17], 0xcc
	s_waitcnt lgkmcnt(0)
	v_mul_hi_u32 v4, s5, v9
	s_delay_alu instid0(VALU_DEP_1) | instskip(NEXT) | instid1(VALU_DEP_1)
	v_add_nc_u32_e32 v4, v9, v4
	v_lshrrev_b32_e32 v4, s6, v4
	s_delay_alu instid0(VALU_DEP_1) | instskip(NEXT) | instid1(VALU_DEP_1)
	v_mul_lo_u32 v4, v4, s4
	v_sub_nc_u32_e32 v11, v9, v4
	s_delay_alu instid0(VALU_DEP_1) | instskip(SKIP_1) | instid1(VALU_DEP_2)
	v_mad_u64_u32 v[9:10], null, v11, s2, v[5:6]
	v_mad_u64_u32 v[4:5], null, v11, s3, v[7:8]
	v_mov_b32_e32 v5, v9
	s_delay_alu instid0(VALU_DEP_2)
	v_mov_b32_e32 v7, v4
.LBB81_1120:
	v_cmp_ne_u32_e32 vcc_lo, 1, v3
	s_cbranch_vccnz .LBB81_1126
; %bb.1121:
	v_dual_mov_b32 v4, 0 :: v_dual_mov_b32 v3, 0
	s_cmp_lg_u32 s24, 0
	s_mov_b32 s6, 0
	s_cbranch_scc0 .LBB81_1130
; %bb.1122:
	s_min_u32 s7, s25, 15
	v_mov_b32_e32 v4, 0
	s_add_i32 s7, s7, 1
	s_cmp_eq_u32 s25, 2
	s_mov_b32 s10, 0
	s_cbranch_scc1 .LBB81_1127
; %bb.1123:
	v_dual_mov_b32 v3, 0 :: v_dual_mov_b32 v4, 0
	v_mov_b32_e32 v9, v2
	s_add_u32 s2, s16, 0xc4
	s_addc_u32 s3, s17, 0
	s_and_b32 s10, s7, 28
	s_mov_b32 s11, 0
	s_mov_b64 s[4:5], s[16:17]
.LBB81_1124:                            ; =>This Inner Loop Header: Depth=1
	s_clause 0x1
	s_load_b256 s[36:43], s[4:5], 0x4
	s_load_b128 s[12:15], s[4:5], 0x24
	s_load_b256 s[44:51], s[2:3], 0x0
	s_add_u32 s4, s4, 48
	s_addc_u32 s5, s5, 0
	s_add_i32 s11, s11, 4
	s_add_u32 s2, s2, 32
	s_addc_u32 s3, s3, 0
	s_cmp_lg_u32 s10, s11
	s_waitcnt lgkmcnt(0)
	v_mul_hi_u32 v10, s37, v9
	s_delay_alu instid0(VALU_DEP_1) | instskip(NEXT) | instid1(VALU_DEP_1)
	v_add_nc_u32_e32 v10, v9, v10
	v_lshrrev_b32_e32 v10, s38, v10
	s_delay_alu instid0(VALU_DEP_1) | instskip(SKIP_1) | instid1(VALU_DEP_2)
	v_mul_hi_u32 v11, s40, v10
	v_mul_lo_u32 v13, v10, s36
	v_add_nc_u32_e32 v11, v10, v11
	s_delay_alu instid0(VALU_DEP_2) | instskip(NEXT) | instid1(VALU_DEP_2)
	v_sub_nc_u32_e32 v9, v9, v13
	v_lshrrev_b32_e32 v11, s41, v11
	s_delay_alu instid0(VALU_DEP_2) | instskip(SKIP_1) | instid1(VALU_DEP_3)
	v_mul_lo_u32 v13, v9, s44
	v_mul_lo_u32 v15, v9, s45
	v_mul_hi_u32 v12, s43, v11
	s_delay_alu instid0(VALU_DEP_1) | instskip(NEXT) | instid1(VALU_DEP_1)
	v_add_nc_u32_e32 v12, v11, v12
	v_lshrrev_b32_e32 v12, s12, v12
	s_delay_alu instid0(VALU_DEP_1) | instskip(SKIP_1) | instid1(VALU_DEP_2)
	v_mul_hi_u32 v14, s14, v12
	v_mul_lo_u32 v16, v12, s42
	v_add_nc_u32_e32 v9, v12, v14
	v_mul_lo_u32 v14, v11, s39
	s_delay_alu instid0(VALU_DEP_3) | instskip(NEXT) | instid1(VALU_DEP_3)
	v_sub_nc_u32_e32 v11, v11, v16
	v_lshrrev_b32_e32 v9, s15, v9
	s_delay_alu instid0(VALU_DEP_2) | instskip(SKIP_2) | instid1(VALU_DEP_4)
	v_mul_lo_u32 v16, v11, s48
	v_mul_lo_u32 v11, v11, s49
	v_sub_nc_u32_e32 v10, v10, v14
	v_mul_lo_u32 v17, v9, s13
	s_delay_alu instid0(VALU_DEP_2) | instskip(SKIP_1) | instid1(VALU_DEP_3)
	v_mul_lo_u32 v14, v10, s46
	v_mul_lo_u32 v10, v10, s47
	v_sub_nc_u32_e32 v12, v12, v17
	s_delay_alu instid0(VALU_DEP_3) | instskip(NEXT) | instid1(VALU_DEP_2)
	v_add3_u32 v4, v13, v4, v14
	v_mul_lo_u32 v17, v12, s50
	v_mul_lo_u32 v12, v12, s51
	v_add3_u32 v3, v15, v3, v10
	s_delay_alu instid0(VALU_DEP_3) | instskip(NEXT) | instid1(VALU_DEP_2)
	v_add3_u32 v4, v16, v4, v17
	v_add3_u32 v3, v11, v3, v12
	s_cbranch_scc1 .LBB81_1124
; %bb.1125:
	s_and_b32 s7, s7, 3
	s_delay_alu instid0(SALU_CYCLE_1)
	s_cmp_eq_u32 s7, 0
	s_cbranch_scc0 .LBB81_1128
	s_branch .LBB81_1130
.LBB81_1126:
	s_mov_b32 s6, -1
                                        ; implicit-def: $vgpr4
                                        ; implicit-def: $vgpr3
	s_branch .LBB81_1130
.LBB81_1127:
	v_mov_b32_e32 v9, v2
	v_mov_b32_e32 v3, 0
	s_and_b32 s7, s7, 3
	s_delay_alu instid0(SALU_CYCLE_1)
	s_cmp_eq_u32 s7, 0
	s_cbranch_scc1 .LBB81_1130
.LBB81_1128:
	s_lshl_b32 s2, s10, 3
	s_mul_i32 s4, s10, 12
	s_add_u32 s2, s2, s16
	s_addc_u32 s3, 0, s17
	s_add_u32 s2, s2, 0xc4
	s_addc_u32 s3, s3, 0
	;; [unrolled: 2-line block ×3, first 2 shown]
	.p2align	6
.LBB81_1129:                            ; =>This Inner Loop Header: Depth=1
	s_clause 0x1
	s_load_b64 s[10:11], s[4:5], 0x4
	s_load_b32 s14, s[4:5], 0xc
	s_load_b64 s[12:13], s[2:3], 0x0
	s_add_u32 s4, s4, 12
	s_addc_u32 s5, s5, 0
	s_add_u32 s2, s2, 8
	s_addc_u32 s3, s3, 0
	s_add_i32 s7, s7, -1
	s_delay_alu instid0(SALU_CYCLE_1) | instskip(SKIP_2) | instid1(VALU_DEP_1)
	s_cmp_lg_u32 s7, 0
	s_waitcnt lgkmcnt(0)
	v_mul_hi_u32 v10, s11, v9
	v_add_nc_u32_e32 v10, v9, v10
	s_delay_alu instid0(VALU_DEP_1) | instskip(NEXT) | instid1(VALU_DEP_1)
	v_lshrrev_b32_e32 v13, s14, v10
	v_mul_lo_u32 v10, v13, s10
	s_delay_alu instid0(VALU_DEP_1) | instskip(NEXT) | instid1(VALU_DEP_1)
	v_sub_nc_u32_e32 v9, v9, v10
	v_mad_u64_u32 v[10:11], null, v9, s12, v[4:5]
	v_mad_u64_u32 v[11:12], null, v9, s13, v[3:4]
	s_delay_alu instid0(VALU_DEP_2) | instskip(NEXT) | instid1(VALU_DEP_2)
	v_dual_mov_b32 v9, v13 :: v_dual_mov_b32 v4, v10
	v_mov_b32_e32 v3, v11
	s_cbranch_scc1 .LBB81_1129
.LBB81_1130:
	s_and_not1_b32 vcc_lo, exec_lo, s6
	s_cbranch_vccnz .LBB81_1133
; %bb.1131:
	s_clause 0x1
	s_load_b128 s[4:7], s[16:17], 0x4
	s_load_b64 s[2:3], s[16:17], 0xc4
	s_cmp_lt_u32 s24, 2
	s_waitcnt lgkmcnt(0)
	v_mul_hi_u32 v3, s5, v2
	s_delay_alu instid0(VALU_DEP_1) | instskip(NEXT) | instid1(VALU_DEP_1)
	v_add_nc_u32_e32 v3, v2, v3
	v_lshrrev_b32_e32 v9, s6, v3
	s_delay_alu instid0(VALU_DEP_1) | instskip(NEXT) | instid1(VALU_DEP_1)
	v_mul_lo_u32 v3, v9, s4
	v_sub_nc_u32_e32 v2, v2, v3
	s_delay_alu instid0(VALU_DEP_1)
	v_mul_lo_u32 v4, v2, s2
	v_mul_lo_u32 v3, v2, s3
	s_cbranch_scc1 .LBB81_1133
; %bb.1132:
	s_clause 0x1
	s_load_b128 s[4:7], s[16:17], 0x10
	s_load_b64 s[2:3], s[16:17], 0xcc
	s_waitcnt lgkmcnt(0)
	v_mul_hi_u32 v2, s5, v9
	s_delay_alu instid0(VALU_DEP_1) | instskip(NEXT) | instid1(VALU_DEP_1)
	v_add_nc_u32_e32 v2, v9, v2
	v_lshrrev_b32_e32 v2, s6, v2
	s_delay_alu instid0(VALU_DEP_1) | instskip(NEXT) | instid1(VALU_DEP_1)
	v_mul_lo_u32 v2, v2, s4
	v_sub_nc_u32_e32 v2, v9, v2
	s_delay_alu instid0(VALU_DEP_1) | instskip(SKIP_1) | instid1(VALU_DEP_1)
	v_mad_u64_u32 v[9:10], null, v2, s2, v[4:5]
	v_mad_u64_u32 v[10:11], null, v2, s3, v[3:4]
	v_dual_mov_b32 v4, v9 :: v_dual_mov_b32 v3, v10
.LBB81_1133:
	s_clause 0x1
	s_load_b32 s3, s[0:1], 0x160
	s_load_b128 s[4:7], s[16:17], 0x148
	s_waitcnt lgkmcnt(0)
	s_lshr_b32 s0, s3, 16
	s_delay_alu instid0(SALU_CYCLE_1) | instskip(SKIP_1) | instid1(VALU_DEP_1)
	v_and_b32_e64 v15, 0xff, s0
	v_add_co_u32 v9, s0, s6, v1
	v_add_co_ci_u32_e64 v10, null, s7, 0, s0
	s_delay_alu instid0(VALU_DEP_3)
	v_cmp_gt_i16_e32 vcc_lo, 11, v15
	s_mov_b32 s0, 0
	s_cbranch_vccnz .LBB81_1140
; %bb.1134:
	v_cmp_lt_i16_e32 vcc_lo, 25, v15
	s_mov_b32 s10, 0
	s_cbranch_vccz .LBB81_1146
; %bb.1135:
	v_cmp_lt_i16_e32 vcc_lo, 28, v15
	s_cbranch_vccz .LBB81_1148
; %bb.1136:
	v_cmp_lt_i16_e32 vcc_lo, 43, v15
	;; [unrolled: 3-line block ×3, first 2 shown]
	s_cbranch_vccz .LBB81_1154
; %bb.1138:
	v_cmp_eq_u16_e32 vcc_lo, 46, v15
	s_mov_b32 s1, 0
	s_cbranch_vccz .LBB81_1196
; %bb.1139:
	global_load_b32 v1, v[9:10], off
	s_mov_b32 s2, 0
	s_mov_b32 s0, -1
	s_waitcnt vmcnt(0)
	v_lshlrev_b32_e32 v1, 16, v1
	s_delay_alu instid0(VALU_DEP_1)
	v_cvt_f64_f32_e32 v[1:2], v1
	s_branch .LBB81_1198
.LBB81_1140:
	s_mov_b32 s2, s8
                                        ; implicit-def: $vgpr1_vgpr2
	s_cbranch_execz .LBB81_1261
; %bb.1141:
	v_cmp_gt_i16_e32 vcc_lo, 5, v15
	s_cbranch_vccnz .LBB81_1147
; %bb.1142:
	v_cmp_gt_i16_e32 vcc_lo, 8, v15
	s_cbranch_vccnz .LBB81_1149
	;; [unrolled: 3-line block ×3, first 2 shown]
; %bb.1144:
	v_cmp_lt_i16_e32 vcc_lo, 9, v15
	s_cbranch_vccz .LBB81_1155
; %bb.1145:
	global_load_b64 v[1:2], v[9:10], off
	s_mov_b32 s0, 0
	s_branch .LBB81_1156
.LBB81_1146:
	s_mov_b32 s2, 0
                                        ; implicit-def: $vgpr1_vgpr2
	s_cbranch_execnz .LBB81_1228
	s_branch .LBB81_1257
.LBB81_1147:
                                        ; implicit-def: $vgpr1_vgpr2
	s_branch .LBB81_1173
.LBB81_1148:
	s_mov_b32 s1, -1
	s_mov_b32 s2, 0
                                        ; implicit-def: $vgpr1_vgpr2
	s_branch .LBB81_1207
.LBB81_1149:
                                        ; implicit-def: $vgpr1_vgpr2
	s_branch .LBB81_1162
.LBB81_1150:
	s_mov_b32 s2, 0
                                        ; implicit-def: $vgpr1_vgpr2
	s_cbranch_execnz .LBB81_1203
	s_branch .LBB81_1206
.LBB81_1151:
	s_mov_b32 s0, -1
                                        ; implicit-def: $vgpr1_vgpr2
	s_branch .LBB81_1159
.LBB81_1152:
	s_cbranch_execnz .LBB81_1194
; %bb.1153:
	s_or_b32 s6, s6, exec_lo
	s_and_not1_b32 s8, s8, exec_lo
	s_or_b32 exec_lo, exec_lo, s2
	s_and_saveexec_b32 s2, s8
	s_delay_alu instid0(SALU_CYCLE_1)
	s_xor_b32 s2, exec_lo, s2
	s_cbranch_execnz .LBB81_1040
	s_branch .LBB81_1041
.LBB81_1154:
	s_mov_b32 s1, -1
	s_mov_b32 s2, 0
	s_branch .LBB81_1197
.LBB81_1155:
	s_mov_b32 s0, -1
                                        ; implicit-def: $vgpr1_vgpr2
.LBB81_1156:
	s_delay_alu instid0(SALU_CYCLE_1)
	s_and_not1_b32 vcc_lo, exec_lo, s0
	s_cbranch_vccnz .LBB81_1158
; %bb.1157:
	global_load_b32 v1, v[9:10], off
	s_waitcnt vmcnt(0)
	v_cvt_f64_f32_e32 v[1:2], v1
.LBB81_1158:
	s_mov_b32 s0, 0
.LBB81_1159:
	s_delay_alu instid0(SALU_CYCLE_1)
	s_and_not1_b32 vcc_lo, exec_lo, s0
	s_cbranch_vccnz .LBB81_1161
; %bb.1160:
	global_load_b32 v1, v[9:10], off
	s_waitcnt vmcnt(0)
	v_cvt_f32_f16_e32 v1, v1
	s_delay_alu instid0(VALU_DEP_1)
	v_cvt_f64_f32_e32 v[1:2], v1
.LBB81_1161:
	s_cbranch_execnz .LBB81_1172
.LBB81_1162:
	v_cmp_gt_i16_e32 vcc_lo, 6, v15
	s_cbranch_vccnz .LBB81_1165
; %bb.1163:
	v_cmp_lt_i16_e32 vcc_lo, 6, v15
	s_cbranch_vccz .LBB81_1166
; %bb.1164:
	global_load_b64 v[1:2], v[9:10], off
	s_mov_b32 s0, 0
	s_branch .LBB81_1167
.LBB81_1165:
	s_mov_b32 s0, -1
                                        ; implicit-def: $vgpr1_vgpr2
	s_branch .LBB81_1170
.LBB81_1166:
	s_mov_b32 s0, -1
                                        ; implicit-def: $vgpr1_vgpr2
.LBB81_1167:
	s_delay_alu instid0(SALU_CYCLE_1)
	s_and_not1_b32 vcc_lo, exec_lo, s0
	s_cbranch_vccnz .LBB81_1169
; %bb.1168:
	global_load_b32 v1, v[9:10], off
	s_waitcnt vmcnt(0)
	v_cvt_f64_f32_e32 v[1:2], v1
.LBB81_1169:
	s_mov_b32 s0, 0
.LBB81_1170:
	s_delay_alu instid0(SALU_CYCLE_1)
	s_and_not1_b32 vcc_lo, exec_lo, s0
	s_cbranch_vccnz .LBB81_1172
; %bb.1171:
	global_load_u16 v1, v[9:10], off
	s_waitcnt vmcnt(0)
	v_cvt_f32_f16_e32 v1, v1
	s_delay_alu instid0(VALU_DEP_1)
	v_cvt_f64_f32_e32 v[1:2], v1
.LBB81_1172:
	s_cbranch_execnz .LBB81_1191
.LBB81_1173:
	v_cmp_gt_i16_e32 vcc_lo, 2, v15
	s_cbranch_vccnz .LBB81_1177
; %bb.1174:
	v_cmp_gt_i16_e32 vcc_lo, 3, v15
	s_cbranch_vccnz .LBB81_1178
; %bb.1175:
	v_cmp_lt_i16_e32 vcc_lo, 3, v15
	s_cbranch_vccz .LBB81_1179
; %bb.1176:
	global_load_b64 v[1:2], v[9:10], off
	s_mov_b32 s0, 0
	s_waitcnt vmcnt(0)
	v_cvt_f64_i32_e32 v[11:12], v2
	v_cvt_f64_u32_e32 v[1:2], v1
	s_delay_alu instid0(VALU_DEP_2) | instskip(NEXT) | instid1(VALU_DEP_1)
	v_ldexp_f64 v[11:12], v[11:12], 32
	v_add_f64 v[1:2], v[11:12], v[1:2]
	s_branch .LBB81_1180
.LBB81_1177:
                                        ; implicit-def: $vgpr1_vgpr2
	s_branch .LBB81_1186
.LBB81_1178:
	s_mov_b32 s0, -1
                                        ; implicit-def: $vgpr1_vgpr2
	s_branch .LBB81_1183
.LBB81_1179:
	s_mov_b32 s0, -1
                                        ; implicit-def: $vgpr1_vgpr2
.LBB81_1180:
	s_delay_alu instid0(SALU_CYCLE_1)
	s_and_not1_b32 vcc_lo, exec_lo, s0
	s_cbranch_vccnz .LBB81_1182
; %bb.1181:
	global_load_b32 v1, v[9:10], off
	s_waitcnt vmcnt(0)
	v_cvt_f64_i32_e32 v[1:2], v1
.LBB81_1182:
	s_mov_b32 s0, 0
.LBB81_1183:
	s_delay_alu instid0(SALU_CYCLE_1)
	s_and_not1_b32 vcc_lo, exec_lo, s0
	s_cbranch_vccnz .LBB81_1185
; %bb.1184:
	global_load_i16 v1, v[9:10], off
	s_waitcnt vmcnt(0)
	v_cvt_f64_i32_e32 v[1:2], v1
.LBB81_1185:
	s_cbranch_execnz .LBB81_1191
.LBB81_1186:
	v_cmp_lt_i16_e32 vcc_lo, 0, v15
	s_mov_b32 s0, 0
	s_cbranch_vccz .LBB81_1188
; %bb.1187:
	global_load_i8 v1, v[9:10], off
	s_waitcnt vmcnt(0)
	v_cvt_f64_i32_e32 v[1:2], v1
	s_branch .LBB81_1189
.LBB81_1188:
	s_mov_b32 s0, -1
                                        ; implicit-def: $vgpr1_vgpr2
.LBB81_1189:
	s_delay_alu instid0(SALU_CYCLE_1)
	s_and_not1_b32 vcc_lo, exec_lo, s0
	s_cbranch_vccnz .LBB81_1191
; %bb.1190:
	global_load_u8 v1, v[9:10], off
	s_waitcnt vmcnt(0)
	v_cvt_f64_u32_e32 v[1:2], v1
.LBB81_1191:
	s_branch .LBB81_1262
.LBB81_1192:
	s_trap 2
	s_sendmsg_rtn_b32 s0, sendmsg(MSG_RTN_GET_DOORBELL)
	s_mov_b32 ttmp2, m0
	s_waitcnt lgkmcnt(0)
	s_and_b32 s0, s0, 0x3ff
	s_delay_alu instid0(SALU_CYCLE_1) | instskip(NEXT) | instid1(SALU_CYCLE_1)
	s_bitset1_b32 s0, 10
	s_mov_b32 m0, s0
	s_sendmsg sendmsg(MSG_INTERRUPT)
	s_mov_b32 m0, ttmp2
.LBB81_1193:                            ; =>This Inner Loop Header: Depth=1
	s_sethalt 5
	s_branch .LBB81_1193
.LBB81_1194:
	s_trap 2
	s_sendmsg_rtn_b32 s0, sendmsg(MSG_RTN_GET_DOORBELL)
	s_mov_b32 ttmp2, m0
	s_waitcnt lgkmcnt(0)
	s_and_b32 s0, s0, 0x3ff
	s_delay_alu instid0(SALU_CYCLE_1) | instskip(NEXT) | instid1(SALU_CYCLE_1)
	s_bitset1_b32 s0, 10
	s_mov_b32 m0, s0
	s_sendmsg sendmsg(MSG_INTERRUPT)
	s_mov_b32 m0, ttmp2
.LBB81_1195:                            ; =>This Inner Loop Header: Depth=1
	s_sethalt 5
	s_branch .LBB81_1195
.LBB81_1196:
	s_mov_b32 s2, -1
.LBB81_1197:
                                        ; implicit-def: $vgpr1_vgpr2
.LBB81_1198:
	s_and_b32 vcc_lo, exec_lo, s1
	s_cbranch_vccz .LBB81_1201
; %bb.1199:
	v_cmp_eq_u16_e32 vcc_lo, 44, v15
	s_cbranch_vccz .LBB81_1202
; %bb.1200:
	global_load_u8 v11, v[9:10], off
	s_mov_b32 s2, 0
	s_mov_b32 s0, -1
	s_waitcnt vmcnt(0)
	v_cmp_ne_u32_e32 vcc_lo, 0xff, v11
	v_lshlrev_b32_e32 v1, 23, v11
	s_delay_alu instid0(VALU_DEP_1) | instskip(NEXT) | instid1(VALU_DEP_1)
	v_cvt_f64_f32_e32 v[1:2], v1
	v_cndmask_b32_e32 v2, 0x7ff80000, v2, vcc_lo
	s_delay_alu instid0(VALU_DEP_2) | instskip(SKIP_1) | instid1(VALU_DEP_3)
	v_cndmask_b32_e32 v1, 0x20000000, v1, vcc_lo
	v_cmp_ne_u32_e32 vcc_lo, 0, v11
	v_cndmask_b32_e32 v2, 0x38000000, v2, vcc_lo
	s_delay_alu instid0(VALU_DEP_3)
	v_cndmask_b32_e32 v1, 0, v1, vcc_lo
.LBB81_1201:
	s_branch .LBB81_1206
.LBB81_1202:
	s_mov_b32 s2, -1
                                        ; implicit-def: $vgpr1_vgpr2
	s_branch .LBB81_1206
.LBB81_1203:
	v_cmp_eq_u16_e32 vcc_lo, 29, v15
	s_cbranch_vccz .LBB81_1205
; %bb.1204:
	global_load_b64 v[1:2], v[9:10], off
	s_mov_b32 s2, 0
	s_mov_b32 s0, -1
	s_mov_b32 s1, 0
	s_waitcnt vmcnt(0)
	v_cvt_f64_u32_e32 v[11:12], v2
	v_cvt_f64_u32_e32 v[1:2], v1
	s_delay_alu instid0(VALU_DEP_2) | instskip(NEXT) | instid1(VALU_DEP_1)
	v_ldexp_f64 v[11:12], v[11:12], 32
	v_add_f64 v[1:2], v[11:12], v[1:2]
	s_branch .LBB81_1207
.LBB81_1205:
	s_mov_b32 s2, -1
                                        ; implicit-def: $vgpr1_vgpr2
.LBB81_1206:
	s_mov_b32 s1, 0
.LBB81_1207:
	s_delay_alu instid0(SALU_CYCLE_1)
	s_and_b32 vcc_lo, exec_lo, s1
	s_cbranch_vccz .LBB81_1227
; %bb.1208:
	v_cmp_gt_i16_e32 vcc_lo, 27, v15
	s_cbranch_vccnz .LBB81_1211
; %bb.1209:
	v_cmp_lt_i16_e32 vcc_lo, 27, v15
	s_cbranch_vccz .LBB81_1212
; %bb.1210:
	global_load_b32 v1, v[9:10], off
	s_mov_b32 s0, 0
	s_waitcnt vmcnt(0)
	v_cvt_f64_u32_e32 v[1:2], v1
	s_branch .LBB81_1213
.LBB81_1211:
	s_mov_b32 s0, -1
                                        ; implicit-def: $vgpr1_vgpr2
	s_branch .LBB81_1216
.LBB81_1212:
	s_mov_b32 s0, -1
                                        ; implicit-def: $vgpr1_vgpr2
.LBB81_1213:
	s_delay_alu instid0(SALU_CYCLE_1)
	s_and_not1_b32 vcc_lo, exec_lo, s0
	s_cbranch_vccnz .LBB81_1215
; %bb.1214:
	global_load_u16 v1, v[9:10], off
	s_waitcnt vmcnt(0)
	v_cvt_f64_u32_e32 v[1:2], v1
.LBB81_1215:
	s_mov_b32 s0, 0
.LBB81_1216:
	s_delay_alu instid0(SALU_CYCLE_1)
	s_and_not1_b32 vcc_lo, exec_lo, s0
	s_cbranch_vccnz .LBB81_1226
; %bb.1217:
	global_load_u8 v11, v[9:10], off
	s_mov_b32 s11, 0
	s_mov_b32 s12, exec_lo
                                        ; implicit-def: $sgpr0_sgpr1
	s_waitcnt vmcnt(0)
	v_cmpx_lt_i16_e32 0x7f, v11
	s_xor_b32 s12, exec_lo, s12
	s_cbranch_execz .LBB81_1221
; %bb.1218:
	s_mov_b32 s13, -1
	s_mov_b32 s11, exec_lo
                                        ; implicit-def: $sgpr0_sgpr1
	v_cmpx_eq_u16_e32 0x80, v11
; %bb.1219:
	s_mov_b32 s1, 0x7ff80000
	s_brev_b32 s0, 4
	s_xor_b32 s13, exec_lo, -1
; %bb.1220:
	s_or_b32 exec_lo, exec_lo, s11
	s_delay_alu instid0(SALU_CYCLE_1)
	s_and_b32 s11, s13, exec_lo
.LBB81_1221:
	s_or_saveexec_b32 s12, s12
	v_dual_mov_b32 v2, s1 :: v_dual_mov_b32 v1, s0
	s_xor_b32 exec_lo, exec_lo, s12
; %bb.1222:
	v_cmp_ne_u16_e32 vcc_lo, 0, v11
	v_mov_b32_e32 v1, 0
	v_mov_b32_e32 v2, 0
	s_and_not1_b32 s0, s11, exec_lo
	s_and_b32 s1, vcc_lo, exec_lo
	s_delay_alu instid0(SALU_CYCLE_1)
	s_or_b32 s11, s0, s1
; %bb.1223:
	s_or_b32 exec_lo, exec_lo, s12
	s_and_saveexec_b32 s0, s11
	s_cbranch_execz .LBB81_1225
; %bb.1224:
	v_and_b32_e32 v1, 0xffff, v11
	v_lshlrev_b32_e32 v11, 24, v11
	s_delay_alu instid0(VALU_DEP_2) | instskip(NEXT) | instid1(VALU_DEP_2)
	v_and_b32_e32 v2, 7, v1
	v_and_b32_e32 v11, 0x80000000, v11
	s_delay_alu instid0(VALU_DEP_2) | instskip(NEXT) | instid1(VALU_DEP_1)
	v_clz_i32_u32_e32 v12, v2
	v_min_u32_e32 v12, 32, v12
	s_delay_alu instid0(VALU_DEP_1) | instskip(SKIP_1) | instid1(VALU_DEP_2)
	v_subrev_nc_u32_e32 v13, 28, v12
	v_sub_nc_u32_e32 v12, 29, v12
	v_lshlrev_b32_e32 v13, v13, v1
	v_bfe_u32 v1, v1, 3, 4
	s_delay_alu instid0(VALU_DEP_2) | instskip(NEXT) | instid1(VALU_DEP_2)
	v_and_b32_e32 v13, 7, v13
	v_cmp_eq_u32_e32 vcc_lo, 0, v1
	s_delay_alu instid0(VALU_DEP_2) | instskip(NEXT) | instid1(VALU_DEP_1)
	v_dual_cndmask_b32 v1, v1, v12 :: v_dual_cndmask_b32 v2, v2, v13
	v_lshl_add_u32 v1, v1, 23, 0x3b800000
	s_delay_alu instid0(VALU_DEP_2) | instskip(NEXT) | instid1(VALU_DEP_1)
	v_lshlrev_b32_e32 v2, 20, v2
	v_or3_b32 v1, v11, v1, v2
	s_delay_alu instid0(VALU_DEP_1)
	v_cvt_f64_f32_e32 v[1:2], v1
.LBB81_1225:
	s_or_b32 exec_lo, exec_lo, s0
.LBB81_1226:
	s_mov_b32 s0, -1
.LBB81_1227:
	s_branch .LBB81_1257
.LBB81_1228:
	v_cmp_lt_i16_e32 vcc_lo, 22, v15
	s_cbranch_vccz .LBB81_1240
; %bb.1229:
	v_cmp_gt_i16_e32 vcc_lo, 24, v15
	s_cbranch_vccnz .LBB81_1241
; %bb.1230:
	v_cmp_lt_i16_e32 vcc_lo, 24, v15
	s_cbranch_vccz .LBB81_1242
; %bb.1231:
	global_load_u8 v11, v[9:10], off
	s_mov_b32 s11, exec_lo
                                        ; implicit-def: $sgpr0_sgpr1
	s_waitcnt vmcnt(0)
	v_cmpx_lt_i16_e32 0x7f, v11
	s_xor_b32 s11, exec_lo, s11
	s_cbranch_execz .LBB81_1235
; %bb.1232:
	s_mov_b32 s12, -1
	s_mov_b32 s10, exec_lo
                                        ; implicit-def: $sgpr0_sgpr1
	v_cmpx_eq_u16_e32 0x80, v11
; %bb.1233:
	s_mov_b32 s1, 0x7ff80000
	s_brev_b32 s0, 4
	s_xor_b32 s12, exec_lo, -1
; %bb.1234:
	s_or_b32 exec_lo, exec_lo, s10
	s_delay_alu instid0(SALU_CYCLE_1)
	s_and_b32 s10, s12, exec_lo
.LBB81_1235:
	s_or_saveexec_b32 s11, s11
	v_dual_mov_b32 v2, s1 :: v_dual_mov_b32 v1, s0
	s_xor_b32 exec_lo, exec_lo, s11
; %bb.1236:
	v_cmp_ne_u16_e32 vcc_lo, 0, v11
	v_mov_b32_e32 v1, 0
	v_mov_b32_e32 v2, 0
	s_and_not1_b32 s0, s10, exec_lo
	s_and_b32 s1, vcc_lo, exec_lo
	s_delay_alu instid0(SALU_CYCLE_1)
	s_or_b32 s10, s0, s1
; %bb.1237:
	s_or_b32 exec_lo, exec_lo, s11
	s_and_saveexec_b32 s0, s10
	s_cbranch_execz .LBB81_1239
; %bb.1238:
	v_and_b32_e32 v1, 0xffff, v11
	v_lshlrev_b32_e32 v11, 24, v11
	s_delay_alu instid0(VALU_DEP_2) | instskip(NEXT) | instid1(VALU_DEP_2)
	v_and_b32_e32 v2, 3, v1
	v_and_b32_e32 v11, 0x80000000, v11
	s_delay_alu instid0(VALU_DEP_2) | instskip(NEXT) | instid1(VALU_DEP_1)
	v_clz_i32_u32_e32 v12, v2
	v_min_u32_e32 v12, 32, v12
	s_delay_alu instid0(VALU_DEP_1) | instskip(SKIP_1) | instid1(VALU_DEP_2)
	v_subrev_nc_u32_e32 v13, 29, v12
	v_sub_nc_u32_e32 v12, 30, v12
	v_lshlrev_b32_e32 v13, v13, v1
	v_bfe_u32 v1, v1, 2, 5
	s_delay_alu instid0(VALU_DEP_2) | instskip(NEXT) | instid1(VALU_DEP_2)
	v_and_b32_e32 v13, 3, v13
	v_cmp_eq_u32_e32 vcc_lo, 0, v1
	s_delay_alu instid0(VALU_DEP_2) | instskip(NEXT) | instid1(VALU_DEP_1)
	v_dual_cndmask_b32 v1, v1, v12 :: v_dual_cndmask_b32 v2, v2, v13
	v_lshl_add_u32 v1, v1, 23, 0x37800000
	s_delay_alu instid0(VALU_DEP_2) | instskip(NEXT) | instid1(VALU_DEP_1)
	v_lshlrev_b32_e32 v2, 21, v2
	v_or3_b32 v1, v11, v1, v2
	s_delay_alu instid0(VALU_DEP_1)
	v_cvt_f64_f32_e32 v[1:2], v1
.LBB81_1239:
	s_or_b32 exec_lo, exec_lo, s0
	s_mov_b32 s0, 0
	s_branch .LBB81_1243
.LBB81_1240:
                                        ; implicit-def: $vgpr1_vgpr2
	s_mov_b32 s10, 0
	s_branch .LBB81_1249
.LBB81_1241:
	s_mov_b32 s0, -1
                                        ; implicit-def: $vgpr1_vgpr2
	s_branch .LBB81_1246
.LBB81_1242:
	s_mov_b32 s0, -1
                                        ; implicit-def: $vgpr1_vgpr2
.LBB81_1243:
	s_delay_alu instid0(SALU_CYCLE_1)
	s_and_b32 vcc_lo, exec_lo, s0
	s_cbranch_vccz .LBB81_1245
; %bb.1244:
	global_load_u8 v1, v[9:10], off
	s_waitcnt vmcnt(0)
	v_lshlrev_b32_e32 v1, 24, v1
	s_delay_alu instid0(VALU_DEP_1) | instskip(NEXT) | instid1(VALU_DEP_1)
	v_and_b32_e32 v2, 0x7f000000, v1
	v_clz_i32_u32_e32 v11, v2
	v_add_nc_u32_e32 v13, 0x1000000, v2
	v_cmp_ne_u32_e32 vcc_lo, 0, v2
	s_delay_alu instid0(VALU_DEP_3) | instskip(NEXT) | instid1(VALU_DEP_1)
	v_min_u32_e32 v11, 32, v11
	v_sub_nc_u32_e64 v11, v11, 4 clamp
	s_delay_alu instid0(VALU_DEP_1) | instskip(SKIP_1) | instid1(VALU_DEP_2)
	v_lshlrev_b32_e32 v12, v11, v2
	v_lshlrev_b32_e32 v11, 23, v11
	v_lshrrev_b32_e32 v12, 4, v12
	s_delay_alu instid0(VALU_DEP_1) | instskip(SKIP_1) | instid1(VALU_DEP_2)
	v_sub_nc_u32_e32 v11, v12, v11
	v_ashrrev_i32_e32 v12, 8, v13
	v_add_nc_u32_e32 v11, 0x3c000000, v11
	s_delay_alu instid0(VALU_DEP_1) | instskip(NEXT) | instid1(VALU_DEP_1)
	v_and_or_b32 v11, 0x7f800000, v12, v11
	v_cndmask_b32_e32 v2, 0, v11, vcc_lo
	s_delay_alu instid0(VALU_DEP_1) | instskip(NEXT) | instid1(VALU_DEP_1)
	v_and_or_b32 v1, 0x80000000, v1, v2
	v_cvt_f64_f32_e32 v[1:2], v1
.LBB81_1245:
	s_mov_b32 s0, 0
.LBB81_1246:
	s_delay_alu instid0(SALU_CYCLE_1)
	s_and_not1_b32 vcc_lo, exec_lo, s0
	s_cbranch_vccnz .LBB81_1248
; %bb.1247:
	global_load_u8 v1, v[9:10], off
	s_waitcnt vmcnt(0)
	v_lshlrev_b32_e32 v2, 25, v1
	v_lshlrev_b16 v1, 8, v1
	s_delay_alu instid0(VALU_DEP_2) | instskip(NEXT) | instid1(VALU_DEP_2)
	v_lshrrev_b32_e32 v11, 4, v2
	v_and_or_b32 v12, 0x7f00, v1, 0.5
	v_bfe_i32 v1, v1, 0, 16
	s_delay_alu instid0(VALU_DEP_3) | instskip(NEXT) | instid1(VALU_DEP_1)
	v_or_b32_e32 v11, 0x70000000, v11
	v_dual_add_f32 v12, -0.5, v12 :: v_dual_mul_f32 v11, 0x7800000, v11
	v_cmp_gt_u32_e32 vcc_lo, 0x8000000, v2
	s_delay_alu instid0(VALU_DEP_2) | instskip(NEXT) | instid1(VALU_DEP_1)
	v_cndmask_b32_e32 v2, v11, v12, vcc_lo
	v_and_or_b32 v1, 0x80000000, v1, v2
	s_delay_alu instid0(VALU_DEP_1)
	v_cvt_f64_f32_e32 v[1:2], v1
.LBB81_1248:
	s_mov_b32 s0, -1
	s_mov_b32 s10, 0
	s_cbranch_execnz .LBB81_1257
.LBB81_1249:
	v_cmp_lt_i16_e32 vcc_lo, 14, v15
	s_cbranch_vccz .LBB81_1252
; %bb.1250:
	v_cmp_eq_u16_e32 vcc_lo, 15, v15
	s_cbranch_vccz .LBB81_1253
; %bb.1251:
	global_load_u16 v1, v[9:10], off
	s_mov_b32 s2, 0
	s_mov_b32 s0, -1
	s_waitcnt vmcnt(0)
	v_lshlrev_b32_e32 v1, 16, v1
	s_delay_alu instid0(VALU_DEP_1)
	v_cvt_f64_f32_e32 v[1:2], v1
	s_branch .LBB81_1254
.LBB81_1252:
	s_mov_b32 s1, -1
                                        ; implicit-def: $vgpr1_vgpr2
	s_branch .LBB81_1255
.LBB81_1253:
	s_mov_b32 s2, -1
                                        ; implicit-def: $vgpr1_vgpr2
.LBB81_1254:
	s_mov_b32 s1, 0
.LBB81_1255:
	s_delay_alu instid0(SALU_CYCLE_1)
	s_and_b32 vcc_lo, exec_lo, s1
	s_cbranch_vccz .LBB81_1257
; %bb.1256:
	v_cmp_ne_u16_e64 s2, 11, v15
	s_mov_b32 s10, -1
                                        ; implicit-def: $vgpr1_vgpr2
.LBB81_1257:
	s_delay_alu instid0(VALU_DEP_1)
	s_and_b32 vcc_lo, exec_lo, s2
	s_mov_b32 s2, s8
	s_cbranch_vccnz .LBB81_1281
; %bb.1258:
	s_and_not1_b32 vcc_lo, exec_lo, s10
	s_cbranch_vccnz .LBB81_1260
.LBB81_1259:
	global_load_u8 v1, v[9:10], off
	s_mov_b32 s0, -1
	s_waitcnt vmcnt(0)
	v_cmp_ne_u16_e32 vcc_lo, 0, v1
	v_mov_b32_e32 v1, 0
	v_cndmask_b32_e64 v2, 0, 0x3ff00000, vcc_lo
.LBB81_1260:
.LBB81_1261:
	s_and_not1_b32 vcc_lo, exec_lo, s0
	s_cbranch_vccnz .LBB81_2094
.LBB81_1262:
	v_cmp_gt_i16_e32 vcc_lo, 11, v15
	v_add_co_u32 v8, s0, s6, v8
	s_delay_alu instid0(VALU_DEP_1)
	v_add_co_ci_u32_e64 v9, null, s7, 0, s0
	s_mov_b32 s0, 0
	s_cbranch_vccnz .LBB81_1269
; %bb.1263:
	v_cmp_lt_i16_e32 vcc_lo, 25, v15
	s_mov_b32 s11, 0
	s_cbranch_vccz .LBB81_1275
; %bb.1264:
	v_cmp_lt_i16_e32 vcc_lo, 28, v15
	s_cbranch_vccz .LBB81_1277
; %bb.1265:
	v_cmp_lt_i16_e32 vcc_lo, 43, v15
	;; [unrolled: 3-line block ×3, first 2 shown]
	s_cbranch_vccz .LBB81_1285
; %bb.1267:
	v_cmp_eq_u16_e32 vcc_lo, 46, v15
	s_mov_b32 s1, 0
	s_cbranch_vccz .LBB81_1329
; %bb.1268:
	global_load_b32 v10, v[8:9], off
	s_mov_b32 s10, 0
	s_mov_b32 s0, -1
	s_waitcnt vmcnt(0)
	v_lshlrev_b32_e32 v10, 16, v10
	s_delay_alu instid0(VALU_DEP_1)
	v_cvt_f64_f32_e32 v[11:12], v10
	s_branch .LBB81_1331
.LBB81_1269:
                                        ; implicit-def: $vgpr11_vgpr12
	s_cbranch_execz .LBB81_1396
; %bb.1270:
	v_cmp_gt_i16_e32 vcc_lo, 5, v15
	s_cbranch_vccnz .LBB81_1276
; %bb.1271:
	v_cmp_gt_i16_e32 vcc_lo, 8, v15
	s_cbranch_vccnz .LBB81_1278
; %bb.1272:
	v_cmp_gt_i16_e32 vcc_lo, 9, v15
	s_cbranch_vccnz .LBB81_1280
; %bb.1273:
	v_cmp_lt_i16_e32 vcc_lo, 9, v15
	s_cbranch_vccz .LBB81_1286
; %bb.1274:
	global_load_b64 v[11:12], v[8:9], off
	s_mov_b32 s0, 0
	s_branch .LBB81_1287
.LBB81_1275:
	s_mov_b32 s10, 0
                                        ; implicit-def: $vgpr11_vgpr12
	s_cbranch_execnz .LBB81_1362
	s_branch .LBB81_1392
.LBB81_1276:
                                        ; implicit-def: $vgpr11_vgpr12
	s_branch .LBB81_1305
.LBB81_1277:
	s_mov_b32 s1, -1
	s_mov_b32 s10, 0
                                        ; implicit-def: $vgpr11_vgpr12
	s_branch .LBB81_1341
.LBB81_1278:
	s_mov_b32 s0, -1
                                        ; implicit-def: $vgpr11_vgpr12
	s_branch .LBB81_1293
.LBB81_1279:
	s_mov_b32 s1, -1
	s_mov_b32 s10, 0
                                        ; implicit-def: $vgpr11_vgpr12
	s_branch .LBB81_1336
.LBB81_1280:
	s_mov_b32 s0, -1
                                        ; implicit-def: $vgpr11_vgpr12
	s_branch .LBB81_1290
.LBB81_1281:
	s_cbranch_execnz .LBB81_1325
; %bb.1282:
	s_or_b32 s2, s8, exec_lo
                                        ; implicit-def: $vgpr1_vgpr2
	s_cbranch_execz .LBB81_1259
	s_branch .LBB81_1260
.LBB81_1283:
	s_or_saveexec_b32 s5, s5
                                        ; implicit-def: $sgpr8
	s_delay_alu instid0(SALU_CYCLE_1)
	s_xor_b32 exec_lo, exec_lo, s5
	s_cbranch_execz .LBB81_991
.LBB81_1284:
	v_add_f32_e64 v3, 0x46000000, |v2|
	s_and_not1_b32 s4, s4, exec_lo
	s_mov_b32 s8, 0
	s_delay_alu instid0(VALU_DEP_1) | instskip(NEXT) | instid1(VALU_DEP_1)
	v_and_b32_e32 v3, 0xff, v3
	v_cmp_ne_u32_e32 vcc_lo, 0, v3
	s_and_b32 s9, vcc_lo, exec_lo
	s_delay_alu instid0(SALU_CYCLE_1)
	s_or_b32 s4, s4, s9
	s_or_b32 exec_lo, exec_lo, s5
	v_mov_b32_e32 v6, s8
	s_and_saveexec_b32 s5, s4
	s_cbranch_execnz .LBB81_992
	s_branch .LBB81_993
.LBB81_1285:
	s_mov_b32 s1, -1
	s_mov_b32 s10, 0
	s_branch .LBB81_1330
.LBB81_1286:
	s_mov_b32 s0, -1
                                        ; implicit-def: $vgpr11_vgpr12
.LBB81_1287:
	s_delay_alu instid0(SALU_CYCLE_1)
	s_and_not1_b32 vcc_lo, exec_lo, s0
	s_cbranch_vccnz .LBB81_1289
; %bb.1288:
	global_load_b32 v10, v[8:9], off
	s_waitcnt vmcnt(0)
	v_cvt_f64_f32_e32 v[11:12], v10
.LBB81_1289:
	s_mov_b32 s0, 0
.LBB81_1290:
	s_delay_alu instid0(SALU_CYCLE_1)
	s_and_not1_b32 vcc_lo, exec_lo, s0
	s_cbranch_vccnz .LBB81_1292
; %bb.1291:
	global_load_b32 v10, v[8:9], off
	s_waitcnt vmcnt(0)
	v_cvt_f32_f16_e32 v10, v10
	s_delay_alu instid0(VALU_DEP_1)
	v_cvt_f64_f32_e32 v[11:12], v10
.LBB81_1292:
	s_mov_b32 s0, 0
.LBB81_1293:
	s_delay_alu instid0(SALU_CYCLE_1)
	s_and_not1_b32 vcc_lo, exec_lo, s0
	s_cbranch_vccnz .LBB81_1304
; %bb.1294:
	v_cmp_gt_i16_e32 vcc_lo, 6, v15
	s_cbranch_vccnz .LBB81_1297
; %bb.1295:
	v_cmp_lt_i16_e32 vcc_lo, 6, v15
	s_cbranch_vccz .LBB81_1298
; %bb.1296:
	global_load_b64 v[11:12], v[8:9], off
	s_mov_b32 s0, 0
	s_branch .LBB81_1299
.LBB81_1297:
	s_mov_b32 s0, -1
                                        ; implicit-def: $vgpr11_vgpr12
	s_branch .LBB81_1302
.LBB81_1298:
	s_mov_b32 s0, -1
                                        ; implicit-def: $vgpr11_vgpr12
.LBB81_1299:
	s_delay_alu instid0(SALU_CYCLE_1)
	s_and_not1_b32 vcc_lo, exec_lo, s0
	s_cbranch_vccnz .LBB81_1301
; %bb.1300:
	global_load_b32 v10, v[8:9], off
	s_waitcnt vmcnt(0)
	v_cvt_f64_f32_e32 v[11:12], v10
.LBB81_1301:
	s_mov_b32 s0, 0
.LBB81_1302:
	s_delay_alu instid0(SALU_CYCLE_1)
	s_and_not1_b32 vcc_lo, exec_lo, s0
	s_cbranch_vccnz .LBB81_1304
; %bb.1303:
	global_load_u16 v10, v[8:9], off
	s_waitcnt vmcnt(0)
	v_cvt_f32_f16_e32 v10, v10
	s_delay_alu instid0(VALU_DEP_1)
	v_cvt_f64_f32_e32 v[11:12], v10
.LBB81_1304:
	s_cbranch_execnz .LBB81_1324
.LBB81_1305:
	v_cmp_gt_i16_e32 vcc_lo, 2, v15
	s_cbranch_vccnz .LBB81_1309
; %bb.1306:
	v_cmp_gt_i16_e32 vcc_lo, 3, v15
	s_cbranch_vccnz .LBB81_1310
; %bb.1307:
	v_cmp_lt_i16_e32 vcc_lo, 3, v15
	s_cbranch_vccz .LBB81_1311
; %bb.1308:
	global_load_b64 v[10:11], v[8:9], off
	s_mov_b32 s0, 0
	s_waitcnt vmcnt(0)
	v_cvt_f64_i32_e32 v[11:12], v11
	v_cvt_f64_u32_e32 v[13:14], v10
	s_delay_alu instid0(VALU_DEP_2) | instskip(NEXT) | instid1(VALU_DEP_1)
	v_ldexp_f64 v[11:12], v[11:12], 32
	v_add_f64 v[11:12], v[11:12], v[13:14]
	s_branch .LBB81_1312
.LBB81_1309:
	s_mov_b32 s0, -1
                                        ; implicit-def: $vgpr11_vgpr12
	s_branch .LBB81_1318
.LBB81_1310:
	s_mov_b32 s0, -1
                                        ; implicit-def: $vgpr11_vgpr12
	s_branch .LBB81_1315
.LBB81_1311:
	s_mov_b32 s0, -1
                                        ; implicit-def: $vgpr11_vgpr12
.LBB81_1312:
	s_delay_alu instid0(SALU_CYCLE_1)
	s_and_not1_b32 vcc_lo, exec_lo, s0
	s_cbranch_vccnz .LBB81_1314
; %bb.1313:
	global_load_b32 v10, v[8:9], off
	s_waitcnt vmcnt(0)
	v_cvt_f64_i32_e32 v[11:12], v10
.LBB81_1314:
	s_mov_b32 s0, 0
.LBB81_1315:
	s_delay_alu instid0(SALU_CYCLE_1)
	s_and_not1_b32 vcc_lo, exec_lo, s0
	s_cbranch_vccnz .LBB81_1317
; %bb.1316:
	global_load_i16 v10, v[8:9], off
	s_waitcnt vmcnt(0)
	v_cvt_f64_i32_e32 v[11:12], v10
.LBB81_1317:
	s_mov_b32 s0, 0
.LBB81_1318:
	s_delay_alu instid0(SALU_CYCLE_1)
	s_and_not1_b32 vcc_lo, exec_lo, s0
	s_cbranch_vccnz .LBB81_1324
; %bb.1319:
	v_cmp_lt_i16_e32 vcc_lo, 0, v15
	s_mov_b32 s0, 0
	s_cbranch_vccz .LBB81_1321
; %bb.1320:
	global_load_i8 v10, v[8:9], off
	s_waitcnt vmcnt(0)
	v_cvt_f64_i32_e32 v[11:12], v10
	s_branch .LBB81_1322
.LBB81_1321:
	s_mov_b32 s0, -1
                                        ; implicit-def: $vgpr11_vgpr12
.LBB81_1322:
	s_delay_alu instid0(SALU_CYCLE_1)
	s_and_not1_b32 vcc_lo, exec_lo, s0
	s_cbranch_vccnz .LBB81_1324
; %bb.1323:
	global_load_u8 v8, v[8:9], off
	s_waitcnt vmcnt(0)
	v_cvt_f64_u32_e32 v[11:12], v8
.LBB81_1324:
	s_branch .LBB81_1397
.LBB81_1325:
	s_trap 2
	s_sendmsg_rtn_b32 s0, sendmsg(MSG_RTN_GET_DOORBELL)
	s_mov_b32 ttmp2, m0
	s_waitcnt lgkmcnt(0)
	s_and_b32 s0, s0, 0x3ff
	s_delay_alu instid0(SALU_CYCLE_1) | instskip(NEXT) | instid1(SALU_CYCLE_1)
	s_bitset1_b32 s0, 10
	s_mov_b32 m0, s0
	s_sendmsg sendmsg(MSG_INTERRUPT)
	s_mov_b32 m0, ttmp2
.LBB81_1326:                            ; =>This Inner Loop Header: Depth=1
	s_sethalt 5
	s_branch .LBB81_1326
.LBB81_1327:
	s_or_saveexec_b32 s8, s8
                                        ; implicit-def: $sgpr9
	s_delay_alu instid0(SALU_CYCLE_1)
	s_xor_b32 exec_lo, exec_lo, s8
	s_cbranch_execz .LBB81_1003
.LBB81_1328:
	v_add_f32_e64 v3, 0x42800000, |v2|
	s_and_not1_b32 s5, s5, exec_lo
	s_mov_b32 s9, 0
	s_delay_alu instid0(VALU_DEP_1) | instskip(NEXT) | instid1(VALU_DEP_1)
	v_and_b32_e32 v3, 0xff, v3
	v_cmp_ne_u32_e32 vcc_lo, 0, v3
	s_and_b32 s10, vcc_lo, exec_lo
	s_delay_alu instid0(SALU_CYCLE_1)
	s_or_b32 s5, s5, s10
	s_or_b32 exec_lo, exec_lo, s8
	v_mov_b32_e32 v6, s9
	s_and_saveexec_b32 s8, s5
	s_cbranch_execnz .LBB81_1004
	s_branch .LBB81_1005
.LBB81_1329:
	s_mov_b32 s10, -1
.LBB81_1330:
                                        ; implicit-def: $vgpr11_vgpr12
.LBB81_1331:
	s_and_b32 vcc_lo, exec_lo, s1
	s_cbranch_vccz .LBB81_1335
; %bb.1332:
	v_cmp_eq_u16_e32 vcc_lo, 44, v15
	s_cbranch_vccz .LBB81_1334
; %bb.1333:
	global_load_u8 v12, v[8:9], off
	s_mov_b32 s10, 0
	s_mov_b32 s0, -1
	s_waitcnt vmcnt(0)
	v_cmp_ne_u32_e32 vcc_lo, 0xff, v12
	v_lshlrev_b32_e32 v10, 23, v12
	s_delay_alu instid0(VALU_DEP_1) | instskip(NEXT) | instid1(VALU_DEP_1)
	v_cvt_f64_f32_e32 v[10:11], v10
	v_cndmask_b32_e32 v11, 0x7ff80000, v11, vcc_lo
	s_delay_alu instid0(VALU_DEP_2) | instskip(SKIP_1) | instid1(VALU_DEP_3)
	v_cndmask_b32_e32 v10, 0x20000000, v10, vcc_lo
	v_cmp_ne_u32_e32 vcc_lo, 0, v12
	v_cndmask_b32_e32 v12, 0x38000000, v11, vcc_lo
	s_delay_alu instid0(VALU_DEP_3)
	v_cndmask_b32_e32 v11, 0, v10, vcc_lo
	s_branch .LBB81_1335
.LBB81_1334:
	s_mov_b32 s10, -1
                                        ; implicit-def: $vgpr11_vgpr12
.LBB81_1335:
	s_mov_b32 s1, 0
.LBB81_1336:
	s_delay_alu instid0(SALU_CYCLE_1)
	s_and_b32 vcc_lo, exec_lo, s1
	s_cbranch_vccz .LBB81_1340
; %bb.1337:
	v_cmp_eq_u16_e32 vcc_lo, 29, v15
	s_cbranch_vccz .LBB81_1339
; %bb.1338:
	global_load_b64 v[10:11], v[8:9], off
	s_mov_b32 s10, 0
	s_mov_b32 s0, -1
	s_mov_b32 s1, 0
	s_waitcnt vmcnt(0)
	v_cvt_f64_u32_e32 v[11:12], v11
	v_cvt_f64_u32_e32 v[13:14], v10
	s_delay_alu instid0(VALU_DEP_2) | instskip(NEXT) | instid1(VALU_DEP_1)
	v_ldexp_f64 v[11:12], v[11:12], 32
	v_add_f64 v[11:12], v[11:12], v[13:14]
	s_branch .LBB81_1341
.LBB81_1339:
	s_mov_b32 s10, -1
                                        ; implicit-def: $vgpr11_vgpr12
.LBB81_1340:
	s_mov_b32 s1, 0
.LBB81_1341:
	s_delay_alu instid0(SALU_CYCLE_1)
	s_and_b32 vcc_lo, exec_lo, s1
	s_cbranch_vccz .LBB81_1361
; %bb.1342:
	v_cmp_gt_i16_e32 vcc_lo, 27, v15
	s_cbranch_vccnz .LBB81_1345
; %bb.1343:
	v_cmp_lt_i16_e32 vcc_lo, 27, v15
	s_cbranch_vccz .LBB81_1346
; %bb.1344:
	global_load_b32 v10, v[8:9], off
	s_mov_b32 s0, 0
	s_waitcnt vmcnt(0)
	v_cvt_f64_u32_e32 v[11:12], v10
	s_branch .LBB81_1347
.LBB81_1345:
	s_mov_b32 s0, -1
                                        ; implicit-def: $vgpr11_vgpr12
	s_branch .LBB81_1350
.LBB81_1346:
	s_mov_b32 s0, -1
                                        ; implicit-def: $vgpr11_vgpr12
.LBB81_1347:
	s_delay_alu instid0(SALU_CYCLE_1)
	s_and_not1_b32 vcc_lo, exec_lo, s0
	s_cbranch_vccnz .LBB81_1349
; %bb.1348:
	global_load_u16 v10, v[8:9], off
	s_waitcnt vmcnt(0)
	v_cvt_f64_u32_e32 v[11:12], v10
.LBB81_1349:
	s_mov_b32 s0, 0
.LBB81_1350:
	s_delay_alu instid0(SALU_CYCLE_1)
	s_and_not1_b32 vcc_lo, exec_lo, s0
	s_cbranch_vccnz .LBB81_1360
; %bb.1351:
	global_load_u8 v10, v[8:9], off
	s_mov_b32 s12, 0
	s_mov_b32 s13, exec_lo
                                        ; implicit-def: $sgpr0_sgpr1
	s_waitcnt vmcnt(0)
	v_cmpx_lt_i16_e32 0x7f, v10
	s_xor_b32 s13, exec_lo, s13
	s_cbranch_execz .LBB81_1355
; %bb.1352:
	s_mov_b32 s14, -1
	s_mov_b32 s12, exec_lo
                                        ; implicit-def: $sgpr0_sgpr1
	v_cmpx_eq_u16_e32 0x80, v10
; %bb.1353:
	s_mov_b32 s1, 0x7ff80000
	s_brev_b32 s0, 4
	s_xor_b32 s14, exec_lo, -1
; %bb.1354:
	s_or_b32 exec_lo, exec_lo, s12
	s_delay_alu instid0(SALU_CYCLE_1)
	s_and_b32 s12, s14, exec_lo
.LBB81_1355:
	s_or_saveexec_b32 s13, s13
	v_dual_mov_b32 v12, s1 :: v_dual_mov_b32 v11, s0
	s_xor_b32 exec_lo, exec_lo, s13
; %bb.1356:
	v_cmp_ne_u16_e32 vcc_lo, 0, v10
	v_mov_b32_e32 v11, 0
	v_mov_b32_e32 v12, 0
	s_and_not1_b32 s0, s12, exec_lo
	s_and_b32 s1, vcc_lo, exec_lo
	s_delay_alu instid0(SALU_CYCLE_1)
	s_or_b32 s12, s0, s1
; %bb.1357:
	s_or_b32 exec_lo, exec_lo, s13
	s_and_saveexec_b32 s0, s12
	s_cbranch_execz .LBB81_1359
; %bb.1358:
	v_and_b32_e32 v11, 0xffff, v10
	v_lshlrev_b32_e32 v10, 24, v10
	s_delay_alu instid0(VALU_DEP_2) | instskip(NEXT) | instid1(VALU_DEP_2)
	v_and_b32_e32 v12, 7, v11
	v_and_b32_e32 v10, 0x80000000, v10
	s_delay_alu instid0(VALU_DEP_2) | instskip(NEXT) | instid1(VALU_DEP_1)
	v_clz_i32_u32_e32 v13, v12
	v_min_u32_e32 v13, 32, v13
	s_delay_alu instid0(VALU_DEP_1) | instskip(SKIP_1) | instid1(VALU_DEP_2)
	v_subrev_nc_u32_e32 v14, 28, v13
	v_sub_nc_u32_e32 v13, 29, v13
	v_lshlrev_b32_e32 v14, v14, v11
	v_bfe_u32 v11, v11, 3, 4
	s_delay_alu instid0(VALU_DEP_2) | instskip(NEXT) | instid1(VALU_DEP_2)
	v_and_b32_e32 v14, 7, v14
	v_cmp_eq_u32_e32 vcc_lo, 0, v11
	s_delay_alu instid0(VALU_DEP_2) | instskip(NEXT) | instid1(VALU_DEP_1)
	v_dual_cndmask_b32 v11, v11, v13 :: v_dual_cndmask_b32 v12, v12, v14
	v_lshl_add_u32 v11, v11, 23, 0x3b800000
	s_delay_alu instid0(VALU_DEP_2) | instskip(NEXT) | instid1(VALU_DEP_1)
	v_lshlrev_b32_e32 v12, 20, v12
	v_or3_b32 v10, v10, v11, v12
	s_delay_alu instid0(VALU_DEP_1)
	v_cvt_f64_f32_e32 v[11:12], v10
.LBB81_1359:
	s_or_b32 exec_lo, exec_lo, s0
.LBB81_1360:
	s_mov_b32 s0, -1
.LBB81_1361:
	s_branch .LBB81_1392
.LBB81_1362:
	v_cmp_lt_i16_e32 vcc_lo, 22, v15
	s_cbranch_vccz .LBB81_1374
; %bb.1363:
	v_cmp_gt_i16_e32 vcc_lo, 24, v15
	s_cbranch_vccnz .LBB81_1375
; %bb.1364:
	v_cmp_lt_i16_e32 vcc_lo, 24, v15
	s_cbranch_vccz .LBB81_1376
; %bb.1365:
	global_load_u8 v10, v[8:9], off
	s_mov_b32 s12, exec_lo
                                        ; implicit-def: $sgpr0_sgpr1
	s_waitcnt vmcnt(0)
	v_cmpx_lt_i16_e32 0x7f, v10
	s_xor_b32 s12, exec_lo, s12
	s_cbranch_execz .LBB81_1369
; %bb.1366:
	s_mov_b32 s13, -1
	s_mov_b32 s11, exec_lo
                                        ; implicit-def: $sgpr0_sgpr1
	v_cmpx_eq_u16_e32 0x80, v10
; %bb.1367:
	s_mov_b32 s1, 0x7ff80000
	s_brev_b32 s0, 4
	s_xor_b32 s13, exec_lo, -1
; %bb.1368:
	s_or_b32 exec_lo, exec_lo, s11
	s_delay_alu instid0(SALU_CYCLE_1)
	s_and_b32 s11, s13, exec_lo
.LBB81_1369:
	s_or_saveexec_b32 s12, s12
	v_dual_mov_b32 v12, s1 :: v_dual_mov_b32 v11, s0
	s_xor_b32 exec_lo, exec_lo, s12
; %bb.1370:
	v_cmp_ne_u16_e32 vcc_lo, 0, v10
	v_mov_b32_e32 v11, 0
	v_mov_b32_e32 v12, 0
	s_and_not1_b32 s0, s11, exec_lo
	s_and_b32 s1, vcc_lo, exec_lo
	s_delay_alu instid0(SALU_CYCLE_1)
	s_or_b32 s11, s0, s1
; %bb.1371:
	s_or_b32 exec_lo, exec_lo, s12
	s_and_saveexec_b32 s0, s11
	s_cbranch_execz .LBB81_1373
; %bb.1372:
	v_and_b32_e32 v11, 0xffff, v10
	v_lshlrev_b32_e32 v10, 24, v10
	s_delay_alu instid0(VALU_DEP_2) | instskip(NEXT) | instid1(VALU_DEP_2)
	v_and_b32_e32 v12, 3, v11
	v_and_b32_e32 v10, 0x80000000, v10
	s_delay_alu instid0(VALU_DEP_2) | instskip(NEXT) | instid1(VALU_DEP_1)
	v_clz_i32_u32_e32 v13, v12
	v_min_u32_e32 v13, 32, v13
	s_delay_alu instid0(VALU_DEP_1) | instskip(SKIP_1) | instid1(VALU_DEP_2)
	v_subrev_nc_u32_e32 v14, 29, v13
	v_sub_nc_u32_e32 v13, 30, v13
	v_lshlrev_b32_e32 v14, v14, v11
	v_bfe_u32 v11, v11, 2, 5
	s_delay_alu instid0(VALU_DEP_2) | instskip(NEXT) | instid1(VALU_DEP_2)
	v_and_b32_e32 v14, 3, v14
	v_cmp_eq_u32_e32 vcc_lo, 0, v11
	s_delay_alu instid0(VALU_DEP_2) | instskip(NEXT) | instid1(VALU_DEP_1)
	v_dual_cndmask_b32 v11, v11, v13 :: v_dual_cndmask_b32 v12, v12, v14
	v_lshl_add_u32 v11, v11, 23, 0x37800000
	s_delay_alu instid0(VALU_DEP_2) | instskip(NEXT) | instid1(VALU_DEP_1)
	v_lshlrev_b32_e32 v12, 21, v12
	v_or3_b32 v10, v10, v11, v12
	s_delay_alu instid0(VALU_DEP_1)
	v_cvt_f64_f32_e32 v[11:12], v10
.LBB81_1373:
	s_or_b32 exec_lo, exec_lo, s0
	s_mov_b32 s0, 0
	s_branch .LBB81_1377
.LBB81_1374:
	s_mov_b32 s1, -1
                                        ; implicit-def: $vgpr11_vgpr12
	s_branch .LBB81_1383
.LBB81_1375:
	s_mov_b32 s0, -1
                                        ; implicit-def: $vgpr11_vgpr12
	s_branch .LBB81_1380
.LBB81_1376:
	s_mov_b32 s0, -1
                                        ; implicit-def: $vgpr11_vgpr12
.LBB81_1377:
	s_delay_alu instid0(SALU_CYCLE_1)
	s_and_b32 vcc_lo, exec_lo, s0
	s_cbranch_vccz .LBB81_1379
; %bb.1378:
	global_load_u8 v10, v[8:9], off
	s_waitcnt vmcnt(0)
	v_lshlrev_b32_e32 v10, 24, v10
	s_delay_alu instid0(VALU_DEP_1) | instskip(NEXT) | instid1(VALU_DEP_1)
	v_and_b32_e32 v11, 0x7f000000, v10
	v_clz_i32_u32_e32 v12, v11
	v_add_nc_u32_e32 v14, 0x1000000, v11
	v_cmp_ne_u32_e32 vcc_lo, 0, v11
	s_delay_alu instid0(VALU_DEP_3) | instskip(NEXT) | instid1(VALU_DEP_1)
	v_min_u32_e32 v12, 32, v12
	v_sub_nc_u32_e64 v12, v12, 4 clamp
	s_delay_alu instid0(VALU_DEP_1) | instskip(SKIP_1) | instid1(VALU_DEP_2)
	v_lshlrev_b32_e32 v13, v12, v11
	v_lshlrev_b32_e32 v12, 23, v12
	v_lshrrev_b32_e32 v13, 4, v13
	s_delay_alu instid0(VALU_DEP_1) | instskip(SKIP_1) | instid1(VALU_DEP_2)
	v_sub_nc_u32_e32 v12, v13, v12
	v_ashrrev_i32_e32 v13, 8, v14
	v_add_nc_u32_e32 v12, 0x3c000000, v12
	s_delay_alu instid0(VALU_DEP_1) | instskip(NEXT) | instid1(VALU_DEP_1)
	v_and_or_b32 v12, 0x7f800000, v13, v12
	v_cndmask_b32_e32 v11, 0, v12, vcc_lo
	s_delay_alu instid0(VALU_DEP_1) | instskip(NEXT) | instid1(VALU_DEP_1)
	v_and_or_b32 v10, 0x80000000, v10, v11
	v_cvt_f64_f32_e32 v[11:12], v10
.LBB81_1379:
	s_mov_b32 s0, 0
.LBB81_1380:
	s_delay_alu instid0(SALU_CYCLE_1)
	s_and_not1_b32 vcc_lo, exec_lo, s0
	s_cbranch_vccnz .LBB81_1382
; %bb.1381:
	global_load_u8 v10, v[8:9], off
	s_waitcnt vmcnt(0)
	v_lshlrev_b32_e32 v11, 25, v10
	v_lshlrev_b16 v10, 8, v10
	s_delay_alu instid0(VALU_DEP_2) | instskip(NEXT) | instid1(VALU_DEP_2)
	v_lshrrev_b32_e32 v12, 4, v11
	v_and_or_b32 v13, 0x7f00, v10, 0.5
	v_bfe_i32 v10, v10, 0, 16
	s_delay_alu instid0(VALU_DEP_3) | instskip(NEXT) | instid1(VALU_DEP_1)
	v_or_b32_e32 v12, 0x70000000, v12
	v_dual_add_f32 v13, -0.5, v13 :: v_dual_mul_f32 v12, 0x7800000, v12
	v_cmp_gt_u32_e32 vcc_lo, 0x8000000, v11
	s_delay_alu instid0(VALU_DEP_2) | instskip(NEXT) | instid1(VALU_DEP_1)
	v_cndmask_b32_e32 v11, v12, v13, vcc_lo
	v_and_or_b32 v10, 0x80000000, v10, v11
	s_delay_alu instid0(VALU_DEP_1)
	v_cvt_f64_f32_e32 v[11:12], v10
.LBB81_1382:
	s_mov_b32 s1, 0
	s_mov_b32 s0, -1
.LBB81_1383:
	s_and_not1_b32 vcc_lo, exec_lo, s1
	s_mov_b32 s11, 0
	s_cbranch_vccnz .LBB81_1392
; %bb.1384:
	v_cmp_lt_i16_e32 vcc_lo, 14, v15
	s_cbranch_vccz .LBB81_1387
; %bb.1385:
	v_cmp_eq_u16_e32 vcc_lo, 15, v15
	s_cbranch_vccz .LBB81_1388
; %bb.1386:
	global_load_u16 v10, v[8:9], off
	s_mov_b32 s10, 0
	s_mov_b32 s0, -1
	s_waitcnt vmcnt(0)
	v_lshlrev_b32_e32 v10, 16, v10
	s_delay_alu instid0(VALU_DEP_1)
	v_cvt_f64_f32_e32 v[11:12], v10
	s_branch .LBB81_1389
.LBB81_1387:
	s_mov_b32 s1, -1
                                        ; implicit-def: $vgpr11_vgpr12
	s_branch .LBB81_1390
.LBB81_1388:
	s_mov_b32 s10, -1
                                        ; implicit-def: $vgpr11_vgpr12
.LBB81_1389:
	s_mov_b32 s1, 0
.LBB81_1390:
	s_delay_alu instid0(SALU_CYCLE_1)
	s_and_b32 vcc_lo, exec_lo, s1
	s_cbranch_vccz .LBB81_1392
; %bb.1391:
	v_cmp_ne_u16_e64 s10, 11, v15
	s_mov_b32 s11, -1
                                        ; implicit-def: $vgpr11_vgpr12
.LBB81_1392:
	s_delay_alu instid0(VALU_DEP_1)
	s_and_b32 vcc_lo, exec_lo, s10
	s_cbranch_vccnz .LBB81_1416
; %bb.1393:
	s_and_not1_b32 vcc_lo, exec_lo, s11
	s_cbranch_vccnz .LBB81_1395
.LBB81_1394:
	global_load_u8 v10, v[8:9], off
	v_mov_b32_e32 v11, 0
	s_mov_b32 s0, -1
	s_waitcnt vmcnt(0)
	v_cmp_ne_u16_e32 vcc_lo, 0, v10
	v_cndmask_b32_e64 v12, 0, 0x3ff00000, vcc_lo
.LBB81_1395:
.LBB81_1396:
	s_and_not1_b32 vcc_lo, exec_lo, s0
	s_cbranch_vccnz .LBB81_2094
.LBB81_1397:
	v_cmp_gt_i16_e32 vcc_lo, 11, v15
	v_add_co_u32 v7, s0, s6, v7
	s_delay_alu instid0(VALU_DEP_1)
	v_add_co_ci_u32_e64 v8, null, s7, 0, s0
	s_mov_b32 s0, 0
	s_cbranch_vccnz .LBB81_1404
; %bb.1398:
	v_cmp_lt_i16_e32 vcc_lo, 25, v15
	s_mov_b32 s11, 0
	s_cbranch_vccz .LBB81_1410
; %bb.1399:
	v_cmp_lt_i16_e32 vcc_lo, 28, v15
	s_cbranch_vccz .LBB81_1412
; %bb.1400:
	v_cmp_lt_i16_e32 vcc_lo, 43, v15
	s_cbranch_vccz .LBB81_1414
; %bb.1401:
	v_cmp_lt_i16_e32 vcc_lo, 45, v15
	s_cbranch_vccz .LBB81_1418
; %bb.1402:
	v_cmp_eq_u16_e32 vcc_lo, 46, v15
	s_mov_b32 s1, 0
	s_cbranch_vccz .LBB81_1461
; %bb.1403:
	global_load_b32 v9, v[7:8], off
	s_mov_b32 s10, 0
	s_mov_b32 s0, -1
	s_waitcnt vmcnt(0)
	v_lshlrev_b32_e32 v9, 16, v9
	s_delay_alu instid0(VALU_DEP_1)
	v_cvt_f64_f32_e32 v[9:10], v9
	s_branch .LBB81_1463
.LBB81_1404:
                                        ; implicit-def: $vgpr9_vgpr10
	s_cbranch_execz .LBB81_1529
; %bb.1405:
	v_cmp_gt_i16_e32 vcc_lo, 5, v15
	s_cbranch_vccnz .LBB81_1411
; %bb.1406:
	v_cmp_gt_i16_e32 vcc_lo, 8, v15
	s_cbranch_vccnz .LBB81_1413
	;; [unrolled: 3-line block ×3, first 2 shown]
; %bb.1408:
	v_cmp_lt_i16_e32 vcc_lo, 9, v15
	s_cbranch_vccz .LBB81_1419
; %bb.1409:
	global_load_b64 v[9:10], v[7:8], off
	s_mov_b32 s0, 0
	s_branch .LBB81_1420
.LBB81_1410:
	s_mov_b32 s1, -1
	s_mov_b32 s10, 0
                                        ; implicit-def: $vgpr9_vgpr10
	s_branch .LBB81_1494
.LBB81_1411:
	s_mov_b32 s0, -1
                                        ; implicit-def: $vgpr9_vgpr10
	s_branch .LBB81_1438
.LBB81_1412:
	s_mov_b32 s1, -1
	s_mov_b32 s10, 0
                                        ; implicit-def: $vgpr9_vgpr10
	s_branch .LBB81_1473
.LBB81_1413:
	s_mov_b32 s0, -1
                                        ; implicit-def: $vgpr9_vgpr10
	s_branch .LBB81_1426
.LBB81_1414:
	s_mov_b32 s1, -1
	s_mov_b32 s10, 0
                                        ; implicit-def: $vgpr9_vgpr10
	s_branch .LBB81_1468
.LBB81_1415:
	s_mov_b32 s0, -1
                                        ; implicit-def: $vgpr9_vgpr10
	s_branch .LBB81_1423
.LBB81_1416:
	s_cbranch_execnz .LBB81_1459
; %bb.1417:
	s_or_b32 s2, s2, exec_lo
                                        ; implicit-def: $vgpr11_vgpr12
	s_cbranch_execz .LBB81_1394
	s_branch .LBB81_1395
.LBB81_1418:
	s_mov_b32 s1, -1
	s_mov_b32 s10, 0
	s_branch .LBB81_1462
.LBB81_1419:
	s_mov_b32 s0, -1
                                        ; implicit-def: $vgpr9_vgpr10
.LBB81_1420:
	s_delay_alu instid0(SALU_CYCLE_1)
	s_and_not1_b32 vcc_lo, exec_lo, s0
	s_cbranch_vccnz .LBB81_1422
; %bb.1421:
	global_load_b32 v9, v[7:8], off
	s_waitcnt vmcnt(0)
	v_cvt_f64_f32_e32 v[9:10], v9
.LBB81_1422:
	s_mov_b32 s0, 0
.LBB81_1423:
	s_delay_alu instid0(SALU_CYCLE_1)
	s_and_not1_b32 vcc_lo, exec_lo, s0
	s_cbranch_vccnz .LBB81_1425
; %bb.1424:
	global_load_b32 v9, v[7:8], off
	s_waitcnt vmcnt(0)
	v_cvt_f32_f16_e32 v9, v9
	s_delay_alu instid0(VALU_DEP_1)
	v_cvt_f64_f32_e32 v[9:10], v9
.LBB81_1425:
	s_mov_b32 s0, 0
.LBB81_1426:
	s_delay_alu instid0(SALU_CYCLE_1)
	s_and_not1_b32 vcc_lo, exec_lo, s0
	s_cbranch_vccnz .LBB81_1437
; %bb.1427:
	v_cmp_gt_i16_e32 vcc_lo, 6, v15
	s_cbranch_vccnz .LBB81_1430
; %bb.1428:
	v_cmp_lt_i16_e32 vcc_lo, 6, v15
	s_cbranch_vccz .LBB81_1431
; %bb.1429:
	global_load_b64 v[9:10], v[7:8], off
	s_mov_b32 s0, 0
	s_branch .LBB81_1432
.LBB81_1430:
	s_mov_b32 s0, -1
                                        ; implicit-def: $vgpr9_vgpr10
	s_branch .LBB81_1435
.LBB81_1431:
	s_mov_b32 s0, -1
                                        ; implicit-def: $vgpr9_vgpr10
.LBB81_1432:
	s_delay_alu instid0(SALU_CYCLE_1)
	s_and_not1_b32 vcc_lo, exec_lo, s0
	s_cbranch_vccnz .LBB81_1434
; %bb.1433:
	global_load_b32 v9, v[7:8], off
	s_waitcnt vmcnt(0)
	v_cvt_f64_f32_e32 v[9:10], v9
.LBB81_1434:
	s_mov_b32 s0, 0
.LBB81_1435:
	s_delay_alu instid0(SALU_CYCLE_1)
	s_and_not1_b32 vcc_lo, exec_lo, s0
	s_cbranch_vccnz .LBB81_1437
; %bb.1436:
	global_load_u16 v9, v[7:8], off
	s_waitcnt vmcnt(0)
	v_cvt_f32_f16_e32 v9, v9
	s_delay_alu instid0(VALU_DEP_1)
	v_cvt_f64_f32_e32 v[9:10], v9
.LBB81_1437:
	s_mov_b32 s0, 0
.LBB81_1438:
	s_delay_alu instid0(SALU_CYCLE_1)
	s_and_not1_b32 vcc_lo, exec_lo, s0
	s_cbranch_vccnz .LBB81_1458
; %bb.1439:
	v_cmp_gt_i16_e32 vcc_lo, 2, v15
	s_cbranch_vccnz .LBB81_1443
; %bb.1440:
	v_cmp_gt_i16_e32 vcc_lo, 3, v15
	s_cbranch_vccnz .LBB81_1444
; %bb.1441:
	v_cmp_lt_i16_e32 vcc_lo, 3, v15
	s_cbranch_vccz .LBB81_1445
; %bb.1442:
	global_load_b64 v[9:10], v[7:8], off
	s_mov_b32 s0, 0
	s_waitcnt vmcnt(0)
	v_cvt_f64_i32_e32 v[13:14], v10
	v_cvt_f64_u32_e32 v[9:10], v9
	s_delay_alu instid0(VALU_DEP_2) | instskip(NEXT) | instid1(VALU_DEP_1)
	v_ldexp_f64 v[13:14], v[13:14], 32
	v_add_f64 v[9:10], v[13:14], v[9:10]
	s_branch .LBB81_1446
.LBB81_1443:
	s_mov_b32 s0, -1
                                        ; implicit-def: $vgpr9_vgpr10
	s_branch .LBB81_1452
.LBB81_1444:
	s_mov_b32 s0, -1
                                        ; implicit-def: $vgpr9_vgpr10
	s_branch .LBB81_1449
.LBB81_1445:
	s_mov_b32 s0, -1
                                        ; implicit-def: $vgpr9_vgpr10
.LBB81_1446:
	s_delay_alu instid0(SALU_CYCLE_1)
	s_and_not1_b32 vcc_lo, exec_lo, s0
	s_cbranch_vccnz .LBB81_1448
; %bb.1447:
	global_load_b32 v9, v[7:8], off
	s_waitcnt vmcnt(0)
	v_cvt_f64_i32_e32 v[9:10], v9
.LBB81_1448:
	s_mov_b32 s0, 0
.LBB81_1449:
	s_delay_alu instid0(SALU_CYCLE_1)
	s_and_not1_b32 vcc_lo, exec_lo, s0
	s_cbranch_vccnz .LBB81_1451
; %bb.1450:
	global_load_i16 v9, v[7:8], off
	s_waitcnt vmcnt(0)
	v_cvt_f64_i32_e32 v[9:10], v9
.LBB81_1451:
	s_mov_b32 s0, 0
.LBB81_1452:
	s_delay_alu instid0(SALU_CYCLE_1)
	s_and_not1_b32 vcc_lo, exec_lo, s0
	s_cbranch_vccnz .LBB81_1458
; %bb.1453:
	v_cmp_lt_i16_e32 vcc_lo, 0, v15
	s_mov_b32 s0, 0
	s_cbranch_vccz .LBB81_1455
; %bb.1454:
	global_load_i8 v9, v[7:8], off
	s_waitcnt vmcnt(0)
	v_cvt_f64_i32_e32 v[9:10], v9
	s_branch .LBB81_1456
.LBB81_1455:
	s_mov_b32 s0, -1
                                        ; implicit-def: $vgpr9_vgpr10
.LBB81_1456:
	s_delay_alu instid0(SALU_CYCLE_1)
	s_and_not1_b32 vcc_lo, exec_lo, s0
	s_cbranch_vccnz .LBB81_1458
; %bb.1457:
	global_load_u8 v7, v[7:8], off
	s_waitcnt vmcnt(0)
	v_cvt_f64_u32_e32 v[9:10], v7
.LBB81_1458:
	s_branch .LBB81_1530
.LBB81_1459:
	s_trap 2
	s_sendmsg_rtn_b32 s0, sendmsg(MSG_RTN_GET_DOORBELL)
	s_mov_b32 ttmp2, m0
	s_waitcnt lgkmcnt(0)
	s_and_b32 s0, s0, 0x3ff
	s_delay_alu instid0(SALU_CYCLE_1) | instskip(NEXT) | instid1(SALU_CYCLE_1)
	s_bitset1_b32 s0, 10
	s_mov_b32 m0, s0
	s_sendmsg sendmsg(MSG_INTERRUPT)
	s_mov_b32 m0, ttmp2
.LBB81_1460:                            ; =>This Inner Loop Header: Depth=1
	s_sethalt 5
	s_branch .LBB81_1460
.LBB81_1461:
	s_mov_b32 s10, -1
.LBB81_1462:
                                        ; implicit-def: $vgpr9_vgpr10
.LBB81_1463:
	s_and_b32 vcc_lo, exec_lo, s1
	s_cbranch_vccz .LBB81_1467
; %bb.1464:
	v_cmp_eq_u16_e32 vcc_lo, 44, v15
	s_cbranch_vccz .LBB81_1466
; %bb.1465:
	global_load_u8 v13, v[7:8], off
	s_mov_b32 s10, 0
	s_mov_b32 s0, -1
	s_waitcnt vmcnt(0)
	v_cmp_ne_u32_e32 vcc_lo, 0xff, v13
	v_lshlrev_b32_e32 v9, 23, v13
	s_delay_alu instid0(VALU_DEP_1) | instskip(NEXT) | instid1(VALU_DEP_1)
	v_cvt_f64_f32_e32 v[9:10], v9
	v_cndmask_b32_e32 v10, 0x7ff80000, v10, vcc_lo
	s_delay_alu instid0(VALU_DEP_2) | instskip(SKIP_1) | instid1(VALU_DEP_3)
	v_cndmask_b32_e32 v9, 0x20000000, v9, vcc_lo
	v_cmp_ne_u32_e32 vcc_lo, 0, v13
	v_cndmask_b32_e32 v10, 0x38000000, v10, vcc_lo
	s_delay_alu instid0(VALU_DEP_3)
	v_cndmask_b32_e32 v9, 0, v9, vcc_lo
	s_branch .LBB81_1467
.LBB81_1466:
	s_mov_b32 s10, -1
                                        ; implicit-def: $vgpr9_vgpr10
.LBB81_1467:
	s_mov_b32 s1, 0
.LBB81_1468:
	s_delay_alu instid0(SALU_CYCLE_1)
	s_and_b32 vcc_lo, exec_lo, s1
	s_cbranch_vccz .LBB81_1472
; %bb.1469:
	v_cmp_eq_u16_e32 vcc_lo, 29, v15
	s_cbranch_vccz .LBB81_1471
; %bb.1470:
	global_load_b64 v[9:10], v[7:8], off
	s_mov_b32 s10, 0
	s_mov_b32 s0, -1
	s_mov_b32 s1, 0
	s_waitcnt vmcnt(0)
	v_cvt_f64_u32_e32 v[13:14], v10
	v_cvt_f64_u32_e32 v[9:10], v9
	s_delay_alu instid0(VALU_DEP_2) | instskip(NEXT) | instid1(VALU_DEP_1)
	v_ldexp_f64 v[13:14], v[13:14], 32
	v_add_f64 v[9:10], v[13:14], v[9:10]
	s_branch .LBB81_1473
.LBB81_1471:
	s_mov_b32 s10, -1
                                        ; implicit-def: $vgpr9_vgpr10
.LBB81_1472:
	s_mov_b32 s1, 0
.LBB81_1473:
	s_delay_alu instid0(SALU_CYCLE_1)
	s_and_b32 vcc_lo, exec_lo, s1
	s_cbranch_vccz .LBB81_1493
; %bb.1474:
	v_cmp_gt_i16_e32 vcc_lo, 27, v15
	s_cbranch_vccnz .LBB81_1477
; %bb.1475:
	v_cmp_lt_i16_e32 vcc_lo, 27, v15
	s_cbranch_vccz .LBB81_1478
; %bb.1476:
	global_load_b32 v9, v[7:8], off
	s_mov_b32 s0, 0
	s_waitcnt vmcnt(0)
	v_cvt_f64_u32_e32 v[9:10], v9
	s_branch .LBB81_1479
.LBB81_1477:
	s_mov_b32 s0, -1
                                        ; implicit-def: $vgpr9_vgpr10
	s_branch .LBB81_1482
.LBB81_1478:
	s_mov_b32 s0, -1
                                        ; implicit-def: $vgpr9_vgpr10
.LBB81_1479:
	s_delay_alu instid0(SALU_CYCLE_1)
	s_and_not1_b32 vcc_lo, exec_lo, s0
	s_cbranch_vccnz .LBB81_1481
; %bb.1480:
	global_load_u16 v9, v[7:8], off
	s_waitcnt vmcnt(0)
	v_cvt_f64_u32_e32 v[9:10], v9
.LBB81_1481:
	s_mov_b32 s0, 0
.LBB81_1482:
	s_delay_alu instid0(SALU_CYCLE_1)
	s_and_not1_b32 vcc_lo, exec_lo, s0
	s_cbranch_vccnz .LBB81_1492
; %bb.1483:
	global_load_u8 v13, v[7:8], off
	s_mov_b32 s12, 0
	s_mov_b32 s13, exec_lo
                                        ; implicit-def: $sgpr0_sgpr1
	s_waitcnt vmcnt(0)
	v_cmpx_lt_i16_e32 0x7f, v13
	s_xor_b32 s13, exec_lo, s13
	s_cbranch_execz .LBB81_1487
; %bb.1484:
	s_mov_b32 s14, -1
	s_mov_b32 s12, exec_lo
                                        ; implicit-def: $sgpr0_sgpr1
	v_cmpx_eq_u16_e32 0x80, v13
; %bb.1485:
	s_mov_b32 s1, 0x7ff80000
	s_brev_b32 s0, 4
	s_xor_b32 s14, exec_lo, -1
; %bb.1486:
	s_or_b32 exec_lo, exec_lo, s12
	s_delay_alu instid0(SALU_CYCLE_1)
	s_and_b32 s12, s14, exec_lo
.LBB81_1487:
	s_or_saveexec_b32 s13, s13
	v_dual_mov_b32 v10, s1 :: v_dual_mov_b32 v9, s0
	s_xor_b32 exec_lo, exec_lo, s13
; %bb.1488:
	v_cmp_ne_u16_e32 vcc_lo, 0, v13
	v_mov_b32_e32 v9, 0
	v_mov_b32_e32 v10, 0
	s_and_not1_b32 s0, s12, exec_lo
	s_and_b32 s1, vcc_lo, exec_lo
	s_delay_alu instid0(SALU_CYCLE_1)
	s_or_b32 s12, s0, s1
; %bb.1489:
	s_or_b32 exec_lo, exec_lo, s13
	s_and_saveexec_b32 s0, s12
	s_cbranch_execz .LBB81_1491
; %bb.1490:
	v_and_b32_e32 v9, 0xffff, v13
	v_lshlrev_b32_e32 v13, 24, v13
	s_delay_alu instid0(VALU_DEP_2) | instskip(NEXT) | instid1(VALU_DEP_2)
	v_and_b32_e32 v10, 7, v9
	v_and_b32_e32 v13, 0x80000000, v13
	s_delay_alu instid0(VALU_DEP_2) | instskip(NEXT) | instid1(VALU_DEP_1)
	v_clz_i32_u32_e32 v14, v10
	v_min_u32_e32 v14, 32, v14
	s_delay_alu instid0(VALU_DEP_1) | instskip(SKIP_1) | instid1(VALU_DEP_2)
	v_subrev_nc_u32_e32 v16, 28, v14
	v_sub_nc_u32_e32 v14, 29, v14
	v_lshlrev_b32_e32 v16, v16, v9
	v_bfe_u32 v9, v9, 3, 4
	s_delay_alu instid0(VALU_DEP_2) | instskip(NEXT) | instid1(VALU_DEP_2)
	v_and_b32_e32 v16, 7, v16
	v_cmp_eq_u32_e32 vcc_lo, 0, v9
	s_delay_alu instid0(VALU_DEP_2) | instskip(NEXT) | instid1(VALU_DEP_1)
	v_dual_cndmask_b32 v9, v9, v14 :: v_dual_cndmask_b32 v10, v10, v16
	v_lshl_add_u32 v9, v9, 23, 0x3b800000
	s_delay_alu instid0(VALU_DEP_2) | instskip(NEXT) | instid1(VALU_DEP_1)
	v_lshlrev_b32_e32 v10, 20, v10
	v_or3_b32 v9, v13, v9, v10
	s_delay_alu instid0(VALU_DEP_1)
	v_cvt_f64_f32_e32 v[9:10], v9
.LBB81_1491:
	s_or_b32 exec_lo, exec_lo, s0
.LBB81_1492:
	s_mov_b32 s0, -1
.LBB81_1493:
	s_mov_b32 s1, 0
.LBB81_1494:
	s_delay_alu instid0(SALU_CYCLE_1)
	s_and_b32 vcc_lo, exec_lo, s1
	s_cbranch_vccz .LBB81_1525
; %bb.1495:
	v_cmp_lt_i16_e32 vcc_lo, 22, v15
	s_cbranch_vccz .LBB81_1507
; %bb.1496:
	v_cmp_gt_i16_e32 vcc_lo, 24, v15
	s_cbranch_vccnz .LBB81_1508
; %bb.1497:
	v_cmp_lt_i16_e32 vcc_lo, 24, v15
	s_cbranch_vccz .LBB81_1509
; %bb.1498:
	global_load_u8 v13, v[7:8], off
	s_mov_b32 s12, exec_lo
                                        ; implicit-def: $sgpr0_sgpr1
	s_waitcnt vmcnt(0)
	v_cmpx_lt_i16_e32 0x7f, v13
	s_xor_b32 s12, exec_lo, s12
	s_cbranch_execz .LBB81_1502
; %bb.1499:
	s_mov_b32 s13, -1
	s_mov_b32 s11, exec_lo
                                        ; implicit-def: $sgpr0_sgpr1
	v_cmpx_eq_u16_e32 0x80, v13
; %bb.1500:
	s_mov_b32 s1, 0x7ff80000
	s_brev_b32 s0, 4
	s_xor_b32 s13, exec_lo, -1
; %bb.1501:
	s_or_b32 exec_lo, exec_lo, s11
	s_delay_alu instid0(SALU_CYCLE_1)
	s_and_b32 s11, s13, exec_lo
.LBB81_1502:
	s_or_saveexec_b32 s12, s12
	v_dual_mov_b32 v10, s1 :: v_dual_mov_b32 v9, s0
	s_xor_b32 exec_lo, exec_lo, s12
; %bb.1503:
	v_cmp_ne_u16_e32 vcc_lo, 0, v13
	v_mov_b32_e32 v9, 0
	v_mov_b32_e32 v10, 0
	s_and_not1_b32 s0, s11, exec_lo
	s_and_b32 s1, vcc_lo, exec_lo
	s_delay_alu instid0(SALU_CYCLE_1)
	s_or_b32 s11, s0, s1
; %bb.1504:
	s_or_b32 exec_lo, exec_lo, s12
	s_and_saveexec_b32 s0, s11
	s_cbranch_execz .LBB81_1506
; %bb.1505:
	v_and_b32_e32 v9, 0xffff, v13
	v_lshlrev_b32_e32 v13, 24, v13
	s_delay_alu instid0(VALU_DEP_2) | instskip(NEXT) | instid1(VALU_DEP_2)
	v_and_b32_e32 v10, 3, v9
	v_and_b32_e32 v13, 0x80000000, v13
	s_delay_alu instid0(VALU_DEP_2) | instskip(NEXT) | instid1(VALU_DEP_1)
	v_clz_i32_u32_e32 v14, v10
	v_min_u32_e32 v14, 32, v14
	s_delay_alu instid0(VALU_DEP_1) | instskip(SKIP_1) | instid1(VALU_DEP_2)
	v_subrev_nc_u32_e32 v16, 29, v14
	v_sub_nc_u32_e32 v14, 30, v14
	v_lshlrev_b32_e32 v16, v16, v9
	v_bfe_u32 v9, v9, 2, 5
	s_delay_alu instid0(VALU_DEP_2) | instskip(NEXT) | instid1(VALU_DEP_2)
	v_and_b32_e32 v16, 3, v16
	v_cmp_eq_u32_e32 vcc_lo, 0, v9
	s_delay_alu instid0(VALU_DEP_2) | instskip(NEXT) | instid1(VALU_DEP_1)
	v_dual_cndmask_b32 v9, v9, v14 :: v_dual_cndmask_b32 v10, v10, v16
	v_lshl_add_u32 v9, v9, 23, 0x37800000
	s_delay_alu instid0(VALU_DEP_2) | instskip(NEXT) | instid1(VALU_DEP_1)
	v_lshlrev_b32_e32 v10, 21, v10
	v_or3_b32 v9, v13, v9, v10
	s_delay_alu instid0(VALU_DEP_1)
	v_cvt_f64_f32_e32 v[9:10], v9
.LBB81_1506:
	s_or_b32 exec_lo, exec_lo, s0
	s_mov_b32 s0, 0
	s_branch .LBB81_1510
.LBB81_1507:
	s_mov_b32 s1, -1
                                        ; implicit-def: $vgpr9_vgpr10
	s_branch .LBB81_1516
.LBB81_1508:
	s_mov_b32 s0, -1
                                        ; implicit-def: $vgpr9_vgpr10
	s_branch .LBB81_1513
.LBB81_1509:
	s_mov_b32 s0, -1
                                        ; implicit-def: $vgpr9_vgpr10
.LBB81_1510:
	s_delay_alu instid0(SALU_CYCLE_1)
	s_and_b32 vcc_lo, exec_lo, s0
	s_cbranch_vccz .LBB81_1512
; %bb.1511:
	global_load_u8 v9, v[7:8], off
	s_waitcnt vmcnt(0)
	v_lshlrev_b32_e32 v9, 24, v9
	s_delay_alu instid0(VALU_DEP_1) | instskip(NEXT) | instid1(VALU_DEP_1)
	v_and_b32_e32 v10, 0x7f000000, v9
	v_clz_i32_u32_e32 v13, v10
	v_add_nc_u32_e32 v16, 0x1000000, v10
	v_cmp_ne_u32_e32 vcc_lo, 0, v10
	s_delay_alu instid0(VALU_DEP_3) | instskip(NEXT) | instid1(VALU_DEP_1)
	v_min_u32_e32 v13, 32, v13
	v_sub_nc_u32_e64 v13, v13, 4 clamp
	s_delay_alu instid0(VALU_DEP_1) | instskip(SKIP_1) | instid1(VALU_DEP_2)
	v_lshlrev_b32_e32 v14, v13, v10
	v_lshlrev_b32_e32 v13, 23, v13
	v_lshrrev_b32_e32 v14, 4, v14
	s_delay_alu instid0(VALU_DEP_1) | instskip(SKIP_1) | instid1(VALU_DEP_2)
	v_sub_nc_u32_e32 v13, v14, v13
	v_ashrrev_i32_e32 v14, 8, v16
	v_add_nc_u32_e32 v13, 0x3c000000, v13
	s_delay_alu instid0(VALU_DEP_1) | instskip(NEXT) | instid1(VALU_DEP_1)
	v_and_or_b32 v13, 0x7f800000, v14, v13
	v_cndmask_b32_e32 v10, 0, v13, vcc_lo
	s_delay_alu instid0(VALU_DEP_1) | instskip(NEXT) | instid1(VALU_DEP_1)
	v_and_or_b32 v9, 0x80000000, v9, v10
	v_cvt_f64_f32_e32 v[9:10], v9
.LBB81_1512:
	s_mov_b32 s0, 0
.LBB81_1513:
	s_delay_alu instid0(SALU_CYCLE_1)
	s_and_not1_b32 vcc_lo, exec_lo, s0
	s_cbranch_vccnz .LBB81_1515
; %bb.1514:
	global_load_u8 v9, v[7:8], off
	s_waitcnt vmcnt(0)
	v_lshlrev_b32_e32 v10, 25, v9
	v_lshlrev_b16 v9, 8, v9
	s_delay_alu instid0(VALU_DEP_2) | instskip(NEXT) | instid1(VALU_DEP_2)
	v_lshrrev_b32_e32 v13, 4, v10
	v_and_or_b32 v14, 0x7f00, v9, 0.5
	v_cmp_gt_u32_e32 vcc_lo, 0x8000000, v10
	v_bfe_i32 v9, v9, 0, 16
	s_delay_alu instid0(VALU_DEP_4) | instskip(NEXT) | instid1(VALU_DEP_1)
	v_or_b32_e32 v13, 0x70000000, v13
	v_dual_add_f32 v14, -0.5, v14 :: v_dual_mul_f32 v13, 0x7800000, v13
	s_delay_alu instid0(VALU_DEP_1) | instskip(NEXT) | instid1(VALU_DEP_1)
	v_cndmask_b32_e32 v10, v13, v14, vcc_lo
	v_and_or_b32 v9, 0x80000000, v9, v10
	s_delay_alu instid0(VALU_DEP_1)
	v_cvt_f64_f32_e32 v[9:10], v9
.LBB81_1515:
	s_mov_b32 s1, 0
	s_mov_b32 s0, -1
.LBB81_1516:
	s_and_not1_b32 vcc_lo, exec_lo, s1
	s_mov_b32 s11, 0
	s_cbranch_vccnz .LBB81_1525
; %bb.1517:
	v_cmp_lt_i16_e32 vcc_lo, 14, v15
	s_cbranch_vccz .LBB81_1520
; %bb.1518:
	v_cmp_eq_u16_e32 vcc_lo, 15, v15
	s_cbranch_vccz .LBB81_1521
; %bb.1519:
	global_load_u16 v9, v[7:8], off
	s_mov_b32 s10, 0
	s_mov_b32 s0, -1
	s_waitcnt vmcnt(0)
	v_lshlrev_b32_e32 v9, 16, v9
	s_delay_alu instid0(VALU_DEP_1)
	v_cvt_f64_f32_e32 v[9:10], v9
	s_branch .LBB81_1522
.LBB81_1520:
	s_mov_b32 s1, -1
                                        ; implicit-def: $vgpr9_vgpr10
	s_branch .LBB81_1523
.LBB81_1521:
	s_mov_b32 s10, -1
                                        ; implicit-def: $vgpr9_vgpr10
.LBB81_1522:
	s_mov_b32 s1, 0
.LBB81_1523:
	s_delay_alu instid0(SALU_CYCLE_1)
	s_and_b32 vcc_lo, exec_lo, s1
	s_cbranch_vccz .LBB81_1525
; %bb.1524:
	v_cmp_ne_u16_e64 s10, 11, v15
	s_mov_b32 s11, -1
                                        ; implicit-def: $vgpr9_vgpr10
.LBB81_1525:
	s_delay_alu instid0(VALU_DEP_1)
	s_and_b32 vcc_lo, exec_lo, s10
	s_cbranch_vccnz .LBB81_1541
; %bb.1526:
	s_and_not1_b32 vcc_lo, exec_lo, s11
	s_cbranch_vccnz .LBB81_1528
.LBB81_1527:
	global_load_u8 v9, v[7:8], off
	s_mov_b32 s0, -1
	s_waitcnt vmcnt(0)
	v_cmp_ne_u16_e32 vcc_lo, 0, v9
	v_mov_b32_e32 v9, 0
	v_cndmask_b32_e64 v10, 0, 0x3ff00000, vcc_lo
.LBB81_1528:
.LBB81_1529:
	s_and_not1_b32 vcc_lo, exec_lo, s0
	s_cbranch_vccnz .LBB81_2094
.LBB81_1530:
	v_cmp_gt_i16_e32 vcc_lo, 11, v15
	v_add_co_u32 v13, s0, s6, v3
	s_delay_alu instid0(VALU_DEP_1)
	v_add_co_ci_u32_e64 v14, null, s7, 0, s0
	s_mov_b32 s0, 0
	s_cbranch_vccnz .LBB81_1537
; %bb.1531:
	v_cmp_lt_i16_e32 vcc_lo, 25, v15
	s_mov_b32 s7, 0
	s_cbranch_vccz .LBB81_1538
; %bb.1532:
	v_cmp_lt_i16_e32 vcc_lo, 28, v15
	s_cbranch_vccz .LBB81_1539
; %bb.1533:
	v_cmp_lt_i16_e32 vcc_lo, 43, v15
	;; [unrolled: 3-line block ×3, first 2 shown]
	s_cbranch_vccz .LBB81_1543
; %bb.1535:
	v_cmp_eq_u16_e32 vcc_lo, 46, v15
	s_mov_b32 s1, 0
	s_cbranch_vccz .LBB81_1546
; %bb.1536:
	global_load_b32 v3, v[13:14], off
	s_mov_b32 s6, 0
	s_mov_b32 s0, -1
	s_waitcnt vmcnt(0)
	v_lshlrev_b32_e32 v3, 16, v3
	s_delay_alu instid0(VALU_DEP_1)
	v_cvt_f64_f32_e32 v[7:8], v3
	s_branch .LBB81_1548
.LBB81_1537:
	s_mov_b32 s1, -1
                                        ; implicit-def: $vgpr7_vgpr8
	s_branch .LBB81_1614
.LBB81_1538:
	s_mov_b32 s1, -1
	s_mov_b32 s6, 0
                                        ; implicit-def: $vgpr7_vgpr8
	s_branch .LBB81_1579
.LBB81_1539:
	s_mov_b32 s1, -1
	s_mov_b32 s6, 0
                                        ; implicit-def: $vgpr7_vgpr8
	s_branch .LBB81_1558
.LBB81_1540:
	s_mov_b32 s1, -1
	s_mov_b32 s6, 0
                                        ; implicit-def: $vgpr7_vgpr8
	s_branch .LBB81_1553
.LBB81_1541:
	s_cbranch_execnz .LBB81_1544
; %bb.1542:
	s_or_b32 s2, s2, exec_lo
                                        ; implicit-def: $vgpr9_vgpr10
	s_cbranch_execz .LBB81_1527
	s_branch .LBB81_1528
.LBB81_1543:
	s_mov_b32 s1, -1
	s_mov_b32 s6, 0
	s_branch .LBB81_1547
.LBB81_1544:
	s_trap 2
	s_sendmsg_rtn_b32 s0, sendmsg(MSG_RTN_GET_DOORBELL)
	s_mov_b32 ttmp2, m0
	s_waitcnt lgkmcnt(0)
	s_and_b32 s0, s0, 0x3ff
	s_delay_alu instid0(SALU_CYCLE_1) | instskip(NEXT) | instid1(SALU_CYCLE_1)
	s_bitset1_b32 s0, 10
	s_mov_b32 m0, s0
	s_sendmsg sendmsg(MSG_INTERRUPT)
	s_mov_b32 m0, ttmp2
.LBB81_1545:                            ; =>This Inner Loop Header: Depth=1
	s_sethalt 5
	s_branch .LBB81_1545
.LBB81_1546:
	s_mov_b32 s6, -1
.LBB81_1547:
                                        ; implicit-def: $vgpr7_vgpr8
.LBB81_1548:
	s_and_b32 vcc_lo, exec_lo, s1
	s_cbranch_vccz .LBB81_1552
; %bb.1549:
	v_cmp_eq_u16_e32 vcc_lo, 44, v15
	s_cbranch_vccz .LBB81_1551
; %bb.1550:
	global_load_u8 v3, v[13:14], off
	s_mov_b32 s6, 0
	s_mov_b32 s0, -1
	s_waitcnt vmcnt(0)
	v_cmp_ne_u32_e32 vcc_lo, 0xff, v3
	v_lshlrev_b32_e32 v7, 23, v3
	s_delay_alu instid0(VALU_DEP_1) | instskip(NEXT) | instid1(VALU_DEP_1)
	v_cvt_f64_f32_e32 v[7:8], v7
	v_cndmask_b32_e32 v8, 0x7ff80000, v8, vcc_lo
	s_delay_alu instid0(VALU_DEP_2) | instskip(SKIP_1) | instid1(VALU_DEP_3)
	v_cndmask_b32_e32 v7, 0x20000000, v7, vcc_lo
	v_cmp_ne_u32_e32 vcc_lo, 0, v3
	v_cndmask_b32_e32 v8, 0x38000000, v8, vcc_lo
	s_delay_alu instid0(VALU_DEP_3)
	v_cndmask_b32_e32 v7, 0, v7, vcc_lo
	s_branch .LBB81_1552
.LBB81_1551:
	s_mov_b32 s6, -1
                                        ; implicit-def: $vgpr7_vgpr8
.LBB81_1552:
	s_mov_b32 s1, 0
.LBB81_1553:
	s_delay_alu instid0(SALU_CYCLE_1)
	s_and_b32 vcc_lo, exec_lo, s1
	s_cbranch_vccz .LBB81_1557
; %bb.1554:
	v_cmp_eq_u16_e32 vcc_lo, 29, v15
	s_cbranch_vccz .LBB81_1556
; %bb.1555:
	global_load_b64 v[7:8], v[13:14], off
	s_mov_b32 s6, 0
	s_mov_b32 s0, -1
	s_mov_b32 s1, 0
	s_waitcnt vmcnt(0)
	v_cvt_f64_u32_e32 v[16:17], v8
	v_cvt_f64_u32_e32 v[7:8], v7
	s_delay_alu instid0(VALU_DEP_2) | instskip(NEXT) | instid1(VALU_DEP_1)
	v_ldexp_f64 v[16:17], v[16:17], 32
	v_add_f64 v[7:8], v[16:17], v[7:8]
	s_branch .LBB81_1558
.LBB81_1556:
	s_mov_b32 s6, -1
                                        ; implicit-def: $vgpr7_vgpr8
.LBB81_1557:
	s_mov_b32 s1, 0
.LBB81_1558:
	s_delay_alu instid0(SALU_CYCLE_1)
	s_and_b32 vcc_lo, exec_lo, s1
	s_cbranch_vccz .LBB81_1578
; %bb.1559:
	v_cmp_gt_i16_e32 vcc_lo, 27, v15
	s_cbranch_vccnz .LBB81_1562
; %bb.1560:
	v_cmp_lt_i16_e32 vcc_lo, 27, v15
	s_cbranch_vccz .LBB81_1563
; %bb.1561:
	global_load_b32 v3, v[13:14], off
	s_mov_b32 s0, 0
	s_waitcnt vmcnt(0)
	v_cvt_f64_u32_e32 v[7:8], v3
	s_branch .LBB81_1564
.LBB81_1562:
	s_mov_b32 s0, -1
                                        ; implicit-def: $vgpr7_vgpr8
	s_branch .LBB81_1567
.LBB81_1563:
	s_mov_b32 s0, -1
                                        ; implicit-def: $vgpr7_vgpr8
.LBB81_1564:
	s_delay_alu instid0(SALU_CYCLE_1)
	s_and_not1_b32 vcc_lo, exec_lo, s0
	s_cbranch_vccnz .LBB81_1566
; %bb.1565:
	global_load_u16 v3, v[13:14], off
	s_waitcnt vmcnt(0)
	v_cvt_f64_u32_e32 v[7:8], v3
.LBB81_1566:
	s_mov_b32 s0, 0
.LBB81_1567:
	s_delay_alu instid0(SALU_CYCLE_1)
	s_and_not1_b32 vcc_lo, exec_lo, s0
	s_cbranch_vccnz .LBB81_1577
; %bb.1568:
	global_load_u8 v3, v[13:14], off
	s_mov_b32 s10, 0
	s_mov_b32 s11, exec_lo
                                        ; implicit-def: $sgpr0_sgpr1
	s_waitcnt vmcnt(0)
	v_cmpx_lt_i16_e32 0x7f, v3
	s_xor_b32 s11, exec_lo, s11
	s_cbranch_execz .LBB81_1572
; %bb.1569:
	s_mov_b32 s12, -1
	s_mov_b32 s10, exec_lo
                                        ; implicit-def: $sgpr0_sgpr1
	v_cmpx_eq_u16_e32 0x80, v3
; %bb.1570:
	s_mov_b32 s1, 0x7ff80000
	s_brev_b32 s0, 4
	s_xor_b32 s12, exec_lo, -1
; %bb.1571:
	s_or_b32 exec_lo, exec_lo, s10
	s_delay_alu instid0(SALU_CYCLE_1)
	s_and_b32 s10, s12, exec_lo
.LBB81_1572:
	s_or_saveexec_b32 s11, s11
	v_dual_mov_b32 v8, s1 :: v_dual_mov_b32 v7, s0
	s_xor_b32 exec_lo, exec_lo, s11
; %bb.1573:
	v_cmp_ne_u16_e32 vcc_lo, 0, v3
	v_mov_b32_e32 v7, 0
	v_mov_b32_e32 v8, 0
	s_and_not1_b32 s0, s10, exec_lo
	s_and_b32 s1, vcc_lo, exec_lo
	s_delay_alu instid0(SALU_CYCLE_1)
	s_or_b32 s10, s0, s1
; %bb.1574:
	s_or_b32 exec_lo, exec_lo, s11
	s_and_saveexec_b32 s0, s10
	s_cbranch_execz .LBB81_1576
; %bb.1575:
	v_and_b32_e32 v7, 0xffff, v3
	v_lshlrev_b32_e32 v3, 24, v3
	s_delay_alu instid0(VALU_DEP_2) | instskip(NEXT) | instid1(VALU_DEP_2)
	v_and_b32_e32 v8, 7, v7
	v_and_b32_e32 v3, 0x80000000, v3
	s_delay_alu instid0(VALU_DEP_2) | instskip(NEXT) | instid1(VALU_DEP_1)
	v_clz_i32_u32_e32 v16, v8
	v_min_u32_e32 v16, 32, v16
	s_delay_alu instid0(VALU_DEP_1) | instskip(SKIP_1) | instid1(VALU_DEP_2)
	v_subrev_nc_u32_e32 v17, 28, v16
	v_sub_nc_u32_e32 v16, 29, v16
	v_lshlrev_b32_e32 v17, v17, v7
	v_bfe_u32 v7, v7, 3, 4
	s_delay_alu instid0(VALU_DEP_2) | instskip(NEXT) | instid1(VALU_DEP_2)
	v_and_b32_e32 v17, 7, v17
	v_cmp_eq_u32_e32 vcc_lo, 0, v7
	s_delay_alu instid0(VALU_DEP_2) | instskip(NEXT) | instid1(VALU_DEP_1)
	v_dual_cndmask_b32 v7, v7, v16 :: v_dual_cndmask_b32 v8, v8, v17
	v_lshl_add_u32 v7, v7, 23, 0x3b800000
	s_delay_alu instid0(VALU_DEP_2) | instskip(NEXT) | instid1(VALU_DEP_1)
	v_lshlrev_b32_e32 v8, 20, v8
	v_or3_b32 v3, v3, v7, v8
	s_delay_alu instid0(VALU_DEP_1)
	v_cvt_f64_f32_e32 v[7:8], v3
.LBB81_1576:
	s_or_b32 exec_lo, exec_lo, s0
.LBB81_1577:
	s_mov_b32 s0, -1
.LBB81_1578:
	s_mov_b32 s1, 0
.LBB81_1579:
	s_delay_alu instid0(SALU_CYCLE_1)
	s_and_b32 vcc_lo, exec_lo, s1
	s_cbranch_vccz .LBB81_1610
; %bb.1580:
	v_cmp_lt_i16_e32 vcc_lo, 22, v15
	s_cbranch_vccz .LBB81_1592
; %bb.1581:
	v_cmp_gt_i16_e32 vcc_lo, 24, v15
	s_cbranch_vccnz .LBB81_1593
; %bb.1582:
	v_cmp_lt_i16_e32 vcc_lo, 24, v15
	s_cbranch_vccz .LBB81_1594
; %bb.1583:
	global_load_u8 v3, v[13:14], off
	s_mov_b32 s10, exec_lo
                                        ; implicit-def: $sgpr0_sgpr1
	s_waitcnt vmcnt(0)
	v_cmpx_lt_i16_e32 0x7f, v3
	s_xor_b32 s10, exec_lo, s10
	s_cbranch_execz .LBB81_1587
; %bb.1584:
	s_mov_b32 s11, -1
	s_mov_b32 s7, exec_lo
                                        ; implicit-def: $sgpr0_sgpr1
	v_cmpx_eq_u16_e32 0x80, v3
; %bb.1585:
	s_mov_b32 s1, 0x7ff80000
	s_brev_b32 s0, 4
	s_xor_b32 s11, exec_lo, -1
; %bb.1586:
	s_or_b32 exec_lo, exec_lo, s7
	s_delay_alu instid0(SALU_CYCLE_1)
	s_and_b32 s7, s11, exec_lo
.LBB81_1587:
	s_or_saveexec_b32 s10, s10
	v_dual_mov_b32 v8, s1 :: v_dual_mov_b32 v7, s0
	s_xor_b32 exec_lo, exec_lo, s10
; %bb.1588:
	v_cmp_ne_u16_e32 vcc_lo, 0, v3
	v_mov_b32_e32 v7, 0
	v_mov_b32_e32 v8, 0
	s_and_not1_b32 s0, s7, exec_lo
	s_and_b32 s1, vcc_lo, exec_lo
	s_delay_alu instid0(SALU_CYCLE_1)
	s_or_b32 s7, s0, s1
; %bb.1589:
	s_or_b32 exec_lo, exec_lo, s10
	s_and_saveexec_b32 s0, s7
	s_cbranch_execz .LBB81_1591
; %bb.1590:
	v_and_b32_e32 v7, 0xffff, v3
	v_lshlrev_b32_e32 v3, 24, v3
	s_delay_alu instid0(VALU_DEP_2) | instskip(NEXT) | instid1(VALU_DEP_2)
	v_and_b32_e32 v8, 3, v7
	v_and_b32_e32 v3, 0x80000000, v3
	s_delay_alu instid0(VALU_DEP_2) | instskip(NEXT) | instid1(VALU_DEP_1)
	v_clz_i32_u32_e32 v16, v8
	v_min_u32_e32 v16, 32, v16
	s_delay_alu instid0(VALU_DEP_1) | instskip(SKIP_1) | instid1(VALU_DEP_2)
	v_subrev_nc_u32_e32 v17, 29, v16
	v_sub_nc_u32_e32 v16, 30, v16
	v_lshlrev_b32_e32 v17, v17, v7
	v_bfe_u32 v7, v7, 2, 5
	s_delay_alu instid0(VALU_DEP_2) | instskip(NEXT) | instid1(VALU_DEP_2)
	v_and_b32_e32 v17, 3, v17
	v_cmp_eq_u32_e32 vcc_lo, 0, v7
	s_delay_alu instid0(VALU_DEP_2) | instskip(NEXT) | instid1(VALU_DEP_1)
	v_dual_cndmask_b32 v7, v7, v16 :: v_dual_cndmask_b32 v8, v8, v17
	v_lshl_add_u32 v7, v7, 23, 0x37800000
	s_delay_alu instid0(VALU_DEP_2) | instskip(NEXT) | instid1(VALU_DEP_1)
	v_lshlrev_b32_e32 v8, 21, v8
	v_or3_b32 v3, v3, v7, v8
	s_delay_alu instid0(VALU_DEP_1)
	v_cvt_f64_f32_e32 v[7:8], v3
.LBB81_1591:
	s_or_b32 exec_lo, exec_lo, s0
	s_mov_b32 s0, 0
	s_branch .LBB81_1595
.LBB81_1592:
	s_mov_b32 s1, -1
                                        ; implicit-def: $vgpr7_vgpr8
	s_branch .LBB81_1601
.LBB81_1593:
	s_mov_b32 s0, -1
                                        ; implicit-def: $vgpr7_vgpr8
	s_branch .LBB81_1598
.LBB81_1594:
	s_mov_b32 s0, -1
                                        ; implicit-def: $vgpr7_vgpr8
.LBB81_1595:
	s_delay_alu instid0(SALU_CYCLE_1)
	s_and_b32 vcc_lo, exec_lo, s0
	s_cbranch_vccz .LBB81_1597
; %bb.1596:
	global_load_u8 v3, v[13:14], off
	s_waitcnt vmcnt(0)
	v_lshlrev_b32_e32 v3, 24, v3
	s_delay_alu instid0(VALU_DEP_1) | instskip(NEXT) | instid1(VALU_DEP_1)
	v_and_b32_e32 v7, 0x7f000000, v3
	v_clz_i32_u32_e32 v8, v7
	v_cmp_ne_u32_e32 vcc_lo, 0, v7
	v_add_nc_u32_e32 v17, 0x1000000, v7
	s_delay_alu instid0(VALU_DEP_3) | instskip(NEXT) | instid1(VALU_DEP_1)
	v_min_u32_e32 v8, 32, v8
	v_sub_nc_u32_e64 v8, v8, 4 clamp
	s_delay_alu instid0(VALU_DEP_1) | instskip(SKIP_1) | instid1(VALU_DEP_2)
	v_lshlrev_b32_e32 v16, v8, v7
	v_lshlrev_b32_e32 v8, 23, v8
	v_lshrrev_b32_e32 v16, 4, v16
	s_delay_alu instid0(VALU_DEP_1) | instskip(SKIP_1) | instid1(VALU_DEP_2)
	v_sub_nc_u32_e32 v8, v16, v8
	v_ashrrev_i32_e32 v16, 8, v17
	v_add_nc_u32_e32 v8, 0x3c000000, v8
	s_delay_alu instid0(VALU_DEP_1) | instskip(NEXT) | instid1(VALU_DEP_1)
	v_and_or_b32 v8, 0x7f800000, v16, v8
	v_cndmask_b32_e32 v7, 0, v8, vcc_lo
	s_delay_alu instid0(VALU_DEP_1) | instskip(NEXT) | instid1(VALU_DEP_1)
	v_and_or_b32 v3, 0x80000000, v3, v7
	v_cvt_f64_f32_e32 v[7:8], v3
.LBB81_1597:
	s_mov_b32 s0, 0
.LBB81_1598:
	s_delay_alu instid0(SALU_CYCLE_1)
	s_and_not1_b32 vcc_lo, exec_lo, s0
	s_cbranch_vccnz .LBB81_1600
; %bb.1599:
	global_load_u8 v3, v[13:14], off
	s_waitcnt vmcnt(0)
	v_lshlrev_b32_e32 v7, 25, v3
	v_lshlrev_b16 v3, 8, v3
	s_delay_alu instid0(VALU_DEP_1) | instskip(SKIP_1) | instid1(VALU_DEP_2)
	v_and_or_b32 v16, 0x7f00, v3, 0.5
	v_bfe_i32 v3, v3, 0, 16
	v_add_f32_e32 v16, -0.5, v16
	v_lshrrev_b32_e32 v8, 4, v7
	v_cmp_gt_u32_e32 vcc_lo, 0x8000000, v7
	s_delay_alu instid0(VALU_DEP_2) | instskip(NEXT) | instid1(VALU_DEP_1)
	v_or_b32_e32 v8, 0x70000000, v8
	v_mul_f32_e32 v8, 0x7800000, v8
	s_delay_alu instid0(VALU_DEP_1) | instskip(NEXT) | instid1(VALU_DEP_1)
	v_cndmask_b32_e32 v7, v8, v16, vcc_lo
	v_and_or_b32 v3, 0x80000000, v3, v7
	s_delay_alu instid0(VALU_DEP_1)
	v_cvt_f64_f32_e32 v[7:8], v3
.LBB81_1600:
	s_mov_b32 s1, 0
	s_mov_b32 s0, -1
.LBB81_1601:
	s_and_not1_b32 vcc_lo, exec_lo, s1
	s_mov_b32 s7, 0
	s_cbranch_vccnz .LBB81_1610
; %bb.1602:
	v_cmp_lt_i16_e32 vcc_lo, 14, v15
	s_cbranch_vccz .LBB81_1605
; %bb.1603:
	v_cmp_eq_u16_e32 vcc_lo, 15, v15
	s_cbranch_vccz .LBB81_1606
; %bb.1604:
	global_load_u16 v3, v[13:14], off
	s_mov_b32 s6, 0
	s_mov_b32 s0, -1
	s_waitcnt vmcnt(0)
	v_lshlrev_b32_e32 v3, 16, v3
	s_delay_alu instid0(VALU_DEP_1)
	v_cvt_f64_f32_e32 v[7:8], v3
	s_branch .LBB81_1607
.LBB81_1605:
	s_mov_b32 s1, -1
                                        ; implicit-def: $vgpr7_vgpr8
	s_branch .LBB81_1608
.LBB81_1606:
	s_mov_b32 s6, -1
                                        ; implicit-def: $vgpr7_vgpr8
.LBB81_1607:
	s_mov_b32 s1, 0
.LBB81_1608:
	s_delay_alu instid0(SALU_CYCLE_1)
	s_and_b32 vcc_lo, exec_lo, s1
	s_cbranch_vccz .LBB81_1610
; %bb.1609:
	v_cmp_ne_u16_e64 s6, 11, v15
	s_mov_b32 s7, -1
                                        ; implicit-def: $vgpr7_vgpr8
.LBB81_1610:
	s_delay_alu instid0(VALU_DEP_1)
	s_and_b32 vcc_lo, exec_lo, s6
	s_cbranch_vccnz .LBB81_2139
; %bb.1611:
	s_and_not1_b32 vcc_lo, exec_lo, s7
	s_cbranch_vccnz .LBB81_1613
.LBB81_1612:
	global_load_u8 v3, v[13:14], off
	v_mov_b32_e32 v7, 0
	s_mov_b32 s0, -1
	s_waitcnt vmcnt(0)
	v_cmp_ne_u16_e32 vcc_lo, 0, v3
	v_cndmask_b32_e64 v8, 0, 0x3ff00000, vcc_lo
.LBB81_1613:
	s_mov_b32 s1, 0
.LBB81_1614:
	s_delay_alu instid0(SALU_CYCLE_1)
	s_and_b32 vcc_lo, exec_lo, s1
	s_cbranch_vccz .LBB81_1663
; %bb.1615:
	v_cmp_gt_i16_e32 vcc_lo, 5, v15
	s_cbranch_vccnz .LBB81_1620
; %bb.1616:
	v_cmp_gt_i16_e32 vcc_lo, 8, v15
	s_cbranch_vccnz .LBB81_1621
	;; [unrolled: 3-line block ×3, first 2 shown]
; %bb.1618:
	v_cmp_lt_i16_e32 vcc_lo, 9, v15
	s_cbranch_vccz .LBB81_1623
; %bb.1619:
	global_load_b64 v[7:8], v[13:14], off
	s_mov_b32 s0, 0
	s_branch .LBB81_1624
.LBB81_1620:
	s_mov_b32 s0, -1
                                        ; implicit-def: $vgpr7_vgpr8
	s_branch .LBB81_1642
.LBB81_1621:
	s_mov_b32 s0, -1
                                        ; implicit-def: $vgpr7_vgpr8
	s_branch .LBB81_1630
.LBB81_1622:
	s_mov_b32 s0, -1
                                        ; implicit-def: $vgpr7_vgpr8
	s_branch .LBB81_1627
.LBB81_1623:
	s_mov_b32 s0, -1
                                        ; implicit-def: $vgpr7_vgpr8
.LBB81_1624:
	s_delay_alu instid0(SALU_CYCLE_1)
	s_and_not1_b32 vcc_lo, exec_lo, s0
	s_cbranch_vccnz .LBB81_1626
; %bb.1625:
	global_load_b32 v3, v[13:14], off
	s_waitcnt vmcnt(0)
	v_cvt_f64_f32_e32 v[7:8], v3
.LBB81_1626:
	s_mov_b32 s0, 0
.LBB81_1627:
	s_delay_alu instid0(SALU_CYCLE_1)
	s_and_not1_b32 vcc_lo, exec_lo, s0
	s_cbranch_vccnz .LBB81_1629
; %bb.1628:
	global_load_b32 v3, v[13:14], off
	s_waitcnt vmcnt(0)
	v_cvt_f32_f16_e32 v3, v3
	s_delay_alu instid0(VALU_DEP_1)
	v_cvt_f64_f32_e32 v[7:8], v3
.LBB81_1629:
	s_mov_b32 s0, 0
.LBB81_1630:
	s_delay_alu instid0(SALU_CYCLE_1)
	s_and_not1_b32 vcc_lo, exec_lo, s0
	s_cbranch_vccnz .LBB81_1641
; %bb.1631:
	v_cmp_gt_i16_e32 vcc_lo, 6, v15
	s_cbranch_vccnz .LBB81_1634
; %bb.1632:
	v_cmp_lt_i16_e32 vcc_lo, 6, v15
	s_cbranch_vccz .LBB81_1635
; %bb.1633:
	global_load_b64 v[7:8], v[13:14], off
	s_mov_b32 s0, 0
	s_branch .LBB81_1636
.LBB81_1634:
	s_mov_b32 s0, -1
                                        ; implicit-def: $vgpr7_vgpr8
	s_branch .LBB81_1639
.LBB81_1635:
	s_mov_b32 s0, -1
                                        ; implicit-def: $vgpr7_vgpr8
.LBB81_1636:
	s_delay_alu instid0(SALU_CYCLE_1)
	s_and_not1_b32 vcc_lo, exec_lo, s0
	s_cbranch_vccnz .LBB81_1638
; %bb.1637:
	global_load_b32 v3, v[13:14], off
	s_waitcnt vmcnt(0)
	v_cvt_f64_f32_e32 v[7:8], v3
.LBB81_1638:
	s_mov_b32 s0, 0
.LBB81_1639:
	s_delay_alu instid0(SALU_CYCLE_1)
	s_and_not1_b32 vcc_lo, exec_lo, s0
	s_cbranch_vccnz .LBB81_1641
; %bb.1640:
	global_load_u16 v3, v[13:14], off
	s_waitcnt vmcnt(0)
	v_cvt_f32_f16_e32 v3, v3
	s_delay_alu instid0(VALU_DEP_1)
	v_cvt_f64_f32_e32 v[7:8], v3
.LBB81_1641:
	s_mov_b32 s0, 0
.LBB81_1642:
	s_delay_alu instid0(SALU_CYCLE_1)
	s_and_not1_b32 vcc_lo, exec_lo, s0
	s_cbranch_vccnz .LBB81_1662
; %bb.1643:
	v_cmp_gt_i16_e32 vcc_lo, 2, v15
	s_cbranch_vccnz .LBB81_1647
; %bb.1644:
	v_cmp_gt_i16_e32 vcc_lo, 3, v15
	s_cbranch_vccnz .LBB81_1648
; %bb.1645:
	v_cmp_lt_i16_e32 vcc_lo, 3, v15
	s_cbranch_vccz .LBB81_1649
; %bb.1646:
	global_load_b64 v[7:8], v[13:14], off
	s_mov_b32 s0, 0
	s_waitcnt vmcnt(0)
	v_cvt_f64_i32_e32 v[16:17], v8
	v_cvt_f64_u32_e32 v[7:8], v7
	s_delay_alu instid0(VALU_DEP_2) | instskip(NEXT) | instid1(VALU_DEP_1)
	v_ldexp_f64 v[16:17], v[16:17], 32
	v_add_f64 v[7:8], v[16:17], v[7:8]
	s_branch .LBB81_1650
.LBB81_1647:
	s_mov_b32 s0, -1
                                        ; implicit-def: $vgpr7_vgpr8
	s_branch .LBB81_1656
.LBB81_1648:
	s_mov_b32 s0, -1
                                        ; implicit-def: $vgpr7_vgpr8
	s_branch .LBB81_1653
.LBB81_1649:
	s_mov_b32 s0, -1
                                        ; implicit-def: $vgpr7_vgpr8
.LBB81_1650:
	s_delay_alu instid0(SALU_CYCLE_1)
	s_and_not1_b32 vcc_lo, exec_lo, s0
	s_cbranch_vccnz .LBB81_1652
; %bb.1651:
	global_load_b32 v3, v[13:14], off
	s_waitcnt vmcnt(0)
	v_cvt_f64_i32_e32 v[7:8], v3
.LBB81_1652:
	s_mov_b32 s0, 0
.LBB81_1653:
	s_delay_alu instid0(SALU_CYCLE_1)
	s_and_not1_b32 vcc_lo, exec_lo, s0
	s_cbranch_vccnz .LBB81_1655
; %bb.1654:
	global_load_i16 v3, v[13:14], off
	s_waitcnt vmcnt(0)
	v_cvt_f64_i32_e32 v[7:8], v3
.LBB81_1655:
	s_mov_b32 s0, 0
.LBB81_1656:
	s_delay_alu instid0(SALU_CYCLE_1)
	s_and_not1_b32 vcc_lo, exec_lo, s0
	s_cbranch_vccnz .LBB81_1662
; %bb.1657:
	v_cmp_lt_i16_e32 vcc_lo, 0, v15
	s_mov_b32 s0, 0
	s_cbranch_vccz .LBB81_1659
; %bb.1658:
	global_load_i8 v3, v[13:14], off
	s_waitcnt vmcnt(0)
	v_cvt_f64_i32_e32 v[7:8], v3
	s_branch .LBB81_1660
.LBB81_1659:
	s_mov_b32 s0, -1
                                        ; implicit-def: $vgpr7_vgpr8
.LBB81_1660:
	s_delay_alu instid0(SALU_CYCLE_1)
	s_and_not1_b32 vcc_lo, exec_lo, s0
	s_cbranch_vccnz .LBB81_1662
; %bb.1661:
	global_load_u8 v3, v[13:14], off
	s_waitcnt vmcnt(0)
	v_cvt_f64_u32_e32 v[7:8], v3
.LBB81_1662:
	s_mov_b32 s0, -1
.LBB81_1663:
	s_delay_alu instid0(SALU_CYCLE_1)
	s_and_not1_b32 vcc_lo, exec_lo, s0
	s_cbranch_vccnz .LBB81_2094
; %bb.1664:
	s_mov_b32 s0, 0x652b82fe
	s_mov_b32 s1, 0x3ff71547
	;; [unrolled: 1-line block ×3, first 2 shown]
	s_waitcnt vmcnt(0)
	v_mul_f64 v[13:14], v[1:2], s[0:1]
	s_mov_b32 s0, 0xfefa39ef
	s_mov_b32 s1, 0xbfe62e42
	;; [unrolled: 1-line block ×3, first 2 shown]
	v_cmp_nlt_f64_e32 vcc_lo, 0x40900000, v[1:2]
	s_delay_alu instid0(VALU_DEP_2) | instskip(NEXT) | instid1(VALU_DEP_1)
	v_rndne_f64_e32 v[13:14], v[13:14]
	v_fma_f64 v[15:16], v[13:14], s[0:1], v[1:2]
	s_mov_b32 s0, 0x3b39803f
	s_mov_b32 s1, 0xbc7abc9e
	v_cvt_i32_f64_e32 v3, v[13:14]
	s_delay_alu instid0(VALU_DEP_2)
	v_fma_f64 v[15:16], v[13:14], s[0:1], v[15:16]
	s_mov_b32 s0, 0xfca7ab0c
	s_mov_b32 s1, 0x3e928af3
	s_delay_alu instid0(VALU_DEP_1) | instid1(SALU_CYCLE_1)
	v_fma_f64 v[17:18], v[15:16], s[6:7], s[0:1]
	s_mov_b32 s0, 0x623fde64
	s_mov_b32 s1, 0x3ec71dee
	s_delay_alu instid0(VALU_DEP_1) | instid1(SALU_CYCLE_1)
	;; [unrolled: 4-line block ×9, first 2 shown]
	v_fma_f64 v[17:18], v[15:16], v[17:18], s[0:1]
	v_cmp_ngt_f64_e64 s0, 0xc090cc00, v[1:2]
	s_lshr_b32 s1, s3, 8
	s_mov_b32 s3, 0
	s_delay_alu instid0(VALU_DEP_2) | instskip(NEXT) | instid1(VALU_DEP_1)
	v_fma_f64 v[17:18], v[15:16], v[17:18], 1.0
	v_fma_f64 v[13:14], v[15:16], v[17:18], 1.0
	v_and_b32_e64 v15, 0xff, s1
	s_delay_alu instid0(VALU_DEP_1) | instskip(NEXT) | instid1(VALU_DEP_3)
	v_cmp_gt_i16_e64 s1, 11, v15
	v_ldexp_f64 v[16:17], v[13:14], v3
	v_add_co_u32 v13, s6, s4, v0
	s_delay_alu instid0(VALU_DEP_1) | instskip(NEXT) | instid1(VALU_DEP_3)
	v_add_co_ci_u32_e64 v14, null, s5, 0, s6
	v_cndmask_b32_e32 v3, 0x7ff00000, v17, vcc_lo
	s_and_b32 vcc_lo, s0, vcc_lo
	s_delay_alu instid0(VALU_DEP_4) | instskip(SKIP_1) | instid1(VALU_DEP_2)
	v_cndmask_b32_e32 v0, 0, v16, vcc_lo
	s_and_b32 vcc_lo, exec_lo, s1
	v_cndmask_b32_e64 v1, 0, v3, s0
	s_mov_b32 s0, -1
	s_cbranch_vccnz .LBB81_1742
; %bb.1665:
	v_cmp_lt_i16_e32 vcc_lo, 25, v15
	s_mov_b32 s6, -1
	s_mov_b32 s1, 0
	s_mov_b32 s0, 0
	s_cbranch_vccz .LBB81_1698
; %bb.1666:
	v_cmp_lt_i16_e32 vcc_lo, 28, v15
	s_cbranch_vccz .LBB81_1681
; %bb.1667:
	v_cmp_lt_i16_e32 vcc_lo, 43, v15
	;; [unrolled: 3-line block ×3, first 2 shown]
	s_cbranch_vccz .LBB81_1671
; %bb.1669:
	v_cmp_eq_u16_e32 vcc_lo, 46, v15
	s_mov_b32 s0, -1
	s_mov_b32 s6, 0
	s_cbranch_vccz .LBB81_1671
; %bb.1670:
	v_cvt_f32_f64_e32 v2, v[0:1]
	s_mov_b32 s0, 0
	s_mov_b32 s3, -1
	s_delay_alu instid0(VALU_DEP_1) | instskip(SKIP_1) | instid1(VALU_DEP_2)
	v_bfe_u32 v3, v2, 16, 1
	v_cmp_o_f32_e32 vcc_lo, v2, v2
	v_add3_u32 v3, v2, v3, 0x7fff
	s_delay_alu instid0(VALU_DEP_1) | instskip(NEXT) | instid1(VALU_DEP_1)
	v_lshrrev_b32_e32 v3, 16, v3
	v_cndmask_b32_e32 v2, 0x7fc0, v3, vcc_lo
	global_store_b32 v[13:14], v2, off
.LBB81_1671:
	s_and_b32 vcc_lo, exec_lo, s6
	s_cbranch_vccz .LBB81_1676
; %bb.1672:
	v_cmp_eq_u16_e32 vcc_lo, 44, v15
	s_mov_b32 s0, -1
	s_cbranch_vccz .LBB81_1676
; %bb.1673:
	v_cvt_f32_f64_e32 v2, v[0:1]
	v_mov_b32_e32 v3, 0xff
	s_mov_b32 s3, exec_lo
	s_delay_alu instid0(VALU_DEP_2) | instskip(NEXT) | instid1(VALU_DEP_1)
	v_bfe_u32 v16, v2, 23, 8
	v_cmpx_ne_u32_e32 0xff, v16
; %bb.1674:
	v_and_b32_e32 v3, 0x400000, v2
	v_and_or_b32 v16, 0x3fffff, v2, v16
	v_lshrrev_b32_e32 v2, 23, v2
	s_delay_alu instid0(VALU_DEP_3) | instskip(NEXT) | instid1(VALU_DEP_3)
	v_cmp_ne_u32_e32 vcc_lo, 0, v3
	v_cmp_ne_u32_e64 s0, 0, v16
	s_delay_alu instid0(VALU_DEP_1) | instskip(NEXT) | instid1(SALU_CYCLE_1)
	s_and_b32 s0, vcc_lo, s0
	v_cndmask_b32_e64 v3, 0, 1, s0
	s_delay_alu instid0(VALU_DEP_1)
	v_add_nc_u32_e32 v3, v2, v3
; %bb.1675:
	s_or_b32 exec_lo, exec_lo, s3
	s_mov_b32 s0, 0
	s_mov_b32 s3, -1
	global_store_b8 v[13:14], v3, off
.LBB81_1676:
	s_mov_b32 s6, 0
.LBB81_1677:
	s_delay_alu instid0(SALU_CYCLE_1)
	s_and_b32 vcc_lo, exec_lo, s6
	s_cbranch_vccz .LBB81_1680
; %bb.1678:
	v_cmp_eq_u16_e32 vcc_lo, 29, v15
	s_mov_b32 s0, -1
	s_cbranch_vccz .LBB81_1680
; %bb.1679:
	v_trunc_f64_e32 v[2:3], v[0:1]
	s_mov_b32 s0, 0
	s_mov_b32 s3, -1
	s_delay_alu instid0(VALU_DEP_1) | instskip(NEXT) | instid1(VALU_DEP_1)
	v_ldexp_f64 v[16:17], v[2:3], 0xffffffe0
	v_floor_f64_e32 v[16:17], v[16:17]
	s_delay_alu instid0(VALU_DEP_1) | instskip(SKIP_1) | instid1(VALU_DEP_2)
	v_fma_f64 v[2:3], 0xc1f00000, v[16:17], v[2:3]
	v_cvt_u32_f64_e32 v17, v[16:17]
	v_cvt_u32_f64_e32 v16, v[2:3]
	global_store_b64 v[13:14], v[16:17], off
.LBB81_1680:
	s_mov_b32 s6, 0
.LBB81_1681:
	s_delay_alu instid0(SALU_CYCLE_1)
	s_and_b32 vcc_lo, exec_lo, s6
	s_cbranch_vccz .LBB81_1697
; %bb.1682:
	v_cmp_gt_i16_e32 vcc_lo, 27, v15
	s_mov_b32 s3, -1
	s_cbranch_vccnz .LBB81_1688
; %bb.1683:
	v_cvt_u32_f64_e32 v2, v[0:1]
	v_cmp_lt_i16_e32 vcc_lo, 27, v15
	s_cbranch_vccz .LBB81_1685
; %bb.1684:
	s_mov_b32 s3, 0
	global_store_b32 v[13:14], v2, off
.LBB81_1685:
	s_and_not1_b32 vcc_lo, exec_lo, s3
	s_cbranch_vccnz .LBB81_1687
; %bb.1686:
	global_store_b16 v[13:14], v2, off
.LBB81_1687:
	s_mov_b32 s3, 0
.LBB81_1688:
	s_delay_alu instid0(SALU_CYCLE_1)
	s_and_not1_b32 vcc_lo, exec_lo, s3
	s_cbranch_vccnz .LBB81_1696
; %bb.1689:
	v_cvt_f32_f64_e32 v2, v[0:1]
	v_mov_b32_e32 v16, 0x80
	s_mov_b32 s3, exec_lo
	s_delay_alu instid0(VALU_DEP_2) | instskip(NEXT) | instid1(VALU_DEP_1)
	v_and_b32_e32 v3, 0x7fffffff, v2
	v_cmpx_gt_u32_e32 0x43800000, v3
	s_cbranch_execz .LBB81_1695
; %bb.1690:
	v_cmp_lt_u32_e32 vcc_lo, 0x3bffffff, v3
	s_mov_b32 s6, 0
                                        ; implicit-def: $vgpr3
	s_and_saveexec_b32 s7, vcc_lo
	s_delay_alu instid0(SALU_CYCLE_1)
	s_xor_b32 s7, exec_lo, s7
	s_cbranch_execz .LBB81_2141
; %bb.1691:
	v_bfe_u32 v3, v2, 20, 1
	s_mov_b32 s6, exec_lo
	s_delay_alu instid0(VALU_DEP_1) | instskip(NEXT) | instid1(VALU_DEP_1)
	v_add3_u32 v3, v2, v3, 0x487ffff
	v_lshrrev_b32_e32 v3, 20, v3
	s_or_saveexec_b32 s7, s7
                                        ; implicit-def: $sgpr10
	s_delay_alu instid0(SALU_CYCLE_1)
	s_xor_b32 exec_lo, exec_lo, s7
	s_cbranch_execnz .LBB81_2142
.LBB81_1692:
	s_or_b32 exec_lo, exec_lo, s7
	v_mov_b32_e32 v16, s10
	s_and_saveexec_b32 s7, s6
.LBB81_1693:
	v_lshrrev_b32_e32 v2, 24, v2
	s_delay_alu instid0(VALU_DEP_1)
	v_and_or_b32 v16, 0x80, v2, v3
.LBB81_1694:
	s_or_b32 exec_lo, exec_lo, s7
.LBB81_1695:
	s_delay_alu instid0(SALU_CYCLE_1)
	s_or_b32 exec_lo, exec_lo, s3
	global_store_b8 v[13:14], v16, off
.LBB81_1696:
	s_mov_b32 s3, -1
.LBB81_1697:
	s_mov_b32 s6, 0
.LBB81_1698:
	s_delay_alu instid0(SALU_CYCLE_1)
	s_and_b32 vcc_lo, exec_lo, s6
	s_cbranch_vccz .LBB81_1738
; %bb.1699:
	v_cmp_lt_i16_e32 vcc_lo, 22, v15
	s_mov_b32 s1, -1
	s_cbranch_vccz .LBB81_1731
; %bb.1700:
	v_cmp_gt_i16_e32 vcc_lo, 24, v15
	s_cbranch_vccnz .LBB81_1720
; %bb.1701:
	v_cmp_lt_i16_e32 vcc_lo, 24, v15
	s_cbranch_vccz .LBB81_1709
; %bb.1702:
	v_cvt_f32_f64_e32 v2, v[0:1]
	v_mov_b32_e32 v16, 0x80
	s_mov_b32 s1, exec_lo
	s_delay_alu instid0(VALU_DEP_2) | instskip(NEXT) | instid1(VALU_DEP_1)
	v_and_b32_e32 v3, 0x7fffffff, v2
	v_cmpx_gt_u32_e32 0x47800000, v3
	s_cbranch_execz .LBB81_1708
; %bb.1703:
	v_cmp_lt_u32_e32 vcc_lo, 0x37ffffff, v3
	s_mov_b32 s3, 0
                                        ; implicit-def: $vgpr3
	s_and_saveexec_b32 s6, vcc_lo
	s_delay_alu instid0(SALU_CYCLE_1)
	s_xor_b32 s6, exec_lo, s6
	s_cbranch_execz .LBB81_2147
; %bb.1704:
	v_bfe_u32 v3, v2, 21, 1
	s_mov_b32 s3, exec_lo
	s_delay_alu instid0(VALU_DEP_1) | instskip(NEXT) | instid1(VALU_DEP_1)
	v_add3_u32 v3, v2, v3, 0x88fffff
	v_lshrrev_b32_e32 v3, 21, v3
	s_or_saveexec_b32 s6, s6
                                        ; implicit-def: $sgpr7
	s_delay_alu instid0(SALU_CYCLE_1)
	s_xor_b32 exec_lo, exec_lo, s6
	s_cbranch_execnz .LBB81_2148
.LBB81_1705:
	s_or_b32 exec_lo, exec_lo, s6
	v_mov_b32_e32 v16, s7
	s_and_saveexec_b32 s6, s3
.LBB81_1706:
	v_lshrrev_b32_e32 v2, 24, v2
	s_delay_alu instid0(VALU_DEP_1)
	v_and_or_b32 v16, 0x80, v2, v3
.LBB81_1707:
	s_or_b32 exec_lo, exec_lo, s6
.LBB81_1708:
	s_delay_alu instid0(SALU_CYCLE_1)
	s_or_b32 exec_lo, exec_lo, s1
	s_mov_b32 s1, 0
	global_store_b8 v[13:14], v16, off
.LBB81_1709:
	s_and_b32 vcc_lo, exec_lo, s1
	s_cbranch_vccz .LBB81_1719
; %bb.1710:
	v_cvt_f32_f64_e32 v2, v[0:1]
	s_mov_b32 s1, exec_lo
                                        ; implicit-def: $vgpr3
	s_delay_alu instid0(VALU_DEP_1) | instskip(NEXT) | instid1(VALU_DEP_1)
	v_and_b32_e32 v16, 0x7fffffff, v2
	v_cmpx_gt_u32_e32 0x43f00000, v16
	s_xor_b32 s1, exec_lo, s1
	s_cbranch_execz .LBB81_1716
; %bb.1711:
	s_mov_b32 s3, exec_lo
                                        ; implicit-def: $vgpr3
	v_cmpx_lt_u32_e32 0x3c7fffff, v16
	s_xor_b32 s3, exec_lo, s3
; %bb.1712:
	v_bfe_u32 v3, v2, 20, 1
	s_delay_alu instid0(VALU_DEP_1) | instskip(NEXT) | instid1(VALU_DEP_1)
	v_add3_u32 v3, v2, v3, 0x407ffff
	v_and_b32_e32 v16, 0xff00000, v3
	v_lshrrev_b32_e32 v3, 20, v3
	s_delay_alu instid0(VALU_DEP_2) | instskip(NEXT) | instid1(VALU_DEP_2)
	v_cmp_ne_u32_e32 vcc_lo, 0x7f00000, v16
	v_cndmask_b32_e32 v3, 0x7e, v3, vcc_lo
; %bb.1713:
	s_and_not1_saveexec_b32 s3, s3
; %bb.1714:
	v_add_f32_e64 v3, 0x46800000, |v2|
; %bb.1715:
	s_or_b32 exec_lo, exec_lo, s3
                                        ; implicit-def: $vgpr16
.LBB81_1716:
	s_and_not1_saveexec_b32 s1, s1
; %bb.1717:
	v_mov_b32_e32 v3, 0x7f
	v_cmp_lt_u32_e32 vcc_lo, 0x7f800000, v16
	s_delay_alu instid0(VALU_DEP_2)
	v_cndmask_b32_e32 v3, 0x7e, v3, vcc_lo
; %bb.1718:
	s_or_b32 exec_lo, exec_lo, s1
	v_lshrrev_b32_e32 v2, 24, v2
	s_delay_alu instid0(VALU_DEP_1)
	v_and_or_b32 v2, 0x80, v2, v3
	global_store_b8 v[13:14], v2, off
.LBB81_1719:
	s_mov_b32 s1, 0
.LBB81_1720:
	s_delay_alu instid0(SALU_CYCLE_1)
	s_and_not1_b32 vcc_lo, exec_lo, s1
	s_cbranch_vccnz .LBB81_1730
; %bb.1721:
	v_cvt_f32_f64_e32 v2, v[0:1]
	s_mov_b32 s1, exec_lo
                                        ; implicit-def: $vgpr3
	s_delay_alu instid0(VALU_DEP_1) | instskip(NEXT) | instid1(VALU_DEP_1)
	v_and_b32_e32 v16, 0x7fffffff, v2
	v_cmpx_gt_u32_e32 0x47800000, v16
	s_xor_b32 s1, exec_lo, s1
	s_cbranch_execz .LBB81_1727
; %bb.1722:
	s_mov_b32 s3, exec_lo
                                        ; implicit-def: $vgpr3
	v_cmpx_lt_u32_e32 0x387fffff, v16
	s_xor_b32 s3, exec_lo, s3
; %bb.1723:
	v_bfe_u32 v3, v2, 21, 1
	s_delay_alu instid0(VALU_DEP_1) | instskip(NEXT) | instid1(VALU_DEP_1)
	v_add3_u32 v3, v2, v3, 0x80fffff
	v_lshrrev_b32_e32 v3, 21, v3
; %bb.1724:
	s_and_not1_saveexec_b32 s3, s3
; %bb.1725:
	v_add_f32_e64 v3, 0x43000000, |v2|
; %bb.1726:
	s_or_b32 exec_lo, exec_lo, s3
                                        ; implicit-def: $vgpr16
.LBB81_1727:
	s_and_not1_saveexec_b32 s1, s1
; %bb.1728:
	v_mov_b32_e32 v3, 0x7f
	v_cmp_lt_u32_e32 vcc_lo, 0x7f800000, v16
	s_delay_alu instid0(VALU_DEP_2)
	v_cndmask_b32_e32 v3, 0x7c, v3, vcc_lo
; %bb.1729:
	s_or_b32 exec_lo, exec_lo, s1
	v_lshrrev_b32_e32 v2, 24, v2
	s_delay_alu instid0(VALU_DEP_1)
	v_and_or_b32 v2, 0x80, v2, v3
	global_store_b8 v[13:14], v2, off
.LBB81_1730:
	s_mov_b32 s1, 0
	s_mov_b32 s3, -1
.LBB81_1731:
	s_and_not1_b32 vcc_lo, exec_lo, s1
	s_mov_b32 s1, 0
	s_cbranch_vccnz .LBB81_1738
; %bb.1732:
	v_cmp_lt_i16_e32 vcc_lo, 14, v15
	s_mov_b32 s1, -1
	s_cbranch_vccz .LBB81_1736
; %bb.1733:
	v_cmp_eq_u16_e32 vcc_lo, 15, v15
	s_mov_b32 s0, -1
	s_cbranch_vccz .LBB81_1735
; %bb.1734:
	v_cvt_f32_f64_e32 v2, v[0:1]
	s_mov_b32 s0, 0
	s_mov_b32 s3, -1
	s_delay_alu instid0(VALU_DEP_1) | instskip(SKIP_1) | instid1(VALU_DEP_2)
	v_bfe_u32 v3, v2, 16, 1
	v_cmp_o_f32_e32 vcc_lo, v2, v2
	v_add3_u32 v3, v2, v3, 0x7fff
	s_delay_alu instid0(VALU_DEP_1) | instskip(NEXT) | instid1(VALU_DEP_1)
	v_lshrrev_b32_e32 v3, 16, v3
	v_cndmask_b32_e32 v2, 0x7fc0, v3, vcc_lo
	global_store_b16 v[13:14], v2, off
.LBB81_1735:
	s_mov_b32 s1, 0
.LBB81_1736:
	s_delay_alu instid0(SALU_CYCLE_1)
	s_and_b32 vcc_lo, exec_lo, s1
	s_mov_b32 s1, 0
	s_cbranch_vccz .LBB81_1738
; %bb.1737:
	v_cmp_ne_u16_e64 s0, 11, v15
	s_mov_b32 s1, -1
.LBB81_1738:
	s_delay_alu instid0(VALU_DEP_1)
	s_and_b32 vcc_lo, exec_lo, s0
	s_cbranch_vccnz .LBB81_2145
; %bb.1739:
	s_and_not1_b32 vcc_lo, exec_lo, s1
	s_cbranch_vccnz .LBB81_1741
.LBB81_1740:
	v_cmp_neq_f64_e32 vcc_lo, 0, v[0:1]
	s_mov_b32 s3, -1
	v_cndmask_b32_e64 v2, 0, 1, vcc_lo
	global_store_b8 v[13:14], v2, off
.LBB81_1741:
	s_mov_b32 s0, 0
.LBB81_1742:
	s_delay_alu instid0(SALU_CYCLE_1)
	s_and_b32 vcc_lo, exec_lo, s0
	s_cbranch_vccz .LBB81_1781
; %bb.1743:
	v_cmp_gt_i16_e32 vcc_lo, 5, v15
	s_mov_b32 s0, -1
	s_cbranch_vccnz .LBB81_1764
; %bb.1744:
	v_cmp_gt_i16_e32 vcc_lo, 8, v15
	s_cbranch_vccnz .LBB81_1754
; %bb.1745:
	v_cmp_gt_i16_e32 vcc_lo, 9, v15
	s_cbranch_vccnz .LBB81_1751
; %bb.1746:
	v_cmp_lt_i16_e32 vcc_lo, 9, v15
	s_cbranch_vccz .LBB81_1748
; %bb.1747:
	v_mov_b32_e32 v2, 0
	s_mov_b32 s0, 0
	s_delay_alu instid0(VALU_DEP_1)
	v_mov_b32_e32 v3, v2
	global_store_b128 v[13:14], v[0:3], off
.LBB81_1748:
	s_and_not1_b32 vcc_lo, exec_lo, s0
	s_cbranch_vccnz .LBB81_1750
; %bb.1749:
	v_cvt_f32_f64_e32 v2, v[0:1]
	v_mov_b32_e32 v3, 0
	global_store_b64 v[13:14], v[2:3], off
.LBB81_1750:
	s_mov_b32 s0, 0
.LBB81_1751:
	s_delay_alu instid0(SALU_CYCLE_1)
	s_and_not1_b32 vcc_lo, exec_lo, s0
	s_cbranch_vccnz .LBB81_1753
; %bb.1752:
	v_cvt_f32_f64_e32 v2, v[0:1]
	s_delay_alu instid0(VALU_DEP_1) | instskip(NEXT) | instid1(VALU_DEP_1)
	v_cvt_f16_f32_e32 v2, v2
	v_and_b32_e32 v2, 0xffff, v2
	global_store_b32 v[13:14], v2, off
.LBB81_1753:
	s_mov_b32 s0, 0
.LBB81_1754:
	s_delay_alu instid0(SALU_CYCLE_1)
	s_and_not1_b32 vcc_lo, exec_lo, s0
	s_cbranch_vccnz .LBB81_1763
; %bb.1755:
	v_cmp_gt_i16_e32 vcc_lo, 6, v15
	s_mov_b32 s0, -1
	s_cbranch_vccnz .LBB81_1761
; %bb.1756:
	v_cmp_lt_i16_e32 vcc_lo, 6, v15
	s_cbranch_vccz .LBB81_1758
; %bb.1757:
	s_mov_b32 s0, 0
	global_store_b64 v[13:14], v[0:1], off
.LBB81_1758:
	s_and_not1_b32 vcc_lo, exec_lo, s0
	s_cbranch_vccnz .LBB81_1760
; %bb.1759:
	v_cvt_f32_f64_e32 v2, v[0:1]
	global_store_b32 v[13:14], v2, off
.LBB81_1760:
	s_mov_b32 s0, 0
.LBB81_1761:
	s_delay_alu instid0(SALU_CYCLE_1)
	s_and_not1_b32 vcc_lo, exec_lo, s0
	s_cbranch_vccnz .LBB81_1763
; %bb.1762:
	v_cvt_f32_f64_e32 v2, v[0:1]
	s_delay_alu instid0(VALU_DEP_1)
	v_cvt_f16_f32_e32 v2, v2
	global_store_b16 v[13:14], v2, off
.LBB81_1763:
	s_mov_b32 s0, 0
.LBB81_1764:
	s_delay_alu instid0(SALU_CYCLE_1)
	s_and_not1_b32 vcc_lo, exec_lo, s0
	s_cbranch_vccnz .LBB81_1780
; %bb.1765:
	v_cmp_gt_i16_e32 vcc_lo, 2, v15
	s_mov_b32 s0, -1
	s_cbranch_vccnz .LBB81_1775
; %bb.1766:
	v_cmp_gt_i16_e32 vcc_lo, 3, v15
	s_cbranch_vccnz .LBB81_1772
; %bb.1767:
	v_cmp_lt_i16_e32 vcc_lo, 3, v15
	s_cbranch_vccz .LBB81_1769
; %bb.1768:
	v_trunc_f64_e32 v[2:3], v[0:1]
	s_mov_b32 s0, 0
	s_delay_alu instid0(VALU_DEP_1) | instskip(NEXT) | instid1(VALU_DEP_1)
	v_ldexp_f64 v[16:17], v[2:3], 0xffffffe0
	v_floor_f64_e32 v[16:17], v[16:17]
	s_delay_alu instid0(VALU_DEP_1) | instskip(SKIP_1) | instid1(VALU_DEP_2)
	v_fma_f64 v[2:3], 0xc1f00000, v[16:17], v[2:3]
	v_cvt_i32_f64_e32 v17, v[16:17]
	v_cvt_u32_f64_e32 v16, v[2:3]
	global_store_b64 v[13:14], v[16:17], off
.LBB81_1769:
	s_and_not1_b32 vcc_lo, exec_lo, s0
	s_cbranch_vccnz .LBB81_1771
; %bb.1770:
	v_cvt_i32_f64_e32 v2, v[0:1]
	global_store_b32 v[13:14], v2, off
.LBB81_1771:
	s_mov_b32 s0, 0
.LBB81_1772:
	s_delay_alu instid0(SALU_CYCLE_1)
	s_and_not1_b32 vcc_lo, exec_lo, s0
	s_cbranch_vccnz .LBB81_1774
; %bb.1773:
	v_cvt_i32_f64_e32 v2, v[0:1]
	global_store_b16 v[13:14], v2, off
.LBB81_1774:
	s_mov_b32 s0, 0
.LBB81_1775:
	s_delay_alu instid0(SALU_CYCLE_1)
	s_and_not1_b32 vcc_lo, exec_lo, s0
	s_cbranch_vccnz .LBB81_1780
; %bb.1776:
	v_cmp_lt_i16_e32 vcc_lo, 0, v15
	s_mov_b32 s0, -1
	s_cbranch_vccz .LBB81_1778
; %bb.1777:
	v_cvt_i32_f64_e32 v2, v[0:1]
	s_mov_b32 s0, 0
	global_store_b8 v[13:14], v2, off
.LBB81_1778:
	s_and_not1_b32 vcc_lo, exec_lo, s0
	s_cbranch_vccnz .LBB81_1780
; %bb.1779:
	v_trunc_f64_e32 v[0:1], v[0:1]
	s_delay_alu instid0(VALU_DEP_1) | instskip(NEXT) | instid1(VALU_DEP_1)
	v_ldexp_f64 v[2:3], v[0:1], 0xffffffe0
	v_floor_f64_e32 v[2:3], v[2:3]
	s_delay_alu instid0(VALU_DEP_1) | instskip(NEXT) | instid1(VALU_DEP_1)
	v_fma_f64 v[0:1], 0xc1f00000, v[2:3], v[0:1]
	v_cvt_u32_f64_e32 v0, v[0:1]
	global_store_b8 v[13:14], v0, off
.LBB81_1780:
	s_mov_b32 s3, -1
.LBB81_1781:
	s_delay_alu instid0(SALU_CYCLE_1)
	s_and_not1_b32 vcc_lo, exec_lo, s3
	s_cbranch_vccnz .LBB81_2094
; %bb.1782:
	s_mov_b32 s0, 0x652b82fe
	s_mov_b32 s1, 0x3ff71547
	;; [unrolled: 1-line block ×3, first 2 shown]
	v_mul_f64 v[0:1], v[11:12], s[0:1]
	s_mov_b32 s0, 0xfefa39ef
	s_mov_b32 s1, 0xbfe62e42
	;; [unrolled: 1-line block ×3, first 2 shown]
	v_cmp_nlt_f64_e32 vcc_lo, 0x40900000, v[11:12]
	s_mov_b32 s3, 0
	s_delay_alu instid0(VALU_DEP_2) | instskip(NEXT) | instid1(VALU_DEP_1)
	v_rndne_f64_e32 v[0:1], v[0:1]
	v_fma_f64 v[2:3], v[0:1], s[0:1], v[11:12]
	s_mov_b32 s0, 0x3b39803f
	s_mov_b32 s1, 0xbc7abc9e
	v_cvt_i32_f64_e32 v16, v[0:1]
	s_delay_alu instid0(VALU_DEP_2)
	v_fma_f64 v[2:3], v[0:1], s[0:1], v[2:3]
	s_mov_b32 s0, 0xfca7ab0c
	s_mov_b32 s1, 0x3e928af3
	s_delay_alu instid0(VALU_DEP_1) | instid1(SALU_CYCLE_1)
	v_fma_f64 v[13:14], v[2:3], s[6:7], s[0:1]
	s_mov_b32 s0, 0x623fde64
	s_mov_b32 s1, 0x3ec71dee
	s_delay_alu instid0(VALU_DEP_1) | instid1(SALU_CYCLE_1)
	;; [unrolled: 4-line block ×9, first 2 shown]
	v_fma_f64 v[13:14], v[2:3], v[13:14], s[0:1]
	v_cmp_ngt_f64_e64 s0, 0xc090cc00, v[11:12]
	v_cmp_gt_i16_e64 s1, 11, v15
	v_add_co_u32 v11, s6, s4, v6
	s_delay_alu instid0(VALU_DEP_1) | instskip(SKIP_1) | instid1(VALU_DEP_1)
	v_add_co_ci_u32_e64 v12, null, s5, 0, s6
	v_fma_f64 v[13:14], v[2:3], v[13:14], 1.0
	v_fma_f64 v[0:1], v[2:3], v[13:14], 1.0
	s_delay_alu instid0(VALU_DEP_1) | instskip(NEXT) | instid1(VALU_DEP_1)
	v_ldexp_f64 v[0:1], v[0:1], v16
	v_cndmask_b32_e32 v1, 0x7ff00000, v1, vcc_lo
	s_and_b32 vcc_lo, s0, vcc_lo
	s_delay_alu instid0(VALU_DEP_2) | instskip(SKIP_1) | instid1(VALU_DEP_2)
	v_cndmask_b32_e32 v0, 0, v0, vcc_lo
	s_and_b32 vcc_lo, exec_lo, s1
	v_cndmask_b32_e64 v1, 0, v1, s0
	s_mov_b32 s0, -1
	s_cbranch_vccnz .LBB81_1860
; %bb.1783:
	v_cmp_lt_i16_e32 vcc_lo, 25, v15
	s_mov_b32 s6, -1
	s_mov_b32 s1, 0
	s_mov_b32 s0, 0
	s_cbranch_vccz .LBB81_1816
; %bb.1784:
	v_cmp_lt_i16_e32 vcc_lo, 28, v15
	s_cbranch_vccz .LBB81_1799
; %bb.1785:
	v_cmp_lt_i16_e32 vcc_lo, 43, v15
	;; [unrolled: 3-line block ×3, first 2 shown]
	s_cbranch_vccz .LBB81_1789
; %bb.1787:
	v_cmp_eq_u16_e32 vcc_lo, 46, v15
	s_mov_b32 s0, -1
	s_mov_b32 s6, 0
	s_cbranch_vccz .LBB81_1789
; %bb.1788:
	v_cvt_f32_f64_e32 v2, v[0:1]
	s_mov_b32 s0, 0
	s_mov_b32 s3, -1
	s_delay_alu instid0(VALU_DEP_1) | instskip(SKIP_1) | instid1(VALU_DEP_2)
	v_bfe_u32 v3, v2, 16, 1
	v_cmp_o_f32_e32 vcc_lo, v2, v2
	v_add3_u32 v3, v2, v3, 0x7fff
	s_delay_alu instid0(VALU_DEP_1) | instskip(NEXT) | instid1(VALU_DEP_1)
	v_lshrrev_b32_e32 v3, 16, v3
	v_cndmask_b32_e32 v2, 0x7fc0, v3, vcc_lo
	global_store_b32 v[11:12], v2, off
.LBB81_1789:
	s_and_b32 vcc_lo, exec_lo, s6
	s_cbranch_vccz .LBB81_1794
; %bb.1790:
	v_cmp_eq_u16_e32 vcc_lo, 44, v15
	s_mov_b32 s0, -1
	s_cbranch_vccz .LBB81_1794
; %bb.1791:
	v_cvt_f32_f64_e32 v2, v[0:1]
	v_mov_b32_e32 v3, 0xff
	s_mov_b32 s3, exec_lo
	s_delay_alu instid0(VALU_DEP_2) | instskip(NEXT) | instid1(VALU_DEP_1)
	v_bfe_u32 v6, v2, 23, 8
	v_cmpx_ne_u32_e32 0xff, v6
; %bb.1792:
	v_and_b32_e32 v3, 0x400000, v2
	v_and_or_b32 v6, 0x3fffff, v2, v6
	v_lshrrev_b32_e32 v2, 23, v2
	s_delay_alu instid0(VALU_DEP_3) | instskip(NEXT) | instid1(VALU_DEP_3)
	v_cmp_ne_u32_e32 vcc_lo, 0, v3
	v_cmp_ne_u32_e64 s0, 0, v6
	s_delay_alu instid0(VALU_DEP_1) | instskip(NEXT) | instid1(SALU_CYCLE_1)
	s_and_b32 s0, vcc_lo, s0
	v_cndmask_b32_e64 v3, 0, 1, s0
	s_delay_alu instid0(VALU_DEP_1)
	v_add_nc_u32_e32 v3, v2, v3
; %bb.1793:
	s_or_b32 exec_lo, exec_lo, s3
	s_mov_b32 s0, 0
	s_mov_b32 s3, -1
	global_store_b8 v[11:12], v3, off
.LBB81_1794:
	s_mov_b32 s6, 0
.LBB81_1795:
	s_delay_alu instid0(SALU_CYCLE_1)
	s_and_b32 vcc_lo, exec_lo, s6
	s_cbranch_vccz .LBB81_1798
; %bb.1796:
	v_cmp_eq_u16_e32 vcc_lo, 29, v15
	s_mov_b32 s0, -1
	s_cbranch_vccz .LBB81_1798
; %bb.1797:
	v_trunc_f64_e32 v[2:3], v[0:1]
	s_mov_b32 s0, 0
	s_mov_b32 s3, -1
	s_delay_alu instid0(VALU_DEP_1) | instskip(NEXT) | instid1(VALU_DEP_1)
	v_ldexp_f64 v[13:14], v[2:3], 0xffffffe0
	v_floor_f64_e32 v[13:14], v[13:14]
	s_delay_alu instid0(VALU_DEP_1) | instskip(SKIP_1) | instid1(VALU_DEP_2)
	v_fma_f64 v[2:3], 0xc1f00000, v[13:14], v[2:3]
	v_cvt_u32_f64_e32 v14, v[13:14]
	v_cvt_u32_f64_e32 v13, v[2:3]
	global_store_b64 v[11:12], v[13:14], off
.LBB81_1798:
	s_mov_b32 s6, 0
.LBB81_1799:
	s_delay_alu instid0(SALU_CYCLE_1)
	s_and_b32 vcc_lo, exec_lo, s6
	s_cbranch_vccz .LBB81_1815
; %bb.1800:
	v_cmp_gt_i16_e32 vcc_lo, 27, v15
	s_mov_b32 s3, -1
	s_cbranch_vccnz .LBB81_1806
; %bb.1801:
	v_cvt_u32_f64_e32 v2, v[0:1]
	v_cmp_lt_i16_e32 vcc_lo, 27, v15
	s_cbranch_vccz .LBB81_1803
; %bb.1802:
	s_mov_b32 s3, 0
	global_store_b32 v[11:12], v2, off
.LBB81_1803:
	s_and_not1_b32 vcc_lo, exec_lo, s3
	s_cbranch_vccnz .LBB81_1805
; %bb.1804:
	global_store_b16 v[11:12], v2, off
.LBB81_1805:
	s_mov_b32 s3, 0
.LBB81_1806:
	s_delay_alu instid0(SALU_CYCLE_1)
	s_and_not1_b32 vcc_lo, exec_lo, s3
	s_cbranch_vccnz .LBB81_1814
; %bb.1807:
	v_cvt_f32_f64_e32 v2, v[0:1]
	v_mov_b32_e32 v6, 0x80
	s_mov_b32 s3, exec_lo
	s_delay_alu instid0(VALU_DEP_2) | instskip(NEXT) | instid1(VALU_DEP_1)
	v_and_b32_e32 v3, 0x7fffffff, v2
	v_cmpx_gt_u32_e32 0x43800000, v3
	s_cbranch_execz .LBB81_1813
; %bb.1808:
	v_cmp_lt_u32_e32 vcc_lo, 0x3bffffff, v3
	s_mov_b32 s6, 0
                                        ; implicit-def: $vgpr3
	s_and_saveexec_b32 s7, vcc_lo
	s_delay_alu instid0(SALU_CYCLE_1)
	s_xor_b32 s7, exec_lo, s7
	s_cbranch_execz .LBB81_2149
; %bb.1809:
	v_bfe_u32 v3, v2, 20, 1
	s_mov_b32 s6, exec_lo
	s_delay_alu instid0(VALU_DEP_1) | instskip(NEXT) | instid1(VALU_DEP_1)
	v_add3_u32 v3, v2, v3, 0x487ffff
	v_lshrrev_b32_e32 v3, 20, v3
	s_or_saveexec_b32 s7, s7
                                        ; implicit-def: $sgpr10
	s_delay_alu instid0(SALU_CYCLE_1)
	s_xor_b32 exec_lo, exec_lo, s7
	s_cbranch_execnz .LBB81_2150
.LBB81_1810:
	s_or_b32 exec_lo, exec_lo, s7
	v_mov_b32_e32 v6, s10
	s_and_saveexec_b32 s7, s6
.LBB81_1811:
	v_lshrrev_b32_e32 v2, 24, v2
	s_delay_alu instid0(VALU_DEP_1)
	v_and_or_b32 v6, 0x80, v2, v3
.LBB81_1812:
	s_or_b32 exec_lo, exec_lo, s7
.LBB81_1813:
	s_delay_alu instid0(SALU_CYCLE_1)
	s_or_b32 exec_lo, exec_lo, s3
	global_store_b8 v[11:12], v6, off
.LBB81_1814:
	s_mov_b32 s3, -1
.LBB81_1815:
	s_mov_b32 s6, 0
.LBB81_1816:
	s_delay_alu instid0(SALU_CYCLE_1)
	s_and_b32 vcc_lo, exec_lo, s6
	s_cbranch_vccz .LBB81_1856
; %bb.1817:
	v_cmp_lt_i16_e32 vcc_lo, 22, v15
	s_mov_b32 s1, -1
	s_cbranch_vccz .LBB81_1849
; %bb.1818:
	v_cmp_gt_i16_e32 vcc_lo, 24, v15
	s_cbranch_vccnz .LBB81_1838
; %bb.1819:
	v_cmp_lt_i16_e32 vcc_lo, 24, v15
	s_cbranch_vccz .LBB81_1827
; %bb.1820:
	v_cvt_f32_f64_e32 v2, v[0:1]
	v_mov_b32_e32 v6, 0x80
	s_mov_b32 s1, exec_lo
	s_delay_alu instid0(VALU_DEP_2) | instskip(NEXT) | instid1(VALU_DEP_1)
	v_and_b32_e32 v3, 0x7fffffff, v2
	v_cmpx_gt_u32_e32 0x47800000, v3
	s_cbranch_execz .LBB81_1826
; %bb.1821:
	v_cmp_lt_u32_e32 vcc_lo, 0x37ffffff, v3
	s_mov_b32 s3, 0
                                        ; implicit-def: $vgpr3
	s_and_saveexec_b32 s6, vcc_lo
	s_delay_alu instid0(SALU_CYCLE_1)
	s_xor_b32 s6, exec_lo, s6
	s_cbranch_execz .LBB81_2155
; %bb.1822:
	v_bfe_u32 v3, v2, 21, 1
	s_mov_b32 s3, exec_lo
	s_delay_alu instid0(VALU_DEP_1) | instskip(NEXT) | instid1(VALU_DEP_1)
	v_add3_u32 v3, v2, v3, 0x88fffff
	v_lshrrev_b32_e32 v3, 21, v3
	s_or_saveexec_b32 s6, s6
                                        ; implicit-def: $sgpr7
	s_delay_alu instid0(SALU_CYCLE_1)
	s_xor_b32 exec_lo, exec_lo, s6
	s_cbranch_execnz .LBB81_2156
.LBB81_1823:
	s_or_b32 exec_lo, exec_lo, s6
	v_mov_b32_e32 v6, s7
	s_and_saveexec_b32 s6, s3
.LBB81_1824:
	v_lshrrev_b32_e32 v2, 24, v2
	s_delay_alu instid0(VALU_DEP_1)
	v_and_or_b32 v6, 0x80, v2, v3
.LBB81_1825:
	s_or_b32 exec_lo, exec_lo, s6
.LBB81_1826:
	s_delay_alu instid0(SALU_CYCLE_1)
	s_or_b32 exec_lo, exec_lo, s1
	s_mov_b32 s1, 0
	global_store_b8 v[11:12], v6, off
.LBB81_1827:
	s_and_b32 vcc_lo, exec_lo, s1
	s_cbranch_vccz .LBB81_1837
; %bb.1828:
	v_cvt_f32_f64_e32 v2, v[0:1]
	s_mov_b32 s1, exec_lo
                                        ; implicit-def: $vgpr3
	s_delay_alu instid0(VALU_DEP_1) | instskip(NEXT) | instid1(VALU_DEP_1)
	v_and_b32_e32 v6, 0x7fffffff, v2
	v_cmpx_gt_u32_e32 0x43f00000, v6
	s_xor_b32 s1, exec_lo, s1
	s_cbranch_execz .LBB81_1834
; %bb.1829:
	s_mov_b32 s3, exec_lo
                                        ; implicit-def: $vgpr3
	v_cmpx_lt_u32_e32 0x3c7fffff, v6
	s_xor_b32 s3, exec_lo, s3
; %bb.1830:
	v_bfe_u32 v3, v2, 20, 1
	s_delay_alu instid0(VALU_DEP_1) | instskip(NEXT) | instid1(VALU_DEP_1)
	v_add3_u32 v3, v2, v3, 0x407ffff
	v_and_b32_e32 v6, 0xff00000, v3
	v_lshrrev_b32_e32 v3, 20, v3
	s_delay_alu instid0(VALU_DEP_2) | instskip(NEXT) | instid1(VALU_DEP_2)
	v_cmp_ne_u32_e32 vcc_lo, 0x7f00000, v6
	v_cndmask_b32_e32 v3, 0x7e, v3, vcc_lo
; %bb.1831:
	s_and_not1_saveexec_b32 s3, s3
; %bb.1832:
	v_add_f32_e64 v3, 0x46800000, |v2|
; %bb.1833:
	s_or_b32 exec_lo, exec_lo, s3
                                        ; implicit-def: $vgpr6
.LBB81_1834:
	s_and_not1_saveexec_b32 s1, s1
; %bb.1835:
	v_mov_b32_e32 v3, 0x7f
	v_cmp_lt_u32_e32 vcc_lo, 0x7f800000, v6
	s_delay_alu instid0(VALU_DEP_2)
	v_cndmask_b32_e32 v3, 0x7e, v3, vcc_lo
; %bb.1836:
	s_or_b32 exec_lo, exec_lo, s1
	v_lshrrev_b32_e32 v2, 24, v2
	s_delay_alu instid0(VALU_DEP_1)
	v_and_or_b32 v2, 0x80, v2, v3
	global_store_b8 v[11:12], v2, off
.LBB81_1837:
	s_mov_b32 s1, 0
.LBB81_1838:
	s_delay_alu instid0(SALU_CYCLE_1)
	s_and_not1_b32 vcc_lo, exec_lo, s1
	s_cbranch_vccnz .LBB81_1848
; %bb.1839:
	v_cvt_f32_f64_e32 v2, v[0:1]
	s_mov_b32 s1, exec_lo
                                        ; implicit-def: $vgpr3
	s_delay_alu instid0(VALU_DEP_1) | instskip(NEXT) | instid1(VALU_DEP_1)
	v_and_b32_e32 v6, 0x7fffffff, v2
	v_cmpx_gt_u32_e32 0x47800000, v6
	s_xor_b32 s1, exec_lo, s1
	s_cbranch_execz .LBB81_1845
; %bb.1840:
	s_mov_b32 s3, exec_lo
                                        ; implicit-def: $vgpr3
	v_cmpx_lt_u32_e32 0x387fffff, v6
	s_xor_b32 s3, exec_lo, s3
; %bb.1841:
	v_bfe_u32 v3, v2, 21, 1
	s_delay_alu instid0(VALU_DEP_1) | instskip(NEXT) | instid1(VALU_DEP_1)
	v_add3_u32 v3, v2, v3, 0x80fffff
	v_lshrrev_b32_e32 v3, 21, v3
; %bb.1842:
	s_and_not1_saveexec_b32 s3, s3
; %bb.1843:
	v_add_f32_e64 v3, 0x43000000, |v2|
; %bb.1844:
	s_or_b32 exec_lo, exec_lo, s3
                                        ; implicit-def: $vgpr6
.LBB81_1845:
	s_and_not1_saveexec_b32 s1, s1
; %bb.1846:
	v_mov_b32_e32 v3, 0x7f
	v_cmp_lt_u32_e32 vcc_lo, 0x7f800000, v6
	s_delay_alu instid0(VALU_DEP_2)
	v_cndmask_b32_e32 v3, 0x7c, v3, vcc_lo
; %bb.1847:
	s_or_b32 exec_lo, exec_lo, s1
	v_lshrrev_b32_e32 v2, 24, v2
	s_delay_alu instid0(VALU_DEP_1)
	v_and_or_b32 v2, 0x80, v2, v3
	global_store_b8 v[11:12], v2, off
.LBB81_1848:
	s_mov_b32 s1, 0
	s_mov_b32 s3, -1
.LBB81_1849:
	s_and_not1_b32 vcc_lo, exec_lo, s1
	s_mov_b32 s1, 0
	s_cbranch_vccnz .LBB81_1856
; %bb.1850:
	v_cmp_lt_i16_e32 vcc_lo, 14, v15
	s_mov_b32 s1, -1
	s_cbranch_vccz .LBB81_1854
; %bb.1851:
	v_cmp_eq_u16_e32 vcc_lo, 15, v15
	s_mov_b32 s0, -1
	s_cbranch_vccz .LBB81_1853
; %bb.1852:
	v_cvt_f32_f64_e32 v2, v[0:1]
	s_mov_b32 s0, 0
	s_mov_b32 s3, -1
	s_delay_alu instid0(VALU_DEP_1) | instskip(SKIP_1) | instid1(VALU_DEP_2)
	v_bfe_u32 v3, v2, 16, 1
	v_cmp_o_f32_e32 vcc_lo, v2, v2
	v_add3_u32 v3, v2, v3, 0x7fff
	s_delay_alu instid0(VALU_DEP_1) | instskip(NEXT) | instid1(VALU_DEP_1)
	v_lshrrev_b32_e32 v3, 16, v3
	v_cndmask_b32_e32 v2, 0x7fc0, v3, vcc_lo
	global_store_b16 v[11:12], v2, off
.LBB81_1853:
	s_mov_b32 s1, 0
.LBB81_1854:
	s_delay_alu instid0(SALU_CYCLE_1)
	s_and_b32 vcc_lo, exec_lo, s1
	s_mov_b32 s1, 0
	s_cbranch_vccz .LBB81_1856
; %bb.1855:
	v_cmp_ne_u16_e64 s0, 11, v15
	s_mov_b32 s1, -1
.LBB81_1856:
	s_delay_alu instid0(VALU_DEP_1)
	s_and_b32 vcc_lo, exec_lo, s0
	s_cbranch_vccnz .LBB81_2153
; %bb.1857:
	s_and_not1_b32 vcc_lo, exec_lo, s1
	s_cbranch_vccnz .LBB81_1859
.LBB81_1858:
	v_cmp_neq_f64_e32 vcc_lo, 0, v[0:1]
	s_mov_b32 s3, -1
	v_cndmask_b32_e64 v2, 0, 1, vcc_lo
	global_store_b8 v[11:12], v2, off
.LBB81_1859:
	s_mov_b32 s0, 0
.LBB81_1860:
	s_delay_alu instid0(SALU_CYCLE_1)
	s_and_b32 vcc_lo, exec_lo, s0
	s_cbranch_vccz .LBB81_1899
; %bb.1861:
	v_cmp_gt_i16_e32 vcc_lo, 5, v15
	s_mov_b32 s0, -1
	s_cbranch_vccnz .LBB81_1882
; %bb.1862:
	v_cmp_gt_i16_e32 vcc_lo, 8, v15
	s_cbranch_vccnz .LBB81_1872
; %bb.1863:
	v_cmp_gt_i16_e32 vcc_lo, 9, v15
	s_cbranch_vccnz .LBB81_1869
; %bb.1864:
	v_cmp_lt_i16_e32 vcc_lo, 9, v15
	s_cbranch_vccz .LBB81_1866
; %bb.1865:
	v_mov_b32_e32 v2, 0
	s_mov_b32 s0, 0
	s_delay_alu instid0(VALU_DEP_1)
	v_mov_b32_e32 v3, v2
	global_store_b128 v[11:12], v[0:3], off
.LBB81_1866:
	s_and_not1_b32 vcc_lo, exec_lo, s0
	s_cbranch_vccnz .LBB81_1868
; %bb.1867:
	v_cvt_f32_f64_e32 v2, v[0:1]
	v_mov_b32_e32 v3, 0
	global_store_b64 v[11:12], v[2:3], off
.LBB81_1868:
	s_mov_b32 s0, 0
.LBB81_1869:
	s_delay_alu instid0(SALU_CYCLE_1)
	s_and_not1_b32 vcc_lo, exec_lo, s0
	s_cbranch_vccnz .LBB81_1871
; %bb.1870:
	v_cvt_f32_f64_e32 v2, v[0:1]
	s_delay_alu instid0(VALU_DEP_1) | instskip(NEXT) | instid1(VALU_DEP_1)
	v_cvt_f16_f32_e32 v2, v2
	v_and_b32_e32 v2, 0xffff, v2
	global_store_b32 v[11:12], v2, off
.LBB81_1871:
	s_mov_b32 s0, 0
.LBB81_1872:
	s_delay_alu instid0(SALU_CYCLE_1)
	s_and_not1_b32 vcc_lo, exec_lo, s0
	s_cbranch_vccnz .LBB81_1881
; %bb.1873:
	v_cmp_gt_i16_e32 vcc_lo, 6, v15
	s_mov_b32 s0, -1
	s_cbranch_vccnz .LBB81_1879
; %bb.1874:
	v_cmp_lt_i16_e32 vcc_lo, 6, v15
	s_cbranch_vccz .LBB81_1876
; %bb.1875:
	s_mov_b32 s0, 0
	global_store_b64 v[11:12], v[0:1], off
.LBB81_1876:
	s_and_not1_b32 vcc_lo, exec_lo, s0
	s_cbranch_vccnz .LBB81_1878
; %bb.1877:
	v_cvt_f32_f64_e32 v2, v[0:1]
	global_store_b32 v[11:12], v2, off
.LBB81_1878:
	s_mov_b32 s0, 0
.LBB81_1879:
	s_delay_alu instid0(SALU_CYCLE_1)
	s_and_not1_b32 vcc_lo, exec_lo, s0
	s_cbranch_vccnz .LBB81_1881
; %bb.1880:
	v_cvt_f32_f64_e32 v2, v[0:1]
	s_delay_alu instid0(VALU_DEP_1)
	v_cvt_f16_f32_e32 v2, v2
	global_store_b16 v[11:12], v2, off
.LBB81_1881:
	s_mov_b32 s0, 0
.LBB81_1882:
	s_delay_alu instid0(SALU_CYCLE_1)
	s_and_not1_b32 vcc_lo, exec_lo, s0
	s_cbranch_vccnz .LBB81_1898
; %bb.1883:
	v_cmp_gt_i16_e32 vcc_lo, 2, v15
	s_mov_b32 s0, -1
	s_cbranch_vccnz .LBB81_1893
; %bb.1884:
	v_cmp_gt_i16_e32 vcc_lo, 3, v15
	s_cbranch_vccnz .LBB81_1890
; %bb.1885:
	v_cmp_lt_i16_e32 vcc_lo, 3, v15
	s_cbranch_vccz .LBB81_1887
; %bb.1886:
	v_trunc_f64_e32 v[2:3], v[0:1]
	s_mov_b32 s0, 0
	s_delay_alu instid0(VALU_DEP_1) | instskip(NEXT) | instid1(VALU_DEP_1)
	v_ldexp_f64 v[13:14], v[2:3], 0xffffffe0
	v_floor_f64_e32 v[13:14], v[13:14]
	s_delay_alu instid0(VALU_DEP_1) | instskip(SKIP_1) | instid1(VALU_DEP_2)
	v_fma_f64 v[2:3], 0xc1f00000, v[13:14], v[2:3]
	v_cvt_i32_f64_e32 v14, v[13:14]
	v_cvt_u32_f64_e32 v13, v[2:3]
	global_store_b64 v[11:12], v[13:14], off
.LBB81_1887:
	s_and_not1_b32 vcc_lo, exec_lo, s0
	s_cbranch_vccnz .LBB81_1889
; %bb.1888:
	v_cvt_i32_f64_e32 v2, v[0:1]
	global_store_b32 v[11:12], v2, off
.LBB81_1889:
	s_mov_b32 s0, 0
.LBB81_1890:
	s_delay_alu instid0(SALU_CYCLE_1)
	s_and_not1_b32 vcc_lo, exec_lo, s0
	s_cbranch_vccnz .LBB81_1892
; %bb.1891:
	v_cvt_i32_f64_e32 v2, v[0:1]
	global_store_b16 v[11:12], v2, off
.LBB81_1892:
	s_mov_b32 s0, 0
.LBB81_1893:
	s_delay_alu instid0(SALU_CYCLE_1)
	s_and_not1_b32 vcc_lo, exec_lo, s0
	s_cbranch_vccnz .LBB81_1898
; %bb.1894:
	v_cmp_lt_i16_e32 vcc_lo, 0, v15
	s_mov_b32 s0, -1
	s_cbranch_vccz .LBB81_1896
; %bb.1895:
	v_cvt_i32_f64_e32 v2, v[0:1]
	s_mov_b32 s0, 0
	global_store_b8 v[11:12], v2, off
.LBB81_1896:
	s_and_not1_b32 vcc_lo, exec_lo, s0
	s_cbranch_vccnz .LBB81_1898
; %bb.1897:
	v_trunc_f64_e32 v[0:1], v[0:1]
	s_delay_alu instid0(VALU_DEP_1) | instskip(NEXT) | instid1(VALU_DEP_1)
	v_ldexp_f64 v[2:3], v[0:1], 0xffffffe0
	v_floor_f64_e32 v[2:3], v[2:3]
	s_delay_alu instid0(VALU_DEP_1) | instskip(NEXT) | instid1(VALU_DEP_1)
	v_fma_f64 v[0:1], 0xc1f00000, v[2:3], v[0:1]
	v_cvt_u32_f64_e32 v0, v[0:1]
	global_store_b8 v[11:12], v0, off
.LBB81_1898:
	s_mov_b32 s3, -1
.LBB81_1899:
	s_delay_alu instid0(SALU_CYCLE_1)
	s_and_not1_b32 vcc_lo, exec_lo, s3
	s_cbranch_vccnz .LBB81_2094
; %bb.1900:
	s_mov_b32 s0, 0x652b82fe
	s_mov_b32 s1, 0x3ff71547
	;; [unrolled: 1-line block ×3, first 2 shown]
	v_mul_f64 v[0:1], v[9:10], s[0:1]
	s_mov_b32 s0, 0xfefa39ef
	s_mov_b32 s1, 0xbfe62e42
	;; [unrolled: 1-line block ×3, first 2 shown]
	v_cmp_nlt_f64_e32 vcc_lo, 0x40900000, v[9:10]
	s_mov_b32 s3, 0
	s_delay_alu instid0(VALU_DEP_2) | instskip(NEXT) | instid1(VALU_DEP_1)
	v_rndne_f64_e32 v[0:1], v[0:1]
	v_fma_f64 v[2:3], v[0:1], s[0:1], v[9:10]
	s_mov_b32 s0, 0x3b39803f
	s_mov_b32 s1, 0xbc7abc9e
	v_cvt_i32_f64_e32 v6, v[0:1]
	s_delay_alu instid0(VALU_DEP_2)
	v_fma_f64 v[2:3], v[0:1], s[0:1], v[2:3]
	s_mov_b32 s0, 0xfca7ab0c
	s_mov_b32 s1, 0x3e928af3
	s_delay_alu instid0(VALU_DEP_1) | instid1(SALU_CYCLE_1)
	v_fma_f64 v[11:12], v[2:3], s[6:7], s[0:1]
	s_mov_b32 s0, 0x623fde64
	s_mov_b32 s1, 0x3ec71dee
	v_add_co_u32 v5, s6, s4, v5
	s_delay_alu instid0(VALU_DEP_2)
	v_fma_f64 v[11:12], v[2:3], v[11:12], s[0:1]
	s_mov_b32 s0, 0x7c89e6b0
	s_mov_b32 s1, 0x3efa0199
	s_delay_alu instid0(VALU_DEP_1) | instid1(SALU_CYCLE_1)
	v_fma_f64 v[11:12], v[2:3], v[11:12], s[0:1]
	s_mov_b32 s0, 0x14761f6e
	s_mov_b32 s1, 0x3f2a01a0
	s_delay_alu instid0(VALU_DEP_1) | instid1(SALU_CYCLE_1)
	;; [unrolled: 4-line block ×7, first 2 shown]
	v_fma_f64 v[11:12], v[2:3], v[11:12], s[0:1]
	v_cmp_ngt_f64_e64 s0, 0xc090cc00, v[9:10]
	v_cmp_gt_i16_e64 s1, 11, v15
	s_delay_alu instid0(VALU_DEP_3) | instskip(NEXT) | instid1(VALU_DEP_1)
	v_fma_f64 v[11:12], v[2:3], v[11:12], 1.0
	v_fma_f64 v[0:1], v[2:3], v[11:12], 1.0
	s_delay_alu instid0(VALU_DEP_1) | instskip(SKIP_1) | instid1(VALU_DEP_2)
	v_ldexp_f64 v[0:1], v[0:1], v6
	v_add_co_ci_u32_e64 v6, null, s5, 0, s6
	v_cndmask_b32_e32 v1, 0x7ff00000, v1, vcc_lo
	s_and_b32 vcc_lo, s0, vcc_lo
	s_delay_alu instid0(VALU_DEP_3) | instskip(SKIP_1) | instid1(VALU_DEP_2)
	v_cndmask_b32_e32 v0, 0, v0, vcc_lo
	s_and_b32 vcc_lo, exec_lo, s1
	v_cndmask_b32_e64 v1, 0, v1, s0
	s_mov_b32 s0, -1
	s_cbranch_vccnz .LBB81_1978
; %bb.1901:
	v_cmp_lt_i16_e32 vcc_lo, 25, v15
	s_mov_b32 s6, -1
	s_mov_b32 s1, 0
	s_mov_b32 s0, 0
	s_cbranch_vccz .LBB81_1934
; %bb.1902:
	v_cmp_lt_i16_e32 vcc_lo, 28, v15
	s_cbranch_vccz .LBB81_1917
; %bb.1903:
	v_cmp_lt_i16_e32 vcc_lo, 43, v15
	;; [unrolled: 3-line block ×3, first 2 shown]
	s_cbranch_vccz .LBB81_1907
; %bb.1905:
	v_cmp_eq_u16_e32 vcc_lo, 46, v15
	s_mov_b32 s0, -1
	s_mov_b32 s6, 0
	s_cbranch_vccz .LBB81_1907
; %bb.1906:
	v_cvt_f32_f64_e32 v2, v[0:1]
	s_mov_b32 s0, 0
	s_mov_b32 s3, -1
	s_delay_alu instid0(VALU_DEP_1) | instskip(SKIP_1) | instid1(VALU_DEP_2)
	v_bfe_u32 v3, v2, 16, 1
	v_cmp_o_f32_e32 vcc_lo, v2, v2
	v_add3_u32 v3, v2, v3, 0x7fff
	s_delay_alu instid0(VALU_DEP_1) | instskip(NEXT) | instid1(VALU_DEP_1)
	v_lshrrev_b32_e32 v3, 16, v3
	v_cndmask_b32_e32 v2, 0x7fc0, v3, vcc_lo
	global_store_b32 v[5:6], v2, off
.LBB81_1907:
	s_and_b32 vcc_lo, exec_lo, s6
	s_cbranch_vccz .LBB81_1912
; %bb.1908:
	v_cmp_eq_u16_e32 vcc_lo, 44, v15
	s_mov_b32 s0, -1
	s_cbranch_vccz .LBB81_1912
; %bb.1909:
	v_cvt_f32_f64_e32 v2, v[0:1]
	v_mov_b32_e32 v3, 0xff
	s_mov_b32 s3, exec_lo
	s_delay_alu instid0(VALU_DEP_2) | instskip(NEXT) | instid1(VALU_DEP_1)
	v_bfe_u32 v9, v2, 23, 8
	v_cmpx_ne_u32_e32 0xff, v9
; %bb.1910:
	v_and_b32_e32 v3, 0x400000, v2
	v_and_or_b32 v9, 0x3fffff, v2, v9
	v_lshrrev_b32_e32 v2, 23, v2
	s_delay_alu instid0(VALU_DEP_3) | instskip(NEXT) | instid1(VALU_DEP_3)
	v_cmp_ne_u32_e32 vcc_lo, 0, v3
	v_cmp_ne_u32_e64 s0, 0, v9
	s_delay_alu instid0(VALU_DEP_1) | instskip(NEXT) | instid1(SALU_CYCLE_1)
	s_and_b32 s0, vcc_lo, s0
	v_cndmask_b32_e64 v3, 0, 1, s0
	s_delay_alu instid0(VALU_DEP_1)
	v_add_nc_u32_e32 v3, v2, v3
; %bb.1911:
	s_or_b32 exec_lo, exec_lo, s3
	s_mov_b32 s0, 0
	s_mov_b32 s3, -1
	global_store_b8 v[5:6], v3, off
.LBB81_1912:
	s_mov_b32 s6, 0
.LBB81_1913:
	s_delay_alu instid0(SALU_CYCLE_1)
	s_and_b32 vcc_lo, exec_lo, s6
	s_cbranch_vccz .LBB81_1916
; %bb.1914:
	v_cmp_eq_u16_e32 vcc_lo, 29, v15
	s_mov_b32 s0, -1
	s_cbranch_vccz .LBB81_1916
; %bb.1915:
	v_trunc_f64_e32 v[2:3], v[0:1]
	s_mov_b32 s0, 0
	s_mov_b32 s3, -1
	s_delay_alu instid0(VALU_DEP_1) | instskip(NEXT) | instid1(VALU_DEP_1)
	v_ldexp_f64 v[9:10], v[2:3], 0xffffffe0
	v_floor_f64_e32 v[9:10], v[9:10]
	s_delay_alu instid0(VALU_DEP_1) | instskip(SKIP_1) | instid1(VALU_DEP_2)
	v_fma_f64 v[2:3], 0xc1f00000, v[9:10], v[2:3]
	v_cvt_u32_f64_e32 v10, v[9:10]
	v_cvt_u32_f64_e32 v9, v[2:3]
	global_store_b64 v[5:6], v[9:10], off
.LBB81_1916:
	s_mov_b32 s6, 0
.LBB81_1917:
	s_delay_alu instid0(SALU_CYCLE_1)
	s_and_b32 vcc_lo, exec_lo, s6
	s_cbranch_vccz .LBB81_1933
; %bb.1918:
	v_cmp_gt_i16_e32 vcc_lo, 27, v15
	s_mov_b32 s3, -1
	s_cbranch_vccnz .LBB81_1924
; %bb.1919:
	v_cvt_u32_f64_e32 v2, v[0:1]
	v_cmp_lt_i16_e32 vcc_lo, 27, v15
	s_cbranch_vccz .LBB81_1921
; %bb.1920:
	s_mov_b32 s3, 0
	global_store_b32 v[5:6], v2, off
.LBB81_1921:
	s_and_not1_b32 vcc_lo, exec_lo, s3
	s_cbranch_vccnz .LBB81_1923
; %bb.1922:
	global_store_b16 v[5:6], v2, off
.LBB81_1923:
	s_mov_b32 s3, 0
.LBB81_1924:
	s_delay_alu instid0(SALU_CYCLE_1)
	s_and_not1_b32 vcc_lo, exec_lo, s3
	s_cbranch_vccnz .LBB81_1932
; %bb.1925:
	v_cvt_f32_f64_e32 v2, v[0:1]
	v_mov_b32_e32 v9, 0x80
	s_mov_b32 s3, exec_lo
	s_delay_alu instid0(VALU_DEP_2) | instskip(NEXT) | instid1(VALU_DEP_1)
	v_and_b32_e32 v3, 0x7fffffff, v2
	v_cmpx_gt_u32_e32 0x43800000, v3
	s_cbranch_execz .LBB81_1931
; %bb.1926:
	v_cmp_lt_u32_e32 vcc_lo, 0x3bffffff, v3
	s_mov_b32 s6, 0
                                        ; implicit-def: $vgpr3
	s_and_saveexec_b32 s7, vcc_lo
	s_delay_alu instid0(SALU_CYCLE_1)
	s_xor_b32 s7, exec_lo, s7
	s_cbranch_execz .LBB81_2157
; %bb.1927:
	v_bfe_u32 v3, v2, 20, 1
	s_mov_b32 s6, exec_lo
	s_delay_alu instid0(VALU_DEP_1) | instskip(NEXT) | instid1(VALU_DEP_1)
	v_add3_u32 v3, v2, v3, 0x487ffff
	v_lshrrev_b32_e32 v3, 20, v3
	s_or_saveexec_b32 s7, s7
                                        ; implicit-def: $sgpr10
	s_delay_alu instid0(SALU_CYCLE_1)
	s_xor_b32 exec_lo, exec_lo, s7
	s_cbranch_execnz .LBB81_2158
.LBB81_1928:
	s_or_b32 exec_lo, exec_lo, s7
	v_mov_b32_e32 v9, s10
	s_and_saveexec_b32 s7, s6
.LBB81_1929:
	v_lshrrev_b32_e32 v2, 24, v2
	s_delay_alu instid0(VALU_DEP_1)
	v_and_or_b32 v9, 0x80, v2, v3
.LBB81_1930:
	s_or_b32 exec_lo, exec_lo, s7
.LBB81_1931:
	s_delay_alu instid0(SALU_CYCLE_1)
	s_or_b32 exec_lo, exec_lo, s3
	global_store_b8 v[5:6], v9, off
.LBB81_1932:
	s_mov_b32 s3, -1
.LBB81_1933:
	s_mov_b32 s6, 0
.LBB81_1934:
	s_delay_alu instid0(SALU_CYCLE_1)
	s_and_b32 vcc_lo, exec_lo, s6
	s_cbranch_vccz .LBB81_1974
; %bb.1935:
	v_cmp_lt_i16_e32 vcc_lo, 22, v15
	s_mov_b32 s1, -1
	s_cbranch_vccz .LBB81_1967
; %bb.1936:
	v_cmp_gt_i16_e32 vcc_lo, 24, v15
	s_cbranch_vccnz .LBB81_1956
; %bb.1937:
	v_cmp_lt_i16_e32 vcc_lo, 24, v15
	s_cbranch_vccz .LBB81_1945
; %bb.1938:
	v_cvt_f32_f64_e32 v2, v[0:1]
	v_mov_b32_e32 v9, 0x80
	s_mov_b32 s1, exec_lo
	s_delay_alu instid0(VALU_DEP_2) | instskip(NEXT) | instid1(VALU_DEP_1)
	v_and_b32_e32 v3, 0x7fffffff, v2
	v_cmpx_gt_u32_e32 0x47800000, v3
	s_cbranch_execz .LBB81_1944
; %bb.1939:
	v_cmp_lt_u32_e32 vcc_lo, 0x37ffffff, v3
	s_mov_b32 s3, 0
                                        ; implicit-def: $vgpr3
	s_and_saveexec_b32 s6, vcc_lo
	s_delay_alu instid0(SALU_CYCLE_1)
	s_xor_b32 s6, exec_lo, s6
	s_cbranch_execz .LBB81_2163
; %bb.1940:
	v_bfe_u32 v3, v2, 21, 1
	s_mov_b32 s3, exec_lo
	s_delay_alu instid0(VALU_DEP_1) | instskip(NEXT) | instid1(VALU_DEP_1)
	v_add3_u32 v3, v2, v3, 0x88fffff
	v_lshrrev_b32_e32 v3, 21, v3
	s_or_saveexec_b32 s6, s6
                                        ; implicit-def: $sgpr7
	s_delay_alu instid0(SALU_CYCLE_1)
	s_xor_b32 exec_lo, exec_lo, s6
	s_cbranch_execnz .LBB81_2164
.LBB81_1941:
	s_or_b32 exec_lo, exec_lo, s6
	v_mov_b32_e32 v9, s7
	s_and_saveexec_b32 s6, s3
.LBB81_1942:
	v_lshrrev_b32_e32 v2, 24, v2
	s_delay_alu instid0(VALU_DEP_1)
	v_and_or_b32 v9, 0x80, v2, v3
.LBB81_1943:
	s_or_b32 exec_lo, exec_lo, s6
.LBB81_1944:
	s_delay_alu instid0(SALU_CYCLE_1)
	s_or_b32 exec_lo, exec_lo, s1
	s_mov_b32 s1, 0
	global_store_b8 v[5:6], v9, off
.LBB81_1945:
	s_and_b32 vcc_lo, exec_lo, s1
	s_cbranch_vccz .LBB81_1955
; %bb.1946:
	v_cvt_f32_f64_e32 v2, v[0:1]
	s_mov_b32 s1, exec_lo
                                        ; implicit-def: $vgpr3
	s_delay_alu instid0(VALU_DEP_1) | instskip(NEXT) | instid1(VALU_DEP_1)
	v_and_b32_e32 v9, 0x7fffffff, v2
	v_cmpx_gt_u32_e32 0x43f00000, v9
	s_xor_b32 s1, exec_lo, s1
	s_cbranch_execz .LBB81_1952
; %bb.1947:
	s_mov_b32 s3, exec_lo
                                        ; implicit-def: $vgpr3
	v_cmpx_lt_u32_e32 0x3c7fffff, v9
	s_xor_b32 s3, exec_lo, s3
; %bb.1948:
	v_bfe_u32 v3, v2, 20, 1
	s_delay_alu instid0(VALU_DEP_1) | instskip(NEXT) | instid1(VALU_DEP_1)
	v_add3_u32 v3, v2, v3, 0x407ffff
	v_and_b32_e32 v9, 0xff00000, v3
	v_lshrrev_b32_e32 v3, 20, v3
	s_delay_alu instid0(VALU_DEP_2) | instskip(NEXT) | instid1(VALU_DEP_2)
	v_cmp_ne_u32_e32 vcc_lo, 0x7f00000, v9
	v_cndmask_b32_e32 v3, 0x7e, v3, vcc_lo
; %bb.1949:
	s_and_not1_saveexec_b32 s3, s3
; %bb.1950:
	v_add_f32_e64 v3, 0x46800000, |v2|
; %bb.1951:
	s_or_b32 exec_lo, exec_lo, s3
                                        ; implicit-def: $vgpr9
.LBB81_1952:
	s_and_not1_saveexec_b32 s1, s1
; %bb.1953:
	v_mov_b32_e32 v3, 0x7f
	v_cmp_lt_u32_e32 vcc_lo, 0x7f800000, v9
	s_delay_alu instid0(VALU_DEP_2)
	v_cndmask_b32_e32 v3, 0x7e, v3, vcc_lo
; %bb.1954:
	s_or_b32 exec_lo, exec_lo, s1
	v_lshrrev_b32_e32 v2, 24, v2
	s_delay_alu instid0(VALU_DEP_1)
	v_and_or_b32 v2, 0x80, v2, v3
	global_store_b8 v[5:6], v2, off
.LBB81_1955:
	s_mov_b32 s1, 0
.LBB81_1956:
	s_delay_alu instid0(SALU_CYCLE_1)
	s_and_not1_b32 vcc_lo, exec_lo, s1
	s_cbranch_vccnz .LBB81_1966
; %bb.1957:
	v_cvt_f32_f64_e32 v2, v[0:1]
	s_mov_b32 s1, exec_lo
                                        ; implicit-def: $vgpr3
	s_delay_alu instid0(VALU_DEP_1) | instskip(NEXT) | instid1(VALU_DEP_1)
	v_and_b32_e32 v9, 0x7fffffff, v2
	v_cmpx_gt_u32_e32 0x47800000, v9
	s_xor_b32 s1, exec_lo, s1
	s_cbranch_execz .LBB81_1963
; %bb.1958:
	s_mov_b32 s3, exec_lo
                                        ; implicit-def: $vgpr3
	v_cmpx_lt_u32_e32 0x387fffff, v9
	s_xor_b32 s3, exec_lo, s3
; %bb.1959:
	v_bfe_u32 v3, v2, 21, 1
	s_delay_alu instid0(VALU_DEP_1) | instskip(NEXT) | instid1(VALU_DEP_1)
	v_add3_u32 v3, v2, v3, 0x80fffff
	v_lshrrev_b32_e32 v3, 21, v3
; %bb.1960:
	s_and_not1_saveexec_b32 s3, s3
; %bb.1961:
	v_add_f32_e64 v3, 0x43000000, |v2|
; %bb.1962:
	s_or_b32 exec_lo, exec_lo, s3
                                        ; implicit-def: $vgpr9
.LBB81_1963:
	s_and_not1_saveexec_b32 s1, s1
; %bb.1964:
	v_mov_b32_e32 v3, 0x7f
	v_cmp_lt_u32_e32 vcc_lo, 0x7f800000, v9
	s_delay_alu instid0(VALU_DEP_2)
	v_cndmask_b32_e32 v3, 0x7c, v3, vcc_lo
; %bb.1965:
	s_or_b32 exec_lo, exec_lo, s1
	v_lshrrev_b32_e32 v2, 24, v2
	s_delay_alu instid0(VALU_DEP_1)
	v_and_or_b32 v2, 0x80, v2, v3
	global_store_b8 v[5:6], v2, off
.LBB81_1966:
	s_mov_b32 s1, 0
	s_mov_b32 s3, -1
.LBB81_1967:
	s_and_not1_b32 vcc_lo, exec_lo, s1
	s_mov_b32 s1, 0
	s_cbranch_vccnz .LBB81_1974
; %bb.1968:
	v_cmp_lt_i16_e32 vcc_lo, 14, v15
	s_mov_b32 s1, -1
	s_cbranch_vccz .LBB81_1972
; %bb.1969:
	v_cmp_eq_u16_e32 vcc_lo, 15, v15
	s_mov_b32 s0, -1
	s_cbranch_vccz .LBB81_1971
; %bb.1970:
	v_cvt_f32_f64_e32 v2, v[0:1]
	s_mov_b32 s0, 0
	s_mov_b32 s3, -1
	s_delay_alu instid0(VALU_DEP_1) | instskip(SKIP_1) | instid1(VALU_DEP_2)
	v_bfe_u32 v3, v2, 16, 1
	v_cmp_o_f32_e32 vcc_lo, v2, v2
	v_add3_u32 v3, v2, v3, 0x7fff
	s_delay_alu instid0(VALU_DEP_1) | instskip(NEXT) | instid1(VALU_DEP_1)
	v_lshrrev_b32_e32 v3, 16, v3
	v_cndmask_b32_e32 v2, 0x7fc0, v3, vcc_lo
	global_store_b16 v[5:6], v2, off
.LBB81_1971:
	s_mov_b32 s1, 0
.LBB81_1972:
	s_delay_alu instid0(SALU_CYCLE_1)
	s_and_b32 vcc_lo, exec_lo, s1
	s_mov_b32 s1, 0
	s_cbranch_vccz .LBB81_1974
; %bb.1973:
	v_cmp_ne_u16_e64 s0, 11, v15
	s_mov_b32 s1, -1
.LBB81_1974:
	s_delay_alu instid0(VALU_DEP_1)
	s_and_b32 vcc_lo, exec_lo, s0
	s_cbranch_vccnz .LBB81_2161
; %bb.1975:
	s_and_not1_b32 vcc_lo, exec_lo, s1
	s_cbranch_vccnz .LBB81_1977
.LBB81_1976:
	v_cmp_neq_f64_e32 vcc_lo, 0, v[0:1]
	s_mov_b32 s3, -1
	v_cndmask_b32_e64 v2, 0, 1, vcc_lo
	global_store_b8 v[5:6], v2, off
.LBB81_1977:
	s_mov_b32 s0, 0
.LBB81_1978:
	s_delay_alu instid0(SALU_CYCLE_1)
	s_and_b32 vcc_lo, exec_lo, s0
	s_cbranch_vccz .LBB81_2017
; %bb.1979:
	v_cmp_gt_i16_e32 vcc_lo, 5, v15
	s_mov_b32 s0, -1
	s_cbranch_vccnz .LBB81_2000
; %bb.1980:
	v_cmp_gt_i16_e32 vcc_lo, 8, v15
	s_cbranch_vccnz .LBB81_1990
; %bb.1981:
	v_cmp_gt_i16_e32 vcc_lo, 9, v15
	s_cbranch_vccnz .LBB81_1987
; %bb.1982:
	v_cmp_lt_i16_e32 vcc_lo, 9, v15
	s_cbranch_vccz .LBB81_1984
; %bb.1983:
	v_mov_b32_e32 v2, 0
	s_mov_b32 s0, 0
	s_delay_alu instid0(VALU_DEP_1)
	v_mov_b32_e32 v3, v2
	global_store_b128 v[5:6], v[0:3], off
.LBB81_1984:
	s_and_not1_b32 vcc_lo, exec_lo, s0
	s_cbranch_vccnz .LBB81_1986
; %bb.1985:
	v_cvt_f32_f64_e32 v2, v[0:1]
	v_mov_b32_e32 v3, 0
	global_store_b64 v[5:6], v[2:3], off
.LBB81_1986:
	s_mov_b32 s0, 0
.LBB81_1987:
	s_delay_alu instid0(SALU_CYCLE_1)
	s_and_not1_b32 vcc_lo, exec_lo, s0
	s_cbranch_vccnz .LBB81_1989
; %bb.1988:
	v_cvt_f32_f64_e32 v2, v[0:1]
	s_delay_alu instid0(VALU_DEP_1) | instskip(NEXT) | instid1(VALU_DEP_1)
	v_cvt_f16_f32_e32 v2, v2
	v_and_b32_e32 v2, 0xffff, v2
	global_store_b32 v[5:6], v2, off
.LBB81_1989:
	s_mov_b32 s0, 0
.LBB81_1990:
	s_delay_alu instid0(SALU_CYCLE_1)
	s_and_not1_b32 vcc_lo, exec_lo, s0
	s_cbranch_vccnz .LBB81_1999
; %bb.1991:
	v_cmp_gt_i16_e32 vcc_lo, 6, v15
	s_mov_b32 s0, -1
	s_cbranch_vccnz .LBB81_1997
; %bb.1992:
	v_cmp_lt_i16_e32 vcc_lo, 6, v15
	s_cbranch_vccz .LBB81_1994
; %bb.1993:
	s_mov_b32 s0, 0
	global_store_b64 v[5:6], v[0:1], off
.LBB81_1994:
	s_and_not1_b32 vcc_lo, exec_lo, s0
	s_cbranch_vccnz .LBB81_1996
; %bb.1995:
	v_cvt_f32_f64_e32 v2, v[0:1]
	global_store_b32 v[5:6], v2, off
.LBB81_1996:
	s_mov_b32 s0, 0
.LBB81_1997:
	s_delay_alu instid0(SALU_CYCLE_1)
	s_and_not1_b32 vcc_lo, exec_lo, s0
	s_cbranch_vccnz .LBB81_1999
; %bb.1998:
	v_cvt_f32_f64_e32 v2, v[0:1]
	s_delay_alu instid0(VALU_DEP_1)
	v_cvt_f16_f32_e32 v2, v2
	global_store_b16 v[5:6], v2, off
.LBB81_1999:
	s_mov_b32 s0, 0
.LBB81_2000:
	s_delay_alu instid0(SALU_CYCLE_1)
	s_and_not1_b32 vcc_lo, exec_lo, s0
	s_cbranch_vccnz .LBB81_2016
; %bb.2001:
	v_cmp_gt_i16_e32 vcc_lo, 2, v15
	s_mov_b32 s0, -1
	s_cbranch_vccnz .LBB81_2011
; %bb.2002:
	v_cmp_gt_i16_e32 vcc_lo, 3, v15
	s_cbranch_vccnz .LBB81_2008
; %bb.2003:
	v_cmp_lt_i16_e32 vcc_lo, 3, v15
	s_cbranch_vccz .LBB81_2005
; %bb.2004:
	v_trunc_f64_e32 v[2:3], v[0:1]
	s_mov_b32 s0, 0
	s_delay_alu instid0(VALU_DEP_1) | instskip(NEXT) | instid1(VALU_DEP_1)
	v_ldexp_f64 v[9:10], v[2:3], 0xffffffe0
	v_floor_f64_e32 v[9:10], v[9:10]
	s_delay_alu instid0(VALU_DEP_1) | instskip(SKIP_1) | instid1(VALU_DEP_2)
	v_fma_f64 v[2:3], 0xc1f00000, v[9:10], v[2:3]
	v_cvt_i32_f64_e32 v10, v[9:10]
	v_cvt_u32_f64_e32 v9, v[2:3]
	global_store_b64 v[5:6], v[9:10], off
.LBB81_2005:
	s_and_not1_b32 vcc_lo, exec_lo, s0
	s_cbranch_vccnz .LBB81_2007
; %bb.2006:
	v_cvt_i32_f64_e32 v2, v[0:1]
	global_store_b32 v[5:6], v2, off
.LBB81_2007:
	s_mov_b32 s0, 0
.LBB81_2008:
	s_delay_alu instid0(SALU_CYCLE_1)
	s_and_not1_b32 vcc_lo, exec_lo, s0
	s_cbranch_vccnz .LBB81_2010
; %bb.2009:
	v_cvt_i32_f64_e32 v2, v[0:1]
	global_store_b16 v[5:6], v2, off
.LBB81_2010:
	s_mov_b32 s0, 0
.LBB81_2011:
	s_delay_alu instid0(SALU_CYCLE_1)
	s_and_not1_b32 vcc_lo, exec_lo, s0
	s_cbranch_vccnz .LBB81_2016
; %bb.2012:
	v_cmp_lt_i16_e32 vcc_lo, 0, v15
	s_mov_b32 s0, -1
	s_cbranch_vccz .LBB81_2014
; %bb.2013:
	v_cvt_i32_f64_e32 v2, v[0:1]
	s_mov_b32 s0, 0
	global_store_b8 v[5:6], v2, off
.LBB81_2014:
	s_and_not1_b32 vcc_lo, exec_lo, s0
	s_cbranch_vccnz .LBB81_2016
; %bb.2015:
	v_trunc_f64_e32 v[0:1], v[0:1]
	s_delay_alu instid0(VALU_DEP_1) | instskip(NEXT) | instid1(VALU_DEP_1)
	v_ldexp_f64 v[2:3], v[0:1], 0xffffffe0
	v_floor_f64_e32 v[2:3], v[2:3]
	s_delay_alu instid0(VALU_DEP_1) | instskip(NEXT) | instid1(VALU_DEP_1)
	v_fma_f64 v[0:1], 0xc1f00000, v[2:3], v[0:1]
	v_cvt_u32_f64_e32 v0, v[0:1]
	global_store_b8 v[5:6], v0, off
.LBB81_2016:
	s_mov_b32 s3, -1
.LBB81_2017:
	s_delay_alu instid0(SALU_CYCLE_1)
	s_and_not1_b32 vcc_lo, exec_lo, s3
	s_cbranch_vccnz .LBB81_2094
; %bb.2018:
	s_mov_b32 s0, 0x652b82fe
	s_mov_b32 s1, 0x3ff71547
	s_mov_b32 s6, 0x6a5dcb37
	v_mul_f64 v[0:1], v[7:8], s[0:1]
	s_mov_b32 s0, 0xfefa39ef
	s_mov_b32 s1, 0xbfe62e42
	;; [unrolled: 1-line block ×3, first 2 shown]
	v_cmp_nlt_f64_e32 vcc_lo, 0x40900000, v[7:8]
	v_add_co_u32 v4, s4, s4, v4
	s_mov_b32 s3, 0
	s_delay_alu instid0(VALU_DEP_3) | instskip(NEXT) | instid1(VALU_DEP_1)
	v_rndne_f64_e32 v[0:1], v[0:1]
	v_fma_f64 v[2:3], v[0:1], s[0:1], v[7:8]
	s_mov_b32 s0, 0x3b39803f
	s_mov_b32 s1, 0xbc7abc9e
	v_cvt_i32_f64_e32 v9, v[0:1]
	s_delay_alu instid0(VALU_DEP_2)
	v_fma_f64 v[2:3], v[0:1], s[0:1], v[2:3]
	s_mov_b32 s0, 0xfca7ab0c
	s_mov_b32 s1, 0x3e928af3
	s_delay_alu instid0(VALU_DEP_1) | instid1(SALU_CYCLE_1)
	v_fma_f64 v[5:6], v[2:3], s[6:7], s[0:1]
	s_mov_b32 s0, 0x623fde64
	s_mov_b32 s1, 0x3ec71dee
	s_delay_alu instid0(VALU_DEP_1) | instid1(SALU_CYCLE_1)
	v_fma_f64 v[5:6], v[2:3], v[5:6], s[0:1]
	s_mov_b32 s0, 0x7c89e6b0
	s_mov_b32 s1, 0x3efa0199
	s_delay_alu instid0(VALU_DEP_1) | instid1(SALU_CYCLE_1)
	v_fma_f64 v[5:6], v[2:3], v[5:6], s[0:1]
	s_mov_b32 s0, 0x14761f6e
	s_mov_b32 s1, 0x3f2a01a0
	s_delay_alu instid0(VALU_DEP_1) | instid1(SALU_CYCLE_1)
	v_fma_f64 v[5:6], v[2:3], v[5:6], s[0:1]
	s_mov_b32 s0, 0x1852b7b0
	s_mov_b32 s1, 0x3f56c16c
	s_delay_alu instid0(VALU_DEP_1) | instid1(SALU_CYCLE_1)
	v_fma_f64 v[5:6], v[2:3], v[5:6], s[0:1]
	s_mov_b32 s0, 0x11122322
	s_mov_b32 s1, 0x3f811111
	s_delay_alu instid0(VALU_DEP_1) | instid1(SALU_CYCLE_1)
	v_fma_f64 v[5:6], v[2:3], v[5:6], s[0:1]
	s_mov_b32 s0, 0x555502a1
	s_mov_b32 s1, 0x3fa55555
	s_delay_alu instid0(VALU_DEP_1) | instid1(SALU_CYCLE_1)
	v_fma_f64 v[5:6], v[2:3], v[5:6], s[0:1]
	s_mov_b32 s0, 0x55555511
	s_mov_b32 s1, 0x3fc55555
	s_delay_alu instid0(VALU_DEP_1) | instid1(SALU_CYCLE_1)
	v_fma_f64 v[5:6], v[2:3], v[5:6], s[0:1]
	s_mov_b32 s0, 11
	s_mov_b32 s1, 0x3fe00000
	s_delay_alu instid0(VALU_DEP_1) | instid1(SALU_CYCLE_1)
	v_fma_f64 v[5:6], v[2:3], v[5:6], s[0:1]
	v_cmp_ngt_f64_e64 s0, 0xc090cc00, v[7:8]
	v_cmp_gt_i16_e64 s1, 11, v15
	s_delay_alu instid0(VALU_DEP_3) | instskip(NEXT) | instid1(VALU_DEP_1)
	v_fma_f64 v[5:6], v[2:3], v[5:6], 1.0
	v_fma_f64 v[0:1], v[2:3], v[5:6], 1.0
	v_add_co_ci_u32_e64 v5, null, s5, 0, s4
	s_delay_alu instid0(VALU_DEP_2) | instskip(NEXT) | instid1(VALU_DEP_1)
	v_ldexp_f64 v[0:1], v[0:1], v9
	v_cndmask_b32_e32 v1, 0x7ff00000, v1, vcc_lo
	s_and_b32 vcc_lo, s0, vcc_lo
	s_delay_alu instid0(VALU_DEP_2) | instskip(SKIP_1) | instid1(VALU_DEP_2)
	v_cndmask_b32_e32 v0, 0, v0, vcc_lo
	s_and_b32 vcc_lo, exec_lo, s1
	v_cndmask_b32_e64 v1, 0, v1, s0
	s_mov_b32 s0, -1
	s_cbranch_vccnz .LBB81_2095
; %bb.2019:
	v_cmp_lt_i16_e32 vcc_lo, 25, v15
	s_mov_b32 s1, -1
	s_mov_b32 s0, 0
	s_cbranch_vccz .LBB81_2052
; %bb.2020:
	v_cmp_lt_i16_e32 vcc_lo, 28, v15
	s_cbranch_vccz .LBB81_2036
; %bb.2021:
	v_cmp_lt_i16_e32 vcc_lo, 43, v15
	;; [unrolled: 3-line block ×3, first 2 shown]
	s_cbranch_vccz .LBB81_2026
; %bb.2023:
	v_cmp_eq_u16_e32 vcc_lo, 46, v15
	s_mov_b32 s0, -1
	s_cbranch_vccz .LBB81_2025
; %bb.2024:
	v_cvt_f32_f64_e32 v2, v[0:1]
	s_mov_b32 s0, 0
	s_delay_alu instid0(VALU_DEP_1) | instskip(SKIP_1) | instid1(VALU_DEP_2)
	v_bfe_u32 v3, v2, 16, 1
	v_cmp_o_f32_e32 vcc_lo, v2, v2
	v_add3_u32 v3, v2, v3, 0x7fff
	s_delay_alu instid0(VALU_DEP_1) | instskip(NEXT) | instid1(VALU_DEP_1)
	v_lshrrev_b32_e32 v3, 16, v3
	v_cndmask_b32_e32 v2, 0x7fc0, v3, vcc_lo
	global_store_b32 v[4:5], v2, off
.LBB81_2025:
	s_mov_b32 s1, 0
.LBB81_2026:
	s_delay_alu instid0(SALU_CYCLE_1)
	s_and_b32 vcc_lo, exec_lo, s1
	s_cbranch_vccz .LBB81_2031
; %bb.2027:
	v_cmp_eq_u16_e32 vcc_lo, 44, v15
	s_mov_b32 s0, -1
	s_cbranch_vccz .LBB81_2031
; %bb.2028:
	v_cvt_f32_f64_e32 v2, v[0:1]
	v_mov_b32_e32 v3, 0xff
	s_mov_b32 s1, exec_lo
	s_delay_alu instid0(VALU_DEP_2) | instskip(NEXT) | instid1(VALU_DEP_1)
	v_bfe_u32 v6, v2, 23, 8
	v_cmpx_ne_u32_e32 0xff, v6
; %bb.2029:
	v_and_b32_e32 v3, 0x400000, v2
	v_and_or_b32 v6, 0x3fffff, v2, v6
	v_lshrrev_b32_e32 v2, 23, v2
	s_delay_alu instid0(VALU_DEP_3) | instskip(NEXT) | instid1(VALU_DEP_3)
	v_cmp_ne_u32_e32 vcc_lo, 0, v3
	v_cmp_ne_u32_e64 s0, 0, v6
	s_delay_alu instid0(VALU_DEP_1) | instskip(NEXT) | instid1(SALU_CYCLE_1)
	s_and_b32 s0, vcc_lo, s0
	v_cndmask_b32_e64 v3, 0, 1, s0
	s_delay_alu instid0(VALU_DEP_1)
	v_add_nc_u32_e32 v3, v2, v3
; %bb.2030:
	s_or_b32 exec_lo, exec_lo, s1
	s_mov_b32 s0, 0
	global_store_b8 v[4:5], v3, off
.LBB81_2031:
	s_mov_b32 s1, 0
.LBB81_2032:
	s_delay_alu instid0(SALU_CYCLE_1)
	s_and_b32 vcc_lo, exec_lo, s1
	s_cbranch_vccz .LBB81_2035
; %bb.2033:
	v_cmp_eq_u16_e32 vcc_lo, 29, v15
	s_mov_b32 s0, -1
	s_cbranch_vccz .LBB81_2035
; %bb.2034:
	v_trunc_f64_e32 v[2:3], v[0:1]
	s_mov_b32 s0, 0
	s_delay_alu instid0(VALU_DEP_1) | instskip(NEXT) | instid1(VALU_DEP_1)
	v_ldexp_f64 v[6:7], v[2:3], 0xffffffe0
	v_floor_f64_e32 v[6:7], v[6:7]
	s_delay_alu instid0(VALU_DEP_1) | instskip(SKIP_1) | instid1(VALU_DEP_2)
	v_fma_f64 v[2:3], 0xc1f00000, v[6:7], v[2:3]
	v_cvt_u32_f64_e32 v7, v[6:7]
	v_cvt_u32_f64_e32 v6, v[2:3]
	global_store_b64 v[4:5], v[6:7], off
.LBB81_2035:
	s_mov_b32 s1, 0
.LBB81_2036:
	s_delay_alu instid0(SALU_CYCLE_1)
	s_and_b32 vcc_lo, exec_lo, s1
	s_cbranch_vccz .LBB81_2051
; %bb.2037:
	v_cmp_gt_i16_e32 vcc_lo, 27, v15
	s_mov_b32 s1, -1
	s_cbranch_vccnz .LBB81_2043
; %bb.2038:
	v_cvt_u32_f64_e32 v2, v[0:1]
	v_cmp_lt_i16_e32 vcc_lo, 27, v15
	s_cbranch_vccz .LBB81_2040
; %bb.2039:
	s_mov_b32 s1, 0
	global_store_b32 v[4:5], v2, off
.LBB81_2040:
	s_and_not1_b32 vcc_lo, exec_lo, s1
	s_cbranch_vccnz .LBB81_2042
; %bb.2041:
	global_store_b16 v[4:5], v2, off
.LBB81_2042:
	s_mov_b32 s1, 0
.LBB81_2043:
	s_delay_alu instid0(SALU_CYCLE_1)
	s_and_not1_b32 vcc_lo, exec_lo, s1
	s_cbranch_vccnz .LBB81_2051
; %bb.2044:
	v_cvt_f32_f64_e32 v2, v[0:1]
	v_mov_b32_e32 v6, 0x80
	s_mov_b32 s1, exec_lo
	s_delay_alu instid0(VALU_DEP_2) | instskip(NEXT) | instid1(VALU_DEP_1)
	v_and_b32_e32 v3, 0x7fffffff, v2
	v_cmpx_gt_u32_e32 0x43800000, v3
	s_cbranch_execz .LBB81_2050
; %bb.2045:
	v_cmp_lt_u32_e32 vcc_lo, 0x3bffffff, v3
	s_mov_b32 s4, 0
                                        ; implicit-def: $vgpr3
	s_and_saveexec_b32 s5, vcc_lo
	s_delay_alu instid0(SALU_CYCLE_1)
	s_xor_b32 s5, exec_lo, s5
	s_cbranch_execz .LBB81_2165
; %bb.2046:
	v_bfe_u32 v3, v2, 20, 1
	s_mov_b32 s4, exec_lo
	s_delay_alu instid0(VALU_DEP_1) | instskip(NEXT) | instid1(VALU_DEP_1)
	v_add3_u32 v3, v2, v3, 0x487ffff
	v_lshrrev_b32_e32 v3, 20, v3
	s_or_saveexec_b32 s5, s5
                                        ; implicit-def: $sgpr6
	s_delay_alu instid0(SALU_CYCLE_1)
	s_xor_b32 exec_lo, exec_lo, s5
	s_cbranch_execnz .LBB81_2166
.LBB81_2047:
	s_or_b32 exec_lo, exec_lo, s5
	v_mov_b32_e32 v6, s6
	s_and_saveexec_b32 s5, s4
.LBB81_2048:
	v_lshrrev_b32_e32 v2, 24, v2
	s_delay_alu instid0(VALU_DEP_1)
	v_and_or_b32 v6, 0x80, v2, v3
.LBB81_2049:
	s_or_b32 exec_lo, exec_lo, s5
.LBB81_2050:
	s_delay_alu instid0(SALU_CYCLE_1)
	s_or_b32 exec_lo, exec_lo, s1
	global_store_b8 v[4:5], v6, off
.LBB81_2051:
	s_mov_b32 s1, 0
.LBB81_2052:
	s_delay_alu instid0(SALU_CYCLE_1)
	s_and_b32 vcc_lo, exec_lo, s1
	s_cbranch_vccz .LBB81_2092
; %bb.2053:
	v_cmp_lt_i16_e32 vcc_lo, 22, v15
	s_mov_b32 s1, -1
	s_cbranch_vccz .LBB81_2085
; %bb.2054:
	v_cmp_gt_i16_e32 vcc_lo, 24, v15
	s_cbranch_vccnz .LBB81_2074
; %bb.2055:
	v_cmp_lt_i16_e32 vcc_lo, 24, v15
	s_cbranch_vccz .LBB81_2063
; %bb.2056:
	v_cvt_f32_f64_e32 v2, v[0:1]
	v_mov_b32_e32 v6, 0x80
	s_mov_b32 s1, exec_lo
	s_delay_alu instid0(VALU_DEP_2) | instskip(NEXT) | instid1(VALU_DEP_1)
	v_and_b32_e32 v3, 0x7fffffff, v2
	v_cmpx_gt_u32_e32 0x47800000, v3
	s_cbranch_execz .LBB81_2062
; %bb.2057:
	v_cmp_lt_u32_e32 vcc_lo, 0x37ffffff, v3
                                        ; implicit-def: $vgpr3
	s_and_saveexec_b32 s4, vcc_lo
	s_delay_alu instid0(SALU_CYCLE_1)
	s_xor_b32 s4, exec_lo, s4
	s_cbranch_execz .LBB81_2171
; %bb.2058:
	v_bfe_u32 v3, v2, 21, 1
	s_mov_b32 s3, exec_lo
	s_delay_alu instid0(VALU_DEP_1) | instskip(NEXT) | instid1(VALU_DEP_1)
	v_add3_u32 v3, v2, v3, 0x88fffff
	v_lshrrev_b32_e32 v3, 21, v3
	s_or_saveexec_b32 s4, s4
                                        ; implicit-def: $sgpr5
	s_delay_alu instid0(SALU_CYCLE_1)
	s_xor_b32 exec_lo, exec_lo, s4
	s_cbranch_execnz .LBB81_2172
.LBB81_2059:
	s_or_b32 exec_lo, exec_lo, s4
	v_mov_b32_e32 v6, s5
	s_and_saveexec_b32 s4, s3
.LBB81_2060:
	v_lshrrev_b32_e32 v2, 24, v2
	s_delay_alu instid0(VALU_DEP_1)
	v_and_or_b32 v6, 0x80, v2, v3
.LBB81_2061:
	s_or_b32 exec_lo, exec_lo, s4
.LBB81_2062:
	s_delay_alu instid0(SALU_CYCLE_1)
	s_or_b32 exec_lo, exec_lo, s1
	s_mov_b32 s1, 0
	global_store_b8 v[4:5], v6, off
.LBB81_2063:
	s_and_b32 vcc_lo, exec_lo, s1
	s_cbranch_vccz .LBB81_2073
; %bb.2064:
	v_cvt_f32_f64_e32 v2, v[0:1]
	s_mov_b32 s1, exec_lo
                                        ; implicit-def: $vgpr3
	s_delay_alu instid0(VALU_DEP_1) | instskip(NEXT) | instid1(VALU_DEP_1)
	v_and_b32_e32 v6, 0x7fffffff, v2
	v_cmpx_gt_u32_e32 0x43f00000, v6
	s_xor_b32 s1, exec_lo, s1
	s_cbranch_execz .LBB81_2070
; %bb.2065:
	s_mov_b32 s3, exec_lo
                                        ; implicit-def: $vgpr3
	v_cmpx_lt_u32_e32 0x3c7fffff, v6
	s_xor_b32 s3, exec_lo, s3
; %bb.2066:
	v_bfe_u32 v3, v2, 20, 1
	s_delay_alu instid0(VALU_DEP_1) | instskip(NEXT) | instid1(VALU_DEP_1)
	v_add3_u32 v3, v2, v3, 0x407ffff
	v_and_b32_e32 v6, 0xff00000, v3
	v_lshrrev_b32_e32 v3, 20, v3
	s_delay_alu instid0(VALU_DEP_2) | instskip(NEXT) | instid1(VALU_DEP_2)
	v_cmp_ne_u32_e32 vcc_lo, 0x7f00000, v6
	v_cndmask_b32_e32 v3, 0x7e, v3, vcc_lo
; %bb.2067:
	s_and_not1_saveexec_b32 s3, s3
; %bb.2068:
	v_add_f32_e64 v3, 0x46800000, |v2|
; %bb.2069:
	s_or_b32 exec_lo, exec_lo, s3
                                        ; implicit-def: $vgpr6
.LBB81_2070:
	s_and_not1_saveexec_b32 s1, s1
; %bb.2071:
	v_mov_b32_e32 v3, 0x7f
	v_cmp_lt_u32_e32 vcc_lo, 0x7f800000, v6
	s_delay_alu instid0(VALU_DEP_2)
	v_cndmask_b32_e32 v3, 0x7e, v3, vcc_lo
; %bb.2072:
	s_or_b32 exec_lo, exec_lo, s1
	v_lshrrev_b32_e32 v2, 24, v2
	s_delay_alu instid0(VALU_DEP_1)
	v_and_or_b32 v2, 0x80, v2, v3
	global_store_b8 v[4:5], v2, off
.LBB81_2073:
	s_mov_b32 s1, 0
.LBB81_2074:
	s_delay_alu instid0(SALU_CYCLE_1)
	s_and_not1_b32 vcc_lo, exec_lo, s1
	s_cbranch_vccnz .LBB81_2084
; %bb.2075:
	v_cvt_f32_f64_e32 v2, v[0:1]
	s_mov_b32 s1, exec_lo
                                        ; implicit-def: $vgpr3
	s_delay_alu instid0(VALU_DEP_1) | instskip(NEXT) | instid1(VALU_DEP_1)
	v_and_b32_e32 v6, 0x7fffffff, v2
	v_cmpx_gt_u32_e32 0x47800000, v6
	s_xor_b32 s1, exec_lo, s1
	s_cbranch_execz .LBB81_2081
; %bb.2076:
	s_mov_b32 s3, exec_lo
                                        ; implicit-def: $vgpr3
	v_cmpx_lt_u32_e32 0x387fffff, v6
	s_xor_b32 s3, exec_lo, s3
; %bb.2077:
	v_bfe_u32 v3, v2, 21, 1
	s_delay_alu instid0(VALU_DEP_1) | instskip(NEXT) | instid1(VALU_DEP_1)
	v_add3_u32 v3, v2, v3, 0x80fffff
	v_lshrrev_b32_e32 v3, 21, v3
; %bb.2078:
	s_and_not1_saveexec_b32 s3, s3
; %bb.2079:
	v_add_f32_e64 v3, 0x43000000, |v2|
; %bb.2080:
	s_or_b32 exec_lo, exec_lo, s3
                                        ; implicit-def: $vgpr6
.LBB81_2081:
	s_and_not1_saveexec_b32 s1, s1
; %bb.2082:
	v_mov_b32_e32 v3, 0x7f
	v_cmp_lt_u32_e32 vcc_lo, 0x7f800000, v6
	s_delay_alu instid0(VALU_DEP_2)
	v_cndmask_b32_e32 v3, 0x7c, v3, vcc_lo
; %bb.2083:
	s_or_b32 exec_lo, exec_lo, s1
	v_lshrrev_b32_e32 v2, 24, v2
	s_delay_alu instid0(VALU_DEP_1)
	v_and_or_b32 v2, 0x80, v2, v3
	global_store_b8 v[4:5], v2, off
.LBB81_2084:
	s_mov_b32 s1, 0
.LBB81_2085:
	s_delay_alu instid0(SALU_CYCLE_1)
	s_and_not1_b32 vcc_lo, exec_lo, s1
	s_mov_b32 s3, 0
	s_cbranch_vccnz .LBB81_2092
; %bb.2086:
	v_cmp_lt_i16_e32 vcc_lo, 14, v15
	s_mov_b32 s1, -1
	s_cbranch_vccz .LBB81_2090
; %bb.2087:
	v_cmp_eq_u16_e32 vcc_lo, 15, v15
	s_mov_b32 s0, -1
	s_cbranch_vccz .LBB81_2089
; %bb.2088:
	v_cvt_f32_f64_e32 v2, v[0:1]
	s_mov_b32 s0, 0
	s_delay_alu instid0(VALU_DEP_1) | instskip(SKIP_1) | instid1(VALU_DEP_2)
	v_bfe_u32 v3, v2, 16, 1
	v_cmp_o_f32_e32 vcc_lo, v2, v2
	v_add3_u32 v3, v2, v3, 0x7fff
	s_delay_alu instid0(VALU_DEP_1) | instskip(NEXT) | instid1(VALU_DEP_1)
	v_lshrrev_b32_e32 v3, 16, v3
	v_cndmask_b32_e32 v2, 0x7fc0, v3, vcc_lo
	global_store_b16 v[4:5], v2, off
.LBB81_2089:
	s_mov_b32 s1, 0
.LBB81_2090:
	s_delay_alu instid0(SALU_CYCLE_1)
	s_and_b32 vcc_lo, exec_lo, s1
	s_cbranch_vccz .LBB81_2092
; %bb.2091:
	v_cmp_ne_u16_e64 s0, 11, v15
	s_mov_b32 s3, -1
.LBB81_2092:
	s_delay_alu instid0(VALU_DEP_1)
	s_and_b32 vcc_lo, exec_lo, s0
	s_cbranch_vccnz .LBB81_2169
.LBB81_2093:
	s_mov_b32 s0, 0
	s_branch .LBB81_2095
.LBB81_2094:
	s_mov_b32 s0, 0
	s_mov_b32 s3, 0
                                        ; implicit-def: $vgpr4_vgpr5
                                        ; implicit-def: $vgpr15
                                        ; implicit-def: $vgpr0_vgpr1
.LBB81_2095:
	s_and_b32 s4, s0, exec_lo
	s_and_not1_b32 s0, s8, exec_lo
	s_and_b32 s1, s2, exec_lo
	s_and_b32 s26, s3, exec_lo
	s_or_b32 s8, s0, s1
.LBB81_2096:
	s_or_b32 exec_lo, exec_lo, s9
	s_and_saveexec_b32 s0, s8
	s_cbranch_execz .LBB81_2099
; %bb.2097:
	; divergent unreachable
	s_or_b32 exec_lo, exec_lo, s0
	s_and_saveexec_b32 s0, s26
	s_delay_alu instid0(SALU_CYCLE_1)
	s_xor_b32 s0, exec_lo, s0
	s_cbranch_execnz .LBB81_2100
.LBB81_2098:
	s_or_b32 exec_lo, exec_lo, s0
	s_and_saveexec_b32 s0, s4
	s_cbranch_execnz .LBB81_2101
	s_branch .LBB81_2138
.LBB81_2099:
	s_or_b32 exec_lo, exec_lo, s0
	s_and_saveexec_b32 s0, s26
	s_delay_alu instid0(SALU_CYCLE_1)
	s_xor_b32 s0, exec_lo, s0
	s_cbranch_execz .LBB81_2098
.LBB81_2100:
	s_waitcnt vmcnt(0)
	s_delay_alu instid0(VALU_DEP_1)
	v_cmp_neq_f64_e32 vcc_lo, 0, v[0:1]
	v_cndmask_b32_e64 v2, 0, 1, vcc_lo
	global_store_b8 v[4:5], v2, off
	s_or_b32 exec_lo, exec_lo, s0
	s_and_saveexec_b32 s0, s4
	s_cbranch_execz .LBB81_2138
.LBB81_2101:
	v_cmp_gt_i16_e32 vcc_lo, 5, v15
	s_mov_b32 s0, -1
	s_cbranch_vccnz .LBB81_2122
; %bb.2102:
	v_cmp_gt_i16_e32 vcc_lo, 8, v15
	s_cbranch_vccnz .LBB81_2112
; %bb.2103:
	v_cmp_gt_i16_e32 vcc_lo, 9, v15
	s_cbranch_vccnz .LBB81_2109
; %bb.2104:
	v_cmp_lt_i16_e32 vcc_lo, 9, v15
	s_cbranch_vccz .LBB81_2106
; %bb.2105:
	s_waitcnt vmcnt(0)
	v_mov_b32_e32 v2, 0
	s_mov_b32 s0, 0
	s_delay_alu instid0(VALU_DEP_1)
	v_mov_b32_e32 v3, v2
	global_store_b128 v[4:5], v[0:3], off
.LBB81_2106:
	s_and_not1_b32 vcc_lo, exec_lo, s0
	s_cbranch_vccnz .LBB81_2108
; %bb.2107:
	s_waitcnt vmcnt(0)
	v_cvt_f32_f64_e32 v2, v[0:1]
	v_mov_b32_e32 v3, 0
	global_store_b64 v[4:5], v[2:3], off
.LBB81_2108:
	s_mov_b32 s0, 0
.LBB81_2109:
	s_delay_alu instid0(SALU_CYCLE_1)
	s_and_not1_b32 vcc_lo, exec_lo, s0
	s_cbranch_vccnz .LBB81_2111
; %bb.2110:
	s_waitcnt vmcnt(0)
	v_cvt_f32_f64_e32 v2, v[0:1]
	s_delay_alu instid0(VALU_DEP_1) | instskip(NEXT) | instid1(VALU_DEP_1)
	v_cvt_f16_f32_e32 v2, v2
	v_and_b32_e32 v2, 0xffff, v2
	global_store_b32 v[4:5], v2, off
.LBB81_2111:
	s_mov_b32 s0, 0
.LBB81_2112:
	s_delay_alu instid0(SALU_CYCLE_1)
	s_and_not1_b32 vcc_lo, exec_lo, s0
	s_cbranch_vccnz .LBB81_2121
; %bb.2113:
	v_cmp_gt_i16_e32 vcc_lo, 6, v15
	s_mov_b32 s0, -1
	s_cbranch_vccnz .LBB81_2119
; %bb.2114:
	v_cmp_lt_i16_e32 vcc_lo, 6, v15
	s_cbranch_vccz .LBB81_2116
; %bb.2115:
	s_mov_b32 s0, 0
	s_waitcnt vmcnt(0)
	global_store_b64 v[4:5], v[0:1], off
.LBB81_2116:
	s_and_not1_b32 vcc_lo, exec_lo, s0
	s_cbranch_vccnz .LBB81_2118
; %bb.2117:
	s_waitcnt vmcnt(0)
	v_cvt_f32_f64_e32 v2, v[0:1]
	global_store_b32 v[4:5], v2, off
.LBB81_2118:
	s_mov_b32 s0, 0
.LBB81_2119:
	s_delay_alu instid0(SALU_CYCLE_1)
	s_and_not1_b32 vcc_lo, exec_lo, s0
	s_cbranch_vccnz .LBB81_2121
; %bb.2120:
	s_waitcnt vmcnt(0)
	v_cvt_f32_f64_e32 v2, v[0:1]
	s_delay_alu instid0(VALU_DEP_1)
	v_cvt_f16_f32_e32 v2, v2
	global_store_b16 v[4:5], v2, off
.LBB81_2121:
	s_mov_b32 s0, 0
.LBB81_2122:
	s_delay_alu instid0(SALU_CYCLE_1)
	s_and_not1_b32 vcc_lo, exec_lo, s0
	s_cbranch_vccnz .LBB81_2138
; %bb.2123:
	v_cmp_gt_i16_e32 vcc_lo, 2, v15
	s_mov_b32 s0, -1
	s_cbranch_vccnz .LBB81_2133
; %bb.2124:
	v_cmp_gt_i16_e32 vcc_lo, 3, v15
	s_cbranch_vccnz .LBB81_2130
; %bb.2125:
	v_cmp_lt_i16_e32 vcc_lo, 3, v15
	s_cbranch_vccz .LBB81_2127
; %bb.2126:
	s_waitcnt vmcnt(0)
	v_trunc_f64_e32 v[2:3], v[0:1]
	s_mov_b32 s0, 0
	s_delay_alu instid0(VALU_DEP_1) | instskip(NEXT) | instid1(VALU_DEP_1)
	v_ldexp_f64 v[6:7], v[2:3], 0xffffffe0
	v_floor_f64_e32 v[6:7], v[6:7]
	s_delay_alu instid0(VALU_DEP_1) | instskip(SKIP_1) | instid1(VALU_DEP_2)
	v_fma_f64 v[2:3], 0xc1f00000, v[6:7], v[2:3]
	v_cvt_i32_f64_e32 v7, v[6:7]
	v_cvt_u32_f64_e32 v6, v[2:3]
	global_store_b64 v[4:5], v[6:7], off
.LBB81_2127:
	s_and_not1_b32 vcc_lo, exec_lo, s0
	s_cbranch_vccnz .LBB81_2129
; %bb.2128:
	s_waitcnt vmcnt(0)
	v_cvt_i32_f64_e32 v2, v[0:1]
	global_store_b32 v[4:5], v2, off
.LBB81_2129:
	s_mov_b32 s0, 0
.LBB81_2130:
	s_delay_alu instid0(SALU_CYCLE_1)
	s_and_not1_b32 vcc_lo, exec_lo, s0
	s_cbranch_vccnz .LBB81_2132
; %bb.2131:
	s_waitcnt vmcnt(0)
	v_cvt_i32_f64_e32 v2, v[0:1]
	global_store_b16 v[4:5], v2, off
.LBB81_2132:
	s_mov_b32 s0, 0
.LBB81_2133:
	s_delay_alu instid0(SALU_CYCLE_1)
	s_and_not1_b32 vcc_lo, exec_lo, s0
	s_cbranch_vccnz .LBB81_2138
; %bb.2134:
	v_cmp_lt_i16_e32 vcc_lo, 0, v15
	s_mov_b32 s0, -1
	s_cbranch_vccz .LBB81_2136
; %bb.2135:
	s_waitcnt vmcnt(0)
	v_cvt_i32_f64_e32 v2, v[0:1]
	s_mov_b32 s0, 0
	global_store_b8 v[4:5], v2, off
.LBB81_2136:
	s_and_not1_b32 vcc_lo, exec_lo, s0
	s_cbranch_vccnz .LBB81_2138
; %bb.2137:
	s_waitcnt vmcnt(0)
	v_trunc_f64_e32 v[0:1], v[0:1]
	s_delay_alu instid0(VALU_DEP_1) | instskip(NEXT) | instid1(VALU_DEP_1)
	v_ldexp_f64 v[2:3], v[0:1], 0xffffffe0
	v_floor_f64_e32 v[2:3], v[2:3]
	s_delay_alu instid0(VALU_DEP_1) | instskip(NEXT) | instid1(VALU_DEP_1)
	v_fma_f64 v[0:1], 0xc1f00000, v[2:3], v[0:1]
	v_cvt_u32_f64_e32 v0, v[0:1]
	global_store_b8 v[4:5], v0, off
	s_nop 0
	s_sendmsg sendmsg(MSG_DEALLOC_VGPRS)
	s_endpgm
.LBB81_2138:
	s_nop 0
	s_sendmsg sendmsg(MSG_DEALLOC_VGPRS)
	s_endpgm
.LBB81_2139:
	s_cbranch_execnz .LBB81_2143
; %bb.2140:
	s_or_b32 s2, s2, exec_lo
                                        ; implicit-def: $vgpr7_vgpr8
	s_cbranch_execz .LBB81_1612
	s_branch .LBB81_1613
.LBB81_2141:
	s_or_saveexec_b32 s7, s7
                                        ; implicit-def: $sgpr10
	s_delay_alu instid0(SALU_CYCLE_1)
	s_xor_b32 exec_lo, exec_lo, s7
	s_cbranch_execz .LBB81_1692
.LBB81_2142:
	v_add_f32_e64 v3, 0x46000000, |v2|
	s_and_not1_b32 s6, s6, exec_lo
	s_mov_b32 s10, 0
	s_delay_alu instid0(VALU_DEP_1) | instskip(NEXT) | instid1(VALU_DEP_1)
	v_and_b32_e32 v3, 0xff, v3
	v_cmp_ne_u32_e32 vcc_lo, 0, v3
	s_and_b32 s11, vcc_lo, exec_lo
	s_delay_alu instid0(SALU_CYCLE_1)
	s_or_b32 s6, s6, s11
	s_or_b32 exec_lo, exec_lo, s7
	v_mov_b32_e32 v16, s10
	s_and_saveexec_b32 s7, s6
	s_cbranch_execnz .LBB81_1693
	s_branch .LBB81_1694
.LBB81_2143:
	s_trap 2
	s_sendmsg_rtn_b32 s0, sendmsg(MSG_RTN_GET_DOORBELL)
	s_mov_b32 ttmp2, m0
	s_waitcnt lgkmcnt(0)
	s_and_b32 s0, s0, 0x3ff
	s_delay_alu instid0(SALU_CYCLE_1) | instskip(NEXT) | instid1(SALU_CYCLE_1)
	s_bitset1_b32 s0, 10
	s_mov_b32 m0, s0
	s_sendmsg sendmsg(MSG_INTERRUPT)
	s_mov_b32 m0, ttmp2
.LBB81_2144:                            ; =>This Inner Loop Header: Depth=1
	s_sethalt 5
	s_branch .LBB81_2144
.LBB81_2145:
	s_cbranch_execnz .LBB81_2151
; %bb.2146:
	s_or_b32 s2, s2, exec_lo
	s_cbranch_execz .LBB81_1740
	s_branch .LBB81_1741
.LBB81_2147:
	s_or_saveexec_b32 s6, s6
                                        ; implicit-def: $sgpr7
	s_delay_alu instid0(SALU_CYCLE_1)
	s_xor_b32 exec_lo, exec_lo, s6
	s_cbranch_execz .LBB81_1705
.LBB81_2148:
	v_add_f32_e64 v3, 0x42800000, |v2|
	s_and_not1_b32 s3, s3, exec_lo
	s_mov_b32 s7, 0
	s_delay_alu instid0(VALU_DEP_1) | instskip(NEXT) | instid1(VALU_DEP_1)
	v_and_b32_e32 v3, 0xff, v3
	v_cmp_ne_u32_e32 vcc_lo, 0, v3
	s_and_b32 s10, vcc_lo, exec_lo
	s_delay_alu instid0(SALU_CYCLE_1)
	s_or_b32 s3, s3, s10
	s_or_b32 exec_lo, exec_lo, s6
	v_mov_b32_e32 v16, s7
	s_and_saveexec_b32 s6, s3
	s_cbranch_execnz .LBB81_1706
	s_branch .LBB81_1707
.LBB81_2149:
	s_or_saveexec_b32 s7, s7
                                        ; implicit-def: $sgpr10
	s_delay_alu instid0(SALU_CYCLE_1)
	s_xor_b32 exec_lo, exec_lo, s7
	s_cbranch_execz .LBB81_1810
.LBB81_2150:
	v_add_f32_e64 v3, 0x46000000, |v2|
	s_and_not1_b32 s6, s6, exec_lo
	s_mov_b32 s10, 0
	s_delay_alu instid0(VALU_DEP_1) | instskip(NEXT) | instid1(VALU_DEP_1)
	v_and_b32_e32 v3, 0xff, v3
	v_cmp_ne_u32_e32 vcc_lo, 0, v3
	s_and_b32 s11, vcc_lo, exec_lo
	s_delay_alu instid0(SALU_CYCLE_1)
	s_or_b32 s6, s6, s11
	s_or_b32 exec_lo, exec_lo, s7
	v_mov_b32_e32 v6, s10
	s_and_saveexec_b32 s7, s6
	s_cbranch_execnz .LBB81_1811
	s_branch .LBB81_1812
.LBB81_2151:
	s_trap 2
	s_sendmsg_rtn_b32 s0, sendmsg(MSG_RTN_GET_DOORBELL)
	s_mov_b32 ttmp2, m0
	s_waitcnt lgkmcnt(0)
	s_and_b32 s0, s0, 0x3ff
	s_delay_alu instid0(SALU_CYCLE_1) | instskip(NEXT) | instid1(SALU_CYCLE_1)
	s_bitset1_b32 s0, 10
	s_mov_b32 m0, s0
	s_sendmsg sendmsg(MSG_INTERRUPT)
	s_mov_b32 m0, ttmp2
.LBB81_2152:                            ; =>This Inner Loop Header: Depth=1
	s_sethalt 5
	s_branch .LBB81_2152
.LBB81_2153:
	s_cbranch_execnz .LBB81_2159
; %bb.2154:
	s_or_b32 s2, s2, exec_lo
	s_cbranch_execz .LBB81_1858
	s_branch .LBB81_1859
.LBB81_2155:
	s_or_saveexec_b32 s6, s6
                                        ; implicit-def: $sgpr7
	s_delay_alu instid0(SALU_CYCLE_1)
	s_xor_b32 exec_lo, exec_lo, s6
	s_cbranch_execz .LBB81_1823
.LBB81_2156:
	v_add_f32_e64 v3, 0x42800000, |v2|
	s_and_not1_b32 s3, s3, exec_lo
	s_mov_b32 s7, 0
	s_delay_alu instid0(VALU_DEP_1) | instskip(NEXT) | instid1(VALU_DEP_1)
	v_and_b32_e32 v3, 0xff, v3
	v_cmp_ne_u32_e32 vcc_lo, 0, v3
	s_and_b32 s10, vcc_lo, exec_lo
	s_delay_alu instid0(SALU_CYCLE_1)
	s_or_b32 s3, s3, s10
	s_or_b32 exec_lo, exec_lo, s6
	v_mov_b32_e32 v6, s7
	s_and_saveexec_b32 s6, s3
	s_cbranch_execnz .LBB81_1824
	s_branch .LBB81_1825
.LBB81_2157:
	s_or_saveexec_b32 s7, s7
                                        ; implicit-def: $sgpr10
	s_delay_alu instid0(SALU_CYCLE_1)
	s_xor_b32 exec_lo, exec_lo, s7
	s_cbranch_execz .LBB81_1928
.LBB81_2158:
	v_add_f32_e64 v3, 0x46000000, |v2|
	s_and_not1_b32 s6, s6, exec_lo
	s_mov_b32 s10, 0
	s_delay_alu instid0(VALU_DEP_1) | instskip(NEXT) | instid1(VALU_DEP_1)
	v_and_b32_e32 v3, 0xff, v3
	v_cmp_ne_u32_e32 vcc_lo, 0, v3
	s_and_b32 s11, vcc_lo, exec_lo
	s_delay_alu instid0(SALU_CYCLE_1)
	s_or_b32 s6, s6, s11
	s_or_b32 exec_lo, exec_lo, s7
	v_mov_b32_e32 v9, s10
	s_and_saveexec_b32 s7, s6
	s_cbranch_execnz .LBB81_1929
	s_branch .LBB81_1930
.LBB81_2159:
	s_trap 2
	s_sendmsg_rtn_b32 s0, sendmsg(MSG_RTN_GET_DOORBELL)
	s_mov_b32 ttmp2, m0
	s_waitcnt lgkmcnt(0)
	s_and_b32 s0, s0, 0x3ff
	s_delay_alu instid0(SALU_CYCLE_1) | instskip(NEXT) | instid1(SALU_CYCLE_1)
	s_bitset1_b32 s0, 10
	s_mov_b32 m0, s0
	s_sendmsg sendmsg(MSG_INTERRUPT)
	s_mov_b32 m0, ttmp2
.LBB81_2160:                            ; =>This Inner Loop Header: Depth=1
	s_sethalt 5
	s_branch .LBB81_2160
.LBB81_2161:
	s_cbranch_execnz .LBB81_2167
; %bb.2162:
	s_or_b32 s2, s2, exec_lo
	s_cbranch_execz .LBB81_1976
	s_branch .LBB81_1977
.LBB81_2163:
	s_or_saveexec_b32 s6, s6
                                        ; implicit-def: $sgpr7
	s_delay_alu instid0(SALU_CYCLE_1)
	s_xor_b32 exec_lo, exec_lo, s6
	s_cbranch_execz .LBB81_1941
.LBB81_2164:
	v_add_f32_e64 v3, 0x42800000, |v2|
	s_and_not1_b32 s3, s3, exec_lo
	s_mov_b32 s7, 0
	s_delay_alu instid0(VALU_DEP_1) | instskip(NEXT) | instid1(VALU_DEP_1)
	v_and_b32_e32 v3, 0xff, v3
	v_cmp_ne_u32_e32 vcc_lo, 0, v3
	s_and_b32 s10, vcc_lo, exec_lo
	s_delay_alu instid0(SALU_CYCLE_1)
	s_or_b32 s3, s3, s10
	s_or_b32 exec_lo, exec_lo, s6
	v_mov_b32_e32 v9, s7
	s_and_saveexec_b32 s6, s3
	s_cbranch_execnz .LBB81_1942
	s_branch .LBB81_1943
.LBB81_2165:
	s_or_saveexec_b32 s5, s5
                                        ; implicit-def: $sgpr6
	s_delay_alu instid0(SALU_CYCLE_1)
	s_xor_b32 exec_lo, exec_lo, s5
	s_cbranch_execz .LBB81_2047
.LBB81_2166:
	v_add_f32_e64 v3, 0x46000000, |v2|
	s_and_not1_b32 s4, s4, exec_lo
	s_mov_b32 s6, 0
	s_delay_alu instid0(VALU_DEP_1) | instskip(NEXT) | instid1(VALU_DEP_1)
	v_and_b32_e32 v3, 0xff, v3
	v_cmp_ne_u32_e32 vcc_lo, 0, v3
	s_and_b32 s7, vcc_lo, exec_lo
	s_delay_alu instid0(SALU_CYCLE_1)
	s_or_b32 s4, s4, s7
	s_or_b32 exec_lo, exec_lo, s5
	v_mov_b32_e32 v6, s6
	s_and_saveexec_b32 s5, s4
	s_cbranch_execnz .LBB81_2048
	s_branch .LBB81_2049
.LBB81_2167:
	s_trap 2
	s_sendmsg_rtn_b32 s0, sendmsg(MSG_RTN_GET_DOORBELL)
	s_mov_b32 ttmp2, m0
	s_waitcnt lgkmcnt(0)
	s_and_b32 s0, s0, 0x3ff
	s_delay_alu instid0(SALU_CYCLE_1) | instskip(NEXT) | instid1(SALU_CYCLE_1)
	s_bitset1_b32 s0, 10
	s_mov_b32 m0, s0
	s_sendmsg sendmsg(MSG_INTERRUPT)
	s_mov_b32 m0, ttmp2
.LBB81_2168:                            ; =>This Inner Loop Header: Depth=1
	s_sethalt 5
	s_branch .LBB81_2168
.LBB81_2169:
	s_cbranch_execnz .LBB81_2173
; %bb.2170:
	s_mov_b32 s3, 0
	s_or_b32 s2, s2, exec_lo
	s_branch .LBB81_2093
.LBB81_2171:
	s_or_saveexec_b32 s4, s4
                                        ; implicit-def: $sgpr5
	s_delay_alu instid0(SALU_CYCLE_1)
	s_xor_b32 exec_lo, exec_lo, s4
	s_cbranch_execz .LBB81_2059
.LBB81_2172:
	v_add_f32_e64 v3, 0x42800000, |v2|
	s_and_not1_b32 s3, s3, exec_lo
	s_mov_b32 s5, 0
	s_delay_alu instid0(VALU_DEP_1) | instskip(NEXT) | instid1(VALU_DEP_1)
	v_and_b32_e32 v3, 0xff, v3
	v_cmp_ne_u32_e32 vcc_lo, 0, v3
	s_and_b32 s6, vcc_lo, exec_lo
	s_delay_alu instid0(SALU_CYCLE_1)
	s_or_b32 s3, s3, s6
	s_or_b32 exec_lo, exec_lo, s4
	v_mov_b32_e32 v6, s5
	s_and_saveexec_b32 s4, s3
	s_cbranch_execnz .LBB81_2060
	s_branch .LBB81_2061
.LBB81_2173:
	s_trap 2
	s_sendmsg_rtn_b32 s0, sendmsg(MSG_RTN_GET_DOORBELL)
	s_mov_b32 ttmp2, m0
	s_waitcnt lgkmcnt(0)
	s_and_b32 s0, s0, 0x3ff
	s_delay_alu instid0(SALU_CYCLE_1) | instskip(NEXT) | instid1(SALU_CYCLE_1)
	s_bitset1_b32 s0, 10
	s_mov_b32 m0, s0
	s_sendmsg sendmsg(MSG_INTERRUPT)
	s_mov_b32 m0, ttmp2
.LBB81_2174:                            ; =>This Inner Loop Header: Depth=1
	s_sethalt 5
	s_branch .LBB81_2174
	.section	.rodata,"a",@progbits
	.p2align	6, 0x0
	.amdhsa_kernel _ZN2at6native32elementwise_kernel_manual_unrollILi128ELi4EZNS0_15gpu_kernel_implIZZZNS0_15exp_kernel_cudaERNS_18TensorIteratorBaseEENKUlvE0_clEvENKUlvE_clEvEUldE_EEvS4_RKT_EUlibE0_EEviT1_
		.amdhsa_group_segment_fixed_size 0
		.amdhsa_private_segment_fixed_size 0
		.amdhsa_kernarg_size 360
		.amdhsa_user_sgpr_count 15
		.amdhsa_user_sgpr_dispatch_ptr 0
		.amdhsa_user_sgpr_queue_ptr 0
		.amdhsa_user_sgpr_kernarg_segment_ptr 1
		.amdhsa_user_sgpr_dispatch_id 0
		.amdhsa_user_sgpr_private_segment_size 0
		.amdhsa_wavefront_size32 1
		.amdhsa_uses_dynamic_stack 0
		.amdhsa_enable_private_segment 0
		.amdhsa_system_sgpr_workgroup_id_x 1
		.amdhsa_system_sgpr_workgroup_id_y 0
		.amdhsa_system_sgpr_workgroup_id_z 0
		.amdhsa_system_sgpr_workgroup_info 0
		.amdhsa_system_vgpr_workitem_id 0
		.amdhsa_next_free_vgpr 19
		.amdhsa_next_free_sgpr 68
		.amdhsa_reserve_vcc 1
		.amdhsa_float_round_mode_32 0
		.amdhsa_float_round_mode_16_64 0
		.amdhsa_float_denorm_mode_32 3
		.amdhsa_float_denorm_mode_16_64 3
		.amdhsa_dx10_clamp 1
		.amdhsa_ieee_mode 1
		.amdhsa_fp16_overflow 0
		.amdhsa_workgroup_processor_mode 1
		.amdhsa_memory_ordered 1
		.amdhsa_forward_progress 0
		.amdhsa_shared_vgpr_count 0
		.amdhsa_exception_fp_ieee_invalid_op 0
		.amdhsa_exception_fp_denorm_src 0
		.amdhsa_exception_fp_ieee_div_zero 0
		.amdhsa_exception_fp_ieee_overflow 0
		.amdhsa_exception_fp_ieee_underflow 0
		.amdhsa_exception_fp_ieee_inexact 0
		.amdhsa_exception_int_div_zero 0
	.end_amdhsa_kernel
	.section	.text._ZN2at6native32elementwise_kernel_manual_unrollILi128ELi4EZNS0_15gpu_kernel_implIZZZNS0_15exp_kernel_cudaERNS_18TensorIteratorBaseEENKUlvE0_clEvENKUlvE_clEvEUldE_EEvS4_RKT_EUlibE0_EEviT1_,"axG",@progbits,_ZN2at6native32elementwise_kernel_manual_unrollILi128ELi4EZNS0_15gpu_kernel_implIZZZNS0_15exp_kernel_cudaERNS_18TensorIteratorBaseEENKUlvE0_clEvENKUlvE_clEvEUldE_EEvS4_RKT_EUlibE0_EEviT1_,comdat
.Lfunc_end81:
	.size	_ZN2at6native32elementwise_kernel_manual_unrollILi128ELi4EZNS0_15gpu_kernel_implIZZZNS0_15exp_kernel_cudaERNS_18TensorIteratorBaseEENKUlvE0_clEvENKUlvE_clEvEUldE_EEvS4_RKT_EUlibE0_EEviT1_, .Lfunc_end81-_ZN2at6native32elementwise_kernel_manual_unrollILi128ELi4EZNS0_15gpu_kernel_implIZZZNS0_15exp_kernel_cudaERNS_18TensorIteratorBaseEENKUlvE0_clEvENKUlvE_clEvEUldE_EEvS4_RKT_EUlibE0_EEviT1_
                                        ; -- End function
	.section	.AMDGPU.csdata,"",@progbits
; Kernel info:
; codeLenInByte = 44684
; NumSgprs: 70
; NumVgprs: 19
; ScratchSize: 0
; MemoryBound: 1
; FloatMode: 240
; IeeeMode: 1
; LDSByteSize: 0 bytes/workgroup (compile time only)
; SGPRBlocks: 8
; VGPRBlocks: 2
; NumSGPRsForWavesPerEU: 70
; NumVGPRsForWavesPerEU: 19
; Occupancy: 16
; WaveLimiterHint : 1
; COMPUTE_PGM_RSRC2:SCRATCH_EN: 0
; COMPUTE_PGM_RSRC2:USER_SGPR: 15
; COMPUTE_PGM_RSRC2:TRAP_HANDLER: 0
; COMPUTE_PGM_RSRC2:TGID_X_EN: 1
; COMPUTE_PGM_RSRC2:TGID_Y_EN: 0
; COMPUTE_PGM_RSRC2:TGID_Z_EN: 0
; COMPUTE_PGM_RSRC2:TIDIG_COMP_CNT: 0
	.section	.text._ZN2at6native29vectorized_elementwise_kernelILi16EZZZNS0_15exp_kernel_cudaERNS_18TensorIteratorBaseEENKUlvE0_clEvENKUlvE0_clEvEUlfE_St5arrayIPcLm2EEEEviT0_T1_,"axG",@progbits,_ZN2at6native29vectorized_elementwise_kernelILi16EZZZNS0_15exp_kernel_cudaERNS_18TensorIteratorBaseEENKUlvE0_clEvENKUlvE0_clEvEUlfE_St5arrayIPcLm2EEEEviT0_T1_,comdat
	.globl	_ZN2at6native29vectorized_elementwise_kernelILi16EZZZNS0_15exp_kernel_cudaERNS_18TensorIteratorBaseEENKUlvE0_clEvENKUlvE0_clEvEUlfE_St5arrayIPcLm2EEEEviT0_T1_ ; -- Begin function _ZN2at6native29vectorized_elementwise_kernelILi16EZZZNS0_15exp_kernel_cudaERNS_18TensorIteratorBaseEENKUlvE0_clEvENKUlvE0_clEvEUlfE_St5arrayIPcLm2EEEEviT0_T1_
	.p2align	8
	.type	_ZN2at6native29vectorized_elementwise_kernelILi16EZZZNS0_15exp_kernel_cudaERNS_18TensorIteratorBaseEENKUlvE0_clEvENKUlvE0_clEvEUlfE_St5arrayIPcLm2EEEEviT0_T1_,@function
_ZN2at6native29vectorized_elementwise_kernelILi16EZZZNS0_15exp_kernel_cudaERNS_18TensorIteratorBaseEENKUlvE0_clEvENKUlvE0_clEvEUlfE_St5arrayIPcLm2EEEEviT0_T1_: ; @_ZN2at6native29vectorized_elementwise_kernelILi16EZZZNS0_15exp_kernel_cudaERNS_18TensorIteratorBaseEENKUlvE0_clEvENKUlvE0_clEvEUlfE_St5arrayIPcLm2EEEEviT0_T1_
; %bb.0:
	s_clause 0x1
	s_load_b32 s3, s[0:1], 0x0
	s_load_b128 s[4:7], s[0:1], 0x8
	s_lshl_b32 s2, s15, 10
	s_mov_b32 s0, -1
	s_waitcnt lgkmcnt(0)
	s_sub_i32 s1, s3, s2
	s_delay_alu instid0(SALU_CYCLE_1)
	s_cmpk_gt_i32 s1, 0x3ff
	s_cbranch_scc0 .LBB82_2
; %bb.1:
	s_ashr_i32 s3, s2, 31
	v_lshlrev_b32_e32 v5, 4, v0
	s_lshl_b64 s[8:9], s[2:3], 2
	s_mov_b32 s0, 0
	s_add_u32 s10, s6, s8
	s_addc_u32 s11, s7, s9
	s_add_u32 s8, s4, s8
	global_load_b128 v[1:4], v5, s[10:11]
	s_addc_u32 s9, s5, s9
	s_waitcnt vmcnt(0)
	v_dual_mul_f32 v6, 0x3fb8aa3b, v1 :: v_dual_mul_f32 v7, 0x3fb8aa3b, v2
	v_mul_f32_e32 v8, 0x3fb8aa3b, v3
	v_cmp_ngt_f32_e32 vcc_lo, 0xc2ce8ed0, v1
	s_delay_alu instid0(VALU_DEP_3)
	v_fma_f32 v10, 0x3fb8aa3b, v1, -v6
	v_rndne_f32_e32 v11, v6
	v_fma_f32 v12, 0x3fb8aa3b, v2, -v7
	v_rndne_f32_e32 v13, v7
	v_mul_f32_e32 v9, 0x3fb8aa3b, v4
	v_fma_f32 v14, 0x3fb8aa3b, v3, -v8
	v_sub_f32_e32 v6, v6, v11
	s_delay_alu instid0(VALU_DEP_4) | instskip(SKIP_4) | instid1(VALU_DEP_4)
	v_dual_fmac_f32 v12, 0x32a5705f, v2 :: v_dual_sub_f32 v7, v7, v13
	v_fmac_f32_e32 v10, 0x32a5705f, v1
	v_rndne_f32_e32 v15, v8
	v_fma_f32 v16, 0x3fb8aa3b, v4, -v9
	v_rndne_f32_e32 v17, v9
	v_dual_add_f32 v7, v7, v12 :: v_dual_add_f32 v6, v6, v10
	v_cvt_i32_f32_e32 v10, v11
	v_cvt_i32_f32_e32 v11, v13
	s_delay_alu instid0(VALU_DEP_4) | instskip(NEXT) | instid1(VALU_DEP_4)
	v_dual_fmac_f32 v14, 0x32a5705f, v3 :: v_dual_sub_f32 v9, v9, v17
	v_exp_f32_e32 v6, v6
	v_exp_f32_e32 v7, v7
	v_cvt_i32_f32_e32 v12, v15
	v_cvt_i32_f32_e32 v13, v17
	s_waitcnt_depctr 0xfff
	v_ldexp_f32 v6, v6, v10
	v_ldexp_f32 v7, v7, v11
	s_delay_alu instid0(VALU_DEP_2) | instskip(SKIP_1) | instid1(VALU_DEP_3)
	v_cndmask_b32_e32 v6, 0, v6, vcc_lo
	v_cmp_ngt_f32_e32 vcc_lo, 0xc2ce8ed0, v2
	v_dual_fmac_f32 v16, 0x32a5705f, v4 :: v_dual_cndmask_b32 v7, 0, v7
	s_delay_alu instid0(VALU_DEP_1) | instskip(SKIP_1) | instid1(VALU_DEP_2)
	v_dual_sub_f32 v8, v8, v15 :: v_dual_add_f32 v9, v9, v16
	v_cmp_ngt_f32_e32 vcc_lo, 0xc2ce8ed0, v3
	v_add_f32_e32 v8, v8, v14
	s_delay_alu instid0(VALU_DEP_3) | instskip(NEXT) | instid1(VALU_DEP_1)
	v_exp_f32_e32 v9, v9
	v_exp_f32_e32 v8, v8
	s_waitcnt_depctr 0xfff
	v_ldexp_f32 v9, v9, v13
	v_ldexp_f32 v8, v8, v12
	s_delay_alu instid0(VALU_DEP_1) | instskip(SKIP_1) | instid1(VALU_DEP_4)
	v_cndmask_b32_e32 v8, 0, v8, vcc_lo
	v_cmp_ngt_f32_e32 vcc_lo, 0xc2ce8ed0, v4
	v_cndmask_b32_e32 v9, 0, v9, vcc_lo
	v_cmp_nlt_f32_e32 vcc_lo, 0x42b17218, v1
	v_cndmask_b32_e32 v1, 0x7f800000, v6, vcc_lo
	v_cmp_nlt_f32_e32 vcc_lo, 0x42b17218, v2
	;; [unrolled: 2-line block ×4, first 2 shown]
	v_cndmask_b32_e32 v4, 0x7f800000, v9, vcc_lo
	global_store_b128 v5, v[1:4], s[8:9]
.LBB82_2:
	s_and_not1_b32 vcc_lo, exec_lo, s0
	s_cbranch_vccnz .LBB82_16
; %bb.3:
	v_cmp_gt_i32_e32 vcc_lo, s1, v0
	v_dual_mov_b32 v4, 0 :: v_dual_mov_b32 v7, v0
	v_or_b32_e32 v1, s2, v0
	v_or_b32_e32 v3, 0x100, v0
	v_mov_b32_e32 v2, 0
	s_and_saveexec_b32 s3, vcc_lo
	s_cbranch_execz .LBB82_5
; %bb.4:
	v_mov_b32_e32 v2, 0
	v_or_b32_e32 v7, 0x100, v0
	s_delay_alu instid0(VALU_DEP_2) | instskip(NEXT) | instid1(VALU_DEP_1)
	v_lshlrev_b64 v[5:6], 2, v[1:2]
	v_add_co_u32 v5, s0, s6, v5
	s_delay_alu instid0(VALU_DEP_1)
	v_add_co_ci_u32_e64 v6, s0, s7, v6, s0
	global_load_b32 v2, v[5:6], off
.LBB82_5:
	s_or_b32 exec_lo, exec_lo, s3
	s_delay_alu instid0(SALU_CYCLE_1)
	s_mov_b32 s3, exec_lo
	v_cmpx_gt_i32_e64 s1, v7
	s_cbranch_execz .LBB82_7
; %bb.6:
	v_dual_mov_b32 v5, 0 :: v_dual_add_nc_u32 v4, s2, v7
	v_add_nc_u32_e32 v7, 0x100, v7
	s_delay_alu instid0(VALU_DEP_2) | instskip(NEXT) | instid1(VALU_DEP_1)
	v_lshlrev_b64 v[4:5], 2, v[4:5]
	v_add_co_u32 v4, s0, s6, v4
	s_delay_alu instid0(VALU_DEP_1)
	v_add_co_ci_u32_e64 v5, s0, s7, v5, s0
	global_load_b32 v4, v[4:5], off
.LBB82_7:
	s_or_b32 exec_lo, exec_lo, s3
	v_dual_mov_b32 v5, 0 :: v_dual_mov_b32 v6, 0
	s_mov_b32 s3, exec_lo
	v_cmpx_gt_i32_e64 s1, v7
	s_cbranch_execz .LBB82_9
; %bb.8:
	v_dual_mov_b32 v9, 0 :: v_dual_add_nc_u32 v8, s2, v7
	v_add_nc_u32_e32 v7, 0x100, v7
	s_delay_alu instid0(VALU_DEP_2) | instskip(NEXT) | instid1(VALU_DEP_1)
	v_lshlrev_b64 v[8:9], 2, v[8:9]
	v_add_co_u32 v8, s0, s6, v8
	s_delay_alu instid0(VALU_DEP_1)
	v_add_co_ci_u32_e64 v9, s0, s7, v9, s0
	global_load_b32 v6, v[8:9], off
.LBB82_9:
	s_or_b32 exec_lo, exec_lo, s3
	s_delay_alu instid0(SALU_CYCLE_1)
	s_mov_b32 s3, exec_lo
	v_cmpx_gt_i32_e64 s1, v7
	s_cbranch_execz .LBB82_11
; %bb.10:
	v_dual_mov_b32 v8, 0 :: v_dual_add_nc_u32 v7, s2, v7
	s_delay_alu instid0(VALU_DEP_1) | instskip(NEXT) | instid1(VALU_DEP_1)
	v_lshlrev_b64 v[7:8], 2, v[7:8]
	v_add_co_u32 v7, s0, s6, v7
	s_delay_alu instid0(VALU_DEP_1)
	v_add_co_ci_u32_e64 v8, s0, s7, v8, s0
	global_load_b32 v5, v[7:8], off
.LBB82_11:
	s_or_b32 exec_lo, exec_lo, s3
	s_waitcnt vmcnt(0)
	v_dual_mul_f32 v7, 0x3fb8aa3b, v2 :: v_dual_mul_f32 v8, 0x3fb8aa3b, v4
	v_dual_mul_f32 v9, 0x3fb8aa3b, v6 :: v_dual_mul_f32 v10, 0x3fb8aa3b, v5
	v_cmp_ngt_f32_e64 s0, 0xc2ce8ed0, v2
	s_delay_alu instid0(VALU_DEP_3) | instskip(SKIP_4) | instid1(VALU_DEP_4)
	v_rndne_f32_e32 v11, v7
	v_fma_f32 v12, 0x3fb8aa3b, v2, -v7
	v_rndne_f32_e32 v13, v8
	v_fma_f32 v14, 0x3fb8aa3b, v4, -v8
	v_rndne_f32_e32 v15, v9
	v_dual_sub_f32 v7, v7, v11 :: v_dual_fmac_f32 v12, 0x32a5705f, v2
	s_delay_alu instid0(VALU_DEP_4) | instskip(SKIP_1) | instid1(VALU_DEP_4)
	v_sub_f32_e32 v8, v8, v13
	v_fma_f32 v16, 0x3fb8aa3b, v6, -v9
	v_dual_fmac_f32 v14, 0x32a5705f, v4 :: v_dual_sub_f32 v9, v9, v15
	s_delay_alu instid0(VALU_DEP_4)
	v_add_f32_e32 v7, v7, v12
	v_rndne_f32_e32 v17, v10
	v_fma_f32 v18, 0x3fb8aa3b, v5, -v10
	v_fmac_f32_e32 v16, 0x32a5705f, v6
	v_add_f32_e32 v8, v8, v14
	v_exp_f32_e32 v7, v7
	v_cvt_i32_f32_e32 v11, v11
	s_delay_alu instid0(VALU_DEP_3) | instskip(SKIP_3) | instid1(VALU_DEP_3)
	v_dual_sub_f32 v10, v10, v17 :: v_dual_add_f32 v9, v9, v16
	v_fmac_f32_e32 v18, 0x32a5705f, v5
	v_exp_f32_e32 v8, v8
	v_cvt_i32_f32_e32 v12, v15
	v_exp_f32_e32 v9, v9
	s_delay_alu instid0(VALU_DEP_2) | instskip(NEXT) | instid1(TRANS32_DEP_3)
	v_add_f32_e32 v10, v10, v18
	v_ldexp_f32 v7, v7, v11
	v_cvt_i32_f32_e32 v11, v13
	v_cvt_i32_f32_e32 v13, v17
	s_delay_alu instid0(VALU_DEP_4) | instskip(NEXT) | instid1(VALU_DEP_3)
	v_exp_f32_e32 v10, v10
	v_cndmask_b32_e64 v7, 0, v7, s0
	v_cmp_nlt_f32_e64 s0, 0x42b17218, v2
	v_ldexp_f32 v11, v8, v11
	s_delay_alu instid0(TRANS32_DEP_2) | instskip(NEXT) | instid1(VALU_DEP_3)
	v_ldexp_f32 v9, v9, v12
	v_cndmask_b32_e64 v8, 0x7f800000, v7, s0
	v_cmp_ngt_f32_e64 s0, 0xc2ce8ed0, v4
	s_delay_alu instid0(TRANS32_DEP_1) | instskip(NEXT) | instid1(VALU_DEP_2)
	v_ldexp_f32 v10, v10, v13
	v_cndmask_b32_e64 v2, 0, v11, s0
	v_cmp_ngt_f32_e64 s0, 0xc2ce8ed0, v6
	s_delay_alu instid0(VALU_DEP_1) | instskip(SKIP_1) | instid1(VALU_DEP_1)
	v_cndmask_b32_e64 v9, 0, v9, s0
	v_cmp_ngt_f32_e64 s0, 0xc2ce8ed0, v5
	v_cndmask_b32_e64 v10, 0, v10, s0
	v_cmp_nlt_f32_e64 s0, 0x42b17218, v4
	s_delay_alu instid0(VALU_DEP_1) | instskip(SKIP_1) | instid1(VALU_DEP_1)
	v_cndmask_b32_e64 v7, 0x7f800000, v2, s0
	v_cmp_nlt_f32_e64 s0, 0x42b17218, v6
	v_cndmask_b32_e64 v6, 0x7f800000, v9, s0
	v_cmp_nlt_f32_e64 s0, 0x42b17218, v5
	s_delay_alu instid0(VALU_DEP_1)
	v_cndmask_b32_e64 v4, 0x7f800000, v10, s0
	s_and_saveexec_b32 s0, vcc_lo
	s_cbranch_execnz .LBB82_17
; %bb.12:
	s_or_b32 exec_lo, exec_lo, s0
	s_delay_alu instid0(SALU_CYCLE_1)
	s_mov_b32 s0, exec_lo
	v_cmpx_gt_i32_e64 s1, v0
	s_cbranch_execnz .LBB82_18
.LBB82_13:
	s_or_b32 exec_lo, exec_lo, s0
	s_delay_alu instid0(SALU_CYCLE_1)
	s_mov_b32 s0, exec_lo
	v_cmpx_gt_i32_e64 s1, v0
	s_cbranch_execnz .LBB82_19
.LBB82_14:
	s_or_b32 exec_lo, exec_lo, s0
	s_delay_alu instid0(SALU_CYCLE_1)
	s_mov_b32 s0, exec_lo
	v_cmpx_gt_i32_e64 s1, v0
	s_cbranch_execz .LBB82_16
.LBB82_15:
	v_dual_mov_b32 v1, 0 :: v_dual_add_nc_u32 v0, s2, v0
	s_delay_alu instid0(VALU_DEP_1) | instskip(NEXT) | instid1(VALU_DEP_1)
	v_lshlrev_b64 v[0:1], 2, v[0:1]
	v_add_co_u32 v0, vcc_lo, s4, v0
	s_delay_alu instid0(VALU_DEP_2)
	v_add_co_ci_u32_e32 v1, vcc_lo, s5, v1, vcc_lo
	global_store_b32 v[0:1], v4, off
.LBB82_16:
	s_nop 0
	s_sendmsg sendmsg(MSG_DEALLOC_VGPRS)
	s_endpgm
.LBB82_17:
	v_mov_b32_e32 v2, 0
	s_delay_alu instid0(VALU_DEP_1) | instskip(NEXT) | instid1(VALU_DEP_1)
	v_lshlrev_b64 v[0:1], 2, v[1:2]
	v_add_co_u32 v9, vcc_lo, s4, v0
	s_delay_alu instid0(VALU_DEP_2) | instskip(SKIP_3) | instid1(SALU_CYCLE_1)
	v_add_co_ci_u32_e32 v10, vcc_lo, s5, v1, vcc_lo
	v_mov_b32_e32 v0, v3
	global_store_b32 v[9:10], v8, off
	s_or_b32 exec_lo, exec_lo, s0
	s_mov_b32 s0, exec_lo
	v_cmpx_gt_i32_e64 s1, v0
	s_cbranch_execz .LBB82_13
.LBB82_18:
	v_dual_mov_b32 v2, 0 :: v_dual_add_nc_u32 v1, s2, v0
	v_add_nc_u32_e32 v0, 0x100, v0
	s_delay_alu instid0(VALU_DEP_2) | instskip(NEXT) | instid1(VALU_DEP_1)
	v_lshlrev_b64 v[1:2], 2, v[1:2]
	v_add_co_u32 v1, vcc_lo, s4, v1
	s_delay_alu instid0(VALU_DEP_2) | instskip(SKIP_2) | instid1(SALU_CYCLE_1)
	v_add_co_ci_u32_e32 v2, vcc_lo, s5, v2, vcc_lo
	global_store_b32 v[1:2], v7, off
	s_or_b32 exec_lo, exec_lo, s0
	s_mov_b32 s0, exec_lo
	v_cmpx_gt_i32_e64 s1, v0
	s_cbranch_execz .LBB82_14
.LBB82_19:
	v_dual_mov_b32 v2, 0 :: v_dual_add_nc_u32 v1, s2, v0
	v_add_nc_u32_e32 v0, 0x100, v0
	s_delay_alu instid0(VALU_DEP_2) | instskip(NEXT) | instid1(VALU_DEP_1)
	v_lshlrev_b64 v[1:2], 2, v[1:2]
	v_add_co_u32 v1, vcc_lo, s4, v1
	s_delay_alu instid0(VALU_DEP_2) | instskip(SKIP_2) | instid1(SALU_CYCLE_1)
	v_add_co_ci_u32_e32 v2, vcc_lo, s5, v2, vcc_lo
	global_store_b32 v[1:2], v6, off
	s_or_b32 exec_lo, exec_lo, s0
	s_mov_b32 s0, exec_lo
	v_cmpx_gt_i32_e64 s1, v0
	s_cbranch_execnz .LBB82_15
	s_branch .LBB82_16
	.section	.rodata,"a",@progbits
	.p2align	6, 0x0
	.amdhsa_kernel _ZN2at6native29vectorized_elementwise_kernelILi16EZZZNS0_15exp_kernel_cudaERNS_18TensorIteratorBaseEENKUlvE0_clEvENKUlvE0_clEvEUlfE_St5arrayIPcLm2EEEEviT0_T1_
		.amdhsa_group_segment_fixed_size 0
		.amdhsa_private_segment_fixed_size 0
		.amdhsa_kernarg_size 24
		.amdhsa_user_sgpr_count 15
		.amdhsa_user_sgpr_dispatch_ptr 0
		.amdhsa_user_sgpr_queue_ptr 0
		.amdhsa_user_sgpr_kernarg_segment_ptr 1
		.amdhsa_user_sgpr_dispatch_id 0
		.amdhsa_user_sgpr_private_segment_size 0
		.amdhsa_wavefront_size32 1
		.amdhsa_uses_dynamic_stack 0
		.amdhsa_enable_private_segment 0
		.amdhsa_system_sgpr_workgroup_id_x 1
		.amdhsa_system_sgpr_workgroup_id_y 0
		.amdhsa_system_sgpr_workgroup_id_z 0
		.amdhsa_system_sgpr_workgroup_info 0
		.amdhsa_system_vgpr_workitem_id 0
		.amdhsa_next_free_vgpr 19
		.amdhsa_next_free_sgpr 16
		.amdhsa_reserve_vcc 1
		.amdhsa_float_round_mode_32 0
		.amdhsa_float_round_mode_16_64 0
		.amdhsa_float_denorm_mode_32 3
		.amdhsa_float_denorm_mode_16_64 3
		.amdhsa_dx10_clamp 1
		.amdhsa_ieee_mode 1
		.amdhsa_fp16_overflow 0
		.amdhsa_workgroup_processor_mode 1
		.amdhsa_memory_ordered 1
		.amdhsa_forward_progress 0
		.amdhsa_shared_vgpr_count 0
		.amdhsa_exception_fp_ieee_invalid_op 0
		.amdhsa_exception_fp_denorm_src 0
		.amdhsa_exception_fp_ieee_div_zero 0
		.amdhsa_exception_fp_ieee_overflow 0
		.amdhsa_exception_fp_ieee_underflow 0
		.amdhsa_exception_fp_ieee_inexact 0
		.amdhsa_exception_int_div_zero 0
	.end_amdhsa_kernel
	.section	.text._ZN2at6native29vectorized_elementwise_kernelILi16EZZZNS0_15exp_kernel_cudaERNS_18TensorIteratorBaseEENKUlvE0_clEvENKUlvE0_clEvEUlfE_St5arrayIPcLm2EEEEviT0_T1_,"axG",@progbits,_ZN2at6native29vectorized_elementwise_kernelILi16EZZZNS0_15exp_kernel_cudaERNS_18TensorIteratorBaseEENKUlvE0_clEvENKUlvE0_clEvEUlfE_St5arrayIPcLm2EEEEviT0_T1_,comdat
.Lfunc_end82:
	.size	_ZN2at6native29vectorized_elementwise_kernelILi16EZZZNS0_15exp_kernel_cudaERNS_18TensorIteratorBaseEENKUlvE0_clEvENKUlvE0_clEvEUlfE_St5arrayIPcLm2EEEEviT0_T1_, .Lfunc_end82-_ZN2at6native29vectorized_elementwise_kernelILi16EZZZNS0_15exp_kernel_cudaERNS_18TensorIteratorBaseEENKUlvE0_clEvENKUlvE0_clEvEUlfE_St5arrayIPcLm2EEEEviT0_T1_
                                        ; -- End function
	.section	.AMDGPU.csdata,"",@progbits
; Kernel info:
; codeLenInByte = 1592
; NumSgprs: 18
; NumVgprs: 19
; ScratchSize: 0
; MemoryBound: 0
; FloatMode: 240
; IeeeMode: 1
; LDSByteSize: 0 bytes/workgroup (compile time only)
; SGPRBlocks: 2
; VGPRBlocks: 2
; NumSGPRsForWavesPerEU: 18
; NumVGPRsForWavesPerEU: 19
; Occupancy: 16
; WaveLimiterHint : 0
; COMPUTE_PGM_RSRC2:SCRATCH_EN: 0
; COMPUTE_PGM_RSRC2:USER_SGPR: 15
; COMPUTE_PGM_RSRC2:TRAP_HANDLER: 0
; COMPUTE_PGM_RSRC2:TGID_X_EN: 1
; COMPUTE_PGM_RSRC2:TGID_Y_EN: 0
; COMPUTE_PGM_RSRC2:TGID_Z_EN: 0
; COMPUTE_PGM_RSRC2:TIDIG_COMP_CNT: 0
	.section	.text._ZN2at6native29vectorized_elementwise_kernelILi8EZZZNS0_15exp_kernel_cudaERNS_18TensorIteratorBaseEENKUlvE0_clEvENKUlvE0_clEvEUlfE_St5arrayIPcLm2EEEEviT0_T1_,"axG",@progbits,_ZN2at6native29vectorized_elementwise_kernelILi8EZZZNS0_15exp_kernel_cudaERNS_18TensorIteratorBaseEENKUlvE0_clEvENKUlvE0_clEvEUlfE_St5arrayIPcLm2EEEEviT0_T1_,comdat
	.globl	_ZN2at6native29vectorized_elementwise_kernelILi8EZZZNS0_15exp_kernel_cudaERNS_18TensorIteratorBaseEENKUlvE0_clEvENKUlvE0_clEvEUlfE_St5arrayIPcLm2EEEEviT0_T1_ ; -- Begin function _ZN2at6native29vectorized_elementwise_kernelILi8EZZZNS0_15exp_kernel_cudaERNS_18TensorIteratorBaseEENKUlvE0_clEvENKUlvE0_clEvEUlfE_St5arrayIPcLm2EEEEviT0_T1_
	.p2align	8
	.type	_ZN2at6native29vectorized_elementwise_kernelILi8EZZZNS0_15exp_kernel_cudaERNS_18TensorIteratorBaseEENKUlvE0_clEvENKUlvE0_clEvEUlfE_St5arrayIPcLm2EEEEviT0_T1_,@function
_ZN2at6native29vectorized_elementwise_kernelILi8EZZZNS0_15exp_kernel_cudaERNS_18TensorIteratorBaseEENKUlvE0_clEvENKUlvE0_clEvEUlfE_St5arrayIPcLm2EEEEviT0_T1_: ; @_ZN2at6native29vectorized_elementwise_kernelILi8EZZZNS0_15exp_kernel_cudaERNS_18TensorIteratorBaseEENKUlvE0_clEvENKUlvE0_clEvEUlfE_St5arrayIPcLm2EEEEviT0_T1_
; %bb.0:
	s_clause 0x1
	s_load_b32 s3, s[0:1], 0x0
	s_load_b128 s[4:7], s[0:1], 0x8
	s_lshl_b32 s2, s15, 10
	s_mov_b32 s0, -1
	s_waitcnt lgkmcnt(0)
	s_sub_i32 s1, s3, s2
	s_delay_alu instid0(SALU_CYCLE_1)
	s_cmpk_gt_i32 s1, 0x3ff
	s_cbranch_scc0 .LBB83_2
; %bb.1:
	s_ashr_i32 s3, s2, 31
	v_lshlrev_b32_e32 v5, 4, v0
	s_lshl_b64 s[8:9], s[2:3], 2
	s_mov_b32 s0, 0
	s_add_u32 s10, s6, s8
	s_addc_u32 s11, s7, s9
	s_add_u32 s8, s4, s8
	global_load_b128 v[1:4], v5, s[10:11]
	s_addc_u32 s9, s5, s9
	s_waitcnt vmcnt(0)
	v_dual_mul_f32 v6, 0x3fb8aa3b, v1 :: v_dual_mul_f32 v7, 0x3fb8aa3b, v2
	v_mul_f32_e32 v8, 0x3fb8aa3b, v3
	v_cmp_ngt_f32_e32 vcc_lo, 0xc2ce8ed0, v1
	s_delay_alu instid0(VALU_DEP_3)
	v_fma_f32 v10, 0x3fb8aa3b, v1, -v6
	v_rndne_f32_e32 v11, v6
	v_fma_f32 v12, 0x3fb8aa3b, v2, -v7
	v_rndne_f32_e32 v13, v7
	v_mul_f32_e32 v9, 0x3fb8aa3b, v4
	v_fma_f32 v14, 0x3fb8aa3b, v3, -v8
	v_sub_f32_e32 v6, v6, v11
	s_delay_alu instid0(VALU_DEP_4) | instskip(SKIP_4) | instid1(VALU_DEP_4)
	v_dual_fmac_f32 v12, 0x32a5705f, v2 :: v_dual_sub_f32 v7, v7, v13
	v_fmac_f32_e32 v10, 0x32a5705f, v1
	v_rndne_f32_e32 v15, v8
	v_fma_f32 v16, 0x3fb8aa3b, v4, -v9
	v_rndne_f32_e32 v17, v9
	v_dual_add_f32 v7, v7, v12 :: v_dual_add_f32 v6, v6, v10
	v_cvt_i32_f32_e32 v10, v11
	v_cvt_i32_f32_e32 v11, v13
	s_delay_alu instid0(VALU_DEP_4) | instskip(NEXT) | instid1(VALU_DEP_4)
	v_dual_fmac_f32 v14, 0x32a5705f, v3 :: v_dual_sub_f32 v9, v9, v17
	v_exp_f32_e32 v6, v6
	v_exp_f32_e32 v7, v7
	v_cvt_i32_f32_e32 v12, v15
	v_cvt_i32_f32_e32 v13, v17
	s_waitcnt_depctr 0xfff
	v_ldexp_f32 v6, v6, v10
	v_ldexp_f32 v7, v7, v11
	s_delay_alu instid0(VALU_DEP_2) | instskip(SKIP_1) | instid1(VALU_DEP_3)
	v_cndmask_b32_e32 v6, 0, v6, vcc_lo
	v_cmp_ngt_f32_e32 vcc_lo, 0xc2ce8ed0, v2
	v_dual_fmac_f32 v16, 0x32a5705f, v4 :: v_dual_cndmask_b32 v7, 0, v7
	s_delay_alu instid0(VALU_DEP_1) | instskip(SKIP_1) | instid1(VALU_DEP_2)
	v_dual_sub_f32 v8, v8, v15 :: v_dual_add_f32 v9, v9, v16
	v_cmp_ngt_f32_e32 vcc_lo, 0xc2ce8ed0, v3
	v_add_f32_e32 v8, v8, v14
	s_delay_alu instid0(VALU_DEP_3) | instskip(NEXT) | instid1(VALU_DEP_1)
	v_exp_f32_e32 v9, v9
	v_exp_f32_e32 v8, v8
	s_waitcnt_depctr 0xfff
	v_ldexp_f32 v9, v9, v13
	v_ldexp_f32 v8, v8, v12
	s_delay_alu instid0(VALU_DEP_1) | instskip(SKIP_1) | instid1(VALU_DEP_4)
	v_cndmask_b32_e32 v8, 0, v8, vcc_lo
	v_cmp_ngt_f32_e32 vcc_lo, 0xc2ce8ed0, v4
	v_cndmask_b32_e32 v9, 0, v9, vcc_lo
	v_cmp_nlt_f32_e32 vcc_lo, 0x42b17218, v1
	v_cndmask_b32_e32 v1, 0x7f800000, v6, vcc_lo
	v_cmp_nlt_f32_e32 vcc_lo, 0x42b17218, v2
	;; [unrolled: 2-line block ×4, first 2 shown]
	v_cndmask_b32_e32 v4, 0x7f800000, v9, vcc_lo
	global_store_b128 v5, v[1:4], s[8:9]
.LBB83_2:
	s_and_not1_b32 vcc_lo, exec_lo, s0
	s_cbranch_vccnz .LBB83_16
; %bb.3:
	v_cmp_gt_i32_e32 vcc_lo, s1, v0
	v_dual_mov_b32 v4, 0 :: v_dual_mov_b32 v7, v0
	v_or_b32_e32 v1, s2, v0
	v_or_b32_e32 v3, 0x100, v0
	v_mov_b32_e32 v2, 0
	s_and_saveexec_b32 s3, vcc_lo
	s_cbranch_execz .LBB83_5
; %bb.4:
	v_mov_b32_e32 v2, 0
	v_or_b32_e32 v7, 0x100, v0
	s_delay_alu instid0(VALU_DEP_2) | instskip(NEXT) | instid1(VALU_DEP_1)
	v_lshlrev_b64 v[5:6], 2, v[1:2]
	v_add_co_u32 v5, s0, s6, v5
	s_delay_alu instid0(VALU_DEP_1)
	v_add_co_ci_u32_e64 v6, s0, s7, v6, s0
	global_load_b32 v2, v[5:6], off
.LBB83_5:
	s_or_b32 exec_lo, exec_lo, s3
	s_delay_alu instid0(SALU_CYCLE_1)
	s_mov_b32 s3, exec_lo
	v_cmpx_gt_i32_e64 s1, v7
	s_cbranch_execz .LBB83_7
; %bb.6:
	v_dual_mov_b32 v5, 0 :: v_dual_add_nc_u32 v4, s2, v7
	v_add_nc_u32_e32 v7, 0x100, v7
	s_delay_alu instid0(VALU_DEP_2) | instskip(NEXT) | instid1(VALU_DEP_1)
	v_lshlrev_b64 v[4:5], 2, v[4:5]
	v_add_co_u32 v4, s0, s6, v4
	s_delay_alu instid0(VALU_DEP_1)
	v_add_co_ci_u32_e64 v5, s0, s7, v5, s0
	global_load_b32 v4, v[4:5], off
.LBB83_7:
	s_or_b32 exec_lo, exec_lo, s3
	v_dual_mov_b32 v5, 0 :: v_dual_mov_b32 v6, 0
	s_mov_b32 s3, exec_lo
	v_cmpx_gt_i32_e64 s1, v7
	s_cbranch_execz .LBB83_9
; %bb.8:
	v_dual_mov_b32 v9, 0 :: v_dual_add_nc_u32 v8, s2, v7
	v_add_nc_u32_e32 v7, 0x100, v7
	s_delay_alu instid0(VALU_DEP_2) | instskip(NEXT) | instid1(VALU_DEP_1)
	v_lshlrev_b64 v[8:9], 2, v[8:9]
	v_add_co_u32 v8, s0, s6, v8
	s_delay_alu instid0(VALU_DEP_1)
	v_add_co_ci_u32_e64 v9, s0, s7, v9, s0
	global_load_b32 v6, v[8:9], off
.LBB83_9:
	s_or_b32 exec_lo, exec_lo, s3
	s_delay_alu instid0(SALU_CYCLE_1)
	s_mov_b32 s3, exec_lo
	v_cmpx_gt_i32_e64 s1, v7
	s_cbranch_execz .LBB83_11
; %bb.10:
	v_dual_mov_b32 v8, 0 :: v_dual_add_nc_u32 v7, s2, v7
	s_delay_alu instid0(VALU_DEP_1) | instskip(NEXT) | instid1(VALU_DEP_1)
	v_lshlrev_b64 v[7:8], 2, v[7:8]
	v_add_co_u32 v7, s0, s6, v7
	s_delay_alu instid0(VALU_DEP_1)
	v_add_co_ci_u32_e64 v8, s0, s7, v8, s0
	global_load_b32 v5, v[7:8], off
.LBB83_11:
	s_or_b32 exec_lo, exec_lo, s3
	s_waitcnt vmcnt(0)
	v_dual_mul_f32 v7, 0x3fb8aa3b, v2 :: v_dual_mul_f32 v8, 0x3fb8aa3b, v4
	v_dual_mul_f32 v9, 0x3fb8aa3b, v6 :: v_dual_mul_f32 v10, 0x3fb8aa3b, v5
	v_cmp_ngt_f32_e64 s0, 0xc2ce8ed0, v2
	s_delay_alu instid0(VALU_DEP_3) | instskip(SKIP_4) | instid1(VALU_DEP_4)
	v_rndne_f32_e32 v11, v7
	v_fma_f32 v12, 0x3fb8aa3b, v2, -v7
	v_rndne_f32_e32 v13, v8
	v_fma_f32 v14, 0x3fb8aa3b, v4, -v8
	v_rndne_f32_e32 v15, v9
	v_dual_sub_f32 v7, v7, v11 :: v_dual_fmac_f32 v12, 0x32a5705f, v2
	s_delay_alu instid0(VALU_DEP_4) | instskip(SKIP_1) | instid1(VALU_DEP_4)
	v_sub_f32_e32 v8, v8, v13
	v_fma_f32 v16, 0x3fb8aa3b, v6, -v9
	v_dual_fmac_f32 v14, 0x32a5705f, v4 :: v_dual_sub_f32 v9, v9, v15
	s_delay_alu instid0(VALU_DEP_4)
	v_add_f32_e32 v7, v7, v12
	v_rndne_f32_e32 v17, v10
	v_fma_f32 v18, 0x3fb8aa3b, v5, -v10
	v_fmac_f32_e32 v16, 0x32a5705f, v6
	v_add_f32_e32 v8, v8, v14
	v_exp_f32_e32 v7, v7
	v_cvt_i32_f32_e32 v11, v11
	s_delay_alu instid0(VALU_DEP_3) | instskip(SKIP_3) | instid1(VALU_DEP_3)
	v_dual_sub_f32 v10, v10, v17 :: v_dual_add_f32 v9, v9, v16
	v_fmac_f32_e32 v18, 0x32a5705f, v5
	v_exp_f32_e32 v8, v8
	v_cvt_i32_f32_e32 v12, v15
	v_exp_f32_e32 v9, v9
	s_delay_alu instid0(VALU_DEP_2) | instskip(NEXT) | instid1(TRANS32_DEP_3)
	v_add_f32_e32 v10, v10, v18
	v_ldexp_f32 v7, v7, v11
	v_cvt_i32_f32_e32 v11, v13
	v_cvt_i32_f32_e32 v13, v17
	s_delay_alu instid0(VALU_DEP_4) | instskip(NEXT) | instid1(VALU_DEP_3)
	v_exp_f32_e32 v10, v10
	v_cndmask_b32_e64 v7, 0, v7, s0
	v_cmp_nlt_f32_e64 s0, 0x42b17218, v2
	v_ldexp_f32 v11, v8, v11
	s_delay_alu instid0(TRANS32_DEP_2) | instskip(NEXT) | instid1(VALU_DEP_3)
	v_ldexp_f32 v9, v9, v12
	v_cndmask_b32_e64 v8, 0x7f800000, v7, s0
	v_cmp_ngt_f32_e64 s0, 0xc2ce8ed0, v4
	s_delay_alu instid0(TRANS32_DEP_1) | instskip(NEXT) | instid1(VALU_DEP_2)
	v_ldexp_f32 v10, v10, v13
	v_cndmask_b32_e64 v2, 0, v11, s0
	v_cmp_ngt_f32_e64 s0, 0xc2ce8ed0, v6
	s_delay_alu instid0(VALU_DEP_1) | instskip(SKIP_1) | instid1(VALU_DEP_1)
	v_cndmask_b32_e64 v9, 0, v9, s0
	v_cmp_ngt_f32_e64 s0, 0xc2ce8ed0, v5
	v_cndmask_b32_e64 v10, 0, v10, s0
	v_cmp_nlt_f32_e64 s0, 0x42b17218, v4
	s_delay_alu instid0(VALU_DEP_1) | instskip(SKIP_1) | instid1(VALU_DEP_1)
	v_cndmask_b32_e64 v7, 0x7f800000, v2, s0
	v_cmp_nlt_f32_e64 s0, 0x42b17218, v6
	v_cndmask_b32_e64 v6, 0x7f800000, v9, s0
	v_cmp_nlt_f32_e64 s0, 0x42b17218, v5
	s_delay_alu instid0(VALU_DEP_1)
	v_cndmask_b32_e64 v4, 0x7f800000, v10, s0
	s_and_saveexec_b32 s0, vcc_lo
	s_cbranch_execnz .LBB83_17
; %bb.12:
	s_or_b32 exec_lo, exec_lo, s0
	s_delay_alu instid0(SALU_CYCLE_1)
	s_mov_b32 s0, exec_lo
	v_cmpx_gt_i32_e64 s1, v0
	s_cbranch_execnz .LBB83_18
.LBB83_13:
	s_or_b32 exec_lo, exec_lo, s0
	s_delay_alu instid0(SALU_CYCLE_1)
	s_mov_b32 s0, exec_lo
	v_cmpx_gt_i32_e64 s1, v0
	s_cbranch_execnz .LBB83_19
.LBB83_14:
	s_or_b32 exec_lo, exec_lo, s0
	s_delay_alu instid0(SALU_CYCLE_1)
	s_mov_b32 s0, exec_lo
	v_cmpx_gt_i32_e64 s1, v0
	s_cbranch_execz .LBB83_16
.LBB83_15:
	v_dual_mov_b32 v1, 0 :: v_dual_add_nc_u32 v0, s2, v0
	s_delay_alu instid0(VALU_DEP_1) | instskip(NEXT) | instid1(VALU_DEP_1)
	v_lshlrev_b64 v[0:1], 2, v[0:1]
	v_add_co_u32 v0, vcc_lo, s4, v0
	s_delay_alu instid0(VALU_DEP_2)
	v_add_co_ci_u32_e32 v1, vcc_lo, s5, v1, vcc_lo
	global_store_b32 v[0:1], v4, off
.LBB83_16:
	s_nop 0
	s_sendmsg sendmsg(MSG_DEALLOC_VGPRS)
	s_endpgm
.LBB83_17:
	v_mov_b32_e32 v2, 0
	s_delay_alu instid0(VALU_DEP_1) | instskip(NEXT) | instid1(VALU_DEP_1)
	v_lshlrev_b64 v[0:1], 2, v[1:2]
	v_add_co_u32 v9, vcc_lo, s4, v0
	s_delay_alu instid0(VALU_DEP_2) | instskip(SKIP_3) | instid1(SALU_CYCLE_1)
	v_add_co_ci_u32_e32 v10, vcc_lo, s5, v1, vcc_lo
	v_mov_b32_e32 v0, v3
	global_store_b32 v[9:10], v8, off
	s_or_b32 exec_lo, exec_lo, s0
	s_mov_b32 s0, exec_lo
	v_cmpx_gt_i32_e64 s1, v0
	s_cbranch_execz .LBB83_13
.LBB83_18:
	v_dual_mov_b32 v2, 0 :: v_dual_add_nc_u32 v1, s2, v0
	v_add_nc_u32_e32 v0, 0x100, v0
	s_delay_alu instid0(VALU_DEP_2) | instskip(NEXT) | instid1(VALU_DEP_1)
	v_lshlrev_b64 v[1:2], 2, v[1:2]
	v_add_co_u32 v1, vcc_lo, s4, v1
	s_delay_alu instid0(VALU_DEP_2) | instskip(SKIP_2) | instid1(SALU_CYCLE_1)
	v_add_co_ci_u32_e32 v2, vcc_lo, s5, v2, vcc_lo
	global_store_b32 v[1:2], v7, off
	s_or_b32 exec_lo, exec_lo, s0
	s_mov_b32 s0, exec_lo
	v_cmpx_gt_i32_e64 s1, v0
	s_cbranch_execz .LBB83_14
.LBB83_19:
	v_dual_mov_b32 v2, 0 :: v_dual_add_nc_u32 v1, s2, v0
	v_add_nc_u32_e32 v0, 0x100, v0
	s_delay_alu instid0(VALU_DEP_2) | instskip(NEXT) | instid1(VALU_DEP_1)
	v_lshlrev_b64 v[1:2], 2, v[1:2]
	v_add_co_u32 v1, vcc_lo, s4, v1
	s_delay_alu instid0(VALU_DEP_2) | instskip(SKIP_2) | instid1(SALU_CYCLE_1)
	v_add_co_ci_u32_e32 v2, vcc_lo, s5, v2, vcc_lo
	global_store_b32 v[1:2], v6, off
	s_or_b32 exec_lo, exec_lo, s0
	s_mov_b32 s0, exec_lo
	v_cmpx_gt_i32_e64 s1, v0
	s_cbranch_execnz .LBB83_15
	s_branch .LBB83_16
	.section	.rodata,"a",@progbits
	.p2align	6, 0x0
	.amdhsa_kernel _ZN2at6native29vectorized_elementwise_kernelILi8EZZZNS0_15exp_kernel_cudaERNS_18TensorIteratorBaseEENKUlvE0_clEvENKUlvE0_clEvEUlfE_St5arrayIPcLm2EEEEviT0_T1_
		.amdhsa_group_segment_fixed_size 0
		.amdhsa_private_segment_fixed_size 0
		.amdhsa_kernarg_size 24
		.amdhsa_user_sgpr_count 15
		.amdhsa_user_sgpr_dispatch_ptr 0
		.amdhsa_user_sgpr_queue_ptr 0
		.amdhsa_user_sgpr_kernarg_segment_ptr 1
		.amdhsa_user_sgpr_dispatch_id 0
		.amdhsa_user_sgpr_private_segment_size 0
		.amdhsa_wavefront_size32 1
		.amdhsa_uses_dynamic_stack 0
		.amdhsa_enable_private_segment 0
		.amdhsa_system_sgpr_workgroup_id_x 1
		.amdhsa_system_sgpr_workgroup_id_y 0
		.amdhsa_system_sgpr_workgroup_id_z 0
		.amdhsa_system_sgpr_workgroup_info 0
		.amdhsa_system_vgpr_workitem_id 0
		.amdhsa_next_free_vgpr 19
		.amdhsa_next_free_sgpr 16
		.amdhsa_reserve_vcc 1
		.amdhsa_float_round_mode_32 0
		.amdhsa_float_round_mode_16_64 0
		.amdhsa_float_denorm_mode_32 3
		.amdhsa_float_denorm_mode_16_64 3
		.amdhsa_dx10_clamp 1
		.amdhsa_ieee_mode 1
		.amdhsa_fp16_overflow 0
		.amdhsa_workgroup_processor_mode 1
		.amdhsa_memory_ordered 1
		.amdhsa_forward_progress 0
		.amdhsa_shared_vgpr_count 0
		.amdhsa_exception_fp_ieee_invalid_op 0
		.amdhsa_exception_fp_denorm_src 0
		.amdhsa_exception_fp_ieee_div_zero 0
		.amdhsa_exception_fp_ieee_overflow 0
		.amdhsa_exception_fp_ieee_underflow 0
		.amdhsa_exception_fp_ieee_inexact 0
		.amdhsa_exception_int_div_zero 0
	.end_amdhsa_kernel
	.section	.text._ZN2at6native29vectorized_elementwise_kernelILi8EZZZNS0_15exp_kernel_cudaERNS_18TensorIteratorBaseEENKUlvE0_clEvENKUlvE0_clEvEUlfE_St5arrayIPcLm2EEEEviT0_T1_,"axG",@progbits,_ZN2at6native29vectorized_elementwise_kernelILi8EZZZNS0_15exp_kernel_cudaERNS_18TensorIteratorBaseEENKUlvE0_clEvENKUlvE0_clEvEUlfE_St5arrayIPcLm2EEEEviT0_T1_,comdat
.Lfunc_end83:
	.size	_ZN2at6native29vectorized_elementwise_kernelILi8EZZZNS0_15exp_kernel_cudaERNS_18TensorIteratorBaseEENKUlvE0_clEvENKUlvE0_clEvEUlfE_St5arrayIPcLm2EEEEviT0_T1_, .Lfunc_end83-_ZN2at6native29vectorized_elementwise_kernelILi8EZZZNS0_15exp_kernel_cudaERNS_18TensorIteratorBaseEENKUlvE0_clEvENKUlvE0_clEvEUlfE_St5arrayIPcLm2EEEEviT0_T1_
                                        ; -- End function
	.section	.AMDGPU.csdata,"",@progbits
; Kernel info:
; codeLenInByte = 1592
; NumSgprs: 18
; NumVgprs: 19
; ScratchSize: 0
; MemoryBound: 0
; FloatMode: 240
; IeeeMode: 1
; LDSByteSize: 0 bytes/workgroup (compile time only)
; SGPRBlocks: 2
; VGPRBlocks: 2
; NumSGPRsForWavesPerEU: 18
; NumVGPRsForWavesPerEU: 19
; Occupancy: 16
; WaveLimiterHint : 0
; COMPUTE_PGM_RSRC2:SCRATCH_EN: 0
; COMPUTE_PGM_RSRC2:USER_SGPR: 15
; COMPUTE_PGM_RSRC2:TRAP_HANDLER: 0
; COMPUTE_PGM_RSRC2:TGID_X_EN: 1
; COMPUTE_PGM_RSRC2:TGID_Y_EN: 0
; COMPUTE_PGM_RSRC2:TGID_Z_EN: 0
; COMPUTE_PGM_RSRC2:TIDIG_COMP_CNT: 0
	.section	.text._ZN2at6native29vectorized_elementwise_kernelILi4EZZZNS0_15exp_kernel_cudaERNS_18TensorIteratorBaseEENKUlvE0_clEvENKUlvE0_clEvEUlfE_St5arrayIPcLm2EEEEviT0_T1_,"axG",@progbits,_ZN2at6native29vectorized_elementwise_kernelILi4EZZZNS0_15exp_kernel_cudaERNS_18TensorIteratorBaseEENKUlvE0_clEvENKUlvE0_clEvEUlfE_St5arrayIPcLm2EEEEviT0_T1_,comdat
	.globl	_ZN2at6native29vectorized_elementwise_kernelILi4EZZZNS0_15exp_kernel_cudaERNS_18TensorIteratorBaseEENKUlvE0_clEvENKUlvE0_clEvEUlfE_St5arrayIPcLm2EEEEviT0_T1_ ; -- Begin function _ZN2at6native29vectorized_elementwise_kernelILi4EZZZNS0_15exp_kernel_cudaERNS_18TensorIteratorBaseEENKUlvE0_clEvENKUlvE0_clEvEUlfE_St5arrayIPcLm2EEEEviT0_T1_
	.p2align	8
	.type	_ZN2at6native29vectorized_elementwise_kernelILi4EZZZNS0_15exp_kernel_cudaERNS_18TensorIteratorBaseEENKUlvE0_clEvENKUlvE0_clEvEUlfE_St5arrayIPcLm2EEEEviT0_T1_,@function
_ZN2at6native29vectorized_elementwise_kernelILi4EZZZNS0_15exp_kernel_cudaERNS_18TensorIteratorBaseEENKUlvE0_clEvENKUlvE0_clEvEUlfE_St5arrayIPcLm2EEEEviT0_T1_: ; @_ZN2at6native29vectorized_elementwise_kernelILi4EZZZNS0_15exp_kernel_cudaERNS_18TensorIteratorBaseEENKUlvE0_clEvENKUlvE0_clEvEUlfE_St5arrayIPcLm2EEEEviT0_T1_
; %bb.0:
	s_clause 0x1
	s_load_b32 s3, s[0:1], 0x0
	s_load_b128 s[4:7], s[0:1], 0x8
	s_lshl_b32 s2, s15, 10
	s_mov_b32 s0, -1
	s_waitcnt lgkmcnt(0)
	s_sub_i32 s1, s3, s2
	s_delay_alu instid0(SALU_CYCLE_1)
	s_cmpk_gt_i32 s1, 0x3ff
	s_cbranch_scc0 .LBB84_2
; %bb.1:
	s_ashr_i32 s3, s2, 31
	v_lshlrev_b32_e32 v5, 4, v0
	s_lshl_b64 s[8:9], s[2:3], 2
	s_mov_b32 s0, 0
	s_add_u32 s10, s6, s8
	s_addc_u32 s11, s7, s9
	s_add_u32 s8, s4, s8
	global_load_b128 v[1:4], v5, s[10:11]
	s_addc_u32 s9, s5, s9
	s_waitcnt vmcnt(0)
	v_dual_mul_f32 v6, 0x3fb8aa3b, v1 :: v_dual_mul_f32 v7, 0x3fb8aa3b, v2
	v_mul_f32_e32 v8, 0x3fb8aa3b, v3
	v_cmp_ngt_f32_e32 vcc_lo, 0xc2ce8ed0, v1
	s_delay_alu instid0(VALU_DEP_3)
	v_fma_f32 v10, 0x3fb8aa3b, v1, -v6
	v_rndne_f32_e32 v11, v6
	v_fma_f32 v12, 0x3fb8aa3b, v2, -v7
	v_rndne_f32_e32 v13, v7
	v_mul_f32_e32 v9, 0x3fb8aa3b, v4
	v_fma_f32 v14, 0x3fb8aa3b, v3, -v8
	v_sub_f32_e32 v6, v6, v11
	s_delay_alu instid0(VALU_DEP_4) | instskip(SKIP_4) | instid1(VALU_DEP_4)
	v_dual_fmac_f32 v12, 0x32a5705f, v2 :: v_dual_sub_f32 v7, v7, v13
	v_fmac_f32_e32 v10, 0x32a5705f, v1
	v_rndne_f32_e32 v15, v8
	v_fma_f32 v16, 0x3fb8aa3b, v4, -v9
	v_rndne_f32_e32 v17, v9
	v_dual_add_f32 v7, v7, v12 :: v_dual_add_f32 v6, v6, v10
	v_cvt_i32_f32_e32 v10, v11
	v_cvt_i32_f32_e32 v11, v13
	s_delay_alu instid0(VALU_DEP_4) | instskip(NEXT) | instid1(VALU_DEP_4)
	v_dual_fmac_f32 v14, 0x32a5705f, v3 :: v_dual_sub_f32 v9, v9, v17
	v_exp_f32_e32 v6, v6
	v_exp_f32_e32 v7, v7
	v_cvt_i32_f32_e32 v12, v15
	v_cvt_i32_f32_e32 v13, v17
	s_waitcnt_depctr 0xfff
	v_ldexp_f32 v6, v6, v10
	v_ldexp_f32 v7, v7, v11
	s_delay_alu instid0(VALU_DEP_2) | instskip(SKIP_1) | instid1(VALU_DEP_3)
	v_cndmask_b32_e32 v6, 0, v6, vcc_lo
	v_cmp_ngt_f32_e32 vcc_lo, 0xc2ce8ed0, v2
	v_dual_fmac_f32 v16, 0x32a5705f, v4 :: v_dual_cndmask_b32 v7, 0, v7
	s_delay_alu instid0(VALU_DEP_1) | instskip(SKIP_1) | instid1(VALU_DEP_2)
	v_dual_sub_f32 v8, v8, v15 :: v_dual_add_f32 v9, v9, v16
	v_cmp_ngt_f32_e32 vcc_lo, 0xc2ce8ed0, v3
	v_add_f32_e32 v8, v8, v14
	s_delay_alu instid0(VALU_DEP_3) | instskip(NEXT) | instid1(VALU_DEP_1)
	v_exp_f32_e32 v9, v9
	v_exp_f32_e32 v8, v8
	s_waitcnt_depctr 0xfff
	v_ldexp_f32 v9, v9, v13
	v_ldexp_f32 v8, v8, v12
	s_delay_alu instid0(VALU_DEP_1) | instskip(SKIP_1) | instid1(VALU_DEP_4)
	v_cndmask_b32_e32 v8, 0, v8, vcc_lo
	v_cmp_ngt_f32_e32 vcc_lo, 0xc2ce8ed0, v4
	v_cndmask_b32_e32 v9, 0, v9, vcc_lo
	v_cmp_nlt_f32_e32 vcc_lo, 0x42b17218, v1
	v_cndmask_b32_e32 v1, 0x7f800000, v6, vcc_lo
	v_cmp_nlt_f32_e32 vcc_lo, 0x42b17218, v2
	;; [unrolled: 2-line block ×4, first 2 shown]
	v_cndmask_b32_e32 v4, 0x7f800000, v9, vcc_lo
	global_store_b128 v5, v[1:4], s[8:9]
.LBB84_2:
	s_and_not1_b32 vcc_lo, exec_lo, s0
	s_cbranch_vccnz .LBB84_16
; %bb.3:
	v_cmp_gt_i32_e32 vcc_lo, s1, v0
	v_dual_mov_b32 v4, 0 :: v_dual_mov_b32 v7, v0
	v_or_b32_e32 v1, s2, v0
	v_or_b32_e32 v3, 0x100, v0
	v_mov_b32_e32 v2, 0
	s_and_saveexec_b32 s3, vcc_lo
	s_cbranch_execz .LBB84_5
; %bb.4:
	v_mov_b32_e32 v2, 0
	v_or_b32_e32 v7, 0x100, v0
	s_delay_alu instid0(VALU_DEP_2) | instskip(NEXT) | instid1(VALU_DEP_1)
	v_lshlrev_b64 v[5:6], 2, v[1:2]
	v_add_co_u32 v5, s0, s6, v5
	s_delay_alu instid0(VALU_DEP_1)
	v_add_co_ci_u32_e64 v6, s0, s7, v6, s0
	global_load_b32 v2, v[5:6], off
.LBB84_5:
	s_or_b32 exec_lo, exec_lo, s3
	s_delay_alu instid0(SALU_CYCLE_1)
	s_mov_b32 s3, exec_lo
	v_cmpx_gt_i32_e64 s1, v7
	s_cbranch_execz .LBB84_7
; %bb.6:
	v_dual_mov_b32 v5, 0 :: v_dual_add_nc_u32 v4, s2, v7
	v_add_nc_u32_e32 v7, 0x100, v7
	s_delay_alu instid0(VALU_DEP_2) | instskip(NEXT) | instid1(VALU_DEP_1)
	v_lshlrev_b64 v[4:5], 2, v[4:5]
	v_add_co_u32 v4, s0, s6, v4
	s_delay_alu instid0(VALU_DEP_1)
	v_add_co_ci_u32_e64 v5, s0, s7, v5, s0
	global_load_b32 v4, v[4:5], off
.LBB84_7:
	s_or_b32 exec_lo, exec_lo, s3
	v_dual_mov_b32 v5, 0 :: v_dual_mov_b32 v6, 0
	s_mov_b32 s3, exec_lo
	v_cmpx_gt_i32_e64 s1, v7
	s_cbranch_execz .LBB84_9
; %bb.8:
	v_dual_mov_b32 v9, 0 :: v_dual_add_nc_u32 v8, s2, v7
	v_add_nc_u32_e32 v7, 0x100, v7
	s_delay_alu instid0(VALU_DEP_2) | instskip(NEXT) | instid1(VALU_DEP_1)
	v_lshlrev_b64 v[8:9], 2, v[8:9]
	v_add_co_u32 v8, s0, s6, v8
	s_delay_alu instid0(VALU_DEP_1)
	v_add_co_ci_u32_e64 v9, s0, s7, v9, s0
	global_load_b32 v6, v[8:9], off
.LBB84_9:
	s_or_b32 exec_lo, exec_lo, s3
	s_delay_alu instid0(SALU_CYCLE_1)
	s_mov_b32 s3, exec_lo
	v_cmpx_gt_i32_e64 s1, v7
	s_cbranch_execz .LBB84_11
; %bb.10:
	v_dual_mov_b32 v8, 0 :: v_dual_add_nc_u32 v7, s2, v7
	s_delay_alu instid0(VALU_DEP_1) | instskip(NEXT) | instid1(VALU_DEP_1)
	v_lshlrev_b64 v[7:8], 2, v[7:8]
	v_add_co_u32 v7, s0, s6, v7
	s_delay_alu instid0(VALU_DEP_1)
	v_add_co_ci_u32_e64 v8, s0, s7, v8, s0
	global_load_b32 v5, v[7:8], off
.LBB84_11:
	s_or_b32 exec_lo, exec_lo, s3
	s_waitcnt vmcnt(0)
	v_dual_mul_f32 v7, 0x3fb8aa3b, v2 :: v_dual_mul_f32 v8, 0x3fb8aa3b, v4
	v_dual_mul_f32 v9, 0x3fb8aa3b, v6 :: v_dual_mul_f32 v10, 0x3fb8aa3b, v5
	v_cmp_ngt_f32_e64 s0, 0xc2ce8ed0, v2
	s_delay_alu instid0(VALU_DEP_3) | instskip(SKIP_4) | instid1(VALU_DEP_4)
	v_rndne_f32_e32 v11, v7
	v_fma_f32 v12, 0x3fb8aa3b, v2, -v7
	v_rndne_f32_e32 v13, v8
	v_fma_f32 v14, 0x3fb8aa3b, v4, -v8
	v_rndne_f32_e32 v15, v9
	v_dual_sub_f32 v7, v7, v11 :: v_dual_fmac_f32 v12, 0x32a5705f, v2
	s_delay_alu instid0(VALU_DEP_4) | instskip(SKIP_1) | instid1(VALU_DEP_4)
	v_sub_f32_e32 v8, v8, v13
	v_fma_f32 v16, 0x3fb8aa3b, v6, -v9
	v_dual_fmac_f32 v14, 0x32a5705f, v4 :: v_dual_sub_f32 v9, v9, v15
	s_delay_alu instid0(VALU_DEP_4)
	v_add_f32_e32 v7, v7, v12
	v_rndne_f32_e32 v17, v10
	v_fma_f32 v18, 0x3fb8aa3b, v5, -v10
	v_fmac_f32_e32 v16, 0x32a5705f, v6
	v_add_f32_e32 v8, v8, v14
	v_exp_f32_e32 v7, v7
	v_cvt_i32_f32_e32 v11, v11
	s_delay_alu instid0(VALU_DEP_3) | instskip(SKIP_3) | instid1(VALU_DEP_3)
	v_dual_sub_f32 v10, v10, v17 :: v_dual_add_f32 v9, v9, v16
	v_fmac_f32_e32 v18, 0x32a5705f, v5
	v_exp_f32_e32 v8, v8
	v_cvt_i32_f32_e32 v12, v15
	v_exp_f32_e32 v9, v9
	s_delay_alu instid0(VALU_DEP_2) | instskip(NEXT) | instid1(TRANS32_DEP_3)
	v_add_f32_e32 v10, v10, v18
	v_ldexp_f32 v7, v7, v11
	v_cvt_i32_f32_e32 v11, v13
	v_cvt_i32_f32_e32 v13, v17
	s_delay_alu instid0(VALU_DEP_4) | instskip(NEXT) | instid1(VALU_DEP_3)
	v_exp_f32_e32 v10, v10
	v_cndmask_b32_e64 v7, 0, v7, s0
	v_cmp_nlt_f32_e64 s0, 0x42b17218, v2
	v_ldexp_f32 v11, v8, v11
	s_delay_alu instid0(TRANS32_DEP_2) | instskip(NEXT) | instid1(VALU_DEP_3)
	v_ldexp_f32 v9, v9, v12
	v_cndmask_b32_e64 v8, 0x7f800000, v7, s0
	v_cmp_ngt_f32_e64 s0, 0xc2ce8ed0, v4
	s_delay_alu instid0(TRANS32_DEP_1) | instskip(NEXT) | instid1(VALU_DEP_2)
	v_ldexp_f32 v10, v10, v13
	v_cndmask_b32_e64 v2, 0, v11, s0
	v_cmp_ngt_f32_e64 s0, 0xc2ce8ed0, v6
	s_delay_alu instid0(VALU_DEP_1) | instskip(SKIP_1) | instid1(VALU_DEP_1)
	v_cndmask_b32_e64 v9, 0, v9, s0
	v_cmp_ngt_f32_e64 s0, 0xc2ce8ed0, v5
	v_cndmask_b32_e64 v10, 0, v10, s0
	v_cmp_nlt_f32_e64 s0, 0x42b17218, v4
	s_delay_alu instid0(VALU_DEP_1) | instskip(SKIP_1) | instid1(VALU_DEP_1)
	v_cndmask_b32_e64 v7, 0x7f800000, v2, s0
	v_cmp_nlt_f32_e64 s0, 0x42b17218, v6
	v_cndmask_b32_e64 v6, 0x7f800000, v9, s0
	v_cmp_nlt_f32_e64 s0, 0x42b17218, v5
	s_delay_alu instid0(VALU_DEP_1)
	v_cndmask_b32_e64 v4, 0x7f800000, v10, s0
	s_and_saveexec_b32 s0, vcc_lo
	s_cbranch_execnz .LBB84_17
; %bb.12:
	s_or_b32 exec_lo, exec_lo, s0
	s_delay_alu instid0(SALU_CYCLE_1)
	s_mov_b32 s0, exec_lo
	v_cmpx_gt_i32_e64 s1, v0
	s_cbranch_execnz .LBB84_18
.LBB84_13:
	s_or_b32 exec_lo, exec_lo, s0
	s_delay_alu instid0(SALU_CYCLE_1)
	s_mov_b32 s0, exec_lo
	v_cmpx_gt_i32_e64 s1, v0
	s_cbranch_execnz .LBB84_19
.LBB84_14:
	s_or_b32 exec_lo, exec_lo, s0
	s_delay_alu instid0(SALU_CYCLE_1)
	s_mov_b32 s0, exec_lo
	v_cmpx_gt_i32_e64 s1, v0
	s_cbranch_execz .LBB84_16
.LBB84_15:
	v_dual_mov_b32 v1, 0 :: v_dual_add_nc_u32 v0, s2, v0
	s_delay_alu instid0(VALU_DEP_1) | instskip(NEXT) | instid1(VALU_DEP_1)
	v_lshlrev_b64 v[0:1], 2, v[0:1]
	v_add_co_u32 v0, vcc_lo, s4, v0
	s_delay_alu instid0(VALU_DEP_2)
	v_add_co_ci_u32_e32 v1, vcc_lo, s5, v1, vcc_lo
	global_store_b32 v[0:1], v4, off
.LBB84_16:
	s_nop 0
	s_sendmsg sendmsg(MSG_DEALLOC_VGPRS)
	s_endpgm
.LBB84_17:
	v_mov_b32_e32 v2, 0
	s_delay_alu instid0(VALU_DEP_1) | instskip(NEXT) | instid1(VALU_DEP_1)
	v_lshlrev_b64 v[0:1], 2, v[1:2]
	v_add_co_u32 v9, vcc_lo, s4, v0
	s_delay_alu instid0(VALU_DEP_2) | instskip(SKIP_3) | instid1(SALU_CYCLE_1)
	v_add_co_ci_u32_e32 v10, vcc_lo, s5, v1, vcc_lo
	v_mov_b32_e32 v0, v3
	global_store_b32 v[9:10], v8, off
	s_or_b32 exec_lo, exec_lo, s0
	s_mov_b32 s0, exec_lo
	v_cmpx_gt_i32_e64 s1, v0
	s_cbranch_execz .LBB84_13
.LBB84_18:
	v_dual_mov_b32 v2, 0 :: v_dual_add_nc_u32 v1, s2, v0
	v_add_nc_u32_e32 v0, 0x100, v0
	s_delay_alu instid0(VALU_DEP_2) | instskip(NEXT) | instid1(VALU_DEP_1)
	v_lshlrev_b64 v[1:2], 2, v[1:2]
	v_add_co_u32 v1, vcc_lo, s4, v1
	s_delay_alu instid0(VALU_DEP_2) | instskip(SKIP_2) | instid1(SALU_CYCLE_1)
	v_add_co_ci_u32_e32 v2, vcc_lo, s5, v2, vcc_lo
	global_store_b32 v[1:2], v7, off
	s_or_b32 exec_lo, exec_lo, s0
	s_mov_b32 s0, exec_lo
	v_cmpx_gt_i32_e64 s1, v0
	s_cbranch_execz .LBB84_14
.LBB84_19:
	v_dual_mov_b32 v2, 0 :: v_dual_add_nc_u32 v1, s2, v0
	v_add_nc_u32_e32 v0, 0x100, v0
	s_delay_alu instid0(VALU_DEP_2) | instskip(NEXT) | instid1(VALU_DEP_1)
	v_lshlrev_b64 v[1:2], 2, v[1:2]
	v_add_co_u32 v1, vcc_lo, s4, v1
	s_delay_alu instid0(VALU_DEP_2) | instskip(SKIP_2) | instid1(SALU_CYCLE_1)
	v_add_co_ci_u32_e32 v2, vcc_lo, s5, v2, vcc_lo
	global_store_b32 v[1:2], v6, off
	s_or_b32 exec_lo, exec_lo, s0
	s_mov_b32 s0, exec_lo
	v_cmpx_gt_i32_e64 s1, v0
	s_cbranch_execnz .LBB84_15
	s_branch .LBB84_16
	.section	.rodata,"a",@progbits
	.p2align	6, 0x0
	.amdhsa_kernel _ZN2at6native29vectorized_elementwise_kernelILi4EZZZNS0_15exp_kernel_cudaERNS_18TensorIteratorBaseEENKUlvE0_clEvENKUlvE0_clEvEUlfE_St5arrayIPcLm2EEEEviT0_T1_
		.amdhsa_group_segment_fixed_size 0
		.amdhsa_private_segment_fixed_size 0
		.amdhsa_kernarg_size 24
		.amdhsa_user_sgpr_count 15
		.amdhsa_user_sgpr_dispatch_ptr 0
		.amdhsa_user_sgpr_queue_ptr 0
		.amdhsa_user_sgpr_kernarg_segment_ptr 1
		.amdhsa_user_sgpr_dispatch_id 0
		.amdhsa_user_sgpr_private_segment_size 0
		.amdhsa_wavefront_size32 1
		.amdhsa_uses_dynamic_stack 0
		.amdhsa_enable_private_segment 0
		.amdhsa_system_sgpr_workgroup_id_x 1
		.amdhsa_system_sgpr_workgroup_id_y 0
		.amdhsa_system_sgpr_workgroup_id_z 0
		.amdhsa_system_sgpr_workgroup_info 0
		.amdhsa_system_vgpr_workitem_id 0
		.amdhsa_next_free_vgpr 19
		.amdhsa_next_free_sgpr 16
		.amdhsa_reserve_vcc 1
		.amdhsa_float_round_mode_32 0
		.amdhsa_float_round_mode_16_64 0
		.amdhsa_float_denorm_mode_32 3
		.amdhsa_float_denorm_mode_16_64 3
		.amdhsa_dx10_clamp 1
		.amdhsa_ieee_mode 1
		.amdhsa_fp16_overflow 0
		.amdhsa_workgroup_processor_mode 1
		.amdhsa_memory_ordered 1
		.amdhsa_forward_progress 0
		.amdhsa_shared_vgpr_count 0
		.amdhsa_exception_fp_ieee_invalid_op 0
		.amdhsa_exception_fp_denorm_src 0
		.amdhsa_exception_fp_ieee_div_zero 0
		.amdhsa_exception_fp_ieee_overflow 0
		.amdhsa_exception_fp_ieee_underflow 0
		.amdhsa_exception_fp_ieee_inexact 0
		.amdhsa_exception_int_div_zero 0
	.end_amdhsa_kernel
	.section	.text._ZN2at6native29vectorized_elementwise_kernelILi4EZZZNS0_15exp_kernel_cudaERNS_18TensorIteratorBaseEENKUlvE0_clEvENKUlvE0_clEvEUlfE_St5arrayIPcLm2EEEEviT0_T1_,"axG",@progbits,_ZN2at6native29vectorized_elementwise_kernelILi4EZZZNS0_15exp_kernel_cudaERNS_18TensorIteratorBaseEENKUlvE0_clEvENKUlvE0_clEvEUlfE_St5arrayIPcLm2EEEEviT0_T1_,comdat
.Lfunc_end84:
	.size	_ZN2at6native29vectorized_elementwise_kernelILi4EZZZNS0_15exp_kernel_cudaERNS_18TensorIteratorBaseEENKUlvE0_clEvENKUlvE0_clEvEUlfE_St5arrayIPcLm2EEEEviT0_T1_, .Lfunc_end84-_ZN2at6native29vectorized_elementwise_kernelILi4EZZZNS0_15exp_kernel_cudaERNS_18TensorIteratorBaseEENKUlvE0_clEvENKUlvE0_clEvEUlfE_St5arrayIPcLm2EEEEviT0_T1_
                                        ; -- End function
	.section	.AMDGPU.csdata,"",@progbits
; Kernel info:
; codeLenInByte = 1592
; NumSgprs: 18
; NumVgprs: 19
; ScratchSize: 0
; MemoryBound: 0
; FloatMode: 240
; IeeeMode: 1
; LDSByteSize: 0 bytes/workgroup (compile time only)
; SGPRBlocks: 2
; VGPRBlocks: 2
; NumSGPRsForWavesPerEU: 18
; NumVGPRsForWavesPerEU: 19
; Occupancy: 16
; WaveLimiterHint : 0
; COMPUTE_PGM_RSRC2:SCRATCH_EN: 0
; COMPUTE_PGM_RSRC2:USER_SGPR: 15
; COMPUTE_PGM_RSRC2:TRAP_HANDLER: 0
; COMPUTE_PGM_RSRC2:TGID_X_EN: 1
; COMPUTE_PGM_RSRC2:TGID_Y_EN: 0
; COMPUTE_PGM_RSRC2:TGID_Z_EN: 0
; COMPUTE_PGM_RSRC2:TIDIG_COMP_CNT: 0
	.section	.text._ZN2at6native29vectorized_elementwise_kernelILi2EZZZNS0_15exp_kernel_cudaERNS_18TensorIteratorBaseEENKUlvE0_clEvENKUlvE0_clEvEUlfE_St5arrayIPcLm2EEEEviT0_T1_,"axG",@progbits,_ZN2at6native29vectorized_elementwise_kernelILi2EZZZNS0_15exp_kernel_cudaERNS_18TensorIteratorBaseEENKUlvE0_clEvENKUlvE0_clEvEUlfE_St5arrayIPcLm2EEEEviT0_T1_,comdat
	.globl	_ZN2at6native29vectorized_elementwise_kernelILi2EZZZNS0_15exp_kernel_cudaERNS_18TensorIteratorBaseEENKUlvE0_clEvENKUlvE0_clEvEUlfE_St5arrayIPcLm2EEEEviT0_T1_ ; -- Begin function _ZN2at6native29vectorized_elementwise_kernelILi2EZZZNS0_15exp_kernel_cudaERNS_18TensorIteratorBaseEENKUlvE0_clEvENKUlvE0_clEvEUlfE_St5arrayIPcLm2EEEEviT0_T1_
	.p2align	8
	.type	_ZN2at6native29vectorized_elementwise_kernelILi2EZZZNS0_15exp_kernel_cudaERNS_18TensorIteratorBaseEENKUlvE0_clEvENKUlvE0_clEvEUlfE_St5arrayIPcLm2EEEEviT0_T1_,@function
_ZN2at6native29vectorized_elementwise_kernelILi2EZZZNS0_15exp_kernel_cudaERNS_18TensorIteratorBaseEENKUlvE0_clEvENKUlvE0_clEvEUlfE_St5arrayIPcLm2EEEEviT0_T1_: ; @_ZN2at6native29vectorized_elementwise_kernelILi2EZZZNS0_15exp_kernel_cudaERNS_18TensorIteratorBaseEENKUlvE0_clEvENKUlvE0_clEvEUlfE_St5arrayIPcLm2EEEEviT0_T1_
; %bb.0:
	s_clause 0x1
	s_load_b32 s3, s[0:1], 0x0
	s_load_b128 s[4:7], s[0:1], 0x8
	s_lshl_b32 s2, s15, 10
	s_mov_b32 s0, -1
	s_waitcnt lgkmcnt(0)
	s_sub_i32 s1, s3, s2
	s_delay_alu instid0(SALU_CYCLE_1)
	s_cmpk_gt_i32 s1, 0x3ff
	s_cbranch_scc0 .LBB85_2
; %bb.1:
	s_ashr_i32 s3, s2, 31
	v_lshlrev_b32_e32 v5, 3, v0
	s_lshl_b64 s[8:9], s[2:3], 2
	s_mov_b32 s0, 0
	s_add_u32 s10, s6, s8
	s_addc_u32 s11, s7, s9
	s_add_u32 s8, s4, s8
	s_clause 0x1
	global_load_b64 v[1:2], v5, s[10:11]
	global_load_b64 v[3:4], v5, s[10:11] offset:2048
	s_addc_u32 s9, s5, s9
	s_waitcnt vmcnt(1)
	v_dual_mul_f32 v6, 0x3fb8aa3b, v1 :: v_dual_mul_f32 v7, 0x3fb8aa3b, v2
	s_waitcnt vmcnt(0)
	v_mul_f32_e32 v8, 0x3fb8aa3b, v3
	v_cmp_ngt_f32_e32 vcc_lo, 0xc2ce8ed0, v1
	s_delay_alu instid0(VALU_DEP_3)
	v_fma_f32 v10, 0x3fb8aa3b, v1, -v6
	v_rndne_f32_e32 v11, v6
	v_fma_f32 v12, 0x3fb8aa3b, v2, -v7
	v_rndne_f32_e32 v13, v7
	v_mul_f32_e32 v9, 0x3fb8aa3b, v4
	v_fma_f32 v14, 0x3fb8aa3b, v3, -v8
	v_sub_f32_e32 v6, v6, v11
	s_delay_alu instid0(VALU_DEP_4) | instskip(SKIP_4) | instid1(VALU_DEP_4)
	v_dual_fmac_f32 v12, 0x32a5705f, v2 :: v_dual_sub_f32 v7, v7, v13
	v_fmac_f32_e32 v10, 0x32a5705f, v1
	v_rndne_f32_e32 v15, v8
	v_fma_f32 v16, 0x3fb8aa3b, v4, -v9
	v_rndne_f32_e32 v17, v9
	v_dual_add_f32 v7, v7, v12 :: v_dual_add_f32 v6, v6, v10
	v_cvt_i32_f32_e32 v10, v11
	v_cvt_i32_f32_e32 v11, v13
	s_delay_alu instid0(VALU_DEP_4) | instskip(NEXT) | instid1(VALU_DEP_4)
	v_dual_fmac_f32 v14, 0x32a5705f, v3 :: v_dual_sub_f32 v9, v9, v17
	v_exp_f32_e32 v6, v6
	v_exp_f32_e32 v7, v7
	v_cvt_i32_f32_e32 v12, v15
	v_cvt_i32_f32_e32 v13, v17
	s_waitcnt_depctr 0xfff
	v_ldexp_f32 v6, v6, v10
	v_ldexp_f32 v7, v7, v11
	s_delay_alu instid0(VALU_DEP_2) | instskip(SKIP_1) | instid1(VALU_DEP_3)
	v_cndmask_b32_e32 v6, 0, v6, vcc_lo
	v_cmp_ngt_f32_e32 vcc_lo, 0xc2ce8ed0, v2
	v_dual_fmac_f32 v16, 0x32a5705f, v4 :: v_dual_cndmask_b32 v7, 0, v7
	s_delay_alu instid0(VALU_DEP_1) | instskip(SKIP_1) | instid1(VALU_DEP_2)
	v_dual_sub_f32 v8, v8, v15 :: v_dual_add_f32 v9, v9, v16
	v_cmp_ngt_f32_e32 vcc_lo, 0xc2ce8ed0, v3
	v_add_f32_e32 v8, v8, v14
	s_delay_alu instid0(VALU_DEP_3) | instskip(NEXT) | instid1(VALU_DEP_1)
	v_exp_f32_e32 v9, v9
	v_exp_f32_e32 v8, v8
	s_waitcnt_depctr 0xfff
	v_ldexp_f32 v9, v9, v13
	v_ldexp_f32 v8, v8, v12
	s_delay_alu instid0(VALU_DEP_1) | instskip(SKIP_1) | instid1(VALU_DEP_4)
	v_cndmask_b32_e32 v8, 0, v8, vcc_lo
	v_cmp_ngt_f32_e32 vcc_lo, 0xc2ce8ed0, v4
	v_cndmask_b32_e32 v9, 0, v9, vcc_lo
	v_cmp_nlt_f32_e32 vcc_lo, 0x42b17218, v1
	v_cndmask_b32_e32 v1, 0x7f800000, v6, vcc_lo
	v_cmp_nlt_f32_e32 vcc_lo, 0x42b17218, v2
	;; [unrolled: 2-line block ×4, first 2 shown]
	v_cndmask_b32_e32 v4, 0x7f800000, v9, vcc_lo
	s_clause 0x1
	global_store_b64 v5, v[1:2], s[8:9]
	global_store_b64 v5, v[3:4], s[8:9] offset:2048
.LBB85_2:
	s_and_not1_b32 vcc_lo, exec_lo, s0
	s_cbranch_vccnz .LBB85_16
; %bb.3:
	v_cmp_gt_i32_e32 vcc_lo, s1, v0
	v_dual_mov_b32 v4, 0 :: v_dual_mov_b32 v7, v0
	v_or_b32_e32 v1, s2, v0
	v_or_b32_e32 v3, 0x100, v0
	v_mov_b32_e32 v2, 0
	s_and_saveexec_b32 s3, vcc_lo
	s_cbranch_execz .LBB85_5
; %bb.4:
	v_mov_b32_e32 v2, 0
	v_or_b32_e32 v7, 0x100, v0
	s_delay_alu instid0(VALU_DEP_2) | instskip(NEXT) | instid1(VALU_DEP_1)
	v_lshlrev_b64 v[5:6], 2, v[1:2]
	v_add_co_u32 v5, s0, s6, v5
	s_delay_alu instid0(VALU_DEP_1)
	v_add_co_ci_u32_e64 v6, s0, s7, v6, s0
	global_load_b32 v2, v[5:6], off
.LBB85_5:
	s_or_b32 exec_lo, exec_lo, s3
	s_delay_alu instid0(SALU_CYCLE_1)
	s_mov_b32 s3, exec_lo
	v_cmpx_gt_i32_e64 s1, v7
	s_cbranch_execz .LBB85_7
; %bb.6:
	v_dual_mov_b32 v5, 0 :: v_dual_add_nc_u32 v4, s2, v7
	v_add_nc_u32_e32 v7, 0x100, v7
	s_delay_alu instid0(VALU_DEP_2) | instskip(NEXT) | instid1(VALU_DEP_1)
	v_lshlrev_b64 v[4:5], 2, v[4:5]
	v_add_co_u32 v4, s0, s6, v4
	s_delay_alu instid0(VALU_DEP_1)
	v_add_co_ci_u32_e64 v5, s0, s7, v5, s0
	global_load_b32 v4, v[4:5], off
.LBB85_7:
	s_or_b32 exec_lo, exec_lo, s3
	v_dual_mov_b32 v5, 0 :: v_dual_mov_b32 v6, 0
	s_mov_b32 s3, exec_lo
	v_cmpx_gt_i32_e64 s1, v7
	s_cbranch_execz .LBB85_9
; %bb.8:
	v_dual_mov_b32 v9, 0 :: v_dual_add_nc_u32 v8, s2, v7
	v_add_nc_u32_e32 v7, 0x100, v7
	s_delay_alu instid0(VALU_DEP_2) | instskip(NEXT) | instid1(VALU_DEP_1)
	v_lshlrev_b64 v[8:9], 2, v[8:9]
	v_add_co_u32 v8, s0, s6, v8
	s_delay_alu instid0(VALU_DEP_1)
	v_add_co_ci_u32_e64 v9, s0, s7, v9, s0
	global_load_b32 v6, v[8:9], off
.LBB85_9:
	s_or_b32 exec_lo, exec_lo, s3
	s_delay_alu instid0(SALU_CYCLE_1)
	s_mov_b32 s3, exec_lo
	v_cmpx_gt_i32_e64 s1, v7
	s_cbranch_execz .LBB85_11
; %bb.10:
	v_dual_mov_b32 v8, 0 :: v_dual_add_nc_u32 v7, s2, v7
	s_delay_alu instid0(VALU_DEP_1) | instskip(NEXT) | instid1(VALU_DEP_1)
	v_lshlrev_b64 v[7:8], 2, v[7:8]
	v_add_co_u32 v7, s0, s6, v7
	s_delay_alu instid0(VALU_DEP_1)
	v_add_co_ci_u32_e64 v8, s0, s7, v8, s0
	global_load_b32 v5, v[7:8], off
.LBB85_11:
	s_or_b32 exec_lo, exec_lo, s3
	s_waitcnt vmcnt(0)
	v_dual_mul_f32 v7, 0x3fb8aa3b, v2 :: v_dual_mul_f32 v8, 0x3fb8aa3b, v4
	v_dual_mul_f32 v9, 0x3fb8aa3b, v6 :: v_dual_mul_f32 v10, 0x3fb8aa3b, v5
	v_cmp_ngt_f32_e64 s0, 0xc2ce8ed0, v2
	s_delay_alu instid0(VALU_DEP_3) | instskip(SKIP_4) | instid1(VALU_DEP_4)
	v_rndne_f32_e32 v11, v7
	v_fma_f32 v12, 0x3fb8aa3b, v2, -v7
	v_rndne_f32_e32 v13, v8
	v_fma_f32 v14, 0x3fb8aa3b, v4, -v8
	v_rndne_f32_e32 v15, v9
	v_dual_sub_f32 v7, v7, v11 :: v_dual_fmac_f32 v12, 0x32a5705f, v2
	s_delay_alu instid0(VALU_DEP_4) | instskip(SKIP_1) | instid1(VALU_DEP_4)
	v_sub_f32_e32 v8, v8, v13
	v_fma_f32 v16, 0x3fb8aa3b, v6, -v9
	v_dual_fmac_f32 v14, 0x32a5705f, v4 :: v_dual_sub_f32 v9, v9, v15
	s_delay_alu instid0(VALU_DEP_4)
	v_add_f32_e32 v7, v7, v12
	v_rndne_f32_e32 v17, v10
	v_fma_f32 v18, 0x3fb8aa3b, v5, -v10
	v_fmac_f32_e32 v16, 0x32a5705f, v6
	v_add_f32_e32 v8, v8, v14
	v_exp_f32_e32 v7, v7
	v_cvt_i32_f32_e32 v11, v11
	s_delay_alu instid0(VALU_DEP_3) | instskip(SKIP_3) | instid1(VALU_DEP_3)
	v_dual_sub_f32 v10, v10, v17 :: v_dual_add_f32 v9, v9, v16
	v_fmac_f32_e32 v18, 0x32a5705f, v5
	v_exp_f32_e32 v8, v8
	v_cvt_i32_f32_e32 v12, v15
	v_exp_f32_e32 v9, v9
	s_delay_alu instid0(VALU_DEP_2) | instskip(NEXT) | instid1(TRANS32_DEP_3)
	v_add_f32_e32 v10, v10, v18
	v_ldexp_f32 v7, v7, v11
	v_cvt_i32_f32_e32 v11, v13
	v_cvt_i32_f32_e32 v13, v17
	s_delay_alu instid0(VALU_DEP_4) | instskip(NEXT) | instid1(VALU_DEP_3)
	v_exp_f32_e32 v10, v10
	v_cndmask_b32_e64 v7, 0, v7, s0
	v_cmp_nlt_f32_e64 s0, 0x42b17218, v2
	v_ldexp_f32 v11, v8, v11
	s_delay_alu instid0(TRANS32_DEP_2) | instskip(NEXT) | instid1(VALU_DEP_3)
	v_ldexp_f32 v9, v9, v12
	v_cndmask_b32_e64 v8, 0x7f800000, v7, s0
	v_cmp_ngt_f32_e64 s0, 0xc2ce8ed0, v4
	s_delay_alu instid0(TRANS32_DEP_1) | instskip(NEXT) | instid1(VALU_DEP_2)
	v_ldexp_f32 v10, v10, v13
	v_cndmask_b32_e64 v2, 0, v11, s0
	v_cmp_ngt_f32_e64 s0, 0xc2ce8ed0, v6
	s_delay_alu instid0(VALU_DEP_1) | instskip(SKIP_1) | instid1(VALU_DEP_1)
	v_cndmask_b32_e64 v9, 0, v9, s0
	v_cmp_ngt_f32_e64 s0, 0xc2ce8ed0, v5
	v_cndmask_b32_e64 v10, 0, v10, s0
	v_cmp_nlt_f32_e64 s0, 0x42b17218, v4
	s_delay_alu instid0(VALU_DEP_1) | instskip(SKIP_1) | instid1(VALU_DEP_1)
	v_cndmask_b32_e64 v7, 0x7f800000, v2, s0
	v_cmp_nlt_f32_e64 s0, 0x42b17218, v6
	v_cndmask_b32_e64 v6, 0x7f800000, v9, s0
	v_cmp_nlt_f32_e64 s0, 0x42b17218, v5
	s_delay_alu instid0(VALU_DEP_1)
	v_cndmask_b32_e64 v4, 0x7f800000, v10, s0
	s_and_saveexec_b32 s0, vcc_lo
	s_cbranch_execnz .LBB85_17
; %bb.12:
	s_or_b32 exec_lo, exec_lo, s0
	s_delay_alu instid0(SALU_CYCLE_1)
	s_mov_b32 s0, exec_lo
	v_cmpx_gt_i32_e64 s1, v0
	s_cbranch_execnz .LBB85_18
.LBB85_13:
	s_or_b32 exec_lo, exec_lo, s0
	s_delay_alu instid0(SALU_CYCLE_1)
	s_mov_b32 s0, exec_lo
	v_cmpx_gt_i32_e64 s1, v0
	s_cbranch_execnz .LBB85_19
.LBB85_14:
	s_or_b32 exec_lo, exec_lo, s0
	s_delay_alu instid0(SALU_CYCLE_1)
	s_mov_b32 s0, exec_lo
	v_cmpx_gt_i32_e64 s1, v0
	s_cbranch_execz .LBB85_16
.LBB85_15:
	v_dual_mov_b32 v1, 0 :: v_dual_add_nc_u32 v0, s2, v0
	s_delay_alu instid0(VALU_DEP_1) | instskip(NEXT) | instid1(VALU_DEP_1)
	v_lshlrev_b64 v[0:1], 2, v[0:1]
	v_add_co_u32 v0, vcc_lo, s4, v0
	s_delay_alu instid0(VALU_DEP_2)
	v_add_co_ci_u32_e32 v1, vcc_lo, s5, v1, vcc_lo
	global_store_b32 v[0:1], v4, off
.LBB85_16:
	s_nop 0
	s_sendmsg sendmsg(MSG_DEALLOC_VGPRS)
	s_endpgm
.LBB85_17:
	v_mov_b32_e32 v2, 0
	s_delay_alu instid0(VALU_DEP_1) | instskip(NEXT) | instid1(VALU_DEP_1)
	v_lshlrev_b64 v[0:1], 2, v[1:2]
	v_add_co_u32 v9, vcc_lo, s4, v0
	s_delay_alu instid0(VALU_DEP_2) | instskip(SKIP_3) | instid1(SALU_CYCLE_1)
	v_add_co_ci_u32_e32 v10, vcc_lo, s5, v1, vcc_lo
	v_mov_b32_e32 v0, v3
	global_store_b32 v[9:10], v8, off
	s_or_b32 exec_lo, exec_lo, s0
	s_mov_b32 s0, exec_lo
	v_cmpx_gt_i32_e64 s1, v0
	s_cbranch_execz .LBB85_13
.LBB85_18:
	v_dual_mov_b32 v2, 0 :: v_dual_add_nc_u32 v1, s2, v0
	v_add_nc_u32_e32 v0, 0x100, v0
	s_delay_alu instid0(VALU_DEP_2) | instskip(NEXT) | instid1(VALU_DEP_1)
	v_lshlrev_b64 v[1:2], 2, v[1:2]
	v_add_co_u32 v1, vcc_lo, s4, v1
	s_delay_alu instid0(VALU_DEP_2) | instskip(SKIP_2) | instid1(SALU_CYCLE_1)
	v_add_co_ci_u32_e32 v2, vcc_lo, s5, v2, vcc_lo
	global_store_b32 v[1:2], v7, off
	s_or_b32 exec_lo, exec_lo, s0
	s_mov_b32 s0, exec_lo
	v_cmpx_gt_i32_e64 s1, v0
	s_cbranch_execz .LBB85_14
.LBB85_19:
	v_dual_mov_b32 v2, 0 :: v_dual_add_nc_u32 v1, s2, v0
	v_add_nc_u32_e32 v0, 0x100, v0
	s_delay_alu instid0(VALU_DEP_2) | instskip(NEXT) | instid1(VALU_DEP_1)
	v_lshlrev_b64 v[1:2], 2, v[1:2]
	v_add_co_u32 v1, vcc_lo, s4, v1
	s_delay_alu instid0(VALU_DEP_2) | instskip(SKIP_2) | instid1(SALU_CYCLE_1)
	v_add_co_ci_u32_e32 v2, vcc_lo, s5, v2, vcc_lo
	global_store_b32 v[1:2], v6, off
	s_or_b32 exec_lo, exec_lo, s0
	s_mov_b32 s0, exec_lo
	v_cmpx_gt_i32_e64 s1, v0
	s_cbranch_execnz .LBB85_15
	s_branch .LBB85_16
	.section	.rodata,"a",@progbits
	.p2align	6, 0x0
	.amdhsa_kernel _ZN2at6native29vectorized_elementwise_kernelILi2EZZZNS0_15exp_kernel_cudaERNS_18TensorIteratorBaseEENKUlvE0_clEvENKUlvE0_clEvEUlfE_St5arrayIPcLm2EEEEviT0_T1_
		.amdhsa_group_segment_fixed_size 0
		.amdhsa_private_segment_fixed_size 0
		.amdhsa_kernarg_size 24
		.amdhsa_user_sgpr_count 15
		.amdhsa_user_sgpr_dispatch_ptr 0
		.amdhsa_user_sgpr_queue_ptr 0
		.amdhsa_user_sgpr_kernarg_segment_ptr 1
		.amdhsa_user_sgpr_dispatch_id 0
		.amdhsa_user_sgpr_private_segment_size 0
		.amdhsa_wavefront_size32 1
		.amdhsa_uses_dynamic_stack 0
		.amdhsa_enable_private_segment 0
		.amdhsa_system_sgpr_workgroup_id_x 1
		.amdhsa_system_sgpr_workgroup_id_y 0
		.amdhsa_system_sgpr_workgroup_id_z 0
		.amdhsa_system_sgpr_workgroup_info 0
		.amdhsa_system_vgpr_workitem_id 0
		.amdhsa_next_free_vgpr 19
		.amdhsa_next_free_sgpr 16
		.amdhsa_reserve_vcc 1
		.amdhsa_float_round_mode_32 0
		.amdhsa_float_round_mode_16_64 0
		.amdhsa_float_denorm_mode_32 3
		.amdhsa_float_denorm_mode_16_64 3
		.amdhsa_dx10_clamp 1
		.amdhsa_ieee_mode 1
		.amdhsa_fp16_overflow 0
		.amdhsa_workgroup_processor_mode 1
		.amdhsa_memory_ordered 1
		.amdhsa_forward_progress 0
		.amdhsa_shared_vgpr_count 0
		.amdhsa_exception_fp_ieee_invalid_op 0
		.amdhsa_exception_fp_denorm_src 0
		.amdhsa_exception_fp_ieee_div_zero 0
		.amdhsa_exception_fp_ieee_overflow 0
		.amdhsa_exception_fp_ieee_underflow 0
		.amdhsa_exception_fp_ieee_inexact 0
		.amdhsa_exception_int_div_zero 0
	.end_amdhsa_kernel
	.section	.text._ZN2at6native29vectorized_elementwise_kernelILi2EZZZNS0_15exp_kernel_cudaERNS_18TensorIteratorBaseEENKUlvE0_clEvENKUlvE0_clEvEUlfE_St5arrayIPcLm2EEEEviT0_T1_,"axG",@progbits,_ZN2at6native29vectorized_elementwise_kernelILi2EZZZNS0_15exp_kernel_cudaERNS_18TensorIteratorBaseEENKUlvE0_clEvENKUlvE0_clEvEUlfE_St5arrayIPcLm2EEEEviT0_T1_,comdat
.Lfunc_end85:
	.size	_ZN2at6native29vectorized_elementwise_kernelILi2EZZZNS0_15exp_kernel_cudaERNS_18TensorIteratorBaseEENKUlvE0_clEvENKUlvE0_clEvEUlfE_St5arrayIPcLm2EEEEviT0_T1_, .Lfunc_end85-_ZN2at6native29vectorized_elementwise_kernelILi2EZZZNS0_15exp_kernel_cudaERNS_18TensorIteratorBaseEENKUlvE0_clEvENKUlvE0_clEvEUlfE_St5arrayIPcLm2EEEEviT0_T1_
                                        ; -- End function
	.section	.AMDGPU.csdata,"",@progbits
; Kernel info:
; codeLenInByte = 1620
; NumSgprs: 18
; NumVgprs: 19
; ScratchSize: 0
; MemoryBound: 0
; FloatMode: 240
; IeeeMode: 1
; LDSByteSize: 0 bytes/workgroup (compile time only)
; SGPRBlocks: 2
; VGPRBlocks: 2
; NumSGPRsForWavesPerEU: 18
; NumVGPRsForWavesPerEU: 19
; Occupancy: 16
; WaveLimiterHint : 1
; COMPUTE_PGM_RSRC2:SCRATCH_EN: 0
; COMPUTE_PGM_RSRC2:USER_SGPR: 15
; COMPUTE_PGM_RSRC2:TRAP_HANDLER: 0
; COMPUTE_PGM_RSRC2:TGID_X_EN: 1
; COMPUTE_PGM_RSRC2:TGID_Y_EN: 0
; COMPUTE_PGM_RSRC2:TGID_Z_EN: 0
; COMPUTE_PGM_RSRC2:TIDIG_COMP_CNT: 0
	.section	.text._ZN2at6native27unrolled_elementwise_kernelIZZZNS0_15exp_kernel_cudaERNS_18TensorIteratorBaseEENKUlvE0_clEvENKUlvE0_clEvEUlfE_St5arrayIPcLm2EELi4E23TrivialOffsetCalculatorILi1EjESB_NS0_6memory15LoadWithoutCastENSC_16StoreWithoutCastEEEviT_T0_T2_T3_T4_T5_,"axG",@progbits,_ZN2at6native27unrolled_elementwise_kernelIZZZNS0_15exp_kernel_cudaERNS_18TensorIteratorBaseEENKUlvE0_clEvENKUlvE0_clEvEUlfE_St5arrayIPcLm2EELi4E23TrivialOffsetCalculatorILi1EjESB_NS0_6memory15LoadWithoutCastENSC_16StoreWithoutCastEEEviT_T0_T2_T3_T4_T5_,comdat
	.globl	_ZN2at6native27unrolled_elementwise_kernelIZZZNS0_15exp_kernel_cudaERNS_18TensorIteratorBaseEENKUlvE0_clEvENKUlvE0_clEvEUlfE_St5arrayIPcLm2EELi4E23TrivialOffsetCalculatorILi1EjESB_NS0_6memory15LoadWithoutCastENSC_16StoreWithoutCastEEEviT_T0_T2_T3_T4_T5_ ; -- Begin function _ZN2at6native27unrolled_elementwise_kernelIZZZNS0_15exp_kernel_cudaERNS_18TensorIteratorBaseEENKUlvE0_clEvENKUlvE0_clEvEUlfE_St5arrayIPcLm2EELi4E23TrivialOffsetCalculatorILi1EjESB_NS0_6memory15LoadWithoutCastENSC_16StoreWithoutCastEEEviT_T0_T2_T3_T4_T5_
	.p2align	8
	.type	_ZN2at6native27unrolled_elementwise_kernelIZZZNS0_15exp_kernel_cudaERNS_18TensorIteratorBaseEENKUlvE0_clEvENKUlvE0_clEvEUlfE_St5arrayIPcLm2EELi4E23TrivialOffsetCalculatorILi1EjESB_NS0_6memory15LoadWithoutCastENSC_16StoreWithoutCastEEEviT_T0_T2_T3_T4_T5_,@function
_ZN2at6native27unrolled_elementwise_kernelIZZZNS0_15exp_kernel_cudaERNS_18TensorIteratorBaseEENKUlvE0_clEvENKUlvE0_clEvEUlfE_St5arrayIPcLm2EELi4E23TrivialOffsetCalculatorILi1EjESB_NS0_6memory15LoadWithoutCastENSC_16StoreWithoutCastEEEviT_T0_T2_T3_T4_T5_: ; @_ZN2at6native27unrolled_elementwise_kernelIZZZNS0_15exp_kernel_cudaERNS_18TensorIteratorBaseEENKUlvE0_clEvENKUlvE0_clEvEUlfE_St5arrayIPcLm2EELi4E23TrivialOffsetCalculatorILi1EjESB_NS0_6memory15LoadWithoutCastENSC_16StoreWithoutCastEEEviT_T0_T2_T3_T4_T5_
; %bb.0:
	s_clause 0x1
	s_load_b32 s2, s[0:1], 0x0
	s_load_b128 s[4:7], s[0:1], 0x8
	s_lshl_b32 s1, s15, 10
	v_dual_mov_b32 v4, 0 :: v_dual_mov_b32 v7, v0
	v_mov_b32_e32 v2, 0
	v_or_b32_e32 v1, s1, v0
	v_or_b32_e32 v3, 0x100, v0
	s_waitcnt lgkmcnt(0)
	s_sub_i32 s2, s2, s1
	s_delay_alu instid0(SALU_CYCLE_1)
	v_cmp_gt_i32_e32 vcc_lo, s2, v0
	s_and_saveexec_b32 s3, vcc_lo
	s_cbranch_execz .LBB86_2
; %bb.1:
	v_mov_b32_e32 v2, 0
	v_or_b32_e32 v7, 0x100, v0
	s_delay_alu instid0(VALU_DEP_2) | instskip(NEXT) | instid1(VALU_DEP_1)
	v_lshlrev_b64 v[5:6], 2, v[1:2]
	v_add_co_u32 v5, s0, s6, v5
	s_delay_alu instid0(VALU_DEP_1)
	v_add_co_ci_u32_e64 v6, s0, s7, v6, s0
	global_load_b32 v2, v[5:6], off
.LBB86_2:
	s_or_b32 exec_lo, exec_lo, s3
	s_delay_alu instid0(SALU_CYCLE_1)
	s_mov_b32 s3, exec_lo
	v_cmpx_gt_i32_e64 s2, v7
	s_cbranch_execz .LBB86_4
; %bb.3:
	v_dual_mov_b32 v5, 0 :: v_dual_add_nc_u32 v4, s1, v7
	v_add_nc_u32_e32 v7, 0x100, v7
	s_delay_alu instid0(VALU_DEP_2) | instskip(NEXT) | instid1(VALU_DEP_1)
	v_lshlrev_b64 v[4:5], 2, v[4:5]
	v_add_co_u32 v4, s0, s6, v4
	s_delay_alu instid0(VALU_DEP_1)
	v_add_co_ci_u32_e64 v5, s0, s7, v5, s0
	global_load_b32 v4, v[4:5], off
.LBB86_4:
	s_or_b32 exec_lo, exec_lo, s3
	v_dual_mov_b32 v5, 0 :: v_dual_mov_b32 v6, 0
	s_mov_b32 s3, exec_lo
	v_cmpx_gt_i32_e64 s2, v7
	s_cbranch_execz .LBB86_6
; %bb.5:
	v_dual_mov_b32 v9, 0 :: v_dual_add_nc_u32 v8, s1, v7
	v_add_nc_u32_e32 v7, 0x100, v7
	s_delay_alu instid0(VALU_DEP_2) | instskip(NEXT) | instid1(VALU_DEP_1)
	v_lshlrev_b64 v[8:9], 2, v[8:9]
	v_add_co_u32 v8, s0, s6, v8
	s_delay_alu instid0(VALU_DEP_1)
	v_add_co_ci_u32_e64 v9, s0, s7, v9, s0
	global_load_b32 v6, v[8:9], off
.LBB86_6:
	s_or_b32 exec_lo, exec_lo, s3
	s_delay_alu instid0(SALU_CYCLE_1)
	s_mov_b32 s3, exec_lo
	v_cmpx_gt_i32_e64 s2, v7
	s_cbranch_execz .LBB86_8
; %bb.7:
	v_dual_mov_b32 v8, 0 :: v_dual_add_nc_u32 v7, s1, v7
	s_delay_alu instid0(VALU_DEP_1) | instskip(NEXT) | instid1(VALU_DEP_1)
	v_lshlrev_b64 v[7:8], 2, v[7:8]
	v_add_co_u32 v7, s0, s6, v7
	s_delay_alu instid0(VALU_DEP_1)
	v_add_co_ci_u32_e64 v8, s0, s7, v8, s0
	global_load_b32 v5, v[7:8], off
.LBB86_8:
	s_or_b32 exec_lo, exec_lo, s3
	s_waitcnt vmcnt(0)
	v_dual_mul_f32 v7, 0x3fb8aa3b, v2 :: v_dual_mul_f32 v8, 0x3fb8aa3b, v4
	v_dual_mul_f32 v9, 0x3fb8aa3b, v6 :: v_dual_mul_f32 v10, 0x3fb8aa3b, v5
	v_cmp_ngt_f32_e64 s0, 0xc2ce8ed0, v2
	s_delay_alu instid0(VALU_DEP_3) | instskip(SKIP_4) | instid1(VALU_DEP_4)
	v_rndne_f32_e32 v11, v7
	v_fma_f32 v12, 0x3fb8aa3b, v2, -v7
	v_rndne_f32_e32 v13, v8
	v_fma_f32 v14, 0x3fb8aa3b, v4, -v8
	v_rndne_f32_e32 v15, v9
	v_dual_sub_f32 v7, v7, v11 :: v_dual_fmac_f32 v12, 0x32a5705f, v2
	s_delay_alu instid0(VALU_DEP_4) | instskip(SKIP_1) | instid1(VALU_DEP_4)
	v_sub_f32_e32 v8, v8, v13
	v_fma_f32 v16, 0x3fb8aa3b, v6, -v9
	v_dual_fmac_f32 v14, 0x32a5705f, v4 :: v_dual_sub_f32 v9, v9, v15
	s_delay_alu instid0(VALU_DEP_4)
	v_add_f32_e32 v7, v7, v12
	v_rndne_f32_e32 v17, v10
	v_fma_f32 v18, 0x3fb8aa3b, v5, -v10
	v_fmac_f32_e32 v16, 0x32a5705f, v6
	v_add_f32_e32 v8, v8, v14
	v_exp_f32_e32 v7, v7
	v_cvt_i32_f32_e32 v11, v11
	s_delay_alu instid0(VALU_DEP_3) | instskip(SKIP_3) | instid1(VALU_DEP_3)
	v_dual_sub_f32 v10, v10, v17 :: v_dual_add_f32 v9, v9, v16
	v_fmac_f32_e32 v18, 0x32a5705f, v5
	v_exp_f32_e32 v8, v8
	v_cvt_i32_f32_e32 v12, v15
	v_exp_f32_e32 v9, v9
	s_delay_alu instid0(VALU_DEP_2) | instskip(NEXT) | instid1(TRANS32_DEP_3)
	v_add_f32_e32 v10, v10, v18
	v_ldexp_f32 v7, v7, v11
	v_cvt_i32_f32_e32 v11, v13
	v_cvt_i32_f32_e32 v13, v17
	s_delay_alu instid0(VALU_DEP_4) | instskip(NEXT) | instid1(VALU_DEP_3)
	v_exp_f32_e32 v10, v10
	v_cndmask_b32_e64 v7, 0, v7, s0
	v_cmp_nlt_f32_e64 s0, 0x42b17218, v2
	v_ldexp_f32 v11, v8, v11
	s_delay_alu instid0(TRANS32_DEP_2) | instskip(NEXT) | instid1(VALU_DEP_3)
	v_ldexp_f32 v9, v9, v12
	v_cndmask_b32_e64 v8, 0x7f800000, v7, s0
	v_cmp_ngt_f32_e64 s0, 0xc2ce8ed0, v4
	s_delay_alu instid0(TRANS32_DEP_1) | instskip(NEXT) | instid1(VALU_DEP_2)
	v_ldexp_f32 v10, v10, v13
	v_cndmask_b32_e64 v2, 0, v11, s0
	v_cmp_ngt_f32_e64 s0, 0xc2ce8ed0, v6
	s_delay_alu instid0(VALU_DEP_1) | instskip(SKIP_1) | instid1(VALU_DEP_1)
	v_cndmask_b32_e64 v9, 0, v9, s0
	v_cmp_ngt_f32_e64 s0, 0xc2ce8ed0, v5
	v_cndmask_b32_e64 v10, 0, v10, s0
	v_cmp_nlt_f32_e64 s0, 0x42b17218, v4
	s_delay_alu instid0(VALU_DEP_1) | instskip(SKIP_1) | instid1(VALU_DEP_1)
	v_cndmask_b32_e64 v7, 0x7f800000, v2, s0
	v_cmp_nlt_f32_e64 s0, 0x42b17218, v6
	v_cndmask_b32_e64 v6, 0x7f800000, v9, s0
	v_cmp_nlt_f32_e64 s0, 0x42b17218, v5
	s_delay_alu instid0(VALU_DEP_1)
	v_cndmask_b32_e64 v4, 0x7f800000, v10, s0
	s_and_saveexec_b32 s0, vcc_lo
	s_cbranch_execnz .LBB86_13
; %bb.9:
	s_or_b32 exec_lo, exec_lo, s0
	s_delay_alu instid0(SALU_CYCLE_1)
	s_mov_b32 s0, exec_lo
	v_cmpx_gt_i32_e64 s2, v0
	s_cbranch_execnz .LBB86_14
.LBB86_10:
	s_or_b32 exec_lo, exec_lo, s0
	s_delay_alu instid0(SALU_CYCLE_1)
	s_mov_b32 s0, exec_lo
	v_cmpx_gt_i32_e64 s2, v0
	s_cbranch_execnz .LBB86_15
.LBB86_11:
	s_or_b32 exec_lo, exec_lo, s0
	s_delay_alu instid0(SALU_CYCLE_1)
	s_mov_b32 s0, exec_lo
	v_cmpx_gt_i32_e64 s2, v0
	s_cbranch_execnz .LBB86_16
.LBB86_12:
	s_nop 0
	s_sendmsg sendmsg(MSG_DEALLOC_VGPRS)
	s_endpgm
.LBB86_13:
	v_mov_b32_e32 v2, 0
	s_delay_alu instid0(VALU_DEP_1) | instskip(NEXT) | instid1(VALU_DEP_1)
	v_lshlrev_b64 v[0:1], 2, v[1:2]
	v_add_co_u32 v9, vcc_lo, s4, v0
	s_delay_alu instid0(VALU_DEP_2) | instskip(SKIP_3) | instid1(SALU_CYCLE_1)
	v_add_co_ci_u32_e32 v10, vcc_lo, s5, v1, vcc_lo
	v_mov_b32_e32 v0, v3
	global_store_b32 v[9:10], v8, off
	s_or_b32 exec_lo, exec_lo, s0
	s_mov_b32 s0, exec_lo
	v_cmpx_gt_i32_e64 s2, v0
	s_cbranch_execz .LBB86_10
.LBB86_14:
	v_dual_mov_b32 v2, 0 :: v_dual_add_nc_u32 v1, s1, v0
	v_add_nc_u32_e32 v0, 0x100, v0
	s_delay_alu instid0(VALU_DEP_2) | instskip(NEXT) | instid1(VALU_DEP_1)
	v_lshlrev_b64 v[1:2], 2, v[1:2]
	v_add_co_u32 v1, vcc_lo, s4, v1
	s_delay_alu instid0(VALU_DEP_2) | instskip(SKIP_2) | instid1(SALU_CYCLE_1)
	v_add_co_ci_u32_e32 v2, vcc_lo, s5, v2, vcc_lo
	global_store_b32 v[1:2], v7, off
	s_or_b32 exec_lo, exec_lo, s0
	s_mov_b32 s0, exec_lo
	v_cmpx_gt_i32_e64 s2, v0
	s_cbranch_execz .LBB86_11
.LBB86_15:
	v_dual_mov_b32 v2, 0 :: v_dual_add_nc_u32 v1, s1, v0
	v_add_nc_u32_e32 v0, 0x100, v0
	s_delay_alu instid0(VALU_DEP_2) | instskip(NEXT) | instid1(VALU_DEP_1)
	v_lshlrev_b64 v[1:2], 2, v[1:2]
	v_add_co_u32 v1, vcc_lo, s4, v1
	s_delay_alu instid0(VALU_DEP_2) | instskip(SKIP_2) | instid1(SALU_CYCLE_1)
	v_add_co_ci_u32_e32 v2, vcc_lo, s5, v2, vcc_lo
	global_store_b32 v[1:2], v6, off
	s_or_b32 exec_lo, exec_lo, s0
	s_mov_b32 s0, exec_lo
	v_cmpx_gt_i32_e64 s2, v0
	s_cbranch_execz .LBB86_12
.LBB86_16:
	v_dual_mov_b32 v1, 0 :: v_dual_add_nc_u32 v0, s1, v0
	s_delay_alu instid0(VALU_DEP_1) | instskip(NEXT) | instid1(VALU_DEP_1)
	v_lshlrev_b64 v[0:1], 2, v[0:1]
	v_add_co_u32 v0, vcc_lo, s4, v0
	s_delay_alu instid0(VALU_DEP_2)
	v_add_co_ci_u32_e32 v1, vcc_lo, s5, v1, vcc_lo
	global_store_b32 v[0:1], v4, off
	s_nop 0
	s_sendmsg sendmsg(MSG_DEALLOC_VGPRS)
	s_endpgm
	.section	.rodata,"a",@progbits
	.p2align	6, 0x0
	.amdhsa_kernel _ZN2at6native27unrolled_elementwise_kernelIZZZNS0_15exp_kernel_cudaERNS_18TensorIteratorBaseEENKUlvE0_clEvENKUlvE0_clEvEUlfE_St5arrayIPcLm2EELi4E23TrivialOffsetCalculatorILi1EjESB_NS0_6memory15LoadWithoutCastENSC_16StoreWithoutCastEEEviT_T0_T2_T3_T4_T5_
		.amdhsa_group_segment_fixed_size 0
		.amdhsa_private_segment_fixed_size 0
		.amdhsa_kernarg_size 28
		.amdhsa_user_sgpr_count 15
		.amdhsa_user_sgpr_dispatch_ptr 0
		.amdhsa_user_sgpr_queue_ptr 0
		.amdhsa_user_sgpr_kernarg_segment_ptr 1
		.amdhsa_user_sgpr_dispatch_id 0
		.amdhsa_user_sgpr_private_segment_size 0
		.amdhsa_wavefront_size32 1
		.amdhsa_uses_dynamic_stack 0
		.amdhsa_enable_private_segment 0
		.amdhsa_system_sgpr_workgroup_id_x 1
		.amdhsa_system_sgpr_workgroup_id_y 0
		.amdhsa_system_sgpr_workgroup_id_z 0
		.amdhsa_system_sgpr_workgroup_info 0
		.amdhsa_system_vgpr_workitem_id 0
		.amdhsa_next_free_vgpr 19
		.amdhsa_next_free_sgpr 16
		.amdhsa_reserve_vcc 1
		.amdhsa_float_round_mode_32 0
		.amdhsa_float_round_mode_16_64 0
		.amdhsa_float_denorm_mode_32 3
		.amdhsa_float_denorm_mode_16_64 3
		.amdhsa_dx10_clamp 1
		.amdhsa_ieee_mode 1
		.amdhsa_fp16_overflow 0
		.amdhsa_workgroup_processor_mode 1
		.amdhsa_memory_ordered 1
		.amdhsa_forward_progress 0
		.amdhsa_shared_vgpr_count 0
		.amdhsa_exception_fp_ieee_invalid_op 0
		.amdhsa_exception_fp_denorm_src 0
		.amdhsa_exception_fp_ieee_div_zero 0
		.amdhsa_exception_fp_ieee_overflow 0
		.amdhsa_exception_fp_ieee_underflow 0
		.amdhsa_exception_fp_ieee_inexact 0
		.amdhsa_exception_int_div_zero 0
	.end_amdhsa_kernel
	.section	.text._ZN2at6native27unrolled_elementwise_kernelIZZZNS0_15exp_kernel_cudaERNS_18TensorIteratorBaseEENKUlvE0_clEvENKUlvE0_clEvEUlfE_St5arrayIPcLm2EELi4E23TrivialOffsetCalculatorILi1EjESB_NS0_6memory15LoadWithoutCastENSC_16StoreWithoutCastEEEviT_T0_T2_T3_T4_T5_,"axG",@progbits,_ZN2at6native27unrolled_elementwise_kernelIZZZNS0_15exp_kernel_cudaERNS_18TensorIteratorBaseEENKUlvE0_clEvENKUlvE0_clEvEUlfE_St5arrayIPcLm2EELi4E23TrivialOffsetCalculatorILi1EjESB_NS0_6memory15LoadWithoutCastENSC_16StoreWithoutCastEEEviT_T0_T2_T3_T4_T5_,comdat
.Lfunc_end86:
	.size	_ZN2at6native27unrolled_elementwise_kernelIZZZNS0_15exp_kernel_cudaERNS_18TensorIteratorBaseEENKUlvE0_clEvENKUlvE0_clEvEUlfE_St5arrayIPcLm2EELi4E23TrivialOffsetCalculatorILi1EjESB_NS0_6memory15LoadWithoutCastENSC_16StoreWithoutCastEEEviT_T0_T2_T3_T4_T5_, .Lfunc_end86-_ZN2at6native27unrolled_elementwise_kernelIZZZNS0_15exp_kernel_cudaERNS_18TensorIteratorBaseEENKUlvE0_clEvENKUlvE0_clEvEUlfE_St5arrayIPcLm2EELi4E23TrivialOffsetCalculatorILi1EjESB_NS0_6memory15LoadWithoutCastENSC_16StoreWithoutCastEEEviT_T0_T2_T3_T4_T5_
                                        ; -- End function
	.section	.AMDGPU.csdata,"",@progbits
; Kernel info:
; codeLenInByte = 1160
; NumSgprs: 18
; NumVgprs: 19
; ScratchSize: 0
; MemoryBound: 0
; FloatMode: 240
; IeeeMode: 1
; LDSByteSize: 0 bytes/workgroup (compile time only)
; SGPRBlocks: 2
; VGPRBlocks: 2
; NumSGPRsForWavesPerEU: 18
; NumVGPRsForWavesPerEU: 19
; Occupancy: 16
; WaveLimiterHint : 0
; COMPUTE_PGM_RSRC2:SCRATCH_EN: 0
; COMPUTE_PGM_RSRC2:USER_SGPR: 15
; COMPUTE_PGM_RSRC2:TRAP_HANDLER: 0
; COMPUTE_PGM_RSRC2:TGID_X_EN: 1
; COMPUTE_PGM_RSRC2:TGID_Y_EN: 0
; COMPUTE_PGM_RSRC2:TGID_Z_EN: 0
; COMPUTE_PGM_RSRC2:TIDIG_COMP_CNT: 0
	.section	.text._ZN2at6native32elementwise_kernel_manual_unrollILi128ELi4EZNS0_22gpu_kernel_impl_nocastIZZZNS0_15exp_kernel_cudaERNS_18TensorIteratorBaseEENKUlvE0_clEvENKUlvE0_clEvEUlfE_EEvS4_RKT_EUlibE_EEviT1_,"axG",@progbits,_ZN2at6native32elementwise_kernel_manual_unrollILi128ELi4EZNS0_22gpu_kernel_impl_nocastIZZZNS0_15exp_kernel_cudaERNS_18TensorIteratorBaseEENKUlvE0_clEvENKUlvE0_clEvEUlfE_EEvS4_RKT_EUlibE_EEviT1_,comdat
	.globl	_ZN2at6native32elementwise_kernel_manual_unrollILi128ELi4EZNS0_22gpu_kernel_impl_nocastIZZZNS0_15exp_kernel_cudaERNS_18TensorIteratorBaseEENKUlvE0_clEvENKUlvE0_clEvEUlfE_EEvS4_RKT_EUlibE_EEviT1_ ; -- Begin function _ZN2at6native32elementwise_kernel_manual_unrollILi128ELi4EZNS0_22gpu_kernel_impl_nocastIZZZNS0_15exp_kernel_cudaERNS_18TensorIteratorBaseEENKUlvE0_clEvENKUlvE0_clEvEUlfE_EEvS4_RKT_EUlibE_EEviT1_
	.p2align	8
	.type	_ZN2at6native32elementwise_kernel_manual_unrollILi128ELi4EZNS0_22gpu_kernel_impl_nocastIZZZNS0_15exp_kernel_cudaERNS_18TensorIteratorBaseEENKUlvE0_clEvENKUlvE0_clEvEUlfE_EEvS4_RKT_EUlibE_EEviT1_,@function
_ZN2at6native32elementwise_kernel_manual_unrollILi128ELi4EZNS0_22gpu_kernel_impl_nocastIZZZNS0_15exp_kernel_cudaERNS_18TensorIteratorBaseEENKUlvE0_clEvENKUlvE0_clEvEUlfE_EEvS4_RKT_EUlibE_EEviT1_: ; @_ZN2at6native32elementwise_kernel_manual_unrollILi128ELi4EZNS0_22gpu_kernel_impl_nocastIZZZNS0_15exp_kernel_cudaERNS_18TensorIteratorBaseEENKUlvE0_clEvENKUlvE0_clEvEUlfE_EEvS4_RKT_EUlibE_EEviT1_
; %bb.0:
	s_clause 0x1
	s_load_b32 s22, s[0:1], 0x8
	s_load_b32 s27, s[0:1], 0x0
	v_lshl_or_b32 v4, s15, 9, v0
	s_or_b32 s0, s0, 8
	s_mov_b32 s2, exec_lo
	s_delay_alu instid0(VALU_DEP_1) | instskip(SKIP_2) | instid1(SALU_CYCLE_1)
	v_or_b32_e32 v8, 0x180, v4
	s_waitcnt lgkmcnt(0)
	s_add_i32 s23, s22, -1
	s_cmp_gt_u32 s23, 1
	s_cselect_b32 s24, -1, 0
	v_cmpx_le_i32_e64 s27, v8
	s_xor_b32 s25, exec_lo, s2
	s_cbranch_execz .LBB87_7
; %bb.1:
	s_clause 0x3
	s_load_b128 s[12:15], s[0:1], 0x4
	s_load_b64 s[2:3], s[0:1], 0x14
	s_load_b128 s[8:11], s[0:1], 0xc4
	s_load_b128 s[4:7], s[0:1], 0x148
	s_cmp_lg_u32 s22, 0
	s_mov_b32 s30, exec_lo
	s_cselect_b32 s29, -1, 0
	s_add_u32 s16, s0, 0xc4
	s_addc_u32 s17, s1, 0
	s_min_u32 s28, s23, 15
	s_cmp_gt_u32 s22, 1
	s_cselect_b32 s26, -1, 0
	v_cmpx_gt_i32_e64 s27, v4
	s_cbranch_execz .LBB87_14
; %bb.2:
	s_and_not1_b32 vcc_lo, exec_lo, s24
	s_cbranch_vccnz .LBB87_21
; %bb.3:
	v_dual_mov_b32 v0, 0 :: v_dual_mov_b32 v1, 0
	s_and_not1_b32 vcc_lo, exec_lo, s29
	s_mov_b32 s31, 0
	s_cbranch_vccnz .LBB87_73
; %bb.4:
	v_mov_b32_e32 v0, 0
	s_add_i32 s34, s28, 1
	s_cmp_eq_u32 s23, 2
	s_mov_b32 s33, 0
	s_cbranch_scc1 .LBB87_69
; %bb.5:
	v_dual_mov_b32 v1, 0 :: v_dual_mov_b32 v0, 0
	v_mov_b32_e32 v2, v4
	s_and_b32 s33, s34, 28
	s_mov_b32 s35, 0
	s_mov_b64 s[18:19], s[16:17]
	s_mov_b64 s[20:21], s[0:1]
.LBB87_6:                               ; =>This Inner Loop Header: Depth=1
	s_clause 0x1
	s_load_b256 s[36:43], s[20:21], 0x4
	s_load_b128 s[52:55], s[20:21], 0x24
	s_load_b256 s[44:51], s[18:19], 0x0
	s_add_u32 s20, s20, 48
	s_addc_u32 s21, s21, 0
	s_add_i32 s35, s35, 4
	s_add_u32 s18, s18, 32
	s_addc_u32 s19, s19, 0
	s_cmp_lg_u32 s33, s35
	s_waitcnt lgkmcnt(0)
	v_mul_hi_u32 v3, s37, v2
	s_delay_alu instid0(VALU_DEP_1) | instskip(NEXT) | instid1(VALU_DEP_1)
	v_add_nc_u32_e32 v3, v2, v3
	v_lshrrev_b32_e32 v3, s38, v3
	s_delay_alu instid0(VALU_DEP_1) | instskip(SKIP_1) | instid1(VALU_DEP_2)
	v_mul_hi_u32 v5, s40, v3
	v_mul_lo_u32 v7, v3, s36
	v_add_nc_u32_e32 v5, v3, v5
	s_delay_alu instid0(VALU_DEP_2) | instskip(NEXT) | instid1(VALU_DEP_2)
	v_sub_nc_u32_e32 v2, v2, v7
	v_lshrrev_b32_e32 v5, s41, v5
	s_delay_alu instid0(VALU_DEP_2) | instskip(SKIP_1) | instid1(VALU_DEP_3)
	v_mul_lo_u32 v7, v2, s44
	v_mul_lo_u32 v9, v2, s45
	v_mul_hi_u32 v6, s43, v5
	s_delay_alu instid0(VALU_DEP_1) | instskip(NEXT) | instid1(VALU_DEP_1)
	v_add_nc_u32_e32 v6, v5, v6
	v_lshrrev_b32_e32 v6, s52, v6
	s_delay_alu instid0(VALU_DEP_1) | instskip(SKIP_1) | instid1(VALU_DEP_2)
	v_mul_hi_u32 v8, s54, v6
	v_mul_lo_u32 v10, v6, s42
	v_add_nc_u32_e32 v2, v6, v8
	v_mul_lo_u32 v8, v5, s39
	s_delay_alu instid0(VALU_DEP_3) | instskip(NEXT) | instid1(VALU_DEP_3)
	v_sub_nc_u32_e32 v5, v5, v10
	v_lshrrev_b32_e32 v2, s55, v2
	s_delay_alu instid0(VALU_DEP_2) | instskip(SKIP_2) | instid1(VALU_DEP_4)
	v_mul_lo_u32 v10, v5, s48
	v_mul_lo_u32 v5, v5, s49
	v_sub_nc_u32_e32 v3, v3, v8
	v_mul_lo_u32 v11, v2, s53
	s_delay_alu instid0(VALU_DEP_2) | instskip(SKIP_1) | instid1(VALU_DEP_3)
	v_mul_lo_u32 v8, v3, s46
	v_mul_lo_u32 v3, v3, s47
	v_sub_nc_u32_e32 v6, v6, v11
	s_delay_alu instid0(VALU_DEP_3) | instskip(NEXT) | instid1(VALU_DEP_2)
	v_add3_u32 v0, v7, v0, v8
	v_mul_lo_u32 v11, v6, s50
	v_mul_lo_u32 v6, v6, s51
	v_add3_u32 v1, v9, v1, v3
	s_delay_alu instid0(VALU_DEP_3) | instskip(NEXT) | instid1(VALU_DEP_2)
	v_add3_u32 v0, v10, v0, v11
	v_add3_u32 v1, v5, v1, v6
	s_cbranch_scc1 .LBB87_6
	s_branch .LBB87_70
.LBB87_7:
	s_and_not1_saveexec_b32 s2, s25
	s_cbranch_execz .LBB87_94
.LBB87_8:
	v_cndmask_b32_e64 v6, 0, 1, s24
	s_and_not1_b32 vcc_lo, exec_lo, s24
	s_cbranch_vccnz .LBB87_20
; %bb.9:
	v_dual_mov_b32 v0, 0 :: v_dual_mov_b32 v1, 0
	s_cmp_lg_u32 s22, 0
	s_mov_b32 s6, 0
	s_cbranch_scc0 .LBB87_26
; %bb.10:
	s_min_u32 s7, s23, 15
	v_mov_b32_e32 v0, 0
	s_add_i32 s7, s7, 1
	s_cmp_eq_u32 s23, 2
	s_mov_b32 s8, 0
	s_cbranch_scc1 .LBB87_23
; %bb.11:
	v_dual_mov_b32 v1, 0 :: v_dual_mov_b32 v0, 0
	v_mov_b32_e32 v2, v4
	s_add_u32 s2, s0, 0xc4
	s_addc_u32 s3, s1, 0
	s_and_b32 s8, s7, 28
	s_mov_b32 s9, 0
	s_mov_b64 s[4:5], s[0:1]
.LBB87_12:                              ; =>This Inner Loop Header: Depth=1
	s_clause 0x1
	s_load_b256 s[12:19], s[4:5], 0x4
	s_load_b128 s[36:39], s[4:5], 0x24
	s_load_b256 s[24:31], s[2:3], 0x0
	s_add_u32 s4, s4, 48
	s_addc_u32 s5, s5, 0
	s_add_i32 s9, s9, 4
	s_add_u32 s2, s2, 32
	s_addc_u32 s3, s3, 0
	s_cmp_lg_u32 s8, s9
	s_waitcnt lgkmcnt(0)
	v_mul_hi_u32 v3, s13, v2
	s_delay_alu instid0(VALU_DEP_1) | instskip(NEXT) | instid1(VALU_DEP_1)
	v_add_nc_u32_e32 v3, v2, v3
	v_lshrrev_b32_e32 v3, s14, v3
	s_delay_alu instid0(VALU_DEP_1) | instskip(SKIP_1) | instid1(VALU_DEP_2)
	v_mul_hi_u32 v5, s16, v3
	v_mul_lo_u32 v9, v3, s12
	v_add_nc_u32_e32 v5, v3, v5
	s_delay_alu instid0(VALU_DEP_2) | instskip(NEXT) | instid1(VALU_DEP_2)
	v_sub_nc_u32_e32 v2, v2, v9
	v_lshrrev_b32_e32 v5, s17, v5
	s_delay_alu instid0(VALU_DEP_2) | instskip(SKIP_1) | instid1(VALU_DEP_3)
	v_mul_lo_u32 v9, v2, s24
	v_mul_lo_u32 v11, v2, s25
	v_mul_hi_u32 v7, s19, v5
	s_delay_alu instid0(VALU_DEP_1) | instskip(NEXT) | instid1(VALU_DEP_1)
	v_add_nc_u32_e32 v7, v5, v7
	v_lshrrev_b32_e32 v7, s36, v7
	s_delay_alu instid0(VALU_DEP_1) | instskip(SKIP_1) | instid1(VALU_DEP_2)
	v_mul_hi_u32 v10, s38, v7
	v_mul_lo_u32 v12, v7, s18
	v_add_nc_u32_e32 v2, v7, v10
	v_mul_lo_u32 v10, v5, s15
	s_delay_alu instid0(VALU_DEP_3) | instskip(NEXT) | instid1(VALU_DEP_3)
	v_sub_nc_u32_e32 v5, v5, v12
	v_lshrrev_b32_e32 v2, s39, v2
	s_delay_alu instid0(VALU_DEP_2) | instskip(SKIP_2) | instid1(VALU_DEP_4)
	v_mul_lo_u32 v12, v5, s28
	v_mul_lo_u32 v5, v5, s29
	v_sub_nc_u32_e32 v3, v3, v10
	v_mul_lo_u32 v13, v2, s37
	s_delay_alu instid0(VALU_DEP_2) | instskip(SKIP_1) | instid1(VALU_DEP_3)
	v_mul_lo_u32 v10, v3, s26
	v_mul_lo_u32 v3, v3, s27
	v_sub_nc_u32_e32 v7, v7, v13
	s_delay_alu instid0(VALU_DEP_3) | instskip(NEXT) | instid1(VALU_DEP_2)
	v_add3_u32 v0, v9, v0, v10
	v_mul_lo_u32 v13, v7, s30
	v_mul_lo_u32 v7, v7, s31
	v_add3_u32 v1, v11, v1, v3
	s_delay_alu instid0(VALU_DEP_3) | instskip(NEXT) | instid1(VALU_DEP_2)
	v_add3_u32 v0, v12, v0, v13
	v_add3_u32 v1, v5, v1, v7
	s_cbranch_scc1 .LBB87_12
; %bb.13:
	s_and_b32 s7, s7, 3
	s_delay_alu instid0(SALU_CYCLE_1)
	s_cmp_eq_u32 s7, 0
	s_cbranch_scc0 .LBB87_24
	s_branch .LBB87_26
.LBB87_14:
	s_or_b32 exec_lo, exec_lo, s30
	s_delay_alu instid0(SALU_CYCLE_1)
	s_mov_b32 s30, exec_lo
	v_cmpx_gt_i32_e64 s27, v4
	s_cbranch_execz .LBB87_77
.LBB87_15:
	s_and_not1_b32 vcc_lo, exec_lo, s24
	s_cbranch_vccnz .LBB87_22
; %bb.16:
	v_dual_mov_b32 v0, 0 :: v_dual_mov_b32 v1, 0
	s_and_not1_b32 vcc_lo, exec_lo, s29
	s_mov_b32 s31, 0
	s_cbranch_vccnz .LBB87_88
; %bb.17:
	v_mov_b32_e32 v0, 0
	s_add_i32 s34, s28, 1
	s_cmp_eq_u32 s23, 2
	s_mov_b32 s33, 0
	s_cbranch_scc1 .LBB87_84
; %bb.18:
	v_dual_mov_b32 v1, 0 :: v_dual_mov_b32 v0, 0
	v_mov_b32_e32 v2, v4
	s_and_b32 s33, s34, 28
	s_mov_b32 s35, 0
	s_mov_b64 s[18:19], s[16:17]
	s_mov_b64 s[20:21], s[0:1]
.LBB87_19:                              ; =>This Inner Loop Header: Depth=1
	s_clause 0x1
	s_load_b256 s[36:43], s[20:21], 0x4
	s_load_b128 s[52:55], s[20:21], 0x24
	s_load_b256 s[44:51], s[18:19], 0x0
	s_add_u32 s20, s20, 48
	s_addc_u32 s21, s21, 0
	s_add_i32 s35, s35, 4
	s_add_u32 s18, s18, 32
	s_addc_u32 s19, s19, 0
	s_cmp_eq_u32 s33, s35
	s_waitcnt lgkmcnt(0)
	v_mul_hi_u32 v3, s37, v2
	s_delay_alu instid0(VALU_DEP_1) | instskip(NEXT) | instid1(VALU_DEP_1)
	v_add_nc_u32_e32 v3, v2, v3
	v_lshrrev_b32_e32 v3, s38, v3
	s_delay_alu instid0(VALU_DEP_1) | instskip(SKIP_1) | instid1(VALU_DEP_2)
	v_mul_hi_u32 v5, s40, v3
	v_mul_lo_u32 v7, v3, s36
	v_add_nc_u32_e32 v5, v3, v5
	s_delay_alu instid0(VALU_DEP_2) | instskip(NEXT) | instid1(VALU_DEP_2)
	v_sub_nc_u32_e32 v2, v2, v7
	v_lshrrev_b32_e32 v5, s41, v5
	s_delay_alu instid0(VALU_DEP_2) | instskip(SKIP_1) | instid1(VALU_DEP_3)
	v_mul_lo_u32 v7, v2, s44
	v_mul_lo_u32 v9, v2, s45
	v_mul_hi_u32 v6, s43, v5
	s_delay_alu instid0(VALU_DEP_1) | instskip(NEXT) | instid1(VALU_DEP_1)
	v_add_nc_u32_e32 v6, v5, v6
	v_lshrrev_b32_e32 v6, s52, v6
	s_delay_alu instid0(VALU_DEP_1) | instskip(SKIP_1) | instid1(VALU_DEP_2)
	v_mul_hi_u32 v8, s54, v6
	v_mul_lo_u32 v10, v6, s42
	v_add_nc_u32_e32 v2, v6, v8
	v_mul_lo_u32 v8, v5, s39
	s_delay_alu instid0(VALU_DEP_3) | instskip(NEXT) | instid1(VALU_DEP_3)
	v_sub_nc_u32_e32 v5, v5, v10
	v_lshrrev_b32_e32 v2, s55, v2
	s_delay_alu instid0(VALU_DEP_2) | instskip(SKIP_2) | instid1(VALU_DEP_4)
	v_mul_lo_u32 v10, v5, s48
	v_mul_lo_u32 v5, v5, s49
	v_sub_nc_u32_e32 v3, v3, v8
	v_mul_lo_u32 v11, v2, s53
	s_delay_alu instid0(VALU_DEP_2) | instskip(SKIP_1) | instid1(VALU_DEP_3)
	v_mul_lo_u32 v8, v3, s46
	v_mul_lo_u32 v3, v3, s47
	v_sub_nc_u32_e32 v6, v6, v11
	s_delay_alu instid0(VALU_DEP_3) | instskip(NEXT) | instid1(VALU_DEP_2)
	v_add3_u32 v0, v7, v0, v8
	v_mul_lo_u32 v11, v6, s50
	v_mul_lo_u32 v6, v6, s51
	v_add3_u32 v1, v9, v1, v3
	s_delay_alu instid0(VALU_DEP_3) | instskip(NEXT) | instid1(VALU_DEP_2)
	v_add3_u32 v0, v10, v0, v11
	v_add3_u32 v1, v5, v1, v6
	s_cbranch_scc0 .LBB87_19
	s_branch .LBB87_85
.LBB87_20:
	s_mov_b32 s6, -1
                                        ; implicit-def: $vgpr0
                                        ; implicit-def: $vgpr1
	s_branch .LBB87_26
.LBB87_21:
	s_mov_b32 s31, -1
                                        ; implicit-def: $vgpr0
                                        ; implicit-def: $vgpr1
	s_branch .LBB87_73
.LBB87_22:
	s_mov_b32 s31, -1
                                        ; implicit-def: $vgpr0
                                        ; implicit-def: $vgpr1
	s_branch .LBB87_88
.LBB87_23:
	v_dual_mov_b32 v2, v4 :: v_dual_mov_b32 v1, 0
	s_and_b32 s7, s7, 3
	s_delay_alu instid0(SALU_CYCLE_1)
	s_cmp_eq_u32 s7, 0
	s_cbranch_scc1 .LBB87_26
.LBB87_24:
	s_lshl_b32 s2, s8, 3
	s_mul_i32 s4, s8, 12
	s_add_u32 s2, s2, s0
	s_addc_u32 s3, 0, s1
	s_add_u32 s2, s2, 0xc4
	s_addc_u32 s3, s3, 0
	;; [unrolled: 2-line block ×3, first 2 shown]
	.p2align	6
.LBB87_25:                              ; =>This Inner Loop Header: Depth=1
	s_clause 0x1
	s_load_b64 s[8:9], s[4:5], 0x4
	s_load_b32 s12, s[4:5], 0xc
	s_load_b64 s[10:11], s[2:3], 0x0
	s_add_u32 s4, s4, 12
	s_addc_u32 s5, s5, 0
	s_add_u32 s2, s2, 8
	s_addc_u32 s3, s3, 0
	s_add_i32 s7, s7, -1
	s_delay_alu instid0(SALU_CYCLE_1) | instskip(SKIP_2) | instid1(VALU_DEP_1)
	s_cmp_lg_u32 s7, 0
	s_waitcnt lgkmcnt(0)
	v_mul_hi_u32 v3, s9, v2
	v_add_nc_u32_e32 v3, v2, v3
	s_delay_alu instid0(VALU_DEP_1) | instskip(NEXT) | instid1(VALU_DEP_1)
	v_lshrrev_b32_e32 v3, s12, v3
	v_mul_lo_u32 v5, v3, s8
	s_delay_alu instid0(VALU_DEP_1) | instskip(NEXT) | instid1(VALU_DEP_1)
	v_sub_nc_u32_e32 v2, v2, v5
	v_mad_u64_u32 v[9:10], null, v2, s10, v[0:1]
	v_mad_u64_u32 v[10:11], null, v2, s11, v[1:2]
	v_mov_b32_e32 v2, v3
	s_delay_alu instid0(VALU_DEP_2)
	v_dual_mov_b32 v0, v9 :: v_dual_mov_b32 v1, v10
	s_cbranch_scc1 .LBB87_25
.LBB87_26:
	s_and_not1_b32 vcc_lo, exec_lo, s6
	s_cbranch_vccnz .LBB87_29
; %bb.27:
	s_clause 0x1
	s_load_b128 s[4:7], s[0:1], 0x4
	s_load_b64 s[2:3], s[0:1], 0xc4
	s_cmp_lt_u32 s22, 2
	s_waitcnt lgkmcnt(0)
	v_mul_hi_u32 v0, s5, v4
	s_delay_alu instid0(VALU_DEP_1) | instskip(NEXT) | instid1(VALU_DEP_1)
	v_add_nc_u32_e32 v0, v4, v0
	v_lshrrev_b32_e32 v2, s6, v0
	s_delay_alu instid0(VALU_DEP_1) | instskip(NEXT) | instid1(VALU_DEP_1)
	v_mul_lo_u32 v0, v2, s4
	v_sub_nc_u32_e32 v1, v4, v0
	s_delay_alu instid0(VALU_DEP_1)
	v_mul_lo_u32 v0, v1, s2
	v_mul_lo_u32 v1, v1, s3
	s_cbranch_scc1 .LBB87_29
; %bb.28:
	s_clause 0x1
	s_load_b128 s[4:7], s[0:1], 0x10
	s_load_b64 s[2:3], s[0:1], 0xcc
	s_waitcnt lgkmcnt(0)
	v_mul_hi_u32 v3, s5, v2
	s_delay_alu instid0(VALU_DEP_1) | instskip(NEXT) | instid1(VALU_DEP_1)
	v_add_nc_u32_e32 v3, v2, v3
	v_lshrrev_b32_e32 v3, s6, v3
	s_delay_alu instid0(VALU_DEP_1) | instskip(NEXT) | instid1(VALU_DEP_1)
	v_mul_lo_u32 v3, v3, s4
	v_sub_nc_u32_e32 v5, v2, v3
	s_delay_alu instid0(VALU_DEP_1) | instskip(NEXT) | instid1(VALU_DEP_1)
	v_mad_u64_u32 v[2:3], null, v5, s2, v[0:1]
	v_mad_u64_u32 v[9:10], null, v5, s3, v[1:2]
	s_delay_alu instid0(VALU_DEP_1)
	v_dual_mov_b32 v0, v2 :: v_dual_mov_b32 v1, v9
.LBB87_29:
	v_cmp_ne_u32_e32 vcc_lo, 1, v6
	v_add_nc_u32_e32 v5, 0x80, v4
	s_cbranch_vccnz .LBB87_35
; %bb.30:
	v_dual_mov_b32 v2, 0 :: v_dual_mov_b32 v3, 0
	s_cmp_lg_u32 s22, 0
	s_mov_b32 s6, 0
	s_cbranch_scc0 .LBB87_39
; %bb.31:
	s_min_u32 s7, s23, 15
	v_mov_b32_e32 v2, 0
	s_add_i32 s7, s7, 1
	s_cmp_eq_u32 s23, 2
	s_mov_b32 s8, 0
	s_cbranch_scc1 .LBB87_36
; %bb.32:
	v_dual_mov_b32 v3, 0 :: v_dual_mov_b32 v2, 0
	v_mov_b32_e32 v7, v5
	s_add_u32 s2, s0, 0xc4
	s_addc_u32 s3, s1, 0
	s_and_b32 s8, s7, 28
	s_mov_b32 s9, 0
	s_mov_b64 s[4:5], s[0:1]
.LBB87_33:                              ; =>This Inner Loop Header: Depth=1
	s_clause 0x1
	s_load_b256 s[12:19], s[4:5], 0x4
	s_load_b128 s[36:39], s[4:5], 0x24
	s_load_b256 s[24:31], s[2:3], 0x0
	s_add_u32 s4, s4, 48
	s_addc_u32 s5, s5, 0
	s_add_i32 s9, s9, 4
	s_add_u32 s2, s2, 32
	s_addc_u32 s3, s3, 0
	s_cmp_lg_u32 s8, s9
	s_waitcnt lgkmcnt(0)
	v_mul_hi_u32 v9, s13, v7
	s_delay_alu instid0(VALU_DEP_1) | instskip(NEXT) | instid1(VALU_DEP_1)
	v_add_nc_u32_e32 v9, v7, v9
	v_lshrrev_b32_e32 v9, s14, v9
	s_delay_alu instid0(VALU_DEP_1) | instskip(SKIP_1) | instid1(VALU_DEP_2)
	v_mul_hi_u32 v10, s16, v9
	v_mul_lo_u32 v12, v9, s12
	v_add_nc_u32_e32 v10, v9, v10
	s_delay_alu instid0(VALU_DEP_2) | instskip(NEXT) | instid1(VALU_DEP_2)
	v_sub_nc_u32_e32 v7, v7, v12
	v_lshrrev_b32_e32 v10, s17, v10
	s_delay_alu instid0(VALU_DEP_2) | instskip(SKIP_1) | instid1(VALU_DEP_3)
	v_mul_lo_u32 v12, v7, s24
	v_mul_lo_u32 v14, v7, s25
	v_mul_hi_u32 v11, s19, v10
	s_delay_alu instid0(VALU_DEP_1) | instskip(NEXT) | instid1(VALU_DEP_1)
	v_add_nc_u32_e32 v11, v10, v11
	v_lshrrev_b32_e32 v11, s36, v11
	s_delay_alu instid0(VALU_DEP_1) | instskip(SKIP_1) | instid1(VALU_DEP_2)
	v_mul_hi_u32 v13, s38, v11
	v_mul_lo_u32 v15, v11, s18
	v_add_nc_u32_e32 v7, v11, v13
	v_mul_lo_u32 v13, v10, s15
	s_delay_alu instid0(VALU_DEP_3) | instskip(NEXT) | instid1(VALU_DEP_3)
	v_sub_nc_u32_e32 v10, v10, v15
	v_lshrrev_b32_e32 v7, s39, v7
	s_delay_alu instid0(VALU_DEP_2) | instskip(SKIP_2) | instid1(VALU_DEP_4)
	v_mul_lo_u32 v15, v10, s28
	v_mul_lo_u32 v10, v10, s29
	v_sub_nc_u32_e32 v9, v9, v13
	v_mul_lo_u32 v16, v7, s37
	s_delay_alu instid0(VALU_DEP_2) | instskip(SKIP_1) | instid1(VALU_DEP_3)
	v_mul_lo_u32 v13, v9, s26
	v_mul_lo_u32 v9, v9, s27
	v_sub_nc_u32_e32 v11, v11, v16
	s_delay_alu instid0(VALU_DEP_3) | instskip(NEXT) | instid1(VALU_DEP_2)
	v_add3_u32 v2, v12, v2, v13
	v_mul_lo_u32 v16, v11, s30
	v_mul_lo_u32 v11, v11, s31
	v_add3_u32 v3, v14, v3, v9
	s_delay_alu instid0(VALU_DEP_3) | instskip(NEXT) | instid1(VALU_DEP_2)
	v_add3_u32 v2, v15, v2, v16
	v_add3_u32 v3, v10, v3, v11
	s_cbranch_scc1 .LBB87_33
; %bb.34:
	s_and_b32 s7, s7, 3
	s_delay_alu instid0(SALU_CYCLE_1)
	s_cmp_eq_u32 s7, 0
	s_cbranch_scc0 .LBB87_37
	s_branch .LBB87_39
.LBB87_35:
	s_mov_b32 s6, -1
                                        ; implicit-def: $vgpr2
                                        ; implicit-def: $vgpr3
	s_branch .LBB87_39
.LBB87_36:
	v_mov_b32_e32 v7, v5
	v_mov_b32_e32 v3, 0
	s_and_b32 s7, s7, 3
	s_delay_alu instid0(SALU_CYCLE_1)
	s_cmp_eq_u32 s7, 0
	s_cbranch_scc1 .LBB87_39
.LBB87_37:
	s_lshl_b32 s2, s8, 3
	s_mul_i32 s4, s8, 12
	s_add_u32 s2, s2, s0
	s_addc_u32 s3, 0, s1
	s_add_u32 s2, s2, 0xc4
	s_addc_u32 s3, s3, 0
	;; [unrolled: 2-line block ×3, first 2 shown]
	.p2align	6
.LBB87_38:                              ; =>This Inner Loop Header: Depth=1
	s_clause 0x1
	s_load_b64 s[8:9], s[4:5], 0x4
	s_load_b32 s12, s[4:5], 0xc
	s_load_b64 s[10:11], s[2:3], 0x0
	s_add_u32 s4, s4, 12
	s_addc_u32 s5, s5, 0
	s_add_u32 s2, s2, 8
	s_addc_u32 s3, s3, 0
	s_add_i32 s7, s7, -1
	s_delay_alu instid0(SALU_CYCLE_1) | instskip(SKIP_2) | instid1(VALU_DEP_1)
	s_cmp_lg_u32 s7, 0
	s_waitcnt lgkmcnt(0)
	v_mul_hi_u32 v9, s9, v7
	v_add_nc_u32_e32 v9, v7, v9
	s_delay_alu instid0(VALU_DEP_1) | instskip(NEXT) | instid1(VALU_DEP_1)
	v_lshrrev_b32_e32 v12, s12, v9
	v_mul_lo_u32 v9, v12, s8
	s_delay_alu instid0(VALU_DEP_1) | instskip(NEXT) | instid1(VALU_DEP_1)
	v_sub_nc_u32_e32 v7, v7, v9
	v_mad_u64_u32 v[9:10], null, v7, s10, v[2:3]
	v_mad_u64_u32 v[10:11], null, v7, s11, v[3:4]
	s_delay_alu instid0(VALU_DEP_2) | instskip(NEXT) | instid1(VALU_DEP_2)
	v_dual_mov_b32 v7, v12 :: v_dual_mov_b32 v2, v9
	v_mov_b32_e32 v3, v10
	s_cbranch_scc1 .LBB87_38
.LBB87_39:
	s_and_not1_b32 vcc_lo, exec_lo, s6
	s_cbranch_vccnz .LBB87_42
; %bb.40:
	s_clause 0x1
	s_load_b128 s[4:7], s[0:1], 0x4
	s_load_b64 s[2:3], s[0:1], 0xc4
	s_cmp_lt_u32 s22, 2
	s_waitcnt lgkmcnt(0)
	v_mul_hi_u32 v2, s5, v5
	s_delay_alu instid0(VALU_DEP_1) | instskip(NEXT) | instid1(VALU_DEP_1)
	v_add_nc_u32_e32 v2, v5, v2
	v_lshrrev_b32_e32 v7, s6, v2
	s_delay_alu instid0(VALU_DEP_1) | instskip(NEXT) | instid1(VALU_DEP_1)
	v_mul_lo_u32 v2, v7, s4
	v_sub_nc_u32_e32 v3, v5, v2
	s_delay_alu instid0(VALU_DEP_1)
	v_mul_lo_u32 v2, v3, s2
	v_mul_lo_u32 v3, v3, s3
	s_cbranch_scc1 .LBB87_42
; %bb.41:
	s_clause 0x1
	s_load_b128 s[4:7], s[0:1], 0x10
	s_load_b64 s[2:3], s[0:1], 0xcc
	s_waitcnt lgkmcnt(0)
	v_mul_hi_u32 v5, s5, v7
	s_delay_alu instid0(VALU_DEP_1) | instskip(NEXT) | instid1(VALU_DEP_1)
	v_add_nc_u32_e32 v5, v7, v5
	v_lshrrev_b32_e32 v5, s6, v5
	s_delay_alu instid0(VALU_DEP_1) | instskip(NEXT) | instid1(VALU_DEP_1)
	v_mul_lo_u32 v5, v5, s4
	v_sub_nc_u32_e32 v5, v7, v5
	s_delay_alu instid0(VALU_DEP_1) | instskip(SKIP_1) | instid1(VALU_DEP_1)
	v_mad_u64_u32 v[9:10], null, v5, s2, v[2:3]
	v_mad_u64_u32 v[10:11], null, v5, s3, v[3:4]
	v_dual_mov_b32 v2, v9 :: v_dual_mov_b32 v3, v10
.LBB87_42:
	v_cmp_ne_u32_e32 vcc_lo, 1, v6
	v_add_nc_u32_e32 v7, 0x100, v4
	s_cbranch_vccnz .LBB87_48
; %bb.43:
	v_dual_mov_b32 v4, 0 :: v_dual_mov_b32 v5, 0
	s_cmp_lg_u32 s22, 0
	s_mov_b32 s6, 0
	s_cbranch_scc0 .LBB87_52
; %bb.44:
	s_min_u32 s7, s23, 15
	v_mov_b32_e32 v4, 0
	s_add_i32 s7, s7, 1
	s_cmp_eq_u32 s23, 2
	s_mov_b32 s8, 0
	s_cbranch_scc1 .LBB87_49
; %bb.45:
	v_dual_mov_b32 v5, 0 :: v_dual_mov_b32 v4, 0
	v_mov_b32_e32 v9, v7
	s_add_u32 s2, s0, 0xc4
	s_addc_u32 s3, s1, 0
	s_and_b32 s8, s7, 28
	s_mov_b32 s9, 0
	s_mov_b64 s[4:5], s[0:1]
.LBB87_46:                              ; =>This Inner Loop Header: Depth=1
	s_clause 0x1
	s_load_b256 s[12:19], s[4:5], 0x4
	s_load_b128 s[36:39], s[4:5], 0x24
	s_load_b256 s[24:31], s[2:3], 0x0
	s_add_u32 s4, s4, 48
	s_addc_u32 s5, s5, 0
	s_add_i32 s9, s9, 4
	s_add_u32 s2, s2, 32
	s_addc_u32 s3, s3, 0
	s_cmp_lg_u32 s8, s9
	s_waitcnt lgkmcnt(0)
	v_mul_hi_u32 v10, s13, v9
	s_delay_alu instid0(VALU_DEP_1) | instskip(NEXT) | instid1(VALU_DEP_1)
	v_add_nc_u32_e32 v10, v9, v10
	v_lshrrev_b32_e32 v10, s14, v10
	s_delay_alu instid0(VALU_DEP_1) | instskip(SKIP_1) | instid1(VALU_DEP_2)
	v_mul_hi_u32 v11, s16, v10
	v_mul_lo_u32 v13, v10, s12
	v_add_nc_u32_e32 v11, v10, v11
	s_delay_alu instid0(VALU_DEP_2) | instskip(NEXT) | instid1(VALU_DEP_2)
	v_sub_nc_u32_e32 v9, v9, v13
	v_lshrrev_b32_e32 v11, s17, v11
	s_delay_alu instid0(VALU_DEP_2) | instskip(SKIP_1) | instid1(VALU_DEP_3)
	v_mul_lo_u32 v13, v9, s24
	v_mul_lo_u32 v15, v9, s25
	v_mul_hi_u32 v12, s19, v11
	s_delay_alu instid0(VALU_DEP_1) | instskip(NEXT) | instid1(VALU_DEP_1)
	v_add_nc_u32_e32 v12, v11, v12
	v_lshrrev_b32_e32 v12, s36, v12
	s_delay_alu instid0(VALU_DEP_1) | instskip(SKIP_1) | instid1(VALU_DEP_2)
	v_mul_hi_u32 v14, s38, v12
	v_mul_lo_u32 v16, v12, s18
	v_add_nc_u32_e32 v9, v12, v14
	v_mul_lo_u32 v14, v11, s15
	s_delay_alu instid0(VALU_DEP_3) | instskip(NEXT) | instid1(VALU_DEP_3)
	v_sub_nc_u32_e32 v11, v11, v16
	v_lshrrev_b32_e32 v9, s39, v9
	s_delay_alu instid0(VALU_DEP_2) | instskip(SKIP_2) | instid1(VALU_DEP_4)
	v_mul_lo_u32 v16, v11, s28
	v_mul_lo_u32 v11, v11, s29
	v_sub_nc_u32_e32 v10, v10, v14
	v_mul_lo_u32 v17, v9, s37
	s_delay_alu instid0(VALU_DEP_2) | instskip(SKIP_1) | instid1(VALU_DEP_3)
	v_mul_lo_u32 v14, v10, s26
	v_mul_lo_u32 v10, v10, s27
	v_sub_nc_u32_e32 v12, v12, v17
	s_delay_alu instid0(VALU_DEP_3) | instskip(NEXT) | instid1(VALU_DEP_2)
	v_add3_u32 v4, v13, v4, v14
	v_mul_lo_u32 v17, v12, s30
	v_mul_lo_u32 v12, v12, s31
	v_add3_u32 v5, v15, v5, v10
	s_delay_alu instid0(VALU_DEP_3) | instskip(NEXT) | instid1(VALU_DEP_2)
	v_add3_u32 v4, v16, v4, v17
	v_add3_u32 v5, v11, v5, v12
	s_cbranch_scc1 .LBB87_46
; %bb.47:
	s_and_b32 s7, s7, 3
	s_delay_alu instid0(SALU_CYCLE_1)
	s_cmp_eq_u32 s7, 0
	s_cbranch_scc0 .LBB87_50
	s_branch .LBB87_52
.LBB87_48:
	s_mov_b32 s6, -1
                                        ; implicit-def: $vgpr4
                                        ; implicit-def: $vgpr5
	s_branch .LBB87_52
.LBB87_49:
	v_mov_b32_e32 v9, v7
	v_mov_b32_e32 v5, 0
	s_and_b32 s7, s7, 3
	s_delay_alu instid0(SALU_CYCLE_1)
	s_cmp_eq_u32 s7, 0
	s_cbranch_scc1 .LBB87_52
.LBB87_50:
	s_lshl_b32 s2, s8, 3
	s_mul_i32 s4, s8, 12
	s_add_u32 s2, s2, s0
	s_addc_u32 s3, 0, s1
	s_add_u32 s2, s2, 0xc4
	s_addc_u32 s3, s3, 0
	;; [unrolled: 2-line block ×3, first 2 shown]
	.p2align	6
.LBB87_51:                              ; =>This Inner Loop Header: Depth=1
	s_clause 0x1
	s_load_b64 s[8:9], s[4:5], 0x4
	s_load_b32 s12, s[4:5], 0xc
	s_load_b64 s[10:11], s[2:3], 0x0
	s_add_u32 s4, s4, 12
	s_addc_u32 s5, s5, 0
	s_add_u32 s2, s2, 8
	s_addc_u32 s3, s3, 0
	s_add_i32 s7, s7, -1
	s_delay_alu instid0(SALU_CYCLE_1) | instskip(SKIP_2) | instid1(VALU_DEP_1)
	s_cmp_lg_u32 s7, 0
	s_waitcnt lgkmcnt(0)
	v_mul_hi_u32 v10, s9, v9
	v_add_nc_u32_e32 v10, v9, v10
	s_delay_alu instid0(VALU_DEP_1) | instskip(NEXT) | instid1(VALU_DEP_1)
	v_lshrrev_b32_e32 v13, s12, v10
	v_mul_lo_u32 v10, v13, s8
	s_delay_alu instid0(VALU_DEP_1) | instskip(NEXT) | instid1(VALU_DEP_1)
	v_sub_nc_u32_e32 v9, v9, v10
	v_mad_u64_u32 v[10:11], null, v9, s10, v[4:5]
	v_mad_u64_u32 v[11:12], null, v9, s11, v[5:6]
	s_delay_alu instid0(VALU_DEP_2) | instskip(NEXT) | instid1(VALU_DEP_2)
	v_dual_mov_b32 v9, v13 :: v_dual_mov_b32 v4, v10
	v_mov_b32_e32 v5, v11
	s_cbranch_scc1 .LBB87_51
.LBB87_52:
	s_and_not1_b32 vcc_lo, exec_lo, s6
	s_cbranch_vccnz .LBB87_55
; %bb.53:
	s_clause 0x1
	s_load_b128 s[4:7], s[0:1], 0x4
	s_load_b64 s[2:3], s[0:1], 0xc4
	s_cmp_lt_u32 s22, 2
	s_waitcnt lgkmcnt(0)
	v_mul_hi_u32 v4, s5, v7
	s_delay_alu instid0(VALU_DEP_1) | instskip(NEXT) | instid1(VALU_DEP_1)
	v_add_nc_u32_e32 v4, v7, v4
	v_lshrrev_b32_e32 v9, s6, v4
	s_delay_alu instid0(VALU_DEP_1) | instskip(NEXT) | instid1(VALU_DEP_1)
	v_mul_lo_u32 v4, v9, s4
	v_sub_nc_u32_e32 v5, v7, v4
	s_delay_alu instid0(VALU_DEP_1)
	v_mul_lo_u32 v4, v5, s2
	v_mul_lo_u32 v5, v5, s3
	s_cbranch_scc1 .LBB87_55
; %bb.54:
	s_clause 0x1
	s_load_b128 s[4:7], s[0:1], 0x10
	s_load_b64 s[2:3], s[0:1], 0xcc
	s_waitcnt lgkmcnt(0)
	v_mul_hi_u32 v7, s5, v9
	s_delay_alu instid0(VALU_DEP_1) | instskip(NEXT) | instid1(VALU_DEP_1)
	v_add_nc_u32_e32 v7, v9, v7
	v_lshrrev_b32_e32 v7, s6, v7
	s_delay_alu instid0(VALU_DEP_1) | instskip(NEXT) | instid1(VALU_DEP_1)
	v_mul_lo_u32 v7, v7, s4
	v_sub_nc_u32_e32 v7, v9, v7
	s_delay_alu instid0(VALU_DEP_1) | instskip(SKIP_1) | instid1(VALU_DEP_1)
	v_mad_u64_u32 v[9:10], null, v7, s2, v[4:5]
	v_mad_u64_u32 v[10:11], null, v7, s3, v[5:6]
	v_dual_mov_b32 v4, v9 :: v_dual_mov_b32 v5, v10
.LBB87_55:
	v_cmp_ne_u32_e32 vcc_lo, 1, v6
	s_cbranch_vccnz .LBB87_61
; %bb.56:
	v_dual_mov_b32 v6, 0 :: v_dual_mov_b32 v7, 0
	s_cmp_lg_u32 s22, 0
	s_mov_b32 s6, 0
	s_cbranch_scc0 .LBB87_65
; %bb.57:
	s_min_u32 s7, s23, 15
	v_mov_b32_e32 v6, 0
	s_add_i32 s7, s7, 1
	s_cmp_eq_u32 s23, 2
	s_mov_b32 s8, 0
	s_cbranch_scc1 .LBB87_62
; %bb.58:
	v_dual_mov_b32 v7, 0 :: v_dual_mov_b32 v6, 0
	v_mov_b32_e32 v9, v8
	s_add_u32 s2, s0, 0xc4
	s_addc_u32 s3, s1, 0
	s_and_b32 s8, s7, 28
	s_mov_b32 s9, 0
	s_mov_b64 s[4:5], s[0:1]
.LBB87_59:                              ; =>This Inner Loop Header: Depth=1
	s_clause 0x1
	s_load_b256 s[12:19], s[4:5], 0x4
	s_load_b128 s[36:39], s[4:5], 0x24
	s_load_b256 s[24:31], s[2:3], 0x0
	s_add_u32 s4, s4, 48
	s_addc_u32 s5, s5, 0
	s_add_i32 s9, s9, 4
	s_add_u32 s2, s2, 32
	s_addc_u32 s3, s3, 0
	s_cmp_lg_u32 s8, s9
	s_waitcnt lgkmcnt(0)
	v_mul_hi_u32 v10, s13, v9
	s_delay_alu instid0(VALU_DEP_1) | instskip(NEXT) | instid1(VALU_DEP_1)
	v_add_nc_u32_e32 v10, v9, v10
	v_lshrrev_b32_e32 v10, s14, v10
	s_delay_alu instid0(VALU_DEP_1) | instskip(SKIP_1) | instid1(VALU_DEP_2)
	v_mul_hi_u32 v11, s16, v10
	v_mul_lo_u32 v13, v10, s12
	v_add_nc_u32_e32 v11, v10, v11
	s_delay_alu instid0(VALU_DEP_2) | instskip(NEXT) | instid1(VALU_DEP_2)
	v_sub_nc_u32_e32 v9, v9, v13
	v_lshrrev_b32_e32 v11, s17, v11
	s_delay_alu instid0(VALU_DEP_2) | instskip(SKIP_1) | instid1(VALU_DEP_3)
	v_mul_lo_u32 v13, v9, s24
	v_mul_lo_u32 v15, v9, s25
	v_mul_hi_u32 v12, s19, v11
	s_delay_alu instid0(VALU_DEP_1) | instskip(NEXT) | instid1(VALU_DEP_1)
	v_add_nc_u32_e32 v12, v11, v12
	v_lshrrev_b32_e32 v12, s36, v12
	s_delay_alu instid0(VALU_DEP_1) | instskip(SKIP_1) | instid1(VALU_DEP_2)
	v_mul_hi_u32 v14, s38, v12
	v_mul_lo_u32 v16, v12, s18
	v_add_nc_u32_e32 v9, v12, v14
	v_mul_lo_u32 v14, v11, s15
	s_delay_alu instid0(VALU_DEP_3) | instskip(NEXT) | instid1(VALU_DEP_3)
	v_sub_nc_u32_e32 v11, v11, v16
	v_lshrrev_b32_e32 v9, s39, v9
	s_delay_alu instid0(VALU_DEP_2) | instskip(SKIP_2) | instid1(VALU_DEP_4)
	v_mul_lo_u32 v16, v11, s28
	v_mul_lo_u32 v11, v11, s29
	v_sub_nc_u32_e32 v10, v10, v14
	v_mul_lo_u32 v17, v9, s37
	s_delay_alu instid0(VALU_DEP_2) | instskip(SKIP_1) | instid1(VALU_DEP_3)
	v_mul_lo_u32 v14, v10, s26
	v_mul_lo_u32 v10, v10, s27
	v_sub_nc_u32_e32 v12, v12, v17
	s_delay_alu instid0(VALU_DEP_3) | instskip(NEXT) | instid1(VALU_DEP_2)
	v_add3_u32 v6, v13, v6, v14
	v_mul_lo_u32 v17, v12, s30
	v_mul_lo_u32 v12, v12, s31
	v_add3_u32 v7, v15, v7, v10
	s_delay_alu instid0(VALU_DEP_3) | instskip(NEXT) | instid1(VALU_DEP_2)
	v_add3_u32 v6, v16, v6, v17
	v_add3_u32 v7, v11, v7, v12
	s_cbranch_scc1 .LBB87_59
; %bb.60:
	s_and_b32 s7, s7, 3
	s_delay_alu instid0(SALU_CYCLE_1)
	s_cmp_eq_u32 s7, 0
	s_cbranch_scc0 .LBB87_63
	s_branch .LBB87_65
.LBB87_61:
	s_mov_b32 s6, -1
                                        ; implicit-def: $vgpr6
                                        ; implicit-def: $vgpr7
	s_branch .LBB87_65
.LBB87_62:
	v_mov_b32_e32 v9, v8
	v_mov_b32_e32 v7, 0
	s_and_b32 s7, s7, 3
	s_delay_alu instid0(SALU_CYCLE_1)
	s_cmp_eq_u32 s7, 0
	s_cbranch_scc1 .LBB87_65
.LBB87_63:
	s_lshl_b32 s2, s8, 3
	s_mul_i32 s4, s8, 12
	s_add_u32 s2, s2, s0
	s_addc_u32 s3, 0, s1
	s_add_u32 s2, s2, 0xc4
	s_addc_u32 s3, s3, 0
	;; [unrolled: 2-line block ×3, first 2 shown]
	.p2align	6
.LBB87_64:                              ; =>This Inner Loop Header: Depth=1
	s_clause 0x1
	s_load_b64 s[8:9], s[4:5], 0x4
	s_load_b32 s12, s[4:5], 0xc
	s_load_b64 s[10:11], s[2:3], 0x0
	s_add_u32 s4, s4, 12
	s_addc_u32 s5, s5, 0
	s_add_u32 s2, s2, 8
	s_addc_u32 s3, s3, 0
	s_add_i32 s7, s7, -1
	s_delay_alu instid0(SALU_CYCLE_1) | instskip(SKIP_2) | instid1(VALU_DEP_1)
	s_cmp_lg_u32 s7, 0
	s_waitcnt lgkmcnt(0)
	v_mul_hi_u32 v10, s9, v9
	v_add_nc_u32_e32 v10, v9, v10
	s_delay_alu instid0(VALU_DEP_1) | instskip(NEXT) | instid1(VALU_DEP_1)
	v_lshrrev_b32_e32 v13, s12, v10
	v_mul_lo_u32 v10, v13, s8
	s_delay_alu instid0(VALU_DEP_1) | instskip(NEXT) | instid1(VALU_DEP_1)
	v_sub_nc_u32_e32 v9, v9, v10
	v_mad_u64_u32 v[10:11], null, v9, s10, v[6:7]
	v_mad_u64_u32 v[11:12], null, v9, s11, v[7:8]
	s_delay_alu instid0(VALU_DEP_2) | instskip(NEXT) | instid1(VALU_DEP_2)
	v_dual_mov_b32 v9, v13 :: v_dual_mov_b32 v6, v10
	v_mov_b32_e32 v7, v11
	s_cbranch_scc1 .LBB87_64
.LBB87_65:
	s_and_not1_b32 vcc_lo, exec_lo, s6
	s_cbranch_vccnz .LBB87_68
; %bb.66:
	s_clause 0x1
	s_load_b128 s[4:7], s[0:1], 0x4
	s_load_b64 s[2:3], s[0:1], 0xc4
	s_cmp_lt_u32 s22, 2
	s_waitcnt lgkmcnt(0)
	v_mul_hi_u32 v6, s5, v8
	s_delay_alu instid0(VALU_DEP_1) | instskip(NEXT) | instid1(VALU_DEP_1)
	v_add_nc_u32_e32 v6, v8, v6
	v_lshrrev_b32_e32 v9, s6, v6
	s_delay_alu instid0(VALU_DEP_1) | instskip(NEXT) | instid1(VALU_DEP_1)
	v_mul_lo_u32 v6, v9, s4
	v_sub_nc_u32_e32 v7, v8, v6
	s_delay_alu instid0(VALU_DEP_1)
	v_mul_lo_u32 v6, v7, s2
	v_mul_lo_u32 v7, v7, s3
	s_cbranch_scc1 .LBB87_68
; %bb.67:
	s_clause 0x1
	s_load_b128 s[4:7], s[0:1], 0x10
	s_load_b64 s[2:3], s[0:1], 0xcc
	s_waitcnt lgkmcnt(0)
	v_mul_hi_u32 v8, s5, v9
	s_delay_alu instid0(VALU_DEP_1) | instskip(NEXT) | instid1(VALU_DEP_1)
	v_add_nc_u32_e32 v8, v9, v8
	v_lshrrev_b32_e32 v8, s6, v8
	s_delay_alu instid0(VALU_DEP_1) | instskip(NEXT) | instid1(VALU_DEP_1)
	v_mul_lo_u32 v8, v8, s4
	v_sub_nc_u32_e32 v11, v9, v8
	s_delay_alu instid0(VALU_DEP_1) | instskip(NEXT) | instid1(VALU_DEP_1)
	v_mad_u64_u32 v[8:9], null, v11, s2, v[6:7]
	v_mad_u64_u32 v[9:10], null, v11, s3, v[7:8]
	s_delay_alu instid0(VALU_DEP_1)
	v_dual_mov_b32 v6, v8 :: v_dual_mov_b32 v7, v9
.LBB87_68:
	s_load_b128 s[0:3], s[0:1], 0x148
	s_waitcnt lgkmcnt(0)
	s_clause 0x3
	global_load_b32 v1, v1, s[2:3]
	global_load_b32 v3, v3, s[2:3]
	;; [unrolled: 1-line block ×4, first 2 shown]
	s_waitcnt vmcnt(2)
	v_dual_mul_f32 v8, 0x3fb8aa3b, v1 :: v_dual_mul_f32 v9, 0x3fb8aa3b, v3
	s_waitcnt vmcnt(0)
	v_dual_mul_f32 v10, 0x3fb8aa3b, v5 :: v_dual_mul_f32 v11, 0x3fb8aa3b, v7
	v_cmp_ngt_f32_e32 vcc_lo, 0xc2ce8ed0, v1
	s_delay_alu instid0(VALU_DEP_3)
	v_fma_f32 v12, 0x3fb8aa3b, v1, -v8
	v_rndne_f32_e32 v13, v8
	v_rndne_f32_e32 v15, v9
	;; [unrolled: 1-line block ×3, first 2 shown]
	v_fma_f32 v14, 0x3fb8aa3b, v3, -v9
	v_fmac_f32_e32 v12, 0x32a5705f, v1
	v_sub_f32_e32 v8, v8, v13
	v_fma_f32 v18, 0x3fb8aa3b, v7, -v11
	v_sub_f32_e32 v11, v11, v19
	v_sub_f32_e32 v9, v9, v15
	v_fma_f32 v16, 0x3fb8aa3b, v5, -v10
	v_add_f32_e32 v8, v8, v12
	v_cvt_i32_f32_e32 v12, v13
	v_rndne_f32_e32 v17, v10
	v_cvt_i32_f32_e32 v13, v15
	v_cvt_i32_f32_e32 v15, v19
	v_exp_f32_e32 v8, v8
	s_waitcnt_depctr 0xfff
	v_ldexp_f32 v8, v8, v12
	s_delay_alu instid0(VALU_DEP_1) | instskip(SKIP_2) | instid1(VALU_DEP_1)
	v_cndmask_b32_e32 v8, 0, v8, vcc_lo
	v_cmp_ngt_f32_e32 vcc_lo, 0xc2ce8ed0, v3
	v_fmac_f32_e32 v18, 0x32a5705f, v7
	v_dual_fmac_f32 v14, 0x32a5705f, v3 :: v_dual_add_f32 v11, v11, v18
	s_delay_alu instid0(VALU_DEP_1) | instskip(SKIP_1) | instid1(VALU_DEP_3)
	v_dual_fmac_f32 v16, 0x32a5705f, v5 :: v_dual_add_f32 v9, v9, v14
	v_cvt_i32_f32_e32 v14, v17
	v_exp_f32_e32 v11, v11
	s_delay_alu instid0(VALU_DEP_2) | instskip(SKIP_4) | instid1(VALU_DEP_1)
	v_exp_f32_e32 v9, v9
	s_waitcnt_depctr 0xfff
	v_ldexp_f32 v11, v11, v15
	v_sub_f32_e32 v10, v10, v17
	v_ldexp_f32 v9, v9, v13
	v_dual_add_f32 v10, v10, v16 :: v_dual_cndmask_b32 v9, 0, v9
	v_cmp_ngt_f32_e32 vcc_lo, 0xc2ce8ed0, v5
	s_delay_alu instid0(VALU_DEP_2) | instskip(SKIP_2) | instid1(VALU_DEP_1)
	v_exp_f32_e32 v10, v10
	s_waitcnt_depctr 0xfff
	v_ldexp_f32 v10, v10, v14
	v_cndmask_b32_e32 v10, 0, v10, vcc_lo
	v_cmp_ngt_f32_e32 vcc_lo, 0xc2ce8ed0, v7
	v_cndmask_b32_e32 v11, 0, v11, vcc_lo
	v_cmp_nlt_f32_e32 vcc_lo, 0x42b17218, v1
	v_cndmask_b32_e32 v1, 0x7f800000, v8, vcc_lo
	v_cmp_nlt_f32_e32 vcc_lo, 0x42b17218, v3
	;; [unrolled: 2-line block ×4, first 2 shown]
	v_cndmask_b32_e32 v7, 0x7f800000, v11, vcc_lo
	s_clause 0x3
	global_store_b32 v0, v1, s[0:1]
	global_store_b32 v2, v3, s[0:1]
	;; [unrolled: 1-line block ×4, first 2 shown]
	s_nop 0
	s_sendmsg sendmsg(MSG_DEALLOC_VGPRS)
	s_endpgm
.LBB87_69:
	v_dual_mov_b32 v2, v4 :: v_dual_mov_b32 v1, 0
.LBB87_70:
	s_and_b32 s34, s34, 3
	s_delay_alu instid0(SALU_CYCLE_1)
	s_cmp_eq_u32 s34, 0
	s_cbranch_scc1 .LBB87_73
; %bb.71:
	s_lshl_b32 s18, s33, 3
	s_mul_i32 s20, s33, 12
	s_add_u32 s18, s18, s0
	s_addc_u32 s19, s1, 0
	s_add_u32 s18, s18, 0xc4
	s_addc_u32 s19, s19, 0
	;; [unrolled: 2-line block ×3, first 2 shown]
	.p2align	6
.LBB87_72:                              ; =>This Inner Loop Header: Depth=1
	s_clause 0x1
	s_load_b64 s[36:37], s[20:21], 0x4
	s_load_b32 s33, s[20:21], 0xc
	s_load_b64 s[38:39], s[18:19], 0x0
	s_add_u32 s20, s20, 12
	s_addc_u32 s21, s21, 0
	s_add_u32 s18, s18, 8
	s_addc_u32 s19, s19, 0
	s_add_i32 s34, s34, -1
	s_delay_alu instid0(SALU_CYCLE_1) | instskip(SKIP_2) | instid1(VALU_DEP_1)
	s_cmp_lg_u32 s34, 0
	s_waitcnt lgkmcnt(0)
	v_mul_hi_u32 v3, s37, v2
	v_add_nc_u32_e32 v3, v2, v3
	s_delay_alu instid0(VALU_DEP_1) | instskip(NEXT) | instid1(VALU_DEP_1)
	v_lshrrev_b32_e32 v3, s33, v3
	v_mul_lo_u32 v5, v3, s36
	s_delay_alu instid0(VALU_DEP_1) | instskip(NEXT) | instid1(VALU_DEP_1)
	v_sub_nc_u32_e32 v2, v2, v5
	v_mad_u64_u32 v[5:6], null, v2, s38, v[0:1]
	v_mad_u64_u32 v[6:7], null, v2, s39, v[1:2]
	v_mov_b32_e32 v2, v3
	s_delay_alu instid0(VALU_DEP_2)
	v_dual_mov_b32 v0, v5 :: v_dual_mov_b32 v1, v6
	s_cbranch_scc1 .LBB87_72
.LBB87_73:
	s_and_not1_b32 vcc_lo, exec_lo, s31
	s_cbranch_vccnz .LBB87_76
; %bb.74:
	s_waitcnt lgkmcnt(0)
	v_mul_hi_u32 v0, s13, v4
	s_and_not1_b32 vcc_lo, exec_lo, s26
	s_delay_alu instid0(VALU_DEP_1) | instskip(NEXT) | instid1(VALU_DEP_1)
	v_add_nc_u32_e32 v0, v4, v0
	v_lshrrev_b32_e32 v2, s14, v0
	s_delay_alu instid0(VALU_DEP_1) | instskip(NEXT) | instid1(VALU_DEP_1)
	v_mul_lo_u32 v0, v2, s12
	v_sub_nc_u32_e32 v1, v4, v0
	s_delay_alu instid0(VALU_DEP_1)
	v_mul_lo_u32 v0, v1, s8
	v_mul_lo_u32 v1, v1, s9
	s_cbranch_vccnz .LBB87_76
; %bb.75:
	v_mul_hi_u32 v3, s2, v2
	s_delay_alu instid0(VALU_DEP_1) | instskip(NEXT) | instid1(VALU_DEP_1)
	v_add_nc_u32_e32 v3, v2, v3
	v_lshrrev_b32_e32 v3, s3, v3
	s_delay_alu instid0(VALU_DEP_1) | instskip(NEXT) | instid1(VALU_DEP_1)
	v_mul_lo_u32 v3, v3, s15
	v_sub_nc_u32_e32 v7, v2, v3
	s_delay_alu instid0(VALU_DEP_1) | instskip(NEXT) | instid1(VALU_DEP_1)
	v_mad_u64_u32 v[2:3], null, v7, s10, v[0:1]
	v_mad_u64_u32 v[5:6], null, v7, s11, v[1:2]
	s_delay_alu instid0(VALU_DEP_1)
	v_dual_mov_b32 v0, v2 :: v_dual_mov_b32 v1, v5
.LBB87_76:
	s_waitcnt lgkmcnt(0)
	global_load_b32 v1, v1, s[6:7]
	v_add_nc_u32_e32 v4, 0x80, v4
	s_waitcnt vmcnt(0)
	v_mul_f32_e32 v2, 0x3fb8aa3b, v1
	v_cmp_ngt_f32_e32 vcc_lo, 0xc2ce8ed0, v1
	s_delay_alu instid0(VALU_DEP_2) | instskip(SKIP_1) | instid1(VALU_DEP_1)
	v_fma_f32 v3, 0x3fb8aa3b, v1, -v2
	v_rndne_f32_e32 v5, v2
	v_dual_fmamk_f32 v3, v1, 0x32a5705f, v3 :: v_dual_sub_f32 v2, v2, v5
	s_delay_alu instid0(VALU_DEP_1) | instskip(SKIP_1) | instid1(VALU_DEP_2)
	v_add_f32_e32 v2, v2, v3
	v_cvt_i32_f32_e32 v3, v5
	v_exp_f32_e32 v2, v2
	s_waitcnt_depctr 0xfff
	v_ldexp_f32 v2, v2, v3
	s_delay_alu instid0(VALU_DEP_1) | instskip(SKIP_1) | instid1(VALU_DEP_2)
	v_cndmask_b32_e32 v2, 0, v2, vcc_lo
	v_cmp_nlt_f32_e32 vcc_lo, 0x42b17218, v1
	v_cndmask_b32_e32 v1, 0x7f800000, v2, vcc_lo
	global_store_b32 v0, v1, s[4:5]
	s_or_b32 exec_lo, exec_lo, s30
	s_delay_alu instid0(SALU_CYCLE_1)
	s_mov_b32 s30, exec_lo
	v_cmpx_gt_i32_e64 s27, v4
	s_cbranch_execnz .LBB87_15
.LBB87_77:
	s_or_b32 exec_lo, exec_lo, s30
	s_delay_alu instid0(SALU_CYCLE_1)
	s_mov_b32 s30, exec_lo
	v_cmpx_gt_i32_e64 s27, v4
	s_cbranch_execz .LBB87_92
.LBB87_78:
	s_and_not1_b32 vcc_lo, exec_lo, s24
	s_cbranch_vccnz .LBB87_83
; %bb.79:
	v_dual_mov_b32 v0, 0 :: v_dual_mov_b32 v1, 0
	s_and_not1_b32 vcc_lo, exec_lo, s29
	s_mov_b32 s31, 0
	s_cbranch_vccnz .LBB87_99
; %bb.80:
	v_mov_b32_e32 v0, 0
	s_add_i32 s34, s28, 1
	s_cmp_eq_u32 s23, 2
	s_mov_b32 s33, 0
	s_cbranch_scc1 .LBB87_95
; %bb.81:
	v_dual_mov_b32 v1, 0 :: v_dual_mov_b32 v0, 0
	v_mov_b32_e32 v2, v4
	s_and_b32 s33, s34, 28
	s_mov_b32 s35, 0
	s_mov_b64 s[18:19], s[16:17]
	s_mov_b64 s[20:21], s[0:1]
.LBB87_82:                              ; =>This Inner Loop Header: Depth=1
	s_clause 0x1
	s_load_b256 s[36:43], s[20:21], 0x4
	s_load_b128 s[52:55], s[20:21], 0x24
	s_load_b256 s[44:51], s[18:19], 0x0
	s_add_u32 s20, s20, 48
	s_addc_u32 s21, s21, 0
	s_add_i32 s35, s35, 4
	s_add_u32 s18, s18, 32
	s_addc_u32 s19, s19, 0
	s_cmp_eq_u32 s33, s35
	s_waitcnt lgkmcnt(0)
	v_mul_hi_u32 v3, s37, v2
	s_delay_alu instid0(VALU_DEP_1) | instskip(NEXT) | instid1(VALU_DEP_1)
	v_add_nc_u32_e32 v3, v2, v3
	v_lshrrev_b32_e32 v3, s38, v3
	s_delay_alu instid0(VALU_DEP_1) | instskip(SKIP_1) | instid1(VALU_DEP_2)
	v_mul_hi_u32 v5, s40, v3
	v_mul_lo_u32 v7, v3, s36
	v_add_nc_u32_e32 v5, v3, v5
	s_delay_alu instid0(VALU_DEP_2) | instskip(NEXT) | instid1(VALU_DEP_2)
	v_sub_nc_u32_e32 v2, v2, v7
	v_lshrrev_b32_e32 v5, s41, v5
	s_delay_alu instid0(VALU_DEP_2) | instskip(SKIP_1) | instid1(VALU_DEP_3)
	v_mul_lo_u32 v7, v2, s44
	v_mul_lo_u32 v9, v2, s45
	v_mul_hi_u32 v6, s43, v5
	s_delay_alu instid0(VALU_DEP_1) | instskip(NEXT) | instid1(VALU_DEP_1)
	v_add_nc_u32_e32 v6, v5, v6
	v_lshrrev_b32_e32 v6, s52, v6
	s_delay_alu instid0(VALU_DEP_1) | instskip(SKIP_1) | instid1(VALU_DEP_2)
	v_mul_hi_u32 v8, s54, v6
	v_mul_lo_u32 v10, v6, s42
	v_add_nc_u32_e32 v2, v6, v8
	v_mul_lo_u32 v8, v5, s39
	s_delay_alu instid0(VALU_DEP_3) | instskip(NEXT) | instid1(VALU_DEP_3)
	v_sub_nc_u32_e32 v5, v5, v10
	v_lshrrev_b32_e32 v2, s55, v2
	s_delay_alu instid0(VALU_DEP_2) | instskip(SKIP_2) | instid1(VALU_DEP_4)
	v_mul_lo_u32 v10, v5, s48
	v_mul_lo_u32 v5, v5, s49
	v_sub_nc_u32_e32 v3, v3, v8
	v_mul_lo_u32 v11, v2, s53
	s_delay_alu instid0(VALU_DEP_2) | instskip(SKIP_1) | instid1(VALU_DEP_3)
	v_mul_lo_u32 v8, v3, s46
	v_mul_lo_u32 v3, v3, s47
	v_sub_nc_u32_e32 v6, v6, v11
	s_delay_alu instid0(VALU_DEP_3) | instskip(NEXT) | instid1(VALU_DEP_2)
	v_add3_u32 v0, v7, v0, v8
	v_mul_lo_u32 v11, v6, s50
	v_mul_lo_u32 v6, v6, s51
	v_add3_u32 v1, v9, v1, v3
	s_delay_alu instid0(VALU_DEP_3) | instskip(NEXT) | instid1(VALU_DEP_2)
	v_add3_u32 v0, v10, v0, v11
	v_add3_u32 v1, v5, v1, v6
	s_cbranch_scc0 .LBB87_82
	s_branch .LBB87_96
.LBB87_83:
	s_mov_b32 s31, -1
                                        ; implicit-def: $vgpr0
                                        ; implicit-def: $vgpr1
	s_branch .LBB87_99
.LBB87_84:
	v_dual_mov_b32 v2, v4 :: v_dual_mov_b32 v1, 0
.LBB87_85:
	s_and_b32 s34, s34, 3
	s_delay_alu instid0(SALU_CYCLE_1)
	s_cmp_eq_u32 s34, 0
	s_cbranch_scc1 .LBB87_88
; %bb.86:
	s_lshl_b32 s18, s33, 3
	s_mul_i32 s20, s33, 12
	s_add_u32 s18, s18, s0
	s_addc_u32 s19, s1, 0
	s_add_u32 s18, s18, 0xc4
	s_addc_u32 s19, s19, 0
	;; [unrolled: 2-line block ×3, first 2 shown]
	.p2align	6
.LBB87_87:                              ; =>This Inner Loop Header: Depth=1
	s_clause 0x1
	s_load_b64 s[36:37], s[20:21], 0x4
	s_load_b32 s33, s[20:21], 0xc
	s_load_b64 s[38:39], s[18:19], 0x0
	s_add_u32 s20, s20, 12
	s_addc_u32 s21, s21, 0
	s_add_u32 s18, s18, 8
	s_addc_u32 s19, s19, 0
	s_add_i32 s34, s34, -1
	s_delay_alu instid0(SALU_CYCLE_1) | instskip(SKIP_2) | instid1(VALU_DEP_1)
	s_cmp_lg_u32 s34, 0
	s_waitcnt lgkmcnt(0)
	v_mul_hi_u32 v3, s37, v2
	v_add_nc_u32_e32 v3, v2, v3
	s_delay_alu instid0(VALU_DEP_1) | instskip(NEXT) | instid1(VALU_DEP_1)
	v_lshrrev_b32_e32 v3, s33, v3
	v_mul_lo_u32 v5, v3, s36
	s_delay_alu instid0(VALU_DEP_1) | instskip(NEXT) | instid1(VALU_DEP_1)
	v_sub_nc_u32_e32 v2, v2, v5
	v_mad_u64_u32 v[5:6], null, v2, s38, v[0:1]
	v_mad_u64_u32 v[6:7], null, v2, s39, v[1:2]
	v_mov_b32_e32 v2, v3
	s_delay_alu instid0(VALU_DEP_2)
	v_dual_mov_b32 v0, v5 :: v_dual_mov_b32 v1, v6
	s_cbranch_scc1 .LBB87_87
.LBB87_88:
	s_and_not1_b32 vcc_lo, exec_lo, s31
	s_cbranch_vccnz .LBB87_91
; %bb.89:
	s_waitcnt lgkmcnt(0)
	v_mul_hi_u32 v0, s13, v4
	s_and_not1_b32 vcc_lo, exec_lo, s26
	s_delay_alu instid0(VALU_DEP_1) | instskip(NEXT) | instid1(VALU_DEP_1)
	v_add_nc_u32_e32 v0, v4, v0
	v_lshrrev_b32_e32 v2, s14, v0
	s_delay_alu instid0(VALU_DEP_1) | instskip(NEXT) | instid1(VALU_DEP_1)
	v_mul_lo_u32 v0, v2, s12
	v_sub_nc_u32_e32 v1, v4, v0
	s_delay_alu instid0(VALU_DEP_1)
	v_mul_lo_u32 v0, v1, s8
	v_mul_lo_u32 v1, v1, s9
	s_cbranch_vccnz .LBB87_91
; %bb.90:
	v_mul_hi_u32 v3, s2, v2
	s_delay_alu instid0(VALU_DEP_1) | instskip(NEXT) | instid1(VALU_DEP_1)
	v_add_nc_u32_e32 v3, v2, v3
	v_lshrrev_b32_e32 v3, s3, v3
	s_delay_alu instid0(VALU_DEP_1) | instskip(NEXT) | instid1(VALU_DEP_1)
	v_mul_lo_u32 v3, v3, s15
	v_sub_nc_u32_e32 v7, v2, v3
	s_delay_alu instid0(VALU_DEP_1) | instskip(NEXT) | instid1(VALU_DEP_1)
	v_mad_u64_u32 v[2:3], null, v7, s10, v[0:1]
	v_mad_u64_u32 v[5:6], null, v7, s11, v[1:2]
	s_delay_alu instid0(VALU_DEP_1)
	v_dual_mov_b32 v0, v2 :: v_dual_mov_b32 v1, v5
.LBB87_91:
	s_waitcnt lgkmcnt(0)
	global_load_b32 v1, v1, s[6:7]
	v_add_nc_u32_e32 v4, 0x80, v4
	s_waitcnt vmcnt(0)
	v_mul_f32_e32 v2, 0x3fb8aa3b, v1
	v_cmp_ngt_f32_e32 vcc_lo, 0xc2ce8ed0, v1
	s_delay_alu instid0(VALU_DEP_2) | instskip(SKIP_1) | instid1(VALU_DEP_1)
	v_fma_f32 v3, 0x3fb8aa3b, v1, -v2
	v_rndne_f32_e32 v5, v2
	v_dual_fmamk_f32 v3, v1, 0x32a5705f, v3 :: v_dual_sub_f32 v2, v2, v5
	s_delay_alu instid0(VALU_DEP_1) | instskip(SKIP_1) | instid1(VALU_DEP_2)
	v_add_f32_e32 v2, v2, v3
	v_cvt_i32_f32_e32 v3, v5
	v_exp_f32_e32 v2, v2
	s_waitcnt_depctr 0xfff
	v_ldexp_f32 v2, v2, v3
	s_delay_alu instid0(VALU_DEP_1) | instskip(SKIP_1) | instid1(VALU_DEP_2)
	v_cndmask_b32_e32 v2, 0, v2, vcc_lo
	v_cmp_nlt_f32_e32 vcc_lo, 0x42b17218, v1
	v_cndmask_b32_e32 v1, 0x7f800000, v2, vcc_lo
	global_store_b32 v0, v1, s[4:5]
	s_or_b32 exec_lo, exec_lo, s30
	s_delay_alu instid0(SALU_CYCLE_1)
	s_mov_b32 s30, exec_lo
	v_cmpx_gt_i32_e64 s27, v4
	s_cbranch_execnz .LBB87_78
.LBB87_92:
	s_or_b32 exec_lo, exec_lo, s30
	s_delay_alu instid0(SALU_CYCLE_1)
	s_mov_b32 s20, exec_lo
	v_cmpx_gt_i32_e64 s27, v4
	s_cbranch_execnz .LBB87_103
.LBB87_93:
	s_or_b32 exec_lo, exec_lo, s20
                                        ; implicit-def: $vgpr8
                                        ; implicit-def: $vgpr4
	s_waitcnt lgkmcnt(0)
	s_and_not1_saveexec_b32 s2, s25
	s_cbranch_execnz .LBB87_8
.LBB87_94:
	s_nop 0
	s_sendmsg sendmsg(MSG_DEALLOC_VGPRS)
	s_endpgm
.LBB87_95:
	v_dual_mov_b32 v2, v4 :: v_dual_mov_b32 v1, 0
.LBB87_96:
	s_and_b32 s34, s34, 3
	s_delay_alu instid0(SALU_CYCLE_1)
	s_cmp_eq_u32 s34, 0
	s_cbranch_scc1 .LBB87_99
; %bb.97:
	s_lshl_b32 s18, s33, 3
	s_mul_i32 s20, s33, 12
	s_add_u32 s18, s18, s0
	s_addc_u32 s19, s1, 0
	s_add_u32 s18, s18, 0xc4
	s_addc_u32 s19, s19, 0
	;; [unrolled: 2-line block ×3, first 2 shown]
	.p2align	6
.LBB87_98:                              ; =>This Inner Loop Header: Depth=1
	s_clause 0x1
	s_load_b64 s[36:37], s[20:21], 0x4
	s_load_b32 s33, s[20:21], 0xc
	s_load_b64 s[38:39], s[18:19], 0x0
	s_add_u32 s20, s20, 12
	s_addc_u32 s21, s21, 0
	s_add_u32 s18, s18, 8
	s_addc_u32 s19, s19, 0
	s_add_i32 s34, s34, -1
	s_delay_alu instid0(SALU_CYCLE_1) | instskip(SKIP_2) | instid1(VALU_DEP_1)
	s_cmp_lg_u32 s34, 0
	s_waitcnt lgkmcnt(0)
	v_mul_hi_u32 v3, s37, v2
	v_add_nc_u32_e32 v3, v2, v3
	s_delay_alu instid0(VALU_DEP_1) | instskip(NEXT) | instid1(VALU_DEP_1)
	v_lshrrev_b32_e32 v3, s33, v3
	v_mul_lo_u32 v5, v3, s36
	s_delay_alu instid0(VALU_DEP_1) | instskip(NEXT) | instid1(VALU_DEP_1)
	v_sub_nc_u32_e32 v2, v2, v5
	v_mad_u64_u32 v[5:6], null, v2, s38, v[0:1]
	v_mad_u64_u32 v[6:7], null, v2, s39, v[1:2]
	v_mov_b32_e32 v2, v3
	s_delay_alu instid0(VALU_DEP_2)
	v_dual_mov_b32 v0, v5 :: v_dual_mov_b32 v1, v6
	s_cbranch_scc1 .LBB87_98
.LBB87_99:
	s_and_not1_b32 vcc_lo, exec_lo, s31
	s_cbranch_vccnz .LBB87_102
; %bb.100:
	s_waitcnt lgkmcnt(0)
	v_mul_hi_u32 v0, s13, v4
	s_and_not1_b32 vcc_lo, exec_lo, s26
	s_delay_alu instid0(VALU_DEP_1) | instskip(NEXT) | instid1(VALU_DEP_1)
	v_add_nc_u32_e32 v0, v4, v0
	v_lshrrev_b32_e32 v2, s14, v0
	s_delay_alu instid0(VALU_DEP_1) | instskip(NEXT) | instid1(VALU_DEP_1)
	v_mul_lo_u32 v0, v2, s12
	v_sub_nc_u32_e32 v1, v4, v0
	s_delay_alu instid0(VALU_DEP_1)
	v_mul_lo_u32 v0, v1, s8
	v_mul_lo_u32 v1, v1, s9
	s_cbranch_vccnz .LBB87_102
; %bb.101:
	v_mul_hi_u32 v3, s2, v2
	s_delay_alu instid0(VALU_DEP_1) | instskip(NEXT) | instid1(VALU_DEP_1)
	v_add_nc_u32_e32 v3, v2, v3
	v_lshrrev_b32_e32 v3, s3, v3
	s_delay_alu instid0(VALU_DEP_1) | instskip(NEXT) | instid1(VALU_DEP_1)
	v_mul_lo_u32 v3, v3, s15
	v_sub_nc_u32_e32 v7, v2, v3
	s_delay_alu instid0(VALU_DEP_1) | instskip(NEXT) | instid1(VALU_DEP_1)
	v_mad_u64_u32 v[2:3], null, v7, s10, v[0:1]
	v_mad_u64_u32 v[5:6], null, v7, s11, v[1:2]
	s_delay_alu instid0(VALU_DEP_1)
	v_dual_mov_b32 v0, v2 :: v_dual_mov_b32 v1, v5
.LBB87_102:
	s_waitcnt lgkmcnt(0)
	global_load_b32 v1, v1, s[6:7]
	v_add_nc_u32_e32 v4, 0x80, v4
	s_waitcnt vmcnt(0)
	v_mul_f32_e32 v2, 0x3fb8aa3b, v1
	v_cmp_ngt_f32_e32 vcc_lo, 0xc2ce8ed0, v1
	s_delay_alu instid0(VALU_DEP_2) | instskip(SKIP_1) | instid1(VALU_DEP_1)
	v_fma_f32 v3, 0x3fb8aa3b, v1, -v2
	v_rndne_f32_e32 v5, v2
	v_dual_fmamk_f32 v3, v1, 0x32a5705f, v3 :: v_dual_sub_f32 v2, v2, v5
	s_delay_alu instid0(VALU_DEP_1) | instskip(SKIP_1) | instid1(VALU_DEP_2)
	v_add_f32_e32 v2, v2, v3
	v_cvt_i32_f32_e32 v3, v5
	v_exp_f32_e32 v2, v2
	s_waitcnt_depctr 0xfff
	v_ldexp_f32 v2, v2, v3
	s_delay_alu instid0(VALU_DEP_1) | instskip(SKIP_1) | instid1(VALU_DEP_2)
	v_cndmask_b32_e32 v2, 0, v2, vcc_lo
	v_cmp_nlt_f32_e32 vcc_lo, 0x42b17218, v1
	v_cndmask_b32_e32 v1, 0x7f800000, v2, vcc_lo
	global_store_b32 v0, v1, s[4:5]
	s_or_b32 exec_lo, exec_lo, s30
	s_delay_alu instid0(SALU_CYCLE_1)
	s_mov_b32 s20, exec_lo
	v_cmpx_gt_i32_e64 s27, v4
	s_cbranch_execz .LBB87_93
.LBB87_103:
	s_and_not1_b32 vcc_lo, exec_lo, s24
	s_cbranch_vccnz .LBB87_108
; %bb.104:
	v_dual_mov_b32 v0, 0 :: v_dual_mov_b32 v1, 0
	s_and_not1_b32 vcc_lo, exec_lo, s29
	s_mov_b32 s21, 0
	s_cbranch_vccnz .LBB87_113
; %bb.105:
	v_mov_b32_e32 v0, 0
	s_add_i32 s28, s28, 1
	s_cmp_eq_u32 s23, 2
	s_mov_b32 s27, 0
	s_cbranch_scc1 .LBB87_109
; %bb.106:
	v_dual_mov_b32 v1, 0 :: v_dual_mov_b32 v0, 0
	v_mov_b32_e32 v2, v4
	s_and_b32 s27, s28, 28
	s_mov_b32 s29, 0
	s_mov_b64 s[18:19], s[0:1]
.LBB87_107:                             ; =>This Inner Loop Header: Depth=1
	s_clause 0x1
	s_load_b256 s[36:43], s[18:19], 0x4
	s_load_b128 s[52:55], s[18:19], 0x24
	s_load_b256 s[44:51], s[16:17], 0x0
	s_add_u32 s18, s18, 48
	s_addc_u32 s19, s19, 0
	s_add_i32 s29, s29, 4
	s_add_u32 s16, s16, 32
	s_addc_u32 s17, s17, 0
	s_cmp_eq_u32 s27, s29
	s_waitcnt lgkmcnt(0)
	v_mul_hi_u32 v3, s37, v2
	s_delay_alu instid0(VALU_DEP_1) | instskip(NEXT) | instid1(VALU_DEP_1)
	v_add_nc_u32_e32 v3, v2, v3
	v_lshrrev_b32_e32 v3, s38, v3
	s_delay_alu instid0(VALU_DEP_1) | instskip(SKIP_1) | instid1(VALU_DEP_2)
	v_mul_hi_u32 v5, s40, v3
	v_mul_lo_u32 v7, v3, s36
	v_add_nc_u32_e32 v5, v3, v5
	s_delay_alu instid0(VALU_DEP_2) | instskip(NEXT) | instid1(VALU_DEP_2)
	v_sub_nc_u32_e32 v2, v2, v7
	v_lshrrev_b32_e32 v5, s41, v5
	s_delay_alu instid0(VALU_DEP_2) | instskip(SKIP_1) | instid1(VALU_DEP_3)
	v_mul_lo_u32 v7, v2, s44
	v_mul_lo_u32 v9, v2, s45
	v_mul_hi_u32 v6, s43, v5
	s_delay_alu instid0(VALU_DEP_1) | instskip(NEXT) | instid1(VALU_DEP_1)
	v_add_nc_u32_e32 v6, v5, v6
	v_lshrrev_b32_e32 v6, s52, v6
	s_delay_alu instid0(VALU_DEP_1) | instskip(SKIP_1) | instid1(VALU_DEP_2)
	v_mul_hi_u32 v8, s54, v6
	v_mul_lo_u32 v10, v6, s42
	v_add_nc_u32_e32 v2, v6, v8
	v_mul_lo_u32 v8, v5, s39
	s_delay_alu instid0(VALU_DEP_3) | instskip(NEXT) | instid1(VALU_DEP_3)
	v_sub_nc_u32_e32 v5, v5, v10
	v_lshrrev_b32_e32 v2, s55, v2
	s_delay_alu instid0(VALU_DEP_2) | instskip(SKIP_2) | instid1(VALU_DEP_4)
	v_mul_lo_u32 v10, v5, s48
	v_mul_lo_u32 v5, v5, s49
	v_sub_nc_u32_e32 v3, v3, v8
	v_mul_lo_u32 v11, v2, s53
	s_delay_alu instid0(VALU_DEP_2) | instskip(SKIP_1) | instid1(VALU_DEP_3)
	v_mul_lo_u32 v8, v3, s46
	v_mul_lo_u32 v3, v3, s47
	v_sub_nc_u32_e32 v6, v6, v11
	s_delay_alu instid0(VALU_DEP_3) | instskip(NEXT) | instid1(VALU_DEP_2)
	v_add3_u32 v0, v7, v0, v8
	v_mul_lo_u32 v11, v6, s50
	v_mul_lo_u32 v6, v6, s51
	v_add3_u32 v1, v9, v1, v3
	s_delay_alu instid0(VALU_DEP_3) | instskip(NEXT) | instid1(VALU_DEP_2)
	v_add3_u32 v0, v10, v0, v11
	v_add3_u32 v1, v5, v1, v6
	s_cbranch_scc0 .LBB87_107
	s_branch .LBB87_110
.LBB87_108:
	s_mov_b32 s21, -1
                                        ; implicit-def: $vgpr0
                                        ; implicit-def: $vgpr1
	s_branch .LBB87_113
.LBB87_109:
	v_dual_mov_b32 v2, v4 :: v_dual_mov_b32 v1, 0
.LBB87_110:
	s_and_b32 s28, s28, 3
	s_delay_alu instid0(SALU_CYCLE_1)
	s_cmp_eq_u32 s28, 0
	s_cbranch_scc1 .LBB87_113
; %bb.111:
	s_lshl_b32 s16, s27, 3
	s_mul_i32 s18, s27, 12
	s_add_u32 s16, s16, s0
	s_addc_u32 s17, s1, 0
	s_add_u32 s16, s16, 0xc4
	s_addc_u32 s17, s17, 0
	;; [unrolled: 2-line block ×3, first 2 shown]
	.p2align	6
.LBB87_112:                             ; =>This Inner Loop Header: Depth=1
	s_clause 0x1
	s_load_b64 s[30:31], s[18:19], 0x4
	s_load_b32 s27, s[18:19], 0xc
	s_load_b64 s[34:35], s[16:17], 0x0
	s_add_u32 s18, s18, 12
	s_addc_u32 s19, s19, 0
	s_add_u32 s16, s16, 8
	s_addc_u32 s17, s17, 0
	s_add_i32 s28, s28, -1
	s_delay_alu instid0(SALU_CYCLE_1) | instskip(SKIP_2) | instid1(VALU_DEP_1)
	s_cmp_lg_u32 s28, 0
	s_waitcnt lgkmcnt(0)
	v_mul_hi_u32 v3, s31, v2
	v_add_nc_u32_e32 v3, v2, v3
	s_delay_alu instid0(VALU_DEP_1) | instskip(NEXT) | instid1(VALU_DEP_1)
	v_lshrrev_b32_e32 v3, s27, v3
	v_mul_lo_u32 v5, v3, s30
	s_delay_alu instid0(VALU_DEP_1) | instskip(NEXT) | instid1(VALU_DEP_1)
	v_sub_nc_u32_e32 v2, v2, v5
	v_mad_u64_u32 v[5:6], null, v2, s34, v[0:1]
	v_mad_u64_u32 v[6:7], null, v2, s35, v[1:2]
	v_mov_b32_e32 v2, v3
	s_delay_alu instid0(VALU_DEP_2)
	v_dual_mov_b32 v0, v5 :: v_dual_mov_b32 v1, v6
	s_cbranch_scc1 .LBB87_112
.LBB87_113:
	s_and_not1_b32 vcc_lo, exec_lo, s21
	s_cbranch_vccnz .LBB87_116
; %bb.114:
	s_waitcnt lgkmcnt(0)
	v_mul_hi_u32 v0, s13, v4
	s_and_not1_b32 vcc_lo, exec_lo, s26
	s_delay_alu instid0(VALU_DEP_1) | instskip(NEXT) | instid1(VALU_DEP_1)
	v_add_nc_u32_e32 v0, v4, v0
	v_lshrrev_b32_e32 v2, s14, v0
	s_delay_alu instid0(VALU_DEP_1) | instskip(NEXT) | instid1(VALU_DEP_1)
	v_mul_lo_u32 v0, v2, s12
	v_sub_nc_u32_e32 v1, v4, v0
	s_delay_alu instid0(VALU_DEP_1)
	v_mul_lo_u32 v0, v1, s8
	v_mul_lo_u32 v1, v1, s9
	s_cbranch_vccnz .LBB87_116
; %bb.115:
	v_mul_hi_u32 v3, s2, v2
	s_delay_alu instid0(VALU_DEP_1) | instskip(NEXT) | instid1(VALU_DEP_1)
	v_add_nc_u32_e32 v3, v2, v3
	v_lshrrev_b32_e32 v3, s3, v3
	s_delay_alu instid0(VALU_DEP_1) | instskip(NEXT) | instid1(VALU_DEP_1)
	v_mul_lo_u32 v3, v3, s15
	v_sub_nc_u32_e32 v5, v2, v3
	s_delay_alu instid0(VALU_DEP_1) | instskip(NEXT) | instid1(VALU_DEP_1)
	v_mad_u64_u32 v[2:3], null, v5, s10, v[0:1]
	v_mad_u64_u32 v[3:4], null, v5, s11, v[1:2]
	s_delay_alu instid0(VALU_DEP_1)
	v_dual_mov_b32 v0, v2 :: v_dual_mov_b32 v1, v3
.LBB87_116:
	s_waitcnt lgkmcnt(0)
	global_load_b32 v1, v1, s[6:7]
	s_waitcnt vmcnt(0)
	v_mul_f32_e32 v2, 0x3fb8aa3b, v1
	v_cmp_ngt_f32_e32 vcc_lo, 0xc2ce8ed0, v1
	s_delay_alu instid0(VALU_DEP_2) | instskip(SKIP_1) | instid1(VALU_DEP_1)
	v_fma_f32 v3, 0x3fb8aa3b, v1, -v2
	v_rndne_f32_e32 v4, v2
	v_dual_fmamk_f32 v3, v1, 0x32a5705f, v3 :: v_dual_sub_f32 v2, v2, v4
	s_delay_alu instid0(VALU_DEP_1) | instskip(SKIP_1) | instid1(VALU_DEP_2)
	v_add_f32_e32 v2, v2, v3
	v_cvt_i32_f32_e32 v3, v4
	v_exp_f32_e32 v2, v2
	s_waitcnt_depctr 0xfff
	v_ldexp_f32 v2, v2, v3
	s_delay_alu instid0(VALU_DEP_1) | instskip(SKIP_1) | instid1(VALU_DEP_2)
	v_cndmask_b32_e32 v2, 0, v2, vcc_lo
	v_cmp_nlt_f32_e32 vcc_lo, 0x42b17218, v1
	v_cndmask_b32_e32 v1, 0x7f800000, v2, vcc_lo
	global_store_b32 v0, v1, s[4:5]
	s_or_b32 exec_lo, exec_lo, s20
                                        ; implicit-def: $vgpr8
                                        ; implicit-def: $vgpr4
	s_and_not1_saveexec_b32 s2, s25
	s_cbranch_execz .LBB87_94
	s_branch .LBB87_8
	.section	.rodata,"a",@progbits
	.p2align	6, 0x0
	.amdhsa_kernel _ZN2at6native32elementwise_kernel_manual_unrollILi128ELi4EZNS0_22gpu_kernel_impl_nocastIZZZNS0_15exp_kernel_cudaERNS_18TensorIteratorBaseEENKUlvE0_clEvENKUlvE0_clEvEUlfE_EEvS4_RKT_EUlibE_EEviT1_
		.amdhsa_group_segment_fixed_size 0
		.amdhsa_private_segment_fixed_size 0
		.amdhsa_kernarg_size 360
		.amdhsa_user_sgpr_count 15
		.amdhsa_user_sgpr_dispatch_ptr 0
		.amdhsa_user_sgpr_queue_ptr 0
		.amdhsa_user_sgpr_kernarg_segment_ptr 1
		.amdhsa_user_sgpr_dispatch_id 0
		.amdhsa_user_sgpr_private_segment_size 0
		.amdhsa_wavefront_size32 1
		.amdhsa_uses_dynamic_stack 0
		.amdhsa_enable_private_segment 0
		.amdhsa_system_sgpr_workgroup_id_x 1
		.amdhsa_system_sgpr_workgroup_id_y 0
		.amdhsa_system_sgpr_workgroup_id_z 0
		.amdhsa_system_sgpr_workgroup_info 0
		.amdhsa_system_vgpr_workitem_id 0
		.amdhsa_next_free_vgpr 20
		.amdhsa_next_free_sgpr 56
		.amdhsa_reserve_vcc 1
		.amdhsa_float_round_mode_32 0
		.amdhsa_float_round_mode_16_64 0
		.amdhsa_float_denorm_mode_32 3
		.amdhsa_float_denorm_mode_16_64 3
		.amdhsa_dx10_clamp 1
		.amdhsa_ieee_mode 1
		.amdhsa_fp16_overflow 0
		.amdhsa_workgroup_processor_mode 1
		.amdhsa_memory_ordered 1
		.amdhsa_forward_progress 0
		.amdhsa_shared_vgpr_count 0
		.amdhsa_exception_fp_ieee_invalid_op 0
		.amdhsa_exception_fp_denorm_src 0
		.amdhsa_exception_fp_ieee_div_zero 0
		.amdhsa_exception_fp_ieee_overflow 0
		.amdhsa_exception_fp_ieee_underflow 0
		.amdhsa_exception_fp_ieee_inexact 0
		.amdhsa_exception_int_div_zero 0
	.end_amdhsa_kernel
	.section	.text._ZN2at6native32elementwise_kernel_manual_unrollILi128ELi4EZNS0_22gpu_kernel_impl_nocastIZZZNS0_15exp_kernel_cudaERNS_18TensorIteratorBaseEENKUlvE0_clEvENKUlvE0_clEvEUlfE_EEvS4_RKT_EUlibE_EEviT1_,"axG",@progbits,_ZN2at6native32elementwise_kernel_manual_unrollILi128ELi4EZNS0_22gpu_kernel_impl_nocastIZZZNS0_15exp_kernel_cudaERNS_18TensorIteratorBaseEENKUlvE0_clEvENKUlvE0_clEvEUlfE_EEvS4_RKT_EUlibE_EEviT1_,comdat
.Lfunc_end87:
	.size	_ZN2at6native32elementwise_kernel_manual_unrollILi128ELi4EZNS0_22gpu_kernel_impl_nocastIZZZNS0_15exp_kernel_cudaERNS_18TensorIteratorBaseEENKUlvE0_clEvENKUlvE0_clEvEUlfE_EEvS4_RKT_EUlibE_EEviT1_, .Lfunc_end87-_ZN2at6native32elementwise_kernel_manual_unrollILi128ELi4EZNS0_22gpu_kernel_impl_nocastIZZZNS0_15exp_kernel_cudaERNS_18TensorIteratorBaseEENKUlvE0_clEvENKUlvE0_clEvEUlfE_EEvS4_RKT_EUlibE_EEviT1_
                                        ; -- End function
	.section	.AMDGPU.csdata,"",@progbits
; Kernel info:
; codeLenInByte = 7532
; NumSgprs: 58
; NumVgprs: 20
; ScratchSize: 0
; MemoryBound: 0
; FloatMode: 240
; IeeeMode: 1
; LDSByteSize: 0 bytes/workgroup (compile time only)
; SGPRBlocks: 7
; VGPRBlocks: 2
; NumSGPRsForWavesPerEU: 58
; NumVGPRsForWavesPerEU: 20
; Occupancy: 16
; WaveLimiterHint : 1
; COMPUTE_PGM_RSRC2:SCRATCH_EN: 0
; COMPUTE_PGM_RSRC2:USER_SGPR: 15
; COMPUTE_PGM_RSRC2:TRAP_HANDLER: 0
; COMPUTE_PGM_RSRC2:TGID_X_EN: 1
; COMPUTE_PGM_RSRC2:TGID_Y_EN: 0
; COMPUTE_PGM_RSRC2:TGID_Z_EN: 0
; COMPUTE_PGM_RSRC2:TIDIG_COMP_CNT: 0
	.section	.text._ZN2at6native32elementwise_kernel_manual_unrollILi128ELi4EZNS0_15gpu_kernel_implIZZZNS0_15exp_kernel_cudaERNS_18TensorIteratorBaseEENKUlvE0_clEvENKUlvE0_clEvEUlfE_EEvS4_RKT_EUlibE_EEviT1_,"axG",@progbits,_ZN2at6native32elementwise_kernel_manual_unrollILi128ELi4EZNS0_15gpu_kernel_implIZZZNS0_15exp_kernel_cudaERNS_18TensorIteratorBaseEENKUlvE0_clEvENKUlvE0_clEvEUlfE_EEvS4_RKT_EUlibE_EEviT1_,comdat
	.globl	_ZN2at6native32elementwise_kernel_manual_unrollILi128ELi4EZNS0_15gpu_kernel_implIZZZNS0_15exp_kernel_cudaERNS_18TensorIteratorBaseEENKUlvE0_clEvENKUlvE0_clEvEUlfE_EEvS4_RKT_EUlibE_EEviT1_ ; -- Begin function _ZN2at6native32elementwise_kernel_manual_unrollILi128ELi4EZNS0_15gpu_kernel_implIZZZNS0_15exp_kernel_cudaERNS_18TensorIteratorBaseEENKUlvE0_clEvENKUlvE0_clEvEUlfE_EEvS4_RKT_EUlibE_EEviT1_
	.p2align	8
	.type	_ZN2at6native32elementwise_kernel_manual_unrollILi128ELi4EZNS0_15gpu_kernel_implIZZZNS0_15exp_kernel_cudaERNS_18TensorIteratorBaseEENKUlvE0_clEvENKUlvE0_clEvEUlfE_EEvS4_RKT_EUlibE_EEviT1_,@function
_ZN2at6native32elementwise_kernel_manual_unrollILi128ELi4EZNS0_15gpu_kernel_implIZZZNS0_15exp_kernel_cudaERNS_18TensorIteratorBaseEENKUlvE0_clEvENKUlvE0_clEvEUlfE_EEvS4_RKT_EUlibE_EEviT1_: ; @_ZN2at6native32elementwise_kernel_manual_unrollILi128ELi4EZNS0_15gpu_kernel_implIZZZNS0_15exp_kernel_cudaERNS_18TensorIteratorBaseEENKUlvE0_clEvENKUlvE0_clEvEUlfE_EEvS4_RKT_EUlibE_EEviT1_
; %bb.0:
	v_mov_b32_e32 v1, 0
	s_clause 0x2
	s_load_b32 s10, s[0:1], 0x0
	s_load_b64 s[2:3], s[0:1], 0x18
	s_load_b128 s[4:7], s[0:1], 0x8
	v_lshl_or_b32 v5, s15, 9, v0
	s_mov_b32 s9, 0
	global_load_u16 v4, v1, s[0:1] offset:33
	s_mov_b32 s1, 0
	v_or_b32_e32 v0, 0x180, v5
	s_mov_b32 s0, exec_lo
	s_waitcnt vmcnt(0)
	v_lshrrev_b16 v6, 8, v4
	s_waitcnt lgkmcnt(0)
	v_cmpx_le_i32_e64 s10, v0
	s_xor_b32 s8, exec_lo, s0
	s_cbranch_execz .LBB88_1024
; %bb.1:
	s_mov_b32 s15, -1
	s_mov_b32 s13, 0
	s_mov_b32 s11, 0
	s_mov_b32 s12, exec_lo
	v_cmpx_gt_i32_e64 s10, v5
	s_cbranch_execz .LBB88_250
; %bb.2:
	v_mul_lo_u32 v0, v5, s3
	v_cmp_gt_i16_e32 vcc_lo, 11, v6
	s_delay_alu instid0(VALU_DEP_2) | instskip(SKIP_1) | instid1(VALU_DEP_1)
	v_ashrrev_i32_e32 v1, 31, v0
	v_add_co_u32 v0, s0, s6, v0
	v_add_co_ci_u32_e64 v1, s0, s7, v1, s0
	s_cbranch_vccnz .LBB88_9
; %bb.3:
	v_cmp_lt_i16_e32 vcc_lo, 25, v6
	s_cbranch_vccz .LBB88_128
; %bb.4:
	v_cmp_lt_i16_e32 vcc_lo, 28, v6
	s_cbranch_vccz .LBB88_129
	;; [unrolled: 3-line block ×4, first 2 shown]
; %bb.7:
	v_cmp_eq_u16_e32 vcc_lo, 46, v6
	s_cbranch_vccz .LBB88_132
; %bb.8:
	global_load_b32 v2, v[0:1], off
	s_mov_b32 s0, -1
	s_waitcnt vmcnt(0)
	v_lshlrev_b32_e32 v2, 16, v2
	s_branch .LBB88_134
.LBB88_9:
	s_mov_b32 s0, 0
                                        ; implicit-def: $vgpr2
	s_cbranch_execnz .LBB88_200
.LBB88_10:
	s_and_not1_b32 vcc_lo, exec_lo, s0
	s_cbranch_vccnz .LBB88_247
.LBB88_11:
	s_waitcnt vmcnt(0)
	s_delay_alu instid0(VALU_DEP_1)
	v_mul_f32_e32 v0, 0x3fb8aa3b, v2
	v_cmp_ngt_f32_e64 s0, 0xc2ce8ed0, v2
	s_mov_b32 s9, 0
	s_mov_b32 s14, -1
	v_and_b32_e32 v7, 0xff, v4
	v_rndne_f32_e32 v1, v0
	v_fma_f32 v3, 0x3fb8aa3b, v2, -v0
	s_delay_alu instid0(VALU_DEP_3) | instskip(NEXT) | instid1(VALU_DEP_2)
	v_cmp_gt_i16_e32 vcc_lo, 11, v7
	v_dual_sub_f32 v0, v0, v1 :: v_dual_fmamk_f32 v3, v2, 0x32a5705f, v3
	v_cvt_i32_f32_e32 v1, v1
	s_and_b32 vcc_lo, exec_lo, vcc_lo
	s_delay_alu instid0(VALU_DEP_2) | instskip(SKIP_1) | instid1(VALU_DEP_2)
	v_add_f32_e32 v0, v0, v3
	v_mul_lo_u32 v3, v5, s2
	v_exp_f32_e32 v0, v0
	s_waitcnt_depctr 0xfff
	v_ldexp_f32 v0, v0, v1
	v_ashrrev_i32_e32 v1, 31, v3
	s_delay_alu instid0(VALU_DEP_2) | instskip(SKIP_1) | instid1(VALU_DEP_1)
	v_cndmask_b32_e64 v8, 0, v0, s0
	v_add_co_u32 v0, s0, s4, v3
	v_add_co_ci_u32_e64 v1, s0, s5, v1, s0
	v_cmp_nlt_f32_e64 s0, 0x42b17218, v2
	s_delay_alu instid0(VALU_DEP_1)
	v_cndmask_b32_e64 v2, 0x7f800000, v8, s0
	s_mov_b32 s0, 0
	s_cbranch_vccnz .LBB88_88
; %bb.12:
	v_cmp_lt_i16_e32 vcc_lo, 25, v7
	s_cbranch_vccz .LBB88_45
; %bb.13:
	v_cmp_lt_i16_e32 vcc_lo, 28, v7
	s_cbranch_vccz .LBB88_28
	;; [unrolled: 3-line block ×4, first 2 shown]
; %bb.16:
	v_cmp_eq_u16_e32 vcc_lo, 46, v7
	s_mov_b32 s14, 0
	s_mov_b32 s9, -1
	s_cbranch_vccz .LBB88_18
; %bb.17:
	v_bfe_u32 v3, v2, 16, 1
	v_cmp_o_f32_e32 vcc_lo, v2, v2
	s_mov_b32 s0, -1
	s_mov_b32 s9, 0
	s_delay_alu instid0(VALU_DEP_2) | instskip(NEXT) | instid1(VALU_DEP_1)
	v_add3_u32 v3, v2, v3, 0x7fff
	v_lshrrev_b32_e32 v3, 16, v3
	s_delay_alu instid0(VALU_DEP_1)
	v_cndmask_b32_e32 v3, 0x7fc0, v3, vcc_lo
	global_store_b32 v[0:1], v3, off
.LBB88_18:
	s_and_b32 vcc_lo, exec_lo, s14
	s_cbranch_vccz .LBB88_23
; %bb.19:
	v_cmp_eq_u16_e32 vcc_lo, 44, v7
	s_mov_b32 s9, -1
	s_cbranch_vccz .LBB88_23
; %bb.20:
	v_bfe_u32 v8, v2, 23, 8
	v_mov_b32_e32 v3, 0xff
	s_mov_b32 s9, exec_lo
	s_delay_alu instid0(VALU_DEP_2)
	v_cmpx_ne_u32_e32 0xff, v8
; %bb.21:
	v_and_b32_e32 v3, 0x400000, v2
	v_and_or_b32 v8, 0x3fffff, v2, v8
	s_delay_alu instid0(VALU_DEP_2) | instskip(NEXT) | instid1(VALU_DEP_2)
	v_cmp_ne_u32_e32 vcc_lo, 0, v3
	v_cmp_ne_u32_e64 s0, 0, v8
	v_lshrrev_b32_e32 v3, 23, v2
	s_delay_alu instid0(VALU_DEP_2) | instskip(NEXT) | instid1(SALU_CYCLE_1)
	s_and_b32 s0, vcc_lo, s0
	v_cndmask_b32_e64 v8, 0, 1, s0
	s_delay_alu instid0(VALU_DEP_1)
	v_add_nc_u32_e32 v3, v3, v8
; %bb.22:
	s_or_b32 exec_lo, exec_lo, s9
	s_mov_b32 s0, -1
	s_mov_b32 s9, 0
	global_store_b8 v[0:1], v3, off
.LBB88_23:
	s_mov_b32 s14, 0
.LBB88_24:
	s_delay_alu instid0(SALU_CYCLE_1)
	s_and_b32 vcc_lo, exec_lo, s14
	s_cbranch_vccz .LBB88_27
; %bb.25:
	v_cmp_eq_u16_e32 vcc_lo, 29, v7
	s_mov_b32 s9, -1
	s_cbranch_vccz .LBB88_27
; %bb.26:
	v_trunc_f32_e32 v3, v2
	s_mov_b32 s0, -1
	s_mov_b32 s9, 0
	s_delay_alu instid0(VALU_DEP_1) | instskip(NEXT) | instid1(VALU_DEP_1)
	v_mul_f32_e32 v8, 0x2f800000, v3
	v_floor_f32_e32 v8, v8
	s_delay_alu instid0(VALU_DEP_1) | instskip(SKIP_1) | instid1(VALU_DEP_2)
	v_fmamk_f32 v3, v8, 0xcf800000, v3
	v_cvt_u32_f32_e32 v9, v8
	v_cvt_u32_f32_e32 v8, v3
	global_store_b64 v[0:1], v[8:9], off
.LBB88_27:
	s_mov_b32 s14, 0
.LBB88_28:
	s_delay_alu instid0(SALU_CYCLE_1)
	s_and_b32 vcc_lo, exec_lo, s14
	s_cbranch_vccz .LBB88_44
; %bb.29:
	v_cmp_gt_i16_e32 vcc_lo, 27, v7
	s_mov_b32 s0, -1
	s_cbranch_vccnz .LBB88_35
; %bb.30:
	v_cmp_lt_i16_e32 vcc_lo, 27, v7
	s_cbranch_vccz .LBB88_32
; %bb.31:
	v_cvt_u32_f32_e32 v3, v2
	s_mov_b32 s0, 0
	global_store_b32 v[0:1], v3, off
.LBB88_32:
	s_and_not1_b32 vcc_lo, exec_lo, s0
	s_cbranch_vccnz .LBB88_34
; %bb.33:
	v_cvt_u32_f32_e32 v3, v2
	global_store_b16 v[0:1], v3, off
.LBB88_34:
	s_mov_b32 s0, 0
.LBB88_35:
	s_delay_alu instid0(SALU_CYCLE_1)
	s_and_not1_b32 vcc_lo, exec_lo, s0
	s_cbranch_vccnz .LBB88_43
; %bb.36:
	v_and_b32_e32 v3, 0x7fffffff, v2
	v_mov_b32_e32 v8, 0x80
	s_mov_b32 s0, exec_lo
	s_delay_alu instid0(VALU_DEP_2)
	v_cmpx_gt_u32_e32 0x43800000, v3
	s_cbranch_execz .LBB88_42
; %bb.37:
	v_cmp_lt_u32_e32 vcc_lo, 0x3bffffff, v3
	s_mov_b32 s14, 0
                                        ; implicit-def: $vgpr3
	s_and_saveexec_b32 s15, vcc_lo
	s_delay_alu instid0(SALU_CYCLE_1)
	s_xor_b32 s15, exec_lo, s15
	s_cbranch_execz .LBB88_137
; %bb.38:
	v_bfe_u32 v3, v2, 20, 1
	s_mov_b32 s14, exec_lo
	s_delay_alu instid0(VALU_DEP_1) | instskip(NEXT) | instid1(VALU_DEP_1)
	v_add3_u32 v3, v2, v3, 0x487ffff
	v_lshrrev_b32_e32 v3, 20, v3
	s_or_saveexec_b32 s15, s15
                                        ; implicit-def: $sgpr16
	s_delay_alu instid0(SALU_CYCLE_1)
	s_xor_b32 exec_lo, exec_lo, s15
	s_cbranch_execnz .LBB88_138
.LBB88_39:
	s_or_b32 exec_lo, exec_lo, s15
	v_mov_b32_e32 v8, s16
	s_and_saveexec_b32 s15, s14
.LBB88_40:
	v_lshrrev_b32_e32 v8, 24, v2
	s_delay_alu instid0(VALU_DEP_1)
	v_and_or_b32 v8, 0x80, v8, v3
.LBB88_41:
	s_or_b32 exec_lo, exec_lo, s15
.LBB88_42:
	s_delay_alu instid0(SALU_CYCLE_1)
	s_or_b32 exec_lo, exec_lo, s0
	global_store_b8 v[0:1], v8, off
.LBB88_43:
	s_mov_b32 s0, -1
.LBB88_44:
	s_mov_b32 s14, 0
.LBB88_45:
	s_delay_alu instid0(SALU_CYCLE_1)
	s_and_b32 vcc_lo, exec_lo, s14
	s_cbranch_vccz .LBB88_86
; %bb.46:
	v_cmp_lt_i16_e32 vcc_lo, 22, v7
	s_mov_b32 s14, -1
	s_cbranch_vccz .LBB88_78
; %bb.47:
	v_cmp_gt_i16_e32 vcc_lo, 24, v7
	s_mov_b32 s0, -1
	s_cbranch_vccnz .LBB88_67
; %bb.48:
	v_cmp_lt_i16_e32 vcc_lo, 24, v7
	s_cbranch_vccz .LBB88_56
; %bb.49:
	v_and_b32_e32 v3, 0x7fffffff, v2
	v_mov_b32_e32 v8, 0x80
	s_mov_b32 s0, exec_lo
	s_delay_alu instid0(VALU_DEP_2)
	v_cmpx_gt_u32_e32 0x47800000, v3
	s_cbranch_execz .LBB88_55
; %bb.50:
	v_cmp_lt_u32_e32 vcc_lo, 0x37ffffff, v3
	s_mov_b32 s14, 0
                                        ; implicit-def: $vgpr3
	s_and_saveexec_b32 s15, vcc_lo
	s_delay_alu instid0(SALU_CYCLE_1)
	s_xor_b32 s15, exec_lo, s15
	s_cbranch_execz .LBB88_315
; %bb.51:
	v_bfe_u32 v3, v2, 21, 1
	s_mov_b32 s14, exec_lo
	s_delay_alu instid0(VALU_DEP_1) | instskip(NEXT) | instid1(VALU_DEP_1)
	v_add3_u32 v3, v2, v3, 0x88fffff
	v_lshrrev_b32_e32 v3, 21, v3
	s_or_saveexec_b32 s15, s15
                                        ; implicit-def: $sgpr16
	s_delay_alu instid0(SALU_CYCLE_1)
	s_xor_b32 exec_lo, exec_lo, s15
	s_cbranch_execnz .LBB88_316
.LBB88_52:
	s_or_b32 exec_lo, exec_lo, s15
	v_mov_b32_e32 v8, s16
	s_and_saveexec_b32 s15, s14
.LBB88_53:
	v_lshrrev_b32_e32 v8, 24, v2
	s_delay_alu instid0(VALU_DEP_1)
	v_and_or_b32 v8, 0x80, v8, v3
.LBB88_54:
	s_or_b32 exec_lo, exec_lo, s15
.LBB88_55:
	s_delay_alu instid0(SALU_CYCLE_1)
	s_or_b32 exec_lo, exec_lo, s0
	s_mov_b32 s0, 0
	global_store_b8 v[0:1], v8, off
.LBB88_56:
	s_and_b32 vcc_lo, exec_lo, s0
	s_cbranch_vccz .LBB88_66
; %bb.57:
	v_and_b32_e32 v8, 0x7fffffff, v2
	s_mov_b32 s0, exec_lo
                                        ; implicit-def: $vgpr3
	s_delay_alu instid0(VALU_DEP_1)
	v_cmpx_gt_u32_e32 0x43f00000, v8
	s_xor_b32 s0, exec_lo, s0
	s_cbranch_execz .LBB88_63
; %bb.58:
	s_mov_b32 s14, exec_lo
                                        ; implicit-def: $vgpr3
	v_cmpx_lt_u32_e32 0x3c7fffff, v8
	s_xor_b32 s14, exec_lo, s14
; %bb.59:
	v_bfe_u32 v3, v2, 20, 1
	s_delay_alu instid0(VALU_DEP_1) | instskip(NEXT) | instid1(VALU_DEP_1)
	v_add3_u32 v3, v2, v3, 0x407ffff
	v_and_b32_e32 v8, 0xff00000, v3
	v_lshrrev_b32_e32 v3, 20, v3
	s_delay_alu instid0(VALU_DEP_2) | instskip(NEXT) | instid1(VALU_DEP_2)
	v_cmp_ne_u32_e32 vcc_lo, 0x7f00000, v8
	v_cndmask_b32_e32 v3, 0x7e, v3, vcc_lo
; %bb.60:
	s_and_not1_saveexec_b32 s14, s14
; %bb.61:
	v_add_f32_e64 v3, 0x46800000, |v2|
; %bb.62:
	s_or_b32 exec_lo, exec_lo, s14
                                        ; implicit-def: $vgpr8
.LBB88_63:
	s_and_not1_saveexec_b32 s0, s0
; %bb.64:
	v_mov_b32_e32 v3, 0x7f
	v_cmp_lt_u32_e32 vcc_lo, 0x7f800000, v8
	s_delay_alu instid0(VALU_DEP_2)
	v_cndmask_b32_e32 v3, 0x7e, v3, vcc_lo
; %bb.65:
	s_or_b32 exec_lo, exec_lo, s0
	v_lshrrev_b32_e32 v8, 24, v2
	s_delay_alu instid0(VALU_DEP_1)
	v_and_or_b32 v3, 0x80, v8, v3
	global_store_b8 v[0:1], v3, off
.LBB88_66:
	s_mov_b32 s0, 0
.LBB88_67:
	s_delay_alu instid0(SALU_CYCLE_1)
	s_and_not1_b32 vcc_lo, exec_lo, s0
	s_cbranch_vccnz .LBB88_77
; %bb.68:
	v_and_b32_e32 v8, 0x7fffffff, v2
	s_mov_b32 s0, exec_lo
                                        ; implicit-def: $vgpr3
	s_delay_alu instid0(VALU_DEP_1)
	v_cmpx_gt_u32_e32 0x47800000, v8
	s_xor_b32 s0, exec_lo, s0
	s_cbranch_execz .LBB88_74
; %bb.69:
	s_mov_b32 s14, exec_lo
                                        ; implicit-def: $vgpr3
	v_cmpx_lt_u32_e32 0x387fffff, v8
	s_xor_b32 s14, exec_lo, s14
; %bb.70:
	v_bfe_u32 v3, v2, 21, 1
	s_delay_alu instid0(VALU_DEP_1) | instskip(NEXT) | instid1(VALU_DEP_1)
	v_add3_u32 v3, v2, v3, 0x80fffff
	v_lshrrev_b32_e32 v3, 21, v3
; %bb.71:
	s_and_not1_saveexec_b32 s14, s14
; %bb.72:
	v_add_f32_e64 v3, 0x43000000, |v2|
; %bb.73:
	s_or_b32 exec_lo, exec_lo, s14
                                        ; implicit-def: $vgpr8
.LBB88_74:
	s_and_not1_saveexec_b32 s0, s0
; %bb.75:
	v_mov_b32_e32 v3, 0x7f
	v_cmp_lt_u32_e32 vcc_lo, 0x7f800000, v8
	s_delay_alu instid0(VALU_DEP_2)
	v_cndmask_b32_e32 v3, 0x7c, v3, vcc_lo
; %bb.76:
	s_or_b32 exec_lo, exec_lo, s0
	v_lshrrev_b32_e32 v8, 24, v2
	s_delay_alu instid0(VALU_DEP_1)
	v_and_or_b32 v3, 0x80, v8, v3
	global_store_b8 v[0:1], v3, off
.LBB88_77:
	s_mov_b32 s14, 0
	s_mov_b32 s0, -1
.LBB88_78:
	s_and_not1_b32 vcc_lo, exec_lo, s14
	s_cbranch_vccnz .LBB88_86
; %bb.79:
	v_cmp_lt_i16_e32 vcc_lo, 14, v7
	s_mov_b32 s14, -1
	s_cbranch_vccz .LBB88_83
; %bb.80:
	v_cmp_eq_u16_e32 vcc_lo, 15, v7
	s_mov_b32 s9, -1
	s_cbranch_vccz .LBB88_82
; %bb.81:
	v_bfe_u32 v3, v2, 16, 1
	v_cmp_o_f32_e32 vcc_lo, v2, v2
	s_mov_b32 s0, -1
	s_mov_b32 s9, 0
	s_delay_alu instid0(VALU_DEP_2) | instskip(NEXT) | instid1(VALU_DEP_1)
	v_add3_u32 v3, v2, v3, 0x7fff
	v_lshrrev_b32_e32 v3, 16, v3
	s_delay_alu instid0(VALU_DEP_1)
	v_cndmask_b32_e32 v3, 0x7fc0, v3, vcc_lo
	global_store_b16 v[0:1], v3, off
.LBB88_82:
	s_mov_b32 s14, 0
.LBB88_83:
	s_delay_alu instid0(SALU_CYCLE_1)
	s_and_b32 vcc_lo, exec_lo, s14
	s_cbranch_vccz .LBB88_86
; %bb.84:
	v_cmp_eq_u16_e32 vcc_lo, 11, v7
	s_mov_b32 s9, -1
	s_cbranch_vccz .LBB88_86
; %bb.85:
	v_cmp_neq_f32_e32 vcc_lo, 0, v2
	s_mov_b32 s9, 0
	s_mov_b32 s0, -1
	v_cndmask_b32_e64 v3, 0, 1, vcc_lo
	global_store_b8 v[0:1], v3, off
.LBB88_86:
.LBB88_87:
	s_and_not1_b32 vcc_lo, exec_lo, s0
	s_cbranch_vccnz .LBB88_248
	s_branch .LBB88_127
.LBB88_88:
	s_and_b32 vcc_lo, exec_lo, s14
	s_cbranch_vccz .LBB88_87
; %bb.89:
	v_cmp_gt_i16_e32 vcc_lo, 5, v7
	s_mov_b32 s0, -1
	s_cbranch_vccnz .LBB88_110
; %bb.90:
	v_cmp_gt_i16_e32 vcc_lo, 8, v7
	s_cbranch_vccnz .LBB88_100
; %bb.91:
	v_cmp_gt_i16_e32 vcc_lo, 9, v7
	s_cbranch_vccnz .LBB88_97
; %bb.92:
	v_cmp_lt_i16_e32 vcc_lo, 9, v7
	s_cbranch_vccz .LBB88_94
; %bb.93:
	v_cvt_f64_f32_e32 v[8:9], v2
	v_mov_b32_e32 v10, 0
	s_mov_b32 s0, 0
	s_delay_alu instid0(VALU_DEP_1)
	v_mov_b32_e32 v11, v10
	global_store_b128 v[0:1], v[8:11], off
.LBB88_94:
	s_and_not1_b32 vcc_lo, exec_lo, s0
	s_cbranch_vccnz .LBB88_96
; %bb.95:
	v_mov_b32_e32 v3, 0
	global_store_b64 v[0:1], v[2:3], off
.LBB88_96:
	s_mov_b32 s0, 0
.LBB88_97:
	s_delay_alu instid0(SALU_CYCLE_1)
	s_and_not1_b32 vcc_lo, exec_lo, s0
	s_cbranch_vccnz .LBB88_99
; %bb.98:
	v_cvt_f16_f32_e32 v3, v2
	s_delay_alu instid0(VALU_DEP_1)
	v_and_b32_e32 v3, 0xffff, v3
	global_store_b32 v[0:1], v3, off
.LBB88_99:
	s_mov_b32 s0, 0
.LBB88_100:
	s_delay_alu instid0(SALU_CYCLE_1)
	s_and_not1_b32 vcc_lo, exec_lo, s0
	s_cbranch_vccnz .LBB88_109
; %bb.101:
	v_cmp_gt_i16_e32 vcc_lo, 6, v7
	s_mov_b32 s0, -1
	s_cbranch_vccnz .LBB88_107
; %bb.102:
	v_cmp_lt_i16_e32 vcc_lo, 6, v7
	s_cbranch_vccz .LBB88_104
; %bb.103:
	v_cvt_f64_f32_e32 v[8:9], v2
	s_mov_b32 s0, 0
	global_store_b64 v[0:1], v[8:9], off
.LBB88_104:
	s_and_not1_b32 vcc_lo, exec_lo, s0
	s_cbranch_vccnz .LBB88_106
; %bb.105:
	global_store_b32 v[0:1], v2, off
.LBB88_106:
	s_mov_b32 s0, 0
.LBB88_107:
	s_delay_alu instid0(SALU_CYCLE_1)
	s_and_not1_b32 vcc_lo, exec_lo, s0
	s_cbranch_vccnz .LBB88_109
; %bb.108:
	v_cvt_f16_f32_e32 v3, v2
	global_store_b16 v[0:1], v3, off
.LBB88_109:
	s_mov_b32 s0, 0
.LBB88_110:
	s_delay_alu instid0(SALU_CYCLE_1)
	s_and_not1_b32 vcc_lo, exec_lo, s0
	s_cbranch_vccnz .LBB88_126
; %bb.111:
	v_cmp_gt_i16_e32 vcc_lo, 2, v7
	s_mov_b32 s0, -1
	s_cbranch_vccnz .LBB88_121
; %bb.112:
	v_cmp_gt_i16_e32 vcc_lo, 3, v7
	s_cbranch_vccnz .LBB88_118
; %bb.113:
	v_cmp_lt_i16_e32 vcc_lo, 3, v7
	s_cbranch_vccz .LBB88_115
; %bb.114:
	v_trunc_f32_e32 v3, v2
	s_mov_b32 s0, 0
	s_delay_alu instid0(VALU_DEP_1) | instskip(NEXT) | instid1(VALU_DEP_1)
	v_mul_f32_e64 v8, 0x2f800000, |v3|
	v_floor_f32_e32 v8, v8
	s_delay_alu instid0(VALU_DEP_1) | instskip(SKIP_2) | instid1(VALU_DEP_3)
	v_fma_f32 v9, 0xcf800000, v8, |v3|
	v_ashrrev_i32_e32 v3, 31, v3
	v_cvt_u32_f32_e32 v8, v8
	v_cvt_u32_f32_e32 v9, v9
	s_delay_alu instid0(VALU_DEP_2) | instskip(NEXT) | instid1(VALU_DEP_2)
	v_xor_b32_e32 v10, v8, v3
	v_xor_b32_e32 v9, v9, v3
	s_delay_alu instid0(VALU_DEP_1) | instskip(NEXT) | instid1(VALU_DEP_3)
	v_sub_co_u32 v8, vcc_lo, v9, v3
	v_sub_co_ci_u32_e32 v9, vcc_lo, v10, v3, vcc_lo
	global_store_b64 v[0:1], v[8:9], off
.LBB88_115:
	s_and_not1_b32 vcc_lo, exec_lo, s0
	s_cbranch_vccnz .LBB88_117
; %bb.116:
	v_cvt_i32_f32_e32 v3, v2
	global_store_b32 v[0:1], v3, off
.LBB88_117:
	s_mov_b32 s0, 0
.LBB88_118:
	s_delay_alu instid0(SALU_CYCLE_1)
	s_and_not1_b32 vcc_lo, exec_lo, s0
	s_cbranch_vccnz .LBB88_120
; %bb.119:
	v_cvt_i32_f32_e32 v3, v2
	global_store_b16 v[0:1], v3, off
.LBB88_120:
	s_mov_b32 s0, 0
.LBB88_121:
	s_delay_alu instid0(SALU_CYCLE_1)
	s_and_not1_b32 vcc_lo, exec_lo, s0
	s_cbranch_vccnz .LBB88_126
; %bb.122:
	v_cmp_lt_i16_e32 vcc_lo, 0, v7
	s_mov_b32 s0, -1
	s_cbranch_vccz .LBB88_124
; %bb.123:
	v_cvt_i32_f32_e32 v3, v2
	s_mov_b32 s0, 0
	global_store_b8 v[0:1], v3, off
.LBB88_124:
	s_and_not1_b32 vcc_lo, exec_lo, s0
	s_cbranch_vccnz .LBB88_126
; %bb.125:
	v_trunc_f32_e32 v2, v2
	s_delay_alu instid0(VALU_DEP_1) | instskip(NEXT) | instid1(VALU_DEP_1)
	v_mul_f32_e64 v3, 0x2f800000, |v2|
	v_floor_f32_e32 v3, v3
	s_delay_alu instid0(VALU_DEP_1) | instskip(SKIP_1) | instid1(VALU_DEP_2)
	v_fma_f32 v3, 0xcf800000, v3, |v2|
	v_ashrrev_i32_e32 v2, 31, v2
	v_cvt_u32_f32_e32 v3, v3
	s_delay_alu instid0(VALU_DEP_1) | instskip(NEXT) | instid1(VALU_DEP_1)
	v_xor_b32_e32 v3, v3, v2
	v_sub_nc_u32_e32 v2, v3, v2
	global_store_b8 v[0:1], v2, off
.LBB88_126:
.LBB88_127:
	v_add_nc_u32_e32 v5, 0x80, v5
	s_mov_b32 s0, -1
	s_branch .LBB88_249
.LBB88_128:
	s_mov_b32 s0, 0
                                        ; implicit-def: $vgpr2
	s_cbranch_execnz .LBB88_165
	s_branch .LBB88_199
.LBB88_129:
	s_mov_b32 s9, -1
	s_mov_b32 s0, 0
                                        ; implicit-def: $vgpr2
	s_branch .LBB88_146
.LBB88_130:
	s_mov_b32 s9, -1
	s_mov_b32 s0, 0
                                        ; implicit-def: $vgpr2
	s_branch .LBB88_141
.LBB88_131:
	s_mov_b32 s9, -1
	s_branch .LBB88_133
.LBB88_132:
	s_mov_b32 s11, -1
.LBB88_133:
	s_mov_b32 s0, 0
                                        ; implicit-def: $vgpr2
.LBB88_134:
	s_and_b32 vcc_lo, exec_lo, s9
	s_cbranch_vccz .LBB88_140
; %bb.135:
	v_cmp_eq_u16_e32 vcc_lo, 44, v6
	s_cbranch_vccz .LBB88_139
; %bb.136:
	global_load_u8 v2, v[0:1], off
	s_mov_b32 s11, 0
	s_mov_b32 s0, -1
	s_waitcnt vmcnt(0)
	v_lshlrev_b32_e32 v3, 23, v2
	v_cmp_ne_u32_e32 vcc_lo, 0xff, v2
	s_delay_alu instid0(VALU_DEP_2) | instskip(SKIP_1) | instid1(VALU_DEP_2)
	v_cndmask_b32_e32 v3, 0x7f800001, v3, vcc_lo
	v_cmp_ne_u32_e32 vcc_lo, 0, v2
	v_cndmask_b32_e32 v2, 0x400000, v3, vcc_lo
	s_branch .LBB88_140
.LBB88_137:
	s_or_saveexec_b32 s15, s15
                                        ; implicit-def: $sgpr16
	s_delay_alu instid0(SALU_CYCLE_1)
	s_xor_b32 exec_lo, exec_lo, s15
	s_cbranch_execz .LBB88_39
.LBB88_138:
	v_add_f32_e64 v3, 0x46000000, |v2|
	s_and_not1_b32 s14, s14, exec_lo
	s_mov_b32 s16, 0
	s_delay_alu instid0(VALU_DEP_1) | instskip(NEXT) | instid1(VALU_DEP_1)
	v_and_b32_e32 v3, 0xff, v3
	v_cmp_ne_u32_e32 vcc_lo, 0, v3
	s_and_b32 s17, vcc_lo, exec_lo
	s_delay_alu instid0(SALU_CYCLE_1)
	s_or_b32 s14, s14, s17
	s_or_b32 exec_lo, exec_lo, s15
	v_mov_b32_e32 v8, s16
	s_and_saveexec_b32 s15, s14
	s_cbranch_execnz .LBB88_40
	s_branch .LBB88_41
.LBB88_139:
	s_mov_b32 s11, -1
                                        ; implicit-def: $vgpr2
.LBB88_140:
	s_mov_b32 s9, 0
.LBB88_141:
	s_delay_alu instid0(SALU_CYCLE_1)
	s_and_b32 vcc_lo, exec_lo, s9
	s_cbranch_vccz .LBB88_145
; %bb.142:
	v_cmp_eq_u16_e32 vcc_lo, 29, v6
	s_cbranch_vccz .LBB88_144
; %bb.143:
	global_load_b64 v[2:3], v[0:1], off
	s_mov_b32 s0, -1
	s_mov_b32 s11, 0
	s_mov_b32 s9, 0
	s_waitcnt vmcnt(0)
	v_clz_i32_u32_e32 v7, v3
	s_delay_alu instid0(VALU_DEP_1) | instskip(NEXT) | instid1(VALU_DEP_1)
	v_min_u32_e32 v7, 32, v7
	v_lshlrev_b64 v[2:3], v7, v[2:3]
	s_delay_alu instid0(VALU_DEP_1) | instskip(NEXT) | instid1(VALU_DEP_1)
	v_min_u32_e32 v2, 1, v2
	v_or_b32_e32 v2, v3, v2
	v_sub_nc_u32_e32 v3, 32, v7
	s_delay_alu instid0(VALU_DEP_2) | instskip(NEXT) | instid1(VALU_DEP_1)
	v_cvt_f32_u32_e32 v2, v2
	v_ldexp_f32 v2, v2, v3
	s_branch .LBB88_146
.LBB88_144:
	s_mov_b32 s11, -1
                                        ; implicit-def: $vgpr2
.LBB88_145:
	s_mov_b32 s9, 0
.LBB88_146:
	s_delay_alu instid0(SALU_CYCLE_1)
	s_and_b32 vcc_lo, exec_lo, s9
	s_cbranch_vccz .LBB88_164
; %bb.147:
	v_cmp_gt_i16_e32 vcc_lo, 27, v6
	s_cbranch_vccnz .LBB88_150
; %bb.148:
	v_cmp_lt_i16_e32 vcc_lo, 27, v6
	s_cbranch_vccz .LBB88_151
; %bb.149:
	global_load_b32 v2, v[0:1], off
	s_mov_b32 s0, 0
	s_waitcnt vmcnt(0)
	v_cvt_f32_u32_e32 v2, v2
	s_branch .LBB88_152
.LBB88_150:
	s_mov_b32 s0, -1
                                        ; implicit-def: $vgpr2
	s_branch .LBB88_155
.LBB88_151:
	s_mov_b32 s0, -1
                                        ; implicit-def: $vgpr2
.LBB88_152:
	s_delay_alu instid0(SALU_CYCLE_1)
	s_and_not1_b32 vcc_lo, exec_lo, s0
	s_cbranch_vccnz .LBB88_154
; %bb.153:
	global_load_u16 v2, v[0:1], off
	s_waitcnt vmcnt(0)
	v_cvt_f32_u32_e32 v2, v2
.LBB88_154:
	s_mov_b32 s0, 0
.LBB88_155:
	s_delay_alu instid0(SALU_CYCLE_1)
	s_and_not1_b32 vcc_lo, exec_lo, s0
	s_cbranch_vccnz .LBB88_163
; %bb.156:
	global_load_u8 v3, v[0:1], off
	s_mov_b32 s0, 0
	s_mov_b32 s14, exec_lo
                                        ; implicit-def: $sgpr9
	s_waitcnt vmcnt(0)
	v_cmpx_lt_i16_e32 0x7f, v3
	s_xor_b32 s14, exec_lo, s14
	s_cbranch_execz .LBB88_176
; %bb.157:
	s_mov_b32 s0, -1
	s_mov_b32 s15, exec_lo
                                        ; implicit-def: $sgpr9
	v_cmpx_eq_u16_e32 0x80, v3
; %bb.158:
	s_mov_b32 s9, 0x7f800001
	s_xor_b32 s0, exec_lo, -1
; %bb.159:
	s_or_b32 exec_lo, exec_lo, s15
	s_delay_alu instid0(SALU_CYCLE_1)
	s_and_b32 s0, s0, exec_lo
	s_or_saveexec_b32 s14, s14
	v_mov_b32_e32 v2, s9
	s_xor_b32 exec_lo, exec_lo, s14
	s_cbranch_execnz .LBB88_177
.LBB88_160:
	s_or_b32 exec_lo, exec_lo, s14
	s_and_saveexec_b32 s9, s0
	s_cbranch_execz .LBB88_162
.LBB88_161:
	v_and_b32_e32 v2, 0xffff, v3
	v_lshlrev_b32_e32 v3, 24, v3
	s_delay_alu instid0(VALU_DEP_2) | instskip(NEXT) | instid1(VALU_DEP_2)
	v_and_b32_e32 v7, 7, v2
	v_and_b32_e32 v3, 0x80000000, v3
	s_delay_alu instid0(VALU_DEP_2) | instskip(NEXT) | instid1(VALU_DEP_1)
	v_clz_i32_u32_e32 v8, v7
	v_min_u32_e32 v8, 32, v8
	s_delay_alu instid0(VALU_DEP_1) | instskip(SKIP_1) | instid1(VALU_DEP_2)
	v_subrev_nc_u32_e32 v9, 28, v8
	v_sub_nc_u32_e32 v8, 29, v8
	v_lshlrev_b32_e32 v9, v9, v2
	v_bfe_u32 v2, v2, 3, 4
	s_delay_alu instid0(VALU_DEP_2) | instskip(NEXT) | instid1(VALU_DEP_2)
	v_and_b32_e32 v9, 7, v9
	v_cmp_eq_u32_e32 vcc_lo, 0, v2
	s_delay_alu instid0(VALU_DEP_2) | instskip(NEXT) | instid1(VALU_DEP_1)
	v_dual_cndmask_b32 v2, v2, v8 :: v_dual_cndmask_b32 v7, v7, v9
	v_lshl_add_u32 v2, v2, 23, 0x3b800000
	s_delay_alu instid0(VALU_DEP_2) | instskip(NEXT) | instid1(VALU_DEP_1)
	v_lshlrev_b32_e32 v7, 20, v7
	v_or3_b32 v2, v3, v2, v7
.LBB88_162:
	s_or_b32 exec_lo, exec_lo, s9
.LBB88_163:
	s_mov_b32 s0, -1
.LBB88_164:
	s_branch .LBB88_199
.LBB88_165:
	v_cmp_lt_i16_e32 vcc_lo, 22, v6
	s_cbranch_vccz .LBB88_175
; %bb.166:
	v_cmp_gt_i16_e32 vcc_lo, 24, v6
	s_cbranch_vccnz .LBB88_178
; %bb.167:
	v_cmp_lt_i16_e32 vcc_lo, 24, v6
	s_cbranch_vccz .LBB88_179
; %bb.168:
	global_load_u8 v3, v[0:1], off
	s_mov_b32 s0, 0
	s_mov_b32 s14, exec_lo
                                        ; implicit-def: $sgpr9
	s_waitcnt vmcnt(0)
	v_cmpx_lt_i16_e32 0x7f, v3
	s_xor_b32 s14, exec_lo, s14
	s_cbranch_execz .LBB88_191
; %bb.169:
	s_mov_b32 s0, -1
	s_mov_b32 s15, exec_lo
                                        ; implicit-def: $sgpr9
	v_cmpx_eq_u16_e32 0x80, v3
; %bb.170:
	s_mov_b32 s9, 0x7f800001
	s_xor_b32 s0, exec_lo, -1
; %bb.171:
	s_or_b32 exec_lo, exec_lo, s15
	s_delay_alu instid0(SALU_CYCLE_1)
	s_and_b32 s0, s0, exec_lo
	s_or_saveexec_b32 s14, s14
	v_mov_b32_e32 v2, s9
	s_xor_b32 exec_lo, exec_lo, s14
	s_cbranch_execnz .LBB88_192
.LBB88_172:
	s_or_b32 exec_lo, exec_lo, s14
	s_and_saveexec_b32 s9, s0
	s_cbranch_execz .LBB88_174
.LBB88_173:
	v_and_b32_e32 v2, 0xffff, v3
	v_lshlrev_b32_e32 v3, 24, v3
	s_delay_alu instid0(VALU_DEP_2) | instskip(NEXT) | instid1(VALU_DEP_2)
	v_and_b32_e32 v7, 3, v2
	v_and_b32_e32 v3, 0x80000000, v3
	s_delay_alu instid0(VALU_DEP_2) | instskip(NEXT) | instid1(VALU_DEP_1)
	v_clz_i32_u32_e32 v8, v7
	v_min_u32_e32 v8, 32, v8
	s_delay_alu instid0(VALU_DEP_1) | instskip(SKIP_1) | instid1(VALU_DEP_2)
	v_subrev_nc_u32_e32 v9, 29, v8
	v_sub_nc_u32_e32 v8, 30, v8
	v_lshlrev_b32_e32 v9, v9, v2
	v_bfe_u32 v2, v2, 2, 5
	s_delay_alu instid0(VALU_DEP_2) | instskip(NEXT) | instid1(VALU_DEP_2)
	v_and_b32_e32 v9, 3, v9
	v_cmp_eq_u32_e32 vcc_lo, 0, v2
	s_delay_alu instid0(VALU_DEP_2) | instskip(NEXT) | instid1(VALU_DEP_1)
	v_dual_cndmask_b32 v2, v2, v8 :: v_dual_cndmask_b32 v7, v7, v9
	v_lshl_add_u32 v2, v2, 23, 0x37800000
	s_delay_alu instid0(VALU_DEP_2) | instskip(NEXT) | instid1(VALU_DEP_1)
	v_lshlrev_b32_e32 v7, 21, v7
	v_or3_b32 v2, v3, v2, v7
.LBB88_174:
	s_or_b32 exec_lo, exec_lo, s9
	s_mov_b32 s0, 0
	s_branch .LBB88_180
.LBB88_175:
	s_mov_b32 s9, -1
                                        ; implicit-def: $vgpr2
	s_branch .LBB88_186
.LBB88_176:
	s_or_saveexec_b32 s14, s14
	v_mov_b32_e32 v2, s9
	s_xor_b32 exec_lo, exec_lo, s14
	s_cbranch_execz .LBB88_160
.LBB88_177:
	v_cmp_ne_u16_e32 vcc_lo, 0, v3
	v_mov_b32_e32 v2, 0
	s_and_not1_b32 s0, s0, exec_lo
	s_and_b32 s9, vcc_lo, exec_lo
	s_delay_alu instid0(SALU_CYCLE_1)
	s_or_b32 s0, s0, s9
	s_or_b32 exec_lo, exec_lo, s14
	s_and_saveexec_b32 s9, s0
	s_cbranch_execnz .LBB88_161
	s_branch .LBB88_162
.LBB88_178:
	s_mov_b32 s0, -1
                                        ; implicit-def: $vgpr2
	s_branch .LBB88_183
.LBB88_179:
	s_mov_b32 s0, -1
                                        ; implicit-def: $vgpr2
.LBB88_180:
	s_delay_alu instid0(SALU_CYCLE_1)
	s_and_b32 vcc_lo, exec_lo, s0
	s_cbranch_vccz .LBB88_182
; %bb.181:
	global_load_u8 v2, v[0:1], off
	s_waitcnt vmcnt(0)
	v_lshlrev_b32_e32 v2, 24, v2
	s_delay_alu instid0(VALU_DEP_1) | instskip(NEXT) | instid1(VALU_DEP_1)
	v_and_b32_e32 v3, 0x7f000000, v2
	v_clz_i32_u32_e32 v7, v3
	v_add_nc_u32_e32 v9, 0x1000000, v3
	v_cmp_ne_u32_e32 vcc_lo, 0, v3
	s_delay_alu instid0(VALU_DEP_3) | instskip(NEXT) | instid1(VALU_DEP_1)
	v_min_u32_e32 v7, 32, v7
	v_sub_nc_u32_e64 v7, v7, 4 clamp
	s_delay_alu instid0(VALU_DEP_1) | instskip(SKIP_1) | instid1(VALU_DEP_2)
	v_lshlrev_b32_e32 v8, v7, v3
	v_lshlrev_b32_e32 v7, 23, v7
	v_lshrrev_b32_e32 v8, 4, v8
	s_delay_alu instid0(VALU_DEP_1) | instskip(SKIP_1) | instid1(VALU_DEP_2)
	v_sub_nc_u32_e32 v7, v8, v7
	v_ashrrev_i32_e32 v8, 8, v9
	v_add_nc_u32_e32 v7, 0x3c000000, v7
	s_delay_alu instid0(VALU_DEP_1) | instskip(NEXT) | instid1(VALU_DEP_1)
	v_and_or_b32 v7, 0x7f800000, v8, v7
	v_cndmask_b32_e32 v3, 0, v7, vcc_lo
	s_delay_alu instid0(VALU_DEP_1)
	v_and_or_b32 v2, 0x80000000, v2, v3
.LBB88_182:
	s_mov_b32 s0, 0
.LBB88_183:
	s_delay_alu instid0(SALU_CYCLE_1)
	s_and_not1_b32 vcc_lo, exec_lo, s0
	s_cbranch_vccnz .LBB88_185
; %bb.184:
	global_load_u8 v2, v[0:1], off
	s_waitcnt vmcnt(0)
	v_lshlrev_b32_e32 v3, 25, v2
	v_lshlrev_b16 v2, 8, v2
	s_delay_alu instid0(VALU_DEP_1) | instskip(SKIP_1) | instid1(VALU_DEP_2)
	v_and_or_b32 v8, 0x7f00, v2, 0.5
	v_bfe_i32 v2, v2, 0, 16
	v_add_f32_e32 v8, -0.5, v8
	v_lshrrev_b32_e32 v7, 4, v3
	v_cmp_gt_u32_e32 vcc_lo, 0x8000000, v3
	s_delay_alu instid0(VALU_DEP_2) | instskip(NEXT) | instid1(VALU_DEP_1)
	v_or_b32_e32 v7, 0x70000000, v7
	v_mul_f32_e32 v7, 0x7800000, v7
	s_delay_alu instid0(VALU_DEP_1) | instskip(NEXT) | instid1(VALU_DEP_1)
	v_cndmask_b32_e32 v3, v7, v8, vcc_lo
	v_and_or_b32 v2, 0x80000000, v2, v3
.LBB88_185:
	s_mov_b32 s9, 0
	s_mov_b32 s0, -1
.LBB88_186:
	s_and_not1_b32 vcc_lo, exec_lo, s9
	s_cbranch_vccnz .LBB88_199
; %bb.187:
	v_cmp_lt_i16_e32 vcc_lo, 14, v6
	s_cbranch_vccz .LBB88_190
; %bb.188:
	v_cmp_eq_u16_e32 vcc_lo, 15, v6
	s_cbranch_vccz .LBB88_193
; %bb.189:
	global_load_u16 v2, v[0:1], off
	s_mov_b32 s0, -1
	s_mov_b32 s11, 0
	s_waitcnt vmcnt(0)
	v_lshlrev_b32_e32 v2, 16, v2
	s_branch .LBB88_194
.LBB88_190:
	s_mov_b32 s9, -1
                                        ; implicit-def: $vgpr2
	s_branch .LBB88_195
.LBB88_191:
	s_or_saveexec_b32 s14, s14
	v_mov_b32_e32 v2, s9
	s_xor_b32 exec_lo, exec_lo, s14
	s_cbranch_execz .LBB88_172
.LBB88_192:
	v_cmp_ne_u16_e32 vcc_lo, 0, v3
	v_mov_b32_e32 v2, 0
	s_and_not1_b32 s0, s0, exec_lo
	s_and_b32 s9, vcc_lo, exec_lo
	s_delay_alu instid0(SALU_CYCLE_1)
	s_or_b32 s0, s0, s9
	s_or_b32 exec_lo, exec_lo, s14
	s_and_saveexec_b32 s9, s0
	s_cbranch_execnz .LBB88_173
	s_branch .LBB88_174
.LBB88_193:
	s_mov_b32 s11, -1
                                        ; implicit-def: $vgpr2
.LBB88_194:
	s_mov_b32 s9, 0
.LBB88_195:
	s_delay_alu instid0(SALU_CYCLE_1)
	s_and_b32 vcc_lo, exec_lo, s9
	s_cbranch_vccz .LBB88_199
; %bb.196:
	v_cmp_eq_u16_e32 vcc_lo, 11, v6
	s_cbranch_vccz .LBB88_198
; %bb.197:
	global_load_u8 v2, v[0:1], off
	s_mov_b32 s11, 0
	s_mov_b32 s0, -1
	s_waitcnt vmcnt(0)
	v_cmp_ne_u16_e32 vcc_lo, 0, v2
	v_cndmask_b32_e64 v2, 0, 1.0, vcc_lo
	s_branch .LBB88_199
.LBB88_198:
	s_mov_b32 s11, -1
                                        ; implicit-def: $vgpr2
.LBB88_199:
	s_branch .LBB88_10
.LBB88_200:
	v_cmp_gt_i16_e32 vcc_lo, 5, v6
	s_cbranch_vccnz .LBB88_205
; %bb.201:
	v_cmp_gt_i16_e32 vcc_lo, 8, v6
	s_cbranch_vccnz .LBB88_206
; %bb.202:
	;; [unrolled: 3-line block ×3, first 2 shown]
	v_cmp_lt_i16_e32 vcc_lo, 9, v6
	s_cbranch_vccz .LBB88_208
; %bb.204:
	global_load_b64 v[2:3], v[0:1], off
	s_mov_b32 s0, 0
	s_waitcnt vmcnt(0)
	v_cvt_f32_f64_e32 v2, v[2:3]
	s_branch .LBB88_209
.LBB88_205:
                                        ; implicit-def: $vgpr2
	s_branch .LBB88_227
.LBB88_206:
	s_mov_b32 s0, -1
                                        ; implicit-def: $vgpr2
	s_branch .LBB88_215
.LBB88_207:
	s_mov_b32 s0, -1
                                        ; implicit-def: $vgpr2
	s_branch .LBB88_212
.LBB88_208:
	s_mov_b32 s0, -1
                                        ; implicit-def: $vgpr2
.LBB88_209:
	s_delay_alu instid0(SALU_CYCLE_1)
	s_and_not1_b32 vcc_lo, exec_lo, s0
	s_cbranch_vccnz .LBB88_211
; %bb.210:
	global_load_b32 v2, v[0:1], off
.LBB88_211:
	s_mov_b32 s0, 0
.LBB88_212:
	s_delay_alu instid0(SALU_CYCLE_1)
	s_and_not1_b32 vcc_lo, exec_lo, s0
	s_cbranch_vccnz .LBB88_214
; %bb.213:
	global_load_b32 v2, v[0:1], off
	s_waitcnt vmcnt(0)
	v_cvt_f32_f16_e32 v2, v2
.LBB88_214:
	s_mov_b32 s0, 0
.LBB88_215:
	s_delay_alu instid0(SALU_CYCLE_1)
	s_and_not1_b32 vcc_lo, exec_lo, s0
	s_cbranch_vccnz .LBB88_226
; %bb.216:
	v_cmp_gt_i16_e32 vcc_lo, 6, v6
	s_cbranch_vccnz .LBB88_219
; %bb.217:
	v_cmp_lt_i16_e32 vcc_lo, 6, v6
	s_cbranch_vccz .LBB88_220
; %bb.218:
	global_load_b64 v[2:3], v[0:1], off
	s_mov_b32 s0, 0
	s_waitcnt vmcnt(0)
	v_cvt_f32_f64_e32 v2, v[2:3]
	s_branch .LBB88_221
.LBB88_219:
	s_mov_b32 s0, -1
                                        ; implicit-def: $vgpr2
	s_branch .LBB88_224
.LBB88_220:
	s_mov_b32 s0, -1
                                        ; implicit-def: $vgpr2
.LBB88_221:
	s_delay_alu instid0(SALU_CYCLE_1)
	s_and_not1_b32 vcc_lo, exec_lo, s0
	s_cbranch_vccnz .LBB88_223
; %bb.222:
	global_load_b32 v2, v[0:1], off
.LBB88_223:
	s_mov_b32 s0, 0
.LBB88_224:
	s_delay_alu instid0(SALU_CYCLE_1)
	s_and_not1_b32 vcc_lo, exec_lo, s0
	s_cbranch_vccnz .LBB88_226
; %bb.225:
	global_load_u16 v2, v[0:1], off
	s_waitcnt vmcnt(0)
	v_cvt_f32_f16_e32 v2, v2
.LBB88_226:
	s_cbranch_execnz .LBB88_246
.LBB88_227:
	v_cmp_gt_i16_e32 vcc_lo, 2, v6
	s_cbranch_vccnz .LBB88_231
; %bb.228:
	v_cmp_gt_i16_e32 vcc_lo, 3, v6
	s_cbranch_vccnz .LBB88_232
; %bb.229:
	v_cmp_lt_i16_e32 vcc_lo, 3, v6
	s_cbranch_vccz .LBB88_233
; %bb.230:
	global_load_b64 v[2:3], v[0:1], off
	s_mov_b32 s0, 0
	s_waitcnt vmcnt(0)
	v_xor_b32_e32 v7, v2, v3
	v_cls_i32_e32 v8, v3
	s_delay_alu instid0(VALU_DEP_2) | instskip(NEXT) | instid1(VALU_DEP_2)
	v_ashrrev_i32_e32 v7, 31, v7
	v_add_nc_u32_e32 v8, -1, v8
	s_delay_alu instid0(VALU_DEP_2) | instskip(NEXT) | instid1(VALU_DEP_1)
	v_add_nc_u32_e32 v7, 32, v7
	v_min_u32_e32 v7, v8, v7
	s_delay_alu instid0(VALU_DEP_1) | instskip(NEXT) | instid1(VALU_DEP_1)
	v_lshlrev_b64 v[2:3], v7, v[2:3]
	v_min_u32_e32 v2, 1, v2
	s_delay_alu instid0(VALU_DEP_1) | instskip(SKIP_1) | instid1(VALU_DEP_2)
	v_or_b32_e32 v2, v3, v2
	v_sub_nc_u32_e32 v3, 32, v7
	v_cvt_f32_i32_e32 v2, v2
	s_delay_alu instid0(VALU_DEP_1)
	v_ldexp_f32 v2, v2, v3
	s_branch .LBB88_234
.LBB88_231:
	s_mov_b32 s0, -1
                                        ; implicit-def: $vgpr2
	s_branch .LBB88_240
.LBB88_232:
	s_mov_b32 s0, -1
                                        ; implicit-def: $vgpr2
	s_branch .LBB88_237
.LBB88_233:
	s_mov_b32 s0, -1
                                        ; implicit-def: $vgpr2
.LBB88_234:
	s_delay_alu instid0(SALU_CYCLE_1)
	s_and_not1_b32 vcc_lo, exec_lo, s0
	s_cbranch_vccnz .LBB88_236
; %bb.235:
	global_load_b32 v2, v[0:1], off
	s_waitcnt vmcnt(0)
	v_cvt_f32_i32_e32 v2, v2
.LBB88_236:
	s_mov_b32 s0, 0
.LBB88_237:
	s_delay_alu instid0(SALU_CYCLE_1)
	s_and_not1_b32 vcc_lo, exec_lo, s0
	s_cbranch_vccnz .LBB88_239
; %bb.238:
	global_load_i16 v2, v[0:1], off
	s_waitcnt vmcnt(0)
	v_cvt_f32_i32_e32 v2, v2
.LBB88_239:
	s_mov_b32 s0, 0
.LBB88_240:
	s_delay_alu instid0(SALU_CYCLE_1)
	s_and_not1_b32 vcc_lo, exec_lo, s0
	s_cbranch_vccnz .LBB88_246
; %bb.241:
	v_cmp_lt_i16_e32 vcc_lo, 0, v6
	s_mov_b32 s0, 0
	s_cbranch_vccz .LBB88_243
; %bb.242:
	global_load_i8 v2, v[0:1], off
	s_waitcnt vmcnt(0)
	v_cvt_f32_i32_e32 v2, v2
	s_branch .LBB88_244
.LBB88_243:
	s_mov_b32 s0, -1
                                        ; implicit-def: $vgpr2
.LBB88_244:
	s_delay_alu instid0(SALU_CYCLE_1)
	s_and_not1_b32 vcc_lo, exec_lo, s0
	s_cbranch_vccnz .LBB88_246
; %bb.245:
	global_load_u8 v0, v[0:1], off
	s_waitcnt vmcnt(0)
	v_cvt_f32_ubyte0_e32 v2, v0
.LBB88_246:
	s_branch .LBB88_11
.LBB88_247:
	s_mov_b32 s9, 0
.LBB88_248:
	s_mov_b32 s0, 0
                                        ; implicit-def: $vgpr5
.LBB88_249:
	s_and_b32 s9, s9, exec_lo
	s_and_b32 s11, s11, exec_lo
	s_or_not1_b32 s15, s0, exec_lo
.LBB88_250:
	s_or_b32 exec_lo, exec_lo, s12
	s_mov_b32 s14, 0
	s_mov_b32 s0, 0
                                        ; implicit-def: $vgpr0_vgpr1
                                        ; implicit-def: $vgpr3
	s_and_saveexec_b32 s12, s15
	s_cbranch_execz .LBB88_854
; %bb.251:
	s_mov_b32 s17, -1
	s_mov_b32 s13, s11
	s_mov_b32 s14, s9
	s_mov_b32 s15, exec_lo
	v_cmpx_gt_i32_e64 s10, v5
	s_cbranch_execz .LBB88_507
; %bb.252:
	v_mul_lo_u32 v0, v5, s3
	v_cmp_gt_i16_e32 vcc_lo, 11, v6
	s_delay_alu instid0(VALU_DEP_2) | instskip(SKIP_1) | instid1(VALU_DEP_1)
	v_ashrrev_i32_e32 v1, 31, v0
	v_add_co_u32 v0, s0, s6, v0
	v_add_co_ci_u32_e64 v1, s0, s7, v1, s0
	s_cbranch_vccnz .LBB88_259
; %bb.253:
	v_cmp_lt_i16_e32 vcc_lo, 25, v6
	s_cbranch_vccz .LBB88_308
; %bb.254:
	v_cmp_lt_i16_e32 vcc_lo, 28, v6
	s_cbranch_vccz .LBB88_309
; %bb.255:
	v_cmp_lt_i16_e32 vcc_lo, 43, v6
	s_cbranch_vccz .LBB88_311
; %bb.256:
	v_cmp_lt_i16_e32 vcc_lo, 45, v6
	s_cbranch_vccz .LBB88_313
; %bb.257:
	v_cmp_eq_u16_e32 vcc_lo, 46, v6
	s_mov_b32 s14, 0
	s_cbranch_vccz .LBB88_317
; %bb.258:
	global_load_b32 v2, v[0:1], off
	s_mov_b32 s0, -1
	s_mov_b32 s13, 0
	s_waitcnt vmcnt(0)
	v_lshlrev_b32_e32 v2, 16, v2
	s_branch .LBB88_319
.LBB88_259:
	s_mov_b32 s0, 0
	s_mov_b32 s13, s11
                                        ; implicit-def: $vgpr2
	s_cbranch_execnz .LBB88_456
.LBB88_260:
	s_and_not1_b32 vcc_lo, exec_lo, s0
	s_cbranch_vccnz .LBB88_504
.LBB88_261:
	s_waitcnt vmcnt(0)
	s_delay_alu instid0(VALU_DEP_1)
	v_mul_f32_e32 v0, 0x3fb8aa3b, v2
	v_cmp_ngt_f32_e64 s0, 0xc2ce8ed0, v2
	s_mov_b32 s14, 0
	s_mov_b32 s16, -1
	v_and_b32_e32 v7, 0xff, v4
	v_rndne_f32_e32 v1, v0
	v_fma_f32 v3, 0x3fb8aa3b, v2, -v0
	s_delay_alu instid0(VALU_DEP_3) | instskip(NEXT) | instid1(VALU_DEP_2)
	v_cmp_gt_i16_e32 vcc_lo, 11, v7
	v_dual_sub_f32 v0, v0, v1 :: v_dual_fmamk_f32 v3, v2, 0x32a5705f, v3
	v_cvt_i32_f32_e32 v1, v1
	s_and_b32 vcc_lo, exec_lo, vcc_lo
	s_delay_alu instid0(VALU_DEP_2) | instskip(SKIP_1) | instid1(VALU_DEP_2)
	v_add_f32_e32 v0, v0, v3
	v_mul_lo_u32 v3, v5, s2
	v_exp_f32_e32 v0, v0
	s_waitcnt_depctr 0xfff
	v_ldexp_f32 v0, v0, v1
	v_ashrrev_i32_e32 v1, 31, v3
	s_delay_alu instid0(VALU_DEP_2) | instskip(SKIP_1) | instid1(VALU_DEP_1)
	v_cndmask_b32_e64 v8, 0, v0, s0
	v_add_co_u32 v0, s0, s4, v3
	v_add_co_ci_u32_e64 v1, s0, s5, v1, s0
	v_cmp_nlt_f32_e64 s0, 0x42b17218, v2
	s_delay_alu instid0(VALU_DEP_1)
	v_cndmask_b32_e64 v2, 0x7f800000, v8, s0
	s_mov_b32 s0, s9
	s_cbranch_vccnz .LBB88_268
; %bb.262:
	v_cmp_lt_i16_e32 vcc_lo, 25, v7
	s_cbranch_vccz .LBB88_310
; %bb.263:
	v_cmp_lt_i16_e32 vcc_lo, 28, v7
	s_cbranch_vccz .LBB88_312
	;; [unrolled: 3-line block ×4, first 2 shown]
; %bb.266:
	v_cmp_eq_u16_e32 vcc_lo, 46, v7
	s_mov_b32 s16, 0
	s_mov_b32 s0, -1
	s_cbranch_vccz .LBB88_323
; %bb.267:
	v_bfe_u32 v3, v2, 16, 1
	v_cmp_o_f32_e32 vcc_lo, v2, v2
	s_mov_b32 s14, -1
	s_mov_b32 s0, 0
	s_delay_alu instid0(VALU_DEP_2) | instskip(NEXT) | instid1(VALU_DEP_1)
	v_add3_u32 v3, v2, v3, 0x7fff
	v_lshrrev_b32_e32 v3, 16, v3
	s_delay_alu instid0(VALU_DEP_1)
	v_cndmask_b32_e32 v3, 0x7fc0, v3, vcc_lo
	global_store_b32 v[0:1], v3, off
	s_branch .LBB88_323
.LBB88_268:
	s_and_b32 vcc_lo, exec_lo, s16
	s_cbranch_vccz .LBB88_392
; %bb.269:
	v_cmp_gt_i16_e32 vcc_lo, 5, v7
	s_mov_b32 s14, -1
	s_cbranch_vccnz .LBB88_290
; %bb.270:
	v_cmp_gt_i16_e32 vcc_lo, 8, v7
	s_cbranch_vccnz .LBB88_280
; %bb.271:
	v_cmp_gt_i16_e32 vcc_lo, 9, v7
	s_cbranch_vccnz .LBB88_277
; %bb.272:
	v_cmp_lt_i16_e32 vcc_lo, 9, v7
	s_cbranch_vccz .LBB88_274
; %bb.273:
	v_cvt_f64_f32_e32 v[8:9], v2
	v_mov_b32_e32 v10, 0
	s_mov_b32 s14, 0
	s_delay_alu instid0(VALU_DEP_1)
	v_mov_b32_e32 v11, v10
	global_store_b128 v[0:1], v[8:11], off
.LBB88_274:
	s_and_not1_b32 vcc_lo, exec_lo, s14
	s_cbranch_vccnz .LBB88_276
; %bb.275:
	v_mov_b32_e32 v3, 0
	global_store_b64 v[0:1], v[2:3], off
.LBB88_276:
	s_mov_b32 s14, 0
.LBB88_277:
	s_delay_alu instid0(SALU_CYCLE_1)
	s_and_not1_b32 vcc_lo, exec_lo, s14
	s_cbranch_vccnz .LBB88_279
; %bb.278:
	v_cvt_f16_f32_e32 v3, v2
	s_delay_alu instid0(VALU_DEP_1)
	v_and_b32_e32 v3, 0xffff, v3
	global_store_b32 v[0:1], v3, off
.LBB88_279:
	s_mov_b32 s14, 0
.LBB88_280:
	s_delay_alu instid0(SALU_CYCLE_1)
	s_and_not1_b32 vcc_lo, exec_lo, s14
	s_cbranch_vccnz .LBB88_289
; %bb.281:
	v_cmp_gt_i16_e32 vcc_lo, 6, v7
	s_mov_b32 s14, -1
	s_cbranch_vccnz .LBB88_287
; %bb.282:
	v_cmp_lt_i16_e32 vcc_lo, 6, v7
	s_cbranch_vccz .LBB88_284
; %bb.283:
	v_cvt_f64_f32_e32 v[8:9], v2
	s_mov_b32 s14, 0
	global_store_b64 v[0:1], v[8:9], off
.LBB88_284:
	s_and_not1_b32 vcc_lo, exec_lo, s14
	s_cbranch_vccnz .LBB88_286
; %bb.285:
	global_store_b32 v[0:1], v2, off
.LBB88_286:
	s_mov_b32 s14, 0
.LBB88_287:
	s_delay_alu instid0(SALU_CYCLE_1)
	s_and_not1_b32 vcc_lo, exec_lo, s14
	s_cbranch_vccnz .LBB88_289
; %bb.288:
	v_cvt_f16_f32_e32 v3, v2
	global_store_b16 v[0:1], v3, off
.LBB88_289:
	s_mov_b32 s14, 0
.LBB88_290:
	s_delay_alu instid0(SALU_CYCLE_1)
	s_and_not1_b32 vcc_lo, exec_lo, s14
	s_cbranch_vccnz .LBB88_306
; %bb.291:
	v_cmp_gt_i16_e32 vcc_lo, 2, v7
	s_mov_b32 s14, -1
	s_cbranch_vccnz .LBB88_301
; %bb.292:
	v_cmp_gt_i16_e32 vcc_lo, 3, v7
	s_cbranch_vccnz .LBB88_298
; %bb.293:
	v_cmp_lt_i16_e32 vcc_lo, 3, v7
	s_cbranch_vccz .LBB88_295
; %bb.294:
	v_trunc_f32_e32 v3, v2
	s_mov_b32 s14, 0
	s_delay_alu instid0(VALU_DEP_1) | instskip(NEXT) | instid1(VALU_DEP_1)
	v_mul_f32_e64 v8, 0x2f800000, |v3|
	v_floor_f32_e32 v8, v8
	s_delay_alu instid0(VALU_DEP_1) | instskip(SKIP_2) | instid1(VALU_DEP_3)
	v_fma_f32 v9, 0xcf800000, v8, |v3|
	v_ashrrev_i32_e32 v3, 31, v3
	v_cvt_u32_f32_e32 v8, v8
	v_cvt_u32_f32_e32 v9, v9
	s_delay_alu instid0(VALU_DEP_2) | instskip(NEXT) | instid1(VALU_DEP_2)
	v_xor_b32_e32 v10, v8, v3
	v_xor_b32_e32 v9, v9, v3
	s_delay_alu instid0(VALU_DEP_1) | instskip(NEXT) | instid1(VALU_DEP_3)
	v_sub_co_u32 v8, vcc_lo, v9, v3
	v_sub_co_ci_u32_e32 v9, vcc_lo, v10, v3, vcc_lo
	global_store_b64 v[0:1], v[8:9], off
.LBB88_295:
	s_and_not1_b32 vcc_lo, exec_lo, s14
	s_cbranch_vccnz .LBB88_297
; %bb.296:
	v_cvt_i32_f32_e32 v3, v2
	global_store_b32 v[0:1], v3, off
.LBB88_297:
	s_mov_b32 s14, 0
.LBB88_298:
	s_delay_alu instid0(SALU_CYCLE_1)
	s_and_not1_b32 vcc_lo, exec_lo, s14
	s_cbranch_vccnz .LBB88_300
; %bb.299:
	v_cvt_i32_f32_e32 v3, v2
	global_store_b16 v[0:1], v3, off
.LBB88_300:
	s_mov_b32 s14, 0
.LBB88_301:
	s_delay_alu instid0(SALU_CYCLE_1)
	s_and_not1_b32 vcc_lo, exec_lo, s14
	s_cbranch_vccnz .LBB88_306
; %bb.302:
	v_cmp_lt_i16_e32 vcc_lo, 0, v7
	s_mov_b32 s14, -1
	s_cbranch_vccz .LBB88_304
; %bb.303:
	v_cvt_i32_f32_e32 v3, v2
	s_mov_b32 s14, 0
	global_store_b8 v[0:1], v3, off
.LBB88_304:
	s_and_not1_b32 vcc_lo, exec_lo, s14
	s_cbranch_vccnz .LBB88_306
; %bb.305:
	v_trunc_f32_e32 v2, v2
	s_delay_alu instid0(VALU_DEP_1) | instskip(NEXT) | instid1(VALU_DEP_1)
	v_mul_f32_e64 v3, 0x2f800000, |v2|
	v_floor_f32_e32 v3, v3
	s_delay_alu instid0(VALU_DEP_1) | instskip(SKIP_1) | instid1(VALU_DEP_2)
	v_fma_f32 v3, 0xcf800000, v3, |v2|
	v_ashrrev_i32_e32 v2, 31, v2
	v_cvt_u32_f32_e32 v3, v3
	s_delay_alu instid0(VALU_DEP_1) | instskip(NEXT) | instid1(VALU_DEP_1)
	v_xor_b32_e32 v3, v3, v2
	v_sub_nc_u32_e32 v2, v3, v2
	global_store_b8 v[0:1], v2, off
.LBB88_306:
	s_branch .LBB88_393
.LBB88_307:
	s_mov_b32 s16, 0
	s_branch .LBB88_505
.LBB88_308:
	s_mov_b32 s14, -1
	s_mov_b32 s0, 0
	s_mov_b32 s13, s11
                                        ; implicit-def: $vgpr2
	s_branch .LBB88_420
.LBB88_309:
	s_mov_b32 s14, -1
	s_mov_b32 s0, 0
	s_mov_b32 s13, s11
                                        ; implicit-def: $vgpr2
	s_branch .LBB88_401
.LBB88_310:
	s_mov_b32 s0, s9
	s_branch .LBB88_350
.LBB88_311:
	s_mov_b32 s14, -1
	s_mov_b32 s0, 0
	s_mov_b32 s13, s11
                                        ; implicit-def: $vgpr2
	s_branch .LBB88_396
.LBB88_312:
	s_mov_b32 s0, s9
	s_branch .LBB88_333
.LBB88_313:
	s_mov_b32 s14, -1
	s_mov_b32 s0, 0
	s_mov_b32 s13, s11
	s_branch .LBB88_318
.LBB88_314:
	s_mov_b32 s0, s9
	s_branch .LBB88_329
.LBB88_315:
	s_or_saveexec_b32 s15, s15
                                        ; implicit-def: $sgpr16
	s_delay_alu instid0(SALU_CYCLE_1)
	s_xor_b32 exec_lo, exec_lo, s15
	s_cbranch_execz .LBB88_52
.LBB88_316:
	v_add_f32_e64 v3, 0x42800000, |v2|
	s_and_not1_b32 s14, s14, exec_lo
	s_mov_b32 s16, 0
	s_delay_alu instid0(VALU_DEP_1) | instskip(NEXT) | instid1(VALU_DEP_1)
	v_and_b32_e32 v3, 0xff, v3
	v_cmp_ne_u32_e32 vcc_lo, 0, v3
	s_and_b32 s17, vcc_lo, exec_lo
	s_delay_alu instid0(SALU_CYCLE_1)
	s_or_b32 s14, s14, s17
	s_or_b32 exec_lo, exec_lo, s15
	v_mov_b32_e32 v8, s16
	s_and_saveexec_b32 s15, s14
	s_cbranch_execnz .LBB88_53
	s_branch .LBB88_54
.LBB88_317:
	s_mov_b32 s13, -1
	s_mov_b32 s0, 0
.LBB88_318:
                                        ; implicit-def: $vgpr2
.LBB88_319:
	s_and_b32 vcc_lo, exec_lo, s14
	s_cbranch_vccz .LBB88_395
; %bb.320:
	v_cmp_eq_u16_e32 vcc_lo, 44, v6
	s_cbranch_vccz .LBB88_394
; %bb.321:
	global_load_u8 v2, v[0:1], off
	s_mov_b32 s13, 0
	s_mov_b32 s0, -1
	s_waitcnt vmcnt(0)
	v_lshlrev_b32_e32 v3, 23, v2
	v_cmp_ne_u32_e32 vcc_lo, 0xff, v2
	s_delay_alu instid0(VALU_DEP_2) | instskip(SKIP_1) | instid1(VALU_DEP_2)
	v_cndmask_b32_e32 v3, 0x7f800001, v3, vcc_lo
	v_cmp_ne_u32_e32 vcc_lo, 0, v2
	v_cndmask_b32_e32 v2, 0x400000, v3, vcc_lo
	s_branch .LBB88_395
.LBB88_322:
	s_mov_b32 s0, s9
.LBB88_323:
	s_and_b32 vcc_lo, exec_lo, s16
	s_cbranch_vccz .LBB88_328
; %bb.324:
	v_cmp_eq_u16_e32 vcc_lo, 44, v7
	s_mov_b32 s0, -1
	s_cbranch_vccz .LBB88_328
; %bb.325:
	v_bfe_u32 v8, v2, 23, 8
	v_mov_b32_e32 v3, 0xff
	s_mov_b32 s14, exec_lo
	s_delay_alu instid0(VALU_DEP_2)
	v_cmpx_ne_u32_e32 0xff, v8
; %bb.326:
	v_and_b32_e32 v3, 0x400000, v2
	v_and_or_b32 v8, 0x3fffff, v2, v8
	s_delay_alu instid0(VALU_DEP_2) | instskip(NEXT) | instid1(VALU_DEP_2)
	v_cmp_ne_u32_e32 vcc_lo, 0, v3
	v_cmp_ne_u32_e64 s0, 0, v8
	v_lshrrev_b32_e32 v3, 23, v2
	s_delay_alu instid0(VALU_DEP_2) | instskip(NEXT) | instid1(SALU_CYCLE_1)
	s_and_b32 s0, vcc_lo, s0
	v_cndmask_b32_e64 v8, 0, 1, s0
	s_delay_alu instid0(VALU_DEP_1)
	v_add_nc_u32_e32 v3, v3, v8
; %bb.327:
	s_or_b32 exec_lo, exec_lo, s14
	s_mov_b32 s14, -1
	s_mov_b32 s0, 0
	global_store_b8 v[0:1], v3, off
.LBB88_328:
	s_mov_b32 s16, 0
.LBB88_329:
	s_delay_alu instid0(SALU_CYCLE_1)
	s_and_b32 vcc_lo, exec_lo, s16
	s_cbranch_vccz .LBB88_332
; %bb.330:
	v_cmp_eq_u16_e32 vcc_lo, 29, v7
	s_mov_b32 s0, -1
	s_cbranch_vccz .LBB88_332
; %bb.331:
	v_trunc_f32_e32 v3, v2
	s_mov_b32 s14, -1
	s_mov_b32 s0, 0
	s_mov_b32 s16, 0
	s_delay_alu instid0(VALU_DEP_1) | instskip(NEXT) | instid1(VALU_DEP_1)
	v_mul_f32_e32 v8, 0x2f800000, v3
	v_floor_f32_e32 v8, v8
	s_delay_alu instid0(VALU_DEP_1) | instskip(SKIP_1) | instid1(VALU_DEP_2)
	v_fmamk_f32 v3, v8, 0xcf800000, v3
	v_cvt_u32_f32_e32 v9, v8
	v_cvt_u32_f32_e32 v8, v3
	global_store_b64 v[0:1], v[8:9], off
	s_branch .LBB88_333
.LBB88_332:
	s_mov_b32 s16, 0
.LBB88_333:
	s_delay_alu instid0(SALU_CYCLE_1)
	s_and_b32 vcc_lo, exec_lo, s16
	s_cbranch_vccz .LBB88_349
; %bb.334:
	v_cmp_gt_i16_e32 vcc_lo, 27, v7
	s_mov_b32 s14, -1
	s_cbranch_vccnz .LBB88_340
; %bb.335:
	v_cmp_lt_i16_e32 vcc_lo, 27, v7
	s_cbranch_vccz .LBB88_337
; %bb.336:
	v_cvt_u32_f32_e32 v3, v2
	s_mov_b32 s14, 0
	global_store_b32 v[0:1], v3, off
.LBB88_337:
	s_and_not1_b32 vcc_lo, exec_lo, s14
	s_cbranch_vccnz .LBB88_339
; %bb.338:
	v_cvt_u32_f32_e32 v3, v2
	global_store_b16 v[0:1], v3, off
.LBB88_339:
	s_mov_b32 s14, 0
.LBB88_340:
	s_delay_alu instid0(SALU_CYCLE_1)
	s_and_not1_b32 vcc_lo, exec_lo, s14
	s_cbranch_vccnz .LBB88_348
; %bb.341:
	v_and_b32_e32 v3, 0x7fffffff, v2
	v_mov_b32_e32 v8, 0x80
	s_mov_b32 s14, exec_lo
	s_delay_alu instid0(VALU_DEP_2)
	v_cmpx_gt_u32_e32 0x43800000, v3
	s_cbranch_execz .LBB88_347
; %bb.342:
	v_cmp_lt_u32_e32 vcc_lo, 0x3bffffff, v3
	s_mov_b32 s16, 0
                                        ; implicit-def: $vgpr3
	s_and_saveexec_b32 s17, vcc_lo
	s_delay_alu instid0(SALU_CYCLE_1)
	s_xor_b32 s17, exec_lo, s17
	s_cbranch_execz .LBB88_520
; %bb.343:
	v_bfe_u32 v3, v2, 20, 1
	s_mov_b32 s16, exec_lo
	s_delay_alu instid0(VALU_DEP_1) | instskip(NEXT) | instid1(VALU_DEP_1)
	v_add3_u32 v3, v2, v3, 0x487ffff
	v_lshrrev_b32_e32 v3, 20, v3
	s_or_saveexec_b32 s17, s17
                                        ; implicit-def: $sgpr18
	s_delay_alu instid0(SALU_CYCLE_1)
	s_xor_b32 exec_lo, exec_lo, s17
	s_cbranch_execnz .LBB88_521
.LBB88_344:
	s_or_b32 exec_lo, exec_lo, s17
	v_mov_b32_e32 v8, s18
	s_and_saveexec_b32 s17, s16
.LBB88_345:
	v_lshrrev_b32_e32 v8, 24, v2
	s_delay_alu instid0(VALU_DEP_1)
	v_and_or_b32 v8, 0x80, v8, v3
.LBB88_346:
	s_or_b32 exec_lo, exec_lo, s17
.LBB88_347:
	s_delay_alu instid0(SALU_CYCLE_1)
	s_or_b32 exec_lo, exec_lo, s14
	global_store_b8 v[0:1], v8, off
.LBB88_348:
	s_mov_b32 s14, -1
.LBB88_349:
	s_mov_b32 s16, 0
.LBB88_350:
	s_delay_alu instid0(SALU_CYCLE_1)
	s_and_b32 vcc_lo, exec_lo, s16
	s_cbranch_vccz .LBB88_391
; %bb.351:
	v_cmp_lt_i16_e32 vcc_lo, 22, v7
	s_mov_b32 s16, -1
	s_cbranch_vccz .LBB88_383
; %bb.352:
	v_cmp_gt_i16_e32 vcc_lo, 24, v7
	s_mov_b32 s14, -1
	s_cbranch_vccnz .LBB88_372
; %bb.353:
	v_cmp_lt_i16_e32 vcc_lo, 24, v7
	s_cbranch_vccz .LBB88_361
; %bb.354:
	v_and_b32_e32 v3, 0x7fffffff, v2
	v_mov_b32_e32 v8, 0x80
	s_mov_b32 s14, exec_lo
	s_delay_alu instid0(VALU_DEP_2)
	v_cmpx_gt_u32_e32 0x47800000, v3
	s_cbranch_execz .LBB88_360
; %bb.355:
	v_cmp_lt_u32_e32 vcc_lo, 0x37ffffff, v3
	s_mov_b32 s16, 0
                                        ; implicit-def: $vgpr3
	s_and_saveexec_b32 s17, vcc_lo
	s_delay_alu instid0(SALU_CYCLE_1)
	s_xor_b32 s17, exec_lo, s17
	s_cbranch_execz .LBB88_523
; %bb.356:
	v_bfe_u32 v3, v2, 21, 1
	s_mov_b32 s16, exec_lo
	s_delay_alu instid0(VALU_DEP_1) | instskip(NEXT) | instid1(VALU_DEP_1)
	v_add3_u32 v3, v2, v3, 0x88fffff
	v_lshrrev_b32_e32 v3, 21, v3
	s_or_saveexec_b32 s17, s17
                                        ; implicit-def: $sgpr18
	s_delay_alu instid0(SALU_CYCLE_1)
	s_xor_b32 exec_lo, exec_lo, s17
	s_cbranch_execnz .LBB88_524
.LBB88_357:
	s_or_b32 exec_lo, exec_lo, s17
	v_mov_b32_e32 v8, s18
	s_and_saveexec_b32 s17, s16
.LBB88_358:
	v_lshrrev_b32_e32 v8, 24, v2
	s_delay_alu instid0(VALU_DEP_1)
	v_and_or_b32 v8, 0x80, v8, v3
.LBB88_359:
	s_or_b32 exec_lo, exec_lo, s17
.LBB88_360:
	s_delay_alu instid0(SALU_CYCLE_1)
	s_or_b32 exec_lo, exec_lo, s14
	s_mov_b32 s14, 0
	global_store_b8 v[0:1], v8, off
.LBB88_361:
	s_and_b32 vcc_lo, exec_lo, s14
	s_cbranch_vccz .LBB88_371
; %bb.362:
	v_and_b32_e32 v8, 0x7fffffff, v2
	s_mov_b32 s14, exec_lo
                                        ; implicit-def: $vgpr3
	s_delay_alu instid0(VALU_DEP_1)
	v_cmpx_gt_u32_e32 0x43f00000, v8
	s_xor_b32 s14, exec_lo, s14
	s_cbranch_execz .LBB88_368
; %bb.363:
	s_mov_b32 s16, exec_lo
                                        ; implicit-def: $vgpr3
	v_cmpx_lt_u32_e32 0x3c7fffff, v8
	s_xor_b32 s16, exec_lo, s16
; %bb.364:
	v_bfe_u32 v3, v2, 20, 1
	s_delay_alu instid0(VALU_DEP_1) | instskip(NEXT) | instid1(VALU_DEP_1)
	v_add3_u32 v3, v2, v3, 0x407ffff
	v_and_b32_e32 v8, 0xff00000, v3
	v_lshrrev_b32_e32 v3, 20, v3
	s_delay_alu instid0(VALU_DEP_2) | instskip(NEXT) | instid1(VALU_DEP_2)
	v_cmp_ne_u32_e32 vcc_lo, 0x7f00000, v8
	v_cndmask_b32_e32 v3, 0x7e, v3, vcc_lo
; %bb.365:
	s_and_not1_saveexec_b32 s16, s16
; %bb.366:
	v_add_f32_e64 v3, 0x46800000, |v2|
; %bb.367:
	s_or_b32 exec_lo, exec_lo, s16
                                        ; implicit-def: $vgpr8
.LBB88_368:
	s_and_not1_saveexec_b32 s14, s14
; %bb.369:
	v_mov_b32_e32 v3, 0x7f
	v_cmp_lt_u32_e32 vcc_lo, 0x7f800000, v8
	s_delay_alu instid0(VALU_DEP_2)
	v_cndmask_b32_e32 v3, 0x7e, v3, vcc_lo
; %bb.370:
	s_or_b32 exec_lo, exec_lo, s14
	v_lshrrev_b32_e32 v8, 24, v2
	s_delay_alu instid0(VALU_DEP_1)
	v_and_or_b32 v3, 0x80, v8, v3
	global_store_b8 v[0:1], v3, off
.LBB88_371:
	s_mov_b32 s14, 0
.LBB88_372:
	s_delay_alu instid0(SALU_CYCLE_1)
	s_and_not1_b32 vcc_lo, exec_lo, s14
	s_cbranch_vccnz .LBB88_382
; %bb.373:
	v_and_b32_e32 v8, 0x7fffffff, v2
	s_mov_b32 s14, exec_lo
                                        ; implicit-def: $vgpr3
	s_delay_alu instid0(VALU_DEP_1)
	v_cmpx_gt_u32_e32 0x47800000, v8
	s_xor_b32 s14, exec_lo, s14
	s_cbranch_execz .LBB88_379
; %bb.374:
	s_mov_b32 s16, exec_lo
                                        ; implicit-def: $vgpr3
	v_cmpx_lt_u32_e32 0x387fffff, v8
	s_xor_b32 s16, exec_lo, s16
; %bb.375:
	v_bfe_u32 v3, v2, 21, 1
	s_delay_alu instid0(VALU_DEP_1) | instskip(NEXT) | instid1(VALU_DEP_1)
	v_add3_u32 v3, v2, v3, 0x80fffff
	v_lshrrev_b32_e32 v3, 21, v3
; %bb.376:
	s_and_not1_saveexec_b32 s16, s16
; %bb.377:
	v_add_f32_e64 v3, 0x43000000, |v2|
; %bb.378:
	s_or_b32 exec_lo, exec_lo, s16
                                        ; implicit-def: $vgpr8
.LBB88_379:
	s_and_not1_saveexec_b32 s14, s14
; %bb.380:
	v_mov_b32_e32 v3, 0x7f
	v_cmp_lt_u32_e32 vcc_lo, 0x7f800000, v8
	s_delay_alu instid0(VALU_DEP_2)
	v_cndmask_b32_e32 v3, 0x7c, v3, vcc_lo
; %bb.381:
	s_or_b32 exec_lo, exec_lo, s14
	v_lshrrev_b32_e32 v8, 24, v2
	s_delay_alu instid0(VALU_DEP_1)
	v_and_or_b32 v3, 0x80, v8, v3
	global_store_b8 v[0:1], v3, off
.LBB88_382:
	s_mov_b32 s16, 0
	s_mov_b32 s14, -1
.LBB88_383:
	s_and_not1_b32 vcc_lo, exec_lo, s16
	s_cbranch_vccnz .LBB88_391
; %bb.384:
	v_cmp_lt_i16_e32 vcc_lo, 14, v7
	s_mov_b32 s16, -1
	s_cbranch_vccz .LBB88_388
; %bb.385:
	v_cmp_eq_u16_e32 vcc_lo, 15, v7
	s_mov_b32 s0, -1
	s_cbranch_vccz .LBB88_387
; %bb.386:
	v_bfe_u32 v3, v2, 16, 1
	v_cmp_o_f32_e32 vcc_lo, v2, v2
	s_mov_b32 s14, -1
	s_mov_b32 s0, 0
	s_delay_alu instid0(VALU_DEP_2) | instskip(NEXT) | instid1(VALU_DEP_1)
	v_add3_u32 v3, v2, v3, 0x7fff
	v_lshrrev_b32_e32 v3, 16, v3
	s_delay_alu instid0(VALU_DEP_1)
	v_cndmask_b32_e32 v3, 0x7fc0, v3, vcc_lo
	global_store_b16 v[0:1], v3, off
.LBB88_387:
	s_mov_b32 s16, 0
.LBB88_388:
	s_delay_alu instid0(SALU_CYCLE_1)
	s_and_b32 vcc_lo, exec_lo, s16
	s_cbranch_vccz .LBB88_391
; %bb.389:
	v_cmp_eq_u16_e32 vcc_lo, 11, v7
	s_mov_b32 s0, -1
	s_cbranch_vccz .LBB88_391
; %bb.390:
	v_cmp_neq_f32_e32 vcc_lo, 0, v2
	s_mov_b32 s0, 0
	s_mov_b32 s14, -1
	v_cndmask_b32_e64 v3, 0, 1, vcc_lo
	global_store_b8 v[0:1], v3, off
.LBB88_391:
.LBB88_392:
	s_and_not1_b32 vcc_lo, exec_lo, s14
	s_cbranch_vccnz .LBB88_307
.LBB88_393:
	v_add_nc_u32_e32 v5, 0x80, v5
	s_mov_b32 s16, -1
	s_branch .LBB88_506
.LBB88_394:
	s_mov_b32 s13, -1
                                        ; implicit-def: $vgpr2
.LBB88_395:
	s_mov_b32 s14, 0
.LBB88_396:
	s_delay_alu instid0(SALU_CYCLE_1)
	s_and_b32 vcc_lo, exec_lo, s14
	s_cbranch_vccz .LBB88_400
; %bb.397:
	v_cmp_eq_u16_e32 vcc_lo, 29, v6
	s_cbranch_vccz .LBB88_399
; %bb.398:
	global_load_b64 v[2:3], v[0:1], off
	s_mov_b32 s0, -1
	s_mov_b32 s13, 0
	s_mov_b32 s14, 0
	s_waitcnt vmcnt(0)
	v_clz_i32_u32_e32 v7, v3
	s_delay_alu instid0(VALU_DEP_1) | instskip(NEXT) | instid1(VALU_DEP_1)
	v_min_u32_e32 v7, 32, v7
	v_lshlrev_b64 v[2:3], v7, v[2:3]
	s_delay_alu instid0(VALU_DEP_1) | instskip(NEXT) | instid1(VALU_DEP_1)
	v_min_u32_e32 v2, 1, v2
	v_or_b32_e32 v2, v3, v2
	v_sub_nc_u32_e32 v3, 32, v7
	s_delay_alu instid0(VALU_DEP_2) | instskip(NEXT) | instid1(VALU_DEP_1)
	v_cvt_f32_u32_e32 v2, v2
	v_ldexp_f32 v2, v2, v3
	s_branch .LBB88_401
.LBB88_399:
	s_mov_b32 s13, -1
                                        ; implicit-def: $vgpr2
.LBB88_400:
	s_mov_b32 s14, 0
.LBB88_401:
	s_delay_alu instid0(SALU_CYCLE_1)
	s_and_b32 vcc_lo, exec_lo, s14
	s_cbranch_vccz .LBB88_419
; %bb.402:
	v_cmp_gt_i16_e32 vcc_lo, 27, v6
	s_cbranch_vccnz .LBB88_405
; %bb.403:
	v_cmp_lt_i16_e32 vcc_lo, 27, v6
	s_cbranch_vccz .LBB88_406
; %bb.404:
	global_load_b32 v2, v[0:1], off
	s_mov_b32 s0, 0
	s_waitcnt vmcnt(0)
	v_cvt_f32_u32_e32 v2, v2
	s_branch .LBB88_407
.LBB88_405:
	s_mov_b32 s0, -1
                                        ; implicit-def: $vgpr2
	s_branch .LBB88_410
.LBB88_406:
	s_mov_b32 s0, -1
                                        ; implicit-def: $vgpr2
.LBB88_407:
	s_delay_alu instid0(SALU_CYCLE_1)
	s_and_not1_b32 vcc_lo, exec_lo, s0
	s_cbranch_vccnz .LBB88_409
; %bb.408:
	global_load_u16 v2, v[0:1], off
	s_waitcnt vmcnt(0)
	v_cvt_f32_u32_e32 v2, v2
.LBB88_409:
	s_mov_b32 s0, 0
.LBB88_410:
	s_delay_alu instid0(SALU_CYCLE_1)
	s_and_not1_b32 vcc_lo, exec_lo, s0
	s_cbranch_vccnz .LBB88_418
; %bb.411:
	global_load_u8 v3, v[0:1], off
	s_mov_b32 s0, 0
	s_mov_b32 s16, exec_lo
                                        ; implicit-def: $sgpr14
	s_waitcnt vmcnt(0)
	v_cmpx_lt_i16_e32 0x7f, v3
	s_xor_b32 s16, exec_lo, s16
	s_cbranch_execz .LBB88_432
; %bb.412:
	s_mov_b32 s0, -1
	s_mov_b32 s17, exec_lo
                                        ; implicit-def: $sgpr14
	v_cmpx_eq_u16_e32 0x80, v3
; %bb.413:
	s_mov_b32 s14, 0x7f800001
	s_xor_b32 s0, exec_lo, -1
; %bb.414:
	s_or_b32 exec_lo, exec_lo, s17
	s_delay_alu instid0(SALU_CYCLE_1)
	s_and_b32 s0, s0, exec_lo
	s_or_saveexec_b32 s16, s16
	v_mov_b32_e32 v2, s14
	s_xor_b32 exec_lo, exec_lo, s16
	s_cbranch_execnz .LBB88_433
.LBB88_415:
	s_or_b32 exec_lo, exec_lo, s16
	s_and_saveexec_b32 s14, s0
	s_cbranch_execz .LBB88_417
.LBB88_416:
	v_and_b32_e32 v2, 0xffff, v3
	v_lshlrev_b32_e32 v3, 24, v3
	s_delay_alu instid0(VALU_DEP_2) | instskip(NEXT) | instid1(VALU_DEP_2)
	v_and_b32_e32 v7, 7, v2
	v_and_b32_e32 v3, 0x80000000, v3
	s_delay_alu instid0(VALU_DEP_2) | instskip(NEXT) | instid1(VALU_DEP_1)
	v_clz_i32_u32_e32 v8, v7
	v_min_u32_e32 v8, 32, v8
	s_delay_alu instid0(VALU_DEP_1) | instskip(SKIP_1) | instid1(VALU_DEP_2)
	v_subrev_nc_u32_e32 v9, 28, v8
	v_sub_nc_u32_e32 v8, 29, v8
	v_lshlrev_b32_e32 v9, v9, v2
	v_bfe_u32 v2, v2, 3, 4
	s_delay_alu instid0(VALU_DEP_2) | instskip(NEXT) | instid1(VALU_DEP_2)
	v_and_b32_e32 v9, 7, v9
	v_cmp_eq_u32_e32 vcc_lo, 0, v2
	s_delay_alu instid0(VALU_DEP_2) | instskip(NEXT) | instid1(VALU_DEP_1)
	v_dual_cndmask_b32 v2, v2, v8 :: v_dual_cndmask_b32 v7, v7, v9
	v_lshl_add_u32 v2, v2, 23, 0x3b800000
	s_delay_alu instid0(VALU_DEP_2) | instskip(NEXT) | instid1(VALU_DEP_1)
	v_lshlrev_b32_e32 v7, 20, v7
	v_or3_b32 v2, v3, v2, v7
.LBB88_417:
	s_or_b32 exec_lo, exec_lo, s14
.LBB88_418:
	s_mov_b32 s0, -1
.LBB88_419:
	s_mov_b32 s14, 0
.LBB88_420:
	s_delay_alu instid0(SALU_CYCLE_1)
	s_and_b32 vcc_lo, exec_lo, s14
	s_cbranch_vccz .LBB88_455
; %bb.421:
	v_cmp_lt_i16_e32 vcc_lo, 22, v6
	s_cbranch_vccz .LBB88_431
; %bb.422:
	v_cmp_gt_i16_e32 vcc_lo, 24, v6
	s_cbranch_vccnz .LBB88_434
; %bb.423:
	v_cmp_lt_i16_e32 vcc_lo, 24, v6
	s_cbranch_vccz .LBB88_435
; %bb.424:
	global_load_u8 v3, v[0:1], off
	s_mov_b32 s0, 0
	s_mov_b32 s16, exec_lo
                                        ; implicit-def: $sgpr14
	s_waitcnt vmcnt(0)
	v_cmpx_lt_i16_e32 0x7f, v3
	s_xor_b32 s16, exec_lo, s16
	s_cbranch_execz .LBB88_447
; %bb.425:
	s_mov_b32 s0, -1
	s_mov_b32 s17, exec_lo
                                        ; implicit-def: $sgpr14
	v_cmpx_eq_u16_e32 0x80, v3
; %bb.426:
	s_mov_b32 s14, 0x7f800001
	s_xor_b32 s0, exec_lo, -1
; %bb.427:
	s_or_b32 exec_lo, exec_lo, s17
	s_delay_alu instid0(SALU_CYCLE_1)
	s_and_b32 s0, s0, exec_lo
	s_or_saveexec_b32 s16, s16
	v_mov_b32_e32 v2, s14
	s_xor_b32 exec_lo, exec_lo, s16
	s_cbranch_execnz .LBB88_448
.LBB88_428:
	s_or_b32 exec_lo, exec_lo, s16
	s_and_saveexec_b32 s14, s0
	s_cbranch_execz .LBB88_430
.LBB88_429:
	v_and_b32_e32 v2, 0xffff, v3
	v_lshlrev_b32_e32 v3, 24, v3
	s_delay_alu instid0(VALU_DEP_2) | instskip(NEXT) | instid1(VALU_DEP_2)
	v_and_b32_e32 v7, 3, v2
	v_and_b32_e32 v3, 0x80000000, v3
	s_delay_alu instid0(VALU_DEP_2) | instskip(NEXT) | instid1(VALU_DEP_1)
	v_clz_i32_u32_e32 v8, v7
	v_min_u32_e32 v8, 32, v8
	s_delay_alu instid0(VALU_DEP_1) | instskip(SKIP_1) | instid1(VALU_DEP_2)
	v_subrev_nc_u32_e32 v9, 29, v8
	v_sub_nc_u32_e32 v8, 30, v8
	v_lshlrev_b32_e32 v9, v9, v2
	v_bfe_u32 v2, v2, 2, 5
	s_delay_alu instid0(VALU_DEP_2) | instskip(NEXT) | instid1(VALU_DEP_2)
	v_and_b32_e32 v9, 3, v9
	v_cmp_eq_u32_e32 vcc_lo, 0, v2
	s_delay_alu instid0(VALU_DEP_2) | instskip(NEXT) | instid1(VALU_DEP_1)
	v_dual_cndmask_b32 v2, v2, v8 :: v_dual_cndmask_b32 v7, v7, v9
	v_lshl_add_u32 v2, v2, 23, 0x37800000
	s_delay_alu instid0(VALU_DEP_2) | instskip(NEXT) | instid1(VALU_DEP_1)
	v_lshlrev_b32_e32 v7, 21, v7
	v_or3_b32 v2, v3, v2, v7
.LBB88_430:
	s_or_b32 exec_lo, exec_lo, s14
	s_mov_b32 s0, 0
	s_branch .LBB88_436
.LBB88_431:
	s_mov_b32 s14, -1
                                        ; implicit-def: $vgpr2
	s_branch .LBB88_442
.LBB88_432:
	s_or_saveexec_b32 s16, s16
	v_mov_b32_e32 v2, s14
	s_xor_b32 exec_lo, exec_lo, s16
	s_cbranch_execz .LBB88_415
.LBB88_433:
	v_cmp_ne_u16_e32 vcc_lo, 0, v3
	v_mov_b32_e32 v2, 0
	s_and_not1_b32 s0, s0, exec_lo
	s_and_b32 s14, vcc_lo, exec_lo
	s_delay_alu instid0(SALU_CYCLE_1)
	s_or_b32 s0, s0, s14
	s_or_b32 exec_lo, exec_lo, s16
	s_and_saveexec_b32 s14, s0
	s_cbranch_execnz .LBB88_416
	s_branch .LBB88_417
.LBB88_434:
	s_mov_b32 s0, -1
                                        ; implicit-def: $vgpr2
	s_branch .LBB88_439
.LBB88_435:
	s_mov_b32 s0, -1
                                        ; implicit-def: $vgpr2
.LBB88_436:
	s_delay_alu instid0(SALU_CYCLE_1)
	s_and_b32 vcc_lo, exec_lo, s0
	s_cbranch_vccz .LBB88_438
; %bb.437:
	global_load_u8 v2, v[0:1], off
	s_waitcnt vmcnt(0)
	v_lshlrev_b32_e32 v2, 24, v2
	s_delay_alu instid0(VALU_DEP_1) | instskip(NEXT) | instid1(VALU_DEP_1)
	v_and_b32_e32 v3, 0x7f000000, v2
	v_clz_i32_u32_e32 v7, v3
	v_add_nc_u32_e32 v9, 0x1000000, v3
	v_cmp_ne_u32_e32 vcc_lo, 0, v3
	s_delay_alu instid0(VALU_DEP_3) | instskip(NEXT) | instid1(VALU_DEP_1)
	v_min_u32_e32 v7, 32, v7
	v_sub_nc_u32_e64 v7, v7, 4 clamp
	s_delay_alu instid0(VALU_DEP_1) | instskip(SKIP_1) | instid1(VALU_DEP_2)
	v_lshlrev_b32_e32 v8, v7, v3
	v_lshlrev_b32_e32 v7, 23, v7
	v_lshrrev_b32_e32 v8, 4, v8
	s_delay_alu instid0(VALU_DEP_1) | instskip(SKIP_1) | instid1(VALU_DEP_2)
	v_sub_nc_u32_e32 v7, v8, v7
	v_ashrrev_i32_e32 v8, 8, v9
	v_add_nc_u32_e32 v7, 0x3c000000, v7
	s_delay_alu instid0(VALU_DEP_1) | instskip(NEXT) | instid1(VALU_DEP_1)
	v_and_or_b32 v7, 0x7f800000, v8, v7
	v_cndmask_b32_e32 v3, 0, v7, vcc_lo
	s_delay_alu instid0(VALU_DEP_1)
	v_and_or_b32 v2, 0x80000000, v2, v3
.LBB88_438:
	s_mov_b32 s0, 0
.LBB88_439:
	s_delay_alu instid0(SALU_CYCLE_1)
	s_and_not1_b32 vcc_lo, exec_lo, s0
	s_cbranch_vccnz .LBB88_441
; %bb.440:
	global_load_u8 v2, v[0:1], off
	s_waitcnt vmcnt(0)
	v_lshlrev_b32_e32 v3, 25, v2
	v_lshlrev_b16 v2, 8, v2
	s_delay_alu instid0(VALU_DEP_1) | instskip(SKIP_1) | instid1(VALU_DEP_2)
	v_and_or_b32 v8, 0x7f00, v2, 0.5
	v_bfe_i32 v2, v2, 0, 16
	v_add_f32_e32 v8, -0.5, v8
	v_lshrrev_b32_e32 v7, 4, v3
	v_cmp_gt_u32_e32 vcc_lo, 0x8000000, v3
	s_delay_alu instid0(VALU_DEP_2) | instskip(NEXT) | instid1(VALU_DEP_1)
	v_or_b32_e32 v7, 0x70000000, v7
	v_mul_f32_e32 v7, 0x7800000, v7
	s_delay_alu instid0(VALU_DEP_1) | instskip(NEXT) | instid1(VALU_DEP_1)
	v_cndmask_b32_e32 v3, v7, v8, vcc_lo
	v_and_or_b32 v2, 0x80000000, v2, v3
.LBB88_441:
	s_mov_b32 s14, 0
	s_mov_b32 s0, -1
.LBB88_442:
	s_and_not1_b32 vcc_lo, exec_lo, s14
	s_cbranch_vccnz .LBB88_455
; %bb.443:
	v_cmp_lt_i16_e32 vcc_lo, 14, v6
	s_cbranch_vccz .LBB88_446
; %bb.444:
	v_cmp_eq_u16_e32 vcc_lo, 15, v6
	s_cbranch_vccz .LBB88_449
; %bb.445:
	global_load_u16 v2, v[0:1], off
	s_mov_b32 s0, -1
	s_mov_b32 s13, 0
	s_waitcnt vmcnt(0)
	v_lshlrev_b32_e32 v2, 16, v2
	s_branch .LBB88_450
.LBB88_446:
	s_mov_b32 s14, -1
                                        ; implicit-def: $vgpr2
	s_branch .LBB88_451
.LBB88_447:
	s_or_saveexec_b32 s16, s16
	v_mov_b32_e32 v2, s14
	s_xor_b32 exec_lo, exec_lo, s16
	s_cbranch_execz .LBB88_428
.LBB88_448:
	v_cmp_ne_u16_e32 vcc_lo, 0, v3
	v_mov_b32_e32 v2, 0
	s_and_not1_b32 s0, s0, exec_lo
	s_and_b32 s14, vcc_lo, exec_lo
	s_delay_alu instid0(SALU_CYCLE_1)
	s_or_b32 s0, s0, s14
	s_or_b32 exec_lo, exec_lo, s16
	s_and_saveexec_b32 s14, s0
	s_cbranch_execnz .LBB88_429
	s_branch .LBB88_430
.LBB88_449:
	s_mov_b32 s13, -1
                                        ; implicit-def: $vgpr2
.LBB88_450:
	s_mov_b32 s14, 0
.LBB88_451:
	s_delay_alu instid0(SALU_CYCLE_1)
	s_and_b32 vcc_lo, exec_lo, s14
	s_cbranch_vccz .LBB88_455
; %bb.452:
	v_cmp_eq_u16_e32 vcc_lo, 11, v6
	s_cbranch_vccz .LBB88_454
; %bb.453:
	global_load_u8 v2, v[0:1], off
	s_mov_b32 s13, 0
	s_mov_b32 s0, -1
	s_waitcnt vmcnt(0)
	v_cmp_ne_u16_e32 vcc_lo, 0, v2
	v_cndmask_b32_e64 v2, 0, 1.0, vcc_lo
	s_branch .LBB88_455
.LBB88_454:
	s_mov_b32 s13, -1
                                        ; implicit-def: $vgpr2
.LBB88_455:
	s_branch .LBB88_260
.LBB88_456:
	v_cmp_gt_i16_e32 vcc_lo, 5, v6
	s_cbranch_vccnz .LBB88_461
; %bb.457:
	v_cmp_gt_i16_e32 vcc_lo, 8, v6
	s_cbranch_vccnz .LBB88_462
; %bb.458:
	;; [unrolled: 3-line block ×3, first 2 shown]
	v_cmp_lt_i16_e32 vcc_lo, 9, v6
	s_cbranch_vccz .LBB88_464
; %bb.460:
	global_load_b64 v[2:3], v[0:1], off
	s_mov_b32 s0, 0
	s_waitcnt vmcnt(0)
	v_cvt_f32_f64_e32 v2, v[2:3]
	s_branch .LBB88_465
.LBB88_461:
	s_mov_b32 s0, -1
                                        ; implicit-def: $vgpr2
	s_branch .LBB88_483
.LBB88_462:
	s_mov_b32 s0, -1
                                        ; implicit-def: $vgpr2
	s_branch .LBB88_471
.LBB88_463:
	s_mov_b32 s0, -1
                                        ; implicit-def: $vgpr2
	s_branch .LBB88_468
.LBB88_464:
	s_mov_b32 s0, -1
                                        ; implicit-def: $vgpr2
.LBB88_465:
	s_delay_alu instid0(SALU_CYCLE_1)
	s_and_not1_b32 vcc_lo, exec_lo, s0
	s_cbranch_vccnz .LBB88_467
; %bb.466:
	global_load_b32 v2, v[0:1], off
.LBB88_467:
	s_mov_b32 s0, 0
.LBB88_468:
	s_delay_alu instid0(SALU_CYCLE_1)
	s_and_not1_b32 vcc_lo, exec_lo, s0
	s_cbranch_vccnz .LBB88_470
; %bb.469:
	global_load_b32 v2, v[0:1], off
	s_waitcnt vmcnt(0)
	v_cvt_f32_f16_e32 v2, v2
.LBB88_470:
	s_mov_b32 s0, 0
.LBB88_471:
	s_delay_alu instid0(SALU_CYCLE_1)
	s_and_not1_b32 vcc_lo, exec_lo, s0
	s_cbranch_vccnz .LBB88_482
; %bb.472:
	v_cmp_gt_i16_e32 vcc_lo, 6, v6
	s_cbranch_vccnz .LBB88_475
; %bb.473:
	v_cmp_lt_i16_e32 vcc_lo, 6, v6
	s_cbranch_vccz .LBB88_476
; %bb.474:
	global_load_b64 v[2:3], v[0:1], off
	s_mov_b32 s0, 0
	s_waitcnt vmcnt(0)
	v_cvt_f32_f64_e32 v2, v[2:3]
	s_branch .LBB88_477
.LBB88_475:
	s_mov_b32 s0, -1
                                        ; implicit-def: $vgpr2
	s_branch .LBB88_480
.LBB88_476:
	s_mov_b32 s0, -1
                                        ; implicit-def: $vgpr2
.LBB88_477:
	s_delay_alu instid0(SALU_CYCLE_1)
	s_and_not1_b32 vcc_lo, exec_lo, s0
	s_cbranch_vccnz .LBB88_479
; %bb.478:
	global_load_b32 v2, v[0:1], off
.LBB88_479:
	s_mov_b32 s0, 0
.LBB88_480:
	s_delay_alu instid0(SALU_CYCLE_1)
	s_and_not1_b32 vcc_lo, exec_lo, s0
	s_cbranch_vccnz .LBB88_482
; %bb.481:
	global_load_u16 v2, v[0:1], off
	s_waitcnt vmcnt(0)
	v_cvt_f32_f16_e32 v2, v2
.LBB88_482:
	s_mov_b32 s0, 0
.LBB88_483:
	s_delay_alu instid0(SALU_CYCLE_1)
	s_and_not1_b32 vcc_lo, exec_lo, s0
	s_cbranch_vccnz .LBB88_503
; %bb.484:
	v_cmp_gt_i16_e32 vcc_lo, 2, v6
	s_cbranch_vccnz .LBB88_488
; %bb.485:
	v_cmp_gt_i16_e32 vcc_lo, 3, v6
	s_cbranch_vccnz .LBB88_489
; %bb.486:
	v_cmp_lt_i16_e32 vcc_lo, 3, v6
	s_cbranch_vccz .LBB88_490
; %bb.487:
	global_load_b64 v[2:3], v[0:1], off
	s_mov_b32 s0, 0
	s_waitcnt vmcnt(0)
	v_xor_b32_e32 v7, v2, v3
	v_cls_i32_e32 v8, v3
	s_delay_alu instid0(VALU_DEP_2) | instskip(NEXT) | instid1(VALU_DEP_2)
	v_ashrrev_i32_e32 v7, 31, v7
	v_add_nc_u32_e32 v8, -1, v8
	s_delay_alu instid0(VALU_DEP_2) | instskip(NEXT) | instid1(VALU_DEP_1)
	v_add_nc_u32_e32 v7, 32, v7
	v_min_u32_e32 v7, v8, v7
	s_delay_alu instid0(VALU_DEP_1) | instskip(NEXT) | instid1(VALU_DEP_1)
	v_lshlrev_b64 v[2:3], v7, v[2:3]
	v_min_u32_e32 v2, 1, v2
	s_delay_alu instid0(VALU_DEP_1) | instskip(SKIP_1) | instid1(VALU_DEP_2)
	v_or_b32_e32 v2, v3, v2
	v_sub_nc_u32_e32 v3, 32, v7
	v_cvt_f32_i32_e32 v2, v2
	s_delay_alu instid0(VALU_DEP_1)
	v_ldexp_f32 v2, v2, v3
	s_branch .LBB88_491
.LBB88_488:
	s_mov_b32 s0, -1
                                        ; implicit-def: $vgpr2
	s_branch .LBB88_497
.LBB88_489:
	s_mov_b32 s0, -1
                                        ; implicit-def: $vgpr2
	s_branch .LBB88_494
.LBB88_490:
	s_mov_b32 s0, -1
                                        ; implicit-def: $vgpr2
.LBB88_491:
	s_delay_alu instid0(SALU_CYCLE_1)
	s_and_not1_b32 vcc_lo, exec_lo, s0
	s_cbranch_vccnz .LBB88_493
; %bb.492:
	global_load_b32 v2, v[0:1], off
	s_waitcnt vmcnt(0)
	v_cvt_f32_i32_e32 v2, v2
.LBB88_493:
	s_mov_b32 s0, 0
.LBB88_494:
	s_delay_alu instid0(SALU_CYCLE_1)
	s_and_not1_b32 vcc_lo, exec_lo, s0
	s_cbranch_vccnz .LBB88_496
; %bb.495:
	global_load_i16 v2, v[0:1], off
	s_waitcnt vmcnt(0)
	v_cvt_f32_i32_e32 v2, v2
.LBB88_496:
	s_mov_b32 s0, 0
.LBB88_497:
	s_delay_alu instid0(SALU_CYCLE_1)
	s_and_not1_b32 vcc_lo, exec_lo, s0
	s_cbranch_vccnz .LBB88_503
; %bb.498:
	v_cmp_lt_i16_e32 vcc_lo, 0, v6
	s_mov_b32 s0, 0
	s_cbranch_vccz .LBB88_500
; %bb.499:
	global_load_i8 v2, v[0:1], off
	s_waitcnt vmcnt(0)
	v_cvt_f32_i32_e32 v2, v2
	s_branch .LBB88_501
.LBB88_500:
	s_mov_b32 s0, -1
                                        ; implicit-def: $vgpr2
.LBB88_501:
	s_delay_alu instid0(SALU_CYCLE_1)
	s_and_not1_b32 vcc_lo, exec_lo, s0
	s_cbranch_vccnz .LBB88_503
; %bb.502:
	global_load_u8 v0, v[0:1], off
	s_waitcnt vmcnt(0)
	v_cvt_f32_ubyte0_e32 v2, v0
.LBB88_503:
	s_branch .LBB88_261
.LBB88_504:
	s_mov_b32 s16, 0
	s_mov_b32 s0, s9
.LBB88_505:
                                        ; implicit-def: $vgpr5
.LBB88_506:
	s_and_not1_b32 s14, s9, exec_lo
	s_and_b32 s0, s0, exec_lo
	s_and_not1_b32 s17, s11, exec_lo
	s_and_b32 s13, s13, exec_lo
	s_or_b32 s14, s14, s0
	s_or_b32 s13, s17, s13
	s_or_not1_b32 s17, s16, exec_lo
.LBB88_507:
	s_or_b32 exec_lo, exec_lo, s15
	s_mov_b32 s16, 0
	s_mov_b32 s18, 0
	;; [unrolled: 1-line block ×3, first 2 shown]
                                        ; implicit-def: $vgpr0_vgpr1
                                        ; implicit-def: $vgpr3
	s_and_saveexec_b32 s15, s17
	s_cbranch_execz .LBB88_853
; %bb.508:
	s_mov_b32 s0, -1
	s_mov_b32 s17, s13
	s_mov_b32 s18, s14
	s_mov_b32 s16, exec_lo
	v_cmpx_gt_i32_e64 s10, v5
	s_cbranch_execz .LBB88_767
; %bb.509:
	v_mul_lo_u32 v0, v5, s3
	v_cmp_gt_i16_e32 vcc_lo, 11, v6
	s_delay_alu instid0(VALU_DEP_2) | instskip(SKIP_1) | instid1(VALU_DEP_1)
	v_ashrrev_i32_e32 v1, 31, v0
	v_add_co_u32 v0, s0, s6, v0
	v_add_co_ci_u32_e64 v1, s0, s7, v1, s0
	s_cbranch_vccnz .LBB88_516
; %bb.510:
	v_cmp_lt_i16_e32 vcc_lo, 25, v6
	s_cbranch_vccz .LBB88_517
; %bb.511:
	v_cmp_lt_i16_e32 vcc_lo, 28, v6
	s_cbranch_vccz .LBB88_518
	;; [unrolled: 3-line block ×4, first 2 shown]
; %bb.514:
	v_cmp_eq_u16_e32 vcc_lo, 46, v6
	s_mov_b32 s18, 0
	s_cbranch_vccz .LBB88_525
; %bb.515:
	global_load_b32 v2, v[0:1], off
	s_mov_b32 s0, -1
	s_mov_b32 s17, 0
	s_waitcnt vmcnt(0)
	v_lshlrev_b32_e32 v2, 16, v2
	s_branch .LBB88_527
.LBB88_516:
	s_mov_b32 s18, -1
	s_mov_b32 s0, 0
	s_mov_b32 s17, s13
                                        ; implicit-def: $vgpr2
	s_branch .LBB88_592
.LBB88_517:
	s_mov_b32 s18, -1
	s_mov_b32 s0, 0
	s_mov_b32 s17, s13
                                        ; implicit-def: $vgpr2
	s_branch .LBB88_556
.LBB88_518:
	s_mov_b32 s18, -1
	s_mov_b32 s0, 0
	s_mov_b32 s17, s13
                                        ; implicit-def: $vgpr2
	s_branch .LBB88_537
.LBB88_519:
	s_mov_b32 s18, -1
	s_mov_b32 s0, 0
	s_mov_b32 s17, s13
                                        ; implicit-def: $vgpr2
	s_branch .LBB88_532
.LBB88_520:
	s_or_saveexec_b32 s17, s17
                                        ; implicit-def: $sgpr18
	s_delay_alu instid0(SALU_CYCLE_1)
	s_xor_b32 exec_lo, exec_lo, s17
	s_cbranch_execz .LBB88_344
.LBB88_521:
	v_add_f32_e64 v3, 0x46000000, |v2|
	s_and_not1_b32 s16, s16, exec_lo
	s_mov_b32 s18, 0
	s_delay_alu instid0(VALU_DEP_1) | instskip(NEXT) | instid1(VALU_DEP_1)
	v_and_b32_e32 v3, 0xff, v3
	v_cmp_ne_u32_e32 vcc_lo, 0, v3
	s_and_b32 s19, vcc_lo, exec_lo
	s_delay_alu instid0(SALU_CYCLE_1)
	s_or_b32 s16, s16, s19
	s_or_b32 exec_lo, exec_lo, s17
	v_mov_b32_e32 v8, s18
	s_and_saveexec_b32 s17, s16
	s_cbranch_execnz .LBB88_345
	s_branch .LBB88_346
.LBB88_522:
	s_mov_b32 s18, -1
	s_mov_b32 s0, 0
	s_mov_b32 s17, s13
	s_branch .LBB88_526
.LBB88_523:
	s_or_saveexec_b32 s17, s17
                                        ; implicit-def: $sgpr18
	s_delay_alu instid0(SALU_CYCLE_1)
	s_xor_b32 exec_lo, exec_lo, s17
	s_cbranch_execz .LBB88_357
.LBB88_524:
	v_add_f32_e64 v3, 0x42800000, |v2|
	s_and_not1_b32 s16, s16, exec_lo
	s_mov_b32 s18, 0
	s_delay_alu instid0(VALU_DEP_1) | instskip(NEXT) | instid1(VALU_DEP_1)
	v_and_b32_e32 v3, 0xff, v3
	v_cmp_ne_u32_e32 vcc_lo, 0, v3
	s_and_b32 s19, vcc_lo, exec_lo
	s_delay_alu instid0(SALU_CYCLE_1)
	s_or_b32 s16, s16, s19
	s_or_b32 exec_lo, exec_lo, s17
	v_mov_b32_e32 v8, s18
	s_and_saveexec_b32 s17, s16
	s_cbranch_execnz .LBB88_358
	s_branch .LBB88_359
.LBB88_525:
	s_mov_b32 s17, -1
	s_mov_b32 s0, 0
.LBB88_526:
                                        ; implicit-def: $vgpr2
.LBB88_527:
	s_and_b32 vcc_lo, exec_lo, s18
	s_cbranch_vccz .LBB88_531
; %bb.528:
	v_cmp_eq_u16_e32 vcc_lo, 44, v6
	s_cbranch_vccz .LBB88_530
; %bb.529:
	global_load_u8 v2, v[0:1], off
	s_mov_b32 s17, 0
	s_mov_b32 s0, -1
	s_waitcnt vmcnt(0)
	v_lshlrev_b32_e32 v3, 23, v2
	v_cmp_ne_u32_e32 vcc_lo, 0xff, v2
	s_delay_alu instid0(VALU_DEP_2) | instskip(SKIP_1) | instid1(VALU_DEP_2)
	v_cndmask_b32_e32 v3, 0x7f800001, v3, vcc_lo
	v_cmp_ne_u32_e32 vcc_lo, 0, v2
	v_cndmask_b32_e32 v2, 0x400000, v3, vcc_lo
	s_branch .LBB88_531
.LBB88_530:
	s_mov_b32 s17, -1
                                        ; implicit-def: $vgpr2
.LBB88_531:
	s_mov_b32 s18, 0
.LBB88_532:
	s_delay_alu instid0(SALU_CYCLE_1)
	s_and_b32 vcc_lo, exec_lo, s18
	s_cbranch_vccz .LBB88_536
; %bb.533:
	v_cmp_eq_u16_e32 vcc_lo, 29, v6
	s_cbranch_vccz .LBB88_535
; %bb.534:
	global_load_b64 v[2:3], v[0:1], off
	s_mov_b32 s0, -1
	s_mov_b32 s17, 0
	s_mov_b32 s18, 0
	s_waitcnt vmcnt(0)
	v_clz_i32_u32_e32 v7, v3
	s_delay_alu instid0(VALU_DEP_1) | instskip(NEXT) | instid1(VALU_DEP_1)
	v_min_u32_e32 v7, 32, v7
	v_lshlrev_b64 v[2:3], v7, v[2:3]
	s_delay_alu instid0(VALU_DEP_1) | instskip(NEXT) | instid1(VALU_DEP_1)
	v_min_u32_e32 v2, 1, v2
	v_or_b32_e32 v2, v3, v2
	v_sub_nc_u32_e32 v3, 32, v7
	s_delay_alu instid0(VALU_DEP_2) | instskip(NEXT) | instid1(VALU_DEP_1)
	v_cvt_f32_u32_e32 v2, v2
	v_ldexp_f32 v2, v2, v3
	s_branch .LBB88_537
.LBB88_535:
	s_mov_b32 s17, -1
                                        ; implicit-def: $vgpr2
.LBB88_536:
	s_mov_b32 s18, 0
.LBB88_537:
	s_delay_alu instid0(SALU_CYCLE_1)
	s_and_b32 vcc_lo, exec_lo, s18
	s_cbranch_vccz .LBB88_555
; %bb.538:
	v_cmp_gt_i16_e32 vcc_lo, 27, v6
	s_cbranch_vccnz .LBB88_541
; %bb.539:
	v_cmp_lt_i16_e32 vcc_lo, 27, v6
	s_cbranch_vccz .LBB88_542
; %bb.540:
	global_load_b32 v2, v[0:1], off
	s_mov_b32 s0, 0
	s_waitcnt vmcnt(0)
	v_cvt_f32_u32_e32 v2, v2
	s_branch .LBB88_543
.LBB88_541:
	s_mov_b32 s0, -1
                                        ; implicit-def: $vgpr2
	s_branch .LBB88_546
.LBB88_542:
	s_mov_b32 s0, -1
                                        ; implicit-def: $vgpr2
.LBB88_543:
	s_delay_alu instid0(SALU_CYCLE_1)
	s_and_not1_b32 vcc_lo, exec_lo, s0
	s_cbranch_vccnz .LBB88_545
; %bb.544:
	global_load_u16 v2, v[0:1], off
	s_waitcnt vmcnt(0)
	v_cvt_f32_u32_e32 v2, v2
.LBB88_545:
	s_mov_b32 s0, 0
.LBB88_546:
	s_delay_alu instid0(SALU_CYCLE_1)
	s_and_not1_b32 vcc_lo, exec_lo, s0
	s_cbranch_vccnz .LBB88_554
; %bb.547:
	global_load_u8 v3, v[0:1], off
	s_mov_b32 s0, 0
	s_mov_b32 s19, exec_lo
                                        ; implicit-def: $sgpr18
	s_waitcnt vmcnt(0)
	v_cmpx_lt_i16_e32 0x7f, v3
	s_xor_b32 s19, exec_lo, s19
	s_cbranch_execz .LBB88_568
; %bb.548:
	s_mov_b32 s0, -1
	s_mov_b32 s20, exec_lo
                                        ; implicit-def: $sgpr18
	v_cmpx_eq_u16_e32 0x80, v3
; %bb.549:
	s_mov_b32 s18, 0x7f800001
	s_xor_b32 s0, exec_lo, -1
; %bb.550:
	s_or_b32 exec_lo, exec_lo, s20
	s_delay_alu instid0(SALU_CYCLE_1)
	s_and_b32 s0, s0, exec_lo
	s_or_saveexec_b32 s19, s19
	v_mov_b32_e32 v2, s18
	s_xor_b32 exec_lo, exec_lo, s19
	s_cbranch_execnz .LBB88_569
.LBB88_551:
	s_or_b32 exec_lo, exec_lo, s19
	s_and_saveexec_b32 s18, s0
	s_cbranch_execz .LBB88_553
.LBB88_552:
	v_and_b32_e32 v2, 0xffff, v3
	v_lshlrev_b32_e32 v3, 24, v3
	s_delay_alu instid0(VALU_DEP_2) | instskip(NEXT) | instid1(VALU_DEP_2)
	v_and_b32_e32 v7, 7, v2
	v_and_b32_e32 v3, 0x80000000, v3
	s_delay_alu instid0(VALU_DEP_2) | instskip(NEXT) | instid1(VALU_DEP_1)
	v_clz_i32_u32_e32 v8, v7
	v_min_u32_e32 v8, 32, v8
	s_delay_alu instid0(VALU_DEP_1) | instskip(SKIP_1) | instid1(VALU_DEP_2)
	v_subrev_nc_u32_e32 v9, 28, v8
	v_sub_nc_u32_e32 v8, 29, v8
	v_lshlrev_b32_e32 v9, v9, v2
	v_bfe_u32 v2, v2, 3, 4
	s_delay_alu instid0(VALU_DEP_2) | instskip(NEXT) | instid1(VALU_DEP_2)
	v_and_b32_e32 v9, 7, v9
	v_cmp_eq_u32_e32 vcc_lo, 0, v2
	s_delay_alu instid0(VALU_DEP_2) | instskip(NEXT) | instid1(VALU_DEP_1)
	v_dual_cndmask_b32 v2, v2, v8 :: v_dual_cndmask_b32 v7, v7, v9
	v_lshl_add_u32 v2, v2, 23, 0x3b800000
	s_delay_alu instid0(VALU_DEP_2) | instskip(NEXT) | instid1(VALU_DEP_1)
	v_lshlrev_b32_e32 v7, 20, v7
	v_or3_b32 v2, v3, v2, v7
.LBB88_553:
	s_or_b32 exec_lo, exec_lo, s18
.LBB88_554:
	s_mov_b32 s0, -1
.LBB88_555:
	s_mov_b32 s18, 0
.LBB88_556:
	s_delay_alu instid0(SALU_CYCLE_1)
	s_and_b32 vcc_lo, exec_lo, s18
	s_cbranch_vccz .LBB88_591
; %bb.557:
	v_cmp_lt_i16_e32 vcc_lo, 22, v6
	s_cbranch_vccz .LBB88_567
; %bb.558:
	v_cmp_gt_i16_e32 vcc_lo, 24, v6
	s_cbranch_vccnz .LBB88_570
; %bb.559:
	v_cmp_lt_i16_e32 vcc_lo, 24, v6
	s_cbranch_vccz .LBB88_571
; %bb.560:
	global_load_u8 v3, v[0:1], off
	s_mov_b32 s0, 0
	s_mov_b32 s19, exec_lo
                                        ; implicit-def: $sgpr18
	s_waitcnt vmcnt(0)
	v_cmpx_lt_i16_e32 0x7f, v3
	s_xor_b32 s19, exec_lo, s19
	s_cbranch_execz .LBB88_583
; %bb.561:
	s_mov_b32 s0, -1
	s_mov_b32 s20, exec_lo
                                        ; implicit-def: $sgpr18
	v_cmpx_eq_u16_e32 0x80, v3
; %bb.562:
	s_mov_b32 s18, 0x7f800001
	s_xor_b32 s0, exec_lo, -1
; %bb.563:
	s_or_b32 exec_lo, exec_lo, s20
	s_delay_alu instid0(SALU_CYCLE_1)
	s_and_b32 s0, s0, exec_lo
	s_or_saveexec_b32 s19, s19
	v_mov_b32_e32 v2, s18
	s_xor_b32 exec_lo, exec_lo, s19
	s_cbranch_execnz .LBB88_584
.LBB88_564:
	s_or_b32 exec_lo, exec_lo, s19
	s_and_saveexec_b32 s18, s0
	s_cbranch_execz .LBB88_566
.LBB88_565:
	v_and_b32_e32 v2, 0xffff, v3
	v_lshlrev_b32_e32 v3, 24, v3
	s_delay_alu instid0(VALU_DEP_2) | instskip(NEXT) | instid1(VALU_DEP_2)
	v_and_b32_e32 v7, 3, v2
	v_and_b32_e32 v3, 0x80000000, v3
	s_delay_alu instid0(VALU_DEP_2) | instskip(NEXT) | instid1(VALU_DEP_1)
	v_clz_i32_u32_e32 v8, v7
	v_min_u32_e32 v8, 32, v8
	s_delay_alu instid0(VALU_DEP_1) | instskip(SKIP_1) | instid1(VALU_DEP_2)
	v_subrev_nc_u32_e32 v9, 29, v8
	v_sub_nc_u32_e32 v8, 30, v8
	v_lshlrev_b32_e32 v9, v9, v2
	v_bfe_u32 v2, v2, 2, 5
	s_delay_alu instid0(VALU_DEP_2) | instskip(NEXT) | instid1(VALU_DEP_2)
	v_and_b32_e32 v9, 3, v9
	v_cmp_eq_u32_e32 vcc_lo, 0, v2
	s_delay_alu instid0(VALU_DEP_2) | instskip(NEXT) | instid1(VALU_DEP_1)
	v_dual_cndmask_b32 v2, v2, v8 :: v_dual_cndmask_b32 v7, v7, v9
	v_lshl_add_u32 v2, v2, 23, 0x37800000
	s_delay_alu instid0(VALU_DEP_2) | instskip(NEXT) | instid1(VALU_DEP_1)
	v_lshlrev_b32_e32 v7, 21, v7
	v_or3_b32 v2, v3, v2, v7
.LBB88_566:
	s_or_b32 exec_lo, exec_lo, s18
	s_mov_b32 s0, 0
	s_branch .LBB88_572
.LBB88_567:
	s_mov_b32 s18, -1
                                        ; implicit-def: $vgpr2
	s_branch .LBB88_578
.LBB88_568:
	s_or_saveexec_b32 s19, s19
	v_mov_b32_e32 v2, s18
	s_xor_b32 exec_lo, exec_lo, s19
	s_cbranch_execz .LBB88_551
.LBB88_569:
	v_cmp_ne_u16_e32 vcc_lo, 0, v3
	v_mov_b32_e32 v2, 0
	s_and_not1_b32 s0, s0, exec_lo
	s_and_b32 s18, vcc_lo, exec_lo
	s_delay_alu instid0(SALU_CYCLE_1)
	s_or_b32 s0, s0, s18
	s_or_b32 exec_lo, exec_lo, s19
	s_and_saveexec_b32 s18, s0
	s_cbranch_execnz .LBB88_552
	s_branch .LBB88_553
.LBB88_570:
	s_mov_b32 s0, -1
                                        ; implicit-def: $vgpr2
	s_branch .LBB88_575
.LBB88_571:
	s_mov_b32 s0, -1
                                        ; implicit-def: $vgpr2
.LBB88_572:
	s_delay_alu instid0(SALU_CYCLE_1)
	s_and_b32 vcc_lo, exec_lo, s0
	s_cbranch_vccz .LBB88_574
; %bb.573:
	global_load_u8 v2, v[0:1], off
	s_waitcnt vmcnt(0)
	v_lshlrev_b32_e32 v2, 24, v2
	s_delay_alu instid0(VALU_DEP_1) | instskip(NEXT) | instid1(VALU_DEP_1)
	v_and_b32_e32 v3, 0x7f000000, v2
	v_clz_i32_u32_e32 v7, v3
	v_add_nc_u32_e32 v9, 0x1000000, v3
	v_cmp_ne_u32_e32 vcc_lo, 0, v3
	s_delay_alu instid0(VALU_DEP_3) | instskip(NEXT) | instid1(VALU_DEP_1)
	v_min_u32_e32 v7, 32, v7
	v_sub_nc_u32_e64 v7, v7, 4 clamp
	s_delay_alu instid0(VALU_DEP_1) | instskip(SKIP_1) | instid1(VALU_DEP_2)
	v_lshlrev_b32_e32 v8, v7, v3
	v_lshlrev_b32_e32 v7, 23, v7
	v_lshrrev_b32_e32 v8, 4, v8
	s_delay_alu instid0(VALU_DEP_1) | instskip(SKIP_1) | instid1(VALU_DEP_2)
	v_sub_nc_u32_e32 v7, v8, v7
	v_ashrrev_i32_e32 v8, 8, v9
	v_add_nc_u32_e32 v7, 0x3c000000, v7
	s_delay_alu instid0(VALU_DEP_1) | instskip(NEXT) | instid1(VALU_DEP_1)
	v_and_or_b32 v7, 0x7f800000, v8, v7
	v_cndmask_b32_e32 v3, 0, v7, vcc_lo
	s_delay_alu instid0(VALU_DEP_1)
	v_and_or_b32 v2, 0x80000000, v2, v3
.LBB88_574:
	s_mov_b32 s0, 0
.LBB88_575:
	s_delay_alu instid0(SALU_CYCLE_1)
	s_and_not1_b32 vcc_lo, exec_lo, s0
	s_cbranch_vccnz .LBB88_577
; %bb.576:
	global_load_u8 v2, v[0:1], off
	s_waitcnt vmcnt(0)
	v_lshlrev_b32_e32 v3, 25, v2
	v_lshlrev_b16 v2, 8, v2
	s_delay_alu instid0(VALU_DEP_1) | instskip(SKIP_1) | instid1(VALU_DEP_2)
	v_and_or_b32 v8, 0x7f00, v2, 0.5
	v_bfe_i32 v2, v2, 0, 16
	v_add_f32_e32 v8, -0.5, v8
	v_lshrrev_b32_e32 v7, 4, v3
	v_cmp_gt_u32_e32 vcc_lo, 0x8000000, v3
	s_delay_alu instid0(VALU_DEP_2) | instskip(NEXT) | instid1(VALU_DEP_1)
	v_or_b32_e32 v7, 0x70000000, v7
	v_mul_f32_e32 v7, 0x7800000, v7
	s_delay_alu instid0(VALU_DEP_1) | instskip(NEXT) | instid1(VALU_DEP_1)
	v_cndmask_b32_e32 v3, v7, v8, vcc_lo
	v_and_or_b32 v2, 0x80000000, v2, v3
.LBB88_577:
	s_mov_b32 s18, 0
	s_mov_b32 s0, -1
.LBB88_578:
	s_and_not1_b32 vcc_lo, exec_lo, s18
	s_cbranch_vccnz .LBB88_591
; %bb.579:
	v_cmp_lt_i16_e32 vcc_lo, 14, v6
	s_cbranch_vccz .LBB88_582
; %bb.580:
	v_cmp_eq_u16_e32 vcc_lo, 15, v6
	s_cbranch_vccz .LBB88_585
; %bb.581:
	global_load_u16 v2, v[0:1], off
	s_mov_b32 s0, -1
	s_mov_b32 s17, 0
	s_waitcnt vmcnt(0)
	v_lshlrev_b32_e32 v2, 16, v2
	s_branch .LBB88_586
.LBB88_582:
	s_mov_b32 s18, -1
                                        ; implicit-def: $vgpr2
	s_branch .LBB88_587
.LBB88_583:
	s_or_saveexec_b32 s19, s19
	v_mov_b32_e32 v2, s18
	s_xor_b32 exec_lo, exec_lo, s19
	s_cbranch_execz .LBB88_564
.LBB88_584:
	v_cmp_ne_u16_e32 vcc_lo, 0, v3
	v_mov_b32_e32 v2, 0
	s_and_not1_b32 s0, s0, exec_lo
	s_and_b32 s18, vcc_lo, exec_lo
	s_delay_alu instid0(SALU_CYCLE_1)
	s_or_b32 s0, s0, s18
	s_or_b32 exec_lo, exec_lo, s19
	s_and_saveexec_b32 s18, s0
	s_cbranch_execnz .LBB88_565
	s_branch .LBB88_566
.LBB88_585:
	s_mov_b32 s17, -1
                                        ; implicit-def: $vgpr2
.LBB88_586:
	s_mov_b32 s18, 0
.LBB88_587:
	s_delay_alu instid0(SALU_CYCLE_1)
	s_and_b32 vcc_lo, exec_lo, s18
	s_cbranch_vccz .LBB88_591
; %bb.588:
	v_cmp_eq_u16_e32 vcc_lo, 11, v6
	s_cbranch_vccz .LBB88_590
; %bb.589:
	global_load_u8 v2, v[0:1], off
	s_mov_b32 s17, 0
	s_mov_b32 s0, -1
	s_waitcnt vmcnt(0)
	v_cmp_ne_u16_e32 vcc_lo, 0, v2
	v_cndmask_b32_e64 v2, 0, 1.0, vcc_lo
	s_branch .LBB88_591
.LBB88_590:
	s_mov_b32 s17, -1
                                        ; implicit-def: $vgpr2
.LBB88_591:
	s_mov_b32 s18, 0
.LBB88_592:
	s_delay_alu instid0(SALU_CYCLE_1)
	s_and_b32 vcc_lo, exec_lo, s18
	s_cbranch_vccz .LBB88_641
; %bb.593:
	v_cmp_gt_i16_e32 vcc_lo, 5, v6
	s_cbranch_vccnz .LBB88_598
; %bb.594:
	v_cmp_gt_i16_e32 vcc_lo, 8, v6
	s_cbranch_vccnz .LBB88_599
	;; [unrolled: 3-line block ×3, first 2 shown]
; %bb.596:
	v_cmp_lt_i16_e32 vcc_lo, 9, v6
	s_cbranch_vccz .LBB88_601
; %bb.597:
	global_load_b64 v[2:3], v[0:1], off
	s_mov_b32 s0, 0
	s_waitcnt vmcnt(0)
	v_cvt_f32_f64_e32 v2, v[2:3]
	s_branch .LBB88_602
.LBB88_598:
	s_mov_b32 s0, -1
                                        ; implicit-def: $vgpr2
	s_branch .LBB88_620
.LBB88_599:
	s_mov_b32 s0, -1
                                        ; implicit-def: $vgpr2
	s_branch .LBB88_608
.LBB88_600:
	s_mov_b32 s0, -1
                                        ; implicit-def: $vgpr2
	s_branch .LBB88_605
.LBB88_601:
	s_mov_b32 s0, -1
                                        ; implicit-def: $vgpr2
.LBB88_602:
	s_delay_alu instid0(SALU_CYCLE_1)
	s_and_not1_b32 vcc_lo, exec_lo, s0
	s_cbranch_vccnz .LBB88_604
; %bb.603:
	global_load_b32 v2, v[0:1], off
.LBB88_604:
	s_mov_b32 s0, 0
.LBB88_605:
	s_delay_alu instid0(SALU_CYCLE_1)
	s_and_not1_b32 vcc_lo, exec_lo, s0
	s_cbranch_vccnz .LBB88_607
; %bb.606:
	global_load_b32 v2, v[0:1], off
	s_waitcnt vmcnt(0)
	v_cvt_f32_f16_e32 v2, v2
.LBB88_607:
	s_mov_b32 s0, 0
.LBB88_608:
	s_delay_alu instid0(SALU_CYCLE_1)
	s_and_not1_b32 vcc_lo, exec_lo, s0
	s_cbranch_vccnz .LBB88_619
; %bb.609:
	v_cmp_gt_i16_e32 vcc_lo, 6, v6
	s_cbranch_vccnz .LBB88_612
; %bb.610:
	v_cmp_lt_i16_e32 vcc_lo, 6, v6
	s_cbranch_vccz .LBB88_613
; %bb.611:
	global_load_b64 v[2:3], v[0:1], off
	s_mov_b32 s0, 0
	s_waitcnt vmcnt(0)
	v_cvt_f32_f64_e32 v2, v[2:3]
	s_branch .LBB88_614
.LBB88_612:
	s_mov_b32 s0, -1
                                        ; implicit-def: $vgpr2
	s_branch .LBB88_617
.LBB88_613:
	s_mov_b32 s0, -1
                                        ; implicit-def: $vgpr2
.LBB88_614:
	s_delay_alu instid0(SALU_CYCLE_1)
	s_and_not1_b32 vcc_lo, exec_lo, s0
	s_cbranch_vccnz .LBB88_616
; %bb.615:
	global_load_b32 v2, v[0:1], off
.LBB88_616:
	s_mov_b32 s0, 0
.LBB88_617:
	s_delay_alu instid0(SALU_CYCLE_1)
	s_and_not1_b32 vcc_lo, exec_lo, s0
	s_cbranch_vccnz .LBB88_619
; %bb.618:
	global_load_u16 v2, v[0:1], off
	s_waitcnt vmcnt(0)
	v_cvt_f32_f16_e32 v2, v2
.LBB88_619:
	s_mov_b32 s0, 0
.LBB88_620:
	s_delay_alu instid0(SALU_CYCLE_1)
	s_and_not1_b32 vcc_lo, exec_lo, s0
	s_cbranch_vccnz .LBB88_640
; %bb.621:
	v_cmp_gt_i16_e32 vcc_lo, 2, v6
	s_cbranch_vccnz .LBB88_625
; %bb.622:
	v_cmp_gt_i16_e32 vcc_lo, 3, v6
	s_cbranch_vccnz .LBB88_626
; %bb.623:
	v_cmp_lt_i16_e32 vcc_lo, 3, v6
	s_cbranch_vccz .LBB88_627
; %bb.624:
	global_load_b64 v[2:3], v[0:1], off
	s_mov_b32 s0, 0
	s_waitcnt vmcnt(0)
	v_xor_b32_e32 v7, v2, v3
	v_cls_i32_e32 v8, v3
	s_delay_alu instid0(VALU_DEP_2) | instskip(NEXT) | instid1(VALU_DEP_2)
	v_ashrrev_i32_e32 v7, 31, v7
	v_add_nc_u32_e32 v8, -1, v8
	s_delay_alu instid0(VALU_DEP_2) | instskip(NEXT) | instid1(VALU_DEP_1)
	v_add_nc_u32_e32 v7, 32, v7
	v_min_u32_e32 v7, v8, v7
	s_delay_alu instid0(VALU_DEP_1) | instskip(NEXT) | instid1(VALU_DEP_1)
	v_lshlrev_b64 v[2:3], v7, v[2:3]
	v_min_u32_e32 v2, 1, v2
	s_delay_alu instid0(VALU_DEP_1) | instskip(SKIP_1) | instid1(VALU_DEP_2)
	v_or_b32_e32 v2, v3, v2
	v_sub_nc_u32_e32 v3, 32, v7
	v_cvt_f32_i32_e32 v2, v2
	s_delay_alu instid0(VALU_DEP_1)
	v_ldexp_f32 v2, v2, v3
	s_branch .LBB88_628
.LBB88_625:
	s_mov_b32 s0, -1
                                        ; implicit-def: $vgpr2
	s_branch .LBB88_634
.LBB88_626:
	s_mov_b32 s0, -1
                                        ; implicit-def: $vgpr2
	s_branch .LBB88_631
.LBB88_627:
	s_mov_b32 s0, -1
                                        ; implicit-def: $vgpr2
.LBB88_628:
	s_delay_alu instid0(SALU_CYCLE_1)
	s_and_not1_b32 vcc_lo, exec_lo, s0
	s_cbranch_vccnz .LBB88_630
; %bb.629:
	global_load_b32 v2, v[0:1], off
	s_waitcnt vmcnt(0)
	v_cvt_f32_i32_e32 v2, v2
.LBB88_630:
	s_mov_b32 s0, 0
.LBB88_631:
	s_delay_alu instid0(SALU_CYCLE_1)
	s_and_not1_b32 vcc_lo, exec_lo, s0
	s_cbranch_vccnz .LBB88_633
; %bb.632:
	global_load_i16 v2, v[0:1], off
	s_waitcnt vmcnt(0)
	v_cvt_f32_i32_e32 v2, v2
.LBB88_633:
	s_mov_b32 s0, 0
.LBB88_634:
	s_delay_alu instid0(SALU_CYCLE_1)
	s_and_not1_b32 vcc_lo, exec_lo, s0
	s_cbranch_vccnz .LBB88_640
; %bb.635:
	v_cmp_lt_i16_e32 vcc_lo, 0, v6
	s_mov_b32 s0, 0
	s_cbranch_vccz .LBB88_637
; %bb.636:
	global_load_i8 v2, v[0:1], off
	s_waitcnt vmcnt(0)
	v_cvt_f32_i32_e32 v2, v2
	s_branch .LBB88_638
.LBB88_637:
	s_mov_b32 s0, -1
                                        ; implicit-def: $vgpr2
.LBB88_638:
	s_delay_alu instid0(SALU_CYCLE_1)
	s_and_not1_b32 vcc_lo, exec_lo, s0
	s_cbranch_vccnz .LBB88_640
; %bb.639:
	global_load_u8 v0, v[0:1], off
	s_waitcnt vmcnt(0)
	v_cvt_f32_ubyte0_e32 v2, v0
.LBB88_640:
	s_mov_b32 s0, -1
.LBB88_641:
	s_delay_alu instid0(SALU_CYCLE_1)
	s_and_not1_b32 vcc_lo, exec_lo, s0
	s_cbranch_vccnz .LBB88_649
; %bb.642:
	s_waitcnt vmcnt(0)
	s_delay_alu instid0(VALU_DEP_1)
	v_mul_f32_e32 v0, 0x3fb8aa3b, v2
	v_cmp_ngt_f32_e64 s0, 0xc2ce8ed0, v2
	s_mov_b32 s18, 0
	s_mov_b32 s19, -1
	v_and_b32_e32 v7, 0xff, v4
	v_rndne_f32_e32 v1, v0
	v_fma_f32 v3, 0x3fb8aa3b, v2, -v0
	s_delay_alu instid0(VALU_DEP_3) | instskip(NEXT) | instid1(VALU_DEP_2)
	v_cmp_gt_i16_e32 vcc_lo, 11, v7
	v_dual_sub_f32 v0, v0, v1 :: v_dual_fmamk_f32 v3, v2, 0x32a5705f, v3
	v_cvt_i32_f32_e32 v1, v1
	s_and_b32 vcc_lo, exec_lo, vcc_lo
	s_delay_alu instid0(VALU_DEP_2) | instskip(SKIP_1) | instid1(VALU_DEP_2)
	v_add_f32_e32 v0, v0, v3
	v_mul_lo_u32 v3, v5, s2
	v_exp_f32_e32 v0, v0
	s_waitcnt_depctr 0xfff
	v_ldexp_f32 v0, v0, v1
	v_ashrrev_i32_e32 v1, 31, v3
	s_delay_alu instid0(VALU_DEP_2) | instskip(SKIP_1) | instid1(VALU_DEP_1)
	v_cndmask_b32_e64 v8, 0, v0, s0
	v_add_co_u32 v0, s0, s4, v3
	v_add_co_ci_u32_e64 v1, s0, s5, v1, s0
	v_cmp_nlt_f32_e64 s0, 0x42b17218, v2
	s_delay_alu instid0(VALU_DEP_1)
	v_cndmask_b32_e64 v2, 0x7f800000, v8, s0
	s_mov_b32 s0, s14
	s_cbranch_vccnz .LBB88_650
; %bb.643:
	v_cmp_lt_i16_e32 vcc_lo, 25, v7
	s_cbranch_vccz .LBB88_691
; %bb.644:
	v_cmp_lt_i16_e32 vcc_lo, 28, v7
	s_cbranch_vccz .LBB88_692
	;; [unrolled: 3-line block ×4, first 2 shown]
; %bb.647:
	v_cmp_eq_u16_e32 vcc_lo, 46, v7
	s_mov_b32 s19, 0
	s_mov_b32 s0, -1
	s_cbranch_vccz .LBB88_695
; %bb.648:
	v_bfe_u32 v3, v2, 16, 1
	v_cmp_o_f32_e32 vcc_lo, v2, v2
	s_mov_b32 s18, -1
	s_mov_b32 s0, 0
	s_delay_alu instid0(VALU_DEP_2) | instskip(NEXT) | instid1(VALU_DEP_1)
	v_add3_u32 v3, v2, v3, 0x7fff
	v_lshrrev_b32_e32 v3, 16, v3
	s_delay_alu instid0(VALU_DEP_1)
	v_cndmask_b32_e32 v3, 0x7fc0, v3, vcc_lo
	global_store_b32 v[0:1], v3, off
	s_branch .LBB88_695
.LBB88_649:
	s_mov_b32 s19, 0
	s_mov_b32 s0, s14
	s_branch .LBB88_690
.LBB88_650:
	s_and_b32 vcc_lo, exec_lo, s19
	s_cbranch_vccz .LBB88_764
; %bb.651:
	v_cmp_gt_i16_e32 vcc_lo, 5, v7
	s_mov_b32 s18, -1
	s_cbranch_vccnz .LBB88_672
; %bb.652:
	v_cmp_gt_i16_e32 vcc_lo, 8, v7
	s_cbranch_vccnz .LBB88_662
; %bb.653:
	v_cmp_gt_i16_e32 vcc_lo, 9, v7
	s_cbranch_vccnz .LBB88_659
; %bb.654:
	v_cmp_lt_i16_e32 vcc_lo, 9, v7
	s_cbranch_vccz .LBB88_656
; %bb.655:
	v_cvt_f64_f32_e32 v[8:9], v2
	v_mov_b32_e32 v10, 0
	s_mov_b32 s18, 0
	s_delay_alu instid0(VALU_DEP_1)
	v_mov_b32_e32 v11, v10
	global_store_b128 v[0:1], v[8:11], off
.LBB88_656:
	s_and_not1_b32 vcc_lo, exec_lo, s18
	s_cbranch_vccnz .LBB88_658
; %bb.657:
	v_mov_b32_e32 v3, 0
	global_store_b64 v[0:1], v[2:3], off
.LBB88_658:
	s_mov_b32 s18, 0
.LBB88_659:
	s_delay_alu instid0(SALU_CYCLE_1)
	s_and_not1_b32 vcc_lo, exec_lo, s18
	s_cbranch_vccnz .LBB88_661
; %bb.660:
	v_cvt_f16_f32_e32 v3, v2
	s_delay_alu instid0(VALU_DEP_1)
	v_and_b32_e32 v3, 0xffff, v3
	global_store_b32 v[0:1], v3, off
.LBB88_661:
	s_mov_b32 s18, 0
.LBB88_662:
	s_delay_alu instid0(SALU_CYCLE_1)
	s_and_not1_b32 vcc_lo, exec_lo, s18
	s_cbranch_vccnz .LBB88_671
; %bb.663:
	v_cmp_gt_i16_e32 vcc_lo, 6, v7
	s_mov_b32 s18, -1
	s_cbranch_vccnz .LBB88_669
; %bb.664:
	v_cmp_lt_i16_e32 vcc_lo, 6, v7
	s_cbranch_vccz .LBB88_666
; %bb.665:
	v_cvt_f64_f32_e32 v[8:9], v2
	s_mov_b32 s18, 0
	global_store_b64 v[0:1], v[8:9], off
.LBB88_666:
	s_and_not1_b32 vcc_lo, exec_lo, s18
	s_cbranch_vccnz .LBB88_668
; %bb.667:
	global_store_b32 v[0:1], v2, off
.LBB88_668:
	s_mov_b32 s18, 0
.LBB88_669:
	s_delay_alu instid0(SALU_CYCLE_1)
	s_and_not1_b32 vcc_lo, exec_lo, s18
	s_cbranch_vccnz .LBB88_671
; %bb.670:
	v_cvt_f16_f32_e32 v3, v2
	global_store_b16 v[0:1], v3, off
.LBB88_671:
	s_mov_b32 s18, 0
.LBB88_672:
	s_delay_alu instid0(SALU_CYCLE_1)
	s_and_not1_b32 vcc_lo, exec_lo, s18
	s_cbranch_vccnz .LBB88_688
; %bb.673:
	v_cmp_gt_i16_e32 vcc_lo, 2, v7
	s_mov_b32 s18, -1
	s_cbranch_vccnz .LBB88_683
; %bb.674:
	v_cmp_gt_i16_e32 vcc_lo, 3, v7
	s_cbranch_vccnz .LBB88_680
; %bb.675:
	v_cmp_lt_i16_e32 vcc_lo, 3, v7
	s_cbranch_vccz .LBB88_677
; %bb.676:
	v_trunc_f32_e32 v3, v2
	s_mov_b32 s18, 0
	s_delay_alu instid0(VALU_DEP_1) | instskip(NEXT) | instid1(VALU_DEP_1)
	v_mul_f32_e64 v8, 0x2f800000, |v3|
	v_floor_f32_e32 v8, v8
	s_delay_alu instid0(VALU_DEP_1) | instskip(SKIP_2) | instid1(VALU_DEP_3)
	v_fma_f32 v9, 0xcf800000, v8, |v3|
	v_ashrrev_i32_e32 v3, 31, v3
	v_cvt_u32_f32_e32 v8, v8
	v_cvt_u32_f32_e32 v9, v9
	s_delay_alu instid0(VALU_DEP_2) | instskip(NEXT) | instid1(VALU_DEP_2)
	v_xor_b32_e32 v10, v8, v3
	v_xor_b32_e32 v9, v9, v3
	s_delay_alu instid0(VALU_DEP_1) | instskip(NEXT) | instid1(VALU_DEP_3)
	v_sub_co_u32 v8, vcc_lo, v9, v3
	v_sub_co_ci_u32_e32 v9, vcc_lo, v10, v3, vcc_lo
	global_store_b64 v[0:1], v[8:9], off
.LBB88_677:
	s_and_not1_b32 vcc_lo, exec_lo, s18
	s_cbranch_vccnz .LBB88_679
; %bb.678:
	v_cvt_i32_f32_e32 v3, v2
	global_store_b32 v[0:1], v3, off
.LBB88_679:
	s_mov_b32 s18, 0
.LBB88_680:
	s_delay_alu instid0(SALU_CYCLE_1)
	s_and_not1_b32 vcc_lo, exec_lo, s18
	s_cbranch_vccnz .LBB88_682
; %bb.681:
	v_cvt_i32_f32_e32 v3, v2
	global_store_b16 v[0:1], v3, off
.LBB88_682:
	s_mov_b32 s18, 0
.LBB88_683:
	s_delay_alu instid0(SALU_CYCLE_1)
	s_and_not1_b32 vcc_lo, exec_lo, s18
	s_cbranch_vccnz .LBB88_688
; %bb.684:
	v_cmp_lt_i16_e32 vcc_lo, 0, v7
	s_mov_b32 s18, -1
	s_cbranch_vccz .LBB88_686
; %bb.685:
	v_cvt_i32_f32_e32 v3, v2
	s_mov_b32 s18, 0
	global_store_b8 v[0:1], v3, off
.LBB88_686:
	s_and_not1_b32 vcc_lo, exec_lo, s18
	s_cbranch_vccnz .LBB88_688
; %bb.687:
	v_trunc_f32_e32 v2, v2
	s_delay_alu instid0(VALU_DEP_1) | instskip(NEXT) | instid1(VALU_DEP_1)
	v_mul_f32_e64 v3, 0x2f800000, |v2|
	v_floor_f32_e32 v3, v3
	s_delay_alu instid0(VALU_DEP_1) | instskip(SKIP_1) | instid1(VALU_DEP_2)
	v_fma_f32 v3, 0xcf800000, v3, |v2|
	v_ashrrev_i32_e32 v2, 31, v2
	v_cvt_u32_f32_e32 v3, v3
	s_delay_alu instid0(VALU_DEP_1) | instskip(NEXT) | instid1(VALU_DEP_1)
	v_xor_b32_e32 v3, v3, v2
	v_sub_nc_u32_e32 v2, v3, v2
	global_store_b8 v[0:1], v2, off
.LBB88_688:
	s_branch .LBB88_765
.LBB88_689:
	s_mov_b32 s19, 0
.LBB88_690:
                                        ; implicit-def: $vgpr5
	s_branch .LBB88_766
.LBB88_691:
	s_mov_b32 s0, s14
	s_branch .LBB88_722
.LBB88_692:
	s_mov_b32 s0, s14
	s_branch .LBB88_705
.LBB88_693:
	s_mov_b32 s0, s14
	s_branch .LBB88_701
.LBB88_694:
	s_mov_b32 s0, s14
.LBB88_695:
	s_and_b32 vcc_lo, exec_lo, s19
	s_cbranch_vccz .LBB88_700
; %bb.696:
	v_cmp_eq_u16_e32 vcc_lo, 44, v7
	s_mov_b32 s0, -1
	s_cbranch_vccz .LBB88_700
; %bb.697:
	v_bfe_u32 v8, v2, 23, 8
	v_mov_b32_e32 v3, 0xff
	s_mov_b32 s18, exec_lo
	s_delay_alu instid0(VALU_DEP_2)
	v_cmpx_ne_u32_e32 0xff, v8
; %bb.698:
	v_and_b32_e32 v3, 0x400000, v2
	v_and_or_b32 v8, 0x3fffff, v2, v8
	s_delay_alu instid0(VALU_DEP_2) | instskip(NEXT) | instid1(VALU_DEP_2)
	v_cmp_ne_u32_e32 vcc_lo, 0, v3
	v_cmp_ne_u32_e64 s0, 0, v8
	v_lshrrev_b32_e32 v3, 23, v2
	s_delay_alu instid0(VALU_DEP_2) | instskip(NEXT) | instid1(SALU_CYCLE_1)
	s_and_b32 s0, vcc_lo, s0
	v_cndmask_b32_e64 v8, 0, 1, s0
	s_delay_alu instid0(VALU_DEP_1)
	v_add_nc_u32_e32 v3, v3, v8
; %bb.699:
	s_or_b32 exec_lo, exec_lo, s18
	s_mov_b32 s18, -1
	s_mov_b32 s0, 0
	global_store_b8 v[0:1], v3, off
.LBB88_700:
	s_mov_b32 s19, 0
.LBB88_701:
	s_delay_alu instid0(SALU_CYCLE_1)
	s_and_b32 vcc_lo, exec_lo, s19
	s_cbranch_vccz .LBB88_704
; %bb.702:
	v_cmp_eq_u16_e32 vcc_lo, 29, v7
	s_mov_b32 s0, -1
	s_cbranch_vccz .LBB88_704
; %bb.703:
	v_trunc_f32_e32 v3, v2
	s_mov_b32 s18, -1
	s_mov_b32 s0, 0
	s_mov_b32 s19, 0
	s_delay_alu instid0(VALU_DEP_1) | instskip(NEXT) | instid1(VALU_DEP_1)
	v_mul_f32_e32 v8, 0x2f800000, v3
	v_floor_f32_e32 v8, v8
	s_delay_alu instid0(VALU_DEP_1) | instskip(SKIP_1) | instid1(VALU_DEP_2)
	v_fmamk_f32 v3, v8, 0xcf800000, v3
	v_cvt_u32_f32_e32 v9, v8
	v_cvt_u32_f32_e32 v8, v3
	global_store_b64 v[0:1], v[8:9], off
	s_branch .LBB88_705
.LBB88_704:
	s_mov_b32 s19, 0
.LBB88_705:
	s_delay_alu instid0(SALU_CYCLE_1)
	s_and_b32 vcc_lo, exec_lo, s19
	s_cbranch_vccz .LBB88_721
; %bb.706:
	v_cmp_gt_i16_e32 vcc_lo, 27, v7
	s_mov_b32 s18, -1
	s_cbranch_vccnz .LBB88_712
; %bb.707:
	v_cmp_lt_i16_e32 vcc_lo, 27, v7
	s_cbranch_vccz .LBB88_709
; %bb.708:
	v_cvt_u32_f32_e32 v3, v2
	s_mov_b32 s18, 0
	global_store_b32 v[0:1], v3, off
.LBB88_709:
	s_and_not1_b32 vcc_lo, exec_lo, s18
	s_cbranch_vccnz .LBB88_711
; %bb.710:
	v_cvt_u32_f32_e32 v3, v2
	global_store_b16 v[0:1], v3, off
.LBB88_711:
	s_mov_b32 s18, 0
.LBB88_712:
	s_delay_alu instid0(SALU_CYCLE_1)
	s_and_not1_b32 vcc_lo, exec_lo, s18
	s_cbranch_vccnz .LBB88_720
; %bb.713:
	v_and_b32_e32 v3, 0x7fffffff, v2
	v_mov_b32_e32 v8, 0x80
	s_mov_b32 s18, exec_lo
	s_delay_alu instid0(VALU_DEP_2)
	v_cmpx_gt_u32_e32 0x43800000, v3
	s_cbranch_execz .LBB88_719
; %bb.714:
	v_cmp_lt_u32_e32 vcc_lo, 0x3bffffff, v3
	s_mov_b32 s19, 0
                                        ; implicit-def: $vgpr3
	s_and_saveexec_b32 s20, vcc_lo
	s_delay_alu instid0(SALU_CYCLE_1)
	s_xor_b32 s20, exec_lo, s20
	s_cbranch_execz .LBB88_780
; %bb.715:
	v_bfe_u32 v3, v2, 20, 1
	s_mov_b32 s19, exec_lo
	s_delay_alu instid0(VALU_DEP_1) | instskip(NEXT) | instid1(VALU_DEP_1)
	v_add3_u32 v3, v2, v3, 0x487ffff
	v_lshrrev_b32_e32 v3, 20, v3
	s_or_saveexec_b32 s20, s20
                                        ; implicit-def: $sgpr21
	s_delay_alu instid0(SALU_CYCLE_1)
	s_xor_b32 exec_lo, exec_lo, s20
	s_cbranch_execnz .LBB88_781
.LBB88_716:
	s_or_b32 exec_lo, exec_lo, s20
	v_mov_b32_e32 v8, s21
	s_and_saveexec_b32 s20, s19
.LBB88_717:
	v_lshrrev_b32_e32 v8, 24, v2
	s_delay_alu instid0(VALU_DEP_1)
	v_and_or_b32 v8, 0x80, v8, v3
.LBB88_718:
	s_or_b32 exec_lo, exec_lo, s20
.LBB88_719:
	s_delay_alu instid0(SALU_CYCLE_1)
	s_or_b32 exec_lo, exec_lo, s18
	global_store_b8 v[0:1], v8, off
.LBB88_720:
	s_mov_b32 s18, -1
.LBB88_721:
	s_mov_b32 s19, 0
.LBB88_722:
	s_delay_alu instid0(SALU_CYCLE_1)
	s_and_b32 vcc_lo, exec_lo, s19
	s_cbranch_vccz .LBB88_763
; %bb.723:
	v_cmp_lt_i16_e32 vcc_lo, 22, v7
	s_mov_b32 s19, -1
	s_cbranch_vccz .LBB88_755
; %bb.724:
	v_cmp_gt_i16_e32 vcc_lo, 24, v7
	s_mov_b32 s18, -1
	s_cbranch_vccnz .LBB88_744
; %bb.725:
	v_cmp_lt_i16_e32 vcc_lo, 24, v7
	s_cbranch_vccz .LBB88_733
; %bb.726:
	v_and_b32_e32 v3, 0x7fffffff, v2
	v_mov_b32_e32 v8, 0x80
	s_mov_b32 s18, exec_lo
	s_delay_alu instid0(VALU_DEP_2)
	v_cmpx_gt_u32_e32 0x47800000, v3
	s_cbranch_execz .LBB88_732
; %bb.727:
	v_cmp_lt_u32_e32 vcc_lo, 0x37ffffff, v3
	s_mov_b32 s19, 0
                                        ; implicit-def: $vgpr3
	s_and_saveexec_b32 s20, vcc_lo
	s_delay_alu instid0(SALU_CYCLE_1)
	s_xor_b32 s20, exec_lo, s20
	s_cbranch_execz .LBB88_783
; %bb.728:
	v_bfe_u32 v3, v2, 21, 1
	s_mov_b32 s19, exec_lo
	s_delay_alu instid0(VALU_DEP_1) | instskip(NEXT) | instid1(VALU_DEP_1)
	v_add3_u32 v3, v2, v3, 0x88fffff
	v_lshrrev_b32_e32 v3, 21, v3
	s_or_saveexec_b32 s20, s20
                                        ; implicit-def: $sgpr21
	s_delay_alu instid0(SALU_CYCLE_1)
	s_xor_b32 exec_lo, exec_lo, s20
	s_cbranch_execnz .LBB88_784
.LBB88_729:
	s_or_b32 exec_lo, exec_lo, s20
	v_mov_b32_e32 v8, s21
	s_and_saveexec_b32 s20, s19
.LBB88_730:
	v_lshrrev_b32_e32 v8, 24, v2
	s_delay_alu instid0(VALU_DEP_1)
	v_and_or_b32 v8, 0x80, v8, v3
.LBB88_731:
	s_or_b32 exec_lo, exec_lo, s20
.LBB88_732:
	s_delay_alu instid0(SALU_CYCLE_1)
	s_or_b32 exec_lo, exec_lo, s18
	s_mov_b32 s18, 0
	global_store_b8 v[0:1], v8, off
.LBB88_733:
	s_and_b32 vcc_lo, exec_lo, s18
	s_cbranch_vccz .LBB88_743
; %bb.734:
	v_and_b32_e32 v8, 0x7fffffff, v2
	s_mov_b32 s18, exec_lo
                                        ; implicit-def: $vgpr3
	s_delay_alu instid0(VALU_DEP_1)
	v_cmpx_gt_u32_e32 0x43f00000, v8
	s_xor_b32 s18, exec_lo, s18
	s_cbranch_execz .LBB88_740
; %bb.735:
	s_mov_b32 s19, exec_lo
                                        ; implicit-def: $vgpr3
	v_cmpx_lt_u32_e32 0x3c7fffff, v8
	s_xor_b32 s19, exec_lo, s19
; %bb.736:
	v_bfe_u32 v3, v2, 20, 1
	s_delay_alu instid0(VALU_DEP_1) | instskip(NEXT) | instid1(VALU_DEP_1)
	v_add3_u32 v3, v2, v3, 0x407ffff
	v_and_b32_e32 v8, 0xff00000, v3
	v_lshrrev_b32_e32 v3, 20, v3
	s_delay_alu instid0(VALU_DEP_2) | instskip(NEXT) | instid1(VALU_DEP_2)
	v_cmp_ne_u32_e32 vcc_lo, 0x7f00000, v8
	v_cndmask_b32_e32 v3, 0x7e, v3, vcc_lo
; %bb.737:
	s_and_not1_saveexec_b32 s19, s19
; %bb.738:
	v_add_f32_e64 v3, 0x46800000, |v2|
; %bb.739:
	s_or_b32 exec_lo, exec_lo, s19
                                        ; implicit-def: $vgpr8
.LBB88_740:
	s_and_not1_saveexec_b32 s18, s18
; %bb.741:
	v_mov_b32_e32 v3, 0x7f
	v_cmp_lt_u32_e32 vcc_lo, 0x7f800000, v8
	s_delay_alu instid0(VALU_DEP_2)
	v_cndmask_b32_e32 v3, 0x7e, v3, vcc_lo
; %bb.742:
	s_or_b32 exec_lo, exec_lo, s18
	v_lshrrev_b32_e32 v8, 24, v2
	s_delay_alu instid0(VALU_DEP_1)
	v_and_or_b32 v3, 0x80, v8, v3
	global_store_b8 v[0:1], v3, off
.LBB88_743:
	s_mov_b32 s18, 0
.LBB88_744:
	s_delay_alu instid0(SALU_CYCLE_1)
	s_and_not1_b32 vcc_lo, exec_lo, s18
	s_cbranch_vccnz .LBB88_754
; %bb.745:
	v_and_b32_e32 v8, 0x7fffffff, v2
	s_mov_b32 s18, exec_lo
                                        ; implicit-def: $vgpr3
	s_delay_alu instid0(VALU_DEP_1)
	v_cmpx_gt_u32_e32 0x47800000, v8
	s_xor_b32 s18, exec_lo, s18
	s_cbranch_execz .LBB88_751
; %bb.746:
	s_mov_b32 s19, exec_lo
                                        ; implicit-def: $vgpr3
	v_cmpx_lt_u32_e32 0x387fffff, v8
	s_xor_b32 s19, exec_lo, s19
; %bb.747:
	v_bfe_u32 v3, v2, 21, 1
	s_delay_alu instid0(VALU_DEP_1) | instskip(NEXT) | instid1(VALU_DEP_1)
	v_add3_u32 v3, v2, v3, 0x80fffff
	v_lshrrev_b32_e32 v3, 21, v3
; %bb.748:
	s_and_not1_saveexec_b32 s19, s19
; %bb.749:
	v_add_f32_e64 v3, 0x43000000, |v2|
; %bb.750:
	s_or_b32 exec_lo, exec_lo, s19
                                        ; implicit-def: $vgpr8
.LBB88_751:
	s_and_not1_saveexec_b32 s18, s18
; %bb.752:
	v_mov_b32_e32 v3, 0x7f
	v_cmp_lt_u32_e32 vcc_lo, 0x7f800000, v8
	s_delay_alu instid0(VALU_DEP_2)
	v_cndmask_b32_e32 v3, 0x7c, v3, vcc_lo
; %bb.753:
	s_or_b32 exec_lo, exec_lo, s18
	v_lshrrev_b32_e32 v8, 24, v2
	s_delay_alu instid0(VALU_DEP_1)
	v_and_or_b32 v3, 0x80, v8, v3
	global_store_b8 v[0:1], v3, off
.LBB88_754:
	s_mov_b32 s19, 0
	s_mov_b32 s18, -1
.LBB88_755:
	s_and_not1_b32 vcc_lo, exec_lo, s19
	s_cbranch_vccnz .LBB88_763
; %bb.756:
	v_cmp_lt_i16_e32 vcc_lo, 14, v7
	s_mov_b32 s19, -1
	s_cbranch_vccz .LBB88_760
; %bb.757:
	v_cmp_eq_u16_e32 vcc_lo, 15, v7
	s_mov_b32 s0, -1
	s_cbranch_vccz .LBB88_759
; %bb.758:
	v_bfe_u32 v3, v2, 16, 1
	v_cmp_o_f32_e32 vcc_lo, v2, v2
	s_mov_b32 s18, -1
	s_mov_b32 s0, 0
	s_delay_alu instid0(VALU_DEP_2) | instskip(NEXT) | instid1(VALU_DEP_1)
	v_add3_u32 v3, v2, v3, 0x7fff
	v_lshrrev_b32_e32 v3, 16, v3
	s_delay_alu instid0(VALU_DEP_1)
	v_cndmask_b32_e32 v3, 0x7fc0, v3, vcc_lo
	global_store_b16 v[0:1], v3, off
.LBB88_759:
	s_mov_b32 s19, 0
.LBB88_760:
	s_delay_alu instid0(SALU_CYCLE_1)
	s_and_b32 vcc_lo, exec_lo, s19
	s_cbranch_vccz .LBB88_763
; %bb.761:
	v_cmp_eq_u16_e32 vcc_lo, 11, v7
	s_mov_b32 s0, -1
	s_cbranch_vccz .LBB88_763
; %bb.762:
	v_cmp_neq_f32_e32 vcc_lo, 0, v2
	s_mov_b32 s0, 0
	s_mov_b32 s18, -1
	v_cndmask_b32_e64 v3, 0, 1, vcc_lo
	global_store_b8 v[0:1], v3, off
.LBB88_763:
.LBB88_764:
	s_and_not1_b32 vcc_lo, exec_lo, s18
	s_cbranch_vccnz .LBB88_689
.LBB88_765:
	v_add_nc_u32_e32 v5, 0x80, v5
	s_mov_b32 s19, -1
.LBB88_766:
	s_and_not1_b32 s18, s14, exec_lo
	s_and_b32 s0, s0, exec_lo
	s_and_not1_b32 s20, s13, exec_lo
	s_and_b32 s17, s17, exec_lo
	s_or_b32 s18, s18, s0
	s_or_b32 s17, s20, s17
	s_or_not1_b32 s0, s19, exec_lo
.LBB88_767:
	s_or_b32 exec_lo, exec_lo, s16
	s_mov_b32 s19, 0
	s_mov_b32 s20, 0
	;; [unrolled: 1-line block ×3, first 2 shown]
                                        ; implicit-def: $vgpr0_vgpr1
                                        ; implicit-def: $vgpr3
	s_and_saveexec_b32 s16, s0
	s_cbranch_execz .LBB88_852
; %bb.768:
	v_cmp_gt_i32_e32 vcc_lo, s10, v5
	s_mov_b32 s0, 0
	s_mov_b32 s19, s17
                                        ; implicit-def: $vgpr0_vgpr1
                                        ; implicit-def: $vgpr3
	s_and_saveexec_b32 s10, vcc_lo
	s_cbranch_execz .LBB88_851
; %bb.769:
	v_mul_lo_u32 v0, v5, s3
	v_cmp_gt_i16_e32 vcc_lo, 11, v6
	s_delay_alu instid0(VALU_DEP_2) | instskip(SKIP_1) | instid1(VALU_DEP_1)
	v_ashrrev_i32_e32 v1, 31, v0
	v_add_co_u32 v0, s0, s6, v0
	v_add_co_ci_u32_e64 v1, s0, s7, v1, s0
	s_cbranch_vccnz .LBB88_776
; %bb.770:
	v_cmp_lt_i16_e32 vcc_lo, 25, v6
	s_mov_b32 s19, 0
	s_cbranch_vccz .LBB88_777
; %bb.771:
	v_cmp_lt_i16_e32 vcc_lo, 28, v6
	s_cbranch_vccz .LBB88_778
; %bb.772:
	v_cmp_lt_i16_e32 vcc_lo, 43, v6
	;; [unrolled: 3-line block ×3, first 2 shown]
	s_cbranch_vccz .LBB88_782
; %bb.774:
	v_cmp_eq_u16_e32 vcc_lo, 46, v6
	s_cbranch_vccz .LBB88_785
; %bb.775:
	global_load_b32 v2, v[0:1], off
	s_mov_b32 s0, 0
	s_mov_b32 s20, -1
	s_waitcnt vmcnt(0)
	v_lshlrev_b32_e32 v3, 16, v2
	s_branch .LBB88_787
.LBB88_776:
	s_mov_b32 s22, -1
	s_mov_b32 s19, 0
	s_mov_b32 s0, s17
                                        ; implicit-def: $vgpr3
	s_branch .LBB88_850
.LBB88_777:
	s_mov_b32 s21, -1
	s_mov_b32 s0, s17
                                        ; implicit-def: $vgpr3
	s_branch .LBB88_816
.LBB88_778:
	s_mov_b32 s21, -1
	s_mov_b32 s0, s17
                                        ; implicit-def: $vgpr3
	s_branch .LBB88_797
.LBB88_779:
	s_mov_b32 s21, -1
	s_mov_b32 s0, s17
                                        ; implicit-def: $vgpr3
	s_branch .LBB88_792
.LBB88_780:
	s_or_saveexec_b32 s20, s20
                                        ; implicit-def: $sgpr21
	s_delay_alu instid0(SALU_CYCLE_1)
	s_xor_b32 exec_lo, exec_lo, s20
	s_cbranch_execz .LBB88_716
.LBB88_781:
	v_add_f32_e64 v3, 0x46000000, |v2|
	s_and_not1_b32 s19, s19, exec_lo
	s_mov_b32 s21, 0
	s_delay_alu instid0(VALU_DEP_1) | instskip(NEXT) | instid1(VALU_DEP_1)
	v_and_b32_e32 v3, 0xff, v3
	v_cmp_ne_u32_e32 vcc_lo, 0, v3
	s_and_b32 s22, vcc_lo, exec_lo
	s_delay_alu instid0(SALU_CYCLE_1)
	s_or_b32 s19, s19, s22
	s_or_b32 exec_lo, exec_lo, s20
	v_mov_b32_e32 v8, s21
	s_and_saveexec_b32 s20, s19
	s_cbranch_execnz .LBB88_717
	s_branch .LBB88_718
.LBB88_782:
	s_mov_b32 s21, -1
	s_mov_b32 s0, s17
	s_branch .LBB88_786
.LBB88_783:
	s_or_saveexec_b32 s20, s20
                                        ; implicit-def: $sgpr21
	s_delay_alu instid0(SALU_CYCLE_1)
	s_xor_b32 exec_lo, exec_lo, s20
	s_cbranch_execz .LBB88_729
.LBB88_784:
	v_add_f32_e64 v3, 0x42800000, |v2|
	s_and_not1_b32 s19, s19, exec_lo
	s_mov_b32 s21, 0
	s_delay_alu instid0(VALU_DEP_1) | instskip(NEXT) | instid1(VALU_DEP_1)
	v_and_b32_e32 v3, 0xff, v3
	v_cmp_ne_u32_e32 vcc_lo, 0, v3
	s_and_b32 s22, vcc_lo, exec_lo
	s_delay_alu instid0(SALU_CYCLE_1)
	s_or_b32 s19, s19, s22
	s_or_b32 exec_lo, exec_lo, s20
	v_mov_b32_e32 v8, s21
	s_and_saveexec_b32 s20, s19
	s_cbranch_execnz .LBB88_730
	s_branch .LBB88_731
.LBB88_785:
	s_mov_b32 s0, -1
.LBB88_786:
                                        ; implicit-def: $vgpr3
.LBB88_787:
	s_and_b32 vcc_lo, exec_lo, s21
	s_cbranch_vccz .LBB88_791
; %bb.788:
	v_cmp_eq_u16_e32 vcc_lo, 44, v6
	s_cbranch_vccz .LBB88_790
; %bb.789:
	global_load_u8 v2, v[0:1], off
	s_mov_b32 s0, 0
	s_mov_b32 s20, -1
	s_waitcnt vmcnt(0)
	v_lshlrev_b32_e32 v3, 23, v2
	v_cmp_ne_u32_e32 vcc_lo, 0xff, v2
	s_delay_alu instid0(VALU_DEP_2) | instskip(SKIP_1) | instid1(VALU_DEP_2)
	v_cndmask_b32_e32 v3, 0x7f800001, v3, vcc_lo
	v_cmp_ne_u32_e32 vcc_lo, 0, v2
	v_cndmask_b32_e32 v3, 0x400000, v3, vcc_lo
	s_branch .LBB88_791
.LBB88_790:
	s_mov_b32 s0, -1
                                        ; implicit-def: $vgpr3
.LBB88_791:
	s_mov_b32 s21, 0
.LBB88_792:
	s_delay_alu instid0(SALU_CYCLE_1)
	s_and_b32 vcc_lo, exec_lo, s21
	s_cbranch_vccz .LBB88_796
; %bb.793:
	v_cmp_eq_u16_e32 vcc_lo, 29, v6
	s_cbranch_vccz .LBB88_795
; %bb.794:
	global_load_b64 v[2:3], v[0:1], off
	s_mov_b32 s0, 0
	s_mov_b32 s20, -1
	s_mov_b32 s21, 0
	s_waitcnt vmcnt(0)
	v_clz_i32_u32_e32 v7, v3
	s_delay_alu instid0(VALU_DEP_1) | instskip(NEXT) | instid1(VALU_DEP_1)
	v_min_u32_e32 v7, 32, v7
	v_lshlrev_b64 v[2:3], v7, v[2:3]
	s_delay_alu instid0(VALU_DEP_1) | instskip(NEXT) | instid1(VALU_DEP_1)
	v_min_u32_e32 v2, 1, v2
	v_or_b32_e32 v2, v3, v2
	v_sub_nc_u32_e32 v3, 32, v7
	s_delay_alu instid0(VALU_DEP_2) | instskip(NEXT) | instid1(VALU_DEP_1)
	v_cvt_f32_u32_e32 v2, v2
	v_ldexp_f32 v3, v2, v3
	s_branch .LBB88_797
.LBB88_795:
	s_mov_b32 s0, -1
                                        ; implicit-def: $vgpr3
.LBB88_796:
	s_mov_b32 s21, 0
.LBB88_797:
	s_delay_alu instid0(SALU_CYCLE_1)
	s_and_b32 vcc_lo, exec_lo, s21
	s_cbranch_vccz .LBB88_815
; %bb.798:
	v_cmp_gt_i16_e32 vcc_lo, 27, v6
	s_cbranch_vccnz .LBB88_801
; %bb.799:
	v_cmp_lt_i16_e32 vcc_lo, 27, v6
	s_cbranch_vccz .LBB88_802
; %bb.800:
	global_load_b32 v2, v[0:1], off
	s_mov_b32 s20, 0
	s_waitcnt vmcnt(0)
	v_cvt_f32_u32_e32 v3, v2
	s_branch .LBB88_803
.LBB88_801:
	s_mov_b32 s20, -1
                                        ; implicit-def: $vgpr3
	s_branch .LBB88_806
.LBB88_802:
	s_mov_b32 s20, -1
                                        ; implicit-def: $vgpr3
.LBB88_803:
	s_delay_alu instid0(SALU_CYCLE_1)
	s_and_not1_b32 vcc_lo, exec_lo, s20
	s_cbranch_vccnz .LBB88_805
; %bb.804:
	global_load_u16 v2, v[0:1], off
	s_waitcnt vmcnt(0)
	v_cvt_f32_u32_e32 v3, v2
.LBB88_805:
	s_mov_b32 s20, 0
.LBB88_806:
	s_delay_alu instid0(SALU_CYCLE_1)
	s_and_not1_b32 vcc_lo, exec_lo, s20
	s_cbranch_vccnz .LBB88_814
; %bb.807:
	global_load_u8 v2, v[0:1], off
	s_mov_b32 s20, 0
	s_mov_b32 s22, exec_lo
                                        ; implicit-def: $sgpr21
	s_waitcnt vmcnt(0)
	v_cmpx_lt_i16_e32 0x7f, v2
	s_xor_b32 s22, exec_lo, s22
	s_cbranch_execz .LBB88_828
; %bb.808:
	s_mov_b32 s20, -1
	s_mov_b32 s23, exec_lo
                                        ; implicit-def: $sgpr21
	v_cmpx_eq_u16_e32 0x80, v2
; %bb.809:
	s_mov_b32 s21, 0x7f800001
	s_xor_b32 s20, exec_lo, -1
; %bb.810:
	s_or_b32 exec_lo, exec_lo, s23
	s_delay_alu instid0(SALU_CYCLE_1)
	s_and_b32 s20, s20, exec_lo
	s_or_saveexec_b32 s22, s22
	v_mov_b32_e32 v3, s21
	s_xor_b32 exec_lo, exec_lo, s22
	s_cbranch_execnz .LBB88_829
.LBB88_811:
	s_or_b32 exec_lo, exec_lo, s22
	s_and_saveexec_b32 s21, s20
	s_cbranch_execz .LBB88_813
.LBB88_812:
	v_and_b32_e32 v3, 0xffff, v2
	s_delay_alu instid0(VALU_DEP_1) | instskip(NEXT) | instid1(VALU_DEP_1)
	v_and_b32_e32 v7, 7, v3
	v_clz_i32_u32_e32 v8, v7
	s_delay_alu instid0(VALU_DEP_1) | instskip(NEXT) | instid1(VALU_DEP_1)
	v_min_u32_e32 v8, 32, v8
	v_subrev_nc_u32_e32 v9, 28, v8
	v_sub_nc_u32_e32 v8, 29, v8
	s_delay_alu instid0(VALU_DEP_2) | instskip(SKIP_1) | instid1(VALU_DEP_2)
	v_lshlrev_b32_e32 v9, v9, v3
	v_bfe_u32 v3, v3, 3, 4
	v_and_b32_e32 v9, 7, v9
	s_delay_alu instid0(VALU_DEP_2) | instskip(SKIP_1) | instid1(VALU_DEP_1)
	v_cmp_eq_u32_e32 vcc_lo, 0, v3
	v_dual_cndmask_b32 v3, v3, v8 :: v_dual_lshlrev_b32 v2, 24, v2
	v_dual_cndmask_b32 v7, v7, v9 :: v_dual_and_b32 v2, 0x80000000, v2
	s_delay_alu instid0(VALU_DEP_2) | instskip(NEXT) | instid1(VALU_DEP_2)
	v_lshl_add_u32 v3, v3, 23, 0x3b800000
	v_lshlrev_b32_e32 v7, 20, v7
	s_delay_alu instid0(VALU_DEP_1)
	v_or3_b32 v3, v2, v3, v7
.LBB88_813:
	s_or_b32 exec_lo, exec_lo, s21
.LBB88_814:
	s_mov_b32 s20, -1
.LBB88_815:
	s_mov_b32 s21, 0
.LBB88_816:
	s_delay_alu instid0(SALU_CYCLE_1)
	s_and_b32 vcc_lo, exec_lo, s21
	s_cbranch_vccz .LBB88_849
; %bb.817:
	v_cmp_lt_i16_e32 vcc_lo, 22, v6
	s_cbranch_vccz .LBB88_827
; %bb.818:
	v_cmp_gt_i16_e32 vcc_lo, 24, v6
	s_cbranch_vccnz .LBB88_830
; %bb.819:
	v_cmp_lt_i16_e32 vcc_lo, 24, v6
	s_cbranch_vccz .LBB88_831
; %bb.820:
	global_load_u8 v2, v[0:1], off
	s_mov_b32 s21, exec_lo
                                        ; implicit-def: $sgpr20
	s_waitcnt vmcnt(0)
	v_cmpx_lt_i16_e32 0x7f, v2
	s_xor_b32 s21, exec_lo, s21
	s_cbranch_execz .LBB88_843
; %bb.821:
	s_mov_b32 s19, -1
	s_mov_b32 s22, exec_lo
                                        ; implicit-def: $sgpr20
	v_cmpx_eq_u16_e32 0x80, v2
; %bb.822:
	s_mov_b32 s20, 0x7f800001
	s_xor_b32 s19, exec_lo, -1
; %bb.823:
	s_or_b32 exec_lo, exec_lo, s22
	s_delay_alu instid0(SALU_CYCLE_1)
	s_and_b32 s19, s19, exec_lo
	s_or_saveexec_b32 s21, s21
	v_mov_b32_e32 v3, s20
	s_xor_b32 exec_lo, exec_lo, s21
	s_cbranch_execnz .LBB88_844
.LBB88_824:
	s_or_b32 exec_lo, exec_lo, s21
	s_and_saveexec_b32 s20, s19
	s_cbranch_execz .LBB88_826
.LBB88_825:
	v_and_b32_e32 v3, 0xffff, v2
	s_delay_alu instid0(VALU_DEP_1) | instskip(NEXT) | instid1(VALU_DEP_1)
	v_and_b32_e32 v7, 3, v3
	v_clz_i32_u32_e32 v8, v7
	s_delay_alu instid0(VALU_DEP_1) | instskip(NEXT) | instid1(VALU_DEP_1)
	v_min_u32_e32 v8, 32, v8
	v_subrev_nc_u32_e32 v9, 29, v8
	v_sub_nc_u32_e32 v8, 30, v8
	s_delay_alu instid0(VALU_DEP_2) | instskip(SKIP_1) | instid1(VALU_DEP_2)
	v_lshlrev_b32_e32 v9, v9, v3
	v_bfe_u32 v3, v3, 2, 5
	v_and_b32_e32 v9, 3, v9
	s_delay_alu instid0(VALU_DEP_2) | instskip(SKIP_1) | instid1(VALU_DEP_1)
	v_cmp_eq_u32_e32 vcc_lo, 0, v3
	v_dual_cndmask_b32 v3, v3, v8 :: v_dual_lshlrev_b32 v2, 24, v2
	v_dual_cndmask_b32 v7, v7, v9 :: v_dual_and_b32 v2, 0x80000000, v2
	s_delay_alu instid0(VALU_DEP_2) | instskip(NEXT) | instid1(VALU_DEP_2)
	v_lshl_add_u32 v3, v3, 23, 0x37800000
	v_lshlrev_b32_e32 v7, 21, v7
	s_delay_alu instid0(VALU_DEP_1)
	v_or3_b32 v3, v2, v3, v7
.LBB88_826:
	s_or_b32 exec_lo, exec_lo, s20
	s_mov_b32 s19, 0
	s_branch .LBB88_832
.LBB88_827:
	s_mov_b32 s19, -1
                                        ; implicit-def: $vgpr3
	s_branch .LBB88_838
.LBB88_828:
	s_or_saveexec_b32 s22, s22
	v_mov_b32_e32 v3, s21
	s_xor_b32 exec_lo, exec_lo, s22
	s_cbranch_execz .LBB88_811
.LBB88_829:
	v_cmp_ne_u16_e32 vcc_lo, 0, v2
	v_mov_b32_e32 v3, 0
	s_and_not1_b32 s20, s20, exec_lo
	s_and_b32 s21, vcc_lo, exec_lo
	s_delay_alu instid0(SALU_CYCLE_1)
	s_or_b32 s20, s20, s21
	s_or_b32 exec_lo, exec_lo, s22
	s_and_saveexec_b32 s21, s20
	s_cbranch_execnz .LBB88_812
	s_branch .LBB88_813
.LBB88_830:
	s_mov_b32 s19, -1
                                        ; implicit-def: $vgpr3
	s_branch .LBB88_835
.LBB88_831:
	s_mov_b32 s19, -1
                                        ; implicit-def: $vgpr3
.LBB88_832:
	s_delay_alu instid0(SALU_CYCLE_1)
	s_and_b32 vcc_lo, exec_lo, s19
	s_cbranch_vccz .LBB88_834
; %bb.833:
	global_load_u8 v2, v[0:1], off
	s_waitcnt vmcnt(0)
	v_lshlrev_b32_e32 v2, 24, v2
	s_delay_alu instid0(VALU_DEP_1) | instskip(NEXT) | instid1(VALU_DEP_1)
	v_and_b32_e32 v3, 0x7f000000, v2
	v_clz_i32_u32_e32 v7, v3
	v_add_nc_u32_e32 v9, 0x1000000, v3
	v_cmp_ne_u32_e32 vcc_lo, 0, v3
	s_delay_alu instid0(VALU_DEP_3) | instskip(NEXT) | instid1(VALU_DEP_1)
	v_min_u32_e32 v7, 32, v7
	v_sub_nc_u32_e64 v7, v7, 4 clamp
	s_delay_alu instid0(VALU_DEP_1) | instskip(SKIP_1) | instid1(VALU_DEP_2)
	v_lshlrev_b32_e32 v8, v7, v3
	v_lshlrev_b32_e32 v7, 23, v7
	v_lshrrev_b32_e32 v8, 4, v8
	s_delay_alu instid0(VALU_DEP_1) | instskip(SKIP_1) | instid1(VALU_DEP_2)
	v_sub_nc_u32_e32 v7, v8, v7
	v_ashrrev_i32_e32 v8, 8, v9
	v_add_nc_u32_e32 v7, 0x3c000000, v7
	s_delay_alu instid0(VALU_DEP_1) | instskip(NEXT) | instid1(VALU_DEP_1)
	v_and_or_b32 v7, 0x7f800000, v8, v7
	v_cndmask_b32_e32 v3, 0, v7, vcc_lo
	s_delay_alu instid0(VALU_DEP_1)
	v_and_or_b32 v3, 0x80000000, v2, v3
.LBB88_834:
	s_mov_b32 s19, 0
.LBB88_835:
	s_delay_alu instid0(SALU_CYCLE_1)
	s_and_not1_b32 vcc_lo, exec_lo, s19
	s_cbranch_vccnz .LBB88_837
; %bb.836:
	global_load_u8 v2, v[0:1], off
	s_waitcnt vmcnt(0)
	v_lshlrev_b32_e32 v3, 25, v2
	v_lshlrev_b16 v2, 8, v2
	s_delay_alu instid0(VALU_DEP_1) | instskip(SKIP_1) | instid1(VALU_DEP_2)
	v_and_or_b32 v8, 0x7f00, v2, 0.5
	v_bfe_i32 v2, v2, 0, 16
	v_add_f32_e32 v8, -0.5, v8
	v_lshrrev_b32_e32 v7, 4, v3
	v_cmp_gt_u32_e32 vcc_lo, 0x8000000, v3
	s_delay_alu instid0(VALU_DEP_2) | instskip(NEXT) | instid1(VALU_DEP_1)
	v_or_b32_e32 v7, 0x70000000, v7
	v_mul_f32_e32 v7, 0x7800000, v7
	s_delay_alu instid0(VALU_DEP_1) | instskip(NEXT) | instid1(VALU_DEP_1)
	v_cndmask_b32_e32 v3, v7, v8, vcc_lo
	v_and_or_b32 v3, 0x80000000, v2, v3
.LBB88_837:
	s_mov_b32 s19, 0
	s_mov_b32 s20, -1
.LBB88_838:
	s_and_not1_b32 vcc_lo, exec_lo, s19
	s_mov_b32 s19, 0
	s_cbranch_vccnz .LBB88_849
; %bb.839:
	v_cmp_lt_i16_e32 vcc_lo, 14, v6
	s_cbranch_vccz .LBB88_842
; %bb.840:
	v_cmp_eq_u16_e32 vcc_lo, 15, v6
	s_cbranch_vccz .LBB88_845
; %bb.841:
	global_load_u16 v2, v[0:1], off
	s_mov_b32 s0, 0
	s_mov_b32 s20, -1
	s_waitcnt vmcnt(0)
	v_lshlrev_b32_e32 v3, 16, v2
	s_branch .LBB88_847
.LBB88_842:
	s_mov_b32 s19, -1
	s_branch .LBB88_846
.LBB88_843:
	s_or_saveexec_b32 s21, s21
	v_mov_b32_e32 v3, s20
	s_xor_b32 exec_lo, exec_lo, s21
	s_cbranch_execz .LBB88_824
.LBB88_844:
	v_cmp_ne_u16_e32 vcc_lo, 0, v2
	v_mov_b32_e32 v3, 0
	s_and_not1_b32 s19, s19, exec_lo
	s_and_b32 s20, vcc_lo, exec_lo
	s_delay_alu instid0(SALU_CYCLE_1)
	s_or_b32 s19, s19, s20
	s_or_b32 exec_lo, exec_lo, s21
	s_and_saveexec_b32 s20, s19
	s_cbranch_execnz .LBB88_825
	s_branch .LBB88_826
.LBB88_845:
	s_mov_b32 s0, -1
.LBB88_846:
                                        ; implicit-def: $vgpr3
.LBB88_847:
	s_and_b32 vcc_lo, exec_lo, s19
	s_mov_b32 s19, 0
	s_cbranch_vccz .LBB88_849
; %bb.848:
	v_cmp_ne_u16_e32 vcc_lo, 11, v6
	s_and_not1_b32 s0, s0, exec_lo
	s_mov_b32 s19, -1
                                        ; implicit-def: $vgpr3
	s_and_b32 s21, vcc_lo, exec_lo
	s_delay_alu instid0(SALU_CYCLE_1)
	s_or_b32 s0, s0, s21
.LBB88_849:
	s_mov_b32 s22, 0
.LBB88_850:
	s_and_b32 s21, s20, exec_lo
	s_and_b32 s20, s22, exec_lo
	s_and_not1_b32 s22, s17, exec_lo
	s_and_b32 s23, s0, exec_lo
	s_and_b32 s0, s19, exec_lo
	s_or_b32 s19, s22, s23
.LBB88_851:
	s_or_b32 exec_lo, exec_lo, s10
	s_delay_alu instid0(SALU_CYCLE_1)
	s_and_not1_b32 s10, s17, exec_lo
	s_and_b32 s17, s19, exec_lo
	s_and_b32 s21, s21, exec_lo
	;; [unrolled: 1-line block ×4, first 2 shown]
	s_or_b32 s17, s10, s17
.LBB88_852:
	s_or_b32 exec_lo, exec_lo, s16
	s_delay_alu instid0(SALU_CYCLE_1)
	s_and_not1_b32 s0, s14, exec_lo
	s_and_b32 s10, s18, exec_lo
	s_and_b32 s18, s20, exec_lo
	s_or_b32 s14, s0, s10
	s_and_not1_b32 s10, s13, exec_lo
	s_and_b32 s13, s17, exec_lo
	s_and_b32 s0, s21, exec_lo
	;; [unrolled: 1-line block ×3, first 2 shown]
	s_or_b32 s13, s10, s13
.LBB88_853:
	s_or_b32 exec_lo, exec_lo, s15
	s_delay_alu instid0(SALU_CYCLE_1)
	s_and_not1_b32 s9, s9, exec_lo
	s_and_b32 s10, s14, exec_lo
	s_and_b32 s0, s0, exec_lo
	s_or_b32 s9, s9, s10
	s_and_not1_b32 s10, s11, exec_lo
	s_and_b32 s11, s13, exec_lo
	s_and_b32 s14, s18, exec_lo
	;; [unrolled: 1-line block ×3, first 2 shown]
	s_or_b32 s11, s10, s11
.LBB88_854:
	s_or_b32 exec_lo, exec_lo, s12
	s_mov_b32 s10, 0
	s_and_saveexec_b32 s12, s11
	s_cbranch_execnz .LBB88_866
; %bb.855:
	s_or_b32 exec_lo, exec_lo, s12
	s_and_saveexec_b32 s11, s13
	s_delay_alu instid0(SALU_CYCLE_1)
	s_xor_b32 s11, exec_lo, s11
	s_cbranch_execz .LBB88_857
.LBB88_856:
	global_load_u8 v2, v[0:1], off
	s_or_b32 s0, s0, exec_lo
	s_waitcnt vmcnt(0)
	v_cmp_ne_u16_e32 vcc_lo, 0, v2
	v_cndmask_b32_e64 v3, 0, 1.0, vcc_lo
.LBB88_857:
	s_or_b32 exec_lo, exec_lo, s11
	s_and_saveexec_b32 s11, s14
	s_cbranch_execz .LBB88_905
; %bb.858:
	v_cmp_gt_i16_e32 vcc_lo, 5, v6
	s_cbranch_vccnz .LBB88_863
; %bb.859:
	v_cmp_gt_i16_e32 vcc_lo, 8, v6
	s_cbranch_vccnz .LBB88_864
	;; [unrolled: 3-line block ×3, first 2 shown]
; %bb.861:
	v_cmp_lt_i16_e32 vcc_lo, 9, v6
	s_cbranch_vccz .LBB88_868
; %bb.862:
	global_load_b64 v[2:3], v[0:1], off
	s_mov_b32 s12, 0
	s_waitcnt vmcnt(0)
	v_cvt_f32_f64_e32 v3, v[2:3]
	s_branch .LBB88_869
.LBB88_863:
                                        ; implicit-def: $vgpr3
	s_branch .LBB88_886
.LBB88_864:
                                        ; implicit-def: $vgpr3
	s_branch .LBB88_875
.LBB88_865:
	s_mov_b32 s12, -1
                                        ; implicit-def: $vgpr3
	s_branch .LBB88_872
.LBB88_866:
	s_cbranch_execnz .LBB88_1084
; %bb.867:
	s_mov_b32 s10, exec_lo
	s_and_not1_b32 s13, s13, exec_lo
                                        ; implicit-def: $vgpr3
	s_or_b32 exec_lo, exec_lo, s12
	s_and_saveexec_b32 s11, s13
	s_delay_alu instid0(SALU_CYCLE_1)
	s_xor_b32 s11, exec_lo, s11
	s_cbranch_execnz .LBB88_856
	s_branch .LBB88_857
.LBB88_868:
	s_mov_b32 s12, -1
                                        ; implicit-def: $vgpr3
.LBB88_869:
	s_delay_alu instid0(SALU_CYCLE_1)
	s_and_not1_b32 vcc_lo, exec_lo, s12
	s_cbranch_vccnz .LBB88_871
; %bb.870:
	global_load_b32 v3, v[0:1], off
.LBB88_871:
	s_mov_b32 s12, 0
.LBB88_872:
	s_delay_alu instid0(SALU_CYCLE_1)
	s_and_not1_b32 vcc_lo, exec_lo, s12
	s_cbranch_vccnz .LBB88_874
; %bb.873:
	global_load_b32 v2, v[0:1], off
	s_waitcnt vmcnt(0)
	v_cvt_f32_f16_e32 v3, v2
.LBB88_874:
	s_cbranch_execnz .LBB88_885
.LBB88_875:
	v_cmp_gt_i16_e32 vcc_lo, 6, v6
	s_cbranch_vccnz .LBB88_878
; %bb.876:
	v_cmp_lt_i16_e32 vcc_lo, 6, v6
	s_cbranch_vccz .LBB88_879
; %bb.877:
	global_load_b64 v[2:3], v[0:1], off
	s_mov_b32 s12, 0
	s_waitcnt vmcnt(0)
	v_cvt_f32_f64_e32 v3, v[2:3]
	s_branch .LBB88_880
.LBB88_878:
	s_mov_b32 s12, -1
                                        ; implicit-def: $vgpr3
	s_branch .LBB88_883
.LBB88_879:
	s_mov_b32 s12, -1
                                        ; implicit-def: $vgpr3
.LBB88_880:
	s_delay_alu instid0(SALU_CYCLE_1)
	s_and_not1_b32 vcc_lo, exec_lo, s12
	s_cbranch_vccnz .LBB88_882
; %bb.881:
	global_load_b32 v3, v[0:1], off
.LBB88_882:
	s_mov_b32 s12, 0
.LBB88_883:
	s_delay_alu instid0(SALU_CYCLE_1)
	s_and_not1_b32 vcc_lo, exec_lo, s12
	s_cbranch_vccnz .LBB88_885
; %bb.884:
	global_load_u16 v2, v[0:1], off
	s_waitcnt vmcnt(0)
	v_cvt_f32_f16_e32 v3, v2
.LBB88_885:
	s_cbranch_execnz .LBB88_904
.LBB88_886:
	v_cmp_gt_i16_e32 vcc_lo, 2, v6
	s_cbranch_vccnz .LBB88_890
; %bb.887:
	v_cmp_gt_i16_e32 vcc_lo, 3, v6
	s_cbranch_vccnz .LBB88_891
; %bb.888:
	v_cmp_lt_i16_e32 vcc_lo, 3, v6
	s_cbranch_vccz .LBB88_892
; %bb.889:
	global_load_b64 v[2:3], v[0:1], off
	s_mov_b32 s12, 0
	s_waitcnt vmcnt(0)
	v_xor_b32_e32 v7, v2, v3
	v_cls_i32_e32 v8, v3
	s_delay_alu instid0(VALU_DEP_2) | instskip(NEXT) | instid1(VALU_DEP_2)
	v_ashrrev_i32_e32 v7, 31, v7
	v_add_nc_u32_e32 v8, -1, v8
	s_delay_alu instid0(VALU_DEP_2) | instskip(NEXT) | instid1(VALU_DEP_1)
	v_add_nc_u32_e32 v7, 32, v7
	v_min_u32_e32 v7, v8, v7
	s_delay_alu instid0(VALU_DEP_1) | instskip(NEXT) | instid1(VALU_DEP_1)
	v_lshlrev_b64 v[2:3], v7, v[2:3]
	v_min_u32_e32 v2, 1, v2
	s_delay_alu instid0(VALU_DEP_1) | instskip(SKIP_1) | instid1(VALU_DEP_2)
	v_or_b32_e32 v2, v3, v2
	v_sub_nc_u32_e32 v3, 32, v7
	v_cvt_f32_i32_e32 v2, v2
	s_delay_alu instid0(VALU_DEP_1)
	v_ldexp_f32 v3, v2, v3
	s_branch .LBB88_893
.LBB88_890:
                                        ; implicit-def: $vgpr3
	s_branch .LBB88_899
.LBB88_891:
	s_mov_b32 s12, -1
                                        ; implicit-def: $vgpr3
	s_branch .LBB88_896
.LBB88_892:
	s_mov_b32 s12, -1
                                        ; implicit-def: $vgpr3
.LBB88_893:
	s_delay_alu instid0(SALU_CYCLE_1)
	s_and_not1_b32 vcc_lo, exec_lo, s12
	s_cbranch_vccnz .LBB88_895
; %bb.894:
	global_load_b32 v2, v[0:1], off
	s_waitcnt vmcnt(0)
	v_cvt_f32_i32_e32 v3, v2
.LBB88_895:
	s_mov_b32 s12, 0
.LBB88_896:
	s_delay_alu instid0(SALU_CYCLE_1)
	s_and_not1_b32 vcc_lo, exec_lo, s12
	s_cbranch_vccnz .LBB88_898
; %bb.897:
	global_load_i16 v2, v[0:1], off
	s_waitcnt vmcnt(0)
	v_cvt_f32_i32_e32 v3, v2
.LBB88_898:
	s_cbranch_execnz .LBB88_904
.LBB88_899:
	v_cmp_lt_i16_e32 vcc_lo, 0, v6
	s_mov_b32 s12, 0
	s_cbranch_vccz .LBB88_901
; %bb.900:
	global_load_i8 v2, v[0:1], off
	s_waitcnt vmcnt(0)
	v_cvt_f32_i32_e32 v3, v2
	s_branch .LBB88_902
.LBB88_901:
	s_mov_b32 s12, -1
                                        ; implicit-def: $vgpr3
.LBB88_902:
	s_delay_alu instid0(SALU_CYCLE_1)
	s_and_not1_b32 vcc_lo, exec_lo, s12
	s_cbranch_vccnz .LBB88_904
; %bb.903:
	global_load_u8 v0, v[0:1], off
	s_waitcnt vmcnt(0)
	v_cvt_f32_ubyte0_e32 v3, v0
.LBB88_904:
	s_or_b32 s0, s0, exec_lo
.LBB88_905:
	s_or_b32 exec_lo, exec_lo, s11
	s_mov_b32 s13, 0
	s_mov_b32 s12, 0
                                        ; implicit-def: $vgpr6
                                        ; implicit-def: $vgpr0_vgpr1
                                        ; implicit-def: $vgpr2
	s_and_saveexec_b32 s11, s0
	s_cbranch_execz .LBB88_982
; %bb.906:
	s_waitcnt vmcnt(0)
	s_delay_alu instid0(VALU_DEP_1) | instskip(SKIP_3) | instid1(VALU_DEP_3)
	v_mul_f32_e32 v0, 0x3fb8aa3b, v3
	v_cmp_ngt_f32_e64 s0, 0xc2ce8ed0, v3
	v_and_b32_e32 v6, 0xff, v4
	s_mov_b32 s12, -1
	v_rndne_f32_e32 v1, v0
	v_fma_f32 v2, 0x3fb8aa3b, v3, -v0
	s_delay_alu instid0(VALU_DEP_3) | instskip(NEXT) | instid1(VALU_DEP_3)
	v_cmp_gt_i16_e32 vcc_lo, 11, v6
	v_sub_f32_e32 v0, v0, v1
	s_delay_alu instid0(VALU_DEP_3) | instskip(SKIP_2) | instid1(VALU_DEP_2)
	v_fmamk_f32 v2, v3, 0x32a5705f, v2
	v_cvt_i32_f32_e32 v1, v1
	s_and_b32 vcc_lo, exec_lo, vcc_lo
	v_add_f32_e32 v0, v0, v2
	v_mul_lo_u32 v2, v5, s2
	s_delay_alu instid0(VALU_DEP_2) | instskip(SKIP_3) | instid1(VALU_DEP_2)
	v_exp_f32_e32 v0, v0
	s_waitcnt_depctr 0xfff
	v_ldexp_f32 v0, v0, v1
	v_ashrrev_i32_e32 v1, 31, v2
	v_cndmask_b32_e64 v4, 0, v0, s0
	v_add_co_u32 v0, s0, s4, v2
	s_delay_alu instid0(VALU_DEP_1) | instskip(SKIP_1) | instid1(VALU_DEP_1)
	v_add_co_ci_u32_e64 v1, s0, s5, v1, s0
	v_cmp_nlt_f32_e64 s0, 0x42b17218, v3
	v_cndmask_b32_e64 v2, 0x7f800000, v4, s0
	s_mov_b32 s0, s9
	s_cbranch_vccnz .LBB88_981
; %bb.907:
	v_cmp_lt_i16_e32 vcc_lo, 25, v6
	s_mov_b32 s0, s9
	s_cbranch_vccz .LBB88_940
; %bb.908:
	v_cmp_lt_i16_e32 vcc_lo, 28, v6
	s_mov_b32 s0, s9
	s_cbranch_vccz .LBB88_924
	;; [unrolled: 4-line block ×4, first 2 shown]
; %bb.911:
	v_cmp_eq_u16_e32 vcc_lo, 46, v6
	s_mov_b32 s0, -1
	s_cbranch_vccz .LBB88_913
; %bb.912:
	v_bfe_u32 v3, v2, 16, 1
	v_cmp_o_f32_e32 vcc_lo, v2, v2
	s_mov_b32 s0, 0
	s_delay_alu instid0(VALU_DEP_2) | instskip(NEXT) | instid1(VALU_DEP_1)
	v_add3_u32 v3, v2, v3, 0x7fff
	v_lshrrev_b32_e32 v3, 16, v3
	s_delay_alu instid0(VALU_DEP_1)
	v_cndmask_b32_e32 v3, 0x7fc0, v3, vcc_lo
	global_store_b32 v[0:1], v3, off
.LBB88_913:
	s_mov_b32 s12, 0
.LBB88_914:
	s_delay_alu instid0(SALU_CYCLE_1)
	s_and_b32 vcc_lo, exec_lo, s12
	s_cbranch_vccz .LBB88_919
; %bb.915:
	v_cmp_eq_u16_e32 vcc_lo, 44, v6
	s_mov_b32 s0, -1
	s_cbranch_vccz .LBB88_919
; %bb.916:
	v_bfe_u32 v4, v2, 23, 8
	v_mov_b32_e32 v3, 0xff
	s_mov_b32 s12, exec_lo
	s_delay_alu instid0(VALU_DEP_2)
	v_cmpx_ne_u32_e32 0xff, v4
; %bb.917:
	v_and_b32_e32 v3, 0x400000, v2
	v_and_or_b32 v4, 0x3fffff, v2, v4
	s_delay_alu instid0(VALU_DEP_2) | instskip(NEXT) | instid1(VALU_DEP_2)
	v_cmp_ne_u32_e32 vcc_lo, 0, v3
	v_cmp_ne_u32_e64 s0, 0, v4
	v_lshrrev_b32_e32 v3, 23, v2
	s_delay_alu instid0(VALU_DEP_2) | instskip(NEXT) | instid1(SALU_CYCLE_1)
	s_and_b32 s0, vcc_lo, s0
	v_cndmask_b32_e64 v4, 0, 1, s0
	s_delay_alu instid0(VALU_DEP_1)
	v_add_nc_u32_e32 v3, v3, v4
; %bb.918:
	s_or_b32 exec_lo, exec_lo, s12
	s_mov_b32 s0, 0
	global_store_b8 v[0:1], v3, off
.LBB88_919:
	s_mov_b32 s12, 0
.LBB88_920:
	s_delay_alu instid0(SALU_CYCLE_1)
	s_and_b32 vcc_lo, exec_lo, s12
	s_cbranch_vccz .LBB88_923
; %bb.921:
	v_cmp_eq_u16_e32 vcc_lo, 29, v6
	s_mov_b32 s0, -1
	s_cbranch_vccz .LBB88_923
; %bb.922:
	v_trunc_f32_e32 v3, v2
	s_mov_b32 s0, 0
	s_delay_alu instid0(VALU_DEP_1) | instskip(NEXT) | instid1(VALU_DEP_1)
	v_mul_f32_e32 v4, 0x2f800000, v3
	v_floor_f32_e32 v4, v4
	s_delay_alu instid0(VALU_DEP_1) | instskip(SKIP_1) | instid1(VALU_DEP_2)
	v_fmamk_f32 v3, v4, 0xcf800000, v3
	v_cvt_u32_f32_e32 v4, v4
	v_cvt_u32_f32_e32 v3, v3
	global_store_b64 v[0:1], v[3:4], off
.LBB88_923:
	s_mov_b32 s12, 0
.LBB88_924:
	s_delay_alu instid0(SALU_CYCLE_1)
	s_and_b32 vcc_lo, exec_lo, s12
	s_cbranch_vccz .LBB88_939
; %bb.925:
	v_cmp_gt_i16_e32 vcc_lo, 27, v6
	s_mov_b32 s12, -1
	s_cbranch_vccnz .LBB88_931
; %bb.926:
	v_cmp_lt_i16_e32 vcc_lo, 27, v6
	v_cvt_u32_f32_e32 v3, v2
	s_cbranch_vccz .LBB88_928
; %bb.927:
	s_mov_b32 s12, 0
	global_store_b32 v[0:1], v3, off
.LBB88_928:
	s_and_not1_b32 vcc_lo, exec_lo, s12
	s_cbranch_vccnz .LBB88_930
; %bb.929:
	global_store_b16 v[0:1], v3, off
.LBB88_930:
	s_mov_b32 s12, 0
.LBB88_931:
	s_delay_alu instid0(SALU_CYCLE_1)
	s_and_not1_b32 vcc_lo, exec_lo, s12
	s_cbranch_vccnz .LBB88_939
; %bb.932:
	v_and_b32_e32 v3, 0x7fffffff, v2
	v_mov_b32_e32 v4, 0x80
	s_mov_b32 s12, exec_lo
	s_delay_alu instid0(VALU_DEP_2)
	v_cmpx_gt_u32_e32 0x43800000, v3
	s_cbranch_execz .LBB88_938
; %bb.933:
	v_cmp_lt_u32_e32 vcc_lo, 0x3bffffff, v3
                                        ; implicit-def: $vgpr3
	s_and_saveexec_b32 s14, vcc_lo
	s_delay_alu instid0(SALU_CYCLE_1)
	s_xor_b32 s14, exec_lo, s14
	s_cbranch_execz .LBB88_1175
; %bb.934:
	v_bfe_u32 v3, v2, 20, 1
	s_mov_b32 s13, exec_lo
	s_delay_alu instid0(VALU_DEP_1) | instskip(NEXT) | instid1(VALU_DEP_1)
	v_add3_u32 v3, v2, v3, 0x487ffff
	v_lshrrev_b32_e32 v3, 20, v3
	s_or_saveexec_b32 s14, s14
                                        ; implicit-def: $sgpr15
	s_delay_alu instid0(SALU_CYCLE_1)
	s_xor_b32 exec_lo, exec_lo, s14
	s_cbranch_execnz .LBB88_1176
.LBB88_935:
	s_or_b32 exec_lo, exec_lo, s14
	v_mov_b32_e32 v4, s15
	s_and_saveexec_b32 s14, s13
.LBB88_936:
	v_lshrrev_b32_e32 v4, 24, v2
	s_delay_alu instid0(VALU_DEP_1)
	v_and_or_b32 v4, 0x80, v4, v3
.LBB88_937:
	s_or_b32 exec_lo, exec_lo, s14
.LBB88_938:
	s_delay_alu instid0(SALU_CYCLE_1)
	s_or_b32 exec_lo, exec_lo, s12
	global_store_b8 v[0:1], v4, off
.LBB88_939:
	s_mov_b32 s12, 0
.LBB88_940:
	s_delay_alu instid0(SALU_CYCLE_1)
	s_and_b32 vcc_lo, exec_lo, s12
	s_mov_b32 s12, 0
	s_cbranch_vccz .LBB88_980
; %bb.941:
	v_cmp_lt_i16_e32 vcc_lo, 22, v6
	s_mov_b32 s13, -1
	s_cbranch_vccz .LBB88_973
; %bb.942:
	v_cmp_gt_i16_e32 vcc_lo, 24, v6
	s_cbranch_vccnz .LBB88_962
; %bb.943:
	v_cmp_lt_i16_e32 vcc_lo, 24, v6
	s_cbranch_vccz .LBB88_951
; %bb.944:
	v_and_b32_e32 v3, 0x7fffffff, v2
	v_mov_b32_e32 v4, 0x80
	s_mov_b32 s13, exec_lo
	s_delay_alu instid0(VALU_DEP_2)
	v_cmpx_gt_u32_e32 0x47800000, v3
	s_cbranch_execz .LBB88_950
; %bb.945:
	v_cmp_lt_u32_e32 vcc_lo, 0x37ffffff, v3
	s_mov_b32 s14, 0
                                        ; implicit-def: $vgpr3
	s_and_saveexec_b32 s15, vcc_lo
	s_delay_alu instid0(SALU_CYCLE_1)
	s_xor_b32 s15, exec_lo, s15
	s_cbranch_execz .LBB88_1219
; %bb.946:
	v_bfe_u32 v3, v2, 21, 1
	s_mov_b32 s14, exec_lo
	s_delay_alu instid0(VALU_DEP_1) | instskip(NEXT) | instid1(VALU_DEP_1)
	v_add3_u32 v3, v2, v3, 0x88fffff
	v_lshrrev_b32_e32 v3, 21, v3
	s_or_saveexec_b32 s15, s15
                                        ; implicit-def: $sgpr16
	s_delay_alu instid0(SALU_CYCLE_1)
	s_xor_b32 exec_lo, exec_lo, s15
	s_cbranch_execnz .LBB88_1220
.LBB88_947:
	s_or_b32 exec_lo, exec_lo, s15
	v_mov_b32_e32 v4, s16
	s_and_saveexec_b32 s15, s14
.LBB88_948:
	v_lshrrev_b32_e32 v4, 24, v2
	s_delay_alu instid0(VALU_DEP_1)
	v_and_or_b32 v4, 0x80, v4, v3
.LBB88_949:
	s_or_b32 exec_lo, exec_lo, s15
.LBB88_950:
	s_delay_alu instid0(SALU_CYCLE_1)
	s_or_b32 exec_lo, exec_lo, s13
	s_mov_b32 s13, 0
	global_store_b8 v[0:1], v4, off
.LBB88_951:
	s_and_b32 vcc_lo, exec_lo, s13
	s_cbranch_vccz .LBB88_961
; %bb.952:
	v_and_b32_e32 v4, 0x7fffffff, v2
	s_mov_b32 s13, exec_lo
                                        ; implicit-def: $vgpr3
	s_delay_alu instid0(VALU_DEP_1)
	v_cmpx_gt_u32_e32 0x43f00000, v4
	s_xor_b32 s13, exec_lo, s13
	s_cbranch_execz .LBB88_958
; %bb.953:
	s_mov_b32 s14, exec_lo
                                        ; implicit-def: $vgpr3
	v_cmpx_lt_u32_e32 0x3c7fffff, v4
	s_xor_b32 s14, exec_lo, s14
; %bb.954:
	v_bfe_u32 v3, v2, 20, 1
	s_delay_alu instid0(VALU_DEP_1) | instskip(NEXT) | instid1(VALU_DEP_1)
	v_add3_u32 v3, v2, v3, 0x407ffff
	v_and_b32_e32 v4, 0xff00000, v3
	v_lshrrev_b32_e32 v3, 20, v3
	s_delay_alu instid0(VALU_DEP_2) | instskip(NEXT) | instid1(VALU_DEP_2)
	v_cmp_ne_u32_e32 vcc_lo, 0x7f00000, v4
	v_cndmask_b32_e32 v3, 0x7e, v3, vcc_lo
; %bb.955:
	s_and_not1_saveexec_b32 s14, s14
; %bb.956:
	v_add_f32_e64 v3, 0x46800000, |v2|
; %bb.957:
	s_or_b32 exec_lo, exec_lo, s14
                                        ; implicit-def: $vgpr4
.LBB88_958:
	s_and_not1_saveexec_b32 s13, s13
; %bb.959:
	v_mov_b32_e32 v3, 0x7f
	v_cmp_lt_u32_e32 vcc_lo, 0x7f800000, v4
	s_delay_alu instid0(VALU_DEP_2)
	v_cndmask_b32_e32 v3, 0x7e, v3, vcc_lo
; %bb.960:
	s_or_b32 exec_lo, exec_lo, s13
	v_lshrrev_b32_e32 v4, 24, v2
	s_delay_alu instid0(VALU_DEP_1)
	v_and_or_b32 v3, 0x80, v4, v3
	global_store_b8 v[0:1], v3, off
.LBB88_961:
	s_mov_b32 s13, 0
.LBB88_962:
	s_delay_alu instid0(SALU_CYCLE_1)
	s_and_not1_b32 vcc_lo, exec_lo, s13
	s_cbranch_vccnz .LBB88_972
; %bb.963:
	v_and_b32_e32 v4, 0x7fffffff, v2
	s_mov_b32 s13, exec_lo
                                        ; implicit-def: $vgpr3
	s_delay_alu instid0(VALU_DEP_1)
	v_cmpx_gt_u32_e32 0x47800000, v4
	s_xor_b32 s13, exec_lo, s13
	s_cbranch_execz .LBB88_969
; %bb.964:
	s_mov_b32 s14, exec_lo
                                        ; implicit-def: $vgpr3
	v_cmpx_lt_u32_e32 0x387fffff, v4
	s_xor_b32 s14, exec_lo, s14
; %bb.965:
	v_bfe_u32 v3, v2, 21, 1
	s_delay_alu instid0(VALU_DEP_1) | instskip(NEXT) | instid1(VALU_DEP_1)
	v_add3_u32 v3, v2, v3, 0x80fffff
	v_lshrrev_b32_e32 v3, 21, v3
; %bb.966:
	s_and_not1_saveexec_b32 s14, s14
; %bb.967:
	v_add_f32_e64 v3, 0x43000000, |v2|
; %bb.968:
	s_or_b32 exec_lo, exec_lo, s14
                                        ; implicit-def: $vgpr4
.LBB88_969:
	s_and_not1_saveexec_b32 s13, s13
; %bb.970:
	v_mov_b32_e32 v3, 0x7f
	v_cmp_lt_u32_e32 vcc_lo, 0x7f800000, v4
	s_delay_alu instid0(VALU_DEP_2)
	v_cndmask_b32_e32 v3, 0x7c, v3, vcc_lo
; %bb.971:
	s_or_b32 exec_lo, exec_lo, s13
	v_lshrrev_b32_e32 v4, 24, v2
	s_delay_alu instid0(VALU_DEP_1)
	v_and_or_b32 v3, 0x80, v4, v3
	global_store_b8 v[0:1], v3, off
.LBB88_972:
	s_mov_b32 s13, 0
.LBB88_973:
	s_delay_alu instid0(SALU_CYCLE_1)
	s_and_not1_b32 vcc_lo, exec_lo, s13
	s_mov_b32 s13, 0
	s_cbranch_vccnz .LBB88_981
; %bb.974:
	v_cmp_lt_i16_e32 vcc_lo, 14, v6
	s_mov_b32 s13, -1
	s_cbranch_vccz .LBB88_978
; %bb.975:
	v_cmp_eq_u16_e32 vcc_lo, 15, v6
	s_mov_b32 s0, -1
	s_cbranch_vccz .LBB88_977
; %bb.976:
	v_bfe_u32 v3, v2, 16, 1
	v_cmp_o_f32_e32 vcc_lo, v2, v2
	s_mov_b32 s0, 0
	s_delay_alu instid0(VALU_DEP_2) | instskip(NEXT) | instid1(VALU_DEP_1)
	v_add3_u32 v3, v2, v3, 0x7fff
	v_lshrrev_b32_e32 v3, 16, v3
	s_delay_alu instid0(VALU_DEP_1)
	v_cndmask_b32_e32 v3, 0x7fc0, v3, vcc_lo
	global_store_b16 v[0:1], v3, off
.LBB88_977:
	s_mov_b32 s13, 0
.LBB88_978:
	s_delay_alu instid0(SALU_CYCLE_1)
	s_and_b32 vcc_lo, exec_lo, s13
	s_mov_b32 s13, 0
	s_cbranch_vccz .LBB88_981
; %bb.979:
	v_cmp_ne_u16_e32 vcc_lo, 11, v6
	s_and_not1_b32 s0, s0, exec_lo
	s_mov_b32 s13, -1
	s_and_b32 s14, vcc_lo, exec_lo
	s_delay_alu instid0(SALU_CYCLE_1)
	s_or_b32 s0, s0, s14
	s_branch .LBB88_981
.LBB88_980:
	s_mov_b32 s13, 0
.LBB88_981:
	s_and_not1_b32 s9, s9, exec_lo
	s_and_b32 s0, s0, exec_lo
	s_and_b32 s12, s12, exec_lo
	;; [unrolled: 1-line block ×3, first 2 shown]
	s_or_b32 s9, s9, s0
.LBB88_982:
	s_or_b32 exec_lo, exec_lo, s11
	s_and_saveexec_b32 s0, s9
	s_cbranch_execnz .LBB88_1044
; %bb.983:
	s_or_b32 exec_lo, exec_lo, s0
	s_and_saveexec_b32 s0, s13
	s_delay_alu instid0(SALU_CYCLE_1)
	s_xor_b32 s0, exec_lo, s0
	s_cbranch_execz .LBB88_985
.LBB88_984:
	s_waitcnt vmcnt(0)
	v_cmp_neq_f32_e32 vcc_lo, 0, v2
	v_cndmask_b32_e64 v3, 0, 1, vcc_lo
	global_store_b8 v[0:1], v3, off
.LBB88_985:
	s_or_b32 exec_lo, exec_lo, s0
	s_and_saveexec_b32 s0, s12
	s_delay_alu instid0(SALU_CYCLE_1)
	s_xor_b32 s0, exec_lo, s0
	s_cbranch_execz .LBB88_1023
; %bb.986:
	v_cmp_gt_i16_e32 vcc_lo, 5, v6
	s_mov_b32 s9, -1
	s_cbranch_vccnz .LBB88_1007
; %bb.987:
	v_cmp_gt_i16_e32 vcc_lo, 8, v6
	s_cbranch_vccnz .LBB88_997
; %bb.988:
	v_cmp_gt_i16_e32 vcc_lo, 9, v6
	s_cbranch_vccnz .LBB88_994
; %bb.989:
	v_cmp_lt_i16_e32 vcc_lo, 9, v6
	s_cbranch_vccz .LBB88_991
; %bb.990:
	s_waitcnt vmcnt(0)
	v_cvt_f64_f32_e32 v[7:8], v2
	v_mov_b32_e32 v9, 0
	s_mov_b32 s9, 0
	s_delay_alu instid0(VALU_DEP_1)
	v_mov_b32_e32 v10, v9
	global_store_b128 v[0:1], v[7:10], off
.LBB88_991:
	s_and_not1_b32 vcc_lo, exec_lo, s9
	s_cbranch_vccnz .LBB88_993
; %bb.992:
	s_waitcnt vmcnt(0)
	v_mov_b32_e32 v3, 0
	global_store_b64 v[0:1], v[2:3], off
.LBB88_993:
	s_mov_b32 s9, 0
.LBB88_994:
	s_delay_alu instid0(SALU_CYCLE_1)
	s_and_not1_b32 vcc_lo, exec_lo, s9
	s_cbranch_vccnz .LBB88_996
; %bb.995:
	s_waitcnt vmcnt(0)
	v_cvt_f16_f32_e32 v3, v2
	s_delay_alu instid0(VALU_DEP_1)
	v_and_b32_e32 v3, 0xffff, v3
	global_store_b32 v[0:1], v3, off
.LBB88_996:
	s_mov_b32 s9, 0
.LBB88_997:
	s_delay_alu instid0(SALU_CYCLE_1)
	s_and_not1_b32 vcc_lo, exec_lo, s9
	s_cbranch_vccnz .LBB88_1006
; %bb.998:
	v_cmp_gt_i16_e32 vcc_lo, 6, v6
	s_mov_b32 s9, -1
	s_cbranch_vccnz .LBB88_1004
; %bb.999:
	v_cmp_lt_i16_e32 vcc_lo, 6, v6
	s_cbranch_vccz .LBB88_1001
; %bb.1000:
	s_waitcnt vmcnt(0)
	v_cvt_f64_f32_e32 v[3:4], v2
	s_mov_b32 s9, 0
	global_store_b64 v[0:1], v[3:4], off
.LBB88_1001:
	s_and_not1_b32 vcc_lo, exec_lo, s9
	s_cbranch_vccnz .LBB88_1003
; %bb.1002:
	s_waitcnt vmcnt(0)
	global_store_b32 v[0:1], v2, off
.LBB88_1003:
	s_mov_b32 s9, 0
.LBB88_1004:
	s_delay_alu instid0(SALU_CYCLE_1)
	s_and_not1_b32 vcc_lo, exec_lo, s9
	s_cbranch_vccnz .LBB88_1006
; %bb.1005:
	s_waitcnt vmcnt(0)
	v_cvt_f16_f32_e32 v3, v2
	global_store_b16 v[0:1], v3, off
.LBB88_1006:
	s_mov_b32 s9, 0
.LBB88_1007:
	s_delay_alu instid0(SALU_CYCLE_1)
	s_and_not1_b32 vcc_lo, exec_lo, s9
	s_cbranch_vccnz .LBB88_1023
; %bb.1008:
	v_cmp_gt_i16_e32 vcc_lo, 2, v6
	s_mov_b32 s9, -1
	s_cbranch_vccnz .LBB88_1018
; %bb.1009:
	v_cmp_gt_i16_e32 vcc_lo, 3, v6
	s_cbranch_vccnz .LBB88_1015
; %bb.1010:
	v_cmp_lt_i16_e32 vcc_lo, 3, v6
	s_cbranch_vccz .LBB88_1012
; %bb.1011:
	s_waitcnt vmcnt(0)
	v_trunc_f32_e32 v3, v2
	s_mov_b32 s9, 0
	s_delay_alu instid0(VALU_DEP_1) | instskip(SKIP_1) | instid1(VALU_DEP_2)
	v_mul_f32_e64 v4, 0x2f800000, |v3|
	v_ashrrev_i32_e32 v7, 31, v3
	v_floor_f32_e32 v4, v4
	s_delay_alu instid0(VALU_DEP_1) | instskip(SKIP_1) | instid1(VALU_DEP_2)
	v_fma_f32 v5, 0xcf800000, v4, |v3|
	v_cvt_u32_f32_e32 v4, v4
	v_cvt_u32_f32_e32 v3, v5
	s_delay_alu instid0(VALU_DEP_2) | instskip(NEXT) | instid1(VALU_DEP_2)
	v_xor_b32_e32 v4, v4, v7
	v_xor_b32_e32 v3, v3, v7
	s_delay_alu instid0(VALU_DEP_1) | instskip(NEXT) | instid1(VALU_DEP_3)
	v_sub_co_u32 v3, vcc_lo, v3, v7
	v_sub_co_ci_u32_e32 v4, vcc_lo, v4, v7, vcc_lo
	global_store_b64 v[0:1], v[3:4], off
.LBB88_1012:
	s_and_not1_b32 vcc_lo, exec_lo, s9
	s_cbranch_vccnz .LBB88_1014
; %bb.1013:
	s_waitcnt vmcnt(0)
	v_cvt_i32_f32_e32 v3, v2
	global_store_b32 v[0:1], v3, off
.LBB88_1014:
	s_mov_b32 s9, 0
.LBB88_1015:
	s_delay_alu instid0(SALU_CYCLE_1)
	s_and_not1_b32 vcc_lo, exec_lo, s9
	s_cbranch_vccnz .LBB88_1017
; %bb.1016:
	s_waitcnt vmcnt(0)
	v_cvt_i32_f32_e32 v3, v2
	global_store_b16 v[0:1], v3, off
.LBB88_1017:
	s_mov_b32 s9, 0
.LBB88_1018:
	s_delay_alu instid0(SALU_CYCLE_1)
	s_and_not1_b32 vcc_lo, exec_lo, s9
	s_cbranch_vccnz .LBB88_1023
; %bb.1019:
	v_cmp_lt_i16_e32 vcc_lo, 0, v6
	s_mov_b32 s9, -1
	s_cbranch_vccz .LBB88_1021
; %bb.1020:
	s_waitcnt vmcnt(0)
	v_cvt_i32_f32_e32 v3, v2
	s_mov_b32 s9, 0
	global_store_b8 v[0:1], v3, off
.LBB88_1021:
	s_and_not1_b32 vcc_lo, exec_lo, s9
	s_cbranch_vccnz .LBB88_1023
; %bb.1022:
	s_waitcnt vmcnt(0)
	v_trunc_f32_e32 v2, v2
	s_delay_alu instid0(VALU_DEP_1) | instskip(NEXT) | instid1(VALU_DEP_1)
	v_mul_f32_e64 v3, 0x2f800000, |v2|
	v_floor_f32_e32 v3, v3
	s_delay_alu instid0(VALU_DEP_1) | instskip(SKIP_1) | instid1(VALU_DEP_2)
	v_fma_f32 v3, 0xcf800000, v3, |v2|
	v_ashrrev_i32_e32 v2, 31, v2
	v_cvt_u32_f32_e32 v3, v3
	s_delay_alu instid0(VALU_DEP_1) | instskip(NEXT) | instid1(VALU_DEP_1)
	v_xor_b32_e32 v3, v3, v2
	v_sub_nc_u32_e32 v2, v3, v2
	global_store_b8 v[0:1], v2, off
.LBB88_1023:
	s_or_b32 exec_lo, exec_lo, s0
	s_delay_alu instid0(SALU_CYCLE_1)
	s_and_b32 s9, s10, exec_lo
                                        ; implicit-def: $vgpr5
                                        ; implicit-def: $vgpr6
                                        ; implicit-def: $vgpr4
.LBB88_1024:
	s_or_saveexec_b32 s8, s8
	s_mov_b32 s0, 0
                                        ; implicit-def: $vgpr7
                                        ; implicit-def: $vgpr0_vgpr1
                                        ; implicit-def: $vgpr2
	s_xor_b32 exec_lo, exec_lo, s8
	s_cbranch_execz .LBB88_1988
; %bb.1025:
	s_waitcnt vmcnt(0)
	v_mul_lo_u32 v3, s3, v5
	v_cmp_gt_i16_e32 vcc_lo, 11, v6
	s_delay_alu instid0(VALU_DEP_2) | instskip(SKIP_1) | instid1(VALU_DEP_1)
	v_ashrrev_i32_e32 v1, 31, v3
	v_add_co_u32 v0, s0, s6, v3
	v_add_co_ci_u32_e64 v1, s0, s7, v1, s0
	s_cbranch_vccnz .LBB88_1032
; %bb.1026:
	v_cmp_lt_i16_e32 vcc_lo, 25, v6
	s_mov_b32 s10, 0
	s_cbranch_vccz .LBB88_1038
; %bb.1027:
	v_cmp_lt_i16_e32 vcc_lo, 28, v6
	s_cbranch_vccz .LBB88_1040
; %bb.1028:
	v_cmp_lt_i16_e32 vcc_lo, 43, v6
	;; [unrolled: 3-line block ×3, first 2 shown]
	s_cbranch_vccz .LBB88_1046
; %bb.1030:
	v_cmp_eq_u16_e32 vcc_lo, 46, v6
	s_cbranch_vccz .LBB88_1088
; %bb.1031:
	global_load_b32 v2, v[0:1], off
	s_mov_b32 s0, 0
	s_mov_b32 s11, -1
	s_waitcnt vmcnt(0)
	v_lshlrev_b32_e32 v2, 16, v2
	s_branch .LBB88_1090
.LBB88_1032:
	s_mov_b32 s11, 0
	s_mov_b32 s1, s9
                                        ; implicit-def: $vgpr2
	s_cbranch_execz .LBB88_1153
; %bb.1033:
	v_cmp_gt_i16_e32 vcc_lo, 5, v6
	s_cbranch_vccnz .LBB88_1039
; %bb.1034:
	v_cmp_gt_i16_e32 vcc_lo, 8, v6
	s_cbranch_vccnz .LBB88_1041
	;; [unrolled: 3-line block ×3, first 2 shown]
; %bb.1036:
	v_cmp_lt_i16_e32 vcc_lo, 9, v6
	s_cbranch_vccz .LBB88_1047
; %bb.1037:
	global_load_b64 v[7:8], v[0:1], off
	s_mov_b32 s0, 0
	s_waitcnt vmcnt(0)
	v_cvt_f32_f64_e32 v2, v[7:8]
	s_branch .LBB88_1048
.LBB88_1038:
	s_mov_b32 s11, 0
	s_mov_b32 s0, 0
                                        ; implicit-def: $vgpr2
	s_cbranch_execnz .LBB88_1118
	s_branch .LBB88_1149
.LBB88_1039:
                                        ; implicit-def: $vgpr2
	s_branch .LBB88_1065
.LBB88_1040:
	s_mov_b32 s1, -1
	s_mov_b32 s11, 0
	s_mov_b32 s0, 0
                                        ; implicit-def: $vgpr2
	s_branch .LBB88_1099
.LBB88_1041:
                                        ; implicit-def: $vgpr2
	s_branch .LBB88_1054
.LBB88_1042:
	s_mov_b32 s11, 0
	s_mov_b32 s0, 0
                                        ; implicit-def: $vgpr2
	s_cbranch_execnz .LBB88_1095
	s_branch .LBB88_1098
.LBB88_1043:
	s_mov_b32 s0, -1
                                        ; implicit-def: $vgpr2
	s_branch .LBB88_1051
.LBB88_1044:
	s_cbranch_execnz .LBB88_1086
; %bb.1045:
	s_or_b32 s10, s10, exec_lo
	s_and_not1_b32 s13, s13, exec_lo
	s_or_b32 exec_lo, exec_lo, s0
	s_and_saveexec_b32 s0, s13
	s_delay_alu instid0(SALU_CYCLE_1)
	s_xor_b32 s0, exec_lo, s0
	s_cbranch_execnz .LBB88_984
	s_branch .LBB88_985
.LBB88_1046:
	s_mov_b32 s1, -1
	s_mov_b32 s11, 0
	s_mov_b32 s0, 0
	s_branch .LBB88_1089
.LBB88_1047:
	s_mov_b32 s0, -1
                                        ; implicit-def: $vgpr2
.LBB88_1048:
	s_delay_alu instid0(SALU_CYCLE_1)
	s_and_not1_b32 vcc_lo, exec_lo, s0
	s_cbranch_vccnz .LBB88_1050
; %bb.1049:
	global_load_b32 v2, v[0:1], off
.LBB88_1050:
	s_mov_b32 s0, 0
.LBB88_1051:
	s_delay_alu instid0(SALU_CYCLE_1)
	s_and_not1_b32 vcc_lo, exec_lo, s0
	s_cbranch_vccnz .LBB88_1053
; %bb.1052:
	global_load_b32 v2, v[0:1], off
	s_waitcnt vmcnt(0)
	v_cvt_f32_f16_e32 v2, v2
.LBB88_1053:
	s_cbranch_execnz .LBB88_1064
.LBB88_1054:
	v_cmp_gt_i16_e32 vcc_lo, 6, v6
	s_cbranch_vccnz .LBB88_1057
; %bb.1055:
	v_cmp_lt_i16_e32 vcc_lo, 6, v6
	s_cbranch_vccz .LBB88_1058
; %bb.1056:
	global_load_b64 v[7:8], v[0:1], off
	s_mov_b32 s0, 0
	s_waitcnt vmcnt(0)
	v_cvt_f32_f64_e32 v2, v[7:8]
	s_branch .LBB88_1059
.LBB88_1057:
	s_mov_b32 s0, -1
                                        ; implicit-def: $vgpr2
	s_branch .LBB88_1062
.LBB88_1058:
	s_mov_b32 s0, -1
                                        ; implicit-def: $vgpr2
.LBB88_1059:
	s_delay_alu instid0(SALU_CYCLE_1)
	s_and_not1_b32 vcc_lo, exec_lo, s0
	s_cbranch_vccnz .LBB88_1061
; %bb.1060:
	global_load_b32 v2, v[0:1], off
.LBB88_1061:
	s_mov_b32 s0, 0
.LBB88_1062:
	s_delay_alu instid0(SALU_CYCLE_1)
	s_and_not1_b32 vcc_lo, exec_lo, s0
	s_cbranch_vccnz .LBB88_1064
; %bb.1063:
	global_load_u16 v2, v[0:1], off
	s_waitcnt vmcnt(0)
	v_cvt_f32_f16_e32 v2, v2
.LBB88_1064:
	s_cbranch_execnz .LBB88_1083
.LBB88_1065:
	v_cmp_gt_i16_e32 vcc_lo, 2, v6
	s_cbranch_vccnz .LBB88_1069
; %bb.1066:
	v_cmp_gt_i16_e32 vcc_lo, 3, v6
	s_cbranch_vccnz .LBB88_1070
; %bb.1067:
	v_cmp_lt_i16_e32 vcc_lo, 3, v6
	s_cbranch_vccz .LBB88_1071
; %bb.1068:
	global_load_b64 v[7:8], v[0:1], off
	s_mov_b32 s0, 0
	s_waitcnt vmcnt(0)
	v_xor_b32_e32 v2, v7, v8
	v_cls_i32_e32 v9, v8
	s_delay_alu instid0(VALU_DEP_2) | instskip(NEXT) | instid1(VALU_DEP_2)
	v_ashrrev_i32_e32 v2, 31, v2
	v_add_nc_u32_e32 v9, -1, v9
	s_delay_alu instid0(VALU_DEP_2) | instskip(NEXT) | instid1(VALU_DEP_1)
	v_add_nc_u32_e32 v2, 32, v2
	v_min_u32_e32 v2, v9, v2
	s_delay_alu instid0(VALU_DEP_1) | instskip(SKIP_1) | instid1(VALU_DEP_2)
	v_lshlrev_b64 v[7:8], v2, v[7:8]
	v_sub_nc_u32_e32 v2, 32, v2
	v_min_u32_e32 v7, 1, v7
	s_delay_alu instid0(VALU_DEP_1) | instskip(NEXT) | instid1(VALU_DEP_1)
	v_or_b32_e32 v7, v8, v7
	v_cvt_f32_i32_e32 v7, v7
	s_delay_alu instid0(VALU_DEP_1)
	v_ldexp_f32 v2, v7, v2
	s_branch .LBB88_1072
.LBB88_1069:
                                        ; implicit-def: $vgpr2
	s_branch .LBB88_1078
.LBB88_1070:
	s_mov_b32 s0, -1
                                        ; implicit-def: $vgpr2
	s_branch .LBB88_1075
.LBB88_1071:
	s_mov_b32 s0, -1
                                        ; implicit-def: $vgpr2
.LBB88_1072:
	s_delay_alu instid0(SALU_CYCLE_1)
	s_and_not1_b32 vcc_lo, exec_lo, s0
	s_cbranch_vccnz .LBB88_1074
; %bb.1073:
	global_load_b32 v2, v[0:1], off
	s_waitcnt vmcnt(0)
	v_cvt_f32_i32_e32 v2, v2
.LBB88_1074:
	s_mov_b32 s0, 0
.LBB88_1075:
	s_delay_alu instid0(SALU_CYCLE_1)
	s_and_not1_b32 vcc_lo, exec_lo, s0
	s_cbranch_vccnz .LBB88_1077
; %bb.1076:
	global_load_i16 v2, v[0:1], off
	s_waitcnt vmcnt(0)
	v_cvt_f32_i32_e32 v2, v2
.LBB88_1077:
	s_cbranch_execnz .LBB88_1083
.LBB88_1078:
	v_cmp_lt_i16_e32 vcc_lo, 0, v6
	s_mov_b32 s0, 0
	s_cbranch_vccz .LBB88_1080
; %bb.1079:
	global_load_i8 v2, v[0:1], off
	s_waitcnt vmcnt(0)
	v_cvt_f32_i32_e32 v2, v2
	s_branch .LBB88_1081
.LBB88_1080:
	s_mov_b32 s0, -1
                                        ; implicit-def: $vgpr2
.LBB88_1081:
	s_delay_alu instid0(SALU_CYCLE_1)
	s_and_not1_b32 vcc_lo, exec_lo, s0
	s_cbranch_vccnz .LBB88_1083
; %bb.1082:
	global_load_u8 v0, v[0:1], off
	s_waitcnt vmcnt(0)
	v_cvt_f32_ubyte0_e32 v2, v0
.LBB88_1083:
	s_branch .LBB88_1154
.LBB88_1084:
	s_trap 2
	s_sendmsg_rtn_b32 s0, sendmsg(MSG_RTN_GET_DOORBELL)
	s_mov_b32 ttmp2, m0
	s_waitcnt lgkmcnt(0)
	s_and_b32 s0, s0, 0x3ff
	s_delay_alu instid0(SALU_CYCLE_1) | instskip(NEXT) | instid1(SALU_CYCLE_1)
	s_bitset1_b32 s0, 10
	s_mov_b32 m0, s0
	s_sendmsg sendmsg(MSG_INTERRUPT)
	s_mov_b32 m0, ttmp2
.LBB88_1085:                            ; =>This Inner Loop Header: Depth=1
	s_sethalt 5
	s_branch .LBB88_1085
.LBB88_1086:
	s_trap 2
	s_sendmsg_rtn_b32 s0, sendmsg(MSG_RTN_GET_DOORBELL)
	s_mov_b32 ttmp2, m0
	s_waitcnt lgkmcnt(0)
	s_and_b32 s0, s0, 0x3ff
	s_delay_alu instid0(SALU_CYCLE_1) | instskip(NEXT) | instid1(SALU_CYCLE_1)
	s_bitset1_b32 s0, 10
	s_mov_b32 m0, s0
	s_sendmsg sendmsg(MSG_INTERRUPT)
	s_mov_b32 m0, ttmp2
.LBB88_1087:                            ; =>This Inner Loop Header: Depth=1
	s_sethalt 5
	s_branch .LBB88_1087
.LBB88_1088:
	s_mov_b32 s0, -1
	s_mov_b32 s11, 0
.LBB88_1089:
                                        ; implicit-def: $vgpr2
.LBB88_1090:
	s_and_b32 vcc_lo, exec_lo, s1
	s_cbranch_vccz .LBB88_1093
; %bb.1091:
	v_cmp_eq_u16_e32 vcc_lo, 44, v6
	s_cbranch_vccz .LBB88_1094
; %bb.1092:
	global_load_u8 v2, v[0:1], off
	s_mov_b32 s0, 0
	s_mov_b32 s11, -1
	s_waitcnt vmcnt(0)
	v_lshlrev_b32_e32 v7, 23, v2
	v_cmp_ne_u32_e32 vcc_lo, 0xff, v2
	s_delay_alu instid0(VALU_DEP_2) | instskip(SKIP_1) | instid1(VALU_DEP_2)
	v_cndmask_b32_e32 v7, 0x7f800001, v7, vcc_lo
	v_cmp_ne_u32_e32 vcc_lo, 0, v2
	v_cndmask_b32_e32 v2, 0x400000, v7, vcc_lo
.LBB88_1093:
	s_branch .LBB88_1098
.LBB88_1094:
	s_mov_b32 s0, -1
                                        ; implicit-def: $vgpr2
	s_branch .LBB88_1098
.LBB88_1095:
	v_cmp_eq_u16_e32 vcc_lo, 29, v6
	s_cbranch_vccz .LBB88_1097
; %bb.1096:
	global_load_b64 v[7:8], v[0:1], off
	s_mov_b32 s0, 0
	s_mov_b32 s11, -1
	s_mov_b32 s1, 0
	s_waitcnt vmcnt(0)
	v_clz_i32_u32_e32 v2, v8
	s_delay_alu instid0(VALU_DEP_1) | instskip(NEXT) | instid1(VALU_DEP_1)
	v_min_u32_e32 v2, 32, v2
	v_lshlrev_b64 v[7:8], v2, v[7:8]
	v_sub_nc_u32_e32 v2, 32, v2
	s_delay_alu instid0(VALU_DEP_2) | instskip(NEXT) | instid1(VALU_DEP_1)
	v_min_u32_e32 v7, 1, v7
	v_or_b32_e32 v7, v8, v7
	s_delay_alu instid0(VALU_DEP_1) | instskip(NEXT) | instid1(VALU_DEP_1)
	v_cvt_f32_u32_e32 v7, v7
	v_ldexp_f32 v2, v7, v2
	s_branch .LBB88_1099
.LBB88_1097:
	s_mov_b32 s0, -1
                                        ; implicit-def: $vgpr2
.LBB88_1098:
	s_mov_b32 s1, 0
.LBB88_1099:
	s_delay_alu instid0(SALU_CYCLE_1)
	s_and_b32 vcc_lo, exec_lo, s1
	s_cbranch_vccz .LBB88_1117
; %bb.1100:
	v_cmp_gt_i16_e32 vcc_lo, 27, v6
	s_cbranch_vccnz .LBB88_1103
; %bb.1101:
	v_cmp_lt_i16_e32 vcc_lo, 27, v6
	s_cbranch_vccz .LBB88_1104
; %bb.1102:
	global_load_b32 v2, v[0:1], off
	s_mov_b32 s1, 0
	s_waitcnt vmcnt(0)
	v_cvt_f32_u32_e32 v2, v2
	s_branch .LBB88_1105
.LBB88_1103:
	s_mov_b32 s1, -1
                                        ; implicit-def: $vgpr2
	s_branch .LBB88_1108
.LBB88_1104:
	s_mov_b32 s1, -1
                                        ; implicit-def: $vgpr2
.LBB88_1105:
	s_delay_alu instid0(SALU_CYCLE_1)
	s_and_not1_b32 vcc_lo, exec_lo, s1
	s_cbranch_vccnz .LBB88_1107
; %bb.1106:
	global_load_u16 v2, v[0:1], off
	s_waitcnt vmcnt(0)
	v_cvt_f32_u32_e32 v2, v2
.LBB88_1107:
	s_mov_b32 s1, 0
.LBB88_1108:
	s_delay_alu instid0(SALU_CYCLE_1)
	s_and_not1_b32 vcc_lo, exec_lo, s1
	s_cbranch_vccnz .LBB88_1116
; %bb.1109:
	global_load_u8 v7, v[0:1], off
	s_mov_b32 s1, 0
	s_mov_b32 s12, exec_lo
                                        ; implicit-def: $sgpr11
	s_waitcnt vmcnt(0)
	v_cmpx_lt_i16_e32 0x7f, v7
	s_xor_b32 s12, exec_lo, s12
	s_cbranch_execz .LBB88_1129
; %bb.1110:
	s_mov_b32 s1, -1
	s_mov_b32 s13, exec_lo
                                        ; implicit-def: $sgpr11
	v_cmpx_eq_u16_e32 0x80, v7
; %bb.1111:
	s_mov_b32 s11, 0x7f800001
	s_xor_b32 s1, exec_lo, -1
; %bb.1112:
	s_or_b32 exec_lo, exec_lo, s13
	s_delay_alu instid0(SALU_CYCLE_1)
	s_and_b32 s1, s1, exec_lo
	s_or_saveexec_b32 s12, s12
	v_mov_b32_e32 v2, s11
	s_xor_b32 exec_lo, exec_lo, s12
	s_cbranch_execnz .LBB88_1130
.LBB88_1113:
	s_or_b32 exec_lo, exec_lo, s12
	s_and_saveexec_b32 s11, s1
	s_cbranch_execz .LBB88_1115
.LBB88_1114:
	v_and_b32_e32 v2, 0xffff, v7
	s_delay_alu instid0(VALU_DEP_1) | instskip(NEXT) | instid1(VALU_DEP_1)
	v_and_b32_e32 v8, 7, v2
	v_clz_i32_u32_e32 v9, v8
	s_delay_alu instid0(VALU_DEP_1) | instskip(NEXT) | instid1(VALU_DEP_1)
	v_min_u32_e32 v9, 32, v9
	v_subrev_nc_u32_e32 v10, 28, v9
	v_sub_nc_u32_e32 v9, 29, v9
	s_delay_alu instid0(VALU_DEP_2) | instskip(SKIP_1) | instid1(VALU_DEP_2)
	v_lshlrev_b32_e32 v10, v10, v2
	v_bfe_u32 v2, v2, 3, 4
	v_and_b32_e32 v10, 7, v10
	s_delay_alu instid0(VALU_DEP_2) | instskip(SKIP_1) | instid1(VALU_DEP_1)
	v_cmp_eq_u32_e32 vcc_lo, 0, v2
	v_dual_cndmask_b32 v2, v2, v9 :: v_dual_lshlrev_b32 v7, 24, v7
	v_dual_cndmask_b32 v8, v8, v10 :: v_dual_and_b32 v7, 0x80000000, v7
	s_delay_alu instid0(VALU_DEP_2) | instskip(NEXT) | instid1(VALU_DEP_2)
	v_lshl_add_u32 v2, v2, 23, 0x3b800000
	v_lshlrev_b32_e32 v8, 20, v8
	s_delay_alu instid0(VALU_DEP_1)
	v_or3_b32 v2, v7, v2, v8
.LBB88_1115:
	s_or_b32 exec_lo, exec_lo, s11
.LBB88_1116:
	s_mov_b32 s11, -1
.LBB88_1117:
	s_branch .LBB88_1149
.LBB88_1118:
	v_cmp_lt_i16_e32 vcc_lo, 22, v6
	s_cbranch_vccz .LBB88_1128
; %bb.1119:
	v_cmp_gt_i16_e32 vcc_lo, 24, v6
	s_cbranch_vccnz .LBB88_1131
; %bb.1120:
	v_cmp_lt_i16_e32 vcc_lo, 24, v6
	s_cbranch_vccz .LBB88_1132
; %bb.1121:
	global_load_u8 v7, v[0:1], off
	s_mov_b32 s1, 0
	s_mov_b32 s11, exec_lo
                                        ; implicit-def: $sgpr10
	s_waitcnt vmcnt(0)
	v_cmpx_lt_i16_e32 0x7f, v7
	s_xor_b32 s11, exec_lo, s11
	s_cbranch_execz .LBB88_1143
; %bb.1122:
	s_mov_b32 s1, -1
	s_mov_b32 s12, exec_lo
                                        ; implicit-def: $sgpr10
	v_cmpx_eq_u16_e32 0x80, v7
; %bb.1123:
	s_mov_b32 s10, 0x7f800001
	s_xor_b32 s1, exec_lo, -1
; %bb.1124:
	s_or_b32 exec_lo, exec_lo, s12
	s_delay_alu instid0(SALU_CYCLE_1)
	s_and_b32 s1, s1, exec_lo
	s_or_saveexec_b32 s11, s11
	v_mov_b32_e32 v2, s10
	s_xor_b32 exec_lo, exec_lo, s11
	s_cbranch_execnz .LBB88_1144
.LBB88_1125:
	s_or_b32 exec_lo, exec_lo, s11
	s_and_saveexec_b32 s10, s1
	s_cbranch_execz .LBB88_1127
.LBB88_1126:
	v_and_b32_e32 v2, 0xffff, v7
	s_delay_alu instid0(VALU_DEP_1) | instskip(NEXT) | instid1(VALU_DEP_1)
	v_and_b32_e32 v8, 3, v2
	v_clz_i32_u32_e32 v9, v8
	s_delay_alu instid0(VALU_DEP_1) | instskip(NEXT) | instid1(VALU_DEP_1)
	v_min_u32_e32 v9, 32, v9
	v_subrev_nc_u32_e32 v10, 29, v9
	v_sub_nc_u32_e32 v9, 30, v9
	s_delay_alu instid0(VALU_DEP_2) | instskip(SKIP_1) | instid1(VALU_DEP_2)
	v_lshlrev_b32_e32 v10, v10, v2
	v_bfe_u32 v2, v2, 2, 5
	v_and_b32_e32 v10, 3, v10
	s_delay_alu instid0(VALU_DEP_2) | instskip(SKIP_1) | instid1(VALU_DEP_1)
	v_cmp_eq_u32_e32 vcc_lo, 0, v2
	v_dual_cndmask_b32 v2, v2, v9 :: v_dual_lshlrev_b32 v7, 24, v7
	v_dual_cndmask_b32 v8, v8, v10 :: v_dual_and_b32 v7, 0x80000000, v7
	s_delay_alu instid0(VALU_DEP_2) | instskip(NEXT) | instid1(VALU_DEP_2)
	v_lshl_add_u32 v2, v2, 23, 0x37800000
	v_lshlrev_b32_e32 v8, 21, v8
	s_delay_alu instid0(VALU_DEP_1)
	v_or3_b32 v2, v7, v2, v8
.LBB88_1127:
	s_or_b32 exec_lo, exec_lo, s10
	s_mov_b32 s1, 0
	s_branch .LBB88_1133
.LBB88_1128:
                                        ; implicit-def: $vgpr2
	s_mov_b32 s10, 0
	s_branch .LBB88_1139
.LBB88_1129:
	s_or_saveexec_b32 s12, s12
	v_mov_b32_e32 v2, s11
	s_xor_b32 exec_lo, exec_lo, s12
	s_cbranch_execz .LBB88_1113
.LBB88_1130:
	v_cmp_ne_u16_e32 vcc_lo, 0, v7
	v_mov_b32_e32 v2, 0
	s_and_not1_b32 s1, s1, exec_lo
	s_and_b32 s11, vcc_lo, exec_lo
	s_delay_alu instid0(SALU_CYCLE_1)
	s_or_b32 s1, s1, s11
	s_or_b32 exec_lo, exec_lo, s12
	s_and_saveexec_b32 s11, s1
	s_cbranch_execnz .LBB88_1114
	s_branch .LBB88_1115
.LBB88_1131:
	s_mov_b32 s1, -1
                                        ; implicit-def: $vgpr2
	s_branch .LBB88_1136
.LBB88_1132:
	s_mov_b32 s1, -1
                                        ; implicit-def: $vgpr2
.LBB88_1133:
	s_delay_alu instid0(SALU_CYCLE_1)
	s_and_b32 vcc_lo, exec_lo, s1
	s_cbranch_vccz .LBB88_1135
; %bb.1134:
	global_load_u8 v2, v[0:1], off
	s_waitcnt vmcnt(0)
	v_lshlrev_b32_e32 v2, 24, v2
	s_delay_alu instid0(VALU_DEP_1) | instskip(NEXT) | instid1(VALU_DEP_1)
	v_and_b32_e32 v7, 0x7f000000, v2
	v_clz_i32_u32_e32 v8, v7
	v_add_nc_u32_e32 v10, 0x1000000, v7
	v_cmp_ne_u32_e32 vcc_lo, 0, v7
	s_delay_alu instid0(VALU_DEP_3) | instskip(NEXT) | instid1(VALU_DEP_1)
	v_min_u32_e32 v8, 32, v8
	v_sub_nc_u32_e64 v8, v8, 4 clamp
	s_delay_alu instid0(VALU_DEP_1) | instskip(SKIP_1) | instid1(VALU_DEP_2)
	v_lshlrev_b32_e32 v9, v8, v7
	v_lshlrev_b32_e32 v8, 23, v8
	v_lshrrev_b32_e32 v9, 4, v9
	s_delay_alu instid0(VALU_DEP_1) | instskip(SKIP_1) | instid1(VALU_DEP_2)
	v_sub_nc_u32_e32 v8, v9, v8
	v_ashrrev_i32_e32 v9, 8, v10
	v_add_nc_u32_e32 v8, 0x3c000000, v8
	s_delay_alu instid0(VALU_DEP_1) | instskip(NEXT) | instid1(VALU_DEP_1)
	v_and_or_b32 v8, 0x7f800000, v9, v8
	v_cndmask_b32_e32 v7, 0, v8, vcc_lo
	s_delay_alu instid0(VALU_DEP_1)
	v_and_or_b32 v2, 0x80000000, v2, v7
.LBB88_1135:
	s_mov_b32 s1, 0
.LBB88_1136:
	s_delay_alu instid0(SALU_CYCLE_1)
	s_and_not1_b32 vcc_lo, exec_lo, s1
	s_cbranch_vccnz .LBB88_1138
; %bb.1137:
	global_load_u8 v2, v[0:1], off
	s_waitcnt vmcnt(0)
	v_lshlrev_b32_e32 v7, 25, v2
	v_lshlrev_b16 v2, 8, v2
	s_delay_alu instid0(VALU_DEP_2) | instskip(NEXT) | instid1(VALU_DEP_2)
	v_lshrrev_b32_e32 v8, 4, v7
	v_and_or_b32 v9, 0x7f00, v2, 0.5
	v_bfe_i32 v2, v2, 0, 16
	s_delay_alu instid0(VALU_DEP_3) | instskip(NEXT) | instid1(VALU_DEP_1)
	v_or_b32_e32 v8, 0x70000000, v8
	v_dual_add_f32 v9, -0.5, v9 :: v_dual_mul_f32 v8, 0x7800000, v8
	v_cmp_gt_u32_e32 vcc_lo, 0x8000000, v7
	s_delay_alu instid0(VALU_DEP_2) | instskip(NEXT) | instid1(VALU_DEP_1)
	v_cndmask_b32_e32 v7, v8, v9, vcc_lo
	v_and_or_b32 v2, 0x80000000, v2, v7
.LBB88_1138:
	s_mov_b32 s11, -1
	s_mov_b32 s10, 0
	s_cbranch_execnz .LBB88_1149
.LBB88_1139:
	v_cmp_lt_i16_e32 vcc_lo, 14, v6
	s_cbranch_vccz .LBB88_1142
; %bb.1140:
	v_cmp_eq_u16_e32 vcc_lo, 15, v6
	s_cbranch_vccz .LBB88_1145
; %bb.1141:
	global_load_u16 v2, v[0:1], off
	s_mov_b32 s0, 0
	s_mov_b32 s11, -1
	s_waitcnt vmcnt(0)
	v_lshlrev_b32_e32 v2, 16, v2
	s_branch .LBB88_1146
.LBB88_1142:
	s_mov_b32 s1, -1
                                        ; implicit-def: $vgpr2
	s_branch .LBB88_1147
.LBB88_1143:
	s_or_saveexec_b32 s11, s11
	v_mov_b32_e32 v2, s10
	s_xor_b32 exec_lo, exec_lo, s11
	s_cbranch_execz .LBB88_1125
.LBB88_1144:
	v_cmp_ne_u16_e32 vcc_lo, 0, v7
	v_mov_b32_e32 v2, 0
	s_and_not1_b32 s1, s1, exec_lo
	s_and_b32 s10, vcc_lo, exec_lo
	s_delay_alu instid0(SALU_CYCLE_1)
	s_or_b32 s1, s1, s10
	s_or_b32 exec_lo, exec_lo, s11
	s_and_saveexec_b32 s10, s1
	s_cbranch_execnz .LBB88_1126
	s_branch .LBB88_1127
.LBB88_1145:
	s_mov_b32 s0, -1
                                        ; implicit-def: $vgpr2
.LBB88_1146:
	s_mov_b32 s1, 0
.LBB88_1147:
	s_delay_alu instid0(SALU_CYCLE_1)
	s_and_b32 vcc_lo, exec_lo, s1
	s_cbranch_vccz .LBB88_1149
; %bb.1148:
	v_cmp_ne_u16_e64 s0, 11, v6
	s_mov_b32 s10, -1
                                        ; implicit-def: $vgpr2
.LBB88_1149:
	s_delay_alu instid0(VALU_DEP_1)
	s_and_b32 vcc_lo, exec_lo, s0
	s_mov_b32 s1, s9
	s_cbranch_vccnz .LBB88_1173
; %bb.1150:
	s_and_not1_b32 vcc_lo, exec_lo, s10
	s_cbranch_vccnz .LBB88_1152
.LBB88_1151:
	global_load_u8 v2, v[0:1], off
	s_mov_b32 s11, -1
	s_waitcnt vmcnt(0)
	v_cmp_ne_u16_e32 vcc_lo, 0, v2
	v_cndmask_b32_e64 v2, 0, 1.0, vcc_lo
.LBB88_1152:
.LBB88_1153:
	s_and_not1_b32 vcc_lo, exec_lo, s11
	s_cbranch_vccnz .LBB88_1986
.LBB88_1154:
	s_lshl_b32 s3, s3, 7
	v_cmp_gt_i16_e32 vcc_lo, 11, v6
	v_add_nc_u32_e32 v3, s3, v3
	s_delay_alu instid0(VALU_DEP_1) | instskip(SKIP_1) | instid1(VALU_DEP_1)
	v_ashrrev_i32_e32 v1, 31, v3
	v_add_co_u32 v0, s0, s6, v3
	v_add_co_ci_u32_e64 v1, s0, s7, v1, s0
	s_cbranch_vccnz .LBB88_1161
; %bb.1155:
	v_cmp_lt_i16_e32 vcc_lo, 25, v6
	s_mov_b32 s10, 0
	s_cbranch_vccz .LBB88_1167
; %bb.1156:
	v_cmp_lt_i16_e32 vcc_lo, 28, v6
	s_cbranch_vccz .LBB88_1169
; %bb.1157:
	v_cmp_lt_i16_e32 vcc_lo, 43, v6
	;; [unrolled: 3-line block ×3, first 2 shown]
	s_cbranch_vccz .LBB88_1177
; %bb.1159:
	v_cmp_eq_u16_e32 vcc_lo, 46, v6
	s_mov_b32 s12, 0
	s_cbranch_vccz .LBB88_1221
; %bb.1160:
	global_load_b32 v7, v[0:1], off
	s_mov_b32 s0, 0
	s_mov_b32 s11, -1
	s_waitcnt vmcnt(0)
	v_lshlrev_b32_e32 v10, 16, v7
	s_branch .LBB88_1223
.LBB88_1161:
	s_mov_b32 s11, 0
                                        ; implicit-def: $vgpr10
	s_cbranch_execz .LBB88_1288
; %bb.1162:
	v_cmp_gt_i16_e32 vcc_lo, 5, v6
	s_cbranch_vccnz .LBB88_1168
; %bb.1163:
	v_cmp_gt_i16_e32 vcc_lo, 8, v6
	s_cbranch_vccnz .LBB88_1170
	;; [unrolled: 3-line block ×3, first 2 shown]
; %bb.1165:
	v_cmp_lt_i16_e32 vcc_lo, 9, v6
	s_cbranch_vccz .LBB88_1178
; %bb.1166:
	global_load_b64 v[7:8], v[0:1], off
	s_mov_b32 s0, 0
	s_waitcnt vmcnt(0)
	v_cvt_f32_f64_e32 v10, v[7:8]
	s_branch .LBB88_1179
.LBB88_1167:
	s_mov_b32 s11, 0
	s_mov_b32 s0, 0
                                        ; implicit-def: $vgpr10
	s_cbranch_execnz .LBB88_1252
	s_branch .LBB88_1284
.LBB88_1168:
                                        ; implicit-def: $vgpr10
	s_branch .LBB88_1197
.LBB88_1169:
	s_mov_b32 s12, -1
	s_mov_b32 s11, 0
	s_mov_b32 s0, 0
                                        ; implicit-def: $vgpr10
	s_branch .LBB88_1233
.LBB88_1170:
	s_mov_b32 s0, -1
                                        ; implicit-def: $vgpr10
	s_branch .LBB88_1185
.LBB88_1171:
	s_mov_b32 s12, -1
	s_mov_b32 s11, 0
	s_mov_b32 s0, 0
                                        ; implicit-def: $vgpr10
	s_branch .LBB88_1228
.LBB88_1172:
	s_mov_b32 s0, -1
                                        ; implicit-def: $vgpr10
	s_branch .LBB88_1182
.LBB88_1173:
	s_cbranch_execnz .LBB88_1217
; %bb.1174:
	s_or_b32 s1, s9, exec_lo
                                        ; implicit-def: $vgpr2
	s_cbranch_execz .LBB88_1151
	s_branch .LBB88_1152
.LBB88_1175:
	s_or_saveexec_b32 s14, s14
                                        ; implicit-def: $sgpr15
	s_delay_alu instid0(SALU_CYCLE_1)
	s_xor_b32 exec_lo, exec_lo, s14
	s_cbranch_execz .LBB88_935
.LBB88_1176:
	v_add_f32_e64 v3, 0x46000000, |v2|
	s_and_not1_b32 s13, s13, exec_lo
	s_mov_b32 s15, 0
	s_delay_alu instid0(VALU_DEP_1) | instskip(NEXT) | instid1(VALU_DEP_1)
	v_and_b32_e32 v3, 0xff, v3
	v_cmp_ne_u32_e32 vcc_lo, 0, v3
	s_and_b32 s16, vcc_lo, exec_lo
	s_delay_alu instid0(SALU_CYCLE_1)
	s_or_b32 s13, s13, s16
	s_or_b32 exec_lo, exec_lo, s14
	v_mov_b32_e32 v4, s15
	s_and_saveexec_b32 s14, s13
	s_cbranch_execnz .LBB88_936
	s_branch .LBB88_937
.LBB88_1177:
	s_mov_b32 s12, -1
	s_mov_b32 s11, 0
	s_mov_b32 s0, 0
	s_branch .LBB88_1222
.LBB88_1178:
	s_mov_b32 s0, -1
                                        ; implicit-def: $vgpr10
.LBB88_1179:
	s_delay_alu instid0(SALU_CYCLE_1)
	s_and_not1_b32 vcc_lo, exec_lo, s0
	s_cbranch_vccnz .LBB88_1181
; %bb.1180:
	global_load_b32 v10, v[0:1], off
.LBB88_1181:
	s_mov_b32 s0, 0
.LBB88_1182:
	s_delay_alu instid0(SALU_CYCLE_1)
	s_and_not1_b32 vcc_lo, exec_lo, s0
	s_cbranch_vccnz .LBB88_1184
; %bb.1183:
	global_load_b32 v7, v[0:1], off
	s_waitcnt vmcnt(0)
	v_cvt_f32_f16_e32 v10, v7
.LBB88_1184:
	s_mov_b32 s0, 0
.LBB88_1185:
	s_delay_alu instid0(SALU_CYCLE_1)
	s_and_not1_b32 vcc_lo, exec_lo, s0
	s_cbranch_vccnz .LBB88_1196
; %bb.1186:
	v_cmp_gt_i16_e32 vcc_lo, 6, v6
	s_cbranch_vccnz .LBB88_1189
; %bb.1187:
	v_cmp_lt_i16_e32 vcc_lo, 6, v6
	s_cbranch_vccz .LBB88_1190
; %bb.1188:
	global_load_b64 v[7:8], v[0:1], off
	s_mov_b32 s0, 0
	s_waitcnt vmcnt(0)
	v_cvt_f32_f64_e32 v10, v[7:8]
	s_branch .LBB88_1191
.LBB88_1189:
	s_mov_b32 s0, -1
                                        ; implicit-def: $vgpr10
	s_branch .LBB88_1194
.LBB88_1190:
	s_mov_b32 s0, -1
                                        ; implicit-def: $vgpr10
.LBB88_1191:
	s_delay_alu instid0(SALU_CYCLE_1)
	s_and_not1_b32 vcc_lo, exec_lo, s0
	s_cbranch_vccnz .LBB88_1193
; %bb.1192:
	global_load_b32 v10, v[0:1], off
.LBB88_1193:
	s_mov_b32 s0, 0
.LBB88_1194:
	s_delay_alu instid0(SALU_CYCLE_1)
	s_and_not1_b32 vcc_lo, exec_lo, s0
	s_cbranch_vccnz .LBB88_1196
; %bb.1195:
	global_load_u16 v7, v[0:1], off
	s_waitcnt vmcnt(0)
	v_cvt_f32_f16_e32 v10, v7
.LBB88_1196:
	s_cbranch_execnz .LBB88_1216
.LBB88_1197:
	v_cmp_gt_i16_e32 vcc_lo, 2, v6
	s_cbranch_vccnz .LBB88_1201
; %bb.1198:
	v_cmp_gt_i16_e32 vcc_lo, 3, v6
	s_cbranch_vccnz .LBB88_1202
; %bb.1199:
	v_cmp_lt_i16_e32 vcc_lo, 3, v6
	s_cbranch_vccz .LBB88_1203
; %bb.1200:
	global_load_b64 v[7:8], v[0:1], off
	s_mov_b32 s0, 0
	s_waitcnt vmcnt(0)
	v_xor_b32_e32 v9, v7, v8
	v_cls_i32_e32 v10, v8
	s_delay_alu instid0(VALU_DEP_2) | instskip(NEXT) | instid1(VALU_DEP_2)
	v_ashrrev_i32_e32 v9, 31, v9
	v_add_nc_u32_e32 v10, -1, v10
	s_delay_alu instid0(VALU_DEP_2) | instskip(NEXT) | instid1(VALU_DEP_1)
	v_add_nc_u32_e32 v9, 32, v9
	v_min_u32_e32 v9, v10, v9
	s_delay_alu instid0(VALU_DEP_1) | instskip(NEXT) | instid1(VALU_DEP_1)
	v_lshlrev_b64 v[7:8], v9, v[7:8]
	v_min_u32_e32 v7, 1, v7
	s_delay_alu instid0(VALU_DEP_1) | instskip(SKIP_1) | instid1(VALU_DEP_2)
	v_or_b32_e32 v7, v8, v7
	v_sub_nc_u32_e32 v8, 32, v9
	v_cvt_f32_i32_e32 v7, v7
	s_delay_alu instid0(VALU_DEP_1)
	v_ldexp_f32 v10, v7, v8
	s_branch .LBB88_1204
.LBB88_1201:
	s_mov_b32 s0, -1
                                        ; implicit-def: $vgpr10
	s_branch .LBB88_1210
.LBB88_1202:
	s_mov_b32 s0, -1
                                        ; implicit-def: $vgpr10
	s_branch .LBB88_1207
.LBB88_1203:
	s_mov_b32 s0, -1
                                        ; implicit-def: $vgpr10
.LBB88_1204:
	s_delay_alu instid0(SALU_CYCLE_1)
	s_and_not1_b32 vcc_lo, exec_lo, s0
	s_cbranch_vccnz .LBB88_1206
; %bb.1205:
	global_load_b32 v7, v[0:1], off
	s_waitcnt vmcnt(0)
	v_cvt_f32_i32_e32 v10, v7
.LBB88_1206:
	s_mov_b32 s0, 0
.LBB88_1207:
	s_delay_alu instid0(SALU_CYCLE_1)
	s_and_not1_b32 vcc_lo, exec_lo, s0
	s_cbranch_vccnz .LBB88_1209
; %bb.1208:
	global_load_i16 v7, v[0:1], off
	s_waitcnt vmcnt(0)
	v_cvt_f32_i32_e32 v10, v7
.LBB88_1209:
	s_mov_b32 s0, 0
.LBB88_1210:
	s_delay_alu instid0(SALU_CYCLE_1)
	s_and_not1_b32 vcc_lo, exec_lo, s0
	s_cbranch_vccnz .LBB88_1216
; %bb.1211:
	v_cmp_lt_i16_e32 vcc_lo, 0, v6
	s_mov_b32 s0, 0
	s_cbranch_vccz .LBB88_1213
; %bb.1212:
	global_load_i8 v7, v[0:1], off
	s_waitcnt vmcnt(0)
	v_cvt_f32_i32_e32 v10, v7
	s_branch .LBB88_1214
.LBB88_1213:
	s_mov_b32 s0, -1
                                        ; implicit-def: $vgpr10
.LBB88_1214:
	s_delay_alu instid0(SALU_CYCLE_1)
	s_and_not1_b32 vcc_lo, exec_lo, s0
	s_cbranch_vccnz .LBB88_1216
; %bb.1215:
	global_load_u8 v0, v[0:1], off
	s_waitcnt vmcnt(0)
	v_cvt_f32_ubyte0_e32 v10, v0
.LBB88_1216:
	s_branch .LBB88_1289
.LBB88_1217:
	s_trap 2
	s_sendmsg_rtn_b32 s0, sendmsg(MSG_RTN_GET_DOORBELL)
	s_mov_b32 ttmp2, m0
	s_waitcnt lgkmcnt(0)
	s_and_b32 s0, s0, 0x3ff
	s_delay_alu instid0(SALU_CYCLE_1) | instskip(NEXT) | instid1(SALU_CYCLE_1)
	s_bitset1_b32 s0, 10
	s_mov_b32 m0, s0
	s_sendmsg sendmsg(MSG_INTERRUPT)
	s_mov_b32 m0, ttmp2
.LBB88_1218:                            ; =>This Inner Loop Header: Depth=1
	s_sethalt 5
	s_branch .LBB88_1218
.LBB88_1219:
	s_or_saveexec_b32 s15, s15
                                        ; implicit-def: $sgpr16
	s_delay_alu instid0(SALU_CYCLE_1)
	s_xor_b32 exec_lo, exec_lo, s15
	s_cbranch_execz .LBB88_947
.LBB88_1220:
	v_add_f32_e64 v3, 0x42800000, |v2|
	s_and_not1_b32 s14, s14, exec_lo
	s_mov_b32 s16, 0
	s_delay_alu instid0(VALU_DEP_1) | instskip(NEXT) | instid1(VALU_DEP_1)
	v_and_b32_e32 v3, 0xff, v3
	v_cmp_ne_u32_e32 vcc_lo, 0, v3
	s_and_b32 s17, vcc_lo, exec_lo
	s_delay_alu instid0(SALU_CYCLE_1)
	s_or_b32 s14, s14, s17
	s_or_b32 exec_lo, exec_lo, s15
	v_mov_b32_e32 v4, s16
	s_and_saveexec_b32 s15, s14
	s_cbranch_execnz .LBB88_948
	s_branch .LBB88_949
.LBB88_1221:
	s_mov_b32 s0, -1
	s_mov_b32 s11, 0
.LBB88_1222:
                                        ; implicit-def: $vgpr10
.LBB88_1223:
	s_and_b32 vcc_lo, exec_lo, s12
	s_cbranch_vccz .LBB88_1227
; %bb.1224:
	v_cmp_eq_u16_e32 vcc_lo, 44, v6
	s_cbranch_vccz .LBB88_1226
; %bb.1225:
	global_load_u8 v7, v[0:1], off
	s_mov_b32 s0, 0
	s_mov_b32 s11, -1
	s_waitcnt vmcnt(0)
	v_lshlrev_b32_e32 v8, 23, v7
	v_cmp_ne_u32_e32 vcc_lo, 0xff, v7
	s_delay_alu instid0(VALU_DEP_2) | instskip(SKIP_1) | instid1(VALU_DEP_2)
	v_cndmask_b32_e32 v8, 0x7f800001, v8, vcc_lo
	v_cmp_ne_u32_e32 vcc_lo, 0, v7
	v_cndmask_b32_e32 v10, 0x400000, v8, vcc_lo
	s_branch .LBB88_1227
.LBB88_1226:
	s_mov_b32 s0, -1
                                        ; implicit-def: $vgpr10
.LBB88_1227:
	s_mov_b32 s12, 0
.LBB88_1228:
	s_delay_alu instid0(SALU_CYCLE_1)
	s_and_b32 vcc_lo, exec_lo, s12
	s_cbranch_vccz .LBB88_1232
; %bb.1229:
	v_cmp_eq_u16_e32 vcc_lo, 29, v6
	s_cbranch_vccz .LBB88_1231
; %bb.1230:
	global_load_b64 v[7:8], v[0:1], off
	s_mov_b32 s0, 0
	s_mov_b32 s11, -1
	s_mov_b32 s12, 0
	s_waitcnt vmcnt(0)
	v_clz_i32_u32_e32 v9, v8
	s_delay_alu instid0(VALU_DEP_1) | instskip(NEXT) | instid1(VALU_DEP_1)
	v_min_u32_e32 v9, 32, v9
	v_lshlrev_b64 v[7:8], v9, v[7:8]
	s_delay_alu instid0(VALU_DEP_1) | instskip(NEXT) | instid1(VALU_DEP_1)
	v_min_u32_e32 v7, 1, v7
	v_or_b32_e32 v7, v8, v7
	v_sub_nc_u32_e32 v8, 32, v9
	s_delay_alu instid0(VALU_DEP_2) | instskip(NEXT) | instid1(VALU_DEP_1)
	v_cvt_f32_u32_e32 v7, v7
	v_ldexp_f32 v10, v7, v8
	s_branch .LBB88_1233
.LBB88_1231:
	s_mov_b32 s0, -1
                                        ; implicit-def: $vgpr10
.LBB88_1232:
	s_mov_b32 s12, 0
.LBB88_1233:
	s_delay_alu instid0(SALU_CYCLE_1)
	s_and_b32 vcc_lo, exec_lo, s12
	s_cbranch_vccz .LBB88_1251
; %bb.1234:
	v_cmp_gt_i16_e32 vcc_lo, 27, v6
	s_cbranch_vccnz .LBB88_1237
; %bb.1235:
	v_cmp_lt_i16_e32 vcc_lo, 27, v6
	s_cbranch_vccz .LBB88_1238
; %bb.1236:
	global_load_b32 v7, v[0:1], off
	s_mov_b32 s11, 0
	s_waitcnt vmcnt(0)
	v_cvt_f32_u32_e32 v10, v7
	s_branch .LBB88_1239
.LBB88_1237:
	s_mov_b32 s11, -1
                                        ; implicit-def: $vgpr10
	s_branch .LBB88_1242
.LBB88_1238:
	s_mov_b32 s11, -1
                                        ; implicit-def: $vgpr10
.LBB88_1239:
	s_delay_alu instid0(SALU_CYCLE_1)
	s_and_not1_b32 vcc_lo, exec_lo, s11
	s_cbranch_vccnz .LBB88_1241
; %bb.1240:
	global_load_u16 v7, v[0:1], off
	s_waitcnt vmcnt(0)
	v_cvt_f32_u32_e32 v10, v7
.LBB88_1241:
	s_mov_b32 s11, 0
.LBB88_1242:
	s_delay_alu instid0(SALU_CYCLE_1)
	s_and_not1_b32 vcc_lo, exec_lo, s11
	s_cbranch_vccnz .LBB88_1250
; %bb.1243:
	global_load_u8 v7, v[0:1], off
	s_mov_b32 s11, 0
	s_mov_b32 s13, exec_lo
                                        ; implicit-def: $sgpr12
	s_waitcnt vmcnt(0)
	v_cmpx_lt_i16_e32 0x7f, v7
	s_xor_b32 s13, exec_lo, s13
	s_cbranch_execz .LBB88_1263
; %bb.1244:
	s_mov_b32 s11, -1
	s_mov_b32 s14, exec_lo
                                        ; implicit-def: $sgpr12
	v_cmpx_eq_u16_e32 0x80, v7
; %bb.1245:
	s_mov_b32 s12, 0x7f800001
	s_xor_b32 s11, exec_lo, -1
; %bb.1246:
	s_or_b32 exec_lo, exec_lo, s14
	s_delay_alu instid0(SALU_CYCLE_1)
	s_and_b32 s11, s11, exec_lo
	s_or_saveexec_b32 s13, s13
	v_mov_b32_e32 v10, s12
	s_xor_b32 exec_lo, exec_lo, s13
	s_cbranch_execnz .LBB88_1264
.LBB88_1247:
	s_or_b32 exec_lo, exec_lo, s13
	s_and_saveexec_b32 s12, s11
	s_cbranch_execz .LBB88_1249
.LBB88_1248:
	v_and_b32_e32 v8, 0xffff, v7
	v_lshlrev_b32_e32 v7, 24, v7
	s_delay_alu instid0(VALU_DEP_2) | instskip(NEXT) | instid1(VALU_DEP_2)
	v_and_b32_e32 v9, 7, v8
	v_and_b32_e32 v7, 0x80000000, v7
	s_delay_alu instid0(VALU_DEP_2) | instskip(NEXT) | instid1(VALU_DEP_1)
	v_clz_i32_u32_e32 v10, v9
	v_min_u32_e32 v10, 32, v10
	s_delay_alu instid0(VALU_DEP_1) | instskip(SKIP_1) | instid1(VALU_DEP_2)
	v_subrev_nc_u32_e32 v11, 28, v10
	v_sub_nc_u32_e32 v10, 29, v10
	v_lshlrev_b32_e32 v11, v11, v8
	v_bfe_u32 v8, v8, 3, 4
	s_delay_alu instid0(VALU_DEP_2) | instskip(NEXT) | instid1(VALU_DEP_2)
	v_and_b32_e32 v11, 7, v11
	v_cmp_eq_u32_e32 vcc_lo, 0, v8
	s_delay_alu instid0(VALU_DEP_2) | instskip(NEXT) | instid1(VALU_DEP_1)
	v_dual_cndmask_b32 v8, v8, v10 :: v_dual_cndmask_b32 v9, v9, v11
	v_lshl_add_u32 v8, v8, 23, 0x3b800000
	s_delay_alu instid0(VALU_DEP_2) | instskip(NEXT) | instid1(VALU_DEP_1)
	v_lshlrev_b32_e32 v9, 20, v9
	v_or3_b32 v10, v7, v8, v9
.LBB88_1249:
	s_or_b32 exec_lo, exec_lo, s12
.LBB88_1250:
	s_mov_b32 s11, -1
.LBB88_1251:
	s_branch .LBB88_1284
.LBB88_1252:
	v_cmp_lt_i16_e32 vcc_lo, 22, v6
	s_cbranch_vccz .LBB88_1262
; %bb.1253:
	v_cmp_gt_i16_e32 vcc_lo, 24, v6
	s_cbranch_vccnz .LBB88_1265
; %bb.1254:
	v_cmp_lt_i16_e32 vcc_lo, 24, v6
	s_cbranch_vccz .LBB88_1266
; %bb.1255:
	global_load_u8 v7, v[0:1], off
	s_mov_b32 s12, exec_lo
                                        ; implicit-def: $sgpr11
	s_waitcnt vmcnt(0)
	v_cmpx_lt_i16_e32 0x7f, v7
	s_xor_b32 s12, exec_lo, s12
	s_cbranch_execz .LBB88_1278
; %bb.1256:
	s_mov_b32 s10, -1
	s_mov_b32 s13, exec_lo
                                        ; implicit-def: $sgpr11
	v_cmpx_eq_u16_e32 0x80, v7
; %bb.1257:
	s_mov_b32 s11, 0x7f800001
	s_xor_b32 s10, exec_lo, -1
; %bb.1258:
	s_or_b32 exec_lo, exec_lo, s13
	s_delay_alu instid0(SALU_CYCLE_1)
	s_and_b32 s10, s10, exec_lo
	s_or_saveexec_b32 s12, s12
	v_mov_b32_e32 v10, s11
	s_xor_b32 exec_lo, exec_lo, s12
	s_cbranch_execnz .LBB88_1279
.LBB88_1259:
	s_or_b32 exec_lo, exec_lo, s12
	s_and_saveexec_b32 s11, s10
	s_cbranch_execz .LBB88_1261
.LBB88_1260:
	v_and_b32_e32 v8, 0xffff, v7
	v_lshlrev_b32_e32 v7, 24, v7
	s_delay_alu instid0(VALU_DEP_2) | instskip(NEXT) | instid1(VALU_DEP_2)
	v_and_b32_e32 v9, 3, v8
	v_and_b32_e32 v7, 0x80000000, v7
	s_delay_alu instid0(VALU_DEP_2) | instskip(NEXT) | instid1(VALU_DEP_1)
	v_clz_i32_u32_e32 v10, v9
	v_min_u32_e32 v10, 32, v10
	s_delay_alu instid0(VALU_DEP_1) | instskip(SKIP_1) | instid1(VALU_DEP_2)
	v_subrev_nc_u32_e32 v11, 29, v10
	v_sub_nc_u32_e32 v10, 30, v10
	v_lshlrev_b32_e32 v11, v11, v8
	v_bfe_u32 v8, v8, 2, 5
	s_delay_alu instid0(VALU_DEP_2) | instskip(NEXT) | instid1(VALU_DEP_2)
	v_and_b32_e32 v11, 3, v11
	v_cmp_eq_u32_e32 vcc_lo, 0, v8
	s_delay_alu instid0(VALU_DEP_2) | instskip(NEXT) | instid1(VALU_DEP_1)
	v_dual_cndmask_b32 v8, v8, v10 :: v_dual_cndmask_b32 v9, v9, v11
	v_lshl_add_u32 v8, v8, 23, 0x37800000
	s_delay_alu instid0(VALU_DEP_2) | instskip(NEXT) | instid1(VALU_DEP_1)
	v_lshlrev_b32_e32 v9, 21, v9
	v_or3_b32 v10, v7, v8, v9
.LBB88_1261:
	s_or_b32 exec_lo, exec_lo, s11
	s_mov_b32 s10, 0
	s_branch .LBB88_1267
.LBB88_1262:
	s_mov_b32 s10, -1
                                        ; implicit-def: $vgpr10
	s_branch .LBB88_1273
.LBB88_1263:
	s_or_saveexec_b32 s13, s13
	v_mov_b32_e32 v10, s12
	s_xor_b32 exec_lo, exec_lo, s13
	s_cbranch_execz .LBB88_1247
.LBB88_1264:
	v_cmp_ne_u16_e32 vcc_lo, 0, v7
	v_mov_b32_e32 v10, 0
	s_and_not1_b32 s11, s11, exec_lo
	s_and_b32 s12, vcc_lo, exec_lo
	s_delay_alu instid0(SALU_CYCLE_1)
	s_or_b32 s11, s11, s12
	s_or_b32 exec_lo, exec_lo, s13
	s_and_saveexec_b32 s12, s11
	s_cbranch_execnz .LBB88_1248
	s_branch .LBB88_1249
.LBB88_1265:
	s_mov_b32 s10, -1
                                        ; implicit-def: $vgpr10
	s_branch .LBB88_1270
.LBB88_1266:
	s_mov_b32 s10, -1
                                        ; implicit-def: $vgpr10
.LBB88_1267:
	s_delay_alu instid0(SALU_CYCLE_1)
	s_and_b32 vcc_lo, exec_lo, s10
	s_cbranch_vccz .LBB88_1269
; %bb.1268:
	global_load_u8 v7, v[0:1], off
	s_waitcnt vmcnt(0)
	v_lshlrev_b32_e32 v7, 24, v7
	s_delay_alu instid0(VALU_DEP_1) | instskip(NEXT) | instid1(VALU_DEP_1)
	v_and_b32_e32 v8, 0x7f000000, v7
	v_clz_i32_u32_e32 v9, v8
	v_add_nc_u32_e32 v11, 0x1000000, v8
	v_cmp_ne_u32_e32 vcc_lo, 0, v8
	s_delay_alu instid0(VALU_DEP_3) | instskip(NEXT) | instid1(VALU_DEP_1)
	v_min_u32_e32 v9, 32, v9
	v_sub_nc_u32_e64 v9, v9, 4 clamp
	s_delay_alu instid0(VALU_DEP_1) | instskip(SKIP_1) | instid1(VALU_DEP_2)
	v_lshlrev_b32_e32 v10, v9, v8
	v_lshlrev_b32_e32 v9, 23, v9
	v_lshrrev_b32_e32 v10, 4, v10
	s_delay_alu instid0(VALU_DEP_1) | instskip(SKIP_1) | instid1(VALU_DEP_2)
	v_sub_nc_u32_e32 v9, v10, v9
	v_ashrrev_i32_e32 v10, 8, v11
	v_add_nc_u32_e32 v9, 0x3c000000, v9
	s_delay_alu instid0(VALU_DEP_1) | instskip(NEXT) | instid1(VALU_DEP_1)
	v_and_or_b32 v9, 0x7f800000, v10, v9
	v_cndmask_b32_e32 v8, 0, v9, vcc_lo
	s_delay_alu instid0(VALU_DEP_1)
	v_and_or_b32 v10, 0x80000000, v7, v8
.LBB88_1269:
	s_mov_b32 s10, 0
.LBB88_1270:
	s_delay_alu instid0(SALU_CYCLE_1)
	s_and_not1_b32 vcc_lo, exec_lo, s10
	s_cbranch_vccnz .LBB88_1272
; %bb.1271:
	global_load_u8 v7, v[0:1], off
	s_waitcnt vmcnt(0)
	v_lshlrev_b32_e32 v8, 25, v7
	v_lshlrev_b16 v7, 8, v7
	s_delay_alu instid0(VALU_DEP_2) | instskip(NEXT) | instid1(VALU_DEP_2)
	v_lshrrev_b32_e32 v9, 4, v8
	v_and_or_b32 v10, 0x7f00, v7, 0.5
	v_bfe_i32 v7, v7, 0, 16
	s_delay_alu instid0(VALU_DEP_3) | instskip(NEXT) | instid1(VALU_DEP_1)
	v_or_b32_e32 v9, 0x70000000, v9
	v_dual_add_f32 v10, -0.5, v10 :: v_dual_mul_f32 v9, 0x7800000, v9
	v_cmp_gt_u32_e32 vcc_lo, 0x8000000, v8
	s_delay_alu instid0(VALU_DEP_2) | instskip(NEXT) | instid1(VALU_DEP_1)
	v_cndmask_b32_e32 v8, v9, v10, vcc_lo
	v_and_or_b32 v10, 0x80000000, v7, v8
.LBB88_1272:
	s_mov_b32 s10, 0
	s_mov_b32 s11, -1
.LBB88_1273:
	s_and_not1_b32 vcc_lo, exec_lo, s10
	s_mov_b32 s10, 0
	s_cbranch_vccnz .LBB88_1284
; %bb.1274:
	v_cmp_lt_i16_e32 vcc_lo, 14, v6
	s_cbranch_vccz .LBB88_1277
; %bb.1275:
	v_cmp_eq_u16_e32 vcc_lo, 15, v6
	s_cbranch_vccz .LBB88_1280
; %bb.1276:
	global_load_u16 v7, v[0:1], off
	s_mov_b32 s0, 0
	s_mov_b32 s11, -1
	s_waitcnt vmcnt(0)
	v_lshlrev_b32_e32 v10, 16, v7
	s_branch .LBB88_1282
.LBB88_1277:
	s_mov_b32 s10, -1
	s_branch .LBB88_1281
.LBB88_1278:
	s_or_saveexec_b32 s12, s12
	v_mov_b32_e32 v10, s11
	s_xor_b32 exec_lo, exec_lo, s12
	s_cbranch_execz .LBB88_1259
.LBB88_1279:
	v_cmp_ne_u16_e32 vcc_lo, 0, v7
	v_mov_b32_e32 v10, 0
	s_and_not1_b32 s10, s10, exec_lo
	s_and_b32 s11, vcc_lo, exec_lo
	s_delay_alu instid0(SALU_CYCLE_1)
	s_or_b32 s10, s10, s11
	s_or_b32 exec_lo, exec_lo, s12
	s_and_saveexec_b32 s11, s10
	s_cbranch_execnz .LBB88_1260
	s_branch .LBB88_1261
.LBB88_1280:
	s_mov_b32 s0, -1
.LBB88_1281:
                                        ; implicit-def: $vgpr10
.LBB88_1282:
	s_and_b32 vcc_lo, exec_lo, s10
	s_mov_b32 s10, 0
	s_cbranch_vccz .LBB88_1284
; %bb.1283:
	v_cmp_ne_u16_e64 s0, 11, v6
	s_mov_b32 s10, -1
                                        ; implicit-def: $vgpr10
.LBB88_1284:
	s_delay_alu instid0(VALU_DEP_1)
	s_and_b32 vcc_lo, exec_lo, s0
	s_cbranch_vccnz .LBB88_1308
; %bb.1285:
	s_and_not1_b32 vcc_lo, exec_lo, s10
	s_cbranch_vccnz .LBB88_1287
.LBB88_1286:
	global_load_u8 v7, v[0:1], off
	s_mov_b32 s11, -1
	s_waitcnt vmcnt(0)
	v_cmp_ne_u16_e32 vcc_lo, 0, v7
	v_cndmask_b32_e64 v10, 0, 1.0, vcc_lo
.LBB88_1287:
.LBB88_1288:
	s_and_not1_b32 vcc_lo, exec_lo, s11
	s_cbranch_vccnz .LBB88_1986
.LBB88_1289:
	v_add_nc_u32_e32 v3, s3, v3
	v_cmp_gt_i16_e32 vcc_lo, 11, v6
	s_delay_alu instid0(VALU_DEP_2) | instskip(SKIP_1) | instid1(VALU_DEP_1)
	v_ashrrev_i32_e32 v1, 31, v3
	v_add_co_u32 v0, s0, s6, v3
	v_add_co_ci_u32_e64 v1, s0, s7, v1, s0
	s_cbranch_vccnz .LBB88_1296
; %bb.1290:
	v_cmp_lt_i16_e32 vcc_lo, 25, v6
	s_mov_b32 s10, 0
	s_cbranch_vccz .LBB88_1302
; %bb.1291:
	v_cmp_lt_i16_e32 vcc_lo, 28, v6
	s_cbranch_vccz .LBB88_1304
; %bb.1292:
	v_cmp_lt_i16_e32 vcc_lo, 43, v6
	;; [unrolled: 3-line block ×3, first 2 shown]
	s_cbranch_vccz .LBB88_1310
; %bb.1294:
	v_cmp_eq_u16_e32 vcc_lo, 46, v6
	s_mov_b32 s12, 0
	s_cbranch_vccz .LBB88_1353
; %bb.1295:
	global_load_b32 v7, v[0:1], off
	s_mov_b32 s0, 0
	s_mov_b32 s11, -1
	s_waitcnt vmcnt(0)
	v_lshlrev_b32_e32 v9, 16, v7
	s_branch .LBB88_1355
.LBB88_1296:
	s_mov_b32 s11, 0
                                        ; implicit-def: $vgpr9
	s_cbranch_execz .LBB88_1421
; %bb.1297:
	v_cmp_gt_i16_e32 vcc_lo, 5, v6
	s_cbranch_vccnz .LBB88_1303
; %bb.1298:
	v_cmp_gt_i16_e32 vcc_lo, 8, v6
	s_cbranch_vccnz .LBB88_1305
	;; [unrolled: 3-line block ×3, first 2 shown]
; %bb.1300:
	v_cmp_lt_i16_e32 vcc_lo, 9, v6
	s_cbranch_vccz .LBB88_1311
; %bb.1301:
	global_load_b64 v[7:8], v[0:1], off
	s_mov_b32 s0, 0
	s_waitcnt vmcnt(0)
	v_cvt_f32_f64_e32 v9, v[7:8]
	s_branch .LBB88_1312
.LBB88_1302:
	s_mov_b32 s12, -1
	s_mov_b32 s11, 0
	s_mov_b32 s0, 0
                                        ; implicit-def: $vgpr9
	s_branch .LBB88_1384
.LBB88_1303:
	s_mov_b32 s0, -1
                                        ; implicit-def: $vgpr9
	s_branch .LBB88_1330
.LBB88_1304:
	s_mov_b32 s12, -1
	s_mov_b32 s11, 0
	s_mov_b32 s0, 0
                                        ; implicit-def: $vgpr9
	s_branch .LBB88_1365
.LBB88_1305:
	s_mov_b32 s0, -1
                                        ; implicit-def: $vgpr9
	s_branch .LBB88_1318
.LBB88_1306:
	s_mov_b32 s12, -1
	s_mov_b32 s11, 0
	s_mov_b32 s0, 0
                                        ; implicit-def: $vgpr9
	s_branch .LBB88_1360
.LBB88_1307:
	s_mov_b32 s0, -1
                                        ; implicit-def: $vgpr9
	s_branch .LBB88_1315
.LBB88_1308:
	s_cbranch_execnz .LBB88_1351
; %bb.1309:
	s_or_b32 s1, s1, exec_lo
                                        ; implicit-def: $vgpr10
	s_cbranch_execz .LBB88_1286
	s_branch .LBB88_1287
.LBB88_1310:
	s_mov_b32 s12, -1
	s_mov_b32 s11, 0
	s_mov_b32 s0, 0
	s_branch .LBB88_1354
.LBB88_1311:
	s_mov_b32 s0, -1
                                        ; implicit-def: $vgpr9
.LBB88_1312:
	s_delay_alu instid0(SALU_CYCLE_1)
	s_and_not1_b32 vcc_lo, exec_lo, s0
	s_cbranch_vccnz .LBB88_1314
; %bb.1313:
	global_load_b32 v9, v[0:1], off
.LBB88_1314:
	s_mov_b32 s0, 0
.LBB88_1315:
	s_delay_alu instid0(SALU_CYCLE_1)
	s_and_not1_b32 vcc_lo, exec_lo, s0
	s_cbranch_vccnz .LBB88_1317
; %bb.1316:
	global_load_b32 v7, v[0:1], off
	s_waitcnt vmcnt(0)
	v_cvt_f32_f16_e32 v9, v7
.LBB88_1317:
	s_mov_b32 s0, 0
.LBB88_1318:
	s_delay_alu instid0(SALU_CYCLE_1)
	s_and_not1_b32 vcc_lo, exec_lo, s0
	s_cbranch_vccnz .LBB88_1329
; %bb.1319:
	v_cmp_gt_i16_e32 vcc_lo, 6, v6
	s_cbranch_vccnz .LBB88_1322
; %bb.1320:
	v_cmp_lt_i16_e32 vcc_lo, 6, v6
	s_cbranch_vccz .LBB88_1323
; %bb.1321:
	global_load_b64 v[7:8], v[0:1], off
	s_mov_b32 s0, 0
	s_waitcnt vmcnt(0)
	v_cvt_f32_f64_e32 v9, v[7:8]
	s_branch .LBB88_1324
.LBB88_1322:
	s_mov_b32 s0, -1
                                        ; implicit-def: $vgpr9
	s_branch .LBB88_1327
.LBB88_1323:
	s_mov_b32 s0, -1
                                        ; implicit-def: $vgpr9
.LBB88_1324:
	s_delay_alu instid0(SALU_CYCLE_1)
	s_and_not1_b32 vcc_lo, exec_lo, s0
	s_cbranch_vccnz .LBB88_1326
; %bb.1325:
	global_load_b32 v9, v[0:1], off
.LBB88_1326:
	s_mov_b32 s0, 0
.LBB88_1327:
	s_delay_alu instid0(SALU_CYCLE_1)
	s_and_not1_b32 vcc_lo, exec_lo, s0
	s_cbranch_vccnz .LBB88_1329
; %bb.1328:
	global_load_u16 v7, v[0:1], off
	s_waitcnt vmcnt(0)
	v_cvt_f32_f16_e32 v9, v7
.LBB88_1329:
	s_mov_b32 s0, 0
.LBB88_1330:
	s_delay_alu instid0(SALU_CYCLE_1)
	s_and_not1_b32 vcc_lo, exec_lo, s0
	s_cbranch_vccnz .LBB88_1350
; %bb.1331:
	v_cmp_gt_i16_e32 vcc_lo, 2, v6
	s_cbranch_vccnz .LBB88_1335
; %bb.1332:
	v_cmp_gt_i16_e32 vcc_lo, 3, v6
	s_cbranch_vccnz .LBB88_1336
; %bb.1333:
	v_cmp_lt_i16_e32 vcc_lo, 3, v6
	s_cbranch_vccz .LBB88_1337
; %bb.1334:
	global_load_b64 v[7:8], v[0:1], off
	s_mov_b32 s0, 0
	s_waitcnt vmcnt(0)
	v_xor_b32_e32 v9, v7, v8
	v_cls_i32_e32 v11, v8
	s_delay_alu instid0(VALU_DEP_2) | instskip(NEXT) | instid1(VALU_DEP_2)
	v_ashrrev_i32_e32 v9, 31, v9
	v_add_nc_u32_e32 v11, -1, v11
	s_delay_alu instid0(VALU_DEP_2) | instskip(NEXT) | instid1(VALU_DEP_1)
	v_add_nc_u32_e32 v9, 32, v9
	v_min_u32_e32 v9, v11, v9
	s_delay_alu instid0(VALU_DEP_1) | instskip(NEXT) | instid1(VALU_DEP_1)
	v_lshlrev_b64 v[7:8], v9, v[7:8]
	v_min_u32_e32 v7, 1, v7
	s_delay_alu instid0(VALU_DEP_1) | instskip(SKIP_1) | instid1(VALU_DEP_2)
	v_or_b32_e32 v7, v8, v7
	v_sub_nc_u32_e32 v8, 32, v9
	v_cvt_f32_i32_e32 v7, v7
	s_delay_alu instid0(VALU_DEP_1)
	v_ldexp_f32 v9, v7, v8
	s_branch .LBB88_1338
.LBB88_1335:
	s_mov_b32 s0, -1
                                        ; implicit-def: $vgpr9
	s_branch .LBB88_1344
.LBB88_1336:
	s_mov_b32 s0, -1
                                        ; implicit-def: $vgpr9
	s_branch .LBB88_1341
.LBB88_1337:
	s_mov_b32 s0, -1
                                        ; implicit-def: $vgpr9
.LBB88_1338:
	s_delay_alu instid0(SALU_CYCLE_1)
	s_and_not1_b32 vcc_lo, exec_lo, s0
	s_cbranch_vccnz .LBB88_1340
; %bb.1339:
	global_load_b32 v7, v[0:1], off
	s_waitcnt vmcnt(0)
	v_cvt_f32_i32_e32 v9, v7
.LBB88_1340:
	s_mov_b32 s0, 0
.LBB88_1341:
	s_delay_alu instid0(SALU_CYCLE_1)
	s_and_not1_b32 vcc_lo, exec_lo, s0
	s_cbranch_vccnz .LBB88_1343
; %bb.1342:
	global_load_i16 v7, v[0:1], off
	s_waitcnt vmcnt(0)
	v_cvt_f32_i32_e32 v9, v7
.LBB88_1343:
	s_mov_b32 s0, 0
.LBB88_1344:
	s_delay_alu instid0(SALU_CYCLE_1)
	s_and_not1_b32 vcc_lo, exec_lo, s0
	s_cbranch_vccnz .LBB88_1350
; %bb.1345:
	v_cmp_lt_i16_e32 vcc_lo, 0, v6
	s_mov_b32 s0, 0
	s_cbranch_vccz .LBB88_1347
; %bb.1346:
	global_load_i8 v7, v[0:1], off
	s_waitcnt vmcnt(0)
	v_cvt_f32_i32_e32 v9, v7
	s_branch .LBB88_1348
.LBB88_1347:
	s_mov_b32 s0, -1
                                        ; implicit-def: $vgpr9
.LBB88_1348:
	s_delay_alu instid0(SALU_CYCLE_1)
	s_and_not1_b32 vcc_lo, exec_lo, s0
	s_cbranch_vccnz .LBB88_1350
; %bb.1349:
	global_load_u8 v0, v[0:1], off
	s_waitcnt vmcnt(0)
	v_cvt_f32_ubyte0_e32 v9, v0
.LBB88_1350:
	s_branch .LBB88_1422
.LBB88_1351:
	s_trap 2
	s_sendmsg_rtn_b32 s0, sendmsg(MSG_RTN_GET_DOORBELL)
	s_mov_b32 ttmp2, m0
	s_waitcnt lgkmcnt(0)
	s_and_b32 s0, s0, 0x3ff
	s_delay_alu instid0(SALU_CYCLE_1) | instskip(NEXT) | instid1(SALU_CYCLE_1)
	s_bitset1_b32 s0, 10
	s_mov_b32 m0, s0
	s_sendmsg sendmsg(MSG_INTERRUPT)
	s_mov_b32 m0, ttmp2
.LBB88_1352:                            ; =>This Inner Loop Header: Depth=1
	s_sethalt 5
	s_branch .LBB88_1352
.LBB88_1353:
	s_mov_b32 s0, -1
	s_mov_b32 s11, 0
.LBB88_1354:
                                        ; implicit-def: $vgpr9
.LBB88_1355:
	s_and_b32 vcc_lo, exec_lo, s12
	s_cbranch_vccz .LBB88_1359
; %bb.1356:
	v_cmp_eq_u16_e32 vcc_lo, 44, v6
	s_cbranch_vccz .LBB88_1358
; %bb.1357:
	global_load_u8 v7, v[0:1], off
	s_mov_b32 s0, 0
	s_mov_b32 s11, -1
	s_waitcnt vmcnt(0)
	v_lshlrev_b32_e32 v8, 23, v7
	v_cmp_ne_u32_e32 vcc_lo, 0xff, v7
	s_delay_alu instid0(VALU_DEP_2) | instskip(SKIP_1) | instid1(VALU_DEP_2)
	v_cndmask_b32_e32 v8, 0x7f800001, v8, vcc_lo
	v_cmp_ne_u32_e32 vcc_lo, 0, v7
	v_cndmask_b32_e32 v9, 0x400000, v8, vcc_lo
	s_branch .LBB88_1359
.LBB88_1358:
	s_mov_b32 s0, -1
                                        ; implicit-def: $vgpr9
.LBB88_1359:
	s_mov_b32 s12, 0
.LBB88_1360:
	s_delay_alu instid0(SALU_CYCLE_1)
	s_and_b32 vcc_lo, exec_lo, s12
	s_cbranch_vccz .LBB88_1364
; %bb.1361:
	v_cmp_eq_u16_e32 vcc_lo, 29, v6
	s_cbranch_vccz .LBB88_1363
; %bb.1362:
	global_load_b64 v[7:8], v[0:1], off
	s_mov_b32 s0, 0
	s_mov_b32 s11, -1
	s_mov_b32 s12, 0
	s_waitcnt vmcnt(0)
	v_clz_i32_u32_e32 v9, v8
	s_delay_alu instid0(VALU_DEP_1) | instskip(NEXT) | instid1(VALU_DEP_1)
	v_min_u32_e32 v9, 32, v9
	v_lshlrev_b64 v[7:8], v9, v[7:8]
	s_delay_alu instid0(VALU_DEP_1) | instskip(NEXT) | instid1(VALU_DEP_1)
	v_min_u32_e32 v7, 1, v7
	v_or_b32_e32 v7, v8, v7
	v_sub_nc_u32_e32 v8, 32, v9
	s_delay_alu instid0(VALU_DEP_2) | instskip(NEXT) | instid1(VALU_DEP_1)
	v_cvt_f32_u32_e32 v7, v7
	v_ldexp_f32 v9, v7, v8
	s_branch .LBB88_1365
.LBB88_1363:
	s_mov_b32 s0, -1
                                        ; implicit-def: $vgpr9
.LBB88_1364:
	s_mov_b32 s12, 0
.LBB88_1365:
	s_delay_alu instid0(SALU_CYCLE_1)
	s_and_b32 vcc_lo, exec_lo, s12
	s_cbranch_vccz .LBB88_1383
; %bb.1366:
	v_cmp_gt_i16_e32 vcc_lo, 27, v6
	s_cbranch_vccnz .LBB88_1369
; %bb.1367:
	v_cmp_lt_i16_e32 vcc_lo, 27, v6
	s_cbranch_vccz .LBB88_1370
; %bb.1368:
	global_load_b32 v7, v[0:1], off
	s_mov_b32 s11, 0
	s_waitcnt vmcnt(0)
	v_cvt_f32_u32_e32 v9, v7
	s_branch .LBB88_1371
.LBB88_1369:
	s_mov_b32 s11, -1
                                        ; implicit-def: $vgpr9
	s_branch .LBB88_1374
.LBB88_1370:
	s_mov_b32 s11, -1
                                        ; implicit-def: $vgpr9
.LBB88_1371:
	s_delay_alu instid0(SALU_CYCLE_1)
	s_and_not1_b32 vcc_lo, exec_lo, s11
	s_cbranch_vccnz .LBB88_1373
; %bb.1372:
	global_load_u16 v7, v[0:1], off
	s_waitcnt vmcnt(0)
	v_cvt_f32_u32_e32 v9, v7
.LBB88_1373:
	s_mov_b32 s11, 0
.LBB88_1374:
	s_delay_alu instid0(SALU_CYCLE_1)
	s_and_not1_b32 vcc_lo, exec_lo, s11
	s_cbranch_vccnz .LBB88_1382
; %bb.1375:
	global_load_u8 v7, v[0:1], off
	s_mov_b32 s11, 0
	s_mov_b32 s13, exec_lo
                                        ; implicit-def: $sgpr12
	s_waitcnt vmcnt(0)
	v_cmpx_lt_i16_e32 0x7f, v7
	s_xor_b32 s13, exec_lo, s13
	s_cbranch_execz .LBB88_1396
; %bb.1376:
	s_mov_b32 s11, -1
	s_mov_b32 s14, exec_lo
                                        ; implicit-def: $sgpr12
	v_cmpx_eq_u16_e32 0x80, v7
; %bb.1377:
	s_mov_b32 s12, 0x7f800001
	s_xor_b32 s11, exec_lo, -1
; %bb.1378:
	s_or_b32 exec_lo, exec_lo, s14
	s_delay_alu instid0(SALU_CYCLE_1)
	s_and_b32 s11, s11, exec_lo
	s_or_saveexec_b32 s13, s13
	v_mov_b32_e32 v9, s12
	s_xor_b32 exec_lo, exec_lo, s13
	s_cbranch_execnz .LBB88_1397
.LBB88_1379:
	s_or_b32 exec_lo, exec_lo, s13
	s_and_saveexec_b32 s12, s11
	s_cbranch_execz .LBB88_1381
.LBB88_1380:
	v_and_b32_e32 v8, 0xffff, v7
	v_lshlrev_b32_e32 v7, 24, v7
	s_delay_alu instid0(VALU_DEP_2) | instskip(NEXT) | instid1(VALU_DEP_2)
	v_and_b32_e32 v9, 7, v8
	v_and_b32_e32 v7, 0x80000000, v7
	s_delay_alu instid0(VALU_DEP_2) | instskip(NEXT) | instid1(VALU_DEP_1)
	v_clz_i32_u32_e32 v11, v9
	v_min_u32_e32 v11, 32, v11
	s_delay_alu instid0(VALU_DEP_1) | instskip(SKIP_1) | instid1(VALU_DEP_2)
	v_subrev_nc_u32_e32 v12, 28, v11
	v_sub_nc_u32_e32 v11, 29, v11
	v_lshlrev_b32_e32 v12, v12, v8
	v_bfe_u32 v8, v8, 3, 4
	s_delay_alu instid0(VALU_DEP_2) | instskip(NEXT) | instid1(VALU_DEP_2)
	v_and_b32_e32 v12, 7, v12
	v_cmp_eq_u32_e32 vcc_lo, 0, v8
	s_delay_alu instid0(VALU_DEP_2) | instskip(NEXT) | instid1(VALU_DEP_1)
	v_dual_cndmask_b32 v8, v8, v11 :: v_dual_cndmask_b32 v9, v9, v12
	v_lshl_add_u32 v8, v8, 23, 0x3b800000
	s_delay_alu instid0(VALU_DEP_2) | instskip(NEXT) | instid1(VALU_DEP_1)
	v_lshlrev_b32_e32 v9, 20, v9
	v_or3_b32 v9, v7, v8, v9
.LBB88_1381:
	s_or_b32 exec_lo, exec_lo, s12
.LBB88_1382:
	s_mov_b32 s11, -1
.LBB88_1383:
	s_mov_b32 s12, 0
.LBB88_1384:
	s_delay_alu instid0(SALU_CYCLE_1)
	s_and_b32 vcc_lo, exec_lo, s12
	s_cbranch_vccz .LBB88_1417
; %bb.1385:
	v_cmp_lt_i16_e32 vcc_lo, 22, v6
	s_cbranch_vccz .LBB88_1395
; %bb.1386:
	v_cmp_gt_i16_e32 vcc_lo, 24, v6
	s_cbranch_vccnz .LBB88_1398
; %bb.1387:
	v_cmp_lt_i16_e32 vcc_lo, 24, v6
	s_cbranch_vccz .LBB88_1399
; %bb.1388:
	global_load_u8 v7, v[0:1], off
	s_mov_b32 s12, exec_lo
                                        ; implicit-def: $sgpr11
	s_waitcnt vmcnt(0)
	v_cmpx_lt_i16_e32 0x7f, v7
	s_xor_b32 s12, exec_lo, s12
	s_cbranch_execz .LBB88_1411
; %bb.1389:
	s_mov_b32 s10, -1
	s_mov_b32 s13, exec_lo
                                        ; implicit-def: $sgpr11
	v_cmpx_eq_u16_e32 0x80, v7
; %bb.1390:
	s_mov_b32 s11, 0x7f800001
	s_xor_b32 s10, exec_lo, -1
; %bb.1391:
	s_or_b32 exec_lo, exec_lo, s13
	s_delay_alu instid0(SALU_CYCLE_1)
	s_and_b32 s10, s10, exec_lo
	s_or_saveexec_b32 s12, s12
	v_mov_b32_e32 v9, s11
	s_xor_b32 exec_lo, exec_lo, s12
	s_cbranch_execnz .LBB88_1412
.LBB88_1392:
	s_or_b32 exec_lo, exec_lo, s12
	s_and_saveexec_b32 s11, s10
	s_cbranch_execz .LBB88_1394
.LBB88_1393:
	v_and_b32_e32 v8, 0xffff, v7
	v_lshlrev_b32_e32 v7, 24, v7
	s_delay_alu instid0(VALU_DEP_2) | instskip(NEXT) | instid1(VALU_DEP_2)
	v_and_b32_e32 v9, 3, v8
	v_and_b32_e32 v7, 0x80000000, v7
	s_delay_alu instid0(VALU_DEP_2) | instskip(NEXT) | instid1(VALU_DEP_1)
	v_clz_i32_u32_e32 v11, v9
	v_min_u32_e32 v11, 32, v11
	s_delay_alu instid0(VALU_DEP_1) | instskip(SKIP_1) | instid1(VALU_DEP_2)
	v_subrev_nc_u32_e32 v12, 29, v11
	v_sub_nc_u32_e32 v11, 30, v11
	v_lshlrev_b32_e32 v12, v12, v8
	v_bfe_u32 v8, v8, 2, 5
	s_delay_alu instid0(VALU_DEP_2) | instskip(NEXT) | instid1(VALU_DEP_2)
	v_and_b32_e32 v12, 3, v12
	v_cmp_eq_u32_e32 vcc_lo, 0, v8
	s_delay_alu instid0(VALU_DEP_2) | instskip(NEXT) | instid1(VALU_DEP_1)
	v_dual_cndmask_b32 v8, v8, v11 :: v_dual_cndmask_b32 v9, v9, v12
	v_lshl_add_u32 v8, v8, 23, 0x37800000
	s_delay_alu instid0(VALU_DEP_2) | instskip(NEXT) | instid1(VALU_DEP_1)
	v_lshlrev_b32_e32 v9, 21, v9
	v_or3_b32 v9, v7, v8, v9
.LBB88_1394:
	s_or_b32 exec_lo, exec_lo, s11
	s_mov_b32 s10, 0
	s_branch .LBB88_1400
.LBB88_1395:
	s_mov_b32 s10, -1
                                        ; implicit-def: $vgpr9
	s_branch .LBB88_1406
.LBB88_1396:
	s_or_saveexec_b32 s13, s13
	v_mov_b32_e32 v9, s12
	s_xor_b32 exec_lo, exec_lo, s13
	s_cbranch_execz .LBB88_1379
.LBB88_1397:
	v_cmp_ne_u16_e32 vcc_lo, 0, v7
	v_mov_b32_e32 v9, 0
	s_and_not1_b32 s11, s11, exec_lo
	s_and_b32 s12, vcc_lo, exec_lo
	s_delay_alu instid0(SALU_CYCLE_1)
	s_or_b32 s11, s11, s12
	s_or_b32 exec_lo, exec_lo, s13
	s_and_saveexec_b32 s12, s11
	s_cbranch_execnz .LBB88_1380
	s_branch .LBB88_1381
.LBB88_1398:
	s_mov_b32 s10, -1
                                        ; implicit-def: $vgpr9
	s_branch .LBB88_1403
.LBB88_1399:
	s_mov_b32 s10, -1
                                        ; implicit-def: $vgpr9
.LBB88_1400:
	s_delay_alu instid0(SALU_CYCLE_1)
	s_and_b32 vcc_lo, exec_lo, s10
	s_cbranch_vccz .LBB88_1402
; %bb.1401:
	global_load_u8 v7, v[0:1], off
	s_waitcnt vmcnt(0)
	v_lshlrev_b32_e32 v7, 24, v7
	s_delay_alu instid0(VALU_DEP_1) | instskip(NEXT) | instid1(VALU_DEP_1)
	v_and_b32_e32 v8, 0x7f000000, v7
	v_clz_i32_u32_e32 v9, v8
	v_add_nc_u32_e32 v12, 0x1000000, v8
	v_cmp_ne_u32_e32 vcc_lo, 0, v8
	s_delay_alu instid0(VALU_DEP_3) | instskip(NEXT) | instid1(VALU_DEP_1)
	v_min_u32_e32 v9, 32, v9
	v_sub_nc_u32_e64 v9, v9, 4 clamp
	s_delay_alu instid0(VALU_DEP_1) | instskip(SKIP_1) | instid1(VALU_DEP_2)
	v_lshlrev_b32_e32 v11, v9, v8
	v_lshlrev_b32_e32 v9, 23, v9
	v_lshrrev_b32_e32 v11, 4, v11
	s_delay_alu instid0(VALU_DEP_1) | instskip(SKIP_1) | instid1(VALU_DEP_2)
	v_sub_nc_u32_e32 v9, v11, v9
	v_ashrrev_i32_e32 v11, 8, v12
	v_add_nc_u32_e32 v9, 0x3c000000, v9
	s_delay_alu instid0(VALU_DEP_1) | instskip(NEXT) | instid1(VALU_DEP_1)
	v_and_or_b32 v9, 0x7f800000, v11, v9
	v_cndmask_b32_e32 v8, 0, v9, vcc_lo
	s_delay_alu instid0(VALU_DEP_1)
	v_and_or_b32 v9, 0x80000000, v7, v8
.LBB88_1402:
	s_mov_b32 s10, 0
.LBB88_1403:
	s_delay_alu instid0(SALU_CYCLE_1)
	s_and_not1_b32 vcc_lo, exec_lo, s10
	s_cbranch_vccnz .LBB88_1405
; %bb.1404:
	global_load_u8 v7, v[0:1], off
	s_waitcnt vmcnt(0)
	v_lshlrev_b32_e32 v8, 25, v7
	v_lshlrev_b16 v7, 8, v7
	s_delay_alu instid0(VALU_DEP_2) | instskip(NEXT) | instid1(VALU_DEP_2)
	v_lshrrev_b32_e32 v9, 4, v8
	v_and_or_b32 v11, 0x7f00, v7, 0.5
	v_bfe_i32 v7, v7, 0, 16
	s_delay_alu instid0(VALU_DEP_3) | instskip(NEXT) | instid1(VALU_DEP_3)
	v_or_b32_e32 v9, 0x70000000, v9
	v_add_f32_e32 v11, -0.5, v11
	s_delay_alu instid0(VALU_DEP_2) | instskip(SKIP_1) | instid1(VALU_DEP_2)
	v_mul_f32_e32 v9, 0x7800000, v9
	v_cmp_gt_u32_e32 vcc_lo, 0x8000000, v8
	v_cndmask_b32_e32 v8, v9, v11, vcc_lo
	s_delay_alu instid0(VALU_DEP_1)
	v_and_or_b32 v9, 0x80000000, v7, v8
.LBB88_1405:
	s_mov_b32 s10, 0
	s_mov_b32 s11, -1
.LBB88_1406:
	s_and_not1_b32 vcc_lo, exec_lo, s10
	s_mov_b32 s10, 0
	s_cbranch_vccnz .LBB88_1417
; %bb.1407:
	v_cmp_lt_i16_e32 vcc_lo, 14, v6
	s_cbranch_vccz .LBB88_1410
; %bb.1408:
	v_cmp_eq_u16_e32 vcc_lo, 15, v6
	s_cbranch_vccz .LBB88_1413
; %bb.1409:
	global_load_u16 v7, v[0:1], off
	s_mov_b32 s0, 0
	s_mov_b32 s11, -1
	s_waitcnt vmcnt(0)
	v_lshlrev_b32_e32 v9, 16, v7
	s_branch .LBB88_1415
.LBB88_1410:
	s_mov_b32 s10, -1
	s_branch .LBB88_1414
.LBB88_1411:
	s_or_saveexec_b32 s12, s12
	v_mov_b32_e32 v9, s11
	s_xor_b32 exec_lo, exec_lo, s12
	s_cbranch_execz .LBB88_1392
.LBB88_1412:
	v_cmp_ne_u16_e32 vcc_lo, 0, v7
	v_mov_b32_e32 v9, 0
	s_and_not1_b32 s10, s10, exec_lo
	s_and_b32 s11, vcc_lo, exec_lo
	s_delay_alu instid0(SALU_CYCLE_1)
	s_or_b32 s10, s10, s11
	s_or_b32 exec_lo, exec_lo, s12
	s_and_saveexec_b32 s11, s10
	s_cbranch_execnz .LBB88_1393
	s_branch .LBB88_1394
.LBB88_1413:
	s_mov_b32 s0, -1
.LBB88_1414:
                                        ; implicit-def: $vgpr9
.LBB88_1415:
	s_and_b32 vcc_lo, exec_lo, s10
	s_mov_b32 s10, 0
	s_cbranch_vccz .LBB88_1417
; %bb.1416:
	v_cmp_ne_u16_e64 s0, 11, v6
	s_mov_b32 s10, -1
                                        ; implicit-def: $vgpr9
.LBB88_1417:
	s_delay_alu instid0(VALU_DEP_1)
	s_and_b32 vcc_lo, exec_lo, s0
	s_cbranch_vccnz .LBB88_1433
; %bb.1418:
	s_and_not1_b32 vcc_lo, exec_lo, s10
	s_cbranch_vccnz .LBB88_1420
.LBB88_1419:
	global_load_u8 v7, v[0:1], off
	s_mov_b32 s11, -1
	s_waitcnt vmcnt(0)
	v_cmp_ne_u16_e32 vcc_lo, 0, v7
	v_cndmask_b32_e64 v9, 0, 1.0, vcc_lo
.LBB88_1420:
.LBB88_1421:
	s_and_not1_b32 vcc_lo, exec_lo, s11
	s_cbranch_vccnz .LBB88_1986
.LBB88_1422:
	v_add_nc_u32_e32 v0, s3, v3
	v_cmp_gt_i16_e32 vcc_lo, 11, v6
	s_delay_alu instid0(VALU_DEP_2) | instskip(SKIP_1) | instid1(VALU_DEP_1)
	v_ashrrev_i32_e32 v1, 31, v0
	v_add_co_u32 v0, s0, s6, v0
	v_add_co_ci_u32_e64 v1, s0, s7, v1, s0
	s_cbranch_vccnz .LBB88_1429
; %bb.1423:
	v_cmp_lt_i16_e32 vcc_lo, 25, v6
	s_mov_b32 s3, 0
	s_cbranch_vccz .LBB88_1430
; %bb.1424:
	v_cmp_lt_i16_e32 vcc_lo, 28, v6
	s_cbranch_vccz .LBB88_1431
; %bb.1425:
	v_cmp_lt_i16_e32 vcc_lo, 43, v6
	;; [unrolled: 3-line block ×3, first 2 shown]
	s_cbranch_vccz .LBB88_1435
; %bb.1427:
	v_cmp_eq_u16_e32 vcc_lo, 46, v6
	s_mov_b32 s7, 0
	s_cbranch_vccz .LBB88_1438
; %bb.1428:
	global_load_b32 v3, v[0:1], off
	s_mov_b32 s0, 0
	s_mov_b32 s6, -1
	s_waitcnt vmcnt(0)
	v_lshlrev_b32_e32 v8, 16, v3
	s_branch .LBB88_1440
.LBB88_1429:
	s_mov_b32 s0, -1
	s_mov_b32 s6, 0
                                        ; implicit-def: $vgpr8
	s_branch .LBB88_1506
.LBB88_1430:
	s_mov_b32 s7, -1
	s_mov_b32 s6, 0
	s_mov_b32 s0, 0
                                        ; implicit-def: $vgpr8
	s_branch .LBB88_1469
.LBB88_1431:
	s_mov_b32 s7, -1
	s_mov_b32 s6, 0
	s_mov_b32 s0, 0
                                        ; implicit-def: $vgpr8
	s_branch .LBB88_1450
.LBB88_1432:
	s_mov_b32 s7, -1
	s_mov_b32 s6, 0
	s_mov_b32 s0, 0
                                        ; implicit-def: $vgpr8
	s_branch .LBB88_1445
.LBB88_1433:
	s_cbranch_execnz .LBB88_1436
; %bb.1434:
	s_or_b32 s1, s1, exec_lo
                                        ; implicit-def: $vgpr9
	s_cbranch_execz .LBB88_1419
	s_branch .LBB88_1420
.LBB88_1435:
	s_mov_b32 s7, -1
	s_mov_b32 s6, 0
	s_mov_b32 s0, 0
	s_branch .LBB88_1439
.LBB88_1436:
	s_trap 2
	s_sendmsg_rtn_b32 s0, sendmsg(MSG_RTN_GET_DOORBELL)
	s_mov_b32 ttmp2, m0
	s_waitcnt lgkmcnt(0)
	s_and_b32 s0, s0, 0x3ff
	s_delay_alu instid0(SALU_CYCLE_1) | instskip(NEXT) | instid1(SALU_CYCLE_1)
	s_bitset1_b32 s0, 10
	s_mov_b32 m0, s0
	s_sendmsg sendmsg(MSG_INTERRUPT)
	s_mov_b32 m0, ttmp2
.LBB88_1437:                            ; =>This Inner Loop Header: Depth=1
	s_sethalt 5
	s_branch .LBB88_1437
.LBB88_1438:
	s_mov_b32 s0, -1
	s_mov_b32 s6, 0
.LBB88_1439:
                                        ; implicit-def: $vgpr8
.LBB88_1440:
	s_and_b32 vcc_lo, exec_lo, s7
	s_cbranch_vccz .LBB88_1444
; %bb.1441:
	v_cmp_eq_u16_e32 vcc_lo, 44, v6
	s_cbranch_vccz .LBB88_1443
; %bb.1442:
	global_load_u8 v3, v[0:1], off
	s_mov_b32 s0, 0
	s_mov_b32 s6, -1
	s_waitcnt vmcnt(0)
	v_lshlrev_b32_e32 v7, 23, v3
	v_cmp_ne_u32_e32 vcc_lo, 0xff, v3
	s_delay_alu instid0(VALU_DEP_2) | instskip(SKIP_1) | instid1(VALU_DEP_2)
	v_cndmask_b32_e32 v7, 0x7f800001, v7, vcc_lo
	v_cmp_ne_u32_e32 vcc_lo, 0, v3
	v_cndmask_b32_e32 v8, 0x400000, v7, vcc_lo
	s_branch .LBB88_1444
.LBB88_1443:
	s_mov_b32 s0, -1
                                        ; implicit-def: $vgpr8
.LBB88_1444:
	s_mov_b32 s7, 0
.LBB88_1445:
	s_delay_alu instid0(SALU_CYCLE_1)
	s_and_b32 vcc_lo, exec_lo, s7
	s_cbranch_vccz .LBB88_1449
; %bb.1446:
	v_cmp_eq_u16_e32 vcc_lo, 29, v6
	s_cbranch_vccz .LBB88_1448
; %bb.1447:
	global_load_b64 v[7:8], v[0:1], off
	s_mov_b32 s0, 0
	s_mov_b32 s6, -1
	s_mov_b32 s7, 0
	s_waitcnt vmcnt(0)
	v_clz_i32_u32_e32 v3, v8
	s_delay_alu instid0(VALU_DEP_1) | instskip(NEXT) | instid1(VALU_DEP_1)
	v_min_u32_e32 v3, 32, v3
	v_lshlrev_b64 v[7:8], v3, v[7:8]
	v_sub_nc_u32_e32 v3, 32, v3
	s_delay_alu instid0(VALU_DEP_2) | instskip(NEXT) | instid1(VALU_DEP_1)
	v_min_u32_e32 v7, 1, v7
	v_or_b32_e32 v7, v8, v7
	s_delay_alu instid0(VALU_DEP_1) | instskip(NEXT) | instid1(VALU_DEP_1)
	v_cvt_f32_u32_e32 v7, v7
	v_ldexp_f32 v8, v7, v3
	s_branch .LBB88_1450
.LBB88_1448:
	s_mov_b32 s0, -1
                                        ; implicit-def: $vgpr8
.LBB88_1449:
	s_mov_b32 s7, 0
.LBB88_1450:
	s_delay_alu instid0(SALU_CYCLE_1)
	s_and_b32 vcc_lo, exec_lo, s7
	s_cbranch_vccz .LBB88_1468
; %bb.1451:
	v_cmp_gt_i16_e32 vcc_lo, 27, v6
	s_cbranch_vccnz .LBB88_1454
; %bb.1452:
	v_cmp_lt_i16_e32 vcc_lo, 27, v6
	s_cbranch_vccz .LBB88_1455
; %bb.1453:
	global_load_b32 v3, v[0:1], off
	s_mov_b32 s6, 0
	s_waitcnt vmcnt(0)
	v_cvt_f32_u32_e32 v8, v3
	s_branch .LBB88_1456
.LBB88_1454:
	s_mov_b32 s6, -1
                                        ; implicit-def: $vgpr8
	s_branch .LBB88_1459
.LBB88_1455:
	s_mov_b32 s6, -1
                                        ; implicit-def: $vgpr8
.LBB88_1456:
	s_delay_alu instid0(SALU_CYCLE_1)
	s_and_not1_b32 vcc_lo, exec_lo, s6
	s_cbranch_vccnz .LBB88_1458
; %bb.1457:
	global_load_u16 v3, v[0:1], off
	s_waitcnt vmcnt(0)
	v_cvt_f32_u32_e32 v8, v3
.LBB88_1458:
	s_mov_b32 s6, 0
.LBB88_1459:
	s_delay_alu instid0(SALU_CYCLE_1)
	s_and_not1_b32 vcc_lo, exec_lo, s6
	s_cbranch_vccnz .LBB88_1467
; %bb.1460:
	global_load_u8 v3, v[0:1], off
	s_mov_b32 s6, 0
	s_mov_b32 s10, exec_lo
                                        ; implicit-def: $sgpr7
	s_waitcnt vmcnt(0)
	v_cmpx_lt_i16_e32 0x7f, v3
	s_xor_b32 s10, exec_lo, s10
	s_cbranch_execz .LBB88_1481
; %bb.1461:
	s_mov_b32 s6, -1
	s_mov_b32 s11, exec_lo
                                        ; implicit-def: $sgpr7
	v_cmpx_eq_u16_e32 0x80, v3
; %bb.1462:
	s_mov_b32 s7, 0x7f800001
	s_xor_b32 s6, exec_lo, -1
; %bb.1463:
	s_or_b32 exec_lo, exec_lo, s11
	s_delay_alu instid0(SALU_CYCLE_1)
	s_and_b32 s6, s6, exec_lo
	s_or_saveexec_b32 s10, s10
	v_mov_b32_e32 v8, s7
	s_xor_b32 exec_lo, exec_lo, s10
	s_cbranch_execnz .LBB88_1482
.LBB88_1464:
	s_or_b32 exec_lo, exec_lo, s10
	s_and_saveexec_b32 s7, s6
	s_cbranch_execz .LBB88_1466
.LBB88_1465:
	v_and_b32_e32 v7, 0xffff, v3
	v_lshlrev_b32_e32 v3, 24, v3
	s_delay_alu instid0(VALU_DEP_2) | instskip(NEXT) | instid1(VALU_DEP_2)
	v_and_b32_e32 v8, 7, v7
	v_and_b32_e32 v3, 0x80000000, v3
	s_delay_alu instid0(VALU_DEP_2) | instskip(NEXT) | instid1(VALU_DEP_1)
	v_clz_i32_u32_e32 v11, v8
	v_min_u32_e32 v11, 32, v11
	s_delay_alu instid0(VALU_DEP_1) | instskip(SKIP_1) | instid1(VALU_DEP_2)
	v_subrev_nc_u32_e32 v12, 28, v11
	v_sub_nc_u32_e32 v11, 29, v11
	v_lshlrev_b32_e32 v12, v12, v7
	v_bfe_u32 v7, v7, 3, 4
	s_delay_alu instid0(VALU_DEP_1) | instskip(NEXT) | instid1(VALU_DEP_3)
	v_cmp_eq_u32_e32 vcc_lo, 0, v7
	v_dual_cndmask_b32 v7, v7, v11 :: v_dual_and_b32 v12, 7, v12
	s_delay_alu instid0(VALU_DEP_1) | instskip(NEXT) | instid1(VALU_DEP_2)
	v_cndmask_b32_e32 v8, v8, v12, vcc_lo
	v_lshl_add_u32 v7, v7, 23, 0x3b800000
	s_delay_alu instid0(VALU_DEP_2) | instskip(NEXT) | instid1(VALU_DEP_1)
	v_lshlrev_b32_e32 v8, 20, v8
	v_or3_b32 v8, v3, v7, v8
.LBB88_1466:
	s_or_b32 exec_lo, exec_lo, s7
.LBB88_1467:
	s_mov_b32 s6, -1
.LBB88_1468:
	s_mov_b32 s7, 0
.LBB88_1469:
	s_delay_alu instid0(SALU_CYCLE_1)
	s_and_b32 vcc_lo, exec_lo, s7
	s_cbranch_vccz .LBB88_1502
; %bb.1470:
	v_cmp_lt_i16_e32 vcc_lo, 22, v6
	s_cbranch_vccz .LBB88_1480
; %bb.1471:
	v_cmp_gt_i16_e32 vcc_lo, 24, v6
	s_cbranch_vccnz .LBB88_1483
; %bb.1472:
	v_cmp_lt_i16_e32 vcc_lo, 24, v6
	s_cbranch_vccz .LBB88_1484
; %bb.1473:
	global_load_u8 v3, v[0:1], off
	s_mov_b32 s7, exec_lo
                                        ; implicit-def: $sgpr6
	s_waitcnt vmcnt(0)
	v_cmpx_lt_i16_e32 0x7f, v3
	s_xor_b32 s7, exec_lo, s7
	s_cbranch_execz .LBB88_1496
; %bb.1474:
	s_mov_b32 s3, -1
	s_mov_b32 s10, exec_lo
                                        ; implicit-def: $sgpr6
	v_cmpx_eq_u16_e32 0x80, v3
; %bb.1475:
	s_mov_b32 s6, 0x7f800001
	s_xor_b32 s3, exec_lo, -1
; %bb.1476:
	s_or_b32 exec_lo, exec_lo, s10
	s_delay_alu instid0(SALU_CYCLE_1)
	s_and_b32 s3, s3, exec_lo
	s_or_saveexec_b32 s7, s7
	v_mov_b32_e32 v8, s6
	s_xor_b32 exec_lo, exec_lo, s7
	s_cbranch_execnz .LBB88_1497
.LBB88_1477:
	s_or_b32 exec_lo, exec_lo, s7
	s_and_saveexec_b32 s6, s3
	s_cbranch_execz .LBB88_1479
.LBB88_1478:
	v_and_b32_e32 v7, 0xffff, v3
	v_lshlrev_b32_e32 v3, 24, v3
	s_delay_alu instid0(VALU_DEP_2) | instskip(NEXT) | instid1(VALU_DEP_2)
	v_and_b32_e32 v8, 3, v7
	v_and_b32_e32 v3, 0x80000000, v3
	s_delay_alu instid0(VALU_DEP_2) | instskip(NEXT) | instid1(VALU_DEP_1)
	v_clz_i32_u32_e32 v11, v8
	v_min_u32_e32 v11, 32, v11
	s_delay_alu instid0(VALU_DEP_1) | instskip(SKIP_1) | instid1(VALU_DEP_2)
	v_subrev_nc_u32_e32 v12, 29, v11
	v_sub_nc_u32_e32 v11, 30, v11
	v_lshlrev_b32_e32 v12, v12, v7
	v_bfe_u32 v7, v7, 2, 5
	s_delay_alu instid0(VALU_DEP_1) | instskip(NEXT) | instid1(VALU_DEP_3)
	v_cmp_eq_u32_e32 vcc_lo, 0, v7
	v_dual_cndmask_b32 v7, v7, v11 :: v_dual_and_b32 v12, 3, v12
	s_delay_alu instid0(VALU_DEP_1) | instskip(NEXT) | instid1(VALU_DEP_2)
	v_cndmask_b32_e32 v8, v8, v12, vcc_lo
	v_lshl_add_u32 v7, v7, 23, 0x37800000
	s_delay_alu instid0(VALU_DEP_2) | instskip(NEXT) | instid1(VALU_DEP_1)
	v_lshlrev_b32_e32 v8, 21, v8
	v_or3_b32 v8, v3, v7, v8
.LBB88_1479:
	s_or_b32 exec_lo, exec_lo, s6
	s_mov_b32 s3, 0
	s_branch .LBB88_1485
.LBB88_1480:
	s_mov_b32 s3, -1
                                        ; implicit-def: $vgpr8
	s_branch .LBB88_1491
.LBB88_1481:
	s_or_saveexec_b32 s10, s10
	v_mov_b32_e32 v8, s7
	s_xor_b32 exec_lo, exec_lo, s10
	s_cbranch_execz .LBB88_1464
.LBB88_1482:
	v_cmp_ne_u16_e32 vcc_lo, 0, v3
	v_mov_b32_e32 v8, 0
	s_and_not1_b32 s6, s6, exec_lo
	s_and_b32 s7, vcc_lo, exec_lo
	s_delay_alu instid0(SALU_CYCLE_1)
	s_or_b32 s6, s6, s7
	s_or_b32 exec_lo, exec_lo, s10
	s_and_saveexec_b32 s7, s6
	s_cbranch_execnz .LBB88_1465
	s_branch .LBB88_1466
.LBB88_1483:
	s_mov_b32 s3, -1
                                        ; implicit-def: $vgpr8
	s_branch .LBB88_1488
.LBB88_1484:
	s_mov_b32 s3, -1
                                        ; implicit-def: $vgpr8
.LBB88_1485:
	s_delay_alu instid0(SALU_CYCLE_1)
	s_and_b32 vcc_lo, exec_lo, s3
	s_cbranch_vccz .LBB88_1487
; %bb.1486:
	global_load_u8 v3, v[0:1], off
	s_waitcnt vmcnt(0)
	v_lshlrev_b32_e32 v3, 24, v3
	s_delay_alu instid0(VALU_DEP_1) | instskip(NEXT) | instid1(VALU_DEP_1)
	v_and_b32_e32 v7, 0x7f000000, v3
	v_clz_i32_u32_e32 v8, v7
	v_cmp_ne_u32_e32 vcc_lo, 0, v7
	v_add_nc_u32_e32 v12, 0x1000000, v7
	s_delay_alu instid0(VALU_DEP_3) | instskip(NEXT) | instid1(VALU_DEP_1)
	v_min_u32_e32 v8, 32, v8
	v_sub_nc_u32_e64 v8, v8, 4 clamp
	s_delay_alu instid0(VALU_DEP_1) | instskip(SKIP_1) | instid1(VALU_DEP_2)
	v_lshlrev_b32_e32 v11, v8, v7
	v_lshlrev_b32_e32 v8, 23, v8
	v_lshrrev_b32_e32 v11, 4, v11
	s_delay_alu instid0(VALU_DEP_1) | instskip(SKIP_1) | instid1(VALU_DEP_2)
	v_sub_nc_u32_e32 v8, v11, v8
	v_ashrrev_i32_e32 v11, 8, v12
	v_add_nc_u32_e32 v8, 0x3c000000, v8
	s_delay_alu instid0(VALU_DEP_1) | instskip(NEXT) | instid1(VALU_DEP_1)
	v_and_or_b32 v8, 0x7f800000, v11, v8
	v_cndmask_b32_e32 v7, 0, v8, vcc_lo
	s_delay_alu instid0(VALU_DEP_1)
	v_and_or_b32 v8, 0x80000000, v3, v7
.LBB88_1487:
	s_mov_b32 s3, 0
.LBB88_1488:
	s_delay_alu instid0(SALU_CYCLE_1)
	s_and_not1_b32 vcc_lo, exec_lo, s3
	s_cbranch_vccnz .LBB88_1490
; %bb.1489:
	global_load_u8 v3, v[0:1], off
	s_waitcnt vmcnt(0)
	v_lshlrev_b32_e32 v7, 25, v3
	v_lshlrev_b16 v3, 8, v3
	s_delay_alu instid0(VALU_DEP_2) | instskip(NEXT) | instid1(VALU_DEP_2)
	v_lshrrev_b32_e32 v8, 4, v7
	v_and_or_b32 v11, 0x7f00, v3, 0.5
	v_bfe_i32 v3, v3, 0, 16
	s_delay_alu instid0(VALU_DEP_3) | instskip(NEXT) | instid1(VALU_DEP_1)
	v_or_b32_e32 v8, 0x70000000, v8
	v_dual_add_f32 v11, -0.5, v11 :: v_dual_mul_f32 v8, 0x7800000, v8
	v_cmp_gt_u32_e32 vcc_lo, 0x8000000, v7
	s_delay_alu instid0(VALU_DEP_2) | instskip(NEXT) | instid1(VALU_DEP_1)
	v_cndmask_b32_e32 v7, v8, v11, vcc_lo
	v_and_or_b32 v8, 0x80000000, v3, v7
.LBB88_1490:
	s_mov_b32 s3, 0
	s_mov_b32 s6, -1
.LBB88_1491:
	s_and_not1_b32 vcc_lo, exec_lo, s3
	s_mov_b32 s3, 0
	s_cbranch_vccnz .LBB88_1502
; %bb.1492:
	v_cmp_lt_i16_e32 vcc_lo, 14, v6
	s_cbranch_vccz .LBB88_1495
; %bb.1493:
	v_cmp_eq_u16_e32 vcc_lo, 15, v6
	s_cbranch_vccz .LBB88_1498
; %bb.1494:
	global_load_u16 v3, v[0:1], off
	s_mov_b32 s0, 0
	s_mov_b32 s6, -1
	s_waitcnt vmcnt(0)
	v_lshlrev_b32_e32 v8, 16, v3
	s_branch .LBB88_1500
.LBB88_1495:
	s_mov_b32 s3, -1
	s_branch .LBB88_1499
.LBB88_1496:
	s_or_saveexec_b32 s7, s7
	v_mov_b32_e32 v8, s6
	s_xor_b32 exec_lo, exec_lo, s7
	s_cbranch_execz .LBB88_1477
.LBB88_1497:
	v_cmp_ne_u16_e32 vcc_lo, 0, v3
	v_mov_b32_e32 v8, 0
	s_and_not1_b32 s3, s3, exec_lo
	s_and_b32 s6, vcc_lo, exec_lo
	s_delay_alu instid0(SALU_CYCLE_1)
	s_or_b32 s3, s3, s6
	s_or_b32 exec_lo, exec_lo, s7
	s_and_saveexec_b32 s6, s3
	s_cbranch_execnz .LBB88_1478
	s_branch .LBB88_1479
.LBB88_1498:
	s_mov_b32 s0, -1
.LBB88_1499:
                                        ; implicit-def: $vgpr8
.LBB88_1500:
	s_and_b32 vcc_lo, exec_lo, s3
	s_mov_b32 s3, 0
	s_cbranch_vccz .LBB88_1502
; %bb.1501:
	v_cmp_ne_u16_e64 s0, 11, v6
	s_mov_b32 s3, -1
                                        ; implicit-def: $vgpr8
.LBB88_1502:
	s_delay_alu instid0(VALU_DEP_1)
	s_and_b32 vcc_lo, exec_lo, s0
	s_cbranch_vccnz .LBB88_2031
; %bb.1503:
	s_and_not1_b32 vcc_lo, exec_lo, s3
	s_cbranch_vccnz .LBB88_1505
.LBB88_1504:
	global_load_u8 v3, v[0:1], off
	s_mov_b32 s6, -1
	s_waitcnt vmcnt(0)
	v_cmp_ne_u16_e32 vcc_lo, 0, v3
	v_cndmask_b32_e64 v8, 0, 1.0, vcc_lo
.LBB88_1505:
	s_mov_b32 s0, 0
.LBB88_1506:
	s_delay_alu instid0(SALU_CYCLE_1)
	s_and_b32 vcc_lo, exec_lo, s0
	s_cbranch_vccz .LBB88_1555
; %bb.1507:
	v_cmp_gt_i16_e32 vcc_lo, 5, v6
	s_cbranch_vccnz .LBB88_1512
; %bb.1508:
	v_cmp_gt_i16_e32 vcc_lo, 8, v6
	s_cbranch_vccnz .LBB88_1513
	;; [unrolled: 3-line block ×3, first 2 shown]
; %bb.1510:
	v_cmp_lt_i16_e32 vcc_lo, 9, v6
	s_cbranch_vccz .LBB88_1515
; %bb.1511:
	global_load_b64 v[7:8], v[0:1], off
	s_mov_b32 s0, 0
	s_waitcnt vmcnt(0)
	v_cvt_f32_f64_e32 v8, v[7:8]
	s_branch .LBB88_1516
.LBB88_1512:
	s_mov_b32 s0, -1
                                        ; implicit-def: $vgpr8
	s_branch .LBB88_1534
.LBB88_1513:
	s_mov_b32 s0, -1
                                        ; implicit-def: $vgpr8
	s_branch .LBB88_1522
.LBB88_1514:
	s_mov_b32 s0, -1
                                        ; implicit-def: $vgpr8
	s_branch .LBB88_1519
.LBB88_1515:
	s_mov_b32 s0, -1
                                        ; implicit-def: $vgpr8
.LBB88_1516:
	s_delay_alu instid0(SALU_CYCLE_1)
	s_and_not1_b32 vcc_lo, exec_lo, s0
	s_cbranch_vccnz .LBB88_1518
; %bb.1517:
	global_load_b32 v8, v[0:1], off
.LBB88_1518:
	s_mov_b32 s0, 0
.LBB88_1519:
	s_delay_alu instid0(SALU_CYCLE_1)
	s_and_not1_b32 vcc_lo, exec_lo, s0
	s_cbranch_vccnz .LBB88_1521
; %bb.1520:
	global_load_b32 v3, v[0:1], off
	s_waitcnt vmcnt(0)
	v_cvt_f32_f16_e32 v8, v3
.LBB88_1521:
	s_mov_b32 s0, 0
.LBB88_1522:
	s_delay_alu instid0(SALU_CYCLE_1)
	s_and_not1_b32 vcc_lo, exec_lo, s0
	s_cbranch_vccnz .LBB88_1533
; %bb.1523:
	v_cmp_gt_i16_e32 vcc_lo, 6, v6
	s_cbranch_vccnz .LBB88_1526
; %bb.1524:
	v_cmp_lt_i16_e32 vcc_lo, 6, v6
	s_cbranch_vccz .LBB88_1527
; %bb.1525:
	global_load_b64 v[7:8], v[0:1], off
	s_mov_b32 s0, 0
	s_waitcnt vmcnt(0)
	v_cvt_f32_f64_e32 v8, v[7:8]
	s_branch .LBB88_1528
.LBB88_1526:
	s_mov_b32 s0, -1
                                        ; implicit-def: $vgpr8
	s_branch .LBB88_1531
.LBB88_1527:
	s_mov_b32 s0, -1
                                        ; implicit-def: $vgpr8
.LBB88_1528:
	s_delay_alu instid0(SALU_CYCLE_1)
	s_and_not1_b32 vcc_lo, exec_lo, s0
	s_cbranch_vccnz .LBB88_1530
; %bb.1529:
	global_load_b32 v8, v[0:1], off
.LBB88_1530:
	s_mov_b32 s0, 0
.LBB88_1531:
	s_delay_alu instid0(SALU_CYCLE_1)
	s_and_not1_b32 vcc_lo, exec_lo, s0
	s_cbranch_vccnz .LBB88_1533
; %bb.1532:
	global_load_u16 v3, v[0:1], off
	s_waitcnt vmcnt(0)
	v_cvt_f32_f16_e32 v8, v3
.LBB88_1533:
	s_mov_b32 s0, 0
.LBB88_1534:
	s_delay_alu instid0(SALU_CYCLE_1)
	s_and_not1_b32 vcc_lo, exec_lo, s0
	s_cbranch_vccnz .LBB88_1554
; %bb.1535:
	v_cmp_gt_i16_e32 vcc_lo, 2, v6
	s_cbranch_vccnz .LBB88_1539
; %bb.1536:
	v_cmp_gt_i16_e32 vcc_lo, 3, v6
	s_cbranch_vccnz .LBB88_1540
; %bb.1537:
	v_cmp_lt_i16_e32 vcc_lo, 3, v6
	s_cbranch_vccz .LBB88_1541
; %bb.1538:
	global_load_b64 v[7:8], v[0:1], off
	s_mov_b32 s0, 0
	s_waitcnt vmcnt(0)
	v_xor_b32_e32 v3, v7, v8
	v_cls_i32_e32 v11, v8
	s_delay_alu instid0(VALU_DEP_2) | instskip(NEXT) | instid1(VALU_DEP_2)
	v_ashrrev_i32_e32 v3, 31, v3
	v_add_nc_u32_e32 v11, -1, v11
	s_delay_alu instid0(VALU_DEP_2) | instskip(NEXT) | instid1(VALU_DEP_1)
	v_add_nc_u32_e32 v3, 32, v3
	v_min_u32_e32 v3, v11, v3
	s_delay_alu instid0(VALU_DEP_1) | instskip(SKIP_1) | instid1(VALU_DEP_2)
	v_lshlrev_b64 v[7:8], v3, v[7:8]
	v_sub_nc_u32_e32 v3, 32, v3
	v_min_u32_e32 v7, 1, v7
	s_delay_alu instid0(VALU_DEP_1) | instskip(NEXT) | instid1(VALU_DEP_1)
	v_or_b32_e32 v7, v8, v7
	v_cvt_f32_i32_e32 v7, v7
	s_delay_alu instid0(VALU_DEP_1)
	v_ldexp_f32 v8, v7, v3
	s_branch .LBB88_1542
.LBB88_1539:
	s_mov_b32 s0, -1
                                        ; implicit-def: $vgpr8
	s_branch .LBB88_1548
.LBB88_1540:
	s_mov_b32 s0, -1
                                        ; implicit-def: $vgpr8
	s_branch .LBB88_1545
.LBB88_1541:
	s_mov_b32 s0, -1
                                        ; implicit-def: $vgpr8
.LBB88_1542:
	s_delay_alu instid0(SALU_CYCLE_1)
	s_and_not1_b32 vcc_lo, exec_lo, s0
	s_cbranch_vccnz .LBB88_1544
; %bb.1543:
	global_load_b32 v3, v[0:1], off
	s_waitcnt vmcnt(0)
	v_cvt_f32_i32_e32 v8, v3
.LBB88_1544:
	s_mov_b32 s0, 0
.LBB88_1545:
	s_delay_alu instid0(SALU_CYCLE_1)
	s_and_not1_b32 vcc_lo, exec_lo, s0
	s_cbranch_vccnz .LBB88_1547
; %bb.1546:
	global_load_i16 v3, v[0:1], off
	s_waitcnt vmcnt(0)
	v_cvt_f32_i32_e32 v8, v3
.LBB88_1547:
	s_mov_b32 s0, 0
.LBB88_1548:
	s_delay_alu instid0(SALU_CYCLE_1)
	s_and_not1_b32 vcc_lo, exec_lo, s0
	s_cbranch_vccnz .LBB88_1554
; %bb.1549:
	v_cmp_lt_i16_e32 vcc_lo, 0, v6
	s_mov_b32 s0, 0
	s_cbranch_vccz .LBB88_1551
; %bb.1550:
	global_load_i8 v3, v[0:1], off
	s_waitcnt vmcnt(0)
	v_cvt_f32_i32_e32 v8, v3
	s_branch .LBB88_1552
.LBB88_1551:
	s_mov_b32 s0, -1
                                        ; implicit-def: $vgpr8
.LBB88_1552:
	s_delay_alu instid0(SALU_CYCLE_1)
	s_and_not1_b32 vcc_lo, exec_lo, s0
	s_cbranch_vccnz .LBB88_1554
; %bb.1553:
	global_load_u8 v0, v[0:1], off
	s_waitcnt vmcnt(0)
	v_cvt_f32_ubyte0_e32 v8, v0
.LBB88_1554:
	s_mov_b32 s6, -1
.LBB88_1555:
	s_delay_alu instid0(SALU_CYCLE_1)
	s_and_not1_b32 vcc_lo, exec_lo, s6
	s_cbranch_vccnz .LBB88_1986
; %bb.1556:
	s_waitcnt vmcnt(0)
	v_mul_f32_e32 v0, 0x3fb8aa3b, v2
	v_mul_lo_u32 v5, s2, v5
	v_cmp_ngt_f32_e64 s0, 0xc2ce8ed0, v2
	s_mov_b32 s6, 0
	v_and_b32_e32 v7, 0xff, v4
	v_rndne_f32_e32 v1, v0
	v_fma_f32 v3, 0x3fb8aa3b, v2, -v0
	s_delay_alu instid0(VALU_DEP_3) | instskip(NEXT) | instid1(VALU_DEP_2)
	v_cmp_gt_i16_e32 vcc_lo, 11, v7
	v_dual_sub_f32 v0, v0, v1 :: v_dual_fmamk_f32 v3, v2, 0x32a5705f, v3
	v_cvt_i32_f32_e32 v1, v1
	s_and_b32 vcc_lo, exec_lo, vcc_lo
	s_delay_alu instid0(VALU_DEP_2) | instskip(NEXT) | instid1(VALU_DEP_1)
	v_add_f32_e32 v0, v0, v3
	v_exp_f32_e32 v0, v0
	s_waitcnt_depctr 0xfff
	v_ldexp_f32 v0, v0, v1
	v_ashrrev_i32_e32 v1, 31, v5
	s_delay_alu instid0(VALU_DEP_2) | instskip(SKIP_1) | instid1(VALU_DEP_1)
	v_cndmask_b32_e64 v3, 0, v0, s0
	v_add_co_u32 v0, s0, s4, v5
	v_add_co_ci_u32_e64 v1, s0, s5, v1, s0
	v_cmp_nlt_f32_e64 s0, 0x42b17218, v2
	s_delay_alu instid0(VALU_DEP_1)
	v_cndmask_b32_e64 v2, 0x7f800000, v3, s0
	s_mov_b32 s0, -1
	s_cbranch_vccnz .LBB88_1634
; %bb.1557:
	v_cmp_lt_i16_e32 vcc_lo, 25, v7
	s_mov_b32 s7, -1
	s_mov_b32 s3, 0
	s_mov_b32 s0, 0
	s_cbranch_vccz .LBB88_1590
; %bb.1558:
	v_cmp_lt_i16_e32 vcc_lo, 28, v7
	s_cbranch_vccz .LBB88_1573
; %bb.1559:
	v_cmp_lt_i16_e32 vcc_lo, 43, v7
	;; [unrolled: 3-line block ×3, first 2 shown]
	s_cbranch_vccz .LBB88_1563
; %bb.1561:
	v_cmp_eq_u16_e32 vcc_lo, 46, v7
	s_mov_b32 s0, -1
	s_mov_b32 s7, 0
	s_cbranch_vccz .LBB88_1563
; %bb.1562:
	v_bfe_u32 v3, v2, 16, 1
	v_cmp_o_f32_e32 vcc_lo, v2, v2
	s_mov_b32 s0, 0
	s_mov_b32 s6, -1
	s_delay_alu instid0(VALU_DEP_2) | instskip(NEXT) | instid1(VALU_DEP_1)
	v_add3_u32 v3, v2, v3, 0x7fff
	v_lshrrev_b32_e32 v3, 16, v3
	s_delay_alu instid0(VALU_DEP_1)
	v_cndmask_b32_e32 v3, 0x7fc0, v3, vcc_lo
	global_store_b32 v[0:1], v3, off
.LBB88_1563:
	s_and_b32 vcc_lo, exec_lo, s7
	s_cbranch_vccz .LBB88_1568
; %bb.1564:
	v_cmp_eq_u16_e32 vcc_lo, 44, v7
	s_mov_b32 s0, -1
	s_cbranch_vccz .LBB88_1568
; %bb.1565:
	v_bfe_u32 v4, v2, 23, 8
	v_mov_b32_e32 v3, 0xff
	s_mov_b32 s6, exec_lo
	s_delay_alu instid0(VALU_DEP_2)
	v_cmpx_ne_u32_e32 0xff, v4
; %bb.1566:
	v_and_b32_e32 v3, 0x400000, v2
	v_and_or_b32 v4, 0x3fffff, v2, v4
	s_delay_alu instid0(VALU_DEP_2) | instskip(NEXT) | instid1(VALU_DEP_2)
	v_cmp_ne_u32_e32 vcc_lo, 0, v3
	v_cmp_ne_u32_e64 s0, 0, v4
	v_lshrrev_b32_e32 v3, 23, v2
	s_delay_alu instid0(VALU_DEP_2) | instskip(NEXT) | instid1(SALU_CYCLE_1)
	s_and_b32 s0, vcc_lo, s0
	v_cndmask_b32_e64 v4, 0, 1, s0
	s_delay_alu instid0(VALU_DEP_1)
	v_add_nc_u32_e32 v3, v3, v4
; %bb.1567:
	s_or_b32 exec_lo, exec_lo, s6
	s_mov_b32 s0, 0
	s_mov_b32 s6, -1
	global_store_b8 v[0:1], v3, off
.LBB88_1568:
	s_mov_b32 s7, 0
.LBB88_1569:
	s_delay_alu instid0(SALU_CYCLE_1)
	s_and_b32 vcc_lo, exec_lo, s7
	s_cbranch_vccz .LBB88_1572
; %bb.1570:
	v_cmp_eq_u16_e32 vcc_lo, 29, v7
	s_mov_b32 s0, -1
	s_cbranch_vccz .LBB88_1572
; %bb.1571:
	v_trunc_f32_e32 v3, v2
	s_mov_b32 s0, 0
	s_mov_b32 s6, -1
	s_delay_alu instid0(VALU_DEP_1) | instskip(NEXT) | instid1(VALU_DEP_1)
	v_mul_f32_e32 v4, 0x2f800000, v3
	v_floor_f32_e32 v4, v4
	s_delay_alu instid0(VALU_DEP_1) | instskip(SKIP_1) | instid1(VALU_DEP_2)
	v_fmamk_f32 v3, v4, 0xcf800000, v3
	v_cvt_u32_f32_e32 v4, v4
	v_cvt_u32_f32_e32 v3, v3
	global_store_b64 v[0:1], v[3:4], off
.LBB88_1572:
	s_mov_b32 s7, 0
.LBB88_1573:
	s_delay_alu instid0(SALU_CYCLE_1)
	s_and_b32 vcc_lo, exec_lo, s7
	s_cbranch_vccz .LBB88_1589
; %bb.1574:
	v_cmp_gt_i16_e32 vcc_lo, 27, v7
	s_mov_b32 s6, -1
	s_cbranch_vccnz .LBB88_1580
; %bb.1575:
	v_cmp_lt_i16_e32 vcc_lo, 27, v7
	v_cvt_u32_f32_e32 v3, v2
	s_cbranch_vccz .LBB88_1577
; %bb.1576:
	s_mov_b32 s6, 0
	global_store_b32 v[0:1], v3, off
.LBB88_1577:
	s_and_not1_b32 vcc_lo, exec_lo, s6
	s_cbranch_vccnz .LBB88_1579
; %bb.1578:
	global_store_b16 v[0:1], v3, off
.LBB88_1579:
	s_mov_b32 s6, 0
.LBB88_1580:
	s_delay_alu instid0(SALU_CYCLE_1)
	s_and_not1_b32 vcc_lo, exec_lo, s6
	s_cbranch_vccnz .LBB88_1588
; %bb.1581:
	v_and_b32_e32 v3, 0x7fffffff, v2
	v_mov_b32_e32 v4, 0x80
	s_mov_b32 s6, exec_lo
	s_delay_alu instid0(VALU_DEP_2)
	v_cmpx_gt_u32_e32 0x43800000, v3
	s_cbranch_execz .LBB88_1587
; %bb.1582:
	v_cmp_lt_u32_e32 vcc_lo, 0x3bffffff, v3
	s_mov_b32 s7, 0
                                        ; implicit-def: $vgpr3
	s_and_saveexec_b32 s10, vcc_lo
	s_delay_alu instid0(SALU_CYCLE_1)
	s_xor_b32 s10, exec_lo, s10
	s_cbranch_execz .LBB88_2033
; %bb.1583:
	v_bfe_u32 v3, v2, 20, 1
	s_mov_b32 s7, exec_lo
	s_delay_alu instid0(VALU_DEP_1) | instskip(NEXT) | instid1(VALU_DEP_1)
	v_add3_u32 v3, v2, v3, 0x487ffff
	v_lshrrev_b32_e32 v3, 20, v3
	s_or_saveexec_b32 s10, s10
                                        ; implicit-def: $sgpr11
	s_delay_alu instid0(SALU_CYCLE_1)
	s_xor_b32 exec_lo, exec_lo, s10
	s_cbranch_execnz .LBB88_2034
.LBB88_1584:
	s_or_b32 exec_lo, exec_lo, s10
	v_mov_b32_e32 v4, s11
	s_and_saveexec_b32 s10, s7
.LBB88_1585:
	v_lshrrev_b32_e32 v4, 24, v2
	s_delay_alu instid0(VALU_DEP_1)
	v_and_or_b32 v4, 0x80, v4, v3
.LBB88_1586:
	s_or_b32 exec_lo, exec_lo, s10
.LBB88_1587:
	s_delay_alu instid0(SALU_CYCLE_1)
	s_or_b32 exec_lo, exec_lo, s6
	global_store_b8 v[0:1], v4, off
.LBB88_1588:
	s_mov_b32 s6, -1
.LBB88_1589:
	s_mov_b32 s7, 0
.LBB88_1590:
	s_delay_alu instid0(SALU_CYCLE_1)
	s_and_b32 vcc_lo, exec_lo, s7
	s_cbranch_vccz .LBB88_1630
; %bb.1591:
	v_cmp_lt_i16_e32 vcc_lo, 22, v7
	s_mov_b32 s3, -1
	s_cbranch_vccz .LBB88_1623
; %bb.1592:
	v_cmp_gt_i16_e32 vcc_lo, 24, v7
	s_cbranch_vccnz .LBB88_1612
; %bb.1593:
	v_cmp_lt_i16_e32 vcc_lo, 24, v7
	s_cbranch_vccz .LBB88_1601
; %bb.1594:
	v_and_b32_e32 v3, 0x7fffffff, v2
	v_mov_b32_e32 v4, 0x80
	s_mov_b32 s3, exec_lo
	s_delay_alu instid0(VALU_DEP_2)
	v_cmpx_gt_u32_e32 0x47800000, v3
	s_cbranch_execz .LBB88_1600
; %bb.1595:
	v_cmp_lt_u32_e32 vcc_lo, 0x37ffffff, v3
	s_mov_b32 s6, 0
                                        ; implicit-def: $vgpr3
	s_and_saveexec_b32 s7, vcc_lo
	s_delay_alu instid0(SALU_CYCLE_1)
	s_xor_b32 s7, exec_lo, s7
	s_cbranch_execz .LBB88_2039
; %bb.1596:
	v_bfe_u32 v3, v2, 21, 1
	s_mov_b32 s6, exec_lo
	s_delay_alu instid0(VALU_DEP_1) | instskip(NEXT) | instid1(VALU_DEP_1)
	v_add3_u32 v3, v2, v3, 0x88fffff
	v_lshrrev_b32_e32 v3, 21, v3
	s_or_saveexec_b32 s7, s7
                                        ; implicit-def: $sgpr10
	s_delay_alu instid0(SALU_CYCLE_1)
	s_xor_b32 exec_lo, exec_lo, s7
	s_cbranch_execnz .LBB88_2040
.LBB88_1597:
	s_or_b32 exec_lo, exec_lo, s7
	v_mov_b32_e32 v4, s10
	s_and_saveexec_b32 s7, s6
.LBB88_1598:
	v_lshrrev_b32_e32 v4, 24, v2
	s_delay_alu instid0(VALU_DEP_1)
	v_and_or_b32 v4, 0x80, v4, v3
.LBB88_1599:
	s_or_b32 exec_lo, exec_lo, s7
.LBB88_1600:
	s_delay_alu instid0(SALU_CYCLE_1)
	s_or_b32 exec_lo, exec_lo, s3
	s_mov_b32 s3, 0
	global_store_b8 v[0:1], v4, off
.LBB88_1601:
	s_and_b32 vcc_lo, exec_lo, s3
	s_cbranch_vccz .LBB88_1611
; %bb.1602:
	v_and_b32_e32 v4, 0x7fffffff, v2
	s_mov_b32 s3, exec_lo
                                        ; implicit-def: $vgpr3
	s_delay_alu instid0(VALU_DEP_1)
	v_cmpx_gt_u32_e32 0x43f00000, v4
	s_xor_b32 s3, exec_lo, s3
	s_cbranch_execz .LBB88_1608
; %bb.1603:
	s_mov_b32 s6, exec_lo
                                        ; implicit-def: $vgpr3
	v_cmpx_lt_u32_e32 0x3c7fffff, v4
	s_xor_b32 s6, exec_lo, s6
; %bb.1604:
	v_bfe_u32 v3, v2, 20, 1
	s_delay_alu instid0(VALU_DEP_1) | instskip(NEXT) | instid1(VALU_DEP_1)
	v_add3_u32 v3, v2, v3, 0x407ffff
	v_and_b32_e32 v4, 0xff00000, v3
	v_lshrrev_b32_e32 v3, 20, v3
	s_delay_alu instid0(VALU_DEP_2) | instskip(NEXT) | instid1(VALU_DEP_2)
	v_cmp_ne_u32_e32 vcc_lo, 0x7f00000, v4
	v_cndmask_b32_e32 v3, 0x7e, v3, vcc_lo
; %bb.1605:
	s_and_not1_saveexec_b32 s6, s6
; %bb.1606:
	v_add_f32_e64 v3, 0x46800000, |v2|
; %bb.1607:
	s_or_b32 exec_lo, exec_lo, s6
                                        ; implicit-def: $vgpr4
.LBB88_1608:
	s_and_not1_saveexec_b32 s3, s3
; %bb.1609:
	v_mov_b32_e32 v3, 0x7f
	v_cmp_lt_u32_e32 vcc_lo, 0x7f800000, v4
	s_delay_alu instid0(VALU_DEP_2)
	v_cndmask_b32_e32 v3, 0x7e, v3, vcc_lo
; %bb.1610:
	s_or_b32 exec_lo, exec_lo, s3
	v_lshrrev_b32_e32 v4, 24, v2
	s_delay_alu instid0(VALU_DEP_1)
	v_and_or_b32 v3, 0x80, v4, v3
	global_store_b8 v[0:1], v3, off
.LBB88_1611:
	s_mov_b32 s3, 0
.LBB88_1612:
	s_delay_alu instid0(SALU_CYCLE_1)
	s_and_not1_b32 vcc_lo, exec_lo, s3
	s_cbranch_vccnz .LBB88_1622
; %bb.1613:
	v_and_b32_e32 v4, 0x7fffffff, v2
	s_mov_b32 s3, exec_lo
                                        ; implicit-def: $vgpr3
	s_delay_alu instid0(VALU_DEP_1)
	v_cmpx_gt_u32_e32 0x47800000, v4
	s_xor_b32 s3, exec_lo, s3
	s_cbranch_execz .LBB88_1619
; %bb.1614:
	s_mov_b32 s6, exec_lo
                                        ; implicit-def: $vgpr3
	v_cmpx_lt_u32_e32 0x387fffff, v4
	s_xor_b32 s6, exec_lo, s6
; %bb.1615:
	v_bfe_u32 v3, v2, 21, 1
	s_delay_alu instid0(VALU_DEP_1) | instskip(NEXT) | instid1(VALU_DEP_1)
	v_add3_u32 v3, v2, v3, 0x80fffff
	v_lshrrev_b32_e32 v3, 21, v3
; %bb.1616:
	s_and_not1_saveexec_b32 s6, s6
; %bb.1617:
	v_add_f32_e64 v3, 0x43000000, |v2|
; %bb.1618:
	s_or_b32 exec_lo, exec_lo, s6
                                        ; implicit-def: $vgpr4
.LBB88_1619:
	s_and_not1_saveexec_b32 s3, s3
; %bb.1620:
	v_mov_b32_e32 v3, 0x7f
	v_cmp_lt_u32_e32 vcc_lo, 0x7f800000, v4
	s_delay_alu instid0(VALU_DEP_2)
	v_cndmask_b32_e32 v3, 0x7c, v3, vcc_lo
; %bb.1621:
	s_or_b32 exec_lo, exec_lo, s3
	v_lshrrev_b32_e32 v4, 24, v2
	s_delay_alu instid0(VALU_DEP_1)
	v_and_or_b32 v3, 0x80, v4, v3
	global_store_b8 v[0:1], v3, off
.LBB88_1622:
	s_mov_b32 s3, 0
	s_mov_b32 s6, -1
.LBB88_1623:
	s_and_not1_b32 vcc_lo, exec_lo, s3
	s_mov_b32 s3, 0
	s_cbranch_vccnz .LBB88_1630
; %bb.1624:
	v_cmp_lt_i16_e32 vcc_lo, 14, v7
	s_mov_b32 s3, -1
	s_cbranch_vccz .LBB88_1628
; %bb.1625:
	v_cmp_eq_u16_e32 vcc_lo, 15, v7
	s_mov_b32 s0, -1
	s_cbranch_vccz .LBB88_1627
; %bb.1626:
	v_bfe_u32 v3, v2, 16, 1
	v_cmp_o_f32_e32 vcc_lo, v2, v2
	s_mov_b32 s0, 0
	s_mov_b32 s6, -1
	s_delay_alu instid0(VALU_DEP_2) | instskip(NEXT) | instid1(VALU_DEP_1)
	v_add3_u32 v3, v2, v3, 0x7fff
	v_lshrrev_b32_e32 v3, 16, v3
	s_delay_alu instid0(VALU_DEP_1)
	v_cndmask_b32_e32 v3, 0x7fc0, v3, vcc_lo
	global_store_b16 v[0:1], v3, off
.LBB88_1627:
	s_mov_b32 s3, 0
.LBB88_1628:
	s_delay_alu instid0(SALU_CYCLE_1)
	s_and_b32 vcc_lo, exec_lo, s3
	s_mov_b32 s3, 0
	s_cbranch_vccz .LBB88_1630
; %bb.1629:
	v_cmp_ne_u16_e64 s0, 11, v7
	s_mov_b32 s3, -1
.LBB88_1630:
	s_delay_alu instid0(VALU_DEP_1)
	s_and_b32 vcc_lo, exec_lo, s0
	s_cbranch_vccnz .LBB88_2037
; %bb.1631:
	s_and_not1_b32 vcc_lo, exec_lo, s3
	s_cbranch_vccnz .LBB88_1633
.LBB88_1632:
	v_cmp_neq_f32_e32 vcc_lo, 0, v2
	s_mov_b32 s6, -1
	v_cndmask_b32_e64 v3, 0, 1, vcc_lo
	global_store_b8 v[0:1], v3, off
.LBB88_1633:
	s_mov_b32 s0, 0
.LBB88_1634:
	s_delay_alu instid0(SALU_CYCLE_1)
	s_and_b32 vcc_lo, exec_lo, s0
	s_cbranch_vccz .LBB88_1673
; %bb.1635:
	v_cmp_gt_i16_e32 vcc_lo, 5, v7
	s_mov_b32 s0, -1
	s_cbranch_vccnz .LBB88_1656
; %bb.1636:
	v_cmp_gt_i16_e32 vcc_lo, 8, v7
	s_cbranch_vccnz .LBB88_1646
; %bb.1637:
	v_cmp_gt_i16_e32 vcc_lo, 9, v7
	s_cbranch_vccnz .LBB88_1643
; %bb.1638:
	v_cmp_lt_i16_e32 vcc_lo, 9, v7
	s_cbranch_vccz .LBB88_1640
; %bb.1639:
	v_cvt_f64_f32_e32 v[11:12], v2
	v_mov_b32_e32 v13, 0
	s_mov_b32 s0, 0
	s_delay_alu instid0(VALU_DEP_1)
	v_mov_b32_e32 v14, v13
	global_store_b128 v[0:1], v[11:14], off
.LBB88_1640:
	s_and_not1_b32 vcc_lo, exec_lo, s0
	s_cbranch_vccnz .LBB88_1642
; %bb.1641:
	v_mov_b32_e32 v3, 0
	global_store_b64 v[0:1], v[2:3], off
.LBB88_1642:
	s_mov_b32 s0, 0
.LBB88_1643:
	s_delay_alu instid0(SALU_CYCLE_1)
	s_and_not1_b32 vcc_lo, exec_lo, s0
	s_cbranch_vccnz .LBB88_1645
; %bb.1644:
	v_cvt_f16_f32_e32 v3, v2
	s_delay_alu instid0(VALU_DEP_1)
	v_and_b32_e32 v3, 0xffff, v3
	global_store_b32 v[0:1], v3, off
.LBB88_1645:
	s_mov_b32 s0, 0
.LBB88_1646:
	s_delay_alu instid0(SALU_CYCLE_1)
	s_and_not1_b32 vcc_lo, exec_lo, s0
	s_cbranch_vccnz .LBB88_1655
; %bb.1647:
	v_cmp_gt_i16_e32 vcc_lo, 6, v7
	s_mov_b32 s0, -1
	s_cbranch_vccnz .LBB88_1653
; %bb.1648:
	v_cmp_lt_i16_e32 vcc_lo, 6, v7
	s_cbranch_vccz .LBB88_1650
; %bb.1649:
	v_cvt_f64_f32_e32 v[3:4], v2
	s_mov_b32 s0, 0
	global_store_b64 v[0:1], v[3:4], off
.LBB88_1650:
	s_and_not1_b32 vcc_lo, exec_lo, s0
	s_cbranch_vccnz .LBB88_1652
; %bb.1651:
	global_store_b32 v[0:1], v2, off
.LBB88_1652:
	s_mov_b32 s0, 0
.LBB88_1653:
	s_delay_alu instid0(SALU_CYCLE_1)
	s_and_not1_b32 vcc_lo, exec_lo, s0
	s_cbranch_vccnz .LBB88_1655
; %bb.1654:
	v_cvt_f16_f32_e32 v3, v2
	global_store_b16 v[0:1], v3, off
.LBB88_1655:
	s_mov_b32 s0, 0
.LBB88_1656:
	s_delay_alu instid0(SALU_CYCLE_1)
	s_and_not1_b32 vcc_lo, exec_lo, s0
	s_cbranch_vccnz .LBB88_1672
; %bb.1657:
	v_cmp_gt_i16_e32 vcc_lo, 2, v7
	s_mov_b32 s0, -1
	s_cbranch_vccnz .LBB88_1667
; %bb.1658:
	v_cmp_gt_i16_e32 vcc_lo, 3, v7
	s_cbranch_vccnz .LBB88_1664
; %bb.1659:
	v_cmp_lt_i16_e32 vcc_lo, 3, v7
	s_cbranch_vccz .LBB88_1661
; %bb.1660:
	v_trunc_f32_e32 v3, v2
	s_mov_b32 s0, 0
	s_delay_alu instid0(VALU_DEP_1) | instskip(SKIP_1) | instid1(VALU_DEP_2)
	v_mul_f32_e64 v4, 0x2f800000, |v3|
	v_ashrrev_i32_e32 v11, 31, v3
	v_floor_f32_e32 v4, v4
	s_delay_alu instid0(VALU_DEP_1) | instskip(SKIP_1) | instid1(VALU_DEP_2)
	v_fma_f32 v6, 0xcf800000, v4, |v3|
	v_cvt_u32_f32_e32 v4, v4
	v_cvt_u32_f32_e32 v3, v6
	s_delay_alu instid0(VALU_DEP_2) | instskip(NEXT) | instid1(VALU_DEP_2)
	v_xor_b32_e32 v4, v4, v11
	v_xor_b32_e32 v3, v3, v11
	s_delay_alu instid0(VALU_DEP_1) | instskip(NEXT) | instid1(VALU_DEP_3)
	v_sub_co_u32 v3, vcc_lo, v3, v11
	v_sub_co_ci_u32_e32 v4, vcc_lo, v4, v11, vcc_lo
	global_store_b64 v[0:1], v[3:4], off
.LBB88_1661:
	s_and_not1_b32 vcc_lo, exec_lo, s0
	s_cbranch_vccnz .LBB88_1663
; %bb.1662:
	v_cvt_i32_f32_e32 v3, v2
	global_store_b32 v[0:1], v3, off
.LBB88_1663:
	s_mov_b32 s0, 0
.LBB88_1664:
	s_delay_alu instid0(SALU_CYCLE_1)
	s_and_not1_b32 vcc_lo, exec_lo, s0
	s_cbranch_vccnz .LBB88_1666
; %bb.1665:
	v_cvt_i32_f32_e32 v3, v2
	global_store_b16 v[0:1], v3, off
.LBB88_1666:
	s_mov_b32 s0, 0
.LBB88_1667:
	s_delay_alu instid0(SALU_CYCLE_1)
	s_and_not1_b32 vcc_lo, exec_lo, s0
	s_cbranch_vccnz .LBB88_1672
; %bb.1668:
	v_cmp_lt_i16_e32 vcc_lo, 0, v7
	s_mov_b32 s0, -1
	s_cbranch_vccz .LBB88_1670
; %bb.1669:
	v_cvt_i32_f32_e32 v3, v2
	s_mov_b32 s0, 0
	global_store_b8 v[0:1], v3, off
.LBB88_1670:
	s_and_not1_b32 vcc_lo, exec_lo, s0
	s_cbranch_vccnz .LBB88_1672
; %bb.1671:
	v_trunc_f32_e32 v2, v2
	s_delay_alu instid0(VALU_DEP_1) | instskip(NEXT) | instid1(VALU_DEP_1)
	v_mul_f32_e64 v3, 0x2f800000, |v2|
	v_floor_f32_e32 v3, v3
	s_delay_alu instid0(VALU_DEP_1) | instskip(SKIP_1) | instid1(VALU_DEP_2)
	v_fma_f32 v3, 0xcf800000, v3, |v2|
	v_ashrrev_i32_e32 v2, 31, v2
	v_cvt_u32_f32_e32 v3, v3
	s_delay_alu instid0(VALU_DEP_1) | instskip(NEXT) | instid1(VALU_DEP_1)
	v_xor_b32_e32 v3, v3, v2
	v_sub_nc_u32_e32 v2, v3, v2
	global_store_b8 v[0:1], v2, off
.LBB88_1672:
	s_mov_b32 s6, -1
.LBB88_1673:
	s_delay_alu instid0(SALU_CYCLE_1)
	s_and_not1_b32 vcc_lo, exec_lo, s6
	s_cbranch_vccnz .LBB88_1986
; %bb.1674:
	v_mul_f32_e32 v0, 0x3fb8aa3b, v10
	s_lshl_b32 s2, s2, 7
	v_cmp_ngt_f32_e64 s0, 0xc2ce8ed0, v10
	v_add_nc_u32_e32 v4, s2, v5
	v_cmp_gt_i16_e32 vcc_lo, 11, v7
	v_rndne_f32_e32 v1, v0
	v_fma_f32 v2, 0x3fb8aa3b, v10, -v0
	s_mov_b32 s6, 0
	s_and_b32 vcc_lo, exec_lo, vcc_lo
	s_delay_alu instid0(VALU_DEP_2) | instskip(NEXT) | instid1(VALU_DEP_2)
	v_sub_f32_e32 v0, v0, v1
	v_fmamk_f32 v2, v10, 0x32a5705f, v2
	v_cvt_i32_f32_e32 v1, v1
	s_delay_alu instid0(VALU_DEP_2) | instskip(NEXT) | instid1(VALU_DEP_1)
	v_add_f32_e32 v0, v0, v2
	v_exp_f32_e32 v0, v0
	s_waitcnt_depctr 0xfff
	v_ldexp_f32 v0, v0, v1
	v_ashrrev_i32_e32 v1, 31, v4
	s_delay_alu instid0(VALU_DEP_2) | instskip(SKIP_1) | instid1(VALU_DEP_1)
	v_cndmask_b32_e64 v2, 0, v0, s0
	v_add_co_u32 v0, s0, s4, v4
	v_add_co_ci_u32_e64 v1, s0, s5, v1, s0
	v_cmp_nlt_f32_e64 s0, 0x42b17218, v10
	s_delay_alu instid0(VALU_DEP_1)
	v_cndmask_b32_e64 v2, 0x7f800000, v2, s0
	s_mov_b32 s0, -1
	s_cbranch_vccnz .LBB88_1752
; %bb.1675:
	v_cmp_lt_i16_e32 vcc_lo, 25, v7
	s_mov_b32 s7, -1
	s_mov_b32 s3, 0
	s_mov_b32 s0, 0
	s_cbranch_vccz .LBB88_1708
; %bb.1676:
	v_cmp_lt_i16_e32 vcc_lo, 28, v7
	s_cbranch_vccz .LBB88_1691
; %bb.1677:
	v_cmp_lt_i16_e32 vcc_lo, 43, v7
	;; [unrolled: 3-line block ×3, first 2 shown]
	s_cbranch_vccz .LBB88_1681
; %bb.1679:
	v_cmp_eq_u16_e32 vcc_lo, 46, v7
	s_mov_b32 s0, -1
	s_mov_b32 s7, 0
	s_cbranch_vccz .LBB88_1681
; %bb.1680:
	v_bfe_u32 v3, v2, 16, 1
	v_cmp_o_f32_e32 vcc_lo, v2, v2
	s_mov_b32 s0, 0
	s_mov_b32 s6, -1
	s_delay_alu instid0(VALU_DEP_2) | instskip(NEXT) | instid1(VALU_DEP_1)
	v_add3_u32 v3, v2, v3, 0x7fff
	v_lshrrev_b32_e32 v3, 16, v3
	s_delay_alu instid0(VALU_DEP_1)
	v_cndmask_b32_e32 v3, 0x7fc0, v3, vcc_lo
	global_store_b32 v[0:1], v3, off
.LBB88_1681:
	s_and_b32 vcc_lo, exec_lo, s7
	s_cbranch_vccz .LBB88_1686
; %bb.1682:
	v_cmp_eq_u16_e32 vcc_lo, 44, v7
	s_mov_b32 s0, -1
	s_cbranch_vccz .LBB88_1686
; %bb.1683:
	v_bfe_u32 v5, v2, 23, 8
	v_mov_b32_e32 v3, 0xff
	s_mov_b32 s6, exec_lo
	s_delay_alu instid0(VALU_DEP_2)
	v_cmpx_ne_u32_e32 0xff, v5
; %bb.1684:
	v_and_b32_e32 v3, 0x400000, v2
	v_and_or_b32 v5, 0x3fffff, v2, v5
	s_delay_alu instid0(VALU_DEP_2) | instskip(NEXT) | instid1(VALU_DEP_2)
	v_cmp_ne_u32_e32 vcc_lo, 0, v3
	v_cmp_ne_u32_e64 s0, 0, v5
	v_lshrrev_b32_e32 v3, 23, v2
	s_delay_alu instid0(VALU_DEP_2) | instskip(NEXT) | instid1(SALU_CYCLE_1)
	s_and_b32 s0, vcc_lo, s0
	v_cndmask_b32_e64 v5, 0, 1, s0
	s_delay_alu instid0(VALU_DEP_1)
	v_add_nc_u32_e32 v3, v3, v5
; %bb.1685:
	s_or_b32 exec_lo, exec_lo, s6
	s_mov_b32 s0, 0
	s_mov_b32 s6, -1
	global_store_b8 v[0:1], v3, off
.LBB88_1686:
	s_mov_b32 s7, 0
.LBB88_1687:
	s_delay_alu instid0(SALU_CYCLE_1)
	s_and_b32 vcc_lo, exec_lo, s7
	s_cbranch_vccz .LBB88_1690
; %bb.1688:
	v_cmp_eq_u16_e32 vcc_lo, 29, v7
	s_mov_b32 s0, -1
	s_cbranch_vccz .LBB88_1690
; %bb.1689:
	v_trunc_f32_e32 v3, v2
	s_mov_b32 s0, 0
	s_mov_b32 s6, -1
	s_delay_alu instid0(VALU_DEP_1) | instskip(NEXT) | instid1(VALU_DEP_1)
	v_mul_f32_e32 v5, 0x2f800000, v3
	v_floor_f32_e32 v5, v5
	s_delay_alu instid0(VALU_DEP_1) | instskip(SKIP_1) | instid1(VALU_DEP_2)
	v_fmamk_f32 v3, v5, 0xcf800000, v3
	v_cvt_u32_f32_e32 v6, v5
	v_cvt_u32_f32_e32 v5, v3
	global_store_b64 v[0:1], v[5:6], off
.LBB88_1690:
	s_mov_b32 s7, 0
.LBB88_1691:
	s_delay_alu instid0(SALU_CYCLE_1)
	s_and_b32 vcc_lo, exec_lo, s7
	s_cbranch_vccz .LBB88_1707
; %bb.1692:
	v_cmp_gt_i16_e32 vcc_lo, 27, v7
	s_mov_b32 s6, -1
	s_cbranch_vccnz .LBB88_1698
; %bb.1693:
	v_cmp_lt_i16_e32 vcc_lo, 27, v7
	v_cvt_u32_f32_e32 v3, v2
	s_cbranch_vccz .LBB88_1695
; %bb.1694:
	s_mov_b32 s6, 0
	global_store_b32 v[0:1], v3, off
.LBB88_1695:
	s_and_not1_b32 vcc_lo, exec_lo, s6
	s_cbranch_vccnz .LBB88_1697
; %bb.1696:
	global_store_b16 v[0:1], v3, off
.LBB88_1697:
	s_mov_b32 s6, 0
.LBB88_1698:
	s_delay_alu instid0(SALU_CYCLE_1)
	s_and_not1_b32 vcc_lo, exec_lo, s6
	s_cbranch_vccnz .LBB88_1706
; %bb.1699:
	v_and_b32_e32 v3, 0x7fffffff, v2
	v_mov_b32_e32 v5, 0x80
	s_mov_b32 s6, exec_lo
	s_delay_alu instid0(VALU_DEP_2)
	v_cmpx_gt_u32_e32 0x43800000, v3
	s_cbranch_execz .LBB88_1705
; %bb.1700:
	v_cmp_lt_u32_e32 vcc_lo, 0x3bffffff, v3
	s_mov_b32 s7, 0
                                        ; implicit-def: $vgpr3
	s_and_saveexec_b32 s10, vcc_lo
	s_delay_alu instid0(SALU_CYCLE_1)
	s_xor_b32 s10, exec_lo, s10
	s_cbranch_execz .LBB88_2041
; %bb.1701:
	v_bfe_u32 v3, v2, 20, 1
	s_mov_b32 s7, exec_lo
	s_delay_alu instid0(VALU_DEP_1) | instskip(NEXT) | instid1(VALU_DEP_1)
	v_add3_u32 v3, v2, v3, 0x487ffff
	v_lshrrev_b32_e32 v3, 20, v3
	s_or_saveexec_b32 s10, s10
                                        ; implicit-def: $sgpr11
	s_delay_alu instid0(SALU_CYCLE_1)
	s_xor_b32 exec_lo, exec_lo, s10
	s_cbranch_execnz .LBB88_2042
.LBB88_1702:
	s_or_b32 exec_lo, exec_lo, s10
	v_mov_b32_e32 v5, s11
	s_and_saveexec_b32 s10, s7
.LBB88_1703:
	v_lshrrev_b32_e32 v5, 24, v2
	s_delay_alu instid0(VALU_DEP_1)
	v_and_or_b32 v5, 0x80, v5, v3
.LBB88_1704:
	s_or_b32 exec_lo, exec_lo, s10
.LBB88_1705:
	s_delay_alu instid0(SALU_CYCLE_1)
	s_or_b32 exec_lo, exec_lo, s6
	global_store_b8 v[0:1], v5, off
.LBB88_1706:
	s_mov_b32 s6, -1
.LBB88_1707:
	s_mov_b32 s7, 0
.LBB88_1708:
	s_delay_alu instid0(SALU_CYCLE_1)
	s_and_b32 vcc_lo, exec_lo, s7
	s_cbranch_vccz .LBB88_1748
; %bb.1709:
	v_cmp_lt_i16_e32 vcc_lo, 22, v7
	s_mov_b32 s3, -1
	s_cbranch_vccz .LBB88_1741
; %bb.1710:
	v_cmp_gt_i16_e32 vcc_lo, 24, v7
	s_cbranch_vccnz .LBB88_1730
; %bb.1711:
	v_cmp_lt_i16_e32 vcc_lo, 24, v7
	s_cbranch_vccz .LBB88_1719
; %bb.1712:
	v_and_b32_e32 v3, 0x7fffffff, v2
	v_mov_b32_e32 v5, 0x80
	s_mov_b32 s3, exec_lo
	s_delay_alu instid0(VALU_DEP_2)
	v_cmpx_gt_u32_e32 0x47800000, v3
	s_cbranch_execz .LBB88_1718
; %bb.1713:
	v_cmp_lt_u32_e32 vcc_lo, 0x37ffffff, v3
	s_mov_b32 s6, 0
                                        ; implicit-def: $vgpr3
	s_and_saveexec_b32 s7, vcc_lo
	s_delay_alu instid0(SALU_CYCLE_1)
	s_xor_b32 s7, exec_lo, s7
	s_cbranch_execz .LBB88_2047
; %bb.1714:
	v_bfe_u32 v3, v2, 21, 1
	s_mov_b32 s6, exec_lo
	s_delay_alu instid0(VALU_DEP_1) | instskip(NEXT) | instid1(VALU_DEP_1)
	v_add3_u32 v3, v2, v3, 0x88fffff
	v_lshrrev_b32_e32 v3, 21, v3
	s_or_saveexec_b32 s7, s7
                                        ; implicit-def: $sgpr10
	s_delay_alu instid0(SALU_CYCLE_1)
	s_xor_b32 exec_lo, exec_lo, s7
	s_cbranch_execnz .LBB88_2048
.LBB88_1715:
	s_or_b32 exec_lo, exec_lo, s7
	v_mov_b32_e32 v5, s10
	s_and_saveexec_b32 s7, s6
.LBB88_1716:
	v_lshrrev_b32_e32 v5, 24, v2
	s_delay_alu instid0(VALU_DEP_1)
	v_and_or_b32 v5, 0x80, v5, v3
.LBB88_1717:
	s_or_b32 exec_lo, exec_lo, s7
.LBB88_1718:
	s_delay_alu instid0(SALU_CYCLE_1)
	s_or_b32 exec_lo, exec_lo, s3
	s_mov_b32 s3, 0
	global_store_b8 v[0:1], v5, off
.LBB88_1719:
	s_and_b32 vcc_lo, exec_lo, s3
	s_cbranch_vccz .LBB88_1729
; %bb.1720:
	v_and_b32_e32 v5, 0x7fffffff, v2
	s_mov_b32 s3, exec_lo
                                        ; implicit-def: $vgpr3
	s_delay_alu instid0(VALU_DEP_1)
	v_cmpx_gt_u32_e32 0x43f00000, v5
	s_xor_b32 s3, exec_lo, s3
	s_cbranch_execz .LBB88_1726
; %bb.1721:
	s_mov_b32 s6, exec_lo
                                        ; implicit-def: $vgpr3
	v_cmpx_lt_u32_e32 0x3c7fffff, v5
	s_xor_b32 s6, exec_lo, s6
; %bb.1722:
	v_bfe_u32 v3, v2, 20, 1
	s_delay_alu instid0(VALU_DEP_1) | instskip(NEXT) | instid1(VALU_DEP_1)
	v_add3_u32 v3, v2, v3, 0x407ffff
	v_and_b32_e32 v5, 0xff00000, v3
	v_lshrrev_b32_e32 v3, 20, v3
	s_delay_alu instid0(VALU_DEP_2) | instskip(NEXT) | instid1(VALU_DEP_2)
	v_cmp_ne_u32_e32 vcc_lo, 0x7f00000, v5
	v_cndmask_b32_e32 v3, 0x7e, v3, vcc_lo
; %bb.1723:
	s_and_not1_saveexec_b32 s6, s6
; %bb.1724:
	v_add_f32_e64 v3, 0x46800000, |v2|
; %bb.1725:
	s_or_b32 exec_lo, exec_lo, s6
                                        ; implicit-def: $vgpr5
.LBB88_1726:
	s_and_not1_saveexec_b32 s3, s3
; %bb.1727:
	v_mov_b32_e32 v3, 0x7f
	v_cmp_lt_u32_e32 vcc_lo, 0x7f800000, v5
	s_delay_alu instid0(VALU_DEP_2)
	v_cndmask_b32_e32 v3, 0x7e, v3, vcc_lo
; %bb.1728:
	s_or_b32 exec_lo, exec_lo, s3
	v_lshrrev_b32_e32 v5, 24, v2
	s_delay_alu instid0(VALU_DEP_1)
	v_and_or_b32 v3, 0x80, v5, v3
	global_store_b8 v[0:1], v3, off
.LBB88_1729:
	s_mov_b32 s3, 0
.LBB88_1730:
	s_delay_alu instid0(SALU_CYCLE_1)
	s_and_not1_b32 vcc_lo, exec_lo, s3
	s_cbranch_vccnz .LBB88_1740
; %bb.1731:
	v_and_b32_e32 v5, 0x7fffffff, v2
	s_mov_b32 s3, exec_lo
                                        ; implicit-def: $vgpr3
	s_delay_alu instid0(VALU_DEP_1)
	v_cmpx_gt_u32_e32 0x47800000, v5
	s_xor_b32 s3, exec_lo, s3
	s_cbranch_execz .LBB88_1737
; %bb.1732:
	s_mov_b32 s6, exec_lo
                                        ; implicit-def: $vgpr3
	v_cmpx_lt_u32_e32 0x387fffff, v5
	s_xor_b32 s6, exec_lo, s6
; %bb.1733:
	v_bfe_u32 v3, v2, 21, 1
	s_delay_alu instid0(VALU_DEP_1) | instskip(NEXT) | instid1(VALU_DEP_1)
	v_add3_u32 v3, v2, v3, 0x80fffff
	v_lshrrev_b32_e32 v3, 21, v3
; %bb.1734:
	s_and_not1_saveexec_b32 s6, s6
; %bb.1735:
	v_add_f32_e64 v3, 0x43000000, |v2|
; %bb.1736:
	s_or_b32 exec_lo, exec_lo, s6
                                        ; implicit-def: $vgpr5
.LBB88_1737:
	s_and_not1_saveexec_b32 s3, s3
; %bb.1738:
	v_mov_b32_e32 v3, 0x7f
	v_cmp_lt_u32_e32 vcc_lo, 0x7f800000, v5
	s_delay_alu instid0(VALU_DEP_2)
	v_cndmask_b32_e32 v3, 0x7c, v3, vcc_lo
; %bb.1739:
	s_or_b32 exec_lo, exec_lo, s3
	v_lshrrev_b32_e32 v5, 24, v2
	s_delay_alu instid0(VALU_DEP_1)
	v_and_or_b32 v3, 0x80, v5, v3
	global_store_b8 v[0:1], v3, off
.LBB88_1740:
	s_mov_b32 s3, 0
	s_mov_b32 s6, -1
.LBB88_1741:
	s_and_not1_b32 vcc_lo, exec_lo, s3
	s_mov_b32 s3, 0
	s_cbranch_vccnz .LBB88_1748
; %bb.1742:
	v_cmp_lt_i16_e32 vcc_lo, 14, v7
	s_mov_b32 s3, -1
	s_cbranch_vccz .LBB88_1746
; %bb.1743:
	v_cmp_eq_u16_e32 vcc_lo, 15, v7
	s_mov_b32 s0, -1
	s_cbranch_vccz .LBB88_1745
; %bb.1744:
	v_bfe_u32 v3, v2, 16, 1
	v_cmp_o_f32_e32 vcc_lo, v2, v2
	s_mov_b32 s0, 0
	s_mov_b32 s6, -1
	s_delay_alu instid0(VALU_DEP_2) | instskip(NEXT) | instid1(VALU_DEP_1)
	v_add3_u32 v3, v2, v3, 0x7fff
	v_lshrrev_b32_e32 v3, 16, v3
	s_delay_alu instid0(VALU_DEP_1)
	v_cndmask_b32_e32 v3, 0x7fc0, v3, vcc_lo
	global_store_b16 v[0:1], v3, off
.LBB88_1745:
	s_mov_b32 s3, 0
.LBB88_1746:
	s_delay_alu instid0(SALU_CYCLE_1)
	s_and_b32 vcc_lo, exec_lo, s3
	s_mov_b32 s3, 0
	s_cbranch_vccz .LBB88_1748
; %bb.1747:
	v_cmp_ne_u16_e64 s0, 11, v7
	s_mov_b32 s3, -1
.LBB88_1748:
	s_delay_alu instid0(VALU_DEP_1)
	s_and_b32 vcc_lo, exec_lo, s0
	s_cbranch_vccnz .LBB88_2045
; %bb.1749:
	s_and_not1_b32 vcc_lo, exec_lo, s3
	s_cbranch_vccnz .LBB88_1751
.LBB88_1750:
	v_cmp_neq_f32_e32 vcc_lo, 0, v2
	s_mov_b32 s6, -1
	v_cndmask_b32_e64 v3, 0, 1, vcc_lo
	global_store_b8 v[0:1], v3, off
.LBB88_1751:
	s_mov_b32 s0, 0
.LBB88_1752:
	s_delay_alu instid0(SALU_CYCLE_1)
	s_and_b32 vcc_lo, exec_lo, s0
	s_cbranch_vccz .LBB88_1791
; %bb.1753:
	v_cmp_gt_i16_e32 vcc_lo, 5, v7
	s_mov_b32 s0, -1
	s_cbranch_vccnz .LBB88_1774
; %bb.1754:
	v_cmp_gt_i16_e32 vcc_lo, 8, v7
	s_cbranch_vccnz .LBB88_1764
; %bb.1755:
	v_cmp_gt_i16_e32 vcc_lo, 9, v7
	s_cbranch_vccnz .LBB88_1761
; %bb.1756:
	v_cmp_lt_i16_e32 vcc_lo, 9, v7
	s_cbranch_vccz .LBB88_1758
; %bb.1757:
	v_cvt_f64_f32_e32 v[10:11], v2
	v_mov_b32_e32 v12, 0
	s_mov_b32 s0, 0
	s_delay_alu instid0(VALU_DEP_1)
	v_mov_b32_e32 v13, v12
	global_store_b128 v[0:1], v[10:13], off
.LBB88_1758:
	s_and_not1_b32 vcc_lo, exec_lo, s0
	s_cbranch_vccnz .LBB88_1760
; %bb.1759:
	v_mov_b32_e32 v3, 0
	global_store_b64 v[0:1], v[2:3], off
.LBB88_1760:
	s_mov_b32 s0, 0
.LBB88_1761:
	s_delay_alu instid0(SALU_CYCLE_1)
	s_and_not1_b32 vcc_lo, exec_lo, s0
	s_cbranch_vccnz .LBB88_1763
; %bb.1762:
	v_cvt_f16_f32_e32 v3, v2
	s_delay_alu instid0(VALU_DEP_1)
	v_and_b32_e32 v3, 0xffff, v3
	global_store_b32 v[0:1], v3, off
.LBB88_1763:
	s_mov_b32 s0, 0
.LBB88_1764:
	s_delay_alu instid0(SALU_CYCLE_1)
	s_and_not1_b32 vcc_lo, exec_lo, s0
	s_cbranch_vccnz .LBB88_1773
; %bb.1765:
	v_cmp_gt_i16_e32 vcc_lo, 6, v7
	s_mov_b32 s0, -1
	s_cbranch_vccnz .LBB88_1771
; %bb.1766:
	v_cmp_lt_i16_e32 vcc_lo, 6, v7
	s_cbranch_vccz .LBB88_1768
; %bb.1767:
	v_cvt_f64_f32_e32 v[5:6], v2
	s_mov_b32 s0, 0
	global_store_b64 v[0:1], v[5:6], off
.LBB88_1768:
	s_and_not1_b32 vcc_lo, exec_lo, s0
	s_cbranch_vccnz .LBB88_1770
; %bb.1769:
	global_store_b32 v[0:1], v2, off
.LBB88_1770:
	s_mov_b32 s0, 0
.LBB88_1771:
	s_delay_alu instid0(SALU_CYCLE_1)
	s_and_not1_b32 vcc_lo, exec_lo, s0
	s_cbranch_vccnz .LBB88_1773
; %bb.1772:
	v_cvt_f16_f32_e32 v3, v2
	global_store_b16 v[0:1], v3, off
.LBB88_1773:
	s_mov_b32 s0, 0
.LBB88_1774:
	s_delay_alu instid0(SALU_CYCLE_1)
	s_and_not1_b32 vcc_lo, exec_lo, s0
	s_cbranch_vccnz .LBB88_1790
; %bb.1775:
	v_cmp_gt_i16_e32 vcc_lo, 2, v7
	s_mov_b32 s0, -1
	s_cbranch_vccnz .LBB88_1785
; %bb.1776:
	v_cmp_gt_i16_e32 vcc_lo, 3, v7
	s_cbranch_vccnz .LBB88_1782
; %bb.1777:
	v_cmp_lt_i16_e32 vcc_lo, 3, v7
	s_cbranch_vccz .LBB88_1779
; %bb.1778:
	v_trunc_f32_e32 v3, v2
	s_mov_b32 s0, 0
	s_delay_alu instid0(VALU_DEP_1) | instskip(NEXT) | instid1(VALU_DEP_1)
	v_mul_f32_e64 v5, 0x2f800000, |v3|
	v_floor_f32_e32 v5, v5
	s_delay_alu instid0(VALU_DEP_1) | instskip(SKIP_2) | instid1(VALU_DEP_3)
	v_fma_f32 v6, 0xcf800000, v5, |v3|
	v_ashrrev_i32_e32 v3, 31, v3
	v_cvt_u32_f32_e32 v5, v5
	v_cvt_u32_f32_e32 v6, v6
	s_delay_alu instid0(VALU_DEP_2) | instskip(NEXT) | instid1(VALU_DEP_2)
	v_xor_b32_e32 v10, v5, v3
	v_xor_b32_e32 v6, v6, v3
	s_delay_alu instid0(VALU_DEP_1) | instskip(NEXT) | instid1(VALU_DEP_3)
	v_sub_co_u32 v5, vcc_lo, v6, v3
	v_sub_co_ci_u32_e32 v6, vcc_lo, v10, v3, vcc_lo
	global_store_b64 v[0:1], v[5:6], off
.LBB88_1779:
	s_and_not1_b32 vcc_lo, exec_lo, s0
	s_cbranch_vccnz .LBB88_1781
; %bb.1780:
	v_cvt_i32_f32_e32 v3, v2
	global_store_b32 v[0:1], v3, off
.LBB88_1781:
	s_mov_b32 s0, 0
.LBB88_1782:
	s_delay_alu instid0(SALU_CYCLE_1)
	s_and_not1_b32 vcc_lo, exec_lo, s0
	s_cbranch_vccnz .LBB88_1784
; %bb.1783:
	v_cvt_i32_f32_e32 v3, v2
	global_store_b16 v[0:1], v3, off
.LBB88_1784:
	s_mov_b32 s0, 0
.LBB88_1785:
	s_delay_alu instid0(SALU_CYCLE_1)
	s_and_not1_b32 vcc_lo, exec_lo, s0
	s_cbranch_vccnz .LBB88_1790
; %bb.1786:
	v_cmp_lt_i16_e32 vcc_lo, 0, v7
	s_mov_b32 s0, -1
	s_cbranch_vccz .LBB88_1788
; %bb.1787:
	v_cvt_i32_f32_e32 v3, v2
	s_mov_b32 s0, 0
	global_store_b8 v[0:1], v3, off
.LBB88_1788:
	s_and_not1_b32 vcc_lo, exec_lo, s0
	s_cbranch_vccnz .LBB88_1790
; %bb.1789:
	v_trunc_f32_e32 v2, v2
	s_delay_alu instid0(VALU_DEP_1) | instskip(NEXT) | instid1(VALU_DEP_1)
	v_mul_f32_e64 v3, 0x2f800000, |v2|
	v_floor_f32_e32 v3, v3
	s_delay_alu instid0(VALU_DEP_1) | instskip(SKIP_1) | instid1(VALU_DEP_2)
	v_fma_f32 v3, 0xcf800000, v3, |v2|
	v_ashrrev_i32_e32 v2, 31, v2
	v_cvt_u32_f32_e32 v3, v3
	s_delay_alu instid0(VALU_DEP_1) | instskip(NEXT) | instid1(VALU_DEP_1)
	v_xor_b32_e32 v3, v3, v2
	v_sub_nc_u32_e32 v2, v3, v2
	global_store_b8 v[0:1], v2, off
.LBB88_1790:
	s_mov_b32 s6, -1
.LBB88_1791:
	s_delay_alu instid0(SALU_CYCLE_1)
	s_and_not1_b32 vcc_lo, exec_lo, s6
	s_cbranch_vccnz .LBB88_1986
; %bb.1792:
	v_mul_f32_e32 v0, 0x3fb8aa3b, v9
	v_add_nc_u32_e32 v4, s2, v4
	v_cmp_ngt_f32_e64 s0, 0xc2ce8ed0, v9
	v_cmp_gt_i16_e32 vcc_lo, 11, v7
	s_mov_b32 s6, 0
	v_rndne_f32_e32 v1, v0
	v_fma_f32 v2, 0x3fb8aa3b, v9, -v0
	s_and_b32 vcc_lo, exec_lo, vcc_lo
	s_delay_alu instid0(VALU_DEP_2) | instskip(NEXT) | instid1(VALU_DEP_2)
	v_sub_f32_e32 v0, v0, v1
	v_fmamk_f32 v2, v9, 0x32a5705f, v2
	v_cvt_i32_f32_e32 v1, v1
	s_delay_alu instid0(VALU_DEP_2) | instskip(NEXT) | instid1(VALU_DEP_1)
	v_add_f32_e32 v0, v0, v2
	v_exp_f32_e32 v0, v0
	s_waitcnt_depctr 0xfff
	v_ldexp_f32 v0, v0, v1
	v_ashrrev_i32_e32 v1, 31, v4
	s_delay_alu instid0(VALU_DEP_2) | instskip(SKIP_1) | instid1(VALU_DEP_1)
	v_cndmask_b32_e64 v2, 0, v0, s0
	v_add_co_u32 v0, s0, s4, v4
	v_add_co_ci_u32_e64 v1, s0, s5, v1, s0
	v_cmp_nlt_f32_e64 s0, 0x42b17218, v9
	s_delay_alu instid0(VALU_DEP_1)
	v_cndmask_b32_e64 v2, 0x7f800000, v2, s0
	s_mov_b32 s0, -1
	s_cbranch_vccnz .LBB88_1870
; %bb.1793:
	v_cmp_lt_i16_e32 vcc_lo, 25, v7
	s_mov_b32 s7, -1
	s_mov_b32 s3, 0
	s_mov_b32 s0, 0
	s_cbranch_vccz .LBB88_1826
; %bb.1794:
	v_cmp_lt_i16_e32 vcc_lo, 28, v7
	s_cbranch_vccz .LBB88_1809
; %bb.1795:
	v_cmp_lt_i16_e32 vcc_lo, 43, v7
	;; [unrolled: 3-line block ×3, first 2 shown]
	s_cbranch_vccz .LBB88_1799
; %bb.1797:
	v_cmp_eq_u16_e32 vcc_lo, 46, v7
	s_mov_b32 s0, -1
	s_mov_b32 s7, 0
	s_cbranch_vccz .LBB88_1799
; %bb.1798:
	v_bfe_u32 v3, v2, 16, 1
	v_cmp_o_f32_e32 vcc_lo, v2, v2
	s_mov_b32 s0, 0
	s_mov_b32 s6, -1
	s_delay_alu instid0(VALU_DEP_2) | instskip(NEXT) | instid1(VALU_DEP_1)
	v_add3_u32 v3, v2, v3, 0x7fff
	v_lshrrev_b32_e32 v3, 16, v3
	s_delay_alu instid0(VALU_DEP_1)
	v_cndmask_b32_e32 v3, 0x7fc0, v3, vcc_lo
	global_store_b32 v[0:1], v3, off
.LBB88_1799:
	s_and_b32 vcc_lo, exec_lo, s7
	s_cbranch_vccz .LBB88_1804
; %bb.1800:
	v_cmp_eq_u16_e32 vcc_lo, 44, v7
	s_mov_b32 s0, -1
	s_cbranch_vccz .LBB88_1804
; %bb.1801:
	v_bfe_u32 v5, v2, 23, 8
	v_mov_b32_e32 v3, 0xff
	s_mov_b32 s6, exec_lo
	s_delay_alu instid0(VALU_DEP_2)
	v_cmpx_ne_u32_e32 0xff, v5
; %bb.1802:
	v_and_b32_e32 v3, 0x400000, v2
	v_and_or_b32 v5, 0x3fffff, v2, v5
	s_delay_alu instid0(VALU_DEP_2) | instskip(NEXT) | instid1(VALU_DEP_2)
	v_cmp_ne_u32_e32 vcc_lo, 0, v3
	v_cmp_ne_u32_e64 s0, 0, v5
	v_lshrrev_b32_e32 v3, 23, v2
	s_delay_alu instid0(VALU_DEP_2) | instskip(NEXT) | instid1(SALU_CYCLE_1)
	s_and_b32 s0, vcc_lo, s0
	v_cndmask_b32_e64 v5, 0, 1, s0
	s_delay_alu instid0(VALU_DEP_1)
	v_add_nc_u32_e32 v3, v3, v5
; %bb.1803:
	s_or_b32 exec_lo, exec_lo, s6
	s_mov_b32 s0, 0
	s_mov_b32 s6, -1
	global_store_b8 v[0:1], v3, off
.LBB88_1804:
	s_mov_b32 s7, 0
.LBB88_1805:
	s_delay_alu instid0(SALU_CYCLE_1)
	s_and_b32 vcc_lo, exec_lo, s7
	s_cbranch_vccz .LBB88_1808
; %bb.1806:
	v_cmp_eq_u16_e32 vcc_lo, 29, v7
	s_mov_b32 s0, -1
	s_cbranch_vccz .LBB88_1808
; %bb.1807:
	v_trunc_f32_e32 v3, v2
	s_mov_b32 s0, 0
	s_mov_b32 s6, -1
	s_delay_alu instid0(VALU_DEP_1) | instskip(NEXT) | instid1(VALU_DEP_1)
	v_mul_f32_e32 v5, 0x2f800000, v3
	v_floor_f32_e32 v5, v5
	s_delay_alu instid0(VALU_DEP_1) | instskip(SKIP_1) | instid1(VALU_DEP_2)
	v_fmamk_f32 v3, v5, 0xcf800000, v3
	v_cvt_u32_f32_e32 v6, v5
	v_cvt_u32_f32_e32 v5, v3
	global_store_b64 v[0:1], v[5:6], off
.LBB88_1808:
	s_mov_b32 s7, 0
.LBB88_1809:
	s_delay_alu instid0(SALU_CYCLE_1)
	s_and_b32 vcc_lo, exec_lo, s7
	s_cbranch_vccz .LBB88_1825
; %bb.1810:
	v_cmp_gt_i16_e32 vcc_lo, 27, v7
	s_mov_b32 s6, -1
	s_cbranch_vccnz .LBB88_1816
; %bb.1811:
	v_cmp_lt_i16_e32 vcc_lo, 27, v7
	v_cvt_u32_f32_e32 v3, v2
	s_cbranch_vccz .LBB88_1813
; %bb.1812:
	s_mov_b32 s6, 0
	global_store_b32 v[0:1], v3, off
.LBB88_1813:
	s_and_not1_b32 vcc_lo, exec_lo, s6
	s_cbranch_vccnz .LBB88_1815
; %bb.1814:
	global_store_b16 v[0:1], v3, off
.LBB88_1815:
	s_mov_b32 s6, 0
.LBB88_1816:
	s_delay_alu instid0(SALU_CYCLE_1)
	s_and_not1_b32 vcc_lo, exec_lo, s6
	s_cbranch_vccnz .LBB88_1824
; %bb.1817:
	v_and_b32_e32 v3, 0x7fffffff, v2
	v_mov_b32_e32 v5, 0x80
	s_mov_b32 s6, exec_lo
	s_delay_alu instid0(VALU_DEP_2)
	v_cmpx_gt_u32_e32 0x43800000, v3
	s_cbranch_execz .LBB88_1823
; %bb.1818:
	v_cmp_lt_u32_e32 vcc_lo, 0x3bffffff, v3
	s_mov_b32 s7, 0
                                        ; implicit-def: $vgpr3
	s_and_saveexec_b32 s10, vcc_lo
	s_delay_alu instid0(SALU_CYCLE_1)
	s_xor_b32 s10, exec_lo, s10
	s_cbranch_execz .LBB88_2049
; %bb.1819:
	v_bfe_u32 v3, v2, 20, 1
	s_mov_b32 s7, exec_lo
	s_delay_alu instid0(VALU_DEP_1) | instskip(NEXT) | instid1(VALU_DEP_1)
	v_add3_u32 v3, v2, v3, 0x487ffff
	v_lshrrev_b32_e32 v3, 20, v3
	s_or_saveexec_b32 s10, s10
                                        ; implicit-def: $sgpr11
	s_delay_alu instid0(SALU_CYCLE_1)
	s_xor_b32 exec_lo, exec_lo, s10
	s_cbranch_execnz .LBB88_2050
.LBB88_1820:
	s_or_b32 exec_lo, exec_lo, s10
	v_mov_b32_e32 v5, s11
	s_and_saveexec_b32 s10, s7
.LBB88_1821:
	v_lshrrev_b32_e32 v5, 24, v2
	s_delay_alu instid0(VALU_DEP_1)
	v_and_or_b32 v5, 0x80, v5, v3
.LBB88_1822:
	s_or_b32 exec_lo, exec_lo, s10
.LBB88_1823:
	s_delay_alu instid0(SALU_CYCLE_1)
	s_or_b32 exec_lo, exec_lo, s6
	global_store_b8 v[0:1], v5, off
.LBB88_1824:
	s_mov_b32 s6, -1
.LBB88_1825:
	s_mov_b32 s7, 0
.LBB88_1826:
	s_delay_alu instid0(SALU_CYCLE_1)
	s_and_b32 vcc_lo, exec_lo, s7
	s_cbranch_vccz .LBB88_1866
; %bb.1827:
	v_cmp_lt_i16_e32 vcc_lo, 22, v7
	s_mov_b32 s3, -1
	s_cbranch_vccz .LBB88_1859
; %bb.1828:
	v_cmp_gt_i16_e32 vcc_lo, 24, v7
	s_cbranch_vccnz .LBB88_1848
; %bb.1829:
	v_cmp_lt_i16_e32 vcc_lo, 24, v7
	s_cbranch_vccz .LBB88_1837
; %bb.1830:
	v_and_b32_e32 v3, 0x7fffffff, v2
	v_mov_b32_e32 v5, 0x80
	s_mov_b32 s3, exec_lo
	s_delay_alu instid0(VALU_DEP_2)
	v_cmpx_gt_u32_e32 0x47800000, v3
	s_cbranch_execz .LBB88_1836
; %bb.1831:
	v_cmp_lt_u32_e32 vcc_lo, 0x37ffffff, v3
	s_mov_b32 s6, 0
                                        ; implicit-def: $vgpr3
	s_and_saveexec_b32 s7, vcc_lo
	s_delay_alu instid0(SALU_CYCLE_1)
	s_xor_b32 s7, exec_lo, s7
	s_cbranch_execz .LBB88_2055
; %bb.1832:
	v_bfe_u32 v3, v2, 21, 1
	s_mov_b32 s6, exec_lo
	s_delay_alu instid0(VALU_DEP_1) | instskip(NEXT) | instid1(VALU_DEP_1)
	v_add3_u32 v3, v2, v3, 0x88fffff
	v_lshrrev_b32_e32 v3, 21, v3
	s_or_saveexec_b32 s7, s7
                                        ; implicit-def: $sgpr10
	s_delay_alu instid0(SALU_CYCLE_1)
	s_xor_b32 exec_lo, exec_lo, s7
	s_cbranch_execnz .LBB88_2056
.LBB88_1833:
	s_or_b32 exec_lo, exec_lo, s7
	v_mov_b32_e32 v5, s10
	s_and_saveexec_b32 s7, s6
.LBB88_1834:
	v_lshrrev_b32_e32 v5, 24, v2
	s_delay_alu instid0(VALU_DEP_1)
	v_and_or_b32 v5, 0x80, v5, v3
.LBB88_1835:
	s_or_b32 exec_lo, exec_lo, s7
.LBB88_1836:
	s_delay_alu instid0(SALU_CYCLE_1)
	s_or_b32 exec_lo, exec_lo, s3
	s_mov_b32 s3, 0
	global_store_b8 v[0:1], v5, off
.LBB88_1837:
	s_and_b32 vcc_lo, exec_lo, s3
	s_cbranch_vccz .LBB88_1847
; %bb.1838:
	v_and_b32_e32 v5, 0x7fffffff, v2
	s_mov_b32 s3, exec_lo
                                        ; implicit-def: $vgpr3
	s_delay_alu instid0(VALU_DEP_1)
	v_cmpx_gt_u32_e32 0x43f00000, v5
	s_xor_b32 s3, exec_lo, s3
	s_cbranch_execz .LBB88_1844
; %bb.1839:
	s_mov_b32 s6, exec_lo
                                        ; implicit-def: $vgpr3
	v_cmpx_lt_u32_e32 0x3c7fffff, v5
	s_xor_b32 s6, exec_lo, s6
; %bb.1840:
	v_bfe_u32 v3, v2, 20, 1
	s_delay_alu instid0(VALU_DEP_1) | instskip(NEXT) | instid1(VALU_DEP_1)
	v_add3_u32 v3, v2, v3, 0x407ffff
	v_and_b32_e32 v5, 0xff00000, v3
	v_lshrrev_b32_e32 v3, 20, v3
	s_delay_alu instid0(VALU_DEP_2) | instskip(NEXT) | instid1(VALU_DEP_2)
	v_cmp_ne_u32_e32 vcc_lo, 0x7f00000, v5
	v_cndmask_b32_e32 v3, 0x7e, v3, vcc_lo
; %bb.1841:
	s_and_not1_saveexec_b32 s6, s6
; %bb.1842:
	v_add_f32_e64 v3, 0x46800000, |v2|
; %bb.1843:
	s_or_b32 exec_lo, exec_lo, s6
                                        ; implicit-def: $vgpr5
.LBB88_1844:
	s_and_not1_saveexec_b32 s3, s3
; %bb.1845:
	v_mov_b32_e32 v3, 0x7f
	v_cmp_lt_u32_e32 vcc_lo, 0x7f800000, v5
	s_delay_alu instid0(VALU_DEP_2)
	v_cndmask_b32_e32 v3, 0x7e, v3, vcc_lo
; %bb.1846:
	s_or_b32 exec_lo, exec_lo, s3
	v_lshrrev_b32_e32 v5, 24, v2
	s_delay_alu instid0(VALU_DEP_1)
	v_and_or_b32 v3, 0x80, v5, v3
	global_store_b8 v[0:1], v3, off
.LBB88_1847:
	s_mov_b32 s3, 0
.LBB88_1848:
	s_delay_alu instid0(SALU_CYCLE_1)
	s_and_not1_b32 vcc_lo, exec_lo, s3
	s_cbranch_vccnz .LBB88_1858
; %bb.1849:
	v_and_b32_e32 v5, 0x7fffffff, v2
	s_mov_b32 s3, exec_lo
                                        ; implicit-def: $vgpr3
	s_delay_alu instid0(VALU_DEP_1)
	v_cmpx_gt_u32_e32 0x47800000, v5
	s_xor_b32 s3, exec_lo, s3
	s_cbranch_execz .LBB88_1855
; %bb.1850:
	s_mov_b32 s6, exec_lo
                                        ; implicit-def: $vgpr3
	v_cmpx_lt_u32_e32 0x387fffff, v5
	s_xor_b32 s6, exec_lo, s6
; %bb.1851:
	v_bfe_u32 v3, v2, 21, 1
	s_delay_alu instid0(VALU_DEP_1) | instskip(NEXT) | instid1(VALU_DEP_1)
	v_add3_u32 v3, v2, v3, 0x80fffff
	v_lshrrev_b32_e32 v3, 21, v3
; %bb.1852:
	s_and_not1_saveexec_b32 s6, s6
; %bb.1853:
	v_add_f32_e64 v3, 0x43000000, |v2|
; %bb.1854:
	s_or_b32 exec_lo, exec_lo, s6
                                        ; implicit-def: $vgpr5
.LBB88_1855:
	s_and_not1_saveexec_b32 s3, s3
; %bb.1856:
	v_mov_b32_e32 v3, 0x7f
	v_cmp_lt_u32_e32 vcc_lo, 0x7f800000, v5
	s_delay_alu instid0(VALU_DEP_2)
	v_cndmask_b32_e32 v3, 0x7c, v3, vcc_lo
; %bb.1857:
	s_or_b32 exec_lo, exec_lo, s3
	v_lshrrev_b32_e32 v5, 24, v2
	s_delay_alu instid0(VALU_DEP_1)
	v_and_or_b32 v3, 0x80, v5, v3
	global_store_b8 v[0:1], v3, off
.LBB88_1858:
	s_mov_b32 s3, 0
	s_mov_b32 s6, -1
.LBB88_1859:
	s_and_not1_b32 vcc_lo, exec_lo, s3
	s_mov_b32 s3, 0
	s_cbranch_vccnz .LBB88_1866
; %bb.1860:
	v_cmp_lt_i16_e32 vcc_lo, 14, v7
	s_mov_b32 s3, -1
	s_cbranch_vccz .LBB88_1864
; %bb.1861:
	v_cmp_eq_u16_e32 vcc_lo, 15, v7
	s_mov_b32 s0, -1
	s_cbranch_vccz .LBB88_1863
; %bb.1862:
	v_bfe_u32 v3, v2, 16, 1
	v_cmp_o_f32_e32 vcc_lo, v2, v2
	s_mov_b32 s0, 0
	s_mov_b32 s6, -1
	s_delay_alu instid0(VALU_DEP_2) | instskip(NEXT) | instid1(VALU_DEP_1)
	v_add3_u32 v3, v2, v3, 0x7fff
	v_lshrrev_b32_e32 v3, 16, v3
	s_delay_alu instid0(VALU_DEP_1)
	v_cndmask_b32_e32 v3, 0x7fc0, v3, vcc_lo
	global_store_b16 v[0:1], v3, off
.LBB88_1863:
	s_mov_b32 s3, 0
.LBB88_1864:
	s_delay_alu instid0(SALU_CYCLE_1)
	s_and_b32 vcc_lo, exec_lo, s3
	s_mov_b32 s3, 0
	s_cbranch_vccz .LBB88_1866
; %bb.1865:
	v_cmp_ne_u16_e64 s0, 11, v7
	s_mov_b32 s3, -1
.LBB88_1866:
	s_delay_alu instid0(VALU_DEP_1)
	s_and_b32 vcc_lo, exec_lo, s0
	s_cbranch_vccnz .LBB88_2053
; %bb.1867:
	s_and_not1_b32 vcc_lo, exec_lo, s3
	s_cbranch_vccnz .LBB88_1869
.LBB88_1868:
	v_cmp_neq_f32_e32 vcc_lo, 0, v2
	s_mov_b32 s6, -1
	v_cndmask_b32_e64 v3, 0, 1, vcc_lo
	global_store_b8 v[0:1], v3, off
.LBB88_1869:
	s_mov_b32 s0, 0
.LBB88_1870:
	s_delay_alu instid0(SALU_CYCLE_1)
	s_and_b32 vcc_lo, exec_lo, s0
	s_cbranch_vccz .LBB88_1909
; %bb.1871:
	v_cmp_gt_i16_e32 vcc_lo, 5, v7
	s_mov_b32 s0, -1
	s_cbranch_vccnz .LBB88_1892
; %bb.1872:
	v_cmp_gt_i16_e32 vcc_lo, 8, v7
	s_cbranch_vccnz .LBB88_1882
; %bb.1873:
	v_cmp_gt_i16_e32 vcc_lo, 9, v7
	s_cbranch_vccnz .LBB88_1879
; %bb.1874:
	v_cmp_lt_i16_e32 vcc_lo, 9, v7
	s_cbranch_vccz .LBB88_1876
; %bb.1875:
	v_cvt_f64_f32_e32 v[9:10], v2
	v_mov_b32_e32 v11, 0
	s_mov_b32 s0, 0
	s_delay_alu instid0(VALU_DEP_1)
	v_mov_b32_e32 v12, v11
	global_store_b128 v[0:1], v[9:12], off
.LBB88_1876:
	s_and_not1_b32 vcc_lo, exec_lo, s0
	s_cbranch_vccnz .LBB88_1878
; %bb.1877:
	v_mov_b32_e32 v3, 0
	global_store_b64 v[0:1], v[2:3], off
.LBB88_1878:
	s_mov_b32 s0, 0
.LBB88_1879:
	s_delay_alu instid0(SALU_CYCLE_1)
	s_and_not1_b32 vcc_lo, exec_lo, s0
	s_cbranch_vccnz .LBB88_1881
; %bb.1880:
	v_cvt_f16_f32_e32 v3, v2
	s_delay_alu instid0(VALU_DEP_1)
	v_and_b32_e32 v3, 0xffff, v3
	global_store_b32 v[0:1], v3, off
.LBB88_1881:
	s_mov_b32 s0, 0
.LBB88_1882:
	s_delay_alu instid0(SALU_CYCLE_1)
	s_and_not1_b32 vcc_lo, exec_lo, s0
	s_cbranch_vccnz .LBB88_1891
; %bb.1883:
	v_cmp_gt_i16_e32 vcc_lo, 6, v7
	s_mov_b32 s0, -1
	s_cbranch_vccnz .LBB88_1889
; %bb.1884:
	v_cmp_lt_i16_e32 vcc_lo, 6, v7
	s_cbranch_vccz .LBB88_1886
; %bb.1885:
	v_cvt_f64_f32_e32 v[5:6], v2
	s_mov_b32 s0, 0
	global_store_b64 v[0:1], v[5:6], off
.LBB88_1886:
	s_and_not1_b32 vcc_lo, exec_lo, s0
	s_cbranch_vccnz .LBB88_1888
; %bb.1887:
	global_store_b32 v[0:1], v2, off
.LBB88_1888:
	s_mov_b32 s0, 0
.LBB88_1889:
	s_delay_alu instid0(SALU_CYCLE_1)
	s_and_not1_b32 vcc_lo, exec_lo, s0
	s_cbranch_vccnz .LBB88_1891
; %bb.1890:
	v_cvt_f16_f32_e32 v3, v2
	global_store_b16 v[0:1], v3, off
.LBB88_1891:
	s_mov_b32 s0, 0
.LBB88_1892:
	s_delay_alu instid0(SALU_CYCLE_1)
	s_and_not1_b32 vcc_lo, exec_lo, s0
	s_cbranch_vccnz .LBB88_1908
; %bb.1893:
	v_cmp_gt_i16_e32 vcc_lo, 2, v7
	s_mov_b32 s0, -1
	s_cbranch_vccnz .LBB88_1903
; %bb.1894:
	v_cmp_gt_i16_e32 vcc_lo, 3, v7
	s_cbranch_vccnz .LBB88_1900
; %bb.1895:
	v_cmp_lt_i16_e32 vcc_lo, 3, v7
	s_cbranch_vccz .LBB88_1897
; %bb.1896:
	v_trunc_f32_e32 v3, v2
	s_mov_b32 s0, 0
	s_delay_alu instid0(VALU_DEP_1) | instskip(NEXT) | instid1(VALU_DEP_1)
	v_mul_f32_e64 v5, 0x2f800000, |v3|
	v_floor_f32_e32 v5, v5
	s_delay_alu instid0(VALU_DEP_1) | instskip(SKIP_2) | instid1(VALU_DEP_3)
	v_fma_f32 v6, 0xcf800000, v5, |v3|
	v_ashrrev_i32_e32 v3, 31, v3
	v_cvt_u32_f32_e32 v5, v5
	v_cvt_u32_f32_e32 v6, v6
	s_delay_alu instid0(VALU_DEP_2) | instskip(NEXT) | instid1(VALU_DEP_2)
	v_xor_b32_e32 v9, v5, v3
	v_xor_b32_e32 v6, v6, v3
	s_delay_alu instid0(VALU_DEP_1) | instskip(NEXT) | instid1(VALU_DEP_3)
	v_sub_co_u32 v5, vcc_lo, v6, v3
	v_sub_co_ci_u32_e32 v6, vcc_lo, v9, v3, vcc_lo
	global_store_b64 v[0:1], v[5:6], off
.LBB88_1897:
	s_and_not1_b32 vcc_lo, exec_lo, s0
	s_cbranch_vccnz .LBB88_1899
; %bb.1898:
	v_cvt_i32_f32_e32 v3, v2
	global_store_b32 v[0:1], v3, off
.LBB88_1899:
	s_mov_b32 s0, 0
.LBB88_1900:
	s_delay_alu instid0(SALU_CYCLE_1)
	s_and_not1_b32 vcc_lo, exec_lo, s0
	s_cbranch_vccnz .LBB88_1902
; %bb.1901:
	v_cvt_i32_f32_e32 v3, v2
	global_store_b16 v[0:1], v3, off
.LBB88_1902:
	s_mov_b32 s0, 0
.LBB88_1903:
	s_delay_alu instid0(SALU_CYCLE_1)
	s_and_not1_b32 vcc_lo, exec_lo, s0
	s_cbranch_vccnz .LBB88_1908
; %bb.1904:
	v_cmp_lt_i16_e32 vcc_lo, 0, v7
	s_mov_b32 s0, -1
	s_cbranch_vccz .LBB88_1906
; %bb.1905:
	v_cvt_i32_f32_e32 v3, v2
	s_mov_b32 s0, 0
	global_store_b8 v[0:1], v3, off
.LBB88_1906:
	s_and_not1_b32 vcc_lo, exec_lo, s0
	s_cbranch_vccnz .LBB88_1908
; %bb.1907:
	v_trunc_f32_e32 v2, v2
	s_delay_alu instid0(VALU_DEP_1) | instskip(NEXT) | instid1(VALU_DEP_1)
	v_mul_f32_e64 v3, 0x2f800000, |v2|
	v_floor_f32_e32 v3, v3
	s_delay_alu instid0(VALU_DEP_1) | instskip(SKIP_1) | instid1(VALU_DEP_2)
	v_fma_f32 v3, 0xcf800000, v3, |v2|
	v_ashrrev_i32_e32 v2, 31, v2
	v_cvt_u32_f32_e32 v3, v3
	s_delay_alu instid0(VALU_DEP_1) | instskip(NEXT) | instid1(VALU_DEP_1)
	v_xor_b32_e32 v3, v3, v2
	v_sub_nc_u32_e32 v2, v3, v2
	global_store_b8 v[0:1], v2, off
.LBB88_1908:
	s_mov_b32 s6, -1
.LBB88_1909:
	s_delay_alu instid0(SALU_CYCLE_1)
	s_and_not1_b32 vcc_lo, exec_lo, s6
	s_cbranch_vccnz .LBB88_1986
; %bb.1910:
	v_mul_f32_e32 v0, 0x3fb8aa3b, v8
	v_cmp_ngt_f32_e64 s0, 0xc2ce8ed0, v8
	v_cmp_gt_i16_e32 vcc_lo, 11, v7
	s_delay_alu instid0(VALU_DEP_3) | instskip(SKIP_2) | instid1(VALU_DEP_2)
	v_rndne_f32_e32 v1, v0
	v_fma_f32 v2, 0x3fb8aa3b, v8, -v0
	s_and_b32 vcc_lo, exec_lo, vcc_lo
	v_sub_f32_e32 v0, v0, v1
	s_delay_alu instid0(VALU_DEP_2) | instskip(SKIP_1) | instid1(VALU_DEP_2)
	v_fmamk_f32 v2, v8, 0x32a5705f, v2
	v_cvt_i32_f32_e32 v1, v1
	v_add_f32_e32 v0, v0, v2
	v_add_nc_u32_e32 v2, s2, v4
	s_mov_b32 s2, 0
	s_delay_alu instid0(VALU_DEP_2) | instskip(SKIP_3) | instid1(VALU_DEP_2)
	v_exp_f32_e32 v0, v0
	s_waitcnt_depctr 0xfff
	v_ldexp_f32 v0, v0, v1
	v_ashrrev_i32_e32 v1, 31, v2
	v_cndmask_b32_e64 v3, 0, v0, s0
	v_add_co_u32 v0, s0, s4, v2
	s_delay_alu instid0(VALU_DEP_1) | instskip(SKIP_1) | instid1(VALU_DEP_1)
	v_add_co_ci_u32_e64 v1, s0, s5, v1, s0
	v_cmp_nlt_f32_e64 s0, 0x42b17218, v8
	v_cndmask_b32_e64 v2, 0x7f800000, v3, s0
	s_mov_b32 s0, -1
	s_cbranch_vccnz .LBB88_1987
; %bb.1911:
	v_cmp_lt_i16_e32 vcc_lo, 25, v7
	s_mov_b32 s3, -1
	s_mov_b32 s0, 0
	s_cbranch_vccz .LBB88_1944
; %bb.1912:
	v_cmp_lt_i16_e32 vcc_lo, 28, v7
	s_cbranch_vccz .LBB88_1928
; %bb.1913:
	v_cmp_lt_i16_e32 vcc_lo, 43, v7
	;; [unrolled: 3-line block ×3, first 2 shown]
	s_cbranch_vccz .LBB88_1918
; %bb.1915:
	v_cmp_eq_u16_e32 vcc_lo, 46, v7
	s_mov_b32 s0, -1
	s_cbranch_vccz .LBB88_1917
; %bb.1916:
	v_bfe_u32 v3, v2, 16, 1
	v_cmp_o_f32_e32 vcc_lo, v2, v2
	s_mov_b32 s0, 0
	s_delay_alu instid0(VALU_DEP_2) | instskip(NEXT) | instid1(VALU_DEP_1)
	v_add3_u32 v3, v2, v3, 0x7fff
	v_lshrrev_b32_e32 v3, 16, v3
	s_delay_alu instid0(VALU_DEP_1)
	v_cndmask_b32_e32 v3, 0x7fc0, v3, vcc_lo
	global_store_b32 v[0:1], v3, off
.LBB88_1917:
	s_mov_b32 s3, 0
.LBB88_1918:
	s_delay_alu instid0(SALU_CYCLE_1)
	s_and_b32 vcc_lo, exec_lo, s3
	s_cbranch_vccz .LBB88_1923
; %bb.1919:
	v_cmp_eq_u16_e32 vcc_lo, 44, v7
	s_mov_b32 s0, -1
	s_cbranch_vccz .LBB88_1923
; %bb.1920:
	v_bfe_u32 v4, v2, 23, 8
	v_mov_b32_e32 v3, 0xff
	s_mov_b32 s3, exec_lo
	s_delay_alu instid0(VALU_DEP_2)
	v_cmpx_ne_u32_e32 0xff, v4
; %bb.1921:
	v_and_b32_e32 v3, 0x400000, v2
	v_and_or_b32 v4, 0x3fffff, v2, v4
	s_delay_alu instid0(VALU_DEP_2) | instskip(NEXT) | instid1(VALU_DEP_2)
	v_cmp_ne_u32_e32 vcc_lo, 0, v3
	v_cmp_ne_u32_e64 s0, 0, v4
	v_lshrrev_b32_e32 v3, 23, v2
	s_delay_alu instid0(VALU_DEP_2) | instskip(NEXT) | instid1(SALU_CYCLE_1)
	s_and_b32 s0, vcc_lo, s0
	v_cndmask_b32_e64 v4, 0, 1, s0
	s_delay_alu instid0(VALU_DEP_1)
	v_add_nc_u32_e32 v3, v3, v4
; %bb.1922:
	s_or_b32 exec_lo, exec_lo, s3
	s_mov_b32 s0, 0
	global_store_b8 v[0:1], v3, off
.LBB88_1923:
	s_mov_b32 s3, 0
.LBB88_1924:
	s_delay_alu instid0(SALU_CYCLE_1)
	s_and_b32 vcc_lo, exec_lo, s3
	s_cbranch_vccz .LBB88_1927
; %bb.1925:
	v_cmp_eq_u16_e32 vcc_lo, 29, v7
	s_mov_b32 s0, -1
	s_cbranch_vccz .LBB88_1927
; %bb.1926:
	v_trunc_f32_e32 v3, v2
	s_mov_b32 s0, 0
	s_delay_alu instid0(VALU_DEP_1) | instskip(NEXT) | instid1(VALU_DEP_1)
	v_mul_f32_e32 v4, 0x2f800000, v3
	v_floor_f32_e32 v4, v4
	s_delay_alu instid0(VALU_DEP_1) | instskip(SKIP_1) | instid1(VALU_DEP_2)
	v_fmamk_f32 v3, v4, 0xcf800000, v3
	v_cvt_u32_f32_e32 v4, v4
	v_cvt_u32_f32_e32 v3, v3
	global_store_b64 v[0:1], v[3:4], off
.LBB88_1927:
	s_mov_b32 s3, 0
.LBB88_1928:
	s_delay_alu instid0(SALU_CYCLE_1)
	s_and_b32 vcc_lo, exec_lo, s3
	s_cbranch_vccz .LBB88_1943
; %bb.1929:
	v_cmp_gt_i16_e32 vcc_lo, 27, v7
	s_mov_b32 s3, -1
	s_cbranch_vccnz .LBB88_1935
; %bb.1930:
	v_cmp_lt_i16_e32 vcc_lo, 27, v7
	v_cvt_u32_f32_e32 v3, v2
	s_cbranch_vccz .LBB88_1932
; %bb.1931:
	s_mov_b32 s3, 0
	global_store_b32 v[0:1], v3, off
.LBB88_1932:
	s_and_not1_b32 vcc_lo, exec_lo, s3
	s_cbranch_vccnz .LBB88_1934
; %bb.1933:
	global_store_b16 v[0:1], v3, off
.LBB88_1934:
	s_mov_b32 s3, 0
.LBB88_1935:
	s_delay_alu instid0(SALU_CYCLE_1)
	s_and_not1_b32 vcc_lo, exec_lo, s3
	s_cbranch_vccnz .LBB88_1943
; %bb.1936:
	v_and_b32_e32 v3, 0x7fffffff, v2
	v_mov_b32_e32 v4, 0x80
	s_mov_b32 s3, exec_lo
	s_delay_alu instid0(VALU_DEP_2)
	v_cmpx_gt_u32_e32 0x43800000, v3
	s_cbranch_execz .LBB88_1942
; %bb.1937:
	v_cmp_lt_u32_e32 vcc_lo, 0x3bffffff, v3
	s_mov_b32 s4, 0
                                        ; implicit-def: $vgpr3
	s_and_saveexec_b32 s5, vcc_lo
	s_delay_alu instid0(SALU_CYCLE_1)
	s_xor_b32 s5, exec_lo, s5
	s_cbranch_execz .LBB88_2057
; %bb.1938:
	v_bfe_u32 v3, v2, 20, 1
	s_mov_b32 s4, exec_lo
	s_delay_alu instid0(VALU_DEP_1) | instskip(NEXT) | instid1(VALU_DEP_1)
	v_add3_u32 v3, v2, v3, 0x487ffff
	v_lshrrev_b32_e32 v3, 20, v3
	s_or_saveexec_b32 s5, s5
                                        ; implicit-def: $sgpr6
	s_delay_alu instid0(SALU_CYCLE_1)
	s_xor_b32 exec_lo, exec_lo, s5
	s_cbranch_execnz .LBB88_2058
.LBB88_1939:
	s_or_b32 exec_lo, exec_lo, s5
	v_mov_b32_e32 v4, s6
	s_and_saveexec_b32 s5, s4
.LBB88_1940:
	v_lshrrev_b32_e32 v4, 24, v2
	s_delay_alu instid0(VALU_DEP_1)
	v_and_or_b32 v4, 0x80, v4, v3
.LBB88_1941:
	s_or_b32 exec_lo, exec_lo, s5
.LBB88_1942:
	s_delay_alu instid0(SALU_CYCLE_1)
	s_or_b32 exec_lo, exec_lo, s3
	global_store_b8 v[0:1], v4, off
.LBB88_1943:
	s_mov_b32 s3, 0
.LBB88_1944:
	s_delay_alu instid0(SALU_CYCLE_1)
	s_and_b32 vcc_lo, exec_lo, s3
	s_cbranch_vccz .LBB88_1984
; %bb.1945:
	v_cmp_lt_i16_e32 vcc_lo, 22, v7
	s_mov_b32 s2, -1
	s_cbranch_vccz .LBB88_1977
; %bb.1946:
	v_cmp_gt_i16_e32 vcc_lo, 24, v7
	s_cbranch_vccnz .LBB88_1966
; %bb.1947:
	v_cmp_lt_i16_e32 vcc_lo, 24, v7
	s_cbranch_vccz .LBB88_1955
; %bb.1948:
	v_and_b32_e32 v3, 0x7fffffff, v2
	v_mov_b32_e32 v4, 0x80
	s_mov_b32 s2, exec_lo
	s_delay_alu instid0(VALU_DEP_2)
	v_cmpx_gt_u32_e32 0x47800000, v3
	s_cbranch_execz .LBB88_1954
; %bb.1949:
	v_cmp_lt_u32_e32 vcc_lo, 0x37ffffff, v3
	s_mov_b32 s3, 0
                                        ; implicit-def: $vgpr3
	s_and_saveexec_b32 s4, vcc_lo
	s_delay_alu instid0(SALU_CYCLE_1)
	s_xor_b32 s4, exec_lo, s4
	s_cbranch_execz .LBB88_2063
; %bb.1950:
	v_bfe_u32 v3, v2, 21, 1
	s_mov_b32 s3, exec_lo
	s_delay_alu instid0(VALU_DEP_1) | instskip(NEXT) | instid1(VALU_DEP_1)
	v_add3_u32 v3, v2, v3, 0x88fffff
	v_lshrrev_b32_e32 v3, 21, v3
	s_or_saveexec_b32 s4, s4
                                        ; implicit-def: $sgpr5
	s_delay_alu instid0(SALU_CYCLE_1)
	s_xor_b32 exec_lo, exec_lo, s4
	s_cbranch_execnz .LBB88_2064
.LBB88_1951:
	s_or_b32 exec_lo, exec_lo, s4
	v_mov_b32_e32 v4, s5
	s_and_saveexec_b32 s4, s3
.LBB88_1952:
	v_lshrrev_b32_e32 v4, 24, v2
	s_delay_alu instid0(VALU_DEP_1)
	v_and_or_b32 v4, 0x80, v4, v3
.LBB88_1953:
	s_or_b32 exec_lo, exec_lo, s4
.LBB88_1954:
	s_delay_alu instid0(SALU_CYCLE_1)
	s_or_b32 exec_lo, exec_lo, s2
	s_mov_b32 s2, 0
	global_store_b8 v[0:1], v4, off
.LBB88_1955:
	s_and_b32 vcc_lo, exec_lo, s2
	s_cbranch_vccz .LBB88_1965
; %bb.1956:
	v_and_b32_e32 v4, 0x7fffffff, v2
	s_mov_b32 s2, exec_lo
                                        ; implicit-def: $vgpr3
	s_delay_alu instid0(VALU_DEP_1)
	v_cmpx_gt_u32_e32 0x43f00000, v4
	s_xor_b32 s2, exec_lo, s2
	s_cbranch_execz .LBB88_1962
; %bb.1957:
	s_mov_b32 s3, exec_lo
                                        ; implicit-def: $vgpr3
	v_cmpx_lt_u32_e32 0x3c7fffff, v4
	s_xor_b32 s3, exec_lo, s3
; %bb.1958:
	v_bfe_u32 v3, v2, 20, 1
	s_delay_alu instid0(VALU_DEP_1) | instskip(NEXT) | instid1(VALU_DEP_1)
	v_add3_u32 v3, v2, v3, 0x407ffff
	v_and_b32_e32 v4, 0xff00000, v3
	v_lshrrev_b32_e32 v3, 20, v3
	s_delay_alu instid0(VALU_DEP_2) | instskip(NEXT) | instid1(VALU_DEP_2)
	v_cmp_ne_u32_e32 vcc_lo, 0x7f00000, v4
	v_cndmask_b32_e32 v3, 0x7e, v3, vcc_lo
; %bb.1959:
	s_and_not1_saveexec_b32 s3, s3
; %bb.1960:
	v_add_f32_e64 v3, 0x46800000, |v2|
; %bb.1961:
	s_or_b32 exec_lo, exec_lo, s3
                                        ; implicit-def: $vgpr4
.LBB88_1962:
	s_and_not1_saveexec_b32 s2, s2
; %bb.1963:
	v_mov_b32_e32 v3, 0x7f
	v_cmp_lt_u32_e32 vcc_lo, 0x7f800000, v4
	s_delay_alu instid0(VALU_DEP_2)
	v_cndmask_b32_e32 v3, 0x7e, v3, vcc_lo
; %bb.1964:
	s_or_b32 exec_lo, exec_lo, s2
	v_lshrrev_b32_e32 v4, 24, v2
	s_delay_alu instid0(VALU_DEP_1)
	v_and_or_b32 v3, 0x80, v4, v3
	global_store_b8 v[0:1], v3, off
.LBB88_1965:
	s_mov_b32 s2, 0
.LBB88_1966:
	s_delay_alu instid0(SALU_CYCLE_1)
	s_and_not1_b32 vcc_lo, exec_lo, s2
	s_cbranch_vccnz .LBB88_1976
; %bb.1967:
	v_and_b32_e32 v4, 0x7fffffff, v2
	s_mov_b32 s2, exec_lo
                                        ; implicit-def: $vgpr3
	s_delay_alu instid0(VALU_DEP_1)
	v_cmpx_gt_u32_e32 0x47800000, v4
	s_xor_b32 s2, exec_lo, s2
	s_cbranch_execz .LBB88_1973
; %bb.1968:
	s_mov_b32 s3, exec_lo
                                        ; implicit-def: $vgpr3
	v_cmpx_lt_u32_e32 0x387fffff, v4
	s_xor_b32 s3, exec_lo, s3
; %bb.1969:
	v_bfe_u32 v3, v2, 21, 1
	s_delay_alu instid0(VALU_DEP_1) | instskip(NEXT) | instid1(VALU_DEP_1)
	v_add3_u32 v3, v2, v3, 0x80fffff
	v_lshrrev_b32_e32 v3, 21, v3
; %bb.1970:
	s_and_not1_saveexec_b32 s3, s3
; %bb.1971:
	v_add_f32_e64 v3, 0x43000000, |v2|
; %bb.1972:
	s_or_b32 exec_lo, exec_lo, s3
                                        ; implicit-def: $vgpr4
.LBB88_1973:
	s_and_not1_saveexec_b32 s2, s2
; %bb.1974:
	v_mov_b32_e32 v3, 0x7f
	v_cmp_lt_u32_e32 vcc_lo, 0x7f800000, v4
	s_delay_alu instid0(VALU_DEP_2)
	v_cndmask_b32_e32 v3, 0x7c, v3, vcc_lo
; %bb.1975:
	s_or_b32 exec_lo, exec_lo, s2
	v_lshrrev_b32_e32 v4, 24, v2
	s_delay_alu instid0(VALU_DEP_1)
	v_and_or_b32 v3, 0x80, v4, v3
	global_store_b8 v[0:1], v3, off
.LBB88_1976:
	s_mov_b32 s2, 0
.LBB88_1977:
	s_delay_alu instid0(SALU_CYCLE_1)
	s_and_not1_b32 vcc_lo, exec_lo, s2
	s_mov_b32 s2, 0
	s_cbranch_vccnz .LBB88_1984
; %bb.1978:
	v_cmp_lt_i16_e32 vcc_lo, 14, v7
	s_mov_b32 s2, -1
	s_cbranch_vccz .LBB88_1982
; %bb.1979:
	v_cmp_eq_u16_e32 vcc_lo, 15, v7
	s_mov_b32 s0, -1
	s_cbranch_vccz .LBB88_1981
; %bb.1980:
	v_bfe_u32 v3, v2, 16, 1
	v_cmp_o_f32_e32 vcc_lo, v2, v2
	s_mov_b32 s0, 0
	s_delay_alu instid0(VALU_DEP_2) | instskip(NEXT) | instid1(VALU_DEP_1)
	v_add3_u32 v3, v2, v3, 0x7fff
	v_lshrrev_b32_e32 v3, 16, v3
	s_delay_alu instid0(VALU_DEP_1)
	v_cndmask_b32_e32 v3, 0x7fc0, v3, vcc_lo
	global_store_b16 v[0:1], v3, off
.LBB88_1981:
	s_mov_b32 s2, 0
.LBB88_1982:
	s_delay_alu instid0(SALU_CYCLE_1)
	s_and_b32 vcc_lo, exec_lo, s2
	s_mov_b32 s2, 0
	s_cbranch_vccz .LBB88_1984
; %bb.1983:
	v_cmp_ne_u16_e64 s0, 11, v7
	s_mov_b32 s2, -1
.LBB88_1984:
	s_delay_alu instid0(VALU_DEP_1)
	s_and_b32 vcc_lo, exec_lo, s0
	s_cbranch_vccnz .LBB88_2061
.LBB88_1985:
	s_mov_b32 s0, 0
	s_branch .LBB88_1987
.LBB88_1986:
	s_mov_b32 s0, 0
	s_mov_b32 s2, 0
                                        ; implicit-def: $vgpr7
                                        ; implicit-def: $vgpr0_vgpr1
                                        ; implicit-def: $vgpr2
.LBB88_1987:
	s_and_not1_b32 s3, s9, exec_lo
	s_and_b32 s4, s1, exec_lo
	s_and_b32 s0, s0, exec_lo
	;; [unrolled: 1-line block ×3, first 2 shown]
	s_or_b32 s9, s3, s4
.LBB88_1988:
	s_or_b32 exec_lo, exec_lo, s8
	s_and_saveexec_b32 s2, s9
	s_cbranch_execz .LBB88_1991
; %bb.1989:
	; divergent unreachable
	s_or_b32 exec_lo, exec_lo, s2
	s_and_saveexec_b32 s2, s1
	s_delay_alu instid0(SALU_CYCLE_1)
	s_xor_b32 s1, exec_lo, s2
	s_cbranch_execnz .LBB88_1992
.LBB88_1990:
	s_or_b32 exec_lo, exec_lo, s1
	s_and_saveexec_b32 s1, s0
	s_cbranch_execnz .LBB88_1993
	s_branch .LBB88_2030
.LBB88_1991:
	s_or_b32 exec_lo, exec_lo, s2
	s_and_saveexec_b32 s2, s1
	s_delay_alu instid0(SALU_CYCLE_1)
	s_xor_b32 s1, exec_lo, s2
	s_cbranch_execz .LBB88_1990
.LBB88_1992:
	s_waitcnt vmcnt(0)
	v_cmp_neq_f32_e32 vcc_lo, 0, v2
	v_cndmask_b32_e64 v3, 0, 1, vcc_lo
	global_store_b8 v[0:1], v3, off
	s_or_b32 exec_lo, exec_lo, s1
	s_and_saveexec_b32 s1, s0
	s_cbranch_execz .LBB88_2030
.LBB88_1993:
	v_cmp_gt_i16_e32 vcc_lo, 5, v7
	s_mov_b32 s0, -1
	s_cbranch_vccnz .LBB88_2014
; %bb.1994:
	v_cmp_gt_i16_e32 vcc_lo, 8, v7
	s_cbranch_vccnz .LBB88_2004
; %bb.1995:
	v_cmp_gt_i16_e32 vcc_lo, 9, v7
	s_cbranch_vccnz .LBB88_2001
; %bb.1996:
	v_cmp_lt_i16_e32 vcc_lo, 9, v7
	s_cbranch_vccz .LBB88_1998
; %bb.1997:
	s_waitcnt vmcnt(0)
	v_cvt_f64_f32_e32 v[3:4], v2
	v_mov_b32_e32 v5, 0
	s_mov_b32 s0, 0
	s_delay_alu instid0(VALU_DEP_1)
	v_mov_b32_e32 v6, v5
	global_store_b128 v[0:1], v[3:6], off
.LBB88_1998:
	s_and_not1_b32 vcc_lo, exec_lo, s0
	s_cbranch_vccnz .LBB88_2000
; %bb.1999:
	s_waitcnt vmcnt(0)
	v_mov_b32_e32 v3, 0
	global_store_b64 v[0:1], v[2:3], off
.LBB88_2000:
	s_mov_b32 s0, 0
.LBB88_2001:
	s_delay_alu instid0(SALU_CYCLE_1)
	s_and_not1_b32 vcc_lo, exec_lo, s0
	s_cbranch_vccnz .LBB88_2003
; %bb.2002:
	s_waitcnt vmcnt(0)
	v_cvt_f16_f32_e32 v3, v2
	s_delay_alu instid0(VALU_DEP_1)
	v_and_b32_e32 v3, 0xffff, v3
	global_store_b32 v[0:1], v3, off
.LBB88_2003:
	s_mov_b32 s0, 0
.LBB88_2004:
	s_delay_alu instid0(SALU_CYCLE_1)
	s_and_not1_b32 vcc_lo, exec_lo, s0
	s_cbranch_vccnz .LBB88_2013
; %bb.2005:
	v_cmp_gt_i16_e32 vcc_lo, 6, v7
	s_mov_b32 s0, -1
	s_cbranch_vccnz .LBB88_2011
; %bb.2006:
	v_cmp_lt_i16_e32 vcc_lo, 6, v7
	s_cbranch_vccz .LBB88_2008
; %bb.2007:
	s_waitcnt vmcnt(0)
	v_cvt_f64_f32_e32 v[3:4], v2
	s_mov_b32 s0, 0
	global_store_b64 v[0:1], v[3:4], off
.LBB88_2008:
	s_and_not1_b32 vcc_lo, exec_lo, s0
	s_cbranch_vccnz .LBB88_2010
; %bb.2009:
	s_waitcnt vmcnt(0)
	global_store_b32 v[0:1], v2, off
.LBB88_2010:
	s_mov_b32 s0, 0
.LBB88_2011:
	s_delay_alu instid0(SALU_CYCLE_1)
	s_and_not1_b32 vcc_lo, exec_lo, s0
	s_cbranch_vccnz .LBB88_2013
; %bb.2012:
	s_waitcnt vmcnt(0)
	v_cvt_f16_f32_e32 v3, v2
	global_store_b16 v[0:1], v3, off
.LBB88_2013:
	s_mov_b32 s0, 0
.LBB88_2014:
	s_delay_alu instid0(SALU_CYCLE_1)
	s_and_not1_b32 vcc_lo, exec_lo, s0
	s_cbranch_vccnz .LBB88_2030
; %bb.2015:
	v_cmp_gt_i16_e32 vcc_lo, 2, v7
	s_mov_b32 s0, -1
	s_cbranch_vccnz .LBB88_2025
; %bb.2016:
	v_cmp_gt_i16_e32 vcc_lo, 3, v7
	s_cbranch_vccnz .LBB88_2022
; %bb.2017:
	v_cmp_lt_i16_e32 vcc_lo, 3, v7
	s_cbranch_vccz .LBB88_2019
; %bb.2018:
	s_waitcnt vmcnt(0)
	v_trunc_f32_e32 v3, v2
	s_mov_b32 s0, 0
	s_delay_alu instid0(VALU_DEP_1) | instskip(SKIP_1) | instid1(VALU_DEP_2)
	v_mul_f32_e64 v4, 0x2f800000, |v3|
	v_ashrrev_i32_e32 v6, 31, v3
	v_floor_f32_e32 v4, v4
	s_delay_alu instid0(VALU_DEP_1) | instskip(SKIP_1) | instid1(VALU_DEP_2)
	v_fma_f32 v5, 0xcf800000, v4, |v3|
	v_cvt_u32_f32_e32 v4, v4
	v_cvt_u32_f32_e32 v3, v5
	s_delay_alu instid0(VALU_DEP_2) | instskip(NEXT) | instid1(VALU_DEP_2)
	v_xor_b32_e32 v4, v4, v6
	v_xor_b32_e32 v3, v3, v6
	s_delay_alu instid0(VALU_DEP_1) | instskip(NEXT) | instid1(VALU_DEP_3)
	v_sub_co_u32 v3, vcc_lo, v3, v6
	v_sub_co_ci_u32_e32 v4, vcc_lo, v4, v6, vcc_lo
	global_store_b64 v[0:1], v[3:4], off
.LBB88_2019:
	s_and_not1_b32 vcc_lo, exec_lo, s0
	s_cbranch_vccnz .LBB88_2021
; %bb.2020:
	s_waitcnt vmcnt(0)
	v_cvt_i32_f32_e32 v3, v2
	global_store_b32 v[0:1], v3, off
.LBB88_2021:
	s_mov_b32 s0, 0
.LBB88_2022:
	s_delay_alu instid0(SALU_CYCLE_1)
	s_and_not1_b32 vcc_lo, exec_lo, s0
	s_cbranch_vccnz .LBB88_2024
; %bb.2023:
	s_waitcnt vmcnt(0)
	v_cvt_i32_f32_e32 v3, v2
	global_store_b16 v[0:1], v3, off
.LBB88_2024:
	s_mov_b32 s0, 0
.LBB88_2025:
	s_delay_alu instid0(SALU_CYCLE_1)
	s_and_not1_b32 vcc_lo, exec_lo, s0
	s_cbranch_vccnz .LBB88_2030
; %bb.2026:
	v_cmp_lt_i16_e32 vcc_lo, 0, v7
	s_mov_b32 s0, -1
	s_cbranch_vccz .LBB88_2028
; %bb.2027:
	s_waitcnt vmcnt(0)
	v_cvt_i32_f32_e32 v3, v2
	s_mov_b32 s0, 0
	global_store_b8 v[0:1], v3, off
.LBB88_2028:
	s_and_not1_b32 vcc_lo, exec_lo, s0
	s_cbranch_vccnz .LBB88_2030
; %bb.2029:
	s_waitcnt vmcnt(0)
	v_trunc_f32_e32 v2, v2
	s_delay_alu instid0(VALU_DEP_1) | instskip(NEXT) | instid1(VALU_DEP_1)
	v_mul_f32_e64 v3, 0x2f800000, |v2|
	v_floor_f32_e32 v3, v3
	s_delay_alu instid0(VALU_DEP_1) | instskip(SKIP_1) | instid1(VALU_DEP_2)
	v_fma_f32 v3, 0xcf800000, v3, |v2|
	v_ashrrev_i32_e32 v2, 31, v2
	v_cvt_u32_f32_e32 v3, v3
	s_delay_alu instid0(VALU_DEP_1) | instskip(NEXT) | instid1(VALU_DEP_1)
	v_xor_b32_e32 v3, v3, v2
	v_sub_nc_u32_e32 v2, v3, v2
	global_store_b8 v[0:1], v2, off
	s_nop 0
	s_sendmsg sendmsg(MSG_DEALLOC_VGPRS)
	s_endpgm
.LBB88_2030:
	s_nop 0
	s_sendmsg sendmsg(MSG_DEALLOC_VGPRS)
	s_endpgm
.LBB88_2031:
	s_cbranch_execnz .LBB88_2035
; %bb.2032:
	s_or_b32 s1, s1, exec_lo
                                        ; implicit-def: $vgpr8
	s_cbranch_execz .LBB88_1504
	s_branch .LBB88_1505
.LBB88_2033:
	s_or_saveexec_b32 s10, s10
                                        ; implicit-def: $sgpr11
	s_delay_alu instid0(SALU_CYCLE_1)
	s_xor_b32 exec_lo, exec_lo, s10
	s_cbranch_execz .LBB88_1584
.LBB88_2034:
	v_add_f32_e64 v3, 0x46000000, |v2|
	s_and_not1_b32 s7, s7, exec_lo
	s_mov_b32 s11, 0
	s_delay_alu instid0(VALU_DEP_1) | instskip(NEXT) | instid1(VALU_DEP_1)
	v_and_b32_e32 v3, 0xff, v3
	v_cmp_ne_u32_e32 vcc_lo, 0, v3
	s_and_b32 s12, vcc_lo, exec_lo
	s_delay_alu instid0(SALU_CYCLE_1)
	s_or_b32 s7, s7, s12
	s_or_b32 exec_lo, exec_lo, s10
	v_mov_b32_e32 v4, s11
	s_and_saveexec_b32 s10, s7
	s_cbranch_execnz .LBB88_1585
	s_branch .LBB88_1586
.LBB88_2035:
	s_trap 2
	s_sendmsg_rtn_b32 s0, sendmsg(MSG_RTN_GET_DOORBELL)
	s_mov_b32 ttmp2, m0
	s_waitcnt lgkmcnt(0)
	s_and_b32 s0, s0, 0x3ff
	s_delay_alu instid0(SALU_CYCLE_1) | instskip(NEXT) | instid1(SALU_CYCLE_1)
	s_bitset1_b32 s0, 10
	s_mov_b32 m0, s0
	s_sendmsg sendmsg(MSG_INTERRUPT)
	s_mov_b32 m0, ttmp2
.LBB88_2036:                            ; =>This Inner Loop Header: Depth=1
	s_sethalt 5
	s_branch .LBB88_2036
.LBB88_2037:
	s_cbranch_execnz .LBB88_2043
; %bb.2038:
	s_or_b32 s1, s1, exec_lo
	s_cbranch_execz .LBB88_1632
	s_branch .LBB88_1633
.LBB88_2039:
	s_or_saveexec_b32 s7, s7
                                        ; implicit-def: $sgpr10
	s_delay_alu instid0(SALU_CYCLE_1)
	s_xor_b32 exec_lo, exec_lo, s7
	s_cbranch_execz .LBB88_1597
.LBB88_2040:
	v_add_f32_e64 v3, 0x42800000, |v2|
	s_and_not1_b32 s6, s6, exec_lo
	s_mov_b32 s10, 0
	s_delay_alu instid0(VALU_DEP_1) | instskip(NEXT) | instid1(VALU_DEP_1)
	v_and_b32_e32 v3, 0xff, v3
	v_cmp_ne_u32_e32 vcc_lo, 0, v3
	s_and_b32 s11, vcc_lo, exec_lo
	s_delay_alu instid0(SALU_CYCLE_1)
	s_or_b32 s6, s6, s11
	s_or_b32 exec_lo, exec_lo, s7
	v_mov_b32_e32 v4, s10
	s_and_saveexec_b32 s7, s6
	s_cbranch_execnz .LBB88_1598
	s_branch .LBB88_1599
.LBB88_2041:
	s_or_saveexec_b32 s10, s10
                                        ; implicit-def: $sgpr11
	s_delay_alu instid0(SALU_CYCLE_1)
	s_xor_b32 exec_lo, exec_lo, s10
	s_cbranch_execz .LBB88_1702
.LBB88_2042:
	v_add_f32_e64 v3, 0x46000000, |v2|
	s_and_not1_b32 s7, s7, exec_lo
	s_mov_b32 s11, 0
	s_delay_alu instid0(VALU_DEP_1) | instskip(NEXT) | instid1(VALU_DEP_1)
	v_and_b32_e32 v3, 0xff, v3
	v_cmp_ne_u32_e32 vcc_lo, 0, v3
	s_and_b32 s12, vcc_lo, exec_lo
	s_delay_alu instid0(SALU_CYCLE_1)
	s_or_b32 s7, s7, s12
	s_or_b32 exec_lo, exec_lo, s10
	v_mov_b32_e32 v5, s11
	s_and_saveexec_b32 s10, s7
	s_cbranch_execnz .LBB88_1703
	s_branch .LBB88_1704
.LBB88_2043:
	s_trap 2
	s_sendmsg_rtn_b32 s0, sendmsg(MSG_RTN_GET_DOORBELL)
	s_mov_b32 ttmp2, m0
	s_waitcnt lgkmcnt(0)
	s_and_b32 s0, s0, 0x3ff
	s_delay_alu instid0(SALU_CYCLE_1) | instskip(NEXT) | instid1(SALU_CYCLE_1)
	s_bitset1_b32 s0, 10
	s_mov_b32 m0, s0
	s_sendmsg sendmsg(MSG_INTERRUPT)
	s_mov_b32 m0, ttmp2
.LBB88_2044:                            ; =>This Inner Loop Header: Depth=1
	s_sethalt 5
	s_branch .LBB88_2044
.LBB88_2045:
	s_cbranch_execnz .LBB88_2051
; %bb.2046:
	s_or_b32 s1, s1, exec_lo
	s_cbranch_execz .LBB88_1750
	s_branch .LBB88_1751
.LBB88_2047:
	s_or_saveexec_b32 s7, s7
                                        ; implicit-def: $sgpr10
	s_delay_alu instid0(SALU_CYCLE_1)
	s_xor_b32 exec_lo, exec_lo, s7
	s_cbranch_execz .LBB88_1715
.LBB88_2048:
	v_add_f32_e64 v3, 0x42800000, |v2|
	s_and_not1_b32 s6, s6, exec_lo
	s_mov_b32 s10, 0
	s_delay_alu instid0(VALU_DEP_1) | instskip(NEXT) | instid1(VALU_DEP_1)
	v_and_b32_e32 v3, 0xff, v3
	v_cmp_ne_u32_e32 vcc_lo, 0, v3
	s_and_b32 s11, vcc_lo, exec_lo
	s_delay_alu instid0(SALU_CYCLE_1)
	s_or_b32 s6, s6, s11
	s_or_b32 exec_lo, exec_lo, s7
	v_mov_b32_e32 v5, s10
	s_and_saveexec_b32 s7, s6
	s_cbranch_execnz .LBB88_1716
	s_branch .LBB88_1717
.LBB88_2049:
	s_or_saveexec_b32 s10, s10
                                        ; implicit-def: $sgpr11
	s_delay_alu instid0(SALU_CYCLE_1)
	s_xor_b32 exec_lo, exec_lo, s10
	s_cbranch_execz .LBB88_1820
.LBB88_2050:
	v_add_f32_e64 v3, 0x46000000, |v2|
	s_and_not1_b32 s7, s7, exec_lo
	s_mov_b32 s11, 0
	s_delay_alu instid0(VALU_DEP_1) | instskip(NEXT) | instid1(VALU_DEP_1)
	v_and_b32_e32 v3, 0xff, v3
	v_cmp_ne_u32_e32 vcc_lo, 0, v3
	s_and_b32 s12, vcc_lo, exec_lo
	s_delay_alu instid0(SALU_CYCLE_1)
	s_or_b32 s7, s7, s12
	s_or_b32 exec_lo, exec_lo, s10
	v_mov_b32_e32 v5, s11
	s_and_saveexec_b32 s10, s7
	s_cbranch_execnz .LBB88_1821
	s_branch .LBB88_1822
.LBB88_2051:
	s_trap 2
	s_sendmsg_rtn_b32 s0, sendmsg(MSG_RTN_GET_DOORBELL)
	s_mov_b32 ttmp2, m0
	s_waitcnt lgkmcnt(0)
	s_and_b32 s0, s0, 0x3ff
	s_delay_alu instid0(SALU_CYCLE_1) | instskip(NEXT) | instid1(SALU_CYCLE_1)
	s_bitset1_b32 s0, 10
	s_mov_b32 m0, s0
	s_sendmsg sendmsg(MSG_INTERRUPT)
	s_mov_b32 m0, ttmp2
.LBB88_2052:                            ; =>This Inner Loop Header: Depth=1
	s_sethalt 5
	s_branch .LBB88_2052
.LBB88_2053:
	s_cbranch_execnz .LBB88_2059
; %bb.2054:
	s_or_b32 s1, s1, exec_lo
	s_cbranch_execz .LBB88_1868
	s_branch .LBB88_1869
.LBB88_2055:
	s_or_saveexec_b32 s7, s7
                                        ; implicit-def: $sgpr10
	s_delay_alu instid0(SALU_CYCLE_1)
	s_xor_b32 exec_lo, exec_lo, s7
	s_cbranch_execz .LBB88_1833
.LBB88_2056:
	v_add_f32_e64 v3, 0x42800000, |v2|
	s_and_not1_b32 s6, s6, exec_lo
	s_mov_b32 s10, 0
	s_delay_alu instid0(VALU_DEP_1) | instskip(NEXT) | instid1(VALU_DEP_1)
	v_and_b32_e32 v3, 0xff, v3
	v_cmp_ne_u32_e32 vcc_lo, 0, v3
	s_and_b32 s11, vcc_lo, exec_lo
	s_delay_alu instid0(SALU_CYCLE_1)
	s_or_b32 s6, s6, s11
	s_or_b32 exec_lo, exec_lo, s7
	v_mov_b32_e32 v5, s10
	s_and_saveexec_b32 s7, s6
	s_cbranch_execnz .LBB88_1834
	s_branch .LBB88_1835
.LBB88_2057:
	s_or_saveexec_b32 s5, s5
                                        ; implicit-def: $sgpr6
	s_delay_alu instid0(SALU_CYCLE_1)
	s_xor_b32 exec_lo, exec_lo, s5
	s_cbranch_execz .LBB88_1939
.LBB88_2058:
	v_add_f32_e64 v3, 0x46000000, |v2|
	s_and_not1_b32 s4, s4, exec_lo
	s_mov_b32 s6, 0
	s_delay_alu instid0(VALU_DEP_1) | instskip(NEXT) | instid1(VALU_DEP_1)
	v_and_b32_e32 v3, 0xff, v3
	v_cmp_ne_u32_e32 vcc_lo, 0, v3
	s_and_b32 s7, vcc_lo, exec_lo
	s_delay_alu instid0(SALU_CYCLE_1)
	s_or_b32 s4, s4, s7
	s_or_b32 exec_lo, exec_lo, s5
	v_mov_b32_e32 v4, s6
	s_and_saveexec_b32 s5, s4
	s_cbranch_execnz .LBB88_1940
	s_branch .LBB88_1941
.LBB88_2059:
	s_trap 2
	s_sendmsg_rtn_b32 s0, sendmsg(MSG_RTN_GET_DOORBELL)
	s_mov_b32 ttmp2, m0
	s_waitcnt lgkmcnt(0)
	s_and_b32 s0, s0, 0x3ff
	s_delay_alu instid0(SALU_CYCLE_1) | instskip(NEXT) | instid1(SALU_CYCLE_1)
	s_bitset1_b32 s0, 10
	s_mov_b32 m0, s0
	s_sendmsg sendmsg(MSG_INTERRUPT)
	s_mov_b32 m0, ttmp2
.LBB88_2060:                            ; =>This Inner Loop Header: Depth=1
	s_sethalt 5
	s_branch .LBB88_2060
.LBB88_2061:
	s_cbranch_execnz .LBB88_2065
; %bb.2062:
	s_mov_b32 s2, 0
	s_or_b32 s1, s1, exec_lo
	s_branch .LBB88_1985
.LBB88_2063:
	s_or_saveexec_b32 s4, s4
                                        ; implicit-def: $sgpr5
	s_delay_alu instid0(SALU_CYCLE_1)
	s_xor_b32 exec_lo, exec_lo, s4
	s_cbranch_execz .LBB88_1951
.LBB88_2064:
	v_add_f32_e64 v3, 0x42800000, |v2|
	s_and_not1_b32 s3, s3, exec_lo
	s_mov_b32 s5, 0
	s_delay_alu instid0(VALU_DEP_1) | instskip(NEXT) | instid1(VALU_DEP_1)
	v_and_b32_e32 v3, 0xff, v3
	v_cmp_ne_u32_e32 vcc_lo, 0, v3
	s_and_b32 s6, vcc_lo, exec_lo
	s_delay_alu instid0(SALU_CYCLE_1)
	s_or_b32 s3, s3, s6
	s_or_b32 exec_lo, exec_lo, s4
	v_mov_b32_e32 v4, s5
	s_and_saveexec_b32 s4, s3
	s_cbranch_execnz .LBB88_1952
	s_branch .LBB88_1953
.LBB88_2065:
	s_trap 2
	s_sendmsg_rtn_b32 s0, sendmsg(MSG_RTN_GET_DOORBELL)
	s_mov_b32 ttmp2, m0
	s_waitcnt lgkmcnt(0)
	s_and_b32 s0, s0, 0x3ff
	s_delay_alu instid0(SALU_CYCLE_1) | instskip(NEXT) | instid1(SALU_CYCLE_1)
	s_bitset1_b32 s0, 10
	s_mov_b32 m0, s0
	s_sendmsg sendmsg(MSG_INTERRUPT)
	s_mov_b32 m0, ttmp2
.LBB88_2066:                            ; =>This Inner Loop Header: Depth=1
	s_sethalt 5
	s_branch .LBB88_2066
	.section	.rodata,"a",@progbits
	.p2align	6, 0x0
	.amdhsa_kernel _ZN2at6native32elementwise_kernel_manual_unrollILi128ELi4EZNS0_15gpu_kernel_implIZZZNS0_15exp_kernel_cudaERNS_18TensorIteratorBaseEENKUlvE0_clEvENKUlvE0_clEvEUlfE_EEvS4_RKT_EUlibE_EEviT1_
		.amdhsa_group_segment_fixed_size 0
		.amdhsa_private_segment_fixed_size 0
		.amdhsa_kernarg_size 40
		.amdhsa_user_sgpr_count 15
		.amdhsa_user_sgpr_dispatch_ptr 0
		.amdhsa_user_sgpr_queue_ptr 0
		.amdhsa_user_sgpr_kernarg_segment_ptr 1
		.amdhsa_user_sgpr_dispatch_id 0
		.amdhsa_user_sgpr_private_segment_size 0
		.amdhsa_wavefront_size32 1
		.amdhsa_uses_dynamic_stack 0
		.amdhsa_enable_private_segment 0
		.amdhsa_system_sgpr_workgroup_id_x 1
		.amdhsa_system_sgpr_workgroup_id_y 0
		.amdhsa_system_sgpr_workgroup_id_z 0
		.amdhsa_system_sgpr_workgroup_info 0
		.amdhsa_system_vgpr_workitem_id 0
		.amdhsa_next_free_vgpr 15
		.amdhsa_next_free_sgpr 24
		.amdhsa_reserve_vcc 1
		.amdhsa_float_round_mode_32 0
		.amdhsa_float_round_mode_16_64 0
		.amdhsa_float_denorm_mode_32 3
		.amdhsa_float_denorm_mode_16_64 3
		.amdhsa_dx10_clamp 1
		.amdhsa_ieee_mode 1
		.amdhsa_fp16_overflow 0
		.amdhsa_workgroup_processor_mode 1
		.amdhsa_memory_ordered 1
		.amdhsa_forward_progress 0
		.amdhsa_shared_vgpr_count 0
		.amdhsa_exception_fp_ieee_invalid_op 0
		.amdhsa_exception_fp_denorm_src 0
		.amdhsa_exception_fp_ieee_div_zero 0
		.amdhsa_exception_fp_ieee_overflow 0
		.amdhsa_exception_fp_ieee_underflow 0
		.amdhsa_exception_fp_ieee_inexact 0
		.amdhsa_exception_int_div_zero 0
	.end_amdhsa_kernel
	.section	.text._ZN2at6native32elementwise_kernel_manual_unrollILi128ELi4EZNS0_15gpu_kernel_implIZZZNS0_15exp_kernel_cudaERNS_18TensorIteratorBaseEENKUlvE0_clEvENKUlvE0_clEvEUlfE_EEvS4_RKT_EUlibE_EEviT1_,"axG",@progbits,_ZN2at6native32elementwise_kernel_manual_unrollILi128ELi4EZNS0_15gpu_kernel_implIZZZNS0_15exp_kernel_cudaERNS_18TensorIteratorBaseEENKUlvE0_clEvENKUlvE0_clEvEUlfE_EEvS4_RKT_EUlibE_EEviT1_,comdat
.Lfunc_end88:
	.size	_ZN2at6native32elementwise_kernel_manual_unrollILi128ELi4EZNS0_15gpu_kernel_implIZZZNS0_15exp_kernel_cudaERNS_18TensorIteratorBaseEENKUlvE0_clEvENKUlvE0_clEvEUlfE_EEvS4_RKT_EUlibE_EEviT1_, .Lfunc_end88-_ZN2at6native32elementwise_kernel_manual_unrollILi128ELi4EZNS0_15gpu_kernel_implIZZZNS0_15exp_kernel_cudaERNS_18TensorIteratorBaseEENKUlvE0_clEvENKUlvE0_clEvEUlfE_EEvS4_RKT_EUlibE_EEviT1_
                                        ; -- End function
	.section	.AMDGPU.csdata,"",@progbits
; Kernel info:
; codeLenInByte = 36208
; NumSgprs: 26
; NumVgprs: 15
; ScratchSize: 0
; MemoryBound: 1
; FloatMode: 240
; IeeeMode: 1
; LDSByteSize: 0 bytes/workgroup (compile time only)
; SGPRBlocks: 3
; VGPRBlocks: 1
; NumSGPRsForWavesPerEU: 26
; NumVGPRsForWavesPerEU: 15
; Occupancy: 16
; WaveLimiterHint : 0
; COMPUTE_PGM_RSRC2:SCRATCH_EN: 0
; COMPUTE_PGM_RSRC2:USER_SGPR: 15
; COMPUTE_PGM_RSRC2:TRAP_HANDLER: 0
; COMPUTE_PGM_RSRC2:TGID_X_EN: 1
; COMPUTE_PGM_RSRC2:TGID_Y_EN: 0
; COMPUTE_PGM_RSRC2:TGID_Z_EN: 0
; COMPUTE_PGM_RSRC2:TIDIG_COMP_CNT: 0
	.section	.text._ZN2at6native32elementwise_kernel_manual_unrollILi128ELi4EZNS0_15gpu_kernel_implIZZZNS0_15exp_kernel_cudaERNS_18TensorIteratorBaseEENKUlvE0_clEvENKUlvE0_clEvEUlfE_EEvS4_RKT_EUlibE0_EEviT1_,"axG",@progbits,_ZN2at6native32elementwise_kernel_manual_unrollILi128ELi4EZNS0_15gpu_kernel_implIZZZNS0_15exp_kernel_cudaERNS_18TensorIteratorBaseEENKUlvE0_clEvENKUlvE0_clEvEUlfE_EEvS4_RKT_EUlibE0_EEviT1_,comdat
	.globl	_ZN2at6native32elementwise_kernel_manual_unrollILi128ELi4EZNS0_15gpu_kernel_implIZZZNS0_15exp_kernel_cudaERNS_18TensorIteratorBaseEENKUlvE0_clEvENKUlvE0_clEvEUlfE_EEvS4_RKT_EUlibE0_EEviT1_ ; -- Begin function _ZN2at6native32elementwise_kernel_manual_unrollILi128ELi4EZNS0_15gpu_kernel_implIZZZNS0_15exp_kernel_cudaERNS_18TensorIteratorBaseEENKUlvE0_clEvENKUlvE0_clEvEUlfE_EEvS4_RKT_EUlibE0_EEviT1_
	.p2align	8
	.type	_ZN2at6native32elementwise_kernel_manual_unrollILi128ELi4EZNS0_15gpu_kernel_implIZZZNS0_15exp_kernel_cudaERNS_18TensorIteratorBaseEENKUlvE0_clEvENKUlvE0_clEvEUlfE_EEvS4_RKT_EUlibE0_EEviT1_,@function
_ZN2at6native32elementwise_kernel_manual_unrollILi128ELi4EZNS0_15gpu_kernel_implIZZZNS0_15exp_kernel_cudaERNS_18TensorIteratorBaseEENKUlvE0_clEvENKUlvE0_clEvEUlfE_EEvS4_RKT_EUlibE0_EEviT1_: ; @_ZN2at6native32elementwise_kernel_manual_unrollILi128ELi4EZNS0_15gpu_kernel_implIZZZNS0_15exp_kernel_cudaERNS_18TensorIteratorBaseEENKUlvE0_clEvENKUlvE0_clEvEUlfE_EEvS4_RKT_EUlibE0_EEviT1_
; %bb.0:
	s_clause 0x1
	s_load_b32 s24, s[0:1], 0x8
	s_load_b32 s30, s[0:1], 0x0
	v_lshl_or_b32 v8, s15, 9, v0
	s_or_b32 s16, s0, 8
	s_mov_b32 s3, -1
	s_mov_b32 s26, 0
	s_mov_b32 s17, s1
	v_or_b32_e32 v9, 0x180, v8
	s_mov_b32 s8, 0
	s_mov_b32 s2, exec_lo
	s_waitcnt lgkmcnt(0)
	s_add_i32 s25, s24, -1
	s_delay_alu instid0(SALU_CYCLE_1)
	s_cmp_gt_u32 s25, 1
	s_cselect_b32 s27, -1, 0
	v_cmpx_le_i32_e64 s30, v9
	s_xor_b32 s28, exec_lo, s2
	s_cbranch_execz .LBB89_1076
; %bb.1:
	v_mov_b32_e32 v0, 0
	s_clause 0x3
	s_load_b128 s[12:15], s[16:17], 0x4
	s_load_b64 s[18:19], s[16:17], 0x14
	s_load_b128 s[8:11], s[16:17], 0xc4
	s_load_b128 s[4:7], s[16:17], 0x148
	s_cmp_lg_u32 s24, 0
	s_mov_b32 s37, 0
	s_cselect_b32 s33, -1, 0
	global_load_u16 v4, v0, s[16:17] offset:345
	s_add_u32 s20, s16, 0xc4
	s_addc_u32 s21, s17, 0
	s_min_u32 s31, s25, 15
	s_cmp_gt_u32 s24, 1
	s_mov_b32 s35, 0
	s_cselect_b32 s29, -1, 0
	s_mov_b32 s34, 0
	s_mov_b32 s36, exec_lo
	s_waitcnt vmcnt(0)
	v_lshrrev_b16 v5, 8, v4
	v_cmpx_gt_i32_e64 s30, v8
	s_cbranch_execz .LBB89_263
; %bb.2:
	s_and_not1_b32 vcc_lo, exec_lo, s27
	s_cbranch_vccnz .LBB89_7
; %bb.3:
	v_dual_mov_b32 v0, 0 :: v_dual_mov_b32 v1, 0
	s_and_not1_b32 vcc_lo, exec_lo, s33
	s_cbranch_vccnz .LBB89_12
; %bb.4:
	v_mov_b32_e32 v0, 0
	s_add_i32 s38, s31, 1
	s_cmp_eq_u32 s25, 2
	s_cbranch_scc1 .LBB89_8
; %bb.5:
	v_dual_mov_b32 v1, 0 :: v_dual_mov_b32 v0, 0
	v_mov_b32_e32 v2, v8
	s_and_b32 s35, s38, 28
	s_mov_b32 s39, 0
	s_mov_b64 s[2:3], s[20:21]
	s_mov_b64 s[22:23], s[16:17]
.LBB89_6:                               ; =>This Inner Loop Header: Depth=1
	s_clause 0x1
	s_load_b256 s[40:47], s[22:23], 0x4
	s_load_b128 s[56:59], s[22:23], 0x24
	s_load_b256 s[48:55], s[2:3], 0x0
	s_add_u32 s22, s22, 48
	s_addc_u32 s23, s23, 0
	s_add_i32 s39, s39, 4
	s_add_u32 s2, s2, 32
	s_addc_u32 s3, s3, 0
	s_cmp_lg_u32 s35, s39
	s_waitcnt lgkmcnt(0)
	v_mul_hi_u32 v3, s41, v2
	s_delay_alu instid0(VALU_DEP_1) | instskip(NEXT) | instid1(VALU_DEP_1)
	v_add_nc_u32_e32 v3, v2, v3
	v_lshrrev_b32_e32 v3, s42, v3
	s_delay_alu instid0(VALU_DEP_1) | instskip(SKIP_1) | instid1(VALU_DEP_2)
	v_mul_hi_u32 v6, s44, v3
	v_mul_lo_u32 v9, v3, s40
	v_add_nc_u32_e32 v6, v3, v6
	s_delay_alu instid0(VALU_DEP_2) | instskip(NEXT) | instid1(VALU_DEP_2)
	v_sub_nc_u32_e32 v2, v2, v9
	v_lshrrev_b32_e32 v6, s45, v6
	s_delay_alu instid0(VALU_DEP_2) | instskip(SKIP_1) | instid1(VALU_DEP_3)
	v_mul_lo_u32 v9, v2, s48
	v_mul_lo_u32 v11, v2, s49
	v_mul_hi_u32 v7, s47, v6
	s_delay_alu instid0(VALU_DEP_1) | instskip(NEXT) | instid1(VALU_DEP_1)
	v_add_nc_u32_e32 v7, v6, v7
	v_lshrrev_b32_e32 v7, s56, v7
	s_delay_alu instid0(VALU_DEP_1) | instskip(SKIP_1) | instid1(VALU_DEP_2)
	v_mul_hi_u32 v10, s58, v7
	v_mul_lo_u32 v12, v7, s46
	v_add_nc_u32_e32 v2, v7, v10
	v_mul_lo_u32 v10, v6, s43
	s_delay_alu instid0(VALU_DEP_3) | instskip(NEXT) | instid1(VALU_DEP_3)
	v_sub_nc_u32_e32 v6, v6, v12
	v_lshrrev_b32_e32 v2, s59, v2
	s_delay_alu instid0(VALU_DEP_2) | instskip(SKIP_2) | instid1(VALU_DEP_4)
	v_mul_lo_u32 v12, v6, s52
	v_mul_lo_u32 v6, v6, s53
	v_sub_nc_u32_e32 v3, v3, v10
	v_mul_lo_u32 v13, v2, s57
	s_delay_alu instid0(VALU_DEP_2) | instskip(SKIP_1) | instid1(VALU_DEP_3)
	v_mul_lo_u32 v10, v3, s50
	v_mul_lo_u32 v3, v3, s51
	v_sub_nc_u32_e32 v7, v7, v13
	s_delay_alu instid0(VALU_DEP_3) | instskip(NEXT) | instid1(VALU_DEP_2)
	v_add3_u32 v0, v9, v0, v10
	v_mul_lo_u32 v13, v7, s54
	v_mul_lo_u32 v7, v7, s55
	v_add3_u32 v1, v11, v1, v3
	s_delay_alu instid0(VALU_DEP_3) | instskip(NEXT) | instid1(VALU_DEP_2)
	v_add3_u32 v0, v12, v0, v13
	v_add3_u32 v1, v6, v1, v7
	s_cbranch_scc1 .LBB89_6
	s_branch .LBB89_9
.LBB89_7:
	s_mov_b32 s34, -1
                                        ; implicit-def: $vgpr0
                                        ; implicit-def: $vgpr1
	s_branch .LBB89_12
.LBB89_8:
	v_dual_mov_b32 v2, v8 :: v_dual_mov_b32 v1, 0
.LBB89_9:
	s_and_b32 s38, s38, 3
	s_delay_alu instid0(SALU_CYCLE_1)
	s_cmp_eq_u32 s38, 0
	s_cbranch_scc1 .LBB89_12
; %bb.10:
	s_lshl_b32 s2, s35, 3
	s_mul_i32 s22, s35, 12
	s_add_u32 s2, s2, s16
	s_addc_u32 s3, s17, 0
	s_add_u32 s2, s2, 0xc4
	s_addc_u32 s3, s3, 0
	;; [unrolled: 2-line block ×3, first 2 shown]
	.p2align	6
.LBB89_11:                              ; =>This Inner Loop Header: Depth=1
	s_clause 0x1
	s_load_b64 s[40:41], s[22:23], 0x4
	s_load_b32 s35, s[22:23], 0xc
	s_load_b64 s[42:43], s[2:3], 0x0
	s_add_u32 s22, s22, 12
	s_addc_u32 s23, s23, 0
	s_add_u32 s2, s2, 8
	s_addc_u32 s3, s3, 0
	s_add_i32 s38, s38, -1
	s_delay_alu instid0(SALU_CYCLE_1) | instskip(SKIP_2) | instid1(VALU_DEP_1)
	s_cmp_lg_u32 s38, 0
	s_waitcnt lgkmcnt(0)
	v_mul_hi_u32 v3, s41, v2
	v_add_nc_u32_e32 v3, v2, v3
	s_delay_alu instid0(VALU_DEP_1) | instskip(NEXT) | instid1(VALU_DEP_1)
	v_lshrrev_b32_e32 v3, s35, v3
	v_mul_lo_u32 v6, v3, s40
	s_delay_alu instid0(VALU_DEP_1) | instskip(NEXT) | instid1(VALU_DEP_1)
	v_sub_nc_u32_e32 v2, v2, v6
	v_mad_u64_u32 v[6:7], null, v2, s42, v[0:1]
	v_mad_u64_u32 v[9:10], null, v2, s43, v[1:2]
	v_mov_b32_e32 v2, v3
	s_delay_alu instid0(VALU_DEP_2)
	v_dual_mov_b32 v0, v6 :: v_dual_mov_b32 v1, v9
	s_cbranch_scc1 .LBB89_11
.LBB89_12:
	s_and_not1_b32 vcc_lo, exec_lo, s34
	s_cbranch_vccnz .LBB89_15
; %bb.13:
	s_waitcnt lgkmcnt(0)
	v_mul_hi_u32 v0, s13, v8
	s_and_not1_b32 vcc_lo, exec_lo, s29
	s_delay_alu instid0(VALU_DEP_1) | instskip(NEXT) | instid1(VALU_DEP_1)
	v_add_nc_u32_e32 v0, v8, v0
	v_lshrrev_b32_e32 v2, s14, v0
	s_delay_alu instid0(VALU_DEP_1) | instskip(NEXT) | instid1(VALU_DEP_1)
	v_mul_lo_u32 v0, v2, s12
	v_sub_nc_u32_e32 v1, v8, v0
	s_delay_alu instid0(VALU_DEP_1)
	v_mul_lo_u32 v0, v1, s8
	v_mul_lo_u32 v1, v1, s9
	s_cbranch_vccnz .LBB89_15
; %bb.14:
	v_mul_hi_u32 v3, s18, v2
	s_delay_alu instid0(VALU_DEP_1) | instskip(NEXT) | instid1(VALU_DEP_1)
	v_add_nc_u32_e32 v3, v2, v3
	v_lshrrev_b32_e32 v3, s19, v3
	s_delay_alu instid0(VALU_DEP_1) | instskip(NEXT) | instid1(VALU_DEP_1)
	v_mul_lo_u32 v3, v3, s15
	v_sub_nc_u32_e32 v9, v2, v3
	s_delay_alu instid0(VALU_DEP_1) | instskip(NEXT) | instid1(VALU_DEP_1)
	v_mad_u64_u32 v[2:3], null, v9, s10, v[0:1]
	v_mad_u64_u32 v[6:7], null, v9, s11, v[1:2]
	v_mov_b32_e32 v0, v2
	s_delay_alu instid0(VALU_DEP_2)
	v_mov_b32_e32 v1, v6
.LBB89_15:
	v_cmp_gt_i16_e32 vcc_lo, 11, v5
	s_waitcnt lgkmcnt(0)
	s_delay_alu instid0(VALU_DEP_2) | instskip(NEXT) | instid1(VALU_DEP_1)
	v_add_co_u32 v1, s2, s6, v1
	v_add_co_ci_u32_e64 v2, null, s7, 0, s2
	s_mov_b32 s3, 0
	s_cbranch_vccnz .LBB89_22
; %bb.16:
	v_cmp_lt_i16_e32 vcc_lo, 25, v5
	s_cbranch_vccz .LBB89_141
; %bb.17:
	v_cmp_lt_i16_e32 vcc_lo, 28, v5
	s_cbranch_vccz .LBB89_142
	;; [unrolled: 3-line block ×4, first 2 shown]
; %bb.20:
	v_cmp_eq_u16_e32 vcc_lo, 46, v5
	s_mov_b32 s22, 0
	s_cbranch_vccz .LBB89_145
; %bb.21:
	global_load_b32 v3, v[1:2], off
	s_mov_b32 s2, -1
	s_waitcnt vmcnt(0)
	v_lshlrev_b32_e32 v3, 16, v3
	s_branch .LBB89_147
.LBB89_22:
	s_mov_b32 s2, 0
                                        ; implicit-def: $vgpr3
	s_cbranch_execnz .LBB89_213
.LBB89_23:
	s_and_not1_b32 vcc_lo, exec_lo, s2
	s_cbranch_vccnz .LBB89_260
.LBB89_24:
	s_waitcnt vmcnt(0)
	s_delay_alu instid0(VALU_DEP_1) | instskip(SKIP_3) | instid1(VALU_DEP_2)
	v_mul_f32_e32 v1, 0x3fb8aa3b, v3
	v_cmp_ngt_f32_e64 s2, 0xc2ce8ed0, v3
	s_mov_b32 s22, 0
	s_mov_b32 s23, -1
	v_rndne_f32_e32 v2, v1
	v_fma_f32 v6, 0x3fb8aa3b, v3, -v1
	s_delay_alu instid0(VALU_DEP_1) | instskip(SKIP_1) | instid1(VALU_DEP_2)
	v_dual_sub_f32 v1, v1, v2 :: v_dual_fmamk_f32 v6, v3, 0x32a5705f, v6
	v_cvt_i32_f32_e32 v2, v2
	v_dual_add_f32 v1, v1, v6 :: v_dual_and_b32 v6, 0xff, v4
	s_delay_alu instid0(VALU_DEP_1) | instskip(NEXT) | instid1(VALU_DEP_1)
	v_exp_f32_e32 v1, v1
	v_cmp_gt_i16_e32 vcc_lo, 11, v6
	s_and_b32 vcc_lo, exec_lo, vcc_lo
	s_waitcnt_depctr 0xfff
	v_ldexp_f32 v1, v1, v2
	s_delay_alu instid0(VALU_DEP_1) | instskip(SKIP_1) | instid1(VALU_DEP_1)
	v_cndmask_b32_e64 v2, 0, v1, s2
	v_add_co_u32 v0, s2, s4, v0
	v_add_co_ci_u32_e64 v1, null, s5, 0, s2
	v_cmp_nlt_f32_e64 s2, 0x42b17218, v3
	s_delay_alu instid0(VALU_DEP_1)
	v_cndmask_b32_e64 v2, 0x7f800000, v2, s2
	s_mov_b32 s2, 0
	s_cbranch_vccnz .LBB89_101
; %bb.25:
	v_cmp_lt_i16_e32 vcc_lo, 25, v6
	s_cbranch_vccz .LBB89_58
; %bb.26:
	v_cmp_lt_i16_e32 vcc_lo, 28, v6
	s_cbranch_vccz .LBB89_41
	;; [unrolled: 3-line block ×4, first 2 shown]
; %bb.29:
	v_cmp_eq_u16_e32 vcc_lo, 46, v6
	s_mov_b32 s23, 0
	s_mov_b32 s22, -1
	s_cbranch_vccz .LBB89_31
; %bb.30:
	v_bfe_u32 v3, v2, 16, 1
	v_cmp_o_f32_e32 vcc_lo, v2, v2
	s_mov_b32 s2, -1
	s_mov_b32 s22, 0
	s_delay_alu instid0(VALU_DEP_2) | instskip(NEXT) | instid1(VALU_DEP_1)
	v_add3_u32 v3, v2, v3, 0x7fff
	v_lshrrev_b32_e32 v3, 16, v3
	s_delay_alu instid0(VALU_DEP_1)
	v_cndmask_b32_e32 v3, 0x7fc0, v3, vcc_lo
	global_store_b32 v[0:1], v3, off
.LBB89_31:
	s_and_b32 vcc_lo, exec_lo, s23
	s_cbranch_vccz .LBB89_36
; %bb.32:
	v_cmp_eq_u16_e32 vcc_lo, 44, v6
	s_mov_b32 s22, -1
	s_cbranch_vccz .LBB89_36
; %bb.33:
	v_bfe_u32 v7, v2, 23, 8
	v_mov_b32_e32 v3, 0xff
	s_mov_b32 s22, exec_lo
	s_delay_alu instid0(VALU_DEP_2)
	v_cmpx_ne_u32_e32 0xff, v7
; %bb.34:
	v_and_b32_e32 v3, 0x400000, v2
	v_and_or_b32 v7, 0x3fffff, v2, v7
	s_delay_alu instid0(VALU_DEP_2) | instskip(NEXT) | instid1(VALU_DEP_2)
	v_cmp_ne_u32_e32 vcc_lo, 0, v3
	v_cmp_ne_u32_e64 s2, 0, v7
	v_lshrrev_b32_e32 v3, 23, v2
	s_delay_alu instid0(VALU_DEP_2) | instskip(NEXT) | instid1(SALU_CYCLE_1)
	s_and_b32 s2, vcc_lo, s2
	v_cndmask_b32_e64 v7, 0, 1, s2
	s_delay_alu instid0(VALU_DEP_1)
	v_add_nc_u32_e32 v3, v3, v7
; %bb.35:
	s_or_b32 exec_lo, exec_lo, s22
	s_mov_b32 s2, -1
	s_mov_b32 s22, 0
	global_store_b8 v[0:1], v3, off
.LBB89_36:
	s_mov_b32 s23, 0
.LBB89_37:
	s_delay_alu instid0(SALU_CYCLE_1)
	s_and_b32 vcc_lo, exec_lo, s23
	s_cbranch_vccz .LBB89_40
; %bb.38:
	v_cmp_eq_u16_e32 vcc_lo, 29, v6
	s_mov_b32 s22, -1
	s_cbranch_vccz .LBB89_40
; %bb.39:
	v_trunc_f32_e32 v3, v2
	s_mov_b32 s2, -1
	s_mov_b32 s22, 0
	s_delay_alu instid0(VALU_DEP_1) | instskip(NEXT) | instid1(VALU_DEP_1)
	v_mul_f32_e32 v7, 0x2f800000, v3
	v_floor_f32_e32 v7, v7
	s_delay_alu instid0(VALU_DEP_1) | instskip(SKIP_1) | instid1(VALU_DEP_2)
	v_fmamk_f32 v3, v7, 0xcf800000, v3
	v_cvt_u32_f32_e32 v10, v7
	v_cvt_u32_f32_e32 v9, v3
	global_store_b64 v[0:1], v[9:10], off
.LBB89_40:
	s_mov_b32 s23, 0
.LBB89_41:
	s_delay_alu instid0(SALU_CYCLE_1)
	s_and_b32 vcc_lo, exec_lo, s23
	s_cbranch_vccz .LBB89_57
; %bb.42:
	v_cmp_gt_i16_e32 vcc_lo, 27, v6
	s_mov_b32 s2, -1
	s_cbranch_vccnz .LBB89_48
; %bb.43:
	v_cmp_lt_i16_e32 vcc_lo, 27, v6
	s_cbranch_vccz .LBB89_45
; %bb.44:
	v_cvt_u32_f32_e32 v3, v2
	s_mov_b32 s2, 0
	global_store_b32 v[0:1], v3, off
.LBB89_45:
	s_and_not1_b32 vcc_lo, exec_lo, s2
	s_cbranch_vccnz .LBB89_47
; %bb.46:
	v_cvt_u32_f32_e32 v3, v2
	global_store_b16 v[0:1], v3, off
.LBB89_47:
	s_mov_b32 s2, 0
.LBB89_48:
	s_delay_alu instid0(SALU_CYCLE_1)
	s_and_not1_b32 vcc_lo, exec_lo, s2
	s_cbranch_vccnz .LBB89_56
; %bb.49:
	v_and_b32_e32 v3, 0x7fffffff, v2
	v_mov_b32_e32 v7, 0x80
	s_mov_b32 s2, exec_lo
	s_delay_alu instid0(VALU_DEP_2)
	v_cmpx_gt_u32_e32 0x43800000, v3
	s_cbranch_execz .LBB89_55
; %bb.50:
	v_cmp_lt_u32_e32 vcc_lo, 0x3bffffff, v3
	s_mov_b32 s23, 0
                                        ; implicit-def: $vgpr3
	s_and_saveexec_b32 s34, vcc_lo
	s_delay_alu instid0(SALU_CYCLE_1)
	s_xor_b32 s34, exec_lo, s34
	s_cbranch_execz .LBB89_150
; %bb.51:
	v_bfe_u32 v3, v2, 20, 1
	s_mov_b32 s23, exec_lo
	s_delay_alu instid0(VALU_DEP_1) | instskip(NEXT) | instid1(VALU_DEP_1)
	v_add3_u32 v3, v2, v3, 0x487ffff
	v_lshrrev_b32_e32 v3, 20, v3
	s_or_saveexec_b32 s34, s34
                                        ; implicit-def: $sgpr35
	s_delay_alu instid0(SALU_CYCLE_1)
	s_xor_b32 exec_lo, exec_lo, s34
	s_cbranch_execnz .LBB89_151
.LBB89_52:
	s_or_b32 exec_lo, exec_lo, s34
	v_mov_b32_e32 v7, s35
	s_and_saveexec_b32 s34, s23
.LBB89_53:
	v_lshrrev_b32_e32 v7, 24, v2
	s_delay_alu instid0(VALU_DEP_1)
	v_and_or_b32 v7, 0x80, v7, v3
.LBB89_54:
	s_or_b32 exec_lo, exec_lo, s34
.LBB89_55:
	s_delay_alu instid0(SALU_CYCLE_1)
	s_or_b32 exec_lo, exec_lo, s2
	global_store_b8 v[0:1], v7, off
.LBB89_56:
	s_mov_b32 s2, -1
.LBB89_57:
	s_mov_b32 s23, 0
.LBB89_58:
	s_delay_alu instid0(SALU_CYCLE_1)
	s_and_b32 vcc_lo, exec_lo, s23
	s_cbranch_vccz .LBB89_99
; %bb.59:
	v_cmp_lt_i16_e32 vcc_lo, 22, v6
	s_mov_b32 s23, -1
	s_cbranch_vccz .LBB89_91
; %bb.60:
	v_cmp_gt_i16_e32 vcc_lo, 24, v6
	s_mov_b32 s2, -1
	s_cbranch_vccnz .LBB89_80
; %bb.61:
	v_cmp_lt_i16_e32 vcc_lo, 24, v6
	s_cbranch_vccz .LBB89_69
; %bb.62:
	v_and_b32_e32 v3, 0x7fffffff, v2
	v_mov_b32_e32 v7, 0x80
	s_mov_b32 s2, exec_lo
	s_delay_alu instid0(VALU_DEP_2)
	v_cmpx_gt_u32_e32 0x47800000, v3
	s_cbranch_execz .LBB89_68
; %bb.63:
	v_cmp_lt_u32_e32 vcc_lo, 0x37ffffff, v3
	s_mov_b32 s23, 0
                                        ; implicit-def: $vgpr3
	s_and_saveexec_b32 s34, vcc_lo
	s_delay_alu instid0(SALU_CYCLE_1)
	s_xor_b32 s34, exec_lo, s34
	s_cbranch_execz .LBB89_341
; %bb.64:
	v_bfe_u32 v3, v2, 21, 1
	s_mov_b32 s23, exec_lo
	s_delay_alu instid0(VALU_DEP_1) | instskip(NEXT) | instid1(VALU_DEP_1)
	v_add3_u32 v3, v2, v3, 0x88fffff
	v_lshrrev_b32_e32 v3, 21, v3
	s_or_saveexec_b32 s34, s34
                                        ; implicit-def: $sgpr35
	s_delay_alu instid0(SALU_CYCLE_1)
	s_xor_b32 exec_lo, exec_lo, s34
	s_cbranch_execnz .LBB89_342
.LBB89_65:
	s_or_b32 exec_lo, exec_lo, s34
	v_mov_b32_e32 v7, s35
	s_and_saveexec_b32 s34, s23
.LBB89_66:
	v_lshrrev_b32_e32 v7, 24, v2
	s_delay_alu instid0(VALU_DEP_1)
	v_and_or_b32 v7, 0x80, v7, v3
.LBB89_67:
	s_or_b32 exec_lo, exec_lo, s34
.LBB89_68:
	s_delay_alu instid0(SALU_CYCLE_1)
	s_or_b32 exec_lo, exec_lo, s2
	s_mov_b32 s2, 0
	global_store_b8 v[0:1], v7, off
.LBB89_69:
	s_and_b32 vcc_lo, exec_lo, s2
	s_cbranch_vccz .LBB89_79
; %bb.70:
	v_and_b32_e32 v7, 0x7fffffff, v2
	s_mov_b32 s2, exec_lo
                                        ; implicit-def: $vgpr3
	s_delay_alu instid0(VALU_DEP_1)
	v_cmpx_gt_u32_e32 0x43f00000, v7
	s_xor_b32 s2, exec_lo, s2
	s_cbranch_execz .LBB89_76
; %bb.71:
	s_mov_b32 s23, exec_lo
                                        ; implicit-def: $vgpr3
	v_cmpx_lt_u32_e32 0x3c7fffff, v7
	s_xor_b32 s23, exec_lo, s23
; %bb.72:
	v_bfe_u32 v3, v2, 20, 1
	s_delay_alu instid0(VALU_DEP_1) | instskip(NEXT) | instid1(VALU_DEP_1)
	v_add3_u32 v3, v2, v3, 0x407ffff
	v_and_b32_e32 v7, 0xff00000, v3
	v_lshrrev_b32_e32 v3, 20, v3
	s_delay_alu instid0(VALU_DEP_2) | instskip(NEXT) | instid1(VALU_DEP_2)
	v_cmp_ne_u32_e32 vcc_lo, 0x7f00000, v7
	v_cndmask_b32_e32 v3, 0x7e, v3, vcc_lo
; %bb.73:
	s_and_not1_saveexec_b32 s23, s23
; %bb.74:
	v_add_f32_e64 v3, 0x46800000, |v2|
; %bb.75:
	s_or_b32 exec_lo, exec_lo, s23
                                        ; implicit-def: $vgpr7
.LBB89_76:
	s_and_not1_saveexec_b32 s2, s2
; %bb.77:
	v_mov_b32_e32 v3, 0x7f
	v_cmp_lt_u32_e32 vcc_lo, 0x7f800000, v7
	s_delay_alu instid0(VALU_DEP_2)
	v_cndmask_b32_e32 v3, 0x7e, v3, vcc_lo
; %bb.78:
	s_or_b32 exec_lo, exec_lo, s2
	v_lshrrev_b32_e32 v7, 24, v2
	s_delay_alu instid0(VALU_DEP_1)
	v_and_or_b32 v3, 0x80, v7, v3
	global_store_b8 v[0:1], v3, off
.LBB89_79:
	s_mov_b32 s2, 0
.LBB89_80:
	s_delay_alu instid0(SALU_CYCLE_1)
	s_and_not1_b32 vcc_lo, exec_lo, s2
	s_cbranch_vccnz .LBB89_90
; %bb.81:
	v_and_b32_e32 v7, 0x7fffffff, v2
	s_mov_b32 s2, exec_lo
                                        ; implicit-def: $vgpr3
	s_delay_alu instid0(VALU_DEP_1)
	v_cmpx_gt_u32_e32 0x47800000, v7
	s_xor_b32 s2, exec_lo, s2
	s_cbranch_execz .LBB89_87
; %bb.82:
	s_mov_b32 s23, exec_lo
                                        ; implicit-def: $vgpr3
	v_cmpx_lt_u32_e32 0x387fffff, v7
	s_xor_b32 s23, exec_lo, s23
; %bb.83:
	v_bfe_u32 v3, v2, 21, 1
	s_delay_alu instid0(VALU_DEP_1) | instskip(NEXT) | instid1(VALU_DEP_1)
	v_add3_u32 v3, v2, v3, 0x80fffff
	v_lshrrev_b32_e32 v3, 21, v3
; %bb.84:
	s_and_not1_saveexec_b32 s23, s23
; %bb.85:
	v_add_f32_e64 v3, 0x43000000, |v2|
; %bb.86:
	s_or_b32 exec_lo, exec_lo, s23
                                        ; implicit-def: $vgpr7
.LBB89_87:
	s_and_not1_saveexec_b32 s2, s2
; %bb.88:
	v_mov_b32_e32 v3, 0x7f
	v_cmp_lt_u32_e32 vcc_lo, 0x7f800000, v7
	s_delay_alu instid0(VALU_DEP_2)
	v_cndmask_b32_e32 v3, 0x7c, v3, vcc_lo
; %bb.89:
	s_or_b32 exec_lo, exec_lo, s2
	v_lshrrev_b32_e32 v7, 24, v2
	s_delay_alu instid0(VALU_DEP_1)
	v_and_or_b32 v3, 0x80, v7, v3
	global_store_b8 v[0:1], v3, off
.LBB89_90:
	s_mov_b32 s23, 0
	s_mov_b32 s2, -1
.LBB89_91:
	s_and_not1_b32 vcc_lo, exec_lo, s23
	s_cbranch_vccnz .LBB89_99
; %bb.92:
	v_cmp_lt_i16_e32 vcc_lo, 14, v6
	s_mov_b32 s23, -1
	s_cbranch_vccz .LBB89_96
; %bb.93:
	v_cmp_eq_u16_e32 vcc_lo, 15, v6
	s_mov_b32 s22, -1
	s_cbranch_vccz .LBB89_95
; %bb.94:
	v_bfe_u32 v3, v2, 16, 1
	v_cmp_o_f32_e32 vcc_lo, v2, v2
	s_mov_b32 s2, -1
	s_mov_b32 s22, 0
	s_delay_alu instid0(VALU_DEP_2) | instskip(NEXT) | instid1(VALU_DEP_1)
	v_add3_u32 v3, v2, v3, 0x7fff
	v_lshrrev_b32_e32 v3, 16, v3
	s_delay_alu instid0(VALU_DEP_1)
	v_cndmask_b32_e32 v3, 0x7fc0, v3, vcc_lo
	global_store_b16 v[0:1], v3, off
.LBB89_95:
	s_mov_b32 s23, 0
.LBB89_96:
	s_delay_alu instid0(SALU_CYCLE_1)
	s_and_b32 vcc_lo, exec_lo, s23
	s_cbranch_vccz .LBB89_99
; %bb.97:
	v_cmp_eq_u16_e32 vcc_lo, 11, v6
	s_mov_b32 s22, -1
	s_cbranch_vccz .LBB89_99
; %bb.98:
	v_cmp_neq_f32_e32 vcc_lo, 0, v2
	s_mov_b32 s22, 0
	s_mov_b32 s2, -1
	v_cndmask_b32_e64 v3, 0, 1, vcc_lo
	global_store_b8 v[0:1], v3, off
.LBB89_99:
.LBB89_100:
	s_and_not1_b32 vcc_lo, exec_lo, s2
	s_cbranch_vccz .LBB89_140
	s_branch .LBB89_261
.LBB89_101:
	s_and_b32 vcc_lo, exec_lo, s23
	s_cbranch_vccz .LBB89_100
; %bb.102:
	v_cmp_gt_i16_e32 vcc_lo, 5, v6
	s_mov_b32 s2, -1
	s_cbranch_vccnz .LBB89_123
; %bb.103:
	v_cmp_gt_i16_e32 vcc_lo, 8, v6
	s_cbranch_vccnz .LBB89_113
; %bb.104:
	v_cmp_gt_i16_e32 vcc_lo, 9, v6
	s_cbranch_vccnz .LBB89_110
; %bb.105:
	v_cmp_lt_i16_e32 vcc_lo, 9, v6
	s_cbranch_vccz .LBB89_107
; %bb.106:
	v_cvt_f64_f32_e32 v[9:10], v2
	v_mov_b32_e32 v11, 0
	s_mov_b32 s2, 0
	s_delay_alu instid0(VALU_DEP_1)
	v_mov_b32_e32 v12, v11
	global_store_b128 v[0:1], v[9:12], off
.LBB89_107:
	s_and_not1_b32 vcc_lo, exec_lo, s2
	s_cbranch_vccnz .LBB89_109
; %bb.108:
	v_mov_b32_e32 v3, 0
	global_store_b64 v[0:1], v[2:3], off
.LBB89_109:
	s_mov_b32 s2, 0
.LBB89_110:
	s_delay_alu instid0(SALU_CYCLE_1)
	s_and_not1_b32 vcc_lo, exec_lo, s2
	s_cbranch_vccnz .LBB89_112
; %bb.111:
	v_cvt_f16_f32_e32 v3, v2
	s_delay_alu instid0(VALU_DEP_1)
	v_and_b32_e32 v3, 0xffff, v3
	global_store_b32 v[0:1], v3, off
.LBB89_112:
	s_mov_b32 s2, 0
.LBB89_113:
	s_delay_alu instid0(SALU_CYCLE_1)
	s_and_not1_b32 vcc_lo, exec_lo, s2
	s_cbranch_vccnz .LBB89_122
; %bb.114:
	v_cmp_gt_i16_e32 vcc_lo, 6, v6
	s_mov_b32 s2, -1
	s_cbranch_vccnz .LBB89_120
; %bb.115:
	v_cmp_lt_i16_e32 vcc_lo, 6, v6
	s_cbranch_vccz .LBB89_117
; %bb.116:
	v_cvt_f64_f32_e32 v[9:10], v2
	s_mov_b32 s2, 0
	global_store_b64 v[0:1], v[9:10], off
.LBB89_117:
	s_and_not1_b32 vcc_lo, exec_lo, s2
	s_cbranch_vccnz .LBB89_119
; %bb.118:
	global_store_b32 v[0:1], v2, off
.LBB89_119:
	s_mov_b32 s2, 0
.LBB89_120:
	s_delay_alu instid0(SALU_CYCLE_1)
	s_and_not1_b32 vcc_lo, exec_lo, s2
	s_cbranch_vccnz .LBB89_122
; %bb.121:
	v_cvt_f16_f32_e32 v3, v2
	global_store_b16 v[0:1], v3, off
.LBB89_122:
	s_mov_b32 s2, 0
.LBB89_123:
	s_delay_alu instid0(SALU_CYCLE_1)
	s_and_not1_b32 vcc_lo, exec_lo, s2
	s_cbranch_vccnz .LBB89_139
; %bb.124:
	v_cmp_gt_i16_e32 vcc_lo, 2, v6
	s_mov_b32 s2, -1
	s_cbranch_vccnz .LBB89_134
; %bb.125:
	v_cmp_gt_i16_e32 vcc_lo, 3, v6
	s_cbranch_vccnz .LBB89_131
; %bb.126:
	v_cmp_lt_i16_e32 vcc_lo, 3, v6
	s_cbranch_vccz .LBB89_128
; %bb.127:
	v_trunc_f32_e32 v3, v2
	s_mov_b32 s2, 0
	s_delay_alu instid0(VALU_DEP_1) | instskip(NEXT) | instid1(VALU_DEP_1)
	v_mul_f32_e64 v7, 0x2f800000, |v3|
	v_floor_f32_e32 v7, v7
	s_delay_alu instid0(VALU_DEP_1) | instskip(SKIP_2) | instid1(VALU_DEP_3)
	v_fma_f32 v9, 0xcf800000, v7, |v3|
	v_ashrrev_i32_e32 v3, 31, v3
	v_cvt_u32_f32_e32 v7, v7
	v_cvt_u32_f32_e32 v9, v9
	s_delay_alu instid0(VALU_DEP_2) | instskip(NEXT) | instid1(VALU_DEP_2)
	v_xor_b32_e32 v7, v7, v3
	v_xor_b32_e32 v9, v9, v3
	s_delay_alu instid0(VALU_DEP_1) | instskip(NEXT) | instid1(VALU_DEP_3)
	v_sub_co_u32 v9, vcc_lo, v9, v3
	v_sub_co_ci_u32_e32 v10, vcc_lo, v7, v3, vcc_lo
	global_store_b64 v[0:1], v[9:10], off
.LBB89_128:
	s_and_not1_b32 vcc_lo, exec_lo, s2
	s_cbranch_vccnz .LBB89_130
; %bb.129:
	v_cvt_i32_f32_e32 v3, v2
	global_store_b32 v[0:1], v3, off
.LBB89_130:
	s_mov_b32 s2, 0
.LBB89_131:
	s_delay_alu instid0(SALU_CYCLE_1)
	s_and_not1_b32 vcc_lo, exec_lo, s2
	s_cbranch_vccnz .LBB89_133
; %bb.132:
	v_cvt_i32_f32_e32 v3, v2
	global_store_b16 v[0:1], v3, off
.LBB89_133:
	s_mov_b32 s2, 0
.LBB89_134:
	s_delay_alu instid0(SALU_CYCLE_1)
	s_and_not1_b32 vcc_lo, exec_lo, s2
	s_cbranch_vccnz .LBB89_139
; %bb.135:
	v_cmp_lt_i16_e32 vcc_lo, 0, v6
	s_mov_b32 s2, -1
	s_cbranch_vccz .LBB89_137
; %bb.136:
	v_cvt_i32_f32_e32 v3, v2
	s_mov_b32 s2, 0
	global_store_b8 v[0:1], v3, off
.LBB89_137:
	s_and_not1_b32 vcc_lo, exec_lo, s2
	s_cbranch_vccnz .LBB89_139
; %bb.138:
	v_trunc_f32_e32 v2, v2
	s_delay_alu instid0(VALU_DEP_1) | instskip(NEXT) | instid1(VALU_DEP_1)
	v_mul_f32_e64 v3, 0x2f800000, |v2|
	v_floor_f32_e32 v3, v3
	s_delay_alu instid0(VALU_DEP_1) | instskip(SKIP_1) | instid1(VALU_DEP_2)
	v_fma_f32 v3, 0xcf800000, v3, |v2|
	v_ashrrev_i32_e32 v2, 31, v2
	v_cvt_u32_f32_e32 v3, v3
	s_delay_alu instid0(VALU_DEP_1) | instskip(NEXT) | instid1(VALU_DEP_1)
	v_xor_b32_e32 v3, v3, v2
	v_sub_nc_u32_e32 v2, v3, v2
	global_store_b8 v[0:1], v2, off
.LBB89_139:
.LBB89_140:
	v_add_nc_u32_e32 v8, 0x80, v8
	s_mov_b32 s2, -1
	s_branch .LBB89_262
.LBB89_141:
	s_mov_b32 s2, 0
                                        ; implicit-def: $vgpr3
	s_cbranch_execnz .LBB89_178
	s_branch .LBB89_212
.LBB89_142:
	s_mov_b32 s22, -1
	s_mov_b32 s2, 0
                                        ; implicit-def: $vgpr3
	s_branch .LBB89_159
.LBB89_143:
	s_mov_b32 s22, -1
	s_mov_b32 s2, 0
                                        ; implicit-def: $vgpr3
	s_branch .LBB89_154
.LBB89_144:
	s_mov_b32 s22, -1
	s_branch .LBB89_146
.LBB89_145:
	s_mov_b32 s3, -1
.LBB89_146:
	s_mov_b32 s2, 0
                                        ; implicit-def: $vgpr3
.LBB89_147:
	s_and_b32 vcc_lo, exec_lo, s22
	s_cbranch_vccz .LBB89_153
; %bb.148:
	v_cmp_eq_u16_e32 vcc_lo, 44, v5
	s_cbranch_vccz .LBB89_152
; %bb.149:
	global_load_u8 v3, v[1:2], off
	s_mov_b32 s3, 0
	s_mov_b32 s2, -1
	s_waitcnt vmcnt(0)
	v_lshlrev_b32_e32 v6, 23, v3
	v_cmp_ne_u32_e32 vcc_lo, 0xff, v3
	s_delay_alu instid0(VALU_DEP_2) | instskip(SKIP_1) | instid1(VALU_DEP_2)
	v_cndmask_b32_e32 v6, 0x7f800001, v6, vcc_lo
	v_cmp_ne_u32_e32 vcc_lo, 0, v3
	v_cndmask_b32_e32 v3, 0x400000, v6, vcc_lo
	s_branch .LBB89_153
.LBB89_150:
	s_or_saveexec_b32 s34, s34
                                        ; implicit-def: $sgpr35
	s_delay_alu instid0(SALU_CYCLE_1)
	s_xor_b32 exec_lo, exec_lo, s34
	s_cbranch_execz .LBB89_52
.LBB89_151:
	v_add_f32_e64 v3, 0x46000000, |v2|
	s_and_not1_b32 s23, s23, exec_lo
	s_mov_b32 s35, 0
	s_delay_alu instid0(VALU_DEP_1) | instskip(NEXT) | instid1(VALU_DEP_1)
	v_and_b32_e32 v3, 0xff, v3
	v_cmp_ne_u32_e32 vcc_lo, 0, v3
	s_and_b32 s38, vcc_lo, exec_lo
	s_delay_alu instid0(SALU_CYCLE_1)
	s_or_b32 s23, s23, s38
	s_or_b32 exec_lo, exec_lo, s34
	v_mov_b32_e32 v7, s35
	s_and_saveexec_b32 s34, s23
	s_cbranch_execnz .LBB89_53
	s_branch .LBB89_54
.LBB89_152:
	s_mov_b32 s3, -1
                                        ; implicit-def: $vgpr3
.LBB89_153:
	s_mov_b32 s22, 0
.LBB89_154:
	s_delay_alu instid0(SALU_CYCLE_1)
	s_and_b32 vcc_lo, exec_lo, s22
	s_cbranch_vccz .LBB89_158
; %bb.155:
	v_cmp_eq_u16_e32 vcc_lo, 29, v5
	s_cbranch_vccz .LBB89_157
; %bb.156:
	global_load_b64 v[6:7], v[1:2], off
	s_mov_b32 s2, -1
	s_mov_b32 s3, 0
	s_mov_b32 s22, 0
	s_waitcnt vmcnt(0)
	v_clz_i32_u32_e32 v3, v7
	s_delay_alu instid0(VALU_DEP_1) | instskip(NEXT) | instid1(VALU_DEP_1)
	v_min_u32_e32 v3, 32, v3
	v_lshlrev_b64 v[6:7], v3, v[6:7]
	v_sub_nc_u32_e32 v3, 32, v3
	s_delay_alu instid0(VALU_DEP_2) | instskip(NEXT) | instid1(VALU_DEP_1)
	v_min_u32_e32 v6, 1, v6
	v_or_b32_e32 v6, v7, v6
	s_delay_alu instid0(VALU_DEP_1) | instskip(NEXT) | instid1(VALU_DEP_1)
	v_cvt_f32_u32_e32 v6, v6
	v_ldexp_f32 v3, v6, v3
	s_branch .LBB89_159
.LBB89_157:
	s_mov_b32 s3, -1
                                        ; implicit-def: $vgpr3
.LBB89_158:
	s_mov_b32 s22, 0
.LBB89_159:
	s_delay_alu instid0(SALU_CYCLE_1)
	s_and_b32 vcc_lo, exec_lo, s22
	s_cbranch_vccz .LBB89_177
; %bb.160:
	v_cmp_gt_i16_e32 vcc_lo, 27, v5
	s_cbranch_vccnz .LBB89_163
; %bb.161:
	v_cmp_lt_i16_e32 vcc_lo, 27, v5
	s_cbranch_vccz .LBB89_164
; %bb.162:
	global_load_b32 v3, v[1:2], off
	s_mov_b32 s2, 0
	s_waitcnt vmcnt(0)
	v_cvt_f32_u32_e32 v3, v3
	s_branch .LBB89_165
.LBB89_163:
	s_mov_b32 s2, -1
                                        ; implicit-def: $vgpr3
	s_branch .LBB89_168
.LBB89_164:
	s_mov_b32 s2, -1
                                        ; implicit-def: $vgpr3
.LBB89_165:
	s_delay_alu instid0(SALU_CYCLE_1)
	s_and_not1_b32 vcc_lo, exec_lo, s2
	s_cbranch_vccnz .LBB89_167
; %bb.166:
	global_load_u16 v3, v[1:2], off
	s_waitcnt vmcnt(0)
	v_cvt_f32_u32_e32 v3, v3
.LBB89_167:
	s_mov_b32 s2, 0
.LBB89_168:
	s_delay_alu instid0(SALU_CYCLE_1)
	s_and_not1_b32 vcc_lo, exec_lo, s2
	s_cbranch_vccnz .LBB89_176
; %bb.169:
	global_load_u8 v6, v[1:2], off
	s_mov_b32 s2, 0
	s_mov_b32 s23, exec_lo
                                        ; implicit-def: $sgpr22
	s_waitcnt vmcnt(0)
	v_cmpx_lt_i16_e32 0x7f, v6
	s_xor_b32 s23, exec_lo, s23
	s_cbranch_execz .LBB89_189
; %bb.170:
	s_mov_b32 s2, -1
	s_mov_b32 s34, exec_lo
                                        ; implicit-def: $sgpr22
	v_cmpx_eq_u16_e32 0x80, v6
; %bb.171:
	s_mov_b32 s22, 0x7f800001
	s_xor_b32 s2, exec_lo, -1
; %bb.172:
	s_or_b32 exec_lo, exec_lo, s34
	s_delay_alu instid0(SALU_CYCLE_1)
	s_and_b32 s2, s2, exec_lo
	s_or_saveexec_b32 s23, s23
	v_mov_b32_e32 v3, s22
	s_xor_b32 exec_lo, exec_lo, s23
	s_cbranch_execnz .LBB89_190
.LBB89_173:
	s_or_b32 exec_lo, exec_lo, s23
	s_and_saveexec_b32 s22, s2
	s_cbranch_execz .LBB89_175
.LBB89_174:
	v_and_b32_e32 v3, 0xffff, v6
	v_lshlrev_b32_e32 v6, 24, v6
	s_delay_alu instid0(VALU_DEP_2) | instskip(NEXT) | instid1(VALU_DEP_2)
	v_and_b32_e32 v7, 7, v3
	v_and_b32_e32 v6, 0x80000000, v6
	s_delay_alu instid0(VALU_DEP_2) | instskip(NEXT) | instid1(VALU_DEP_1)
	v_clz_i32_u32_e32 v9, v7
	v_min_u32_e32 v9, 32, v9
	s_delay_alu instid0(VALU_DEP_1) | instskip(SKIP_1) | instid1(VALU_DEP_2)
	v_subrev_nc_u32_e32 v10, 28, v9
	v_sub_nc_u32_e32 v9, 29, v9
	v_lshlrev_b32_e32 v10, v10, v3
	v_bfe_u32 v3, v3, 3, 4
	s_delay_alu instid0(VALU_DEP_1) | instskip(NEXT) | instid1(VALU_DEP_3)
	v_cmp_eq_u32_e32 vcc_lo, 0, v3
	v_dual_cndmask_b32 v3, v3, v9 :: v_dual_and_b32 v10, 7, v10
	s_delay_alu instid0(VALU_DEP_1) | instskip(NEXT) | instid1(VALU_DEP_2)
	v_lshl_add_u32 v3, v3, 23, 0x3b800000
	v_cndmask_b32_e32 v7, v7, v10, vcc_lo
	s_delay_alu instid0(VALU_DEP_1) | instskip(NEXT) | instid1(VALU_DEP_1)
	v_lshlrev_b32_e32 v7, 20, v7
	v_or3_b32 v3, v6, v3, v7
.LBB89_175:
	s_or_b32 exec_lo, exec_lo, s22
.LBB89_176:
	s_mov_b32 s2, -1
.LBB89_177:
	s_branch .LBB89_212
.LBB89_178:
	v_cmp_lt_i16_e32 vcc_lo, 22, v5
	s_cbranch_vccz .LBB89_188
; %bb.179:
	v_cmp_gt_i16_e32 vcc_lo, 24, v5
	s_cbranch_vccnz .LBB89_191
; %bb.180:
	v_cmp_lt_i16_e32 vcc_lo, 24, v5
	s_cbranch_vccz .LBB89_192
; %bb.181:
	global_load_u8 v6, v[1:2], off
	s_mov_b32 s2, 0
	s_mov_b32 s23, exec_lo
                                        ; implicit-def: $sgpr22
	s_waitcnt vmcnt(0)
	v_cmpx_lt_i16_e32 0x7f, v6
	s_xor_b32 s23, exec_lo, s23
	s_cbranch_execz .LBB89_204
; %bb.182:
	s_mov_b32 s2, -1
	s_mov_b32 s34, exec_lo
                                        ; implicit-def: $sgpr22
	v_cmpx_eq_u16_e32 0x80, v6
; %bb.183:
	s_mov_b32 s22, 0x7f800001
	s_xor_b32 s2, exec_lo, -1
; %bb.184:
	s_or_b32 exec_lo, exec_lo, s34
	s_delay_alu instid0(SALU_CYCLE_1)
	s_and_b32 s2, s2, exec_lo
	s_or_saveexec_b32 s23, s23
	v_mov_b32_e32 v3, s22
	s_xor_b32 exec_lo, exec_lo, s23
	s_cbranch_execnz .LBB89_205
.LBB89_185:
	s_or_b32 exec_lo, exec_lo, s23
	s_and_saveexec_b32 s22, s2
	s_cbranch_execz .LBB89_187
.LBB89_186:
	v_and_b32_e32 v3, 0xffff, v6
	v_lshlrev_b32_e32 v6, 24, v6
	s_delay_alu instid0(VALU_DEP_2) | instskip(NEXT) | instid1(VALU_DEP_2)
	v_and_b32_e32 v7, 3, v3
	v_and_b32_e32 v6, 0x80000000, v6
	s_delay_alu instid0(VALU_DEP_2) | instskip(NEXT) | instid1(VALU_DEP_1)
	v_clz_i32_u32_e32 v9, v7
	v_min_u32_e32 v9, 32, v9
	s_delay_alu instid0(VALU_DEP_1) | instskip(SKIP_1) | instid1(VALU_DEP_2)
	v_subrev_nc_u32_e32 v10, 29, v9
	v_sub_nc_u32_e32 v9, 30, v9
	v_lshlrev_b32_e32 v10, v10, v3
	v_bfe_u32 v3, v3, 2, 5
	s_delay_alu instid0(VALU_DEP_1) | instskip(NEXT) | instid1(VALU_DEP_3)
	v_cmp_eq_u32_e32 vcc_lo, 0, v3
	v_dual_cndmask_b32 v3, v3, v9 :: v_dual_and_b32 v10, 3, v10
	s_delay_alu instid0(VALU_DEP_1) | instskip(NEXT) | instid1(VALU_DEP_2)
	v_lshl_add_u32 v3, v3, 23, 0x37800000
	v_cndmask_b32_e32 v7, v7, v10, vcc_lo
	s_delay_alu instid0(VALU_DEP_1) | instskip(NEXT) | instid1(VALU_DEP_1)
	v_lshlrev_b32_e32 v7, 21, v7
	v_or3_b32 v3, v6, v3, v7
.LBB89_187:
	s_or_b32 exec_lo, exec_lo, s22
	s_mov_b32 s2, 0
	s_branch .LBB89_193
.LBB89_188:
	s_mov_b32 s22, -1
                                        ; implicit-def: $vgpr3
	s_branch .LBB89_199
.LBB89_189:
	s_or_saveexec_b32 s23, s23
	v_mov_b32_e32 v3, s22
	s_xor_b32 exec_lo, exec_lo, s23
	s_cbranch_execz .LBB89_173
.LBB89_190:
	v_cmp_ne_u16_e32 vcc_lo, 0, v6
	v_mov_b32_e32 v3, 0
	s_and_not1_b32 s2, s2, exec_lo
	s_and_b32 s22, vcc_lo, exec_lo
	s_delay_alu instid0(SALU_CYCLE_1)
	s_or_b32 s2, s2, s22
	s_or_b32 exec_lo, exec_lo, s23
	s_and_saveexec_b32 s22, s2
	s_cbranch_execnz .LBB89_174
	s_branch .LBB89_175
.LBB89_191:
	s_mov_b32 s2, -1
                                        ; implicit-def: $vgpr3
	s_branch .LBB89_196
.LBB89_192:
	s_mov_b32 s2, -1
                                        ; implicit-def: $vgpr3
.LBB89_193:
	s_delay_alu instid0(SALU_CYCLE_1)
	s_and_b32 vcc_lo, exec_lo, s2
	s_cbranch_vccz .LBB89_195
; %bb.194:
	global_load_u8 v3, v[1:2], off
	s_waitcnt vmcnt(0)
	v_lshlrev_b32_e32 v3, 24, v3
	s_delay_alu instid0(VALU_DEP_1) | instskip(NEXT) | instid1(VALU_DEP_1)
	v_and_b32_e32 v6, 0x7f000000, v3
	v_clz_i32_u32_e32 v7, v6
	v_cmp_ne_u32_e32 vcc_lo, 0, v6
	v_add_nc_u32_e32 v10, 0x1000000, v6
	s_delay_alu instid0(VALU_DEP_3) | instskip(NEXT) | instid1(VALU_DEP_1)
	v_min_u32_e32 v7, 32, v7
	v_sub_nc_u32_e64 v7, v7, 4 clamp
	s_delay_alu instid0(VALU_DEP_1) | instskip(SKIP_1) | instid1(VALU_DEP_2)
	v_lshlrev_b32_e32 v9, v7, v6
	v_lshlrev_b32_e32 v7, 23, v7
	v_lshrrev_b32_e32 v9, 4, v9
	s_delay_alu instid0(VALU_DEP_1) | instskip(SKIP_1) | instid1(VALU_DEP_2)
	v_sub_nc_u32_e32 v7, v9, v7
	v_ashrrev_i32_e32 v9, 8, v10
	v_add_nc_u32_e32 v7, 0x3c000000, v7
	s_delay_alu instid0(VALU_DEP_1) | instskip(NEXT) | instid1(VALU_DEP_1)
	v_and_or_b32 v7, 0x7f800000, v9, v7
	v_cndmask_b32_e32 v6, 0, v7, vcc_lo
	s_delay_alu instid0(VALU_DEP_1)
	v_and_or_b32 v3, 0x80000000, v3, v6
.LBB89_195:
	s_mov_b32 s2, 0
.LBB89_196:
	s_delay_alu instid0(SALU_CYCLE_1)
	s_and_not1_b32 vcc_lo, exec_lo, s2
	s_cbranch_vccnz .LBB89_198
; %bb.197:
	global_load_u8 v3, v[1:2], off
	s_waitcnt vmcnt(0)
	v_lshlrev_b32_e32 v6, 25, v3
	v_lshlrev_b16 v3, 8, v3
	s_delay_alu instid0(VALU_DEP_1) | instskip(SKIP_1) | instid1(VALU_DEP_2)
	v_and_or_b32 v9, 0x7f00, v3, 0.5
	v_bfe_i32 v3, v3, 0, 16
	v_add_f32_e32 v9, -0.5, v9
	v_lshrrev_b32_e32 v7, 4, v6
	v_cmp_gt_u32_e32 vcc_lo, 0x8000000, v6
	s_delay_alu instid0(VALU_DEP_2) | instskip(NEXT) | instid1(VALU_DEP_1)
	v_or_b32_e32 v7, 0x70000000, v7
	v_mul_f32_e32 v7, 0x7800000, v7
	s_delay_alu instid0(VALU_DEP_1) | instskip(NEXT) | instid1(VALU_DEP_1)
	v_cndmask_b32_e32 v6, v7, v9, vcc_lo
	v_and_or_b32 v3, 0x80000000, v3, v6
.LBB89_198:
	s_mov_b32 s22, 0
	s_mov_b32 s2, -1
.LBB89_199:
	s_and_not1_b32 vcc_lo, exec_lo, s22
	s_cbranch_vccnz .LBB89_212
; %bb.200:
	v_cmp_lt_i16_e32 vcc_lo, 14, v5
	s_cbranch_vccz .LBB89_203
; %bb.201:
	v_cmp_eq_u16_e32 vcc_lo, 15, v5
	s_cbranch_vccz .LBB89_206
; %bb.202:
	global_load_u16 v3, v[1:2], off
	s_mov_b32 s2, -1
	s_mov_b32 s3, 0
	s_waitcnt vmcnt(0)
	v_lshlrev_b32_e32 v3, 16, v3
	s_branch .LBB89_207
.LBB89_203:
	s_mov_b32 s22, -1
                                        ; implicit-def: $vgpr3
	s_branch .LBB89_208
.LBB89_204:
	s_or_saveexec_b32 s23, s23
	v_mov_b32_e32 v3, s22
	s_xor_b32 exec_lo, exec_lo, s23
	s_cbranch_execz .LBB89_185
.LBB89_205:
	v_cmp_ne_u16_e32 vcc_lo, 0, v6
	v_mov_b32_e32 v3, 0
	s_and_not1_b32 s2, s2, exec_lo
	s_and_b32 s22, vcc_lo, exec_lo
	s_delay_alu instid0(SALU_CYCLE_1)
	s_or_b32 s2, s2, s22
	s_or_b32 exec_lo, exec_lo, s23
	s_and_saveexec_b32 s22, s2
	s_cbranch_execnz .LBB89_186
	s_branch .LBB89_187
.LBB89_206:
	s_mov_b32 s3, -1
                                        ; implicit-def: $vgpr3
.LBB89_207:
	s_mov_b32 s22, 0
.LBB89_208:
	s_delay_alu instid0(SALU_CYCLE_1)
	s_and_b32 vcc_lo, exec_lo, s22
	s_cbranch_vccz .LBB89_212
; %bb.209:
	v_cmp_eq_u16_e32 vcc_lo, 11, v5
	s_cbranch_vccz .LBB89_211
; %bb.210:
	global_load_u8 v3, v[1:2], off
	s_mov_b32 s3, 0
	s_mov_b32 s2, -1
	s_waitcnt vmcnt(0)
	v_cmp_ne_u16_e32 vcc_lo, 0, v3
	v_cndmask_b32_e64 v3, 0, 1.0, vcc_lo
	s_branch .LBB89_212
.LBB89_211:
	s_mov_b32 s3, -1
                                        ; implicit-def: $vgpr3
.LBB89_212:
	s_branch .LBB89_23
.LBB89_213:
	v_cmp_gt_i16_e32 vcc_lo, 5, v5
	s_cbranch_vccnz .LBB89_218
; %bb.214:
	v_cmp_gt_i16_e32 vcc_lo, 8, v5
	s_cbranch_vccnz .LBB89_219
; %bb.215:
	;; [unrolled: 3-line block ×3, first 2 shown]
	v_cmp_lt_i16_e32 vcc_lo, 9, v5
	s_cbranch_vccz .LBB89_221
; %bb.217:
	global_load_b64 v[6:7], v[1:2], off
	s_mov_b32 s2, 0
	s_waitcnt vmcnt(0)
	v_cvt_f32_f64_e32 v3, v[6:7]
	s_branch .LBB89_222
.LBB89_218:
                                        ; implicit-def: $vgpr3
	s_branch .LBB89_240
.LBB89_219:
	s_mov_b32 s2, -1
                                        ; implicit-def: $vgpr3
	s_branch .LBB89_228
.LBB89_220:
	s_mov_b32 s2, -1
                                        ; implicit-def: $vgpr3
	s_branch .LBB89_225
.LBB89_221:
	s_mov_b32 s2, -1
                                        ; implicit-def: $vgpr3
.LBB89_222:
	s_delay_alu instid0(SALU_CYCLE_1)
	s_and_not1_b32 vcc_lo, exec_lo, s2
	s_cbranch_vccnz .LBB89_224
; %bb.223:
	global_load_b32 v3, v[1:2], off
.LBB89_224:
	s_mov_b32 s2, 0
.LBB89_225:
	s_delay_alu instid0(SALU_CYCLE_1)
	s_and_not1_b32 vcc_lo, exec_lo, s2
	s_cbranch_vccnz .LBB89_227
; %bb.226:
	global_load_b32 v3, v[1:2], off
	s_waitcnt vmcnt(0)
	v_cvt_f32_f16_e32 v3, v3
.LBB89_227:
	s_mov_b32 s2, 0
.LBB89_228:
	s_delay_alu instid0(SALU_CYCLE_1)
	s_and_not1_b32 vcc_lo, exec_lo, s2
	s_cbranch_vccnz .LBB89_239
; %bb.229:
	v_cmp_gt_i16_e32 vcc_lo, 6, v5
	s_cbranch_vccnz .LBB89_232
; %bb.230:
	v_cmp_lt_i16_e32 vcc_lo, 6, v5
	s_cbranch_vccz .LBB89_233
; %bb.231:
	global_load_b64 v[6:7], v[1:2], off
	s_mov_b32 s2, 0
	s_waitcnt vmcnt(0)
	v_cvt_f32_f64_e32 v3, v[6:7]
	s_branch .LBB89_234
.LBB89_232:
	s_mov_b32 s2, -1
                                        ; implicit-def: $vgpr3
	s_branch .LBB89_237
.LBB89_233:
	s_mov_b32 s2, -1
                                        ; implicit-def: $vgpr3
.LBB89_234:
	s_delay_alu instid0(SALU_CYCLE_1)
	s_and_not1_b32 vcc_lo, exec_lo, s2
	s_cbranch_vccnz .LBB89_236
; %bb.235:
	global_load_b32 v3, v[1:2], off
.LBB89_236:
	s_mov_b32 s2, 0
.LBB89_237:
	s_delay_alu instid0(SALU_CYCLE_1)
	s_and_not1_b32 vcc_lo, exec_lo, s2
	s_cbranch_vccnz .LBB89_239
; %bb.238:
	global_load_u16 v3, v[1:2], off
	s_waitcnt vmcnt(0)
	v_cvt_f32_f16_e32 v3, v3
.LBB89_239:
	s_cbranch_execnz .LBB89_259
.LBB89_240:
	v_cmp_gt_i16_e32 vcc_lo, 2, v5
	s_cbranch_vccnz .LBB89_244
; %bb.241:
	v_cmp_gt_i16_e32 vcc_lo, 3, v5
	s_cbranch_vccnz .LBB89_245
; %bb.242:
	v_cmp_lt_i16_e32 vcc_lo, 3, v5
	s_cbranch_vccz .LBB89_246
; %bb.243:
	global_load_b64 v[6:7], v[1:2], off
	s_mov_b32 s2, 0
	s_waitcnt vmcnt(0)
	v_xor_b32_e32 v3, v6, v7
	v_cls_i32_e32 v9, v7
	s_delay_alu instid0(VALU_DEP_2) | instskip(NEXT) | instid1(VALU_DEP_2)
	v_ashrrev_i32_e32 v3, 31, v3
	v_add_nc_u32_e32 v9, -1, v9
	s_delay_alu instid0(VALU_DEP_2) | instskip(NEXT) | instid1(VALU_DEP_1)
	v_add_nc_u32_e32 v3, 32, v3
	v_min_u32_e32 v3, v9, v3
	s_delay_alu instid0(VALU_DEP_1) | instskip(SKIP_1) | instid1(VALU_DEP_2)
	v_lshlrev_b64 v[6:7], v3, v[6:7]
	v_sub_nc_u32_e32 v3, 32, v3
	v_min_u32_e32 v6, 1, v6
	s_delay_alu instid0(VALU_DEP_1) | instskip(NEXT) | instid1(VALU_DEP_1)
	v_or_b32_e32 v6, v7, v6
	v_cvt_f32_i32_e32 v6, v6
	s_delay_alu instid0(VALU_DEP_1)
	v_ldexp_f32 v3, v6, v3
	s_branch .LBB89_247
.LBB89_244:
	s_mov_b32 s2, -1
                                        ; implicit-def: $vgpr3
	s_branch .LBB89_253
.LBB89_245:
	s_mov_b32 s2, -1
                                        ; implicit-def: $vgpr3
	s_branch .LBB89_250
.LBB89_246:
	s_mov_b32 s2, -1
                                        ; implicit-def: $vgpr3
.LBB89_247:
	s_delay_alu instid0(SALU_CYCLE_1)
	s_and_not1_b32 vcc_lo, exec_lo, s2
	s_cbranch_vccnz .LBB89_249
; %bb.248:
	global_load_b32 v3, v[1:2], off
	s_waitcnt vmcnt(0)
	v_cvt_f32_i32_e32 v3, v3
.LBB89_249:
	s_mov_b32 s2, 0
.LBB89_250:
	s_delay_alu instid0(SALU_CYCLE_1)
	s_and_not1_b32 vcc_lo, exec_lo, s2
	s_cbranch_vccnz .LBB89_252
; %bb.251:
	global_load_i16 v3, v[1:2], off
	s_waitcnt vmcnt(0)
	v_cvt_f32_i32_e32 v3, v3
.LBB89_252:
	s_mov_b32 s2, 0
.LBB89_253:
	s_delay_alu instid0(SALU_CYCLE_1)
	s_and_not1_b32 vcc_lo, exec_lo, s2
	s_cbranch_vccnz .LBB89_259
; %bb.254:
	v_cmp_lt_i16_e32 vcc_lo, 0, v5
	s_mov_b32 s2, 0
	s_cbranch_vccz .LBB89_256
; %bb.255:
	global_load_i8 v3, v[1:2], off
	s_waitcnt vmcnt(0)
	v_cvt_f32_i32_e32 v3, v3
	s_branch .LBB89_257
.LBB89_256:
	s_mov_b32 s2, -1
                                        ; implicit-def: $vgpr3
.LBB89_257:
	s_delay_alu instid0(SALU_CYCLE_1)
	s_and_not1_b32 vcc_lo, exec_lo, s2
	s_cbranch_vccnz .LBB89_259
; %bb.258:
	global_load_u8 v1, v[1:2], off
	s_waitcnt vmcnt(0)
	v_cvt_f32_ubyte0_e32 v3, v1
.LBB89_259:
	s_branch .LBB89_24
.LBB89_260:
	s_mov_b32 s22, 0
.LBB89_261:
	s_mov_b32 s2, 0
                                        ; implicit-def: $vgpr8
.LBB89_262:
	s_and_b32 s34, s22, exec_lo
	s_and_b32 s35, s3, exec_lo
	s_or_not1_b32 s3, s2, exec_lo
.LBB89_263:
	s_or_b32 exec_lo, exec_lo, s36
	s_mov_b32 s22, 0
	s_mov_b32 s2, 0
                                        ; implicit-def: $vgpr1_vgpr2
                                        ; implicit-def: $vgpr0
                                        ; implicit-def: $vgpr6
	s_and_saveexec_b32 s36, s3
	s_cbranch_execz .LBB89_906
; %bb.264:
	s_mov_b32 s2, -1
	s_mov_b32 s37, s35
	s_mov_b32 s38, s34
	s_mov_b32 s39, exec_lo
	v_cmpx_gt_i32_e64 s30, v8
	s_cbranch_execz .LBB89_533
; %bb.265:
	s_and_not1_b32 vcc_lo, exec_lo, s27
	s_cbranch_vccnz .LBB89_270
; %bb.266:
	v_dual_mov_b32 v0, 0 :: v_dual_mov_b32 v1, 0
	s_and_not1_b32 vcc_lo, exec_lo, s33
	s_mov_b32 s37, 0
	s_cbranch_vccnz .LBB89_275
; %bb.267:
	v_mov_b32_e32 v0, 0
	s_add_i32 s40, s31, 1
	s_cmp_eq_u32 s25, 2
	s_mov_b32 s38, 0
	s_cbranch_scc1 .LBB89_271
; %bb.268:
	v_dual_mov_b32 v1, 0 :: v_dual_mov_b32 v0, 0
	v_mov_b32_e32 v2, v8
	s_and_b32 s38, s40, 28
	s_mov_b32 s41, 0
	s_mov_b64 s[2:3], s[20:21]
	s_mov_b64 s[22:23], s[16:17]
.LBB89_269:                             ; =>This Inner Loop Header: Depth=1
	s_clause 0x1
	s_load_b256 s[44:51], s[22:23], 0x4
	s_load_b128 s[60:63], s[22:23], 0x24
	s_load_b256 s[52:59], s[2:3], 0x0
	s_add_u32 s22, s22, 48
	s_addc_u32 s23, s23, 0
	s_add_i32 s41, s41, 4
	s_add_u32 s2, s2, 32
	s_addc_u32 s3, s3, 0
	s_cmp_eq_u32 s38, s41
	s_waitcnt vmcnt(0) lgkmcnt(0)
	v_mul_hi_u32 v3, s45, v2
	s_delay_alu instid0(VALU_DEP_1) | instskip(NEXT) | instid1(VALU_DEP_1)
	v_add_nc_u32_e32 v3, v2, v3
	v_lshrrev_b32_e32 v3, s46, v3
	s_delay_alu instid0(VALU_DEP_1) | instskip(SKIP_1) | instid1(VALU_DEP_2)
	v_mul_hi_u32 v6, s48, v3
	v_mul_lo_u32 v9, v3, s44
	v_add_nc_u32_e32 v6, v3, v6
	s_delay_alu instid0(VALU_DEP_2) | instskip(NEXT) | instid1(VALU_DEP_2)
	v_sub_nc_u32_e32 v2, v2, v9
	v_lshrrev_b32_e32 v6, s49, v6
	s_delay_alu instid0(VALU_DEP_2) | instskip(SKIP_1) | instid1(VALU_DEP_3)
	v_mul_lo_u32 v9, v2, s52
	v_mul_lo_u32 v11, v2, s53
	v_mul_hi_u32 v7, s51, v6
	s_delay_alu instid0(VALU_DEP_1) | instskip(NEXT) | instid1(VALU_DEP_1)
	v_add_nc_u32_e32 v7, v6, v7
	v_lshrrev_b32_e32 v7, s60, v7
	s_delay_alu instid0(VALU_DEP_1) | instskip(SKIP_1) | instid1(VALU_DEP_2)
	v_mul_hi_u32 v10, s62, v7
	v_mul_lo_u32 v12, v7, s50
	v_add_nc_u32_e32 v2, v7, v10
	v_mul_lo_u32 v10, v6, s47
	s_delay_alu instid0(VALU_DEP_3) | instskip(NEXT) | instid1(VALU_DEP_3)
	v_sub_nc_u32_e32 v6, v6, v12
	v_lshrrev_b32_e32 v2, s63, v2
	s_delay_alu instid0(VALU_DEP_2) | instskip(SKIP_2) | instid1(VALU_DEP_4)
	v_mul_lo_u32 v12, v6, s56
	v_mul_lo_u32 v6, v6, s57
	v_sub_nc_u32_e32 v3, v3, v10
	v_mul_lo_u32 v13, v2, s61
	s_delay_alu instid0(VALU_DEP_2) | instskip(SKIP_1) | instid1(VALU_DEP_3)
	v_mul_lo_u32 v10, v3, s54
	v_mul_lo_u32 v3, v3, s55
	v_sub_nc_u32_e32 v7, v7, v13
	s_delay_alu instid0(VALU_DEP_3) | instskip(NEXT) | instid1(VALU_DEP_2)
	v_add3_u32 v0, v9, v0, v10
	v_mul_lo_u32 v13, v7, s58
	v_mul_lo_u32 v7, v7, s59
	v_add3_u32 v1, v11, v1, v3
	s_delay_alu instid0(VALU_DEP_3) | instskip(NEXT) | instid1(VALU_DEP_2)
	v_add3_u32 v0, v12, v0, v13
	v_add3_u32 v1, v6, v1, v7
	s_cbranch_scc0 .LBB89_269
	s_branch .LBB89_272
.LBB89_270:
	s_mov_b32 s37, -1
                                        ; implicit-def: $vgpr0
                                        ; implicit-def: $vgpr1
	s_branch .LBB89_275
.LBB89_271:
	v_dual_mov_b32 v2, v8 :: v_dual_mov_b32 v1, 0
.LBB89_272:
	s_and_b32 s40, s40, 3
	s_delay_alu instid0(SALU_CYCLE_1)
	s_cmp_eq_u32 s40, 0
	s_cbranch_scc1 .LBB89_275
; %bb.273:
	s_lshl_b32 s2, s38, 3
	s_mul_i32 s22, s38, 12
	s_add_u32 s2, s2, s16
	s_addc_u32 s3, s17, 0
	s_add_u32 s2, s2, 0xc4
	s_addc_u32 s3, s3, 0
	;; [unrolled: 2-line block ×3, first 2 shown]
	.p2align	6
.LBB89_274:                             ; =>This Inner Loop Header: Depth=1
	s_clause 0x1
	s_load_b64 s[42:43], s[22:23], 0x4
	s_load_b32 s38, s[22:23], 0xc
	s_load_b64 s[44:45], s[2:3], 0x0
	s_add_u32 s22, s22, 12
	s_addc_u32 s23, s23, 0
	s_add_u32 s2, s2, 8
	s_addc_u32 s3, s3, 0
	s_add_i32 s40, s40, -1
	s_delay_alu instid0(SALU_CYCLE_1) | instskip(SKIP_2) | instid1(VALU_DEP_1)
	s_cmp_lg_u32 s40, 0
	s_waitcnt vmcnt(0) lgkmcnt(0)
	v_mul_hi_u32 v3, s43, v2
	v_add_nc_u32_e32 v3, v2, v3
	s_delay_alu instid0(VALU_DEP_1) | instskip(NEXT) | instid1(VALU_DEP_1)
	v_lshrrev_b32_e32 v3, s38, v3
	v_mul_lo_u32 v6, v3, s42
	s_delay_alu instid0(VALU_DEP_1) | instskip(NEXT) | instid1(VALU_DEP_1)
	v_sub_nc_u32_e32 v2, v2, v6
	v_mad_u64_u32 v[6:7], null, v2, s44, v[0:1]
	v_mad_u64_u32 v[9:10], null, v2, s45, v[1:2]
	v_mov_b32_e32 v2, v3
	s_delay_alu instid0(VALU_DEP_2)
	v_dual_mov_b32 v0, v6 :: v_dual_mov_b32 v1, v9
	s_cbranch_scc1 .LBB89_274
.LBB89_275:
	s_and_not1_b32 vcc_lo, exec_lo, s37
	s_cbranch_vccnz .LBB89_278
; %bb.276:
	s_waitcnt lgkmcnt(0)
	v_mul_hi_u32 v0, s13, v8
	s_and_not1_b32 vcc_lo, exec_lo, s29
	s_delay_alu instid0(VALU_DEP_1) | instskip(NEXT) | instid1(VALU_DEP_1)
	v_add_nc_u32_e32 v0, v8, v0
	v_lshrrev_b32_e32 v2, s14, v0
	s_delay_alu instid0(VALU_DEP_1) | instskip(NEXT) | instid1(VALU_DEP_1)
	v_mul_lo_u32 v0, v2, s12
	v_sub_nc_u32_e32 v1, v8, v0
	s_delay_alu instid0(VALU_DEP_1)
	v_mul_lo_u32 v0, v1, s8
	v_mul_lo_u32 v1, v1, s9
	s_cbranch_vccnz .LBB89_278
; %bb.277:
	s_waitcnt vmcnt(0)
	v_mul_hi_u32 v3, s18, v2
	s_delay_alu instid0(VALU_DEP_1) | instskip(NEXT) | instid1(VALU_DEP_1)
	v_add_nc_u32_e32 v3, v2, v3
	v_lshrrev_b32_e32 v3, s19, v3
	s_delay_alu instid0(VALU_DEP_1) | instskip(NEXT) | instid1(VALU_DEP_1)
	v_mul_lo_u32 v3, v3, s15
	v_sub_nc_u32_e32 v9, v2, v3
	s_delay_alu instid0(VALU_DEP_1) | instskip(NEXT) | instid1(VALU_DEP_1)
	v_mad_u64_u32 v[2:3], null, v9, s10, v[0:1]
	v_mad_u64_u32 v[6:7], null, v9, s11, v[1:2]
	v_mov_b32_e32 v0, v2
	s_delay_alu instid0(VALU_DEP_2)
	v_mov_b32_e32 v1, v6
.LBB89_278:
	v_cmp_gt_i16_e32 vcc_lo, 11, v5
	s_waitcnt lgkmcnt(0)
	s_delay_alu instid0(VALU_DEP_2) | instskip(NEXT) | instid1(VALU_DEP_1)
	v_add_co_u32 v1, s2, s6, v1
	v_add_co_ci_u32_e64 v2, null, s7, 0, s2
	s_mov_b32 s2, 0
	s_cbranch_vccnz .LBB89_285
; %bb.279:
	v_cmp_lt_i16_e32 vcc_lo, 25, v5
	s_cbranch_vccz .LBB89_334
; %bb.280:
	v_cmp_lt_i16_e32 vcc_lo, 28, v5
	s_cbranch_vccz .LBB89_335
	;; [unrolled: 3-line block ×4, first 2 shown]
; %bb.283:
	v_cmp_eq_u16_e32 vcc_lo, 46, v5
	s_mov_b32 s22, 0
	s_cbranch_vccz .LBB89_343
; %bb.284:
	global_load_b32 v3, v[1:2], off
	s_mov_b32 s2, -1
	s_mov_b32 s3, 0
	s_waitcnt vmcnt(0)
	v_lshlrev_b32_e32 v3, 16, v3
	s_branch .LBB89_345
.LBB89_285:
	s_mov_b32 s3, s35
                                        ; implicit-def: $vgpr3
	s_cbranch_execnz .LBB89_482
.LBB89_286:
	s_and_not1_b32 vcc_lo, exec_lo, s2
	s_cbranch_vccnz .LBB89_530
.LBB89_287:
	s_waitcnt vmcnt(0)
	s_delay_alu instid0(VALU_DEP_1) | instskip(SKIP_3) | instid1(VALU_DEP_2)
	v_mul_f32_e32 v1, 0x3fb8aa3b, v3
	v_cmp_ngt_f32_e64 s2, 0xc2ce8ed0, v3
	s_mov_b32 s22, 0
	s_mov_b32 s23, -1
	v_rndne_f32_e32 v2, v1
	v_fma_f32 v6, 0x3fb8aa3b, v3, -v1
	s_delay_alu instid0(VALU_DEP_1) | instskip(SKIP_1) | instid1(VALU_DEP_2)
	v_dual_sub_f32 v1, v1, v2 :: v_dual_fmamk_f32 v6, v3, 0x32a5705f, v6
	v_cvt_i32_f32_e32 v2, v2
	v_dual_add_f32 v1, v1, v6 :: v_dual_and_b32 v6, 0xff, v4
	s_delay_alu instid0(VALU_DEP_1) | instskip(NEXT) | instid1(VALU_DEP_1)
	v_exp_f32_e32 v1, v1
	v_cmp_gt_i16_e32 vcc_lo, 11, v6
	s_and_b32 vcc_lo, exec_lo, vcc_lo
	s_waitcnt_depctr 0xfff
	v_ldexp_f32 v1, v1, v2
	s_delay_alu instid0(VALU_DEP_1) | instskip(SKIP_1) | instid1(VALU_DEP_1)
	v_cndmask_b32_e64 v2, 0, v1, s2
	v_add_co_u32 v0, s2, s4, v0
	v_add_co_ci_u32_e64 v1, null, s5, 0, s2
	v_cmp_nlt_f32_e64 s2, 0x42b17218, v3
	s_delay_alu instid0(VALU_DEP_1)
	v_cndmask_b32_e64 v2, 0x7f800000, v2, s2
	s_mov_b32 s2, s34
	s_cbranch_vccnz .LBB89_294
; %bb.288:
	v_cmp_lt_i16_e32 vcc_lo, 25, v6
	s_cbranch_vccz .LBB89_336
; %bb.289:
	v_cmp_lt_i16_e32 vcc_lo, 28, v6
	s_cbranch_vccz .LBB89_338
	;; [unrolled: 3-line block ×4, first 2 shown]
; %bb.292:
	v_cmp_eq_u16_e32 vcc_lo, 46, v6
	s_mov_b32 s23, 0
	s_mov_b32 s2, -1
	s_cbranch_vccz .LBB89_349
; %bb.293:
	v_bfe_u32 v3, v2, 16, 1
	v_cmp_o_f32_e32 vcc_lo, v2, v2
	s_mov_b32 s22, -1
	s_mov_b32 s2, 0
	s_delay_alu instid0(VALU_DEP_2) | instskip(NEXT) | instid1(VALU_DEP_1)
	v_add3_u32 v3, v2, v3, 0x7fff
	v_lshrrev_b32_e32 v3, 16, v3
	s_delay_alu instid0(VALU_DEP_1)
	v_cndmask_b32_e32 v3, 0x7fc0, v3, vcc_lo
	global_store_b32 v[0:1], v3, off
	s_branch .LBB89_349
.LBB89_294:
	s_and_b32 vcc_lo, exec_lo, s23
	s_cbranch_vccz .LBB89_418
; %bb.295:
	v_cmp_gt_i16_e32 vcc_lo, 5, v6
	s_mov_b32 s22, -1
	s_cbranch_vccnz .LBB89_316
; %bb.296:
	v_cmp_gt_i16_e32 vcc_lo, 8, v6
	s_cbranch_vccnz .LBB89_306
; %bb.297:
	v_cmp_gt_i16_e32 vcc_lo, 9, v6
	s_cbranch_vccnz .LBB89_303
; %bb.298:
	v_cmp_lt_i16_e32 vcc_lo, 9, v6
	s_cbranch_vccz .LBB89_300
; %bb.299:
	v_cvt_f64_f32_e32 v[9:10], v2
	v_mov_b32_e32 v11, 0
	s_mov_b32 s22, 0
	s_delay_alu instid0(VALU_DEP_1)
	v_mov_b32_e32 v12, v11
	global_store_b128 v[0:1], v[9:12], off
.LBB89_300:
	s_and_not1_b32 vcc_lo, exec_lo, s22
	s_cbranch_vccnz .LBB89_302
; %bb.301:
	v_mov_b32_e32 v3, 0
	global_store_b64 v[0:1], v[2:3], off
.LBB89_302:
	s_mov_b32 s22, 0
.LBB89_303:
	s_delay_alu instid0(SALU_CYCLE_1)
	s_and_not1_b32 vcc_lo, exec_lo, s22
	s_cbranch_vccnz .LBB89_305
; %bb.304:
	v_cvt_f16_f32_e32 v3, v2
	s_delay_alu instid0(VALU_DEP_1)
	v_and_b32_e32 v3, 0xffff, v3
	global_store_b32 v[0:1], v3, off
.LBB89_305:
	s_mov_b32 s22, 0
.LBB89_306:
	s_delay_alu instid0(SALU_CYCLE_1)
	s_and_not1_b32 vcc_lo, exec_lo, s22
	s_cbranch_vccnz .LBB89_315
; %bb.307:
	v_cmp_gt_i16_e32 vcc_lo, 6, v6
	s_mov_b32 s22, -1
	s_cbranch_vccnz .LBB89_313
; %bb.308:
	v_cmp_lt_i16_e32 vcc_lo, 6, v6
	s_cbranch_vccz .LBB89_310
; %bb.309:
	v_cvt_f64_f32_e32 v[9:10], v2
	s_mov_b32 s22, 0
	global_store_b64 v[0:1], v[9:10], off
.LBB89_310:
	s_and_not1_b32 vcc_lo, exec_lo, s22
	s_cbranch_vccnz .LBB89_312
; %bb.311:
	global_store_b32 v[0:1], v2, off
.LBB89_312:
	s_mov_b32 s22, 0
.LBB89_313:
	s_delay_alu instid0(SALU_CYCLE_1)
	s_and_not1_b32 vcc_lo, exec_lo, s22
	s_cbranch_vccnz .LBB89_315
; %bb.314:
	v_cvt_f16_f32_e32 v3, v2
	global_store_b16 v[0:1], v3, off
.LBB89_315:
	s_mov_b32 s22, 0
.LBB89_316:
	s_delay_alu instid0(SALU_CYCLE_1)
	s_and_not1_b32 vcc_lo, exec_lo, s22
	s_cbranch_vccnz .LBB89_332
; %bb.317:
	v_cmp_gt_i16_e32 vcc_lo, 2, v6
	s_mov_b32 s22, -1
	s_cbranch_vccnz .LBB89_327
; %bb.318:
	v_cmp_gt_i16_e32 vcc_lo, 3, v6
	s_cbranch_vccnz .LBB89_324
; %bb.319:
	v_cmp_lt_i16_e32 vcc_lo, 3, v6
	s_cbranch_vccz .LBB89_321
; %bb.320:
	v_trunc_f32_e32 v3, v2
	s_mov_b32 s22, 0
	s_delay_alu instid0(VALU_DEP_1) | instskip(NEXT) | instid1(VALU_DEP_1)
	v_mul_f32_e64 v7, 0x2f800000, |v3|
	v_floor_f32_e32 v7, v7
	s_delay_alu instid0(VALU_DEP_1) | instskip(SKIP_2) | instid1(VALU_DEP_3)
	v_fma_f32 v9, 0xcf800000, v7, |v3|
	v_ashrrev_i32_e32 v3, 31, v3
	v_cvt_u32_f32_e32 v7, v7
	v_cvt_u32_f32_e32 v9, v9
	s_delay_alu instid0(VALU_DEP_2) | instskip(NEXT) | instid1(VALU_DEP_2)
	v_xor_b32_e32 v7, v7, v3
	v_xor_b32_e32 v9, v9, v3
	s_delay_alu instid0(VALU_DEP_1) | instskip(NEXT) | instid1(VALU_DEP_3)
	v_sub_co_u32 v9, vcc_lo, v9, v3
	v_sub_co_ci_u32_e32 v10, vcc_lo, v7, v3, vcc_lo
	global_store_b64 v[0:1], v[9:10], off
.LBB89_321:
	s_and_not1_b32 vcc_lo, exec_lo, s22
	s_cbranch_vccnz .LBB89_323
; %bb.322:
	v_cvt_i32_f32_e32 v3, v2
	global_store_b32 v[0:1], v3, off
.LBB89_323:
	s_mov_b32 s22, 0
.LBB89_324:
	s_delay_alu instid0(SALU_CYCLE_1)
	s_and_not1_b32 vcc_lo, exec_lo, s22
	s_cbranch_vccnz .LBB89_326
; %bb.325:
	v_cvt_i32_f32_e32 v3, v2
	global_store_b16 v[0:1], v3, off
.LBB89_326:
	s_mov_b32 s22, 0
.LBB89_327:
	s_delay_alu instid0(SALU_CYCLE_1)
	s_and_not1_b32 vcc_lo, exec_lo, s22
	s_cbranch_vccnz .LBB89_332
; %bb.328:
	v_cmp_lt_i16_e32 vcc_lo, 0, v6
	s_mov_b32 s22, -1
	s_cbranch_vccz .LBB89_330
; %bb.329:
	v_cvt_i32_f32_e32 v3, v2
	s_mov_b32 s22, 0
	global_store_b8 v[0:1], v3, off
.LBB89_330:
	s_and_not1_b32 vcc_lo, exec_lo, s22
	s_cbranch_vccnz .LBB89_332
; %bb.331:
	v_trunc_f32_e32 v2, v2
	s_delay_alu instid0(VALU_DEP_1) | instskip(NEXT) | instid1(VALU_DEP_1)
	v_mul_f32_e64 v3, 0x2f800000, |v2|
	v_floor_f32_e32 v3, v3
	s_delay_alu instid0(VALU_DEP_1) | instskip(SKIP_1) | instid1(VALU_DEP_2)
	v_fma_f32 v3, 0xcf800000, v3, |v2|
	v_ashrrev_i32_e32 v2, 31, v2
	v_cvt_u32_f32_e32 v3, v3
	s_delay_alu instid0(VALU_DEP_1) | instskip(NEXT) | instid1(VALU_DEP_1)
	v_xor_b32_e32 v3, v3, v2
	v_sub_nc_u32_e32 v2, v3, v2
	global_store_b8 v[0:1], v2, off
.LBB89_332:
	s_branch .LBB89_419
.LBB89_333:
	s_mov_b32 s22, 0
	s_branch .LBB89_531
.LBB89_334:
	s_mov_b32 s22, -1
	s_mov_b32 s3, s35
                                        ; implicit-def: $vgpr3
	s_branch .LBB89_446
.LBB89_335:
	s_mov_b32 s22, -1
	s_mov_b32 s3, s35
                                        ; implicit-def: $vgpr3
	s_branch .LBB89_427
.LBB89_336:
	s_mov_b32 s2, s34
	s_branch .LBB89_376
.LBB89_337:
	s_mov_b32 s22, -1
	s_mov_b32 s3, s35
                                        ; implicit-def: $vgpr3
	s_branch .LBB89_422
.LBB89_338:
	s_mov_b32 s2, s34
	s_branch .LBB89_359
.LBB89_339:
	s_mov_b32 s22, -1
	s_mov_b32 s3, s35
	s_branch .LBB89_344
.LBB89_340:
	s_mov_b32 s2, s34
	s_branch .LBB89_355
.LBB89_341:
	s_or_saveexec_b32 s34, s34
                                        ; implicit-def: $sgpr35
	s_delay_alu instid0(SALU_CYCLE_1)
	s_xor_b32 exec_lo, exec_lo, s34
	s_cbranch_execz .LBB89_65
.LBB89_342:
	v_add_f32_e64 v3, 0x42800000, |v2|
	s_and_not1_b32 s23, s23, exec_lo
	s_mov_b32 s35, 0
	s_delay_alu instid0(VALU_DEP_1) | instskip(NEXT) | instid1(VALU_DEP_1)
	v_and_b32_e32 v3, 0xff, v3
	v_cmp_ne_u32_e32 vcc_lo, 0, v3
	s_and_b32 s38, vcc_lo, exec_lo
	s_delay_alu instid0(SALU_CYCLE_1)
	s_or_b32 s23, s23, s38
	s_or_b32 exec_lo, exec_lo, s34
	v_mov_b32_e32 v7, s35
	s_and_saveexec_b32 s34, s23
	s_cbranch_execnz .LBB89_66
	s_branch .LBB89_67
.LBB89_343:
	s_mov_b32 s3, -1
.LBB89_344:
                                        ; implicit-def: $vgpr3
.LBB89_345:
	s_and_b32 vcc_lo, exec_lo, s22
	s_cbranch_vccz .LBB89_421
; %bb.346:
	v_cmp_eq_u16_e32 vcc_lo, 44, v5
	s_cbranch_vccz .LBB89_420
; %bb.347:
	global_load_u8 v3, v[1:2], off
	s_mov_b32 s3, 0
	s_mov_b32 s2, -1
	s_waitcnt vmcnt(0)
	v_lshlrev_b32_e32 v6, 23, v3
	v_cmp_ne_u32_e32 vcc_lo, 0xff, v3
	s_delay_alu instid0(VALU_DEP_2) | instskip(SKIP_1) | instid1(VALU_DEP_2)
	v_cndmask_b32_e32 v6, 0x7f800001, v6, vcc_lo
	v_cmp_ne_u32_e32 vcc_lo, 0, v3
	v_cndmask_b32_e32 v3, 0x400000, v6, vcc_lo
	s_branch .LBB89_421
.LBB89_348:
	s_mov_b32 s2, s34
.LBB89_349:
	s_and_b32 vcc_lo, exec_lo, s23
	s_cbranch_vccz .LBB89_354
; %bb.350:
	v_cmp_eq_u16_e32 vcc_lo, 44, v6
	s_mov_b32 s2, -1
	s_cbranch_vccz .LBB89_354
; %bb.351:
	v_bfe_u32 v7, v2, 23, 8
	v_mov_b32_e32 v3, 0xff
	s_mov_b32 s22, exec_lo
	s_delay_alu instid0(VALU_DEP_2)
	v_cmpx_ne_u32_e32 0xff, v7
; %bb.352:
	v_and_b32_e32 v3, 0x400000, v2
	v_and_or_b32 v7, 0x3fffff, v2, v7
	s_delay_alu instid0(VALU_DEP_2) | instskip(NEXT) | instid1(VALU_DEP_2)
	v_cmp_ne_u32_e32 vcc_lo, 0, v3
	v_cmp_ne_u32_e64 s2, 0, v7
	v_lshrrev_b32_e32 v3, 23, v2
	s_delay_alu instid0(VALU_DEP_2) | instskip(NEXT) | instid1(SALU_CYCLE_1)
	s_and_b32 s2, vcc_lo, s2
	v_cndmask_b32_e64 v7, 0, 1, s2
	s_delay_alu instid0(VALU_DEP_1)
	v_add_nc_u32_e32 v3, v3, v7
; %bb.353:
	s_or_b32 exec_lo, exec_lo, s22
	s_mov_b32 s22, -1
	s_mov_b32 s2, 0
	global_store_b8 v[0:1], v3, off
.LBB89_354:
	s_mov_b32 s23, 0
.LBB89_355:
	s_delay_alu instid0(SALU_CYCLE_1)
	s_and_b32 vcc_lo, exec_lo, s23
	s_cbranch_vccz .LBB89_358
; %bb.356:
	v_cmp_eq_u16_e32 vcc_lo, 29, v6
	s_mov_b32 s2, -1
	s_cbranch_vccz .LBB89_358
; %bb.357:
	v_trunc_f32_e32 v3, v2
	s_mov_b32 s22, -1
	s_mov_b32 s2, 0
	s_mov_b32 s23, 0
	s_delay_alu instid0(VALU_DEP_1) | instskip(NEXT) | instid1(VALU_DEP_1)
	v_mul_f32_e32 v7, 0x2f800000, v3
	v_floor_f32_e32 v7, v7
	s_delay_alu instid0(VALU_DEP_1) | instskip(SKIP_1) | instid1(VALU_DEP_2)
	v_fmamk_f32 v3, v7, 0xcf800000, v3
	v_cvt_u32_f32_e32 v10, v7
	v_cvt_u32_f32_e32 v9, v3
	global_store_b64 v[0:1], v[9:10], off
	s_branch .LBB89_359
.LBB89_358:
	s_mov_b32 s23, 0
.LBB89_359:
	s_delay_alu instid0(SALU_CYCLE_1)
	s_and_b32 vcc_lo, exec_lo, s23
	s_cbranch_vccz .LBB89_375
; %bb.360:
	v_cmp_gt_i16_e32 vcc_lo, 27, v6
	s_mov_b32 s22, -1
	s_cbranch_vccnz .LBB89_366
; %bb.361:
	v_cmp_lt_i16_e32 vcc_lo, 27, v6
	s_cbranch_vccz .LBB89_363
; %bb.362:
	v_cvt_u32_f32_e32 v3, v2
	s_mov_b32 s22, 0
	global_store_b32 v[0:1], v3, off
.LBB89_363:
	s_and_not1_b32 vcc_lo, exec_lo, s22
	s_cbranch_vccnz .LBB89_365
; %bb.364:
	v_cvt_u32_f32_e32 v3, v2
	global_store_b16 v[0:1], v3, off
.LBB89_365:
	s_mov_b32 s22, 0
.LBB89_366:
	s_delay_alu instid0(SALU_CYCLE_1)
	s_and_not1_b32 vcc_lo, exec_lo, s22
	s_cbranch_vccnz .LBB89_374
; %bb.367:
	v_and_b32_e32 v3, 0x7fffffff, v2
	v_mov_b32_e32 v7, 0x80
	s_mov_b32 s22, exec_lo
	s_delay_alu instid0(VALU_DEP_2)
	v_cmpx_gt_u32_e32 0x43800000, v3
	s_cbranch_execz .LBB89_373
; %bb.368:
	v_cmp_lt_u32_e32 vcc_lo, 0x3bffffff, v3
	s_mov_b32 s23, 0
                                        ; implicit-def: $vgpr3
	s_and_saveexec_b32 s37, vcc_lo
	s_delay_alu instid0(SALU_CYCLE_1)
	s_xor_b32 s37, exec_lo, s37
	s_cbranch_execz .LBB89_559
; %bb.369:
	v_bfe_u32 v3, v2, 20, 1
	s_mov_b32 s23, exec_lo
	s_delay_alu instid0(VALU_DEP_1) | instskip(NEXT) | instid1(VALU_DEP_1)
	v_add3_u32 v3, v2, v3, 0x487ffff
	v_lshrrev_b32_e32 v3, 20, v3
	s_or_saveexec_b32 s37, s37
                                        ; implicit-def: $sgpr38
	s_delay_alu instid0(SALU_CYCLE_1)
	s_xor_b32 exec_lo, exec_lo, s37
	s_cbranch_execnz .LBB89_560
.LBB89_370:
	s_or_b32 exec_lo, exec_lo, s37
	v_mov_b32_e32 v7, s38
	s_and_saveexec_b32 s37, s23
.LBB89_371:
	v_lshrrev_b32_e32 v7, 24, v2
	s_delay_alu instid0(VALU_DEP_1)
	v_and_or_b32 v7, 0x80, v7, v3
.LBB89_372:
	s_or_b32 exec_lo, exec_lo, s37
.LBB89_373:
	s_delay_alu instid0(SALU_CYCLE_1)
	s_or_b32 exec_lo, exec_lo, s22
	global_store_b8 v[0:1], v7, off
.LBB89_374:
	s_mov_b32 s22, -1
.LBB89_375:
	s_mov_b32 s23, 0
.LBB89_376:
	s_delay_alu instid0(SALU_CYCLE_1)
	s_and_b32 vcc_lo, exec_lo, s23
	s_cbranch_vccz .LBB89_417
; %bb.377:
	v_cmp_lt_i16_e32 vcc_lo, 22, v6
	s_mov_b32 s23, -1
	s_cbranch_vccz .LBB89_409
; %bb.378:
	v_cmp_gt_i16_e32 vcc_lo, 24, v6
	s_mov_b32 s22, -1
	s_cbranch_vccnz .LBB89_398
; %bb.379:
	v_cmp_lt_i16_e32 vcc_lo, 24, v6
	s_cbranch_vccz .LBB89_387
; %bb.380:
	v_and_b32_e32 v3, 0x7fffffff, v2
	v_mov_b32_e32 v7, 0x80
	s_mov_b32 s22, exec_lo
	s_delay_alu instid0(VALU_DEP_2)
	v_cmpx_gt_u32_e32 0x47800000, v3
	s_cbranch_execz .LBB89_386
; %bb.381:
	v_cmp_lt_u32_e32 vcc_lo, 0x37ffffff, v3
	s_mov_b32 s23, 0
                                        ; implicit-def: $vgpr3
	s_and_saveexec_b32 s37, vcc_lo
	s_delay_alu instid0(SALU_CYCLE_1)
	s_xor_b32 s37, exec_lo, s37
	s_cbranch_execz .LBB89_562
; %bb.382:
	v_bfe_u32 v3, v2, 21, 1
	s_mov_b32 s23, exec_lo
	s_delay_alu instid0(VALU_DEP_1) | instskip(NEXT) | instid1(VALU_DEP_1)
	v_add3_u32 v3, v2, v3, 0x88fffff
	v_lshrrev_b32_e32 v3, 21, v3
	s_or_saveexec_b32 s37, s37
                                        ; implicit-def: $sgpr38
	s_delay_alu instid0(SALU_CYCLE_1)
	s_xor_b32 exec_lo, exec_lo, s37
	s_cbranch_execnz .LBB89_563
.LBB89_383:
	s_or_b32 exec_lo, exec_lo, s37
	v_mov_b32_e32 v7, s38
	s_and_saveexec_b32 s37, s23
.LBB89_384:
	v_lshrrev_b32_e32 v7, 24, v2
	s_delay_alu instid0(VALU_DEP_1)
	v_and_or_b32 v7, 0x80, v7, v3
.LBB89_385:
	s_or_b32 exec_lo, exec_lo, s37
.LBB89_386:
	s_delay_alu instid0(SALU_CYCLE_1)
	s_or_b32 exec_lo, exec_lo, s22
	s_mov_b32 s22, 0
	global_store_b8 v[0:1], v7, off
.LBB89_387:
	s_and_b32 vcc_lo, exec_lo, s22
	s_cbranch_vccz .LBB89_397
; %bb.388:
	v_and_b32_e32 v7, 0x7fffffff, v2
	s_mov_b32 s22, exec_lo
                                        ; implicit-def: $vgpr3
	s_delay_alu instid0(VALU_DEP_1)
	v_cmpx_gt_u32_e32 0x43f00000, v7
	s_xor_b32 s22, exec_lo, s22
	s_cbranch_execz .LBB89_394
; %bb.389:
	s_mov_b32 s23, exec_lo
                                        ; implicit-def: $vgpr3
	v_cmpx_lt_u32_e32 0x3c7fffff, v7
	s_xor_b32 s23, exec_lo, s23
; %bb.390:
	v_bfe_u32 v3, v2, 20, 1
	s_delay_alu instid0(VALU_DEP_1) | instskip(NEXT) | instid1(VALU_DEP_1)
	v_add3_u32 v3, v2, v3, 0x407ffff
	v_and_b32_e32 v7, 0xff00000, v3
	v_lshrrev_b32_e32 v3, 20, v3
	s_delay_alu instid0(VALU_DEP_2) | instskip(NEXT) | instid1(VALU_DEP_2)
	v_cmp_ne_u32_e32 vcc_lo, 0x7f00000, v7
	v_cndmask_b32_e32 v3, 0x7e, v3, vcc_lo
; %bb.391:
	s_and_not1_saveexec_b32 s23, s23
; %bb.392:
	v_add_f32_e64 v3, 0x46800000, |v2|
; %bb.393:
	s_or_b32 exec_lo, exec_lo, s23
                                        ; implicit-def: $vgpr7
.LBB89_394:
	s_and_not1_saveexec_b32 s22, s22
; %bb.395:
	v_mov_b32_e32 v3, 0x7f
	v_cmp_lt_u32_e32 vcc_lo, 0x7f800000, v7
	s_delay_alu instid0(VALU_DEP_2)
	v_cndmask_b32_e32 v3, 0x7e, v3, vcc_lo
; %bb.396:
	s_or_b32 exec_lo, exec_lo, s22
	v_lshrrev_b32_e32 v7, 24, v2
	s_delay_alu instid0(VALU_DEP_1)
	v_and_or_b32 v3, 0x80, v7, v3
	global_store_b8 v[0:1], v3, off
.LBB89_397:
	s_mov_b32 s22, 0
.LBB89_398:
	s_delay_alu instid0(SALU_CYCLE_1)
	s_and_not1_b32 vcc_lo, exec_lo, s22
	s_cbranch_vccnz .LBB89_408
; %bb.399:
	v_and_b32_e32 v7, 0x7fffffff, v2
	s_mov_b32 s22, exec_lo
                                        ; implicit-def: $vgpr3
	s_delay_alu instid0(VALU_DEP_1)
	v_cmpx_gt_u32_e32 0x47800000, v7
	s_xor_b32 s22, exec_lo, s22
	s_cbranch_execz .LBB89_405
; %bb.400:
	s_mov_b32 s23, exec_lo
                                        ; implicit-def: $vgpr3
	v_cmpx_lt_u32_e32 0x387fffff, v7
	s_xor_b32 s23, exec_lo, s23
; %bb.401:
	v_bfe_u32 v3, v2, 21, 1
	s_delay_alu instid0(VALU_DEP_1) | instskip(NEXT) | instid1(VALU_DEP_1)
	v_add3_u32 v3, v2, v3, 0x80fffff
	v_lshrrev_b32_e32 v3, 21, v3
; %bb.402:
	s_and_not1_saveexec_b32 s23, s23
; %bb.403:
	v_add_f32_e64 v3, 0x43000000, |v2|
; %bb.404:
	s_or_b32 exec_lo, exec_lo, s23
                                        ; implicit-def: $vgpr7
.LBB89_405:
	s_and_not1_saveexec_b32 s22, s22
; %bb.406:
	v_mov_b32_e32 v3, 0x7f
	v_cmp_lt_u32_e32 vcc_lo, 0x7f800000, v7
	s_delay_alu instid0(VALU_DEP_2)
	v_cndmask_b32_e32 v3, 0x7c, v3, vcc_lo
; %bb.407:
	s_or_b32 exec_lo, exec_lo, s22
	v_lshrrev_b32_e32 v7, 24, v2
	s_delay_alu instid0(VALU_DEP_1)
	v_and_or_b32 v3, 0x80, v7, v3
	global_store_b8 v[0:1], v3, off
.LBB89_408:
	s_mov_b32 s23, 0
	s_mov_b32 s22, -1
.LBB89_409:
	s_and_not1_b32 vcc_lo, exec_lo, s23
	s_cbranch_vccnz .LBB89_417
; %bb.410:
	v_cmp_lt_i16_e32 vcc_lo, 14, v6
	s_mov_b32 s23, -1
	s_cbranch_vccz .LBB89_414
; %bb.411:
	v_cmp_eq_u16_e32 vcc_lo, 15, v6
	s_mov_b32 s2, -1
	s_cbranch_vccz .LBB89_413
; %bb.412:
	v_bfe_u32 v3, v2, 16, 1
	v_cmp_o_f32_e32 vcc_lo, v2, v2
	s_mov_b32 s22, -1
	s_mov_b32 s2, 0
	s_delay_alu instid0(VALU_DEP_2) | instskip(NEXT) | instid1(VALU_DEP_1)
	v_add3_u32 v3, v2, v3, 0x7fff
	v_lshrrev_b32_e32 v3, 16, v3
	s_delay_alu instid0(VALU_DEP_1)
	v_cndmask_b32_e32 v3, 0x7fc0, v3, vcc_lo
	global_store_b16 v[0:1], v3, off
.LBB89_413:
	s_mov_b32 s23, 0
.LBB89_414:
	s_delay_alu instid0(SALU_CYCLE_1)
	s_and_b32 vcc_lo, exec_lo, s23
	s_cbranch_vccz .LBB89_417
; %bb.415:
	v_cmp_eq_u16_e32 vcc_lo, 11, v6
	s_mov_b32 s2, -1
	s_cbranch_vccz .LBB89_417
; %bb.416:
	v_cmp_neq_f32_e32 vcc_lo, 0, v2
	s_mov_b32 s2, 0
	s_mov_b32 s22, -1
	v_cndmask_b32_e64 v3, 0, 1, vcc_lo
	global_store_b8 v[0:1], v3, off
.LBB89_417:
.LBB89_418:
	s_and_not1_b32 vcc_lo, exec_lo, s22
	s_cbranch_vccnz .LBB89_333
.LBB89_419:
	v_add_nc_u32_e32 v8, 0x80, v8
	s_mov_b32 s22, -1
	s_branch .LBB89_532
.LBB89_420:
	s_mov_b32 s3, -1
                                        ; implicit-def: $vgpr3
.LBB89_421:
	s_mov_b32 s22, 0
.LBB89_422:
	s_delay_alu instid0(SALU_CYCLE_1)
	s_and_b32 vcc_lo, exec_lo, s22
	s_cbranch_vccz .LBB89_426
; %bb.423:
	v_cmp_eq_u16_e32 vcc_lo, 29, v5
	s_cbranch_vccz .LBB89_425
; %bb.424:
	global_load_b64 v[6:7], v[1:2], off
	s_mov_b32 s2, -1
	s_mov_b32 s3, 0
	s_mov_b32 s22, 0
	s_waitcnt vmcnt(0)
	v_clz_i32_u32_e32 v3, v7
	s_delay_alu instid0(VALU_DEP_1) | instskip(NEXT) | instid1(VALU_DEP_1)
	v_min_u32_e32 v3, 32, v3
	v_lshlrev_b64 v[6:7], v3, v[6:7]
	v_sub_nc_u32_e32 v3, 32, v3
	s_delay_alu instid0(VALU_DEP_2) | instskip(NEXT) | instid1(VALU_DEP_1)
	v_min_u32_e32 v6, 1, v6
	v_or_b32_e32 v6, v7, v6
	s_delay_alu instid0(VALU_DEP_1) | instskip(NEXT) | instid1(VALU_DEP_1)
	v_cvt_f32_u32_e32 v6, v6
	v_ldexp_f32 v3, v6, v3
	s_branch .LBB89_427
.LBB89_425:
	s_mov_b32 s3, -1
                                        ; implicit-def: $vgpr3
.LBB89_426:
	s_mov_b32 s22, 0
.LBB89_427:
	s_delay_alu instid0(SALU_CYCLE_1)
	s_and_b32 vcc_lo, exec_lo, s22
	s_cbranch_vccz .LBB89_445
; %bb.428:
	v_cmp_gt_i16_e32 vcc_lo, 27, v5
	s_cbranch_vccnz .LBB89_431
; %bb.429:
	v_cmp_lt_i16_e32 vcc_lo, 27, v5
	s_cbranch_vccz .LBB89_432
; %bb.430:
	global_load_b32 v3, v[1:2], off
	s_mov_b32 s2, 0
	s_waitcnt vmcnt(0)
	v_cvt_f32_u32_e32 v3, v3
	s_branch .LBB89_433
.LBB89_431:
	s_mov_b32 s2, -1
                                        ; implicit-def: $vgpr3
	s_branch .LBB89_436
.LBB89_432:
	s_mov_b32 s2, -1
                                        ; implicit-def: $vgpr3
.LBB89_433:
	s_delay_alu instid0(SALU_CYCLE_1)
	s_and_not1_b32 vcc_lo, exec_lo, s2
	s_cbranch_vccnz .LBB89_435
; %bb.434:
	global_load_u16 v3, v[1:2], off
	s_waitcnt vmcnt(0)
	v_cvt_f32_u32_e32 v3, v3
.LBB89_435:
	s_mov_b32 s2, 0
.LBB89_436:
	s_delay_alu instid0(SALU_CYCLE_1)
	s_and_not1_b32 vcc_lo, exec_lo, s2
	s_cbranch_vccnz .LBB89_444
; %bb.437:
	global_load_u8 v6, v[1:2], off
	s_mov_b32 s2, 0
	s_mov_b32 s23, exec_lo
                                        ; implicit-def: $sgpr22
	s_waitcnt vmcnt(0)
	v_cmpx_lt_i16_e32 0x7f, v6
	s_xor_b32 s23, exec_lo, s23
	s_cbranch_execz .LBB89_458
; %bb.438:
	s_mov_b32 s2, -1
	s_mov_b32 s37, exec_lo
                                        ; implicit-def: $sgpr22
	v_cmpx_eq_u16_e32 0x80, v6
; %bb.439:
	s_mov_b32 s22, 0x7f800001
	s_xor_b32 s2, exec_lo, -1
; %bb.440:
	s_or_b32 exec_lo, exec_lo, s37
	s_delay_alu instid0(SALU_CYCLE_1)
	s_and_b32 s2, s2, exec_lo
	s_or_saveexec_b32 s23, s23
	v_mov_b32_e32 v3, s22
	s_xor_b32 exec_lo, exec_lo, s23
	s_cbranch_execnz .LBB89_459
.LBB89_441:
	s_or_b32 exec_lo, exec_lo, s23
	s_and_saveexec_b32 s22, s2
	s_cbranch_execz .LBB89_443
.LBB89_442:
	v_and_b32_e32 v3, 0xffff, v6
	v_lshlrev_b32_e32 v6, 24, v6
	s_delay_alu instid0(VALU_DEP_2) | instskip(NEXT) | instid1(VALU_DEP_2)
	v_and_b32_e32 v7, 7, v3
	v_and_b32_e32 v6, 0x80000000, v6
	s_delay_alu instid0(VALU_DEP_2) | instskip(NEXT) | instid1(VALU_DEP_1)
	v_clz_i32_u32_e32 v9, v7
	v_min_u32_e32 v9, 32, v9
	s_delay_alu instid0(VALU_DEP_1) | instskip(SKIP_1) | instid1(VALU_DEP_2)
	v_subrev_nc_u32_e32 v10, 28, v9
	v_sub_nc_u32_e32 v9, 29, v9
	v_lshlrev_b32_e32 v10, v10, v3
	v_bfe_u32 v3, v3, 3, 4
	s_delay_alu instid0(VALU_DEP_1) | instskip(NEXT) | instid1(VALU_DEP_3)
	v_cmp_eq_u32_e32 vcc_lo, 0, v3
	v_dual_cndmask_b32 v3, v3, v9 :: v_dual_and_b32 v10, 7, v10
	s_delay_alu instid0(VALU_DEP_1) | instskip(NEXT) | instid1(VALU_DEP_2)
	v_lshl_add_u32 v3, v3, 23, 0x3b800000
	v_cndmask_b32_e32 v7, v7, v10, vcc_lo
	s_delay_alu instid0(VALU_DEP_1) | instskip(NEXT) | instid1(VALU_DEP_1)
	v_lshlrev_b32_e32 v7, 20, v7
	v_or3_b32 v3, v6, v3, v7
.LBB89_443:
	s_or_b32 exec_lo, exec_lo, s22
.LBB89_444:
	s_mov_b32 s2, -1
.LBB89_445:
	s_mov_b32 s22, 0
.LBB89_446:
	s_delay_alu instid0(SALU_CYCLE_1)
	s_and_b32 vcc_lo, exec_lo, s22
	s_cbranch_vccz .LBB89_481
; %bb.447:
	v_cmp_lt_i16_e32 vcc_lo, 22, v5
	s_cbranch_vccz .LBB89_457
; %bb.448:
	v_cmp_gt_i16_e32 vcc_lo, 24, v5
	s_cbranch_vccnz .LBB89_460
; %bb.449:
	v_cmp_lt_i16_e32 vcc_lo, 24, v5
	s_cbranch_vccz .LBB89_461
; %bb.450:
	global_load_u8 v6, v[1:2], off
	s_mov_b32 s2, 0
	s_mov_b32 s23, exec_lo
                                        ; implicit-def: $sgpr22
	s_waitcnt vmcnt(0)
	v_cmpx_lt_i16_e32 0x7f, v6
	s_xor_b32 s23, exec_lo, s23
	s_cbranch_execz .LBB89_473
; %bb.451:
	s_mov_b32 s2, -1
	s_mov_b32 s37, exec_lo
                                        ; implicit-def: $sgpr22
	v_cmpx_eq_u16_e32 0x80, v6
; %bb.452:
	s_mov_b32 s22, 0x7f800001
	s_xor_b32 s2, exec_lo, -1
; %bb.453:
	s_or_b32 exec_lo, exec_lo, s37
	s_delay_alu instid0(SALU_CYCLE_1)
	s_and_b32 s2, s2, exec_lo
	s_or_saveexec_b32 s23, s23
	v_mov_b32_e32 v3, s22
	s_xor_b32 exec_lo, exec_lo, s23
	s_cbranch_execnz .LBB89_474
.LBB89_454:
	s_or_b32 exec_lo, exec_lo, s23
	s_and_saveexec_b32 s22, s2
	s_cbranch_execz .LBB89_456
.LBB89_455:
	v_and_b32_e32 v3, 0xffff, v6
	v_lshlrev_b32_e32 v6, 24, v6
	s_delay_alu instid0(VALU_DEP_2) | instskip(NEXT) | instid1(VALU_DEP_2)
	v_and_b32_e32 v7, 3, v3
	v_and_b32_e32 v6, 0x80000000, v6
	s_delay_alu instid0(VALU_DEP_2) | instskip(NEXT) | instid1(VALU_DEP_1)
	v_clz_i32_u32_e32 v9, v7
	v_min_u32_e32 v9, 32, v9
	s_delay_alu instid0(VALU_DEP_1) | instskip(SKIP_1) | instid1(VALU_DEP_2)
	v_subrev_nc_u32_e32 v10, 29, v9
	v_sub_nc_u32_e32 v9, 30, v9
	v_lshlrev_b32_e32 v10, v10, v3
	v_bfe_u32 v3, v3, 2, 5
	s_delay_alu instid0(VALU_DEP_1) | instskip(NEXT) | instid1(VALU_DEP_3)
	v_cmp_eq_u32_e32 vcc_lo, 0, v3
	v_dual_cndmask_b32 v3, v3, v9 :: v_dual_and_b32 v10, 3, v10
	s_delay_alu instid0(VALU_DEP_1) | instskip(NEXT) | instid1(VALU_DEP_2)
	v_lshl_add_u32 v3, v3, 23, 0x37800000
	v_cndmask_b32_e32 v7, v7, v10, vcc_lo
	s_delay_alu instid0(VALU_DEP_1) | instskip(NEXT) | instid1(VALU_DEP_1)
	v_lshlrev_b32_e32 v7, 21, v7
	v_or3_b32 v3, v6, v3, v7
.LBB89_456:
	s_or_b32 exec_lo, exec_lo, s22
	s_mov_b32 s2, 0
	s_branch .LBB89_462
.LBB89_457:
	s_mov_b32 s22, -1
                                        ; implicit-def: $vgpr3
	s_branch .LBB89_468
.LBB89_458:
	s_or_saveexec_b32 s23, s23
	v_mov_b32_e32 v3, s22
	s_xor_b32 exec_lo, exec_lo, s23
	s_cbranch_execz .LBB89_441
.LBB89_459:
	v_cmp_ne_u16_e32 vcc_lo, 0, v6
	v_mov_b32_e32 v3, 0
	s_and_not1_b32 s2, s2, exec_lo
	s_and_b32 s22, vcc_lo, exec_lo
	s_delay_alu instid0(SALU_CYCLE_1)
	s_or_b32 s2, s2, s22
	s_or_b32 exec_lo, exec_lo, s23
	s_and_saveexec_b32 s22, s2
	s_cbranch_execnz .LBB89_442
	s_branch .LBB89_443
.LBB89_460:
	s_mov_b32 s2, -1
                                        ; implicit-def: $vgpr3
	s_branch .LBB89_465
.LBB89_461:
	s_mov_b32 s2, -1
                                        ; implicit-def: $vgpr3
.LBB89_462:
	s_delay_alu instid0(SALU_CYCLE_1)
	s_and_b32 vcc_lo, exec_lo, s2
	s_cbranch_vccz .LBB89_464
; %bb.463:
	global_load_u8 v3, v[1:2], off
	s_waitcnt vmcnt(0)
	v_lshlrev_b32_e32 v3, 24, v3
	s_delay_alu instid0(VALU_DEP_1) | instskip(NEXT) | instid1(VALU_DEP_1)
	v_and_b32_e32 v6, 0x7f000000, v3
	v_clz_i32_u32_e32 v7, v6
	v_cmp_ne_u32_e32 vcc_lo, 0, v6
	v_add_nc_u32_e32 v10, 0x1000000, v6
	s_delay_alu instid0(VALU_DEP_3) | instskip(NEXT) | instid1(VALU_DEP_1)
	v_min_u32_e32 v7, 32, v7
	v_sub_nc_u32_e64 v7, v7, 4 clamp
	s_delay_alu instid0(VALU_DEP_1) | instskip(SKIP_1) | instid1(VALU_DEP_2)
	v_lshlrev_b32_e32 v9, v7, v6
	v_lshlrev_b32_e32 v7, 23, v7
	v_lshrrev_b32_e32 v9, 4, v9
	s_delay_alu instid0(VALU_DEP_1) | instskip(SKIP_1) | instid1(VALU_DEP_2)
	v_sub_nc_u32_e32 v7, v9, v7
	v_ashrrev_i32_e32 v9, 8, v10
	v_add_nc_u32_e32 v7, 0x3c000000, v7
	s_delay_alu instid0(VALU_DEP_1) | instskip(NEXT) | instid1(VALU_DEP_1)
	v_and_or_b32 v7, 0x7f800000, v9, v7
	v_cndmask_b32_e32 v6, 0, v7, vcc_lo
	s_delay_alu instid0(VALU_DEP_1)
	v_and_or_b32 v3, 0x80000000, v3, v6
.LBB89_464:
	s_mov_b32 s2, 0
.LBB89_465:
	s_delay_alu instid0(SALU_CYCLE_1)
	s_and_not1_b32 vcc_lo, exec_lo, s2
	s_cbranch_vccnz .LBB89_467
; %bb.466:
	global_load_u8 v3, v[1:2], off
	s_waitcnt vmcnt(0)
	v_lshlrev_b32_e32 v6, 25, v3
	v_lshlrev_b16 v3, 8, v3
	s_delay_alu instid0(VALU_DEP_1) | instskip(SKIP_1) | instid1(VALU_DEP_2)
	v_and_or_b32 v9, 0x7f00, v3, 0.5
	v_bfe_i32 v3, v3, 0, 16
	v_add_f32_e32 v9, -0.5, v9
	v_lshrrev_b32_e32 v7, 4, v6
	v_cmp_gt_u32_e32 vcc_lo, 0x8000000, v6
	s_delay_alu instid0(VALU_DEP_2) | instskip(NEXT) | instid1(VALU_DEP_1)
	v_or_b32_e32 v7, 0x70000000, v7
	v_mul_f32_e32 v7, 0x7800000, v7
	s_delay_alu instid0(VALU_DEP_1) | instskip(NEXT) | instid1(VALU_DEP_1)
	v_cndmask_b32_e32 v6, v7, v9, vcc_lo
	v_and_or_b32 v3, 0x80000000, v3, v6
.LBB89_467:
	s_mov_b32 s22, 0
	s_mov_b32 s2, -1
.LBB89_468:
	s_and_not1_b32 vcc_lo, exec_lo, s22
	s_cbranch_vccnz .LBB89_481
; %bb.469:
	v_cmp_lt_i16_e32 vcc_lo, 14, v5
	s_cbranch_vccz .LBB89_472
; %bb.470:
	v_cmp_eq_u16_e32 vcc_lo, 15, v5
	s_cbranch_vccz .LBB89_475
; %bb.471:
	global_load_u16 v3, v[1:2], off
	s_mov_b32 s2, -1
	s_mov_b32 s3, 0
	s_waitcnt vmcnt(0)
	v_lshlrev_b32_e32 v3, 16, v3
	s_branch .LBB89_476
.LBB89_472:
	s_mov_b32 s22, -1
                                        ; implicit-def: $vgpr3
	s_branch .LBB89_477
.LBB89_473:
	s_or_saveexec_b32 s23, s23
	v_mov_b32_e32 v3, s22
	s_xor_b32 exec_lo, exec_lo, s23
	s_cbranch_execz .LBB89_454
.LBB89_474:
	v_cmp_ne_u16_e32 vcc_lo, 0, v6
	v_mov_b32_e32 v3, 0
	s_and_not1_b32 s2, s2, exec_lo
	s_and_b32 s22, vcc_lo, exec_lo
	s_delay_alu instid0(SALU_CYCLE_1)
	s_or_b32 s2, s2, s22
	s_or_b32 exec_lo, exec_lo, s23
	s_and_saveexec_b32 s22, s2
	s_cbranch_execnz .LBB89_455
	s_branch .LBB89_456
.LBB89_475:
	s_mov_b32 s3, -1
                                        ; implicit-def: $vgpr3
.LBB89_476:
	s_mov_b32 s22, 0
.LBB89_477:
	s_delay_alu instid0(SALU_CYCLE_1)
	s_and_b32 vcc_lo, exec_lo, s22
	s_cbranch_vccz .LBB89_481
; %bb.478:
	v_cmp_eq_u16_e32 vcc_lo, 11, v5
	s_cbranch_vccz .LBB89_480
; %bb.479:
	global_load_u8 v3, v[1:2], off
	s_mov_b32 s3, 0
	s_mov_b32 s2, -1
	s_waitcnt vmcnt(0)
	v_cmp_ne_u16_e32 vcc_lo, 0, v3
	v_cndmask_b32_e64 v3, 0, 1.0, vcc_lo
	s_branch .LBB89_481
.LBB89_480:
	s_mov_b32 s3, -1
                                        ; implicit-def: $vgpr3
.LBB89_481:
	s_branch .LBB89_286
.LBB89_482:
	v_cmp_gt_i16_e32 vcc_lo, 5, v5
	s_cbranch_vccnz .LBB89_487
; %bb.483:
	v_cmp_gt_i16_e32 vcc_lo, 8, v5
	s_cbranch_vccnz .LBB89_488
; %bb.484:
	v_cmp_gt_i16_e32 vcc_lo, 9, v5
	s_cbranch_vccnz .LBB89_489
; %bb.485:
	v_cmp_lt_i16_e32 vcc_lo, 9, v5
	s_cbranch_vccz .LBB89_490
; %bb.486:
	global_load_b64 v[6:7], v[1:2], off
	s_mov_b32 s2, 0
	s_waitcnt vmcnt(0)
	v_cvt_f32_f64_e32 v3, v[6:7]
	s_branch .LBB89_491
.LBB89_487:
	s_mov_b32 s2, -1
                                        ; implicit-def: $vgpr3
	s_branch .LBB89_509
.LBB89_488:
	s_mov_b32 s2, -1
                                        ; implicit-def: $vgpr3
	s_branch .LBB89_497
.LBB89_489:
	s_mov_b32 s2, -1
                                        ; implicit-def: $vgpr3
	s_branch .LBB89_494
.LBB89_490:
	s_mov_b32 s2, -1
                                        ; implicit-def: $vgpr3
.LBB89_491:
	s_delay_alu instid0(SALU_CYCLE_1)
	s_and_not1_b32 vcc_lo, exec_lo, s2
	s_cbranch_vccnz .LBB89_493
; %bb.492:
	global_load_b32 v3, v[1:2], off
.LBB89_493:
	s_mov_b32 s2, 0
.LBB89_494:
	s_delay_alu instid0(SALU_CYCLE_1)
	s_and_not1_b32 vcc_lo, exec_lo, s2
	s_cbranch_vccnz .LBB89_496
; %bb.495:
	global_load_b32 v3, v[1:2], off
	s_waitcnt vmcnt(0)
	v_cvt_f32_f16_e32 v3, v3
.LBB89_496:
	s_mov_b32 s2, 0
.LBB89_497:
	s_delay_alu instid0(SALU_CYCLE_1)
	s_and_not1_b32 vcc_lo, exec_lo, s2
	s_cbranch_vccnz .LBB89_508
; %bb.498:
	v_cmp_gt_i16_e32 vcc_lo, 6, v5
	s_cbranch_vccnz .LBB89_501
; %bb.499:
	v_cmp_lt_i16_e32 vcc_lo, 6, v5
	s_cbranch_vccz .LBB89_502
; %bb.500:
	global_load_b64 v[6:7], v[1:2], off
	s_mov_b32 s2, 0
	s_waitcnt vmcnt(0)
	v_cvt_f32_f64_e32 v3, v[6:7]
	s_branch .LBB89_503
.LBB89_501:
	s_mov_b32 s2, -1
                                        ; implicit-def: $vgpr3
	s_branch .LBB89_506
.LBB89_502:
	s_mov_b32 s2, -1
                                        ; implicit-def: $vgpr3
.LBB89_503:
	s_delay_alu instid0(SALU_CYCLE_1)
	s_and_not1_b32 vcc_lo, exec_lo, s2
	s_cbranch_vccnz .LBB89_505
; %bb.504:
	global_load_b32 v3, v[1:2], off
.LBB89_505:
	s_mov_b32 s2, 0
.LBB89_506:
	s_delay_alu instid0(SALU_CYCLE_1)
	s_and_not1_b32 vcc_lo, exec_lo, s2
	s_cbranch_vccnz .LBB89_508
; %bb.507:
	global_load_u16 v3, v[1:2], off
	s_waitcnt vmcnt(0)
	v_cvt_f32_f16_e32 v3, v3
.LBB89_508:
	s_mov_b32 s2, 0
.LBB89_509:
	s_delay_alu instid0(SALU_CYCLE_1)
	s_and_not1_b32 vcc_lo, exec_lo, s2
	s_cbranch_vccnz .LBB89_529
; %bb.510:
	v_cmp_gt_i16_e32 vcc_lo, 2, v5
	s_cbranch_vccnz .LBB89_514
; %bb.511:
	v_cmp_gt_i16_e32 vcc_lo, 3, v5
	s_cbranch_vccnz .LBB89_515
; %bb.512:
	v_cmp_lt_i16_e32 vcc_lo, 3, v5
	s_cbranch_vccz .LBB89_516
; %bb.513:
	global_load_b64 v[6:7], v[1:2], off
	s_mov_b32 s2, 0
	s_waitcnt vmcnt(0)
	v_xor_b32_e32 v3, v6, v7
	v_cls_i32_e32 v9, v7
	s_delay_alu instid0(VALU_DEP_2) | instskip(NEXT) | instid1(VALU_DEP_2)
	v_ashrrev_i32_e32 v3, 31, v3
	v_add_nc_u32_e32 v9, -1, v9
	s_delay_alu instid0(VALU_DEP_2) | instskip(NEXT) | instid1(VALU_DEP_1)
	v_add_nc_u32_e32 v3, 32, v3
	v_min_u32_e32 v3, v9, v3
	s_delay_alu instid0(VALU_DEP_1) | instskip(SKIP_1) | instid1(VALU_DEP_2)
	v_lshlrev_b64 v[6:7], v3, v[6:7]
	v_sub_nc_u32_e32 v3, 32, v3
	v_min_u32_e32 v6, 1, v6
	s_delay_alu instid0(VALU_DEP_1) | instskip(NEXT) | instid1(VALU_DEP_1)
	v_or_b32_e32 v6, v7, v6
	v_cvt_f32_i32_e32 v6, v6
	s_delay_alu instid0(VALU_DEP_1)
	v_ldexp_f32 v3, v6, v3
	s_branch .LBB89_517
.LBB89_514:
	s_mov_b32 s2, -1
                                        ; implicit-def: $vgpr3
	s_branch .LBB89_523
.LBB89_515:
	s_mov_b32 s2, -1
                                        ; implicit-def: $vgpr3
	s_branch .LBB89_520
.LBB89_516:
	s_mov_b32 s2, -1
                                        ; implicit-def: $vgpr3
.LBB89_517:
	s_delay_alu instid0(SALU_CYCLE_1)
	s_and_not1_b32 vcc_lo, exec_lo, s2
	s_cbranch_vccnz .LBB89_519
; %bb.518:
	global_load_b32 v3, v[1:2], off
	s_waitcnt vmcnt(0)
	v_cvt_f32_i32_e32 v3, v3
.LBB89_519:
	s_mov_b32 s2, 0
.LBB89_520:
	s_delay_alu instid0(SALU_CYCLE_1)
	s_and_not1_b32 vcc_lo, exec_lo, s2
	s_cbranch_vccnz .LBB89_522
; %bb.521:
	global_load_i16 v3, v[1:2], off
	s_waitcnt vmcnt(0)
	v_cvt_f32_i32_e32 v3, v3
.LBB89_522:
	s_mov_b32 s2, 0
.LBB89_523:
	s_delay_alu instid0(SALU_CYCLE_1)
	s_and_not1_b32 vcc_lo, exec_lo, s2
	s_cbranch_vccnz .LBB89_529
; %bb.524:
	v_cmp_lt_i16_e32 vcc_lo, 0, v5
	s_mov_b32 s2, 0
	s_cbranch_vccz .LBB89_526
; %bb.525:
	global_load_i8 v3, v[1:2], off
	s_waitcnt vmcnt(0)
	v_cvt_f32_i32_e32 v3, v3
	s_branch .LBB89_527
.LBB89_526:
	s_mov_b32 s2, -1
                                        ; implicit-def: $vgpr3
.LBB89_527:
	s_delay_alu instid0(SALU_CYCLE_1)
	s_and_not1_b32 vcc_lo, exec_lo, s2
	s_cbranch_vccnz .LBB89_529
; %bb.528:
	global_load_u8 v1, v[1:2], off
	s_waitcnt vmcnt(0)
	v_cvt_f32_ubyte0_e32 v3, v1
.LBB89_529:
	s_branch .LBB89_287
.LBB89_530:
	s_mov_b32 s22, 0
	s_mov_b32 s2, s34
.LBB89_531:
                                        ; implicit-def: $vgpr8
.LBB89_532:
	s_and_not1_b32 s23, s34, exec_lo
	s_and_b32 s2, s2, exec_lo
	s_and_not1_b32 s37, s35, exec_lo
	s_and_b32 s3, s3, exec_lo
	s_or_b32 s38, s23, s2
	s_or_b32 s37, s37, s3
	s_or_not1_b32 s2, s22, exec_lo
.LBB89_533:
	s_or_b32 exec_lo, exec_lo, s39
	s_mov_b32 s3, 0
	s_mov_b32 s23, 0
	;; [unrolled: 1-line block ×3, first 2 shown]
                                        ; implicit-def: $vgpr1_vgpr2
                                        ; implicit-def: $vgpr0
                                        ; implicit-def: $vgpr6
	s_and_saveexec_b32 s39, s2
	s_cbranch_execz .LBB89_905
; %bb.534:
	s_mov_b32 s42, -1
	s_mov_b32 s22, s37
	s_mov_b32 s23, s38
	s_mov_b32 s40, exec_lo
	v_cmpx_gt_i32_e64 s30, v8
	s_cbranch_execz .LBB89_806
; %bb.535:
	s_and_not1_b32 vcc_lo, exec_lo, s27
	s_cbranch_vccnz .LBB89_540
; %bb.536:
	v_dual_mov_b32 v0, 0 :: v_dual_mov_b32 v1, 0
	s_and_not1_b32 vcc_lo, exec_lo, s33
	s_mov_b32 s41, 0
	s_cbranch_vccnz .LBB89_545
; %bb.537:
	v_mov_b32_e32 v0, 0
	s_add_i32 s43, s31, 1
	s_cmp_eq_u32 s25, 2
	s_mov_b32 s42, 0
	s_cbranch_scc1 .LBB89_541
; %bb.538:
	v_dual_mov_b32 v1, 0 :: v_dual_mov_b32 v0, 0
	v_mov_b32_e32 v2, v8
	s_and_b32 s42, s43, 28
	s_mov_b32 s44, 0
	s_mov_b64 s[2:3], s[20:21]
	s_mov_b64 s[22:23], s[16:17]
.LBB89_539:                             ; =>This Inner Loop Header: Depth=1
	s_clause 0x1
	s_load_b256 s[48:55], s[22:23], 0x4
	s_load_b128 s[64:67], s[22:23], 0x24
	s_load_b256 s[56:63], s[2:3], 0x0
	s_add_u32 s22, s22, 48
	s_addc_u32 s23, s23, 0
	s_add_i32 s44, s44, 4
	s_add_u32 s2, s2, 32
	s_addc_u32 s3, s3, 0
	s_cmp_eq_u32 s42, s44
	s_waitcnt vmcnt(0) lgkmcnt(0)
	v_mul_hi_u32 v3, s49, v2
	s_delay_alu instid0(VALU_DEP_1) | instskip(NEXT) | instid1(VALU_DEP_1)
	v_add_nc_u32_e32 v3, v2, v3
	v_lshrrev_b32_e32 v3, s50, v3
	s_delay_alu instid0(VALU_DEP_1) | instskip(SKIP_1) | instid1(VALU_DEP_2)
	v_mul_hi_u32 v6, s52, v3
	v_mul_lo_u32 v9, v3, s48
	v_add_nc_u32_e32 v6, v3, v6
	s_delay_alu instid0(VALU_DEP_2) | instskip(NEXT) | instid1(VALU_DEP_2)
	v_sub_nc_u32_e32 v2, v2, v9
	v_lshrrev_b32_e32 v6, s53, v6
	s_delay_alu instid0(VALU_DEP_2) | instskip(SKIP_1) | instid1(VALU_DEP_3)
	v_mul_lo_u32 v9, v2, s56
	v_mul_lo_u32 v11, v2, s57
	v_mul_hi_u32 v7, s55, v6
	s_delay_alu instid0(VALU_DEP_1) | instskip(NEXT) | instid1(VALU_DEP_1)
	v_add_nc_u32_e32 v7, v6, v7
	v_lshrrev_b32_e32 v7, s64, v7
	s_delay_alu instid0(VALU_DEP_1) | instskip(SKIP_1) | instid1(VALU_DEP_2)
	v_mul_hi_u32 v10, s66, v7
	v_mul_lo_u32 v12, v7, s54
	v_add_nc_u32_e32 v2, v7, v10
	v_mul_lo_u32 v10, v6, s51
	s_delay_alu instid0(VALU_DEP_3) | instskip(NEXT) | instid1(VALU_DEP_3)
	v_sub_nc_u32_e32 v6, v6, v12
	v_lshrrev_b32_e32 v2, s67, v2
	s_delay_alu instid0(VALU_DEP_2) | instskip(SKIP_2) | instid1(VALU_DEP_4)
	v_mul_lo_u32 v12, v6, s60
	v_mul_lo_u32 v6, v6, s61
	v_sub_nc_u32_e32 v3, v3, v10
	v_mul_lo_u32 v13, v2, s65
	s_delay_alu instid0(VALU_DEP_2) | instskip(SKIP_1) | instid1(VALU_DEP_3)
	v_mul_lo_u32 v10, v3, s58
	v_mul_lo_u32 v3, v3, s59
	v_sub_nc_u32_e32 v7, v7, v13
	s_delay_alu instid0(VALU_DEP_3) | instskip(NEXT) | instid1(VALU_DEP_2)
	v_add3_u32 v0, v9, v0, v10
	v_mul_lo_u32 v13, v7, s62
	v_mul_lo_u32 v7, v7, s63
	v_add3_u32 v1, v11, v1, v3
	s_delay_alu instid0(VALU_DEP_3) | instskip(NEXT) | instid1(VALU_DEP_2)
	v_add3_u32 v0, v12, v0, v13
	v_add3_u32 v1, v6, v1, v7
	s_cbranch_scc0 .LBB89_539
	s_branch .LBB89_542
.LBB89_540:
	s_mov_b32 s41, -1
                                        ; implicit-def: $vgpr0
                                        ; implicit-def: $vgpr1
	s_branch .LBB89_545
.LBB89_541:
	v_dual_mov_b32 v2, v8 :: v_dual_mov_b32 v1, 0
.LBB89_542:
	s_and_b32 s43, s43, 3
	s_delay_alu instid0(SALU_CYCLE_1)
	s_cmp_eq_u32 s43, 0
	s_cbranch_scc1 .LBB89_545
; %bb.543:
	s_lshl_b32 s2, s42, 3
	s_mul_i32 s22, s42, 12
	s_add_u32 s2, s2, s16
	s_addc_u32 s3, s17, 0
	s_add_u32 s2, s2, 0xc4
	s_addc_u32 s3, s3, 0
	;; [unrolled: 2-line block ×3, first 2 shown]
	.p2align	6
.LBB89_544:                             ; =>This Inner Loop Header: Depth=1
	s_clause 0x1
	s_load_b64 s[44:45], s[22:23], 0x4
	s_load_b32 s42, s[22:23], 0xc
	s_load_b64 s[46:47], s[2:3], 0x0
	s_add_u32 s22, s22, 12
	s_addc_u32 s23, s23, 0
	s_add_u32 s2, s2, 8
	s_addc_u32 s3, s3, 0
	s_add_i32 s43, s43, -1
	s_delay_alu instid0(SALU_CYCLE_1) | instskip(SKIP_2) | instid1(VALU_DEP_1)
	s_cmp_lg_u32 s43, 0
	s_waitcnt vmcnt(0) lgkmcnt(0)
	v_mul_hi_u32 v3, s45, v2
	v_add_nc_u32_e32 v3, v2, v3
	s_delay_alu instid0(VALU_DEP_1) | instskip(NEXT) | instid1(VALU_DEP_1)
	v_lshrrev_b32_e32 v3, s42, v3
	v_mul_lo_u32 v6, v3, s44
	s_delay_alu instid0(VALU_DEP_1) | instskip(NEXT) | instid1(VALU_DEP_1)
	v_sub_nc_u32_e32 v2, v2, v6
	v_mad_u64_u32 v[6:7], null, v2, s46, v[0:1]
	v_mad_u64_u32 v[9:10], null, v2, s47, v[1:2]
	v_mov_b32_e32 v2, v3
	s_delay_alu instid0(VALU_DEP_2)
	v_dual_mov_b32 v0, v6 :: v_dual_mov_b32 v1, v9
	s_cbranch_scc1 .LBB89_544
.LBB89_545:
	s_and_not1_b32 vcc_lo, exec_lo, s41
	s_cbranch_vccnz .LBB89_548
; %bb.546:
	s_waitcnt lgkmcnt(0)
	v_mul_hi_u32 v0, s13, v8
	s_and_not1_b32 vcc_lo, exec_lo, s29
	s_delay_alu instid0(VALU_DEP_1) | instskip(NEXT) | instid1(VALU_DEP_1)
	v_add_nc_u32_e32 v0, v8, v0
	v_lshrrev_b32_e32 v2, s14, v0
	s_delay_alu instid0(VALU_DEP_1) | instskip(NEXT) | instid1(VALU_DEP_1)
	v_mul_lo_u32 v0, v2, s12
	v_sub_nc_u32_e32 v1, v8, v0
	s_delay_alu instid0(VALU_DEP_1)
	v_mul_lo_u32 v0, v1, s8
	v_mul_lo_u32 v1, v1, s9
	s_cbranch_vccnz .LBB89_548
; %bb.547:
	s_waitcnt vmcnt(0)
	v_mul_hi_u32 v3, s18, v2
	s_delay_alu instid0(VALU_DEP_1) | instskip(NEXT) | instid1(VALU_DEP_1)
	v_add_nc_u32_e32 v3, v2, v3
	v_lshrrev_b32_e32 v3, s19, v3
	s_delay_alu instid0(VALU_DEP_1) | instskip(NEXT) | instid1(VALU_DEP_1)
	v_mul_lo_u32 v3, v3, s15
	v_sub_nc_u32_e32 v9, v2, v3
	s_delay_alu instid0(VALU_DEP_1) | instskip(NEXT) | instid1(VALU_DEP_1)
	v_mad_u64_u32 v[2:3], null, v9, s10, v[0:1]
	v_mad_u64_u32 v[6:7], null, v9, s11, v[1:2]
	v_mov_b32_e32 v0, v2
	s_delay_alu instid0(VALU_DEP_2)
	v_mov_b32_e32 v1, v6
.LBB89_548:
	v_cmp_gt_i16_e32 vcc_lo, 11, v5
	s_waitcnt lgkmcnt(0)
	s_delay_alu instid0(VALU_DEP_2) | instskip(NEXT) | instid1(VALU_DEP_1)
	v_add_co_u32 v1, s2, s6, v1
	v_add_co_ci_u32_e64 v2, null, s7, 0, s2
	s_mov_b32 s2, 0
	s_cbranch_vccnz .LBB89_555
; %bb.549:
	v_cmp_lt_i16_e32 vcc_lo, 25, v5
	s_cbranch_vccz .LBB89_556
; %bb.550:
	v_cmp_lt_i16_e32 vcc_lo, 28, v5
	s_cbranch_vccz .LBB89_557
	;; [unrolled: 3-line block ×4, first 2 shown]
; %bb.553:
	v_cmp_eq_u16_e32 vcc_lo, 46, v5
	s_mov_b32 s22, 0
	s_cbranch_vccz .LBB89_564
; %bb.554:
	global_load_b32 v3, v[1:2], off
	s_mov_b32 s2, -1
	s_mov_b32 s3, 0
	s_waitcnt vmcnt(0)
	v_lshlrev_b32_e32 v3, 16, v3
	s_branch .LBB89_566
.LBB89_555:
	s_mov_b32 s22, -1
	s_mov_b32 s3, s37
                                        ; implicit-def: $vgpr3
	s_branch .LBB89_631
.LBB89_556:
	s_mov_b32 s22, -1
	s_mov_b32 s3, s37
                                        ; implicit-def: $vgpr3
	s_branch .LBB89_595
.LBB89_557:
	s_mov_b32 s22, -1
	s_mov_b32 s3, s37
                                        ; implicit-def: $vgpr3
	s_branch .LBB89_576
.LBB89_558:
	s_mov_b32 s22, -1
	s_mov_b32 s3, s37
                                        ; implicit-def: $vgpr3
	s_branch .LBB89_571
.LBB89_559:
	s_or_saveexec_b32 s37, s37
                                        ; implicit-def: $sgpr38
	s_delay_alu instid0(SALU_CYCLE_1)
	s_xor_b32 exec_lo, exec_lo, s37
	s_cbranch_execz .LBB89_370
.LBB89_560:
	v_add_f32_e64 v3, 0x46000000, |v2|
	s_and_not1_b32 s23, s23, exec_lo
	s_mov_b32 s38, 0
	s_delay_alu instid0(VALU_DEP_1) | instskip(NEXT) | instid1(VALU_DEP_1)
	v_and_b32_e32 v3, 0xff, v3
	v_cmp_ne_u32_e32 vcc_lo, 0, v3
	s_and_b32 s40, vcc_lo, exec_lo
	s_delay_alu instid0(SALU_CYCLE_1)
	s_or_b32 s23, s23, s40
	s_or_b32 exec_lo, exec_lo, s37
	v_mov_b32_e32 v7, s38
	s_and_saveexec_b32 s37, s23
	s_cbranch_execnz .LBB89_371
	s_branch .LBB89_372
.LBB89_561:
	s_mov_b32 s22, -1
	s_mov_b32 s3, s37
	s_branch .LBB89_565
.LBB89_562:
	s_or_saveexec_b32 s37, s37
                                        ; implicit-def: $sgpr38
	s_delay_alu instid0(SALU_CYCLE_1)
	s_xor_b32 exec_lo, exec_lo, s37
	s_cbranch_execz .LBB89_383
.LBB89_563:
	v_add_f32_e64 v3, 0x42800000, |v2|
	s_and_not1_b32 s23, s23, exec_lo
	s_mov_b32 s38, 0
	s_delay_alu instid0(VALU_DEP_1) | instskip(NEXT) | instid1(VALU_DEP_1)
	v_and_b32_e32 v3, 0xff, v3
	v_cmp_ne_u32_e32 vcc_lo, 0, v3
	s_and_b32 s40, vcc_lo, exec_lo
	s_delay_alu instid0(SALU_CYCLE_1)
	s_or_b32 s23, s23, s40
	s_or_b32 exec_lo, exec_lo, s37
	v_mov_b32_e32 v7, s38
	s_and_saveexec_b32 s37, s23
	s_cbranch_execnz .LBB89_384
	s_branch .LBB89_385
.LBB89_564:
	s_mov_b32 s3, -1
.LBB89_565:
                                        ; implicit-def: $vgpr3
.LBB89_566:
	s_and_b32 vcc_lo, exec_lo, s22
	s_cbranch_vccz .LBB89_570
; %bb.567:
	v_cmp_eq_u16_e32 vcc_lo, 44, v5
	s_cbranch_vccz .LBB89_569
; %bb.568:
	global_load_u8 v3, v[1:2], off
	s_mov_b32 s3, 0
	s_mov_b32 s2, -1
	s_waitcnt vmcnt(0)
	v_lshlrev_b32_e32 v6, 23, v3
	v_cmp_ne_u32_e32 vcc_lo, 0xff, v3
	s_delay_alu instid0(VALU_DEP_2) | instskip(SKIP_1) | instid1(VALU_DEP_2)
	v_cndmask_b32_e32 v6, 0x7f800001, v6, vcc_lo
	v_cmp_ne_u32_e32 vcc_lo, 0, v3
	v_cndmask_b32_e32 v3, 0x400000, v6, vcc_lo
	s_branch .LBB89_570
.LBB89_569:
	s_mov_b32 s3, -1
                                        ; implicit-def: $vgpr3
.LBB89_570:
	s_mov_b32 s22, 0
.LBB89_571:
	s_delay_alu instid0(SALU_CYCLE_1)
	s_and_b32 vcc_lo, exec_lo, s22
	s_cbranch_vccz .LBB89_575
; %bb.572:
	v_cmp_eq_u16_e32 vcc_lo, 29, v5
	s_cbranch_vccz .LBB89_574
; %bb.573:
	global_load_b64 v[6:7], v[1:2], off
	s_mov_b32 s2, -1
	s_mov_b32 s3, 0
	s_mov_b32 s22, 0
	s_waitcnt vmcnt(0)
	v_clz_i32_u32_e32 v3, v7
	s_delay_alu instid0(VALU_DEP_1) | instskip(NEXT) | instid1(VALU_DEP_1)
	v_min_u32_e32 v3, 32, v3
	v_lshlrev_b64 v[6:7], v3, v[6:7]
	v_sub_nc_u32_e32 v3, 32, v3
	s_delay_alu instid0(VALU_DEP_2) | instskip(NEXT) | instid1(VALU_DEP_1)
	v_min_u32_e32 v6, 1, v6
	v_or_b32_e32 v6, v7, v6
	s_delay_alu instid0(VALU_DEP_1) | instskip(NEXT) | instid1(VALU_DEP_1)
	v_cvt_f32_u32_e32 v6, v6
	v_ldexp_f32 v3, v6, v3
	s_branch .LBB89_576
.LBB89_574:
	s_mov_b32 s3, -1
                                        ; implicit-def: $vgpr3
.LBB89_575:
	s_mov_b32 s22, 0
.LBB89_576:
	s_delay_alu instid0(SALU_CYCLE_1)
	s_and_b32 vcc_lo, exec_lo, s22
	s_cbranch_vccz .LBB89_594
; %bb.577:
	v_cmp_gt_i16_e32 vcc_lo, 27, v5
	s_cbranch_vccnz .LBB89_580
; %bb.578:
	v_cmp_lt_i16_e32 vcc_lo, 27, v5
	s_cbranch_vccz .LBB89_581
; %bb.579:
	global_load_b32 v3, v[1:2], off
	s_mov_b32 s2, 0
	s_waitcnt vmcnt(0)
	v_cvt_f32_u32_e32 v3, v3
	s_branch .LBB89_582
.LBB89_580:
	s_mov_b32 s2, -1
                                        ; implicit-def: $vgpr3
	s_branch .LBB89_585
.LBB89_581:
	s_mov_b32 s2, -1
                                        ; implicit-def: $vgpr3
.LBB89_582:
	s_delay_alu instid0(SALU_CYCLE_1)
	s_and_not1_b32 vcc_lo, exec_lo, s2
	s_cbranch_vccnz .LBB89_584
; %bb.583:
	global_load_u16 v3, v[1:2], off
	s_waitcnt vmcnt(0)
	v_cvt_f32_u32_e32 v3, v3
.LBB89_584:
	s_mov_b32 s2, 0
.LBB89_585:
	s_delay_alu instid0(SALU_CYCLE_1)
	s_and_not1_b32 vcc_lo, exec_lo, s2
	s_cbranch_vccnz .LBB89_593
; %bb.586:
	global_load_u8 v6, v[1:2], off
	s_mov_b32 s2, 0
	s_mov_b32 s23, exec_lo
                                        ; implicit-def: $sgpr22
	s_waitcnt vmcnt(0)
	v_cmpx_lt_i16_e32 0x7f, v6
	s_xor_b32 s23, exec_lo, s23
	s_cbranch_execz .LBB89_607
; %bb.587:
	s_mov_b32 s2, -1
	s_mov_b32 s41, exec_lo
                                        ; implicit-def: $sgpr22
	v_cmpx_eq_u16_e32 0x80, v6
; %bb.588:
	s_mov_b32 s22, 0x7f800001
	s_xor_b32 s2, exec_lo, -1
; %bb.589:
	s_or_b32 exec_lo, exec_lo, s41
	s_delay_alu instid0(SALU_CYCLE_1)
	s_and_b32 s2, s2, exec_lo
	s_or_saveexec_b32 s23, s23
	v_mov_b32_e32 v3, s22
	s_xor_b32 exec_lo, exec_lo, s23
	s_cbranch_execnz .LBB89_608
.LBB89_590:
	s_or_b32 exec_lo, exec_lo, s23
	s_and_saveexec_b32 s22, s2
	s_cbranch_execz .LBB89_592
.LBB89_591:
	v_and_b32_e32 v3, 0xffff, v6
	v_lshlrev_b32_e32 v6, 24, v6
	s_delay_alu instid0(VALU_DEP_2) | instskip(NEXT) | instid1(VALU_DEP_2)
	v_and_b32_e32 v7, 7, v3
	v_and_b32_e32 v6, 0x80000000, v6
	s_delay_alu instid0(VALU_DEP_2) | instskip(NEXT) | instid1(VALU_DEP_1)
	v_clz_i32_u32_e32 v9, v7
	v_min_u32_e32 v9, 32, v9
	s_delay_alu instid0(VALU_DEP_1) | instskip(SKIP_1) | instid1(VALU_DEP_2)
	v_subrev_nc_u32_e32 v10, 28, v9
	v_sub_nc_u32_e32 v9, 29, v9
	v_lshlrev_b32_e32 v10, v10, v3
	v_bfe_u32 v3, v3, 3, 4
	s_delay_alu instid0(VALU_DEP_1) | instskip(NEXT) | instid1(VALU_DEP_3)
	v_cmp_eq_u32_e32 vcc_lo, 0, v3
	v_dual_cndmask_b32 v3, v3, v9 :: v_dual_and_b32 v10, 7, v10
	s_delay_alu instid0(VALU_DEP_1) | instskip(NEXT) | instid1(VALU_DEP_2)
	v_lshl_add_u32 v3, v3, 23, 0x3b800000
	v_cndmask_b32_e32 v7, v7, v10, vcc_lo
	s_delay_alu instid0(VALU_DEP_1) | instskip(NEXT) | instid1(VALU_DEP_1)
	v_lshlrev_b32_e32 v7, 20, v7
	v_or3_b32 v3, v6, v3, v7
.LBB89_592:
	s_or_b32 exec_lo, exec_lo, s22
.LBB89_593:
	s_mov_b32 s2, -1
.LBB89_594:
	s_mov_b32 s22, 0
.LBB89_595:
	s_delay_alu instid0(SALU_CYCLE_1)
	s_and_b32 vcc_lo, exec_lo, s22
	s_cbranch_vccz .LBB89_630
; %bb.596:
	v_cmp_lt_i16_e32 vcc_lo, 22, v5
	s_cbranch_vccz .LBB89_606
; %bb.597:
	v_cmp_gt_i16_e32 vcc_lo, 24, v5
	s_cbranch_vccnz .LBB89_609
; %bb.598:
	v_cmp_lt_i16_e32 vcc_lo, 24, v5
	s_cbranch_vccz .LBB89_610
; %bb.599:
	global_load_u8 v6, v[1:2], off
	s_mov_b32 s2, 0
	s_mov_b32 s23, exec_lo
                                        ; implicit-def: $sgpr22
	s_waitcnt vmcnt(0)
	v_cmpx_lt_i16_e32 0x7f, v6
	s_xor_b32 s23, exec_lo, s23
	s_cbranch_execz .LBB89_622
; %bb.600:
	s_mov_b32 s2, -1
	s_mov_b32 s41, exec_lo
                                        ; implicit-def: $sgpr22
	v_cmpx_eq_u16_e32 0x80, v6
; %bb.601:
	s_mov_b32 s22, 0x7f800001
	s_xor_b32 s2, exec_lo, -1
; %bb.602:
	s_or_b32 exec_lo, exec_lo, s41
	s_delay_alu instid0(SALU_CYCLE_1)
	s_and_b32 s2, s2, exec_lo
	s_or_saveexec_b32 s23, s23
	v_mov_b32_e32 v3, s22
	s_xor_b32 exec_lo, exec_lo, s23
	s_cbranch_execnz .LBB89_623
.LBB89_603:
	s_or_b32 exec_lo, exec_lo, s23
	s_and_saveexec_b32 s22, s2
	s_cbranch_execz .LBB89_605
.LBB89_604:
	v_and_b32_e32 v3, 0xffff, v6
	v_lshlrev_b32_e32 v6, 24, v6
	s_delay_alu instid0(VALU_DEP_2) | instskip(NEXT) | instid1(VALU_DEP_2)
	v_and_b32_e32 v7, 3, v3
	v_and_b32_e32 v6, 0x80000000, v6
	s_delay_alu instid0(VALU_DEP_2) | instskip(NEXT) | instid1(VALU_DEP_1)
	v_clz_i32_u32_e32 v9, v7
	v_min_u32_e32 v9, 32, v9
	s_delay_alu instid0(VALU_DEP_1) | instskip(SKIP_1) | instid1(VALU_DEP_2)
	v_subrev_nc_u32_e32 v10, 29, v9
	v_sub_nc_u32_e32 v9, 30, v9
	v_lshlrev_b32_e32 v10, v10, v3
	v_bfe_u32 v3, v3, 2, 5
	s_delay_alu instid0(VALU_DEP_1) | instskip(NEXT) | instid1(VALU_DEP_3)
	v_cmp_eq_u32_e32 vcc_lo, 0, v3
	v_dual_cndmask_b32 v3, v3, v9 :: v_dual_and_b32 v10, 3, v10
	s_delay_alu instid0(VALU_DEP_1) | instskip(NEXT) | instid1(VALU_DEP_2)
	v_lshl_add_u32 v3, v3, 23, 0x37800000
	v_cndmask_b32_e32 v7, v7, v10, vcc_lo
	s_delay_alu instid0(VALU_DEP_1) | instskip(NEXT) | instid1(VALU_DEP_1)
	v_lshlrev_b32_e32 v7, 21, v7
	v_or3_b32 v3, v6, v3, v7
.LBB89_605:
	s_or_b32 exec_lo, exec_lo, s22
	s_mov_b32 s2, 0
	s_branch .LBB89_611
.LBB89_606:
	s_mov_b32 s22, -1
                                        ; implicit-def: $vgpr3
	s_branch .LBB89_617
.LBB89_607:
	s_or_saveexec_b32 s23, s23
	v_mov_b32_e32 v3, s22
	s_xor_b32 exec_lo, exec_lo, s23
	s_cbranch_execz .LBB89_590
.LBB89_608:
	v_cmp_ne_u16_e32 vcc_lo, 0, v6
	v_mov_b32_e32 v3, 0
	s_and_not1_b32 s2, s2, exec_lo
	s_and_b32 s22, vcc_lo, exec_lo
	s_delay_alu instid0(SALU_CYCLE_1)
	s_or_b32 s2, s2, s22
	s_or_b32 exec_lo, exec_lo, s23
	s_and_saveexec_b32 s22, s2
	s_cbranch_execnz .LBB89_591
	s_branch .LBB89_592
.LBB89_609:
	s_mov_b32 s2, -1
                                        ; implicit-def: $vgpr3
	s_branch .LBB89_614
.LBB89_610:
	s_mov_b32 s2, -1
                                        ; implicit-def: $vgpr3
.LBB89_611:
	s_delay_alu instid0(SALU_CYCLE_1)
	s_and_b32 vcc_lo, exec_lo, s2
	s_cbranch_vccz .LBB89_613
; %bb.612:
	global_load_u8 v3, v[1:2], off
	s_waitcnt vmcnt(0)
	v_lshlrev_b32_e32 v3, 24, v3
	s_delay_alu instid0(VALU_DEP_1) | instskip(NEXT) | instid1(VALU_DEP_1)
	v_and_b32_e32 v6, 0x7f000000, v3
	v_clz_i32_u32_e32 v7, v6
	v_cmp_ne_u32_e32 vcc_lo, 0, v6
	v_add_nc_u32_e32 v10, 0x1000000, v6
	s_delay_alu instid0(VALU_DEP_3) | instskip(NEXT) | instid1(VALU_DEP_1)
	v_min_u32_e32 v7, 32, v7
	v_sub_nc_u32_e64 v7, v7, 4 clamp
	s_delay_alu instid0(VALU_DEP_1) | instskip(SKIP_1) | instid1(VALU_DEP_2)
	v_lshlrev_b32_e32 v9, v7, v6
	v_lshlrev_b32_e32 v7, 23, v7
	v_lshrrev_b32_e32 v9, 4, v9
	s_delay_alu instid0(VALU_DEP_1) | instskip(SKIP_1) | instid1(VALU_DEP_2)
	v_sub_nc_u32_e32 v7, v9, v7
	v_ashrrev_i32_e32 v9, 8, v10
	v_add_nc_u32_e32 v7, 0x3c000000, v7
	s_delay_alu instid0(VALU_DEP_1) | instskip(NEXT) | instid1(VALU_DEP_1)
	v_and_or_b32 v7, 0x7f800000, v9, v7
	v_cndmask_b32_e32 v6, 0, v7, vcc_lo
	s_delay_alu instid0(VALU_DEP_1)
	v_and_or_b32 v3, 0x80000000, v3, v6
.LBB89_613:
	s_mov_b32 s2, 0
.LBB89_614:
	s_delay_alu instid0(SALU_CYCLE_1)
	s_and_not1_b32 vcc_lo, exec_lo, s2
	s_cbranch_vccnz .LBB89_616
; %bb.615:
	global_load_u8 v3, v[1:2], off
	s_waitcnt vmcnt(0)
	v_lshlrev_b32_e32 v6, 25, v3
	v_lshlrev_b16 v3, 8, v3
	s_delay_alu instid0(VALU_DEP_1) | instskip(SKIP_1) | instid1(VALU_DEP_2)
	v_and_or_b32 v9, 0x7f00, v3, 0.5
	v_bfe_i32 v3, v3, 0, 16
	v_add_f32_e32 v9, -0.5, v9
	v_lshrrev_b32_e32 v7, 4, v6
	v_cmp_gt_u32_e32 vcc_lo, 0x8000000, v6
	s_delay_alu instid0(VALU_DEP_2) | instskip(NEXT) | instid1(VALU_DEP_1)
	v_or_b32_e32 v7, 0x70000000, v7
	v_mul_f32_e32 v7, 0x7800000, v7
	s_delay_alu instid0(VALU_DEP_1) | instskip(NEXT) | instid1(VALU_DEP_1)
	v_cndmask_b32_e32 v6, v7, v9, vcc_lo
	v_and_or_b32 v3, 0x80000000, v3, v6
.LBB89_616:
	s_mov_b32 s22, 0
	s_mov_b32 s2, -1
.LBB89_617:
	s_and_not1_b32 vcc_lo, exec_lo, s22
	s_cbranch_vccnz .LBB89_630
; %bb.618:
	v_cmp_lt_i16_e32 vcc_lo, 14, v5
	s_cbranch_vccz .LBB89_621
; %bb.619:
	v_cmp_eq_u16_e32 vcc_lo, 15, v5
	s_cbranch_vccz .LBB89_624
; %bb.620:
	global_load_u16 v3, v[1:2], off
	s_mov_b32 s2, -1
	s_mov_b32 s3, 0
	s_waitcnt vmcnt(0)
	v_lshlrev_b32_e32 v3, 16, v3
	s_branch .LBB89_625
.LBB89_621:
	s_mov_b32 s22, -1
                                        ; implicit-def: $vgpr3
	s_branch .LBB89_626
.LBB89_622:
	s_or_saveexec_b32 s23, s23
	v_mov_b32_e32 v3, s22
	s_xor_b32 exec_lo, exec_lo, s23
	s_cbranch_execz .LBB89_603
.LBB89_623:
	v_cmp_ne_u16_e32 vcc_lo, 0, v6
	v_mov_b32_e32 v3, 0
	s_and_not1_b32 s2, s2, exec_lo
	s_and_b32 s22, vcc_lo, exec_lo
	s_delay_alu instid0(SALU_CYCLE_1)
	s_or_b32 s2, s2, s22
	s_or_b32 exec_lo, exec_lo, s23
	s_and_saveexec_b32 s22, s2
	s_cbranch_execnz .LBB89_604
	s_branch .LBB89_605
.LBB89_624:
	s_mov_b32 s3, -1
                                        ; implicit-def: $vgpr3
.LBB89_625:
	s_mov_b32 s22, 0
.LBB89_626:
	s_delay_alu instid0(SALU_CYCLE_1)
	s_and_b32 vcc_lo, exec_lo, s22
	s_cbranch_vccz .LBB89_630
; %bb.627:
	v_cmp_eq_u16_e32 vcc_lo, 11, v5
	s_cbranch_vccz .LBB89_629
; %bb.628:
	global_load_u8 v3, v[1:2], off
	s_mov_b32 s3, 0
	s_mov_b32 s2, -1
	s_waitcnt vmcnt(0)
	v_cmp_ne_u16_e32 vcc_lo, 0, v3
	v_cndmask_b32_e64 v3, 0, 1.0, vcc_lo
	s_branch .LBB89_630
.LBB89_629:
	s_mov_b32 s3, -1
                                        ; implicit-def: $vgpr3
.LBB89_630:
	s_mov_b32 s22, 0
.LBB89_631:
	s_delay_alu instid0(SALU_CYCLE_1)
	s_and_b32 vcc_lo, exec_lo, s22
	s_cbranch_vccz .LBB89_680
; %bb.632:
	v_cmp_gt_i16_e32 vcc_lo, 5, v5
	s_cbranch_vccnz .LBB89_637
; %bb.633:
	v_cmp_gt_i16_e32 vcc_lo, 8, v5
	s_cbranch_vccnz .LBB89_638
	;; [unrolled: 3-line block ×3, first 2 shown]
; %bb.635:
	v_cmp_lt_i16_e32 vcc_lo, 9, v5
	s_cbranch_vccz .LBB89_640
; %bb.636:
	global_load_b64 v[6:7], v[1:2], off
	s_mov_b32 s2, 0
	s_waitcnt vmcnt(0)
	v_cvt_f32_f64_e32 v3, v[6:7]
	s_branch .LBB89_641
.LBB89_637:
	s_mov_b32 s2, -1
                                        ; implicit-def: $vgpr3
	s_branch .LBB89_659
.LBB89_638:
	s_mov_b32 s2, -1
                                        ; implicit-def: $vgpr3
	s_branch .LBB89_647
.LBB89_639:
	s_mov_b32 s2, -1
                                        ; implicit-def: $vgpr3
	s_branch .LBB89_644
.LBB89_640:
	s_mov_b32 s2, -1
                                        ; implicit-def: $vgpr3
.LBB89_641:
	s_delay_alu instid0(SALU_CYCLE_1)
	s_and_not1_b32 vcc_lo, exec_lo, s2
	s_cbranch_vccnz .LBB89_643
; %bb.642:
	global_load_b32 v3, v[1:2], off
.LBB89_643:
	s_mov_b32 s2, 0
.LBB89_644:
	s_delay_alu instid0(SALU_CYCLE_1)
	s_and_not1_b32 vcc_lo, exec_lo, s2
	s_cbranch_vccnz .LBB89_646
; %bb.645:
	global_load_b32 v3, v[1:2], off
	s_waitcnt vmcnt(0)
	v_cvt_f32_f16_e32 v3, v3
.LBB89_646:
	s_mov_b32 s2, 0
.LBB89_647:
	s_delay_alu instid0(SALU_CYCLE_1)
	s_and_not1_b32 vcc_lo, exec_lo, s2
	s_cbranch_vccnz .LBB89_658
; %bb.648:
	v_cmp_gt_i16_e32 vcc_lo, 6, v5
	s_cbranch_vccnz .LBB89_651
; %bb.649:
	v_cmp_lt_i16_e32 vcc_lo, 6, v5
	s_cbranch_vccz .LBB89_652
; %bb.650:
	global_load_b64 v[6:7], v[1:2], off
	s_mov_b32 s2, 0
	s_waitcnt vmcnt(0)
	v_cvt_f32_f64_e32 v3, v[6:7]
	s_branch .LBB89_653
.LBB89_651:
	s_mov_b32 s2, -1
                                        ; implicit-def: $vgpr3
	s_branch .LBB89_656
.LBB89_652:
	s_mov_b32 s2, -1
                                        ; implicit-def: $vgpr3
.LBB89_653:
	s_delay_alu instid0(SALU_CYCLE_1)
	s_and_not1_b32 vcc_lo, exec_lo, s2
	s_cbranch_vccnz .LBB89_655
; %bb.654:
	global_load_b32 v3, v[1:2], off
.LBB89_655:
	s_mov_b32 s2, 0
.LBB89_656:
	s_delay_alu instid0(SALU_CYCLE_1)
	s_and_not1_b32 vcc_lo, exec_lo, s2
	s_cbranch_vccnz .LBB89_658
; %bb.657:
	global_load_u16 v3, v[1:2], off
	s_waitcnt vmcnt(0)
	v_cvt_f32_f16_e32 v3, v3
.LBB89_658:
	s_mov_b32 s2, 0
.LBB89_659:
	s_delay_alu instid0(SALU_CYCLE_1)
	s_and_not1_b32 vcc_lo, exec_lo, s2
	s_cbranch_vccnz .LBB89_679
; %bb.660:
	v_cmp_gt_i16_e32 vcc_lo, 2, v5
	s_cbranch_vccnz .LBB89_664
; %bb.661:
	v_cmp_gt_i16_e32 vcc_lo, 3, v5
	s_cbranch_vccnz .LBB89_665
; %bb.662:
	v_cmp_lt_i16_e32 vcc_lo, 3, v5
	s_cbranch_vccz .LBB89_666
; %bb.663:
	global_load_b64 v[6:7], v[1:2], off
	s_mov_b32 s2, 0
	s_waitcnt vmcnt(0)
	v_xor_b32_e32 v3, v6, v7
	v_cls_i32_e32 v9, v7
	s_delay_alu instid0(VALU_DEP_2) | instskip(NEXT) | instid1(VALU_DEP_2)
	v_ashrrev_i32_e32 v3, 31, v3
	v_add_nc_u32_e32 v9, -1, v9
	s_delay_alu instid0(VALU_DEP_2) | instskip(NEXT) | instid1(VALU_DEP_1)
	v_add_nc_u32_e32 v3, 32, v3
	v_min_u32_e32 v3, v9, v3
	s_delay_alu instid0(VALU_DEP_1) | instskip(SKIP_1) | instid1(VALU_DEP_2)
	v_lshlrev_b64 v[6:7], v3, v[6:7]
	v_sub_nc_u32_e32 v3, 32, v3
	v_min_u32_e32 v6, 1, v6
	s_delay_alu instid0(VALU_DEP_1) | instskip(NEXT) | instid1(VALU_DEP_1)
	v_or_b32_e32 v6, v7, v6
	v_cvt_f32_i32_e32 v6, v6
	s_delay_alu instid0(VALU_DEP_1)
	v_ldexp_f32 v3, v6, v3
	s_branch .LBB89_667
.LBB89_664:
	s_mov_b32 s2, -1
                                        ; implicit-def: $vgpr3
	s_branch .LBB89_673
.LBB89_665:
	s_mov_b32 s2, -1
                                        ; implicit-def: $vgpr3
	s_branch .LBB89_670
.LBB89_666:
	s_mov_b32 s2, -1
                                        ; implicit-def: $vgpr3
.LBB89_667:
	s_delay_alu instid0(SALU_CYCLE_1)
	s_and_not1_b32 vcc_lo, exec_lo, s2
	s_cbranch_vccnz .LBB89_669
; %bb.668:
	global_load_b32 v3, v[1:2], off
	s_waitcnt vmcnt(0)
	v_cvt_f32_i32_e32 v3, v3
.LBB89_669:
	s_mov_b32 s2, 0
.LBB89_670:
	s_delay_alu instid0(SALU_CYCLE_1)
	s_and_not1_b32 vcc_lo, exec_lo, s2
	s_cbranch_vccnz .LBB89_672
; %bb.671:
	global_load_i16 v3, v[1:2], off
	s_waitcnt vmcnt(0)
	v_cvt_f32_i32_e32 v3, v3
.LBB89_672:
	s_mov_b32 s2, 0
.LBB89_673:
	s_delay_alu instid0(SALU_CYCLE_1)
	s_and_not1_b32 vcc_lo, exec_lo, s2
	s_cbranch_vccnz .LBB89_679
; %bb.674:
	v_cmp_lt_i16_e32 vcc_lo, 0, v5
	s_mov_b32 s2, 0
	s_cbranch_vccz .LBB89_676
; %bb.675:
	global_load_i8 v3, v[1:2], off
	s_waitcnt vmcnt(0)
	v_cvt_f32_i32_e32 v3, v3
	s_branch .LBB89_677
.LBB89_676:
	s_mov_b32 s2, -1
                                        ; implicit-def: $vgpr3
.LBB89_677:
	s_delay_alu instid0(SALU_CYCLE_1)
	s_and_not1_b32 vcc_lo, exec_lo, s2
	s_cbranch_vccnz .LBB89_679
; %bb.678:
	global_load_u8 v1, v[1:2], off
	s_waitcnt vmcnt(0)
	v_cvt_f32_ubyte0_e32 v3, v1
.LBB89_679:
	s_mov_b32 s2, -1
.LBB89_680:
	s_delay_alu instid0(SALU_CYCLE_1)
	s_and_not1_b32 vcc_lo, exec_lo, s2
	s_cbranch_vccnz .LBB89_688
; %bb.681:
	s_waitcnt vmcnt(0)
	s_delay_alu instid0(VALU_DEP_1) | instskip(SKIP_3) | instid1(VALU_DEP_2)
	v_mul_f32_e32 v1, 0x3fb8aa3b, v3
	v_cmp_ngt_f32_e64 s2, 0xc2ce8ed0, v3
	s_mov_b32 s22, 0
	s_mov_b32 s23, -1
	v_rndne_f32_e32 v2, v1
	v_fma_f32 v6, 0x3fb8aa3b, v3, -v1
	s_delay_alu instid0(VALU_DEP_1) | instskip(SKIP_1) | instid1(VALU_DEP_2)
	v_dual_sub_f32 v1, v1, v2 :: v_dual_fmamk_f32 v6, v3, 0x32a5705f, v6
	v_cvt_i32_f32_e32 v2, v2
	v_dual_add_f32 v1, v1, v6 :: v_dual_and_b32 v6, 0xff, v4
	s_delay_alu instid0(VALU_DEP_1) | instskip(NEXT) | instid1(VALU_DEP_1)
	v_exp_f32_e32 v1, v1
	v_cmp_gt_i16_e32 vcc_lo, 11, v6
	s_and_b32 vcc_lo, exec_lo, vcc_lo
	s_waitcnt_depctr 0xfff
	v_ldexp_f32 v1, v1, v2
	s_delay_alu instid0(VALU_DEP_1) | instskip(SKIP_1) | instid1(VALU_DEP_1)
	v_cndmask_b32_e64 v2, 0, v1, s2
	v_add_co_u32 v0, s2, s4, v0
	v_add_co_ci_u32_e64 v1, null, s5, 0, s2
	v_cmp_nlt_f32_e64 s2, 0x42b17218, v3
	s_delay_alu instid0(VALU_DEP_1)
	v_cndmask_b32_e64 v2, 0x7f800000, v2, s2
	s_mov_b32 s2, s38
	s_cbranch_vccnz .LBB89_689
; %bb.682:
	v_cmp_lt_i16_e32 vcc_lo, 25, v6
	s_cbranch_vccz .LBB89_730
; %bb.683:
	v_cmp_lt_i16_e32 vcc_lo, 28, v6
	s_cbranch_vccz .LBB89_731
	;; [unrolled: 3-line block ×4, first 2 shown]
; %bb.686:
	v_cmp_eq_u16_e32 vcc_lo, 46, v6
	s_mov_b32 s23, 0
	s_mov_b32 s2, -1
	s_cbranch_vccz .LBB89_734
; %bb.687:
	v_bfe_u32 v3, v2, 16, 1
	v_cmp_o_f32_e32 vcc_lo, v2, v2
	s_mov_b32 s22, -1
	s_mov_b32 s2, 0
	s_delay_alu instid0(VALU_DEP_2) | instskip(NEXT) | instid1(VALU_DEP_1)
	v_add3_u32 v3, v2, v3, 0x7fff
	v_lshrrev_b32_e32 v3, 16, v3
	s_delay_alu instid0(VALU_DEP_1)
	v_cndmask_b32_e32 v3, 0x7fc0, v3, vcc_lo
	global_store_b32 v[0:1], v3, off
	s_branch .LBB89_734
.LBB89_688:
	s_mov_b32 s41, 0
	s_mov_b32 s2, s38
	s_branch .LBB89_729
.LBB89_689:
	s_and_b32 vcc_lo, exec_lo, s23
	s_cbranch_vccz .LBB89_803
; %bb.690:
	v_cmp_gt_i16_e32 vcc_lo, 5, v6
	s_mov_b32 s22, -1
	s_cbranch_vccnz .LBB89_711
; %bb.691:
	v_cmp_gt_i16_e32 vcc_lo, 8, v6
	s_cbranch_vccnz .LBB89_701
; %bb.692:
	v_cmp_gt_i16_e32 vcc_lo, 9, v6
	s_cbranch_vccnz .LBB89_698
; %bb.693:
	v_cmp_lt_i16_e32 vcc_lo, 9, v6
	s_cbranch_vccz .LBB89_695
; %bb.694:
	v_cvt_f64_f32_e32 v[9:10], v2
	v_mov_b32_e32 v11, 0
	s_mov_b32 s22, 0
	s_delay_alu instid0(VALU_DEP_1)
	v_mov_b32_e32 v12, v11
	global_store_b128 v[0:1], v[9:12], off
.LBB89_695:
	s_and_not1_b32 vcc_lo, exec_lo, s22
	s_cbranch_vccnz .LBB89_697
; %bb.696:
	v_mov_b32_e32 v3, 0
	global_store_b64 v[0:1], v[2:3], off
.LBB89_697:
	s_mov_b32 s22, 0
.LBB89_698:
	s_delay_alu instid0(SALU_CYCLE_1)
	s_and_not1_b32 vcc_lo, exec_lo, s22
	s_cbranch_vccnz .LBB89_700
; %bb.699:
	v_cvt_f16_f32_e32 v3, v2
	s_delay_alu instid0(VALU_DEP_1)
	v_and_b32_e32 v3, 0xffff, v3
	global_store_b32 v[0:1], v3, off
.LBB89_700:
	s_mov_b32 s22, 0
.LBB89_701:
	s_delay_alu instid0(SALU_CYCLE_1)
	s_and_not1_b32 vcc_lo, exec_lo, s22
	s_cbranch_vccnz .LBB89_710
; %bb.702:
	v_cmp_gt_i16_e32 vcc_lo, 6, v6
	s_mov_b32 s22, -1
	s_cbranch_vccnz .LBB89_708
; %bb.703:
	v_cmp_lt_i16_e32 vcc_lo, 6, v6
	s_cbranch_vccz .LBB89_705
; %bb.704:
	v_cvt_f64_f32_e32 v[9:10], v2
	s_mov_b32 s22, 0
	global_store_b64 v[0:1], v[9:10], off
.LBB89_705:
	s_and_not1_b32 vcc_lo, exec_lo, s22
	s_cbranch_vccnz .LBB89_707
; %bb.706:
	global_store_b32 v[0:1], v2, off
.LBB89_707:
	s_mov_b32 s22, 0
.LBB89_708:
	s_delay_alu instid0(SALU_CYCLE_1)
	s_and_not1_b32 vcc_lo, exec_lo, s22
	s_cbranch_vccnz .LBB89_710
; %bb.709:
	v_cvt_f16_f32_e32 v3, v2
	global_store_b16 v[0:1], v3, off
.LBB89_710:
	s_mov_b32 s22, 0
.LBB89_711:
	s_delay_alu instid0(SALU_CYCLE_1)
	s_and_not1_b32 vcc_lo, exec_lo, s22
	s_cbranch_vccnz .LBB89_727
; %bb.712:
	v_cmp_gt_i16_e32 vcc_lo, 2, v6
	s_mov_b32 s22, -1
	s_cbranch_vccnz .LBB89_722
; %bb.713:
	v_cmp_gt_i16_e32 vcc_lo, 3, v6
	s_cbranch_vccnz .LBB89_719
; %bb.714:
	v_cmp_lt_i16_e32 vcc_lo, 3, v6
	s_cbranch_vccz .LBB89_716
; %bb.715:
	v_trunc_f32_e32 v3, v2
	s_mov_b32 s22, 0
	s_delay_alu instid0(VALU_DEP_1) | instskip(NEXT) | instid1(VALU_DEP_1)
	v_mul_f32_e64 v7, 0x2f800000, |v3|
	v_floor_f32_e32 v7, v7
	s_delay_alu instid0(VALU_DEP_1) | instskip(SKIP_2) | instid1(VALU_DEP_3)
	v_fma_f32 v9, 0xcf800000, v7, |v3|
	v_ashrrev_i32_e32 v3, 31, v3
	v_cvt_u32_f32_e32 v7, v7
	v_cvt_u32_f32_e32 v9, v9
	s_delay_alu instid0(VALU_DEP_2) | instskip(NEXT) | instid1(VALU_DEP_2)
	v_xor_b32_e32 v7, v7, v3
	v_xor_b32_e32 v9, v9, v3
	s_delay_alu instid0(VALU_DEP_1) | instskip(NEXT) | instid1(VALU_DEP_3)
	v_sub_co_u32 v9, vcc_lo, v9, v3
	v_sub_co_ci_u32_e32 v10, vcc_lo, v7, v3, vcc_lo
	global_store_b64 v[0:1], v[9:10], off
.LBB89_716:
	s_and_not1_b32 vcc_lo, exec_lo, s22
	s_cbranch_vccnz .LBB89_718
; %bb.717:
	v_cvt_i32_f32_e32 v3, v2
	global_store_b32 v[0:1], v3, off
.LBB89_718:
	s_mov_b32 s22, 0
.LBB89_719:
	s_delay_alu instid0(SALU_CYCLE_1)
	s_and_not1_b32 vcc_lo, exec_lo, s22
	s_cbranch_vccnz .LBB89_721
; %bb.720:
	v_cvt_i32_f32_e32 v3, v2
	global_store_b16 v[0:1], v3, off
.LBB89_721:
	s_mov_b32 s22, 0
.LBB89_722:
	s_delay_alu instid0(SALU_CYCLE_1)
	s_and_not1_b32 vcc_lo, exec_lo, s22
	s_cbranch_vccnz .LBB89_727
; %bb.723:
	v_cmp_lt_i16_e32 vcc_lo, 0, v6
	s_mov_b32 s22, -1
	s_cbranch_vccz .LBB89_725
; %bb.724:
	v_cvt_i32_f32_e32 v3, v2
	s_mov_b32 s22, 0
	global_store_b8 v[0:1], v3, off
.LBB89_725:
	s_and_not1_b32 vcc_lo, exec_lo, s22
	s_cbranch_vccnz .LBB89_727
; %bb.726:
	v_trunc_f32_e32 v2, v2
	s_delay_alu instid0(VALU_DEP_1) | instskip(NEXT) | instid1(VALU_DEP_1)
	v_mul_f32_e64 v3, 0x2f800000, |v2|
	v_floor_f32_e32 v3, v3
	s_delay_alu instid0(VALU_DEP_1) | instskip(SKIP_1) | instid1(VALU_DEP_2)
	v_fma_f32 v3, 0xcf800000, v3, |v2|
	v_ashrrev_i32_e32 v2, 31, v2
	v_cvt_u32_f32_e32 v3, v3
	s_delay_alu instid0(VALU_DEP_1) | instskip(NEXT) | instid1(VALU_DEP_1)
	v_xor_b32_e32 v3, v3, v2
	v_sub_nc_u32_e32 v2, v3, v2
	global_store_b8 v[0:1], v2, off
.LBB89_727:
	s_branch .LBB89_804
.LBB89_728:
	s_mov_b32 s41, 0
.LBB89_729:
                                        ; implicit-def: $vgpr8
	s_branch .LBB89_805
.LBB89_730:
	s_mov_b32 s2, s38
	s_branch .LBB89_761
.LBB89_731:
	s_mov_b32 s2, s38
	s_branch .LBB89_744
.LBB89_732:
	s_mov_b32 s2, s38
	s_branch .LBB89_740
.LBB89_733:
	s_mov_b32 s2, s38
.LBB89_734:
	s_and_b32 vcc_lo, exec_lo, s23
	s_cbranch_vccz .LBB89_739
; %bb.735:
	v_cmp_eq_u16_e32 vcc_lo, 44, v6
	s_mov_b32 s2, -1
	s_cbranch_vccz .LBB89_739
; %bb.736:
	v_bfe_u32 v7, v2, 23, 8
	v_mov_b32_e32 v3, 0xff
	s_mov_b32 s22, exec_lo
	s_delay_alu instid0(VALU_DEP_2)
	v_cmpx_ne_u32_e32 0xff, v7
; %bb.737:
	v_and_b32_e32 v3, 0x400000, v2
	v_and_or_b32 v7, 0x3fffff, v2, v7
	s_delay_alu instid0(VALU_DEP_2) | instskip(NEXT) | instid1(VALU_DEP_2)
	v_cmp_ne_u32_e32 vcc_lo, 0, v3
	v_cmp_ne_u32_e64 s2, 0, v7
	v_lshrrev_b32_e32 v3, 23, v2
	s_delay_alu instid0(VALU_DEP_2) | instskip(NEXT) | instid1(SALU_CYCLE_1)
	s_and_b32 s2, vcc_lo, s2
	v_cndmask_b32_e64 v7, 0, 1, s2
	s_delay_alu instid0(VALU_DEP_1)
	v_add_nc_u32_e32 v3, v3, v7
; %bb.738:
	s_or_b32 exec_lo, exec_lo, s22
	s_mov_b32 s22, -1
	s_mov_b32 s2, 0
	global_store_b8 v[0:1], v3, off
.LBB89_739:
	s_mov_b32 s23, 0
.LBB89_740:
	s_delay_alu instid0(SALU_CYCLE_1)
	s_and_b32 vcc_lo, exec_lo, s23
	s_cbranch_vccz .LBB89_743
; %bb.741:
	v_cmp_eq_u16_e32 vcc_lo, 29, v6
	s_mov_b32 s2, -1
	s_cbranch_vccz .LBB89_743
; %bb.742:
	v_trunc_f32_e32 v3, v2
	s_mov_b32 s22, -1
	s_mov_b32 s2, 0
	s_mov_b32 s23, 0
	s_delay_alu instid0(VALU_DEP_1) | instskip(NEXT) | instid1(VALU_DEP_1)
	v_mul_f32_e32 v7, 0x2f800000, v3
	v_floor_f32_e32 v7, v7
	s_delay_alu instid0(VALU_DEP_1) | instskip(SKIP_1) | instid1(VALU_DEP_2)
	v_fmamk_f32 v3, v7, 0xcf800000, v3
	v_cvt_u32_f32_e32 v10, v7
	v_cvt_u32_f32_e32 v9, v3
	global_store_b64 v[0:1], v[9:10], off
	s_branch .LBB89_744
.LBB89_743:
	s_mov_b32 s23, 0
.LBB89_744:
	s_delay_alu instid0(SALU_CYCLE_1)
	s_and_b32 vcc_lo, exec_lo, s23
	s_cbranch_vccz .LBB89_760
; %bb.745:
	v_cmp_gt_i16_e32 vcc_lo, 27, v6
	s_mov_b32 s22, -1
	s_cbranch_vccnz .LBB89_751
; %bb.746:
	v_cmp_lt_i16_e32 vcc_lo, 27, v6
	s_cbranch_vccz .LBB89_748
; %bb.747:
	v_cvt_u32_f32_e32 v3, v2
	s_mov_b32 s22, 0
	global_store_b32 v[0:1], v3, off
.LBB89_748:
	s_and_not1_b32 vcc_lo, exec_lo, s22
	s_cbranch_vccnz .LBB89_750
; %bb.749:
	v_cvt_u32_f32_e32 v3, v2
	global_store_b16 v[0:1], v3, off
.LBB89_750:
	s_mov_b32 s22, 0
.LBB89_751:
	s_delay_alu instid0(SALU_CYCLE_1)
	s_and_not1_b32 vcc_lo, exec_lo, s22
	s_cbranch_vccnz .LBB89_759
; %bb.752:
	v_and_b32_e32 v3, 0x7fffffff, v2
	v_mov_b32_e32 v7, 0x80
	s_mov_b32 s22, exec_lo
	s_delay_alu instid0(VALU_DEP_2)
	v_cmpx_gt_u32_e32 0x43800000, v3
	s_cbranch_execz .LBB89_758
; %bb.753:
	v_cmp_lt_u32_e32 vcc_lo, 0x3bffffff, v3
	s_mov_b32 s23, 0
                                        ; implicit-def: $vgpr3
	s_and_saveexec_b32 s41, vcc_lo
	s_delay_alu instid0(SALU_CYCLE_1)
	s_xor_b32 s41, exec_lo, s41
	s_cbranch_execz .LBB89_832
; %bb.754:
	v_bfe_u32 v3, v2, 20, 1
	s_mov_b32 s23, exec_lo
	s_delay_alu instid0(VALU_DEP_1) | instskip(NEXT) | instid1(VALU_DEP_1)
	v_add3_u32 v3, v2, v3, 0x487ffff
	v_lshrrev_b32_e32 v3, 20, v3
	s_or_saveexec_b32 s41, s41
                                        ; implicit-def: $sgpr42
	s_delay_alu instid0(SALU_CYCLE_1)
	s_xor_b32 exec_lo, exec_lo, s41
	s_cbranch_execnz .LBB89_833
.LBB89_755:
	s_or_b32 exec_lo, exec_lo, s41
	v_mov_b32_e32 v7, s42
	s_and_saveexec_b32 s41, s23
.LBB89_756:
	v_lshrrev_b32_e32 v7, 24, v2
	s_delay_alu instid0(VALU_DEP_1)
	v_and_or_b32 v7, 0x80, v7, v3
.LBB89_757:
	s_or_b32 exec_lo, exec_lo, s41
.LBB89_758:
	s_delay_alu instid0(SALU_CYCLE_1)
	s_or_b32 exec_lo, exec_lo, s22
	global_store_b8 v[0:1], v7, off
.LBB89_759:
	s_mov_b32 s22, -1
.LBB89_760:
	s_mov_b32 s23, 0
.LBB89_761:
	s_delay_alu instid0(SALU_CYCLE_1)
	s_and_b32 vcc_lo, exec_lo, s23
	s_cbranch_vccz .LBB89_802
; %bb.762:
	v_cmp_lt_i16_e32 vcc_lo, 22, v6
	s_mov_b32 s23, -1
	s_cbranch_vccz .LBB89_794
; %bb.763:
	v_cmp_gt_i16_e32 vcc_lo, 24, v6
	s_mov_b32 s22, -1
	s_cbranch_vccnz .LBB89_783
; %bb.764:
	v_cmp_lt_i16_e32 vcc_lo, 24, v6
	s_cbranch_vccz .LBB89_772
; %bb.765:
	v_and_b32_e32 v3, 0x7fffffff, v2
	v_mov_b32_e32 v7, 0x80
	s_mov_b32 s22, exec_lo
	s_delay_alu instid0(VALU_DEP_2)
	v_cmpx_gt_u32_e32 0x47800000, v3
	s_cbranch_execz .LBB89_771
; %bb.766:
	v_cmp_lt_u32_e32 vcc_lo, 0x37ffffff, v3
	s_mov_b32 s23, 0
                                        ; implicit-def: $vgpr3
	s_and_saveexec_b32 s41, vcc_lo
	s_delay_alu instid0(SALU_CYCLE_1)
	s_xor_b32 s41, exec_lo, s41
	s_cbranch_execz .LBB89_835
; %bb.767:
	v_bfe_u32 v3, v2, 21, 1
	s_mov_b32 s23, exec_lo
	s_delay_alu instid0(VALU_DEP_1) | instskip(NEXT) | instid1(VALU_DEP_1)
	v_add3_u32 v3, v2, v3, 0x88fffff
	v_lshrrev_b32_e32 v3, 21, v3
	s_or_saveexec_b32 s41, s41
                                        ; implicit-def: $sgpr42
	s_delay_alu instid0(SALU_CYCLE_1)
	s_xor_b32 exec_lo, exec_lo, s41
	s_cbranch_execnz .LBB89_836
.LBB89_768:
	s_or_b32 exec_lo, exec_lo, s41
	v_mov_b32_e32 v7, s42
	s_and_saveexec_b32 s41, s23
.LBB89_769:
	v_lshrrev_b32_e32 v7, 24, v2
	s_delay_alu instid0(VALU_DEP_1)
	v_and_or_b32 v7, 0x80, v7, v3
.LBB89_770:
	s_or_b32 exec_lo, exec_lo, s41
.LBB89_771:
	s_delay_alu instid0(SALU_CYCLE_1)
	s_or_b32 exec_lo, exec_lo, s22
	s_mov_b32 s22, 0
	global_store_b8 v[0:1], v7, off
.LBB89_772:
	s_and_b32 vcc_lo, exec_lo, s22
	s_cbranch_vccz .LBB89_782
; %bb.773:
	v_and_b32_e32 v7, 0x7fffffff, v2
	s_mov_b32 s22, exec_lo
                                        ; implicit-def: $vgpr3
	s_delay_alu instid0(VALU_DEP_1)
	v_cmpx_gt_u32_e32 0x43f00000, v7
	s_xor_b32 s22, exec_lo, s22
	s_cbranch_execz .LBB89_779
; %bb.774:
	s_mov_b32 s23, exec_lo
                                        ; implicit-def: $vgpr3
	v_cmpx_lt_u32_e32 0x3c7fffff, v7
	s_xor_b32 s23, exec_lo, s23
; %bb.775:
	v_bfe_u32 v3, v2, 20, 1
	s_delay_alu instid0(VALU_DEP_1) | instskip(NEXT) | instid1(VALU_DEP_1)
	v_add3_u32 v3, v2, v3, 0x407ffff
	v_and_b32_e32 v7, 0xff00000, v3
	v_lshrrev_b32_e32 v3, 20, v3
	s_delay_alu instid0(VALU_DEP_2) | instskip(NEXT) | instid1(VALU_DEP_2)
	v_cmp_ne_u32_e32 vcc_lo, 0x7f00000, v7
	v_cndmask_b32_e32 v3, 0x7e, v3, vcc_lo
; %bb.776:
	s_and_not1_saveexec_b32 s23, s23
; %bb.777:
	v_add_f32_e64 v3, 0x46800000, |v2|
; %bb.778:
	s_or_b32 exec_lo, exec_lo, s23
                                        ; implicit-def: $vgpr7
.LBB89_779:
	s_and_not1_saveexec_b32 s22, s22
; %bb.780:
	v_mov_b32_e32 v3, 0x7f
	v_cmp_lt_u32_e32 vcc_lo, 0x7f800000, v7
	s_delay_alu instid0(VALU_DEP_2)
	v_cndmask_b32_e32 v3, 0x7e, v3, vcc_lo
; %bb.781:
	s_or_b32 exec_lo, exec_lo, s22
	v_lshrrev_b32_e32 v7, 24, v2
	s_delay_alu instid0(VALU_DEP_1)
	v_and_or_b32 v3, 0x80, v7, v3
	global_store_b8 v[0:1], v3, off
.LBB89_782:
	s_mov_b32 s22, 0
.LBB89_783:
	s_delay_alu instid0(SALU_CYCLE_1)
	s_and_not1_b32 vcc_lo, exec_lo, s22
	s_cbranch_vccnz .LBB89_793
; %bb.784:
	v_and_b32_e32 v7, 0x7fffffff, v2
	s_mov_b32 s22, exec_lo
                                        ; implicit-def: $vgpr3
	s_delay_alu instid0(VALU_DEP_1)
	v_cmpx_gt_u32_e32 0x47800000, v7
	s_xor_b32 s22, exec_lo, s22
	s_cbranch_execz .LBB89_790
; %bb.785:
	s_mov_b32 s23, exec_lo
                                        ; implicit-def: $vgpr3
	v_cmpx_lt_u32_e32 0x387fffff, v7
	s_xor_b32 s23, exec_lo, s23
; %bb.786:
	v_bfe_u32 v3, v2, 21, 1
	s_delay_alu instid0(VALU_DEP_1) | instskip(NEXT) | instid1(VALU_DEP_1)
	v_add3_u32 v3, v2, v3, 0x80fffff
	v_lshrrev_b32_e32 v3, 21, v3
; %bb.787:
	s_and_not1_saveexec_b32 s23, s23
; %bb.788:
	v_add_f32_e64 v3, 0x43000000, |v2|
; %bb.789:
	s_or_b32 exec_lo, exec_lo, s23
                                        ; implicit-def: $vgpr7
.LBB89_790:
	s_and_not1_saveexec_b32 s22, s22
; %bb.791:
	v_mov_b32_e32 v3, 0x7f
	v_cmp_lt_u32_e32 vcc_lo, 0x7f800000, v7
	s_delay_alu instid0(VALU_DEP_2)
	v_cndmask_b32_e32 v3, 0x7c, v3, vcc_lo
; %bb.792:
	s_or_b32 exec_lo, exec_lo, s22
	v_lshrrev_b32_e32 v7, 24, v2
	s_delay_alu instid0(VALU_DEP_1)
	v_and_or_b32 v3, 0x80, v7, v3
	global_store_b8 v[0:1], v3, off
.LBB89_793:
	s_mov_b32 s23, 0
	s_mov_b32 s22, -1
.LBB89_794:
	s_and_not1_b32 vcc_lo, exec_lo, s23
	s_cbranch_vccnz .LBB89_802
; %bb.795:
	v_cmp_lt_i16_e32 vcc_lo, 14, v6
	s_mov_b32 s23, -1
	s_cbranch_vccz .LBB89_799
; %bb.796:
	v_cmp_eq_u16_e32 vcc_lo, 15, v6
	s_mov_b32 s2, -1
	s_cbranch_vccz .LBB89_798
; %bb.797:
	v_bfe_u32 v3, v2, 16, 1
	v_cmp_o_f32_e32 vcc_lo, v2, v2
	s_mov_b32 s22, -1
	s_mov_b32 s2, 0
	s_delay_alu instid0(VALU_DEP_2) | instskip(NEXT) | instid1(VALU_DEP_1)
	v_add3_u32 v3, v2, v3, 0x7fff
	v_lshrrev_b32_e32 v3, 16, v3
	s_delay_alu instid0(VALU_DEP_1)
	v_cndmask_b32_e32 v3, 0x7fc0, v3, vcc_lo
	global_store_b16 v[0:1], v3, off
.LBB89_798:
	s_mov_b32 s23, 0
.LBB89_799:
	s_delay_alu instid0(SALU_CYCLE_1)
	s_and_b32 vcc_lo, exec_lo, s23
	s_cbranch_vccz .LBB89_802
; %bb.800:
	v_cmp_eq_u16_e32 vcc_lo, 11, v6
	s_mov_b32 s2, -1
	s_cbranch_vccz .LBB89_802
; %bb.801:
	v_cmp_neq_f32_e32 vcc_lo, 0, v2
	s_mov_b32 s2, 0
	s_mov_b32 s22, -1
	v_cndmask_b32_e64 v3, 0, 1, vcc_lo
	global_store_b8 v[0:1], v3, off
.LBB89_802:
.LBB89_803:
	s_and_not1_b32 vcc_lo, exec_lo, s22
	s_cbranch_vccnz .LBB89_728
.LBB89_804:
	v_add_nc_u32_e32 v8, 0x80, v8
	s_mov_b32 s41, -1
.LBB89_805:
	s_and_not1_b32 s22, s38, exec_lo
	s_and_b32 s2, s2, exec_lo
	s_and_not1_b32 s42, s37, exec_lo
	s_and_b32 s3, s3, exec_lo
	s_or_b32 s23, s22, s2
	s_or_b32 s22, s42, s3
	s_or_not1_b32 s42, s41, exec_lo
.LBB89_806:
	s_or_b32 exec_lo, exec_lo, s40
	s_mov_b32 s2, 0
	s_mov_b32 s3, 0
	s_mov_b32 s41, 0
                                        ; implicit-def: $vgpr1_vgpr2
                                        ; implicit-def: $vgpr0
                                        ; implicit-def: $vgpr6
	s_and_saveexec_b32 s40, s42
	s_cbranch_execz .LBB89_904
; %bb.807:
	v_cmp_gt_i32_e32 vcc_lo, s30, v8
	s_mov_b32 s43, s22
	s_mov_b32 s42, 0
                                        ; implicit-def: $vgpr1_vgpr2
                                        ; implicit-def: $vgpr0
                                        ; implicit-def: $vgpr6
	s_and_saveexec_b32 s30, vcc_lo
	s_cbranch_execz .LBB89_903
; %bb.808:
	s_and_not1_b32 vcc_lo, exec_lo, s27
	s_cbranch_vccnz .LBB89_813
; %bb.809:
	v_dual_mov_b32 v0, 0 :: v_dual_mov_b32 v1, 0
	s_and_not1_b32 vcc_lo, exec_lo, s33
	s_mov_b32 s33, 0
	s_cbranch_vccnz .LBB89_818
; %bb.810:
	v_mov_b32_e32 v0, 0
	s_add_i32 s41, s31, 1
	s_cmp_eq_u32 s25, 2
	s_mov_b32 s31, 0
	s_cbranch_scc1 .LBB89_814
; %bb.811:
	v_dual_mov_b32 v1, 0 :: v_dual_mov_b32 v0, 0
	v_mov_b32_e32 v2, v8
	s_and_b32 s31, s41, 28
	s_mov_b64 s[2:3], s[16:17]
.LBB89_812:                             ; =>This Inner Loop Header: Depth=1
	s_clause 0x1
	s_load_b256 s[44:51], s[2:3], 0x4
	s_load_b128 s[60:63], s[2:3], 0x24
	s_load_b256 s[52:59], s[20:21], 0x0
	s_add_u32 s2, s2, 48
	s_addc_u32 s3, s3, 0
	s_add_i32 s42, s42, 4
	s_add_u32 s20, s20, 32
	s_addc_u32 s21, s21, 0
	s_cmp_eq_u32 s31, s42
	s_waitcnt vmcnt(0) lgkmcnt(0)
	v_mul_hi_u32 v3, s45, v2
	s_delay_alu instid0(VALU_DEP_1) | instskip(NEXT) | instid1(VALU_DEP_1)
	v_add_nc_u32_e32 v3, v2, v3
	v_lshrrev_b32_e32 v3, s46, v3
	s_delay_alu instid0(VALU_DEP_1) | instskip(SKIP_1) | instid1(VALU_DEP_2)
	v_mul_hi_u32 v6, s48, v3
	v_mul_lo_u32 v9, v3, s44
	v_add_nc_u32_e32 v6, v3, v6
	s_delay_alu instid0(VALU_DEP_2) | instskip(NEXT) | instid1(VALU_DEP_2)
	v_sub_nc_u32_e32 v2, v2, v9
	v_lshrrev_b32_e32 v6, s49, v6
	s_delay_alu instid0(VALU_DEP_2) | instskip(SKIP_1) | instid1(VALU_DEP_3)
	v_mul_lo_u32 v9, v2, s52
	v_mul_lo_u32 v11, v2, s53
	v_mul_hi_u32 v7, s51, v6
	s_delay_alu instid0(VALU_DEP_1) | instskip(NEXT) | instid1(VALU_DEP_1)
	v_add_nc_u32_e32 v7, v6, v7
	v_lshrrev_b32_e32 v7, s60, v7
	s_delay_alu instid0(VALU_DEP_1) | instskip(SKIP_1) | instid1(VALU_DEP_2)
	v_mul_hi_u32 v10, s62, v7
	v_mul_lo_u32 v12, v7, s50
	v_add_nc_u32_e32 v2, v7, v10
	v_mul_lo_u32 v10, v6, s47
	s_delay_alu instid0(VALU_DEP_3) | instskip(NEXT) | instid1(VALU_DEP_3)
	v_sub_nc_u32_e32 v6, v6, v12
	v_lshrrev_b32_e32 v2, s63, v2
	s_delay_alu instid0(VALU_DEP_2) | instskip(SKIP_2) | instid1(VALU_DEP_4)
	v_mul_lo_u32 v12, v6, s56
	v_mul_lo_u32 v6, v6, s57
	v_sub_nc_u32_e32 v3, v3, v10
	v_mul_lo_u32 v13, v2, s61
	s_delay_alu instid0(VALU_DEP_2) | instskip(SKIP_1) | instid1(VALU_DEP_3)
	v_mul_lo_u32 v10, v3, s54
	v_mul_lo_u32 v3, v3, s55
	v_sub_nc_u32_e32 v7, v7, v13
	s_delay_alu instid0(VALU_DEP_3) | instskip(NEXT) | instid1(VALU_DEP_2)
	v_add3_u32 v0, v9, v0, v10
	v_mul_lo_u32 v13, v7, s58
	v_mul_lo_u32 v7, v7, s59
	v_add3_u32 v1, v11, v1, v3
	s_delay_alu instid0(VALU_DEP_3) | instskip(NEXT) | instid1(VALU_DEP_2)
	v_add3_u32 v0, v12, v0, v13
	v_add3_u32 v1, v6, v1, v7
	s_cbranch_scc0 .LBB89_812
	s_branch .LBB89_815
.LBB89_813:
	s_mov_b32 s33, -1
                                        ; implicit-def: $vgpr0
                                        ; implicit-def: $vgpr1
	s_branch .LBB89_818
.LBB89_814:
	v_dual_mov_b32 v2, v8 :: v_dual_mov_b32 v1, 0
.LBB89_815:
	s_and_b32 s41, s41, 3
	s_delay_alu instid0(SALU_CYCLE_1)
	s_cmp_eq_u32 s41, 0
	s_cbranch_scc1 .LBB89_818
; %bb.816:
	s_lshl_b32 s2, s31, 3
	s_mul_i32 s20, s31, 12
	s_add_u32 s2, s2, s16
	s_addc_u32 s3, s17, 0
	s_add_u32 s2, s2, 0xc4
	s_addc_u32 s3, s3, 0
	;; [unrolled: 2-line block ×3, first 2 shown]
.LBB89_817:                             ; =>This Inner Loop Header: Depth=1
	s_clause 0x1
	s_load_b64 s[42:43], s[20:21], 0x4
	s_load_b32 s31, s[20:21], 0xc
	s_load_b64 s[44:45], s[2:3], 0x0
	s_add_u32 s20, s20, 12
	s_addc_u32 s21, s21, 0
	s_add_u32 s2, s2, 8
	s_addc_u32 s3, s3, 0
	s_add_i32 s41, s41, -1
	s_delay_alu instid0(SALU_CYCLE_1) | instskip(SKIP_2) | instid1(VALU_DEP_1)
	s_cmp_lg_u32 s41, 0
	s_waitcnt vmcnt(0) lgkmcnt(0)
	v_mul_hi_u32 v3, s43, v2
	v_add_nc_u32_e32 v3, v2, v3
	s_delay_alu instid0(VALU_DEP_1) | instskip(NEXT) | instid1(VALU_DEP_1)
	v_lshrrev_b32_e32 v3, s31, v3
	v_mul_lo_u32 v6, v3, s42
	s_delay_alu instid0(VALU_DEP_1) | instskip(NEXT) | instid1(VALU_DEP_1)
	v_sub_nc_u32_e32 v2, v2, v6
	v_mad_u64_u32 v[6:7], null, v2, s44, v[0:1]
	v_mad_u64_u32 v[9:10], null, v2, s45, v[1:2]
	v_mov_b32_e32 v2, v3
	s_delay_alu instid0(VALU_DEP_2)
	v_dual_mov_b32 v0, v6 :: v_dual_mov_b32 v1, v9
	s_cbranch_scc1 .LBB89_817
.LBB89_818:
	s_and_not1_b32 vcc_lo, exec_lo, s33
	s_cbranch_vccnz .LBB89_821
; %bb.819:
	s_waitcnt lgkmcnt(0)
	v_mul_hi_u32 v0, s13, v8
	s_and_not1_b32 vcc_lo, exec_lo, s29
	s_delay_alu instid0(VALU_DEP_1) | instskip(NEXT) | instid1(VALU_DEP_1)
	v_add_nc_u32_e32 v0, v8, v0
	v_lshrrev_b32_e32 v2, s14, v0
	s_delay_alu instid0(VALU_DEP_1) | instskip(NEXT) | instid1(VALU_DEP_1)
	v_mul_lo_u32 v0, v2, s12
	v_sub_nc_u32_e32 v1, v8, v0
	s_delay_alu instid0(VALU_DEP_1)
	v_mul_lo_u32 v0, v1, s8
	v_mul_lo_u32 v1, v1, s9
	s_cbranch_vccnz .LBB89_821
; %bb.820:
	s_waitcnt vmcnt(0)
	v_mul_hi_u32 v3, s18, v2
	s_delay_alu instid0(VALU_DEP_1) | instskip(NEXT) | instid1(VALU_DEP_1)
	v_add_nc_u32_e32 v3, v2, v3
	v_lshrrev_b32_e32 v3, s19, v3
	s_delay_alu instid0(VALU_DEP_1) | instskip(NEXT) | instid1(VALU_DEP_1)
	v_mul_lo_u32 v3, v3, s15
	v_sub_nc_u32_e32 v8, v2, v3
	s_delay_alu instid0(VALU_DEP_1) | instskip(NEXT) | instid1(VALU_DEP_1)
	v_mad_u64_u32 v[2:3], null, v8, s10, v[0:1]
	v_mad_u64_u32 v[6:7], null, v8, s11, v[1:2]
	v_mov_b32_e32 v0, v2
	s_delay_alu instid0(VALU_DEP_2)
	v_mov_b32_e32 v1, v6
.LBB89_821:
	v_cmp_gt_i16_e32 vcc_lo, 11, v5
	s_waitcnt lgkmcnt(0)
	s_delay_alu instid0(VALU_DEP_2) | instskip(NEXT) | instid1(VALU_DEP_1)
	v_add_co_u32 v1, s2, s6, v1
	v_add_co_ci_u32_e64 v2, null, s7, 0, s2
	s_mov_b32 s6, 0
	s_cbranch_vccnz .LBB89_828
; %bb.822:
	v_cmp_lt_i16_e32 vcc_lo, 25, v5
	s_mov_b32 s3, 0
	s_cbranch_vccz .LBB89_829
; %bb.823:
	v_cmp_lt_i16_e32 vcc_lo, 28, v5
	s_cbranch_vccz .LBB89_830
; %bb.824:
	v_cmp_lt_i16_e32 vcc_lo, 43, v5
	;; [unrolled: 3-line block ×3, first 2 shown]
	s_cbranch_vccz .LBB89_834
; %bb.826:
	v_cmp_eq_u16_e32 vcc_lo, 46, v5
	s_mov_b32 s7, 0
	s_cbranch_vccz .LBB89_837
; %bb.827:
	global_load_b32 v3, v[1:2], off
	s_mov_b32 s2, 0
	s_mov_b32 s6, -1
	s_waitcnt vmcnt(0)
	v_lshlrev_b32_e32 v6, 16, v3
	s_branch .LBB89_839
.LBB89_828:
	s_mov_b32 s7, -1
	s_mov_b32 s3, 0
	s_mov_b32 s2, s22
                                        ; implicit-def: $vgpr6
	s_branch .LBB89_902
.LBB89_829:
	s_mov_b32 s7, -1
	s_mov_b32 s2, s22
                                        ; implicit-def: $vgpr6
	s_branch .LBB89_868
.LBB89_830:
	s_mov_b32 s7, -1
	s_mov_b32 s2, s22
                                        ; implicit-def: $vgpr6
	s_branch .LBB89_849
.LBB89_831:
	s_mov_b32 s7, -1
	s_mov_b32 s2, s22
                                        ; implicit-def: $vgpr6
	s_branch .LBB89_844
.LBB89_832:
	s_or_saveexec_b32 s41, s41
                                        ; implicit-def: $sgpr42
	s_delay_alu instid0(SALU_CYCLE_1)
	s_xor_b32 exec_lo, exec_lo, s41
	s_cbranch_execz .LBB89_755
.LBB89_833:
	v_add_f32_e64 v3, 0x46000000, |v2|
	s_and_not1_b32 s23, s23, exec_lo
	s_mov_b32 s42, 0
	s_delay_alu instid0(VALU_DEP_1) | instskip(NEXT) | instid1(VALU_DEP_1)
	v_and_b32_e32 v3, 0xff, v3
	v_cmp_ne_u32_e32 vcc_lo, 0, v3
	s_and_b32 s43, vcc_lo, exec_lo
	s_delay_alu instid0(SALU_CYCLE_1)
	s_or_b32 s23, s23, s43
	s_or_b32 exec_lo, exec_lo, s41
	v_mov_b32_e32 v7, s42
	s_and_saveexec_b32 s41, s23
	s_cbranch_execnz .LBB89_756
	s_branch .LBB89_757
.LBB89_834:
	s_mov_b32 s7, -1
	s_mov_b32 s2, s22
	s_branch .LBB89_838
.LBB89_835:
	s_or_saveexec_b32 s41, s41
                                        ; implicit-def: $sgpr42
	s_delay_alu instid0(SALU_CYCLE_1)
	s_xor_b32 exec_lo, exec_lo, s41
	s_cbranch_execz .LBB89_768
.LBB89_836:
	v_add_f32_e64 v3, 0x42800000, |v2|
	s_and_not1_b32 s23, s23, exec_lo
	s_mov_b32 s42, 0
	s_delay_alu instid0(VALU_DEP_1) | instskip(NEXT) | instid1(VALU_DEP_1)
	v_and_b32_e32 v3, 0xff, v3
	v_cmp_ne_u32_e32 vcc_lo, 0, v3
	s_and_b32 s43, vcc_lo, exec_lo
	s_delay_alu instid0(SALU_CYCLE_1)
	s_or_b32 s23, s23, s43
	s_or_b32 exec_lo, exec_lo, s41
	v_mov_b32_e32 v7, s42
	s_and_saveexec_b32 s41, s23
	s_cbranch_execnz .LBB89_769
	s_branch .LBB89_770
.LBB89_837:
	s_mov_b32 s2, -1
.LBB89_838:
                                        ; implicit-def: $vgpr6
.LBB89_839:
	s_and_b32 vcc_lo, exec_lo, s7
	s_cbranch_vccz .LBB89_843
; %bb.840:
	v_cmp_eq_u16_e32 vcc_lo, 44, v5
	s_cbranch_vccz .LBB89_842
; %bb.841:
	global_load_u8 v3, v[1:2], off
	s_mov_b32 s2, 0
	s_mov_b32 s6, -1
	s_waitcnt vmcnt(0)
	v_lshlrev_b32_e32 v6, 23, v3
	v_cmp_ne_u32_e32 vcc_lo, 0xff, v3
	s_delay_alu instid0(VALU_DEP_2) | instskip(SKIP_1) | instid1(VALU_DEP_2)
	v_cndmask_b32_e32 v6, 0x7f800001, v6, vcc_lo
	v_cmp_ne_u32_e32 vcc_lo, 0, v3
	v_cndmask_b32_e32 v6, 0x400000, v6, vcc_lo
	s_branch .LBB89_843
.LBB89_842:
	s_mov_b32 s2, -1
                                        ; implicit-def: $vgpr6
.LBB89_843:
	s_mov_b32 s7, 0
.LBB89_844:
	s_delay_alu instid0(SALU_CYCLE_1)
	s_and_b32 vcc_lo, exec_lo, s7
	s_cbranch_vccz .LBB89_848
; %bb.845:
	v_cmp_eq_u16_e32 vcc_lo, 29, v5
	s_cbranch_vccz .LBB89_847
; %bb.846:
	global_load_b64 v[6:7], v[1:2], off
	s_mov_b32 s2, 0
	s_mov_b32 s6, -1
	s_mov_b32 s7, 0
	s_waitcnt vmcnt(0)
	v_clz_i32_u32_e32 v3, v7
	s_delay_alu instid0(VALU_DEP_1) | instskip(NEXT) | instid1(VALU_DEP_1)
	v_min_u32_e32 v3, 32, v3
	v_lshlrev_b64 v[6:7], v3, v[6:7]
	v_sub_nc_u32_e32 v3, 32, v3
	s_delay_alu instid0(VALU_DEP_2) | instskip(NEXT) | instid1(VALU_DEP_1)
	v_min_u32_e32 v6, 1, v6
	v_or_b32_e32 v6, v7, v6
	s_delay_alu instid0(VALU_DEP_1) | instskip(NEXT) | instid1(VALU_DEP_1)
	v_cvt_f32_u32_e32 v6, v6
	v_ldexp_f32 v6, v6, v3
	s_branch .LBB89_849
.LBB89_847:
	s_mov_b32 s2, -1
                                        ; implicit-def: $vgpr6
.LBB89_848:
	s_mov_b32 s7, 0
.LBB89_849:
	s_delay_alu instid0(SALU_CYCLE_1)
	s_and_b32 vcc_lo, exec_lo, s7
	s_cbranch_vccz .LBB89_867
; %bb.850:
	v_cmp_gt_i16_e32 vcc_lo, 27, v5
	s_cbranch_vccnz .LBB89_853
; %bb.851:
	v_cmp_lt_i16_e32 vcc_lo, 27, v5
	s_cbranch_vccz .LBB89_854
; %bb.852:
	global_load_b32 v3, v[1:2], off
	s_mov_b32 s6, 0
	s_waitcnt vmcnt(0)
	v_cvt_f32_u32_e32 v6, v3
	s_branch .LBB89_855
.LBB89_853:
	s_mov_b32 s6, -1
                                        ; implicit-def: $vgpr6
	s_branch .LBB89_858
.LBB89_854:
	s_mov_b32 s6, -1
                                        ; implicit-def: $vgpr6
.LBB89_855:
	s_delay_alu instid0(SALU_CYCLE_1)
	s_and_not1_b32 vcc_lo, exec_lo, s6
	s_cbranch_vccnz .LBB89_857
; %bb.856:
	global_load_u16 v3, v[1:2], off
	s_waitcnt vmcnt(0)
	v_cvt_f32_u32_e32 v6, v3
.LBB89_857:
	s_mov_b32 s6, 0
.LBB89_858:
	s_delay_alu instid0(SALU_CYCLE_1)
	s_and_not1_b32 vcc_lo, exec_lo, s6
	s_cbranch_vccnz .LBB89_866
; %bb.859:
	global_load_u8 v3, v[1:2], off
	s_mov_b32 s6, 0
	s_mov_b32 s8, exec_lo
                                        ; implicit-def: $sgpr7
	s_waitcnt vmcnt(0)
	v_cmpx_lt_i16_e32 0x7f, v3
	s_xor_b32 s8, exec_lo, s8
	s_cbranch_execz .LBB89_880
; %bb.860:
	s_mov_b32 s6, -1
	s_mov_b32 s9, exec_lo
                                        ; implicit-def: $sgpr7
	v_cmpx_eq_u16_e32 0x80, v3
; %bb.861:
	s_mov_b32 s7, 0x7f800001
	s_xor_b32 s6, exec_lo, -1
; %bb.862:
	s_or_b32 exec_lo, exec_lo, s9
	s_delay_alu instid0(SALU_CYCLE_1)
	s_and_b32 s6, s6, exec_lo
	s_or_saveexec_b32 s8, s8
	v_mov_b32_e32 v6, s7
	s_xor_b32 exec_lo, exec_lo, s8
	s_cbranch_execnz .LBB89_881
.LBB89_863:
	s_or_b32 exec_lo, exec_lo, s8
	s_and_saveexec_b32 s7, s6
	s_cbranch_execz .LBB89_865
.LBB89_864:
	v_and_b32_e32 v6, 0xffff, v3
	v_lshlrev_b32_e32 v3, 24, v3
	s_delay_alu instid0(VALU_DEP_2) | instskip(NEXT) | instid1(VALU_DEP_2)
	v_and_b32_e32 v7, 7, v6
	v_and_b32_e32 v3, 0x80000000, v3
	s_delay_alu instid0(VALU_DEP_2) | instskip(NEXT) | instid1(VALU_DEP_1)
	v_clz_i32_u32_e32 v8, v7
	v_min_u32_e32 v8, 32, v8
	s_delay_alu instid0(VALU_DEP_1) | instskip(SKIP_1) | instid1(VALU_DEP_2)
	v_subrev_nc_u32_e32 v9, 28, v8
	v_sub_nc_u32_e32 v8, 29, v8
	v_lshlrev_b32_e32 v9, v9, v6
	v_bfe_u32 v6, v6, 3, 4
	s_delay_alu instid0(VALU_DEP_2) | instskip(NEXT) | instid1(VALU_DEP_2)
	v_and_b32_e32 v9, 7, v9
	v_cmp_eq_u32_e32 vcc_lo, 0, v6
	s_delay_alu instid0(VALU_DEP_2) | instskip(NEXT) | instid1(VALU_DEP_1)
	v_dual_cndmask_b32 v6, v6, v8 :: v_dual_cndmask_b32 v7, v7, v9
	v_lshl_add_u32 v6, v6, 23, 0x3b800000
	s_delay_alu instid0(VALU_DEP_2) | instskip(NEXT) | instid1(VALU_DEP_1)
	v_lshlrev_b32_e32 v7, 20, v7
	v_or3_b32 v6, v3, v6, v7
.LBB89_865:
	s_or_b32 exec_lo, exec_lo, s7
.LBB89_866:
	s_mov_b32 s6, -1
.LBB89_867:
	s_mov_b32 s7, 0
.LBB89_868:
	s_delay_alu instid0(SALU_CYCLE_1)
	s_and_b32 vcc_lo, exec_lo, s7
	s_cbranch_vccz .LBB89_901
; %bb.869:
	v_cmp_lt_i16_e32 vcc_lo, 22, v5
	s_cbranch_vccz .LBB89_879
; %bb.870:
	v_cmp_gt_i16_e32 vcc_lo, 24, v5
	s_cbranch_vccnz .LBB89_882
; %bb.871:
	v_cmp_lt_i16_e32 vcc_lo, 24, v5
	s_cbranch_vccz .LBB89_883
; %bb.872:
	global_load_u8 v3, v[1:2], off
	s_mov_b32 s7, exec_lo
                                        ; implicit-def: $sgpr6
	s_waitcnt vmcnt(0)
	v_cmpx_lt_i16_e32 0x7f, v3
	s_xor_b32 s7, exec_lo, s7
	s_cbranch_execz .LBB89_895
; %bb.873:
	s_mov_b32 s3, -1
	s_mov_b32 s8, exec_lo
                                        ; implicit-def: $sgpr6
	v_cmpx_eq_u16_e32 0x80, v3
; %bb.874:
	s_mov_b32 s6, 0x7f800001
	s_xor_b32 s3, exec_lo, -1
; %bb.875:
	s_or_b32 exec_lo, exec_lo, s8
	s_delay_alu instid0(SALU_CYCLE_1)
	s_and_b32 s3, s3, exec_lo
	s_or_saveexec_b32 s7, s7
	v_mov_b32_e32 v6, s6
	s_xor_b32 exec_lo, exec_lo, s7
	s_cbranch_execnz .LBB89_896
.LBB89_876:
	s_or_b32 exec_lo, exec_lo, s7
	s_and_saveexec_b32 s6, s3
	s_cbranch_execz .LBB89_878
.LBB89_877:
	v_and_b32_e32 v6, 0xffff, v3
	v_lshlrev_b32_e32 v3, 24, v3
	s_delay_alu instid0(VALU_DEP_2) | instskip(NEXT) | instid1(VALU_DEP_2)
	v_and_b32_e32 v7, 3, v6
	v_and_b32_e32 v3, 0x80000000, v3
	s_delay_alu instid0(VALU_DEP_2) | instskip(NEXT) | instid1(VALU_DEP_1)
	v_clz_i32_u32_e32 v8, v7
	v_min_u32_e32 v8, 32, v8
	s_delay_alu instid0(VALU_DEP_1) | instskip(SKIP_1) | instid1(VALU_DEP_2)
	v_subrev_nc_u32_e32 v9, 29, v8
	v_sub_nc_u32_e32 v8, 30, v8
	v_lshlrev_b32_e32 v9, v9, v6
	v_bfe_u32 v6, v6, 2, 5
	s_delay_alu instid0(VALU_DEP_2) | instskip(NEXT) | instid1(VALU_DEP_2)
	v_and_b32_e32 v9, 3, v9
	v_cmp_eq_u32_e32 vcc_lo, 0, v6
	s_delay_alu instid0(VALU_DEP_2) | instskip(NEXT) | instid1(VALU_DEP_1)
	v_dual_cndmask_b32 v6, v6, v8 :: v_dual_cndmask_b32 v7, v7, v9
	v_lshl_add_u32 v6, v6, 23, 0x37800000
	s_delay_alu instid0(VALU_DEP_2) | instskip(NEXT) | instid1(VALU_DEP_1)
	v_lshlrev_b32_e32 v7, 21, v7
	v_or3_b32 v6, v3, v6, v7
.LBB89_878:
	s_or_b32 exec_lo, exec_lo, s6
	s_mov_b32 s3, 0
	s_branch .LBB89_884
.LBB89_879:
	s_mov_b32 s3, -1
                                        ; implicit-def: $vgpr6
	s_branch .LBB89_890
.LBB89_880:
	s_or_saveexec_b32 s8, s8
	v_mov_b32_e32 v6, s7
	s_xor_b32 exec_lo, exec_lo, s8
	s_cbranch_execz .LBB89_863
.LBB89_881:
	v_cmp_ne_u16_e32 vcc_lo, 0, v3
	v_mov_b32_e32 v6, 0
	s_and_not1_b32 s6, s6, exec_lo
	s_and_b32 s7, vcc_lo, exec_lo
	s_delay_alu instid0(SALU_CYCLE_1)
	s_or_b32 s6, s6, s7
	s_or_b32 exec_lo, exec_lo, s8
	s_and_saveexec_b32 s7, s6
	s_cbranch_execnz .LBB89_864
	s_branch .LBB89_865
.LBB89_882:
	s_mov_b32 s3, -1
                                        ; implicit-def: $vgpr6
	s_branch .LBB89_887
.LBB89_883:
	s_mov_b32 s3, -1
                                        ; implicit-def: $vgpr6
.LBB89_884:
	s_delay_alu instid0(SALU_CYCLE_1)
	s_and_b32 vcc_lo, exec_lo, s3
	s_cbranch_vccz .LBB89_886
; %bb.885:
	global_load_u8 v3, v[1:2], off
	s_waitcnt vmcnt(0)
	v_lshlrev_b32_e32 v3, 24, v3
	s_delay_alu instid0(VALU_DEP_1) | instskip(NEXT) | instid1(VALU_DEP_1)
	v_and_b32_e32 v6, 0x7f000000, v3
	v_clz_i32_u32_e32 v7, v6
	v_cmp_ne_u32_e32 vcc_lo, 0, v6
	v_add_nc_u32_e32 v9, 0x1000000, v6
	s_delay_alu instid0(VALU_DEP_3) | instskip(NEXT) | instid1(VALU_DEP_1)
	v_min_u32_e32 v7, 32, v7
	v_sub_nc_u32_e64 v7, v7, 4 clamp
	s_delay_alu instid0(VALU_DEP_1) | instskip(SKIP_1) | instid1(VALU_DEP_2)
	v_lshlrev_b32_e32 v8, v7, v6
	v_lshlrev_b32_e32 v7, 23, v7
	v_lshrrev_b32_e32 v8, 4, v8
	s_delay_alu instid0(VALU_DEP_1) | instskip(SKIP_1) | instid1(VALU_DEP_2)
	v_sub_nc_u32_e32 v7, v8, v7
	v_ashrrev_i32_e32 v8, 8, v9
	v_add_nc_u32_e32 v7, 0x3c000000, v7
	s_delay_alu instid0(VALU_DEP_1) | instskip(NEXT) | instid1(VALU_DEP_1)
	v_and_or_b32 v7, 0x7f800000, v8, v7
	v_cndmask_b32_e32 v6, 0, v7, vcc_lo
	s_delay_alu instid0(VALU_DEP_1)
	v_and_or_b32 v6, 0x80000000, v3, v6
.LBB89_886:
	s_mov_b32 s3, 0
.LBB89_887:
	s_delay_alu instid0(SALU_CYCLE_1)
	s_and_not1_b32 vcc_lo, exec_lo, s3
	s_cbranch_vccnz .LBB89_889
; %bb.888:
	global_load_u8 v3, v[1:2], off
	s_waitcnt vmcnt(0)
	v_lshlrev_b32_e32 v6, 25, v3
	v_lshlrev_b16 v3, 8, v3
	s_delay_alu instid0(VALU_DEP_2) | instskip(NEXT) | instid1(VALU_DEP_2)
	v_lshrrev_b32_e32 v7, 4, v6
	v_and_or_b32 v8, 0x7f00, v3, 0.5
	v_cmp_gt_u32_e32 vcc_lo, 0x8000000, v6
	v_bfe_i32 v3, v3, 0, 16
	s_delay_alu instid0(VALU_DEP_4) | instskip(NEXT) | instid1(VALU_DEP_1)
	v_or_b32_e32 v7, 0x70000000, v7
	v_dual_add_f32 v8, -0.5, v8 :: v_dual_mul_f32 v7, 0x7800000, v7
	s_delay_alu instid0(VALU_DEP_1) | instskip(NEXT) | instid1(VALU_DEP_1)
	v_cndmask_b32_e32 v6, v7, v8, vcc_lo
	v_and_or_b32 v6, 0x80000000, v3, v6
.LBB89_889:
	s_mov_b32 s3, 0
	s_mov_b32 s6, -1
.LBB89_890:
	s_and_not1_b32 vcc_lo, exec_lo, s3
	s_mov_b32 s3, 0
	s_cbranch_vccnz .LBB89_901
; %bb.891:
	v_cmp_lt_i16_e32 vcc_lo, 14, v5
	s_cbranch_vccz .LBB89_894
; %bb.892:
	v_cmp_eq_u16_e32 vcc_lo, 15, v5
	s_cbranch_vccz .LBB89_897
; %bb.893:
	global_load_u16 v3, v[1:2], off
	s_mov_b32 s2, 0
	s_mov_b32 s6, -1
	s_waitcnt vmcnt(0)
	v_lshlrev_b32_e32 v6, 16, v3
	s_branch .LBB89_899
.LBB89_894:
	s_mov_b32 s3, -1
	s_branch .LBB89_898
.LBB89_895:
	s_or_saveexec_b32 s7, s7
	v_mov_b32_e32 v6, s6
	s_xor_b32 exec_lo, exec_lo, s7
	s_cbranch_execz .LBB89_876
.LBB89_896:
	v_cmp_ne_u16_e32 vcc_lo, 0, v3
	v_mov_b32_e32 v6, 0
	s_and_not1_b32 s3, s3, exec_lo
	s_and_b32 s6, vcc_lo, exec_lo
	s_delay_alu instid0(SALU_CYCLE_1)
	s_or_b32 s3, s3, s6
	s_or_b32 exec_lo, exec_lo, s7
	s_and_saveexec_b32 s6, s3
	s_cbranch_execnz .LBB89_877
	s_branch .LBB89_878
.LBB89_897:
	s_mov_b32 s2, -1
.LBB89_898:
                                        ; implicit-def: $vgpr6
.LBB89_899:
	s_and_b32 vcc_lo, exec_lo, s3
	s_mov_b32 s3, 0
	s_cbranch_vccz .LBB89_901
; %bb.900:
	v_cmp_ne_u16_e32 vcc_lo, 11, v5
	s_and_not1_b32 s2, s2, exec_lo
	s_mov_b32 s3, -1
                                        ; implicit-def: $vgpr6
	s_and_b32 s7, vcc_lo, exec_lo
	s_delay_alu instid0(SALU_CYCLE_1)
	s_or_b32 s2, s2, s7
.LBB89_901:
	s_mov_b32 s7, 0
.LBB89_902:
	s_and_b32 s41, s6, exec_lo
	s_and_b32 s42, s7, exec_lo
	s_and_not1_b32 s6, s22, exec_lo
	s_and_b32 s7, s2, exec_lo
	s_and_b32 s2, s3, exec_lo
	s_or_b32 s43, s6, s7
.LBB89_903:
	s_or_b32 exec_lo, exec_lo, s30
	s_waitcnt lgkmcnt(0)
	s_and_not1_b32 s6, s22, exec_lo
	s_and_b32 s7, s43, exec_lo
	s_and_b32 s41, s41, exec_lo
	s_and_b32 s3, s42, exec_lo
	s_and_b32 s2, s2, exec_lo
	s_or_b32 s22, s6, s7
.LBB89_904:
	s_or_b32 exec_lo, exec_lo, s40
	s_waitcnt lgkmcnt(0)
	s_and_not1_b32 s6, s38, exec_lo
	s_and_b32 s7, s23, exec_lo
	s_and_b32 s40, s41, exec_lo
	s_or_b32 s38, s6, s7
	s_and_not1_b32 s6, s37, exec_lo
	s_and_b32 s7, s22, exec_lo
	s_and_b32 s23, s3, exec_lo
	;; [unrolled: 1-line block ×3, first 2 shown]
	s_or_b32 s37, s6, s7
.LBB89_905:
	s_or_b32 exec_lo, exec_lo, s39
	s_delay_alu instid0(SALU_CYCLE_1)
	s_and_not1_b32 s2, s34, exec_lo
	s_waitcnt lgkmcnt(0)
	s_and_b32 s6, s38, exec_lo
	s_and_b32 s7, s37, exec_lo
	s_or_b32 s34, s2, s6
	s_and_not1_b32 s6, s35, exec_lo
	s_and_b32 s2, s40, exec_lo
	s_and_b32 s22, s23, exec_lo
	;; [unrolled: 1-line block ×3, first 2 shown]
	s_or_b32 s35, s6, s7
.LBB89_906:
	s_or_b32 exec_lo, exec_lo, s36
	s_mov_b32 s3, 0
	s_waitcnt lgkmcnt(0)
	s_and_saveexec_b32 s6, s35
	s_cbranch_execnz .LBB89_918
; %bb.907:
	s_or_b32 exec_lo, exec_lo, s6
	s_and_saveexec_b32 s6, s37
	s_delay_alu instid0(SALU_CYCLE_1)
	s_xor_b32 s6, exec_lo, s6
	s_cbranch_execz .LBB89_909
.LBB89_908:
	global_load_u8 v3, v[1:2], off
	s_or_b32 s2, s2, exec_lo
	s_waitcnt vmcnt(0)
	v_cmp_ne_u16_e32 vcc_lo, 0, v3
	v_cndmask_b32_e64 v6, 0, 1.0, vcc_lo
.LBB89_909:
	s_or_b32 exec_lo, exec_lo, s6
	s_and_saveexec_b32 s6, s22
	s_cbranch_execz .LBB89_957
; %bb.910:
	v_cmp_gt_i16_e32 vcc_lo, 5, v5
	s_cbranch_vccnz .LBB89_915
; %bb.911:
	v_cmp_gt_i16_e32 vcc_lo, 8, v5
	s_cbranch_vccnz .LBB89_916
	;; [unrolled: 3-line block ×3, first 2 shown]
; %bb.913:
	v_cmp_lt_i16_e32 vcc_lo, 9, v5
	s_cbranch_vccz .LBB89_920
; %bb.914:
	global_load_b64 v[6:7], v[1:2], off
	s_mov_b32 s7, 0
	s_waitcnt vmcnt(0)
	v_cvt_f32_f64_e32 v6, v[6:7]
	s_branch .LBB89_921
.LBB89_915:
                                        ; implicit-def: $vgpr6
	s_branch .LBB89_938
.LBB89_916:
                                        ; implicit-def: $vgpr6
	s_branch .LBB89_927
.LBB89_917:
	s_mov_b32 s7, -1
                                        ; implicit-def: $vgpr6
	s_branch .LBB89_924
.LBB89_918:
	s_cbranch_execnz .LBB89_1188
; %bb.919:
	s_mov_b32 s3, exec_lo
	s_and_not1_b32 s37, s37, exec_lo
                                        ; implicit-def: $vgpr6
	s_or_b32 exec_lo, exec_lo, s6
	s_and_saveexec_b32 s6, s37
	s_delay_alu instid0(SALU_CYCLE_1)
	s_xor_b32 s6, exec_lo, s6
	s_cbranch_execnz .LBB89_908
	s_branch .LBB89_909
.LBB89_920:
	s_mov_b32 s7, -1
                                        ; implicit-def: $vgpr6
.LBB89_921:
	s_delay_alu instid0(SALU_CYCLE_1)
	s_and_not1_b32 vcc_lo, exec_lo, s7
	s_cbranch_vccnz .LBB89_923
; %bb.922:
	global_load_b32 v6, v[1:2], off
.LBB89_923:
	s_mov_b32 s7, 0
.LBB89_924:
	s_delay_alu instid0(SALU_CYCLE_1)
	s_and_not1_b32 vcc_lo, exec_lo, s7
	s_cbranch_vccnz .LBB89_926
; %bb.925:
	global_load_b32 v3, v[1:2], off
	s_waitcnt vmcnt(0)
	v_cvt_f32_f16_e32 v6, v3
.LBB89_926:
	s_cbranch_execnz .LBB89_937
.LBB89_927:
	v_cmp_gt_i16_e32 vcc_lo, 6, v5
	s_cbranch_vccnz .LBB89_930
; %bb.928:
	v_cmp_lt_i16_e32 vcc_lo, 6, v5
	s_cbranch_vccz .LBB89_931
; %bb.929:
	global_load_b64 v[6:7], v[1:2], off
	s_mov_b32 s7, 0
	s_waitcnt vmcnt(0)
	v_cvt_f32_f64_e32 v6, v[6:7]
	s_branch .LBB89_932
.LBB89_930:
	s_mov_b32 s7, -1
                                        ; implicit-def: $vgpr6
	s_branch .LBB89_935
.LBB89_931:
	s_mov_b32 s7, -1
                                        ; implicit-def: $vgpr6
.LBB89_932:
	s_delay_alu instid0(SALU_CYCLE_1)
	s_and_not1_b32 vcc_lo, exec_lo, s7
	s_cbranch_vccnz .LBB89_934
; %bb.933:
	global_load_b32 v6, v[1:2], off
.LBB89_934:
	s_mov_b32 s7, 0
.LBB89_935:
	s_delay_alu instid0(SALU_CYCLE_1)
	s_and_not1_b32 vcc_lo, exec_lo, s7
	s_cbranch_vccnz .LBB89_937
; %bb.936:
	global_load_u16 v3, v[1:2], off
	s_waitcnt vmcnt(0)
	v_cvt_f32_f16_e32 v6, v3
.LBB89_937:
	s_cbranch_execnz .LBB89_956
.LBB89_938:
	v_cmp_gt_i16_e32 vcc_lo, 2, v5
	s_cbranch_vccnz .LBB89_942
; %bb.939:
	v_cmp_gt_i16_e32 vcc_lo, 3, v5
	s_cbranch_vccnz .LBB89_943
; %bb.940:
	v_cmp_lt_i16_e32 vcc_lo, 3, v5
	s_cbranch_vccz .LBB89_944
; %bb.941:
	global_load_b64 v[6:7], v[1:2], off
	s_mov_b32 s7, 0
	s_waitcnt vmcnt(0)
	v_xor_b32_e32 v3, v6, v7
	v_cls_i32_e32 v8, v7
	s_delay_alu instid0(VALU_DEP_2) | instskip(NEXT) | instid1(VALU_DEP_2)
	v_ashrrev_i32_e32 v3, 31, v3
	v_add_nc_u32_e32 v8, -1, v8
	s_delay_alu instid0(VALU_DEP_2) | instskip(NEXT) | instid1(VALU_DEP_1)
	v_add_nc_u32_e32 v3, 32, v3
	v_min_u32_e32 v3, v8, v3
	s_delay_alu instid0(VALU_DEP_1) | instskip(SKIP_1) | instid1(VALU_DEP_2)
	v_lshlrev_b64 v[6:7], v3, v[6:7]
	v_sub_nc_u32_e32 v3, 32, v3
	v_min_u32_e32 v6, 1, v6
	s_delay_alu instid0(VALU_DEP_1) | instskip(NEXT) | instid1(VALU_DEP_1)
	v_or_b32_e32 v6, v7, v6
	v_cvt_f32_i32_e32 v6, v6
	s_delay_alu instid0(VALU_DEP_1)
	v_ldexp_f32 v6, v6, v3
	s_branch .LBB89_945
.LBB89_942:
                                        ; implicit-def: $vgpr6
	s_branch .LBB89_951
.LBB89_943:
	s_mov_b32 s7, -1
                                        ; implicit-def: $vgpr6
	s_branch .LBB89_948
.LBB89_944:
	s_mov_b32 s7, -1
                                        ; implicit-def: $vgpr6
.LBB89_945:
	s_delay_alu instid0(SALU_CYCLE_1)
	s_and_not1_b32 vcc_lo, exec_lo, s7
	s_cbranch_vccnz .LBB89_947
; %bb.946:
	global_load_b32 v3, v[1:2], off
	s_waitcnt vmcnt(0)
	v_cvt_f32_i32_e32 v6, v3
.LBB89_947:
	s_mov_b32 s7, 0
.LBB89_948:
	s_delay_alu instid0(SALU_CYCLE_1)
	s_and_not1_b32 vcc_lo, exec_lo, s7
	s_cbranch_vccnz .LBB89_950
; %bb.949:
	global_load_i16 v3, v[1:2], off
	s_waitcnt vmcnt(0)
	v_cvt_f32_i32_e32 v6, v3
.LBB89_950:
	s_cbranch_execnz .LBB89_956
.LBB89_951:
	v_cmp_lt_i16_e32 vcc_lo, 0, v5
	s_mov_b32 s7, 0
	s_cbranch_vccz .LBB89_953
; %bb.952:
	global_load_i8 v3, v[1:2], off
	s_waitcnt vmcnt(0)
	v_cvt_f32_i32_e32 v6, v3
	s_branch .LBB89_954
.LBB89_953:
	s_mov_b32 s7, -1
                                        ; implicit-def: $vgpr6
.LBB89_954:
	s_delay_alu instid0(SALU_CYCLE_1)
	s_and_not1_b32 vcc_lo, exec_lo, s7
	s_cbranch_vccnz .LBB89_956
; %bb.955:
	global_load_u8 v1, v[1:2], off
	s_waitcnt vmcnt(0)
	v_cvt_f32_ubyte0_e32 v6, v1
.LBB89_956:
	s_or_b32 s2, s2, exec_lo
.LBB89_957:
	s_or_b32 exec_lo, exec_lo, s6
	s_mov_b32 s8, 0
	s_mov_b32 s7, 0
                                        ; implicit-def: $vgpr5
                                        ; implicit-def: $vgpr1_vgpr2
                                        ; implicit-def: $vgpr3
	s_and_saveexec_b32 s6, s2
	s_cbranch_execz .LBB89_1034
; %bb.958:
	s_waitcnt vmcnt(0)
	s_delay_alu instid0(VALU_DEP_1) | instskip(SKIP_2) | instid1(VALU_DEP_3)
	v_mul_f32_e32 v1, 0x3fb8aa3b, v6
	v_cmp_ngt_f32_e64 s2, 0xc2ce8ed0, v6
	v_and_b32_e32 v5, 0xff, v4
	v_rndne_f32_e32 v2, v1
	v_fma_f32 v3, 0x3fb8aa3b, v6, -v1
	s_delay_alu instid0(VALU_DEP_3) | instskip(NEXT) | instid1(VALU_DEP_3)
	v_cmp_gt_i16_e32 vcc_lo, 11, v5
	v_sub_f32_e32 v1, v1, v2
	s_delay_alu instid0(VALU_DEP_3) | instskip(SKIP_2) | instid1(VALU_DEP_2)
	v_fmamk_f32 v3, v6, 0x32a5705f, v3
	v_cvt_i32_f32_e32 v2, v2
	s_and_b32 vcc_lo, exec_lo, vcc_lo
	v_add_f32_e32 v1, v1, v3
	s_delay_alu instid0(VALU_DEP_1) | instskip(SKIP_2) | instid1(VALU_DEP_1)
	v_exp_f32_e32 v1, v1
	s_waitcnt_depctr 0xfff
	v_ldexp_f32 v1, v1, v2
	v_cndmask_b32_e64 v3, 0, v1, s2
	v_add_co_u32 v1, s2, s4, v0
	s_delay_alu instid0(VALU_DEP_1) | instskip(SKIP_2) | instid1(VALU_DEP_1)
	v_add_co_ci_u32_e64 v2, null, s5, 0, s2
	v_cmp_nlt_f32_e64 s2, 0x42b17218, v6
	s_mov_b32 s4, -1
	v_cndmask_b32_e64 v3, 0x7f800000, v3, s2
	s_mov_b32 s2, s34
	s_cbranch_vccnz .LBB89_1033
; %bb.959:
	v_cmp_lt_i16_e32 vcc_lo, 25, v5
	s_mov_b32 s2, s34
	s_cbranch_vccz .LBB89_992
; %bb.960:
	v_cmp_lt_i16_e32 vcc_lo, 28, v5
	s_mov_b32 s2, s34
	s_cbranch_vccz .LBB89_976
	;; [unrolled: 4-line block ×4, first 2 shown]
; %bb.963:
	v_cmp_eq_u16_e32 vcc_lo, 46, v5
	s_mov_b32 s2, -1
	s_cbranch_vccz .LBB89_965
; %bb.964:
	v_bfe_u32 v0, v3, 16, 1
	v_cmp_o_f32_e32 vcc_lo, v3, v3
	s_mov_b32 s2, 0
	s_delay_alu instid0(VALU_DEP_2) | instskip(NEXT) | instid1(VALU_DEP_1)
	v_add3_u32 v0, v3, v0, 0x7fff
	v_lshrrev_b32_e32 v0, 16, v0
	s_delay_alu instid0(VALU_DEP_1)
	v_cndmask_b32_e32 v0, 0x7fc0, v0, vcc_lo
	global_store_b32 v[1:2], v0, off
.LBB89_965:
	s_mov_b32 s4, 0
.LBB89_966:
	s_delay_alu instid0(SALU_CYCLE_1)
	s_and_b32 vcc_lo, exec_lo, s4
	s_cbranch_vccz .LBB89_971
; %bb.967:
	v_cmp_eq_u16_e32 vcc_lo, 44, v5
	s_mov_b32 s2, -1
	s_cbranch_vccz .LBB89_971
; %bb.968:
	v_bfe_u32 v4, v3, 23, 8
	v_mov_b32_e32 v0, 0xff
	s_mov_b32 s4, exec_lo
	s_delay_alu instid0(VALU_DEP_2)
	v_cmpx_ne_u32_e32 0xff, v4
; %bb.969:
	v_and_b32_e32 v0, 0x400000, v3
	v_and_or_b32 v4, 0x3fffff, v3, v4
	s_delay_alu instid0(VALU_DEP_2) | instskip(NEXT) | instid1(VALU_DEP_2)
	v_cmp_ne_u32_e32 vcc_lo, 0, v0
	v_cmp_ne_u32_e64 s2, 0, v4
	v_lshrrev_b32_e32 v0, 23, v3
	s_delay_alu instid0(VALU_DEP_2) | instskip(NEXT) | instid1(SALU_CYCLE_1)
	s_and_b32 s2, vcc_lo, s2
	v_cndmask_b32_e64 v4, 0, 1, s2
	s_delay_alu instid0(VALU_DEP_1)
	v_add_nc_u32_e32 v0, v0, v4
; %bb.970:
	s_or_b32 exec_lo, exec_lo, s4
	s_mov_b32 s2, 0
	global_store_b8 v[1:2], v0, off
.LBB89_971:
	s_mov_b32 s4, 0
.LBB89_972:
	s_delay_alu instid0(SALU_CYCLE_1)
	s_and_b32 vcc_lo, exec_lo, s4
	s_cbranch_vccz .LBB89_975
; %bb.973:
	v_cmp_eq_u16_e32 vcc_lo, 29, v5
	s_mov_b32 s2, -1
	s_cbranch_vccz .LBB89_975
; %bb.974:
	v_trunc_f32_e32 v0, v3
	s_mov_b32 s2, 0
	s_delay_alu instid0(VALU_DEP_1) | instskip(NEXT) | instid1(VALU_DEP_1)
	v_mul_f32_e32 v4, 0x2f800000, v0
	v_floor_f32_e32 v4, v4
	s_delay_alu instid0(VALU_DEP_1) | instskip(SKIP_1) | instid1(VALU_DEP_2)
	v_fmamk_f32 v0, v4, 0xcf800000, v0
	v_cvt_u32_f32_e32 v7, v4
	v_cvt_u32_f32_e32 v6, v0
	global_store_b64 v[1:2], v[6:7], off
.LBB89_975:
	s_mov_b32 s4, 0
.LBB89_976:
	s_delay_alu instid0(SALU_CYCLE_1)
	s_and_b32 vcc_lo, exec_lo, s4
	s_cbranch_vccz .LBB89_991
; %bb.977:
	v_cmp_gt_i16_e32 vcc_lo, 27, v5
	s_mov_b32 s4, -1
	s_cbranch_vccnz .LBB89_983
; %bb.978:
	v_cmp_lt_i16_e32 vcc_lo, 27, v5
	v_cvt_u32_f32_e32 v0, v3
	s_cbranch_vccz .LBB89_980
; %bb.979:
	s_mov_b32 s4, 0
	global_store_b32 v[1:2], v0, off
.LBB89_980:
	s_and_not1_b32 vcc_lo, exec_lo, s4
	s_cbranch_vccnz .LBB89_982
; %bb.981:
	global_store_b16 v[1:2], v0, off
.LBB89_982:
	s_mov_b32 s4, 0
.LBB89_983:
	s_delay_alu instid0(SALU_CYCLE_1)
	s_and_not1_b32 vcc_lo, exec_lo, s4
	s_cbranch_vccnz .LBB89_991
; %bb.984:
	v_and_b32_e32 v0, 0x7fffffff, v3
	v_mov_b32_e32 v4, 0x80
	s_mov_b32 s4, exec_lo
	s_delay_alu instid0(VALU_DEP_2)
	v_cmpx_gt_u32_e32 0x43800000, v0
	s_cbranch_execz .LBB89_990
; %bb.985:
	v_cmp_lt_u32_e32 vcc_lo, 0x3bffffff, v0
	s_mov_b32 s5, 0
                                        ; implicit-def: $vgpr0
	s_and_saveexec_b32 s7, vcc_lo
	s_delay_alu instid0(SALU_CYCLE_1)
	s_xor_b32 s7, exec_lo, s7
	s_cbranch_execz .LBB89_1279
; %bb.986:
	v_bfe_u32 v0, v3, 20, 1
	s_mov_b32 s5, exec_lo
	s_delay_alu instid0(VALU_DEP_1) | instskip(NEXT) | instid1(VALU_DEP_1)
	v_add3_u32 v0, v3, v0, 0x487ffff
	v_lshrrev_b32_e32 v0, 20, v0
	s_or_saveexec_b32 s7, s7
                                        ; implicit-def: $sgpr8
	s_delay_alu instid0(SALU_CYCLE_1)
	s_xor_b32 exec_lo, exec_lo, s7
	s_cbranch_execnz .LBB89_1280
.LBB89_987:
	s_or_b32 exec_lo, exec_lo, s7
	v_mov_b32_e32 v4, s8
	s_and_saveexec_b32 s7, s5
.LBB89_988:
	v_lshrrev_b32_e32 v4, 24, v3
	s_delay_alu instid0(VALU_DEP_1)
	v_and_or_b32 v4, 0x80, v4, v0
.LBB89_989:
	s_or_b32 exec_lo, exec_lo, s7
.LBB89_990:
	s_delay_alu instid0(SALU_CYCLE_1)
	s_or_b32 exec_lo, exec_lo, s4
	global_store_b8 v[1:2], v4, off
.LBB89_991:
	s_mov_b32 s4, 0
.LBB89_992:
	s_delay_alu instid0(SALU_CYCLE_1)
	s_and_b32 vcc_lo, exec_lo, s4
	s_mov_b32 s4, 0
	s_cbranch_vccz .LBB89_1032
; %bb.993:
	v_cmp_lt_i16_e32 vcc_lo, 22, v5
	s_mov_b32 s5, -1
	s_cbranch_vccz .LBB89_1025
; %bb.994:
	v_cmp_gt_i16_e32 vcc_lo, 24, v5
	s_cbranch_vccnz .LBB89_1014
; %bb.995:
	v_cmp_lt_i16_e32 vcc_lo, 24, v5
	s_cbranch_vccz .LBB89_1003
; %bb.996:
	v_and_b32_e32 v0, 0x7fffffff, v3
	v_mov_b32_e32 v4, 0x80
	s_mov_b32 s5, exec_lo
	s_delay_alu instid0(VALU_DEP_2)
	v_cmpx_gt_u32_e32 0x47800000, v0
	s_cbranch_execz .LBB89_1002
; %bb.997:
	v_cmp_lt_u32_e32 vcc_lo, 0x37ffffff, v0
	s_mov_b32 s7, 0
                                        ; implicit-def: $vgpr0
	s_and_saveexec_b32 s8, vcc_lo
	s_delay_alu instid0(SALU_CYCLE_1)
	s_xor_b32 s8, exec_lo, s8
	s_cbranch_execz .LBB89_1323
; %bb.998:
	v_bfe_u32 v0, v3, 21, 1
	s_mov_b32 s7, exec_lo
	s_delay_alu instid0(VALU_DEP_1) | instskip(NEXT) | instid1(VALU_DEP_1)
	v_add3_u32 v0, v3, v0, 0x88fffff
	v_lshrrev_b32_e32 v0, 21, v0
	s_or_saveexec_b32 s8, s8
                                        ; implicit-def: $sgpr9
	s_delay_alu instid0(SALU_CYCLE_1)
	s_xor_b32 exec_lo, exec_lo, s8
	s_cbranch_execnz .LBB89_1324
.LBB89_999:
	s_or_b32 exec_lo, exec_lo, s8
	v_mov_b32_e32 v4, s9
	s_and_saveexec_b32 s8, s7
.LBB89_1000:
	v_lshrrev_b32_e32 v4, 24, v3
	s_delay_alu instid0(VALU_DEP_1)
	v_and_or_b32 v4, 0x80, v4, v0
.LBB89_1001:
	s_or_b32 exec_lo, exec_lo, s8
.LBB89_1002:
	s_delay_alu instid0(SALU_CYCLE_1)
	s_or_b32 exec_lo, exec_lo, s5
	s_mov_b32 s5, 0
	global_store_b8 v[1:2], v4, off
.LBB89_1003:
	s_and_b32 vcc_lo, exec_lo, s5
	s_cbranch_vccz .LBB89_1013
; %bb.1004:
	v_and_b32_e32 v4, 0x7fffffff, v3
	s_mov_b32 s5, exec_lo
                                        ; implicit-def: $vgpr0
	s_delay_alu instid0(VALU_DEP_1)
	v_cmpx_gt_u32_e32 0x43f00000, v4
	s_xor_b32 s5, exec_lo, s5
	s_cbranch_execz .LBB89_1010
; %bb.1005:
	s_mov_b32 s7, exec_lo
                                        ; implicit-def: $vgpr0
	v_cmpx_lt_u32_e32 0x3c7fffff, v4
	s_xor_b32 s7, exec_lo, s7
; %bb.1006:
	v_bfe_u32 v0, v3, 20, 1
	s_delay_alu instid0(VALU_DEP_1) | instskip(NEXT) | instid1(VALU_DEP_1)
	v_add3_u32 v0, v3, v0, 0x407ffff
	v_and_b32_e32 v4, 0xff00000, v0
	v_lshrrev_b32_e32 v0, 20, v0
	s_delay_alu instid0(VALU_DEP_2) | instskip(NEXT) | instid1(VALU_DEP_2)
	v_cmp_ne_u32_e32 vcc_lo, 0x7f00000, v4
	v_cndmask_b32_e32 v0, 0x7e, v0, vcc_lo
; %bb.1007:
	s_and_not1_saveexec_b32 s7, s7
; %bb.1008:
	v_add_f32_e64 v0, 0x46800000, |v3|
; %bb.1009:
	s_or_b32 exec_lo, exec_lo, s7
                                        ; implicit-def: $vgpr4
.LBB89_1010:
	s_and_not1_saveexec_b32 s5, s5
; %bb.1011:
	v_mov_b32_e32 v0, 0x7f
	v_cmp_lt_u32_e32 vcc_lo, 0x7f800000, v4
	s_delay_alu instid0(VALU_DEP_2)
	v_cndmask_b32_e32 v0, 0x7e, v0, vcc_lo
; %bb.1012:
	s_or_b32 exec_lo, exec_lo, s5
	v_lshrrev_b32_e32 v4, 24, v3
	s_delay_alu instid0(VALU_DEP_1)
	v_and_or_b32 v0, 0x80, v4, v0
	global_store_b8 v[1:2], v0, off
.LBB89_1013:
	s_mov_b32 s5, 0
.LBB89_1014:
	s_delay_alu instid0(SALU_CYCLE_1)
	s_and_not1_b32 vcc_lo, exec_lo, s5
	s_cbranch_vccnz .LBB89_1024
; %bb.1015:
	v_and_b32_e32 v4, 0x7fffffff, v3
	s_mov_b32 s5, exec_lo
                                        ; implicit-def: $vgpr0
	s_delay_alu instid0(VALU_DEP_1)
	v_cmpx_gt_u32_e32 0x47800000, v4
	s_xor_b32 s5, exec_lo, s5
	s_cbranch_execz .LBB89_1021
; %bb.1016:
	s_mov_b32 s7, exec_lo
                                        ; implicit-def: $vgpr0
	v_cmpx_lt_u32_e32 0x387fffff, v4
	s_xor_b32 s7, exec_lo, s7
; %bb.1017:
	v_bfe_u32 v0, v3, 21, 1
	s_delay_alu instid0(VALU_DEP_1) | instskip(NEXT) | instid1(VALU_DEP_1)
	v_add3_u32 v0, v3, v0, 0x80fffff
	v_lshrrev_b32_e32 v0, 21, v0
; %bb.1018:
	s_and_not1_saveexec_b32 s7, s7
; %bb.1019:
	v_add_f32_e64 v0, 0x43000000, |v3|
; %bb.1020:
	s_or_b32 exec_lo, exec_lo, s7
                                        ; implicit-def: $vgpr4
.LBB89_1021:
	s_and_not1_saveexec_b32 s5, s5
; %bb.1022:
	v_mov_b32_e32 v0, 0x7f
	v_cmp_lt_u32_e32 vcc_lo, 0x7f800000, v4
	s_delay_alu instid0(VALU_DEP_2)
	v_cndmask_b32_e32 v0, 0x7c, v0, vcc_lo
; %bb.1023:
	s_or_b32 exec_lo, exec_lo, s5
	v_lshrrev_b32_e32 v4, 24, v3
	s_delay_alu instid0(VALU_DEP_1)
	v_and_or_b32 v0, 0x80, v4, v0
	global_store_b8 v[1:2], v0, off
.LBB89_1024:
	s_mov_b32 s5, 0
.LBB89_1025:
	s_delay_alu instid0(SALU_CYCLE_1)
	s_and_not1_b32 vcc_lo, exec_lo, s5
	s_mov_b32 s8, 0
	s_cbranch_vccnz .LBB89_1033
; %bb.1026:
	v_cmp_lt_i16_e32 vcc_lo, 14, v5
	s_mov_b32 s5, -1
	s_cbranch_vccz .LBB89_1030
; %bb.1027:
	v_cmp_eq_u16_e32 vcc_lo, 15, v5
	s_mov_b32 s2, -1
	s_cbranch_vccz .LBB89_1029
; %bb.1028:
	v_bfe_u32 v0, v3, 16, 1
	v_cmp_o_f32_e32 vcc_lo, v3, v3
	s_mov_b32 s2, 0
	s_delay_alu instid0(VALU_DEP_2) | instskip(NEXT) | instid1(VALU_DEP_1)
	v_add3_u32 v0, v3, v0, 0x7fff
	v_lshrrev_b32_e32 v0, 16, v0
	s_delay_alu instid0(VALU_DEP_1)
	v_cndmask_b32_e32 v0, 0x7fc0, v0, vcc_lo
	global_store_b16 v[1:2], v0, off
.LBB89_1029:
	s_mov_b32 s5, 0
.LBB89_1030:
	s_delay_alu instid0(SALU_CYCLE_1)
	s_and_b32 vcc_lo, exec_lo, s5
	s_cbranch_vccz .LBB89_1033
; %bb.1031:
	v_cmp_ne_u16_e32 vcc_lo, 11, v5
	s_and_not1_b32 s2, s2, exec_lo
	s_mov_b32 s8, -1
	s_and_b32 s5, vcc_lo, exec_lo
	s_delay_alu instid0(SALU_CYCLE_1)
	s_or_b32 s2, s2, s5
	s_branch .LBB89_1033
.LBB89_1032:
	s_mov_b32 s8, 0
.LBB89_1033:
	s_and_b32 s7, s4, exec_lo
	s_and_not1_b32 s4, s34, exec_lo
	s_and_b32 s2, s2, exec_lo
	s_and_b32 s8, s8, exec_lo
	s_or_b32 s34, s4, s2
.LBB89_1034:
	s_or_b32 exec_lo, exec_lo, s6
	s_and_saveexec_b32 s2, s34
	s_cbranch_execnz .LBB89_1148
; %bb.1035:
	s_or_b32 exec_lo, exec_lo, s2
	s_and_saveexec_b32 s2, s8
	s_delay_alu instid0(SALU_CYCLE_1)
	s_xor_b32 s2, exec_lo, s2
	s_cbranch_execz .LBB89_1037
.LBB89_1036:
	s_waitcnt vmcnt(0)
	v_cmp_neq_f32_e32 vcc_lo, 0, v3
	v_cndmask_b32_e64 v0, 0, 1, vcc_lo
	global_store_b8 v[1:2], v0, off
.LBB89_1037:
	s_or_b32 exec_lo, exec_lo, s2
	s_and_saveexec_b32 s2, s7
	s_delay_alu instid0(SALU_CYCLE_1)
	s_xor_b32 s2, exec_lo, s2
	s_cbranch_execz .LBB89_1075
; %bb.1038:
	v_cmp_gt_i16_e32 vcc_lo, 5, v5
	s_mov_b32 s4, -1
	s_cbranch_vccnz .LBB89_1059
; %bb.1039:
	v_cmp_gt_i16_e32 vcc_lo, 8, v5
	s_cbranch_vccnz .LBB89_1049
; %bb.1040:
	v_cmp_gt_i16_e32 vcc_lo, 9, v5
	s_cbranch_vccnz .LBB89_1046
; %bb.1041:
	v_cmp_lt_i16_e32 vcc_lo, 9, v5
	s_cbranch_vccz .LBB89_1043
; %bb.1042:
	s_waitcnt vmcnt(0)
	v_cvt_f64_f32_e32 v[6:7], v3
	v_mov_b32_e32 v8, 0
	s_mov_b32 s4, 0
	s_delay_alu instid0(VALU_DEP_1)
	v_mov_b32_e32 v9, v8
	global_store_b128 v[1:2], v[6:9], off
.LBB89_1043:
	s_and_not1_b32 vcc_lo, exec_lo, s4
	s_cbranch_vccnz .LBB89_1045
; %bb.1044:
	v_mov_b32_e32 v4, 0
	s_waitcnt vmcnt(0)
	global_store_b64 v[1:2], v[3:4], off
.LBB89_1045:
	s_mov_b32 s4, 0
.LBB89_1046:
	s_delay_alu instid0(SALU_CYCLE_1)
	s_and_not1_b32 vcc_lo, exec_lo, s4
	s_cbranch_vccnz .LBB89_1048
; %bb.1047:
	s_waitcnt vmcnt(0)
	v_cvt_f16_f32_e32 v0, v3
	s_delay_alu instid0(VALU_DEP_1)
	v_and_b32_e32 v0, 0xffff, v0
	global_store_b32 v[1:2], v0, off
.LBB89_1048:
	s_mov_b32 s4, 0
.LBB89_1049:
	s_delay_alu instid0(SALU_CYCLE_1)
	s_and_not1_b32 vcc_lo, exec_lo, s4
	s_cbranch_vccnz .LBB89_1058
; %bb.1050:
	v_cmp_gt_i16_e32 vcc_lo, 6, v5
	s_mov_b32 s4, -1
	s_cbranch_vccnz .LBB89_1056
; %bb.1051:
	v_cmp_lt_i16_e32 vcc_lo, 6, v5
	s_cbranch_vccz .LBB89_1053
; %bb.1052:
	s_waitcnt vmcnt(0)
	v_cvt_f64_f32_e32 v[6:7], v3
	s_mov_b32 s4, 0
	global_store_b64 v[1:2], v[6:7], off
.LBB89_1053:
	s_and_not1_b32 vcc_lo, exec_lo, s4
	s_cbranch_vccnz .LBB89_1055
; %bb.1054:
	s_waitcnt vmcnt(0)
	global_store_b32 v[1:2], v3, off
.LBB89_1055:
	s_mov_b32 s4, 0
.LBB89_1056:
	s_delay_alu instid0(SALU_CYCLE_1)
	s_and_not1_b32 vcc_lo, exec_lo, s4
	s_cbranch_vccnz .LBB89_1058
; %bb.1057:
	s_waitcnt vmcnt(0)
	v_cvt_f16_f32_e32 v0, v3
	global_store_b16 v[1:2], v0, off
.LBB89_1058:
	s_mov_b32 s4, 0
.LBB89_1059:
	s_delay_alu instid0(SALU_CYCLE_1)
	s_and_not1_b32 vcc_lo, exec_lo, s4
	s_cbranch_vccnz .LBB89_1075
; %bb.1060:
	v_cmp_gt_i16_e32 vcc_lo, 2, v5
	s_mov_b32 s4, -1
	s_cbranch_vccnz .LBB89_1070
; %bb.1061:
	v_cmp_gt_i16_e32 vcc_lo, 3, v5
	s_cbranch_vccnz .LBB89_1067
; %bb.1062:
	v_cmp_lt_i16_e32 vcc_lo, 3, v5
	s_cbranch_vccz .LBB89_1064
; %bb.1063:
	s_waitcnt vmcnt(0)
	v_trunc_f32_e32 v0, v3
	s_mov_b32 s4, 0
	s_delay_alu instid0(VALU_DEP_1) | instskip(NEXT) | instid1(VALU_DEP_1)
	v_mul_f32_e64 v4, 0x2f800000, |v0|
	v_floor_f32_e32 v4, v4
	s_delay_alu instid0(VALU_DEP_1) | instskip(SKIP_2) | instid1(VALU_DEP_3)
	v_fma_f32 v6, 0xcf800000, v4, |v0|
	v_ashrrev_i32_e32 v0, 31, v0
	v_cvt_u32_f32_e32 v4, v4
	v_cvt_u32_f32_e32 v6, v6
	s_delay_alu instid0(VALU_DEP_2) | instskip(NEXT) | instid1(VALU_DEP_2)
	v_xor_b32_e32 v4, v4, v0
	v_xor_b32_e32 v6, v6, v0
	s_delay_alu instid0(VALU_DEP_1) | instskip(NEXT) | instid1(VALU_DEP_3)
	v_sub_co_u32 v6, vcc_lo, v6, v0
	v_sub_co_ci_u32_e32 v7, vcc_lo, v4, v0, vcc_lo
	global_store_b64 v[1:2], v[6:7], off
.LBB89_1064:
	s_and_not1_b32 vcc_lo, exec_lo, s4
	s_cbranch_vccnz .LBB89_1066
; %bb.1065:
	s_waitcnt vmcnt(0)
	v_cvt_i32_f32_e32 v0, v3
	global_store_b32 v[1:2], v0, off
.LBB89_1066:
	s_mov_b32 s4, 0
.LBB89_1067:
	s_delay_alu instid0(SALU_CYCLE_1)
	s_and_not1_b32 vcc_lo, exec_lo, s4
	s_cbranch_vccnz .LBB89_1069
; %bb.1068:
	s_waitcnt vmcnt(0)
	v_cvt_i32_f32_e32 v0, v3
	global_store_b16 v[1:2], v0, off
.LBB89_1069:
	s_mov_b32 s4, 0
.LBB89_1070:
	s_delay_alu instid0(SALU_CYCLE_1)
	s_and_not1_b32 vcc_lo, exec_lo, s4
	s_cbranch_vccnz .LBB89_1075
; %bb.1071:
	v_cmp_lt_i16_e32 vcc_lo, 0, v5
	s_mov_b32 s4, -1
	s_cbranch_vccz .LBB89_1073
; %bb.1072:
	s_waitcnt vmcnt(0)
	v_cvt_i32_f32_e32 v0, v3
	s_mov_b32 s4, 0
	global_store_b8 v[1:2], v0, off
.LBB89_1073:
	s_and_not1_b32 vcc_lo, exec_lo, s4
	s_cbranch_vccnz .LBB89_1075
; %bb.1074:
	s_waitcnt vmcnt(0)
	v_trunc_f32_e32 v0, v3
	s_delay_alu instid0(VALU_DEP_1) | instskip(NEXT) | instid1(VALU_DEP_1)
	v_mul_f32_e64 v3, 0x2f800000, |v0|
	v_floor_f32_e32 v3, v3
	s_delay_alu instid0(VALU_DEP_1) | instskip(SKIP_1) | instid1(VALU_DEP_2)
	v_fma_f32 v3, 0xcf800000, v3, |v0|
	v_ashrrev_i32_e32 v0, 31, v0
	v_cvt_u32_f32_e32 v3, v3
	s_delay_alu instid0(VALU_DEP_1) | instskip(NEXT) | instid1(VALU_DEP_1)
	v_xor_b32_e32 v3, v3, v0
	v_sub_nc_u32_e32 v0, v3, v0
	global_store_b8 v[1:2], v0, off
.LBB89_1075:
	s_or_b32 exec_lo, exec_lo, s2
	s_delay_alu instid0(SALU_CYCLE_1)
	s_and_b32 s8, s3, exec_lo
                                        ; implicit-def: $vgpr9
                                        ; implicit-def: $vgpr8
.LBB89_1076:
	s_or_saveexec_b32 s9, s28
	s_mov_b32 s3, 0
                                        ; implicit-def: $vgpr0_vgpr1
                                        ; implicit-def: $vgpr7
                                        ; implicit-def: $vgpr2
	s_xor_b32 exec_lo, exec_lo, s9
	s_cbranch_execz .LBB89_2092
; %bb.1077:
	v_cndmask_b32_e64 v0, 0, 1, s27
	s_and_not1_b32 vcc_lo, exec_lo, s27
	s_cbranch_vccnz .LBB89_1083
; %bb.1078:
	s_waitcnt vmcnt(0)
	v_mov_b32_e32 v3, 0
	v_mov_b32_e32 v7, 0
	s_cmp_lg_u32 s24, 0
	s_mov_b32 s6, 0
	s_cbranch_scc0 .LBB89_1087
; %bb.1079:
	s_min_u32 s7, s25, 15
	v_mov_b32_e32 v3, 0
	s_add_i32 s7, s7, 1
	s_cmp_eq_u32 s25, 2
	s_mov_b32 s10, 0
	s_cbranch_scc1 .LBB89_1084
; %bb.1080:
	v_mov_b32_e32 v7, 0
	v_mov_b32_e32 v3, 0
	;; [unrolled: 1-line block ×3, first 2 shown]
	s_add_u32 s2, s16, 0xc4
	s_addc_u32 s3, s17, 0
	s_and_b32 s10, s7, 28
	s_mov_b32 s11, 0
	s_mov_b64 s[4:5], s[16:17]
.LBB89_1081:                            ; =>This Inner Loop Header: Depth=1
	s_clause 0x1
	s_load_b256 s[36:43], s[4:5], 0x4
	s_load_b128 s[12:15], s[4:5], 0x24
	s_load_b256 s[44:51], s[2:3], 0x0
	s_add_u32 s4, s4, 48
	s_addc_u32 s5, s5, 0
	s_add_i32 s11, s11, 4
	s_add_u32 s2, s2, 32
	s_addc_u32 s3, s3, 0
	s_cmp_lg_u32 s10, s11
	s_waitcnt lgkmcnt(0)
	v_mul_hi_u32 v2, s37, v1
	s_delay_alu instid0(VALU_DEP_1) | instskip(NEXT) | instid1(VALU_DEP_1)
	v_add_nc_u32_e32 v2, v1, v2
	v_lshrrev_b32_e32 v2, s38, v2
	s_delay_alu instid0(VALU_DEP_1) | instskip(SKIP_1) | instid1(VALU_DEP_2)
	v_mul_hi_u32 v4, s40, v2
	v_mul_lo_u32 v6, v2, s36
	v_add_nc_u32_e32 v4, v2, v4
	s_delay_alu instid0(VALU_DEP_2) | instskip(NEXT) | instid1(VALU_DEP_2)
	v_sub_nc_u32_e32 v1, v1, v6
	v_lshrrev_b32_e32 v4, s41, v4
	s_delay_alu instid0(VALU_DEP_2) | instskip(SKIP_1) | instid1(VALU_DEP_3)
	v_mul_lo_u32 v6, v1, s44
	v_mul_lo_u32 v11, v1, s45
	v_mul_hi_u32 v5, s43, v4
	s_delay_alu instid0(VALU_DEP_1) | instskip(NEXT) | instid1(VALU_DEP_1)
	v_add_nc_u32_e32 v5, v4, v5
	v_lshrrev_b32_e32 v5, s12, v5
	s_delay_alu instid0(VALU_DEP_1) | instskip(SKIP_1) | instid1(VALU_DEP_2)
	v_mul_hi_u32 v10, s14, v5
	v_mul_lo_u32 v12, v5, s42
	v_add_nc_u32_e32 v1, v5, v10
	v_mul_lo_u32 v10, v4, s39
	s_delay_alu instid0(VALU_DEP_3) | instskip(NEXT) | instid1(VALU_DEP_3)
	v_sub_nc_u32_e32 v4, v4, v12
	v_lshrrev_b32_e32 v1, s15, v1
	s_delay_alu instid0(VALU_DEP_2) | instskip(SKIP_2) | instid1(VALU_DEP_4)
	v_mul_lo_u32 v12, v4, s48
	v_mul_lo_u32 v4, v4, s49
	v_sub_nc_u32_e32 v2, v2, v10
	v_mul_lo_u32 v13, v1, s13
	s_delay_alu instid0(VALU_DEP_2) | instskip(SKIP_1) | instid1(VALU_DEP_3)
	v_mul_lo_u32 v10, v2, s46
	v_mul_lo_u32 v2, v2, s47
	v_sub_nc_u32_e32 v5, v5, v13
	s_delay_alu instid0(VALU_DEP_3) | instskip(NEXT) | instid1(VALU_DEP_2)
	v_add3_u32 v3, v6, v3, v10
	v_mul_lo_u32 v13, v5, s50
	v_mul_lo_u32 v5, v5, s51
	v_add3_u32 v2, v11, v7, v2
	s_delay_alu instid0(VALU_DEP_3) | instskip(NEXT) | instid1(VALU_DEP_2)
	v_add3_u32 v3, v12, v3, v13
	v_add3_u32 v7, v4, v2, v5
	s_cbranch_scc1 .LBB89_1081
; %bb.1082:
	s_and_b32 s7, s7, 3
	s_delay_alu instid0(SALU_CYCLE_1)
	s_cmp_eq_u32 s7, 0
	s_cbranch_scc0 .LBB89_1085
	s_branch .LBB89_1087
.LBB89_1083:
	s_mov_b32 s6, -1
                                        ; implicit-def: $vgpr3
                                        ; implicit-def: $vgpr7
	s_branch .LBB89_1087
.LBB89_1084:
	v_mov_b32_e32 v1, v8
	v_mov_b32_e32 v7, 0
	s_and_b32 s7, s7, 3
	s_delay_alu instid0(SALU_CYCLE_1)
	s_cmp_eq_u32 s7, 0
	s_cbranch_scc1 .LBB89_1087
.LBB89_1085:
	s_lshl_b32 s2, s10, 3
	s_mul_i32 s4, s10, 12
	s_add_u32 s2, s2, s16
	s_addc_u32 s3, 0, s17
	s_add_u32 s2, s2, 0xc4
	s_addc_u32 s3, s3, 0
	;; [unrolled: 2-line block ×3, first 2 shown]
	.p2align	6
.LBB89_1086:                            ; =>This Inner Loop Header: Depth=1
	s_clause 0x1
	s_load_b64 s[10:11], s[4:5], 0x4
	s_load_b32 s14, s[4:5], 0xc
	s_load_b64 s[12:13], s[2:3], 0x0
	s_add_u32 s4, s4, 12
	s_addc_u32 s5, s5, 0
	s_add_u32 s2, s2, 8
	s_addc_u32 s3, s3, 0
	s_add_i32 s7, s7, -1
	s_delay_alu instid0(SALU_CYCLE_1) | instskip(SKIP_2) | instid1(VALU_DEP_1)
	s_cmp_lg_u32 s7, 0
	s_waitcnt lgkmcnt(0)
	v_mul_hi_u32 v2, s11, v1
	v_add_nc_u32_e32 v2, v1, v2
	s_delay_alu instid0(VALU_DEP_1) | instskip(NEXT) | instid1(VALU_DEP_1)
	v_lshrrev_b32_e32 v6, s14, v2
	v_mul_lo_u32 v2, v6, s10
	s_delay_alu instid0(VALU_DEP_1) | instskip(NEXT) | instid1(VALU_DEP_1)
	v_sub_nc_u32_e32 v1, v1, v2
	v_mad_u64_u32 v[4:5], null, v1, s12, v[3:4]
	v_mad_u64_u32 v[2:3], null, v1, s13, v[7:8]
	v_mov_b32_e32 v1, v6
	s_delay_alu instid0(VALU_DEP_3) | instskip(NEXT) | instid1(VALU_DEP_3)
	v_mov_b32_e32 v3, v4
	v_mov_b32_e32 v7, v2
	s_cbranch_scc1 .LBB89_1086
.LBB89_1087:
	s_and_not1_b32 vcc_lo, exec_lo, s6
	s_cbranch_vccnz .LBB89_1090
; %bb.1088:
	s_clause 0x1
	s_load_b128 s[4:7], s[16:17], 0x4
	s_load_b64 s[2:3], s[16:17], 0xc4
	s_cmp_lt_u32 s24, 2
	s_waitcnt lgkmcnt(0)
	v_mul_hi_u32 v1, s5, v8
	s_delay_alu instid0(VALU_DEP_1) | instskip(NEXT) | instid1(VALU_DEP_1)
	v_add_nc_u32_e32 v1, v8, v1
	v_lshrrev_b32_e32 v1, s6, v1
	s_delay_alu instid0(VALU_DEP_1) | instskip(NEXT) | instid1(VALU_DEP_1)
	v_mul_lo_u32 v2, v1, s4
	v_sub_nc_u32_e32 v2, v8, v2
	s_waitcnt vmcnt(0)
	s_delay_alu instid0(VALU_DEP_1)
	v_mul_lo_u32 v3, v2, s2
	v_mul_lo_u32 v7, v2, s3
	s_cbranch_scc1 .LBB89_1090
; %bb.1089:
	s_clause 0x1
	s_load_b128 s[4:7], s[16:17], 0x10
	s_load_b64 s[2:3], s[16:17], 0xcc
	s_waitcnt lgkmcnt(0)
	v_mul_hi_u32 v2, s5, v1
	s_delay_alu instid0(VALU_DEP_1) | instskip(NEXT) | instid1(VALU_DEP_1)
	v_add_nc_u32_e32 v2, v1, v2
	v_lshrrev_b32_e32 v2, s6, v2
	s_delay_alu instid0(VALU_DEP_1) | instskip(NEXT) | instid1(VALU_DEP_1)
	v_mul_lo_u32 v2, v2, s4
	v_sub_nc_u32_e32 v4, v1, v2
	s_delay_alu instid0(VALU_DEP_1) | instskip(SKIP_1) | instid1(VALU_DEP_2)
	v_mad_u64_u32 v[1:2], null, v4, s2, v[3:4]
	v_mad_u64_u32 v[2:3], null, v4, s3, v[7:8]
	v_mov_b32_e32 v3, v1
	s_delay_alu instid0(VALU_DEP_2)
	v_mov_b32_e32 v7, v2
.LBB89_1090:
	v_cmp_ne_u32_e32 vcc_lo, 1, v0
	v_add_nc_u32_e32 v1, 0x80, v8
	s_cbranch_vccnz .LBB89_1096
; %bb.1091:
	v_mov_b32_e32 v2, 0
	s_waitcnt vmcnt(0)
	v_mov_b32_e32 v6, 0
	s_cmp_lg_u32 s24, 0
	s_mov_b32 s6, 0
	s_cbranch_scc0 .LBB89_1100
; %bb.1092:
	s_min_u32 s7, s25, 15
	v_mov_b32_e32 v2, 0
	s_add_i32 s7, s7, 1
	s_cmp_eq_u32 s25, 2
	s_mov_b32 s10, 0
	s_cbranch_scc1 .LBB89_1097
; %bb.1093:
	v_mov_b32_e32 v6, 0
	v_mov_b32_e32 v2, 0
	;; [unrolled: 1-line block ×3, first 2 shown]
	s_add_u32 s2, s16, 0xc4
	s_addc_u32 s3, s17, 0
	s_and_b32 s10, s7, 28
	s_mov_b32 s11, 0
	s_mov_b64 s[4:5], s[16:17]
.LBB89_1094:                            ; =>This Inner Loop Header: Depth=1
	s_clause 0x1
	s_load_b256 s[36:43], s[4:5], 0x4
	s_load_b128 s[12:15], s[4:5], 0x24
	s_load_b256 s[44:51], s[2:3], 0x0
	s_add_u32 s4, s4, 48
	s_addc_u32 s5, s5, 0
	s_add_i32 s11, s11, 4
	s_add_u32 s2, s2, 32
	s_addc_u32 s3, s3, 0
	s_cmp_lg_u32 s10, s11
	s_waitcnt lgkmcnt(0)
	v_mul_hi_u32 v5, s37, v4
	s_delay_alu instid0(VALU_DEP_1) | instskip(NEXT) | instid1(VALU_DEP_1)
	v_add_nc_u32_e32 v5, v4, v5
	v_lshrrev_b32_e32 v5, s38, v5
	s_delay_alu instid0(VALU_DEP_1) | instskip(SKIP_1) | instid1(VALU_DEP_2)
	v_mul_hi_u32 v10, s40, v5
	v_mul_lo_u32 v12, v5, s36
	v_add_nc_u32_e32 v10, v5, v10
	s_delay_alu instid0(VALU_DEP_2) | instskip(NEXT) | instid1(VALU_DEP_2)
	v_sub_nc_u32_e32 v4, v4, v12
	v_lshrrev_b32_e32 v10, s41, v10
	s_delay_alu instid0(VALU_DEP_2) | instskip(SKIP_1) | instid1(VALU_DEP_3)
	v_mul_lo_u32 v12, v4, s44
	v_mul_lo_u32 v14, v4, s45
	v_mul_hi_u32 v11, s43, v10
	s_delay_alu instid0(VALU_DEP_1) | instskip(NEXT) | instid1(VALU_DEP_1)
	v_add_nc_u32_e32 v11, v10, v11
	v_lshrrev_b32_e32 v11, s12, v11
	s_delay_alu instid0(VALU_DEP_1) | instskip(SKIP_1) | instid1(VALU_DEP_2)
	v_mul_hi_u32 v13, s14, v11
	v_mul_lo_u32 v15, v11, s42
	v_add_nc_u32_e32 v4, v11, v13
	v_mul_lo_u32 v13, v10, s39
	s_delay_alu instid0(VALU_DEP_3) | instskip(NEXT) | instid1(VALU_DEP_3)
	v_sub_nc_u32_e32 v10, v10, v15
	v_lshrrev_b32_e32 v4, s15, v4
	s_delay_alu instid0(VALU_DEP_2) | instskip(SKIP_2) | instid1(VALU_DEP_4)
	v_mul_lo_u32 v15, v10, s48
	v_mul_lo_u32 v10, v10, s49
	v_sub_nc_u32_e32 v5, v5, v13
	v_mul_lo_u32 v16, v4, s13
	s_delay_alu instid0(VALU_DEP_2) | instskip(SKIP_1) | instid1(VALU_DEP_3)
	v_mul_lo_u32 v13, v5, s46
	v_mul_lo_u32 v5, v5, s47
	v_sub_nc_u32_e32 v11, v11, v16
	s_delay_alu instid0(VALU_DEP_3) | instskip(NEXT) | instid1(VALU_DEP_2)
	v_add3_u32 v2, v12, v2, v13
	v_mul_lo_u32 v16, v11, s50
	v_mul_lo_u32 v11, v11, s51
	v_add3_u32 v5, v14, v6, v5
	s_delay_alu instid0(VALU_DEP_3) | instskip(NEXT) | instid1(VALU_DEP_2)
	v_add3_u32 v2, v15, v2, v16
	v_add3_u32 v6, v10, v5, v11
	s_cbranch_scc1 .LBB89_1094
; %bb.1095:
	s_and_b32 s7, s7, 3
	s_delay_alu instid0(SALU_CYCLE_1)
	s_cmp_eq_u32 s7, 0
	s_cbranch_scc0 .LBB89_1098
	s_branch .LBB89_1100
.LBB89_1096:
	s_mov_b32 s6, -1
                                        ; implicit-def: $vgpr2
                                        ; implicit-def: $vgpr6
	s_branch .LBB89_1100
.LBB89_1097:
	v_mov_b32_e32 v4, v1
	v_mov_b32_e32 v6, 0
	s_and_b32 s7, s7, 3
	s_delay_alu instid0(SALU_CYCLE_1)
	s_cmp_eq_u32 s7, 0
	s_cbranch_scc1 .LBB89_1100
.LBB89_1098:
	s_lshl_b32 s2, s10, 3
	s_mul_i32 s4, s10, 12
	s_add_u32 s2, s2, s16
	s_addc_u32 s3, 0, s17
	s_add_u32 s2, s2, 0xc4
	s_addc_u32 s3, s3, 0
	;; [unrolled: 2-line block ×3, first 2 shown]
	.p2align	6
.LBB89_1099:                            ; =>This Inner Loop Header: Depth=1
	s_clause 0x1
	s_load_b64 s[10:11], s[4:5], 0x4
	s_load_b32 s14, s[4:5], 0xc
	s_load_b64 s[12:13], s[2:3], 0x0
	s_add_u32 s4, s4, 12
	s_addc_u32 s5, s5, 0
	s_add_u32 s2, s2, 8
	s_addc_u32 s3, s3, 0
	s_add_i32 s7, s7, -1
	s_delay_alu instid0(SALU_CYCLE_1) | instskip(SKIP_2) | instid1(VALU_DEP_1)
	s_cmp_lg_u32 s7, 0
	s_waitcnt lgkmcnt(0)
	v_mul_hi_u32 v5, s11, v4
	v_add_nc_u32_e32 v5, v4, v5
	s_delay_alu instid0(VALU_DEP_1) | instskip(NEXT) | instid1(VALU_DEP_1)
	v_lshrrev_b32_e32 v5, s14, v5
	v_mul_lo_u32 v10, v5, s10
	s_delay_alu instid0(VALU_DEP_1) | instskip(NEXT) | instid1(VALU_DEP_1)
	v_sub_nc_u32_e32 v4, v4, v10
	v_mad_u64_u32 v[10:11], null, v4, s12, v[2:3]
	v_mad_u64_u32 v[11:12], null, v4, s13, v[6:7]
	v_mov_b32_e32 v4, v5
	s_delay_alu instid0(VALU_DEP_3) | instskip(NEXT) | instid1(VALU_DEP_3)
	v_mov_b32_e32 v2, v10
	v_mov_b32_e32 v6, v11
	s_cbranch_scc1 .LBB89_1099
.LBB89_1100:
	s_and_not1_b32 vcc_lo, exec_lo, s6
	s_cbranch_vccnz .LBB89_1103
; %bb.1101:
	s_clause 0x1
	s_load_b128 s[4:7], s[16:17], 0x4
	s_load_b64 s[2:3], s[16:17], 0xc4
	s_cmp_lt_u32 s24, 2
	s_waitcnt lgkmcnt(0)
	v_mul_hi_u32 v2, s5, v1
	s_delay_alu instid0(VALU_DEP_1) | instskip(NEXT) | instid1(VALU_DEP_1)
	v_add_nc_u32_e32 v2, v1, v2
	v_lshrrev_b32_e32 v4, s6, v2
	s_delay_alu instid0(VALU_DEP_1) | instskip(NEXT) | instid1(VALU_DEP_1)
	v_mul_lo_u32 v2, v4, s4
	v_sub_nc_u32_e32 v1, v1, v2
	s_delay_alu instid0(VALU_DEP_1)
	v_mul_lo_u32 v2, v1, s2
	s_waitcnt vmcnt(0)
	v_mul_lo_u32 v6, v1, s3
	s_cbranch_scc1 .LBB89_1103
; %bb.1102:
	s_clause 0x1
	s_load_b128 s[4:7], s[16:17], 0x10
	s_load_b64 s[2:3], s[16:17], 0xcc
	s_waitcnt lgkmcnt(0)
	v_mul_hi_u32 v1, s5, v4
	s_delay_alu instid0(VALU_DEP_1) | instskip(NEXT) | instid1(VALU_DEP_1)
	v_add_nc_u32_e32 v1, v4, v1
	v_lshrrev_b32_e32 v1, s6, v1
	s_delay_alu instid0(VALU_DEP_1) | instskip(NEXT) | instid1(VALU_DEP_1)
	v_mul_lo_u32 v1, v1, s4
	v_sub_nc_u32_e32 v10, v4, v1
	s_delay_alu instid0(VALU_DEP_1) | instskip(SKIP_1) | instid1(VALU_DEP_2)
	v_mad_u64_u32 v[4:5], null, v10, s2, v[2:3]
	v_mad_u64_u32 v[1:2], null, v10, s3, v[6:7]
	v_mov_b32_e32 v2, v4
	s_delay_alu instid0(VALU_DEP_2)
	v_mov_b32_e32 v6, v1
.LBB89_1103:
	v_cmp_ne_u32_e32 vcc_lo, 1, v0
	v_add_nc_u32_e32 v4, 0x100, v8
	s_cbranch_vccnz .LBB89_1109
; %bb.1104:
	v_mov_b32_e32 v1, 0
	v_mov_b32_e32 v5, 0
	s_cmp_lg_u32 s24, 0
	s_mov_b32 s6, 0
	s_cbranch_scc0 .LBB89_1113
; %bb.1105:
	s_min_u32 s7, s25, 15
	v_mov_b32_e32 v1, 0
	s_add_i32 s7, s7, 1
	s_cmp_eq_u32 s25, 2
	s_mov_b32 s10, 0
	s_cbranch_scc1 .LBB89_1110
; %bb.1106:
	v_dual_mov_b32 v5, 0 :: v_dual_mov_b32 v8, v4
	v_mov_b32_e32 v1, 0
	s_add_u32 s2, s16, 0xc4
	s_addc_u32 s3, s17, 0
	s_and_b32 s10, s7, 28
	s_mov_b32 s11, 0
	s_mov_b64 s[4:5], s[16:17]
.LBB89_1107:                            ; =>This Inner Loop Header: Depth=1
	s_clause 0x1
	s_load_b256 s[36:43], s[4:5], 0x4
	s_load_b128 s[12:15], s[4:5], 0x24
	s_load_b256 s[44:51], s[2:3], 0x0
	s_add_u32 s4, s4, 48
	s_addc_u32 s5, s5, 0
	s_add_i32 s11, s11, 4
	s_add_u32 s2, s2, 32
	s_addc_u32 s3, s3, 0
	s_cmp_lg_u32 s10, s11
	s_waitcnt lgkmcnt(0)
	v_mul_hi_u32 v10, s37, v8
	s_delay_alu instid0(VALU_DEP_1) | instskip(NEXT) | instid1(VALU_DEP_1)
	v_add_nc_u32_e32 v10, v8, v10
	v_lshrrev_b32_e32 v10, s38, v10
	s_delay_alu instid0(VALU_DEP_1) | instskip(SKIP_1) | instid1(VALU_DEP_2)
	v_mul_hi_u32 v11, s40, v10
	v_mul_lo_u32 v13, v10, s36
	v_add_nc_u32_e32 v11, v10, v11
	s_delay_alu instid0(VALU_DEP_2) | instskip(NEXT) | instid1(VALU_DEP_2)
	v_sub_nc_u32_e32 v8, v8, v13
	v_lshrrev_b32_e32 v11, s41, v11
	s_delay_alu instid0(VALU_DEP_2) | instskip(SKIP_1) | instid1(VALU_DEP_3)
	v_mul_lo_u32 v13, v8, s44
	v_mul_lo_u32 v15, v8, s45
	v_mul_hi_u32 v12, s43, v11
	s_delay_alu instid0(VALU_DEP_1) | instskip(NEXT) | instid1(VALU_DEP_1)
	v_add_nc_u32_e32 v12, v11, v12
	v_lshrrev_b32_e32 v12, s12, v12
	s_delay_alu instid0(VALU_DEP_1) | instskip(SKIP_1) | instid1(VALU_DEP_2)
	v_mul_hi_u32 v14, s14, v12
	v_mul_lo_u32 v16, v12, s42
	v_add_nc_u32_e32 v8, v12, v14
	v_mul_lo_u32 v14, v11, s39
	s_delay_alu instid0(VALU_DEP_3) | instskip(NEXT) | instid1(VALU_DEP_3)
	v_sub_nc_u32_e32 v11, v11, v16
	v_lshrrev_b32_e32 v8, s15, v8
	s_delay_alu instid0(VALU_DEP_2) | instskip(SKIP_2) | instid1(VALU_DEP_4)
	v_mul_lo_u32 v16, v11, s48
	v_mul_lo_u32 v11, v11, s49
	v_sub_nc_u32_e32 v10, v10, v14
	v_mul_lo_u32 v17, v8, s13
	s_delay_alu instid0(VALU_DEP_2) | instskip(SKIP_1) | instid1(VALU_DEP_3)
	v_mul_lo_u32 v14, v10, s46
	v_mul_lo_u32 v10, v10, s47
	v_sub_nc_u32_e32 v12, v12, v17
	s_delay_alu instid0(VALU_DEP_3) | instskip(NEXT) | instid1(VALU_DEP_2)
	v_add3_u32 v1, v13, v1, v14
	v_mul_lo_u32 v17, v12, s50
	v_mul_lo_u32 v12, v12, s51
	v_add3_u32 v5, v15, v5, v10
	s_delay_alu instid0(VALU_DEP_3) | instskip(NEXT) | instid1(VALU_DEP_2)
	v_add3_u32 v1, v16, v1, v17
	v_add3_u32 v5, v11, v5, v12
	s_cbranch_scc1 .LBB89_1107
; %bb.1108:
	s_and_b32 s7, s7, 3
	s_delay_alu instid0(SALU_CYCLE_1)
	s_cmp_eq_u32 s7, 0
	s_cbranch_scc0 .LBB89_1111
	s_branch .LBB89_1113
.LBB89_1109:
	s_mov_b32 s6, -1
                                        ; implicit-def: $vgpr1
                                        ; implicit-def: $vgpr5
	s_branch .LBB89_1113
.LBB89_1110:
	v_dual_mov_b32 v8, v4 :: v_dual_mov_b32 v5, 0
	s_and_b32 s7, s7, 3
	s_delay_alu instid0(SALU_CYCLE_1)
	s_cmp_eq_u32 s7, 0
	s_cbranch_scc1 .LBB89_1113
.LBB89_1111:
	s_lshl_b32 s2, s10, 3
	s_mul_i32 s4, s10, 12
	s_add_u32 s2, s2, s16
	s_addc_u32 s3, 0, s17
	s_add_u32 s2, s2, 0xc4
	s_addc_u32 s3, s3, 0
	;; [unrolled: 2-line block ×3, first 2 shown]
	.p2align	6
.LBB89_1112:                            ; =>This Inner Loop Header: Depth=1
	s_clause 0x1
	s_load_b64 s[10:11], s[4:5], 0x4
	s_load_b32 s14, s[4:5], 0xc
	s_load_b64 s[12:13], s[2:3], 0x0
	s_add_u32 s4, s4, 12
	s_addc_u32 s5, s5, 0
	s_add_u32 s2, s2, 8
	s_addc_u32 s3, s3, 0
	s_add_i32 s7, s7, -1
	s_delay_alu instid0(SALU_CYCLE_1) | instskip(SKIP_2) | instid1(VALU_DEP_1)
	s_cmp_lg_u32 s7, 0
	s_waitcnt lgkmcnt(0)
	v_mul_hi_u32 v10, s11, v8
	v_add_nc_u32_e32 v10, v8, v10
	s_delay_alu instid0(VALU_DEP_1) | instskip(NEXT) | instid1(VALU_DEP_1)
	v_lshrrev_b32_e32 v13, s14, v10
	v_mul_lo_u32 v10, v13, s10
	s_delay_alu instid0(VALU_DEP_1) | instskip(NEXT) | instid1(VALU_DEP_1)
	v_sub_nc_u32_e32 v8, v8, v10
	v_mad_u64_u32 v[10:11], null, v8, s12, v[1:2]
	s_waitcnt vmcnt(0)
	v_mad_u64_u32 v[11:12], null, v8, s13, v[5:6]
	s_delay_alu instid0(VALU_DEP_2) | instskip(NEXT) | instid1(VALU_DEP_2)
	v_dual_mov_b32 v8, v13 :: v_dual_mov_b32 v1, v10
	v_mov_b32_e32 v5, v11
	s_cbranch_scc1 .LBB89_1112
.LBB89_1113:
	s_and_not1_b32 vcc_lo, exec_lo, s6
	s_cbranch_vccnz .LBB89_1116
; %bb.1114:
	s_clause 0x1
	s_load_b128 s[4:7], s[16:17], 0x4
	s_load_b64 s[2:3], s[16:17], 0xc4
	s_cmp_lt_u32 s24, 2
	s_waitcnt lgkmcnt(0)
	v_mul_hi_u32 v1, s5, v4
	s_delay_alu instid0(VALU_DEP_1) | instskip(NEXT) | instid1(VALU_DEP_1)
	v_add_nc_u32_e32 v1, v4, v1
	v_lshrrev_b32_e32 v8, s6, v1
	s_delay_alu instid0(VALU_DEP_1) | instskip(NEXT) | instid1(VALU_DEP_1)
	v_mul_lo_u32 v1, v8, s4
	v_sub_nc_u32_e32 v4, v4, v1
	s_delay_alu instid0(VALU_DEP_1)
	v_mul_lo_u32 v1, v4, s2
	v_mul_lo_u32 v5, v4, s3
	s_cbranch_scc1 .LBB89_1116
; %bb.1115:
	s_clause 0x1
	s_load_b128 s[4:7], s[16:17], 0x10
	s_load_b64 s[2:3], s[16:17], 0xcc
	s_waitcnt lgkmcnt(0)
	v_mul_hi_u32 v4, s5, v8
	s_delay_alu instid0(VALU_DEP_1) | instskip(NEXT) | instid1(VALU_DEP_1)
	v_add_nc_u32_e32 v4, v8, v4
	v_lshrrev_b32_e32 v4, s6, v4
	s_delay_alu instid0(VALU_DEP_1) | instskip(NEXT) | instid1(VALU_DEP_1)
	v_mul_lo_u32 v4, v4, s4
	v_sub_nc_u32_e32 v4, v8, v4
	s_delay_alu instid0(VALU_DEP_1) | instskip(SKIP_2) | instid1(VALU_DEP_2)
	v_mad_u64_u32 v[10:11], null, v4, s2, v[1:2]
	s_waitcnt vmcnt(0)
	v_mad_u64_u32 v[11:12], null, v4, s3, v[5:6]
	v_mov_b32_e32 v1, v10
	s_delay_alu instid0(VALU_DEP_2)
	v_mov_b32_e32 v5, v11
.LBB89_1116:
	v_cmp_ne_u32_e32 vcc_lo, 1, v0
	s_cbranch_vccnz .LBB89_1122
; %bb.1117:
	v_mov_b32_e32 v0, 0
	v_mov_b32_e32 v4, 0
	s_cmp_lg_u32 s24, 0
	s_mov_b32 s6, 0
	s_cbranch_scc0 .LBB89_1126
; %bb.1118:
	s_min_u32 s7, s25, 15
	v_mov_b32_e32 v0, 0
	s_add_i32 s7, s7, 1
	s_cmp_eq_u32 s25, 2
	s_mov_b32 s10, 0
	s_cbranch_scc1 .LBB89_1123
; %bb.1119:
	v_mov_b32_e32 v4, 0
	v_mov_b32_e32 v0, 0
	;; [unrolled: 1-line block ×3, first 2 shown]
	s_add_u32 s2, s16, 0xc4
	s_addc_u32 s3, s17, 0
	s_and_b32 s10, s7, 28
	s_mov_b32 s11, 0
	s_mov_b64 s[4:5], s[16:17]
.LBB89_1120:                            ; =>This Inner Loop Header: Depth=1
	s_clause 0x1
	s_load_b256 s[36:43], s[4:5], 0x4
	s_load_b128 s[12:15], s[4:5], 0x24
	s_load_b256 s[44:51], s[2:3], 0x0
	s_add_u32 s4, s4, 48
	s_addc_u32 s5, s5, 0
	s_add_i32 s11, s11, 4
	s_add_u32 s2, s2, 32
	s_addc_u32 s3, s3, 0
	s_cmp_lg_u32 s10, s11
	s_waitcnt lgkmcnt(0)
	v_mul_hi_u32 v10, s37, v8
	s_delay_alu instid0(VALU_DEP_1) | instskip(NEXT) | instid1(VALU_DEP_1)
	v_add_nc_u32_e32 v10, v8, v10
	v_lshrrev_b32_e32 v10, s38, v10
	s_delay_alu instid0(VALU_DEP_1) | instskip(SKIP_1) | instid1(VALU_DEP_2)
	v_mul_hi_u32 v11, s40, v10
	v_mul_lo_u32 v13, v10, s36
	v_add_nc_u32_e32 v11, v10, v11
	s_delay_alu instid0(VALU_DEP_2) | instskip(NEXT) | instid1(VALU_DEP_2)
	v_sub_nc_u32_e32 v8, v8, v13
	v_lshrrev_b32_e32 v11, s41, v11
	s_delay_alu instid0(VALU_DEP_2) | instskip(SKIP_1) | instid1(VALU_DEP_3)
	v_mul_lo_u32 v13, v8, s44
	v_mul_lo_u32 v15, v8, s45
	v_mul_hi_u32 v12, s43, v11
	s_delay_alu instid0(VALU_DEP_1) | instskip(NEXT) | instid1(VALU_DEP_1)
	v_add_nc_u32_e32 v12, v11, v12
	v_lshrrev_b32_e32 v12, s12, v12
	s_delay_alu instid0(VALU_DEP_1) | instskip(SKIP_1) | instid1(VALU_DEP_2)
	v_mul_hi_u32 v14, s14, v12
	v_mul_lo_u32 v16, v12, s42
	v_add_nc_u32_e32 v8, v12, v14
	v_mul_lo_u32 v14, v11, s39
	s_delay_alu instid0(VALU_DEP_3) | instskip(NEXT) | instid1(VALU_DEP_3)
	v_sub_nc_u32_e32 v11, v11, v16
	v_lshrrev_b32_e32 v8, s15, v8
	s_delay_alu instid0(VALU_DEP_2) | instskip(SKIP_2) | instid1(VALU_DEP_4)
	v_mul_lo_u32 v16, v11, s48
	v_mul_lo_u32 v11, v11, s49
	v_sub_nc_u32_e32 v10, v10, v14
	v_mul_lo_u32 v17, v8, s13
	s_delay_alu instid0(VALU_DEP_2) | instskip(SKIP_1) | instid1(VALU_DEP_3)
	v_mul_lo_u32 v14, v10, s46
	v_mul_lo_u32 v10, v10, s47
	v_sub_nc_u32_e32 v12, v12, v17
	s_delay_alu instid0(VALU_DEP_3) | instskip(NEXT) | instid1(VALU_DEP_2)
	v_add3_u32 v0, v13, v0, v14
	v_mul_lo_u32 v17, v12, s50
	v_mul_lo_u32 v12, v12, s51
	v_add3_u32 v4, v15, v4, v10
	s_delay_alu instid0(VALU_DEP_3) | instskip(NEXT) | instid1(VALU_DEP_2)
	v_add3_u32 v0, v16, v0, v17
	v_add3_u32 v4, v11, v4, v12
	s_cbranch_scc1 .LBB89_1120
; %bb.1121:
	s_and_b32 s7, s7, 3
	s_delay_alu instid0(SALU_CYCLE_1)
	s_cmp_eq_u32 s7, 0
	s_cbranch_scc0 .LBB89_1124
	s_branch .LBB89_1126
.LBB89_1122:
	s_mov_b32 s6, -1
                                        ; implicit-def: $vgpr0
                                        ; implicit-def: $vgpr4
	s_branch .LBB89_1126
.LBB89_1123:
	v_mov_b32_e32 v8, v9
	v_mov_b32_e32 v4, 0
	s_and_b32 s7, s7, 3
	s_delay_alu instid0(SALU_CYCLE_1)
	s_cmp_eq_u32 s7, 0
	s_cbranch_scc1 .LBB89_1126
.LBB89_1124:
	s_lshl_b32 s2, s10, 3
	s_mul_i32 s4, s10, 12
	s_add_u32 s2, s2, s16
	s_addc_u32 s3, 0, s17
	s_add_u32 s2, s2, 0xc4
	s_addc_u32 s3, s3, 0
	;; [unrolled: 2-line block ×3, first 2 shown]
	.p2align	6
.LBB89_1125:                            ; =>This Inner Loop Header: Depth=1
	s_clause 0x1
	s_load_b64 s[10:11], s[4:5], 0x4
	s_load_b32 s14, s[4:5], 0xc
	s_load_b64 s[12:13], s[2:3], 0x0
	s_add_u32 s4, s4, 12
	s_addc_u32 s5, s5, 0
	s_add_u32 s2, s2, 8
	s_addc_u32 s3, s3, 0
	s_add_i32 s7, s7, -1
	s_delay_alu instid0(SALU_CYCLE_1) | instskip(SKIP_2) | instid1(VALU_DEP_1)
	s_cmp_lg_u32 s7, 0
	s_waitcnt lgkmcnt(0)
	v_mul_hi_u32 v10, s11, v8
	v_add_nc_u32_e32 v10, v8, v10
	s_delay_alu instid0(VALU_DEP_1) | instskip(NEXT) | instid1(VALU_DEP_1)
	v_lshrrev_b32_e32 v13, s14, v10
	v_mul_lo_u32 v10, v13, s10
	s_delay_alu instid0(VALU_DEP_1) | instskip(NEXT) | instid1(VALU_DEP_1)
	v_sub_nc_u32_e32 v8, v8, v10
	v_mad_u64_u32 v[10:11], null, v8, s12, v[0:1]
	v_mad_u64_u32 v[11:12], null, v8, s13, v[4:5]
	v_mov_b32_e32 v8, v13
	s_delay_alu instid0(VALU_DEP_3) | instskip(NEXT) | instid1(VALU_DEP_3)
	v_mov_b32_e32 v0, v10
	v_mov_b32_e32 v4, v11
	s_cbranch_scc1 .LBB89_1125
.LBB89_1126:
	s_and_not1_b32 vcc_lo, exec_lo, s6
	s_cbranch_vccnz .LBB89_1129
; %bb.1127:
	s_clause 0x1
	s_load_b128 s[4:7], s[16:17], 0x4
	s_load_b64 s[2:3], s[16:17], 0xc4
	s_cmp_lt_u32 s24, 2
	s_waitcnt lgkmcnt(0)
	v_mul_hi_u32 v0, s5, v9
	s_delay_alu instid0(VALU_DEP_1) | instskip(NEXT) | instid1(VALU_DEP_1)
	v_add_nc_u32_e32 v0, v9, v0
	v_lshrrev_b32_e32 v8, s6, v0
	s_delay_alu instid0(VALU_DEP_1) | instskip(NEXT) | instid1(VALU_DEP_1)
	v_mul_lo_u32 v0, v8, s4
	v_sub_nc_u32_e32 v4, v9, v0
	s_delay_alu instid0(VALU_DEP_1)
	v_mul_lo_u32 v0, v4, s2
	v_mul_lo_u32 v4, v4, s3
	s_cbranch_scc1 .LBB89_1129
; %bb.1128:
	s_clause 0x1
	s_load_b128 s[4:7], s[16:17], 0x10
	s_load_b64 s[2:3], s[16:17], 0xcc
	s_waitcnt lgkmcnt(0)
	v_mul_hi_u32 v9, s5, v8
	s_delay_alu instid0(VALU_DEP_1) | instskip(NEXT) | instid1(VALU_DEP_1)
	v_add_nc_u32_e32 v9, v8, v9
	v_lshrrev_b32_e32 v9, s6, v9
	s_delay_alu instid0(VALU_DEP_1) | instskip(NEXT) | instid1(VALU_DEP_1)
	v_mul_lo_u32 v9, v9, s4
	v_sub_nc_u32_e32 v11, v8, v9
	s_delay_alu instid0(VALU_DEP_1) | instskip(SKIP_1) | instid1(VALU_DEP_2)
	v_mad_u64_u32 v[8:9], null, v11, s2, v[0:1]
	v_mad_u64_u32 v[9:10], null, v11, s3, v[4:5]
	v_mov_b32_e32 v0, v8
	s_delay_alu instid0(VALU_DEP_2)
	v_mov_b32_e32 v4, v9
.LBB89_1129:
	s_clause 0x1
	s_load_b32 s0, s[0:1], 0x160
	s_load_b128 s[4:7], s[16:17], 0x148
	s_mov_b32 s3, 0
	s_waitcnt lgkmcnt(0)
	s_lshr_b32 s1, s0, 16
	s_delay_alu instid0(SALU_CYCLE_1) | instskip(SKIP_1) | instid1(VALU_DEP_1)
	v_and_b32_e64 v9, 0xff, s1
	v_add_co_u32 v7, s1, s6, v7
	v_add_co_ci_u32_e64 v8, null, s7, 0, s1
	s_delay_alu instid0(VALU_DEP_3)
	v_cmp_gt_i16_e32 vcc_lo, 11, v9
	s_cbranch_vccnz .LBB89_1136
; %bb.1130:
	v_cmp_lt_i16_e32 vcc_lo, 25, v9
	s_mov_b32 s2, 0
	s_cbranch_vccz .LBB89_1142
; %bb.1131:
	v_cmp_lt_i16_e32 vcc_lo, 28, v9
	s_cbranch_vccz .LBB89_1144
; %bb.1132:
	v_cmp_lt_i16_e32 vcc_lo, 43, v9
	;; [unrolled: 3-line block ×3, first 2 shown]
	s_cbranch_vccz .LBB89_1150
; %bb.1134:
	v_cmp_eq_u16_e32 vcc_lo, 46, v9
	s_mov_b32 s10, 0
	s_cbranch_vccz .LBB89_1192
; %bb.1135:
	global_load_b32 v10, v[7:8], off
	s_mov_b32 s1, 0
	s_mov_b32 s3, -1
	s_waitcnt vmcnt(0)
	v_lshlrev_b32_e32 v12, 16, v10
	s_branch .LBB89_1194
.LBB89_1136:
	s_mov_b32 s1, s8
                                        ; implicit-def: $vgpr12
	s_cbranch_execz .LBB89_1257
; %bb.1137:
	v_cmp_gt_i16_e32 vcc_lo, 5, v9
	s_cbranch_vccnz .LBB89_1143
; %bb.1138:
	v_cmp_gt_i16_e32 vcc_lo, 8, v9
	s_cbranch_vccnz .LBB89_1145
	;; [unrolled: 3-line block ×3, first 2 shown]
; %bb.1140:
	v_cmp_lt_i16_e32 vcc_lo, 9, v9
	s_cbranch_vccz .LBB89_1151
; %bb.1141:
	global_load_b64 v[10:11], v[7:8], off
	s_mov_b32 s2, 0
	s_waitcnt vmcnt(0)
	v_cvt_f32_f64_e32 v12, v[10:11]
	s_branch .LBB89_1152
.LBB89_1142:
	s_mov_b32 s1, 0
                                        ; implicit-def: $vgpr12
	s_cbranch_execnz .LBB89_1222
	s_branch .LBB89_1253
.LBB89_1143:
                                        ; implicit-def: $vgpr12
	s_branch .LBB89_1169
.LBB89_1144:
	s_mov_b32 s10, -1
	s_mov_b32 s1, 0
                                        ; implicit-def: $vgpr12
	s_branch .LBB89_1203
.LBB89_1145:
                                        ; implicit-def: $vgpr12
	s_branch .LBB89_1158
.LBB89_1146:
	s_mov_b32 s1, 0
                                        ; implicit-def: $vgpr12
	s_cbranch_execnz .LBB89_1199
	s_branch .LBB89_1202
.LBB89_1147:
	s_mov_b32 s2, -1
                                        ; implicit-def: $vgpr12
	s_branch .LBB89_1155
.LBB89_1148:
	s_cbranch_execnz .LBB89_1190
; %bb.1149:
	s_or_b32 s3, s3, exec_lo
	s_and_not1_b32 s8, s8, exec_lo
	s_or_b32 exec_lo, exec_lo, s2
	s_and_saveexec_b32 s2, s8
	s_delay_alu instid0(SALU_CYCLE_1)
	s_xor_b32 s2, exec_lo, s2
	s_cbranch_execnz .LBB89_1036
	s_branch .LBB89_1037
.LBB89_1150:
	s_mov_b32 s10, -1
	s_mov_b32 s1, 0
	s_branch .LBB89_1193
.LBB89_1151:
	s_mov_b32 s2, -1
                                        ; implicit-def: $vgpr12
.LBB89_1152:
	s_delay_alu instid0(SALU_CYCLE_1)
	s_and_not1_b32 vcc_lo, exec_lo, s2
	s_cbranch_vccnz .LBB89_1154
; %bb.1153:
	global_load_b32 v12, v[7:8], off
.LBB89_1154:
	s_mov_b32 s2, 0
.LBB89_1155:
	s_delay_alu instid0(SALU_CYCLE_1)
	s_and_not1_b32 vcc_lo, exec_lo, s2
	s_cbranch_vccnz .LBB89_1157
; %bb.1156:
	global_load_b32 v10, v[7:8], off
	s_waitcnt vmcnt(0)
	v_cvt_f32_f16_e32 v12, v10
.LBB89_1157:
	s_cbranch_execnz .LBB89_1168
.LBB89_1158:
	v_cmp_gt_i16_e32 vcc_lo, 6, v9
	s_cbranch_vccnz .LBB89_1161
; %bb.1159:
	v_cmp_lt_i16_e32 vcc_lo, 6, v9
	s_cbranch_vccz .LBB89_1162
; %bb.1160:
	global_load_b64 v[10:11], v[7:8], off
	s_mov_b32 s2, 0
	s_waitcnt vmcnt(0)
	v_cvt_f32_f64_e32 v12, v[10:11]
	s_branch .LBB89_1163
.LBB89_1161:
	s_mov_b32 s2, -1
                                        ; implicit-def: $vgpr12
	s_branch .LBB89_1166
.LBB89_1162:
	s_mov_b32 s2, -1
                                        ; implicit-def: $vgpr12
.LBB89_1163:
	s_delay_alu instid0(SALU_CYCLE_1)
	s_and_not1_b32 vcc_lo, exec_lo, s2
	s_cbranch_vccnz .LBB89_1165
; %bb.1164:
	global_load_b32 v12, v[7:8], off
.LBB89_1165:
	s_mov_b32 s2, 0
.LBB89_1166:
	s_delay_alu instid0(SALU_CYCLE_1)
	s_and_not1_b32 vcc_lo, exec_lo, s2
	s_cbranch_vccnz .LBB89_1168
; %bb.1167:
	global_load_u16 v10, v[7:8], off
	s_waitcnt vmcnt(0)
	v_cvt_f32_f16_e32 v12, v10
.LBB89_1168:
	s_cbranch_execnz .LBB89_1187
.LBB89_1169:
	v_cmp_gt_i16_e32 vcc_lo, 2, v9
	s_cbranch_vccnz .LBB89_1173
; %bb.1170:
	v_cmp_gt_i16_e32 vcc_lo, 3, v9
	s_cbranch_vccnz .LBB89_1174
; %bb.1171:
	v_cmp_lt_i16_e32 vcc_lo, 3, v9
	s_cbranch_vccz .LBB89_1175
; %bb.1172:
	global_load_b64 v[10:11], v[7:8], off
	s_mov_b32 s2, 0
	s_waitcnt vmcnt(0)
	v_xor_b32_e32 v12, v10, v11
	v_cls_i32_e32 v13, v11
	s_delay_alu instid0(VALU_DEP_2) | instskip(NEXT) | instid1(VALU_DEP_2)
	v_ashrrev_i32_e32 v12, 31, v12
	v_add_nc_u32_e32 v13, -1, v13
	s_delay_alu instid0(VALU_DEP_2) | instskip(NEXT) | instid1(VALU_DEP_1)
	v_add_nc_u32_e32 v12, 32, v12
	v_min_u32_e32 v12, v13, v12
	s_delay_alu instid0(VALU_DEP_1) | instskip(NEXT) | instid1(VALU_DEP_1)
	v_lshlrev_b64 v[10:11], v12, v[10:11]
	v_min_u32_e32 v10, 1, v10
	s_delay_alu instid0(VALU_DEP_1) | instskip(SKIP_1) | instid1(VALU_DEP_2)
	v_or_b32_e32 v10, v11, v10
	v_sub_nc_u32_e32 v11, 32, v12
	v_cvt_f32_i32_e32 v10, v10
	s_delay_alu instid0(VALU_DEP_1)
	v_ldexp_f32 v12, v10, v11
	s_branch .LBB89_1176
.LBB89_1173:
                                        ; implicit-def: $vgpr12
	s_branch .LBB89_1182
.LBB89_1174:
	s_mov_b32 s2, -1
                                        ; implicit-def: $vgpr12
	s_branch .LBB89_1179
.LBB89_1175:
	s_mov_b32 s2, -1
                                        ; implicit-def: $vgpr12
.LBB89_1176:
	s_delay_alu instid0(SALU_CYCLE_1)
	s_and_not1_b32 vcc_lo, exec_lo, s2
	s_cbranch_vccnz .LBB89_1178
; %bb.1177:
	global_load_b32 v10, v[7:8], off
	s_waitcnt vmcnt(0)
	v_cvt_f32_i32_e32 v12, v10
.LBB89_1178:
	s_mov_b32 s2, 0
.LBB89_1179:
	s_delay_alu instid0(SALU_CYCLE_1)
	s_and_not1_b32 vcc_lo, exec_lo, s2
	s_cbranch_vccnz .LBB89_1181
; %bb.1180:
	global_load_i16 v10, v[7:8], off
	s_waitcnt vmcnt(0)
	v_cvt_f32_i32_e32 v12, v10
.LBB89_1181:
	s_cbranch_execnz .LBB89_1187
.LBB89_1182:
	v_cmp_lt_i16_e32 vcc_lo, 0, v9
	s_mov_b32 s2, 0
	s_cbranch_vccz .LBB89_1184
; %bb.1183:
	global_load_i8 v10, v[7:8], off
	s_waitcnt vmcnt(0)
	v_cvt_f32_i32_e32 v12, v10
	s_branch .LBB89_1185
.LBB89_1184:
	s_mov_b32 s2, -1
                                        ; implicit-def: $vgpr12
.LBB89_1185:
	s_delay_alu instid0(SALU_CYCLE_1)
	s_and_not1_b32 vcc_lo, exec_lo, s2
	s_cbranch_vccnz .LBB89_1187
; %bb.1186:
	global_load_u8 v7, v[7:8], off
	s_waitcnt vmcnt(0)
	v_cvt_f32_ubyte0_e32 v12, v7
.LBB89_1187:
	s_branch .LBB89_1258
.LBB89_1188:
	s_trap 2
	s_sendmsg_rtn_b32 s0, sendmsg(MSG_RTN_GET_DOORBELL)
	s_mov_b32 ttmp2, m0
	s_waitcnt lgkmcnt(0)
	s_and_b32 s0, s0, 0x3ff
	s_delay_alu instid0(SALU_CYCLE_1) | instskip(NEXT) | instid1(SALU_CYCLE_1)
	s_bitset1_b32 s0, 10
	s_mov_b32 m0, s0
	s_sendmsg sendmsg(MSG_INTERRUPT)
	s_mov_b32 m0, ttmp2
.LBB89_1189:                            ; =>This Inner Loop Header: Depth=1
	s_sethalt 5
	s_branch .LBB89_1189
.LBB89_1190:
	s_trap 2
	s_sendmsg_rtn_b32 s0, sendmsg(MSG_RTN_GET_DOORBELL)
	s_mov_b32 ttmp2, m0
	s_waitcnt lgkmcnt(0)
	s_and_b32 s0, s0, 0x3ff
	s_delay_alu instid0(SALU_CYCLE_1) | instskip(NEXT) | instid1(SALU_CYCLE_1)
	s_bitset1_b32 s0, 10
	s_mov_b32 m0, s0
	s_sendmsg sendmsg(MSG_INTERRUPT)
	s_mov_b32 m0, ttmp2
.LBB89_1191:                            ; =>This Inner Loop Header: Depth=1
	s_sethalt 5
	s_branch .LBB89_1191
.LBB89_1192:
	s_mov_b32 s1, -1
.LBB89_1193:
                                        ; implicit-def: $vgpr12
.LBB89_1194:
	s_and_b32 vcc_lo, exec_lo, s10
	s_cbranch_vccz .LBB89_1197
; %bb.1195:
	v_cmp_eq_u16_e32 vcc_lo, 44, v9
	s_cbranch_vccz .LBB89_1198
; %bb.1196:
	global_load_u8 v10, v[7:8], off
	s_mov_b32 s1, 0
	s_mov_b32 s3, -1
	s_waitcnt vmcnt(0)
	v_lshlrev_b32_e32 v11, 23, v10
	v_cmp_ne_u32_e32 vcc_lo, 0xff, v10
	s_delay_alu instid0(VALU_DEP_2) | instskip(SKIP_1) | instid1(VALU_DEP_2)
	v_cndmask_b32_e32 v11, 0x7f800001, v11, vcc_lo
	v_cmp_ne_u32_e32 vcc_lo, 0, v10
	v_cndmask_b32_e32 v12, 0x400000, v11, vcc_lo
.LBB89_1197:
	s_branch .LBB89_1202
.LBB89_1198:
	s_mov_b32 s1, -1
                                        ; implicit-def: $vgpr12
	s_branch .LBB89_1202
.LBB89_1199:
	v_cmp_eq_u16_e32 vcc_lo, 29, v9
	s_cbranch_vccz .LBB89_1201
; %bb.1200:
	global_load_b64 v[10:11], v[7:8], off
	s_mov_b32 s1, 0
	s_mov_b32 s3, -1
	s_mov_b32 s10, 0
	s_waitcnt vmcnt(0)
	v_clz_i32_u32_e32 v12, v11
	s_delay_alu instid0(VALU_DEP_1) | instskip(NEXT) | instid1(VALU_DEP_1)
	v_min_u32_e32 v12, 32, v12
	v_lshlrev_b64 v[10:11], v12, v[10:11]
	s_delay_alu instid0(VALU_DEP_1) | instskip(NEXT) | instid1(VALU_DEP_1)
	v_min_u32_e32 v10, 1, v10
	v_or_b32_e32 v10, v11, v10
	v_sub_nc_u32_e32 v11, 32, v12
	s_delay_alu instid0(VALU_DEP_2) | instskip(NEXT) | instid1(VALU_DEP_1)
	v_cvt_f32_u32_e32 v10, v10
	v_ldexp_f32 v12, v10, v11
	s_branch .LBB89_1203
.LBB89_1201:
	s_mov_b32 s1, -1
                                        ; implicit-def: $vgpr12
.LBB89_1202:
	s_mov_b32 s10, 0
.LBB89_1203:
	s_delay_alu instid0(SALU_CYCLE_1)
	s_and_b32 vcc_lo, exec_lo, s10
	s_cbranch_vccz .LBB89_1221
; %bb.1204:
	v_cmp_gt_i16_e32 vcc_lo, 27, v9
	s_cbranch_vccnz .LBB89_1207
; %bb.1205:
	v_cmp_lt_i16_e32 vcc_lo, 27, v9
	s_cbranch_vccz .LBB89_1208
; %bb.1206:
	global_load_b32 v10, v[7:8], off
	s_mov_b32 s3, 0
	s_waitcnt vmcnt(0)
	v_cvt_f32_u32_e32 v12, v10
	s_branch .LBB89_1209
.LBB89_1207:
	s_mov_b32 s3, -1
                                        ; implicit-def: $vgpr12
	s_branch .LBB89_1212
.LBB89_1208:
	s_mov_b32 s3, -1
                                        ; implicit-def: $vgpr12
.LBB89_1209:
	s_delay_alu instid0(SALU_CYCLE_1)
	s_and_not1_b32 vcc_lo, exec_lo, s3
	s_cbranch_vccnz .LBB89_1211
; %bb.1210:
	global_load_u16 v10, v[7:8], off
	s_waitcnt vmcnt(0)
	v_cvt_f32_u32_e32 v12, v10
.LBB89_1211:
	s_mov_b32 s3, 0
.LBB89_1212:
	s_delay_alu instid0(SALU_CYCLE_1)
	s_and_not1_b32 vcc_lo, exec_lo, s3
	s_cbranch_vccnz .LBB89_1220
; %bb.1213:
	global_load_u8 v10, v[7:8], off
	s_mov_b32 s3, 0
	s_mov_b32 s11, exec_lo
                                        ; implicit-def: $sgpr10
	s_waitcnt vmcnt(0)
	v_cmpx_lt_i16_e32 0x7f, v10
	s_xor_b32 s11, exec_lo, s11
	s_cbranch_execz .LBB89_1233
; %bb.1214:
	s_mov_b32 s3, -1
	s_mov_b32 s12, exec_lo
                                        ; implicit-def: $sgpr10
	v_cmpx_eq_u16_e32 0x80, v10
; %bb.1215:
	s_mov_b32 s10, 0x7f800001
	s_xor_b32 s3, exec_lo, -1
; %bb.1216:
	s_or_b32 exec_lo, exec_lo, s12
	s_delay_alu instid0(SALU_CYCLE_1)
	s_and_b32 s3, s3, exec_lo
	s_or_saveexec_b32 s11, s11
	v_mov_b32_e32 v12, s10
	s_xor_b32 exec_lo, exec_lo, s11
	s_cbranch_execnz .LBB89_1234
.LBB89_1217:
	s_or_b32 exec_lo, exec_lo, s11
	s_and_saveexec_b32 s10, s3
	s_cbranch_execz .LBB89_1219
.LBB89_1218:
	v_and_b32_e32 v11, 0xffff, v10
	v_lshlrev_b32_e32 v10, 24, v10
	s_delay_alu instid0(VALU_DEP_2) | instskip(NEXT) | instid1(VALU_DEP_2)
	v_and_b32_e32 v12, 7, v11
	v_and_b32_e32 v10, 0x80000000, v10
	s_delay_alu instid0(VALU_DEP_2) | instskip(NEXT) | instid1(VALU_DEP_1)
	v_clz_i32_u32_e32 v13, v12
	v_min_u32_e32 v13, 32, v13
	s_delay_alu instid0(VALU_DEP_1) | instskip(SKIP_1) | instid1(VALU_DEP_2)
	v_subrev_nc_u32_e32 v14, 28, v13
	v_sub_nc_u32_e32 v13, 29, v13
	v_lshlrev_b32_e32 v14, v14, v11
	v_bfe_u32 v11, v11, 3, 4
	s_delay_alu instid0(VALU_DEP_2) | instskip(NEXT) | instid1(VALU_DEP_2)
	v_and_b32_e32 v14, 7, v14
	v_cmp_eq_u32_e32 vcc_lo, 0, v11
	s_delay_alu instid0(VALU_DEP_2) | instskip(NEXT) | instid1(VALU_DEP_1)
	v_dual_cndmask_b32 v11, v11, v13 :: v_dual_cndmask_b32 v12, v12, v14
	v_lshl_add_u32 v11, v11, 23, 0x3b800000
	s_delay_alu instid0(VALU_DEP_2) | instskip(NEXT) | instid1(VALU_DEP_1)
	v_lshlrev_b32_e32 v12, 20, v12
	v_or3_b32 v12, v10, v11, v12
.LBB89_1219:
	s_or_b32 exec_lo, exec_lo, s10
.LBB89_1220:
	s_mov_b32 s3, -1
.LBB89_1221:
	s_branch .LBB89_1253
.LBB89_1222:
	v_cmp_lt_i16_e32 vcc_lo, 22, v9
	s_cbranch_vccz .LBB89_1232
; %bb.1223:
	v_cmp_gt_i16_e32 vcc_lo, 24, v9
	s_cbranch_vccnz .LBB89_1235
; %bb.1224:
	v_cmp_lt_i16_e32 vcc_lo, 24, v9
	s_cbranch_vccz .LBB89_1236
; %bb.1225:
	global_load_u8 v10, v[7:8], off
	s_mov_b32 s10, exec_lo
                                        ; implicit-def: $sgpr3
	s_waitcnt vmcnt(0)
	v_cmpx_lt_i16_e32 0x7f, v10
	s_xor_b32 s10, exec_lo, s10
	s_cbranch_execz .LBB89_1247
; %bb.1226:
	s_mov_b32 s2, -1
	s_mov_b32 s11, exec_lo
                                        ; implicit-def: $sgpr3
	v_cmpx_eq_u16_e32 0x80, v10
; %bb.1227:
	s_mov_b32 s3, 0x7f800001
	s_xor_b32 s2, exec_lo, -1
; %bb.1228:
	s_or_b32 exec_lo, exec_lo, s11
	s_delay_alu instid0(SALU_CYCLE_1)
	s_and_b32 s2, s2, exec_lo
	s_or_saveexec_b32 s10, s10
	v_mov_b32_e32 v12, s3
	s_xor_b32 exec_lo, exec_lo, s10
	s_cbranch_execnz .LBB89_1248
.LBB89_1229:
	s_or_b32 exec_lo, exec_lo, s10
	s_and_saveexec_b32 s3, s2
	s_cbranch_execz .LBB89_1231
.LBB89_1230:
	v_and_b32_e32 v11, 0xffff, v10
	v_lshlrev_b32_e32 v10, 24, v10
	s_delay_alu instid0(VALU_DEP_2) | instskip(NEXT) | instid1(VALU_DEP_2)
	v_and_b32_e32 v12, 3, v11
	v_and_b32_e32 v10, 0x80000000, v10
	s_delay_alu instid0(VALU_DEP_2) | instskip(NEXT) | instid1(VALU_DEP_1)
	v_clz_i32_u32_e32 v13, v12
	v_min_u32_e32 v13, 32, v13
	s_delay_alu instid0(VALU_DEP_1) | instskip(SKIP_1) | instid1(VALU_DEP_2)
	v_subrev_nc_u32_e32 v14, 29, v13
	v_sub_nc_u32_e32 v13, 30, v13
	v_lshlrev_b32_e32 v14, v14, v11
	v_bfe_u32 v11, v11, 2, 5
	s_delay_alu instid0(VALU_DEP_2) | instskip(NEXT) | instid1(VALU_DEP_2)
	v_and_b32_e32 v14, 3, v14
	v_cmp_eq_u32_e32 vcc_lo, 0, v11
	s_delay_alu instid0(VALU_DEP_2) | instskip(NEXT) | instid1(VALU_DEP_1)
	v_dual_cndmask_b32 v11, v11, v13 :: v_dual_cndmask_b32 v12, v12, v14
	v_lshl_add_u32 v11, v11, 23, 0x37800000
	s_delay_alu instid0(VALU_DEP_2) | instskip(NEXT) | instid1(VALU_DEP_1)
	v_lshlrev_b32_e32 v12, 21, v12
	v_or3_b32 v12, v10, v11, v12
.LBB89_1231:
	s_or_b32 exec_lo, exec_lo, s3
	s_mov_b32 s2, 0
	s_branch .LBB89_1237
.LBB89_1232:
                                        ; implicit-def: $vgpr12
	s_mov_b32 s2, 0
	s_branch .LBB89_1243
.LBB89_1233:
	s_or_saveexec_b32 s11, s11
	v_mov_b32_e32 v12, s10
	s_xor_b32 exec_lo, exec_lo, s11
	s_cbranch_execz .LBB89_1217
.LBB89_1234:
	v_cmp_ne_u16_e32 vcc_lo, 0, v10
	v_mov_b32_e32 v12, 0
	s_and_not1_b32 s3, s3, exec_lo
	s_and_b32 s10, vcc_lo, exec_lo
	s_delay_alu instid0(SALU_CYCLE_1)
	s_or_b32 s3, s3, s10
	s_or_b32 exec_lo, exec_lo, s11
	s_and_saveexec_b32 s10, s3
	s_cbranch_execnz .LBB89_1218
	s_branch .LBB89_1219
.LBB89_1235:
	s_mov_b32 s2, -1
                                        ; implicit-def: $vgpr12
	s_branch .LBB89_1240
.LBB89_1236:
	s_mov_b32 s2, -1
                                        ; implicit-def: $vgpr12
.LBB89_1237:
	s_delay_alu instid0(SALU_CYCLE_1)
	s_and_b32 vcc_lo, exec_lo, s2
	s_cbranch_vccz .LBB89_1239
; %bb.1238:
	global_load_u8 v10, v[7:8], off
	s_waitcnt vmcnt(0)
	v_lshlrev_b32_e32 v10, 24, v10
	s_delay_alu instid0(VALU_DEP_1) | instskip(NEXT) | instid1(VALU_DEP_1)
	v_and_b32_e32 v11, 0x7f000000, v10
	v_clz_i32_u32_e32 v12, v11
	v_add_nc_u32_e32 v14, 0x1000000, v11
	v_cmp_ne_u32_e32 vcc_lo, 0, v11
	s_delay_alu instid0(VALU_DEP_3) | instskip(NEXT) | instid1(VALU_DEP_1)
	v_min_u32_e32 v12, 32, v12
	v_sub_nc_u32_e64 v12, v12, 4 clamp
	s_delay_alu instid0(VALU_DEP_1) | instskip(SKIP_1) | instid1(VALU_DEP_2)
	v_lshlrev_b32_e32 v13, v12, v11
	v_lshlrev_b32_e32 v12, 23, v12
	v_lshrrev_b32_e32 v13, 4, v13
	s_delay_alu instid0(VALU_DEP_1) | instskip(SKIP_1) | instid1(VALU_DEP_2)
	v_sub_nc_u32_e32 v12, v13, v12
	v_ashrrev_i32_e32 v13, 8, v14
	v_add_nc_u32_e32 v12, 0x3c000000, v12
	s_delay_alu instid0(VALU_DEP_1) | instskip(NEXT) | instid1(VALU_DEP_1)
	v_and_or_b32 v12, 0x7f800000, v13, v12
	v_cndmask_b32_e32 v11, 0, v12, vcc_lo
	s_delay_alu instid0(VALU_DEP_1)
	v_and_or_b32 v12, 0x80000000, v10, v11
.LBB89_1239:
	s_mov_b32 s2, 0
.LBB89_1240:
	s_delay_alu instid0(SALU_CYCLE_1)
	s_and_not1_b32 vcc_lo, exec_lo, s2
	s_cbranch_vccnz .LBB89_1242
; %bb.1241:
	global_load_u8 v10, v[7:8], off
	s_waitcnt vmcnt(0)
	v_lshlrev_b32_e32 v11, 25, v10
	v_lshlrev_b16 v10, 8, v10
	s_delay_alu instid0(VALU_DEP_2) | instskip(NEXT) | instid1(VALU_DEP_2)
	v_lshrrev_b32_e32 v12, 4, v11
	v_and_or_b32 v13, 0x7f00, v10, 0.5
	v_bfe_i32 v10, v10, 0, 16
	s_delay_alu instid0(VALU_DEP_3) | instskip(NEXT) | instid1(VALU_DEP_1)
	v_or_b32_e32 v12, 0x70000000, v12
	v_dual_add_f32 v13, -0.5, v13 :: v_dual_mul_f32 v12, 0x7800000, v12
	v_cmp_gt_u32_e32 vcc_lo, 0x8000000, v11
	s_delay_alu instid0(VALU_DEP_2) | instskip(NEXT) | instid1(VALU_DEP_1)
	v_cndmask_b32_e32 v11, v12, v13, vcc_lo
	v_and_or_b32 v12, 0x80000000, v10, v11
.LBB89_1242:
	s_mov_b32 s3, -1
	s_mov_b32 s2, 0
	s_cbranch_execnz .LBB89_1253
.LBB89_1243:
	v_cmp_lt_i16_e32 vcc_lo, 14, v9
	s_cbranch_vccz .LBB89_1246
; %bb.1244:
	v_cmp_eq_u16_e32 vcc_lo, 15, v9
	s_cbranch_vccz .LBB89_1249
; %bb.1245:
	global_load_u16 v10, v[7:8], off
	s_mov_b32 s1, 0
	s_mov_b32 s3, -1
	s_waitcnt vmcnt(0)
	v_lshlrev_b32_e32 v12, 16, v10
	s_branch .LBB89_1251
.LBB89_1246:
	s_mov_b32 s2, -1
	s_branch .LBB89_1250
.LBB89_1247:
	s_or_saveexec_b32 s10, s10
	v_mov_b32_e32 v12, s3
	s_xor_b32 exec_lo, exec_lo, s10
	s_cbranch_execz .LBB89_1229
.LBB89_1248:
	v_cmp_ne_u16_e32 vcc_lo, 0, v10
	v_mov_b32_e32 v12, 0
	s_and_not1_b32 s2, s2, exec_lo
	s_and_b32 s3, vcc_lo, exec_lo
	s_delay_alu instid0(SALU_CYCLE_1)
	s_or_b32 s2, s2, s3
	s_or_b32 exec_lo, exec_lo, s10
	s_and_saveexec_b32 s3, s2
	s_cbranch_execnz .LBB89_1230
	s_branch .LBB89_1231
.LBB89_1249:
	s_mov_b32 s1, -1
.LBB89_1250:
                                        ; implicit-def: $vgpr12
.LBB89_1251:
	s_and_b32 vcc_lo, exec_lo, s2
	s_mov_b32 s2, 0
	s_cbranch_vccz .LBB89_1253
; %bb.1252:
	v_cmp_ne_u16_e64 s1, 11, v9
	s_mov_b32 s2, -1
                                        ; implicit-def: $vgpr12
.LBB89_1253:
	s_delay_alu instid0(VALU_DEP_1)
	s_and_b32 vcc_lo, exec_lo, s1
	s_mov_b32 s1, s8
	s_cbranch_vccnz .LBB89_1277
; %bb.1254:
	s_and_not1_b32 vcc_lo, exec_lo, s2
	s_cbranch_vccnz .LBB89_1256
.LBB89_1255:
	global_load_u8 v10, v[7:8], off
	s_mov_b32 s3, -1
	s_waitcnt vmcnt(0)
	v_cmp_ne_u16_e32 vcc_lo, 0, v10
	v_cndmask_b32_e64 v12, 0, 1.0, vcc_lo
.LBB89_1256:
.LBB89_1257:
	s_and_not1_b32 vcc_lo, exec_lo, s3
	s_cbranch_vccnz .LBB89_2090
.LBB89_1258:
	v_cmp_gt_i16_e32 vcc_lo, 11, v9
	s_waitcnt vmcnt(0)
	v_add_co_u32 v6, s2, s6, v6
	s_delay_alu instid0(VALU_DEP_1)
	v_add_co_ci_u32_e64 v7, null, s7, 0, s2
	s_mov_b32 s10, 0
	s_cbranch_vccnz .LBB89_1265
; %bb.1259:
	v_cmp_lt_i16_e32 vcc_lo, 25, v9
	s_mov_b32 s3, 0
	s_cbranch_vccz .LBB89_1271
; %bb.1260:
	v_cmp_lt_i16_e32 vcc_lo, 28, v9
	s_cbranch_vccz .LBB89_1273
; %bb.1261:
	v_cmp_lt_i16_e32 vcc_lo, 43, v9
	;; [unrolled: 3-line block ×3, first 2 shown]
	s_cbranch_vccz .LBB89_1281
; %bb.1263:
	v_cmp_eq_u16_e32 vcc_lo, 46, v9
	s_mov_b32 s11, 0
	s_cbranch_vccz .LBB89_1325
; %bb.1264:
	global_load_b32 v8, v[6:7], off
	s_mov_b32 s2, 0
	s_mov_b32 s10, -1
	s_waitcnt vmcnt(0)
	v_lshlrev_b32_e32 v11, 16, v8
	s_branch .LBB89_1327
.LBB89_1265:
                                        ; implicit-def: $vgpr11
	s_cbranch_execz .LBB89_1392
; %bb.1266:
	v_cmp_gt_i16_e32 vcc_lo, 5, v9
	s_cbranch_vccnz .LBB89_1272
; %bb.1267:
	v_cmp_gt_i16_e32 vcc_lo, 8, v9
	s_cbranch_vccnz .LBB89_1274
	;; [unrolled: 3-line block ×3, first 2 shown]
; %bb.1269:
	v_cmp_lt_i16_e32 vcc_lo, 9, v9
	s_cbranch_vccz .LBB89_1282
; %bb.1270:
	global_load_b64 v[10:11], v[6:7], off
	s_mov_b32 s2, 0
	s_waitcnt vmcnt(0)
	v_cvt_f32_f64_e32 v11, v[10:11]
	s_branch .LBB89_1283
.LBB89_1271:
	s_mov_b32 s2, 0
                                        ; implicit-def: $vgpr11
	s_cbranch_execnz .LBB89_1356
	s_branch .LBB89_1388
.LBB89_1272:
                                        ; implicit-def: $vgpr11
	s_branch .LBB89_1301
.LBB89_1273:
	s_mov_b32 s11, -1
	s_mov_b32 s2, 0
                                        ; implicit-def: $vgpr11
	s_branch .LBB89_1337
.LBB89_1274:
	s_mov_b32 s2, -1
                                        ; implicit-def: $vgpr11
	s_branch .LBB89_1289
.LBB89_1275:
	s_mov_b32 s11, -1
	s_mov_b32 s2, 0
                                        ; implicit-def: $vgpr11
	s_branch .LBB89_1332
.LBB89_1276:
	s_mov_b32 s2, -1
                                        ; implicit-def: $vgpr11
	s_branch .LBB89_1286
.LBB89_1277:
	s_cbranch_execnz .LBB89_1321
; %bb.1278:
	s_or_b32 s1, s8, exec_lo
                                        ; implicit-def: $vgpr12
	s_cbranch_execz .LBB89_1255
	s_branch .LBB89_1256
.LBB89_1279:
	s_or_saveexec_b32 s7, s7
                                        ; implicit-def: $sgpr8
	s_delay_alu instid0(SALU_CYCLE_1)
	s_xor_b32 exec_lo, exec_lo, s7
	s_cbranch_execz .LBB89_987
.LBB89_1280:
	v_add_f32_e64 v0, 0x46000000, |v3|
	s_and_not1_b32 s5, s5, exec_lo
	s_mov_b32 s8, 0
	s_delay_alu instid0(VALU_DEP_1) | instskip(NEXT) | instid1(VALU_DEP_1)
	v_and_b32_e32 v0, 0xff, v0
	v_cmp_ne_u32_e32 vcc_lo, 0, v0
	s_and_b32 s9, vcc_lo, exec_lo
	s_delay_alu instid0(SALU_CYCLE_1)
	s_or_b32 s5, s5, s9
	s_or_b32 exec_lo, exec_lo, s7
	v_mov_b32_e32 v4, s8
	s_and_saveexec_b32 s7, s5
	s_cbranch_execnz .LBB89_988
	s_branch .LBB89_989
.LBB89_1281:
	s_mov_b32 s11, -1
	s_mov_b32 s2, 0
	s_branch .LBB89_1326
.LBB89_1282:
	s_mov_b32 s2, -1
                                        ; implicit-def: $vgpr11
.LBB89_1283:
	s_delay_alu instid0(SALU_CYCLE_1)
	s_and_not1_b32 vcc_lo, exec_lo, s2
	s_cbranch_vccnz .LBB89_1285
; %bb.1284:
	global_load_b32 v11, v[6:7], off
.LBB89_1285:
	s_mov_b32 s2, 0
.LBB89_1286:
	s_delay_alu instid0(SALU_CYCLE_1)
	s_and_not1_b32 vcc_lo, exec_lo, s2
	s_cbranch_vccnz .LBB89_1288
; %bb.1287:
	global_load_b32 v8, v[6:7], off
	s_waitcnt vmcnt(0)
	v_cvt_f32_f16_e32 v11, v8
.LBB89_1288:
	s_mov_b32 s2, 0
.LBB89_1289:
	s_delay_alu instid0(SALU_CYCLE_1)
	s_and_not1_b32 vcc_lo, exec_lo, s2
	s_cbranch_vccnz .LBB89_1300
; %bb.1290:
	v_cmp_gt_i16_e32 vcc_lo, 6, v9
	s_cbranch_vccnz .LBB89_1293
; %bb.1291:
	v_cmp_lt_i16_e32 vcc_lo, 6, v9
	s_cbranch_vccz .LBB89_1294
; %bb.1292:
	global_load_b64 v[10:11], v[6:7], off
	s_mov_b32 s2, 0
	s_waitcnt vmcnt(0)
	v_cvt_f32_f64_e32 v11, v[10:11]
	s_branch .LBB89_1295
.LBB89_1293:
	s_mov_b32 s2, -1
                                        ; implicit-def: $vgpr11
	s_branch .LBB89_1298
.LBB89_1294:
	s_mov_b32 s2, -1
                                        ; implicit-def: $vgpr11
.LBB89_1295:
	s_delay_alu instid0(SALU_CYCLE_1)
	s_and_not1_b32 vcc_lo, exec_lo, s2
	s_cbranch_vccnz .LBB89_1297
; %bb.1296:
	global_load_b32 v11, v[6:7], off
.LBB89_1297:
	s_mov_b32 s2, 0
.LBB89_1298:
	s_delay_alu instid0(SALU_CYCLE_1)
	s_and_not1_b32 vcc_lo, exec_lo, s2
	s_cbranch_vccnz .LBB89_1300
; %bb.1299:
	global_load_u16 v8, v[6:7], off
	s_waitcnt vmcnt(0)
	v_cvt_f32_f16_e32 v11, v8
.LBB89_1300:
	s_cbranch_execnz .LBB89_1320
.LBB89_1301:
	v_cmp_gt_i16_e32 vcc_lo, 2, v9
	s_cbranch_vccnz .LBB89_1305
; %bb.1302:
	v_cmp_gt_i16_e32 vcc_lo, 3, v9
	s_cbranch_vccnz .LBB89_1306
; %bb.1303:
	v_cmp_lt_i16_e32 vcc_lo, 3, v9
	s_cbranch_vccz .LBB89_1307
; %bb.1304:
	global_load_b64 v[10:11], v[6:7], off
	s_mov_b32 s2, 0
	s_waitcnt vmcnt(0)
	v_xor_b32_e32 v8, v10, v11
	v_cls_i32_e32 v13, v11
	s_delay_alu instid0(VALU_DEP_2) | instskip(NEXT) | instid1(VALU_DEP_2)
	v_ashrrev_i32_e32 v8, 31, v8
	v_add_nc_u32_e32 v13, -1, v13
	s_delay_alu instid0(VALU_DEP_2) | instskip(NEXT) | instid1(VALU_DEP_1)
	v_add_nc_u32_e32 v8, 32, v8
	v_min_u32_e32 v8, v13, v8
	s_delay_alu instid0(VALU_DEP_1) | instskip(SKIP_1) | instid1(VALU_DEP_2)
	v_lshlrev_b64 v[10:11], v8, v[10:11]
	v_sub_nc_u32_e32 v8, 32, v8
	v_min_u32_e32 v10, 1, v10
	s_delay_alu instid0(VALU_DEP_1) | instskip(NEXT) | instid1(VALU_DEP_1)
	v_or_b32_e32 v10, v11, v10
	v_cvt_f32_i32_e32 v10, v10
	s_delay_alu instid0(VALU_DEP_1)
	v_ldexp_f32 v11, v10, v8
	s_branch .LBB89_1308
.LBB89_1305:
	s_mov_b32 s2, -1
                                        ; implicit-def: $vgpr11
	s_branch .LBB89_1314
.LBB89_1306:
	s_mov_b32 s2, -1
                                        ; implicit-def: $vgpr11
	s_branch .LBB89_1311
.LBB89_1307:
	s_mov_b32 s2, -1
                                        ; implicit-def: $vgpr11
.LBB89_1308:
	s_delay_alu instid0(SALU_CYCLE_1)
	s_and_not1_b32 vcc_lo, exec_lo, s2
	s_cbranch_vccnz .LBB89_1310
; %bb.1309:
	global_load_b32 v8, v[6:7], off
	s_waitcnt vmcnt(0)
	v_cvt_f32_i32_e32 v11, v8
.LBB89_1310:
	s_mov_b32 s2, 0
.LBB89_1311:
	s_delay_alu instid0(SALU_CYCLE_1)
	s_and_not1_b32 vcc_lo, exec_lo, s2
	s_cbranch_vccnz .LBB89_1313
; %bb.1312:
	global_load_i16 v8, v[6:7], off
	s_waitcnt vmcnt(0)
	v_cvt_f32_i32_e32 v11, v8
.LBB89_1313:
	s_mov_b32 s2, 0
.LBB89_1314:
	s_delay_alu instid0(SALU_CYCLE_1)
	s_and_not1_b32 vcc_lo, exec_lo, s2
	s_cbranch_vccnz .LBB89_1320
; %bb.1315:
	v_cmp_lt_i16_e32 vcc_lo, 0, v9
	s_mov_b32 s2, 0
	s_cbranch_vccz .LBB89_1317
; %bb.1316:
	global_load_i8 v8, v[6:7], off
	s_waitcnt vmcnt(0)
	v_cvt_f32_i32_e32 v11, v8
	s_branch .LBB89_1318
.LBB89_1317:
	s_mov_b32 s2, -1
                                        ; implicit-def: $vgpr11
.LBB89_1318:
	s_delay_alu instid0(SALU_CYCLE_1)
	s_and_not1_b32 vcc_lo, exec_lo, s2
	s_cbranch_vccnz .LBB89_1320
; %bb.1319:
	global_load_u8 v6, v[6:7], off
	s_waitcnt vmcnt(0)
	v_cvt_f32_ubyte0_e32 v11, v6
.LBB89_1320:
	s_branch .LBB89_1393
.LBB89_1321:
	s_trap 2
	s_sendmsg_rtn_b32 s0, sendmsg(MSG_RTN_GET_DOORBELL)
	s_mov_b32 ttmp2, m0
	s_waitcnt lgkmcnt(0)
	s_and_b32 s0, s0, 0x3ff
	s_delay_alu instid0(SALU_CYCLE_1) | instskip(NEXT) | instid1(SALU_CYCLE_1)
	s_bitset1_b32 s0, 10
	s_mov_b32 m0, s0
	s_sendmsg sendmsg(MSG_INTERRUPT)
	s_mov_b32 m0, ttmp2
.LBB89_1322:                            ; =>This Inner Loop Header: Depth=1
	s_sethalt 5
	s_branch .LBB89_1322
.LBB89_1323:
	s_or_saveexec_b32 s8, s8
                                        ; implicit-def: $sgpr9
	s_delay_alu instid0(SALU_CYCLE_1)
	s_xor_b32 exec_lo, exec_lo, s8
	s_cbranch_execz .LBB89_999
.LBB89_1324:
	v_add_f32_e64 v0, 0x42800000, |v3|
	s_and_not1_b32 s7, s7, exec_lo
	s_mov_b32 s9, 0
	s_delay_alu instid0(VALU_DEP_1) | instskip(NEXT) | instid1(VALU_DEP_1)
	v_and_b32_e32 v0, 0xff, v0
	v_cmp_ne_u32_e32 vcc_lo, 0, v0
	s_and_b32 s10, vcc_lo, exec_lo
	s_delay_alu instid0(SALU_CYCLE_1)
	s_or_b32 s7, s7, s10
	s_or_b32 exec_lo, exec_lo, s8
	v_mov_b32_e32 v4, s9
	s_and_saveexec_b32 s8, s7
	s_cbranch_execnz .LBB89_1000
	s_branch .LBB89_1001
.LBB89_1325:
	s_mov_b32 s2, -1
.LBB89_1326:
                                        ; implicit-def: $vgpr11
.LBB89_1327:
	s_and_b32 vcc_lo, exec_lo, s11
	s_cbranch_vccz .LBB89_1331
; %bb.1328:
	v_cmp_eq_u16_e32 vcc_lo, 44, v9
	s_cbranch_vccz .LBB89_1330
; %bb.1329:
	global_load_u8 v8, v[6:7], off
	s_mov_b32 s2, 0
	s_mov_b32 s10, -1
	s_waitcnt vmcnt(0)
	v_lshlrev_b32_e32 v10, 23, v8
	v_cmp_ne_u32_e32 vcc_lo, 0xff, v8
	s_delay_alu instid0(VALU_DEP_2) | instskip(SKIP_1) | instid1(VALU_DEP_2)
	v_cndmask_b32_e32 v10, 0x7f800001, v10, vcc_lo
	v_cmp_ne_u32_e32 vcc_lo, 0, v8
	v_cndmask_b32_e32 v11, 0x400000, v10, vcc_lo
	s_branch .LBB89_1331
.LBB89_1330:
	s_mov_b32 s2, -1
                                        ; implicit-def: $vgpr11
.LBB89_1331:
	s_mov_b32 s11, 0
.LBB89_1332:
	s_delay_alu instid0(SALU_CYCLE_1)
	s_and_b32 vcc_lo, exec_lo, s11
	s_cbranch_vccz .LBB89_1336
; %bb.1333:
	v_cmp_eq_u16_e32 vcc_lo, 29, v9
	s_cbranch_vccz .LBB89_1335
; %bb.1334:
	global_load_b64 v[10:11], v[6:7], off
	s_mov_b32 s2, 0
	s_mov_b32 s10, -1
	s_mov_b32 s11, 0
	s_waitcnt vmcnt(0)
	v_clz_i32_u32_e32 v8, v11
	s_delay_alu instid0(VALU_DEP_1) | instskip(NEXT) | instid1(VALU_DEP_1)
	v_min_u32_e32 v8, 32, v8
	v_lshlrev_b64 v[10:11], v8, v[10:11]
	v_sub_nc_u32_e32 v8, 32, v8
	s_delay_alu instid0(VALU_DEP_2) | instskip(NEXT) | instid1(VALU_DEP_1)
	v_min_u32_e32 v10, 1, v10
	v_or_b32_e32 v10, v11, v10
	s_delay_alu instid0(VALU_DEP_1) | instskip(NEXT) | instid1(VALU_DEP_1)
	v_cvt_f32_u32_e32 v10, v10
	v_ldexp_f32 v11, v10, v8
	s_branch .LBB89_1337
.LBB89_1335:
	s_mov_b32 s2, -1
                                        ; implicit-def: $vgpr11
.LBB89_1336:
	s_mov_b32 s11, 0
.LBB89_1337:
	s_delay_alu instid0(SALU_CYCLE_1)
	s_and_b32 vcc_lo, exec_lo, s11
	s_cbranch_vccz .LBB89_1355
; %bb.1338:
	v_cmp_gt_i16_e32 vcc_lo, 27, v9
	s_cbranch_vccnz .LBB89_1341
; %bb.1339:
	v_cmp_lt_i16_e32 vcc_lo, 27, v9
	s_cbranch_vccz .LBB89_1342
; %bb.1340:
	global_load_b32 v8, v[6:7], off
	s_mov_b32 s10, 0
	s_waitcnt vmcnt(0)
	v_cvt_f32_u32_e32 v11, v8
	s_branch .LBB89_1343
.LBB89_1341:
	s_mov_b32 s10, -1
                                        ; implicit-def: $vgpr11
	s_branch .LBB89_1346
.LBB89_1342:
	s_mov_b32 s10, -1
                                        ; implicit-def: $vgpr11
.LBB89_1343:
	s_delay_alu instid0(SALU_CYCLE_1)
	s_and_not1_b32 vcc_lo, exec_lo, s10
	s_cbranch_vccnz .LBB89_1345
; %bb.1344:
	global_load_u16 v8, v[6:7], off
	s_waitcnt vmcnt(0)
	v_cvt_f32_u32_e32 v11, v8
.LBB89_1345:
	s_mov_b32 s10, 0
.LBB89_1346:
	s_delay_alu instid0(SALU_CYCLE_1)
	s_and_not1_b32 vcc_lo, exec_lo, s10
	s_cbranch_vccnz .LBB89_1354
; %bb.1347:
	global_load_u8 v8, v[6:7], off
	s_mov_b32 s10, 0
	s_mov_b32 s12, exec_lo
                                        ; implicit-def: $sgpr11
	s_waitcnt vmcnt(0)
	v_cmpx_lt_i16_e32 0x7f, v8
	s_xor_b32 s12, exec_lo, s12
	s_cbranch_execz .LBB89_1367
; %bb.1348:
	s_mov_b32 s10, -1
	s_mov_b32 s13, exec_lo
                                        ; implicit-def: $sgpr11
	v_cmpx_eq_u16_e32 0x80, v8
; %bb.1349:
	s_mov_b32 s11, 0x7f800001
	s_xor_b32 s10, exec_lo, -1
; %bb.1350:
	s_or_b32 exec_lo, exec_lo, s13
	s_delay_alu instid0(SALU_CYCLE_1)
	s_and_b32 s10, s10, exec_lo
	s_or_saveexec_b32 s12, s12
	v_mov_b32_e32 v11, s11
	s_xor_b32 exec_lo, exec_lo, s12
	s_cbranch_execnz .LBB89_1368
.LBB89_1351:
	s_or_b32 exec_lo, exec_lo, s12
	s_and_saveexec_b32 s11, s10
	s_cbranch_execz .LBB89_1353
.LBB89_1352:
	v_and_b32_e32 v10, 0xffff, v8
	v_lshlrev_b32_e32 v8, 24, v8
	s_delay_alu instid0(VALU_DEP_2) | instskip(NEXT) | instid1(VALU_DEP_2)
	v_and_b32_e32 v11, 7, v10
	v_and_b32_e32 v8, 0x80000000, v8
	s_delay_alu instid0(VALU_DEP_2) | instskip(NEXT) | instid1(VALU_DEP_1)
	v_clz_i32_u32_e32 v13, v11
	v_min_u32_e32 v13, 32, v13
	s_delay_alu instid0(VALU_DEP_1) | instskip(SKIP_1) | instid1(VALU_DEP_2)
	v_subrev_nc_u32_e32 v14, 28, v13
	v_sub_nc_u32_e32 v13, 29, v13
	v_lshlrev_b32_e32 v14, v14, v10
	v_bfe_u32 v10, v10, 3, 4
	s_delay_alu instid0(VALU_DEP_2) | instskip(NEXT) | instid1(VALU_DEP_2)
	v_and_b32_e32 v14, 7, v14
	v_cmp_eq_u32_e32 vcc_lo, 0, v10
	s_delay_alu instid0(VALU_DEP_2) | instskip(NEXT) | instid1(VALU_DEP_1)
	v_dual_cndmask_b32 v10, v10, v13 :: v_dual_cndmask_b32 v11, v11, v14
	v_lshl_add_u32 v10, v10, 23, 0x3b800000
	s_delay_alu instid0(VALU_DEP_2) | instskip(NEXT) | instid1(VALU_DEP_1)
	v_lshlrev_b32_e32 v11, 20, v11
	v_or3_b32 v11, v8, v10, v11
.LBB89_1353:
	s_or_b32 exec_lo, exec_lo, s11
.LBB89_1354:
	s_mov_b32 s10, -1
.LBB89_1355:
	s_branch .LBB89_1388
.LBB89_1356:
	v_cmp_lt_i16_e32 vcc_lo, 22, v9
	s_cbranch_vccz .LBB89_1366
; %bb.1357:
	v_cmp_gt_i16_e32 vcc_lo, 24, v9
	s_cbranch_vccnz .LBB89_1369
; %bb.1358:
	v_cmp_lt_i16_e32 vcc_lo, 24, v9
	s_cbranch_vccz .LBB89_1370
; %bb.1359:
	global_load_u8 v8, v[6:7], off
	s_mov_b32 s11, exec_lo
                                        ; implicit-def: $sgpr10
	s_waitcnt vmcnt(0)
	v_cmpx_lt_i16_e32 0x7f, v8
	s_xor_b32 s11, exec_lo, s11
	s_cbranch_execz .LBB89_1382
; %bb.1360:
	s_mov_b32 s3, -1
	s_mov_b32 s12, exec_lo
                                        ; implicit-def: $sgpr10
	v_cmpx_eq_u16_e32 0x80, v8
; %bb.1361:
	s_mov_b32 s10, 0x7f800001
	s_xor_b32 s3, exec_lo, -1
; %bb.1362:
	s_or_b32 exec_lo, exec_lo, s12
	s_delay_alu instid0(SALU_CYCLE_1)
	s_and_b32 s3, s3, exec_lo
	s_or_saveexec_b32 s11, s11
	v_mov_b32_e32 v11, s10
	s_xor_b32 exec_lo, exec_lo, s11
	s_cbranch_execnz .LBB89_1383
.LBB89_1363:
	s_or_b32 exec_lo, exec_lo, s11
	s_and_saveexec_b32 s10, s3
	s_cbranch_execz .LBB89_1365
.LBB89_1364:
	v_and_b32_e32 v10, 0xffff, v8
	v_lshlrev_b32_e32 v8, 24, v8
	s_delay_alu instid0(VALU_DEP_2) | instskip(NEXT) | instid1(VALU_DEP_2)
	v_and_b32_e32 v11, 3, v10
	v_and_b32_e32 v8, 0x80000000, v8
	s_delay_alu instid0(VALU_DEP_2) | instskip(NEXT) | instid1(VALU_DEP_1)
	v_clz_i32_u32_e32 v13, v11
	v_min_u32_e32 v13, 32, v13
	s_delay_alu instid0(VALU_DEP_1) | instskip(SKIP_1) | instid1(VALU_DEP_2)
	v_subrev_nc_u32_e32 v14, 29, v13
	v_sub_nc_u32_e32 v13, 30, v13
	v_lshlrev_b32_e32 v14, v14, v10
	v_bfe_u32 v10, v10, 2, 5
	s_delay_alu instid0(VALU_DEP_2) | instskip(NEXT) | instid1(VALU_DEP_2)
	v_and_b32_e32 v14, 3, v14
	v_cmp_eq_u32_e32 vcc_lo, 0, v10
	s_delay_alu instid0(VALU_DEP_2) | instskip(NEXT) | instid1(VALU_DEP_1)
	v_dual_cndmask_b32 v10, v10, v13 :: v_dual_cndmask_b32 v11, v11, v14
	v_lshl_add_u32 v10, v10, 23, 0x37800000
	s_delay_alu instid0(VALU_DEP_2) | instskip(NEXT) | instid1(VALU_DEP_1)
	v_lshlrev_b32_e32 v11, 21, v11
	v_or3_b32 v11, v8, v10, v11
.LBB89_1365:
	s_or_b32 exec_lo, exec_lo, s10
	s_mov_b32 s3, 0
	s_branch .LBB89_1371
.LBB89_1366:
	s_mov_b32 s3, -1
                                        ; implicit-def: $vgpr11
	s_branch .LBB89_1377
.LBB89_1367:
	s_or_saveexec_b32 s12, s12
	v_mov_b32_e32 v11, s11
	s_xor_b32 exec_lo, exec_lo, s12
	s_cbranch_execz .LBB89_1351
.LBB89_1368:
	v_cmp_ne_u16_e32 vcc_lo, 0, v8
	v_mov_b32_e32 v11, 0
	s_and_not1_b32 s10, s10, exec_lo
	s_and_b32 s11, vcc_lo, exec_lo
	s_delay_alu instid0(SALU_CYCLE_1)
	s_or_b32 s10, s10, s11
	s_or_b32 exec_lo, exec_lo, s12
	s_and_saveexec_b32 s11, s10
	s_cbranch_execnz .LBB89_1352
	s_branch .LBB89_1353
.LBB89_1369:
	s_mov_b32 s3, -1
                                        ; implicit-def: $vgpr11
	s_branch .LBB89_1374
.LBB89_1370:
	s_mov_b32 s3, -1
                                        ; implicit-def: $vgpr11
.LBB89_1371:
	s_delay_alu instid0(SALU_CYCLE_1)
	s_and_b32 vcc_lo, exec_lo, s3
	s_cbranch_vccz .LBB89_1373
; %bb.1372:
	global_load_u8 v8, v[6:7], off
	s_waitcnt vmcnt(0)
	v_lshlrev_b32_e32 v8, 24, v8
	s_delay_alu instid0(VALU_DEP_1) | instskip(NEXT) | instid1(VALU_DEP_1)
	v_and_b32_e32 v10, 0x7f000000, v8
	v_clz_i32_u32_e32 v11, v10
	v_cmp_ne_u32_e32 vcc_lo, 0, v10
	v_add_nc_u32_e32 v14, 0x1000000, v10
	s_delay_alu instid0(VALU_DEP_3) | instskip(NEXT) | instid1(VALU_DEP_1)
	v_min_u32_e32 v11, 32, v11
	v_sub_nc_u32_e64 v11, v11, 4 clamp
	s_delay_alu instid0(VALU_DEP_1) | instskip(SKIP_1) | instid1(VALU_DEP_2)
	v_lshlrev_b32_e32 v13, v11, v10
	v_lshlrev_b32_e32 v11, 23, v11
	v_lshrrev_b32_e32 v13, 4, v13
	s_delay_alu instid0(VALU_DEP_1) | instskip(SKIP_1) | instid1(VALU_DEP_2)
	v_sub_nc_u32_e32 v11, v13, v11
	v_ashrrev_i32_e32 v13, 8, v14
	v_add_nc_u32_e32 v11, 0x3c000000, v11
	s_delay_alu instid0(VALU_DEP_1) | instskip(NEXT) | instid1(VALU_DEP_1)
	v_and_or_b32 v11, 0x7f800000, v13, v11
	v_cndmask_b32_e32 v10, 0, v11, vcc_lo
	s_delay_alu instid0(VALU_DEP_1)
	v_and_or_b32 v11, 0x80000000, v8, v10
.LBB89_1373:
	s_mov_b32 s3, 0
.LBB89_1374:
	s_delay_alu instid0(SALU_CYCLE_1)
	s_and_not1_b32 vcc_lo, exec_lo, s3
	s_cbranch_vccnz .LBB89_1376
; %bb.1375:
	global_load_u8 v8, v[6:7], off
	s_waitcnt vmcnt(0)
	v_lshlrev_b32_e32 v10, 25, v8
	v_lshlrev_b16 v8, 8, v8
	s_delay_alu instid0(VALU_DEP_1) | instskip(SKIP_1) | instid1(VALU_DEP_2)
	v_and_or_b32 v13, 0x7f00, v8, 0.5
	v_bfe_i32 v8, v8, 0, 16
	v_add_f32_e32 v13, -0.5, v13
	v_lshrrev_b32_e32 v11, 4, v10
	v_cmp_gt_u32_e32 vcc_lo, 0x8000000, v10
	s_delay_alu instid0(VALU_DEP_2) | instskip(NEXT) | instid1(VALU_DEP_1)
	v_or_b32_e32 v11, 0x70000000, v11
	v_mul_f32_e32 v11, 0x7800000, v11
	s_delay_alu instid0(VALU_DEP_1) | instskip(NEXT) | instid1(VALU_DEP_1)
	v_cndmask_b32_e32 v10, v11, v13, vcc_lo
	v_and_or_b32 v11, 0x80000000, v8, v10
.LBB89_1376:
	s_mov_b32 s3, 0
	s_mov_b32 s10, -1
.LBB89_1377:
	s_and_not1_b32 vcc_lo, exec_lo, s3
	s_mov_b32 s3, 0
	s_cbranch_vccnz .LBB89_1388
; %bb.1378:
	v_cmp_lt_i16_e32 vcc_lo, 14, v9
	s_cbranch_vccz .LBB89_1381
; %bb.1379:
	v_cmp_eq_u16_e32 vcc_lo, 15, v9
	s_cbranch_vccz .LBB89_1384
; %bb.1380:
	global_load_u16 v8, v[6:7], off
	s_mov_b32 s2, 0
	s_mov_b32 s10, -1
	s_waitcnt vmcnt(0)
	v_lshlrev_b32_e32 v11, 16, v8
	s_branch .LBB89_1386
.LBB89_1381:
	s_mov_b32 s3, -1
	s_branch .LBB89_1385
.LBB89_1382:
	s_or_saveexec_b32 s11, s11
	v_mov_b32_e32 v11, s10
	s_xor_b32 exec_lo, exec_lo, s11
	s_cbranch_execz .LBB89_1363
.LBB89_1383:
	v_cmp_ne_u16_e32 vcc_lo, 0, v8
	v_mov_b32_e32 v11, 0
	s_and_not1_b32 s3, s3, exec_lo
	s_and_b32 s10, vcc_lo, exec_lo
	s_delay_alu instid0(SALU_CYCLE_1)
	s_or_b32 s3, s3, s10
	s_or_b32 exec_lo, exec_lo, s11
	s_and_saveexec_b32 s10, s3
	s_cbranch_execnz .LBB89_1364
	s_branch .LBB89_1365
.LBB89_1384:
	s_mov_b32 s2, -1
.LBB89_1385:
                                        ; implicit-def: $vgpr11
.LBB89_1386:
	s_and_b32 vcc_lo, exec_lo, s3
	s_mov_b32 s3, 0
	s_cbranch_vccz .LBB89_1388
; %bb.1387:
	v_cmp_ne_u16_e64 s2, 11, v9
	s_mov_b32 s3, -1
                                        ; implicit-def: $vgpr11
.LBB89_1388:
	s_delay_alu instid0(VALU_DEP_1)
	s_and_b32 vcc_lo, exec_lo, s2
	s_cbranch_vccnz .LBB89_1412
; %bb.1389:
	s_and_not1_b32 vcc_lo, exec_lo, s3
	s_cbranch_vccnz .LBB89_1391
.LBB89_1390:
	global_load_u8 v8, v[6:7], off
	s_mov_b32 s10, -1
	s_waitcnt vmcnt(0)
	v_cmp_ne_u16_e32 vcc_lo, 0, v8
	v_cndmask_b32_e64 v11, 0, 1.0, vcc_lo
.LBB89_1391:
.LBB89_1392:
	s_and_not1_b32 vcc_lo, exec_lo, s10
	s_cbranch_vccnz .LBB89_2090
.LBB89_1393:
	v_cmp_gt_i16_e32 vcc_lo, 11, v9
	v_add_co_u32 v5, s2, s6, v5
	s_delay_alu instid0(VALU_DEP_1)
	v_add_co_ci_u32_e64 v6, null, s7, 0, s2
	s_mov_b32 s10, 0
	s_cbranch_vccnz .LBB89_1400
; %bb.1394:
	v_cmp_lt_i16_e32 vcc_lo, 25, v9
	s_mov_b32 s3, 0
	s_cbranch_vccz .LBB89_1406
; %bb.1395:
	v_cmp_lt_i16_e32 vcc_lo, 28, v9
	s_cbranch_vccz .LBB89_1408
; %bb.1396:
	v_cmp_lt_i16_e32 vcc_lo, 43, v9
	;; [unrolled: 3-line block ×3, first 2 shown]
	s_cbranch_vccz .LBB89_1414
; %bb.1398:
	v_cmp_eq_u16_e32 vcc_lo, 46, v9
	s_mov_b32 s11, 0
	s_cbranch_vccz .LBB89_1457
; %bb.1399:
	global_load_b32 v7, v[5:6], off
	s_mov_b32 s2, 0
	s_mov_b32 s10, -1
	s_waitcnt vmcnt(0)
	v_lshlrev_b32_e32 v10, 16, v7
	s_branch .LBB89_1459
.LBB89_1400:
                                        ; implicit-def: $vgpr10
	s_cbranch_execz .LBB89_1525
; %bb.1401:
	v_cmp_gt_i16_e32 vcc_lo, 5, v9
	s_cbranch_vccnz .LBB89_1407
; %bb.1402:
	v_cmp_gt_i16_e32 vcc_lo, 8, v9
	s_cbranch_vccnz .LBB89_1409
	;; [unrolled: 3-line block ×3, first 2 shown]
; %bb.1404:
	v_cmp_lt_i16_e32 vcc_lo, 9, v9
	s_cbranch_vccz .LBB89_1415
; %bb.1405:
	global_load_b64 v[7:8], v[5:6], off
	s_mov_b32 s2, 0
	s_waitcnt vmcnt(0)
	v_cvt_f32_f64_e32 v10, v[7:8]
	s_branch .LBB89_1416
.LBB89_1406:
	s_mov_b32 s11, -1
	s_mov_b32 s2, 0
                                        ; implicit-def: $vgpr10
	s_branch .LBB89_1488
.LBB89_1407:
	s_mov_b32 s2, -1
                                        ; implicit-def: $vgpr10
	s_branch .LBB89_1434
.LBB89_1408:
	s_mov_b32 s11, -1
	s_mov_b32 s2, 0
                                        ; implicit-def: $vgpr10
	s_branch .LBB89_1469
.LBB89_1409:
	s_mov_b32 s2, -1
                                        ; implicit-def: $vgpr10
	s_branch .LBB89_1422
.LBB89_1410:
	s_mov_b32 s11, -1
	s_mov_b32 s2, 0
                                        ; implicit-def: $vgpr10
	s_branch .LBB89_1464
.LBB89_1411:
	s_mov_b32 s2, -1
                                        ; implicit-def: $vgpr10
	s_branch .LBB89_1419
.LBB89_1412:
	s_cbranch_execnz .LBB89_1455
; %bb.1413:
	s_or_b32 s1, s1, exec_lo
                                        ; implicit-def: $vgpr11
	s_cbranch_execz .LBB89_1390
	s_branch .LBB89_1391
.LBB89_1414:
	s_mov_b32 s11, -1
	s_mov_b32 s2, 0
	s_branch .LBB89_1458
.LBB89_1415:
	s_mov_b32 s2, -1
                                        ; implicit-def: $vgpr10
.LBB89_1416:
	s_delay_alu instid0(SALU_CYCLE_1)
	s_and_not1_b32 vcc_lo, exec_lo, s2
	s_cbranch_vccnz .LBB89_1418
; %bb.1417:
	global_load_b32 v10, v[5:6], off
.LBB89_1418:
	s_mov_b32 s2, 0
.LBB89_1419:
	s_delay_alu instid0(SALU_CYCLE_1)
	s_and_not1_b32 vcc_lo, exec_lo, s2
	s_cbranch_vccnz .LBB89_1421
; %bb.1420:
	global_load_b32 v7, v[5:6], off
	s_waitcnt vmcnt(0)
	v_cvt_f32_f16_e32 v10, v7
.LBB89_1421:
	s_mov_b32 s2, 0
.LBB89_1422:
	s_delay_alu instid0(SALU_CYCLE_1)
	s_and_not1_b32 vcc_lo, exec_lo, s2
	s_cbranch_vccnz .LBB89_1433
; %bb.1423:
	v_cmp_gt_i16_e32 vcc_lo, 6, v9
	s_cbranch_vccnz .LBB89_1426
; %bb.1424:
	v_cmp_lt_i16_e32 vcc_lo, 6, v9
	s_cbranch_vccz .LBB89_1427
; %bb.1425:
	global_load_b64 v[7:8], v[5:6], off
	s_mov_b32 s2, 0
	s_waitcnt vmcnt(0)
	v_cvt_f32_f64_e32 v10, v[7:8]
	s_branch .LBB89_1428
.LBB89_1426:
	s_mov_b32 s2, -1
                                        ; implicit-def: $vgpr10
	s_branch .LBB89_1431
.LBB89_1427:
	s_mov_b32 s2, -1
                                        ; implicit-def: $vgpr10
.LBB89_1428:
	s_delay_alu instid0(SALU_CYCLE_1)
	s_and_not1_b32 vcc_lo, exec_lo, s2
	s_cbranch_vccnz .LBB89_1430
; %bb.1429:
	global_load_b32 v10, v[5:6], off
.LBB89_1430:
	s_mov_b32 s2, 0
.LBB89_1431:
	s_delay_alu instid0(SALU_CYCLE_1)
	s_and_not1_b32 vcc_lo, exec_lo, s2
	s_cbranch_vccnz .LBB89_1433
; %bb.1432:
	global_load_u16 v7, v[5:6], off
	s_waitcnt vmcnt(0)
	v_cvt_f32_f16_e32 v10, v7
.LBB89_1433:
	s_mov_b32 s2, 0
.LBB89_1434:
	s_delay_alu instid0(SALU_CYCLE_1)
	s_and_not1_b32 vcc_lo, exec_lo, s2
	s_cbranch_vccnz .LBB89_1454
; %bb.1435:
	v_cmp_gt_i16_e32 vcc_lo, 2, v9
	s_cbranch_vccnz .LBB89_1439
; %bb.1436:
	v_cmp_gt_i16_e32 vcc_lo, 3, v9
	s_cbranch_vccnz .LBB89_1440
; %bb.1437:
	v_cmp_lt_i16_e32 vcc_lo, 3, v9
	s_cbranch_vccz .LBB89_1441
; %bb.1438:
	global_load_b64 v[7:8], v[5:6], off
	s_mov_b32 s2, 0
	s_waitcnt vmcnt(0)
	v_xor_b32_e32 v10, v7, v8
	v_cls_i32_e32 v13, v8
	s_delay_alu instid0(VALU_DEP_2) | instskip(NEXT) | instid1(VALU_DEP_2)
	v_ashrrev_i32_e32 v10, 31, v10
	v_add_nc_u32_e32 v13, -1, v13
	s_delay_alu instid0(VALU_DEP_2) | instskip(NEXT) | instid1(VALU_DEP_1)
	v_add_nc_u32_e32 v10, 32, v10
	v_min_u32_e32 v10, v13, v10
	s_delay_alu instid0(VALU_DEP_1) | instskip(NEXT) | instid1(VALU_DEP_1)
	v_lshlrev_b64 v[7:8], v10, v[7:8]
	v_min_u32_e32 v7, 1, v7
	s_delay_alu instid0(VALU_DEP_1) | instskip(SKIP_1) | instid1(VALU_DEP_2)
	v_or_b32_e32 v7, v8, v7
	v_sub_nc_u32_e32 v8, 32, v10
	v_cvt_f32_i32_e32 v7, v7
	s_delay_alu instid0(VALU_DEP_1)
	v_ldexp_f32 v10, v7, v8
	s_branch .LBB89_1442
.LBB89_1439:
	s_mov_b32 s2, -1
                                        ; implicit-def: $vgpr10
	s_branch .LBB89_1448
.LBB89_1440:
	s_mov_b32 s2, -1
                                        ; implicit-def: $vgpr10
	s_branch .LBB89_1445
.LBB89_1441:
	s_mov_b32 s2, -1
                                        ; implicit-def: $vgpr10
.LBB89_1442:
	s_delay_alu instid0(SALU_CYCLE_1)
	s_and_not1_b32 vcc_lo, exec_lo, s2
	s_cbranch_vccnz .LBB89_1444
; %bb.1443:
	global_load_b32 v7, v[5:6], off
	s_waitcnt vmcnt(0)
	v_cvt_f32_i32_e32 v10, v7
.LBB89_1444:
	s_mov_b32 s2, 0
.LBB89_1445:
	s_delay_alu instid0(SALU_CYCLE_1)
	s_and_not1_b32 vcc_lo, exec_lo, s2
	s_cbranch_vccnz .LBB89_1447
; %bb.1446:
	global_load_i16 v7, v[5:6], off
	s_waitcnt vmcnt(0)
	v_cvt_f32_i32_e32 v10, v7
.LBB89_1447:
	s_mov_b32 s2, 0
.LBB89_1448:
	s_delay_alu instid0(SALU_CYCLE_1)
	s_and_not1_b32 vcc_lo, exec_lo, s2
	s_cbranch_vccnz .LBB89_1454
; %bb.1449:
	v_cmp_lt_i16_e32 vcc_lo, 0, v9
	s_mov_b32 s2, 0
	s_cbranch_vccz .LBB89_1451
; %bb.1450:
	global_load_i8 v7, v[5:6], off
	s_waitcnt vmcnt(0)
	v_cvt_f32_i32_e32 v10, v7
	s_branch .LBB89_1452
.LBB89_1451:
	s_mov_b32 s2, -1
                                        ; implicit-def: $vgpr10
.LBB89_1452:
	s_delay_alu instid0(SALU_CYCLE_1)
	s_and_not1_b32 vcc_lo, exec_lo, s2
	s_cbranch_vccnz .LBB89_1454
; %bb.1453:
	global_load_u8 v5, v[5:6], off
	s_waitcnt vmcnt(0)
	v_cvt_f32_ubyte0_e32 v10, v5
.LBB89_1454:
	s_branch .LBB89_1526
.LBB89_1455:
	s_trap 2
	s_sendmsg_rtn_b32 s0, sendmsg(MSG_RTN_GET_DOORBELL)
	s_mov_b32 ttmp2, m0
	s_waitcnt lgkmcnt(0)
	s_and_b32 s0, s0, 0x3ff
	s_delay_alu instid0(SALU_CYCLE_1) | instskip(NEXT) | instid1(SALU_CYCLE_1)
	s_bitset1_b32 s0, 10
	s_mov_b32 m0, s0
	s_sendmsg sendmsg(MSG_INTERRUPT)
	s_mov_b32 m0, ttmp2
.LBB89_1456:                            ; =>This Inner Loop Header: Depth=1
	s_sethalt 5
	s_branch .LBB89_1456
.LBB89_1457:
	s_mov_b32 s2, -1
.LBB89_1458:
                                        ; implicit-def: $vgpr10
.LBB89_1459:
	s_and_b32 vcc_lo, exec_lo, s11
	s_cbranch_vccz .LBB89_1463
; %bb.1460:
	v_cmp_eq_u16_e32 vcc_lo, 44, v9
	s_cbranch_vccz .LBB89_1462
; %bb.1461:
	global_load_u8 v7, v[5:6], off
	s_mov_b32 s2, 0
	s_mov_b32 s10, -1
	s_waitcnt vmcnt(0)
	v_lshlrev_b32_e32 v8, 23, v7
	v_cmp_ne_u32_e32 vcc_lo, 0xff, v7
	s_delay_alu instid0(VALU_DEP_2) | instskip(SKIP_1) | instid1(VALU_DEP_2)
	v_cndmask_b32_e32 v8, 0x7f800001, v8, vcc_lo
	v_cmp_ne_u32_e32 vcc_lo, 0, v7
	v_cndmask_b32_e32 v10, 0x400000, v8, vcc_lo
	s_branch .LBB89_1463
.LBB89_1462:
	s_mov_b32 s2, -1
                                        ; implicit-def: $vgpr10
.LBB89_1463:
	s_mov_b32 s11, 0
.LBB89_1464:
	s_delay_alu instid0(SALU_CYCLE_1)
	s_and_b32 vcc_lo, exec_lo, s11
	s_cbranch_vccz .LBB89_1468
; %bb.1465:
	v_cmp_eq_u16_e32 vcc_lo, 29, v9
	s_cbranch_vccz .LBB89_1467
; %bb.1466:
	global_load_b64 v[7:8], v[5:6], off
	s_mov_b32 s2, 0
	s_mov_b32 s10, -1
	s_mov_b32 s11, 0
	s_waitcnt vmcnt(0)
	v_clz_i32_u32_e32 v10, v8
	s_delay_alu instid0(VALU_DEP_1) | instskip(NEXT) | instid1(VALU_DEP_1)
	v_min_u32_e32 v10, 32, v10
	v_lshlrev_b64 v[7:8], v10, v[7:8]
	s_delay_alu instid0(VALU_DEP_1) | instskip(NEXT) | instid1(VALU_DEP_1)
	v_min_u32_e32 v7, 1, v7
	v_or_b32_e32 v7, v8, v7
	v_sub_nc_u32_e32 v8, 32, v10
	s_delay_alu instid0(VALU_DEP_2) | instskip(NEXT) | instid1(VALU_DEP_1)
	v_cvt_f32_u32_e32 v7, v7
	v_ldexp_f32 v10, v7, v8
	s_branch .LBB89_1469
.LBB89_1467:
	s_mov_b32 s2, -1
                                        ; implicit-def: $vgpr10
.LBB89_1468:
	s_mov_b32 s11, 0
.LBB89_1469:
	s_delay_alu instid0(SALU_CYCLE_1)
	s_and_b32 vcc_lo, exec_lo, s11
	s_cbranch_vccz .LBB89_1487
; %bb.1470:
	v_cmp_gt_i16_e32 vcc_lo, 27, v9
	s_cbranch_vccnz .LBB89_1473
; %bb.1471:
	v_cmp_lt_i16_e32 vcc_lo, 27, v9
	s_cbranch_vccz .LBB89_1474
; %bb.1472:
	global_load_b32 v7, v[5:6], off
	s_mov_b32 s10, 0
	s_waitcnt vmcnt(0)
	v_cvt_f32_u32_e32 v10, v7
	s_branch .LBB89_1475
.LBB89_1473:
	s_mov_b32 s10, -1
                                        ; implicit-def: $vgpr10
	s_branch .LBB89_1478
.LBB89_1474:
	s_mov_b32 s10, -1
                                        ; implicit-def: $vgpr10
.LBB89_1475:
	s_delay_alu instid0(SALU_CYCLE_1)
	s_and_not1_b32 vcc_lo, exec_lo, s10
	s_cbranch_vccnz .LBB89_1477
; %bb.1476:
	global_load_u16 v7, v[5:6], off
	s_waitcnt vmcnt(0)
	v_cvt_f32_u32_e32 v10, v7
.LBB89_1477:
	s_mov_b32 s10, 0
.LBB89_1478:
	s_delay_alu instid0(SALU_CYCLE_1)
	s_and_not1_b32 vcc_lo, exec_lo, s10
	s_cbranch_vccnz .LBB89_1486
; %bb.1479:
	global_load_u8 v7, v[5:6], off
	s_mov_b32 s10, 0
	s_mov_b32 s12, exec_lo
                                        ; implicit-def: $sgpr11
	s_waitcnt vmcnt(0)
	v_cmpx_lt_i16_e32 0x7f, v7
	s_xor_b32 s12, exec_lo, s12
	s_cbranch_execz .LBB89_1500
; %bb.1480:
	s_mov_b32 s10, -1
	s_mov_b32 s13, exec_lo
                                        ; implicit-def: $sgpr11
	v_cmpx_eq_u16_e32 0x80, v7
; %bb.1481:
	s_mov_b32 s11, 0x7f800001
	s_xor_b32 s10, exec_lo, -1
; %bb.1482:
	s_or_b32 exec_lo, exec_lo, s13
	s_delay_alu instid0(SALU_CYCLE_1)
	s_and_b32 s10, s10, exec_lo
	s_or_saveexec_b32 s12, s12
	v_mov_b32_e32 v10, s11
	s_xor_b32 exec_lo, exec_lo, s12
	s_cbranch_execnz .LBB89_1501
.LBB89_1483:
	s_or_b32 exec_lo, exec_lo, s12
	s_and_saveexec_b32 s11, s10
	s_cbranch_execz .LBB89_1485
.LBB89_1484:
	v_and_b32_e32 v8, 0xffff, v7
	s_delay_alu instid0(VALU_DEP_1) | instskip(NEXT) | instid1(VALU_DEP_1)
	v_and_b32_e32 v10, 7, v8
	v_clz_i32_u32_e32 v13, v10
	s_delay_alu instid0(VALU_DEP_1) | instskip(NEXT) | instid1(VALU_DEP_1)
	v_min_u32_e32 v13, 32, v13
	v_subrev_nc_u32_e32 v14, 28, v13
	v_sub_nc_u32_e32 v13, 29, v13
	s_delay_alu instid0(VALU_DEP_2) | instskip(SKIP_1) | instid1(VALU_DEP_2)
	v_lshlrev_b32_e32 v14, v14, v8
	v_bfe_u32 v8, v8, 3, 4
	v_and_b32_e32 v14, 7, v14
	s_delay_alu instid0(VALU_DEP_2) | instskip(SKIP_1) | instid1(VALU_DEP_1)
	v_cmp_eq_u32_e32 vcc_lo, 0, v8
	v_dual_cndmask_b32 v8, v8, v13 :: v_dual_lshlrev_b32 v7, 24, v7
	v_dual_cndmask_b32 v10, v10, v14 :: v_dual_and_b32 v7, 0x80000000, v7
	s_delay_alu instid0(VALU_DEP_2) | instskip(NEXT) | instid1(VALU_DEP_2)
	v_lshl_add_u32 v8, v8, 23, 0x3b800000
	v_lshlrev_b32_e32 v10, 20, v10
	s_delay_alu instid0(VALU_DEP_1)
	v_or3_b32 v10, v7, v8, v10
.LBB89_1485:
	s_or_b32 exec_lo, exec_lo, s11
.LBB89_1486:
	s_mov_b32 s10, -1
.LBB89_1487:
	s_mov_b32 s11, 0
.LBB89_1488:
	s_delay_alu instid0(SALU_CYCLE_1)
	s_and_b32 vcc_lo, exec_lo, s11
	s_cbranch_vccz .LBB89_1521
; %bb.1489:
	v_cmp_lt_i16_e32 vcc_lo, 22, v9
	s_cbranch_vccz .LBB89_1499
; %bb.1490:
	v_cmp_gt_i16_e32 vcc_lo, 24, v9
	s_cbranch_vccnz .LBB89_1502
; %bb.1491:
	v_cmp_lt_i16_e32 vcc_lo, 24, v9
	s_cbranch_vccz .LBB89_1503
; %bb.1492:
	global_load_u8 v7, v[5:6], off
	s_mov_b32 s11, exec_lo
                                        ; implicit-def: $sgpr10
	s_waitcnt vmcnt(0)
	v_cmpx_lt_i16_e32 0x7f, v7
	s_xor_b32 s11, exec_lo, s11
	s_cbranch_execz .LBB89_1515
; %bb.1493:
	s_mov_b32 s3, -1
	s_mov_b32 s12, exec_lo
                                        ; implicit-def: $sgpr10
	v_cmpx_eq_u16_e32 0x80, v7
; %bb.1494:
	s_mov_b32 s10, 0x7f800001
	s_xor_b32 s3, exec_lo, -1
; %bb.1495:
	s_or_b32 exec_lo, exec_lo, s12
	s_delay_alu instid0(SALU_CYCLE_1)
	s_and_b32 s3, s3, exec_lo
	s_or_saveexec_b32 s11, s11
	v_mov_b32_e32 v10, s10
	s_xor_b32 exec_lo, exec_lo, s11
	s_cbranch_execnz .LBB89_1516
.LBB89_1496:
	s_or_b32 exec_lo, exec_lo, s11
	s_and_saveexec_b32 s10, s3
	s_cbranch_execz .LBB89_1498
.LBB89_1497:
	v_and_b32_e32 v8, 0xffff, v7
	s_delay_alu instid0(VALU_DEP_1) | instskip(NEXT) | instid1(VALU_DEP_1)
	v_and_b32_e32 v10, 3, v8
	v_clz_i32_u32_e32 v13, v10
	s_delay_alu instid0(VALU_DEP_1) | instskip(NEXT) | instid1(VALU_DEP_1)
	v_min_u32_e32 v13, 32, v13
	v_subrev_nc_u32_e32 v14, 29, v13
	v_sub_nc_u32_e32 v13, 30, v13
	s_delay_alu instid0(VALU_DEP_2) | instskip(SKIP_1) | instid1(VALU_DEP_2)
	v_lshlrev_b32_e32 v14, v14, v8
	v_bfe_u32 v8, v8, 2, 5
	v_and_b32_e32 v14, 3, v14
	s_delay_alu instid0(VALU_DEP_2) | instskip(SKIP_1) | instid1(VALU_DEP_1)
	v_cmp_eq_u32_e32 vcc_lo, 0, v8
	v_dual_cndmask_b32 v8, v8, v13 :: v_dual_lshlrev_b32 v7, 24, v7
	v_dual_cndmask_b32 v10, v10, v14 :: v_dual_and_b32 v7, 0x80000000, v7
	s_delay_alu instid0(VALU_DEP_2) | instskip(NEXT) | instid1(VALU_DEP_2)
	v_lshl_add_u32 v8, v8, 23, 0x37800000
	v_lshlrev_b32_e32 v10, 21, v10
	s_delay_alu instid0(VALU_DEP_1)
	v_or3_b32 v10, v7, v8, v10
.LBB89_1498:
	s_or_b32 exec_lo, exec_lo, s10
	s_mov_b32 s3, 0
	s_branch .LBB89_1504
.LBB89_1499:
	s_mov_b32 s3, -1
                                        ; implicit-def: $vgpr10
	s_branch .LBB89_1510
.LBB89_1500:
	s_or_saveexec_b32 s12, s12
	v_mov_b32_e32 v10, s11
	s_xor_b32 exec_lo, exec_lo, s12
	s_cbranch_execz .LBB89_1483
.LBB89_1501:
	v_cmp_ne_u16_e32 vcc_lo, 0, v7
	v_mov_b32_e32 v10, 0
	s_and_not1_b32 s10, s10, exec_lo
	s_and_b32 s11, vcc_lo, exec_lo
	s_delay_alu instid0(SALU_CYCLE_1)
	s_or_b32 s10, s10, s11
	s_or_b32 exec_lo, exec_lo, s12
	s_and_saveexec_b32 s11, s10
	s_cbranch_execnz .LBB89_1484
	s_branch .LBB89_1485
.LBB89_1502:
	s_mov_b32 s3, -1
                                        ; implicit-def: $vgpr10
	s_branch .LBB89_1507
.LBB89_1503:
	s_mov_b32 s3, -1
                                        ; implicit-def: $vgpr10
.LBB89_1504:
	s_delay_alu instid0(SALU_CYCLE_1)
	s_and_b32 vcc_lo, exec_lo, s3
	s_cbranch_vccz .LBB89_1506
; %bb.1505:
	global_load_u8 v7, v[5:6], off
	s_waitcnt vmcnt(0)
	v_lshlrev_b32_e32 v7, 24, v7
	s_delay_alu instid0(VALU_DEP_1) | instskip(NEXT) | instid1(VALU_DEP_1)
	v_and_b32_e32 v8, 0x7f000000, v7
	v_clz_i32_u32_e32 v10, v8
	v_add_nc_u32_e32 v14, 0x1000000, v8
	v_cmp_ne_u32_e32 vcc_lo, 0, v8
	s_delay_alu instid0(VALU_DEP_3) | instskip(NEXT) | instid1(VALU_DEP_1)
	v_min_u32_e32 v10, 32, v10
	v_sub_nc_u32_e64 v10, v10, 4 clamp
	s_delay_alu instid0(VALU_DEP_1) | instskip(SKIP_1) | instid1(VALU_DEP_2)
	v_lshlrev_b32_e32 v13, v10, v8
	v_lshlrev_b32_e32 v10, 23, v10
	v_lshrrev_b32_e32 v13, 4, v13
	s_delay_alu instid0(VALU_DEP_1) | instskip(SKIP_1) | instid1(VALU_DEP_2)
	v_sub_nc_u32_e32 v10, v13, v10
	v_ashrrev_i32_e32 v13, 8, v14
	v_add_nc_u32_e32 v10, 0x3c000000, v10
	s_delay_alu instid0(VALU_DEP_1) | instskip(NEXT) | instid1(VALU_DEP_1)
	v_and_or_b32 v10, 0x7f800000, v13, v10
	v_cndmask_b32_e32 v8, 0, v10, vcc_lo
	s_delay_alu instid0(VALU_DEP_1)
	v_and_or_b32 v10, 0x80000000, v7, v8
.LBB89_1506:
	s_mov_b32 s3, 0
.LBB89_1507:
	s_delay_alu instid0(SALU_CYCLE_1)
	s_and_not1_b32 vcc_lo, exec_lo, s3
	s_cbranch_vccnz .LBB89_1509
; %bb.1508:
	global_load_u8 v7, v[5:6], off
	s_waitcnt vmcnt(0)
	v_lshlrev_b32_e32 v8, 25, v7
	v_lshlrev_b16 v7, 8, v7
	s_delay_alu instid0(VALU_DEP_1) | instskip(SKIP_1) | instid1(VALU_DEP_2)
	v_and_or_b32 v13, 0x7f00, v7, 0.5
	v_bfe_i32 v7, v7, 0, 16
	v_add_f32_e32 v13, -0.5, v13
	v_lshrrev_b32_e32 v10, 4, v8
	v_cmp_gt_u32_e32 vcc_lo, 0x8000000, v8
	s_delay_alu instid0(VALU_DEP_2) | instskip(NEXT) | instid1(VALU_DEP_1)
	v_or_b32_e32 v10, 0x70000000, v10
	v_mul_f32_e32 v10, 0x7800000, v10
	s_delay_alu instid0(VALU_DEP_1) | instskip(NEXT) | instid1(VALU_DEP_1)
	v_cndmask_b32_e32 v8, v10, v13, vcc_lo
	v_and_or_b32 v10, 0x80000000, v7, v8
.LBB89_1509:
	s_mov_b32 s3, 0
	s_mov_b32 s10, -1
.LBB89_1510:
	s_and_not1_b32 vcc_lo, exec_lo, s3
	s_mov_b32 s3, 0
	s_cbranch_vccnz .LBB89_1521
; %bb.1511:
	v_cmp_lt_i16_e32 vcc_lo, 14, v9
	s_cbranch_vccz .LBB89_1514
; %bb.1512:
	v_cmp_eq_u16_e32 vcc_lo, 15, v9
	s_cbranch_vccz .LBB89_1517
; %bb.1513:
	global_load_u16 v7, v[5:6], off
	s_mov_b32 s2, 0
	s_mov_b32 s10, -1
	s_waitcnt vmcnt(0)
	v_lshlrev_b32_e32 v10, 16, v7
	s_branch .LBB89_1519
.LBB89_1514:
	s_mov_b32 s3, -1
	s_branch .LBB89_1518
.LBB89_1515:
	s_or_saveexec_b32 s11, s11
	v_mov_b32_e32 v10, s10
	s_xor_b32 exec_lo, exec_lo, s11
	s_cbranch_execz .LBB89_1496
.LBB89_1516:
	v_cmp_ne_u16_e32 vcc_lo, 0, v7
	v_mov_b32_e32 v10, 0
	s_and_not1_b32 s3, s3, exec_lo
	s_and_b32 s10, vcc_lo, exec_lo
	s_delay_alu instid0(SALU_CYCLE_1)
	s_or_b32 s3, s3, s10
	s_or_b32 exec_lo, exec_lo, s11
	s_and_saveexec_b32 s10, s3
	s_cbranch_execnz .LBB89_1497
	s_branch .LBB89_1498
.LBB89_1517:
	s_mov_b32 s2, -1
.LBB89_1518:
                                        ; implicit-def: $vgpr10
.LBB89_1519:
	s_and_b32 vcc_lo, exec_lo, s3
	s_mov_b32 s3, 0
	s_cbranch_vccz .LBB89_1521
; %bb.1520:
	v_cmp_ne_u16_e64 s2, 11, v9
	s_mov_b32 s3, -1
                                        ; implicit-def: $vgpr10
.LBB89_1521:
	s_delay_alu instid0(VALU_DEP_1)
	s_and_b32 vcc_lo, exec_lo, s2
	s_cbranch_vccnz .LBB89_1537
; %bb.1522:
	s_and_not1_b32 vcc_lo, exec_lo, s3
	s_cbranch_vccnz .LBB89_1524
.LBB89_1523:
	global_load_u8 v7, v[5:6], off
	s_mov_b32 s10, -1
	s_waitcnt vmcnt(0)
	v_cmp_ne_u16_e32 vcc_lo, 0, v7
	v_cndmask_b32_e64 v10, 0, 1.0, vcc_lo
.LBB89_1524:
.LBB89_1525:
	s_and_not1_b32 vcc_lo, exec_lo, s10
	s_cbranch_vccnz .LBB89_2090
.LBB89_1526:
	v_cmp_gt_i16_e32 vcc_lo, 11, v9
	v_add_co_u32 v4, s2, s6, v4
	s_delay_alu instid0(VALU_DEP_1)
	v_add_co_ci_u32_e64 v5, null, s7, 0, s2
	s_mov_b32 s6, 0
	s_cbranch_vccnz .LBB89_1533
; %bb.1527:
	v_cmp_lt_i16_e32 vcc_lo, 25, v9
	s_mov_b32 s3, 0
	s_cbranch_vccz .LBB89_1534
; %bb.1528:
	v_cmp_lt_i16_e32 vcc_lo, 28, v9
	s_cbranch_vccz .LBB89_1535
; %bb.1529:
	v_cmp_lt_i16_e32 vcc_lo, 43, v9
	;; [unrolled: 3-line block ×3, first 2 shown]
	s_cbranch_vccz .LBB89_1539
; %bb.1531:
	v_cmp_eq_u16_e32 vcc_lo, 46, v9
	s_mov_b32 s7, 0
	s_cbranch_vccz .LBB89_1542
; %bb.1532:
	global_load_b32 v6, v[4:5], off
	s_mov_b32 s2, 0
	s_mov_b32 s6, -1
	s_waitcnt vmcnt(0)
	v_lshlrev_b32_e32 v8, 16, v6
	s_branch .LBB89_1544
.LBB89_1533:
	s_mov_b32 s2, -1
                                        ; implicit-def: $vgpr8
	s_branch .LBB89_1610
.LBB89_1534:
	s_mov_b32 s7, -1
	s_mov_b32 s2, 0
                                        ; implicit-def: $vgpr8
	s_branch .LBB89_1573
.LBB89_1535:
	s_mov_b32 s7, -1
	s_mov_b32 s2, 0
                                        ; implicit-def: $vgpr8
	s_branch .LBB89_1554
.LBB89_1536:
	s_mov_b32 s7, -1
	s_mov_b32 s2, 0
                                        ; implicit-def: $vgpr8
	s_branch .LBB89_1549
.LBB89_1537:
	s_cbranch_execnz .LBB89_1540
; %bb.1538:
	s_or_b32 s1, s1, exec_lo
                                        ; implicit-def: $vgpr10
	s_cbranch_execz .LBB89_1523
	s_branch .LBB89_1524
.LBB89_1539:
	s_mov_b32 s7, -1
	s_mov_b32 s2, 0
	s_branch .LBB89_1543
.LBB89_1540:
	s_trap 2
	s_sendmsg_rtn_b32 s0, sendmsg(MSG_RTN_GET_DOORBELL)
	s_mov_b32 ttmp2, m0
	s_waitcnt lgkmcnt(0)
	s_and_b32 s0, s0, 0x3ff
	s_delay_alu instid0(SALU_CYCLE_1) | instskip(NEXT) | instid1(SALU_CYCLE_1)
	s_bitset1_b32 s0, 10
	s_mov_b32 m0, s0
	s_sendmsg sendmsg(MSG_INTERRUPT)
	s_mov_b32 m0, ttmp2
.LBB89_1541:                            ; =>This Inner Loop Header: Depth=1
	s_sethalt 5
	s_branch .LBB89_1541
.LBB89_1542:
	s_mov_b32 s2, -1
.LBB89_1543:
                                        ; implicit-def: $vgpr8
.LBB89_1544:
	s_and_b32 vcc_lo, exec_lo, s7
	s_cbranch_vccz .LBB89_1548
; %bb.1545:
	v_cmp_eq_u16_e32 vcc_lo, 44, v9
	s_cbranch_vccz .LBB89_1547
; %bb.1546:
	global_load_u8 v6, v[4:5], off
	s_mov_b32 s2, 0
	s_mov_b32 s6, -1
	s_waitcnt vmcnt(0)
	v_lshlrev_b32_e32 v7, 23, v6
	v_cmp_ne_u32_e32 vcc_lo, 0xff, v6
	s_delay_alu instid0(VALU_DEP_2) | instskip(SKIP_1) | instid1(VALU_DEP_2)
	v_cndmask_b32_e32 v7, 0x7f800001, v7, vcc_lo
	v_cmp_ne_u32_e32 vcc_lo, 0, v6
	v_cndmask_b32_e32 v8, 0x400000, v7, vcc_lo
	s_branch .LBB89_1548
.LBB89_1547:
	s_mov_b32 s2, -1
                                        ; implicit-def: $vgpr8
.LBB89_1548:
	s_mov_b32 s7, 0
.LBB89_1549:
	s_delay_alu instid0(SALU_CYCLE_1)
	s_and_b32 vcc_lo, exec_lo, s7
	s_cbranch_vccz .LBB89_1553
; %bb.1550:
	v_cmp_eq_u16_e32 vcc_lo, 29, v9
	s_cbranch_vccz .LBB89_1552
; %bb.1551:
	global_load_b64 v[6:7], v[4:5], off
	s_mov_b32 s2, 0
	s_mov_b32 s6, -1
	s_mov_b32 s7, 0
	s_waitcnt vmcnt(0)
	v_clz_i32_u32_e32 v8, v7
	s_delay_alu instid0(VALU_DEP_1) | instskip(NEXT) | instid1(VALU_DEP_1)
	v_min_u32_e32 v8, 32, v8
	v_lshlrev_b64 v[6:7], v8, v[6:7]
	s_delay_alu instid0(VALU_DEP_1) | instskip(NEXT) | instid1(VALU_DEP_1)
	v_min_u32_e32 v6, 1, v6
	v_or_b32_e32 v6, v7, v6
	v_sub_nc_u32_e32 v7, 32, v8
	s_delay_alu instid0(VALU_DEP_2) | instskip(NEXT) | instid1(VALU_DEP_1)
	v_cvt_f32_u32_e32 v6, v6
	v_ldexp_f32 v8, v6, v7
	s_branch .LBB89_1554
.LBB89_1552:
	s_mov_b32 s2, -1
                                        ; implicit-def: $vgpr8
.LBB89_1553:
	s_mov_b32 s7, 0
.LBB89_1554:
	s_delay_alu instid0(SALU_CYCLE_1)
	s_and_b32 vcc_lo, exec_lo, s7
	s_cbranch_vccz .LBB89_1572
; %bb.1555:
	v_cmp_gt_i16_e32 vcc_lo, 27, v9
	s_cbranch_vccnz .LBB89_1558
; %bb.1556:
	v_cmp_lt_i16_e32 vcc_lo, 27, v9
	s_cbranch_vccz .LBB89_1559
; %bb.1557:
	global_load_b32 v6, v[4:5], off
	s_mov_b32 s6, 0
	s_waitcnt vmcnt(0)
	v_cvt_f32_u32_e32 v8, v6
	s_branch .LBB89_1560
.LBB89_1558:
	s_mov_b32 s6, -1
                                        ; implicit-def: $vgpr8
	s_branch .LBB89_1563
.LBB89_1559:
	s_mov_b32 s6, -1
                                        ; implicit-def: $vgpr8
.LBB89_1560:
	s_delay_alu instid0(SALU_CYCLE_1)
	s_and_not1_b32 vcc_lo, exec_lo, s6
	s_cbranch_vccnz .LBB89_1562
; %bb.1561:
	global_load_u16 v6, v[4:5], off
	s_waitcnt vmcnt(0)
	v_cvt_f32_u32_e32 v8, v6
.LBB89_1562:
	s_mov_b32 s6, 0
.LBB89_1563:
	s_delay_alu instid0(SALU_CYCLE_1)
	s_and_not1_b32 vcc_lo, exec_lo, s6
	s_cbranch_vccnz .LBB89_1571
; %bb.1564:
	global_load_u8 v6, v[4:5], off
	s_mov_b32 s6, 0
	s_mov_b32 s10, exec_lo
                                        ; implicit-def: $sgpr7
	s_waitcnt vmcnt(0)
	v_cmpx_lt_i16_e32 0x7f, v6
	s_xor_b32 s10, exec_lo, s10
	s_cbranch_execz .LBB89_1585
; %bb.1565:
	s_mov_b32 s6, -1
	s_mov_b32 s11, exec_lo
                                        ; implicit-def: $sgpr7
	v_cmpx_eq_u16_e32 0x80, v6
; %bb.1566:
	s_mov_b32 s7, 0x7f800001
	s_xor_b32 s6, exec_lo, -1
; %bb.1567:
	s_or_b32 exec_lo, exec_lo, s11
	s_delay_alu instid0(SALU_CYCLE_1)
	s_and_b32 s6, s6, exec_lo
	s_or_saveexec_b32 s10, s10
	v_mov_b32_e32 v8, s7
	s_xor_b32 exec_lo, exec_lo, s10
	s_cbranch_execnz .LBB89_1586
.LBB89_1568:
	s_or_b32 exec_lo, exec_lo, s10
	s_and_saveexec_b32 s7, s6
	s_cbranch_execz .LBB89_1570
.LBB89_1569:
	v_and_b32_e32 v7, 0xffff, v6
	v_lshlrev_b32_e32 v6, 24, v6
	s_delay_alu instid0(VALU_DEP_2) | instskip(NEXT) | instid1(VALU_DEP_2)
	v_and_b32_e32 v8, 7, v7
	v_and_b32_e32 v6, 0x80000000, v6
	s_delay_alu instid0(VALU_DEP_2) | instskip(NEXT) | instid1(VALU_DEP_1)
	v_clz_i32_u32_e32 v13, v8
	v_min_u32_e32 v13, 32, v13
	s_delay_alu instid0(VALU_DEP_1) | instskip(SKIP_1) | instid1(VALU_DEP_2)
	v_subrev_nc_u32_e32 v14, 28, v13
	v_sub_nc_u32_e32 v13, 29, v13
	v_lshlrev_b32_e32 v14, v14, v7
	v_bfe_u32 v7, v7, 3, 4
	s_delay_alu instid0(VALU_DEP_2) | instskip(NEXT) | instid1(VALU_DEP_2)
	v_and_b32_e32 v14, 7, v14
	v_cmp_eq_u32_e32 vcc_lo, 0, v7
	s_delay_alu instid0(VALU_DEP_2) | instskip(NEXT) | instid1(VALU_DEP_1)
	v_dual_cndmask_b32 v7, v7, v13 :: v_dual_cndmask_b32 v8, v8, v14
	v_lshl_add_u32 v7, v7, 23, 0x3b800000
	s_delay_alu instid0(VALU_DEP_2) | instskip(NEXT) | instid1(VALU_DEP_1)
	v_lshlrev_b32_e32 v8, 20, v8
	v_or3_b32 v8, v6, v7, v8
.LBB89_1570:
	s_or_b32 exec_lo, exec_lo, s7
.LBB89_1571:
	s_mov_b32 s6, -1
.LBB89_1572:
	s_mov_b32 s7, 0
.LBB89_1573:
	s_delay_alu instid0(SALU_CYCLE_1)
	s_and_b32 vcc_lo, exec_lo, s7
	s_cbranch_vccz .LBB89_1606
; %bb.1574:
	v_cmp_lt_i16_e32 vcc_lo, 22, v9
	s_cbranch_vccz .LBB89_1584
; %bb.1575:
	v_cmp_gt_i16_e32 vcc_lo, 24, v9
	s_cbranch_vccnz .LBB89_1587
; %bb.1576:
	v_cmp_lt_i16_e32 vcc_lo, 24, v9
	s_cbranch_vccz .LBB89_1588
; %bb.1577:
	global_load_u8 v6, v[4:5], off
	s_mov_b32 s7, exec_lo
                                        ; implicit-def: $sgpr6
	s_waitcnt vmcnt(0)
	v_cmpx_lt_i16_e32 0x7f, v6
	s_xor_b32 s7, exec_lo, s7
	s_cbranch_execz .LBB89_1600
; %bb.1578:
	s_mov_b32 s3, -1
	s_mov_b32 s10, exec_lo
                                        ; implicit-def: $sgpr6
	v_cmpx_eq_u16_e32 0x80, v6
; %bb.1579:
	s_mov_b32 s6, 0x7f800001
	s_xor_b32 s3, exec_lo, -1
; %bb.1580:
	s_or_b32 exec_lo, exec_lo, s10
	s_delay_alu instid0(SALU_CYCLE_1)
	s_and_b32 s3, s3, exec_lo
	s_or_saveexec_b32 s7, s7
	v_mov_b32_e32 v8, s6
	s_xor_b32 exec_lo, exec_lo, s7
	s_cbranch_execnz .LBB89_1601
.LBB89_1581:
	s_or_b32 exec_lo, exec_lo, s7
	s_and_saveexec_b32 s6, s3
	s_cbranch_execz .LBB89_1583
.LBB89_1582:
	v_and_b32_e32 v7, 0xffff, v6
	v_lshlrev_b32_e32 v6, 24, v6
	s_delay_alu instid0(VALU_DEP_2) | instskip(NEXT) | instid1(VALU_DEP_2)
	v_and_b32_e32 v8, 3, v7
	v_and_b32_e32 v6, 0x80000000, v6
	s_delay_alu instid0(VALU_DEP_2) | instskip(NEXT) | instid1(VALU_DEP_1)
	v_clz_i32_u32_e32 v13, v8
	v_min_u32_e32 v13, 32, v13
	s_delay_alu instid0(VALU_DEP_1) | instskip(SKIP_1) | instid1(VALU_DEP_2)
	v_subrev_nc_u32_e32 v14, 29, v13
	v_sub_nc_u32_e32 v13, 30, v13
	v_lshlrev_b32_e32 v14, v14, v7
	v_bfe_u32 v7, v7, 2, 5
	s_delay_alu instid0(VALU_DEP_2) | instskip(NEXT) | instid1(VALU_DEP_2)
	v_and_b32_e32 v14, 3, v14
	v_cmp_eq_u32_e32 vcc_lo, 0, v7
	s_delay_alu instid0(VALU_DEP_2) | instskip(NEXT) | instid1(VALU_DEP_1)
	v_dual_cndmask_b32 v7, v7, v13 :: v_dual_cndmask_b32 v8, v8, v14
	v_lshl_add_u32 v7, v7, 23, 0x37800000
	s_delay_alu instid0(VALU_DEP_2) | instskip(NEXT) | instid1(VALU_DEP_1)
	v_lshlrev_b32_e32 v8, 21, v8
	v_or3_b32 v8, v6, v7, v8
.LBB89_1583:
	s_or_b32 exec_lo, exec_lo, s6
	s_mov_b32 s3, 0
	s_branch .LBB89_1589
.LBB89_1584:
	s_mov_b32 s3, -1
                                        ; implicit-def: $vgpr8
	s_branch .LBB89_1595
.LBB89_1585:
	s_or_saveexec_b32 s10, s10
	v_mov_b32_e32 v8, s7
	s_xor_b32 exec_lo, exec_lo, s10
	s_cbranch_execz .LBB89_1568
.LBB89_1586:
	v_cmp_ne_u16_e32 vcc_lo, 0, v6
	v_mov_b32_e32 v8, 0
	s_and_not1_b32 s6, s6, exec_lo
	s_and_b32 s7, vcc_lo, exec_lo
	s_delay_alu instid0(SALU_CYCLE_1)
	s_or_b32 s6, s6, s7
	s_or_b32 exec_lo, exec_lo, s10
	s_and_saveexec_b32 s7, s6
	s_cbranch_execnz .LBB89_1569
	s_branch .LBB89_1570
.LBB89_1587:
	s_mov_b32 s3, -1
                                        ; implicit-def: $vgpr8
	s_branch .LBB89_1592
.LBB89_1588:
	s_mov_b32 s3, -1
                                        ; implicit-def: $vgpr8
.LBB89_1589:
	s_delay_alu instid0(SALU_CYCLE_1)
	s_and_b32 vcc_lo, exec_lo, s3
	s_cbranch_vccz .LBB89_1591
; %bb.1590:
	global_load_u8 v6, v[4:5], off
	s_waitcnt vmcnt(0)
	v_lshlrev_b32_e32 v6, 24, v6
	s_delay_alu instid0(VALU_DEP_1) | instskip(NEXT) | instid1(VALU_DEP_1)
	v_and_b32_e32 v7, 0x7f000000, v6
	v_clz_i32_u32_e32 v8, v7
	v_add_nc_u32_e32 v14, 0x1000000, v7
	v_cmp_ne_u32_e32 vcc_lo, 0, v7
	s_delay_alu instid0(VALU_DEP_3) | instskip(NEXT) | instid1(VALU_DEP_1)
	v_min_u32_e32 v8, 32, v8
	v_sub_nc_u32_e64 v8, v8, 4 clamp
	s_delay_alu instid0(VALU_DEP_1) | instskip(SKIP_1) | instid1(VALU_DEP_2)
	v_lshlrev_b32_e32 v13, v8, v7
	v_lshlrev_b32_e32 v8, 23, v8
	v_lshrrev_b32_e32 v13, 4, v13
	s_delay_alu instid0(VALU_DEP_1) | instskip(SKIP_1) | instid1(VALU_DEP_2)
	v_sub_nc_u32_e32 v8, v13, v8
	v_ashrrev_i32_e32 v13, 8, v14
	v_add_nc_u32_e32 v8, 0x3c000000, v8
	s_delay_alu instid0(VALU_DEP_1) | instskip(NEXT) | instid1(VALU_DEP_1)
	v_and_or_b32 v8, 0x7f800000, v13, v8
	v_cndmask_b32_e32 v7, 0, v8, vcc_lo
	s_delay_alu instid0(VALU_DEP_1)
	v_and_or_b32 v8, 0x80000000, v6, v7
.LBB89_1591:
	s_mov_b32 s3, 0
.LBB89_1592:
	s_delay_alu instid0(SALU_CYCLE_1)
	s_and_not1_b32 vcc_lo, exec_lo, s3
	s_cbranch_vccnz .LBB89_1594
; %bb.1593:
	global_load_u8 v6, v[4:5], off
	s_waitcnt vmcnt(0)
	v_lshlrev_b32_e32 v7, 25, v6
	v_lshlrev_b16 v6, 8, v6
	s_delay_alu instid0(VALU_DEP_2) | instskip(NEXT) | instid1(VALU_DEP_2)
	v_lshrrev_b32_e32 v8, 4, v7
	v_and_or_b32 v13, 0x7f00, v6, 0.5
	v_bfe_i32 v6, v6, 0, 16
	s_delay_alu instid0(VALU_DEP_3) | instskip(NEXT) | instid1(VALU_DEP_1)
	v_or_b32_e32 v8, 0x70000000, v8
	v_dual_add_f32 v13, -0.5, v13 :: v_dual_mul_f32 v8, 0x7800000, v8
	v_cmp_gt_u32_e32 vcc_lo, 0x8000000, v7
	s_delay_alu instid0(VALU_DEP_2) | instskip(NEXT) | instid1(VALU_DEP_1)
	v_cndmask_b32_e32 v7, v8, v13, vcc_lo
	v_and_or_b32 v8, 0x80000000, v6, v7
.LBB89_1594:
	s_mov_b32 s3, 0
	s_mov_b32 s6, -1
.LBB89_1595:
	s_and_not1_b32 vcc_lo, exec_lo, s3
	s_mov_b32 s3, 0
	s_cbranch_vccnz .LBB89_1606
; %bb.1596:
	v_cmp_lt_i16_e32 vcc_lo, 14, v9
	s_cbranch_vccz .LBB89_1599
; %bb.1597:
	v_cmp_eq_u16_e32 vcc_lo, 15, v9
	s_cbranch_vccz .LBB89_1602
; %bb.1598:
	global_load_u16 v6, v[4:5], off
	s_mov_b32 s2, 0
	s_mov_b32 s6, -1
	s_waitcnt vmcnt(0)
	v_lshlrev_b32_e32 v8, 16, v6
	s_branch .LBB89_1604
.LBB89_1599:
	s_mov_b32 s3, -1
	s_branch .LBB89_1603
.LBB89_1600:
	s_or_saveexec_b32 s7, s7
	v_mov_b32_e32 v8, s6
	s_xor_b32 exec_lo, exec_lo, s7
	s_cbranch_execz .LBB89_1581
.LBB89_1601:
	v_cmp_ne_u16_e32 vcc_lo, 0, v6
	v_mov_b32_e32 v8, 0
	s_and_not1_b32 s3, s3, exec_lo
	s_and_b32 s6, vcc_lo, exec_lo
	s_delay_alu instid0(SALU_CYCLE_1)
	s_or_b32 s3, s3, s6
	s_or_b32 exec_lo, exec_lo, s7
	s_and_saveexec_b32 s6, s3
	s_cbranch_execnz .LBB89_1582
	s_branch .LBB89_1583
.LBB89_1602:
	s_mov_b32 s2, -1
.LBB89_1603:
                                        ; implicit-def: $vgpr8
.LBB89_1604:
	s_and_b32 vcc_lo, exec_lo, s3
	s_mov_b32 s3, 0
	s_cbranch_vccz .LBB89_1606
; %bb.1605:
	v_cmp_ne_u16_e64 s2, 11, v9
	s_mov_b32 s3, -1
                                        ; implicit-def: $vgpr8
.LBB89_1606:
	s_delay_alu instid0(VALU_DEP_1)
	s_and_b32 vcc_lo, exec_lo, s2
	s_cbranch_vccnz .LBB89_2135
; %bb.1607:
	s_and_not1_b32 vcc_lo, exec_lo, s3
	s_cbranch_vccnz .LBB89_1609
.LBB89_1608:
	global_load_u8 v6, v[4:5], off
	s_mov_b32 s6, -1
	s_waitcnt vmcnt(0)
	v_cmp_ne_u16_e32 vcc_lo, 0, v6
	v_cndmask_b32_e64 v8, 0, 1.0, vcc_lo
.LBB89_1609:
	s_mov_b32 s2, 0
.LBB89_1610:
	s_delay_alu instid0(SALU_CYCLE_1)
	s_and_b32 vcc_lo, exec_lo, s2
	s_cbranch_vccz .LBB89_1659
; %bb.1611:
	v_cmp_gt_i16_e32 vcc_lo, 5, v9
	s_cbranch_vccnz .LBB89_1616
; %bb.1612:
	v_cmp_gt_i16_e32 vcc_lo, 8, v9
	s_cbranch_vccnz .LBB89_1617
; %bb.1613:
	v_cmp_gt_i16_e32 vcc_lo, 9, v9
	s_cbranch_vccnz .LBB89_1618
; %bb.1614:
	v_cmp_lt_i16_e32 vcc_lo, 9, v9
	s_cbranch_vccz .LBB89_1619
; %bb.1615:
	global_load_b64 v[6:7], v[4:5], off
	s_mov_b32 s2, 0
	s_waitcnt vmcnt(0)
	v_cvt_f32_f64_e32 v8, v[6:7]
	s_branch .LBB89_1620
.LBB89_1616:
	s_mov_b32 s2, -1
                                        ; implicit-def: $vgpr8
	s_branch .LBB89_1638
.LBB89_1617:
	s_mov_b32 s2, -1
                                        ; implicit-def: $vgpr8
	s_branch .LBB89_1626
.LBB89_1618:
	s_mov_b32 s2, -1
                                        ; implicit-def: $vgpr8
	s_branch .LBB89_1623
.LBB89_1619:
	s_mov_b32 s2, -1
                                        ; implicit-def: $vgpr8
.LBB89_1620:
	s_delay_alu instid0(SALU_CYCLE_1)
	s_and_not1_b32 vcc_lo, exec_lo, s2
	s_cbranch_vccnz .LBB89_1622
; %bb.1621:
	global_load_b32 v8, v[4:5], off
.LBB89_1622:
	s_mov_b32 s2, 0
.LBB89_1623:
	s_delay_alu instid0(SALU_CYCLE_1)
	s_and_not1_b32 vcc_lo, exec_lo, s2
	s_cbranch_vccnz .LBB89_1625
; %bb.1624:
	global_load_b32 v6, v[4:5], off
	s_waitcnt vmcnt(0)
	v_cvt_f32_f16_e32 v8, v6
.LBB89_1625:
	s_mov_b32 s2, 0
.LBB89_1626:
	s_delay_alu instid0(SALU_CYCLE_1)
	s_and_not1_b32 vcc_lo, exec_lo, s2
	s_cbranch_vccnz .LBB89_1637
; %bb.1627:
	v_cmp_gt_i16_e32 vcc_lo, 6, v9
	s_cbranch_vccnz .LBB89_1630
; %bb.1628:
	v_cmp_lt_i16_e32 vcc_lo, 6, v9
	s_cbranch_vccz .LBB89_1631
; %bb.1629:
	global_load_b64 v[6:7], v[4:5], off
	s_mov_b32 s2, 0
	s_waitcnt vmcnt(0)
	v_cvt_f32_f64_e32 v8, v[6:7]
	s_branch .LBB89_1632
.LBB89_1630:
	s_mov_b32 s2, -1
                                        ; implicit-def: $vgpr8
	s_branch .LBB89_1635
.LBB89_1631:
	s_mov_b32 s2, -1
                                        ; implicit-def: $vgpr8
.LBB89_1632:
	s_delay_alu instid0(SALU_CYCLE_1)
	s_and_not1_b32 vcc_lo, exec_lo, s2
	s_cbranch_vccnz .LBB89_1634
; %bb.1633:
	global_load_b32 v8, v[4:5], off
.LBB89_1634:
	s_mov_b32 s2, 0
.LBB89_1635:
	s_delay_alu instid0(SALU_CYCLE_1)
	s_and_not1_b32 vcc_lo, exec_lo, s2
	s_cbranch_vccnz .LBB89_1637
; %bb.1636:
	global_load_u16 v6, v[4:5], off
	s_waitcnt vmcnt(0)
	v_cvt_f32_f16_e32 v8, v6
.LBB89_1637:
	s_mov_b32 s2, 0
.LBB89_1638:
	s_delay_alu instid0(SALU_CYCLE_1)
	s_and_not1_b32 vcc_lo, exec_lo, s2
	s_cbranch_vccnz .LBB89_1658
; %bb.1639:
	v_cmp_gt_i16_e32 vcc_lo, 2, v9
	s_cbranch_vccnz .LBB89_1643
; %bb.1640:
	v_cmp_gt_i16_e32 vcc_lo, 3, v9
	s_cbranch_vccnz .LBB89_1644
; %bb.1641:
	v_cmp_lt_i16_e32 vcc_lo, 3, v9
	s_cbranch_vccz .LBB89_1645
; %bb.1642:
	global_load_b64 v[6:7], v[4:5], off
	s_mov_b32 s2, 0
	s_waitcnt vmcnt(0)
	v_xor_b32_e32 v8, v6, v7
	v_cls_i32_e32 v13, v7
	s_delay_alu instid0(VALU_DEP_2) | instskip(NEXT) | instid1(VALU_DEP_2)
	v_ashrrev_i32_e32 v8, 31, v8
	v_add_nc_u32_e32 v13, -1, v13
	s_delay_alu instid0(VALU_DEP_2) | instskip(NEXT) | instid1(VALU_DEP_1)
	v_add_nc_u32_e32 v8, 32, v8
	v_min_u32_e32 v8, v13, v8
	s_delay_alu instid0(VALU_DEP_1) | instskip(NEXT) | instid1(VALU_DEP_1)
	v_lshlrev_b64 v[6:7], v8, v[6:7]
	v_min_u32_e32 v6, 1, v6
	s_delay_alu instid0(VALU_DEP_1) | instskip(SKIP_1) | instid1(VALU_DEP_2)
	v_or_b32_e32 v6, v7, v6
	v_sub_nc_u32_e32 v7, 32, v8
	v_cvt_f32_i32_e32 v6, v6
	s_delay_alu instid0(VALU_DEP_1)
	v_ldexp_f32 v8, v6, v7
	s_branch .LBB89_1646
.LBB89_1643:
	s_mov_b32 s2, -1
                                        ; implicit-def: $vgpr8
	s_branch .LBB89_1652
.LBB89_1644:
	s_mov_b32 s2, -1
                                        ; implicit-def: $vgpr8
	s_branch .LBB89_1649
.LBB89_1645:
	s_mov_b32 s2, -1
                                        ; implicit-def: $vgpr8
.LBB89_1646:
	s_delay_alu instid0(SALU_CYCLE_1)
	s_and_not1_b32 vcc_lo, exec_lo, s2
	s_cbranch_vccnz .LBB89_1648
; %bb.1647:
	global_load_b32 v6, v[4:5], off
	s_waitcnt vmcnt(0)
	v_cvt_f32_i32_e32 v8, v6
.LBB89_1648:
	s_mov_b32 s2, 0
.LBB89_1649:
	s_delay_alu instid0(SALU_CYCLE_1)
	s_and_not1_b32 vcc_lo, exec_lo, s2
	s_cbranch_vccnz .LBB89_1651
; %bb.1650:
	global_load_i16 v6, v[4:5], off
	s_waitcnt vmcnt(0)
	v_cvt_f32_i32_e32 v8, v6
.LBB89_1651:
	s_mov_b32 s2, 0
.LBB89_1652:
	s_delay_alu instid0(SALU_CYCLE_1)
	s_and_not1_b32 vcc_lo, exec_lo, s2
	s_cbranch_vccnz .LBB89_1658
; %bb.1653:
	v_cmp_lt_i16_e32 vcc_lo, 0, v9
	s_mov_b32 s2, 0
	s_cbranch_vccz .LBB89_1655
; %bb.1654:
	global_load_i8 v6, v[4:5], off
	s_waitcnt vmcnt(0)
	v_cvt_f32_i32_e32 v8, v6
	s_branch .LBB89_1656
.LBB89_1655:
	s_mov_b32 s2, -1
                                        ; implicit-def: $vgpr8
.LBB89_1656:
	s_delay_alu instid0(SALU_CYCLE_1)
	s_and_not1_b32 vcc_lo, exec_lo, s2
	s_cbranch_vccnz .LBB89_1658
; %bb.1657:
	global_load_u8 v4, v[4:5], off
	s_waitcnt vmcnt(0)
	v_cvt_f32_ubyte0_e32 v8, v4
.LBB89_1658:
	s_mov_b32 s6, -1
.LBB89_1659:
	s_delay_alu instid0(SALU_CYCLE_1)
	s_and_not1_b32 vcc_lo, exec_lo, s6
	s_cbranch_vccnz .LBB89_2090
; %bb.1660:
	v_mul_f32_e32 v4, 0x3fb8aa3b, v12
	s_lshr_b32 s0, s0, 8
	s_mov_b32 s3, 0
	v_and_b32_e64 v7, 0xff, s0
	v_cmp_ngt_f32_e64 s0, 0xc2ce8ed0, v12
	v_rndne_f32_e32 v5, v4
	v_fma_f32 v6, 0x3fb8aa3b, v12, -v4
	s_delay_alu instid0(VALU_DEP_4) | instskip(NEXT) | instid1(VALU_DEP_3)
	v_cmp_gt_i16_e32 vcc_lo, 11, v7
	v_sub_f32_e32 v4, v4, v5
	s_delay_alu instid0(VALU_DEP_3) | instskip(SKIP_2) | instid1(VALU_DEP_2)
	v_fmamk_f32 v6, v12, 0x32a5705f, v6
	v_cvt_i32_f32_e32 v5, v5
	s_and_b32 vcc_lo, exec_lo, vcc_lo
	v_add_f32_e32 v4, v4, v6
	s_delay_alu instid0(VALU_DEP_1) | instskip(SKIP_2) | instid1(VALU_DEP_1)
	v_exp_f32_e32 v4, v4
	s_waitcnt_depctr 0xfff
	v_ldexp_f32 v4, v4, v5
	v_cndmask_b32_e64 v5, 0, v4, s0
	v_add_co_u32 v3, s0, s4, v3
	s_delay_alu instid0(VALU_DEP_1) | instskip(SKIP_1) | instid1(VALU_DEP_1)
	v_add_co_ci_u32_e64 v4, null, s5, 0, s0
	v_cmp_nlt_f32_e64 s0, 0x42b17218, v12
	v_cndmask_b32_e64 v5, 0x7f800000, v5, s0
	s_mov_b32 s0, -1
	s_cbranch_vccnz .LBB89_1738
; %bb.1661:
	v_cmp_lt_i16_e32 vcc_lo, 25, v7
	s_mov_b32 s6, -1
	s_mov_b32 s2, 0
	s_mov_b32 s0, 0
	s_cbranch_vccz .LBB89_1694
; %bb.1662:
	v_cmp_lt_i16_e32 vcc_lo, 28, v7
	s_cbranch_vccz .LBB89_1677
; %bb.1663:
	v_cmp_lt_i16_e32 vcc_lo, 43, v7
	;; [unrolled: 3-line block ×3, first 2 shown]
	s_cbranch_vccz .LBB89_1667
; %bb.1665:
	v_cmp_eq_u16_e32 vcc_lo, 46, v7
	s_mov_b32 s0, -1
	s_mov_b32 s6, 0
	s_cbranch_vccz .LBB89_1667
; %bb.1666:
	v_bfe_u32 v6, v5, 16, 1
	v_cmp_o_f32_e32 vcc_lo, v5, v5
	s_mov_b32 s0, 0
	s_mov_b32 s3, -1
	s_delay_alu instid0(VALU_DEP_2) | instskip(NEXT) | instid1(VALU_DEP_1)
	v_add3_u32 v6, v5, v6, 0x7fff
	v_lshrrev_b32_e32 v6, 16, v6
	s_delay_alu instid0(VALU_DEP_1)
	v_cndmask_b32_e32 v6, 0x7fc0, v6, vcc_lo
	global_store_b32 v[3:4], v6, off
.LBB89_1667:
	s_and_b32 vcc_lo, exec_lo, s6
	s_cbranch_vccz .LBB89_1672
; %bb.1668:
	v_cmp_eq_u16_e32 vcc_lo, 44, v7
	s_mov_b32 s0, -1
	s_cbranch_vccz .LBB89_1672
; %bb.1669:
	v_bfe_u32 v9, v5, 23, 8
	v_mov_b32_e32 v6, 0xff
	s_mov_b32 s3, exec_lo
	s_delay_alu instid0(VALU_DEP_2)
	v_cmpx_ne_u32_e32 0xff, v9
; %bb.1670:
	v_and_b32_e32 v6, 0x400000, v5
	v_and_or_b32 v9, 0x3fffff, v5, v9
	s_delay_alu instid0(VALU_DEP_2) | instskip(NEXT) | instid1(VALU_DEP_2)
	v_cmp_ne_u32_e32 vcc_lo, 0, v6
	v_cmp_ne_u32_e64 s0, 0, v9
	v_lshrrev_b32_e32 v6, 23, v5
	s_delay_alu instid0(VALU_DEP_2) | instskip(NEXT) | instid1(SALU_CYCLE_1)
	s_and_b32 s0, vcc_lo, s0
	v_cndmask_b32_e64 v9, 0, 1, s0
	s_delay_alu instid0(VALU_DEP_1)
	v_add_nc_u32_e32 v6, v6, v9
; %bb.1671:
	s_or_b32 exec_lo, exec_lo, s3
	s_mov_b32 s0, 0
	s_mov_b32 s3, -1
	global_store_b8 v[3:4], v6, off
.LBB89_1672:
	s_mov_b32 s6, 0
.LBB89_1673:
	s_delay_alu instid0(SALU_CYCLE_1)
	s_and_b32 vcc_lo, exec_lo, s6
	s_cbranch_vccz .LBB89_1676
; %bb.1674:
	v_cmp_eq_u16_e32 vcc_lo, 29, v7
	s_mov_b32 s0, -1
	s_cbranch_vccz .LBB89_1676
; %bb.1675:
	v_trunc_f32_e32 v6, v5
	s_mov_b32 s0, 0
	s_mov_b32 s3, -1
	s_delay_alu instid0(VALU_DEP_1) | instskip(NEXT) | instid1(VALU_DEP_1)
	v_mul_f32_e32 v9, 0x2f800000, v6
	v_floor_f32_e32 v9, v9
	s_delay_alu instid0(VALU_DEP_1) | instskip(SKIP_1) | instid1(VALU_DEP_2)
	v_fmamk_f32 v6, v9, 0xcf800000, v6
	v_cvt_u32_f32_e32 v13, v9
	v_cvt_u32_f32_e32 v12, v6
	global_store_b64 v[3:4], v[12:13], off
.LBB89_1676:
	s_mov_b32 s6, 0
.LBB89_1677:
	s_delay_alu instid0(SALU_CYCLE_1)
	s_and_b32 vcc_lo, exec_lo, s6
	s_cbranch_vccz .LBB89_1693
; %bb.1678:
	v_cmp_gt_i16_e32 vcc_lo, 27, v7
	s_mov_b32 s3, -1
	s_cbranch_vccnz .LBB89_1684
; %bb.1679:
	v_cmp_lt_i16_e32 vcc_lo, 27, v7
	v_cvt_u32_f32_e32 v6, v5
	s_cbranch_vccz .LBB89_1681
; %bb.1680:
	s_mov_b32 s3, 0
	global_store_b32 v[3:4], v6, off
.LBB89_1681:
	s_and_not1_b32 vcc_lo, exec_lo, s3
	s_cbranch_vccnz .LBB89_1683
; %bb.1682:
	global_store_b16 v[3:4], v6, off
.LBB89_1683:
	s_mov_b32 s3, 0
.LBB89_1684:
	s_delay_alu instid0(SALU_CYCLE_1)
	s_and_not1_b32 vcc_lo, exec_lo, s3
	s_cbranch_vccnz .LBB89_1692
; %bb.1685:
	v_and_b32_e32 v6, 0x7fffffff, v5
	v_mov_b32_e32 v9, 0x80
	s_mov_b32 s3, exec_lo
	s_delay_alu instid0(VALU_DEP_2)
	v_cmpx_gt_u32_e32 0x43800000, v6
	s_cbranch_execz .LBB89_1691
; %bb.1686:
	v_cmp_lt_u32_e32 vcc_lo, 0x3bffffff, v6
	s_mov_b32 s6, 0
                                        ; implicit-def: $vgpr6
	s_and_saveexec_b32 s7, vcc_lo
	s_delay_alu instid0(SALU_CYCLE_1)
	s_xor_b32 s7, exec_lo, s7
	s_cbranch_execz .LBB89_2137
; %bb.1687:
	v_bfe_u32 v6, v5, 20, 1
	s_mov_b32 s6, exec_lo
	s_delay_alu instid0(VALU_DEP_1) | instskip(NEXT) | instid1(VALU_DEP_1)
	v_add3_u32 v6, v5, v6, 0x487ffff
	v_lshrrev_b32_e32 v6, 20, v6
	s_or_saveexec_b32 s7, s7
                                        ; implicit-def: $sgpr10
	s_delay_alu instid0(SALU_CYCLE_1)
	s_xor_b32 exec_lo, exec_lo, s7
	s_cbranch_execnz .LBB89_2138
.LBB89_1688:
	s_or_b32 exec_lo, exec_lo, s7
	v_mov_b32_e32 v9, s10
	s_and_saveexec_b32 s7, s6
.LBB89_1689:
	v_lshrrev_b32_e32 v9, 24, v5
	s_delay_alu instid0(VALU_DEP_1)
	v_and_or_b32 v9, 0x80, v9, v6
.LBB89_1690:
	s_or_b32 exec_lo, exec_lo, s7
.LBB89_1691:
	s_delay_alu instid0(SALU_CYCLE_1)
	s_or_b32 exec_lo, exec_lo, s3
	global_store_b8 v[3:4], v9, off
.LBB89_1692:
	s_mov_b32 s3, -1
.LBB89_1693:
	s_mov_b32 s6, 0
.LBB89_1694:
	s_delay_alu instid0(SALU_CYCLE_1)
	s_and_b32 vcc_lo, exec_lo, s6
	s_cbranch_vccz .LBB89_1734
; %bb.1695:
	v_cmp_lt_i16_e32 vcc_lo, 22, v7
	s_mov_b32 s2, -1
	s_cbranch_vccz .LBB89_1727
; %bb.1696:
	v_cmp_gt_i16_e32 vcc_lo, 24, v7
	s_cbranch_vccnz .LBB89_1716
; %bb.1697:
	v_cmp_lt_i16_e32 vcc_lo, 24, v7
	s_cbranch_vccz .LBB89_1705
; %bb.1698:
	v_and_b32_e32 v6, 0x7fffffff, v5
	v_mov_b32_e32 v9, 0x80
	s_mov_b32 s2, exec_lo
	s_delay_alu instid0(VALU_DEP_2)
	v_cmpx_gt_u32_e32 0x47800000, v6
	s_cbranch_execz .LBB89_1704
; %bb.1699:
	v_cmp_lt_u32_e32 vcc_lo, 0x37ffffff, v6
	s_mov_b32 s3, 0
                                        ; implicit-def: $vgpr6
	s_and_saveexec_b32 s6, vcc_lo
	s_delay_alu instid0(SALU_CYCLE_1)
	s_xor_b32 s6, exec_lo, s6
	s_cbranch_execz .LBB89_2143
; %bb.1700:
	v_bfe_u32 v6, v5, 21, 1
	s_mov_b32 s3, exec_lo
	s_delay_alu instid0(VALU_DEP_1) | instskip(NEXT) | instid1(VALU_DEP_1)
	v_add3_u32 v6, v5, v6, 0x88fffff
	v_lshrrev_b32_e32 v6, 21, v6
	s_or_saveexec_b32 s6, s6
                                        ; implicit-def: $sgpr7
	s_delay_alu instid0(SALU_CYCLE_1)
	s_xor_b32 exec_lo, exec_lo, s6
	s_cbranch_execnz .LBB89_2144
.LBB89_1701:
	s_or_b32 exec_lo, exec_lo, s6
	v_mov_b32_e32 v9, s7
	s_and_saveexec_b32 s6, s3
.LBB89_1702:
	v_lshrrev_b32_e32 v9, 24, v5
	s_delay_alu instid0(VALU_DEP_1)
	v_and_or_b32 v9, 0x80, v9, v6
.LBB89_1703:
	s_or_b32 exec_lo, exec_lo, s6
.LBB89_1704:
	s_delay_alu instid0(SALU_CYCLE_1)
	s_or_b32 exec_lo, exec_lo, s2
	s_mov_b32 s2, 0
	global_store_b8 v[3:4], v9, off
.LBB89_1705:
	s_and_b32 vcc_lo, exec_lo, s2
	s_cbranch_vccz .LBB89_1715
; %bb.1706:
	v_and_b32_e32 v9, 0x7fffffff, v5
	s_mov_b32 s2, exec_lo
                                        ; implicit-def: $vgpr6
	s_delay_alu instid0(VALU_DEP_1)
	v_cmpx_gt_u32_e32 0x43f00000, v9
	s_xor_b32 s2, exec_lo, s2
	s_cbranch_execz .LBB89_1712
; %bb.1707:
	s_mov_b32 s3, exec_lo
                                        ; implicit-def: $vgpr6
	v_cmpx_lt_u32_e32 0x3c7fffff, v9
	s_xor_b32 s3, exec_lo, s3
; %bb.1708:
	v_bfe_u32 v6, v5, 20, 1
	s_delay_alu instid0(VALU_DEP_1) | instskip(NEXT) | instid1(VALU_DEP_1)
	v_add3_u32 v6, v5, v6, 0x407ffff
	v_and_b32_e32 v9, 0xff00000, v6
	v_lshrrev_b32_e32 v6, 20, v6
	s_delay_alu instid0(VALU_DEP_2) | instskip(NEXT) | instid1(VALU_DEP_2)
	v_cmp_ne_u32_e32 vcc_lo, 0x7f00000, v9
	v_cndmask_b32_e32 v6, 0x7e, v6, vcc_lo
; %bb.1709:
	s_and_not1_saveexec_b32 s3, s3
; %bb.1710:
	v_add_f32_e64 v6, 0x46800000, |v5|
; %bb.1711:
	s_or_b32 exec_lo, exec_lo, s3
                                        ; implicit-def: $vgpr9
.LBB89_1712:
	s_and_not1_saveexec_b32 s2, s2
; %bb.1713:
	v_mov_b32_e32 v6, 0x7f
	v_cmp_lt_u32_e32 vcc_lo, 0x7f800000, v9
	s_delay_alu instid0(VALU_DEP_2)
	v_cndmask_b32_e32 v6, 0x7e, v6, vcc_lo
; %bb.1714:
	s_or_b32 exec_lo, exec_lo, s2
	v_lshrrev_b32_e32 v9, 24, v5
	s_delay_alu instid0(VALU_DEP_1)
	v_and_or_b32 v6, 0x80, v9, v6
	global_store_b8 v[3:4], v6, off
.LBB89_1715:
	s_mov_b32 s2, 0
.LBB89_1716:
	s_delay_alu instid0(SALU_CYCLE_1)
	s_and_not1_b32 vcc_lo, exec_lo, s2
	s_cbranch_vccnz .LBB89_1726
; %bb.1717:
	v_and_b32_e32 v9, 0x7fffffff, v5
	s_mov_b32 s2, exec_lo
                                        ; implicit-def: $vgpr6
	s_delay_alu instid0(VALU_DEP_1)
	v_cmpx_gt_u32_e32 0x47800000, v9
	s_xor_b32 s2, exec_lo, s2
	s_cbranch_execz .LBB89_1723
; %bb.1718:
	s_mov_b32 s3, exec_lo
                                        ; implicit-def: $vgpr6
	v_cmpx_lt_u32_e32 0x387fffff, v9
	s_xor_b32 s3, exec_lo, s3
; %bb.1719:
	v_bfe_u32 v6, v5, 21, 1
	s_delay_alu instid0(VALU_DEP_1) | instskip(NEXT) | instid1(VALU_DEP_1)
	v_add3_u32 v6, v5, v6, 0x80fffff
	v_lshrrev_b32_e32 v6, 21, v6
; %bb.1720:
	s_and_not1_saveexec_b32 s3, s3
; %bb.1721:
	v_add_f32_e64 v6, 0x43000000, |v5|
; %bb.1722:
	s_or_b32 exec_lo, exec_lo, s3
                                        ; implicit-def: $vgpr9
.LBB89_1723:
	s_and_not1_saveexec_b32 s2, s2
; %bb.1724:
	v_mov_b32_e32 v6, 0x7f
	v_cmp_lt_u32_e32 vcc_lo, 0x7f800000, v9
	s_delay_alu instid0(VALU_DEP_2)
	v_cndmask_b32_e32 v6, 0x7c, v6, vcc_lo
; %bb.1725:
	s_or_b32 exec_lo, exec_lo, s2
	v_lshrrev_b32_e32 v9, 24, v5
	s_delay_alu instid0(VALU_DEP_1)
	v_and_or_b32 v6, 0x80, v9, v6
	global_store_b8 v[3:4], v6, off
.LBB89_1726:
	s_mov_b32 s2, 0
	s_mov_b32 s3, -1
.LBB89_1727:
	s_and_not1_b32 vcc_lo, exec_lo, s2
	s_mov_b32 s2, 0
	s_cbranch_vccnz .LBB89_1734
; %bb.1728:
	v_cmp_lt_i16_e32 vcc_lo, 14, v7
	s_mov_b32 s2, -1
	s_cbranch_vccz .LBB89_1732
; %bb.1729:
	v_cmp_eq_u16_e32 vcc_lo, 15, v7
	s_mov_b32 s0, -1
	s_cbranch_vccz .LBB89_1731
; %bb.1730:
	v_bfe_u32 v6, v5, 16, 1
	v_cmp_o_f32_e32 vcc_lo, v5, v5
	s_mov_b32 s0, 0
	s_mov_b32 s3, -1
	s_delay_alu instid0(VALU_DEP_2) | instskip(NEXT) | instid1(VALU_DEP_1)
	v_add3_u32 v6, v5, v6, 0x7fff
	v_lshrrev_b32_e32 v6, 16, v6
	s_delay_alu instid0(VALU_DEP_1)
	v_cndmask_b32_e32 v6, 0x7fc0, v6, vcc_lo
	global_store_b16 v[3:4], v6, off
.LBB89_1731:
	s_mov_b32 s2, 0
.LBB89_1732:
	s_delay_alu instid0(SALU_CYCLE_1)
	s_and_b32 vcc_lo, exec_lo, s2
	s_mov_b32 s2, 0
	s_cbranch_vccz .LBB89_1734
; %bb.1733:
	v_cmp_ne_u16_e64 s0, 11, v7
	s_mov_b32 s2, -1
.LBB89_1734:
	s_delay_alu instid0(VALU_DEP_1)
	s_and_b32 vcc_lo, exec_lo, s0
	s_cbranch_vccnz .LBB89_2141
; %bb.1735:
	s_and_not1_b32 vcc_lo, exec_lo, s2
	s_cbranch_vccnz .LBB89_1737
.LBB89_1736:
	v_cmp_neq_f32_e32 vcc_lo, 0, v5
	s_mov_b32 s3, -1
	v_cndmask_b32_e64 v6, 0, 1, vcc_lo
	global_store_b8 v[3:4], v6, off
.LBB89_1737:
	s_mov_b32 s0, 0
.LBB89_1738:
	s_delay_alu instid0(SALU_CYCLE_1)
	s_and_b32 vcc_lo, exec_lo, s0
	s_cbranch_vccz .LBB89_1777
; %bb.1739:
	v_cmp_gt_i16_e32 vcc_lo, 5, v7
	s_mov_b32 s0, -1
	s_cbranch_vccnz .LBB89_1760
; %bb.1740:
	v_cmp_gt_i16_e32 vcc_lo, 8, v7
	s_cbranch_vccnz .LBB89_1750
; %bb.1741:
	v_cmp_gt_i16_e32 vcc_lo, 9, v7
	s_cbranch_vccnz .LBB89_1747
; %bb.1742:
	v_cmp_lt_i16_e32 vcc_lo, 9, v7
	s_cbranch_vccz .LBB89_1744
; %bb.1743:
	v_cvt_f64_f32_e32 v[12:13], v5
	v_mov_b32_e32 v14, 0
	s_mov_b32 s0, 0
	s_delay_alu instid0(VALU_DEP_1)
	v_mov_b32_e32 v15, v14
	global_store_b128 v[3:4], v[12:15], off
.LBB89_1744:
	s_and_not1_b32 vcc_lo, exec_lo, s0
	s_cbranch_vccnz .LBB89_1746
; %bb.1745:
	v_mov_b32_e32 v6, 0
	global_store_b64 v[3:4], v[5:6], off
.LBB89_1746:
	s_mov_b32 s0, 0
.LBB89_1747:
	s_delay_alu instid0(SALU_CYCLE_1)
	s_and_not1_b32 vcc_lo, exec_lo, s0
	s_cbranch_vccnz .LBB89_1749
; %bb.1748:
	v_cvt_f16_f32_e32 v6, v5
	s_delay_alu instid0(VALU_DEP_1)
	v_and_b32_e32 v6, 0xffff, v6
	global_store_b32 v[3:4], v6, off
.LBB89_1749:
	s_mov_b32 s0, 0
.LBB89_1750:
	s_delay_alu instid0(SALU_CYCLE_1)
	s_and_not1_b32 vcc_lo, exec_lo, s0
	s_cbranch_vccnz .LBB89_1759
; %bb.1751:
	v_cmp_gt_i16_e32 vcc_lo, 6, v7
	s_mov_b32 s0, -1
	s_cbranch_vccnz .LBB89_1757
; %bb.1752:
	v_cmp_lt_i16_e32 vcc_lo, 6, v7
	s_cbranch_vccz .LBB89_1754
; %bb.1753:
	v_cvt_f64_f32_e32 v[12:13], v5
	s_mov_b32 s0, 0
	global_store_b64 v[3:4], v[12:13], off
.LBB89_1754:
	s_and_not1_b32 vcc_lo, exec_lo, s0
	s_cbranch_vccnz .LBB89_1756
; %bb.1755:
	global_store_b32 v[3:4], v5, off
.LBB89_1756:
	s_mov_b32 s0, 0
.LBB89_1757:
	s_delay_alu instid0(SALU_CYCLE_1)
	s_and_not1_b32 vcc_lo, exec_lo, s0
	s_cbranch_vccnz .LBB89_1759
; %bb.1758:
	v_cvt_f16_f32_e32 v6, v5
	global_store_b16 v[3:4], v6, off
.LBB89_1759:
	s_mov_b32 s0, 0
.LBB89_1760:
	s_delay_alu instid0(SALU_CYCLE_1)
	s_and_not1_b32 vcc_lo, exec_lo, s0
	s_cbranch_vccnz .LBB89_1776
; %bb.1761:
	v_cmp_gt_i16_e32 vcc_lo, 2, v7
	s_mov_b32 s0, -1
	s_cbranch_vccnz .LBB89_1771
; %bb.1762:
	v_cmp_gt_i16_e32 vcc_lo, 3, v7
	s_cbranch_vccnz .LBB89_1768
; %bb.1763:
	v_cmp_lt_i16_e32 vcc_lo, 3, v7
	s_cbranch_vccz .LBB89_1765
; %bb.1764:
	v_trunc_f32_e32 v6, v5
	s_mov_b32 s0, 0
	s_delay_alu instid0(VALU_DEP_1) | instskip(NEXT) | instid1(VALU_DEP_1)
	v_mul_f32_e64 v9, 0x2f800000, |v6|
	v_floor_f32_e32 v9, v9
	s_delay_alu instid0(VALU_DEP_1) | instskip(SKIP_2) | instid1(VALU_DEP_3)
	v_fma_f32 v12, 0xcf800000, v9, |v6|
	v_ashrrev_i32_e32 v6, 31, v6
	v_cvt_u32_f32_e32 v9, v9
	v_cvt_u32_f32_e32 v12, v12
	s_delay_alu instid0(VALU_DEP_2) | instskip(NEXT) | instid1(VALU_DEP_2)
	v_xor_b32_e32 v9, v9, v6
	v_xor_b32_e32 v12, v12, v6
	s_delay_alu instid0(VALU_DEP_1) | instskip(NEXT) | instid1(VALU_DEP_3)
	v_sub_co_u32 v12, vcc_lo, v12, v6
	v_sub_co_ci_u32_e32 v13, vcc_lo, v9, v6, vcc_lo
	global_store_b64 v[3:4], v[12:13], off
.LBB89_1765:
	s_and_not1_b32 vcc_lo, exec_lo, s0
	s_cbranch_vccnz .LBB89_1767
; %bb.1766:
	v_cvt_i32_f32_e32 v6, v5
	global_store_b32 v[3:4], v6, off
.LBB89_1767:
	s_mov_b32 s0, 0
.LBB89_1768:
	s_delay_alu instid0(SALU_CYCLE_1)
	s_and_not1_b32 vcc_lo, exec_lo, s0
	s_cbranch_vccnz .LBB89_1770
; %bb.1769:
	v_cvt_i32_f32_e32 v6, v5
	global_store_b16 v[3:4], v6, off
.LBB89_1770:
	s_mov_b32 s0, 0
.LBB89_1771:
	s_delay_alu instid0(SALU_CYCLE_1)
	s_and_not1_b32 vcc_lo, exec_lo, s0
	s_cbranch_vccnz .LBB89_1776
; %bb.1772:
	v_cmp_lt_i16_e32 vcc_lo, 0, v7
	s_mov_b32 s0, -1
	s_cbranch_vccz .LBB89_1774
; %bb.1773:
	v_cvt_i32_f32_e32 v6, v5
	s_mov_b32 s0, 0
	global_store_b8 v[3:4], v6, off
.LBB89_1774:
	s_and_not1_b32 vcc_lo, exec_lo, s0
	s_cbranch_vccnz .LBB89_1776
; %bb.1775:
	v_trunc_f32_e32 v5, v5
	s_delay_alu instid0(VALU_DEP_1) | instskip(NEXT) | instid1(VALU_DEP_1)
	v_mul_f32_e64 v6, 0x2f800000, |v5|
	v_floor_f32_e32 v6, v6
	s_delay_alu instid0(VALU_DEP_1) | instskip(SKIP_1) | instid1(VALU_DEP_2)
	v_fma_f32 v6, 0xcf800000, v6, |v5|
	v_ashrrev_i32_e32 v5, 31, v5
	v_cvt_u32_f32_e32 v6, v6
	s_delay_alu instid0(VALU_DEP_1) | instskip(NEXT) | instid1(VALU_DEP_1)
	v_xor_b32_e32 v6, v6, v5
	v_sub_nc_u32_e32 v5, v6, v5
	global_store_b8 v[3:4], v5, off
.LBB89_1776:
	s_mov_b32 s3, -1
.LBB89_1777:
	s_delay_alu instid0(SALU_CYCLE_1)
	s_and_not1_b32 vcc_lo, exec_lo, s3
	s_cbranch_vccnz .LBB89_2090
; %bb.1778:
	s_waitcnt vmcnt(0)
	v_mul_f32_e32 v3, 0x3fb8aa3b, v11
	v_cmp_ngt_f32_e64 s0, 0xc2ce8ed0, v11
	v_cmp_gt_i16_e32 vcc_lo, 11, v7
	s_mov_b32 s3, 0
	s_delay_alu instid0(VALU_DEP_3) | instskip(SKIP_2) | instid1(VALU_DEP_2)
	v_rndne_f32_e32 v4, v3
	v_fma_f32 v5, 0x3fb8aa3b, v11, -v3
	s_and_b32 vcc_lo, exec_lo, vcc_lo
	v_sub_f32_e32 v3, v3, v4
	s_delay_alu instid0(VALU_DEP_2) | instskip(SKIP_1) | instid1(VALU_DEP_2)
	v_fmamk_f32 v5, v11, 0x32a5705f, v5
	v_cvt_i32_f32_e32 v4, v4
	v_add_f32_e32 v3, v3, v5
	s_delay_alu instid0(VALU_DEP_1) | instskip(SKIP_2) | instid1(VALU_DEP_1)
	v_exp_f32_e32 v3, v3
	s_waitcnt_depctr 0xfff
	v_ldexp_f32 v3, v3, v4
	v_cndmask_b32_e64 v4, 0, v3, s0
	v_add_co_u32 v2, s0, s4, v2
	s_delay_alu instid0(VALU_DEP_1) | instskip(SKIP_1) | instid1(VALU_DEP_1)
	v_add_co_ci_u32_e64 v3, null, s5, 0, s0
	v_cmp_nlt_f32_e64 s0, 0x42b17218, v11
	v_cndmask_b32_e64 v4, 0x7f800000, v4, s0
	s_mov_b32 s0, -1
	s_cbranch_vccnz .LBB89_1856
; %bb.1779:
	v_cmp_lt_i16_e32 vcc_lo, 25, v7
	s_mov_b32 s6, -1
	s_mov_b32 s2, 0
	s_mov_b32 s0, 0
	s_cbranch_vccz .LBB89_1812
; %bb.1780:
	v_cmp_lt_i16_e32 vcc_lo, 28, v7
	s_cbranch_vccz .LBB89_1795
; %bb.1781:
	v_cmp_lt_i16_e32 vcc_lo, 43, v7
	;; [unrolled: 3-line block ×3, first 2 shown]
	s_cbranch_vccz .LBB89_1785
; %bb.1783:
	v_cmp_eq_u16_e32 vcc_lo, 46, v7
	s_mov_b32 s0, -1
	s_mov_b32 s6, 0
	s_cbranch_vccz .LBB89_1785
; %bb.1784:
	v_bfe_u32 v5, v4, 16, 1
	v_cmp_o_f32_e32 vcc_lo, v4, v4
	s_mov_b32 s0, 0
	s_mov_b32 s3, -1
	s_delay_alu instid0(VALU_DEP_2) | instskip(NEXT) | instid1(VALU_DEP_1)
	v_add3_u32 v5, v4, v5, 0x7fff
	v_lshrrev_b32_e32 v5, 16, v5
	s_delay_alu instid0(VALU_DEP_1)
	v_cndmask_b32_e32 v5, 0x7fc0, v5, vcc_lo
	global_store_b32 v[2:3], v5, off
.LBB89_1785:
	s_and_b32 vcc_lo, exec_lo, s6
	s_cbranch_vccz .LBB89_1790
; %bb.1786:
	v_cmp_eq_u16_e32 vcc_lo, 44, v7
	s_mov_b32 s0, -1
	s_cbranch_vccz .LBB89_1790
; %bb.1787:
	v_bfe_u32 v6, v4, 23, 8
	v_mov_b32_e32 v5, 0xff
	s_mov_b32 s3, exec_lo
	s_delay_alu instid0(VALU_DEP_2)
	v_cmpx_ne_u32_e32 0xff, v6
; %bb.1788:
	v_and_b32_e32 v5, 0x400000, v4
	v_and_or_b32 v6, 0x3fffff, v4, v6
	s_delay_alu instid0(VALU_DEP_2) | instskip(NEXT) | instid1(VALU_DEP_2)
	v_cmp_ne_u32_e32 vcc_lo, 0, v5
	v_cmp_ne_u32_e64 s0, 0, v6
	v_lshrrev_b32_e32 v5, 23, v4
	s_delay_alu instid0(VALU_DEP_2) | instskip(NEXT) | instid1(SALU_CYCLE_1)
	s_and_b32 s0, vcc_lo, s0
	v_cndmask_b32_e64 v6, 0, 1, s0
	s_delay_alu instid0(VALU_DEP_1)
	v_add_nc_u32_e32 v5, v5, v6
; %bb.1789:
	s_or_b32 exec_lo, exec_lo, s3
	s_mov_b32 s0, 0
	s_mov_b32 s3, -1
	global_store_b8 v[2:3], v5, off
.LBB89_1790:
	s_mov_b32 s6, 0
.LBB89_1791:
	s_delay_alu instid0(SALU_CYCLE_1)
	s_and_b32 vcc_lo, exec_lo, s6
	s_cbranch_vccz .LBB89_1794
; %bb.1792:
	v_cmp_eq_u16_e32 vcc_lo, 29, v7
	s_mov_b32 s0, -1
	s_cbranch_vccz .LBB89_1794
; %bb.1793:
	v_trunc_f32_e32 v5, v4
	s_mov_b32 s0, 0
	s_mov_b32 s3, -1
	s_delay_alu instid0(VALU_DEP_1) | instskip(NEXT) | instid1(VALU_DEP_1)
	v_mul_f32_e32 v6, 0x2f800000, v5
	v_floor_f32_e32 v6, v6
	s_delay_alu instid0(VALU_DEP_1) | instskip(SKIP_1) | instid1(VALU_DEP_2)
	v_fmamk_f32 v5, v6, 0xcf800000, v5
	v_cvt_u32_f32_e32 v6, v6
	v_cvt_u32_f32_e32 v5, v5
	global_store_b64 v[2:3], v[5:6], off
.LBB89_1794:
	s_mov_b32 s6, 0
.LBB89_1795:
	s_delay_alu instid0(SALU_CYCLE_1)
	s_and_b32 vcc_lo, exec_lo, s6
	s_cbranch_vccz .LBB89_1811
; %bb.1796:
	v_cmp_gt_i16_e32 vcc_lo, 27, v7
	s_mov_b32 s3, -1
	s_cbranch_vccnz .LBB89_1802
; %bb.1797:
	v_cmp_lt_i16_e32 vcc_lo, 27, v7
	v_cvt_u32_f32_e32 v5, v4
	s_cbranch_vccz .LBB89_1799
; %bb.1798:
	s_mov_b32 s3, 0
	global_store_b32 v[2:3], v5, off
.LBB89_1799:
	s_and_not1_b32 vcc_lo, exec_lo, s3
	s_cbranch_vccnz .LBB89_1801
; %bb.1800:
	global_store_b16 v[2:3], v5, off
.LBB89_1801:
	s_mov_b32 s3, 0
.LBB89_1802:
	s_delay_alu instid0(SALU_CYCLE_1)
	s_and_not1_b32 vcc_lo, exec_lo, s3
	s_cbranch_vccnz .LBB89_1810
; %bb.1803:
	v_and_b32_e32 v5, 0x7fffffff, v4
	v_mov_b32_e32 v6, 0x80
	s_mov_b32 s3, exec_lo
	s_delay_alu instid0(VALU_DEP_2)
	v_cmpx_gt_u32_e32 0x43800000, v5
	s_cbranch_execz .LBB89_1809
; %bb.1804:
	v_cmp_lt_u32_e32 vcc_lo, 0x3bffffff, v5
	s_mov_b32 s6, 0
                                        ; implicit-def: $vgpr5
	s_and_saveexec_b32 s7, vcc_lo
	s_delay_alu instid0(SALU_CYCLE_1)
	s_xor_b32 s7, exec_lo, s7
	s_cbranch_execz .LBB89_2145
; %bb.1805:
	v_bfe_u32 v5, v4, 20, 1
	s_mov_b32 s6, exec_lo
	s_delay_alu instid0(VALU_DEP_1) | instskip(NEXT) | instid1(VALU_DEP_1)
	v_add3_u32 v5, v4, v5, 0x487ffff
	v_lshrrev_b32_e32 v5, 20, v5
	s_or_saveexec_b32 s7, s7
                                        ; implicit-def: $sgpr10
	s_delay_alu instid0(SALU_CYCLE_1)
	s_xor_b32 exec_lo, exec_lo, s7
	s_cbranch_execnz .LBB89_2146
.LBB89_1806:
	s_or_b32 exec_lo, exec_lo, s7
	v_mov_b32_e32 v6, s10
	s_and_saveexec_b32 s7, s6
.LBB89_1807:
	v_lshrrev_b32_e32 v6, 24, v4
	s_delay_alu instid0(VALU_DEP_1)
	v_and_or_b32 v6, 0x80, v6, v5
.LBB89_1808:
	s_or_b32 exec_lo, exec_lo, s7
.LBB89_1809:
	s_delay_alu instid0(SALU_CYCLE_1)
	s_or_b32 exec_lo, exec_lo, s3
	global_store_b8 v[2:3], v6, off
.LBB89_1810:
	s_mov_b32 s3, -1
.LBB89_1811:
	s_mov_b32 s6, 0
.LBB89_1812:
	s_delay_alu instid0(SALU_CYCLE_1)
	s_and_b32 vcc_lo, exec_lo, s6
	s_cbranch_vccz .LBB89_1852
; %bb.1813:
	v_cmp_lt_i16_e32 vcc_lo, 22, v7
	s_mov_b32 s2, -1
	s_cbranch_vccz .LBB89_1845
; %bb.1814:
	v_cmp_gt_i16_e32 vcc_lo, 24, v7
	s_cbranch_vccnz .LBB89_1834
; %bb.1815:
	v_cmp_lt_i16_e32 vcc_lo, 24, v7
	s_cbranch_vccz .LBB89_1823
; %bb.1816:
	v_and_b32_e32 v5, 0x7fffffff, v4
	v_mov_b32_e32 v6, 0x80
	s_mov_b32 s2, exec_lo
	s_delay_alu instid0(VALU_DEP_2)
	v_cmpx_gt_u32_e32 0x47800000, v5
	s_cbranch_execz .LBB89_1822
; %bb.1817:
	v_cmp_lt_u32_e32 vcc_lo, 0x37ffffff, v5
	s_mov_b32 s3, 0
                                        ; implicit-def: $vgpr5
	s_and_saveexec_b32 s6, vcc_lo
	s_delay_alu instid0(SALU_CYCLE_1)
	s_xor_b32 s6, exec_lo, s6
	s_cbranch_execz .LBB89_2151
; %bb.1818:
	v_bfe_u32 v5, v4, 21, 1
	s_mov_b32 s3, exec_lo
	s_delay_alu instid0(VALU_DEP_1) | instskip(NEXT) | instid1(VALU_DEP_1)
	v_add3_u32 v5, v4, v5, 0x88fffff
	v_lshrrev_b32_e32 v5, 21, v5
	s_or_saveexec_b32 s6, s6
                                        ; implicit-def: $sgpr7
	s_delay_alu instid0(SALU_CYCLE_1)
	s_xor_b32 exec_lo, exec_lo, s6
	s_cbranch_execnz .LBB89_2152
.LBB89_1819:
	s_or_b32 exec_lo, exec_lo, s6
	v_mov_b32_e32 v6, s7
	s_and_saveexec_b32 s6, s3
.LBB89_1820:
	v_lshrrev_b32_e32 v6, 24, v4
	s_delay_alu instid0(VALU_DEP_1)
	v_and_or_b32 v6, 0x80, v6, v5
.LBB89_1821:
	s_or_b32 exec_lo, exec_lo, s6
.LBB89_1822:
	s_delay_alu instid0(SALU_CYCLE_1)
	s_or_b32 exec_lo, exec_lo, s2
	s_mov_b32 s2, 0
	global_store_b8 v[2:3], v6, off
.LBB89_1823:
	s_and_b32 vcc_lo, exec_lo, s2
	s_cbranch_vccz .LBB89_1833
; %bb.1824:
	v_and_b32_e32 v6, 0x7fffffff, v4
	s_mov_b32 s2, exec_lo
                                        ; implicit-def: $vgpr5
	s_delay_alu instid0(VALU_DEP_1)
	v_cmpx_gt_u32_e32 0x43f00000, v6
	s_xor_b32 s2, exec_lo, s2
	s_cbranch_execz .LBB89_1830
; %bb.1825:
	s_mov_b32 s3, exec_lo
                                        ; implicit-def: $vgpr5
	v_cmpx_lt_u32_e32 0x3c7fffff, v6
	s_xor_b32 s3, exec_lo, s3
; %bb.1826:
	v_bfe_u32 v5, v4, 20, 1
	s_delay_alu instid0(VALU_DEP_1) | instskip(NEXT) | instid1(VALU_DEP_1)
	v_add3_u32 v5, v4, v5, 0x407ffff
	v_and_b32_e32 v6, 0xff00000, v5
	v_lshrrev_b32_e32 v5, 20, v5
	s_delay_alu instid0(VALU_DEP_2) | instskip(NEXT) | instid1(VALU_DEP_2)
	v_cmp_ne_u32_e32 vcc_lo, 0x7f00000, v6
	v_cndmask_b32_e32 v5, 0x7e, v5, vcc_lo
; %bb.1827:
	s_and_not1_saveexec_b32 s3, s3
; %bb.1828:
	v_add_f32_e64 v5, 0x46800000, |v4|
; %bb.1829:
	s_or_b32 exec_lo, exec_lo, s3
                                        ; implicit-def: $vgpr6
.LBB89_1830:
	s_and_not1_saveexec_b32 s2, s2
; %bb.1831:
	v_mov_b32_e32 v5, 0x7f
	v_cmp_lt_u32_e32 vcc_lo, 0x7f800000, v6
	s_delay_alu instid0(VALU_DEP_2)
	v_cndmask_b32_e32 v5, 0x7e, v5, vcc_lo
; %bb.1832:
	s_or_b32 exec_lo, exec_lo, s2
	v_lshrrev_b32_e32 v6, 24, v4
	s_delay_alu instid0(VALU_DEP_1)
	v_and_or_b32 v5, 0x80, v6, v5
	global_store_b8 v[2:3], v5, off
.LBB89_1833:
	s_mov_b32 s2, 0
.LBB89_1834:
	s_delay_alu instid0(SALU_CYCLE_1)
	s_and_not1_b32 vcc_lo, exec_lo, s2
	s_cbranch_vccnz .LBB89_1844
; %bb.1835:
	v_and_b32_e32 v6, 0x7fffffff, v4
	s_mov_b32 s2, exec_lo
                                        ; implicit-def: $vgpr5
	s_delay_alu instid0(VALU_DEP_1)
	v_cmpx_gt_u32_e32 0x47800000, v6
	s_xor_b32 s2, exec_lo, s2
	s_cbranch_execz .LBB89_1841
; %bb.1836:
	s_mov_b32 s3, exec_lo
                                        ; implicit-def: $vgpr5
	v_cmpx_lt_u32_e32 0x387fffff, v6
	s_xor_b32 s3, exec_lo, s3
; %bb.1837:
	v_bfe_u32 v5, v4, 21, 1
	s_delay_alu instid0(VALU_DEP_1) | instskip(NEXT) | instid1(VALU_DEP_1)
	v_add3_u32 v5, v4, v5, 0x80fffff
	v_lshrrev_b32_e32 v5, 21, v5
; %bb.1838:
	s_and_not1_saveexec_b32 s3, s3
; %bb.1839:
	v_add_f32_e64 v5, 0x43000000, |v4|
; %bb.1840:
	s_or_b32 exec_lo, exec_lo, s3
                                        ; implicit-def: $vgpr6
.LBB89_1841:
	s_and_not1_saveexec_b32 s2, s2
; %bb.1842:
	v_mov_b32_e32 v5, 0x7f
	v_cmp_lt_u32_e32 vcc_lo, 0x7f800000, v6
	s_delay_alu instid0(VALU_DEP_2)
	v_cndmask_b32_e32 v5, 0x7c, v5, vcc_lo
; %bb.1843:
	s_or_b32 exec_lo, exec_lo, s2
	v_lshrrev_b32_e32 v6, 24, v4
	s_delay_alu instid0(VALU_DEP_1)
	v_and_or_b32 v5, 0x80, v6, v5
	global_store_b8 v[2:3], v5, off
.LBB89_1844:
	s_mov_b32 s2, 0
	s_mov_b32 s3, -1
.LBB89_1845:
	s_and_not1_b32 vcc_lo, exec_lo, s2
	s_mov_b32 s2, 0
	s_cbranch_vccnz .LBB89_1852
; %bb.1846:
	v_cmp_lt_i16_e32 vcc_lo, 14, v7
	s_mov_b32 s2, -1
	s_cbranch_vccz .LBB89_1850
; %bb.1847:
	v_cmp_eq_u16_e32 vcc_lo, 15, v7
	s_mov_b32 s0, -1
	s_cbranch_vccz .LBB89_1849
; %bb.1848:
	v_bfe_u32 v5, v4, 16, 1
	v_cmp_o_f32_e32 vcc_lo, v4, v4
	s_mov_b32 s0, 0
	s_mov_b32 s3, -1
	s_delay_alu instid0(VALU_DEP_2) | instskip(NEXT) | instid1(VALU_DEP_1)
	v_add3_u32 v5, v4, v5, 0x7fff
	v_lshrrev_b32_e32 v5, 16, v5
	s_delay_alu instid0(VALU_DEP_1)
	v_cndmask_b32_e32 v5, 0x7fc0, v5, vcc_lo
	global_store_b16 v[2:3], v5, off
.LBB89_1849:
	s_mov_b32 s2, 0
.LBB89_1850:
	s_delay_alu instid0(SALU_CYCLE_1)
	s_and_b32 vcc_lo, exec_lo, s2
	s_mov_b32 s2, 0
	s_cbranch_vccz .LBB89_1852
; %bb.1851:
	v_cmp_ne_u16_e64 s0, 11, v7
	s_mov_b32 s2, -1
.LBB89_1852:
	s_delay_alu instid0(VALU_DEP_1)
	s_and_b32 vcc_lo, exec_lo, s0
	s_cbranch_vccnz .LBB89_2149
; %bb.1853:
	s_and_not1_b32 vcc_lo, exec_lo, s2
	s_cbranch_vccnz .LBB89_1855
.LBB89_1854:
	v_cmp_neq_f32_e32 vcc_lo, 0, v4
	s_mov_b32 s3, -1
	v_cndmask_b32_e64 v5, 0, 1, vcc_lo
	global_store_b8 v[2:3], v5, off
.LBB89_1855:
	s_mov_b32 s0, 0
.LBB89_1856:
	s_delay_alu instid0(SALU_CYCLE_1)
	s_and_b32 vcc_lo, exec_lo, s0
	s_cbranch_vccz .LBB89_1895
; %bb.1857:
	v_cmp_gt_i16_e32 vcc_lo, 5, v7
	s_mov_b32 s0, -1
	s_cbranch_vccnz .LBB89_1878
; %bb.1858:
	v_cmp_gt_i16_e32 vcc_lo, 8, v7
	s_cbranch_vccnz .LBB89_1868
; %bb.1859:
	v_cmp_gt_i16_e32 vcc_lo, 9, v7
	s_cbranch_vccnz .LBB89_1865
; %bb.1860:
	v_cmp_lt_i16_e32 vcc_lo, 9, v7
	s_cbranch_vccz .LBB89_1862
; %bb.1861:
	v_cvt_f64_f32_e32 v[11:12], v4
	v_mov_b32_e32 v13, 0
	s_mov_b32 s0, 0
	s_delay_alu instid0(VALU_DEP_1)
	v_mov_b32_e32 v14, v13
	global_store_b128 v[2:3], v[11:14], off
.LBB89_1862:
	s_and_not1_b32 vcc_lo, exec_lo, s0
	s_cbranch_vccnz .LBB89_1864
; %bb.1863:
	v_mov_b32_e32 v5, 0
	global_store_b64 v[2:3], v[4:5], off
.LBB89_1864:
	s_mov_b32 s0, 0
.LBB89_1865:
	s_delay_alu instid0(SALU_CYCLE_1)
	s_and_not1_b32 vcc_lo, exec_lo, s0
	s_cbranch_vccnz .LBB89_1867
; %bb.1866:
	v_cvt_f16_f32_e32 v5, v4
	s_delay_alu instid0(VALU_DEP_1)
	v_and_b32_e32 v5, 0xffff, v5
	global_store_b32 v[2:3], v5, off
.LBB89_1867:
	s_mov_b32 s0, 0
.LBB89_1868:
	s_delay_alu instid0(SALU_CYCLE_1)
	s_and_not1_b32 vcc_lo, exec_lo, s0
	s_cbranch_vccnz .LBB89_1877
; %bb.1869:
	v_cmp_gt_i16_e32 vcc_lo, 6, v7
	s_mov_b32 s0, -1
	s_cbranch_vccnz .LBB89_1875
; %bb.1870:
	v_cmp_lt_i16_e32 vcc_lo, 6, v7
	s_cbranch_vccz .LBB89_1872
; %bb.1871:
	v_cvt_f64_f32_e32 v[5:6], v4
	s_mov_b32 s0, 0
	global_store_b64 v[2:3], v[5:6], off
.LBB89_1872:
	s_and_not1_b32 vcc_lo, exec_lo, s0
	s_cbranch_vccnz .LBB89_1874
; %bb.1873:
	global_store_b32 v[2:3], v4, off
.LBB89_1874:
	s_mov_b32 s0, 0
.LBB89_1875:
	s_delay_alu instid0(SALU_CYCLE_1)
	s_and_not1_b32 vcc_lo, exec_lo, s0
	s_cbranch_vccnz .LBB89_1877
; %bb.1876:
	v_cvt_f16_f32_e32 v5, v4
	global_store_b16 v[2:3], v5, off
.LBB89_1877:
	s_mov_b32 s0, 0
.LBB89_1878:
	s_delay_alu instid0(SALU_CYCLE_1)
	s_and_not1_b32 vcc_lo, exec_lo, s0
	s_cbranch_vccnz .LBB89_1894
; %bb.1879:
	v_cmp_gt_i16_e32 vcc_lo, 2, v7
	s_mov_b32 s0, -1
	s_cbranch_vccnz .LBB89_1889
; %bb.1880:
	v_cmp_gt_i16_e32 vcc_lo, 3, v7
	s_cbranch_vccnz .LBB89_1886
; %bb.1881:
	v_cmp_lt_i16_e32 vcc_lo, 3, v7
	s_cbranch_vccz .LBB89_1883
; %bb.1882:
	v_trunc_f32_e32 v5, v4
	s_mov_b32 s0, 0
	s_delay_alu instid0(VALU_DEP_1) | instskip(SKIP_1) | instid1(VALU_DEP_2)
	v_mul_f32_e64 v6, 0x2f800000, |v5|
	v_ashrrev_i32_e32 v11, 31, v5
	v_floor_f32_e32 v6, v6
	s_delay_alu instid0(VALU_DEP_1) | instskip(SKIP_1) | instid1(VALU_DEP_2)
	v_fma_f32 v9, 0xcf800000, v6, |v5|
	v_cvt_u32_f32_e32 v6, v6
	v_cvt_u32_f32_e32 v5, v9
	s_delay_alu instid0(VALU_DEP_2) | instskip(NEXT) | instid1(VALU_DEP_2)
	v_xor_b32_e32 v6, v6, v11
	v_xor_b32_e32 v5, v5, v11
	s_delay_alu instid0(VALU_DEP_1) | instskip(NEXT) | instid1(VALU_DEP_3)
	v_sub_co_u32 v5, vcc_lo, v5, v11
	v_sub_co_ci_u32_e32 v6, vcc_lo, v6, v11, vcc_lo
	global_store_b64 v[2:3], v[5:6], off
.LBB89_1883:
	s_and_not1_b32 vcc_lo, exec_lo, s0
	s_cbranch_vccnz .LBB89_1885
; %bb.1884:
	v_cvt_i32_f32_e32 v5, v4
	global_store_b32 v[2:3], v5, off
.LBB89_1885:
	s_mov_b32 s0, 0
.LBB89_1886:
	s_delay_alu instid0(SALU_CYCLE_1)
	s_and_not1_b32 vcc_lo, exec_lo, s0
	s_cbranch_vccnz .LBB89_1888
; %bb.1887:
	v_cvt_i32_f32_e32 v5, v4
	global_store_b16 v[2:3], v5, off
.LBB89_1888:
	s_mov_b32 s0, 0
.LBB89_1889:
	s_delay_alu instid0(SALU_CYCLE_1)
	s_and_not1_b32 vcc_lo, exec_lo, s0
	s_cbranch_vccnz .LBB89_1894
; %bb.1890:
	v_cmp_lt_i16_e32 vcc_lo, 0, v7
	s_mov_b32 s0, -1
	s_cbranch_vccz .LBB89_1892
; %bb.1891:
	v_cvt_i32_f32_e32 v5, v4
	s_mov_b32 s0, 0
	global_store_b8 v[2:3], v5, off
.LBB89_1892:
	s_and_not1_b32 vcc_lo, exec_lo, s0
	s_cbranch_vccnz .LBB89_1894
; %bb.1893:
	v_trunc_f32_e32 v4, v4
	s_delay_alu instid0(VALU_DEP_1) | instskip(NEXT) | instid1(VALU_DEP_1)
	v_mul_f32_e64 v5, 0x2f800000, |v4|
	v_floor_f32_e32 v5, v5
	s_delay_alu instid0(VALU_DEP_1) | instskip(SKIP_1) | instid1(VALU_DEP_2)
	v_fma_f32 v5, 0xcf800000, v5, |v4|
	v_ashrrev_i32_e32 v4, 31, v4
	v_cvt_u32_f32_e32 v5, v5
	s_delay_alu instid0(VALU_DEP_1) | instskip(NEXT) | instid1(VALU_DEP_1)
	v_xor_b32_e32 v5, v5, v4
	v_sub_nc_u32_e32 v4, v5, v4
	global_store_b8 v[2:3], v4, off
.LBB89_1894:
	s_mov_b32 s3, -1
.LBB89_1895:
	s_delay_alu instid0(SALU_CYCLE_1)
	s_and_not1_b32 vcc_lo, exec_lo, s3
	s_cbranch_vccnz .LBB89_2090
; %bb.1896:
	v_mul_f32_e32 v2, 0x3fb8aa3b, v10
	v_cmp_ngt_f32_e64 s0, 0xc2ce8ed0, v10
	v_cmp_gt_i16_e32 vcc_lo, 11, v7
	s_mov_b32 s3, 0
	s_delay_alu instid0(VALU_DEP_3) | instskip(SKIP_2) | instid1(VALU_DEP_2)
	v_rndne_f32_e32 v3, v2
	v_fma_f32 v4, 0x3fb8aa3b, v10, -v2
	s_and_b32 vcc_lo, exec_lo, vcc_lo
	v_sub_f32_e32 v2, v2, v3
	s_delay_alu instid0(VALU_DEP_2) | instskip(SKIP_1) | instid1(VALU_DEP_2)
	v_fmamk_f32 v4, v10, 0x32a5705f, v4
	v_cvt_i32_f32_e32 v3, v3
	v_add_f32_e32 v2, v2, v4
	s_delay_alu instid0(VALU_DEP_1) | instskip(SKIP_2) | instid1(VALU_DEP_1)
	v_exp_f32_e32 v2, v2
	s_waitcnt_depctr 0xfff
	v_ldexp_f32 v2, v2, v3
	v_cndmask_b32_e64 v3, 0, v2, s0
	v_add_co_u32 v1, s0, s4, v1
	s_delay_alu instid0(VALU_DEP_1) | instskip(SKIP_1) | instid1(VALU_DEP_1)
	v_add_co_ci_u32_e64 v2, null, s5, 0, s0
	v_cmp_nlt_f32_e64 s0, 0x42b17218, v10
	v_cndmask_b32_e64 v3, 0x7f800000, v3, s0
	s_mov_b32 s0, -1
	s_cbranch_vccnz .LBB89_1974
; %bb.1897:
	v_cmp_lt_i16_e32 vcc_lo, 25, v7
	s_mov_b32 s6, -1
	s_mov_b32 s2, 0
	s_mov_b32 s0, 0
	s_cbranch_vccz .LBB89_1930
; %bb.1898:
	v_cmp_lt_i16_e32 vcc_lo, 28, v7
	s_cbranch_vccz .LBB89_1913
; %bb.1899:
	v_cmp_lt_i16_e32 vcc_lo, 43, v7
	;; [unrolled: 3-line block ×3, first 2 shown]
	s_cbranch_vccz .LBB89_1903
; %bb.1901:
	v_cmp_eq_u16_e32 vcc_lo, 46, v7
	s_mov_b32 s0, -1
	s_mov_b32 s6, 0
	s_cbranch_vccz .LBB89_1903
; %bb.1902:
	v_bfe_u32 v4, v3, 16, 1
	v_cmp_o_f32_e32 vcc_lo, v3, v3
	s_mov_b32 s0, 0
	s_mov_b32 s3, -1
	s_delay_alu instid0(VALU_DEP_2) | instskip(NEXT) | instid1(VALU_DEP_1)
	v_add3_u32 v4, v3, v4, 0x7fff
	v_lshrrev_b32_e32 v4, 16, v4
	s_delay_alu instid0(VALU_DEP_1)
	v_cndmask_b32_e32 v4, 0x7fc0, v4, vcc_lo
	global_store_b32 v[1:2], v4, off
.LBB89_1903:
	s_and_b32 vcc_lo, exec_lo, s6
	s_cbranch_vccz .LBB89_1908
; %bb.1904:
	v_cmp_eq_u16_e32 vcc_lo, 44, v7
	s_mov_b32 s0, -1
	s_cbranch_vccz .LBB89_1908
; %bb.1905:
	v_bfe_u32 v5, v3, 23, 8
	v_mov_b32_e32 v4, 0xff
	s_mov_b32 s3, exec_lo
	s_delay_alu instid0(VALU_DEP_2)
	v_cmpx_ne_u32_e32 0xff, v5
; %bb.1906:
	v_and_b32_e32 v4, 0x400000, v3
	v_and_or_b32 v5, 0x3fffff, v3, v5
	s_delay_alu instid0(VALU_DEP_2) | instskip(NEXT) | instid1(VALU_DEP_2)
	v_cmp_ne_u32_e32 vcc_lo, 0, v4
	v_cmp_ne_u32_e64 s0, 0, v5
	v_lshrrev_b32_e32 v4, 23, v3
	s_delay_alu instid0(VALU_DEP_2) | instskip(NEXT) | instid1(SALU_CYCLE_1)
	s_and_b32 s0, vcc_lo, s0
	v_cndmask_b32_e64 v5, 0, 1, s0
	s_delay_alu instid0(VALU_DEP_1)
	v_add_nc_u32_e32 v4, v4, v5
; %bb.1907:
	s_or_b32 exec_lo, exec_lo, s3
	s_mov_b32 s0, 0
	s_mov_b32 s3, -1
	global_store_b8 v[1:2], v4, off
.LBB89_1908:
	s_mov_b32 s6, 0
.LBB89_1909:
	s_delay_alu instid0(SALU_CYCLE_1)
	s_and_b32 vcc_lo, exec_lo, s6
	s_cbranch_vccz .LBB89_1912
; %bb.1910:
	v_cmp_eq_u16_e32 vcc_lo, 29, v7
	s_mov_b32 s0, -1
	s_cbranch_vccz .LBB89_1912
; %bb.1911:
	v_trunc_f32_e32 v4, v3
	s_mov_b32 s0, 0
	s_mov_b32 s3, -1
	s_delay_alu instid0(VALU_DEP_1) | instskip(NEXT) | instid1(VALU_DEP_1)
	v_mul_f32_e32 v5, 0x2f800000, v4
	v_floor_f32_e32 v5, v5
	s_delay_alu instid0(VALU_DEP_1) | instskip(SKIP_1) | instid1(VALU_DEP_2)
	v_fmamk_f32 v4, v5, 0xcf800000, v4
	v_cvt_u32_f32_e32 v5, v5
	v_cvt_u32_f32_e32 v4, v4
	global_store_b64 v[1:2], v[4:5], off
.LBB89_1912:
	s_mov_b32 s6, 0
.LBB89_1913:
	s_delay_alu instid0(SALU_CYCLE_1)
	s_and_b32 vcc_lo, exec_lo, s6
	s_cbranch_vccz .LBB89_1929
; %bb.1914:
	v_cmp_gt_i16_e32 vcc_lo, 27, v7
	s_mov_b32 s3, -1
	s_cbranch_vccnz .LBB89_1920
; %bb.1915:
	v_cmp_lt_i16_e32 vcc_lo, 27, v7
	v_cvt_u32_f32_e32 v4, v3
	s_cbranch_vccz .LBB89_1917
; %bb.1916:
	s_mov_b32 s3, 0
	global_store_b32 v[1:2], v4, off
.LBB89_1917:
	s_and_not1_b32 vcc_lo, exec_lo, s3
	s_cbranch_vccnz .LBB89_1919
; %bb.1918:
	global_store_b16 v[1:2], v4, off
.LBB89_1919:
	s_mov_b32 s3, 0
.LBB89_1920:
	s_delay_alu instid0(SALU_CYCLE_1)
	s_and_not1_b32 vcc_lo, exec_lo, s3
	s_cbranch_vccnz .LBB89_1928
; %bb.1921:
	v_and_b32_e32 v4, 0x7fffffff, v3
	v_mov_b32_e32 v5, 0x80
	s_mov_b32 s3, exec_lo
	s_delay_alu instid0(VALU_DEP_2)
	v_cmpx_gt_u32_e32 0x43800000, v4
	s_cbranch_execz .LBB89_1927
; %bb.1922:
	v_cmp_lt_u32_e32 vcc_lo, 0x3bffffff, v4
	s_mov_b32 s6, 0
                                        ; implicit-def: $vgpr4
	s_and_saveexec_b32 s7, vcc_lo
	s_delay_alu instid0(SALU_CYCLE_1)
	s_xor_b32 s7, exec_lo, s7
	s_cbranch_execz .LBB89_2153
; %bb.1923:
	v_bfe_u32 v4, v3, 20, 1
	s_mov_b32 s6, exec_lo
	s_delay_alu instid0(VALU_DEP_1) | instskip(NEXT) | instid1(VALU_DEP_1)
	v_add3_u32 v4, v3, v4, 0x487ffff
	v_lshrrev_b32_e32 v4, 20, v4
	s_or_saveexec_b32 s7, s7
                                        ; implicit-def: $sgpr10
	s_delay_alu instid0(SALU_CYCLE_1)
	s_xor_b32 exec_lo, exec_lo, s7
	s_cbranch_execnz .LBB89_2154
.LBB89_1924:
	s_or_b32 exec_lo, exec_lo, s7
	v_mov_b32_e32 v5, s10
	s_and_saveexec_b32 s7, s6
.LBB89_1925:
	v_lshrrev_b32_e32 v5, 24, v3
	s_delay_alu instid0(VALU_DEP_1)
	v_and_or_b32 v5, 0x80, v5, v4
.LBB89_1926:
	s_or_b32 exec_lo, exec_lo, s7
.LBB89_1927:
	s_delay_alu instid0(SALU_CYCLE_1)
	s_or_b32 exec_lo, exec_lo, s3
	global_store_b8 v[1:2], v5, off
.LBB89_1928:
	s_mov_b32 s3, -1
.LBB89_1929:
	s_mov_b32 s6, 0
.LBB89_1930:
	s_delay_alu instid0(SALU_CYCLE_1)
	s_and_b32 vcc_lo, exec_lo, s6
	s_cbranch_vccz .LBB89_1970
; %bb.1931:
	v_cmp_lt_i16_e32 vcc_lo, 22, v7
	s_mov_b32 s2, -1
	s_cbranch_vccz .LBB89_1963
; %bb.1932:
	v_cmp_gt_i16_e32 vcc_lo, 24, v7
	s_cbranch_vccnz .LBB89_1952
; %bb.1933:
	v_cmp_lt_i16_e32 vcc_lo, 24, v7
	s_cbranch_vccz .LBB89_1941
; %bb.1934:
	v_and_b32_e32 v4, 0x7fffffff, v3
	v_mov_b32_e32 v5, 0x80
	s_mov_b32 s2, exec_lo
	s_delay_alu instid0(VALU_DEP_2)
	v_cmpx_gt_u32_e32 0x47800000, v4
	s_cbranch_execz .LBB89_1940
; %bb.1935:
	v_cmp_lt_u32_e32 vcc_lo, 0x37ffffff, v4
	s_mov_b32 s3, 0
                                        ; implicit-def: $vgpr4
	s_and_saveexec_b32 s6, vcc_lo
	s_delay_alu instid0(SALU_CYCLE_1)
	s_xor_b32 s6, exec_lo, s6
	s_cbranch_execz .LBB89_2159
; %bb.1936:
	v_bfe_u32 v4, v3, 21, 1
	s_mov_b32 s3, exec_lo
	s_delay_alu instid0(VALU_DEP_1) | instskip(NEXT) | instid1(VALU_DEP_1)
	v_add3_u32 v4, v3, v4, 0x88fffff
	v_lshrrev_b32_e32 v4, 21, v4
	s_or_saveexec_b32 s6, s6
                                        ; implicit-def: $sgpr7
	s_delay_alu instid0(SALU_CYCLE_1)
	s_xor_b32 exec_lo, exec_lo, s6
	s_cbranch_execnz .LBB89_2160
.LBB89_1937:
	s_or_b32 exec_lo, exec_lo, s6
	v_mov_b32_e32 v5, s7
	s_and_saveexec_b32 s6, s3
.LBB89_1938:
	v_lshrrev_b32_e32 v5, 24, v3
	s_delay_alu instid0(VALU_DEP_1)
	v_and_or_b32 v5, 0x80, v5, v4
.LBB89_1939:
	s_or_b32 exec_lo, exec_lo, s6
.LBB89_1940:
	s_delay_alu instid0(SALU_CYCLE_1)
	s_or_b32 exec_lo, exec_lo, s2
	s_mov_b32 s2, 0
	global_store_b8 v[1:2], v5, off
.LBB89_1941:
	s_and_b32 vcc_lo, exec_lo, s2
	s_cbranch_vccz .LBB89_1951
; %bb.1942:
	v_and_b32_e32 v5, 0x7fffffff, v3
	s_mov_b32 s2, exec_lo
                                        ; implicit-def: $vgpr4
	s_delay_alu instid0(VALU_DEP_1)
	v_cmpx_gt_u32_e32 0x43f00000, v5
	s_xor_b32 s2, exec_lo, s2
	s_cbranch_execz .LBB89_1948
; %bb.1943:
	s_mov_b32 s3, exec_lo
                                        ; implicit-def: $vgpr4
	v_cmpx_lt_u32_e32 0x3c7fffff, v5
	s_xor_b32 s3, exec_lo, s3
; %bb.1944:
	v_bfe_u32 v4, v3, 20, 1
	s_delay_alu instid0(VALU_DEP_1) | instskip(NEXT) | instid1(VALU_DEP_1)
	v_add3_u32 v4, v3, v4, 0x407ffff
	v_and_b32_e32 v5, 0xff00000, v4
	v_lshrrev_b32_e32 v4, 20, v4
	s_delay_alu instid0(VALU_DEP_2) | instskip(NEXT) | instid1(VALU_DEP_2)
	v_cmp_ne_u32_e32 vcc_lo, 0x7f00000, v5
	v_cndmask_b32_e32 v4, 0x7e, v4, vcc_lo
; %bb.1945:
	s_and_not1_saveexec_b32 s3, s3
; %bb.1946:
	v_add_f32_e64 v4, 0x46800000, |v3|
; %bb.1947:
	s_or_b32 exec_lo, exec_lo, s3
                                        ; implicit-def: $vgpr5
.LBB89_1948:
	s_and_not1_saveexec_b32 s2, s2
; %bb.1949:
	v_mov_b32_e32 v4, 0x7f
	v_cmp_lt_u32_e32 vcc_lo, 0x7f800000, v5
	s_delay_alu instid0(VALU_DEP_2)
	v_cndmask_b32_e32 v4, 0x7e, v4, vcc_lo
; %bb.1950:
	s_or_b32 exec_lo, exec_lo, s2
	v_lshrrev_b32_e32 v5, 24, v3
	s_delay_alu instid0(VALU_DEP_1)
	v_and_or_b32 v4, 0x80, v5, v4
	global_store_b8 v[1:2], v4, off
.LBB89_1951:
	s_mov_b32 s2, 0
.LBB89_1952:
	s_delay_alu instid0(SALU_CYCLE_1)
	s_and_not1_b32 vcc_lo, exec_lo, s2
	s_cbranch_vccnz .LBB89_1962
; %bb.1953:
	v_and_b32_e32 v5, 0x7fffffff, v3
	s_mov_b32 s2, exec_lo
                                        ; implicit-def: $vgpr4
	s_delay_alu instid0(VALU_DEP_1)
	v_cmpx_gt_u32_e32 0x47800000, v5
	s_xor_b32 s2, exec_lo, s2
	s_cbranch_execz .LBB89_1959
; %bb.1954:
	s_mov_b32 s3, exec_lo
                                        ; implicit-def: $vgpr4
	v_cmpx_lt_u32_e32 0x387fffff, v5
	s_xor_b32 s3, exec_lo, s3
; %bb.1955:
	v_bfe_u32 v4, v3, 21, 1
	s_delay_alu instid0(VALU_DEP_1) | instskip(NEXT) | instid1(VALU_DEP_1)
	v_add3_u32 v4, v3, v4, 0x80fffff
	v_lshrrev_b32_e32 v4, 21, v4
; %bb.1956:
	s_and_not1_saveexec_b32 s3, s3
; %bb.1957:
	v_add_f32_e64 v4, 0x43000000, |v3|
; %bb.1958:
	s_or_b32 exec_lo, exec_lo, s3
                                        ; implicit-def: $vgpr5
.LBB89_1959:
	s_and_not1_saveexec_b32 s2, s2
; %bb.1960:
	v_mov_b32_e32 v4, 0x7f
	v_cmp_lt_u32_e32 vcc_lo, 0x7f800000, v5
	s_delay_alu instid0(VALU_DEP_2)
	v_cndmask_b32_e32 v4, 0x7c, v4, vcc_lo
; %bb.1961:
	s_or_b32 exec_lo, exec_lo, s2
	v_lshrrev_b32_e32 v5, 24, v3
	s_delay_alu instid0(VALU_DEP_1)
	v_and_or_b32 v4, 0x80, v5, v4
	global_store_b8 v[1:2], v4, off
.LBB89_1962:
	s_mov_b32 s2, 0
	s_mov_b32 s3, -1
.LBB89_1963:
	s_and_not1_b32 vcc_lo, exec_lo, s2
	s_mov_b32 s2, 0
	s_cbranch_vccnz .LBB89_1970
; %bb.1964:
	v_cmp_lt_i16_e32 vcc_lo, 14, v7
	s_mov_b32 s2, -1
	s_cbranch_vccz .LBB89_1968
; %bb.1965:
	v_cmp_eq_u16_e32 vcc_lo, 15, v7
	s_mov_b32 s0, -1
	s_cbranch_vccz .LBB89_1967
; %bb.1966:
	v_bfe_u32 v4, v3, 16, 1
	v_cmp_o_f32_e32 vcc_lo, v3, v3
	s_mov_b32 s0, 0
	s_mov_b32 s3, -1
	s_delay_alu instid0(VALU_DEP_2) | instskip(NEXT) | instid1(VALU_DEP_1)
	v_add3_u32 v4, v3, v4, 0x7fff
	v_lshrrev_b32_e32 v4, 16, v4
	s_delay_alu instid0(VALU_DEP_1)
	v_cndmask_b32_e32 v4, 0x7fc0, v4, vcc_lo
	global_store_b16 v[1:2], v4, off
.LBB89_1967:
	s_mov_b32 s2, 0
.LBB89_1968:
	s_delay_alu instid0(SALU_CYCLE_1)
	s_and_b32 vcc_lo, exec_lo, s2
	s_mov_b32 s2, 0
	s_cbranch_vccz .LBB89_1970
; %bb.1969:
	v_cmp_ne_u16_e64 s0, 11, v7
	s_mov_b32 s2, -1
.LBB89_1970:
	s_delay_alu instid0(VALU_DEP_1)
	s_and_b32 vcc_lo, exec_lo, s0
	s_cbranch_vccnz .LBB89_2157
; %bb.1971:
	s_and_not1_b32 vcc_lo, exec_lo, s2
	s_cbranch_vccnz .LBB89_1973
.LBB89_1972:
	v_cmp_neq_f32_e32 vcc_lo, 0, v3
	s_mov_b32 s3, -1
	v_cndmask_b32_e64 v4, 0, 1, vcc_lo
	global_store_b8 v[1:2], v4, off
.LBB89_1973:
	s_mov_b32 s0, 0
.LBB89_1974:
	s_delay_alu instid0(SALU_CYCLE_1)
	s_and_b32 vcc_lo, exec_lo, s0
	s_cbranch_vccz .LBB89_2013
; %bb.1975:
	v_cmp_gt_i16_e32 vcc_lo, 5, v7
	s_mov_b32 s0, -1
	s_cbranch_vccnz .LBB89_1996
; %bb.1976:
	v_cmp_gt_i16_e32 vcc_lo, 8, v7
	s_cbranch_vccnz .LBB89_1986
; %bb.1977:
	v_cmp_gt_i16_e32 vcc_lo, 9, v7
	s_cbranch_vccnz .LBB89_1983
; %bb.1978:
	v_cmp_lt_i16_e32 vcc_lo, 9, v7
	s_cbranch_vccz .LBB89_1980
; %bb.1979:
	v_cvt_f64_f32_e32 v[9:10], v3
	v_mov_b32_e32 v11, 0
	s_mov_b32 s0, 0
	s_delay_alu instid0(VALU_DEP_1)
	v_mov_b32_e32 v12, v11
	global_store_b128 v[1:2], v[9:12], off
.LBB89_1980:
	s_and_not1_b32 vcc_lo, exec_lo, s0
	s_cbranch_vccnz .LBB89_1982
; %bb.1981:
	v_mov_b32_e32 v4, 0
	global_store_b64 v[1:2], v[3:4], off
.LBB89_1982:
	s_mov_b32 s0, 0
.LBB89_1983:
	s_delay_alu instid0(SALU_CYCLE_1)
	s_and_not1_b32 vcc_lo, exec_lo, s0
	s_cbranch_vccnz .LBB89_1985
; %bb.1984:
	v_cvt_f16_f32_e32 v4, v3
	s_delay_alu instid0(VALU_DEP_1)
	v_and_b32_e32 v4, 0xffff, v4
	global_store_b32 v[1:2], v4, off
.LBB89_1985:
	s_mov_b32 s0, 0
.LBB89_1986:
	s_delay_alu instid0(SALU_CYCLE_1)
	s_and_not1_b32 vcc_lo, exec_lo, s0
	s_cbranch_vccnz .LBB89_1995
; %bb.1987:
	v_cmp_gt_i16_e32 vcc_lo, 6, v7
	s_mov_b32 s0, -1
	s_cbranch_vccnz .LBB89_1993
; %bb.1988:
	v_cmp_lt_i16_e32 vcc_lo, 6, v7
	s_cbranch_vccz .LBB89_1990
; %bb.1989:
	v_cvt_f64_f32_e32 v[4:5], v3
	s_mov_b32 s0, 0
	global_store_b64 v[1:2], v[4:5], off
.LBB89_1990:
	s_and_not1_b32 vcc_lo, exec_lo, s0
	s_cbranch_vccnz .LBB89_1992
; %bb.1991:
	global_store_b32 v[1:2], v3, off
.LBB89_1992:
	s_mov_b32 s0, 0
.LBB89_1993:
	s_delay_alu instid0(SALU_CYCLE_1)
	s_and_not1_b32 vcc_lo, exec_lo, s0
	s_cbranch_vccnz .LBB89_1995
; %bb.1994:
	v_cvt_f16_f32_e32 v4, v3
	global_store_b16 v[1:2], v4, off
.LBB89_1995:
	s_mov_b32 s0, 0
.LBB89_1996:
	s_delay_alu instid0(SALU_CYCLE_1)
	s_and_not1_b32 vcc_lo, exec_lo, s0
	s_cbranch_vccnz .LBB89_2012
; %bb.1997:
	v_cmp_gt_i16_e32 vcc_lo, 2, v7
	s_mov_b32 s0, -1
	s_cbranch_vccnz .LBB89_2007
; %bb.1998:
	v_cmp_gt_i16_e32 vcc_lo, 3, v7
	s_cbranch_vccnz .LBB89_2004
; %bb.1999:
	v_cmp_lt_i16_e32 vcc_lo, 3, v7
	s_cbranch_vccz .LBB89_2001
; %bb.2000:
	v_trunc_f32_e32 v4, v3
	s_mov_b32 s0, 0
	s_delay_alu instid0(VALU_DEP_1) | instskip(SKIP_1) | instid1(VALU_DEP_2)
	v_mul_f32_e64 v5, 0x2f800000, |v4|
	v_ashrrev_i32_e32 v9, 31, v4
	v_floor_f32_e32 v5, v5
	s_delay_alu instid0(VALU_DEP_1) | instskip(SKIP_1) | instid1(VALU_DEP_2)
	v_fma_f32 v6, 0xcf800000, v5, |v4|
	v_cvt_u32_f32_e32 v5, v5
	v_cvt_u32_f32_e32 v4, v6
	s_delay_alu instid0(VALU_DEP_2) | instskip(NEXT) | instid1(VALU_DEP_2)
	v_xor_b32_e32 v5, v5, v9
	v_xor_b32_e32 v4, v4, v9
	s_delay_alu instid0(VALU_DEP_1) | instskip(NEXT) | instid1(VALU_DEP_3)
	v_sub_co_u32 v4, vcc_lo, v4, v9
	v_sub_co_ci_u32_e32 v5, vcc_lo, v5, v9, vcc_lo
	global_store_b64 v[1:2], v[4:5], off
.LBB89_2001:
	s_and_not1_b32 vcc_lo, exec_lo, s0
	s_cbranch_vccnz .LBB89_2003
; %bb.2002:
	v_cvt_i32_f32_e32 v4, v3
	global_store_b32 v[1:2], v4, off
.LBB89_2003:
	s_mov_b32 s0, 0
.LBB89_2004:
	s_delay_alu instid0(SALU_CYCLE_1)
	s_and_not1_b32 vcc_lo, exec_lo, s0
	s_cbranch_vccnz .LBB89_2006
; %bb.2005:
	v_cvt_i32_f32_e32 v4, v3
	global_store_b16 v[1:2], v4, off
.LBB89_2006:
	s_mov_b32 s0, 0
.LBB89_2007:
	s_delay_alu instid0(SALU_CYCLE_1)
	s_and_not1_b32 vcc_lo, exec_lo, s0
	s_cbranch_vccnz .LBB89_2012
; %bb.2008:
	v_cmp_lt_i16_e32 vcc_lo, 0, v7
	s_mov_b32 s0, -1
	s_cbranch_vccz .LBB89_2010
; %bb.2009:
	v_cvt_i32_f32_e32 v4, v3
	s_mov_b32 s0, 0
	global_store_b8 v[1:2], v4, off
.LBB89_2010:
	s_and_not1_b32 vcc_lo, exec_lo, s0
	s_cbranch_vccnz .LBB89_2012
; %bb.2011:
	v_trunc_f32_e32 v3, v3
	s_delay_alu instid0(VALU_DEP_1) | instskip(NEXT) | instid1(VALU_DEP_1)
	v_mul_f32_e64 v4, 0x2f800000, |v3|
	v_floor_f32_e32 v4, v4
	s_delay_alu instid0(VALU_DEP_1) | instskip(SKIP_1) | instid1(VALU_DEP_2)
	v_fma_f32 v4, 0xcf800000, v4, |v3|
	v_ashrrev_i32_e32 v3, 31, v3
	v_cvt_u32_f32_e32 v4, v4
	s_delay_alu instid0(VALU_DEP_1) | instskip(NEXT) | instid1(VALU_DEP_1)
	v_xor_b32_e32 v4, v4, v3
	v_sub_nc_u32_e32 v3, v4, v3
	global_store_b8 v[1:2], v3, off
.LBB89_2012:
	s_mov_b32 s3, -1
.LBB89_2013:
	s_delay_alu instid0(SALU_CYCLE_1)
	s_and_not1_b32 vcc_lo, exec_lo, s3
	s_cbranch_vccnz .LBB89_2090
; %bb.2014:
	v_mul_f32_e32 v1, 0x3fb8aa3b, v8
	v_cmp_ngt_f32_e64 s0, 0xc2ce8ed0, v8
	v_cmp_gt_i16_e32 vcc_lo, 11, v7
	s_mov_b32 s2, 0
	s_delay_alu instid0(VALU_DEP_3) | instskip(SKIP_2) | instid1(VALU_DEP_2)
	v_rndne_f32_e32 v2, v1
	v_fma_f32 v3, 0x3fb8aa3b, v8, -v1
	s_and_b32 vcc_lo, exec_lo, vcc_lo
	v_sub_f32_e32 v1, v1, v2
	s_delay_alu instid0(VALU_DEP_2) | instskip(SKIP_1) | instid1(VALU_DEP_2)
	v_fmamk_f32 v3, v8, 0x32a5705f, v3
	v_cvt_i32_f32_e32 v2, v2
	v_add_f32_e32 v1, v1, v3
	s_delay_alu instid0(VALU_DEP_1) | instskip(SKIP_2) | instid1(VALU_DEP_1)
	v_exp_f32_e32 v1, v1
	s_waitcnt_depctr 0xfff
	v_ldexp_f32 v1, v1, v2
	v_cndmask_b32_e64 v2, 0, v1, s0
	v_add_co_u32 v0, s0, s4, v0
	s_delay_alu instid0(VALU_DEP_1) | instskip(SKIP_1) | instid1(VALU_DEP_1)
	v_add_co_ci_u32_e64 v1, null, s5, 0, s0
	v_cmp_nlt_f32_e64 s0, 0x42b17218, v8
	v_cndmask_b32_e64 v2, 0x7f800000, v2, s0
	s_mov_b32 s0, -1
	s_cbranch_vccnz .LBB89_2091
; %bb.2015:
	v_cmp_lt_i16_e32 vcc_lo, 25, v7
	s_mov_b32 s3, -1
	s_mov_b32 s0, 0
	s_cbranch_vccz .LBB89_2048
; %bb.2016:
	v_cmp_lt_i16_e32 vcc_lo, 28, v7
	s_cbranch_vccz .LBB89_2032
; %bb.2017:
	v_cmp_lt_i16_e32 vcc_lo, 43, v7
	;; [unrolled: 3-line block ×3, first 2 shown]
	s_cbranch_vccz .LBB89_2022
; %bb.2019:
	v_cmp_eq_u16_e32 vcc_lo, 46, v7
	s_mov_b32 s0, -1
	s_cbranch_vccz .LBB89_2021
; %bb.2020:
	v_bfe_u32 v3, v2, 16, 1
	v_cmp_o_f32_e32 vcc_lo, v2, v2
	s_mov_b32 s0, 0
	s_delay_alu instid0(VALU_DEP_2) | instskip(NEXT) | instid1(VALU_DEP_1)
	v_add3_u32 v3, v2, v3, 0x7fff
	v_lshrrev_b32_e32 v3, 16, v3
	s_delay_alu instid0(VALU_DEP_1)
	v_cndmask_b32_e32 v3, 0x7fc0, v3, vcc_lo
	global_store_b32 v[0:1], v3, off
.LBB89_2021:
	s_mov_b32 s3, 0
.LBB89_2022:
	s_delay_alu instid0(SALU_CYCLE_1)
	s_and_b32 vcc_lo, exec_lo, s3
	s_cbranch_vccz .LBB89_2027
; %bb.2023:
	v_cmp_eq_u16_e32 vcc_lo, 44, v7
	s_mov_b32 s0, -1
	s_cbranch_vccz .LBB89_2027
; %bb.2024:
	v_bfe_u32 v4, v2, 23, 8
	v_mov_b32_e32 v3, 0xff
	s_mov_b32 s3, exec_lo
	s_delay_alu instid0(VALU_DEP_2)
	v_cmpx_ne_u32_e32 0xff, v4
; %bb.2025:
	v_and_b32_e32 v3, 0x400000, v2
	v_and_or_b32 v4, 0x3fffff, v2, v4
	s_delay_alu instid0(VALU_DEP_2) | instskip(NEXT) | instid1(VALU_DEP_2)
	v_cmp_ne_u32_e32 vcc_lo, 0, v3
	v_cmp_ne_u32_e64 s0, 0, v4
	v_lshrrev_b32_e32 v3, 23, v2
	s_delay_alu instid0(VALU_DEP_2) | instskip(NEXT) | instid1(SALU_CYCLE_1)
	s_and_b32 s0, vcc_lo, s0
	v_cndmask_b32_e64 v4, 0, 1, s0
	s_delay_alu instid0(VALU_DEP_1)
	v_add_nc_u32_e32 v3, v3, v4
; %bb.2026:
	s_or_b32 exec_lo, exec_lo, s3
	s_mov_b32 s0, 0
	global_store_b8 v[0:1], v3, off
.LBB89_2027:
	s_mov_b32 s3, 0
.LBB89_2028:
	s_delay_alu instid0(SALU_CYCLE_1)
	s_and_b32 vcc_lo, exec_lo, s3
	s_cbranch_vccz .LBB89_2031
; %bb.2029:
	v_cmp_eq_u16_e32 vcc_lo, 29, v7
	s_mov_b32 s0, -1
	s_cbranch_vccz .LBB89_2031
; %bb.2030:
	v_trunc_f32_e32 v3, v2
	s_mov_b32 s0, 0
	s_delay_alu instid0(VALU_DEP_1) | instskip(NEXT) | instid1(VALU_DEP_1)
	v_mul_f32_e32 v4, 0x2f800000, v3
	v_floor_f32_e32 v4, v4
	s_delay_alu instid0(VALU_DEP_1) | instskip(SKIP_1) | instid1(VALU_DEP_2)
	v_fmamk_f32 v3, v4, 0xcf800000, v3
	v_cvt_u32_f32_e32 v4, v4
	v_cvt_u32_f32_e32 v3, v3
	global_store_b64 v[0:1], v[3:4], off
.LBB89_2031:
	s_mov_b32 s3, 0
.LBB89_2032:
	s_delay_alu instid0(SALU_CYCLE_1)
	s_and_b32 vcc_lo, exec_lo, s3
	s_cbranch_vccz .LBB89_2047
; %bb.2033:
	v_cmp_gt_i16_e32 vcc_lo, 27, v7
	s_mov_b32 s3, -1
	s_cbranch_vccnz .LBB89_2039
; %bb.2034:
	v_cmp_lt_i16_e32 vcc_lo, 27, v7
	v_cvt_u32_f32_e32 v3, v2
	s_cbranch_vccz .LBB89_2036
; %bb.2035:
	s_mov_b32 s3, 0
	global_store_b32 v[0:1], v3, off
.LBB89_2036:
	s_and_not1_b32 vcc_lo, exec_lo, s3
	s_cbranch_vccnz .LBB89_2038
; %bb.2037:
	global_store_b16 v[0:1], v3, off
.LBB89_2038:
	s_mov_b32 s3, 0
.LBB89_2039:
	s_delay_alu instid0(SALU_CYCLE_1)
	s_and_not1_b32 vcc_lo, exec_lo, s3
	s_cbranch_vccnz .LBB89_2047
; %bb.2040:
	v_and_b32_e32 v3, 0x7fffffff, v2
	v_mov_b32_e32 v4, 0x80
	s_mov_b32 s3, exec_lo
	s_delay_alu instid0(VALU_DEP_2)
	v_cmpx_gt_u32_e32 0x43800000, v3
	s_cbranch_execz .LBB89_2046
; %bb.2041:
	v_cmp_lt_u32_e32 vcc_lo, 0x3bffffff, v3
	s_mov_b32 s4, 0
                                        ; implicit-def: $vgpr3
	s_and_saveexec_b32 s5, vcc_lo
	s_delay_alu instid0(SALU_CYCLE_1)
	s_xor_b32 s5, exec_lo, s5
	s_cbranch_execz .LBB89_2161
; %bb.2042:
	v_bfe_u32 v3, v2, 20, 1
	s_mov_b32 s4, exec_lo
	s_delay_alu instid0(VALU_DEP_1) | instskip(NEXT) | instid1(VALU_DEP_1)
	v_add3_u32 v3, v2, v3, 0x487ffff
	v_lshrrev_b32_e32 v3, 20, v3
	s_or_saveexec_b32 s5, s5
                                        ; implicit-def: $sgpr6
	s_delay_alu instid0(SALU_CYCLE_1)
	s_xor_b32 exec_lo, exec_lo, s5
	s_cbranch_execnz .LBB89_2162
.LBB89_2043:
	s_or_b32 exec_lo, exec_lo, s5
	v_mov_b32_e32 v4, s6
	s_and_saveexec_b32 s5, s4
.LBB89_2044:
	v_lshrrev_b32_e32 v4, 24, v2
	s_delay_alu instid0(VALU_DEP_1)
	v_and_or_b32 v4, 0x80, v4, v3
.LBB89_2045:
	s_or_b32 exec_lo, exec_lo, s5
.LBB89_2046:
	s_delay_alu instid0(SALU_CYCLE_1)
	s_or_b32 exec_lo, exec_lo, s3
	global_store_b8 v[0:1], v4, off
.LBB89_2047:
	s_mov_b32 s3, 0
.LBB89_2048:
	s_delay_alu instid0(SALU_CYCLE_1)
	s_and_b32 vcc_lo, exec_lo, s3
	s_cbranch_vccz .LBB89_2088
; %bb.2049:
	v_cmp_lt_i16_e32 vcc_lo, 22, v7
	s_mov_b32 s2, -1
	s_cbranch_vccz .LBB89_2081
; %bb.2050:
	v_cmp_gt_i16_e32 vcc_lo, 24, v7
	s_cbranch_vccnz .LBB89_2070
; %bb.2051:
	v_cmp_lt_i16_e32 vcc_lo, 24, v7
	s_cbranch_vccz .LBB89_2059
; %bb.2052:
	v_and_b32_e32 v3, 0x7fffffff, v2
	v_mov_b32_e32 v4, 0x80
	s_mov_b32 s2, exec_lo
	s_delay_alu instid0(VALU_DEP_2)
	v_cmpx_gt_u32_e32 0x47800000, v3
	s_cbranch_execz .LBB89_2058
; %bb.2053:
	v_cmp_lt_u32_e32 vcc_lo, 0x37ffffff, v3
	s_mov_b32 s3, 0
                                        ; implicit-def: $vgpr3
	s_and_saveexec_b32 s4, vcc_lo
	s_delay_alu instid0(SALU_CYCLE_1)
	s_xor_b32 s4, exec_lo, s4
	s_cbranch_execz .LBB89_2167
; %bb.2054:
	v_bfe_u32 v3, v2, 21, 1
	s_mov_b32 s3, exec_lo
	s_delay_alu instid0(VALU_DEP_1) | instskip(NEXT) | instid1(VALU_DEP_1)
	v_add3_u32 v3, v2, v3, 0x88fffff
	v_lshrrev_b32_e32 v3, 21, v3
	s_or_saveexec_b32 s4, s4
                                        ; implicit-def: $sgpr5
	s_delay_alu instid0(SALU_CYCLE_1)
	s_xor_b32 exec_lo, exec_lo, s4
	s_cbranch_execnz .LBB89_2168
.LBB89_2055:
	s_or_b32 exec_lo, exec_lo, s4
	v_mov_b32_e32 v4, s5
	s_and_saveexec_b32 s4, s3
.LBB89_2056:
	v_lshrrev_b32_e32 v4, 24, v2
	s_delay_alu instid0(VALU_DEP_1)
	v_and_or_b32 v4, 0x80, v4, v3
.LBB89_2057:
	s_or_b32 exec_lo, exec_lo, s4
.LBB89_2058:
	s_delay_alu instid0(SALU_CYCLE_1)
	s_or_b32 exec_lo, exec_lo, s2
	s_mov_b32 s2, 0
	global_store_b8 v[0:1], v4, off
.LBB89_2059:
	s_and_b32 vcc_lo, exec_lo, s2
	s_cbranch_vccz .LBB89_2069
; %bb.2060:
	v_and_b32_e32 v4, 0x7fffffff, v2
	s_mov_b32 s2, exec_lo
                                        ; implicit-def: $vgpr3
	s_delay_alu instid0(VALU_DEP_1)
	v_cmpx_gt_u32_e32 0x43f00000, v4
	s_xor_b32 s2, exec_lo, s2
	s_cbranch_execz .LBB89_2066
; %bb.2061:
	s_mov_b32 s3, exec_lo
                                        ; implicit-def: $vgpr3
	v_cmpx_lt_u32_e32 0x3c7fffff, v4
	s_xor_b32 s3, exec_lo, s3
; %bb.2062:
	v_bfe_u32 v3, v2, 20, 1
	s_delay_alu instid0(VALU_DEP_1) | instskip(NEXT) | instid1(VALU_DEP_1)
	v_add3_u32 v3, v2, v3, 0x407ffff
	v_and_b32_e32 v4, 0xff00000, v3
	v_lshrrev_b32_e32 v3, 20, v3
	s_delay_alu instid0(VALU_DEP_2) | instskip(NEXT) | instid1(VALU_DEP_2)
	v_cmp_ne_u32_e32 vcc_lo, 0x7f00000, v4
	v_cndmask_b32_e32 v3, 0x7e, v3, vcc_lo
; %bb.2063:
	s_and_not1_saveexec_b32 s3, s3
; %bb.2064:
	v_add_f32_e64 v3, 0x46800000, |v2|
; %bb.2065:
	s_or_b32 exec_lo, exec_lo, s3
                                        ; implicit-def: $vgpr4
.LBB89_2066:
	s_and_not1_saveexec_b32 s2, s2
; %bb.2067:
	v_mov_b32_e32 v3, 0x7f
	v_cmp_lt_u32_e32 vcc_lo, 0x7f800000, v4
	s_delay_alu instid0(VALU_DEP_2)
	v_cndmask_b32_e32 v3, 0x7e, v3, vcc_lo
; %bb.2068:
	s_or_b32 exec_lo, exec_lo, s2
	v_lshrrev_b32_e32 v4, 24, v2
	s_delay_alu instid0(VALU_DEP_1)
	v_and_or_b32 v3, 0x80, v4, v3
	global_store_b8 v[0:1], v3, off
.LBB89_2069:
	s_mov_b32 s2, 0
.LBB89_2070:
	s_delay_alu instid0(SALU_CYCLE_1)
	s_and_not1_b32 vcc_lo, exec_lo, s2
	s_cbranch_vccnz .LBB89_2080
; %bb.2071:
	v_and_b32_e32 v4, 0x7fffffff, v2
	s_mov_b32 s2, exec_lo
                                        ; implicit-def: $vgpr3
	s_delay_alu instid0(VALU_DEP_1)
	v_cmpx_gt_u32_e32 0x47800000, v4
	s_xor_b32 s2, exec_lo, s2
	s_cbranch_execz .LBB89_2077
; %bb.2072:
	s_mov_b32 s3, exec_lo
                                        ; implicit-def: $vgpr3
	v_cmpx_lt_u32_e32 0x387fffff, v4
	s_xor_b32 s3, exec_lo, s3
; %bb.2073:
	v_bfe_u32 v3, v2, 21, 1
	s_delay_alu instid0(VALU_DEP_1) | instskip(NEXT) | instid1(VALU_DEP_1)
	v_add3_u32 v3, v2, v3, 0x80fffff
	v_lshrrev_b32_e32 v3, 21, v3
; %bb.2074:
	s_and_not1_saveexec_b32 s3, s3
; %bb.2075:
	v_add_f32_e64 v3, 0x43000000, |v2|
; %bb.2076:
	s_or_b32 exec_lo, exec_lo, s3
                                        ; implicit-def: $vgpr4
.LBB89_2077:
	s_and_not1_saveexec_b32 s2, s2
; %bb.2078:
	v_mov_b32_e32 v3, 0x7f
	v_cmp_lt_u32_e32 vcc_lo, 0x7f800000, v4
	s_delay_alu instid0(VALU_DEP_2)
	v_cndmask_b32_e32 v3, 0x7c, v3, vcc_lo
; %bb.2079:
	s_or_b32 exec_lo, exec_lo, s2
	v_lshrrev_b32_e32 v4, 24, v2
	s_delay_alu instid0(VALU_DEP_1)
	v_and_or_b32 v3, 0x80, v4, v3
	global_store_b8 v[0:1], v3, off
.LBB89_2080:
	s_mov_b32 s2, 0
.LBB89_2081:
	s_delay_alu instid0(SALU_CYCLE_1)
	s_and_not1_b32 vcc_lo, exec_lo, s2
	s_mov_b32 s2, 0
	s_cbranch_vccnz .LBB89_2088
; %bb.2082:
	v_cmp_lt_i16_e32 vcc_lo, 14, v7
	s_mov_b32 s2, -1
	s_cbranch_vccz .LBB89_2086
; %bb.2083:
	v_cmp_eq_u16_e32 vcc_lo, 15, v7
	s_mov_b32 s0, -1
	s_cbranch_vccz .LBB89_2085
; %bb.2084:
	v_bfe_u32 v3, v2, 16, 1
	v_cmp_o_f32_e32 vcc_lo, v2, v2
	s_mov_b32 s0, 0
	s_delay_alu instid0(VALU_DEP_2) | instskip(NEXT) | instid1(VALU_DEP_1)
	v_add3_u32 v3, v2, v3, 0x7fff
	v_lshrrev_b32_e32 v3, 16, v3
	s_delay_alu instid0(VALU_DEP_1)
	v_cndmask_b32_e32 v3, 0x7fc0, v3, vcc_lo
	global_store_b16 v[0:1], v3, off
.LBB89_2085:
	s_mov_b32 s2, 0
.LBB89_2086:
	s_delay_alu instid0(SALU_CYCLE_1)
	s_and_b32 vcc_lo, exec_lo, s2
	s_mov_b32 s2, 0
	s_cbranch_vccz .LBB89_2088
; %bb.2087:
	v_cmp_ne_u16_e64 s0, 11, v7
	s_mov_b32 s2, -1
.LBB89_2088:
	s_delay_alu instid0(VALU_DEP_1)
	s_and_b32 vcc_lo, exec_lo, s0
	s_cbranch_vccnz .LBB89_2165
.LBB89_2089:
	s_mov_b32 s0, 0
	s_branch .LBB89_2091
.LBB89_2090:
	s_mov_b32 s0, 0
	s_mov_b32 s2, 0
                                        ; implicit-def: $vgpr0_vgpr1
                                        ; implicit-def: $vgpr7
                                        ; implicit-def: $vgpr2
.LBB89_2091:
	s_and_b32 s3, s0, exec_lo
	s_and_not1_b32 s0, s8, exec_lo
	s_and_b32 s1, s1, exec_lo
	s_and_b32 s26, s2, exec_lo
	s_or_b32 s8, s0, s1
.LBB89_2092:
	s_or_b32 exec_lo, exec_lo, s9
	s_and_saveexec_b32 s0, s8
	s_cbranch_execz .LBB89_2095
; %bb.2093:
	; divergent unreachable
	s_or_b32 exec_lo, exec_lo, s0
	s_and_saveexec_b32 s0, s26
	s_delay_alu instid0(SALU_CYCLE_1)
	s_xor_b32 s0, exec_lo, s0
	s_cbranch_execnz .LBB89_2096
.LBB89_2094:
	s_or_b32 exec_lo, exec_lo, s0
	s_and_saveexec_b32 s0, s3
	s_cbranch_execnz .LBB89_2097
	s_branch .LBB89_2134
.LBB89_2095:
	s_or_b32 exec_lo, exec_lo, s0
	s_and_saveexec_b32 s0, s26
	s_delay_alu instid0(SALU_CYCLE_1)
	s_xor_b32 s0, exec_lo, s0
	s_cbranch_execz .LBB89_2094
.LBB89_2096:
	v_cmp_neq_f32_e32 vcc_lo, 0, v2
	s_waitcnt vmcnt(0)
	v_cndmask_b32_e64 v3, 0, 1, vcc_lo
	global_store_b8 v[0:1], v3, off
	s_or_b32 exec_lo, exec_lo, s0
	s_and_saveexec_b32 s0, s3
	s_cbranch_execz .LBB89_2134
.LBB89_2097:
	v_cmp_gt_i16_e32 vcc_lo, 5, v7
	s_mov_b32 s0, -1
	s_cbranch_vccnz .LBB89_2118
; %bb.2098:
	v_cmp_gt_i16_e32 vcc_lo, 8, v7
	s_cbranch_vccnz .LBB89_2108
; %bb.2099:
	v_cmp_gt_i16_e32 vcc_lo, 9, v7
	s_cbranch_vccnz .LBB89_2105
; %bb.2100:
	v_cmp_lt_i16_e32 vcc_lo, 9, v7
	s_cbranch_vccz .LBB89_2102
; %bb.2101:
	s_waitcnt vmcnt(0)
	v_cvt_f64_f32_e32 v[3:4], v2
	v_mov_b32_e32 v5, 0
	s_mov_b32 s0, 0
	s_delay_alu instid0(VALU_DEP_1)
	v_mov_b32_e32 v6, v5
	global_store_b128 v[0:1], v[3:6], off
.LBB89_2102:
	s_and_not1_b32 vcc_lo, exec_lo, s0
	s_cbranch_vccnz .LBB89_2104
; %bb.2103:
	s_waitcnt vmcnt(0)
	v_mov_b32_e32 v3, 0
	global_store_b64 v[0:1], v[2:3], off
.LBB89_2104:
	s_mov_b32 s0, 0
.LBB89_2105:
	s_delay_alu instid0(SALU_CYCLE_1)
	s_and_not1_b32 vcc_lo, exec_lo, s0
	s_cbranch_vccnz .LBB89_2107
; %bb.2106:
	s_waitcnt vmcnt(0)
	v_cvt_f16_f32_e32 v3, v2
	s_delay_alu instid0(VALU_DEP_1)
	v_and_b32_e32 v3, 0xffff, v3
	global_store_b32 v[0:1], v3, off
.LBB89_2107:
	s_mov_b32 s0, 0
.LBB89_2108:
	s_delay_alu instid0(SALU_CYCLE_1)
	s_and_not1_b32 vcc_lo, exec_lo, s0
	s_cbranch_vccnz .LBB89_2117
; %bb.2109:
	v_cmp_gt_i16_e32 vcc_lo, 6, v7
	s_mov_b32 s0, -1
	s_cbranch_vccnz .LBB89_2115
; %bb.2110:
	v_cmp_lt_i16_e32 vcc_lo, 6, v7
	s_cbranch_vccz .LBB89_2112
; %bb.2111:
	s_waitcnt vmcnt(0)
	v_cvt_f64_f32_e32 v[3:4], v2
	s_mov_b32 s0, 0
	global_store_b64 v[0:1], v[3:4], off
.LBB89_2112:
	s_and_not1_b32 vcc_lo, exec_lo, s0
	s_cbranch_vccnz .LBB89_2114
; %bb.2113:
	global_store_b32 v[0:1], v2, off
.LBB89_2114:
	s_mov_b32 s0, 0
.LBB89_2115:
	s_delay_alu instid0(SALU_CYCLE_1)
	s_and_not1_b32 vcc_lo, exec_lo, s0
	s_cbranch_vccnz .LBB89_2117
; %bb.2116:
	s_waitcnt vmcnt(0)
	v_cvt_f16_f32_e32 v3, v2
	global_store_b16 v[0:1], v3, off
.LBB89_2117:
	s_mov_b32 s0, 0
.LBB89_2118:
	s_delay_alu instid0(SALU_CYCLE_1)
	s_and_not1_b32 vcc_lo, exec_lo, s0
	s_cbranch_vccnz .LBB89_2134
; %bb.2119:
	v_cmp_gt_i16_e32 vcc_lo, 2, v7
	s_mov_b32 s0, -1
	s_cbranch_vccnz .LBB89_2129
; %bb.2120:
	v_cmp_gt_i16_e32 vcc_lo, 3, v7
	s_cbranch_vccnz .LBB89_2126
; %bb.2121:
	v_cmp_lt_i16_e32 vcc_lo, 3, v7
	s_cbranch_vccz .LBB89_2123
; %bb.2122:
	s_waitcnt vmcnt(0)
	v_trunc_f32_e32 v3, v2
	s_mov_b32 s0, 0
	s_delay_alu instid0(VALU_DEP_1) | instskip(SKIP_1) | instid1(VALU_DEP_2)
	v_mul_f32_e64 v4, 0x2f800000, |v3|
	v_ashrrev_i32_e32 v6, 31, v3
	v_floor_f32_e32 v4, v4
	s_delay_alu instid0(VALU_DEP_1) | instskip(SKIP_1) | instid1(VALU_DEP_2)
	v_fma_f32 v5, 0xcf800000, v4, |v3|
	v_cvt_u32_f32_e32 v4, v4
	v_cvt_u32_f32_e32 v3, v5
	s_delay_alu instid0(VALU_DEP_2) | instskip(NEXT) | instid1(VALU_DEP_2)
	v_xor_b32_e32 v4, v4, v6
	v_xor_b32_e32 v3, v3, v6
	s_delay_alu instid0(VALU_DEP_1) | instskip(NEXT) | instid1(VALU_DEP_3)
	v_sub_co_u32 v3, vcc_lo, v3, v6
	v_sub_co_ci_u32_e32 v4, vcc_lo, v4, v6, vcc_lo
	global_store_b64 v[0:1], v[3:4], off
.LBB89_2123:
	s_and_not1_b32 vcc_lo, exec_lo, s0
	s_cbranch_vccnz .LBB89_2125
; %bb.2124:
	s_waitcnt vmcnt(0)
	v_cvt_i32_f32_e32 v3, v2
	global_store_b32 v[0:1], v3, off
.LBB89_2125:
	s_mov_b32 s0, 0
.LBB89_2126:
	s_delay_alu instid0(SALU_CYCLE_1)
	s_and_not1_b32 vcc_lo, exec_lo, s0
	s_cbranch_vccnz .LBB89_2128
; %bb.2127:
	s_waitcnt vmcnt(0)
	v_cvt_i32_f32_e32 v3, v2
	global_store_b16 v[0:1], v3, off
.LBB89_2128:
	s_mov_b32 s0, 0
.LBB89_2129:
	s_delay_alu instid0(SALU_CYCLE_1)
	s_and_not1_b32 vcc_lo, exec_lo, s0
	s_cbranch_vccnz .LBB89_2134
; %bb.2130:
	v_cmp_lt_i16_e32 vcc_lo, 0, v7
	s_mov_b32 s0, -1
	s_cbranch_vccz .LBB89_2132
; %bb.2131:
	s_waitcnt vmcnt(0)
	v_cvt_i32_f32_e32 v3, v2
	s_mov_b32 s0, 0
	global_store_b8 v[0:1], v3, off
.LBB89_2132:
	s_and_not1_b32 vcc_lo, exec_lo, s0
	s_cbranch_vccnz .LBB89_2134
; %bb.2133:
	v_trunc_f32_e32 v2, v2
	s_waitcnt vmcnt(0)
	s_delay_alu instid0(VALU_DEP_1) | instskip(NEXT) | instid1(VALU_DEP_1)
	v_mul_f32_e64 v3, 0x2f800000, |v2|
	v_floor_f32_e32 v3, v3
	s_delay_alu instid0(VALU_DEP_1) | instskip(SKIP_1) | instid1(VALU_DEP_2)
	v_fma_f32 v3, 0xcf800000, v3, |v2|
	v_ashrrev_i32_e32 v2, 31, v2
	v_cvt_u32_f32_e32 v3, v3
	s_delay_alu instid0(VALU_DEP_1) | instskip(NEXT) | instid1(VALU_DEP_1)
	v_xor_b32_e32 v3, v3, v2
	v_sub_nc_u32_e32 v2, v3, v2
	global_store_b8 v[0:1], v2, off
	s_nop 0
	s_sendmsg sendmsg(MSG_DEALLOC_VGPRS)
	s_endpgm
.LBB89_2134:
	s_nop 0
	s_sendmsg sendmsg(MSG_DEALLOC_VGPRS)
	s_endpgm
.LBB89_2135:
	s_cbranch_execnz .LBB89_2139
; %bb.2136:
	s_or_b32 s1, s1, exec_lo
                                        ; implicit-def: $vgpr8
	s_cbranch_execz .LBB89_1608
	s_branch .LBB89_1609
.LBB89_2137:
	s_or_saveexec_b32 s7, s7
                                        ; implicit-def: $sgpr10
	s_delay_alu instid0(SALU_CYCLE_1)
	s_xor_b32 exec_lo, exec_lo, s7
	s_cbranch_execz .LBB89_1688
.LBB89_2138:
	v_add_f32_e64 v6, 0x46000000, |v5|
	s_and_not1_b32 s6, s6, exec_lo
	s_mov_b32 s10, 0
	s_delay_alu instid0(VALU_DEP_1) | instskip(NEXT) | instid1(VALU_DEP_1)
	v_and_b32_e32 v6, 0xff, v6
	v_cmp_ne_u32_e32 vcc_lo, 0, v6
	s_and_b32 s11, vcc_lo, exec_lo
	s_delay_alu instid0(SALU_CYCLE_1)
	s_or_b32 s6, s6, s11
	s_or_b32 exec_lo, exec_lo, s7
	v_mov_b32_e32 v9, s10
	s_and_saveexec_b32 s7, s6
	s_cbranch_execnz .LBB89_1689
	s_branch .LBB89_1690
.LBB89_2139:
	s_trap 2
	s_sendmsg_rtn_b32 s0, sendmsg(MSG_RTN_GET_DOORBELL)
	s_mov_b32 ttmp2, m0
	s_waitcnt lgkmcnt(0)
	s_and_b32 s0, s0, 0x3ff
	s_delay_alu instid0(SALU_CYCLE_1) | instskip(NEXT) | instid1(SALU_CYCLE_1)
	s_bitset1_b32 s0, 10
	s_mov_b32 m0, s0
	s_sendmsg sendmsg(MSG_INTERRUPT)
	s_mov_b32 m0, ttmp2
.LBB89_2140:                            ; =>This Inner Loop Header: Depth=1
	s_sethalt 5
	s_branch .LBB89_2140
.LBB89_2141:
	s_cbranch_execnz .LBB89_2147
; %bb.2142:
	s_or_b32 s1, s1, exec_lo
	s_cbranch_execz .LBB89_1736
	s_branch .LBB89_1737
.LBB89_2143:
	s_or_saveexec_b32 s6, s6
                                        ; implicit-def: $sgpr7
	s_delay_alu instid0(SALU_CYCLE_1)
	s_xor_b32 exec_lo, exec_lo, s6
	s_cbranch_execz .LBB89_1701
.LBB89_2144:
	v_add_f32_e64 v6, 0x42800000, |v5|
	s_and_not1_b32 s3, s3, exec_lo
	s_mov_b32 s7, 0
	s_delay_alu instid0(VALU_DEP_1) | instskip(NEXT) | instid1(VALU_DEP_1)
	v_and_b32_e32 v6, 0xff, v6
	v_cmp_ne_u32_e32 vcc_lo, 0, v6
	s_and_b32 s10, vcc_lo, exec_lo
	s_delay_alu instid0(SALU_CYCLE_1)
	s_or_b32 s3, s3, s10
	s_or_b32 exec_lo, exec_lo, s6
	v_mov_b32_e32 v9, s7
	s_and_saveexec_b32 s6, s3
	s_cbranch_execnz .LBB89_1702
	s_branch .LBB89_1703
.LBB89_2145:
	s_or_saveexec_b32 s7, s7
                                        ; implicit-def: $sgpr10
	s_delay_alu instid0(SALU_CYCLE_1)
	s_xor_b32 exec_lo, exec_lo, s7
	s_cbranch_execz .LBB89_1806
.LBB89_2146:
	v_add_f32_e64 v5, 0x46000000, |v4|
	s_and_not1_b32 s6, s6, exec_lo
	s_mov_b32 s10, 0
	s_delay_alu instid0(VALU_DEP_1) | instskip(NEXT) | instid1(VALU_DEP_1)
	v_and_b32_e32 v5, 0xff, v5
	v_cmp_ne_u32_e32 vcc_lo, 0, v5
	s_and_b32 s11, vcc_lo, exec_lo
	s_delay_alu instid0(SALU_CYCLE_1)
	s_or_b32 s6, s6, s11
	s_or_b32 exec_lo, exec_lo, s7
	v_mov_b32_e32 v6, s10
	s_and_saveexec_b32 s7, s6
	s_cbranch_execnz .LBB89_1807
	s_branch .LBB89_1808
.LBB89_2147:
	s_trap 2
	s_sendmsg_rtn_b32 s0, sendmsg(MSG_RTN_GET_DOORBELL)
	s_mov_b32 ttmp2, m0
	s_waitcnt lgkmcnt(0)
	s_and_b32 s0, s0, 0x3ff
	s_delay_alu instid0(SALU_CYCLE_1) | instskip(NEXT) | instid1(SALU_CYCLE_1)
	s_bitset1_b32 s0, 10
	s_mov_b32 m0, s0
	s_sendmsg sendmsg(MSG_INTERRUPT)
	s_mov_b32 m0, ttmp2
.LBB89_2148:                            ; =>This Inner Loop Header: Depth=1
	s_sethalt 5
	s_branch .LBB89_2148
.LBB89_2149:
	s_cbranch_execnz .LBB89_2155
; %bb.2150:
	s_or_b32 s1, s1, exec_lo
	s_cbranch_execz .LBB89_1854
	s_branch .LBB89_1855
.LBB89_2151:
	s_or_saveexec_b32 s6, s6
                                        ; implicit-def: $sgpr7
	s_delay_alu instid0(SALU_CYCLE_1)
	s_xor_b32 exec_lo, exec_lo, s6
	s_cbranch_execz .LBB89_1819
.LBB89_2152:
	v_add_f32_e64 v5, 0x42800000, |v4|
	s_and_not1_b32 s3, s3, exec_lo
	s_mov_b32 s7, 0
	s_delay_alu instid0(VALU_DEP_1) | instskip(NEXT) | instid1(VALU_DEP_1)
	v_and_b32_e32 v5, 0xff, v5
	v_cmp_ne_u32_e32 vcc_lo, 0, v5
	s_and_b32 s10, vcc_lo, exec_lo
	s_delay_alu instid0(SALU_CYCLE_1)
	s_or_b32 s3, s3, s10
	s_or_b32 exec_lo, exec_lo, s6
	v_mov_b32_e32 v6, s7
	s_and_saveexec_b32 s6, s3
	s_cbranch_execnz .LBB89_1820
	s_branch .LBB89_1821
.LBB89_2153:
	s_or_saveexec_b32 s7, s7
                                        ; implicit-def: $sgpr10
	s_delay_alu instid0(SALU_CYCLE_1)
	s_xor_b32 exec_lo, exec_lo, s7
	s_cbranch_execz .LBB89_1924
.LBB89_2154:
	v_add_f32_e64 v4, 0x46000000, |v3|
	s_and_not1_b32 s6, s6, exec_lo
	s_mov_b32 s10, 0
	s_delay_alu instid0(VALU_DEP_1) | instskip(NEXT) | instid1(VALU_DEP_1)
	v_and_b32_e32 v4, 0xff, v4
	v_cmp_ne_u32_e32 vcc_lo, 0, v4
	s_and_b32 s11, vcc_lo, exec_lo
	s_delay_alu instid0(SALU_CYCLE_1)
	s_or_b32 s6, s6, s11
	s_or_b32 exec_lo, exec_lo, s7
	v_mov_b32_e32 v5, s10
	s_and_saveexec_b32 s7, s6
	s_cbranch_execnz .LBB89_1925
	s_branch .LBB89_1926
.LBB89_2155:
	s_trap 2
	s_sendmsg_rtn_b32 s0, sendmsg(MSG_RTN_GET_DOORBELL)
	s_mov_b32 ttmp2, m0
	s_waitcnt lgkmcnt(0)
	s_and_b32 s0, s0, 0x3ff
	s_delay_alu instid0(SALU_CYCLE_1) | instskip(NEXT) | instid1(SALU_CYCLE_1)
	s_bitset1_b32 s0, 10
	s_mov_b32 m0, s0
	s_sendmsg sendmsg(MSG_INTERRUPT)
	s_mov_b32 m0, ttmp2
.LBB89_2156:                            ; =>This Inner Loop Header: Depth=1
	s_sethalt 5
	s_branch .LBB89_2156
.LBB89_2157:
	s_cbranch_execnz .LBB89_2163
; %bb.2158:
	s_or_b32 s1, s1, exec_lo
	s_cbranch_execz .LBB89_1972
	s_branch .LBB89_1973
.LBB89_2159:
	s_or_saveexec_b32 s6, s6
                                        ; implicit-def: $sgpr7
	s_delay_alu instid0(SALU_CYCLE_1)
	s_xor_b32 exec_lo, exec_lo, s6
	s_cbranch_execz .LBB89_1937
.LBB89_2160:
	v_add_f32_e64 v4, 0x42800000, |v3|
	s_and_not1_b32 s3, s3, exec_lo
	s_mov_b32 s7, 0
	s_delay_alu instid0(VALU_DEP_1) | instskip(NEXT) | instid1(VALU_DEP_1)
	v_and_b32_e32 v4, 0xff, v4
	v_cmp_ne_u32_e32 vcc_lo, 0, v4
	s_and_b32 s10, vcc_lo, exec_lo
	s_delay_alu instid0(SALU_CYCLE_1)
	s_or_b32 s3, s3, s10
	s_or_b32 exec_lo, exec_lo, s6
	v_mov_b32_e32 v5, s7
	s_and_saveexec_b32 s6, s3
	s_cbranch_execnz .LBB89_1938
	s_branch .LBB89_1939
.LBB89_2161:
	s_or_saveexec_b32 s5, s5
                                        ; implicit-def: $sgpr6
	s_delay_alu instid0(SALU_CYCLE_1)
	s_xor_b32 exec_lo, exec_lo, s5
	s_cbranch_execz .LBB89_2043
.LBB89_2162:
	v_add_f32_e64 v3, 0x46000000, |v2|
	s_and_not1_b32 s4, s4, exec_lo
	s_mov_b32 s6, 0
	s_delay_alu instid0(VALU_DEP_1) | instskip(NEXT) | instid1(VALU_DEP_1)
	v_and_b32_e32 v3, 0xff, v3
	v_cmp_ne_u32_e32 vcc_lo, 0, v3
	s_and_b32 s7, vcc_lo, exec_lo
	s_delay_alu instid0(SALU_CYCLE_1)
	s_or_b32 s4, s4, s7
	s_or_b32 exec_lo, exec_lo, s5
	v_mov_b32_e32 v4, s6
	s_and_saveexec_b32 s5, s4
	s_cbranch_execnz .LBB89_2044
	s_branch .LBB89_2045
.LBB89_2163:
	s_trap 2
	s_sendmsg_rtn_b32 s0, sendmsg(MSG_RTN_GET_DOORBELL)
	s_mov_b32 ttmp2, m0
	s_waitcnt lgkmcnt(0)
	s_and_b32 s0, s0, 0x3ff
	s_delay_alu instid0(SALU_CYCLE_1) | instskip(NEXT) | instid1(SALU_CYCLE_1)
	s_bitset1_b32 s0, 10
	s_mov_b32 m0, s0
	s_sendmsg sendmsg(MSG_INTERRUPT)
	s_mov_b32 m0, ttmp2
.LBB89_2164:                            ; =>This Inner Loop Header: Depth=1
	s_sethalt 5
	s_branch .LBB89_2164
.LBB89_2165:
	s_cbranch_execnz .LBB89_2169
; %bb.2166:
	s_mov_b32 s2, 0
	s_or_b32 s1, s1, exec_lo
	s_branch .LBB89_2089
.LBB89_2167:
	s_or_saveexec_b32 s4, s4
                                        ; implicit-def: $sgpr5
	s_delay_alu instid0(SALU_CYCLE_1)
	s_xor_b32 exec_lo, exec_lo, s4
	s_cbranch_execz .LBB89_2055
.LBB89_2168:
	v_add_f32_e64 v3, 0x42800000, |v2|
	s_and_not1_b32 s3, s3, exec_lo
	s_mov_b32 s5, 0
	s_delay_alu instid0(VALU_DEP_1) | instskip(NEXT) | instid1(VALU_DEP_1)
	v_and_b32_e32 v3, 0xff, v3
	v_cmp_ne_u32_e32 vcc_lo, 0, v3
	s_and_b32 s6, vcc_lo, exec_lo
	s_delay_alu instid0(SALU_CYCLE_1)
	s_or_b32 s3, s3, s6
	s_or_b32 exec_lo, exec_lo, s4
	v_mov_b32_e32 v4, s5
	s_and_saveexec_b32 s4, s3
	s_cbranch_execnz .LBB89_2056
	s_branch .LBB89_2057
.LBB89_2169:
	s_trap 2
	s_sendmsg_rtn_b32 s0, sendmsg(MSG_RTN_GET_DOORBELL)
	s_mov_b32 ttmp2, m0
	s_waitcnt lgkmcnt(0)
	s_and_b32 s0, s0, 0x3ff
	s_delay_alu instid0(SALU_CYCLE_1) | instskip(NEXT) | instid1(SALU_CYCLE_1)
	s_bitset1_b32 s0, 10
	s_mov_b32 m0, s0
	s_sendmsg sendmsg(MSG_INTERRUPT)
	s_mov_b32 m0, ttmp2
.LBB89_2170:                            ; =>This Inner Loop Header: Depth=1
	s_sethalt 5
	s_branch .LBB89_2170
	.section	.rodata,"a",@progbits
	.p2align	6, 0x0
	.amdhsa_kernel _ZN2at6native32elementwise_kernel_manual_unrollILi128ELi4EZNS0_15gpu_kernel_implIZZZNS0_15exp_kernel_cudaERNS_18TensorIteratorBaseEENKUlvE0_clEvENKUlvE0_clEvEUlfE_EEvS4_RKT_EUlibE0_EEviT1_
		.amdhsa_group_segment_fixed_size 0
		.amdhsa_private_segment_fixed_size 0
		.amdhsa_kernarg_size 360
		.amdhsa_user_sgpr_count 15
		.amdhsa_user_sgpr_dispatch_ptr 0
		.amdhsa_user_sgpr_queue_ptr 0
		.amdhsa_user_sgpr_kernarg_segment_ptr 1
		.amdhsa_user_sgpr_dispatch_id 0
		.amdhsa_user_sgpr_private_segment_size 0
		.amdhsa_wavefront_size32 1
		.amdhsa_uses_dynamic_stack 0
		.amdhsa_enable_private_segment 0
		.amdhsa_system_sgpr_workgroup_id_x 1
		.amdhsa_system_sgpr_workgroup_id_y 0
		.amdhsa_system_sgpr_workgroup_id_z 0
		.amdhsa_system_sgpr_workgroup_info 0
		.amdhsa_system_vgpr_workitem_id 0
		.amdhsa_next_free_vgpr 18
		.amdhsa_next_free_sgpr 68
		.amdhsa_reserve_vcc 1
		.amdhsa_float_round_mode_32 0
		.amdhsa_float_round_mode_16_64 0
		.amdhsa_float_denorm_mode_32 3
		.amdhsa_float_denorm_mode_16_64 3
		.amdhsa_dx10_clamp 1
		.amdhsa_ieee_mode 1
		.amdhsa_fp16_overflow 0
		.amdhsa_workgroup_processor_mode 1
		.amdhsa_memory_ordered 1
		.amdhsa_forward_progress 0
		.amdhsa_shared_vgpr_count 0
		.amdhsa_exception_fp_ieee_invalid_op 0
		.amdhsa_exception_fp_denorm_src 0
		.amdhsa_exception_fp_ieee_div_zero 0
		.amdhsa_exception_fp_ieee_overflow 0
		.amdhsa_exception_fp_ieee_underflow 0
		.amdhsa_exception_fp_ieee_inexact 0
		.amdhsa_exception_int_div_zero 0
	.end_amdhsa_kernel
	.section	.text._ZN2at6native32elementwise_kernel_manual_unrollILi128ELi4EZNS0_15gpu_kernel_implIZZZNS0_15exp_kernel_cudaERNS_18TensorIteratorBaseEENKUlvE0_clEvENKUlvE0_clEvEUlfE_EEvS4_RKT_EUlibE0_EEviT1_,"axG",@progbits,_ZN2at6native32elementwise_kernel_manual_unrollILi128ELi4EZNS0_15gpu_kernel_implIZZZNS0_15exp_kernel_cudaERNS_18TensorIteratorBaseEENKUlvE0_clEvENKUlvE0_clEvEUlfE_EEvS4_RKT_EUlibE0_EEviT1_,comdat
.Lfunc_end89:
	.size	_ZN2at6native32elementwise_kernel_manual_unrollILi128ELi4EZNS0_15gpu_kernel_implIZZZNS0_15exp_kernel_cudaERNS_18TensorIteratorBaseEENKUlvE0_clEvENKUlvE0_clEvEUlfE_EEvS4_RKT_EUlibE0_EEviT1_, .Lfunc_end89-_ZN2at6native32elementwise_kernel_manual_unrollILi128ELi4EZNS0_15gpu_kernel_implIZZZNS0_15exp_kernel_cudaERNS_18TensorIteratorBaseEENKUlvE0_clEvENKUlvE0_clEvEUlfE_EEvS4_RKT_EUlibE0_EEviT1_
                                        ; -- End function
	.section	.AMDGPU.csdata,"",@progbits
; Kernel info:
; codeLenInByte = 42300
; NumSgprs: 70
; NumVgprs: 18
; ScratchSize: 0
; MemoryBound: 1
; FloatMode: 240
; IeeeMode: 1
; LDSByteSize: 0 bytes/workgroup (compile time only)
; SGPRBlocks: 8
; VGPRBlocks: 2
; NumSGPRsForWavesPerEU: 70
; NumVGPRsForWavesPerEU: 18
; Occupancy: 16
; WaveLimiterHint : 1
; COMPUTE_PGM_RSRC2:SCRATCH_EN: 0
; COMPUTE_PGM_RSRC2:USER_SGPR: 15
; COMPUTE_PGM_RSRC2:TRAP_HANDLER: 0
; COMPUTE_PGM_RSRC2:TGID_X_EN: 1
; COMPUTE_PGM_RSRC2:TGID_Y_EN: 0
; COMPUTE_PGM_RSRC2:TGID_Z_EN: 0
; COMPUTE_PGM_RSRC2:TIDIG_COMP_CNT: 0
	.section	.text._ZN2at6native29vectorized_elementwise_kernelILi16EZZZNS0_15exp_kernel_cudaERNS_18TensorIteratorBaseEENKUlvE0_clEvENKUlvE1_clEvEUlN3c104HalfEE_St5arrayIPcLm2EEEEviT0_T1_,"axG",@progbits,_ZN2at6native29vectorized_elementwise_kernelILi16EZZZNS0_15exp_kernel_cudaERNS_18TensorIteratorBaseEENKUlvE0_clEvENKUlvE1_clEvEUlN3c104HalfEE_St5arrayIPcLm2EEEEviT0_T1_,comdat
	.globl	_ZN2at6native29vectorized_elementwise_kernelILi16EZZZNS0_15exp_kernel_cudaERNS_18TensorIteratorBaseEENKUlvE0_clEvENKUlvE1_clEvEUlN3c104HalfEE_St5arrayIPcLm2EEEEviT0_T1_ ; -- Begin function _ZN2at6native29vectorized_elementwise_kernelILi16EZZZNS0_15exp_kernel_cudaERNS_18TensorIteratorBaseEENKUlvE0_clEvENKUlvE1_clEvEUlN3c104HalfEE_St5arrayIPcLm2EEEEviT0_T1_
	.p2align	8
	.type	_ZN2at6native29vectorized_elementwise_kernelILi16EZZZNS0_15exp_kernel_cudaERNS_18TensorIteratorBaseEENKUlvE0_clEvENKUlvE1_clEvEUlN3c104HalfEE_St5arrayIPcLm2EEEEviT0_T1_,@function
_ZN2at6native29vectorized_elementwise_kernelILi16EZZZNS0_15exp_kernel_cudaERNS_18TensorIteratorBaseEENKUlvE0_clEvENKUlvE1_clEvEUlN3c104HalfEE_St5arrayIPcLm2EEEEviT0_T1_: ; @_ZN2at6native29vectorized_elementwise_kernelILi16EZZZNS0_15exp_kernel_cudaERNS_18TensorIteratorBaseEENKUlvE0_clEvENKUlvE1_clEvEUlN3c104HalfEE_St5arrayIPcLm2EEEEviT0_T1_
; %bb.0:
	s_clause 0x1
	s_load_b32 s3, s[0:1], 0x0
	s_load_b128 s[4:7], s[0:1], 0x8
	s_lshl_b32 s2, s15, 11
	s_mov_b32 s0, -1
	s_waitcnt lgkmcnt(0)
	s_sub_i32 s8, s3, s2
	s_delay_alu instid0(SALU_CYCLE_1)
	s_cmpk_gt_i32 s8, 0x7ff
	s_cbranch_scc0 .LBB90_2
; %bb.1:
	s_ashr_i32 s3, s2, 31
	v_lshlrev_b32_e32 v5, 4, v0
	s_lshl_b64 s[0:1], s[2:3], 1
	s_mov_b32 s3, 0x3fb8aa3b
	s_add_u32 s10, s6, s0
	s_addc_u32 s11, s7, s1
	s_mov_b32 s9, 0x32a5705f
	global_load_b128 v[1:4], v5, s[10:11]
	s_add_u32 s10, s4, s0
	s_addc_u32 s11, s5, s1
	s_mov_b32 s0, 0
	s_waitcnt vmcnt(0)
	v_cvt_f32_f16_e32 v9, v1
	v_lshrrev_b32_e32 v6, 16, v1
	v_lshrrev_b32_e32 v10, 16, v4
	v_cvt_f32_f16_e32 v11, v2
	v_cvt_f32_f16_e32 v13, v4
	v_mul_f32_e32 v14, 0x3fb8aa3b, v9
	v_lshrrev_b32_e32 v7, 16, v2
	v_cvt_f32_f16_e32 v12, v3
	v_cvt_f32_f16_e32 v6, v6
	v_mul_f32_e32 v15, 0x3fb8aa3b, v11
	v_mul_f32_e32 v17, 0x3fb8aa3b, v13
	v_cvt_f32_f16_e32 v10, v10
	v_fma_mix_f32 v18, v1, s3, -v14 op_sel_hi:[1,0,0]
	v_mul_f32_e32 v20, 0x3fb8aa3b, v6
	v_rndne_f32_e32 v19, v14
	v_lshrrev_b32_e32 v8, 16, v3
	v_cvt_f32_f16_e32 v7, v7
	v_mul_f32_e32 v16, 0x3fb8aa3b, v12
	v_fma_mix_f32 v21, v2, s3, -v15 op_sel_hi:[1,0,0]
	v_rndne_f32_e32 v22, v15
	v_rndne_f32_e32 v28, v17
	v_dual_mul_f32 v29, 0x3fb8aa3b, v10 :: v_dual_sub_f32 v14, v14, v19
	v_fma_mix_f32 v18, v1, s9, v18 op_sel_hi:[1,0,0]
	v_cvt_f32_f16_e32 v8, v8
	v_mul_f32_e32 v23, 0x3fb8aa3b, v7
	v_fma_mix_f32 v24, v3, s3, -v16 op_sel_hi:[1,0,0]
	v_rndne_f32_e32 v25, v16
	v_fma_mix_f32 v27, v4, s3, -v17 op_sel_hi:[1,0,0]
	v_mul_f32_e32 v26, 0x3fb8aa3b, v8
	v_rndne_f32_e32 v31, v20
	v_fma_mix_f32 v21, v2, s9, v21 op_sel_hi:[1,0,0]
	v_dual_sub_f32 v15, v15, v22 :: v_dual_sub_f32 v16, v16, v25
	v_dual_sub_f32 v17, v17, v28 :: v_dual_add_f32 v14, v14, v18
	v_rndne_f32_e32 v33, v23
	v_fma_mix_f32 v24, v3, s9, v24 op_sel_hi:[1,0,0]
	s_delay_alu instid0(VALU_DEP_4) | instskip(NEXT) | instid1(VALU_DEP_4)
	v_dual_sub_f32 v18, v20, v31 :: v_dual_add_f32 v15, v15, v21
	v_exp_f32_e32 v14, v14
	v_cvt_i32_f32_e32 v19, v19
	v_fma_mix_f32 v30, v1, s3, -v20 op_sel:[1,0,0] op_sel_hi:[1,0,0]
	v_fma_mix_f32 v32, v2, s3, -v23 op_sel:[1,0,0] op_sel_hi:[1,0,0]
	;; [unrolled: 1-line block ×3, first 2 shown]
	v_rndne_f32_e32 v35, v26
	v_fma_mix_f32 v27, v4, s9, v27 op_sel_hi:[1,0,0]
	v_fma_mix_f32 v36, v4, s3, -v29 op_sel:[1,0,0] op_sel_hi:[1,0,0]
	v_rndne_f32_e32 v37, v29
	v_dual_sub_f32 v21, v23, v33 :: v_dual_add_f32 v16, v16, v24
	v_exp_f32_e32 v15, v15
	v_cvt_i32_f32_e32 v22, v22
	v_fma_mix_f32 v1, v1, s9, v30 op_sel:[1,0,0] op_sel_hi:[1,0,0]
	v_fma_mix_f32 v2, v2, s9, v32 op_sel:[1,0,0] op_sel_hi:[1,0,0]
	;; [unrolled: 1-line block ×3, first 2 shown]
	v_sub_f32_e32 v24, v26, v35
	v_fma_mix_f32 v4, v4, s9, v36 op_sel:[1,0,0] op_sel_hi:[1,0,0]
	v_add_f32_e32 v17, v17, v27
	v_sub_f32_e32 v27, v29, v37
	v_exp_f32_e32 v16, v16
	v_ldexp_f32 v14, v14, v19
	v_cmp_ngt_f32_e32 vcc_lo, 0xc2ce8ed0, v9
	v_cvt_i32_f32_e32 v25, v25
	v_dual_add_f32 v4, v27, v4 :: v_dual_add_f32 v1, v18, v1
	v_dual_add_f32 v2, v21, v2 :: v_dual_add_f32 v3, v24, v3
	v_cndmask_b32_e32 v14, 0, v14, vcc_lo
	v_exp_f32_e32 v17, v17
	v_ldexp_f32 v15, v15, v22
	v_cmp_ngt_f32_e32 vcc_lo, 0xc2ce8ed0, v11
	v_cvt_i32_f32_e32 v28, v28
	v_exp_f32_e32 v2, v2
	v_ldexp_f32 v16, v16, v25
	v_cvt_i32_f32_e32 v23, v33
	v_cndmask_b32_e32 v15, 0, v15, vcc_lo
	v_cmp_ngt_f32_e32 vcc_lo, 0xc2ce8ed0, v12
	v_exp_f32_e32 v1, v1
	v_ldexp_f32 v17, v17, v28
	v_cvt_i32_f32_e32 v20, v31
	v_exp_f32_e32 v4, v4
	v_cndmask_b32_e32 v16, 0, v16, vcc_lo
	v_cmp_ngt_f32_e32 vcc_lo, 0xc2ce8ed0, v13
	v_ldexp_f32 v2, v2, v23
	v_cvt_i32_f32_e32 v18, v37
	v_exp_f32_e32 v3, v3
	v_cvt_i32_f32_e32 v26, v35
	v_cndmask_b32_e32 v17, 0, v17, vcc_lo
	v_cmp_nlt_f32_e32 vcc_lo, 0x42b17218, v9
	v_ldexp_f32 v1, v1, v20
	v_ldexp_f32 v4, v4, v18
	v_cndmask_b32_e32 v9, 0x7f800000, v14, vcc_lo
	v_cmp_ngt_f32_e32 vcc_lo, 0xc2ce8ed0, v6
	s_delay_alu instid0(TRANS32_DEP_1) | instskip(NEXT) | instid1(VALU_DEP_3)
	v_ldexp_f32 v3, v3, v26
	v_cvt_f16_f32_e32 v9, v9
	v_cndmask_b32_e32 v1, 0, v1, vcc_lo
	v_cmp_nlt_f32_e32 vcc_lo, 0x42b17218, v11
	v_cndmask_b32_e32 v11, 0x7f800000, v15, vcc_lo
	v_cmp_ngt_f32_e32 vcc_lo, 0xc2ce8ed0, v7
	v_cndmask_b32_e32 v2, 0, v2, vcc_lo
	v_cmp_nlt_f32_e32 vcc_lo, 0x42b17218, v12
	v_cndmask_b32_e32 v12, 0x7f800000, v16, vcc_lo
	v_cmp_ngt_f32_e32 vcc_lo, 0xc2ce8ed0, v8
	;; [unrolled: 4-line block ×3, first 2 shown]
	v_cndmask_b32_e32 v4, 0, v4, vcc_lo
	v_cmp_nlt_f32_e32 vcc_lo, 0x42b17218, v6
	v_cvt_f16_f32_e32 v6, v11
	v_cndmask_b32_e32 v1, 0x7f800000, v1, vcc_lo
	v_cmp_nlt_f32_e32 vcc_lo, 0x42b17218, v8
	v_cvt_f16_f32_e32 v8, v13
	s_delay_alu instid0(VALU_DEP_3) | instskip(SKIP_2) | instid1(VALU_DEP_3)
	v_cvt_f16_f32_e32 v1, v1
	v_cndmask_b32_e32 v3, 0x7f800000, v3, vcc_lo
	v_cmp_nlt_f32_e32 vcc_lo, 0x42b17218, v10
	v_pack_b32_f16 v1, v9, v1
	s_delay_alu instid0(VALU_DEP_3) | instskip(SKIP_3) | instid1(VALU_DEP_3)
	v_cvt_f16_f32_e32 v3, v3
	v_cndmask_b32_e32 v4, 0x7f800000, v4, vcc_lo
	v_cmp_nlt_f32_e32 vcc_lo, 0x42b17218, v7
	v_cvt_f16_f32_e32 v7, v12
	v_cvt_f16_f32_e32 v4, v4
	v_cndmask_b32_e32 v2, 0x7f800000, v2, vcc_lo
	s_delay_alu instid0(VALU_DEP_3) | instskip(NEXT) | instid1(VALU_DEP_3)
	v_pack_b32_f16 v3, v7, v3
	v_pack_b32_f16 v4, v8, v4
	s_delay_alu instid0(VALU_DEP_3) | instskip(NEXT) | instid1(VALU_DEP_1)
	v_cvt_f16_f32_e32 v2, v2
	v_pack_b32_f16 v2, v6, v2
	global_store_b128 v5, v[1:4], s[10:11]
.LBB90_2:
	s_and_not1_b32 vcc_lo, exec_lo, s0
	s_cbranch_vccnz .LBB90_26
; %bb.3:
	v_cmp_gt_i32_e32 vcc_lo, s8, v0
	v_dual_mov_b32 v8, 0 :: v_dual_mov_b32 v11, 0
	v_or_b32_e32 v1, s2, v0
	v_or_b32_e32 v10, 0x100, v0
	v_mov_b32_e32 v2, v0
	s_and_saveexec_b32 s1, vcc_lo
	s_cbranch_execz .LBB90_5
; %bb.4:
	v_mov_b32_e32 v2, 0
	s_delay_alu instid0(VALU_DEP_1) | instskip(NEXT) | instid1(VALU_DEP_1)
	v_lshlrev_b64 v[2:3], 1, v[1:2]
	v_add_co_u32 v2, s0, s6, v2
	s_delay_alu instid0(VALU_DEP_1)
	v_add_co_ci_u32_e64 v3, s0, s7, v3, s0
	global_load_u16 v3, v[2:3], off
	v_or_b32_e32 v2, 0x100, v0
	s_waitcnt vmcnt(0)
	v_cvt_f32_f16_e32 v11, v3
.LBB90_5:
	s_or_b32 exec_lo, exec_lo, s1
	s_delay_alu instid0(SALU_CYCLE_1)
	s_mov_b32 s1, exec_lo
	v_cmpx_gt_i32_e64 s8, v2
	s_cbranch_execz .LBB90_7
; %bb.6:
	v_dual_mov_b32 v4, 0 :: v_dual_add_nc_u32 v3, s2, v2
	v_add_nc_u32_e32 v2, 0x100, v2
	s_delay_alu instid0(VALU_DEP_2) | instskip(NEXT) | instid1(VALU_DEP_1)
	v_lshlrev_b64 v[3:4], 1, v[3:4]
	v_add_co_u32 v3, s0, s6, v3
	s_delay_alu instid0(VALU_DEP_1)
	v_add_co_ci_u32_e64 v4, s0, s7, v4, s0
	global_load_u16 v3, v[3:4], off
	s_waitcnt vmcnt(0)
	v_cvt_f32_f16_e32 v8, v3
.LBB90_7:
	s_or_b32 exec_lo, exec_lo, s1
	v_dual_mov_b32 v6, 0 :: v_dual_mov_b32 v9, 0
	s_mov_b32 s1, exec_lo
	v_cmpx_gt_i32_e64 s8, v2
	s_cbranch_execz .LBB90_9
; %bb.8:
	v_dual_mov_b32 v4, 0 :: v_dual_add_nc_u32 v3, s2, v2
	v_add_nc_u32_e32 v2, 0x100, v2
	s_delay_alu instid0(VALU_DEP_2) | instskip(NEXT) | instid1(VALU_DEP_1)
	v_lshlrev_b64 v[3:4], 1, v[3:4]
	v_add_co_u32 v3, s0, s6, v3
	s_delay_alu instid0(VALU_DEP_1)
	v_add_co_ci_u32_e64 v4, s0, s7, v4, s0
	global_load_u16 v3, v[3:4], off
	s_waitcnt vmcnt(0)
	v_cvt_f32_f16_e32 v9, v3
.LBB90_9:
	s_or_b32 exec_lo, exec_lo, s1
	s_delay_alu instid0(SALU_CYCLE_1)
	s_mov_b32 s1, exec_lo
	v_cmpx_gt_i32_e64 s8, v2
	s_cbranch_execz .LBB90_11
; %bb.10:
	v_dual_mov_b32 v4, 0 :: v_dual_add_nc_u32 v3, s2, v2
	v_add_nc_u32_e32 v2, 0x100, v2
	s_delay_alu instid0(VALU_DEP_2) | instskip(NEXT) | instid1(VALU_DEP_1)
	v_lshlrev_b64 v[3:4], 1, v[3:4]
	v_add_co_u32 v3, s0, s6, v3
	s_delay_alu instid0(VALU_DEP_1)
	v_add_co_ci_u32_e64 v4, s0, s7, v4, s0
	global_load_u16 v3, v[3:4], off
	s_waitcnt vmcnt(0)
	v_cvt_f32_f16_e32 v6, v3
.LBB90_11:
	s_or_b32 exec_lo, exec_lo, s1
	v_dual_mov_b32 v4, 0 :: v_dual_mov_b32 v7, 0
	s_mov_b32 s1, exec_lo
	v_cmpx_gt_i32_e64 s8, v2
	s_cbranch_execz .LBB90_13
; %bb.12:
	v_dual_mov_b32 v13, 0 :: v_dual_add_nc_u32 v12, s2, v2
	v_add_nc_u32_e32 v2, 0x100, v2
	s_delay_alu instid0(VALU_DEP_2) | instskip(NEXT) | instid1(VALU_DEP_1)
	v_lshlrev_b64 v[12:13], 1, v[12:13]
	v_add_co_u32 v12, s0, s6, v12
	s_delay_alu instid0(VALU_DEP_1)
	v_add_co_ci_u32_e64 v13, s0, s7, v13, s0
	global_load_u16 v3, v[12:13], off
	s_waitcnt vmcnt(0)
	v_cvt_f32_f16_e32 v7, v3
.LBB90_13:
	s_or_b32 exec_lo, exec_lo, s1
	s_delay_alu instid0(SALU_CYCLE_1)
	s_mov_b32 s1, exec_lo
	v_cmpx_gt_i32_e64 s8, v2
	s_cbranch_execz .LBB90_15
; %bb.14:
	v_dual_mov_b32 v4, 0 :: v_dual_add_nc_u32 v3, s2, v2
	v_add_nc_u32_e32 v2, 0x100, v2
	s_delay_alu instid0(VALU_DEP_2) | instskip(NEXT) | instid1(VALU_DEP_1)
	v_lshlrev_b64 v[3:4], 1, v[3:4]
	v_add_co_u32 v3, s0, s6, v3
	s_delay_alu instid0(VALU_DEP_1)
	v_add_co_ci_u32_e64 v4, s0, s7, v4, s0
	global_load_u16 v3, v[3:4], off
	s_waitcnt vmcnt(0)
	v_cvt_f32_f16_e32 v4, v3
.LBB90_15:
	s_or_b32 exec_lo, exec_lo, s1
	v_mov_b32_e32 v3, 0
	v_mov_b32_e32 v5, 0
	s_mov_b32 s1, exec_lo
	v_cmpx_gt_i32_e64 s8, v2
	s_cbranch_execnz .LBB90_27
; %bb.16:
	s_or_b32 exec_lo, exec_lo, s1
	s_delay_alu instid0(SALU_CYCLE_1)
	s_mov_b32 s1, exec_lo
	v_cmpx_gt_i32_e64 s8, v2
	s_cbranch_execnz .LBB90_28
.LBB90_17:
	s_or_b32 exec_lo, exec_lo, s1
	s_and_saveexec_b32 s0, vcc_lo
	s_cbranch_execnz .LBB90_29
.LBB90_18:
	s_or_b32 exec_lo, exec_lo, s0
	s_delay_alu instid0(SALU_CYCLE_1)
	s_mov_b32 s0, exec_lo
	v_cmpx_gt_i32_e64 s8, v0
	s_cbranch_execnz .LBB90_30
.LBB90_19:
	s_or_b32 exec_lo, exec_lo, s0
	s_delay_alu instid0(SALU_CYCLE_1)
	s_mov_b32 s0, exec_lo
	v_cmpx_gt_i32_e64 s8, v0
	s_cbranch_execnz .LBB90_31
.LBB90_20:
	s_or_b32 exec_lo, exec_lo, s0
	s_delay_alu instid0(SALU_CYCLE_1)
	s_mov_b32 s0, exec_lo
	v_cmpx_gt_i32_e64 s8, v0
	s_cbranch_execnz .LBB90_32
.LBB90_21:
	s_or_b32 exec_lo, exec_lo, s0
	s_delay_alu instid0(SALU_CYCLE_1)
	s_mov_b32 s0, exec_lo
	v_cmpx_gt_i32_e64 s8, v0
	s_cbranch_execnz .LBB90_33
.LBB90_22:
	s_or_b32 exec_lo, exec_lo, s0
	s_delay_alu instid0(SALU_CYCLE_1)
	s_mov_b32 s0, exec_lo
	v_cmpx_gt_i32_e64 s8, v0
	s_cbranch_execnz .LBB90_34
.LBB90_23:
	s_or_b32 exec_lo, exec_lo, s0
	s_delay_alu instid0(SALU_CYCLE_1)
	s_mov_b32 s0, exec_lo
	v_cmpx_gt_i32_e64 s8, v0
	s_cbranch_execnz .LBB90_35
.LBB90_24:
	s_or_b32 exec_lo, exec_lo, s0
	s_delay_alu instid0(SALU_CYCLE_1)
	s_mov_b32 s0, exec_lo
	v_cmpx_gt_i32_e64 s8, v0
	s_cbranch_execz .LBB90_26
.LBB90_25:
	v_dual_mul_f32 v1, 0x3fb8aa3b, v3 :: v_dual_add_nc_u32 v0, s2, v0
	v_cmp_ngt_f32_e32 vcc_lo, 0xc2ce8ed0, v3
	s_delay_alu instid0(VALU_DEP_2) | instskip(SKIP_1) | instid1(VALU_DEP_1)
	v_rndne_f32_e32 v2, v1
	v_fma_f32 v4, 0x3fb8aa3b, v3, -v1
	v_dual_sub_f32 v1, v1, v2 :: v_dual_fmamk_f32 v4, v3, 0x32a5705f, v4
	v_cvt_i32_f32_e32 v2, v2
	s_delay_alu instid0(VALU_DEP_2) | instskip(NEXT) | instid1(VALU_DEP_1)
	v_add_f32_e32 v1, v1, v4
	v_exp_f32_e32 v1, v1
	s_waitcnt_depctr 0xfff
	v_ldexp_f32 v1, v1, v2
	s_delay_alu instid0(VALU_DEP_1) | instskip(SKIP_1) | instid1(VALU_DEP_2)
	v_dual_cndmask_b32 v2, 0, v1 :: v_dual_mov_b32 v1, 0
	v_cmp_nlt_f32_e32 vcc_lo, 0x42b17218, v3
	v_lshlrev_b64 v[0:1], 1, v[0:1]
	s_delay_alu instid0(VALU_DEP_3) | instskip(NEXT) | instid1(VALU_DEP_1)
	v_cndmask_b32_e32 v2, 0x7f800000, v2, vcc_lo
	v_cvt_f16_f32_e32 v2, v2
	s_delay_alu instid0(VALU_DEP_3) | instskip(NEXT) | instid1(VALU_DEP_4)
	v_add_co_u32 v0, vcc_lo, s4, v0
	v_add_co_ci_u32_e32 v1, vcc_lo, s5, v1, vcc_lo
	global_store_b16 v[0:1], v2, off
.LBB90_26:
	s_nop 0
	s_sendmsg sendmsg(MSG_DEALLOC_VGPRS)
	s_endpgm
.LBB90_27:
	v_dual_mov_b32 v13, 0 :: v_dual_add_nc_u32 v12, s2, v2
	v_add_nc_u32_e32 v2, 0x100, v2
	s_delay_alu instid0(VALU_DEP_2) | instskip(NEXT) | instid1(VALU_DEP_1)
	v_lshlrev_b64 v[12:13], 1, v[12:13]
	v_add_co_u32 v12, s0, s6, v12
	s_delay_alu instid0(VALU_DEP_1) | instskip(SKIP_4) | instid1(SALU_CYCLE_1)
	v_add_co_ci_u32_e64 v13, s0, s7, v13, s0
	global_load_u16 v5, v[12:13], off
	s_waitcnt vmcnt(0)
	v_cvt_f32_f16_e32 v5, v5
	s_or_b32 exec_lo, exec_lo, s1
	s_mov_b32 s1, exec_lo
	v_cmpx_gt_i32_e64 s8, v2
	s_cbranch_execz .LBB90_17
.LBB90_28:
	v_dual_mov_b32 v3, 0 :: v_dual_add_nc_u32 v2, s2, v2
	s_delay_alu instid0(VALU_DEP_1) | instskip(NEXT) | instid1(VALU_DEP_1)
	v_lshlrev_b64 v[2:3], 1, v[2:3]
	v_add_co_u32 v2, s0, s6, v2
	s_delay_alu instid0(VALU_DEP_1)
	v_add_co_ci_u32_e64 v3, s0, s7, v3, s0
	global_load_u16 v2, v[2:3], off
	s_waitcnt vmcnt(0)
	v_cvt_f32_f16_e32 v3, v2
	s_or_b32 exec_lo, exec_lo, s1
	s_and_saveexec_b32 s0, vcc_lo
	s_cbranch_execz .LBB90_18
.LBB90_29:
	v_mul_f32_e32 v0, 0x3fb8aa3b, v11
	v_cmp_ngt_f32_e32 vcc_lo, 0xc2ce8ed0, v11
	s_delay_alu instid0(VALU_DEP_2) | instskip(SKIP_1) | instid1(VALU_DEP_2)
	v_rndne_f32_e32 v2, v0
	v_fma_f32 v12, 0x3fb8aa3b, v11, -v0
	v_sub_f32_e32 v0, v0, v2
	s_delay_alu instid0(VALU_DEP_2) | instskip(SKIP_1) | instid1(VALU_DEP_2)
	v_fmamk_f32 v12, v11, 0x32a5705f, v12
	v_cvt_i32_f32_e32 v2, v2
	v_add_f32_e32 v0, v0, v12
	s_delay_alu instid0(VALU_DEP_1) | instskip(SKIP_2) | instid1(VALU_DEP_1)
	v_exp_f32_e32 v0, v0
	s_waitcnt_depctr 0xfff
	v_ldexp_f32 v0, v0, v2
	v_cndmask_b32_e32 v0, 0, v0, vcc_lo
	v_cmp_nlt_f32_e32 vcc_lo, 0x42b17218, v11
	s_delay_alu instid0(VALU_DEP_2) | instskip(NEXT) | instid1(VALU_DEP_1)
	v_dual_mov_b32 v2, 0 :: v_dual_cndmask_b32 v11, 0x7f800000, v0
	v_lshlrev_b64 v[0:1], 1, v[1:2]
	s_delay_alu instid0(VALU_DEP_2) | instskip(NEXT) | instid1(VALU_DEP_2)
	v_cvt_f16_f32_e32 v2, v11
	v_add_co_u32 v11, vcc_lo, s4, v0
	s_delay_alu instid0(VALU_DEP_3) | instskip(SKIP_3) | instid1(SALU_CYCLE_1)
	v_add_co_ci_u32_e32 v12, vcc_lo, s5, v1, vcc_lo
	v_mov_b32_e32 v0, v10
	global_store_b16 v[11:12], v2, off
	s_or_b32 exec_lo, exec_lo, s0
	s_mov_b32 s0, exec_lo
	v_cmpx_gt_i32_e64 s8, v0
	s_cbranch_execz .LBB90_19
.LBB90_30:
	v_cmp_ngt_f32_e32 vcc_lo, 0xc2ce8ed0, v8
	v_mul_f32_e32 v1, 0x3fb8aa3b, v8
	s_delay_alu instid0(VALU_DEP_1) | instskip(SKIP_1) | instid1(VALU_DEP_1)
	v_rndne_f32_e32 v2, v1
	v_fma_f32 v10, 0x3fb8aa3b, v8, -v1
	v_dual_sub_f32 v1, v1, v2 :: v_dual_fmamk_f32 v10, v8, 0x32a5705f, v10
	v_cvt_i32_f32_e32 v2, v2
	s_delay_alu instid0(VALU_DEP_2) | instskip(NEXT) | instid1(VALU_DEP_1)
	v_add_f32_e32 v1, v1, v10
	v_exp_f32_e32 v1, v1
	s_waitcnt_depctr 0xfff
	v_ldexp_f32 v2, v1, v2
	v_add_nc_u32_e32 v1, s2, v0
	v_add_nc_u32_e32 v0, 0x100, v0
	s_delay_alu instid0(VALU_DEP_3) | instskip(SKIP_2) | instid1(VALU_DEP_2)
	v_cndmask_b32_e32 v10, 0, v2, vcc_lo
	v_mov_b32_e32 v2, 0
	v_cmp_nlt_f32_e32 vcc_lo, 0x42b17218, v8
	v_lshlrev_b64 v[1:2], 1, v[1:2]
	s_delay_alu instid0(VALU_DEP_4) | instskip(NEXT) | instid1(VALU_DEP_1)
	v_cndmask_b32_e32 v8, 0x7f800000, v10, vcc_lo
	v_cvt_f16_f32_e32 v8, v8
	s_delay_alu instid0(VALU_DEP_3) | instskip(NEXT) | instid1(VALU_DEP_4)
	v_add_co_u32 v1, vcc_lo, s4, v1
	v_add_co_ci_u32_e32 v2, vcc_lo, s5, v2, vcc_lo
	global_store_b16 v[1:2], v8, off
	s_or_b32 exec_lo, exec_lo, s0
	s_delay_alu instid0(SALU_CYCLE_1)
	s_mov_b32 s0, exec_lo
	v_cmpx_gt_i32_e64 s8, v0
	s_cbranch_execz .LBB90_20
.LBB90_31:
	v_cmp_ngt_f32_e32 vcc_lo, 0xc2ce8ed0, v9
	v_mul_f32_e32 v1, 0x3fb8aa3b, v9
	s_delay_alu instid0(VALU_DEP_1) | instskip(SKIP_1) | instid1(VALU_DEP_2)
	v_rndne_f32_e32 v2, v1
	v_fma_f32 v8, 0x3fb8aa3b, v9, -v1
	v_sub_f32_e32 v1, v1, v2
	s_delay_alu instid0(VALU_DEP_2) | instskip(SKIP_1) | instid1(VALU_DEP_2)
	v_fmamk_f32 v8, v9, 0x32a5705f, v8
	v_cvt_i32_f32_e32 v2, v2
	v_add_f32_e32 v1, v1, v8
	s_delay_alu instid0(VALU_DEP_1) | instskip(SKIP_4) | instid1(VALU_DEP_3)
	v_exp_f32_e32 v1, v1
	s_waitcnt_depctr 0xfff
	v_ldexp_f32 v2, v1, v2
	v_add_nc_u32_e32 v1, s2, v0
	v_add_nc_u32_e32 v0, 0x100, v0
	v_cndmask_b32_e32 v8, 0, v2, vcc_lo
	v_mov_b32_e32 v2, 0
	v_cmp_nlt_f32_e32 vcc_lo, 0x42b17218, v9
	s_delay_alu instid0(VALU_DEP_2) | instskip(NEXT) | instid1(VALU_DEP_4)
	v_lshlrev_b64 v[1:2], 1, v[1:2]
	v_cndmask_b32_e32 v8, 0x7f800000, v8, vcc_lo
	s_delay_alu instid0(VALU_DEP_1) | instskip(NEXT) | instid1(VALU_DEP_3)
	v_cvt_f16_f32_e32 v8, v8
	v_add_co_u32 v1, vcc_lo, s4, v1
	s_delay_alu instid0(VALU_DEP_4) | instskip(SKIP_2) | instid1(SALU_CYCLE_1)
	v_add_co_ci_u32_e32 v2, vcc_lo, s5, v2, vcc_lo
	global_store_b16 v[1:2], v8, off
	s_or_b32 exec_lo, exec_lo, s0
	s_mov_b32 s0, exec_lo
	v_cmpx_gt_i32_e64 s8, v0
	s_cbranch_execz .LBB90_21
.LBB90_32:
	v_mul_f32_e32 v1, 0x3fb8aa3b, v6
	v_cmp_ngt_f32_e32 vcc_lo, 0xc2ce8ed0, v6
	s_delay_alu instid0(VALU_DEP_2) | instskip(SKIP_1) | instid1(VALU_DEP_1)
	v_rndne_f32_e32 v2, v1
	v_fma_f32 v8, 0x3fb8aa3b, v6, -v1
	v_dual_sub_f32 v1, v1, v2 :: v_dual_fmamk_f32 v8, v6, 0x32a5705f, v8
	v_cvt_i32_f32_e32 v2, v2
	s_delay_alu instid0(VALU_DEP_2) | instskip(NEXT) | instid1(VALU_DEP_1)
	v_add_f32_e32 v1, v1, v8
	v_exp_f32_e32 v1, v1
	s_waitcnt_depctr 0xfff
	v_ldexp_f32 v2, v1, v2
	v_add_nc_u32_e32 v1, s2, v0
	v_add_nc_u32_e32 v0, 0x100, v0
	s_delay_alu instid0(VALU_DEP_3) | instskip(SKIP_2) | instid1(VALU_DEP_2)
	v_cndmask_b32_e32 v8, 0, v2, vcc_lo
	v_mov_b32_e32 v2, 0
	v_cmp_nlt_f32_e32 vcc_lo, 0x42b17218, v6
	v_lshlrev_b64 v[1:2], 1, v[1:2]
	s_delay_alu instid0(VALU_DEP_4) | instskip(NEXT) | instid1(VALU_DEP_1)
	v_cndmask_b32_e32 v6, 0x7f800000, v8, vcc_lo
	v_cvt_f16_f32_e32 v6, v6
	s_delay_alu instid0(VALU_DEP_3) | instskip(NEXT) | instid1(VALU_DEP_4)
	v_add_co_u32 v1, vcc_lo, s4, v1
	v_add_co_ci_u32_e32 v2, vcc_lo, s5, v2, vcc_lo
	global_store_b16 v[1:2], v6, off
	s_or_b32 exec_lo, exec_lo, s0
	s_delay_alu instid0(SALU_CYCLE_1)
	s_mov_b32 s0, exec_lo
	v_cmpx_gt_i32_e64 s8, v0
	s_cbranch_execz .LBB90_22
.LBB90_33:
	v_cmp_ngt_f32_e32 vcc_lo, 0xc2ce8ed0, v7
	v_mul_f32_e32 v1, 0x3fb8aa3b, v7
	s_delay_alu instid0(VALU_DEP_1) | instskip(SKIP_1) | instid1(VALU_DEP_1)
	v_rndne_f32_e32 v2, v1
	v_fma_f32 v6, 0x3fb8aa3b, v7, -v1
	v_dual_sub_f32 v1, v1, v2 :: v_dual_fmamk_f32 v6, v7, 0x32a5705f, v6
	v_cvt_i32_f32_e32 v2, v2
	s_delay_alu instid0(VALU_DEP_2) | instskip(NEXT) | instid1(VALU_DEP_1)
	v_add_f32_e32 v1, v1, v6
	v_exp_f32_e32 v1, v1
	s_waitcnt_depctr 0xfff
	v_ldexp_f32 v2, v1, v2
	v_add_nc_u32_e32 v1, s2, v0
	v_add_nc_u32_e32 v0, 0x100, v0
	s_delay_alu instid0(VALU_DEP_3) | instskip(SKIP_2) | instid1(VALU_DEP_2)
	v_cndmask_b32_e32 v6, 0, v2, vcc_lo
	v_mov_b32_e32 v2, 0
	v_cmp_nlt_f32_e32 vcc_lo, 0x42b17218, v7
	v_lshlrev_b64 v[1:2], 1, v[1:2]
	s_delay_alu instid0(VALU_DEP_4) | instskip(NEXT) | instid1(VALU_DEP_1)
	v_cndmask_b32_e32 v6, 0x7f800000, v6, vcc_lo
	v_cvt_f16_f32_e32 v6, v6
	s_delay_alu instid0(VALU_DEP_3) | instskip(NEXT) | instid1(VALU_DEP_4)
	v_add_co_u32 v1, vcc_lo, s4, v1
	v_add_co_ci_u32_e32 v2, vcc_lo, s5, v2, vcc_lo
	global_store_b16 v[1:2], v6, off
	s_or_b32 exec_lo, exec_lo, s0
	s_delay_alu instid0(SALU_CYCLE_1)
	s_mov_b32 s0, exec_lo
	v_cmpx_gt_i32_e64 s8, v0
	s_cbranch_execz .LBB90_23
.LBB90_34:
	v_cmp_ngt_f32_e32 vcc_lo, 0xc2ce8ed0, v4
	v_mul_f32_e32 v1, 0x3fb8aa3b, v4
	s_delay_alu instid0(VALU_DEP_1) | instskip(SKIP_1) | instid1(VALU_DEP_1)
	v_rndne_f32_e32 v2, v1
	v_fma_f32 v6, 0x3fb8aa3b, v4, -v1
	v_dual_sub_f32 v1, v1, v2 :: v_dual_fmamk_f32 v6, v4, 0x32a5705f, v6
	v_cvt_i32_f32_e32 v2, v2
	s_delay_alu instid0(VALU_DEP_2) | instskip(NEXT) | instid1(VALU_DEP_1)
	v_add_f32_e32 v1, v1, v6
	v_exp_f32_e32 v1, v1
	s_waitcnt_depctr 0xfff
	v_ldexp_f32 v2, v1, v2
	v_add_nc_u32_e32 v1, s2, v0
	v_add_nc_u32_e32 v0, 0x100, v0
	s_delay_alu instid0(VALU_DEP_3) | instskip(SKIP_2) | instid1(VALU_DEP_2)
	v_cndmask_b32_e32 v6, 0, v2, vcc_lo
	v_mov_b32_e32 v2, 0
	v_cmp_nlt_f32_e32 vcc_lo, 0x42b17218, v4
	v_lshlrev_b64 v[1:2], 1, v[1:2]
	s_delay_alu instid0(VALU_DEP_4) | instskip(NEXT) | instid1(VALU_DEP_1)
	v_cndmask_b32_e32 v4, 0x7f800000, v6, vcc_lo
	v_cvt_f16_f32_e32 v4, v4
	s_delay_alu instid0(VALU_DEP_3) | instskip(NEXT) | instid1(VALU_DEP_4)
	v_add_co_u32 v1, vcc_lo, s4, v1
	v_add_co_ci_u32_e32 v2, vcc_lo, s5, v2, vcc_lo
	global_store_b16 v[1:2], v4, off
	s_or_b32 exec_lo, exec_lo, s0
	s_delay_alu instid0(SALU_CYCLE_1)
	s_mov_b32 s0, exec_lo
	v_cmpx_gt_i32_e64 s8, v0
	s_cbranch_execz .LBB90_24
.LBB90_35:
	v_cmp_ngt_f32_e32 vcc_lo, 0xc2ce8ed0, v5
	v_mul_f32_e32 v1, 0x3fb8aa3b, v5
	s_delay_alu instid0(VALU_DEP_1) | instskip(SKIP_1) | instid1(VALU_DEP_2)
	v_rndne_f32_e32 v2, v1
	v_fma_f32 v4, 0x3fb8aa3b, v5, -v1
	v_sub_f32_e32 v1, v1, v2
	s_delay_alu instid0(VALU_DEP_2) | instskip(SKIP_1) | instid1(VALU_DEP_2)
	v_fmamk_f32 v4, v5, 0x32a5705f, v4
	v_cvt_i32_f32_e32 v2, v2
	v_add_f32_e32 v1, v1, v4
	s_delay_alu instid0(VALU_DEP_1) | instskip(SKIP_4) | instid1(VALU_DEP_3)
	v_exp_f32_e32 v1, v1
	s_waitcnt_depctr 0xfff
	v_ldexp_f32 v2, v1, v2
	v_add_nc_u32_e32 v1, s2, v0
	v_add_nc_u32_e32 v0, 0x100, v0
	v_cndmask_b32_e32 v4, 0, v2, vcc_lo
	v_mov_b32_e32 v2, 0
	v_cmp_nlt_f32_e32 vcc_lo, 0x42b17218, v5
	s_delay_alu instid0(VALU_DEP_2) | instskip(NEXT) | instid1(VALU_DEP_4)
	v_lshlrev_b64 v[1:2], 1, v[1:2]
	v_cndmask_b32_e32 v4, 0x7f800000, v4, vcc_lo
	s_delay_alu instid0(VALU_DEP_1) | instskip(NEXT) | instid1(VALU_DEP_3)
	v_cvt_f16_f32_e32 v4, v4
	v_add_co_u32 v1, vcc_lo, s4, v1
	s_delay_alu instid0(VALU_DEP_4) | instskip(SKIP_2) | instid1(SALU_CYCLE_1)
	v_add_co_ci_u32_e32 v2, vcc_lo, s5, v2, vcc_lo
	global_store_b16 v[1:2], v4, off
	s_or_b32 exec_lo, exec_lo, s0
	s_mov_b32 s0, exec_lo
	v_cmpx_gt_i32_e64 s8, v0
	s_cbranch_execnz .LBB90_25
	s_branch .LBB90_26
	.section	.rodata,"a",@progbits
	.p2align	6, 0x0
	.amdhsa_kernel _ZN2at6native29vectorized_elementwise_kernelILi16EZZZNS0_15exp_kernel_cudaERNS_18TensorIteratorBaseEENKUlvE0_clEvENKUlvE1_clEvEUlN3c104HalfEE_St5arrayIPcLm2EEEEviT0_T1_
		.amdhsa_group_segment_fixed_size 0
		.amdhsa_private_segment_fixed_size 0
		.amdhsa_kernarg_size 24
		.amdhsa_user_sgpr_count 15
		.amdhsa_user_sgpr_dispatch_ptr 0
		.amdhsa_user_sgpr_queue_ptr 0
		.amdhsa_user_sgpr_kernarg_segment_ptr 1
		.amdhsa_user_sgpr_dispatch_id 0
		.amdhsa_user_sgpr_private_segment_size 0
		.amdhsa_wavefront_size32 1
		.amdhsa_uses_dynamic_stack 0
		.amdhsa_enable_private_segment 0
		.amdhsa_system_sgpr_workgroup_id_x 1
		.amdhsa_system_sgpr_workgroup_id_y 0
		.amdhsa_system_sgpr_workgroup_id_z 0
		.amdhsa_system_sgpr_workgroup_info 0
		.amdhsa_system_vgpr_workitem_id 0
		.amdhsa_next_free_vgpr 38
		.amdhsa_next_free_sgpr 16
		.amdhsa_reserve_vcc 1
		.amdhsa_float_round_mode_32 0
		.amdhsa_float_round_mode_16_64 0
		.amdhsa_float_denorm_mode_32 3
		.amdhsa_float_denorm_mode_16_64 3
		.amdhsa_dx10_clamp 1
		.amdhsa_ieee_mode 1
		.amdhsa_fp16_overflow 0
		.amdhsa_workgroup_processor_mode 1
		.amdhsa_memory_ordered 1
		.amdhsa_forward_progress 0
		.amdhsa_shared_vgpr_count 0
		.amdhsa_exception_fp_ieee_invalid_op 0
		.amdhsa_exception_fp_denorm_src 0
		.amdhsa_exception_fp_ieee_div_zero 0
		.amdhsa_exception_fp_ieee_overflow 0
		.amdhsa_exception_fp_ieee_underflow 0
		.amdhsa_exception_fp_ieee_inexact 0
		.amdhsa_exception_int_div_zero 0
	.end_amdhsa_kernel
	.section	.text._ZN2at6native29vectorized_elementwise_kernelILi16EZZZNS0_15exp_kernel_cudaERNS_18TensorIteratorBaseEENKUlvE0_clEvENKUlvE1_clEvEUlN3c104HalfEE_St5arrayIPcLm2EEEEviT0_T1_,"axG",@progbits,_ZN2at6native29vectorized_elementwise_kernelILi16EZZZNS0_15exp_kernel_cudaERNS_18TensorIteratorBaseEENKUlvE0_clEvENKUlvE1_clEvEUlN3c104HalfEE_St5arrayIPcLm2EEEEviT0_T1_,comdat
.Lfunc_end90:
	.size	_ZN2at6native29vectorized_elementwise_kernelILi16EZZZNS0_15exp_kernel_cudaERNS_18TensorIteratorBaseEENKUlvE0_clEvENKUlvE1_clEvEUlN3c104HalfEE_St5arrayIPcLm2EEEEviT0_T1_, .Lfunc_end90-_ZN2at6native29vectorized_elementwise_kernelILi16EZZZNS0_15exp_kernel_cudaERNS_18TensorIteratorBaseEENKUlvE0_clEvENKUlvE1_clEvEUlN3c104HalfEE_St5arrayIPcLm2EEEEviT0_T1_
                                        ; -- End function
	.section	.AMDGPU.csdata,"",@progbits
; Kernel info:
; codeLenInByte = 3244
; NumSgprs: 18
; NumVgprs: 38
; ScratchSize: 0
; MemoryBound: 0
; FloatMode: 240
; IeeeMode: 1
; LDSByteSize: 0 bytes/workgroup (compile time only)
; SGPRBlocks: 2
; VGPRBlocks: 4
; NumSGPRsForWavesPerEU: 18
; NumVGPRsForWavesPerEU: 38
; Occupancy: 16
; WaveLimiterHint : 0
; COMPUTE_PGM_RSRC2:SCRATCH_EN: 0
; COMPUTE_PGM_RSRC2:USER_SGPR: 15
; COMPUTE_PGM_RSRC2:TRAP_HANDLER: 0
; COMPUTE_PGM_RSRC2:TGID_X_EN: 1
; COMPUTE_PGM_RSRC2:TGID_Y_EN: 0
; COMPUTE_PGM_RSRC2:TGID_Z_EN: 0
; COMPUTE_PGM_RSRC2:TIDIG_COMP_CNT: 0
	.section	.text._ZN2at6native29vectorized_elementwise_kernelILi8EZZZNS0_15exp_kernel_cudaERNS_18TensorIteratorBaseEENKUlvE0_clEvENKUlvE1_clEvEUlN3c104HalfEE_St5arrayIPcLm2EEEEviT0_T1_,"axG",@progbits,_ZN2at6native29vectorized_elementwise_kernelILi8EZZZNS0_15exp_kernel_cudaERNS_18TensorIteratorBaseEENKUlvE0_clEvENKUlvE1_clEvEUlN3c104HalfEE_St5arrayIPcLm2EEEEviT0_T1_,comdat
	.globl	_ZN2at6native29vectorized_elementwise_kernelILi8EZZZNS0_15exp_kernel_cudaERNS_18TensorIteratorBaseEENKUlvE0_clEvENKUlvE1_clEvEUlN3c104HalfEE_St5arrayIPcLm2EEEEviT0_T1_ ; -- Begin function _ZN2at6native29vectorized_elementwise_kernelILi8EZZZNS0_15exp_kernel_cudaERNS_18TensorIteratorBaseEENKUlvE0_clEvENKUlvE1_clEvEUlN3c104HalfEE_St5arrayIPcLm2EEEEviT0_T1_
	.p2align	8
	.type	_ZN2at6native29vectorized_elementwise_kernelILi8EZZZNS0_15exp_kernel_cudaERNS_18TensorIteratorBaseEENKUlvE0_clEvENKUlvE1_clEvEUlN3c104HalfEE_St5arrayIPcLm2EEEEviT0_T1_,@function
_ZN2at6native29vectorized_elementwise_kernelILi8EZZZNS0_15exp_kernel_cudaERNS_18TensorIteratorBaseEENKUlvE0_clEvENKUlvE1_clEvEUlN3c104HalfEE_St5arrayIPcLm2EEEEviT0_T1_: ; @_ZN2at6native29vectorized_elementwise_kernelILi8EZZZNS0_15exp_kernel_cudaERNS_18TensorIteratorBaseEENKUlvE0_clEvENKUlvE1_clEvEUlN3c104HalfEE_St5arrayIPcLm2EEEEviT0_T1_
; %bb.0:
	s_clause 0x1
	s_load_b32 s3, s[0:1], 0x0
	s_load_b128 s[4:7], s[0:1], 0x8
	s_lshl_b32 s2, s15, 11
	s_mov_b32 s0, -1
	s_waitcnt lgkmcnt(0)
	s_sub_i32 s8, s3, s2
	s_delay_alu instid0(SALU_CYCLE_1)
	s_cmpk_gt_i32 s8, 0x7ff
	s_cbranch_scc0 .LBB91_2
; %bb.1:
	s_ashr_i32 s3, s2, 31
	v_lshlrev_b32_e32 v5, 4, v0
	s_lshl_b64 s[0:1], s[2:3], 1
	s_mov_b32 s3, 0x3fb8aa3b
	s_add_u32 s10, s6, s0
	s_addc_u32 s11, s7, s1
	s_mov_b32 s9, 0x32a5705f
	global_load_b128 v[1:4], v5, s[10:11]
	s_add_u32 s10, s4, s0
	s_addc_u32 s11, s5, s1
	s_mov_b32 s0, 0
	s_waitcnt vmcnt(0)
	v_cvt_f32_f16_e32 v9, v1
	v_lshrrev_b32_e32 v6, 16, v1
	v_lshrrev_b32_e32 v10, 16, v4
	v_cvt_f32_f16_e32 v11, v2
	v_cvt_f32_f16_e32 v13, v4
	v_mul_f32_e32 v14, 0x3fb8aa3b, v9
	v_lshrrev_b32_e32 v7, 16, v2
	v_cvt_f32_f16_e32 v12, v3
	v_cvt_f32_f16_e32 v6, v6
	v_mul_f32_e32 v15, 0x3fb8aa3b, v11
	v_mul_f32_e32 v17, 0x3fb8aa3b, v13
	v_cvt_f32_f16_e32 v10, v10
	v_fma_mix_f32 v18, v1, s3, -v14 op_sel_hi:[1,0,0]
	v_mul_f32_e32 v20, 0x3fb8aa3b, v6
	v_rndne_f32_e32 v19, v14
	v_lshrrev_b32_e32 v8, 16, v3
	v_cvt_f32_f16_e32 v7, v7
	v_mul_f32_e32 v16, 0x3fb8aa3b, v12
	v_fma_mix_f32 v21, v2, s3, -v15 op_sel_hi:[1,0,0]
	v_rndne_f32_e32 v22, v15
	v_rndne_f32_e32 v28, v17
	v_dual_mul_f32 v29, 0x3fb8aa3b, v10 :: v_dual_sub_f32 v14, v14, v19
	v_fma_mix_f32 v18, v1, s9, v18 op_sel_hi:[1,0,0]
	v_cvt_f32_f16_e32 v8, v8
	v_mul_f32_e32 v23, 0x3fb8aa3b, v7
	v_fma_mix_f32 v24, v3, s3, -v16 op_sel_hi:[1,0,0]
	v_rndne_f32_e32 v25, v16
	v_fma_mix_f32 v27, v4, s3, -v17 op_sel_hi:[1,0,0]
	v_mul_f32_e32 v26, 0x3fb8aa3b, v8
	v_rndne_f32_e32 v31, v20
	v_fma_mix_f32 v21, v2, s9, v21 op_sel_hi:[1,0,0]
	v_dual_sub_f32 v15, v15, v22 :: v_dual_sub_f32 v16, v16, v25
	v_dual_sub_f32 v17, v17, v28 :: v_dual_add_f32 v14, v14, v18
	v_rndne_f32_e32 v33, v23
	v_fma_mix_f32 v24, v3, s9, v24 op_sel_hi:[1,0,0]
	s_delay_alu instid0(VALU_DEP_4) | instskip(NEXT) | instid1(VALU_DEP_4)
	v_dual_sub_f32 v18, v20, v31 :: v_dual_add_f32 v15, v15, v21
	v_exp_f32_e32 v14, v14
	v_cvt_i32_f32_e32 v19, v19
	v_fma_mix_f32 v30, v1, s3, -v20 op_sel:[1,0,0] op_sel_hi:[1,0,0]
	v_fma_mix_f32 v32, v2, s3, -v23 op_sel:[1,0,0] op_sel_hi:[1,0,0]
	;; [unrolled: 1-line block ×3, first 2 shown]
	v_rndne_f32_e32 v35, v26
	v_fma_mix_f32 v27, v4, s9, v27 op_sel_hi:[1,0,0]
	v_fma_mix_f32 v36, v4, s3, -v29 op_sel:[1,0,0] op_sel_hi:[1,0,0]
	v_rndne_f32_e32 v37, v29
	v_dual_sub_f32 v21, v23, v33 :: v_dual_add_f32 v16, v16, v24
	v_exp_f32_e32 v15, v15
	v_cvt_i32_f32_e32 v22, v22
	v_fma_mix_f32 v1, v1, s9, v30 op_sel:[1,0,0] op_sel_hi:[1,0,0]
	v_fma_mix_f32 v2, v2, s9, v32 op_sel:[1,0,0] op_sel_hi:[1,0,0]
	;; [unrolled: 1-line block ×3, first 2 shown]
	v_sub_f32_e32 v24, v26, v35
	v_fma_mix_f32 v4, v4, s9, v36 op_sel:[1,0,0] op_sel_hi:[1,0,0]
	v_add_f32_e32 v17, v17, v27
	v_sub_f32_e32 v27, v29, v37
	v_exp_f32_e32 v16, v16
	v_ldexp_f32 v14, v14, v19
	v_cmp_ngt_f32_e32 vcc_lo, 0xc2ce8ed0, v9
	v_cvt_i32_f32_e32 v25, v25
	v_dual_add_f32 v4, v27, v4 :: v_dual_add_f32 v1, v18, v1
	v_dual_add_f32 v2, v21, v2 :: v_dual_add_f32 v3, v24, v3
	v_cndmask_b32_e32 v14, 0, v14, vcc_lo
	v_exp_f32_e32 v17, v17
	v_ldexp_f32 v15, v15, v22
	v_cmp_ngt_f32_e32 vcc_lo, 0xc2ce8ed0, v11
	v_cvt_i32_f32_e32 v28, v28
	v_exp_f32_e32 v2, v2
	v_ldexp_f32 v16, v16, v25
	v_cvt_i32_f32_e32 v23, v33
	v_cndmask_b32_e32 v15, 0, v15, vcc_lo
	v_cmp_ngt_f32_e32 vcc_lo, 0xc2ce8ed0, v12
	v_exp_f32_e32 v1, v1
	v_ldexp_f32 v17, v17, v28
	v_cvt_i32_f32_e32 v20, v31
	v_exp_f32_e32 v4, v4
	v_cndmask_b32_e32 v16, 0, v16, vcc_lo
	v_cmp_ngt_f32_e32 vcc_lo, 0xc2ce8ed0, v13
	v_ldexp_f32 v2, v2, v23
	v_cvt_i32_f32_e32 v18, v37
	v_exp_f32_e32 v3, v3
	v_cvt_i32_f32_e32 v26, v35
	v_cndmask_b32_e32 v17, 0, v17, vcc_lo
	v_cmp_nlt_f32_e32 vcc_lo, 0x42b17218, v9
	v_ldexp_f32 v1, v1, v20
	v_ldexp_f32 v4, v4, v18
	v_cndmask_b32_e32 v9, 0x7f800000, v14, vcc_lo
	v_cmp_ngt_f32_e32 vcc_lo, 0xc2ce8ed0, v6
	s_delay_alu instid0(TRANS32_DEP_1) | instskip(NEXT) | instid1(VALU_DEP_3)
	v_ldexp_f32 v3, v3, v26
	v_cvt_f16_f32_e32 v9, v9
	v_cndmask_b32_e32 v1, 0, v1, vcc_lo
	v_cmp_nlt_f32_e32 vcc_lo, 0x42b17218, v11
	v_cndmask_b32_e32 v11, 0x7f800000, v15, vcc_lo
	v_cmp_ngt_f32_e32 vcc_lo, 0xc2ce8ed0, v7
	v_cndmask_b32_e32 v2, 0, v2, vcc_lo
	v_cmp_nlt_f32_e32 vcc_lo, 0x42b17218, v12
	v_cndmask_b32_e32 v12, 0x7f800000, v16, vcc_lo
	v_cmp_ngt_f32_e32 vcc_lo, 0xc2ce8ed0, v8
	;; [unrolled: 4-line block ×3, first 2 shown]
	v_cndmask_b32_e32 v4, 0, v4, vcc_lo
	v_cmp_nlt_f32_e32 vcc_lo, 0x42b17218, v6
	v_cvt_f16_f32_e32 v6, v11
	v_cndmask_b32_e32 v1, 0x7f800000, v1, vcc_lo
	v_cmp_nlt_f32_e32 vcc_lo, 0x42b17218, v8
	v_cvt_f16_f32_e32 v8, v13
	s_delay_alu instid0(VALU_DEP_3) | instskip(SKIP_2) | instid1(VALU_DEP_3)
	v_cvt_f16_f32_e32 v1, v1
	v_cndmask_b32_e32 v3, 0x7f800000, v3, vcc_lo
	v_cmp_nlt_f32_e32 vcc_lo, 0x42b17218, v10
	v_pack_b32_f16 v1, v9, v1
	s_delay_alu instid0(VALU_DEP_3) | instskip(SKIP_3) | instid1(VALU_DEP_3)
	v_cvt_f16_f32_e32 v3, v3
	v_cndmask_b32_e32 v4, 0x7f800000, v4, vcc_lo
	v_cmp_nlt_f32_e32 vcc_lo, 0x42b17218, v7
	v_cvt_f16_f32_e32 v7, v12
	v_cvt_f16_f32_e32 v4, v4
	v_cndmask_b32_e32 v2, 0x7f800000, v2, vcc_lo
	s_delay_alu instid0(VALU_DEP_3) | instskip(NEXT) | instid1(VALU_DEP_3)
	v_pack_b32_f16 v3, v7, v3
	v_pack_b32_f16 v4, v8, v4
	s_delay_alu instid0(VALU_DEP_3) | instskip(NEXT) | instid1(VALU_DEP_1)
	v_cvt_f16_f32_e32 v2, v2
	v_pack_b32_f16 v2, v6, v2
	global_store_b128 v5, v[1:4], s[10:11]
.LBB91_2:
	s_and_not1_b32 vcc_lo, exec_lo, s0
	s_cbranch_vccnz .LBB91_26
; %bb.3:
	v_cmp_gt_i32_e32 vcc_lo, s8, v0
	v_dual_mov_b32 v8, 0 :: v_dual_mov_b32 v11, 0
	v_or_b32_e32 v1, s2, v0
	v_or_b32_e32 v10, 0x100, v0
	v_mov_b32_e32 v2, v0
	s_and_saveexec_b32 s1, vcc_lo
	s_cbranch_execz .LBB91_5
; %bb.4:
	v_mov_b32_e32 v2, 0
	s_delay_alu instid0(VALU_DEP_1) | instskip(NEXT) | instid1(VALU_DEP_1)
	v_lshlrev_b64 v[2:3], 1, v[1:2]
	v_add_co_u32 v2, s0, s6, v2
	s_delay_alu instid0(VALU_DEP_1)
	v_add_co_ci_u32_e64 v3, s0, s7, v3, s0
	global_load_u16 v3, v[2:3], off
	v_or_b32_e32 v2, 0x100, v0
	s_waitcnt vmcnt(0)
	v_cvt_f32_f16_e32 v11, v3
.LBB91_5:
	s_or_b32 exec_lo, exec_lo, s1
	s_delay_alu instid0(SALU_CYCLE_1)
	s_mov_b32 s1, exec_lo
	v_cmpx_gt_i32_e64 s8, v2
	s_cbranch_execz .LBB91_7
; %bb.6:
	v_dual_mov_b32 v4, 0 :: v_dual_add_nc_u32 v3, s2, v2
	v_add_nc_u32_e32 v2, 0x100, v2
	s_delay_alu instid0(VALU_DEP_2) | instskip(NEXT) | instid1(VALU_DEP_1)
	v_lshlrev_b64 v[3:4], 1, v[3:4]
	v_add_co_u32 v3, s0, s6, v3
	s_delay_alu instid0(VALU_DEP_1)
	v_add_co_ci_u32_e64 v4, s0, s7, v4, s0
	global_load_u16 v3, v[3:4], off
	s_waitcnt vmcnt(0)
	v_cvt_f32_f16_e32 v8, v3
.LBB91_7:
	s_or_b32 exec_lo, exec_lo, s1
	v_dual_mov_b32 v6, 0 :: v_dual_mov_b32 v9, 0
	s_mov_b32 s1, exec_lo
	v_cmpx_gt_i32_e64 s8, v2
	s_cbranch_execz .LBB91_9
; %bb.8:
	v_dual_mov_b32 v4, 0 :: v_dual_add_nc_u32 v3, s2, v2
	v_add_nc_u32_e32 v2, 0x100, v2
	s_delay_alu instid0(VALU_DEP_2) | instskip(NEXT) | instid1(VALU_DEP_1)
	v_lshlrev_b64 v[3:4], 1, v[3:4]
	v_add_co_u32 v3, s0, s6, v3
	s_delay_alu instid0(VALU_DEP_1)
	v_add_co_ci_u32_e64 v4, s0, s7, v4, s0
	global_load_u16 v3, v[3:4], off
	s_waitcnt vmcnt(0)
	v_cvt_f32_f16_e32 v9, v3
.LBB91_9:
	s_or_b32 exec_lo, exec_lo, s1
	s_delay_alu instid0(SALU_CYCLE_1)
	s_mov_b32 s1, exec_lo
	v_cmpx_gt_i32_e64 s8, v2
	s_cbranch_execz .LBB91_11
; %bb.10:
	v_dual_mov_b32 v4, 0 :: v_dual_add_nc_u32 v3, s2, v2
	v_add_nc_u32_e32 v2, 0x100, v2
	s_delay_alu instid0(VALU_DEP_2) | instskip(NEXT) | instid1(VALU_DEP_1)
	v_lshlrev_b64 v[3:4], 1, v[3:4]
	v_add_co_u32 v3, s0, s6, v3
	s_delay_alu instid0(VALU_DEP_1)
	v_add_co_ci_u32_e64 v4, s0, s7, v4, s0
	global_load_u16 v3, v[3:4], off
	s_waitcnt vmcnt(0)
	v_cvt_f32_f16_e32 v6, v3
.LBB91_11:
	s_or_b32 exec_lo, exec_lo, s1
	v_dual_mov_b32 v4, 0 :: v_dual_mov_b32 v7, 0
	s_mov_b32 s1, exec_lo
	v_cmpx_gt_i32_e64 s8, v2
	s_cbranch_execz .LBB91_13
; %bb.12:
	v_dual_mov_b32 v13, 0 :: v_dual_add_nc_u32 v12, s2, v2
	v_add_nc_u32_e32 v2, 0x100, v2
	s_delay_alu instid0(VALU_DEP_2) | instskip(NEXT) | instid1(VALU_DEP_1)
	v_lshlrev_b64 v[12:13], 1, v[12:13]
	v_add_co_u32 v12, s0, s6, v12
	s_delay_alu instid0(VALU_DEP_1)
	v_add_co_ci_u32_e64 v13, s0, s7, v13, s0
	global_load_u16 v3, v[12:13], off
	s_waitcnt vmcnt(0)
	v_cvt_f32_f16_e32 v7, v3
.LBB91_13:
	s_or_b32 exec_lo, exec_lo, s1
	s_delay_alu instid0(SALU_CYCLE_1)
	s_mov_b32 s1, exec_lo
	v_cmpx_gt_i32_e64 s8, v2
	s_cbranch_execz .LBB91_15
; %bb.14:
	v_dual_mov_b32 v4, 0 :: v_dual_add_nc_u32 v3, s2, v2
	v_add_nc_u32_e32 v2, 0x100, v2
	s_delay_alu instid0(VALU_DEP_2) | instskip(NEXT) | instid1(VALU_DEP_1)
	v_lshlrev_b64 v[3:4], 1, v[3:4]
	v_add_co_u32 v3, s0, s6, v3
	s_delay_alu instid0(VALU_DEP_1)
	v_add_co_ci_u32_e64 v4, s0, s7, v4, s0
	global_load_u16 v3, v[3:4], off
	s_waitcnt vmcnt(0)
	v_cvt_f32_f16_e32 v4, v3
.LBB91_15:
	s_or_b32 exec_lo, exec_lo, s1
	v_mov_b32_e32 v3, 0
	v_mov_b32_e32 v5, 0
	s_mov_b32 s1, exec_lo
	v_cmpx_gt_i32_e64 s8, v2
	s_cbranch_execnz .LBB91_27
; %bb.16:
	s_or_b32 exec_lo, exec_lo, s1
	s_delay_alu instid0(SALU_CYCLE_1)
	s_mov_b32 s1, exec_lo
	v_cmpx_gt_i32_e64 s8, v2
	s_cbranch_execnz .LBB91_28
.LBB91_17:
	s_or_b32 exec_lo, exec_lo, s1
	s_and_saveexec_b32 s0, vcc_lo
	s_cbranch_execnz .LBB91_29
.LBB91_18:
	s_or_b32 exec_lo, exec_lo, s0
	s_delay_alu instid0(SALU_CYCLE_1)
	s_mov_b32 s0, exec_lo
	v_cmpx_gt_i32_e64 s8, v0
	s_cbranch_execnz .LBB91_30
.LBB91_19:
	s_or_b32 exec_lo, exec_lo, s0
	s_delay_alu instid0(SALU_CYCLE_1)
	s_mov_b32 s0, exec_lo
	v_cmpx_gt_i32_e64 s8, v0
	s_cbranch_execnz .LBB91_31
.LBB91_20:
	s_or_b32 exec_lo, exec_lo, s0
	s_delay_alu instid0(SALU_CYCLE_1)
	s_mov_b32 s0, exec_lo
	v_cmpx_gt_i32_e64 s8, v0
	s_cbranch_execnz .LBB91_32
.LBB91_21:
	s_or_b32 exec_lo, exec_lo, s0
	s_delay_alu instid0(SALU_CYCLE_1)
	s_mov_b32 s0, exec_lo
	v_cmpx_gt_i32_e64 s8, v0
	s_cbranch_execnz .LBB91_33
.LBB91_22:
	s_or_b32 exec_lo, exec_lo, s0
	s_delay_alu instid0(SALU_CYCLE_1)
	s_mov_b32 s0, exec_lo
	v_cmpx_gt_i32_e64 s8, v0
	s_cbranch_execnz .LBB91_34
.LBB91_23:
	s_or_b32 exec_lo, exec_lo, s0
	s_delay_alu instid0(SALU_CYCLE_1)
	s_mov_b32 s0, exec_lo
	v_cmpx_gt_i32_e64 s8, v0
	s_cbranch_execnz .LBB91_35
.LBB91_24:
	s_or_b32 exec_lo, exec_lo, s0
	s_delay_alu instid0(SALU_CYCLE_1)
	s_mov_b32 s0, exec_lo
	v_cmpx_gt_i32_e64 s8, v0
	s_cbranch_execz .LBB91_26
.LBB91_25:
	v_dual_mul_f32 v1, 0x3fb8aa3b, v3 :: v_dual_add_nc_u32 v0, s2, v0
	v_cmp_ngt_f32_e32 vcc_lo, 0xc2ce8ed0, v3
	s_delay_alu instid0(VALU_DEP_2) | instskip(SKIP_1) | instid1(VALU_DEP_1)
	v_rndne_f32_e32 v2, v1
	v_fma_f32 v4, 0x3fb8aa3b, v3, -v1
	v_dual_sub_f32 v1, v1, v2 :: v_dual_fmamk_f32 v4, v3, 0x32a5705f, v4
	v_cvt_i32_f32_e32 v2, v2
	s_delay_alu instid0(VALU_DEP_2) | instskip(NEXT) | instid1(VALU_DEP_1)
	v_add_f32_e32 v1, v1, v4
	v_exp_f32_e32 v1, v1
	s_waitcnt_depctr 0xfff
	v_ldexp_f32 v1, v1, v2
	s_delay_alu instid0(VALU_DEP_1) | instskip(SKIP_1) | instid1(VALU_DEP_2)
	v_dual_cndmask_b32 v2, 0, v1 :: v_dual_mov_b32 v1, 0
	v_cmp_nlt_f32_e32 vcc_lo, 0x42b17218, v3
	v_lshlrev_b64 v[0:1], 1, v[0:1]
	s_delay_alu instid0(VALU_DEP_3) | instskip(NEXT) | instid1(VALU_DEP_1)
	v_cndmask_b32_e32 v2, 0x7f800000, v2, vcc_lo
	v_cvt_f16_f32_e32 v2, v2
	s_delay_alu instid0(VALU_DEP_3) | instskip(NEXT) | instid1(VALU_DEP_4)
	v_add_co_u32 v0, vcc_lo, s4, v0
	v_add_co_ci_u32_e32 v1, vcc_lo, s5, v1, vcc_lo
	global_store_b16 v[0:1], v2, off
.LBB91_26:
	s_nop 0
	s_sendmsg sendmsg(MSG_DEALLOC_VGPRS)
	s_endpgm
.LBB91_27:
	v_dual_mov_b32 v13, 0 :: v_dual_add_nc_u32 v12, s2, v2
	v_add_nc_u32_e32 v2, 0x100, v2
	s_delay_alu instid0(VALU_DEP_2) | instskip(NEXT) | instid1(VALU_DEP_1)
	v_lshlrev_b64 v[12:13], 1, v[12:13]
	v_add_co_u32 v12, s0, s6, v12
	s_delay_alu instid0(VALU_DEP_1) | instskip(SKIP_4) | instid1(SALU_CYCLE_1)
	v_add_co_ci_u32_e64 v13, s0, s7, v13, s0
	global_load_u16 v5, v[12:13], off
	s_waitcnt vmcnt(0)
	v_cvt_f32_f16_e32 v5, v5
	s_or_b32 exec_lo, exec_lo, s1
	s_mov_b32 s1, exec_lo
	v_cmpx_gt_i32_e64 s8, v2
	s_cbranch_execz .LBB91_17
.LBB91_28:
	v_dual_mov_b32 v3, 0 :: v_dual_add_nc_u32 v2, s2, v2
	s_delay_alu instid0(VALU_DEP_1) | instskip(NEXT) | instid1(VALU_DEP_1)
	v_lshlrev_b64 v[2:3], 1, v[2:3]
	v_add_co_u32 v2, s0, s6, v2
	s_delay_alu instid0(VALU_DEP_1)
	v_add_co_ci_u32_e64 v3, s0, s7, v3, s0
	global_load_u16 v2, v[2:3], off
	s_waitcnt vmcnt(0)
	v_cvt_f32_f16_e32 v3, v2
	s_or_b32 exec_lo, exec_lo, s1
	s_and_saveexec_b32 s0, vcc_lo
	s_cbranch_execz .LBB91_18
.LBB91_29:
	v_mul_f32_e32 v0, 0x3fb8aa3b, v11
	v_cmp_ngt_f32_e32 vcc_lo, 0xc2ce8ed0, v11
	s_delay_alu instid0(VALU_DEP_2) | instskip(SKIP_1) | instid1(VALU_DEP_2)
	v_rndne_f32_e32 v2, v0
	v_fma_f32 v12, 0x3fb8aa3b, v11, -v0
	v_sub_f32_e32 v0, v0, v2
	s_delay_alu instid0(VALU_DEP_2) | instskip(SKIP_1) | instid1(VALU_DEP_2)
	v_fmamk_f32 v12, v11, 0x32a5705f, v12
	v_cvt_i32_f32_e32 v2, v2
	v_add_f32_e32 v0, v0, v12
	s_delay_alu instid0(VALU_DEP_1) | instskip(SKIP_2) | instid1(VALU_DEP_1)
	v_exp_f32_e32 v0, v0
	s_waitcnt_depctr 0xfff
	v_ldexp_f32 v0, v0, v2
	v_cndmask_b32_e32 v0, 0, v0, vcc_lo
	v_cmp_nlt_f32_e32 vcc_lo, 0x42b17218, v11
	s_delay_alu instid0(VALU_DEP_2) | instskip(NEXT) | instid1(VALU_DEP_1)
	v_dual_mov_b32 v2, 0 :: v_dual_cndmask_b32 v11, 0x7f800000, v0
	v_lshlrev_b64 v[0:1], 1, v[1:2]
	s_delay_alu instid0(VALU_DEP_2) | instskip(NEXT) | instid1(VALU_DEP_2)
	v_cvt_f16_f32_e32 v2, v11
	v_add_co_u32 v11, vcc_lo, s4, v0
	s_delay_alu instid0(VALU_DEP_3) | instskip(SKIP_3) | instid1(SALU_CYCLE_1)
	v_add_co_ci_u32_e32 v12, vcc_lo, s5, v1, vcc_lo
	v_mov_b32_e32 v0, v10
	global_store_b16 v[11:12], v2, off
	s_or_b32 exec_lo, exec_lo, s0
	s_mov_b32 s0, exec_lo
	v_cmpx_gt_i32_e64 s8, v0
	s_cbranch_execz .LBB91_19
.LBB91_30:
	v_cmp_ngt_f32_e32 vcc_lo, 0xc2ce8ed0, v8
	v_mul_f32_e32 v1, 0x3fb8aa3b, v8
	s_delay_alu instid0(VALU_DEP_1) | instskip(SKIP_1) | instid1(VALU_DEP_1)
	v_rndne_f32_e32 v2, v1
	v_fma_f32 v10, 0x3fb8aa3b, v8, -v1
	v_dual_sub_f32 v1, v1, v2 :: v_dual_fmamk_f32 v10, v8, 0x32a5705f, v10
	v_cvt_i32_f32_e32 v2, v2
	s_delay_alu instid0(VALU_DEP_2) | instskip(NEXT) | instid1(VALU_DEP_1)
	v_add_f32_e32 v1, v1, v10
	v_exp_f32_e32 v1, v1
	s_waitcnt_depctr 0xfff
	v_ldexp_f32 v2, v1, v2
	v_add_nc_u32_e32 v1, s2, v0
	v_add_nc_u32_e32 v0, 0x100, v0
	s_delay_alu instid0(VALU_DEP_3) | instskip(SKIP_2) | instid1(VALU_DEP_2)
	v_cndmask_b32_e32 v10, 0, v2, vcc_lo
	v_mov_b32_e32 v2, 0
	v_cmp_nlt_f32_e32 vcc_lo, 0x42b17218, v8
	v_lshlrev_b64 v[1:2], 1, v[1:2]
	s_delay_alu instid0(VALU_DEP_4) | instskip(NEXT) | instid1(VALU_DEP_1)
	v_cndmask_b32_e32 v8, 0x7f800000, v10, vcc_lo
	v_cvt_f16_f32_e32 v8, v8
	s_delay_alu instid0(VALU_DEP_3) | instskip(NEXT) | instid1(VALU_DEP_4)
	v_add_co_u32 v1, vcc_lo, s4, v1
	v_add_co_ci_u32_e32 v2, vcc_lo, s5, v2, vcc_lo
	global_store_b16 v[1:2], v8, off
	s_or_b32 exec_lo, exec_lo, s0
	s_delay_alu instid0(SALU_CYCLE_1)
	s_mov_b32 s0, exec_lo
	v_cmpx_gt_i32_e64 s8, v0
	s_cbranch_execz .LBB91_20
.LBB91_31:
	v_cmp_ngt_f32_e32 vcc_lo, 0xc2ce8ed0, v9
	v_mul_f32_e32 v1, 0x3fb8aa3b, v9
	s_delay_alu instid0(VALU_DEP_1) | instskip(SKIP_1) | instid1(VALU_DEP_2)
	v_rndne_f32_e32 v2, v1
	v_fma_f32 v8, 0x3fb8aa3b, v9, -v1
	v_sub_f32_e32 v1, v1, v2
	s_delay_alu instid0(VALU_DEP_2) | instskip(SKIP_1) | instid1(VALU_DEP_2)
	v_fmamk_f32 v8, v9, 0x32a5705f, v8
	v_cvt_i32_f32_e32 v2, v2
	v_add_f32_e32 v1, v1, v8
	s_delay_alu instid0(VALU_DEP_1) | instskip(SKIP_4) | instid1(VALU_DEP_3)
	v_exp_f32_e32 v1, v1
	s_waitcnt_depctr 0xfff
	v_ldexp_f32 v2, v1, v2
	v_add_nc_u32_e32 v1, s2, v0
	v_add_nc_u32_e32 v0, 0x100, v0
	v_cndmask_b32_e32 v8, 0, v2, vcc_lo
	v_mov_b32_e32 v2, 0
	v_cmp_nlt_f32_e32 vcc_lo, 0x42b17218, v9
	s_delay_alu instid0(VALU_DEP_2) | instskip(NEXT) | instid1(VALU_DEP_4)
	v_lshlrev_b64 v[1:2], 1, v[1:2]
	v_cndmask_b32_e32 v8, 0x7f800000, v8, vcc_lo
	s_delay_alu instid0(VALU_DEP_1) | instskip(NEXT) | instid1(VALU_DEP_3)
	v_cvt_f16_f32_e32 v8, v8
	v_add_co_u32 v1, vcc_lo, s4, v1
	s_delay_alu instid0(VALU_DEP_4) | instskip(SKIP_2) | instid1(SALU_CYCLE_1)
	v_add_co_ci_u32_e32 v2, vcc_lo, s5, v2, vcc_lo
	global_store_b16 v[1:2], v8, off
	s_or_b32 exec_lo, exec_lo, s0
	s_mov_b32 s0, exec_lo
	v_cmpx_gt_i32_e64 s8, v0
	s_cbranch_execz .LBB91_21
.LBB91_32:
	v_mul_f32_e32 v1, 0x3fb8aa3b, v6
	v_cmp_ngt_f32_e32 vcc_lo, 0xc2ce8ed0, v6
	s_delay_alu instid0(VALU_DEP_2) | instskip(SKIP_1) | instid1(VALU_DEP_1)
	v_rndne_f32_e32 v2, v1
	v_fma_f32 v8, 0x3fb8aa3b, v6, -v1
	v_dual_sub_f32 v1, v1, v2 :: v_dual_fmamk_f32 v8, v6, 0x32a5705f, v8
	v_cvt_i32_f32_e32 v2, v2
	s_delay_alu instid0(VALU_DEP_2) | instskip(NEXT) | instid1(VALU_DEP_1)
	v_add_f32_e32 v1, v1, v8
	v_exp_f32_e32 v1, v1
	s_waitcnt_depctr 0xfff
	v_ldexp_f32 v2, v1, v2
	v_add_nc_u32_e32 v1, s2, v0
	v_add_nc_u32_e32 v0, 0x100, v0
	s_delay_alu instid0(VALU_DEP_3) | instskip(SKIP_2) | instid1(VALU_DEP_2)
	v_cndmask_b32_e32 v8, 0, v2, vcc_lo
	v_mov_b32_e32 v2, 0
	v_cmp_nlt_f32_e32 vcc_lo, 0x42b17218, v6
	v_lshlrev_b64 v[1:2], 1, v[1:2]
	s_delay_alu instid0(VALU_DEP_4) | instskip(NEXT) | instid1(VALU_DEP_1)
	v_cndmask_b32_e32 v6, 0x7f800000, v8, vcc_lo
	v_cvt_f16_f32_e32 v6, v6
	s_delay_alu instid0(VALU_DEP_3) | instskip(NEXT) | instid1(VALU_DEP_4)
	v_add_co_u32 v1, vcc_lo, s4, v1
	v_add_co_ci_u32_e32 v2, vcc_lo, s5, v2, vcc_lo
	global_store_b16 v[1:2], v6, off
	s_or_b32 exec_lo, exec_lo, s0
	s_delay_alu instid0(SALU_CYCLE_1)
	s_mov_b32 s0, exec_lo
	v_cmpx_gt_i32_e64 s8, v0
	s_cbranch_execz .LBB91_22
.LBB91_33:
	v_cmp_ngt_f32_e32 vcc_lo, 0xc2ce8ed0, v7
	v_mul_f32_e32 v1, 0x3fb8aa3b, v7
	s_delay_alu instid0(VALU_DEP_1) | instskip(SKIP_1) | instid1(VALU_DEP_1)
	v_rndne_f32_e32 v2, v1
	v_fma_f32 v6, 0x3fb8aa3b, v7, -v1
	v_dual_sub_f32 v1, v1, v2 :: v_dual_fmamk_f32 v6, v7, 0x32a5705f, v6
	v_cvt_i32_f32_e32 v2, v2
	s_delay_alu instid0(VALU_DEP_2) | instskip(NEXT) | instid1(VALU_DEP_1)
	v_add_f32_e32 v1, v1, v6
	v_exp_f32_e32 v1, v1
	s_waitcnt_depctr 0xfff
	v_ldexp_f32 v2, v1, v2
	v_add_nc_u32_e32 v1, s2, v0
	v_add_nc_u32_e32 v0, 0x100, v0
	s_delay_alu instid0(VALU_DEP_3) | instskip(SKIP_2) | instid1(VALU_DEP_2)
	v_cndmask_b32_e32 v6, 0, v2, vcc_lo
	v_mov_b32_e32 v2, 0
	v_cmp_nlt_f32_e32 vcc_lo, 0x42b17218, v7
	v_lshlrev_b64 v[1:2], 1, v[1:2]
	s_delay_alu instid0(VALU_DEP_4) | instskip(NEXT) | instid1(VALU_DEP_1)
	v_cndmask_b32_e32 v6, 0x7f800000, v6, vcc_lo
	v_cvt_f16_f32_e32 v6, v6
	s_delay_alu instid0(VALU_DEP_3) | instskip(NEXT) | instid1(VALU_DEP_4)
	v_add_co_u32 v1, vcc_lo, s4, v1
	v_add_co_ci_u32_e32 v2, vcc_lo, s5, v2, vcc_lo
	global_store_b16 v[1:2], v6, off
	s_or_b32 exec_lo, exec_lo, s0
	s_delay_alu instid0(SALU_CYCLE_1)
	s_mov_b32 s0, exec_lo
	v_cmpx_gt_i32_e64 s8, v0
	s_cbranch_execz .LBB91_23
.LBB91_34:
	v_cmp_ngt_f32_e32 vcc_lo, 0xc2ce8ed0, v4
	v_mul_f32_e32 v1, 0x3fb8aa3b, v4
	s_delay_alu instid0(VALU_DEP_1) | instskip(SKIP_1) | instid1(VALU_DEP_1)
	v_rndne_f32_e32 v2, v1
	v_fma_f32 v6, 0x3fb8aa3b, v4, -v1
	v_dual_sub_f32 v1, v1, v2 :: v_dual_fmamk_f32 v6, v4, 0x32a5705f, v6
	v_cvt_i32_f32_e32 v2, v2
	s_delay_alu instid0(VALU_DEP_2) | instskip(NEXT) | instid1(VALU_DEP_1)
	v_add_f32_e32 v1, v1, v6
	v_exp_f32_e32 v1, v1
	s_waitcnt_depctr 0xfff
	v_ldexp_f32 v2, v1, v2
	v_add_nc_u32_e32 v1, s2, v0
	v_add_nc_u32_e32 v0, 0x100, v0
	s_delay_alu instid0(VALU_DEP_3) | instskip(SKIP_2) | instid1(VALU_DEP_2)
	v_cndmask_b32_e32 v6, 0, v2, vcc_lo
	v_mov_b32_e32 v2, 0
	v_cmp_nlt_f32_e32 vcc_lo, 0x42b17218, v4
	v_lshlrev_b64 v[1:2], 1, v[1:2]
	s_delay_alu instid0(VALU_DEP_4) | instskip(NEXT) | instid1(VALU_DEP_1)
	v_cndmask_b32_e32 v4, 0x7f800000, v6, vcc_lo
	v_cvt_f16_f32_e32 v4, v4
	s_delay_alu instid0(VALU_DEP_3) | instskip(NEXT) | instid1(VALU_DEP_4)
	v_add_co_u32 v1, vcc_lo, s4, v1
	v_add_co_ci_u32_e32 v2, vcc_lo, s5, v2, vcc_lo
	global_store_b16 v[1:2], v4, off
	s_or_b32 exec_lo, exec_lo, s0
	s_delay_alu instid0(SALU_CYCLE_1)
	s_mov_b32 s0, exec_lo
	v_cmpx_gt_i32_e64 s8, v0
	s_cbranch_execz .LBB91_24
.LBB91_35:
	v_cmp_ngt_f32_e32 vcc_lo, 0xc2ce8ed0, v5
	v_mul_f32_e32 v1, 0x3fb8aa3b, v5
	s_delay_alu instid0(VALU_DEP_1) | instskip(SKIP_1) | instid1(VALU_DEP_2)
	v_rndne_f32_e32 v2, v1
	v_fma_f32 v4, 0x3fb8aa3b, v5, -v1
	v_sub_f32_e32 v1, v1, v2
	s_delay_alu instid0(VALU_DEP_2) | instskip(SKIP_1) | instid1(VALU_DEP_2)
	v_fmamk_f32 v4, v5, 0x32a5705f, v4
	v_cvt_i32_f32_e32 v2, v2
	v_add_f32_e32 v1, v1, v4
	s_delay_alu instid0(VALU_DEP_1) | instskip(SKIP_4) | instid1(VALU_DEP_3)
	v_exp_f32_e32 v1, v1
	s_waitcnt_depctr 0xfff
	v_ldexp_f32 v2, v1, v2
	v_add_nc_u32_e32 v1, s2, v0
	v_add_nc_u32_e32 v0, 0x100, v0
	v_cndmask_b32_e32 v4, 0, v2, vcc_lo
	v_mov_b32_e32 v2, 0
	v_cmp_nlt_f32_e32 vcc_lo, 0x42b17218, v5
	s_delay_alu instid0(VALU_DEP_2) | instskip(NEXT) | instid1(VALU_DEP_4)
	v_lshlrev_b64 v[1:2], 1, v[1:2]
	v_cndmask_b32_e32 v4, 0x7f800000, v4, vcc_lo
	s_delay_alu instid0(VALU_DEP_1) | instskip(NEXT) | instid1(VALU_DEP_3)
	v_cvt_f16_f32_e32 v4, v4
	v_add_co_u32 v1, vcc_lo, s4, v1
	s_delay_alu instid0(VALU_DEP_4) | instskip(SKIP_2) | instid1(SALU_CYCLE_1)
	v_add_co_ci_u32_e32 v2, vcc_lo, s5, v2, vcc_lo
	global_store_b16 v[1:2], v4, off
	s_or_b32 exec_lo, exec_lo, s0
	s_mov_b32 s0, exec_lo
	v_cmpx_gt_i32_e64 s8, v0
	s_cbranch_execnz .LBB91_25
	s_branch .LBB91_26
	.section	.rodata,"a",@progbits
	.p2align	6, 0x0
	.amdhsa_kernel _ZN2at6native29vectorized_elementwise_kernelILi8EZZZNS0_15exp_kernel_cudaERNS_18TensorIteratorBaseEENKUlvE0_clEvENKUlvE1_clEvEUlN3c104HalfEE_St5arrayIPcLm2EEEEviT0_T1_
		.amdhsa_group_segment_fixed_size 0
		.amdhsa_private_segment_fixed_size 0
		.amdhsa_kernarg_size 24
		.amdhsa_user_sgpr_count 15
		.amdhsa_user_sgpr_dispatch_ptr 0
		.amdhsa_user_sgpr_queue_ptr 0
		.amdhsa_user_sgpr_kernarg_segment_ptr 1
		.amdhsa_user_sgpr_dispatch_id 0
		.amdhsa_user_sgpr_private_segment_size 0
		.amdhsa_wavefront_size32 1
		.amdhsa_uses_dynamic_stack 0
		.amdhsa_enable_private_segment 0
		.amdhsa_system_sgpr_workgroup_id_x 1
		.amdhsa_system_sgpr_workgroup_id_y 0
		.amdhsa_system_sgpr_workgroup_id_z 0
		.amdhsa_system_sgpr_workgroup_info 0
		.amdhsa_system_vgpr_workitem_id 0
		.amdhsa_next_free_vgpr 38
		.amdhsa_next_free_sgpr 16
		.amdhsa_reserve_vcc 1
		.amdhsa_float_round_mode_32 0
		.amdhsa_float_round_mode_16_64 0
		.amdhsa_float_denorm_mode_32 3
		.amdhsa_float_denorm_mode_16_64 3
		.amdhsa_dx10_clamp 1
		.amdhsa_ieee_mode 1
		.amdhsa_fp16_overflow 0
		.amdhsa_workgroup_processor_mode 1
		.amdhsa_memory_ordered 1
		.amdhsa_forward_progress 0
		.amdhsa_shared_vgpr_count 0
		.amdhsa_exception_fp_ieee_invalid_op 0
		.amdhsa_exception_fp_denorm_src 0
		.amdhsa_exception_fp_ieee_div_zero 0
		.amdhsa_exception_fp_ieee_overflow 0
		.amdhsa_exception_fp_ieee_underflow 0
		.amdhsa_exception_fp_ieee_inexact 0
		.amdhsa_exception_int_div_zero 0
	.end_amdhsa_kernel
	.section	.text._ZN2at6native29vectorized_elementwise_kernelILi8EZZZNS0_15exp_kernel_cudaERNS_18TensorIteratorBaseEENKUlvE0_clEvENKUlvE1_clEvEUlN3c104HalfEE_St5arrayIPcLm2EEEEviT0_T1_,"axG",@progbits,_ZN2at6native29vectorized_elementwise_kernelILi8EZZZNS0_15exp_kernel_cudaERNS_18TensorIteratorBaseEENKUlvE0_clEvENKUlvE1_clEvEUlN3c104HalfEE_St5arrayIPcLm2EEEEviT0_T1_,comdat
.Lfunc_end91:
	.size	_ZN2at6native29vectorized_elementwise_kernelILi8EZZZNS0_15exp_kernel_cudaERNS_18TensorIteratorBaseEENKUlvE0_clEvENKUlvE1_clEvEUlN3c104HalfEE_St5arrayIPcLm2EEEEviT0_T1_, .Lfunc_end91-_ZN2at6native29vectorized_elementwise_kernelILi8EZZZNS0_15exp_kernel_cudaERNS_18TensorIteratorBaseEENKUlvE0_clEvENKUlvE1_clEvEUlN3c104HalfEE_St5arrayIPcLm2EEEEviT0_T1_
                                        ; -- End function
	.section	.AMDGPU.csdata,"",@progbits
; Kernel info:
; codeLenInByte = 3244
; NumSgprs: 18
; NumVgprs: 38
; ScratchSize: 0
; MemoryBound: 0
; FloatMode: 240
; IeeeMode: 1
; LDSByteSize: 0 bytes/workgroup (compile time only)
; SGPRBlocks: 2
; VGPRBlocks: 4
; NumSGPRsForWavesPerEU: 18
; NumVGPRsForWavesPerEU: 38
; Occupancy: 16
; WaveLimiterHint : 0
; COMPUTE_PGM_RSRC2:SCRATCH_EN: 0
; COMPUTE_PGM_RSRC2:USER_SGPR: 15
; COMPUTE_PGM_RSRC2:TRAP_HANDLER: 0
; COMPUTE_PGM_RSRC2:TGID_X_EN: 1
; COMPUTE_PGM_RSRC2:TGID_Y_EN: 0
; COMPUTE_PGM_RSRC2:TGID_Z_EN: 0
; COMPUTE_PGM_RSRC2:TIDIG_COMP_CNT: 0
	.section	.text._ZN2at6native29vectorized_elementwise_kernelILi4EZZZNS0_15exp_kernel_cudaERNS_18TensorIteratorBaseEENKUlvE0_clEvENKUlvE1_clEvEUlN3c104HalfEE_St5arrayIPcLm2EEEEviT0_T1_,"axG",@progbits,_ZN2at6native29vectorized_elementwise_kernelILi4EZZZNS0_15exp_kernel_cudaERNS_18TensorIteratorBaseEENKUlvE0_clEvENKUlvE1_clEvEUlN3c104HalfEE_St5arrayIPcLm2EEEEviT0_T1_,comdat
	.globl	_ZN2at6native29vectorized_elementwise_kernelILi4EZZZNS0_15exp_kernel_cudaERNS_18TensorIteratorBaseEENKUlvE0_clEvENKUlvE1_clEvEUlN3c104HalfEE_St5arrayIPcLm2EEEEviT0_T1_ ; -- Begin function _ZN2at6native29vectorized_elementwise_kernelILi4EZZZNS0_15exp_kernel_cudaERNS_18TensorIteratorBaseEENKUlvE0_clEvENKUlvE1_clEvEUlN3c104HalfEE_St5arrayIPcLm2EEEEviT0_T1_
	.p2align	8
	.type	_ZN2at6native29vectorized_elementwise_kernelILi4EZZZNS0_15exp_kernel_cudaERNS_18TensorIteratorBaseEENKUlvE0_clEvENKUlvE1_clEvEUlN3c104HalfEE_St5arrayIPcLm2EEEEviT0_T1_,@function
_ZN2at6native29vectorized_elementwise_kernelILi4EZZZNS0_15exp_kernel_cudaERNS_18TensorIteratorBaseEENKUlvE0_clEvENKUlvE1_clEvEUlN3c104HalfEE_St5arrayIPcLm2EEEEviT0_T1_: ; @_ZN2at6native29vectorized_elementwise_kernelILi4EZZZNS0_15exp_kernel_cudaERNS_18TensorIteratorBaseEENKUlvE0_clEvENKUlvE1_clEvEUlN3c104HalfEE_St5arrayIPcLm2EEEEviT0_T1_
; %bb.0:
	s_clause 0x1
	s_load_b32 s3, s[0:1], 0x0
	s_load_b128 s[4:7], s[0:1], 0x8
	s_lshl_b32 s2, s15, 11
	s_mov_b32 s0, -1
	s_waitcnt lgkmcnt(0)
	s_sub_i32 s8, s3, s2
	s_delay_alu instid0(SALU_CYCLE_1)
	s_cmpk_gt_i32 s8, 0x7ff
	s_cbranch_scc0 .LBB92_2
; %bb.1:
	s_ashr_i32 s3, s2, 31
	v_lshlrev_b32_e32 v5, 3, v0
	s_lshl_b64 s[0:1], s[2:3], 1
	s_mov_b32 s3, 0x3fb8aa3b
	s_add_u32 s10, s6, s0
	s_addc_u32 s11, s7, s1
	s_mov_b32 s9, 0x32a5705f
	s_clause 0x1
	global_load_b64 v[1:2], v5, s[10:11]
	global_load_b64 v[3:4], v5, s[10:11] offset:2048
	s_add_u32 s10, s4, s0
	s_addc_u32 s11, s5, s1
	s_mov_b32 s0, 0
	s_waitcnt vmcnt(1)
	v_cvt_f32_f16_e32 v9, v1
	v_lshrrev_b32_e32 v6, 16, v1
	s_waitcnt vmcnt(0)
	v_lshrrev_b32_e32 v10, 16, v4
	v_cvt_f32_f16_e32 v11, v2
	v_cvt_f32_f16_e32 v13, v4
	v_mul_f32_e32 v14, 0x3fb8aa3b, v9
	v_lshrrev_b32_e32 v7, 16, v2
	v_cvt_f32_f16_e32 v12, v3
	v_cvt_f32_f16_e32 v6, v6
	v_mul_f32_e32 v15, 0x3fb8aa3b, v11
	v_mul_f32_e32 v17, 0x3fb8aa3b, v13
	v_cvt_f32_f16_e32 v10, v10
	v_fma_mix_f32 v18, v1, s3, -v14 op_sel_hi:[1,0,0]
	v_mul_f32_e32 v20, 0x3fb8aa3b, v6
	v_rndne_f32_e32 v19, v14
	v_lshrrev_b32_e32 v8, 16, v3
	v_cvt_f32_f16_e32 v7, v7
	v_mul_f32_e32 v16, 0x3fb8aa3b, v12
	v_fma_mix_f32 v21, v2, s3, -v15 op_sel_hi:[1,0,0]
	v_rndne_f32_e32 v22, v15
	v_rndne_f32_e32 v28, v17
	v_dual_mul_f32 v29, 0x3fb8aa3b, v10 :: v_dual_sub_f32 v14, v14, v19
	v_fma_mix_f32 v18, v1, s9, v18 op_sel_hi:[1,0,0]
	v_cvt_f32_f16_e32 v8, v8
	v_mul_f32_e32 v23, 0x3fb8aa3b, v7
	v_fma_mix_f32 v24, v3, s3, -v16 op_sel_hi:[1,0,0]
	v_rndne_f32_e32 v25, v16
	v_fma_mix_f32 v27, v4, s3, -v17 op_sel_hi:[1,0,0]
	v_mul_f32_e32 v26, 0x3fb8aa3b, v8
	v_rndne_f32_e32 v31, v20
	v_fma_mix_f32 v21, v2, s9, v21 op_sel_hi:[1,0,0]
	v_dual_sub_f32 v15, v15, v22 :: v_dual_sub_f32 v16, v16, v25
	v_dual_sub_f32 v17, v17, v28 :: v_dual_add_f32 v14, v14, v18
	v_rndne_f32_e32 v33, v23
	v_fma_mix_f32 v24, v3, s9, v24 op_sel_hi:[1,0,0]
	s_delay_alu instid0(VALU_DEP_4) | instskip(NEXT) | instid1(VALU_DEP_4)
	v_dual_sub_f32 v18, v20, v31 :: v_dual_add_f32 v15, v15, v21
	v_exp_f32_e32 v14, v14
	v_cvt_i32_f32_e32 v19, v19
	v_fma_mix_f32 v30, v1, s3, -v20 op_sel:[1,0,0] op_sel_hi:[1,0,0]
	v_fma_mix_f32 v32, v2, s3, -v23 op_sel:[1,0,0] op_sel_hi:[1,0,0]
	;; [unrolled: 1-line block ×3, first 2 shown]
	v_rndne_f32_e32 v35, v26
	v_fma_mix_f32 v27, v4, s9, v27 op_sel_hi:[1,0,0]
	v_fma_mix_f32 v36, v4, s3, -v29 op_sel:[1,0,0] op_sel_hi:[1,0,0]
	v_rndne_f32_e32 v37, v29
	v_dual_sub_f32 v21, v23, v33 :: v_dual_add_f32 v16, v16, v24
	v_exp_f32_e32 v15, v15
	v_cvt_i32_f32_e32 v22, v22
	v_fma_mix_f32 v1, v1, s9, v30 op_sel:[1,0,0] op_sel_hi:[1,0,0]
	v_fma_mix_f32 v2, v2, s9, v32 op_sel:[1,0,0] op_sel_hi:[1,0,0]
	;; [unrolled: 1-line block ×3, first 2 shown]
	v_sub_f32_e32 v24, v26, v35
	v_fma_mix_f32 v4, v4, s9, v36 op_sel:[1,0,0] op_sel_hi:[1,0,0]
	v_add_f32_e32 v17, v17, v27
	v_sub_f32_e32 v27, v29, v37
	v_exp_f32_e32 v16, v16
	v_ldexp_f32 v14, v14, v19
	v_cmp_ngt_f32_e32 vcc_lo, 0xc2ce8ed0, v9
	v_cvt_i32_f32_e32 v25, v25
	v_dual_add_f32 v4, v27, v4 :: v_dual_add_f32 v1, v18, v1
	v_dual_add_f32 v2, v21, v2 :: v_dual_add_f32 v3, v24, v3
	v_cndmask_b32_e32 v14, 0, v14, vcc_lo
	v_exp_f32_e32 v17, v17
	v_ldexp_f32 v15, v15, v22
	v_cmp_ngt_f32_e32 vcc_lo, 0xc2ce8ed0, v11
	v_cvt_i32_f32_e32 v28, v28
	v_exp_f32_e32 v2, v2
	v_ldexp_f32 v16, v16, v25
	v_cvt_i32_f32_e32 v23, v33
	v_cndmask_b32_e32 v15, 0, v15, vcc_lo
	v_cmp_ngt_f32_e32 vcc_lo, 0xc2ce8ed0, v12
	v_exp_f32_e32 v1, v1
	v_ldexp_f32 v17, v17, v28
	v_cvt_i32_f32_e32 v20, v31
	v_exp_f32_e32 v4, v4
	v_cndmask_b32_e32 v16, 0, v16, vcc_lo
	v_cmp_ngt_f32_e32 vcc_lo, 0xc2ce8ed0, v13
	v_ldexp_f32 v2, v2, v23
	v_cvt_i32_f32_e32 v18, v37
	v_exp_f32_e32 v3, v3
	v_cvt_i32_f32_e32 v26, v35
	v_cndmask_b32_e32 v17, 0, v17, vcc_lo
	v_cmp_nlt_f32_e32 vcc_lo, 0x42b17218, v9
	v_ldexp_f32 v1, v1, v20
	v_ldexp_f32 v4, v4, v18
	v_cndmask_b32_e32 v9, 0x7f800000, v14, vcc_lo
	v_cmp_ngt_f32_e32 vcc_lo, 0xc2ce8ed0, v6
	s_delay_alu instid0(TRANS32_DEP_1)
	v_ldexp_f32 v3, v3, v26
	v_cndmask_b32_e32 v1, 0, v1, vcc_lo
	v_cmp_nlt_f32_e32 vcc_lo, 0x42b17218, v11
	v_cndmask_b32_e32 v11, 0x7f800000, v15, vcc_lo
	v_cmp_ngt_f32_e32 vcc_lo, 0xc2ce8ed0, v7
	v_cndmask_b32_e32 v2, 0, v2, vcc_lo
	v_cmp_nlt_f32_e32 vcc_lo, 0x42b17218, v12
	v_cndmask_b32_e32 v12, 0x7f800000, v16, vcc_lo
	v_cmp_ngt_f32_e32 vcc_lo, 0xc2ce8ed0, v8
	;; [unrolled: 4-line block ×3, first 2 shown]
	v_cndmask_b32_e32 v4, 0, v4, vcc_lo
	v_cmp_nlt_f32_e32 vcc_lo, 0x42b17218, v6
	v_cndmask_b32_e32 v1, 0x7f800000, v1, vcc_lo
	v_cmp_nlt_f32_e32 vcc_lo, 0x42b17218, v7
	s_delay_alu instid0(VALU_DEP_2) | instskip(SKIP_3) | instid1(VALU_DEP_4)
	v_cvt_f16_f32_e32 v1, v1
	v_cndmask_b32_e32 v2, 0x7f800000, v2, vcc_lo
	v_cmp_nlt_f32_e32 vcc_lo, 0x42b17218, v8
	v_cvt_f16_f32_e32 v8, v13
	v_lshlrev_b32_e32 v1, 16, v1
	s_delay_alu instid0(VALU_DEP_4) | instskip(SKIP_1) | instid1(VALU_DEP_4)
	v_cvt_f16_f32_e32 v2, v2
	v_cvt_f16_f32_e32 v7, v12
	v_and_b32_e32 v8, 0xffff, v8
	s_delay_alu instid0(VALU_DEP_3) | instskip(SKIP_1) | instid1(VALU_DEP_4)
	v_lshlrev_b32_e32 v2, 16, v2
	v_cvt_f16_f32_e32 v6, v11
	v_and_b32_e32 v7, 0xffff, v7
	s_delay_alu instid0(VALU_DEP_2) | instskip(SKIP_2) | instid1(VALU_DEP_3)
	v_and_b32_e32 v6, 0xffff, v6
	v_cndmask_b32_e32 v3, 0x7f800000, v3, vcc_lo
	v_cmp_nlt_f32_e32 vcc_lo, 0x42b17218, v10
	v_or3_b32 v2, 0, v6, v2
	s_delay_alu instid0(VALU_DEP_3) | instskip(NEXT) | instid1(VALU_DEP_1)
	v_cvt_f16_f32_e32 v3, v3
	v_dual_cndmask_b32 v4, 0x7f800000, v4 :: v_dual_lshlrev_b32 v3, 16, v3
	s_delay_alu instid0(VALU_DEP_1) | instskip(NEXT) | instid1(VALU_DEP_2)
	v_cvt_f16_f32_e32 v4, v4
	v_or_b32_e32 v3, v3, v7
	s_delay_alu instid0(VALU_DEP_2) | instskip(SKIP_1) | instid1(VALU_DEP_3)
	v_lshlrev_b32_e32 v4, 16, v4
	v_cvt_f16_f32_e32 v9, v9
	v_or3_b32 v3, v3, 0, 0
	s_delay_alu instid0(VALU_DEP_3) | instskip(NEXT) | instid1(VALU_DEP_3)
	v_or3_b32 v4, 0, v8, v4
	v_and_b32_e32 v9, 0xffff, v9
	s_delay_alu instid0(VALU_DEP_1) | instskip(NEXT) | instid1(VALU_DEP_1)
	v_or_b32_e32 v1, v1, v9
	v_or3_b32 v1, v1, 0, 0
	s_clause 0x1
	global_store_b64 v5, v[1:2], s[10:11]
	global_store_b64 v5, v[3:4], s[10:11] offset:2048
.LBB92_2:
	s_and_not1_b32 vcc_lo, exec_lo, s0
	s_cbranch_vccnz .LBB92_26
; %bb.3:
	v_cmp_gt_i32_e32 vcc_lo, s8, v0
	v_dual_mov_b32 v8, 0 :: v_dual_mov_b32 v11, 0
	v_or_b32_e32 v1, s2, v0
	v_or_b32_e32 v10, 0x100, v0
	v_mov_b32_e32 v2, v0
	s_and_saveexec_b32 s1, vcc_lo
	s_cbranch_execz .LBB92_5
; %bb.4:
	v_mov_b32_e32 v2, 0
	s_delay_alu instid0(VALU_DEP_1) | instskip(NEXT) | instid1(VALU_DEP_1)
	v_lshlrev_b64 v[2:3], 1, v[1:2]
	v_add_co_u32 v2, s0, s6, v2
	s_delay_alu instid0(VALU_DEP_1)
	v_add_co_ci_u32_e64 v3, s0, s7, v3, s0
	global_load_u16 v3, v[2:3], off
	v_or_b32_e32 v2, 0x100, v0
	s_waitcnt vmcnt(0)
	v_cvt_f32_f16_e32 v11, v3
.LBB92_5:
	s_or_b32 exec_lo, exec_lo, s1
	s_delay_alu instid0(SALU_CYCLE_1)
	s_mov_b32 s1, exec_lo
	v_cmpx_gt_i32_e64 s8, v2
	s_cbranch_execz .LBB92_7
; %bb.6:
	v_dual_mov_b32 v4, 0 :: v_dual_add_nc_u32 v3, s2, v2
	v_add_nc_u32_e32 v2, 0x100, v2
	s_delay_alu instid0(VALU_DEP_2) | instskip(NEXT) | instid1(VALU_DEP_1)
	v_lshlrev_b64 v[3:4], 1, v[3:4]
	v_add_co_u32 v3, s0, s6, v3
	s_delay_alu instid0(VALU_DEP_1)
	v_add_co_ci_u32_e64 v4, s0, s7, v4, s0
	global_load_u16 v3, v[3:4], off
	s_waitcnt vmcnt(0)
	v_cvt_f32_f16_e32 v8, v3
.LBB92_7:
	s_or_b32 exec_lo, exec_lo, s1
	v_dual_mov_b32 v6, 0 :: v_dual_mov_b32 v9, 0
	s_mov_b32 s1, exec_lo
	v_cmpx_gt_i32_e64 s8, v2
	s_cbranch_execz .LBB92_9
; %bb.8:
	v_dual_mov_b32 v4, 0 :: v_dual_add_nc_u32 v3, s2, v2
	v_add_nc_u32_e32 v2, 0x100, v2
	s_delay_alu instid0(VALU_DEP_2) | instskip(NEXT) | instid1(VALU_DEP_1)
	v_lshlrev_b64 v[3:4], 1, v[3:4]
	v_add_co_u32 v3, s0, s6, v3
	s_delay_alu instid0(VALU_DEP_1)
	v_add_co_ci_u32_e64 v4, s0, s7, v4, s0
	global_load_u16 v3, v[3:4], off
	s_waitcnt vmcnt(0)
	v_cvt_f32_f16_e32 v9, v3
.LBB92_9:
	s_or_b32 exec_lo, exec_lo, s1
	s_delay_alu instid0(SALU_CYCLE_1)
	s_mov_b32 s1, exec_lo
	v_cmpx_gt_i32_e64 s8, v2
	s_cbranch_execz .LBB92_11
; %bb.10:
	v_dual_mov_b32 v4, 0 :: v_dual_add_nc_u32 v3, s2, v2
	v_add_nc_u32_e32 v2, 0x100, v2
	s_delay_alu instid0(VALU_DEP_2) | instskip(NEXT) | instid1(VALU_DEP_1)
	v_lshlrev_b64 v[3:4], 1, v[3:4]
	v_add_co_u32 v3, s0, s6, v3
	s_delay_alu instid0(VALU_DEP_1)
	v_add_co_ci_u32_e64 v4, s0, s7, v4, s0
	global_load_u16 v3, v[3:4], off
	s_waitcnt vmcnt(0)
	v_cvt_f32_f16_e32 v6, v3
.LBB92_11:
	s_or_b32 exec_lo, exec_lo, s1
	v_dual_mov_b32 v4, 0 :: v_dual_mov_b32 v7, 0
	s_mov_b32 s1, exec_lo
	v_cmpx_gt_i32_e64 s8, v2
	s_cbranch_execz .LBB92_13
; %bb.12:
	v_dual_mov_b32 v13, 0 :: v_dual_add_nc_u32 v12, s2, v2
	v_add_nc_u32_e32 v2, 0x100, v2
	s_delay_alu instid0(VALU_DEP_2) | instskip(NEXT) | instid1(VALU_DEP_1)
	v_lshlrev_b64 v[12:13], 1, v[12:13]
	v_add_co_u32 v12, s0, s6, v12
	s_delay_alu instid0(VALU_DEP_1)
	v_add_co_ci_u32_e64 v13, s0, s7, v13, s0
	global_load_u16 v3, v[12:13], off
	s_waitcnt vmcnt(0)
	v_cvt_f32_f16_e32 v7, v3
.LBB92_13:
	s_or_b32 exec_lo, exec_lo, s1
	s_delay_alu instid0(SALU_CYCLE_1)
	s_mov_b32 s1, exec_lo
	v_cmpx_gt_i32_e64 s8, v2
	s_cbranch_execz .LBB92_15
; %bb.14:
	v_dual_mov_b32 v4, 0 :: v_dual_add_nc_u32 v3, s2, v2
	v_add_nc_u32_e32 v2, 0x100, v2
	s_delay_alu instid0(VALU_DEP_2) | instskip(NEXT) | instid1(VALU_DEP_1)
	v_lshlrev_b64 v[3:4], 1, v[3:4]
	v_add_co_u32 v3, s0, s6, v3
	s_delay_alu instid0(VALU_DEP_1)
	v_add_co_ci_u32_e64 v4, s0, s7, v4, s0
	global_load_u16 v3, v[3:4], off
	s_waitcnt vmcnt(0)
	v_cvt_f32_f16_e32 v4, v3
.LBB92_15:
	s_or_b32 exec_lo, exec_lo, s1
	v_mov_b32_e32 v3, 0
	v_mov_b32_e32 v5, 0
	s_mov_b32 s1, exec_lo
	v_cmpx_gt_i32_e64 s8, v2
	s_cbranch_execnz .LBB92_27
; %bb.16:
	s_or_b32 exec_lo, exec_lo, s1
	s_delay_alu instid0(SALU_CYCLE_1)
	s_mov_b32 s1, exec_lo
	v_cmpx_gt_i32_e64 s8, v2
	s_cbranch_execnz .LBB92_28
.LBB92_17:
	s_or_b32 exec_lo, exec_lo, s1
	s_and_saveexec_b32 s0, vcc_lo
	s_cbranch_execnz .LBB92_29
.LBB92_18:
	s_or_b32 exec_lo, exec_lo, s0
	s_delay_alu instid0(SALU_CYCLE_1)
	s_mov_b32 s0, exec_lo
	v_cmpx_gt_i32_e64 s8, v0
	s_cbranch_execnz .LBB92_30
.LBB92_19:
	s_or_b32 exec_lo, exec_lo, s0
	s_delay_alu instid0(SALU_CYCLE_1)
	s_mov_b32 s0, exec_lo
	v_cmpx_gt_i32_e64 s8, v0
	s_cbranch_execnz .LBB92_31
.LBB92_20:
	s_or_b32 exec_lo, exec_lo, s0
	s_delay_alu instid0(SALU_CYCLE_1)
	s_mov_b32 s0, exec_lo
	v_cmpx_gt_i32_e64 s8, v0
	s_cbranch_execnz .LBB92_32
.LBB92_21:
	s_or_b32 exec_lo, exec_lo, s0
	s_delay_alu instid0(SALU_CYCLE_1)
	s_mov_b32 s0, exec_lo
	v_cmpx_gt_i32_e64 s8, v0
	s_cbranch_execnz .LBB92_33
.LBB92_22:
	s_or_b32 exec_lo, exec_lo, s0
	s_delay_alu instid0(SALU_CYCLE_1)
	s_mov_b32 s0, exec_lo
	v_cmpx_gt_i32_e64 s8, v0
	s_cbranch_execnz .LBB92_34
.LBB92_23:
	s_or_b32 exec_lo, exec_lo, s0
	s_delay_alu instid0(SALU_CYCLE_1)
	s_mov_b32 s0, exec_lo
	v_cmpx_gt_i32_e64 s8, v0
	s_cbranch_execnz .LBB92_35
.LBB92_24:
	s_or_b32 exec_lo, exec_lo, s0
	s_delay_alu instid0(SALU_CYCLE_1)
	s_mov_b32 s0, exec_lo
	v_cmpx_gt_i32_e64 s8, v0
	s_cbranch_execz .LBB92_26
.LBB92_25:
	v_dual_mul_f32 v1, 0x3fb8aa3b, v3 :: v_dual_add_nc_u32 v0, s2, v0
	v_cmp_ngt_f32_e32 vcc_lo, 0xc2ce8ed0, v3
	s_delay_alu instid0(VALU_DEP_2) | instskip(SKIP_1) | instid1(VALU_DEP_1)
	v_rndne_f32_e32 v2, v1
	v_fma_f32 v4, 0x3fb8aa3b, v3, -v1
	v_dual_sub_f32 v1, v1, v2 :: v_dual_fmamk_f32 v4, v3, 0x32a5705f, v4
	v_cvt_i32_f32_e32 v2, v2
	s_delay_alu instid0(VALU_DEP_2) | instskip(NEXT) | instid1(VALU_DEP_1)
	v_add_f32_e32 v1, v1, v4
	v_exp_f32_e32 v1, v1
	s_waitcnt_depctr 0xfff
	v_ldexp_f32 v1, v1, v2
	s_delay_alu instid0(VALU_DEP_1) | instskip(SKIP_1) | instid1(VALU_DEP_2)
	v_dual_cndmask_b32 v2, 0, v1 :: v_dual_mov_b32 v1, 0
	v_cmp_nlt_f32_e32 vcc_lo, 0x42b17218, v3
	v_lshlrev_b64 v[0:1], 1, v[0:1]
	s_delay_alu instid0(VALU_DEP_3) | instskip(NEXT) | instid1(VALU_DEP_1)
	v_cndmask_b32_e32 v2, 0x7f800000, v2, vcc_lo
	v_cvt_f16_f32_e32 v2, v2
	s_delay_alu instid0(VALU_DEP_3) | instskip(NEXT) | instid1(VALU_DEP_4)
	v_add_co_u32 v0, vcc_lo, s4, v0
	v_add_co_ci_u32_e32 v1, vcc_lo, s5, v1, vcc_lo
	global_store_b16 v[0:1], v2, off
.LBB92_26:
	s_nop 0
	s_sendmsg sendmsg(MSG_DEALLOC_VGPRS)
	s_endpgm
.LBB92_27:
	v_dual_mov_b32 v13, 0 :: v_dual_add_nc_u32 v12, s2, v2
	v_add_nc_u32_e32 v2, 0x100, v2
	s_delay_alu instid0(VALU_DEP_2) | instskip(NEXT) | instid1(VALU_DEP_1)
	v_lshlrev_b64 v[12:13], 1, v[12:13]
	v_add_co_u32 v12, s0, s6, v12
	s_delay_alu instid0(VALU_DEP_1) | instskip(SKIP_4) | instid1(SALU_CYCLE_1)
	v_add_co_ci_u32_e64 v13, s0, s7, v13, s0
	global_load_u16 v5, v[12:13], off
	s_waitcnt vmcnt(0)
	v_cvt_f32_f16_e32 v5, v5
	s_or_b32 exec_lo, exec_lo, s1
	s_mov_b32 s1, exec_lo
	v_cmpx_gt_i32_e64 s8, v2
	s_cbranch_execz .LBB92_17
.LBB92_28:
	v_dual_mov_b32 v3, 0 :: v_dual_add_nc_u32 v2, s2, v2
	s_delay_alu instid0(VALU_DEP_1) | instskip(NEXT) | instid1(VALU_DEP_1)
	v_lshlrev_b64 v[2:3], 1, v[2:3]
	v_add_co_u32 v2, s0, s6, v2
	s_delay_alu instid0(VALU_DEP_1)
	v_add_co_ci_u32_e64 v3, s0, s7, v3, s0
	global_load_u16 v2, v[2:3], off
	s_waitcnt vmcnt(0)
	v_cvt_f32_f16_e32 v3, v2
	s_or_b32 exec_lo, exec_lo, s1
	s_and_saveexec_b32 s0, vcc_lo
	s_cbranch_execz .LBB92_18
.LBB92_29:
	v_mul_f32_e32 v0, 0x3fb8aa3b, v11
	v_cmp_ngt_f32_e32 vcc_lo, 0xc2ce8ed0, v11
	s_delay_alu instid0(VALU_DEP_2) | instskip(SKIP_1) | instid1(VALU_DEP_2)
	v_rndne_f32_e32 v2, v0
	v_fma_f32 v12, 0x3fb8aa3b, v11, -v0
	v_sub_f32_e32 v0, v0, v2
	s_delay_alu instid0(VALU_DEP_2) | instskip(SKIP_1) | instid1(VALU_DEP_2)
	v_fmamk_f32 v12, v11, 0x32a5705f, v12
	v_cvt_i32_f32_e32 v2, v2
	v_add_f32_e32 v0, v0, v12
	s_delay_alu instid0(VALU_DEP_1) | instskip(SKIP_2) | instid1(VALU_DEP_1)
	v_exp_f32_e32 v0, v0
	s_waitcnt_depctr 0xfff
	v_ldexp_f32 v0, v0, v2
	v_cndmask_b32_e32 v0, 0, v0, vcc_lo
	v_cmp_nlt_f32_e32 vcc_lo, 0x42b17218, v11
	s_delay_alu instid0(VALU_DEP_2) | instskip(NEXT) | instid1(VALU_DEP_1)
	v_dual_mov_b32 v2, 0 :: v_dual_cndmask_b32 v11, 0x7f800000, v0
	v_lshlrev_b64 v[0:1], 1, v[1:2]
	s_delay_alu instid0(VALU_DEP_2) | instskip(NEXT) | instid1(VALU_DEP_2)
	v_cvt_f16_f32_e32 v2, v11
	v_add_co_u32 v11, vcc_lo, s4, v0
	s_delay_alu instid0(VALU_DEP_3) | instskip(SKIP_3) | instid1(SALU_CYCLE_1)
	v_add_co_ci_u32_e32 v12, vcc_lo, s5, v1, vcc_lo
	v_mov_b32_e32 v0, v10
	global_store_b16 v[11:12], v2, off
	s_or_b32 exec_lo, exec_lo, s0
	s_mov_b32 s0, exec_lo
	v_cmpx_gt_i32_e64 s8, v0
	s_cbranch_execz .LBB92_19
.LBB92_30:
	v_cmp_ngt_f32_e32 vcc_lo, 0xc2ce8ed0, v8
	v_mul_f32_e32 v1, 0x3fb8aa3b, v8
	s_delay_alu instid0(VALU_DEP_1) | instskip(SKIP_1) | instid1(VALU_DEP_1)
	v_rndne_f32_e32 v2, v1
	v_fma_f32 v10, 0x3fb8aa3b, v8, -v1
	v_dual_sub_f32 v1, v1, v2 :: v_dual_fmamk_f32 v10, v8, 0x32a5705f, v10
	v_cvt_i32_f32_e32 v2, v2
	s_delay_alu instid0(VALU_DEP_2) | instskip(NEXT) | instid1(VALU_DEP_1)
	v_add_f32_e32 v1, v1, v10
	v_exp_f32_e32 v1, v1
	s_waitcnt_depctr 0xfff
	v_ldexp_f32 v2, v1, v2
	v_add_nc_u32_e32 v1, s2, v0
	v_add_nc_u32_e32 v0, 0x100, v0
	s_delay_alu instid0(VALU_DEP_3) | instskip(SKIP_2) | instid1(VALU_DEP_2)
	v_cndmask_b32_e32 v10, 0, v2, vcc_lo
	v_mov_b32_e32 v2, 0
	v_cmp_nlt_f32_e32 vcc_lo, 0x42b17218, v8
	v_lshlrev_b64 v[1:2], 1, v[1:2]
	s_delay_alu instid0(VALU_DEP_4) | instskip(NEXT) | instid1(VALU_DEP_1)
	v_cndmask_b32_e32 v8, 0x7f800000, v10, vcc_lo
	v_cvt_f16_f32_e32 v8, v8
	s_delay_alu instid0(VALU_DEP_3) | instskip(NEXT) | instid1(VALU_DEP_4)
	v_add_co_u32 v1, vcc_lo, s4, v1
	v_add_co_ci_u32_e32 v2, vcc_lo, s5, v2, vcc_lo
	global_store_b16 v[1:2], v8, off
	s_or_b32 exec_lo, exec_lo, s0
	s_delay_alu instid0(SALU_CYCLE_1)
	s_mov_b32 s0, exec_lo
	v_cmpx_gt_i32_e64 s8, v0
	s_cbranch_execz .LBB92_20
.LBB92_31:
	v_cmp_ngt_f32_e32 vcc_lo, 0xc2ce8ed0, v9
	v_mul_f32_e32 v1, 0x3fb8aa3b, v9
	s_delay_alu instid0(VALU_DEP_1) | instskip(SKIP_1) | instid1(VALU_DEP_2)
	v_rndne_f32_e32 v2, v1
	v_fma_f32 v8, 0x3fb8aa3b, v9, -v1
	v_sub_f32_e32 v1, v1, v2
	s_delay_alu instid0(VALU_DEP_2) | instskip(SKIP_1) | instid1(VALU_DEP_2)
	v_fmamk_f32 v8, v9, 0x32a5705f, v8
	v_cvt_i32_f32_e32 v2, v2
	v_add_f32_e32 v1, v1, v8
	s_delay_alu instid0(VALU_DEP_1) | instskip(SKIP_4) | instid1(VALU_DEP_3)
	v_exp_f32_e32 v1, v1
	s_waitcnt_depctr 0xfff
	v_ldexp_f32 v2, v1, v2
	v_add_nc_u32_e32 v1, s2, v0
	v_add_nc_u32_e32 v0, 0x100, v0
	v_cndmask_b32_e32 v8, 0, v2, vcc_lo
	v_mov_b32_e32 v2, 0
	v_cmp_nlt_f32_e32 vcc_lo, 0x42b17218, v9
	s_delay_alu instid0(VALU_DEP_2) | instskip(NEXT) | instid1(VALU_DEP_4)
	v_lshlrev_b64 v[1:2], 1, v[1:2]
	v_cndmask_b32_e32 v8, 0x7f800000, v8, vcc_lo
	s_delay_alu instid0(VALU_DEP_1) | instskip(NEXT) | instid1(VALU_DEP_3)
	v_cvt_f16_f32_e32 v8, v8
	v_add_co_u32 v1, vcc_lo, s4, v1
	s_delay_alu instid0(VALU_DEP_4) | instskip(SKIP_2) | instid1(SALU_CYCLE_1)
	v_add_co_ci_u32_e32 v2, vcc_lo, s5, v2, vcc_lo
	global_store_b16 v[1:2], v8, off
	s_or_b32 exec_lo, exec_lo, s0
	s_mov_b32 s0, exec_lo
	v_cmpx_gt_i32_e64 s8, v0
	s_cbranch_execz .LBB92_21
.LBB92_32:
	v_mul_f32_e32 v1, 0x3fb8aa3b, v6
	v_cmp_ngt_f32_e32 vcc_lo, 0xc2ce8ed0, v6
	s_delay_alu instid0(VALU_DEP_2) | instskip(SKIP_1) | instid1(VALU_DEP_1)
	v_rndne_f32_e32 v2, v1
	v_fma_f32 v8, 0x3fb8aa3b, v6, -v1
	v_dual_sub_f32 v1, v1, v2 :: v_dual_fmamk_f32 v8, v6, 0x32a5705f, v8
	v_cvt_i32_f32_e32 v2, v2
	s_delay_alu instid0(VALU_DEP_2) | instskip(NEXT) | instid1(VALU_DEP_1)
	v_add_f32_e32 v1, v1, v8
	v_exp_f32_e32 v1, v1
	s_waitcnt_depctr 0xfff
	v_ldexp_f32 v2, v1, v2
	v_add_nc_u32_e32 v1, s2, v0
	v_add_nc_u32_e32 v0, 0x100, v0
	s_delay_alu instid0(VALU_DEP_3) | instskip(SKIP_2) | instid1(VALU_DEP_2)
	v_cndmask_b32_e32 v8, 0, v2, vcc_lo
	v_mov_b32_e32 v2, 0
	v_cmp_nlt_f32_e32 vcc_lo, 0x42b17218, v6
	v_lshlrev_b64 v[1:2], 1, v[1:2]
	s_delay_alu instid0(VALU_DEP_4) | instskip(NEXT) | instid1(VALU_DEP_1)
	v_cndmask_b32_e32 v6, 0x7f800000, v8, vcc_lo
	v_cvt_f16_f32_e32 v6, v6
	s_delay_alu instid0(VALU_DEP_3) | instskip(NEXT) | instid1(VALU_DEP_4)
	v_add_co_u32 v1, vcc_lo, s4, v1
	v_add_co_ci_u32_e32 v2, vcc_lo, s5, v2, vcc_lo
	global_store_b16 v[1:2], v6, off
	s_or_b32 exec_lo, exec_lo, s0
	s_delay_alu instid0(SALU_CYCLE_1)
	s_mov_b32 s0, exec_lo
	v_cmpx_gt_i32_e64 s8, v0
	s_cbranch_execz .LBB92_22
.LBB92_33:
	v_cmp_ngt_f32_e32 vcc_lo, 0xc2ce8ed0, v7
	v_mul_f32_e32 v1, 0x3fb8aa3b, v7
	s_delay_alu instid0(VALU_DEP_1) | instskip(SKIP_1) | instid1(VALU_DEP_1)
	v_rndne_f32_e32 v2, v1
	v_fma_f32 v6, 0x3fb8aa3b, v7, -v1
	v_dual_sub_f32 v1, v1, v2 :: v_dual_fmamk_f32 v6, v7, 0x32a5705f, v6
	v_cvt_i32_f32_e32 v2, v2
	s_delay_alu instid0(VALU_DEP_2) | instskip(NEXT) | instid1(VALU_DEP_1)
	v_add_f32_e32 v1, v1, v6
	v_exp_f32_e32 v1, v1
	s_waitcnt_depctr 0xfff
	v_ldexp_f32 v2, v1, v2
	v_add_nc_u32_e32 v1, s2, v0
	v_add_nc_u32_e32 v0, 0x100, v0
	s_delay_alu instid0(VALU_DEP_3) | instskip(SKIP_2) | instid1(VALU_DEP_2)
	v_cndmask_b32_e32 v6, 0, v2, vcc_lo
	v_mov_b32_e32 v2, 0
	v_cmp_nlt_f32_e32 vcc_lo, 0x42b17218, v7
	v_lshlrev_b64 v[1:2], 1, v[1:2]
	s_delay_alu instid0(VALU_DEP_4) | instskip(NEXT) | instid1(VALU_DEP_1)
	v_cndmask_b32_e32 v6, 0x7f800000, v6, vcc_lo
	v_cvt_f16_f32_e32 v6, v6
	s_delay_alu instid0(VALU_DEP_3) | instskip(NEXT) | instid1(VALU_DEP_4)
	v_add_co_u32 v1, vcc_lo, s4, v1
	v_add_co_ci_u32_e32 v2, vcc_lo, s5, v2, vcc_lo
	global_store_b16 v[1:2], v6, off
	s_or_b32 exec_lo, exec_lo, s0
	s_delay_alu instid0(SALU_CYCLE_1)
	s_mov_b32 s0, exec_lo
	v_cmpx_gt_i32_e64 s8, v0
	s_cbranch_execz .LBB92_23
.LBB92_34:
	v_cmp_ngt_f32_e32 vcc_lo, 0xc2ce8ed0, v4
	v_mul_f32_e32 v1, 0x3fb8aa3b, v4
	s_delay_alu instid0(VALU_DEP_1) | instskip(SKIP_1) | instid1(VALU_DEP_1)
	v_rndne_f32_e32 v2, v1
	v_fma_f32 v6, 0x3fb8aa3b, v4, -v1
	v_dual_sub_f32 v1, v1, v2 :: v_dual_fmamk_f32 v6, v4, 0x32a5705f, v6
	v_cvt_i32_f32_e32 v2, v2
	s_delay_alu instid0(VALU_DEP_2) | instskip(NEXT) | instid1(VALU_DEP_1)
	v_add_f32_e32 v1, v1, v6
	v_exp_f32_e32 v1, v1
	s_waitcnt_depctr 0xfff
	v_ldexp_f32 v2, v1, v2
	v_add_nc_u32_e32 v1, s2, v0
	v_add_nc_u32_e32 v0, 0x100, v0
	s_delay_alu instid0(VALU_DEP_3) | instskip(SKIP_2) | instid1(VALU_DEP_2)
	v_cndmask_b32_e32 v6, 0, v2, vcc_lo
	v_mov_b32_e32 v2, 0
	v_cmp_nlt_f32_e32 vcc_lo, 0x42b17218, v4
	v_lshlrev_b64 v[1:2], 1, v[1:2]
	s_delay_alu instid0(VALU_DEP_4) | instskip(NEXT) | instid1(VALU_DEP_1)
	v_cndmask_b32_e32 v4, 0x7f800000, v6, vcc_lo
	v_cvt_f16_f32_e32 v4, v4
	s_delay_alu instid0(VALU_DEP_3) | instskip(NEXT) | instid1(VALU_DEP_4)
	v_add_co_u32 v1, vcc_lo, s4, v1
	v_add_co_ci_u32_e32 v2, vcc_lo, s5, v2, vcc_lo
	global_store_b16 v[1:2], v4, off
	s_or_b32 exec_lo, exec_lo, s0
	s_delay_alu instid0(SALU_CYCLE_1)
	s_mov_b32 s0, exec_lo
	v_cmpx_gt_i32_e64 s8, v0
	s_cbranch_execz .LBB92_24
.LBB92_35:
	v_cmp_ngt_f32_e32 vcc_lo, 0xc2ce8ed0, v5
	v_mul_f32_e32 v1, 0x3fb8aa3b, v5
	s_delay_alu instid0(VALU_DEP_1) | instskip(SKIP_1) | instid1(VALU_DEP_2)
	v_rndne_f32_e32 v2, v1
	v_fma_f32 v4, 0x3fb8aa3b, v5, -v1
	v_sub_f32_e32 v1, v1, v2
	s_delay_alu instid0(VALU_DEP_2) | instskip(SKIP_1) | instid1(VALU_DEP_2)
	v_fmamk_f32 v4, v5, 0x32a5705f, v4
	v_cvt_i32_f32_e32 v2, v2
	v_add_f32_e32 v1, v1, v4
	s_delay_alu instid0(VALU_DEP_1) | instskip(SKIP_4) | instid1(VALU_DEP_3)
	v_exp_f32_e32 v1, v1
	s_waitcnt_depctr 0xfff
	v_ldexp_f32 v2, v1, v2
	v_add_nc_u32_e32 v1, s2, v0
	v_add_nc_u32_e32 v0, 0x100, v0
	v_cndmask_b32_e32 v4, 0, v2, vcc_lo
	v_mov_b32_e32 v2, 0
	v_cmp_nlt_f32_e32 vcc_lo, 0x42b17218, v5
	s_delay_alu instid0(VALU_DEP_2) | instskip(NEXT) | instid1(VALU_DEP_4)
	v_lshlrev_b64 v[1:2], 1, v[1:2]
	v_cndmask_b32_e32 v4, 0x7f800000, v4, vcc_lo
	s_delay_alu instid0(VALU_DEP_1) | instskip(NEXT) | instid1(VALU_DEP_3)
	v_cvt_f16_f32_e32 v4, v4
	v_add_co_u32 v1, vcc_lo, s4, v1
	s_delay_alu instid0(VALU_DEP_4) | instskip(SKIP_2) | instid1(SALU_CYCLE_1)
	v_add_co_ci_u32_e32 v2, vcc_lo, s5, v2, vcc_lo
	global_store_b16 v[1:2], v4, off
	s_or_b32 exec_lo, exec_lo, s0
	s_mov_b32 s0, exec_lo
	v_cmpx_gt_i32_e64 s8, v0
	s_cbranch_execnz .LBB92_25
	s_branch .LBB92_26
	.section	.rodata,"a",@progbits
	.p2align	6, 0x0
	.amdhsa_kernel _ZN2at6native29vectorized_elementwise_kernelILi4EZZZNS0_15exp_kernel_cudaERNS_18TensorIteratorBaseEENKUlvE0_clEvENKUlvE1_clEvEUlN3c104HalfEE_St5arrayIPcLm2EEEEviT0_T1_
		.amdhsa_group_segment_fixed_size 0
		.amdhsa_private_segment_fixed_size 0
		.amdhsa_kernarg_size 24
		.amdhsa_user_sgpr_count 15
		.amdhsa_user_sgpr_dispatch_ptr 0
		.amdhsa_user_sgpr_queue_ptr 0
		.amdhsa_user_sgpr_kernarg_segment_ptr 1
		.amdhsa_user_sgpr_dispatch_id 0
		.amdhsa_user_sgpr_private_segment_size 0
		.amdhsa_wavefront_size32 1
		.amdhsa_uses_dynamic_stack 0
		.amdhsa_enable_private_segment 0
		.amdhsa_system_sgpr_workgroup_id_x 1
		.amdhsa_system_sgpr_workgroup_id_y 0
		.amdhsa_system_sgpr_workgroup_id_z 0
		.amdhsa_system_sgpr_workgroup_info 0
		.amdhsa_system_vgpr_workitem_id 0
		.amdhsa_next_free_vgpr 38
		.amdhsa_next_free_sgpr 16
		.amdhsa_reserve_vcc 1
		.amdhsa_float_round_mode_32 0
		.amdhsa_float_round_mode_16_64 0
		.amdhsa_float_denorm_mode_32 3
		.amdhsa_float_denorm_mode_16_64 3
		.amdhsa_dx10_clamp 1
		.amdhsa_ieee_mode 1
		.amdhsa_fp16_overflow 0
		.amdhsa_workgroup_processor_mode 1
		.amdhsa_memory_ordered 1
		.amdhsa_forward_progress 0
		.amdhsa_shared_vgpr_count 0
		.amdhsa_exception_fp_ieee_invalid_op 0
		.amdhsa_exception_fp_denorm_src 0
		.amdhsa_exception_fp_ieee_div_zero 0
		.amdhsa_exception_fp_ieee_overflow 0
		.amdhsa_exception_fp_ieee_underflow 0
		.amdhsa_exception_fp_ieee_inexact 0
		.amdhsa_exception_int_div_zero 0
	.end_amdhsa_kernel
	.section	.text._ZN2at6native29vectorized_elementwise_kernelILi4EZZZNS0_15exp_kernel_cudaERNS_18TensorIteratorBaseEENKUlvE0_clEvENKUlvE1_clEvEUlN3c104HalfEE_St5arrayIPcLm2EEEEviT0_T1_,"axG",@progbits,_ZN2at6native29vectorized_elementwise_kernelILi4EZZZNS0_15exp_kernel_cudaERNS_18TensorIteratorBaseEENKUlvE0_clEvENKUlvE1_clEvEUlN3c104HalfEE_St5arrayIPcLm2EEEEviT0_T1_,comdat
.Lfunc_end92:
	.size	_ZN2at6native29vectorized_elementwise_kernelILi4EZZZNS0_15exp_kernel_cudaERNS_18TensorIteratorBaseEENKUlvE0_clEvENKUlvE1_clEvEUlN3c104HalfEE_St5arrayIPcLm2EEEEviT0_T1_, .Lfunc_end92-_ZN2at6native29vectorized_elementwise_kernelILi4EZZZNS0_15exp_kernel_cudaERNS_18TensorIteratorBaseEENKUlvE0_clEvENKUlvE1_clEvEUlN3c104HalfEE_St5arrayIPcLm2EEEEviT0_T1_
                                        ; -- End function
	.section	.AMDGPU.csdata,"",@progbits
; Kernel info:
; codeLenInByte = 3348
; NumSgprs: 18
; NumVgprs: 38
; ScratchSize: 0
; MemoryBound: 0
; FloatMode: 240
; IeeeMode: 1
; LDSByteSize: 0 bytes/workgroup (compile time only)
; SGPRBlocks: 2
; VGPRBlocks: 4
; NumSGPRsForWavesPerEU: 18
; NumVGPRsForWavesPerEU: 38
; Occupancy: 16
; WaveLimiterHint : 1
; COMPUTE_PGM_RSRC2:SCRATCH_EN: 0
; COMPUTE_PGM_RSRC2:USER_SGPR: 15
; COMPUTE_PGM_RSRC2:TRAP_HANDLER: 0
; COMPUTE_PGM_RSRC2:TGID_X_EN: 1
; COMPUTE_PGM_RSRC2:TGID_Y_EN: 0
; COMPUTE_PGM_RSRC2:TGID_Z_EN: 0
; COMPUTE_PGM_RSRC2:TIDIG_COMP_CNT: 0
	.section	.text._ZN2at6native29vectorized_elementwise_kernelILi2EZZZNS0_15exp_kernel_cudaERNS_18TensorIteratorBaseEENKUlvE0_clEvENKUlvE1_clEvEUlN3c104HalfEE_St5arrayIPcLm2EEEEviT0_T1_,"axG",@progbits,_ZN2at6native29vectorized_elementwise_kernelILi2EZZZNS0_15exp_kernel_cudaERNS_18TensorIteratorBaseEENKUlvE0_clEvENKUlvE1_clEvEUlN3c104HalfEE_St5arrayIPcLm2EEEEviT0_T1_,comdat
	.globl	_ZN2at6native29vectorized_elementwise_kernelILi2EZZZNS0_15exp_kernel_cudaERNS_18TensorIteratorBaseEENKUlvE0_clEvENKUlvE1_clEvEUlN3c104HalfEE_St5arrayIPcLm2EEEEviT0_T1_ ; -- Begin function _ZN2at6native29vectorized_elementwise_kernelILi2EZZZNS0_15exp_kernel_cudaERNS_18TensorIteratorBaseEENKUlvE0_clEvENKUlvE1_clEvEUlN3c104HalfEE_St5arrayIPcLm2EEEEviT0_T1_
	.p2align	8
	.type	_ZN2at6native29vectorized_elementwise_kernelILi2EZZZNS0_15exp_kernel_cudaERNS_18TensorIteratorBaseEENKUlvE0_clEvENKUlvE1_clEvEUlN3c104HalfEE_St5arrayIPcLm2EEEEviT0_T1_,@function
_ZN2at6native29vectorized_elementwise_kernelILi2EZZZNS0_15exp_kernel_cudaERNS_18TensorIteratorBaseEENKUlvE0_clEvENKUlvE1_clEvEUlN3c104HalfEE_St5arrayIPcLm2EEEEviT0_T1_: ; @_ZN2at6native29vectorized_elementwise_kernelILi2EZZZNS0_15exp_kernel_cudaERNS_18TensorIteratorBaseEENKUlvE0_clEvENKUlvE1_clEvEUlN3c104HalfEE_St5arrayIPcLm2EEEEviT0_T1_
; %bb.0:
	s_clause 0x1
	s_load_b32 s3, s[0:1], 0x0
	s_load_b128 s[4:7], s[0:1], 0x8
	s_lshl_b32 s2, s15, 11
	s_waitcnt lgkmcnt(0)
	s_sub_i32 s8, s3, s2
	s_mov_b32 s3, -1
	s_cmpk_gt_i32 s8, 0x7ff
	s_cbranch_scc0 .LBB93_2
; %bb.1:
	s_ashr_i32 s3, s2, 31
	v_lshlrev_b32_e32 v1, 2, v0
	s_lshl_b64 s[0:1], s[2:3], 1
	s_mov_b32 s3, 0x3fb8aa3b
	s_add_u32 s10, s6, s0
	s_addc_u32 s11, s7, s1
	s_mov_b32 s9, 0x32a5705f
	s_clause 0x3
	global_load_b32 v2, v1, s[10:11]
	global_load_b32 v3, v1, s[10:11] offset:1024
	global_load_b32 v4, v1, s[10:11] offset:2048
	;; [unrolled: 1-line block ×3, first 2 shown]
	s_add_u32 s0, s4, s0
	s_addc_u32 s1, s5, s1
	s_waitcnt vmcnt(3)
	v_cvt_f32_f16_e32 v9, v2
	v_lshrrev_b32_e32 v6, 16, v2
	s_waitcnt vmcnt(2)
	v_cvt_f32_f16_e32 v11, v3
	s_waitcnt vmcnt(0)
	v_lshrrev_b32_e32 v10, 16, v5
	v_cvt_f32_f16_e32 v13, v5
	v_mul_f32_e32 v14, 0x3fb8aa3b, v9
	v_lshrrev_b32_e32 v7, 16, v3
	v_cvt_f32_f16_e32 v12, v4
	v_cvt_f32_f16_e32 v6, v6
	v_mul_f32_e32 v15, 0x3fb8aa3b, v11
	v_mul_f32_e32 v17, 0x3fb8aa3b, v13
	v_cvt_f32_f16_e32 v10, v10
	v_fma_mix_f32 v18, v2, s3, -v14 op_sel_hi:[1,0,0]
	v_mul_f32_e32 v20, 0x3fb8aa3b, v6
	v_rndne_f32_e32 v19, v14
	v_lshrrev_b32_e32 v8, 16, v4
	v_cvt_f32_f16_e32 v7, v7
	v_mul_f32_e32 v16, 0x3fb8aa3b, v12
	v_fma_mix_f32 v21, v3, s3, -v15 op_sel_hi:[1,0,0]
	v_rndne_f32_e32 v22, v15
	v_rndne_f32_e32 v28, v17
	v_dual_mul_f32 v29, 0x3fb8aa3b, v10 :: v_dual_sub_f32 v14, v14, v19
	v_fma_mix_f32 v18, v2, s9, v18 op_sel_hi:[1,0,0]
	v_cvt_f32_f16_e32 v8, v8
	v_mul_f32_e32 v23, 0x3fb8aa3b, v7
	v_fma_mix_f32 v24, v4, s3, -v16 op_sel_hi:[1,0,0]
	v_rndne_f32_e32 v25, v16
	v_fma_mix_f32 v27, v5, s3, -v17 op_sel_hi:[1,0,0]
	v_mul_f32_e32 v26, 0x3fb8aa3b, v8
	v_rndne_f32_e32 v31, v20
	v_fma_mix_f32 v21, v3, s9, v21 op_sel_hi:[1,0,0]
	v_dual_sub_f32 v15, v15, v22 :: v_dual_sub_f32 v16, v16, v25
	v_dual_sub_f32 v17, v17, v28 :: v_dual_add_f32 v14, v14, v18
	v_rndne_f32_e32 v33, v23
	v_fma_mix_f32 v24, v4, s9, v24 op_sel_hi:[1,0,0]
	s_delay_alu instid0(VALU_DEP_4) | instskip(NEXT) | instid1(VALU_DEP_4)
	v_dual_sub_f32 v18, v20, v31 :: v_dual_add_f32 v15, v15, v21
	v_exp_f32_e32 v14, v14
	v_cvt_i32_f32_e32 v19, v19
	v_fma_mix_f32 v30, v2, s3, -v20 op_sel:[1,0,0] op_sel_hi:[1,0,0]
	v_rndne_f32_e32 v35, v26
	v_fma_mix_f32 v27, v5, s9, v27 op_sel_hi:[1,0,0]
	v_fma_mix_f32 v36, v5, s3, -v29 op_sel:[1,0,0] op_sel_hi:[1,0,0]
	v_rndne_f32_e32 v37, v29
	v_dual_sub_f32 v21, v23, v33 :: v_dual_add_f32 v16, v16, v24
	v_exp_f32_e32 v15, v15
	v_cvt_i32_f32_e32 v22, v22
	v_fma_mix_f32 v2, v2, s9, v30 op_sel:[1,0,0] op_sel_hi:[1,0,0]
	v_sub_f32_e32 v24, v26, v35
	v_add_f32_e32 v17, v17, v27
	v_fma_mix_f32 v5, v5, s9, v36 op_sel:[1,0,0] op_sel_hi:[1,0,0]
	s_delay_alu instid0(VALU_DEP_4)
	v_dual_sub_f32 v27, v29, v37 :: v_dual_add_f32 v2, v18, v2
	v_exp_f32_e32 v16, v16
	v_ldexp_f32 v14, v14, v19
	v_cmp_ngt_f32_e32 vcc_lo, 0xc2ce8ed0, v9
	v_cvt_i32_f32_e32 v25, v25
	v_exp_f32_e32 v17, v17
	v_add_f32_e32 v5, v27, v5
	v_ldexp_f32 v15, v15, v22
	v_cndmask_b32_e32 v14, 0, v14, vcc_lo
	v_cmp_ngt_f32_e32 vcc_lo, 0xc2ce8ed0, v11
	v_fma_mix_f32 v32, v3, s3, -v23 op_sel:[1,0,0] op_sel_hi:[1,0,0]
	v_cvt_i32_f32_e32 v28, v28
	v_exp_f32_e32 v2, v2
	v_ldexp_f32 v16, v16, v25
	v_cndmask_b32_e32 v15, 0, v15, vcc_lo
	v_cmp_ngt_f32_e32 vcc_lo, 0xc2ce8ed0, v12
	v_fma_mix_f32 v34, v4, s3, -v26 op_sel:[1,0,0] op_sel_hi:[1,0,0]
	v_cvt_i32_f32_e32 v20, v31
	v_fma_mix_f32 v3, v3, s9, v32 op_sel:[1,0,0] op_sel_hi:[1,0,0]
	v_ldexp_f32 v17, v17, v28
	v_cndmask_b32_e32 v16, 0, v16, vcc_lo
	v_cmp_ngt_f32_e32 vcc_lo, 0xc2ce8ed0, v13
	v_fma_mix_f32 v4, v4, s9, v34 op_sel:[1,0,0] op_sel_hi:[1,0,0]
	v_add_f32_e32 v3, v21, v3
	v_ldexp_f32 v2, v2, v20
	v_cvt_i32_f32_e32 v23, v33
	v_cndmask_b32_e32 v17, 0, v17, vcc_lo
	v_cmp_nlt_f32_e32 vcc_lo, 0x42b17218, v9
	v_add_f32_e32 v4, v24, v4
	v_exp_f32_e32 v3, v3
	v_cvt_i32_f32_e32 v26, v35
	v_exp_f32_e32 v5, v5
	v_cndmask_b32_e32 v9, 0x7f800000, v14, vcc_lo
	v_cmp_ngt_f32_e32 vcc_lo, 0xc2ce8ed0, v6
	v_exp_f32_e32 v4, v4
	v_cvt_i32_f32_e32 v18, v37
	s_mov_b32 s3, 0
	v_cndmask_b32_e32 v2, 0, v2, vcc_lo
	v_cmp_nlt_f32_e32 vcc_lo, 0x42b17218, v11
	v_ldexp_f32 v3, v3, v23
	s_delay_alu instid0(TRANS32_DEP_2) | instskip(SKIP_2) | instid1(TRANS32_DEP_1)
	v_ldexp_f32 v5, v5, v18
	v_cndmask_b32_e32 v11, 0x7f800000, v15, vcc_lo
	v_cmp_ngt_f32_e32 vcc_lo, 0xc2ce8ed0, v7
	v_ldexp_f32 v4, v4, v26
	v_cndmask_b32_e32 v3, 0, v3, vcc_lo
	v_cmp_nlt_f32_e32 vcc_lo, 0x42b17218, v12
	v_cndmask_b32_e32 v12, 0x7f800000, v16, vcc_lo
	v_cmp_ngt_f32_e32 vcc_lo, 0xc2ce8ed0, v8
	v_cndmask_b32_e32 v4, 0, v4, vcc_lo
	v_cmp_nlt_f32_e32 vcc_lo, 0x42b17218, v13
	v_cndmask_b32_e32 v13, 0x7f800000, v17, vcc_lo
	v_cmp_ngt_f32_e32 vcc_lo, 0xc2ce8ed0, v10
	v_cndmask_b32_e32 v5, 0, v5, vcc_lo
	v_cmp_nlt_f32_e32 vcc_lo, 0x42b17218, v6
	v_cndmask_b32_e32 v2, 0x7f800000, v2, vcc_lo
	v_cmp_nlt_f32_e32 vcc_lo, 0x42b17218, v7
	s_delay_alu instid0(VALU_DEP_2) | instskip(SKIP_3) | instid1(VALU_DEP_4)
	v_cvt_f16_f32_e32 v2, v2
	v_cndmask_b32_e32 v3, 0x7f800000, v3, vcc_lo
	v_cmp_nlt_f32_e32 vcc_lo, 0x42b17218, v8
	v_cvt_f16_f32_e32 v8, v13
	v_lshlrev_b32_e32 v2, 16, v2
	v_cvt_f16_f32_e32 v6, v11
	v_cndmask_b32_e32 v4, 0x7f800000, v4, vcc_lo
	v_cmp_nlt_f32_e32 vcc_lo, 0x42b17218, v10
	v_cvt_f16_f32_e32 v3, v3
	v_and_b32_e32 v8, 0xffff, v8
	v_and_b32_e32 v6, 0xffff, v6
	v_cvt_f16_f32_e32 v4, v4
	v_cndmask_b32_e32 v5, 0x7f800000, v5, vcc_lo
	v_lshlrev_b32_e32 v3, 16, v3
	v_cvt_f16_f32_e32 v7, v12
	s_delay_alu instid0(VALU_DEP_4) | instskip(SKIP_2) | instid1(VALU_DEP_4)
	v_lshlrev_b32_e32 v4, 16, v4
	v_cvt_f16_f32_e32 v9, v9
	v_cvt_f16_f32_e32 v5, v5
	v_and_b32_e32 v7, 0xffff, v7
	v_or_b32_e32 v3, v3, v6
	s_delay_alu instid0(VALU_DEP_4) | instskip(NEXT) | instid1(VALU_DEP_4)
	v_and_b32_e32 v9, 0xffff, v9
	v_lshlrev_b32_e32 v5, 16, v5
	s_delay_alu instid0(VALU_DEP_4) | instskip(NEXT) | instid1(VALU_DEP_3)
	v_or_b32_e32 v4, v4, v7
	v_or_b32_e32 v2, v2, v9
	s_delay_alu instid0(VALU_DEP_3)
	v_or_b32_e32 v5, v5, v8
	s_clause 0x3
	global_store_b32 v1, v2, s[0:1]
	global_store_b32 v1, v3, s[0:1] offset:1024
	global_store_b32 v1, v4, s[0:1] offset:2048
	;; [unrolled: 1-line block ×3, first 2 shown]
.LBB93_2:
	s_and_not1_b32 vcc_lo, exec_lo, s3
	s_cbranch_vccnz .LBB93_26
; %bb.3:
	v_cmp_gt_i32_e32 vcc_lo, s8, v0
	v_dual_mov_b32 v8, 0 :: v_dual_mov_b32 v11, 0
	v_or_b32_e32 v1, s2, v0
	v_or_b32_e32 v10, 0x100, v0
	v_mov_b32_e32 v2, v0
	s_and_saveexec_b32 s1, vcc_lo
	s_cbranch_execz .LBB93_5
; %bb.4:
	v_mov_b32_e32 v2, 0
	s_delay_alu instid0(VALU_DEP_1) | instskip(NEXT) | instid1(VALU_DEP_1)
	v_lshlrev_b64 v[2:3], 1, v[1:2]
	v_add_co_u32 v2, s0, s6, v2
	s_delay_alu instid0(VALU_DEP_1)
	v_add_co_ci_u32_e64 v3, s0, s7, v3, s0
	global_load_u16 v3, v[2:3], off
	v_or_b32_e32 v2, 0x100, v0
	s_waitcnt vmcnt(0)
	v_cvt_f32_f16_e32 v11, v3
.LBB93_5:
	s_or_b32 exec_lo, exec_lo, s1
	s_delay_alu instid0(SALU_CYCLE_1)
	s_mov_b32 s1, exec_lo
	v_cmpx_gt_i32_e64 s8, v2
	s_cbranch_execz .LBB93_7
; %bb.6:
	v_dual_mov_b32 v4, 0 :: v_dual_add_nc_u32 v3, s2, v2
	v_add_nc_u32_e32 v2, 0x100, v2
	s_delay_alu instid0(VALU_DEP_2) | instskip(NEXT) | instid1(VALU_DEP_1)
	v_lshlrev_b64 v[3:4], 1, v[3:4]
	v_add_co_u32 v3, s0, s6, v3
	s_delay_alu instid0(VALU_DEP_1)
	v_add_co_ci_u32_e64 v4, s0, s7, v4, s0
	global_load_u16 v3, v[3:4], off
	s_waitcnt vmcnt(0)
	v_cvt_f32_f16_e32 v8, v3
.LBB93_7:
	s_or_b32 exec_lo, exec_lo, s1
	v_dual_mov_b32 v6, 0 :: v_dual_mov_b32 v9, 0
	s_mov_b32 s1, exec_lo
	v_cmpx_gt_i32_e64 s8, v2
	s_cbranch_execz .LBB93_9
; %bb.8:
	v_dual_mov_b32 v4, 0 :: v_dual_add_nc_u32 v3, s2, v2
	v_add_nc_u32_e32 v2, 0x100, v2
	s_delay_alu instid0(VALU_DEP_2) | instskip(NEXT) | instid1(VALU_DEP_1)
	v_lshlrev_b64 v[3:4], 1, v[3:4]
	v_add_co_u32 v3, s0, s6, v3
	s_delay_alu instid0(VALU_DEP_1)
	v_add_co_ci_u32_e64 v4, s0, s7, v4, s0
	global_load_u16 v3, v[3:4], off
	s_waitcnt vmcnt(0)
	v_cvt_f32_f16_e32 v9, v3
.LBB93_9:
	s_or_b32 exec_lo, exec_lo, s1
	s_delay_alu instid0(SALU_CYCLE_1)
	s_mov_b32 s1, exec_lo
	v_cmpx_gt_i32_e64 s8, v2
	s_cbranch_execz .LBB93_11
; %bb.10:
	v_dual_mov_b32 v4, 0 :: v_dual_add_nc_u32 v3, s2, v2
	v_add_nc_u32_e32 v2, 0x100, v2
	s_delay_alu instid0(VALU_DEP_2) | instskip(NEXT) | instid1(VALU_DEP_1)
	v_lshlrev_b64 v[3:4], 1, v[3:4]
	v_add_co_u32 v3, s0, s6, v3
	s_delay_alu instid0(VALU_DEP_1)
	v_add_co_ci_u32_e64 v4, s0, s7, v4, s0
	global_load_u16 v3, v[3:4], off
	s_waitcnt vmcnt(0)
	v_cvt_f32_f16_e32 v6, v3
.LBB93_11:
	s_or_b32 exec_lo, exec_lo, s1
	v_dual_mov_b32 v4, 0 :: v_dual_mov_b32 v7, 0
	s_mov_b32 s1, exec_lo
	v_cmpx_gt_i32_e64 s8, v2
	s_cbranch_execz .LBB93_13
; %bb.12:
	v_dual_mov_b32 v13, 0 :: v_dual_add_nc_u32 v12, s2, v2
	v_add_nc_u32_e32 v2, 0x100, v2
	s_delay_alu instid0(VALU_DEP_2) | instskip(NEXT) | instid1(VALU_DEP_1)
	v_lshlrev_b64 v[12:13], 1, v[12:13]
	v_add_co_u32 v12, s0, s6, v12
	s_delay_alu instid0(VALU_DEP_1)
	v_add_co_ci_u32_e64 v13, s0, s7, v13, s0
	global_load_u16 v3, v[12:13], off
	s_waitcnt vmcnt(0)
	v_cvt_f32_f16_e32 v7, v3
.LBB93_13:
	s_or_b32 exec_lo, exec_lo, s1
	s_delay_alu instid0(SALU_CYCLE_1)
	s_mov_b32 s1, exec_lo
	v_cmpx_gt_i32_e64 s8, v2
	s_cbranch_execz .LBB93_15
; %bb.14:
	v_dual_mov_b32 v4, 0 :: v_dual_add_nc_u32 v3, s2, v2
	v_add_nc_u32_e32 v2, 0x100, v2
	s_delay_alu instid0(VALU_DEP_2) | instskip(NEXT) | instid1(VALU_DEP_1)
	v_lshlrev_b64 v[3:4], 1, v[3:4]
	v_add_co_u32 v3, s0, s6, v3
	s_delay_alu instid0(VALU_DEP_1)
	v_add_co_ci_u32_e64 v4, s0, s7, v4, s0
	global_load_u16 v3, v[3:4], off
	s_waitcnt vmcnt(0)
	v_cvt_f32_f16_e32 v4, v3
.LBB93_15:
	s_or_b32 exec_lo, exec_lo, s1
	v_mov_b32_e32 v3, 0
	v_mov_b32_e32 v5, 0
	s_mov_b32 s1, exec_lo
	v_cmpx_gt_i32_e64 s8, v2
	s_cbranch_execnz .LBB93_27
; %bb.16:
	s_or_b32 exec_lo, exec_lo, s1
	s_delay_alu instid0(SALU_CYCLE_1)
	s_mov_b32 s1, exec_lo
	v_cmpx_gt_i32_e64 s8, v2
	s_cbranch_execnz .LBB93_28
.LBB93_17:
	s_or_b32 exec_lo, exec_lo, s1
	s_and_saveexec_b32 s0, vcc_lo
	s_cbranch_execnz .LBB93_29
.LBB93_18:
	s_or_b32 exec_lo, exec_lo, s0
	s_delay_alu instid0(SALU_CYCLE_1)
	s_mov_b32 s0, exec_lo
	v_cmpx_gt_i32_e64 s8, v0
	s_cbranch_execnz .LBB93_30
.LBB93_19:
	s_or_b32 exec_lo, exec_lo, s0
	s_delay_alu instid0(SALU_CYCLE_1)
	s_mov_b32 s0, exec_lo
	v_cmpx_gt_i32_e64 s8, v0
	s_cbranch_execnz .LBB93_31
.LBB93_20:
	s_or_b32 exec_lo, exec_lo, s0
	s_delay_alu instid0(SALU_CYCLE_1)
	s_mov_b32 s0, exec_lo
	v_cmpx_gt_i32_e64 s8, v0
	s_cbranch_execnz .LBB93_32
.LBB93_21:
	s_or_b32 exec_lo, exec_lo, s0
	s_delay_alu instid0(SALU_CYCLE_1)
	s_mov_b32 s0, exec_lo
	v_cmpx_gt_i32_e64 s8, v0
	s_cbranch_execnz .LBB93_33
.LBB93_22:
	s_or_b32 exec_lo, exec_lo, s0
	s_delay_alu instid0(SALU_CYCLE_1)
	s_mov_b32 s0, exec_lo
	v_cmpx_gt_i32_e64 s8, v0
	s_cbranch_execnz .LBB93_34
.LBB93_23:
	s_or_b32 exec_lo, exec_lo, s0
	s_delay_alu instid0(SALU_CYCLE_1)
	s_mov_b32 s0, exec_lo
	v_cmpx_gt_i32_e64 s8, v0
	s_cbranch_execnz .LBB93_35
.LBB93_24:
	s_or_b32 exec_lo, exec_lo, s0
	s_delay_alu instid0(SALU_CYCLE_1)
	s_mov_b32 s0, exec_lo
	v_cmpx_gt_i32_e64 s8, v0
	s_cbranch_execz .LBB93_26
.LBB93_25:
	v_dual_mul_f32 v1, 0x3fb8aa3b, v3 :: v_dual_add_nc_u32 v0, s2, v0
	v_cmp_ngt_f32_e32 vcc_lo, 0xc2ce8ed0, v3
	s_delay_alu instid0(VALU_DEP_2) | instskip(SKIP_1) | instid1(VALU_DEP_1)
	v_rndne_f32_e32 v2, v1
	v_fma_f32 v4, 0x3fb8aa3b, v3, -v1
	v_dual_sub_f32 v1, v1, v2 :: v_dual_fmamk_f32 v4, v3, 0x32a5705f, v4
	v_cvt_i32_f32_e32 v2, v2
	s_delay_alu instid0(VALU_DEP_2) | instskip(NEXT) | instid1(VALU_DEP_1)
	v_add_f32_e32 v1, v1, v4
	v_exp_f32_e32 v1, v1
	s_waitcnt_depctr 0xfff
	v_ldexp_f32 v1, v1, v2
	s_delay_alu instid0(VALU_DEP_1) | instskip(SKIP_1) | instid1(VALU_DEP_2)
	v_dual_cndmask_b32 v2, 0, v1 :: v_dual_mov_b32 v1, 0
	v_cmp_nlt_f32_e32 vcc_lo, 0x42b17218, v3
	v_lshlrev_b64 v[0:1], 1, v[0:1]
	s_delay_alu instid0(VALU_DEP_3) | instskip(NEXT) | instid1(VALU_DEP_1)
	v_cndmask_b32_e32 v2, 0x7f800000, v2, vcc_lo
	v_cvt_f16_f32_e32 v2, v2
	s_delay_alu instid0(VALU_DEP_3) | instskip(NEXT) | instid1(VALU_DEP_4)
	v_add_co_u32 v0, vcc_lo, s4, v0
	v_add_co_ci_u32_e32 v1, vcc_lo, s5, v1, vcc_lo
	global_store_b16 v[0:1], v2, off
.LBB93_26:
	s_nop 0
	s_sendmsg sendmsg(MSG_DEALLOC_VGPRS)
	s_endpgm
.LBB93_27:
	v_dual_mov_b32 v13, 0 :: v_dual_add_nc_u32 v12, s2, v2
	v_add_nc_u32_e32 v2, 0x100, v2
	s_delay_alu instid0(VALU_DEP_2) | instskip(NEXT) | instid1(VALU_DEP_1)
	v_lshlrev_b64 v[12:13], 1, v[12:13]
	v_add_co_u32 v12, s0, s6, v12
	s_delay_alu instid0(VALU_DEP_1) | instskip(SKIP_4) | instid1(SALU_CYCLE_1)
	v_add_co_ci_u32_e64 v13, s0, s7, v13, s0
	global_load_u16 v5, v[12:13], off
	s_waitcnt vmcnt(0)
	v_cvt_f32_f16_e32 v5, v5
	s_or_b32 exec_lo, exec_lo, s1
	s_mov_b32 s1, exec_lo
	v_cmpx_gt_i32_e64 s8, v2
	s_cbranch_execz .LBB93_17
.LBB93_28:
	v_dual_mov_b32 v3, 0 :: v_dual_add_nc_u32 v2, s2, v2
	s_delay_alu instid0(VALU_DEP_1) | instskip(NEXT) | instid1(VALU_DEP_1)
	v_lshlrev_b64 v[2:3], 1, v[2:3]
	v_add_co_u32 v2, s0, s6, v2
	s_delay_alu instid0(VALU_DEP_1)
	v_add_co_ci_u32_e64 v3, s0, s7, v3, s0
	global_load_u16 v2, v[2:3], off
	s_waitcnt vmcnt(0)
	v_cvt_f32_f16_e32 v3, v2
	s_or_b32 exec_lo, exec_lo, s1
	s_and_saveexec_b32 s0, vcc_lo
	s_cbranch_execz .LBB93_18
.LBB93_29:
	v_mul_f32_e32 v0, 0x3fb8aa3b, v11
	v_cmp_ngt_f32_e32 vcc_lo, 0xc2ce8ed0, v11
	s_delay_alu instid0(VALU_DEP_2) | instskip(SKIP_1) | instid1(VALU_DEP_2)
	v_rndne_f32_e32 v2, v0
	v_fma_f32 v12, 0x3fb8aa3b, v11, -v0
	v_sub_f32_e32 v0, v0, v2
	s_delay_alu instid0(VALU_DEP_2) | instskip(SKIP_1) | instid1(VALU_DEP_2)
	v_fmamk_f32 v12, v11, 0x32a5705f, v12
	v_cvt_i32_f32_e32 v2, v2
	v_add_f32_e32 v0, v0, v12
	s_delay_alu instid0(VALU_DEP_1) | instskip(SKIP_2) | instid1(VALU_DEP_1)
	v_exp_f32_e32 v0, v0
	s_waitcnt_depctr 0xfff
	v_ldexp_f32 v0, v0, v2
	v_cndmask_b32_e32 v0, 0, v0, vcc_lo
	v_cmp_nlt_f32_e32 vcc_lo, 0x42b17218, v11
	s_delay_alu instid0(VALU_DEP_2) | instskip(NEXT) | instid1(VALU_DEP_1)
	v_dual_mov_b32 v2, 0 :: v_dual_cndmask_b32 v11, 0x7f800000, v0
	v_lshlrev_b64 v[0:1], 1, v[1:2]
	s_delay_alu instid0(VALU_DEP_2) | instskip(NEXT) | instid1(VALU_DEP_2)
	v_cvt_f16_f32_e32 v2, v11
	v_add_co_u32 v11, vcc_lo, s4, v0
	s_delay_alu instid0(VALU_DEP_3) | instskip(SKIP_3) | instid1(SALU_CYCLE_1)
	v_add_co_ci_u32_e32 v12, vcc_lo, s5, v1, vcc_lo
	v_mov_b32_e32 v0, v10
	global_store_b16 v[11:12], v2, off
	s_or_b32 exec_lo, exec_lo, s0
	s_mov_b32 s0, exec_lo
	v_cmpx_gt_i32_e64 s8, v0
	s_cbranch_execz .LBB93_19
.LBB93_30:
	v_cmp_ngt_f32_e32 vcc_lo, 0xc2ce8ed0, v8
	v_mul_f32_e32 v1, 0x3fb8aa3b, v8
	s_delay_alu instid0(VALU_DEP_1) | instskip(SKIP_1) | instid1(VALU_DEP_1)
	v_rndne_f32_e32 v2, v1
	v_fma_f32 v10, 0x3fb8aa3b, v8, -v1
	v_dual_sub_f32 v1, v1, v2 :: v_dual_fmamk_f32 v10, v8, 0x32a5705f, v10
	v_cvt_i32_f32_e32 v2, v2
	s_delay_alu instid0(VALU_DEP_2) | instskip(NEXT) | instid1(VALU_DEP_1)
	v_add_f32_e32 v1, v1, v10
	v_exp_f32_e32 v1, v1
	s_waitcnt_depctr 0xfff
	v_ldexp_f32 v2, v1, v2
	v_add_nc_u32_e32 v1, s2, v0
	v_add_nc_u32_e32 v0, 0x100, v0
	s_delay_alu instid0(VALU_DEP_3) | instskip(SKIP_2) | instid1(VALU_DEP_2)
	v_cndmask_b32_e32 v10, 0, v2, vcc_lo
	v_mov_b32_e32 v2, 0
	v_cmp_nlt_f32_e32 vcc_lo, 0x42b17218, v8
	v_lshlrev_b64 v[1:2], 1, v[1:2]
	s_delay_alu instid0(VALU_DEP_4) | instskip(NEXT) | instid1(VALU_DEP_1)
	v_cndmask_b32_e32 v8, 0x7f800000, v10, vcc_lo
	v_cvt_f16_f32_e32 v8, v8
	s_delay_alu instid0(VALU_DEP_3) | instskip(NEXT) | instid1(VALU_DEP_4)
	v_add_co_u32 v1, vcc_lo, s4, v1
	v_add_co_ci_u32_e32 v2, vcc_lo, s5, v2, vcc_lo
	global_store_b16 v[1:2], v8, off
	s_or_b32 exec_lo, exec_lo, s0
	s_delay_alu instid0(SALU_CYCLE_1)
	s_mov_b32 s0, exec_lo
	v_cmpx_gt_i32_e64 s8, v0
	s_cbranch_execz .LBB93_20
.LBB93_31:
	v_cmp_ngt_f32_e32 vcc_lo, 0xc2ce8ed0, v9
	v_mul_f32_e32 v1, 0x3fb8aa3b, v9
	s_delay_alu instid0(VALU_DEP_1) | instskip(SKIP_1) | instid1(VALU_DEP_2)
	v_rndne_f32_e32 v2, v1
	v_fma_f32 v8, 0x3fb8aa3b, v9, -v1
	v_sub_f32_e32 v1, v1, v2
	s_delay_alu instid0(VALU_DEP_2) | instskip(SKIP_1) | instid1(VALU_DEP_2)
	v_fmamk_f32 v8, v9, 0x32a5705f, v8
	v_cvt_i32_f32_e32 v2, v2
	v_add_f32_e32 v1, v1, v8
	s_delay_alu instid0(VALU_DEP_1) | instskip(SKIP_4) | instid1(VALU_DEP_3)
	v_exp_f32_e32 v1, v1
	s_waitcnt_depctr 0xfff
	v_ldexp_f32 v2, v1, v2
	v_add_nc_u32_e32 v1, s2, v0
	v_add_nc_u32_e32 v0, 0x100, v0
	v_cndmask_b32_e32 v8, 0, v2, vcc_lo
	v_mov_b32_e32 v2, 0
	v_cmp_nlt_f32_e32 vcc_lo, 0x42b17218, v9
	s_delay_alu instid0(VALU_DEP_2) | instskip(NEXT) | instid1(VALU_DEP_4)
	v_lshlrev_b64 v[1:2], 1, v[1:2]
	v_cndmask_b32_e32 v8, 0x7f800000, v8, vcc_lo
	s_delay_alu instid0(VALU_DEP_1) | instskip(NEXT) | instid1(VALU_DEP_3)
	v_cvt_f16_f32_e32 v8, v8
	v_add_co_u32 v1, vcc_lo, s4, v1
	s_delay_alu instid0(VALU_DEP_4) | instskip(SKIP_2) | instid1(SALU_CYCLE_1)
	v_add_co_ci_u32_e32 v2, vcc_lo, s5, v2, vcc_lo
	global_store_b16 v[1:2], v8, off
	s_or_b32 exec_lo, exec_lo, s0
	s_mov_b32 s0, exec_lo
	v_cmpx_gt_i32_e64 s8, v0
	s_cbranch_execz .LBB93_21
.LBB93_32:
	v_mul_f32_e32 v1, 0x3fb8aa3b, v6
	v_cmp_ngt_f32_e32 vcc_lo, 0xc2ce8ed0, v6
	s_delay_alu instid0(VALU_DEP_2) | instskip(SKIP_1) | instid1(VALU_DEP_1)
	v_rndne_f32_e32 v2, v1
	v_fma_f32 v8, 0x3fb8aa3b, v6, -v1
	v_dual_sub_f32 v1, v1, v2 :: v_dual_fmamk_f32 v8, v6, 0x32a5705f, v8
	v_cvt_i32_f32_e32 v2, v2
	s_delay_alu instid0(VALU_DEP_2) | instskip(NEXT) | instid1(VALU_DEP_1)
	v_add_f32_e32 v1, v1, v8
	v_exp_f32_e32 v1, v1
	s_waitcnt_depctr 0xfff
	v_ldexp_f32 v2, v1, v2
	v_add_nc_u32_e32 v1, s2, v0
	v_add_nc_u32_e32 v0, 0x100, v0
	s_delay_alu instid0(VALU_DEP_3) | instskip(SKIP_2) | instid1(VALU_DEP_2)
	v_cndmask_b32_e32 v8, 0, v2, vcc_lo
	v_mov_b32_e32 v2, 0
	v_cmp_nlt_f32_e32 vcc_lo, 0x42b17218, v6
	v_lshlrev_b64 v[1:2], 1, v[1:2]
	s_delay_alu instid0(VALU_DEP_4) | instskip(NEXT) | instid1(VALU_DEP_1)
	v_cndmask_b32_e32 v6, 0x7f800000, v8, vcc_lo
	v_cvt_f16_f32_e32 v6, v6
	s_delay_alu instid0(VALU_DEP_3) | instskip(NEXT) | instid1(VALU_DEP_4)
	v_add_co_u32 v1, vcc_lo, s4, v1
	v_add_co_ci_u32_e32 v2, vcc_lo, s5, v2, vcc_lo
	global_store_b16 v[1:2], v6, off
	s_or_b32 exec_lo, exec_lo, s0
	s_delay_alu instid0(SALU_CYCLE_1)
	s_mov_b32 s0, exec_lo
	v_cmpx_gt_i32_e64 s8, v0
	s_cbranch_execz .LBB93_22
.LBB93_33:
	v_cmp_ngt_f32_e32 vcc_lo, 0xc2ce8ed0, v7
	v_mul_f32_e32 v1, 0x3fb8aa3b, v7
	s_delay_alu instid0(VALU_DEP_1) | instskip(SKIP_1) | instid1(VALU_DEP_1)
	v_rndne_f32_e32 v2, v1
	v_fma_f32 v6, 0x3fb8aa3b, v7, -v1
	v_dual_sub_f32 v1, v1, v2 :: v_dual_fmamk_f32 v6, v7, 0x32a5705f, v6
	v_cvt_i32_f32_e32 v2, v2
	s_delay_alu instid0(VALU_DEP_2) | instskip(NEXT) | instid1(VALU_DEP_1)
	v_add_f32_e32 v1, v1, v6
	v_exp_f32_e32 v1, v1
	s_waitcnt_depctr 0xfff
	v_ldexp_f32 v2, v1, v2
	v_add_nc_u32_e32 v1, s2, v0
	v_add_nc_u32_e32 v0, 0x100, v0
	s_delay_alu instid0(VALU_DEP_3) | instskip(SKIP_2) | instid1(VALU_DEP_2)
	v_cndmask_b32_e32 v6, 0, v2, vcc_lo
	v_mov_b32_e32 v2, 0
	v_cmp_nlt_f32_e32 vcc_lo, 0x42b17218, v7
	v_lshlrev_b64 v[1:2], 1, v[1:2]
	s_delay_alu instid0(VALU_DEP_4) | instskip(NEXT) | instid1(VALU_DEP_1)
	v_cndmask_b32_e32 v6, 0x7f800000, v6, vcc_lo
	v_cvt_f16_f32_e32 v6, v6
	s_delay_alu instid0(VALU_DEP_3) | instskip(NEXT) | instid1(VALU_DEP_4)
	v_add_co_u32 v1, vcc_lo, s4, v1
	v_add_co_ci_u32_e32 v2, vcc_lo, s5, v2, vcc_lo
	global_store_b16 v[1:2], v6, off
	s_or_b32 exec_lo, exec_lo, s0
	s_delay_alu instid0(SALU_CYCLE_1)
	s_mov_b32 s0, exec_lo
	v_cmpx_gt_i32_e64 s8, v0
	s_cbranch_execz .LBB93_23
.LBB93_34:
	v_cmp_ngt_f32_e32 vcc_lo, 0xc2ce8ed0, v4
	v_mul_f32_e32 v1, 0x3fb8aa3b, v4
	s_delay_alu instid0(VALU_DEP_1) | instskip(SKIP_1) | instid1(VALU_DEP_1)
	v_rndne_f32_e32 v2, v1
	v_fma_f32 v6, 0x3fb8aa3b, v4, -v1
	v_dual_sub_f32 v1, v1, v2 :: v_dual_fmamk_f32 v6, v4, 0x32a5705f, v6
	v_cvt_i32_f32_e32 v2, v2
	s_delay_alu instid0(VALU_DEP_2) | instskip(NEXT) | instid1(VALU_DEP_1)
	v_add_f32_e32 v1, v1, v6
	v_exp_f32_e32 v1, v1
	s_waitcnt_depctr 0xfff
	v_ldexp_f32 v2, v1, v2
	v_add_nc_u32_e32 v1, s2, v0
	v_add_nc_u32_e32 v0, 0x100, v0
	s_delay_alu instid0(VALU_DEP_3) | instskip(SKIP_2) | instid1(VALU_DEP_2)
	v_cndmask_b32_e32 v6, 0, v2, vcc_lo
	v_mov_b32_e32 v2, 0
	v_cmp_nlt_f32_e32 vcc_lo, 0x42b17218, v4
	v_lshlrev_b64 v[1:2], 1, v[1:2]
	s_delay_alu instid0(VALU_DEP_4) | instskip(NEXT) | instid1(VALU_DEP_1)
	v_cndmask_b32_e32 v4, 0x7f800000, v6, vcc_lo
	v_cvt_f16_f32_e32 v4, v4
	s_delay_alu instid0(VALU_DEP_3) | instskip(NEXT) | instid1(VALU_DEP_4)
	v_add_co_u32 v1, vcc_lo, s4, v1
	v_add_co_ci_u32_e32 v2, vcc_lo, s5, v2, vcc_lo
	global_store_b16 v[1:2], v4, off
	s_or_b32 exec_lo, exec_lo, s0
	s_delay_alu instid0(SALU_CYCLE_1)
	s_mov_b32 s0, exec_lo
	v_cmpx_gt_i32_e64 s8, v0
	s_cbranch_execz .LBB93_24
.LBB93_35:
	v_cmp_ngt_f32_e32 vcc_lo, 0xc2ce8ed0, v5
	v_mul_f32_e32 v1, 0x3fb8aa3b, v5
	s_delay_alu instid0(VALU_DEP_1) | instskip(SKIP_1) | instid1(VALU_DEP_2)
	v_rndne_f32_e32 v2, v1
	v_fma_f32 v4, 0x3fb8aa3b, v5, -v1
	v_sub_f32_e32 v1, v1, v2
	s_delay_alu instid0(VALU_DEP_2) | instskip(SKIP_1) | instid1(VALU_DEP_2)
	v_fmamk_f32 v4, v5, 0x32a5705f, v4
	v_cvt_i32_f32_e32 v2, v2
	v_add_f32_e32 v1, v1, v4
	s_delay_alu instid0(VALU_DEP_1) | instskip(SKIP_4) | instid1(VALU_DEP_3)
	v_exp_f32_e32 v1, v1
	s_waitcnt_depctr 0xfff
	v_ldexp_f32 v2, v1, v2
	v_add_nc_u32_e32 v1, s2, v0
	v_add_nc_u32_e32 v0, 0x100, v0
	v_cndmask_b32_e32 v4, 0, v2, vcc_lo
	v_mov_b32_e32 v2, 0
	v_cmp_nlt_f32_e32 vcc_lo, 0x42b17218, v5
	s_delay_alu instid0(VALU_DEP_2) | instskip(NEXT) | instid1(VALU_DEP_4)
	v_lshlrev_b64 v[1:2], 1, v[1:2]
	v_cndmask_b32_e32 v4, 0x7f800000, v4, vcc_lo
	s_delay_alu instid0(VALU_DEP_1) | instskip(NEXT) | instid1(VALU_DEP_3)
	v_cvt_f16_f32_e32 v4, v4
	v_add_co_u32 v1, vcc_lo, s4, v1
	s_delay_alu instid0(VALU_DEP_4) | instskip(SKIP_2) | instid1(SALU_CYCLE_1)
	v_add_co_ci_u32_e32 v2, vcc_lo, s5, v2, vcc_lo
	global_store_b16 v[1:2], v4, off
	s_or_b32 exec_lo, exec_lo, s0
	s_mov_b32 s0, exec_lo
	v_cmpx_gt_i32_e64 s8, v0
	s_cbranch_execnz .LBB93_25
	s_branch .LBB93_26
	.section	.rodata,"a",@progbits
	.p2align	6, 0x0
	.amdhsa_kernel _ZN2at6native29vectorized_elementwise_kernelILi2EZZZNS0_15exp_kernel_cudaERNS_18TensorIteratorBaseEENKUlvE0_clEvENKUlvE1_clEvEUlN3c104HalfEE_St5arrayIPcLm2EEEEviT0_T1_
		.amdhsa_group_segment_fixed_size 0
		.amdhsa_private_segment_fixed_size 0
		.amdhsa_kernarg_size 24
		.amdhsa_user_sgpr_count 15
		.amdhsa_user_sgpr_dispatch_ptr 0
		.amdhsa_user_sgpr_queue_ptr 0
		.amdhsa_user_sgpr_kernarg_segment_ptr 1
		.amdhsa_user_sgpr_dispatch_id 0
		.amdhsa_user_sgpr_private_segment_size 0
		.amdhsa_wavefront_size32 1
		.amdhsa_uses_dynamic_stack 0
		.amdhsa_enable_private_segment 0
		.amdhsa_system_sgpr_workgroup_id_x 1
		.amdhsa_system_sgpr_workgroup_id_y 0
		.amdhsa_system_sgpr_workgroup_id_z 0
		.amdhsa_system_sgpr_workgroup_info 0
		.amdhsa_system_vgpr_workitem_id 0
		.amdhsa_next_free_vgpr 38
		.amdhsa_next_free_sgpr 16
		.amdhsa_reserve_vcc 1
		.amdhsa_float_round_mode_32 0
		.amdhsa_float_round_mode_16_64 0
		.amdhsa_float_denorm_mode_32 3
		.amdhsa_float_denorm_mode_16_64 3
		.amdhsa_dx10_clamp 1
		.amdhsa_ieee_mode 1
		.amdhsa_fp16_overflow 0
		.amdhsa_workgroup_processor_mode 1
		.amdhsa_memory_ordered 1
		.amdhsa_forward_progress 0
		.amdhsa_shared_vgpr_count 0
		.amdhsa_exception_fp_ieee_invalid_op 0
		.amdhsa_exception_fp_denorm_src 0
		.amdhsa_exception_fp_ieee_div_zero 0
		.amdhsa_exception_fp_ieee_overflow 0
		.amdhsa_exception_fp_ieee_underflow 0
		.amdhsa_exception_fp_ieee_inexact 0
		.amdhsa_exception_int_div_zero 0
	.end_amdhsa_kernel
	.section	.text._ZN2at6native29vectorized_elementwise_kernelILi2EZZZNS0_15exp_kernel_cudaERNS_18TensorIteratorBaseEENKUlvE0_clEvENKUlvE1_clEvEUlN3c104HalfEE_St5arrayIPcLm2EEEEviT0_T1_,"axG",@progbits,_ZN2at6native29vectorized_elementwise_kernelILi2EZZZNS0_15exp_kernel_cudaERNS_18TensorIteratorBaseEENKUlvE0_clEvENKUlvE1_clEvEUlN3c104HalfEE_St5arrayIPcLm2EEEEviT0_T1_,comdat
.Lfunc_end93:
	.size	_ZN2at6native29vectorized_elementwise_kernelILi2EZZZNS0_15exp_kernel_cudaERNS_18TensorIteratorBaseEENKUlvE0_clEvENKUlvE1_clEvEUlN3c104HalfEE_St5arrayIPcLm2EEEEviT0_T1_, .Lfunc_end93-_ZN2at6native29vectorized_elementwise_kernelILi2EZZZNS0_15exp_kernel_cudaERNS_18TensorIteratorBaseEENKUlvE0_clEvENKUlvE1_clEvEUlN3c104HalfEE_St5arrayIPcLm2EEEEviT0_T1_
                                        ; -- End function
	.section	.AMDGPU.csdata,"",@progbits
; Kernel info:
; codeLenInByte = 3344
; NumSgprs: 18
; NumVgprs: 38
; ScratchSize: 0
; MemoryBound: 0
; FloatMode: 240
; IeeeMode: 1
; LDSByteSize: 0 bytes/workgroup (compile time only)
; SGPRBlocks: 2
; VGPRBlocks: 4
; NumSGPRsForWavesPerEU: 18
; NumVGPRsForWavesPerEU: 38
; Occupancy: 16
; WaveLimiterHint : 1
; COMPUTE_PGM_RSRC2:SCRATCH_EN: 0
; COMPUTE_PGM_RSRC2:USER_SGPR: 15
; COMPUTE_PGM_RSRC2:TRAP_HANDLER: 0
; COMPUTE_PGM_RSRC2:TGID_X_EN: 1
; COMPUTE_PGM_RSRC2:TGID_Y_EN: 0
; COMPUTE_PGM_RSRC2:TGID_Z_EN: 0
; COMPUTE_PGM_RSRC2:TIDIG_COMP_CNT: 0
	.section	.text._ZN2at6native27unrolled_elementwise_kernelIZZZNS0_15exp_kernel_cudaERNS_18TensorIteratorBaseEENKUlvE0_clEvENKUlvE1_clEvEUlN3c104HalfEE_St5arrayIPcLm2EELi4E23TrivialOffsetCalculatorILi1EjESD_NS0_6memory15LoadWithoutCastENSE_16StoreWithoutCastEEEviT_T0_T2_T3_T4_T5_,"axG",@progbits,_ZN2at6native27unrolled_elementwise_kernelIZZZNS0_15exp_kernel_cudaERNS_18TensorIteratorBaseEENKUlvE0_clEvENKUlvE1_clEvEUlN3c104HalfEE_St5arrayIPcLm2EELi4E23TrivialOffsetCalculatorILi1EjESD_NS0_6memory15LoadWithoutCastENSE_16StoreWithoutCastEEEviT_T0_T2_T3_T4_T5_,comdat
	.globl	_ZN2at6native27unrolled_elementwise_kernelIZZZNS0_15exp_kernel_cudaERNS_18TensorIteratorBaseEENKUlvE0_clEvENKUlvE1_clEvEUlN3c104HalfEE_St5arrayIPcLm2EELi4E23TrivialOffsetCalculatorILi1EjESD_NS0_6memory15LoadWithoutCastENSE_16StoreWithoutCastEEEviT_T0_T2_T3_T4_T5_ ; -- Begin function _ZN2at6native27unrolled_elementwise_kernelIZZZNS0_15exp_kernel_cudaERNS_18TensorIteratorBaseEENKUlvE0_clEvENKUlvE1_clEvEUlN3c104HalfEE_St5arrayIPcLm2EELi4E23TrivialOffsetCalculatorILi1EjESD_NS0_6memory15LoadWithoutCastENSE_16StoreWithoutCastEEEviT_T0_T2_T3_T4_T5_
	.p2align	8
	.type	_ZN2at6native27unrolled_elementwise_kernelIZZZNS0_15exp_kernel_cudaERNS_18TensorIteratorBaseEENKUlvE0_clEvENKUlvE1_clEvEUlN3c104HalfEE_St5arrayIPcLm2EELi4E23TrivialOffsetCalculatorILi1EjESD_NS0_6memory15LoadWithoutCastENSE_16StoreWithoutCastEEEviT_T0_T2_T3_T4_T5_,@function
_ZN2at6native27unrolled_elementwise_kernelIZZZNS0_15exp_kernel_cudaERNS_18TensorIteratorBaseEENKUlvE0_clEvENKUlvE1_clEvEUlN3c104HalfEE_St5arrayIPcLm2EELi4E23TrivialOffsetCalculatorILi1EjESD_NS0_6memory15LoadWithoutCastENSE_16StoreWithoutCastEEEviT_T0_T2_T3_T4_T5_: ; @_ZN2at6native27unrolled_elementwise_kernelIZZZNS0_15exp_kernel_cudaERNS_18TensorIteratorBaseEENKUlvE0_clEvENKUlvE1_clEvEUlN3c104HalfEE_St5arrayIPcLm2EELi4E23TrivialOffsetCalculatorILi1EjESD_NS0_6memory15LoadWithoutCastENSE_16StoreWithoutCastEEEviT_T0_T2_T3_T4_T5_
; %bb.0:
	s_clause 0x1
	s_load_b32 s2, s[0:1], 0x0
	s_load_b128 s[4:7], s[0:1], 0x8
	s_lshl_b32 s1, s15, 10
	v_dual_mov_b32 v4, 0 :: v_dual_mov_b32 v7, 0
	v_or_b32_e32 v1, s1, v0
	v_or_b32_e32 v6, 0x100, v0
	v_mov_b32_e32 v2, v0
	s_waitcnt lgkmcnt(0)
	s_sub_i32 s2, s2, s1
	s_delay_alu instid0(SALU_CYCLE_1)
	v_cmp_gt_i32_e32 vcc_lo, s2, v0
	s_and_saveexec_b32 s3, vcc_lo
	s_cbranch_execz .LBB94_2
; %bb.1:
	v_mov_b32_e32 v2, 0
	s_delay_alu instid0(VALU_DEP_1) | instskip(NEXT) | instid1(VALU_DEP_1)
	v_lshlrev_b64 v[2:3], 1, v[1:2]
	v_add_co_u32 v2, s0, s6, v2
	s_delay_alu instid0(VALU_DEP_1)
	v_add_co_ci_u32_e64 v3, s0, s7, v3, s0
	global_load_u16 v3, v[2:3], off
	v_or_b32_e32 v2, 0x100, v0
	s_waitcnt vmcnt(0)
	v_cvt_f32_f16_e32 v7, v3
.LBB94_2:
	s_or_b32 exec_lo, exec_lo, s3
	s_delay_alu instid0(SALU_CYCLE_1)
	s_mov_b32 s3, exec_lo
	v_cmpx_gt_i32_e64 s2, v2
	s_cbranch_execz .LBB94_4
; %bb.3:
	v_dual_mov_b32 v4, 0 :: v_dual_add_nc_u32 v3, s1, v2
	v_add_nc_u32_e32 v2, 0x100, v2
	s_delay_alu instid0(VALU_DEP_2) | instskip(NEXT) | instid1(VALU_DEP_1)
	v_lshlrev_b64 v[3:4], 1, v[3:4]
	v_add_co_u32 v3, s0, s6, v3
	s_delay_alu instid0(VALU_DEP_1)
	v_add_co_ci_u32_e64 v4, s0, s7, v4, s0
	global_load_u16 v3, v[3:4], off
	s_waitcnt vmcnt(0)
	v_cvt_f32_f16_e32 v4, v3
.LBB94_4:
	s_or_b32 exec_lo, exec_lo, s3
	v_mov_b32_e32 v3, 0
	v_mov_b32_e32 v5, 0
	s_mov_b32 s3, exec_lo
	v_cmpx_gt_i32_e64 s2, v2
	s_cbranch_execnz .LBB94_11
; %bb.5:
	s_or_b32 exec_lo, exec_lo, s3
	s_delay_alu instid0(SALU_CYCLE_1)
	s_mov_b32 s3, exec_lo
	v_cmpx_gt_i32_e64 s2, v2
	s_cbranch_execnz .LBB94_12
.LBB94_6:
	s_or_b32 exec_lo, exec_lo, s3
	s_and_saveexec_b32 s0, vcc_lo
	s_cbranch_execnz .LBB94_13
.LBB94_7:
	s_or_b32 exec_lo, exec_lo, s0
	s_delay_alu instid0(SALU_CYCLE_1)
	s_mov_b32 s0, exec_lo
	v_cmpx_gt_i32_e64 s2, v0
	s_cbranch_execnz .LBB94_14
.LBB94_8:
	s_or_b32 exec_lo, exec_lo, s0
	s_delay_alu instid0(SALU_CYCLE_1)
	s_mov_b32 s0, exec_lo
	v_cmpx_gt_i32_e64 s2, v0
	s_cbranch_execnz .LBB94_15
.LBB94_9:
	s_or_b32 exec_lo, exec_lo, s0
	s_delay_alu instid0(SALU_CYCLE_1)
	s_mov_b32 s0, exec_lo
	v_cmpx_gt_i32_e64 s2, v0
	s_cbranch_execnz .LBB94_16
.LBB94_10:
	s_nop 0
	s_sendmsg sendmsg(MSG_DEALLOC_VGPRS)
	s_endpgm
.LBB94_11:
	v_dual_mov_b32 v9, 0 :: v_dual_add_nc_u32 v8, s1, v2
	v_add_nc_u32_e32 v2, 0x100, v2
	s_delay_alu instid0(VALU_DEP_2) | instskip(NEXT) | instid1(VALU_DEP_1)
	v_lshlrev_b64 v[8:9], 1, v[8:9]
	v_add_co_u32 v8, s0, s6, v8
	s_delay_alu instid0(VALU_DEP_1) | instskip(SKIP_4) | instid1(SALU_CYCLE_1)
	v_add_co_ci_u32_e64 v9, s0, s7, v9, s0
	global_load_u16 v5, v[8:9], off
	s_waitcnt vmcnt(0)
	v_cvt_f32_f16_e32 v5, v5
	s_or_b32 exec_lo, exec_lo, s3
	s_mov_b32 s3, exec_lo
	v_cmpx_gt_i32_e64 s2, v2
	s_cbranch_execz .LBB94_6
.LBB94_12:
	v_dual_mov_b32 v3, 0 :: v_dual_add_nc_u32 v2, s1, v2
	s_delay_alu instid0(VALU_DEP_1) | instskip(NEXT) | instid1(VALU_DEP_1)
	v_lshlrev_b64 v[2:3], 1, v[2:3]
	v_add_co_u32 v2, s0, s6, v2
	s_delay_alu instid0(VALU_DEP_1)
	v_add_co_ci_u32_e64 v3, s0, s7, v3, s0
	global_load_u16 v2, v[2:3], off
	s_waitcnt vmcnt(0)
	v_cvt_f32_f16_e32 v3, v2
	s_or_b32 exec_lo, exec_lo, s3
	s_and_saveexec_b32 s0, vcc_lo
	s_cbranch_execz .LBB94_7
.LBB94_13:
	v_mul_f32_e32 v0, 0x3fb8aa3b, v7
	v_cmp_ngt_f32_e32 vcc_lo, 0xc2ce8ed0, v7
	s_delay_alu instid0(VALU_DEP_2) | instskip(SKIP_1) | instid1(VALU_DEP_2)
	v_rndne_f32_e32 v2, v0
	v_fma_f32 v8, 0x3fb8aa3b, v7, -v0
	v_sub_f32_e32 v0, v0, v2
	s_delay_alu instid0(VALU_DEP_2) | instskip(SKIP_1) | instid1(VALU_DEP_2)
	v_fmamk_f32 v8, v7, 0x32a5705f, v8
	v_cvt_i32_f32_e32 v2, v2
	v_add_f32_e32 v0, v0, v8
	s_delay_alu instid0(VALU_DEP_1) | instskip(SKIP_3) | instid1(VALU_DEP_2)
	v_exp_f32_e32 v0, v0
	s_waitcnt_depctr 0xfff
	v_ldexp_f32 v0, v0, v2
	v_mov_b32_e32 v2, 0
	v_cndmask_b32_e32 v8, 0, v0, vcc_lo
	v_cmp_nlt_f32_e32 vcc_lo, 0x42b17218, v7
	s_delay_alu instid0(VALU_DEP_3) | instskip(NEXT) | instid1(VALU_DEP_3)
	v_lshlrev_b64 v[0:1], 1, v[1:2]
	v_cndmask_b32_e32 v2, 0x7f800000, v8, vcc_lo
	s_delay_alu instid0(VALU_DEP_2) | instskip(NEXT) | instid1(VALU_DEP_3)
	v_add_co_u32 v7, vcc_lo, s4, v0
	v_add_co_ci_u32_e32 v8, vcc_lo, s5, v1, vcc_lo
	s_delay_alu instid0(VALU_DEP_3) | instskip(SKIP_3) | instid1(SALU_CYCLE_1)
	v_cvt_f16_f32_e32 v1, v2
	v_mov_b32_e32 v0, v6
	global_store_b16 v[7:8], v1, off
	s_or_b32 exec_lo, exec_lo, s0
	s_mov_b32 s0, exec_lo
	v_cmpx_gt_i32_e64 s2, v0
	s_cbranch_execz .LBB94_8
.LBB94_14:
	v_cmp_ngt_f32_e32 vcc_lo, 0xc2ce8ed0, v4
	v_mul_f32_e32 v1, 0x3fb8aa3b, v4
	s_delay_alu instid0(VALU_DEP_1) | instskip(SKIP_1) | instid1(VALU_DEP_1)
	v_rndne_f32_e32 v2, v1
	v_fma_f32 v6, 0x3fb8aa3b, v4, -v1
	v_dual_sub_f32 v1, v1, v2 :: v_dual_fmamk_f32 v6, v4, 0x32a5705f, v6
	v_cvt_i32_f32_e32 v2, v2
	s_delay_alu instid0(VALU_DEP_2) | instskip(NEXT) | instid1(VALU_DEP_1)
	v_add_f32_e32 v1, v1, v6
	v_exp_f32_e32 v1, v1
	s_waitcnt_depctr 0xfff
	v_ldexp_f32 v2, v1, v2
	v_add_nc_u32_e32 v1, s1, v0
	v_add_nc_u32_e32 v0, 0x100, v0
	s_delay_alu instid0(VALU_DEP_3) | instskip(SKIP_2) | instid1(VALU_DEP_2)
	v_cndmask_b32_e32 v6, 0, v2, vcc_lo
	v_mov_b32_e32 v2, 0
	v_cmp_nlt_f32_e32 vcc_lo, 0x42b17218, v4
	v_lshlrev_b64 v[1:2], 1, v[1:2]
	s_delay_alu instid0(VALU_DEP_4) | instskip(NEXT) | instid1(VALU_DEP_1)
	v_cndmask_b32_e32 v4, 0x7f800000, v6, vcc_lo
	v_cvt_f16_f32_e32 v4, v4
	s_delay_alu instid0(VALU_DEP_3) | instskip(NEXT) | instid1(VALU_DEP_4)
	v_add_co_u32 v1, vcc_lo, s4, v1
	v_add_co_ci_u32_e32 v2, vcc_lo, s5, v2, vcc_lo
	global_store_b16 v[1:2], v4, off
	s_or_b32 exec_lo, exec_lo, s0
	s_delay_alu instid0(SALU_CYCLE_1)
	s_mov_b32 s0, exec_lo
	v_cmpx_gt_i32_e64 s2, v0
	s_cbranch_execz .LBB94_9
.LBB94_15:
	v_cmp_ngt_f32_e32 vcc_lo, 0xc2ce8ed0, v5
	v_mul_f32_e32 v1, 0x3fb8aa3b, v5
	s_delay_alu instid0(VALU_DEP_1) | instskip(SKIP_1) | instid1(VALU_DEP_2)
	v_rndne_f32_e32 v2, v1
	v_fma_f32 v4, 0x3fb8aa3b, v5, -v1
	v_sub_f32_e32 v1, v1, v2
	s_delay_alu instid0(VALU_DEP_2) | instskip(SKIP_1) | instid1(VALU_DEP_2)
	v_fmamk_f32 v4, v5, 0x32a5705f, v4
	v_cvt_i32_f32_e32 v2, v2
	v_add_f32_e32 v1, v1, v4
	s_delay_alu instid0(VALU_DEP_1) | instskip(SKIP_4) | instid1(VALU_DEP_3)
	v_exp_f32_e32 v1, v1
	s_waitcnt_depctr 0xfff
	v_ldexp_f32 v2, v1, v2
	v_add_nc_u32_e32 v1, s1, v0
	v_add_nc_u32_e32 v0, 0x100, v0
	v_cndmask_b32_e32 v4, 0, v2, vcc_lo
	v_mov_b32_e32 v2, 0
	v_cmp_nlt_f32_e32 vcc_lo, 0x42b17218, v5
	s_delay_alu instid0(VALU_DEP_2) | instskip(NEXT) | instid1(VALU_DEP_4)
	v_lshlrev_b64 v[1:2], 1, v[1:2]
	v_cndmask_b32_e32 v4, 0x7f800000, v4, vcc_lo
	s_delay_alu instid0(VALU_DEP_1) | instskip(NEXT) | instid1(VALU_DEP_3)
	v_cvt_f16_f32_e32 v4, v4
	v_add_co_u32 v1, vcc_lo, s4, v1
	s_delay_alu instid0(VALU_DEP_4) | instskip(SKIP_2) | instid1(SALU_CYCLE_1)
	v_add_co_ci_u32_e32 v2, vcc_lo, s5, v2, vcc_lo
	global_store_b16 v[1:2], v4, off
	s_or_b32 exec_lo, exec_lo, s0
	s_mov_b32 s0, exec_lo
	v_cmpx_gt_i32_e64 s2, v0
	s_cbranch_execz .LBB94_10
.LBB94_16:
	v_dual_mul_f32 v1, 0x3fb8aa3b, v3 :: v_dual_add_nc_u32 v0, s1, v0
	v_cmp_ngt_f32_e32 vcc_lo, 0xc2ce8ed0, v3
	s_delay_alu instid0(VALU_DEP_2) | instskip(SKIP_1) | instid1(VALU_DEP_1)
	v_rndne_f32_e32 v2, v1
	v_fma_f32 v4, 0x3fb8aa3b, v3, -v1
	v_dual_sub_f32 v1, v1, v2 :: v_dual_fmamk_f32 v4, v3, 0x32a5705f, v4
	v_cvt_i32_f32_e32 v2, v2
	s_delay_alu instid0(VALU_DEP_2) | instskip(NEXT) | instid1(VALU_DEP_1)
	v_add_f32_e32 v1, v1, v4
	v_exp_f32_e32 v1, v1
	s_waitcnt_depctr 0xfff
	v_ldexp_f32 v1, v1, v2
	s_delay_alu instid0(VALU_DEP_1) | instskip(SKIP_1) | instid1(VALU_DEP_2)
	v_dual_cndmask_b32 v2, 0, v1 :: v_dual_mov_b32 v1, 0
	v_cmp_nlt_f32_e32 vcc_lo, 0x42b17218, v3
	v_lshlrev_b64 v[0:1], 1, v[0:1]
	s_delay_alu instid0(VALU_DEP_3) | instskip(NEXT) | instid1(VALU_DEP_1)
	v_cndmask_b32_e32 v2, 0x7f800000, v2, vcc_lo
	v_cvt_f16_f32_e32 v2, v2
	s_delay_alu instid0(VALU_DEP_3) | instskip(NEXT) | instid1(VALU_DEP_4)
	v_add_co_u32 v0, vcc_lo, s4, v0
	v_add_co_ci_u32_e32 v1, vcc_lo, s5, v1, vcc_lo
	global_store_b16 v[0:1], v2, off
	s_nop 0
	s_sendmsg sendmsg(MSG_DEALLOC_VGPRS)
	s_endpgm
	.section	.rodata,"a",@progbits
	.p2align	6, 0x0
	.amdhsa_kernel _ZN2at6native27unrolled_elementwise_kernelIZZZNS0_15exp_kernel_cudaERNS_18TensorIteratorBaseEENKUlvE0_clEvENKUlvE1_clEvEUlN3c104HalfEE_St5arrayIPcLm2EELi4E23TrivialOffsetCalculatorILi1EjESD_NS0_6memory15LoadWithoutCastENSE_16StoreWithoutCastEEEviT_T0_T2_T3_T4_T5_
		.amdhsa_group_segment_fixed_size 0
		.amdhsa_private_segment_fixed_size 0
		.amdhsa_kernarg_size 28
		.amdhsa_user_sgpr_count 15
		.amdhsa_user_sgpr_dispatch_ptr 0
		.amdhsa_user_sgpr_queue_ptr 0
		.amdhsa_user_sgpr_kernarg_segment_ptr 1
		.amdhsa_user_sgpr_dispatch_id 0
		.amdhsa_user_sgpr_private_segment_size 0
		.amdhsa_wavefront_size32 1
		.amdhsa_uses_dynamic_stack 0
		.amdhsa_enable_private_segment 0
		.amdhsa_system_sgpr_workgroup_id_x 1
		.amdhsa_system_sgpr_workgroup_id_y 0
		.amdhsa_system_sgpr_workgroup_id_z 0
		.amdhsa_system_sgpr_workgroup_info 0
		.amdhsa_system_vgpr_workitem_id 0
		.amdhsa_next_free_vgpr 10
		.amdhsa_next_free_sgpr 16
		.amdhsa_reserve_vcc 1
		.amdhsa_float_round_mode_32 0
		.amdhsa_float_round_mode_16_64 0
		.amdhsa_float_denorm_mode_32 3
		.amdhsa_float_denorm_mode_16_64 3
		.amdhsa_dx10_clamp 1
		.amdhsa_ieee_mode 1
		.amdhsa_fp16_overflow 0
		.amdhsa_workgroup_processor_mode 1
		.amdhsa_memory_ordered 1
		.amdhsa_forward_progress 0
		.amdhsa_shared_vgpr_count 0
		.amdhsa_exception_fp_ieee_invalid_op 0
		.amdhsa_exception_fp_denorm_src 0
		.amdhsa_exception_fp_ieee_div_zero 0
		.amdhsa_exception_fp_ieee_overflow 0
		.amdhsa_exception_fp_ieee_underflow 0
		.amdhsa_exception_fp_ieee_inexact 0
		.amdhsa_exception_int_div_zero 0
	.end_amdhsa_kernel
	.section	.text._ZN2at6native27unrolled_elementwise_kernelIZZZNS0_15exp_kernel_cudaERNS_18TensorIteratorBaseEENKUlvE0_clEvENKUlvE1_clEvEUlN3c104HalfEE_St5arrayIPcLm2EELi4E23TrivialOffsetCalculatorILi1EjESD_NS0_6memory15LoadWithoutCastENSE_16StoreWithoutCastEEEviT_T0_T2_T3_T4_T5_,"axG",@progbits,_ZN2at6native27unrolled_elementwise_kernelIZZZNS0_15exp_kernel_cudaERNS_18TensorIteratorBaseEENKUlvE0_clEvENKUlvE1_clEvEUlN3c104HalfEE_St5arrayIPcLm2EELi4E23TrivialOffsetCalculatorILi1EjESD_NS0_6memory15LoadWithoutCastENSE_16StoreWithoutCastEEEviT_T0_T2_T3_T4_T5_,comdat
.Lfunc_end94:
	.size	_ZN2at6native27unrolled_elementwise_kernelIZZZNS0_15exp_kernel_cudaERNS_18TensorIteratorBaseEENKUlvE0_clEvENKUlvE1_clEvEUlN3c104HalfEE_St5arrayIPcLm2EELi4E23TrivialOffsetCalculatorILi1EjESD_NS0_6memory15LoadWithoutCastENSE_16StoreWithoutCastEEEviT_T0_T2_T3_T4_T5_, .Lfunc_end94-_ZN2at6native27unrolled_elementwise_kernelIZZZNS0_15exp_kernel_cudaERNS_18TensorIteratorBaseEENKUlvE0_clEvENKUlvE1_clEvEUlN3c104HalfEE_St5arrayIPcLm2EELi4E23TrivialOffsetCalculatorILi1EjESD_NS0_6memory15LoadWithoutCastENSE_16StoreWithoutCastEEEviT_T0_T2_T3_T4_T5_
                                        ; -- End function
	.section	.AMDGPU.csdata,"",@progbits
; Kernel info:
; codeLenInByte = 1212
; NumSgprs: 18
; NumVgprs: 10
; ScratchSize: 0
; MemoryBound: 0
; FloatMode: 240
; IeeeMode: 1
; LDSByteSize: 0 bytes/workgroup (compile time only)
; SGPRBlocks: 2
; VGPRBlocks: 1
; NumSGPRsForWavesPerEU: 18
; NumVGPRsForWavesPerEU: 10
; Occupancy: 16
; WaveLimiterHint : 0
; COMPUTE_PGM_RSRC2:SCRATCH_EN: 0
; COMPUTE_PGM_RSRC2:USER_SGPR: 15
; COMPUTE_PGM_RSRC2:TRAP_HANDLER: 0
; COMPUTE_PGM_RSRC2:TGID_X_EN: 1
; COMPUTE_PGM_RSRC2:TGID_Y_EN: 0
; COMPUTE_PGM_RSRC2:TGID_Z_EN: 0
; COMPUTE_PGM_RSRC2:TIDIG_COMP_CNT: 0
	.section	.text._ZN2at6native32elementwise_kernel_manual_unrollILi128ELi8EZNS0_22gpu_kernel_impl_nocastIZZZNS0_15exp_kernel_cudaERNS_18TensorIteratorBaseEENKUlvE0_clEvENKUlvE1_clEvEUlN3c104HalfEE_EEvS4_RKT_EUlibE_EEviT1_,"axG",@progbits,_ZN2at6native32elementwise_kernel_manual_unrollILi128ELi8EZNS0_22gpu_kernel_impl_nocastIZZZNS0_15exp_kernel_cudaERNS_18TensorIteratorBaseEENKUlvE0_clEvENKUlvE1_clEvEUlN3c104HalfEE_EEvS4_RKT_EUlibE_EEviT1_,comdat
	.globl	_ZN2at6native32elementwise_kernel_manual_unrollILi128ELi8EZNS0_22gpu_kernel_impl_nocastIZZZNS0_15exp_kernel_cudaERNS_18TensorIteratorBaseEENKUlvE0_clEvENKUlvE1_clEvEUlN3c104HalfEE_EEvS4_RKT_EUlibE_EEviT1_ ; -- Begin function _ZN2at6native32elementwise_kernel_manual_unrollILi128ELi8EZNS0_22gpu_kernel_impl_nocastIZZZNS0_15exp_kernel_cudaERNS_18TensorIteratorBaseEENKUlvE0_clEvENKUlvE1_clEvEUlN3c104HalfEE_EEvS4_RKT_EUlibE_EEviT1_
	.p2align	8
	.type	_ZN2at6native32elementwise_kernel_manual_unrollILi128ELi8EZNS0_22gpu_kernel_impl_nocastIZZZNS0_15exp_kernel_cudaERNS_18TensorIteratorBaseEENKUlvE0_clEvENKUlvE1_clEvEUlN3c104HalfEE_EEvS4_RKT_EUlibE_EEviT1_,@function
_ZN2at6native32elementwise_kernel_manual_unrollILi128ELi8EZNS0_22gpu_kernel_impl_nocastIZZZNS0_15exp_kernel_cudaERNS_18TensorIteratorBaseEENKUlvE0_clEvENKUlvE1_clEvEUlN3c104HalfEE_EEvS4_RKT_EUlibE_EEviT1_: ; @_ZN2at6native32elementwise_kernel_manual_unrollILi128ELi8EZNS0_22gpu_kernel_impl_nocastIZZZNS0_15exp_kernel_cudaERNS_18TensorIteratorBaseEENKUlvE0_clEvENKUlvE1_clEvEUlN3c104HalfEE_EEvS4_RKT_EUlibE_EEviT1_
; %bb.0:
	s_clause 0x1
	s_load_b32 s22, s[0:1], 0x8
	s_load_b32 s27, s[0:1], 0x0
	v_lshl_or_b32 v12, s15, 10, v0
	s_or_b32 s0, s0, 8
	s_mov_b32 s2, exec_lo
	s_delay_alu instid0(VALU_DEP_1) | instskip(SKIP_2) | instid1(SALU_CYCLE_1)
	v_or_b32_e32 v16, 0x380, v12
	s_waitcnt lgkmcnt(0)
	s_add_i32 s23, s22, -1
	s_cmp_gt_u32 s23, 1
	s_cselect_b32 s24, -1, 0
	v_cmpx_le_i32_e64 s27, v16
	s_xor_b32 s25, exec_lo, s2
	s_cbranch_execz .LBB95_7
; %bb.1:
	s_clause 0x3
	s_load_b128 s[12:15], s[0:1], 0x4
	s_load_b64 s[2:3], s[0:1], 0x14
	s_load_b128 s[8:11], s[0:1], 0xc4
	s_load_b128 s[4:7], s[0:1], 0x148
	s_cmp_lg_u32 s22, 0
	s_mov_b32 s30, exec_lo
	s_cselect_b32 s29, -1, 0
	s_add_u32 s16, s0, 0xc4
	s_addc_u32 s17, s1, 0
	s_min_u32 s28, s23, 15
	s_cmp_gt_u32 s22, 1
	s_cselect_b32 s26, -1, 0
	v_cmpx_gt_i32_e64 s27, v12
	s_cbranch_execz .LBB95_14
; %bb.2:
	s_and_not1_b32 vcc_lo, exec_lo, s24
	s_cbranch_vccnz .LBB95_21
; %bb.3:
	v_dual_mov_b32 v0, 0 :: v_dual_mov_b32 v1, 0
	s_and_not1_b32 vcc_lo, exec_lo, s29
	s_mov_b32 s31, 0
	s_cbranch_vccnz .LBB95_125
; %bb.4:
	v_mov_b32_e32 v0, 0
	s_add_i32 s34, s28, 1
	s_cmp_eq_u32 s23, 2
	s_mov_b32 s33, 0
	s_cbranch_scc1 .LBB95_121
; %bb.5:
	v_dual_mov_b32 v1, 0 :: v_dual_mov_b32 v0, 0
	v_mov_b32_e32 v2, v12
	s_and_b32 s33, s34, 28
	s_mov_b32 s35, 0
	s_mov_b64 s[18:19], s[16:17]
	s_mov_b64 s[20:21], s[0:1]
.LBB95_6:                               ; =>This Inner Loop Header: Depth=1
	s_clause 0x1
	s_load_b256 s[36:43], s[20:21], 0x4
	s_load_b128 s[52:55], s[20:21], 0x24
	s_load_b256 s[44:51], s[18:19], 0x0
	s_add_u32 s20, s20, 48
	s_addc_u32 s21, s21, 0
	s_add_i32 s35, s35, 4
	s_add_u32 s18, s18, 32
	s_addc_u32 s19, s19, 0
	s_cmp_lg_u32 s33, s35
	s_waitcnt lgkmcnt(0)
	v_mul_hi_u32 v3, s37, v2
	s_delay_alu instid0(VALU_DEP_1) | instskip(NEXT) | instid1(VALU_DEP_1)
	v_add_nc_u32_e32 v3, v2, v3
	v_lshrrev_b32_e32 v3, s38, v3
	s_delay_alu instid0(VALU_DEP_1) | instskip(SKIP_1) | instid1(VALU_DEP_2)
	v_mul_hi_u32 v4, s40, v3
	v_mul_lo_u32 v6, v3, s36
	v_add_nc_u32_e32 v4, v3, v4
	s_delay_alu instid0(VALU_DEP_2) | instskip(NEXT) | instid1(VALU_DEP_2)
	v_sub_nc_u32_e32 v2, v2, v6
	v_lshrrev_b32_e32 v4, s41, v4
	s_delay_alu instid0(VALU_DEP_2) | instskip(SKIP_1) | instid1(VALU_DEP_3)
	v_mul_lo_u32 v6, v2, s44
	v_mul_lo_u32 v8, v2, s45
	v_mul_hi_u32 v5, s43, v4
	s_delay_alu instid0(VALU_DEP_1) | instskip(NEXT) | instid1(VALU_DEP_1)
	v_add_nc_u32_e32 v5, v4, v5
	v_lshrrev_b32_e32 v5, s52, v5
	s_delay_alu instid0(VALU_DEP_1) | instskip(SKIP_1) | instid1(VALU_DEP_2)
	v_mul_hi_u32 v7, s54, v5
	v_mul_lo_u32 v9, v5, s42
	v_add_nc_u32_e32 v2, v5, v7
	v_mul_lo_u32 v7, v4, s39
	s_delay_alu instid0(VALU_DEP_3) | instskip(NEXT) | instid1(VALU_DEP_3)
	v_sub_nc_u32_e32 v4, v4, v9
	v_lshrrev_b32_e32 v2, s55, v2
	s_delay_alu instid0(VALU_DEP_2) | instskip(SKIP_2) | instid1(VALU_DEP_4)
	v_mul_lo_u32 v9, v4, s48
	v_mul_lo_u32 v4, v4, s49
	v_sub_nc_u32_e32 v3, v3, v7
	v_mul_lo_u32 v10, v2, s53
	s_delay_alu instid0(VALU_DEP_2) | instskip(SKIP_1) | instid1(VALU_DEP_3)
	v_mul_lo_u32 v7, v3, s46
	v_mul_lo_u32 v3, v3, s47
	v_sub_nc_u32_e32 v5, v5, v10
	s_delay_alu instid0(VALU_DEP_3) | instskip(NEXT) | instid1(VALU_DEP_2)
	v_add3_u32 v0, v6, v0, v7
	v_mul_lo_u32 v10, v5, s50
	v_mul_lo_u32 v5, v5, s51
	v_add3_u32 v1, v8, v1, v3
	s_delay_alu instid0(VALU_DEP_3) | instskip(NEXT) | instid1(VALU_DEP_2)
	v_add3_u32 v0, v9, v0, v10
	v_add3_u32 v1, v4, v1, v5
	s_cbranch_scc1 .LBB95_6
	s_branch .LBB95_122
.LBB95_7:
	s_and_not1_saveexec_b32 s2, s25
	s_cbranch_execz .LBB95_206
.LBB95_8:
	v_cndmask_b32_e64 v14, 0, 1, s24
	s_and_not1_b32 vcc_lo, exec_lo, s24
	s_cbranch_vccnz .LBB95_20
; %bb.9:
	v_dual_mov_b32 v0, 0 :: v_dual_mov_b32 v1, 0
	s_cmp_lg_u32 s22, 0
	s_mov_b32 s6, 0
	s_cbranch_scc0 .LBB95_26
; %bb.10:
	s_min_u32 s7, s23, 15
	v_mov_b32_e32 v0, 0
	s_add_i32 s7, s7, 1
	s_cmp_eq_u32 s23, 2
	s_mov_b32 s8, 0
	s_cbranch_scc1 .LBB95_23
; %bb.11:
	v_dual_mov_b32 v1, 0 :: v_dual_mov_b32 v0, 0
	v_mov_b32_e32 v2, v12
	s_add_u32 s2, s0, 0xc4
	s_addc_u32 s3, s1, 0
	s_and_b32 s8, s7, 28
	s_mov_b32 s9, 0
	s_mov_b64 s[4:5], s[0:1]
.LBB95_12:                              ; =>This Inner Loop Header: Depth=1
	s_clause 0x1
	s_load_b256 s[12:19], s[4:5], 0x4
	s_load_b128 s[36:39], s[4:5], 0x24
	s_load_b256 s[24:31], s[2:3], 0x0
	s_add_u32 s4, s4, 48
	s_addc_u32 s5, s5, 0
	s_add_i32 s9, s9, 4
	s_add_u32 s2, s2, 32
	s_addc_u32 s3, s3, 0
	s_cmp_lg_u32 s8, s9
	s_waitcnt lgkmcnt(0)
	v_mul_hi_u32 v3, s13, v2
	s_delay_alu instid0(VALU_DEP_1) | instskip(NEXT) | instid1(VALU_DEP_1)
	v_add_nc_u32_e32 v3, v2, v3
	v_lshrrev_b32_e32 v3, s14, v3
	s_delay_alu instid0(VALU_DEP_1) | instskip(SKIP_1) | instid1(VALU_DEP_2)
	v_mul_hi_u32 v4, s16, v3
	v_mul_lo_u32 v6, v3, s12
	v_add_nc_u32_e32 v4, v3, v4
	s_delay_alu instid0(VALU_DEP_2) | instskip(NEXT) | instid1(VALU_DEP_2)
	v_sub_nc_u32_e32 v2, v2, v6
	v_lshrrev_b32_e32 v4, s17, v4
	s_delay_alu instid0(VALU_DEP_2) | instskip(SKIP_1) | instid1(VALU_DEP_3)
	v_mul_lo_u32 v6, v2, s24
	v_mul_lo_u32 v8, v2, s25
	v_mul_hi_u32 v5, s19, v4
	s_delay_alu instid0(VALU_DEP_1) | instskip(NEXT) | instid1(VALU_DEP_1)
	v_add_nc_u32_e32 v5, v4, v5
	v_lshrrev_b32_e32 v5, s36, v5
	s_delay_alu instid0(VALU_DEP_1) | instskip(SKIP_1) | instid1(VALU_DEP_2)
	v_mul_hi_u32 v7, s38, v5
	v_mul_lo_u32 v9, v5, s18
	v_add_nc_u32_e32 v2, v5, v7
	v_mul_lo_u32 v7, v4, s15
	s_delay_alu instid0(VALU_DEP_3) | instskip(NEXT) | instid1(VALU_DEP_3)
	v_sub_nc_u32_e32 v4, v4, v9
	v_lshrrev_b32_e32 v2, s39, v2
	s_delay_alu instid0(VALU_DEP_2) | instskip(SKIP_2) | instid1(VALU_DEP_4)
	v_mul_lo_u32 v9, v4, s28
	v_mul_lo_u32 v4, v4, s29
	v_sub_nc_u32_e32 v3, v3, v7
	v_mul_lo_u32 v10, v2, s37
	s_delay_alu instid0(VALU_DEP_2) | instskip(SKIP_1) | instid1(VALU_DEP_3)
	v_mul_lo_u32 v7, v3, s26
	v_mul_lo_u32 v3, v3, s27
	v_sub_nc_u32_e32 v5, v5, v10
	s_delay_alu instid0(VALU_DEP_3) | instskip(NEXT) | instid1(VALU_DEP_2)
	v_add3_u32 v0, v6, v0, v7
	v_mul_lo_u32 v10, v5, s30
	v_mul_lo_u32 v5, v5, s31
	v_add3_u32 v1, v8, v1, v3
	s_delay_alu instid0(VALU_DEP_3) | instskip(NEXT) | instid1(VALU_DEP_2)
	v_add3_u32 v0, v9, v0, v10
	v_add3_u32 v1, v4, v1, v5
	s_cbranch_scc1 .LBB95_12
; %bb.13:
	s_and_b32 s7, s7, 3
	s_delay_alu instid0(SALU_CYCLE_1)
	s_cmp_eq_u32 s7, 0
	s_cbranch_scc0 .LBB95_24
	s_branch .LBB95_26
.LBB95_14:
	s_or_b32 exec_lo, exec_lo, s30
	s_delay_alu instid0(SALU_CYCLE_1)
	s_mov_b32 s30, exec_lo
	v_cmpx_gt_i32_e64 s27, v12
	s_cbranch_execz .LBB95_129
.LBB95_15:
	s_and_not1_b32 vcc_lo, exec_lo, s24
	s_cbranch_vccnz .LBB95_22
; %bb.16:
	v_dual_mov_b32 v0, 0 :: v_dual_mov_b32 v1, 0
	s_and_not1_b32 vcc_lo, exec_lo, s29
	s_mov_b32 s31, 0
	s_cbranch_vccnz .LBB95_140
; %bb.17:
	v_mov_b32_e32 v0, 0
	s_add_i32 s34, s28, 1
	s_cmp_eq_u32 s23, 2
	s_mov_b32 s33, 0
	s_cbranch_scc1 .LBB95_136
; %bb.18:
	v_dual_mov_b32 v1, 0 :: v_dual_mov_b32 v0, 0
	v_mov_b32_e32 v2, v12
	s_and_b32 s33, s34, 28
	s_mov_b32 s35, 0
	s_mov_b64 s[18:19], s[16:17]
	s_mov_b64 s[20:21], s[0:1]
.LBB95_19:                              ; =>This Inner Loop Header: Depth=1
	s_clause 0x1
	s_load_b256 s[36:43], s[20:21], 0x4
	s_load_b128 s[52:55], s[20:21], 0x24
	s_load_b256 s[44:51], s[18:19], 0x0
	s_add_u32 s20, s20, 48
	s_addc_u32 s21, s21, 0
	s_add_i32 s35, s35, 4
	s_add_u32 s18, s18, 32
	s_addc_u32 s19, s19, 0
	s_cmp_eq_u32 s33, s35
	s_waitcnt lgkmcnt(0)
	v_mul_hi_u32 v3, s37, v2
	s_delay_alu instid0(VALU_DEP_1) | instskip(NEXT) | instid1(VALU_DEP_1)
	v_add_nc_u32_e32 v3, v2, v3
	v_lshrrev_b32_e32 v3, s38, v3
	s_delay_alu instid0(VALU_DEP_1) | instskip(SKIP_1) | instid1(VALU_DEP_2)
	v_mul_hi_u32 v4, s40, v3
	v_mul_lo_u32 v6, v3, s36
	v_add_nc_u32_e32 v4, v3, v4
	s_delay_alu instid0(VALU_DEP_2) | instskip(NEXT) | instid1(VALU_DEP_2)
	v_sub_nc_u32_e32 v2, v2, v6
	v_lshrrev_b32_e32 v4, s41, v4
	s_delay_alu instid0(VALU_DEP_2) | instskip(SKIP_1) | instid1(VALU_DEP_3)
	v_mul_lo_u32 v6, v2, s44
	v_mul_lo_u32 v8, v2, s45
	v_mul_hi_u32 v5, s43, v4
	s_delay_alu instid0(VALU_DEP_1) | instskip(NEXT) | instid1(VALU_DEP_1)
	v_add_nc_u32_e32 v5, v4, v5
	v_lshrrev_b32_e32 v5, s52, v5
	s_delay_alu instid0(VALU_DEP_1) | instskip(SKIP_1) | instid1(VALU_DEP_2)
	v_mul_hi_u32 v7, s54, v5
	v_mul_lo_u32 v9, v5, s42
	v_add_nc_u32_e32 v2, v5, v7
	v_mul_lo_u32 v7, v4, s39
	s_delay_alu instid0(VALU_DEP_3) | instskip(NEXT) | instid1(VALU_DEP_3)
	v_sub_nc_u32_e32 v4, v4, v9
	v_lshrrev_b32_e32 v2, s55, v2
	s_delay_alu instid0(VALU_DEP_2) | instskip(SKIP_2) | instid1(VALU_DEP_4)
	v_mul_lo_u32 v9, v4, s48
	v_mul_lo_u32 v4, v4, s49
	v_sub_nc_u32_e32 v3, v3, v7
	v_mul_lo_u32 v10, v2, s53
	s_delay_alu instid0(VALU_DEP_2) | instskip(SKIP_1) | instid1(VALU_DEP_3)
	v_mul_lo_u32 v7, v3, s46
	v_mul_lo_u32 v3, v3, s47
	v_sub_nc_u32_e32 v5, v5, v10
	s_delay_alu instid0(VALU_DEP_3) | instskip(NEXT) | instid1(VALU_DEP_2)
	v_add3_u32 v0, v6, v0, v7
	v_mul_lo_u32 v10, v5, s50
	v_mul_lo_u32 v5, v5, s51
	v_add3_u32 v1, v8, v1, v3
	s_delay_alu instid0(VALU_DEP_3) | instskip(NEXT) | instid1(VALU_DEP_2)
	v_add3_u32 v0, v9, v0, v10
	v_add3_u32 v1, v4, v1, v5
	s_cbranch_scc0 .LBB95_19
	s_branch .LBB95_137
.LBB95_20:
	s_mov_b32 s6, -1
                                        ; implicit-def: $vgpr0
                                        ; implicit-def: $vgpr1
	s_branch .LBB95_26
.LBB95_21:
	s_mov_b32 s31, -1
                                        ; implicit-def: $vgpr0
                                        ; implicit-def: $vgpr1
	s_branch .LBB95_125
.LBB95_22:
	s_mov_b32 s31, -1
                                        ; implicit-def: $vgpr0
                                        ; implicit-def: $vgpr1
	s_branch .LBB95_140
.LBB95_23:
	v_dual_mov_b32 v2, v12 :: v_dual_mov_b32 v1, 0
	s_and_b32 s7, s7, 3
	s_delay_alu instid0(SALU_CYCLE_1)
	s_cmp_eq_u32 s7, 0
	s_cbranch_scc1 .LBB95_26
.LBB95_24:
	s_lshl_b32 s2, s8, 3
	s_mul_i32 s4, s8, 12
	s_add_u32 s2, s2, s0
	s_addc_u32 s3, 0, s1
	s_add_u32 s2, s2, 0xc4
	s_addc_u32 s3, s3, 0
	;; [unrolled: 2-line block ×3, first 2 shown]
	.p2align	6
.LBB95_25:                              ; =>This Inner Loop Header: Depth=1
	s_clause 0x1
	s_load_b64 s[8:9], s[4:5], 0x4
	s_load_b32 s12, s[4:5], 0xc
	s_load_b64 s[10:11], s[2:3], 0x0
	s_add_u32 s4, s4, 12
	s_addc_u32 s5, s5, 0
	s_add_u32 s2, s2, 8
	s_addc_u32 s3, s3, 0
	s_add_i32 s7, s7, -1
	s_delay_alu instid0(SALU_CYCLE_1) | instskip(SKIP_2) | instid1(VALU_DEP_1)
	s_cmp_lg_u32 s7, 0
	s_waitcnt lgkmcnt(0)
	v_mul_hi_u32 v3, s9, v2
	v_add_nc_u32_e32 v3, v2, v3
	s_delay_alu instid0(VALU_DEP_1) | instskip(NEXT) | instid1(VALU_DEP_1)
	v_lshrrev_b32_e32 v6, s12, v3
	v_mul_lo_u32 v3, v6, s8
	s_delay_alu instid0(VALU_DEP_1) | instskip(NEXT) | instid1(VALU_DEP_1)
	v_sub_nc_u32_e32 v2, v2, v3
	v_mad_u64_u32 v[3:4], null, v2, s10, v[0:1]
	v_mad_u64_u32 v[4:5], null, v2, s11, v[1:2]
	v_mov_b32_e32 v2, v6
	s_delay_alu instid0(VALU_DEP_2)
	v_dual_mov_b32 v0, v3 :: v_dual_mov_b32 v1, v4
	s_cbranch_scc1 .LBB95_25
.LBB95_26:
	s_and_not1_b32 vcc_lo, exec_lo, s6
	s_cbranch_vccnz .LBB95_29
; %bb.27:
	s_clause 0x1
	s_load_b128 s[4:7], s[0:1], 0x4
	s_load_b64 s[2:3], s[0:1], 0xc4
	s_cmp_lt_u32 s22, 2
	s_waitcnt lgkmcnt(0)
	v_mul_hi_u32 v0, s5, v12
	s_delay_alu instid0(VALU_DEP_1) | instskip(NEXT) | instid1(VALU_DEP_1)
	v_add_nc_u32_e32 v0, v12, v0
	v_lshrrev_b32_e32 v2, s6, v0
	s_delay_alu instid0(VALU_DEP_1) | instskip(NEXT) | instid1(VALU_DEP_1)
	v_mul_lo_u32 v0, v2, s4
	v_sub_nc_u32_e32 v1, v12, v0
	s_delay_alu instid0(VALU_DEP_1)
	v_mul_lo_u32 v0, v1, s2
	v_mul_lo_u32 v1, v1, s3
	s_cbranch_scc1 .LBB95_29
; %bb.28:
	s_clause 0x1
	s_load_b128 s[4:7], s[0:1], 0x10
	s_load_b64 s[2:3], s[0:1], 0xcc
	s_waitcnt lgkmcnt(0)
	v_mul_hi_u32 v3, s5, v2
	s_delay_alu instid0(VALU_DEP_1) | instskip(NEXT) | instid1(VALU_DEP_1)
	v_add_nc_u32_e32 v3, v2, v3
	v_lshrrev_b32_e32 v3, s6, v3
	s_delay_alu instid0(VALU_DEP_1) | instskip(NEXT) | instid1(VALU_DEP_1)
	v_mul_lo_u32 v3, v3, s4
	v_sub_nc_u32_e32 v5, v2, v3
	s_delay_alu instid0(VALU_DEP_1) | instskip(NEXT) | instid1(VALU_DEP_1)
	v_mad_u64_u32 v[2:3], null, v5, s2, v[0:1]
	v_mad_u64_u32 v[3:4], null, v5, s3, v[1:2]
	s_delay_alu instid0(VALU_DEP_1)
	v_dual_mov_b32 v0, v2 :: v_dual_mov_b32 v1, v3
.LBB95_29:
	v_cmp_ne_u32_e32 vcc_lo, 1, v14
	v_add_nc_u32_e32 v4, 0x80, v12
	s_cbranch_vccnz .LBB95_35
; %bb.30:
	v_dual_mov_b32 v2, 0 :: v_dual_mov_b32 v3, 0
	s_cmp_lg_u32 s22, 0
	s_mov_b32 s6, 0
	s_cbranch_scc0 .LBB95_39
; %bb.31:
	s_min_u32 s7, s23, 15
	v_mov_b32_e32 v2, 0
	s_add_i32 s7, s7, 1
	s_cmp_eq_u32 s23, 2
	s_mov_b32 s8, 0
	s_cbranch_scc1 .LBB95_36
; %bb.32:
	v_dual_mov_b32 v3, 0 :: v_dual_mov_b32 v2, 0
	v_mov_b32_e32 v5, v4
	s_add_u32 s2, s0, 0xc4
	s_addc_u32 s3, s1, 0
	s_and_b32 s8, s7, 28
	s_mov_b32 s9, 0
	s_mov_b64 s[4:5], s[0:1]
.LBB95_33:                              ; =>This Inner Loop Header: Depth=1
	s_clause 0x1
	s_load_b256 s[12:19], s[4:5], 0x4
	s_load_b128 s[36:39], s[4:5], 0x24
	s_load_b256 s[24:31], s[2:3], 0x0
	s_add_u32 s4, s4, 48
	s_addc_u32 s5, s5, 0
	s_add_i32 s9, s9, 4
	s_add_u32 s2, s2, 32
	s_addc_u32 s3, s3, 0
	s_cmp_lg_u32 s8, s9
	s_waitcnt lgkmcnt(0)
	v_mul_hi_u32 v6, s13, v5
	s_delay_alu instid0(VALU_DEP_1) | instskip(NEXT) | instid1(VALU_DEP_1)
	v_add_nc_u32_e32 v6, v5, v6
	v_lshrrev_b32_e32 v6, s14, v6
	s_delay_alu instid0(VALU_DEP_1) | instskip(SKIP_1) | instid1(VALU_DEP_2)
	v_mul_hi_u32 v7, s16, v6
	v_mul_lo_u32 v9, v6, s12
	v_add_nc_u32_e32 v7, v6, v7
	s_delay_alu instid0(VALU_DEP_2) | instskip(NEXT) | instid1(VALU_DEP_2)
	v_sub_nc_u32_e32 v5, v5, v9
	v_lshrrev_b32_e32 v7, s17, v7
	s_delay_alu instid0(VALU_DEP_2) | instskip(SKIP_1) | instid1(VALU_DEP_3)
	v_mul_lo_u32 v9, v5, s24
	v_mul_lo_u32 v11, v5, s25
	v_mul_hi_u32 v8, s19, v7
	s_delay_alu instid0(VALU_DEP_1) | instskip(NEXT) | instid1(VALU_DEP_1)
	v_add_nc_u32_e32 v8, v7, v8
	v_lshrrev_b32_e32 v8, s36, v8
	s_delay_alu instid0(VALU_DEP_1) | instskip(SKIP_1) | instid1(VALU_DEP_2)
	v_mul_hi_u32 v10, s38, v8
	v_mul_lo_u32 v13, v8, s18
	v_add_nc_u32_e32 v5, v8, v10
	v_mul_lo_u32 v10, v7, s15
	s_delay_alu instid0(VALU_DEP_3) | instskip(NEXT) | instid1(VALU_DEP_3)
	v_sub_nc_u32_e32 v7, v7, v13
	v_lshrrev_b32_e32 v5, s39, v5
	s_delay_alu instid0(VALU_DEP_2) | instskip(SKIP_2) | instid1(VALU_DEP_4)
	v_mul_lo_u32 v13, v7, s28
	v_mul_lo_u32 v7, v7, s29
	v_sub_nc_u32_e32 v6, v6, v10
	v_mul_lo_u32 v15, v5, s37
	s_delay_alu instid0(VALU_DEP_2) | instskip(SKIP_1) | instid1(VALU_DEP_3)
	v_mul_lo_u32 v10, v6, s26
	v_mul_lo_u32 v6, v6, s27
	v_sub_nc_u32_e32 v8, v8, v15
	s_delay_alu instid0(VALU_DEP_3) | instskip(NEXT) | instid1(VALU_DEP_2)
	v_add3_u32 v2, v9, v2, v10
	v_mul_lo_u32 v15, v8, s30
	v_mul_lo_u32 v8, v8, s31
	v_add3_u32 v3, v11, v3, v6
	s_delay_alu instid0(VALU_DEP_3) | instskip(NEXT) | instid1(VALU_DEP_2)
	v_add3_u32 v2, v13, v2, v15
	v_add3_u32 v3, v7, v3, v8
	s_cbranch_scc1 .LBB95_33
; %bb.34:
	s_and_b32 s7, s7, 3
	s_delay_alu instid0(SALU_CYCLE_1)
	s_cmp_eq_u32 s7, 0
	s_cbranch_scc0 .LBB95_37
	s_branch .LBB95_39
.LBB95_35:
	s_mov_b32 s6, -1
                                        ; implicit-def: $vgpr2
                                        ; implicit-def: $vgpr3
	s_branch .LBB95_39
.LBB95_36:
	v_mov_b32_e32 v5, v4
	v_mov_b32_e32 v3, 0
	s_and_b32 s7, s7, 3
	s_delay_alu instid0(SALU_CYCLE_1)
	s_cmp_eq_u32 s7, 0
	s_cbranch_scc1 .LBB95_39
.LBB95_37:
	s_lshl_b32 s2, s8, 3
	s_mul_i32 s4, s8, 12
	s_add_u32 s2, s2, s0
	s_addc_u32 s3, 0, s1
	s_add_u32 s2, s2, 0xc4
	s_addc_u32 s3, s3, 0
	;; [unrolled: 2-line block ×3, first 2 shown]
	.p2align	6
.LBB95_38:                              ; =>This Inner Loop Header: Depth=1
	s_clause 0x1
	s_load_b64 s[8:9], s[4:5], 0x4
	s_load_b32 s12, s[4:5], 0xc
	s_load_b64 s[10:11], s[2:3], 0x0
	s_add_u32 s4, s4, 12
	s_addc_u32 s5, s5, 0
	s_add_u32 s2, s2, 8
	s_addc_u32 s3, s3, 0
	s_add_i32 s7, s7, -1
	s_delay_alu instid0(SALU_CYCLE_1) | instskip(SKIP_2) | instid1(VALU_DEP_1)
	s_cmp_lg_u32 s7, 0
	s_waitcnt lgkmcnt(0)
	v_mul_hi_u32 v6, s9, v5
	v_add_nc_u32_e32 v6, v5, v6
	s_delay_alu instid0(VALU_DEP_1) | instskip(NEXT) | instid1(VALU_DEP_1)
	v_lshrrev_b32_e32 v9, s12, v6
	v_mul_lo_u32 v6, v9, s8
	s_delay_alu instid0(VALU_DEP_1) | instskip(NEXT) | instid1(VALU_DEP_1)
	v_sub_nc_u32_e32 v5, v5, v6
	v_mad_u64_u32 v[6:7], null, v5, s10, v[2:3]
	v_mad_u64_u32 v[7:8], null, v5, s11, v[3:4]
	s_delay_alu instid0(VALU_DEP_2) | instskip(NEXT) | instid1(VALU_DEP_2)
	v_dual_mov_b32 v5, v9 :: v_dual_mov_b32 v2, v6
	v_mov_b32_e32 v3, v7
	s_cbranch_scc1 .LBB95_38
.LBB95_39:
	s_and_not1_b32 vcc_lo, exec_lo, s6
	s_cbranch_vccnz .LBB95_42
; %bb.40:
	s_clause 0x1
	s_load_b128 s[4:7], s[0:1], 0x4
	s_load_b64 s[2:3], s[0:1], 0xc4
	s_cmp_lt_u32 s22, 2
	s_waitcnt lgkmcnt(0)
	v_mul_hi_u32 v2, s5, v4
	s_delay_alu instid0(VALU_DEP_1) | instskip(NEXT) | instid1(VALU_DEP_1)
	v_add_nc_u32_e32 v2, v4, v2
	v_lshrrev_b32_e32 v5, s6, v2
	s_delay_alu instid0(VALU_DEP_1) | instskip(NEXT) | instid1(VALU_DEP_1)
	v_mul_lo_u32 v2, v5, s4
	v_sub_nc_u32_e32 v3, v4, v2
	s_delay_alu instid0(VALU_DEP_1)
	v_mul_lo_u32 v2, v3, s2
	v_mul_lo_u32 v3, v3, s3
	s_cbranch_scc1 .LBB95_42
; %bb.41:
	s_clause 0x1
	s_load_b128 s[4:7], s[0:1], 0x10
	s_load_b64 s[2:3], s[0:1], 0xcc
	s_waitcnt lgkmcnt(0)
	v_mul_hi_u32 v4, s5, v5
	s_delay_alu instid0(VALU_DEP_1) | instskip(NEXT) | instid1(VALU_DEP_1)
	v_add_nc_u32_e32 v4, v5, v4
	v_lshrrev_b32_e32 v4, s6, v4
	s_delay_alu instid0(VALU_DEP_1) | instskip(NEXT) | instid1(VALU_DEP_1)
	v_mul_lo_u32 v4, v4, s4
	v_sub_nc_u32_e32 v7, v5, v4
	s_delay_alu instid0(VALU_DEP_1) | instskip(NEXT) | instid1(VALU_DEP_1)
	v_mad_u64_u32 v[4:5], null, v7, s2, v[2:3]
	v_mad_u64_u32 v[5:6], null, v7, s3, v[3:4]
	s_delay_alu instid0(VALU_DEP_1)
	v_dual_mov_b32 v2, v4 :: v_dual_mov_b32 v3, v5
.LBB95_42:
	v_cmp_ne_u32_e32 vcc_lo, 1, v14
	v_add_nc_u32_e32 v6, 0x100, v12
	s_cbranch_vccnz .LBB95_48
; %bb.43:
	v_dual_mov_b32 v4, 0 :: v_dual_mov_b32 v5, 0
	s_cmp_lg_u32 s22, 0
	s_mov_b32 s6, 0
	s_cbranch_scc0 .LBB95_52
; %bb.44:
	s_min_u32 s7, s23, 15
	v_mov_b32_e32 v4, 0
	s_add_i32 s7, s7, 1
	s_cmp_eq_u32 s23, 2
	s_mov_b32 s8, 0
	s_cbranch_scc1 .LBB95_49
; %bb.45:
	v_dual_mov_b32 v5, 0 :: v_dual_mov_b32 v4, 0
	v_mov_b32_e32 v7, v6
	s_add_u32 s2, s0, 0xc4
	s_addc_u32 s3, s1, 0
	s_and_b32 s8, s7, 28
	s_mov_b32 s9, 0
	s_mov_b64 s[4:5], s[0:1]
.LBB95_46:                              ; =>This Inner Loop Header: Depth=1
	s_clause 0x1
	s_load_b256 s[12:19], s[4:5], 0x4
	s_load_b128 s[36:39], s[4:5], 0x24
	s_load_b256 s[24:31], s[2:3], 0x0
	s_add_u32 s4, s4, 48
	s_addc_u32 s5, s5, 0
	s_add_i32 s9, s9, 4
	s_add_u32 s2, s2, 32
	s_addc_u32 s3, s3, 0
	s_cmp_lg_u32 s8, s9
	s_waitcnt lgkmcnt(0)
	v_mul_hi_u32 v8, s13, v7
	s_delay_alu instid0(VALU_DEP_1) | instskip(NEXT) | instid1(VALU_DEP_1)
	v_add_nc_u32_e32 v8, v7, v8
	v_lshrrev_b32_e32 v8, s14, v8
	s_delay_alu instid0(VALU_DEP_1) | instskip(SKIP_1) | instid1(VALU_DEP_2)
	v_mul_hi_u32 v9, s16, v8
	v_mul_lo_u32 v11, v8, s12
	v_add_nc_u32_e32 v9, v8, v9
	s_delay_alu instid0(VALU_DEP_2) | instskip(NEXT) | instid1(VALU_DEP_2)
	v_sub_nc_u32_e32 v7, v7, v11
	v_lshrrev_b32_e32 v9, s17, v9
	s_delay_alu instid0(VALU_DEP_2) | instskip(SKIP_1) | instid1(VALU_DEP_3)
	v_mul_lo_u32 v11, v7, s24
	v_mul_lo_u32 v15, v7, s25
	v_mul_hi_u32 v10, s19, v9
	s_delay_alu instid0(VALU_DEP_1) | instskip(NEXT) | instid1(VALU_DEP_1)
	v_add_nc_u32_e32 v10, v9, v10
	v_lshrrev_b32_e32 v10, s36, v10
	s_delay_alu instid0(VALU_DEP_1) | instskip(SKIP_1) | instid1(VALU_DEP_2)
	v_mul_hi_u32 v13, s38, v10
	v_mul_lo_u32 v17, v10, s18
	v_add_nc_u32_e32 v7, v10, v13
	v_mul_lo_u32 v13, v9, s15
	s_delay_alu instid0(VALU_DEP_3) | instskip(NEXT) | instid1(VALU_DEP_3)
	v_sub_nc_u32_e32 v9, v9, v17
	v_lshrrev_b32_e32 v7, s39, v7
	s_delay_alu instid0(VALU_DEP_2) | instskip(SKIP_2) | instid1(VALU_DEP_4)
	v_mul_lo_u32 v17, v9, s28
	v_mul_lo_u32 v9, v9, s29
	v_sub_nc_u32_e32 v8, v8, v13
	v_mul_lo_u32 v18, v7, s37
	s_delay_alu instid0(VALU_DEP_2) | instskip(SKIP_1) | instid1(VALU_DEP_3)
	v_mul_lo_u32 v13, v8, s26
	v_mul_lo_u32 v8, v8, s27
	v_sub_nc_u32_e32 v10, v10, v18
	s_delay_alu instid0(VALU_DEP_3) | instskip(NEXT) | instid1(VALU_DEP_2)
	v_add3_u32 v4, v11, v4, v13
	v_mul_lo_u32 v18, v10, s30
	v_mul_lo_u32 v10, v10, s31
	v_add3_u32 v5, v15, v5, v8
	s_delay_alu instid0(VALU_DEP_3) | instskip(NEXT) | instid1(VALU_DEP_2)
	v_add3_u32 v4, v17, v4, v18
	v_add3_u32 v5, v9, v5, v10
	s_cbranch_scc1 .LBB95_46
; %bb.47:
	s_and_b32 s7, s7, 3
	s_delay_alu instid0(SALU_CYCLE_1)
	s_cmp_eq_u32 s7, 0
	s_cbranch_scc0 .LBB95_50
	s_branch .LBB95_52
.LBB95_48:
	s_mov_b32 s6, -1
                                        ; implicit-def: $vgpr4
                                        ; implicit-def: $vgpr5
	s_branch .LBB95_52
.LBB95_49:
	v_mov_b32_e32 v7, v6
	v_mov_b32_e32 v5, 0
	s_and_b32 s7, s7, 3
	s_delay_alu instid0(SALU_CYCLE_1)
	s_cmp_eq_u32 s7, 0
	s_cbranch_scc1 .LBB95_52
.LBB95_50:
	s_lshl_b32 s2, s8, 3
	s_mul_i32 s4, s8, 12
	s_add_u32 s2, s2, s0
	s_addc_u32 s3, 0, s1
	s_add_u32 s2, s2, 0xc4
	s_addc_u32 s3, s3, 0
	;; [unrolled: 2-line block ×3, first 2 shown]
	.p2align	6
.LBB95_51:                              ; =>This Inner Loop Header: Depth=1
	s_clause 0x1
	s_load_b64 s[8:9], s[4:5], 0x4
	s_load_b32 s12, s[4:5], 0xc
	s_load_b64 s[10:11], s[2:3], 0x0
	s_add_u32 s4, s4, 12
	s_addc_u32 s5, s5, 0
	s_add_u32 s2, s2, 8
	s_addc_u32 s3, s3, 0
	s_add_i32 s7, s7, -1
	s_delay_alu instid0(SALU_CYCLE_1) | instskip(SKIP_2) | instid1(VALU_DEP_1)
	s_cmp_lg_u32 s7, 0
	s_waitcnt lgkmcnt(0)
	v_mul_hi_u32 v8, s9, v7
	v_add_nc_u32_e32 v8, v7, v8
	s_delay_alu instid0(VALU_DEP_1) | instskip(NEXT) | instid1(VALU_DEP_1)
	v_lshrrev_b32_e32 v11, s12, v8
	v_mul_lo_u32 v8, v11, s8
	s_delay_alu instid0(VALU_DEP_1) | instskip(NEXT) | instid1(VALU_DEP_1)
	v_sub_nc_u32_e32 v7, v7, v8
	v_mad_u64_u32 v[8:9], null, v7, s10, v[4:5]
	v_mad_u64_u32 v[9:10], null, v7, s11, v[5:6]
	s_delay_alu instid0(VALU_DEP_2) | instskip(NEXT) | instid1(VALU_DEP_2)
	v_dual_mov_b32 v7, v11 :: v_dual_mov_b32 v4, v8
	v_mov_b32_e32 v5, v9
	s_cbranch_scc1 .LBB95_51
.LBB95_52:
	s_and_not1_b32 vcc_lo, exec_lo, s6
	s_cbranch_vccnz .LBB95_55
; %bb.53:
	s_clause 0x1
	s_load_b128 s[4:7], s[0:1], 0x4
	s_load_b64 s[2:3], s[0:1], 0xc4
	s_cmp_lt_u32 s22, 2
	s_waitcnt lgkmcnt(0)
	v_mul_hi_u32 v4, s5, v6
	s_delay_alu instid0(VALU_DEP_1) | instskip(NEXT) | instid1(VALU_DEP_1)
	v_add_nc_u32_e32 v4, v6, v4
	v_lshrrev_b32_e32 v7, s6, v4
	s_delay_alu instid0(VALU_DEP_1) | instskip(NEXT) | instid1(VALU_DEP_1)
	v_mul_lo_u32 v4, v7, s4
	v_sub_nc_u32_e32 v5, v6, v4
	s_delay_alu instid0(VALU_DEP_1)
	v_mul_lo_u32 v4, v5, s2
	v_mul_lo_u32 v5, v5, s3
	s_cbranch_scc1 .LBB95_55
; %bb.54:
	s_clause 0x1
	s_load_b128 s[4:7], s[0:1], 0x10
	s_load_b64 s[2:3], s[0:1], 0xcc
	s_waitcnt lgkmcnt(0)
	v_mul_hi_u32 v6, s5, v7
	s_delay_alu instid0(VALU_DEP_1) | instskip(NEXT) | instid1(VALU_DEP_1)
	v_add_nc_u32_e32 v6, v7, v6
	v_lshrrev_b32_e32 v6, s6, v6
	s_delay_alu instid0(VALU_DEP_1) | instskip(NEXT) | instid1(VALU_DEP_1)
	v_mul_lo_u32 v6, v6, s4
	v_sub_nc_u32_e32 v9, v7, v6
	s_delay_alu instid0(VALU_DEP_1) | instskip(NEXT) | instid1(VALU_DEP_1)
	v_mad_u64_u32 v[6:7], null, v9, s2, v[4:5]
	v_mad_u64_u32 v[7:8], null, v9, s3, v[5:6]
	s_delay_alu instid0(VALU_DEP_1)
	v_dual_mov_b32 v4, v6 :: v_dual_mov_b32 v5, v7
.LBB95_55:
	v_cmp_ne_u32_e32 vcc_lo, 1, v14
	v_add_nc_u32_e32 v8, 0x180, v12
	s_cbranch_vccnz .LBB95_61
; %bb.56:
	v_dual_mov_b32 v6, 0 :: v_dual_mov_b32 v7, 0
	s_cmp_lg_u32 s22, 0
	s_mov_b32 s6, 0
	s_cbranch_scc0 .LBB95_65
; %bb.57:
	s_min_u32 s7, s23, 15
	v_mov_b32_e32 v6, 0
	s_add_i32 s7, s7, 1
	s_cmp_eq_u32 s23, 2
	s_mov_b32 s8, 0
	s_cbranch_scc1 .LBB95_62
; %bb.58:
	v_dual_mov_b32 v7, 0 :: v_dual_mov_b32 v6, 0
	v_mov_b32_e32 v9, v8
	s_add_u32 s2, s0, 0xc4
	s_addc_u32 s3, s1, 0
	s_and_b32 s8, s7, 28
	s_mov_b32 s9, 0
	s_mov_b64 s[4:5], s[0:1]
.LBB95_59:                              ; =>This Inner Loop Header: Depth=1
	s_clause 0x1
	s_load_b256 s[12:19], s[4:5], 0x4
	s_load_b128 s[36:39], s[4:5], 0x24
	s_load_b256 s[24:31], s[2:3], 0x0
	s_add_u32 s4, s4, 48
	s_addc_u32 s5, s5, 0
	s_add_i32 s9, s9, 4
	s_add_u32 s2, s2, 32
	s_addc_u32 s3, s3, 0
	s_cmp_lg_u32 s8, s9
	s_waitcnt lgkmcnt(0)
	v_mul_hi_u32 v10, s13, v9
	s_delay_alu instid0(VALU_DEP_1) | instskip(NEXT) | instid1(VALU_DEP_1)
	v_add_nc_u32_e32 v10, v9, v10
	v_lshrrev_b32_e32 v10, s14, v10
	s_delay_alu instid0(VALU_DEP_1) | instskip(SKIP_1) | instid1(VALU_DEP_2)
	v_mul_hi_u32 v11, s16, v10
	v_mul_lo_u32 v15, v10, s12
	v_add_nc_u32_e32 v11, v10, v11
	s_delay_alu instid0(VALU_DEP_2) | instskip(NEXT) | instid1(VALU_DEP_2)
	v_sub_nc_u32_e32 v9, v9, v15
	v_lshrrev_b32_e32 v11, s17, v11
	s_delay_alu instid0(VALU_DEP_2) | instskip(SKIP_1) | instid1(VALU_DEP_3)
	v_mul_lo_u32 v15, v9, s24
	v_mul_lo_u32 v18, v9, s25
	v_mul_hi_u32 v13, s19, v11
	s_delay_alu instid0(VALU_DEP_1) | instskip(NEXT) | instid1(VALU_DEP_1)
	v_add_nc_u32_e32 v13, v11, v13
	v_lshrrev_b32_e32 v13, s36, v13
	s_delay_alu instid0(VALU_DEP_1) | instskip(SKIP_1) | instid1(VALU_DEP_2)
	v_mul_hi_u32 v17, s38, v13
	v_mul_lo_u32 v19, v13, s18
	v_add_nc_u32_e32 v9, v13, v17
	v_mul_lo_u32 v17, v11, s15
	s_delay_alu instid0(VALU_DEP_3) | instskip(NEXT) | instid1(VALU_DEP_3)
	v_sub_nc_u32_e32 v11, v11, v19
	v_lshrrev_b32_e32 v9, s39, v9
	s_delay_alu instid0(VALU_DEP_2) | instskip(SKIP_2) | instid1(VALU_DEP_4)
	v_mul_lo_u32 v19, v11, s28
	v_mul_lo_u32 v11, v11, s29
	v_sub_nc_u32_e32 v10, v10, v17
	v_mul_lo_u32 v20, v9, s37
	s_delay_alu instid0(VALU_DEP_2) | instskip(SKIP_1) | instid1(VALU_DEP_3)
	v_mul_lo_u32 v17, v10, s26
	v_mul_lo_u32 v10, v10, s27
	v_sub_nc_u32_e32 v13, v13, v20
	s_delay_alu instid0(VALU_DEP_3) | instskip(NEXT) | instid1(VALU_DEP_2)
	v_add3_u32 v6, v15, v6, v17
	v_mul_lo_u32 v20, v13, s30
	v_mul_lo_u32 v13, v13, s31
	v_add3_u32 v7, v18, v7, v10
	s_delay_alu instid0(VALU_DEP_3) | instskip(NEXT) | instid1(VALU_DEP_2)
	v_add3_u32 v6, v19, v6, v20
	v_add3_u32 v7, v11, v7, v13
	s_cbranch_scc1 .LBB95_59
; %bb.60:
	s_and_b32 s7, s7, 3
	s_delay_alu instid0(SALU_CYCLE_1)
	s_cmp_eq_u32 s7, 0
	s_cbranch_scc0 .LBB95_63
	s_branch .LBB95_65
.LBB95_61:
	s_mov_b32 s6, -1
                                        ; implicit-def: $vgpr6
                                        ; implicit-def: $vgpr7
	s_branch .LBB95_65
.LBB95_62:
	v_mov_b32_e32 v9, v8
	v_mov_b32_e32 v7, 0
	s_and_b32 s7, s7, 3
	s_delay_alu instid0(SALU_CYCLE_1)
	s_cmp_eq_u32 s7, 0
	s_cbranch_scc1 .LBB95_65
.LBB95_63:
	s_lshl_b32 s2, s8, 3
	s_mul_i32 s4, s8, 12
	s_add_u32 s2, s2, s0
	s_addc_u32 s3, 0, s1
	s_add_u32 s2, s2, 0xc4
	s_addc_u32 s3, s3, 0
	;; [unrolled: 2-line block ×3, first 2 shown]
	.p2align	6
.LBB95_64:                              ; =>This Inner Loop Header: Depth=1
	s_clause 0x1
	s_load_b64 s[8:9], s[4:5], 0x4
	s_load_b32 s12, s[4:5], 0xc
	s_load_b64 s[10:11], s[2:3], 0x0
	s_add_u32 s4, s4, 12
	s_addc_u32 s5, s5, 0
	s_add_u32 s2, s2, 8
	s_addc_u32 s3, s3, 0
	s_add_i32 s7, s7, -1
	s_delay_alu instid0(SALU_CYCLE_1) | instskip(SKIP_2) | instid1(VALU_DEP_1)
	s_cmp_lg_u32 s7, 0
	s_waitcnt lgkmcnt(0)
	v_mul_hi_u32 v10, s9, v9
	v_add_nc_u32_e32 v10, v9, v10
	s_delay_alu instid0(VALU_DEP_1) | instskip(NEXT) | instid1(VALU_DEP_1)
	v_lshrrev_b32_e32 v13, s12, v10
	v_mul_lo_u32 v10, v13, s8
	s_delay_alu instid0(VALU_DEP_1) | instskip(NEXT) | instid1(VALU_DEP_1)
	v_sub_nc_u32_e32 v9, v9, v10
	v_mad_u64_u32 v[10:11], null, v9, s10, v[6:7]
	v_mad_u64_u32 v[17:18], null, v9, s11, v[7:8]
	s_delay_alu instid0(VALU_DEP_2) | instskip(NEXT) | instid1(VALU_DEP_2)
	v_dual_mov_b32 v9, v13 :: v_dual_mov_b32 v6, v10
	v_mov_b32_e32 v7, v17
	s_cbranch_scc1 .LBB95_64
.LBB95_65:
	s_and_not1_b32 vcc_lo, exec_lo, s6
	s_cbranch_vccnz .LBB95_68
; %bb.66:
	s_clause 0x1
	s_load_b128 s[4:7], s[0:1], 0x4
	s_load_b64 s[2:3], s[0:1], 0xc4
	s_cmp_lt_u32 s22, 2
	s_waitcnt lgkmcnt(0)
	v_mul_hi_u32 v6, s5, v8
	s_delay_alu instid0(VALU_DEP_1) | instskip(NEXT) | instid1(VALU_DEP_1)
	v_add_nc_u32_e32 v6, v8, v6
	v_lshrrev_b32_e32 v9, s6, v6
	s_delay_alu instid0(VALU_DEP_1) | instskip(NEXT) | instid1(VALU_DEP_1)
	v_mul_lo_u32 v6, v9, s4
	v_sub_nc_u32_e32 v7, v8, v6
	s_delay_alu instid0(VALU_DEP_1)
	v_mul_lo_u32 v6, v7, s2
	v_mul_lo_u32 v7, v7, s3
	s_cbranch_scc1 .LBB95_68
; %bb.67:
	s_clause 0x1
	s_load_b128 s[4:7], s[0:1], 0x10
	s_load_b64 s[2:3], s[0:1], 0xcc
	s_waitcnt lgkmcnt(0)
	v_mul_hi_u32 v8, s5, v9
	s_delay_alu instid0(VALU_DEP_1) | instskip(NEXT) | instid1(VALU_DEP_1)
	v_add_nc_u32_e32 v8, v9, v8
	v_lshrrev_b32_e32 v8, s6, v8
	s_delay_alu instid0(VALU_DEP_1) | instskip(NEXT) | instid1(VALU_DEP_1)
	v_mul_lo_u32 v8, v8, s4
	v_sub_nc_u32_e32 v11, v9, v8
	s_delay_alu instid0(VALU_DEP_1) | instskip(NEXT) | instid1(VALU_DEP_1)
	v_mad_u64_u32 v[8:9], null, v11, s2, v[6:7]
	v_mad_u64_u32 v[9:10], null, v11, s3, v[7:8]
	s_delay_alu instid0(VALU_DEP_1)
	v_dual_mov_b32 v6, v8 :: v_dual_mov_b32 v7, v9
.LBB95_68:
	v_cmp_ne_u32_e32 vcc_lo, 1, v14
	v_add_nc_u32_e32 v10, 0x200, v12
	s_cbranch_vccnz .LBB95_74
; %bb.69:
	v_dual_mov_b32 v8, 0 :: v_dual_mov_b32 v9, 0
	s_cmp_lg_u32 s22, 0
	s_mov_b32 s6, 0
	s_cbranch_scc0 .LBB95_78
; %bb.70:
	s_min_u32 s7, s23, 15
	v_mov_b32_e32 v8, 0
	s_add_i32 s7, s7, 1
	s_cmp_eq_u32 s23, 2
	s_mov_b32 s8, 0
	s_cbranch_scc1 .LBB95_75
; %bb.71:
	v_dual_mov_b32 v9, 0 :: v_dual_mov_b32 v8, 0
	v_mov_b32_e32 v11, v10
	s_add_u32 s2, s0, 0xc4
	s_addc_u32 s3, s1, 0
	s_and_b32 s8, s7, 28
	s_mov_b32 s9, 0
	s_mov_b64 s[4:5], s[0:1]
.LBB95_72:                              ; =>This Inner Loop Header: Depth=1
	s_clause 0x1
	s_load_b256 s[12:19], s[4:5], 0x4
	s_load_b128 s[36:39], s[4:5], 0x24
	s_load_b256 s[24:31], s[2:3], 0x0
	s_add_u32 s4, s4, 48
	s_addc_u32 s5, s5, 0
	s_add_i32 s9, s9, 4
	s_add_u32 s2, s2, 32
	s_addc_u32 s3, s3, 0
	s_cmp_lg_u32 s8, s9
	s_waitcnt lgkmcnt(0)
	v_mul_hi_u32 v13, s13, v11
	s_delay_alu instid0(VALU_DEP_1) | instskip(NEXT) | instid1(VALU_DEP_1)
	v_add_nc_u32_e32 v13, v11, v13
	v_lshrrev_b32_e32 v13, s14, v13
	s_delay_alu instid0(VALU_DEP_1) | instskip(SKIP_1) | instid1(VALU_DEP_2)
	v_mul_hi_u32 v15, s16, v13
	v_mul_lo_u32 v18, v13, s12
	v_add_nc_u32_e32 v15, v13, v15
	s_delay_alu instid0(VALU_DEP_2) | instskip(NEXT) | instid1(VALU_DEP_2)
	v_sub_nc_u32_e32 v11, v11, v18
	v_lshrrev_b32_e32 v15, s17, v15
	s_delay_alu instid0(VALU_DEP_2) | instskip(SKIP_1) | instid1(VALU_DEP_3)
	v_mul_lo_u32 v18, v11, s24
	v_mul_lo_u32 v20, v11, s25
	v_mul_hi_u32 v17, s19, v15
	s_delay_alu instid0(VALU_DEP_1) | instskip(NEXT) | instid1(VALU_DEP_1)
	v_add_nc_u32_e32 v17, v15, v17
	v_lshrrev_b32_e32 v17, s36, v17
	s_delay_alu instid0(VALU_DEP_1) | instskip(SKIP_1) | instid1(VALU_DEP_2)
	v_mul_hi_u32 v19, s38, v17
	v_mul_lo_u32 v21, v17, s18
	v_add_nc_u32_e32 v11, v17, v19
	v_mul_lo_u32 v19, v15, s15
	s_delay_alu instid0(VALU_DEP_3) | instskip(NEXT) | instid1(VALU_DEP_3)
	v_sub_nc_u32_e32 v15, v15, v21
	v_lshrrev_b32_e32 v11, s39, v11
	s_delay_alu instid0(VALU_DEP_2) | instskip(SKIP_2) | instid1(VALU_DEP_4)
	v_mul_lo_u32 v21, v15, s28
	v_mul_lo_u32 v15, v15, s29
	v_sub_nc_u32_e32 v13, v13, v19
	v_mul_lo_u32 v22, v11, s37
	s_delay_alu instid0(VALU_DEP_2) | instskip(SKIP_1) | instid1(VALU_DEP_3)
	v_mul_lo_u32 v19, v13, s26
	v_mul_lo_u32 v13, v13, s27
	v_sub_nc_u32_e32 v17, v17, v22
	s_delay_alu instid0(VALU_DEP_3) | instskip(NEXT) | instid1(VALU_DEP_2)
	v_add3_u32 v8, v18, v8, v19
	v_mul_lo_u32 v22, v17, s30
	v_mul_lo_u32 v17, v17, s31
	v_add3_u32 v9, v20, v9, v13
	s_delay_alu instid0(VALU_DEP_3) | instskip(NEXT) | instid1(VALU_DEP_2)
	v_add3_u32 v8, v21, v8, v22
	v_add3_u32 v9, v15, v9, v17
	s_cbranch_scc1 .LBB95_72
; %bb.73:
	s_and_b32 s7, s7, 3
	s_delay_alu instid0(SALU_CYCLE_1)
	s_cmp_eq_u32 s7, 0
	s_cbranch_scc0 .LBB95_76
	s_branch .LBB95_78
.LBB95_74:
	s_mov_b32 s6, -1
                                        ; implicit-def: $vgpr8
                                        ; implicit-def: $vgpr9
	s_branch .LBB95_78
.LBB95_75:
	v_mov_b32_e32 v11, v10
	v_mov_b32_e32 v9, 0
	s_and_b32 s7, s7, 3
	s_delay_alu instid0(SALU_CYCLE_1)
	s_cmp_eq_u32 s7, 0
	s_cbranch_scc1 .LBB95_78
.LBB95_76:
	s_lshl_b32 s2, s8, 3
	s_mul_i32 s4, s8, 12
	s_add_u32 s2, s2, s0
	s_addc_u32 s3, 0, s1
	s_add_u32 s2, s2, 0xc4
	s_addc_u32 s3, s3, 0
	;; [unrolled: 2-line block ×3, first 2 shown]
	.p2align	6
.LBB95_77:                              ; =>This Inner Loop Header: Depth=1
	s_clause 0x1
	s_load_b64 s[8:9], s[4:5], 0x4
	s_load_b32 s12, s[4:5], 0xc
	s_load_b64 s[10:11], s[2:3], 0x0
	s_add_u32 s4, s4, 12
	s_addc_u32 s5, s5, 0
	s_add_u32 s2, s2, 8
	s_addc_u32 s3, s3, 0
	s_add_i32 s7, s7, -1
	s_delay_alu instid0(SALU_CYCLE_1) | instskip(SKIP_2) | instid1(VALU_DEP_1)
	s_cmp_lg_u32 s7, 0
	s_waitcnt lgkmcnt(0)
	v_mul_hi_u32 v13, s9, v11
	v_add_nc_u32_e32 v13, v11, v13
	s_delay_alu instid0(VALU_DEP_1) | instskip(NEXT) | instid1(VALU_DEP_1)
	v_lshrrev_b32_e32 v13, s12, v13
	v_mul_lo_u32 v15, v13, s8
	s_delay_alu instid0(VALU_DEP_1) | instskip(NEXT) | instid1(VALU_DEP_1)
	v_sub_nc_u32_e32 v11, v11, v15
	v_mad_u64_u32 v[17:18], null, v11, s10, v[8:9]
	v_mad_u64_u32 v[18:19], null, v11, s11, v[9:10]
	v_mov_b32_e32 v11, v13
	s_delay_alu instid0(VALU_DEP_2)
	v_dual_mov_b32 v8, v17 :: v_dual_mov_b32 v9, v18
	s_cbranch_scc1 .LBB95_77
.LBB95_78:
	s_and_not1_b32 vcc_lo, exec_lo, s6
	s_cbranch_vccnz .LBB95_81
; %bb.79:
	s_clause 0x1
	s_load_b128 s[4:7], s[0:1], 0x4
	s_load_b64 s[2:3], s[0:1], 0xc4
	s_cmp_lt_u32 s22, 2
	s_waitcnt lgkmcnt(0)
	v_mul_hi_u32 v8, s5, v10
	s_delay_alu instid0(VALU_DEP_1) | instskip(NEXT) | instid1(VALU_DEP_1)
	v_add_nc_u32_e32 v8, v10, v8
	v_lshrrev_b32_e32 v11, s6, v8
	s_delay_alu instid0(VALU_DEP_1) | instskip(NEXT) | instid1(VALU_DEP_1)
	v_mul_lo_u32 v8, v11, s4
	v_sub_nc_u32_e32 v9, v10, v8
	s_delay_alu instid0(VALU_DEP_1)
	v_mul_lo_u32 v8, v9, s2
	v_mul_lo_u32 v9, v9, s3
	s_cbranch_scc1 .LBB95_81
; %bb.80:
	s_clause 0x1
	s_load_b128 s[4:7], s[0:1], 0x10
	s_load_b64 s[2:3], s[0:1], 0xcc
	s_waitcnt lgkmcnt(0)
	v_mul_hi_u32 v10, s5, v11
	s_delay_alu instid0(VALU_DEP_1) | instskip(NEXT) | instid1(VALU_DEP_1)
	v_add_nc_u32_e32 v10, v11, v10
	v_lshrrev_b32_e32 v10, s6, v10
	s_delay_alu instid0(VALU_DEP_1) | instskip(NEXT) | instid1(VALU_DEP_1)
	v_mul_lo_u32 v10, v10, s4
	v_sub_nc_u32_e32 v13, v11, v10
	s_delay_alu instid0(VALU_DEP_1) | instskip(NEXT) | instid1(VALU_DEP_1)
	v_mad_u64_u32 v[10:11], null, v13, s2, v[8:9]
	v_mad_u64_u32 v[17:18], null, v13, s3, v[9:10]
	s_delay_alu instid0(VALU_DEP_1)
	v_dual_mov_b32 v8, v10 :: v_dual_mov_b32 v9, v17
.LBB95_81:
	v_cmp_ne_u32_e32 vcc_lo, 1, v14
	v_add_nc_u32_e32 v13, 0x280, v12
	s_cbranch_vccnz .LBB95_87
; %bb.82:
	v_dual_mov_b32 v10, 0 :: v_dual_mov_b32 v11, 0
	s_cmp_lg_u32 s22, 0
	s_mov_b32 s6, 0
	s_cbranch_scc0 .LBB95_91
; %bb.83:
	s_min_u32 s7, s23, 15
	v_mov_b32_e32 v10, 0
	s_add_i32 s7, s7, 1
	s_cmp_eq_u32 s23, 2
	s_mov_b32 s8, 0
	s_cbranch_scc1 .LBB95_88
; %bb.84:
	v_dual_mov_b32 v11, 0 :: v_dual_mov_b32 v10, 0
	v_mov_b32_e32 v15, v13
	s_add_u32 s2, s0, 0xc4
	s_addc_u32 s3, s1, 0
	s_and_b32 s8, s7, 28
	s_mov_b32 s9, 0
	s_mov_b64 s[4:5], s[0:1]
.LBB95_85:                              ; =>This Inner Loop Header: Depth=1
	s_clause 0x1
	s_load_b256 s[12:19], s[4:5], 0x4
	s_load_b128 s[36:39], s[4:5], 0x24
	s_load_b256 s[24:31], s[2:3], 0x0
	s_add_u32 s4, s4, 48
	s_addc_u32 s5, s5, 0
	s_add_i32 s9, s9, 4
	s_add_u32 s2, s2, 32
	s_addc_u32 s3, s3, 0
	s_cmp_lg_u32 s8, s9
	s_waitcnt lgkmcnt(0)
	v_mul_hi_u32 v17, s13, v15
	s_delay_alu instid0(VALU_DEP_1) | instskip(NEXT) | instid1(VALU_DEP_1)
	v_add_nc_u32_e32 v17, v15, v17
	v_lshrrev_b32_e32 v17, s14, v17
	s_delay_alu instid0(VALU_DEP_1) | instskip(SKIP_1) | instid1(VALU_DEP_2)
	v_mul_hi_u32 v18, s16, v17
	v_mul_lo_u32 v20, v17, s12
	v_add_nc_u32_e32 v18, v17, v18
	s_delay_alu instid0(VALU_DEP_2) | instskip(NEXT) | instid1(VALU_DEP_2)
	v_sub_nc_u32_e32 v15, v15, v20
	v_lshrrev_b32_e32 v18, s17, v18
	s_delay_alu instid0(VALU_DEP_2) | instskip(SKIP_1) | instid1(VALU_DEP_3)
	v_mul_lo_u32 v20, v15, s24
	v_mul_lo_u32 v22, v15, s25
	v_mul_hi_u32 v19, s19, v18
	s_delay_alu instid0(VALU_DEP_1) | instskip(NEXT) | instid1(VALU_DEP_1)
	v_add_nc_u32_e32 v19, v18, v19
	v_lshrrev_b32_e32 v19, s36, v19
	s_delay_alu instid0(VALU_DEP_1) | instskip(SKIP_1) | instid1(VALU_DEP_2)
	v_mul_hi_u32 v21, s38, v19
	v_mul_lo_u32 v23, v19, s18
	v_add_nc_u32_e32 v15, v19, v21
	v_mul_lo_u32 v21, v18, s15
	s_delay_alu instid0(VALU_DEP_3) | instskip(NEXT) | instid1(VALU_DEP_3)
	v_sub_nc_u32_e32 v18, v18, v23
	v_lshrrev_b32_e32 v15, s39, v15
	s_delay_alu instid0(VALU_DEP_2) | instskip(SKIP_2) | instid1(VALU_DEP_4)
	v_mul_lo_u32 v23, v18, s28
	v_mul_lo_u32 v18, v18, s29
	v_sub_nc_u32_e32 v17, v17, v21
	v_mul_lo_u32 v24, v15, s37
	s_delay_alu instid0(VALU_DEP_2) | instskip(SKIP_1) | instid1(VALU_DEP_3)
	v_mul_lo_u32 v21, v17, s26
	v_mul_lo_u32 v17, v17, s27
	v_sub_nc_u32_e32 v19, v19, v24
	s_delay_alu instid0(VALU_DEP_3) | instskip(NEXT) | instid1(VALU_DEP_2)
	v_add3_u32 v10, v20, v10, v21
	v_mul_lo_u32 v24, v19, s30
	v_mul_lo_u32 v19, v19, s31
	v_add3_u32 v11, v22, v11, v17
	s_delay_alu instid0(VALU_DEP_3) | instskip(NEXT) | instid1(VALU_DEP_2)
	v_add3_u32 v10, v23, v10, v24
	v_add3_u32 v11, v18, v11, v19
	s_cbranch_scc1 .LBB95_85
; %bb.86:
	s_and_b32 s7, s7, 3
	s_delay_alu instid0(SALU_CYCLE_1)
	s_cmp_eq_u32 s7, 0
	s_cbranch_scc0 .LBB95_89
	s_branch .LBB95_91
.LBB95_87:
	s_mov_b32 s6, -1
                                        ; implicit-def: $vgpr10
                                        ; implicit-def: $vgpr11
	s_branch .LBB95_91
.LBB95_88:
	v_mov_b32_e32 v15, v13
	v_mov_b32_e32 v11, 0
	s_and_b32 s7, s7, 3
	s_delay_alu instid0(SALU_CYCLE_1)
	s_cmp_eq_u32 s7, 0
	s_cbranch_scc1 .LBB95_91
.LBB95_89:
	s_lshl_b32 s2, s8, 3
	s_mul_i32 s4, s8, 12
	s_add_u32 s2, s2, s0
	s_addc_u32 s3, 0, s1
	s_add_u32 s2, s2, 0xc4
	s_addc_u32 s3, s3, 0
	s_add_u32 s4, s0, s4
	s_addc_u32 s5, 0, s1
	.p2align	6
.LBB95_90:                              ; =>This Inner Loop Header: Depth=1
	s_clause 0x1
	s_load_b64 s[8:9], s[4:5], 0x4
	s_load_b32 s12, s[4:5], 0xc
	s_load_b64 s[10:11], s[2:3], 0x0
	s_add_u32 s4, s4, 12
	s_addc_u32 s5, s5, 0
	s_add_u32 s2, s2, 8
	s_addc_u32 s3, s3, 0
	s_add_i32 s7, s7, -1
	s_delay_alu instid0(SALU_CYCLE_1) | instskip(SKIP_2) | instid1(VALU_DEP_1)
	s_cmp_lg_u32 s7, 0
	s_waitcnt lgkmcnt(0)
	v_mul_hi_u32 v17, s9, v15
	v_add_nc_u32_e32 v17, v15, v17
	s_delay_alu instid0(VALU_DEP_1) | instskip(NEXT) | instid1(VALU_DEP_1)
	v_lshrrev_b32_e32 v20, s12, v17
	v_mul_lo_u32 v17, v20, s8
	s_delay_alu instid0(VALU_DEP_1) | instskip(NEXT) | instid1(VALU_DEP_1)
	v_sub_nc_u32_e32 v15, v15, v17
	v_mad_u64_u32 v[17:18], null, v15, s10, v[10:11]
	v_mad_u64_u32 v[18:19], null, v15, s11, v[11:12]
	s_delay_alu instid0(VALU_DEP_2) | instskip(NEXT) | instid1(VALU_DEP_2)
	v_dual_mov_b32 v15, v20 :: v_dual_mov_b32 v10, v17
	v_mov_b32_e32 v11, v18
	s_cbranch_scc1 .LBB95_90
.LBB95_91:
	s_and_not1_b32 vcc_lo, exec_lo, s6
	s_cbranch_vccnz .LBB95_94
; %bb.92:
	s_clause 0x1
	s_load_b128 s[4:7], s[0:1], 0x4
	s_load_b64 s[2:3], s[0:1], 0xc4
	s_cmp_lt_u32 s22, 2
	s_waitcnt lgkmcnt(0)
	v_mul_hi_u32 v10, s5, v13
	s_delay_alu instid0(VALU_DEP_1) | instskip(NEXT) | instid1(VALU_DEP_1)
	v_add_nc_u32_e32 v10, v13, v10
	v_lshrrev_b32_e32 v15, s6, v10
	s_delay_alu instid0(VALU_DEP_1) | instskip(NEXT) | instid1(VALU_DEP_1)
	v_mul_lo_u32 v10, v15, s4
	v_sub_nc_u32_e32 v11, v13, v10
	s_delay_alu instid0(VALU_DEP_1)
	v_mul_lo_u32 v10, v11, s2
	v_mul_lo_u32 v11, v11, s3
	s_cbranch_scc1 .LBB95_94
; %bb.93:
	s_clause 0x1
	s_load_b128 s[4:7], s[0:1], 0x10
	s_load_b64 s[2:3], s[0:1], 0xcc
	s_waitcnt lgkmcnt(0)
	v_mul_hi_u32 v13, s5, v15
	s_delay_alu instid0(VALU_DEP_1) | instskip(NEXT) | instid1(VALU_DEP_1)
	v_add_nc_u32_e32 v13, v15, v13
	v_lshrrev_b32_e32 v13, s6, v13
	s_delay_alu instid0(VALU_DEP_1) | instskip(NEXT) | instid1(VALU_DEP_1)
	v_mul_lo_u32 v13, v13, s4
	v_sub_nc_u32_e32 v13, v15, v13
	s_delay_alu instid0(VALU_DEP_1) | instskip(SKIP_1) | instid1(VALU_DEP_1)
	v_mad_u64_u32 v[17:18], null, v13, s2, v[10:11]
	v_mad_u64_u32 v[18:19], null, v13, s3, v[11:12]
	v_dual_mov_b32 v10, v17 :: v_dual_mov_b32 v11, v18
.LBB95_94:
	v_cmp_ne_u32_e32 vcc_lo, 1, v14
	v_add_nc_u32_e32 v15, 0x300, v12
	s_cbranch_vccnz .LBB95_100
; %bb.95:
	v_dual_mov_b32 v12, 0 :: v_dual_mov_b32 v13, 0
	s_cmp_lg_u32 s22, 0
	s_mov_b32 s6, 0
	s_cbranch_scc0 .LBB95_104
; %bb.96:
	s_min_u32 s7, s23, 15
	v_mov_b32_e32 v12, 0
	s_add_i32 s7, s7, 1
	s_cmp_eq_u32 s23, 2
	s_mov_b32 s8, 0
	s_cbranch_scc1 .LBB95_101
; %bb.97:
	v_dual_mov_b32 v13, 0 :: v_dual_mov_b32 v12, 0
	v_mov_b32_e32 v17, v15
	s_add_u32 s2, s0, 0xc4
	s_addc_u32 s3, s1, 0
	s_and_b32 s8, s7, 28
	s_mov_b32 s9, 0
	s_mov_b64 s[4:5], s[0:1]
.LBB95_98:                              ; =>This Inner Loop Header: Depth=1
	s_clause 0x1
	s_load_b256 s[12:19], s[4:5], 0x4
	s_load_b128 s[36:39], s[4:5], 0x24
	s_load_b256 s[24:31], s[2:3], 0x0
	s_add_u32 s4, s4, 48
	s_addc_u32 s5, s5, 0
	s_add_i32 s9, s9, 4
	s_add_u32 s2, s2, 32
	s_addc_u32 s3, s3, 0
	s_cmp_lg_u32 s8, s9
	s_waitcnt lgkmcnt(0)
	v_mul_hi_u32 v18, s13, v17
	s_delay_alu instid0(VALU_DEP_1) | instskip(NEXT) | instid1(VALU_DEP_1)
	v_add_nc_u32_e32 v18, v17, v18
	v_lshrrev_b32_e32 v18, s14, v18
	s_delay_alu instid0(VALU_DEP_1) | instskip(SKIP_1) | instid1(VALU_DEP_2)
	v_mul_hi_u32 v19, s16, v18
	v_mul_lo_u32 v21, v18, s12
	v_add_nc_u32_e32 v19, v18, v19
	s_delay_alu instid0(VALU_DEP_2) | instskip(NEXT) | instid1(VALU_DEP_2)
	v_sub_nc_u32_e32 v17, v17, v21
	v_lshrrev_b32_e32 v19, s17, v19
	s_delay_alu instid0(VALU_DEP_2) | instskip(SKIP_1) | instid1(VALU_DEP_3)
	v_mul_lo_u32 v21, v17, s24
	v_mul_lo_u32 v23, v17, s25
	v_mul_hi_u32 v20, s19, v19
	s_delay_alu instid0(VALU_DEP_1) | instskip(NEXT) | instid1(VALU_DEP_1)
	v_add_nc_u32_e32 v20, v19, v20
	v_lshrrev_b32_e32 v20, s36, v20
	s_delay_alu instid0(VALU_DEP_1) | instskip(SKIP_1) | instid1(VALU_DEP_2)
	v_mul_hi_u32 v22, s38, v20
	v_mul_lo_u32 v24, v20, s18
	v_add_nc_u32_e32 v17, v20, v22
	v_mul_lo_u32 v22, v19, s15
	s_delay_alu instid0(VALU_DEP_3) | instskip(NEXT) | instid1(VALU_DEP_3)
	v_sub_nc_u32_e32 v19, v19, v24
	v_lshrrev_b32_e32 v17, s39, v17
	s_delay_alu instid0(VALU_DEP_2) | instskip(SKIP_2) | instid1(VALU_DEP_4)
	v_mul_lo_u32 v24, v19, s28
	v_mul_lo_u32 v19, v19, s29
	v_sub_nc_u32_e32 v18, v18, v22
	v_mul_lo_u32 v25, v17, s37
	s_delay_alu instid0(VALU_DEP_2) | instskip(SKIP_1) | instid1(VALU_DEP_3)
	v_mul_lo_u32 v22, v18, s26
	v_mul_lo_u32 v18, v18, s27
	v_sub_nc_u32_e32 v20, v20, v25
	s_delay_alu instid0(VALU_DEP_3) | instskip(NEXT) | instid1(VALU_DEP_2)
	v_add3_u32 v12, v21, v12, v22
	v_mul_lo_u32 v25, v20, s30
	v_mul_lo_u32 v20, v20, s31
	v_add3_u32 v13, v23, v13, v18
	s_delay_alu instid0(VALU_DEP_3) | instskip(NEXT) | instid1(VALU_DEP_2)
	v_add3_u32 v12, v24, v12, v25
	v_add3_u32 v13, v19, v13, v20
	s_cbranch_scc1 .LBB95_98
; %bb.99:
	s_and_b32 s7, s7, 3
	s_delay_alu instid0(SALU_CYCLE_1)
	s_cmp_eq_u32 s7, 0
	s_cbranch_scc0 .LBB95_102
	s_branch .LBB95_104
.LBB95_100:
	s_mov_b32 s6, -1
                                        ; implicit-def: $vgpr12
                                        ; implicit-def: $vgpr13
	s_branch .LBB95_104
.LBB95_101:
	v_mov_b32_e32 v17, v15
	v_mov_b32_e32 v13, 0
	s_and_b32 s7, s7, 3
	s_delay_alu instid0(SALU_CYCLE_1)
	s_cmp_eq_u32 s7, 0
	s_cbranch_scc1 .LBB95_104
.LBB95_102:
	s_lshl_b32 s2, s8, 3
	s_mul_i32 s4, s8, 12
	s_add_u32 s2, s2, s0
	s_addc_u32 s3, 0, s1
	s_add_u32 s2, s2, 0xc4
	s_addc_u32 s3, s3, 0
	;; [unrolled: 2-line block ×3, first 2 shown]
	.p2align	6
.LBB95_103:                             ; =>This Inner Loop Header: Depth=1
	s_clause 0x1
	s_load_b64 s[8:9], s[4:5], 0x4
	s_load_b32 s12, s[4:5], 0xc
	s_load_b64 s[10:11], s[2:3], 0x0
	s_add_u32 s4, s4, 12
	s_addc_u32 s5, s5, 0
	s_add_u32 s2, s2, 8
	s_addc_u32 s3, s3, 0
	s_add_i32 s7, s7, -1
	s_delay_alu instid0(SALU_CYCLE_1) | instskip(SKIP_2) | instid1(VALU_DEP_1)
	s_cmp_lg_u32 s7, 0
	s_waitcnt lgkmcnt(0)
	v_mul_hi_u32 v18, s9, v17
	v_add_nc_u32_e32 v18, v17, v18
	s_delay_alu instid0(VALU_DEP_1) | instskip(NEXT) | instid1(VALU_DEP_1)
	v_lshrrev_b32_e32 v21, s12, v18
	v_mul_lo_u32 v18, v21, s8
	s_delay_alu instid0(VALU_DEP_1) | instskip(NEXT) | instid1(VALU_DEP_1)
	v_sub_nc_u32_e32 v17, v17, v18
	v_mad_u64_u32 v[18:19], null, v17, s10, v[12:13]
	v_mad_u64_u32 v[19:20], null, v17, s11, v[13:14]
	s_delay_alu instid0(VALU_DEP_2) | instskip(NEXT) | instid1(VALU_DEP_2)
	v_dual_mov_b32 v17, v21 :: v_dual_mov_b32 v12, v18
	v_mov_b32_e32 v13, v19
	s_cbranch_scc1 .LBB95_103
.LBB95_104:
	s_and_not1_b32 vcc_lo, exec_lo, s6
	s_cbranch_vccnz .LBB95_107
; %bb.105:
	s_clause 0x1
	s_load_b128 s[4:7], s[0:1], 0x4
	s_load_b64 s[2:3], s[0:1], 0xc4
	s_cmp_lt_u32 s22, 2
	s_waitcnt lgkmcnt(0)
	v_mul_hi_u32 v12, s5, v15
	s_delay_alu instid0(VALU_DEP_1) | instskip(NEXT) | instid1(VALU_DEP_1)
	v_add_nc_u32_e32 v12, v15, v12
	v_lshrrev_b32_e32 v17, s6, v12
	s_delay_alu instid0(VALU_DEP_1) | instskip(NEXT) | instid1(VALU_DEP_1)
	v_mul_lo_u32 v12, v17, s4
	v_sub_nc_u32_e32 v13, v15, v12
	s_delay_alu instid0(VALU_DEP_1)
	v_mul_lo_u32 v12, v13, s2
	v_mul_lo_u32 v13, v13, s3
	s_cbranch_scc1 .LBB95_107
; %bb.106:
	s_clause 0x1
	s_load_b128 s[4:7], s[0:1], 0x10
	s_load_b64 s[2:3], s[0:1], 0xcc
	s_waitcnt lgkmcnt(0)
	v_mul_hi_u32 v15, s5, v17
	s_delay_alu instid0(VALU_DEP_1) | instskip(NEXT) | instid1(VALU_DEP_1)
	v_add_nc_u32_e32 v15, v17, v15
	v_lshrrev_b32_e32 v15, s6, v15
	s_delay_alu instid0(VALU_DEP_1) | instskip(NEXT) | instid1(VALU_DEP_1)
	v_mul_lo_u32 v15, v15, s4
	v_sub_nc_u32_e32 v15, v17, v15
	s_delay_alu instid0(VALU_DEP_1) | instskip(SKIP_1) | instid1(VALU_DEP_1)
	v_mad_u64_u32 v[17:18], null, v15, s2, v[12:13]
	v_mad_u64_u32 v[18:19], null, v15, s3, v[13:14]
	v_dual_mov_b32 v12, v17 :: v_dual_mov_b32 v13, v18
.LBB95_107:
	v_cmp_ne_u32_e32 vcc_lo, 1, v14
	s_cbranch_vccnz .LBB95_113
; %bb.108:
	v_dual_mov_b32 v14, 0 :: v_dual_mov_b32 v15, 0
	s_cmp_lg_u32 s22, 0
	s_mov_b32 s6, 0
	s_cbranch_scc0 .LBB95_117
; %bb.109:
	s_min_u32 s7, s23, 15
	v_mov_b32_e32 v14, 0
	s_add_i32 s7, s7, 1
	s_cmp_eq_u32 s23, 2
	s_mov_b32 s8, 0
	s_cbranch_scc1 .LBB95_114
; %bb.110:
	v_dual_mov_b32 v15, 0 :: v_dual_mov_b32 v14, 0
	v_mov_b32_e32 v17, v16
	s_add_u32 s2, s0, 0xc4
	s_addc_u32 s3, s1, 0
	s_and_b32 s8, s7, 28
	s_mov_b32 s9, 0
	s_mov_b64 s[4:5], s[0:1]
.LBB95_111:                             ; =>This Inner Loop Header: Depth=1
	s_clause 0x1
	s_load_b256 s[12:19], s[4:5], 0x4
	s_load_b128 s[36:39], s[4:5], 0x24
	s_load_b256 s[24:31], s[2:3], 0x0
	s_add_u32 s4, s4, 48
	s_addc_u32 s5, s5, 0
	s_add_i32 s9, s9, 4
	s_add_u32 s2, s2, 32
	s_addc_u32 s3, s3, 0
	s_cmp_lg_u32 s8, s9
	s_waitcnt lgkmcnt(0)
	v_mul_hi_u32 v18, s13, v17
	s_delay_alu instid0(VALU_DEP_1) | instskip(NEXT) | instid1(VALU_DEP_1)
	v_add_nc_u32_e32 v18, v17, v18
	v_lshrrev_b32_e32 v18, s14, v18
	s_delay_alu instid0(VALU_DEP_1) | instskip(SKIP_1) | instid1(VALU_DEP_2)
	v_mul_hi_u32 v19, s16, v18
	v_mul_lo_u32 v21, v18, s12
	v_add_nc_u32_e32 v19, v18, v19
	s_delay_alu instid0(VALU_DEP_2) | instskip(NEXT) | instid1(VALU_DEP_2)
	v_sub_nc_u32_e32 v17, v17, v21
	v_lshrrev_b32_e32 v19, s17, v19
	s_delay_alu instid0(VALU_DEP_2) | instskip(SKIP_1) | instid1(VALU_DEP_3)
	v_mul_lo_u32 v21, v17, s24
	v_mul_lo_u32 v23, v17, s25
	v_mul_hi_u32 v20, s19, v19
	s_delay_alu instid0(VALU_DEP_1) | instskip(NEXT) | instid1(VALU_DEP_1)
	v_add_nc_u32_e32 v20, v19, v20
	v_lshrrev_b32_e32 v20, s36, v20
	s_delay_alu instid0(VALU_DEP_1) | instskip(SKIP_1) | instid1(VALU_DEP_2)
	v_mul_hi_u32 v22, s38, v20
	v_mul_lo_u32 v24, v20, s18
	v_add_nc_u32_e32 v17, v20, v22
	v_mul_lo_u32 v22, v19, s15
	s_delay_alu instid0(VALU_DEP_3) | instskip(NEXT) | instid1(VALU_DEP_3)
	v_sub_nc_u32_e32 v19, v19, v24
	v_lshrrev_b32_e32 v17, s39, v17
	s_delay_alu instid0(VALU_DEP_2) | instskip(SKIP_2) | instid1(VALU_DEP_4)
	v_mul_lo_u32 v24, v19, s28
	v_mul_lo_u32 v19, v19, s29
	v_sub_nc_u32_e32 v18, v18, v22
	v_mul_lo_u32 v25, v17, s37
	s_delay_alu instid0(VALU_DEP_2) | instskip(SKIP_1) | instid1(VALU_DEP_3)
	v_mul_lo_u32 v22, v18, s26
	v_mul_lo_u32 v18, v18, s27
	v_sub_nc_u32_e32 v20, v20, v25
	s_delay_alu instid0(VALU_DEP_3) | instskip(NEXT) | instid1(VALU_DEP_2)
	v_add3_u32 v14, v21, v14, v22
	v_mul_lo_u32 v25, v20, s30
	v_mul_lo_u32 v20, v20, s31
	v_add3_u32 v15, v23, v15, v18
	s_delay_alu instid0(VALU_DEP_3) | instskip(NEXT) | instid1(VALU_DEP_2)
	v_add3_u32 v14, v24, v14, v25
	v_add3_u32 v15, v19, v15, v20
	s_cbranch_scc1 .LBB95_111
; %bb.112:
	s_and_b32 s7, s7, 3
	s_delay_alu instid0(SALU_CYCLE_1)
	s_cmp_eq_u32 s7, 0
	s_cbranch_scc0 .LBB95_115
	s_branch .LBB95_117
.LBB95_113:
	s_mov_b32 s6, -1
                                        ; implicit-def: $vgpr14
                                        ; implicit-def: $vgpr15
	s_branch .LBB95_117
.LBB95_114:
	v_mov_b32_e32 v17, v16
	v_mov_b32_e32 v15, 0
	s_and_b32 s7, s7, 3
	s_delay_alu instid0(SALU_CYCLE_1)
	s_cmp_eq_u32 s7, 0
	s_cbranch_scc1 .LBB95_117
.LBB95_115:
	s_lshl_b32 s2, s8, 3
	s_mul_i32 s4, s8, 12
	s_add_u32 s2, s2, s0
	s_addc_u32 s3, 0, s1
	s_add_u32 s2, s2, 0xc4
	s_addc_u32 s3, s3, 0
	;; [unrolled: 2-line block ×3, first 2 shown]
	.p2align	6
.LBB95_116:                             ; =>This Inner Loop Header: Depth=1
	s_clause 0x1
	s_load_b64 s[8:9], s[4:5], 0x4
	s_load_b32 s12, s[4:5], 0xc
	s_load_b64 s[10:11], s[2:3], 0x0
	s_add_u32 s4, s4, 12
	s_addc_u32 s5, s5, 0
	s_add_u32 s2, s2, 8
	s_addc_u32 s3, s3, 0
	s_add_i32 s7, s7, -1
	s_delay_alu instid0(SALU_CYCLE_1) | instskip(SKIP_2) | instid1(VALU_DEP_1)
	s_cmp_lg_u32 s7, 0
	s_waitcnt lgkmcnt(0)
	v_mul_hi_u32 v18, s9, v17
	v_add_nc_u32_e32 v18, v17, v18
	s_delay_alu instid0(VALU_DEP_1) | instskip(NEXT) | instid1(VALU_DEP_1)
	v_lshrrev_b32_e32 v21, s12, v18
	v_mul_lo_u32 v18, v21, s8
	s_delay_alu instid0(VALU_DEP_1) | instskip(NEXT) | instid1(VALU_DEP_1)
	v_sub_nc_u32_e32 v17, v17, v18
	v_mad_u64_u32 v[18:19], null, v17, s10, v[14:15]
	v_mad_u64_u32 v[19:20], null, v17, s11, v[15:16]
	s_delay_alu instid0(VALU_DEP_2) | instskip(NEXT) | instid1(VALU_DEP_2)
	v_dual_mov_b32 v17, v21 :: v_dual_mov_b32 v14, v18
	v_mov_b32_e32 v15, v19
	s_cbranch_scc1 .LBB95_116
.LBB95_117:
	s_and_not1_b32 vcc_lo, exec_lo, s6
	s_cbranch_vccnz .LBB95_120
; %bb.118:
	s_clause 0x1
	s_load_b128 s[4:7], s[0:1], 0x4
	s_load_b64 s[2:3], s[0:1], 0xc4
	s_cmp_lt_u32 s22, 2
	s_waitcnt lgkmcnt(0)
	v_mul_hi_u32 v14, s5, v16
	s_delay_alu instid0(VALU_DEP_1) | instskip(NEXT) | instid1(VALU_DEP_1)
	v_add_nc_u32_e32 v14, v16, v14
	v_lshrrev_b32_e32 v17, s6, v14
	s_delay_alu instid0(VALU_DEP_1) | instskip(NEXT) | instid1(VALU_DEP_1)
	v_mul_lo_u32 v14, v17, s4
	v_sub_nc_u32_e32 v15, v16, v14
	s_delay_alu instid0(VALU_DEP_1)
	v_mul_lo_u32 v14, v15, s2
	v_mul_lo_u32 v15, v15, s3
	s_cbranch_scc1 .LBB95_120
; %bb.119:
	s_clause 0x1
	s_load_b128 s[4:7], s[0:1], 0x10
	s_load_b64 s[2:3], s[0:1], 0xcc
	s_waitcnt lgkmcnt(0)
	v_mul_hi_u32 v16, s5, v17
	s_delay_alu instid0(VALU_DEP_1) | instskip(NEXT) | instid1(VALU_DEP_1)
	v_add_nc_u32_e32 v16, v17, v16
	v_lshrrev_b32_e32 v16, s6, v16
	s_delay_alu instid0(VALU_DEP_1) | instskip(NEXT) | instid1(VALU_DEP_1)
	v_mul_lo_u32 v16, v16, s4
	v_sub_nc_u32_e32 v19, v17, v16
	s_delay_alu instid0(VALU_DEP_1) | instskip(NEXT) | instid1(VALU_DEP_1)
	v_mad_u64_u32 v[16:17], null, v19, s2, v[14:15]
	v_mad_u64_u32 v[17:18], null, v19, s3, v[15:16]
	s_delay_alu instid0(VALU_DEP_1)
	v_dual_mov_b32 v14, v16 :: v_dual_mov_b32 v15, v17
.LBB95_120:
	s_load_b128 s[0:3], s[0:1], 0x148
	s_waitcnt lgkmcnt(0)
	s_clause 0x7
	global_load_u16 v1, v1, s[2:3]
	global_load_u16 v3, v3, s[2:3]
	;; [unrolled: 1-line block ×8, first 2 shown]
	s_mov_b32 s2, 0x3fb8aa3b
	s_mov_b32 s3, 0x32a5705f
	s_waitcnt vmcnt(7)
	v_cvt_f32_f16_e32 v16, v1
	s_waitcnt vmcnt(6)
	v_cvt_f32_f16_e32 v17, v3
	;; [unrolled: 2-line block ×5, first 2 shown]
	v_dual_mul_f32 v24, 0x3fb8aa3b, v16 :: v_dual_mul_f32 v25, 0x3fb8aa3b, v17
	s_delay_alu instid0(VALU_DEP_3) | instskip(SKIP_2) | instid1(VALU_DEP_3)
	v_dual_mul_f32 v26, 0x3fb8aa3b, v18 :: v_dual_mul_f32 v27, 0x3fb8aa3b, v19
	s_waitcnt vmcnt(2)
	v_cvt_f32_f16_e32 v21, v11
	v_fma_mix_f32 v32, v1, s2, -v24 op_sel_hi:[1,0,0]
	v_rndne_f32_e32 v33, v24
	v_fma_mix_f32 v34, v3, s2, -v25 op_sel_hi:[1,0,0]
	v_rndne_f32_e32 v35, v25
	v_fma_mix_f32 v36, v5, s2, -v26 op_sel_hi:[1,0,0]
	v_fma_mix_f32 v1, v1, s3, v32 op_sel_hi:[1,0,0]
	v_sub_f32_e32 v24, v24, v33
	v_rndne_f32_e32 v37, v26
	v_sub_f32_e32 v25, v25, v35
	v_fma_mix_f32 v3, v3, s3, v34 op_sel_hi:[1,0,0]
	v_dual_mul_f32 v28, 0x3fb8aa3b, v20 :: v_dual_mul_f32 v29, 0x3fb8aa3b, v21
	v_add_f32_e32 v1, v24, v1
	v_fma_mix_f32 v38, v7, s2, -v27 op_sel_hi:[1,0,0]
	v_rndne_f32_e32 v39, v27
	v_fma_mix_f32 v5, v5, s3, v36 op_sel_hi:[1,0,0]
	v_dual_sub_f32 v26, v26, v37 :: v_dual_add_f32 v3, v25, v3
	v_exp_f32_e32 v1, v1
	s_delay_alu instid0(VALU_DEP_3)
	v_sub_f32_e32 v27, v27, v39
	s_waitcnt vmcnt(1)
	v_cvt_f32_f16_e32 v22, v13
	v_fma_mix_f32 v40, v9, s2, -v28 op_sel_hi:[1,0,0]
	v_rndne_f32_e32 v41, v28
	v_cvt_i32_f32_e32 v32, v33
	v_fma_mix_f32 v7, v7, s3, v38 op_sel_hi:[1,0,0]
	v_add_f32_e32 v5, v26, v5
	v_exp_f32_e32 v3, v3
	s_waitcnt vmcnt(0)
	v_cvt_f32_f16_e32 v23, v15
	v_mul_f32_e32 v30, 0x3fb8aa3b, v22
	v_fma_mix_f32 v42, v11, s2, -v29 op_sel_hi:[1,0,0]
	v_rndne_f32_e32 v43, v29
	v_cvt_i32_f32_e32 v33, v35
	v_mul_f32_e32 v31, 0x3fb8aa3b, v23
	v_fma_mix_f32 v9, v9, s3, v40 op_sel_hi:[1,0,0]
	s_delay_alu instid0(VALU_DEP_4)
	v_dual_sub_f32 v28, v28, v41 :: v_dual_sub_f32 v29, v29, v43
	v_add_f32_e32 v7, v27, v7
	v_exp_f32_e32 v5, v5
	v_ldexp_f32 v1, v1, v32
	v_cmp_ngt_f32_e32 vcc_lo, 0xc2ce8ed0, v16
	v_fma_mix_f32 v44, v13, s2, -v30 op_sel_hi:[1,0,0]
	v_rndne_f32_e32 v45, v30
	v_cvt_i32_f32_e32 v34, v37
	v_fma_mix_f32 v11, v11, s3, v42 op_sel_hi:[1,0,0]
	v_add_f32_e32 v9, v28, v9
	v_exp_f32_e32 v7, v7
	v_ldexp_f32 v3, v3, v33
	v_cndmask_b32_e32 v1, 0, v1, vcc_lo
	v_cmp_ngt_f32_e32 vcc_lo, 0xc2ce8ed0, v17
	v_fma_mix_f32 v46, v15, s2, -v31 op_sel_hi:[1,0,0]
	v_rndne_f32_e32 v47, v31
	v_cvt_i32_f32_e32 v35, v39
	v_fma_mix_f32 v13, v13, s3, v44 op_sel_hi:[1,0,0]
	v_dual_sub_f32 v30, v30, v45 :: v_dual_add_f32 v11, v29, v11
	s_delay_alu instid0(VALU_DEP_4)
	v_sub_f32_e32 v31, v31, v47
	v_exp_f32_e32 v9, v9
	v_ldexp_f32 v5, v5, v34
	v_cndmask_b32_e32 v3, 0, v3, vcc_lo
	v_cmp_ngt_f32_e32 vcc_lo, 0xc2ce8ed0, v18
	v_cvt_i32_f32_e32 v36, v41
	v_fma_mix_f32 v15, v15, s3, v46 op_sel_hi:[1,0,0]
	v_add_f32_e32 v13, v30, v13
	v_exp_f32_e32 v11, v11
	v_ldexp_f32 v7, v7, v35
	v_cndmask_b32_e32 v5, 0, v5, vcc_lo
	v_cmp_ngt_f32_e32 vcc_lo, 0xc2ce8ed0, v19
	v_cvt_i32_f32_e32 v37, v43
	v_add_f32_e32 v15, v31, v15
	v_exp_f32_e32 v13, v13
	v_ldexp_f32 v9, v9, v36
	v_cndmask_b32_e32 v7, 0, v7, vcc_lo
	v_cmp_ngt_f32_e32 vcc_lo, 0xc2ce8ed0, v20
	v_exp_f32_e32 v15, v15
	v_cvt_i32_f32_e32 v24, v45
	v_ldexp_f32 v11, v11, v37
	v_cvt_i32_f32_e32 v25, v47
	v_cndmask_b32_e32 v9, 0, v9, vcc_lo
	v_cmp_ngt_f32_e32 vcc_lo, 0xc2ce8ed0, v21
	v_ldexp_f32 v13, v13, v24
	v_cndmask_b32_e32 v11, 0, v11, vcc_lo
	v_cmp_ngt_f32_e32 vcc_lo, 0xc2ce8ed0, v22
	s_delay_alu instid0(TRANS32_DEP_1) | instskip(NEXT) | instid1(VALU_DEP_4)
	v_ldexp_f32 v15, v15, v25
	v_cndmask_b32_e32 v13, 0, v13, vcc_lo
	v_cmp_ngt_f32_e32 vcc_lo, 0xc2ce8ed0, v23
	s_delay_alu instid0(VALU_DEP_3) | instskip(SKIP_3) | instid1(VALU_DEP_2)
	v_cndmask_b32_e32 v15, 0, v15, vcc_lo
	v_cmp_nlt_f32_e32 vcc_lo, 0x42b17218, v16
	v_cndmask_b32_e32 v1, 0x7f800000, v1, vcc_lo
	v_cmp_nlt_f32_e32 vcc_lo, 0x42b17218, v17
	v_cvt_f16_f32_e32 v1, v1
	v_cndmask_b32_e32 v3, 0x7f800000, v3, vcc_lo
	v_cmp_nlt_f32_e32 vcc_lo, 0x42b17218, v18
	s_delay_alu instid0(VALU_DEP_2) | instskip(SKIP_2) | instid1(VALU_DEP_2)
	v_cvt_f16_f32_e32 v3, v3
	v_cndmask_b32_e32 v5, 0x7f800000, v5, vcc_lo
	v_cmp_nlt_f32_e32 vcc_lo, 0x42b17218, v19
	v_cvt_f16_f32_e32 v5, v5
	v_cndmask_b32_e32 v7, 0x7f800000, v7, vcc_lo
	v_cmp_nlt_f32_e32 vcc_lo, 0x42b17218, v20
	s_delay_alu instid0(VALU_DEP_2) | instskip(SKIP_2) | instid1(VALU_DEP_2)
	v_cvt_f16_f32_e32 v7, v7
	;; [unrolled: 7-line block ×3, first 2 shown]
	v_cndmask_b32_e32 v13, 0x7f800000, v13, vcc_lo
	v_cmp_nlt_f32_e32 vcc_lo, 0x42b17218, v23
	v_cvt_f16_f32_e32 v13, v13
	v_cndmask_b32_e32 v15, 0x7f800000, v15, vcc_lo
	s_delay_alu instid0(VALU_DEP_1)
	v_cvt_f16_f32_e32 v15, v15
	s_clause 0x7
	global_store_b16 v0, v1, s[0:1]
	global_store_b16 v2, v3, s[0:1]
	;; [unrolled: 1-line block ×8, first 2 shown]
	s_nop 0
	s_sendmsg sendmsg(MSG_DEALLOC_VGPRS)
	s_endpgm
.LBB95_121:
	v_dual_mov_b32 v2, v12 :: v_dual_mov_b32 v1, 0
.LBB95_122:
	s_and_b32 s34, s34, 3
	s_delay_alu instid0(SALU_CYCLE_1)
	s_cmp_eq_u32 s34, 0
	s_cbranch_scc1 .LBB95_125
; %bb.123:
	s_lshl_b32 s18, s33, 3
	s_mul_i32 s20, s33, 12
	s_add_u32 s18, s18, s0
	s_addc_u32 s19, s1, 0
	s_add_u32 s18, s18, 0xc4
	s_addc_u32 s19, s19, 0
	;; [unrolled: 2-line block ×3, first 2 shown]
	.p2align	6
.LBB95_124:                             ; =>This Inner Loop Header: Depth=1
	s_clause 0x1
	s_load_b64 s[36:37], s[20:21], 0x4
	s_load_b32 s33, s[20:21], 0xc
	s_load_b64 s[38:39], s[18:19], 0x0
	s_add_u32 s20, s20, 12
	s_addc_u32 s21, s21, 0
	s_add_u32 s18, s18, 8
	s_addc_u32 s19, s19, 0
	s_add_i32 s34, s34, -1
	s_delay_alu instid0(SALU_CYCLE_1) | instskip(SKIP_2) | instid1(VALU_DEP_1)
	s_cmp_lg_u32 s34, 0
	s_waitcnt lgkmcnt(0)
	v_mul_hi_u32 v3, s37, v2
	v_add_nc_u32_e32 v3, v2, v3
	s_delay_alu instid0(VALU_DEP_1) | instskip(NEXT) | instid1(VALU_DEP_1)
	v_lshrrev_b32_e32 v6, s33, v3
	v_mul_lo_u32 v3, v6, s36
	s_delay_alu instid0(VALU_DEP_1) | instskip(NEXT) | instid1(VALU_DEP_1)
	v_sub_nc_u32_e32 v2, v2, v3
	v_mad_u64_u32 v[3:4], null, v2, s38, v[0:1]
	v_mad_u64_u32 v[4:5], null, v2, s39, v[1:2]
	v_mov_b32_e32 v2, v6
	s_delay_alu instid0(VALU_DEP_2)
	v_dual_mov_b32 v0, v3 :: v_dual_mov_b32 v1, v4
	s_cbranch_scc1 .LBB95_124
.LBB95_125:
	s_and_not1_b32 vcc_lo, exec_lo, s31
	s_cbranch_vccnz .LBB95_128
; %bb.126:
	s_waitcnt lgkmcnt(0)
	v_mul_hi_u32 v0, s13, v12
	s_and_not1_b32 vcc_lo, exec_lo, s26
	s_delay_alu instid0(VALU_DEP_1) | instskip(NEXT) | instid1(VALU_DEP_1)
	v_add_nc_u32_e32 v0, v12, v0
	v_lshrrev_b32_e32 v2, s14, v0
	s_delay_alu instid0(VALU_DEP_1) | instskip(NEXT) | instid1(VALU_DEP_1)
	v_mul_lo_u32 v0, v2, s12
	v_sub_nc_u32_e32 v1, v12, v0
	s_delay_alu instid0(VALU_DEP_1)
	v_mul_lo_u32 v0, v1, s8
	v_mul_lo_u32 v1, v1, s9
	s_cbranch_vccnz .LBB95_128
; %bb.127:
	v_mul_hi_u32 v3, s2, v2
	s_delay_alu instid0(VALU_DEP_1) | instskip(NEXT) | instid1(VALU_DEP_1)
	v_add_nc_u32_e32 v3, v2, v3
	v_lshrrev_b32_e32 v3, s3, v3
	s_delay_alu instid0(VALU_DEP_1) | instskip(NEXT) | instid1(VALU_DEP_1)
	v_mul_lo_u32 v3, v3, s15
	v_sub_nc_u32_e32 v5, v2, v3
	s_delay_alu instid0(VALU_DEP_1) | instskip(NEXT) | instid1(VALU_DEP_1)
	v_mad_u64_u32 v[2:3], null, v5, s10, v[0:1]
	v_mad_u64_u32 v[3:4], null, v5, s11, v[1:2]
	s_delay_alu instid0(VALU_DEP_1)
	v_dual_mov_b32 v0, v2 :: v_dual_mov_b32 v1, v3
.LBB95_128:
	s_waitcnt lgkmcnt(0)
	global_load_u16 v1, v1, s[6:7]
	s_mov_b32 s18, 0x3fb8aa3b
	v_add_nc_u32_e32 v12, 0x80, v12
	s_waitcnt vmcnt(0)
	v_cvt_f32_f16_e32 v2, v1
	s_delay_alu instid0(VALU_DEP_1) | instskip(SKIP_1) | instid1(VALU_DEP_2)
	v_mul_f32_e32 v3, 0x3fb8aa3b, v2
	v_cmp_ngt_f32_e32 vcc_lo, 0xc2ce8ed0, v2
	v_fma_mix_f32 v4, v1, s18, -v3 op_sel_hi:[1,0,0]
	v_rndne_f32_e32 v5, v3
	s_mov_b32 s18, 0x32a5705f
	s_delay_alu instid0(VALU_DEP_2) | instid1(SALU_CYCLE_1)
	v_fma_mix_f32 v1, v1, s18, v4 op_sel_hi:[1,0,0]
	s_delay_alu instid0(VALU_DEP_2) | instskip(NEXT) | instid1(VALU_DEP_1)
	v_sub_f32_e32 v3, v3, v5
	v_add_f32_e32 v1, v3, v1
	v_cvt_i32_f32_e32 v3, v5
	s_delay_alu instid0(VALU_DEP_2) | instskip(SKIP_2) | instid1(VALU_DEP_1)
	v_exp_f32_e32 v1, v1
	s_waitcnt_depctr 0xfff
	v_ldexp_f32 v1, v1, v3
	v_cndmask_b32_e32 v1, 0, v1, vcc_lo
	v_cmp_nlt_f32_e32 vcc_lo, 0x42b17218, v2
	s_delay_alu instid0(VALU_DEP_2) | instskip(NEXT) | instid1(VALU_DEP_1)
	v_cndmask_b32_e32 v1, 0x7f800000, v1, vcc_lo
	v_cvt_f16_f32_e32 v1, v1
	global_store_b16 v0, v1, s[4:5]
	s_or_b32 exec_lo, exec_lo, s30
	s_delay_alu instid0(SALU_CYCLE_1)
	s_mov_b32 s30, exec_lo
	v_cmpx_gt_i32_e64 s27, v12
	s_cbranch_execnz .LBB95_15
.LBB95_129:
	s_or_b32 exec_lo, exec_lo, s30
	s_delay_alu instid0(SALU_CYCLE_1)
	s_mov_b32 s30, exec_lo
	v_cmpx_gt_i32_e64 s27, v12
	s_cbranch_execz .LBB95_144
.LBB95_130:
	s_and_not1_b32 vcc_lo, exec_lo, s24
	s_cbranch_vccnz .LBB95_135
; %bb.131:
	v_dual_mov_b32 v0, 0 :: v_dual_mov_b32 v1, 0
	s_and_not1_b32 vcc_lo, exec_lo, s29
	s_mov_b32 s31, 0
	s_cbranch_vccnz .LBB95_155
; %bb.132:
	v_mov_b32_e32 v0, 0
	s_add_i32 s34, s28, 1
	s_cmp_eq_u32 s23, 2
	s_mov_b32 s33, 0
	s_cbranch_scc1 .LBB95_151
; %bb.133:
	v_dual_mov_b32 v1, 0 :: v_dual_mov_b32 v0, 0
	v_mov_b32_e32 v2, v12
	s_and_b32 s33, s34, 28
	s_mov_b32 s35, 0
	s_mov_b64 s[18:19], s[16:17]
	s_mov_b64 s[20:21], s[0:1]
.LBB95_134:                             ; =>This Inner Loop Header: Depth=1
	s_clause 0x1
	s_load_b256 s[36:43], s[20:21], 0x4
	s_load_b128 s[52:55], s[20:21], 0x24
	s_load_b256 s[44:51], s[18:19], 0x0
	s_add_u32 s20, s20, 48
	s_addc_u32 s21, s21, 0
	s_add_i32 s35, s35, 4
	s_add_u32 s18, s18, 32
	s_addc_u32 s19, s19, 0
	s_cmp_eq_u32 s33, s35
	s_waitcnt lgkmcnt(0)
	v_mul_hi_u32 v3, s37, v2
	s_delay_alu instid0(VALU_DEP_1) | instskip(NEXT) | instid1(VALU_DEP_1)
	v_add_nc_u32_e32 v3, v2, v3
	v_lshrrev_b32_e32 v3, s38, v3
	s_delay_alu instid0(VALU_DEP_1) | instskip(SKIP_1) | instid1(VALU_DEP_2)
	v_mul_hi_u32 v4, s40, v3
	v_mul_lo_u32 v6, v3, s36
	v_add_nc_u32_e32 v4, v3, v4
	s_delay_alu instid0(VALU_DEP_2) | instskip(NEXT) | instid1(VALU_DEP_2)
	v_sub_nc_u32_e32 v2, v2, v6
	v_lshrrev_b32_e32 v4, s41, v4
	s_delay_alu instid0(VALU_DEP_2) | instskip(SKIP_1) | instid1(VALU_DEP_3)
	v_mul_lo_u32 v6, v2, s44
	v_mul_lo_u32 v8, v2, s45
	v_mul_hi_u32 v5, s43, v4
	s_delay_alu instid0(VALU_DEP_1) | instskip(NEXT) | instid1(VALU_DEP_1)
	v_add_nc_u32_e32 v5, v4, v5
	v_lshrrev_b32_e32 v5, s52, v5
	s_delay_alu instid0(VALU_DEP_1) | instskip(SKIP_1) | instid1(VALU_DEP_2)
	v_mul_hi_u32 v7, s54, v5
	v_mul_lo_u32 v9, v5, s42
	v_add_nc_u32_e32 v2, v5, v7
	v_mul_lo_u32 v7, v4, s39
	s_delay_alu instid0(VALU_DEP_3) | instskip(NEXT) | instid1(VALU_DEP_3)
	v_sub_nc_u32_e32 v4, v4, v9
	v_lshrrev_b32_e32 v2, s55, v2
	s_delay_alu instid0(VALU_DEP_2) | instskip(SKIP_2) | instid1(VALU_DEP_4)
	v_mul_lo_u32 v9, v4, s48
	v_mul_lo_u32 v4, v4, s49
	v_sub_nc_u32_e32 v3, v3, v7
	v_mul_lo_u32 v10, v2, s53
	s_delay_alu instid0(VALU_DEP_2) | instskip(SKIP_1) | instid1(VALU_DEP_3)
	v_mul_lo_u32 v7, v3, s46
	v_mul_lo_u32 v3, v3, s47
	v_sub_nc_u32_e32 v5, v5, v10
	s_delay_alu instid0(VALU_DEP_3) | instskip(NEXT) | instid1(VALU_DEP_2)
	v_add3_u32 v0, v6, v0, v7
	v_mul_lo_u32 v10, v5, s50
	v_mul_lo_u32 v5, v5, s51
	v_add3_u32 v1, v8, v1, v3
	s_delay_alu instid0(VALU_DEP_3) | instskip(NEXT) | instid1(VALU_DEP_2)
	v_add3_u32 v0, v9, v0, v10
	v_add3_u32 v1, v4, v1, v5
	s_cbranch_scc0 .LBB95_134
	s_branch .LBB95_152
.LBB95_135:
	s_mov_b32 s31, -1
                                        ; implicit-def: $vgpr0
                                        ; implicit-def: $vgpr1
	s_branch .LBB95_155
.LBB95_136:
	v_dual_mov_b32 v2, v12 :: v_dual_mov_b32 v1, 0
.LBB95_137:
	s_and_b32 s34, s34, 3
	s_delay_alu instid0(SALU_CYCLE_1)
	s_cmp_eq_u32 s34, 0
	s_cbranch_scc1 .LBB95_140
; %bb.138:
	s_lshl_b32 s18, s33, 3
	s_mul_i32 s20, s33, 12
	s_add_u32 s18, s18, s0
	s_addc_u32 s19, s1, 0
	s_add_u32 s18, s18, 0xc4
	s_addc_u32 s19, s19, 0
	;; [unrolled: 2-line block ×3, first 2 shown]
	.p2align	6
.LBB95_139:                             ; =>This Inner Loop Header: Depth=1
	s_clause 0x1
	s_load_b64 s[36:37], s[20:21], 0x4
	s_load_b32 s33, s[20:21], 0xc
	s_load_b64 s[38:39], s[18:19], 0x0
	s_add_u32 s20, s20, 12
	s_addc_u32 s21, s21, 0
	s_add_u32 s18, s18, 8
	s_addc_u32 s19, s19, 0
	s_add_i32 s34, s34, -1
	s_delay_alu instid0(SALU_CYCLE_1) | instskip(SKIP_2) | instid1(VALU_DEP_1)
	s_cmp_lg_u32 s34, 0
	s_waitcnt lgkmcnt(0)
	v_mul_hi_u32 v3, s37, v2
	v_add_nc_u32_e32 v3, v2, v3
	s_delay_alu instid0(VALU_DEP_1) | instskip(NEXT) | instid1(VALU_DEP_1)
	v_lshrrev_b32_e32 v6, s33, v3
	v_mul_lo_u32 v3, v6, s36
	s_delay_alu instid0(VALU_DEP_1) | instskip(NEXT) | instid1(VALU_DEP_1)
	v_sub_nc_u32_e32 v2, v2, v3
	v_mad_u64_u32 v[3:4], null, v2, s38, v[0:1]
	v_mad_u64_u32 v[4:5], null, v2, s39, v[1:2]
	v_mov_b32_e32 v2, v6
	s_delay_alu instid0(VALU_DEP_2)
	v_dual_mov_b32 v0, v3 :: v_dual_mov_b32 v1, v4
	s_cbranch_scc1 .LBB95_139
.LBB95_140:
	s_and_not1_b32 vcc_lo, exec_lo, s31
	s_cbranch_vccnz .LBB95_143
; %bb.141:
	s_waitcnt lgkmcnt(0)
	v_mul_hi_u32 v0, s13, v12
	s_and_not1_b32 vcc_lo, exec_lo, s26
	s_delay_alu instid0(VALU_DEP_1) | instskip(NEXT) | instid1(VALU_DEP_1)
	v_add_nc_u32_e32 v0, v12, v0
	v_lshrrev_b32_e32 v2, s14, v0
	s_delay_alu instid0(VALU_DEP_1) | instskip(NEXT) | instid1(VALU_DEP_1)
	v_mul_lo_u32 v0, v2, s12
	v_sub_nc_u32_e32 v1, v12, v0
	s_delay_alu instid0(VALU_DEP_1)
	v_mul_lo_u32 v0, v1, s8
	v_mul_lo_u32 v1, v1, s9
	s_cbranch_vccnz .LBB95_143
; %bb.142:
	v_mul_hi_u32 v3, s2, v2
	s_delay_alu instid0(VALU_DEP_1) | instskip(NEXT) | instid1(VALU_DEP_1)
	v_add_nc_u32_e32 v3, v2, v3
	v_lshrrev_b32_e32 v3, s3, v3
	s_delay_alu instid0(VALU_DEP_1) | instskip(NEXT) | instid1(VALU_DEP_1)
	v_mul_lo_u32 v3, v3, s15
	v_sub_nc_u32_e32 v5, v2, v3
	s_delay_alu instid0(VALU_DEP_1) | instskip(NEXT) | instid1(VALU_DEP_1)
	v_mad_u64_u32 v[2:3], null, v5, s10, v[0:1]
	v_mad_u64_u32 v[3:4], null, v5, s11, v[1:2]
	s_delay_alu instid0(VALU_DEP_1)
	v_dual_mov_b32 v0, v2 :: v_dual_mov_b32 v1, v3
.LBB95_143:
	s_waitcnt lgkmcnt(0)
	global_load_u16 v1, v1, s[6:7]
	s_mov_b32 s18, 0x3fb8aa3b
	v_add_nc_u32_e32 v12, 0x80, v12
	s_waitcnt vmcnt(0)
	v_cvt_f32_f16_e32 v2, v1
	s_delay_alu instid0(VALU_DEP_1) | instskip(SKIP_1) | instid1(VALU_DEP_2)
	v_mul_f32_e32 v3, 0x3fb8aa3b, v2
	v_cmp_ngt_f32_e32 vcc_lo, 0xc2ce8ed0, v2
	v_fma_mix_f32 v4, v1, s18, -v3 op_sel_hi:[1,0,0]
	v_rndne_f32_e32 v5, v3
	s_mov_b32 s18, 0x32a5705f
	s_delay_alu instid0(VALU_DEP_2) | instid1(SALU_CYCLE_1)
	v_fma_mix_f32 v1, v1, s18, v4 op_sel_hi:[1,0,0]
	s_delay_alu instid0(VALU_DEP_2) | instskip(NEXT) | instid1(VALU_DEP_1)
	v_sub_f32_e32 v3, v3, v5
	v_add_f32_e32 v1, v3, v1
	v_cvt_i32_f32_e32 v3, v5
	s_delay_alu instid0(VALU_DEP_2) | instskip(SKIP_2) | instid1(VALU_DEP_1)
	v_exp_f32_e32 v1, v1
	s_waitcnt_depctr 0xfff
	v_ldexp_f32 v1, v1, v3
	v_cndmask_b32_e32 v1, 0, v1, vcc_lo
	v_cmp_nlt_f32_e32 vcc_lo, 0x42b17218, v2
	s_delay_alu instid0(VALU_DEP_2) | instskip(NEXT) | instid1(VALU_DEP_1)
	v_cndmask_b32_e32 v1, 0x7f800000, v1, vcc_lo
	v_cvt_f16_f32_e32 v1, v1
	global_store_b16 v0, v1, s[4:5]
	s_or_b32 exec_lo, exec_lo, s30
	s_delay_alu instid0(SALU_CYCLE_1)
	s_mov_b32 s30, exec_lo
	v_cmpx_gt_i32_e64 s27, v12
	s_cbranch_execnz .LBB95_130
.LBB95_144:
	s_or_b32 exec_lo, exec_lo, s30
	s_delay_alu instid0(SALU_CYCLE_1)
	s_mov_b32 s30, exec_lo
	v_cmpx_gt_i32_e64 s27, v12
	s_cbranch_execz .LBB95_159
.LBB95_145:
	s_and_not1_b32 vcc_lo, exec_lo, s24
	s_cbranch_vccnz .LBB95_150
; %bb.146:
	v_dual_mov_b32 v0, 0 :: v_dual_mov_b32 v1, 0
	s_and_not1_b32 vcc_lo, exec_lo, s29
	s_mov_b32 s31, 0
	s_cbranch_vccnz .LBB95_170
; %bb.147:
	v_mov_b32_e32 v0, 0
	s_add_i32 s34, s28, 1
	s_cmp_eq_u32 s23, 2
	s_mov_b32 s33, 0
	s_cbranch_scc1 .LBB95_166
; %bb.148:
	v_dual_mov_b32 v1, 0 :: v_dual_mov_b32 v0, 0
	v_mov_b32_e32 v2, v12
	s_and_b32 s33, s34, 28
	s_mov_b32 s35, 0
	s_mov_b64 s[18:19], s[16:17]
	s_mov_b64 s[20:21], s[0:1]
.LBB95_149:                             ; =>This Inner Loop Header: Depth=1
	s_clause 0x1
	s_load_b256 s[36:43], s[20:21], 0x4
	s_load_b128 s[52:55], s[20:21], 0x24
	s_load_b256 s[44:51], s[18:19], 0x0
	s_add_u32 s20, s20, 48
	s_addc_u32 s21, s21, 0
	s_add_i32 s35, s35, 4
	s_add_u32 s18, s18, 32
	s_addc_u32 s19, s19, 0
	s_cmp_eq_u32 s33, s35
	s_waitcnt lgkmcnt(0)
	v_mul_hi_u32 v3, s37, v2
	s_delay_alu instid0(VALU_DEP_1) | instskip(NEXT) | instid1(VALU_DEP_1)
	v_add_nc_u32_e32 v3, v2, v3
	v_lshrrev_b32_e32 v3, s38, v3
	s_delay_alu instid0(VALU_DEP_1) | instskip(SKIP_1) | instid1(VALU_DEP_2)
	v_mul_hi_u32 v4, s40, v3
	v_mul_lo_u32 v6, v3, s36
	v_add_nc_u32_e32 v4, v3, v4
	s_delay_alu instid0(VALU_DEP_2) | instskip(NEXT) | instid1(VALU_DEP_2)
	v_sub_nc_u32_e32 v2, v2, v6
	v_lshrrev_b32_e32 v4, s41, v4
	s_delay_alu instid0(VALU_DEP_2) | instskip(SKIP_1) | instid1(VALU_DEP_3)
	v_mul_lo_u32 v6, v2, s44
	v_mul_lo_u32 v8, v2, s45
	v_mul_hi_u32 v5, s43, v4
	s_delay_alu instid0(VALU_DEP_1) | instskip(NEXT) | instid1(VALU_DEP_1)
	v_add_nc_u32_e32 v5, v4, v5
	v_lshrrev_b32_e32 v5, s52, v5
	s_delay_alu instid0(VALU_DEP_1) | instskip(SKIP_1) | instid1(VALU_DEP_2)
	v_mul_hi_u32 v7, s54, v5
	v_mul_lo_u32 v9, v5, s42
	v_add_nc_u32_e32 v2, v5, v7
	v_mul_lo_u32 v7, v4, s39
	s_delay_alu instid0(VALU_DEP_3) | instskip(NEXT) | instid1(VALU_DEP_3)
	v_sub_nc_u32_e32 v4, v4, v9
	v_lshrrev_b32_e32 v2, s55, v2
	s_delay_alu instid0(VALU_DEP_2) | instskip(SKIP_2) | instid1(VALU_DEP_4)
	v_mul_lo_u32 v9, v4, s48
	v_mul_lo_u32 v4, v4, s49
	v_sub_nc_u32_e32 v3, v3, v7
	v_mul_lo_u32 v10, v2, s53
	s_delay_alu instid0(VALU_DEP_2) | instskip(SKIP_1) | instid1(VALU_DEP_3)
	v_mul_lo_u32 v7, v3, s46
	v_mul_lo_u32 v3, v3, s47
	v_sub_nc_u32_e32 v5, v5, v10
	s_delay_alu instid0(VALU_DEP_3) | instskip(NEXT) | instid1(VALU_DEP_2)
	v_add3_u32 v0, v6, v0, v7
	v_mul_lo_u32 v10, v5, s50
	v_mul_lo_u32 v5, v5, s51
	v_add3_u32 v1, v8, v1, v3
	s_delay_alu instid0(VALU_DEP_3) | instskip(NEXT) | instid1(VALU_DEP_2)
	v_add3_u32 v0, v9, v0, v10
	v_add3_u32 v1, v4, v1, v5
	s_cbranch_scc0 .LBB95_149
	s_branch .LBB95_167
.LBB95_150:
	s_mov_b32 s31, -1
                                        ; implicit-def: $vgpr0
                                        ; implicit-def: $vgpr1
	s_branch .LBB95_170
.LBB95_151:
	v_dual_mov_b32 v2, v12 :: v_dual_mov_b32 v1, 0
.LBB95_152:
	s_and_b32 s34, s34, 3
	s_delay_alu instid0(SALU_CYCLE_1)
	s_cmp_eq_u32 s34, 0
	s_cbranch_scc1 .LBB95_155
; %bb.153:
	s_lshl_b32 s18, s33, 3
	s_mul_i32 s20, s33, 12
	s_add_u32 s18, s18, s0
	s_addc_u32 s19, s1, 0
	s_add_u32 s18, s18, 0xc4
	s_addc_u32 s19, s19, 0
	;; [unrolled: 2-line block ×3, first 2 shown]
	.p2align	6
.LBB95_154:                             ; =>This Inner Loop Header: Depth=1
	s_clause 0x1
	s_load_b64 s[36:37], s[20:21], 0x4
	s_load_b32 s33, s[20:21], 0xc
	s_load_b64 s[38:39], s[18:19], 0x0
	s_add_u32 s20, s20, 12
	s_addc_u32 s21, s21, 0
	s_add_u32 s18, s18, 8
	s_addc_u32 s19, s19, 0
	s_add_i32 s34, s34, -1
	s_delay_alu instid0(SALU_CYCLE_1) | instskip(SKIP_2) | instid1(VALU_DEP_1)
	s_cmp_lg_u32 s34, 0
	s_waitcnt lgkmcnt(0)
	v_mul_hi_u32 v3, s37, v2
	v_add_nc_u32_e32 v3, v2, v3
	s_delay_alu instid0(VALU_DEP_1) | instskip(NEXT) | instid1(VALU_DEP_1)
	v_lshrrev_b32_e32 v6, s33, v3
	v_mul_lo_u32 v3, v6, s36
	s_delay_alu instid0(VALU_DEP_1) | instskip(NEXT) | instid1(VALU_DEP_1)
	v_sub_nc_u32_e32 v2, v2, v3
	v_mad_u64_u32 v[3:4], null, v2, s38, v[0:1]
	v_mad_u64_u32 v[4:5], null, v2, s39, v[1:2]
	v_mov_b32_e32 v2, v6
	s_delay_alu instid0(VALU_DEP_2)
	v_dual_mov_b32 v0, v3 :: v_dual_mov_b32 v1, v4
	s_cbranch_scc1 .LBB95_154
.LBB95_155:
	s_and_not1_b32 vcc_lo, exec_lo, s31
	s_cbranch_vccnz .LBB95_158
; %bb.156:
	s_waitcnt lgkmcnt(0)
	v_mul_hi_u32 v0, s13, v12
	s_and_not1_b32 vcc_lo, exec_lo, s26
	s_delay_alu instid0(VALU_DEP_1) | instskip(NEXT) | instid1(VALU_DEP_1)
	v_add_nc_u32_e32 v0, v12, v0
	v_lshrrev_b32_e32 v2, s14, v0
	s_delay_alu instid0(VALU_DEP_1) | instskip(NEXT) | instid1(VALU_DEP_1)
	v_mul_lo_u32 v0, v2, s12
	v_sub_nc_u32_e32 v1, v12, v0
	s_delay_alu instid0(VALU_DEP_1)
	v_mul_lo_u32 v0, v1, s8
	v_mul_lo_u32 v1, v1, s9
	s_cbranch_vccnz .LBB95_158
; %bb.157:
	v_mul_hi_u32 v3, s2, v2
	s_delay_alu instid0(VALU_DEP_1) | instskip(NEXT) | instid1(VALU_DEP_1)
	v_add_nc_u32_e32 v3, v2, v3
	v_lshrrev_b32_e32 v3, s3, v3
	s_delay_alu instid0(VALU_DEP_1) | instskip(NEXT) | instid1(VALU_DEP_1)
	v_mul_lo_u32 v3, v3, s15
	v_sub_nc_u32_e32 v5, v2, v3
	s_delay_alu instid0(VALU_DEP_1) | instskip(NEXT) | instid1(VALU_DEP_1)
	v_mad_u64_u32 v[2:3], null, v5, s10, v[0:1]
	v_mad_u64_u32 v[3:4], null, v5, s11, v[1:2]
	s_delay_alu instid0(VALU_DEP_1)
	v_dual_mov_b32 v0, v2 :: v_dual_mov_b32 v1, v3
.LBB95_158:
	s_waitcnt lgkmcnt(0)
	global_load_u16 v1, v1, s[6:7]
	s_mov_b32 s18, 0x3fb8aa3b
	v_add_nc_u32_e32 v12, 0x80, v12
	s_waitcnt vmcnt(0)
	v_cvt_f32_f16_e32 v2, v1
	s_delay_alu instid0(VALU_DEP_1) | instskip(SKIP_1) | instid1(VALU_DEP_2)
	v_mul_f32_e32 v3, 0x3fb8aa3b, v2
	v_cmp_ngt_f32_e32 vcc_lo, 0xc2ce8ed0, v2
	v_fma_mix_f32 v4, v1, s18, -v3 op_sel_hi:[1,0,0]
	v_rndne_f32_e32 v5, v3
	s_mov_b32 s18, 0x32a5705f
	s_delay_alu instid0(VALU_DEP_2) | instid1(SALU_CYCLE_1)
	v_fma_mix_f32 v1, v1, s18, v4 op_sel_hi:[1,0,0]
	s_delay_alu instid0(VALU_DEP_2) | instskip(NEXT) | instid1(VALU_DEP_1)
	v_sub_f32_e32 v3, v3, v5
	v_add_f32_e32 v1, v3, v1
	v_cvt_i32_f32_e32 v3, v5
	s_delay_alu instid0(VALU_DEP_2) | instskip(SKIP_2) | instid1(VALU_DEP_1)
	v_exp_f32_e32 v1, v1
	s_waitcnt_depctr 0xfff
	v_ldexp_f32 v1, v1, v3
	v_cndmask_b32_e32 v1, 0, v1, vcc_lo
	v_cmp_nlt_f32_e32 vcc_lo, 0x42b17218, v2
	s_delay_alu instid0(VALU_DEP_2) | instskip(NEXT) | instid1(VALU_DEP_1)
	v_cndmask_b32_e32 v1, 0x7f800000, v1, vcc_lo
	v_cvt_f16_f32_e32 v1, v1
	global_store_b16 v0, v1, s[4:5]
	s_or_b32 exec_lo, exec_lo, s30
	s_delay_alu instid0(SALU_CYCLE_1)
	s_mov_b32 s30, exec_lo
	v_cmpx_gt_i32_e64 s27, v12
	s_cbranch_execnz .LBB95_145
.LBB95_159:
	s_or_b32 exec_lo, exec_lo, s30
	s_delay_alu instid0(SALU_CYCLE_1)
	s_mov_b32 s30, exec_lo
	v_cmpx_gt_i32_e64 s27, v12
	s_cbranch_execz .LBB95_174
.LBB95_160:
	s_and_not1_b32 vcc_lo, exec_lo, s24
	s_cbranch_vccnz .LBB95_165
; %bb.161:
	v_dual_mov_b32 v0, 0 :: v_dual_mov_b32 v1, 0
	s_and_not1_b32 vcc_lo, exec_lo, s29
	s_mov_b32 s31, 0
	s_cbranch_vccnz .LBB95_185
; %bb.162:
	v_mov_b32_e32 v0, 0
	s_add_i32 s34, s28, 1
	s_cmp_eq_u32 s23, 2
	s_mov_b32 s33, 0
	s_cbranch_scc1 .LBB95_181
; %bb.163:
	v_dual_mov_b32 v1, 0 :: v_dual_mov_b32 v0, 0
	v_mov_b32_e32 v2, v12
	s_and_b32 s33, s34, 28
	s_mov_b32 s35, 0
	s_mov_b64 s[18:19], s[16:17]
	s_mov_b64 s[20:21], s[0:1]
.LBB95_164:                             ; =>This Inner Loop Header: Depth=1
	s_clause 0x1
	s_load_b256 s[36:43], s[20:21], 0x4
	s_load_b128 s[52:55], s[20:21], 0x24
	s_load_b256 s[44:51], s[18:19], 0x0
	s_add_u32 s20, s20, 48
	s_addc_u32 s21, s21, 0
	s_add_i32 s35, s35, 4
	s_add_u32 s18, s18, 32
	s_addc_u32 s19, s19, 0
	s_cmp_eq_u32 s33, s35
	s_waitcnt lgkmcnt(0)
	v_mul_hi_u32 v3, s37, v2
	s_delay_alu instid0(VALU_DEP_1) | instskip(NEXT) | instid1(VALU_DEP_1)
	v_add_nc_u32_e32 v3, v2, v3
	v_lshrrev_b32_e32 v3, s38, v3
	s_delay_alu instid0(VALU_DEP_1) | instskip(SKIP_1) | instid1(VALU_DEP_2)
	v_mul_hi_u32 v4, s40, v3
	v_mul_lo_u32 v6, v3, s36
	v_add_nc_u32_e32 v4, v3, v4
	s_delay_alu instid0(VALU_DEP_2) | instskip(NEXT) | instid1(VALU_DEP_2)
	v_sub_nc_u32_e32 v2, v2, v6
	v_lshrrev_b32_e32 v4, s41, v4
	s_delay_alu instid0(VALU_DEP_2) | instskip(SKIP_1) | instid1(VALU_DEP_3)
	v_mul_lo_u32 v6, v2, s44
	v_mul_lo_u32 v8, v2, s45
	v_mul_hi_u32 v5, s43, v4
	s_delay_alu instid0(VALU_DEP_1) | instskip(NEXT) | instid1(VALU_DEP_1)
	v_add_nc_u32_e32 v5, v4, v5
	v_lshrrev_b32_e32 v5, s52, v5
	s_delay_alu instid0(VALU_DEP_1) | instskip(SKIP_1) | instid1(VALU_DEP_2)
	v_mul_hi_u32 v7, s54, v5
	v_mul_lo_u32 v9, v5, s42
	v_add_nc_u32_e32 v2, v5, v7
	v_mul_lo_u32 v7, v4, s39
	s_delay_alu instid0(VALU_DEP_3) | instskip(NEXT) | instid1(VALU_DEP_3)
	v_sub_nc_u32_e32 v4, v4, v9
	v_lshrrev_b32_e32 v2, s55, v2
	s_delay_alu instid0(VALU_DEP_2) | instskip(SKIP_2) | instid1(VALU_DEP_4)
	v_mul_lo_u32 v9, v4, s48
	v_mul_lo_u32 v4, v4, s49
	v_sub_nc_u32_e32 v3, v3, v7
	v_mul_lo_u32 v10, v2, s53
	s_delay_alu instid0(VALU_DEP_2) | instskip(SKIP_1) | instid1(VALU_DEP_3)
	v_mul_lo_u32 v7, v3, s46
	v_mul_lo_u32 v3, v3, s47
	v_sub_nc_u32_e32 v5, v5, v10
	s_delay_alu instid0(VALU_DEP_3) | instskip(NEXT) | instid1(VALU_DEP_2)
	v_add3_u32 v0, v6, v0, v7
	v_mul_lo_u32 v10, v5, s50
	v_mul_lo_u32 v5, v5, s51
	v_add3_u32 v1, v8, v1, v3
	s_delay_alu instid0(VALU_DEP_3) | instskip(NEXT) | instid1(VALU_DEP_2)
	v_add3_u32 v0, v9, v0, v10
	v_add3_u32 v1, v4, v1, v5
	s_cbranch_scc0 .LBB95_164
	s_branch .LBB95_182
.LBB95_165:
	s_mov_b32 s31, -1
                                        ; implicit-def: $vgpr0
                                        ; implicit-def: $vgpr1
	s_branch .LBB95_185
.LBB95_166:
	v_dual_mov_b32 v2, v12 :: v_dual_mov_b32 v1, 0
.LBB95_167:
	s_and_b32 s34, s34, 3
	s_delay_alu instid0(SALU_CYCLE_1)
	s_cmp_eq_u32 s34, 0
	s_cbranch_scc1 .LBB95_170
; %bb.168:
	s_lshl_b32 s18, s33, 3
	s_mul_i32 s20, s33, 12
	s_add_u32 s18, s18, s0
	s_addc_u32 s19, s1, 0
	s_add_u32 s18, s18, 0xc4
	s_addc_u32 s19, s19, 0
	;; [unrolled: 2-line block ×3, first 2 shown]
	.p2align	6
.LBB95_169:                             ; =>This Inner Loop Header: Depth=1
	s_clause 0x1
	s_load_b64 s[36:37], s[20:21], 0x4
	s_load_b32 s33, s[20:21], 0xc
	s_load_b64 s[38:39], s[18:19], 0x0
	s_add_u32 s20, s20, 12
	s_addc_u32 s21, s21, 0
	s_add_u32 s18, s18, 8
	s_addc_u32 s19, s19, 0
	s_add_i32 s34, s34, -1
	s_delay_alu instid0(SALU_CYCLE_1) | instskip(SKIP_2) | instid1(VALU_DEP_1)
	s_cmp_lg_u32 s34, 0
	s_waitcnt lgkmcnt(0)
	v_mul_hi_u32 v3, s37, v2
	v_add_nc_u32_e32 v3, v2, v3
	s_delay_alu instid0(VALU_DEP_1) | instskip(NEXT) | instid1(VALU_DEP_1)
	v_lshrrev_b32_e32 v6, s33, v3
	v_mul_lo_u32 v3, v6, s36
	s_delay_alu instid0(VALU_DEP_1) | instskip(NEXT) | instid1(VALU_DEP_1)
	v_sub_nc_u32_e32 v2, v2, v3
	v_mad_u64_u32 v[3:4], null, v2, s38, v[0:1]
	v_mad_u64_u32 v[4:5], null, v2, s39, v[1:2]
	v_mov_b32_e32 v2, v6
	s_delay_alu instid0(VALU_DEP_2)
	v_dual_mov_b32 v0, v3 :: v_dual_mov_b32 v1, v4
	s_cbranch_scc1 .LBB95_169
.LBB95_170:
	s_and_not1_b32 vcc_lo, exec_lo, s31
	s_cbranch_vccnz .LBB95_173
; %bb.171:
	s_waitcnt lgkmcnt(0)
	v_mul_hi_u32 v0, s13, v12
	s_and_not1_b32 vcc_lo, exec_lo, s26
	s_delay_alu instid0(VALU_DEP_1) | instskip(NEXT) | instid1(VALU_DEP_1)
	v_add_nc_u32_e32 v0, v12, v0
	v_lshrrev_b32_e32 v2, s14, v0
	s_delay_alu instid0(VALU_DEP_1) | instskip(NEXT) | instid1(VALU_DEP_1)
	v_mul_lo_u32 v0, v2, s12
	v_sub_nc_u32_e32 v1, v12, v0
	s_delay_alu instid0(VALU_DEP_1)
	v_mul_lo_u32 v0, v1, s8
	v_mul_lo_u32 v1, v1, s9
	s_cbranch_vccnz .LBB95_173
; %bb.172:
	v_mul_hi_u32 v3, s2, v2
	s_delay_alu instid0(VALU_DEP_1) | instskip(NEXT) | instid1(VALU_DEP_1)
	v_add_nc_u32_e32 v3, v2, v3
	v_lshrrev_b32_e32 v3, s3, v3
	s_delay_alu instid0(VALU_DEP_1) | instskip(NEXT) | instid1(VALU_DEP_1)
	v_mul_lo_u32 v3, v3, s15
	v_sub_nc_u32_e32 v5, v2, v3
	s_delay_alu instid0(VALU_DEP_1) | instskip(NEXT) | instid1(VALU_DEP_1)
	v_mad_u64_u32 v[2:3], null, v5, s10, v[0:1]
	v_mad_u64_u32 v[3:4], null, v5, s11, v[1:2]
	s_delay_alu instid0(VALU_DEP_1)
	v_dual_mov_b32 v0, v2 :: v_dual_mov_b32 v1, v3
.LBB95_173:
	s_waitcnt lgkmcnt(0)
	global_load_u16 v1, v1, s[6:7]
	s_mov_b32 s18, 0x3fb8aa3b
	v_add_nc_u32_e32 v12, 0x80, v12
	s_waitcnt vmcnt(0)
	v_cvt_f32_f16_e32 v2, v1
	s_delay_alu instid0(VALU_DEP_1) | instskip(SKIP_1) | instid1(VALU_DEP_2)
	v_mul_f32_e32 v3, 0x3fb8aa3b, v2
	v_cmp_ngt_f32_e32 vcc_lo, 0xc2ce8ed0, v2
	v_fma_mix_f32 v4, v1, s18, -v3 op_sel_hi:[1,0,0]
	v_rndne_f32_e32 v5, v3
	s_mov_b32 s18, 0x32a5705f
	s_delay_alu instid0(VALU_DEP_2) | instid1(SALU_CYCLE_1)
	v_fma_mix_f32 v1, v1, s18, v4 op_sel_hi:[1,0,0]
	s_delay_alu instid0(VALU_DEP_2) | instskip(NEXT) | instid1(VALU_DEP_1)
	v_sub_f32_e32 v3, v3, v5
	v_add_f32_e32 v1, v3, v1
	v_cvt_i32_f32_e32 v3, v5
	s_delay_alu instid0(VALU_DEP_2) | instskip(SKIP_2) | instid1(VALU_DEP_1)
	v_exp_f32_e32 v1, v1
	s_waitcnt_depctr 0xfff
	v_ldexp_f32 v1, v1, v3
	v_cndmask_b32_e32 v1, 0, v1, vcc_lo
	v_cmp_nlt_f32_e32 vcc_lo, 0x42b17218, v2
	s_delay_alu instid0(VALU_DEP_2) | instskip(NEXT) | instid1(VALU_DEP_1)
	v_cndmask_b32_e32 v1, 0x7f800000, v1, vcc_lo
	v_cvt_f16_f32_e32 v1, v1
	global_store_b16 v0, v1, s[4:5]
	s_or_b32 exec_lo, exec_lo, s30
	s_delay_alu instid0(SALU_CYCLE_1)
	s_mov_b32 s30, exec_lo
	v_cmpx_gt_i32_e64 s27, v12
	s_cbranch_execnz .LBB95_160
.LBB95_174:
	s_or_b32 exec_lo, exec_lo, s30
	s_delay_alu instid0(SALU_CYCLE_1)
	s_mov_b32 s30, exec_lo
	v_cmpx_gt_i32_e64 s27, v12
	s_cbranch_execz .LBB95_189
.LBB95_175:
	s_and_not1_b32 vcc_lo, exec_lo, s24
	s_cbranch_vccnz .LBB95_180
; %bb.176:
	v_dual_mov_b32 v0, 0 :: v_dual_mov_b32 v1, 0
	s_and_not1_b32 vcc_lo, exec_lo, s29
	s_mov_b32 s31, 0
	s_cbranch_vccnz .LBB95_200
; %bb.177:
	v_mov_b32_e32 v0, 0
	s_add_i32 s34, s28, 1
	s_cmp_eq_u32 s23, 2
	s_mov_b32 s33, 0
	s_cbranch_scc1 .LBB95_196
; %bb.178:
	v_dual_mov_b32 v1, 0 :: v_dual_mov_b32 v0, 0
	v_mov_b32_e32 v2, v12
	s_and_b32 s33, s34, 28
	s_mov_b32 s35, 0
	s_mov_b64 s[18:19], s[16:17]
	s_mov_b64 s[20:21], s[0:1]
.LBB95_179:                             ; =>This Inner Loop Header: Depth=1
	s_clause 0x1
	s_load_b256 s[36:43], s[20:21], 0x4
	s_load_b128 s[52:55], s[20:21], 0x24
	s_load_b256 s[44:51], s[18:19], 0x0
	s_add_u32 s20, s20, 48
	s_addc_u32 s21, s21, 0
	s_add_i32 s35, s35, 4
	s_add_u32 s18, s18, 32
	s_addc_u32 s19, s19, 0
	s_cmp_eq_u32 s33, s35
	s_waitcnt lgkmcnt(0)
	v_mul_hi_u32 v3, s37, v2
	s_delay_alu instid0(VALU_DEP_1) | instskip(NEXT) | instid1(VALU_DEP_1)
	v_add_nc_u32_e32 v3, v2, v3
	v_lshrrev_b32_e32 v3, s38, v3
	s_delay_alu instid0(VALU_DEP_1) | instskip(SKIP_1) | instid1(VALU_DEP_2)
	v_mul_hi_u32 v4, s40, v3
	v_mul_lo_u32 v6, v3, s36
	v_add_nc_u32_e32 v4, v3, v4
	s_delay_alu instid0(VALU_DEP_2) | instskip(NEXT) | instid1(VALU_DEP_2)
	v_sub_nc_u32_e32 v2, v2, v6
	v_lshrrev_b32_e32 v4, s41, v4
	s_delay_alu instid0(VALU_DEP_2) | instskip(SKIP_1) | instid1(VALU_DEP_3)
	v_mul_lo_u32 v6, v2, s44
	v_mul_lo_u32 v8, v2, s45
	v_mul_hi_u32 v5, s43, v4
	s_delay_alu instid0(VALU_DEP_1) | instskip(NEXT) | instid1(VALU_DEP_1)
	v_add_nc_u32_e32 v5, v4, v5
	v_lshrrev_b32_e32 v5, s52, v5
	s_delay_alu instid0(VALU_DEP_1) | instskip(SKIP_1) | instid1(VALU_DEP_2)
	v_mul_hi_u32 v7, s54, v5
	v_mul_lo_u32 v9, v5, s42
	v_add_nc_u32_e32 v2, v5, v7
	v_mul_lo_u32 v7, v4, s39
	s_delay_alu instid0(VALU_DEP_3) | instskip(NEXT) | instid1(VALU_DEP_3)
	v_sub_nc_u32_e32 v4, v4, v9
	v_lshrrev_b32_e32 v2, s55, v2
	s_delay_alu instid0(VALU_DEP_2) | instskip(SKIP_2) | instid1(VALU_DEP_4)
	v_mul_lo_u32 v9, v4, s48
	v_mul_lo_u32 v4, v4, s49
	v_sub_nc_u32_e32 v3, v3, v7
	v_mul_lo_u32 v10, v2, s53
	s_delay_alu instid0(VALU_DEP_2) | instskip(SKIP_1) | instid1(VALU_DEP_3)
	v_mul_lo_u32 v7, v3, s46
	v_mul_lo_u32 v3, v3, s47
	v_sub_nc_u32_e32 v5, v5, v10
	s_delay_alu instid0(VALU_DEP_3) | instskip(NEXT) | instid1(VALU_DEP_2)
	v_add3_u32 v0, v6, v0, v7
	v_mul_lo_u32 v10, v5, s50
	v_mul_lo_u32 v5, v5, s51
	v_add3_u32 v1, v8, v1, v3
	s_delay_alu instid0(VALU_DEP_3) | instskip(NEXT) | instid1(VALU_DEP_2)
	v_add3_u32 v0, v9, v0, v10
	v_add3_u32 v1, v4, v1, v5
	s_cbranch_scc0 .LBB95_179
	s_branch .LBB95_197
.LBB95_180:
	s_mov_b32 s31, -1
                                        ; implicit-def: $vgpr0
                                        ; implicit-def: $vgpr1
	s_branch .LBB95_200
.LBB95_181:
	v_dual_mov_b32 v2, v12 :: v_dual_mov_b32 v1, 0
.LBB95_182:
	s_and_b32 s34, s34, 3
	s_delay_alu instid0(SALU_CYCLE_1)
	s_cmp_eq_u32 s34, 0
	s_cbranch_scc1 .LBB95_185
; %bb.183:
	s_lshl_b32 s18, s33, 3
	s_mul_i32 s20, s33, 12
	s_add_u32 s18, s18, s0
	s_addc_u32 s19, s1, 0
	s_add_u32 s18, s18, 0xc4
	s_addc_u32 s19, s19, 0
	;; [unrolled: 2-line block ×3, first 2 shown]
	.p2align	6
.LBB95_184:                             ; =>This Inner Loop Header: Depth=1
	s_clause 0x1
	s_load_b64 s[36:37], s[20:21], 0x4
	s_load_b32 s33, s[20:21], 0xc
	s_load_b64 s[38:39], s[18:19], 0x0
	s_add_u32 s20, s20, 12
	s_addc_u32 s21, s21, 0
	s_add_u32 s18, s18, 8
	s_addc_u32 s19, s19, 0
	s_add_i32 s34, s34, -1
	s_delay_alu instid0(SALU_CYCLE_1) | instskip(SKIP_2) | instid1(VALU_DEP_1)
	s_cmp_lg_u32 s34, 0
	s_waitcnt lgkmcnt(0)
	v_mul_hi_u32 v3, s37, v2
	v_add_nc_u32_e32 v3, v2, v3
	s_delay_alu instid0(VALU_DEP_1) | instskip(NEXT) | instid1(VALU_DEP_1)
	v_lshrrev_b32_e32 v6, s33, v3
	v_mul_lo_u32 v3, v6, s36
	s_delay_alu instid0(VALU_DEP_1) | instskip(NEXT) | instid1(VALU_DEP_1)
	v_sub_nc_u32_e32 v2, v2, v3
	v_mad_u64_u32 v[3:4], null, v2, s38, v[0:1]
	v_mad_u64_u32 v[4:5], null, v2, s39, v[1:2]
	v_mov_b32_e32 v2, v6
	s_delay_alu instid0(VALU_DEP_2)
	v_dual_mov_b32 v0, v3 :: v_dual_mov_b32 v1, v4
	s_cbranch_scc1 .LBB95_184
.LBB95_185:
	s_and_not1_b32 vcc_lo, exec_lo, s31
	s_cbranch_vccnz .LBB95_188
; %bb.186:
	s_waitcnt lgkmcnt(0)
	v_mul_hi_u32 v0, s13, v12
	s_and_not1_b32 vcc_lo, exec_lo, s26
	s_delay_alu instid0(VALU_DEP_1) | instskip(NEXT) | instid1(VALU_DEP_1)
	v_add_nc_u32_e32 v0, v12, v0
	v_lshrrev_b32_e32 v2, s14, v0
	s_delay_alu instid0(VALU_DEP_1) | instskip(NEXT) | instid1(VALU_DEP_1)
	v_mul_lo_u32 v0, v2, s12
	v_sub_nc_u32_e32 v1, v12, v0
	s_delay_alu instid0(VALU_DEP_1)
	v_mul_lo_u32 v0, v1, s8
	v_mul_lo_u32 v1, v1, s9
	s_cbranch_vccnz .LBB95_188
; %bb.187:
	v_mul_hi_u32 v3, s2, v2
	s_delay_alu instid0(VALU_DEP_1) | instskip(NEXT) | instid1(VALU_DEP_1)
	v_add_nc_u32_e32 v3, v2, v3
	v_lshrrev_b32_e32 v3, s3, v3
	s_delay_alu instid0(VALU_DEP_1) | instskip(NEXT) | instid1(VALU_DEP_1)
	v_mul_lo_u32 v3, v3, s15
	v_sub_nc_u32_e32 v5, v2, v3
	s_delay_alu instid0(VALU_DEP_1) | instskip(NEXT) | instid1(VALU_DEP_1)
	v_mad_u64_u32 v[2:3], null, v5, s10, v[0:1]
	v_mad_u64_u32 v[3:4], null, v5, s11, v[1:2]
	s_delay_alu instid0(VALU_DEP_1)
	v_dual_mov_b32 v0, v2 :: v_dual_mov_b32 v1, v3
.LBB95_188:
	s_waitcnt lgkmcnt(0)
	global_load_u16 v1, v1, s[6:7]
	s_mov_b32 s18, 0x3fb8aa3b
	v_add_nc_u32_e32 v12, 0x80, v12
	s_waitcnt vmcnt(0)
	v_cvt_f32_f16_e32 v2, v1
	s_delay_alu instid0(VALU_DEP_1) | instskip(SKIP_1) | instid1(VALU_DEP_2)
	v_mul_f32_e32 v3, 0x3fb8aa3b, v2
	v_cmp_ngt_f32_e32 vcc_lo, 0xc2ce8ed0, v2
	v_fma_mix_f32 v4, v1, s18, -v3 op_sel_hi:[1,0,0]
	v_rndne_f32_e32 v5, v3
	s_mov_b32 s18, 0x32a5705f
	s_delay_alu instid0(VALU_DEP_2) | instid1(SALU_CYCLE_1)
	v_fma_mix_f32 v1, v1, s18, v4 op_sel_hi:[1,0,0]
	s_delay_alu instid0(VALU_DEP_2) | instskip(NEXT) | instid1(VALU_DEP_1)
	v_sub_f32_e32 v3, v3, v5
	v_add_f32_e32 v1, v3, v1
	v_cvt_i32_f32_e32 v3, v5
	s_delay_alu instid0(VALU_DEP_2) | instskip(SKIP_2) | instid1(VALU_DEP_1)
	v_exp_f32_e32 v1, v1
	s_waitcnt_depctr 0xfff
	v_ldexp_f32 v1, v1, v3
	v_cndmask_b32_e32 v1, 0, v1, vcc_lo
	v_cmp_nlt_f32_e32 vcc_lo, 0x42b17218, v2
	s_delay_alu instid0(VALU_DEP_2) | instskip(NEXT) | instid1(VALU_DEP_1)
	v_cndmask_b32_e32 v1, 0x7f800000, v1, vcc_lo
	v_cvt_f16_f32_e32 v1, v1
	global_store_b16 v0, v1, s[4:5]
	s_or_b32 exec_lo, exec_lo, s30
	s_delay_alu instid0(SALU_CYCLE_1)
	s_mov_b32 s30, exec_lo
	v_cmpx_gt_i32_e64 s27, v12
	s_cbranch_execnz .LBB95_175
.LBB95_189:
	s_or_b32 exec_lo, exec_lo, s30
	s_delay_alu instid0(SALU_CYCLE_1)
	s_mov_b32 s30, exec_lo
	v_cmpx_gt_i32_e64 s27, v12
	s_cbranch_execz .LBB95_204
.LBB95_190:
	s_and_not1_b32 vcc_lo, exec_lo, s24
	s_cbranch_vccnz .LBB95_195
; %bb.191:
	v_dual_mov_b32 v0, 0 :: v_dual_mov_b32 v1, 0
	s_and_not1_b32 vcc_lo, exec_lo, s29
	s_mov_b32 s31, 0
	s_cbranch_vccnz .LBB95_211
; %bb.192:
	v_mov_b32_e32 v0, 0
	s_add_i32 s34, s28, 1
	s_cmp_eq_u32 s23, 2
	s_mov_b32 s33, 0
	s_cbranch_scc1 .LBB95_207
; %bb.193:
	v_dual_mov_b32 v1, 0 :: v_dual_mov_b32 v0, 0
	v_mov_b32_e32 v2, v12
	s_and_b32 s33, s34, 28
	s_mov_b32 s35, 0
	s_mov_b64 s[18:19], s[16:17]
	s_mov_b64 s[20:21], s[0:1]
.LBB95_194:                             ; =>This Inner Loop Header: Depth=1
	s_clause 0x1
	s_load_b256 s[36:43], s[20:21], 0x4
	s_load_b128 s[52:55], s[20:21], 0x24
	s_load_b256 s[44:51], s[18:19], 0x0
	s_add_u32 s20, s20, 48
	s_addc_u32 s21, s21, 0
	s_add_i32 s35, s35, 4
	s_add_u32 s18, s18, 32
	s_addc_u32 s19, s19, 0
	s_cmp_eq_u32 s33, s35
	s_waitcnt lgkmcnt(0)
	v_mul_hi_u32 v3, s37, v2
	s_delay_alu instid0(VALU_DEP_1) | instskip(NEXT) | instid1(VALU_DEP_1)
	v_add_nc_u32_e32 v3, v2, v3
	v_lshrrev_b32_e32 v3, s38, v3
	s_delay_alu instid0(VALU_DEP_1) | instskip(SKIP_1) | instid1(VALU_DEP_2)
	v_mul_hi_u32 v4, s40, v3
	v_mul_lo_u32 v6, v3, s36
	v_add_nc_u32_e32 v4, v3, v4
	s_delay_alu instid0(VALU_DEP_2) | instskip(NEXT) | instid1(VALU_DEP_2)
	v_sub_nc_u32_e32 v2, v2, v6
	v_lshrrev_b32_e32 v4, s41, v4
	s_delay_alu instid0(VALU_DEP_2) | instskip(SKIP_1) | instid1(VALU_DEP_3)
	v_mul_lo_u32 v6, v2, s44
	v_mul_lo_u32 v8, v2, s45
	v_mul_hi_u32 v5, s43, v4
	s_delay_alu instid0(VALU_DEP_1) | instskip(NEXT) | instid1(VALU_DEP_1)
	v_add_nc_u32_e32 v5, v4, v5
	v_lshrrev_b32_e32 v5, s52, v5
	s_delay_alu instid0(VALU_DEP_1) | instskip(SKIP_1) | instid1(VALU_DEP_2)
	v_mul_hi_u32 v7, s54, v5
	v_mul_lo_u32 v9, v5, s42
	v_add_nc_u32_e32 v2, v5, v7
	v_mul_lo_u32 v7, v4, s39
	s_delay_alu instid0(VALU_DEP_3) | instskip(NEXT) | instid1(VALU_DEP_3)
	v_sub_nc_u32_e32 v4, v4, v9
	v_lshrrev_b32_e32 v2, s55, v2
	s_delay_alu instid0(VALU_DEP_2) | instskip(SKIP_2) | instid1(VALU_DEP_4)
	v_mul_lo_u32 v9, v4, s48
	v_mul_lo_u32 v4, v4, s49
	v_sub_nc_u32_e32 v3, v3, v7
	v_mul_lo_u32 v10, v2, s53
	s_delay_alu instid0(VALU_DEP_2) | instskip(SKIP_1) | instid1(VALU_DEP_3)
	v_mul_lo_u32 v7, v3, s46
	v_mul_lo_u32 v3, v3, s47
	v_sub_nc_u32_e32 v5, v5, v10
	s_delay_alu instid0(VALU_DEP_3) | instskip(NEXT) | instid1(VALU_DEP_2)
	v_add3_u32 v0, v6, v0, v7
	v_mul_lo_u32 v10, v5, s50
	v_mul_lo_u32 v5, v5, s51
	v_add3_u32 v1, v8, v1, v3
	s_delay_alu instid0(VALU_DEP_3) | instskip(NEXT) | instid1(VALU_DEP_2)
	v_add3_u32 v0, v9, v0, v10
	v_add3_u32 v1, v4, v1, v5
	s_cbranch_scc0 .LBB95_194
	s_branch .LBB95_208
.LBB95_195:
	s_mov_b32 s31, -1
                                        ; implicit-def: $vgpr0
                                        ; implicit-def: $vgpr1
	s_branch .LBB95_211
.LBB95_196:
	v_dual_mov_b32 v2, v12 :: v_dual_mov_b32 v1, 0
.LBB95_197:
	s_and_b32 s34, s34, 3
	s_delay_alu instid0(SALU_CYCLE_1)
	s_cmp_eq_u32 s34, 0
	s_cbranch_scc1 .LBB95_200
; %bb.198:
	s_lshl_b32 s18, s33, 3
	s_mul_i32 s20, s33, 12
	s_add_u32 s18, s18, s0
	s_addc_u32 s19, s1, 0
	s_add_u32 s18, s18, 0xc4
	s_addc_u32 s19, s19, 0
	;; [unrolled: 2-line block ×3, first 2 shown]
	.p2align	6
.LBB95_199:                             ; =>This Inner Loop Header: Depth=1
	s_clause 0x1
	s_load_b64 s[36:37], s[20:21], 0x4
	s_load_b32 s33, s[20:21], 0xc
	s_load_b64 s[38:39], s[18:19], 0x0
	s_add_u32 s20, s20, 12
	s_addc_u32 s21, s21, 0
	s_add_u32 s18, s18, 8
	s_addc_u32 s19, s19, 0
	s_add_i32 s34, s34, -1
	s_delay_alu instid0(SALU_CYCLE_1) | instskip(SKIP_2) | instid1(VALU_DEP_1)
	s_cmp_lg_u32 s34, 0
	s_waitcnt lgkmcnt(0)
	v_mul_hi_u32 v3, s37, v2
	v_add_nc_u32_e32 v3, v2, v3
	s_delay_alu instid0(VALU_DEP_1) | instskip(NEXT) | instid1(VALU_DEP_1)
	v_lshrrev_b32_e32 v6, s33, v3
	v_mul_lo_u32 v3, v6, s36
	s_delay_alu instid0(VALU_DEP_1) | instskip(NEXT) | instid1(VALU_DEP_1)
	v_sub_nc_u32_e32 v2, v2, v3
	v_mad_u64_u32 v[3:4], null, v2, s38, v[0:1]
	v_mad_u64_u32 v[4:5], null, v2, s39, v[1:2]
	v_mov_b32_e32 v2, v6
	s_delay_alu instid0(VALU_DEP_2)
	v_dual_mov_b32 v0, v3 :: v_dual_mov_b32 v1, v4
	s_cbranch_scc1 .LBB95_199
.LBB95_200:
	s_and_not1_b32 vcc_lo, exec_lo, s31
	s_cbranch_vccnz .LBB95_203
; %bb.201:
	s_waitcnt lgkmcnt(0)
	v_mul_hi_u32 v0, s13, v12
	s_and_not1_b32 vcc_lo, exec_lo, s26
	s_delay_alu instid0(VALU_DEP_1) | instskip(NEXT) | instid1(VALU_DEP_1)
	v_add_nc_u32_e32 v0, v12, v0
	v_lshrrev_b32_e32 v2, s14, v0
	s_delay_alu instid0(VALU_DEP_1) | instskip(NEXT) | instid1(VALU_DEP_1)
	v_mul_lo_u32 v0, v2, s12
	v_sub_nc_u32_e32 v1, v12, v0
	s_delay_alu instid0(VALU_DEP_1)
	v_mul_lo_u32 v0, v1, s8
	v_mul_lo_u32 v1, v1, s9
	s_cbranch_vccnz .LBB95_203
; %bb.202:
	v_mul_hi_u32 v3, s2, v2
	s_delay_alu instid0(VALU_DEP_1) | instskip(NEXT) | instid1(VALU_DEP_1)
	v_add_nc_u32_e32 v3, v2, v3
	v_lshrrev_b32_e32 v3, s3, v3
	s_delay_alu instid0(VALU_DEP_1) | instskip(NEXT) | instid1(VALU_DEP_1)
	v_mul_lo_u32 v3, v3, s15
	v_sub_nc_u32_e32 v5, v2, v3
	s_delay_alu instid0(VALU_DEP_1) | instskip(NEXT) | instid1(VALU_DEP_1)
	v_mad_u64_u32 v[2:3], null, v5, s10, v[0:1]
	v_mad_u64_u32 v[3:4], null, v5, s11, v[1:2]
	s_delay_alu instid0(VALU_DEP_1)
	v_dual_mov_b32 v0, v2 :: v_dual_mov_b32 v1, v3
.LBB95_203:
	s_waitcnt lgkmcnt(0)
	global_load_u16 v1, v1, s[6:7]
	s_mov_b32 s18, 0x3fb8aa3b
	v_add_nc_u32_e32 v12, 0x80, v12
	s_waitcnt vmcnt(0)
	v_cvt_f32_f16_e32 v2, v1
	s_delay_alu instid0(VALU_DEP_1) | instskip(SKIP_1) | instid1(VALU_DEP_2)
	v_mul_f32_e32 v3, 0x3fb8aa3b, v2
	v_cmp_ngt_f32_e32 vcc_lo, 0xc2ce8ed0, v2
	v_fma_mix_f32 v4, v1, s18, -v3 op_sel_hi:[1,0,0]
	v_rndne_f32_e32 v5, v3
	s_mov_b32 s18, 0x32a5705f
	s_delay_alu instid0(VALU_DEP_2) | instid1(SALU_CYCLE_1)
	v_fma_mix_f32 v1, v1, s18, v4 op_sel_hi:[1,0,0]
	s_delay_alu instid0(VALU_DEP_2) | instskip(NEXT) | instid1(VALU_DEP_1)
	v_sub_f32_e32 v3, v3, v5
	v_add_f32_e32 v1, v3, v1
	v_cvt_i32_f32_e32 v3, v5
	s_delay_alu instid0(VALU_DEP_2) | instskip(SKIP_2) | instid1(VALU_DEP_1)
	v_exp_f32_e32 v1, v1
	s_waitcnt_depctr 0xfff
	v_ldexp_f32 v1, v1, v3
	v_cndmask_b32_e32 v1, 0, v1, vcc_lo
	v_cmp_nlt_f32_e32 vcc_lo, 0x42b17218, v2
	s_delay_alu instid0(VALU_DEP_2) | instskip(NEXT) | instid1(VALU_DEP_1)
	v_cndmask_b32_e32 v1, 0x7f800000, v1, vcc_lo
	v_cvt_f16_f32_e32 v1, v1
	global_store_b16 v0, v1, s[4:5]
	s_or_b32 exec_lo, exec_lo, s30
	s_delay_alu instid0(SALU_CYCLE_1)
	s_mov_b32 s30, exec_lo
	v_cmpx_gt_i32_e64 s27, v12
	s_cbranch_execnz .LBB95_190
.LBB95_204:
	s_or_b32 exec_lo, exec_lo, s30
	s_delay_alu instid0(SALU_CYCLE_1)
	s_mov_b32 s20, exec_lo
	v_cmpx_gt_i32_e64 s27, v12
	s_cbranch_execnz .LBB95_215
.LBB95_205:
	s_or_b32 exec_lo, exec_lo, s20
                                        ; implicit-def: $vgpr16
                                        ; implicit-def: $vgpr12
	s_waitcnt lgkmcnt(0)
	s_and_not1_saveexec_b32 s2, s25
	s_cbranch_execnz .LBB95_8
.LBB95_206:
	s_nop 0
	s_sendmsg sendmsg(MSG_DEALLOC_VGPRS)
	s_endpgm
.LBB95_207:
	v_dual_mov_b32 v2, v12 :: v_dual_mov_b32 v1, 0
.LBB95_208:
	s_and_b32 s34, s34, 3
	s_delay_alu instid0(SALU_CYCLE_1)
	s_cmp_eq_u32 s34, 0
	s_cbranch_scc1 .LBB95_211
; %bb.209:
	s_lshl_b32 s18, s33, 3
	s_mul_i32 s20, s33, 12
	s_add_u32 s18, s18, s0
	s_addc_u32 s19, s1, 0
	s_add_u32 s18, s18, 0xc4
	s_addc_u32 s19, s19, 0
	;; [unrolled: 2-line block ×3, first 2 shown]
	.p2align	6
.LBB95_210:                             ; =>This Inner Loop Header: Depth=1
	s_clause 0x1
	s_load_b64 s[36:37], s[20:21], 0x4
	s_load_b32 s33, s[20:21], 0xc
	s_load_b64 s[38:39], s[18:19], 0x0
	s_add_u32 s20, s20, 12
	s_addc_u32 s21, s21, 0
	s_add_u32 s18, s18, 8
	s_addc_u32 s19, s19, 0
	s_add_i32 s34, s34, -1
	s_delay_alu instid0(SALU_CYCLE_1) | instskip(SKIP_2) | instid1(VALU_DEP_1)
	s_cmp_lg_u32 s34, 0
	s_waitcnt lgkmcnt(0)
	v_mul_hi_u32 v3, s37, v2
	v_add_nc_u32_e32 v3, v2, v3
	s_delay_alu instid0(VALU_DEP_1) | instskip(NEXT) | instid1(VALU_DEP_1)
	v_lshrrev_b32_e32 v6, s33, v3
	v_mul_lo_u32 v3, v6, s36
	s_delay_alu instid0(VALU_DEP_1) | instskip(NEXT) | instid1(VALU_DEP_1)
	v_sub_nc_u32_e32 v2, v2, v3
	v_mad_u64_u32 v[3:4], null, v2, s38, v[0:1]
	v_mad_u64_u32 v[4:5], null, v2, s39, v[1:2]
	v_mov_b32_e32 v2, v6
	s_delay_alu instid0(VALU_DEP_2)
	v_dual_mov_b32 v0, v3 :: v_dual_mov_b32 v1, v4
	s_cbranch_scc1 .LBB95_210
.LBB95_211:
	s_and_not1_b32 vcc_lo, exec_lo, s31
	s_cbranch_vccnz .LBB95_214
; %bb.212:
	s_waitcnt lgkmcnt(0)
	v_mul_hi_u32 v0, s13, v12
	s_and_not1_b32 vcc_lo, exec_lo, s26
	s_delay_alu instid0(VALU_DEP_1) | instskip(NEXT) | instid1(VALU_DEP_1)
	v_add_nc_u32_e32 v0, v12, v0
	v_lshrrev_b32_e32 v2, s14, v0
	s_delay_alu instid0(VALU_DEP_1) | instskip(NEXT) | instid1(VALU_DEP_1)
	v_mul_lo_u32 v0, v2, s12
	v_sub_nc_u32_e32 v1, v12, v0
	s_delay_alu instid0(VALU_DEP_1)
	v_mul_lo_u32 v0, v1, s8
	v_mul_lo_u32 v1, v1, s9
	s_cbranch_vccnz .LBB95_214
; %bb.213:
	v_mul_hi_u32 v3, s2, v2
	s_delay_alu instid0(VALU_DEP_1) | instskip(NEXT) | instid1(VALU_DEP_1)
	v_add_nc_u32_e32 v3, v2, v3
	v_lshrrev_b32_e32 v3, s3, v3
	s_delay_alu instid0(VALU_DEP_1) | instskip(NEXT) | instid1(VALU_DEP_1)
	v_mul_lo_u32 v3, v3, s15
	v_sub_nc_u32_e32 v5, v2, v3
	s_delay_alu instid0(VALU_DEP_1) | instskip(NEXT) | instid1(VALU_DEP_1)
	v_mad_u64_u32 v[2:3], null, v5, s10, v[0:1]
	v_mad_u64_u32 v[3:4], null, v5, s11, v[1:2]
	s_delay_alu instid0(VALU_DEP_1)
	v_dual_mov_b32 v0, v2 :: v_dual_mov_b32 v1, v3
.LBB95_214:
	s_waitcnt lgkmcnt(0)
	global_load_u16 v1, v1, s[6:7]
	s_mov_b32 s18, 0x3fb8aa3b
	v_add_nc_u32_e32 v12, 0x80, v12
	s_waitcnt vmcnt(0)
	v_cvt_f32_f16_e32 v2, v1
	s_delay_alu instid0(VALU_DEP_1) | instskip(SKIP_1) | instid1(VALU_DEP_2)
	v_mul_f32_e32 v3, 0x3fb8aa3b, v2
	v_cmp_ngt_f32_e32 vcc_lo, 0xc2ce8ed0, v2
	v_fma_mix_f32 v4, v1, s18, -v3 op_sel_hi:[1,0,0]
	v_rndne_f32_e32 v5, v3
	s_mov_b32 s18, 0x32a5705f
	s_delay_alu instid0(VALU_DEP_2) | instid1(SALU_CYCLE_1)
	v_fma_mix_f32 v1, v1, s18, v4 op_sel_hi:[1,0,0]
	s_delay_alu instid0(VALU_DEP_2) | instskip(NEXT) | instid1(VALU_DEP_1)
	v_sub_f32_e32 v3, v3, v5
	v_add_f32_e32 v1, v3, v1
	v_cvt_i32_f32_e32 v3, v5
	s_delay_alu instid0(VALU_DEP_2) | instskip(SKIP_2) | instid1(VALU_DEP_1)
	v_exp_f32_e32 v1, v1
	s_waitcnt_depctr 0xfff
	v_ldexp_f32 v1, v1, v3
	v_cndmask_b32_e32 v1, 0, v1, vcc_lo
	v_cmp_nlt_f32_e32 vcc_lo, 0x42b17218, v2
	s_delay_alu instid0(VALU_DEP_2) | instskip(NEXT) | instid1(VALU_DEP_1)
	v_cndmask_b32_e32 v1, 0x7f800000, v1, vcc_lo
	v_cvt_f16_f32_e32 v1, v1
	global_store_b16 v0, v1, s[4:5]
	s_or_b32 exec_lo, exec_lo, s30
	s_delay_alu instid0(SALU_CYCLE_1)
	s_mov_b32 s20, exec_lo
	v_cmpx_gt_i32_e64 s27, v12
	s_cbranch_execz .LBB95_205
.LBB95_215:
	s_and_not1_b32 vcc_lo, exec_lo, s24
	s_cbranch_vccnz .LBB95_220
; %bb.216:
	v_dual_mov_b32 v0, 0 :: v_dual_mov_b32 v1, 0
	s_and_not1_b32 vcc_lo, exec_lo, s29
	s_mov_b32 s21, 0
	s_cbranch_vccnz .LBB95_225
; %bb.217:
	v_mov_b32_e32 v0, 0
	s_add_i32 s28, s28, 1
	s_cmp_eq_u32 s23, 2
	s_mov_b32 s27, 0
	s_cbranch_scc1 .LBB95_221
; %bb.218:
	v_dual_mov_b32 v1, 0 :: v_dual_mov_b32 v0, 0
	v_mov_b32_e32 v2, v12
	s_and_b32 s27, s28, 28
	s_mov_b32 s29, 0
	s_mov_b64 s[18:19], s[0:1]
.LBB95_219:                             ; =>This Inner Loop Header: Depth=1
	s_clause 0x1
	s_load_b256 s[36:43], s[18:19], 0x4
	s_load_b128 s[52:55], s[18:19], 0x24
	s_load_b256 s[44:51], s[16:17], 0x0
	s_add_u32 s18, s18, 48
	s_addc_u32 s19, s19, 0
	s_add_i32 s29, s29, 4
	s_add_u32 s16, s16, 32
	s_addc_u32 s17, s17, 0
	s_cmp_eq_u32 s27, s29
	s_waitcnt lgkmcnt(0)
	v_mul_hi_u32 v3, s37, v2
	s_delay_alu instid0(VALU_DEP_1) | instskip(NEXT) | instid1(VALU_DEP_1)
	v_add_nc_u32_e32 v3, v2, v3
	v_lshrrev_b32_e32 v3, s38, v3
	s_delay_alu instid0(VALU_DEP_1) | instskip(SKIP_1) | instid1(VALU_DEP_2)
	v_mul_hi_u32 v4, s40, v3
	v_mul_lo_u32 v6, v3, s36
	v_add_nc_u32_e32 v4, v3, v4
	s_delay_alu instid0(VALU_DEP_2) | instskip(NEXT) | instid1(VALU_DEP_2)
	v_sub_nc_u32_e32 v2, v2, v6
	v_lshrrev_b32_e32 v4, s41, v4
	s_delay_alu instid0(VALU_DEP_2) | instskip(SKIP_1) | instid1(VALU_DEP_3)
	v_mul_lo_u32 v6, v2, s44
	v_mul_lo_u32 v8, v2, s45
	v_mul_hi_u32 v5, s43, v4
	s_delay_alu instid0(VALU_DEP_1) | instskip(NEXT) | instid1(VALU_DEP_1)
	v_add_nc_u32_e32 v5, v4, v5
	v_lshrrev_b32_e32 v5, s52, v5
	s_delay_alu instid0(VALU_DEP_1) | instskip(SKIP_1) | instid1(VALU_DEP_2)
	v_mul_hi_u32 v7, s54, v5
	v_mul_lo_u32 v9, v5, s42
	v_add_nc_u32_e32 v2, v5, v7
	v_mul_lo_u32 v7, v4, s39
	s_delay_alu instid0(VALU_DEP_3) | instskip(NEXT) | instid1(VALU_DEP_3)
	v_sub_nc_u32_e32 v4, v4, v9
	v_lshrrev_b32_e32 v2, s55, v2
	s_delay_alu instid0(VALU_DEP_2) | instskip(SKIP_2) | instid1(VALU_DEP_4)
	v_mul_lo_u32 v9, v4, s48
	v_mul_lo_u32 v4, v4, s49
	v_sub_nc_u32_e32 v3, v3, v7
	v_mul_lo_u32 v10, v2, s53
	s_delay_alu instid0(VALU_DEP_2) | instskip(SKIP_1) | instid1(VALU_DEP_3)
	v_mul_lo_u32 v7, v3, s46
	v_mul_lo_u32 v3, v3, s47
	v_sub_nc_u32_e32 v5, v5, v10
	s_delay_alu instid0(VALU_DEP_3) | instskip(NEXT) | instid1(VALU_DEP_2)
	v_add3_u32 v0, v6, v0, v7
	v_mul_lo_u32 v10, v5, s50
	v_mul_lo_u32 v5, v5, s51
	v_add3_u32 v1, v8, v1, v3
	s_delay_alu instid0(VALU_DEP_3) | instskip(NEXT) | instid1(VALU_DEP_2)
	v_add3_u32 v0, v9, v0, v10
	v_add3_u32 v1, v4, v1, v5
	s_cbranch_scc0 .LBB95_219
	s_branch .LBB95_222
.LBB95_220:
	s_mov_b32 s21, -1
                                        ; implicit-def: $vgpr0
                                        ; implicit-def: $vgpr1
	s_branch .LBB95_225
.LBB95_221:
	v_dual_mov_b32 v2, v12 :: v_dual_mov_b32 v1, 0
.LBB95_222:
	s_and_b32 s28, s28, 3
	s_delay_alu instid0(SALU_CYCLE_1)
	s_cmp_eq_u32 s28, 0
	s_cbranch_scc1 .LBB95_225
; %bb.223:
	s_lshl_b32 s16, s27, 3
	s_mul_i32 s18, s27, 12
	s_add_u32 s16, s16, s0
	s_addc_u32 s17, s1, 0
	s_add_u32 s16, s16, 0xc4
	s_addc_u32 s17, s17, 0
	s_add_u32 s18, s0, s18
	s_addc_u32 s19, s1, 0
	.p2align	6
.LBB95_224:                             ; =>This Inner Loop Header: Depth=1
	s_clause 0x1
	s_load_b64 s[30:31], s[18:19], 0x4
	s_load_b32 s27, s[18:19], 0xc
	s_load_b64 s[34:35], s[16:17], 0x0
	s_add_u32 s18, s18, 12
	s_addc_u32 s19, s19, 0
	s_add_u32 s16, s16, 8
	s_addc_u32 s17, s17, 0
	s_add_i32 s28, s28, -1
	s_delay_alu instid0(SALU_CYCLE_1) | instskip(SKIP_2) | instid1(VALU_DEP_1)
	s_cmp_lg_u32 s28, 0
	s_waitcnt lgkmcnt(0)
	v_mul_hi_u32 v3, s31, v2
	v_add_nc_u32_e32 v3, v2, v3
	s_delay_alu instid0(VALU_DEP_1) | instskip(NEXT) | instid1(VALU_DEP_1)
	v_lshrrev_b32_e32 v6, s27, v3
	v_mul_lo_u32 v3, v6, s30
	s_delay_alu instid0(VALU_DEP_1) | instskip(NEXT) | instid1(VALU_DEP_1)
	v_sub_nc_u32_e32 v2, v2, v3
	v_mad_u64_u32 v[3:4], null, v2, s34, v[0:1]
	v_mad_u64_u32 v[4:5], null, v2, s35, v[1:2]
	v_mov_b32_e32 v2, v6
	s_delay_alu instid0(VALU_DEP_2)
	v_dual_mov_b32 v0, v3 :: v_dual_mov_b32 v1, v4
	s_cbranch_scc1 .LBB95_224
.LBB95_225:
	s_and_not1_b32 vcc_lo, exec_lo, s21
	s_cbranch_vccnz .LBB95_228
; %bb.226:
	s_waitcnt lgkmcnt(0)
	v_mul_hi_u32 v0, s13, v12
	s_and_not1_b32 vcc_lo, exec_lo, s26
	s_delay_alu instid0(VALU_DEP_1) | instskip(NEXT) | instid1(VALU_DEP_1)
	v_add_nc_u32_e32 v0, v12, v0
	v_lshrrev_b32_e32 v2, s14, v0
	s_delay_alu instid0(VALU_DEP_1) | instskip(NEXT) | instid1(VALU_DEP_1)
	v_mul_lo_u32 v0, v2, s12
	v_sub_nc_u32_e32 v1, v12, v0
	s_delay_alu instid0(VALU_DEP_1)
	v_mul_lo_u32 v0, v1, s8
	v_mul_lo_u32 v1, v1, s9
	s_cbranch_vccnz .LBB95_228
; %bb.227:
	v_mul_hi_u32 v3, s2, v2
	s_delay_alu instid0(VALU_DEP_1) | instskip(NEXT) | instid1(VALU_DEP_1)
	v_add_nc_u32_e32 v3, v2, v3
	v_lshrrev_b32_e32 v3, s3, v3
	s_delay_alu instid0(VALU_DEP_1) | instskip(NEXT) | instid1(VALU_DEP_1)
	v_mul_lo_u32 v3, v3, s15
	v_sub_nc_u32_e32 v5, v2, v3
	s_delay_alu instid0(VALU_DEP_1) | instskip(NEXT) | instid1(VALU_DEP_1)
	v_mad_u64_u32 v[2:3], null, v5, s10, v[0:1]
	v_mad_u64_u32 v[3:4], null, v5, s11, v[1:2]
	s_delay_alu instid0(VALU_DEP_1)
	v_dual_mov_b32 v0, v2 :: v_dual_mov_b32 v1, v3
.LBB95_228:
	s_waitcnt lgkmcnt(0)
	global_load_u16 v1, v1, s[6:7]
	s_mov_b32 s2, 0x3fb8aa3b
	s_waitcnt vmcnt(0)
	v_cvt_f32_f16_e32 v2, v1
	s_delay_alu instid0(VALU_DEP_1) | instskip(SKIP_1) | instid1(VALU_DEP_2)
	v_mul_f32_e32 v3, 0x3fb8aa3b, v2
	v_cmp_ngt_f32_e32 vcc_lo, 0xc2ce8ed0, v2
	v_fma_mix_f32 v4, v1, s2, -v3 op_sel_hi:[1,0,0]
	v_rndne_f32_e32 v5, v3
	s_mov_b32 s2, 0x32a5705f
	s_delay_alu instid0(VALU_DEP_2) | instid1(SALU_CYCLE_1)
	v_fma_mix_f32 v1, v1, s2, v4 op_sel_hi:[1,0,0]
	s_delay_alu instid0(VALU_DEP_2) | instskip(NEXT) | instid1(VALU_DEP_1)
	v_sub_f32_e32 v3, v3, v5
	v_add_f32_e32 v1, v3, v1
	v_cvt_i32_f32_e32 v3, v5
	s_delay_alu instid0(VALU_DEP_2) | instskip(SKIP_2) | instid1(VALU_DEP_1)
	v_exp_f32_e32 v1, v1
	s_waitcnt_depctr 0xfff
	v_ldexp_f32 v1, v1, v3
	v_cndmask_b32_e32 v1, 0, v1, vcc_lo
	v_cmp_nlt_f32_e32 vcc_lo, 0x42b17218, v2
	s_delay_alu instid0(VALU_DEP_2) | instskip(NEXT) | instid1(VALU_DEP_1)
	v_cndmask_b32_e32 v1, 0x7f800000, v1, vcc_lo
	v_cvt_f16_f32_e32 v1, v1
	global_store_b16 v0, v1, s[4:5]
	s_or_b32 exec_lo, exec_lo, s20
                                        ; implicit-def: $vgpr16
                                        ; implicit-def: $vgpr12
	s_and_not1_saveexec_b32 s2, s25
	s_cbranch_execz .LBB95_206
	s_branch .LBB95_8
	.section	.rodata,"a",@progbits
	.p2align	6, 0x0
	.amdhsa_kernel _ZN2at6native32elementwise_kernel_manual_unrollILi128ELi8EZNS0_22gpu_kernel_impl_nocastIZZZNS0_15exp_kernel_cudaERNS_18TensorIteratorBaseEENKUlvE0_clEvENKUlvE1_clEvEUlN3c104HalfEE_EEvS4_RKT_EUlibE_EEviT1_
		.amdhsa_group_segment_fixed_size 0
		.amdhsa_private_segment_fixed_size 0
		.amdhsa_kernarg_size 360
		.amdhsa_user_sgpr_count 15
		.amdhsa_user_sgpr_dispatch_ptr 0
		.amdhsa_user_sgpr_queue_ptr 0
		.amdhsa_user_sgpr_kernarg_segment_ptr 1
		.amdhsa_user_sgpr_dispatch_id 0
		.amdhsa_user_sgpr_private_segment_size 0
		.amdhsa_wavefront_size32 1
		.amdhsa_uses_dynamic_stack 0
		.amdhsa_enable_private_segment 0
		.amdhsa_system_sgpr_workgroup_id_x 1
		.amdhsa_system_sgpr_workgroup_id_y 0
		.amdhsa_system_sgpr_workgroup_id_z 0
		.amdhsa_system_sgpr_workgroup_info 0
		.amdhsa_system_vgpr_workitem_id 0
		.amdhsa_next_free_vgpr 48
		.amdhsa_next_free_sgpr 56
		.amdhsa_reserve_vcc 1
		.amdhsa_float_round_mode_32 0
		.amdhsa_float_round_mode_16_64 0
		.amdhsa_float_denorm_mode_32 3
		.amdhsa_float_denorm_mode_16_64 3
		.amdhsa_dx10_clamp 1
		.amdhsa_ieee_mode 1
		.amdhsa_fp16_overflow 0
		.amdhsa_workgroup_processor_mode 1
		.amdhsa_memory_ordered 1
		.amdhsa_forward_progress 0
		.amdhsa_shared_vgpr_count 0
		.amdhsa_exception_fp_ieee_invalid_op 0
		.amdhsa_exception_fp_denorm_src 0
		.amdhsa_exception_fp_ieee_div_zero 0
		.amdhsa_exception_fp_ieee_overflow 0
		.amdhsa_exception_fp_ieee_underflow 0
		.amdhsa_exception_fp_ieee_inexact 0
		.amdhsa_exception_int_div_zero 0
	.end_amdhsa_kernel
	.section	.text._ZN2at6native32elementwise_kernel_manual_unrollILi128ELi8EZNS0_22gpu_kernel_impl_nocastIZZZNS0_15exp_kernel_cudaERNS_18TensorIteratorBaseEENKUlvE0_clEvENKUlvE1_clEvEUlN3c104HalfEE_EEvS4_RKT_EUlibE_EEviT1_,"axG",@progbits,_ZN2at6native32elementwise_kernel_manual_unrollILi128ELi8EZNS0_22gpu_kernel_impl_nocastIZZZNS0_15exp_kernel_cudaERNS_18TensorIteratorBaseEENKUlvE0_clEvENKUlvE1_clEvEUlN3c104HalfEE_EEvS4_RKT_EUlibE_EEviT1_,comdat
.Lfunc_end95:
	.size	_ZN2at6native32elementwise_kernel_manual_unrollILi128ELi8EZNS0_22gpu_kernel_impl_nocastIZZZNS0_15exp_kernel_cudaERNS_18TensorIteratorBaseEENKUlvE0_clEvENKUlvE1_clEvEUlN3c104HalfEE_EEvS4_RKT_EUlibE_EEviT1_, .Lfunc_end95-_ZN2at6native32elementwise_kernel_manual_unrollILi128ELi8EZNS0_22gpu_kernel_impl_nocastIZZZNS0_15exp_kernel_cudaERNS_18TensorIteratorBaseEENKUlvE0_clEvENKUlvE1_clEvEUlN3c104HalfEE_EEvS4_RKT_EUlibE_EEviT1_
                                        ; -- End function
	.section	.AMDGPU.csdata,"",@progbits
; Kernel info:
; codeLenInByte = 15160
; NumSgprs: 58
; NumVgprs: 48
; ScratchSize: 0
; MemoryBound: 0
; FloatMode: 240
; IeeeMode: 1
; LDSByteSize: 0 bytes/workgroup (compile time only)
; SGPRBlocks: 7
; VGPRBlocks: 5
; NumSGPRsForWavesPerEU: 58
; NumVGPRsForWavesPerEU: 48
; Occupancy: 16
; WaveLimiterHint : 1
; COMPUTE_PGM_RSRC2:SCRATCH_EN: 0
; COMPUTE_PGM_RSRC2:USER_SGPR: 15
; COMPUTE_PGM_RSRC2:TRAP_HANDLER: 0
; COMPUTE_PGM_RSRC2:TGID_X_EN: 1
; COMPUTE_PGM_RSRC2:TGID_Y_EN: 0
; COMPUTE_PGM_RSRC2:TGID_Z_EN: 0
; COMPUTE_PGM_RSRC2:TIDIG_COMP_CNT: 0
	.section	.text._ZN2at6native32elementwise_kernel_manual_unrollILi128ELi4EZNS0_15gpu_kernel_implIZZZNS0_15exp_kernel_cudaERNS_18TensorIteratorBaseEENKUlvE0_clEvENKUlvE1_clEvEUlN3c104HalfEE_EEvS4_RKT_EUlibE_EEviT1_,"axG",@progbits,_ZN2at6native32elementwise_kernel_manual_unrollILi128ELi4EZNS0_15gpu_kernel_implIZZZNS0_15exp_kernel_cudaERNS_18TensorIteratorBaseEENKUlvE0_clEvENKUlvE1_clEvEUlN3c104HalfEE_EEvS4_RKT_EUlibE_EEviT1_,comdat
	.globl	_ZN2at6native32elementwise_kernel_manual_unrollILi128ELi4EZNS0_15gpu_kernel_implIZZZNS0_15exp_kernel_cudaERNS_18TensorIteratorBaseEENKUlvE0_clEvENKUlvE1_clEvEUlN3c104HalfEE_EEvS4_RKT_EUlibE_EEviT1_ ; -- Begin function _ZN2at6native32elementwise_kernel_manual_unrollILi128ELi4EZNS0_15gpu_kernel_implIZZZNS0_15exp_kernel_cudaERNS_18TensorIteratorBaseEENKUlvE0_clEvENKUlvE1_clEvEUlN3c104HalfEE_EEvS4_RKT_EUlibE_EEviT1_
	.p2align	8
	.type	_ZN2at6native32elementwise_kernel_manual_unrollILi128ELi4EZNS0_15gpu_kernel_implIZZZNS0_15exp_kernel_cudaERNS_18TensorIteratorBaseEENKUlvE0_clEvENKUlvE1_clEvEUlN3c104HalfEE_EEvS4_RKT_EUlibE_EEviT1_,@function
_ZN2at6native32elementwise_kernel_manual_unrollILi128ELi4EZNS0_15gpu_kernel_implIZZZNS0_15exp_kernel_cudaERNS_18TensorIteratorBaseEENKUlvE0_clEvENKUlvE1_clEvEUlN3c104HalfEE_EEvS4_RKT_EUlibE_EEviT1_: ; @_ZN2at6native32elementwise_kernel_manual_unrollILi128ELi4EZNS0_15gpu_kernel_implIZZZNS0_15exp_kernel_cudaERNS_18TensorIteratorBaseEENKUlvE0_clEvENKUlvE1_clEvEUlN3c104HalfEE_EEvS4_RKT_EUlibE_EEviT1_
; %bb.0:
	v_mov_b32_e32 v1, 0
	s_clause 0x2
	s_load_b32 s10, s[0:1], 0x0
	s_load_b64 s[2:3], s[0:1], 0x18
	s_load_b128 s[4:7], s[0:1], 0x8
	v_lshl_or_b32 v3, s15, 9, v0
	s_mov_b32 s9, 0
	global_load_u16 v2, v1, s[0:1] offset:33
	s_mov_b32 s1, 0
	v_or_b32_e32 v0, 0x180, v3
	s_mov_b32 s0, exec_lo
	s_waitcnt vmcnt(0)
	v_lshrrev_b16 v4, 8, v2
	s_waitcnt lgkmcnt(0)
	v_cmpx_le_i32_e64 s10, v0
	s_xor_b32 s8, exec_lo, s0
	s_cbranch_execz .LBB96_1024
; %bb.1:
	s_mov_b32 s15, -1
	s_mov_b32 s13, 0
	s_mov_b32 s11, 0
	s_mov_b32 s12, exec_lo
	v_cmpx_gt_i32_e64 s10, v3
	s_cbranch_execz .LBB96_250
; %bb.2:
	v_mul_lo_u32 v0, v3, s3
	v_cmp_gt_i16_e32 vcc_lo, 11, v4
	s_delay_alu instid0(VALU_DEP_2) | instskip(SKIP_1) | instid1(VALU_DEP_1)
	v_ashrrev_i32_e32 v1, 31, v0
	v_add_co_u32 v0, s0, s6, v0
	v_add_co_ci_u32_e64 v1, s0, s7, v1, s0
	s_cbranch_vccnz .LBB96_9
; %bb.3:
	v_cmp_lt_i16_e32 vcc_lo, 25, v4
	s_cbranch_vccz .LBB96_128
; %bb.4:
	v_cmp_lt_i16_e32 vcc_lo, 28, v4
	s_cbranch_vccz .LBB96_129
	;; [unrolled: 3-line block ×4, first 2 shown]
; %bb.7:
	v_cmp_eq_u16_e32 vcc_lo, 46, v4
	s_cbranch_vccz .LBB96_132
; %bb.8:
	global_load_b32 v5, v[0:1], off
	s_mov_b32 s0, -1
	s_waitcnt vmcnt(0)
	v_lshlrev_b32_e32 v5, 16, v5
	s_delay_alu instid0(VALU_DEP_1)
	v_cvt_f16_f32_e32 v5, v5
	s_branch .LBB96_134
.LBB96_9:
	s_mov_b32 s0, 0
                                        ; implicit-def: $vgpr5
	s_cbranch_execnz .LBB96_200
.LBB96_10:
	s_and_not1_b32 vcc_lo, exec_lo, s0
	s_cbranch_vccnz .LBB96_247
.LBB96_11:
	s_waitcnt vmcnt(0)
	s_delay_alu instid0(VALU_DEP_1) | instskip(SKIP_3) | instid1(VALU_DEP_1)
	v_cvt_f32_f16_e32 v0, v5
	s_mov_b32 s0, 0x3fb8aa3b
	s_mov_b32 s9, 0
	s_mov_b32 s14, -1
	v_mul_f32_e32 v1, 0x3fb8aa3b, v0
	v_cmp_ngt_f32_e32 vcc_lo, 0xc2ce8ed0, v0
	s_delay_alu instid0(VALU_DEP_2) | instskip(SKIP_2) | instid1(VALU_DEP_2)
	v_rndne_f32_e32 v6, v1
	v_fma_mix_f32 v7, v5, s0, -v1 op_sel_hi:[1,0,0]
	s_mov_b32 s0, 0x32a5705f
	v_sub_f32_e32 v1, v1, v6
	s_delay_alu instid0(VALU_DEP_2) | instskip(SKIP_2) | instid1(VALU_DEP_3)
	v_fma_mix_f32 v5, v5, s0, v7 op_sel_hi:[1,0,0]
	v_mul_lo_u32 v7, v3, s2
	v_cmp_nlt_f32_e64 s0, 0x42b17218, v0
	v_add_f32_e32 v1, v1, v5
	v_cvt_i32_f32_e32 v5, v6
	v_and_b32_e32 v6, 0xff, v2
	s_delay_alu instid0(VALU_DEP_3) | instskip(SKIP_3) | instid1(VALU_DEP_2)
	v_exp_f32_e32 v1, v1
	s_waitcnt_depctr 0xfff
	v_ldexp_f32 v1, v1, v5
	v_ashrrev_i32_e32 v5, 31, v7
	v_cndmask_b32_e32 v1, 0, v1, vcc_lo
	v_cmp_gt_i16_e32 vcc_lo, 11, v6
	s_delay_alu instid0(VALU_DEP_2) | instskip(SKIP_1) | instid1(VALU_DEP_1)
	v_cndmask_b32_e64 v8, 0x7f800000, v1, s0
	v_add_co_u32 v0, s0, s4, v7
	v_add_co_ci_u32_e64 v1, s0, s5, v5, s0
	s_delay_alu instid0(VALU_DEP_3)
	v_cvt_f16_f32_e32 v5, v8
	s_mov_b32 s0, 0
	s_cbranch_vccnz .LBB96_88
; %bb.12:
	v_cmp_lt_i16_e32 vcc_lo, 25, v6
	s_cbranch_vccz .LBB96_45
; %bb.13:
	v_cmp_lt_i16_e32 vcc_lo, 28, v6
	s_cbranch_vccz .LBB96_28
	;; [unrolled: 3-line block ×4, first 2 shown]
; %bb.16:
	v_cmp_eq_u16_e32 vcc_lo, 46, v6
	s_mov_b32 s14, 0
	s_mov_b32 s9, -1
	s_cbranch_vccz .LBB96_18
; %bb.17:
	v_cvt_f32_f16_e32 v7, v5
	v_cmp_o_f16_e32 vcc_lo, v5, v5
	s_mov_b32 s0, -1
	s_mov_b32 s9, 0
	s_delay_alu instid0(VALU_DEP_2) | instskip(NEXT) | instid1(VALU_DEP_1)
	v_bfe_u32 v8, v7, 16, 1
	v_add3_u32 v7, v7, v8, 0x7fff
	s_delay_alu instid0(VALU_DEP_1) | instskip(NEXT) | instid1(VALU_DEP_1)
	v_lshrrev_b32_e32 v7, 16, v7
	v_cndmask_b32_e32 v7, 0x7fc0, v7, vcc_lo
	global_store_b32 v[0:1], v7, off
.LBB96_18:
	s_and_b32 vcc_lo, exec_lo, s14
	s_cbranch_vccz .LBB96_23
; %bb.19:
	v_cmp_eq_u16_e32 vcc_lo, 44, v6
	s_mov_b32 s9, -1
	s_cbranch_vccz .LBB96_23
; %bb.20:
	v_cvt_f32_f16_e32 v7, v5
	v_mov_b32_e32 v8, 0xff
	s_mov_b32 s9, exec_lo
	s_delay_alu instid0(VALU_DEP_2) | instskip(NEXT) | instid1(VALU_DEP_1)
	v_bfe_u32 v9, v7, 23, 8
	v_cmpx_ne_u32_e32 0xff, v9
; %bb.21:
	v_and_b32_e32 v8, 0x400000, v7
	v_and_or_b32 v9, 0x3fffff, v7, v9
	v_lshrrev_b32_e32 v7, 23, v7
	s_delay_alu instid0(VALU_DEP_3) | instskip(NEXT) | instid1(VALU_DEP_3)
	v_cmp_ne_u32_e32 vcc_lo, 0, v8
	v_cmp_ne_u32_e64 s0, 0, v9
	s_delay_alu instid0(VALU_DEP_1) | instskip(NEXT) | instid1(SALU_CYCLE_1)
	s_and_b32 s0, vcc_lo, s0
	v_cndmask_b32_e64 v8, 0, 1, s0
	s_delay_alu instid0(VALU_DEP_1)
	v_add_nc_u32_e32 v8, v7, v8
; %bb.22:
	s_or_b32 exec_lo, exec_lo, s9
	s_mov_b32 s0, -1
	s_mov_b32 s9, 0
	global_store_b8 v[0:1], v8, off
.LBB96_23:
	s_mov_b32 s14, 0
.LBB96_24:
	s_delay_alu instid0(SALU_CYCLE_1)
	s_and_b32 vcc_lo, exec_lo, s14
	s_cbranch_vccz .LBB96_27
; %bb.25:
	v_cmp_eq_u16_e32 vcc_lo, 29, v6
	s_mov_b32 s9, -1
	s_cbranch_vccz .LBB96_27
; %bb.26:
	v_cvt_f32_f16_e32 v7, v5
	v_mov_b32_e32 v8, 0
	s_mov_b32 s9, 0
	s_mov_b32 s0, -1
	s_delay_alu instid0(VALU_DEP_2)
	v_cvt_u32_f32_e32 v7, v7
	global_store_b64 v[0:1], v[7:8], off
.LBB96_27:
	s_mov_b32 s14, 0
.LBB96_28:
	s_delay_alu instid0(SALU_CYCLE_1)
	s_and_b32 vcc_lo, exec_lo, s14
	s_cbranch_vccz .LBB96_44
; %bb.29:
	v_cmp_gt_i16_e32 vcc_lo, 27, v6
	s_mov_b32 s0, -1
	s_cbranch_vccnz .LBB96_35
; %bb.30:
	v_cmp_lt_i16_e32 vcc_lo, 27, v6
	s_cbranch_vccz .LBB96_32
; %bb.31:
	v_cvt_f32_f16_e32 v7, v5
	s_mov_b32 s0, 0
	s_delay_alu instid0(VALU_DEP_1)
	v_cvt_u32_f32_e32 v7, v7
	global_store_b32 v[0:1], v7, off
.LBB96_32:
	s_and_not1_b32 vcc_lo, exec_lo, s0
	s_cbranch_vccnz .LBB96_34
; %bb.33:
	v_cvt_u16_f16_e32 v7, v5
	global_store_b16 v[0:1], v7, off
.LBB96_34:
	s_mov_b32 s0, 0
.LBB96_35:
	s_delay_alu instid0(SALU_CYCLE_1)
	s_and_not1_b32 vcc_lo, exec_lo, s0
	s_cbranch_vccnz .LBB96_43
; %bb.36:
	v_cvt_f32_f16_e32 v7, v5
	v_mov_b32_e32 v9, 0x80
	s_mov_b32 s0, exec_lo
	s_delay_alu instid0(VALU_DEP_2) | instskip(NEXT) | instid1(VALU_DEP_1)
	v_and_b32_e32 v8, 0x7fffffff, v7
	v_cmpx_gt_u32_e32 0x43800000, v8
	s_cbranch_execz .LBB96_42
; %bb.37:
	v_cmp_lt_u32_e32 vcc_lo, 0x3bffffff, v8
	s_mov_b32 s14, 0
                                        ; implicit-def: $vgpr8
	s_and_saveexec_b32 s15, vcc_lo
	s_delay_alu instid0(SALU_CYCLE_1)
	s_xor_b32 s15, exec_lo, s15
	s_cbranch_execz .LBB96_137
; %bb.38:
	v_bfe_u32 v8, v7, 20, 1
	s_mov_b32 s14, exec_lo
	s_delay_alu instid0(VALU_DEP_1) | instskip(NEXT) | instid1(VALU_DEP_1)
	v_add3_u32 v8, v7, v8, 0x487ffff
	v_lshrrev_b32_e32 v8, 20, v8
	s_or_saveexec_b32 s15, s15
                                        ; implicit-def: $sgpr16
	s_delay_alu instid0(SALU_CYCLE_1)
	s_xor_b32 exec_lo, exec_lo, s15
	s_cbranch_execnz .LBB96_138
.LBB96_39:
	s_or_b32 exec_lo, exec_lo, s15
	v_mov_b32_e32 v9, s16
	s_and_saveexec_b32 s15, s14
.LBB96_40:
	v_lshrrev_b32_e32 v7, 24, v7
	s_delay_alu instid0(VALU_DEP_1)
	v_and_or_b32 v9, 0x80, v7, v8
.LBB96_41:
	s_or_b32 exec_lo, exec_lo, s15
.LBB96_42:
	s_delay_alu instid0(SALU_CYCLE_1)
	s_or_b32 exec_lo, exec_lo, s0
	global_store_b8 v[0:1], v9, off
.LBB96_43:
	s_mov_b32 s0, -1
.LBB96_44:
	s_mov_b32 s14, 0
.LBB96_45:
	s_delay_alu instid0(SALU_CYCLE_1)
	s_and_b32 vcc_lo, exec_lo, s14
	s_cbranch_vccz .LBB96_86
; %bb.46:
	v_cmp_lt_i16_e32 vcc_lo, 22, v6
	s_mov_b32 s14, -1
	s_cbranch_vccz .LBB96_78
; %bb.47:
	v_cmp_gt_i16_e32 vcc_lo, 24, v6
	s_mov_b32 s0, -1
	s_cbranch_vccnz .LBB96_67
; %bb.48:
	v_cmp_lt_i16_e32 vcc_lo, 24, v6
	s_cbranch_vccz .LBB96_56
; %bb.49:
	v_cvt_f32_f16_e32 v7, v5
	v_mov_b32_e32 v9, 0x80
	s_mov_b32 s0, exec_lo
	s_delay_alu instid0(VALU_DEP_2) | instskip(NEXT) | instid1(VALU_DEP_1)
	v_and_b32_e32 v8, 0x7fffffff, v7
	v_cmpx_gt_u32_e32 0x47800000, v8
	s_cbranch_execz .LBB96_55
; %bb.50:
	v_cmp_lt_u32_e32 vcc_lo, 0x37ffffff, v8
	s_mov_b32 s14, 0
                                        ; implicit-def: $vgpr8
	s_and_saveexec_b32 s15, vcc_lo
	s_delay_alu instid0(SALU_CYCLE_1)
	s_xor_b32 s15, exec_lo, s15
	s_cbranch_execz .LBB96_315
; %bb.51:
	v_bfe_u32 v8, v7, 21, 1
	s_mov_b32 s14, exec_lo
	s_delay_alu instid0(VALU_DEP_1) | instskip(NEXT) | instid1(VALU_DEP_1)
	v_add3_u32 v8, v7, v8, 0x88fffff
	v_lshrrev_b32_e32 v8, 21, v8
	s_or_saveexec_b32 s15, s15
                                        ; implicit-def: $sgpr16
	s_delay_alu instid0(SALU_CYCLE_1)
	s_xor_b32 exec_lo, exec_lo, s15
	s_cbranch_execnz .LBB96_316
.LBB96_52:
	s_or_b32 exec_lo, exec_lo, s15
	v_mov_b32_e32 v9, s16
	s_and_saveexec_b32 s15, s14
.LBB96_53:
	v_lshrrev_b32_e32 v7, 24, v7
	s_delay_alu instid0(VALU_DEP_1)
	v_and_or_b32 v9, 0x80, v7, v8
.LBB96_54:
	s_or_b32 exec_lo, exec_lo, s15
.LBB96_55:
	s_delay_alu instid0(SALU_CYCLE_1)
	s_or_b32 exec_lo, exec_lo, s0
	s_mov_b32 s0, 0
	global_store_b8 v[0:1], v9, off
.LBB96_56:
	s_and_b32 vcc_lo, exec_lo, s0
	s_cbranch_vccz .LBB96_66
; %bb.57:
	v_cvt_f32_f16_e32 v7, v5
	s_mov_b32 s0, exec_lo
                                        ; implicit-def: $vgpr8
	s_delay_alu instid0(VALU_DEP_1) | instskip(NEXT) | instid1(VALU_DEP_1)
	v_and_b32_e32 v9, 0x7fffffff, v7
	v_cmpx_gt_u32_e32 0x43f00000, v9
	s_xor_b32 s0, exec_lo, s0
	s_cbranch_execz .LBB96_63
; %bb.58:
	s_mov_b32 s14, exec_lo
                                        ; implicit-def: $vgpr8
	v_cmpx_lt_u32_e32 0x3c7fffff, v9
	s_xor_b32 s14, exec_lo, s14
; %bb.59:
	v_bfe_u32 v8, v7, 20, 1
	s_delay_alu instid0(VALU_DEP_1) | instskip(NEXT) | instid1(VALU_DEP_1)
	v_add3_u32 v8, v7, v8, 0x407ffff
	v_and_b32_e32 v9, 0xff00000, v8
	v_lshrrev_b32_e32 v8, 20, v8
	s_delay_alu instid0(VALU_DEP_2) | instskip(NEXT) | instid1(VALU_DEP_2)
	v_cmp_ne_u32_e32 vcc_lo, 0x7f00000, v9
	v_cndmask_b32_e32 v8, 0x7e, v8, vcc_lo
; %bb.60:
	s_and_not1_saveexec_b32 s14, s14
; %bb.61:
	v_add_f32_e64 v8, 0x46800000, |v7|
; %bb.62:
	s_or_b32 exec_lo, exec_lo, s14
                                        ; implicit-def: $vgpr9
.LBB96_63:
	s_and_not1_saveexec_b32 s0, s0
; %bb.64:
	v_mov_b32_e32 v8, 0x7f
	v_cmp_lt_u32_e32 vcc_lo, 0x7f800000, v9
	s_delay_alu instid0(VALU_DEP_2)
	v_cndmask_b32_e32 v8, 0x7e, v8, vcc_lo
; %bb.65:
	s_or_b32 exec_lo, exec_lo, s0
	v_lshrrev_b32_e32 v7, 24, v7
	s_delay_alu instid0(VALU_DEP_1)
	v_and_or_b32 v7, 0x80, v7, v8
	global_store_b8 v[0:1], v7, off
.LBB96_66:
	s_mov_b32 s0, 0
.LBB96_67:
	s_delay_alu instid0(SALU_CYCLE_1)
	s_and_not1_b32 vcc_lo, exec_lo, s0
	s_cbranch_vccnz .LBB96_77
; %bb.68:
	v_cvt_f32_f16_e32 v7, v5
	s_mov_b32 s0, exec_lo
                                        ; implicit-def: $vgpr8
	s_delay_alu instid0(VALU_DEP_1) | instskip(NEXT) | instid1(VALU_DEP_1)
	v_and_b32_e32 v9, 0x7fffffff, v7
	v_cmpx_gt_u32_e32 0x47800000, v9
	s_xor_b32 s0, exec_lo, s0
	s_cbranch_execz .LBB96_74
; %bb.69:
	s_mov_b32 s14, exec_lo
                                        ; implicit-def: $vgpr8
	v_cmpx_lt_u32_e32 0x387fffff, v9
	s_xor_b32 s14, exec_lo, s14
; %bb.70:
	v_bfe_u32 v8, v7, 21, 1
	s_delay_alu instid0(VALU_DEP_1) | instskip(NEXT) | instid1(VALU_DEP_1)
	v_add3_u32 v8, v7, v8, 0x80fffff
	v_lshrrev_b32_e32 v8, 21, v8
; %bb.71:
	s_and_not1_saveexec_b32 s14, s14
; %bb.72:
	v_add_f32_e64 v8, 0x43000000, |v7|
; %bb.73:
	s_or_b32 exec_lo, exec_lo, s14
                                        ; implicit-def: $vgpr9
.LBB96_74:
	s_and_not1_saveexec_b32 s0, s0
; %bb.75:
	v_mov_b32_e32 v8, 0x7f
	v_cmp_lt_u32_e32 vcc_lo, 0x7f800000, v9
	s_delay_alu instid0(VALU_DEP_2)
	v_cndmask_b32_e32 v8, 0x7c, v8, vcc_lo
; %bb.76:
	s_or_b32 exec_lo, exec_lo, s0
	v_lshrrev_b32_e32 v7, 24, v7
	s_delay_alu instid0(VALU_DEP_1)
	v_and_or_b32 v7, 0x80, v7, v8
	global_store_b8 v[0:1], v7, off
.LBB96_77:
	s_mov_b32 s14, 0
	s_mov_b32 s0, -1
.LBB96_78:
	s_and_not1_b32 vcc_lo, exec_lo, s14
	s_cbranch_vccnz .LBB96_86
; %bb.79:
	v_cmp_lt_i16_e32 vcc_lo, 14, v6
	s_mov_b32 s14, -1
	s_cbranch_vccz .LBB96_83
; %bb.80:
	v_cmp_eq_u16_e32 vcc_lo, 15, v6
	s_mov_b32 s9, -1
	s_cbranch_vccz .LBB96_82
; %bb.81:
	v_cvt_f32_f16_e32 v7, v5
	v_cmp_o_f16_e32 vcc_lo, v5, v5
	s_mov_b32 s0, -1
	s_mov_b32 s9, 0
	s_delay_alu instid0(VALU_DEP_2) | instskip(NEXT) | instid1(VALU_DEP_1)
	v_bfe_u32 v8, v7, 16, 1
	v_add3_u32 v7, v7, v8, 0x7fff
	s_delay_alu instid0(VALU_DEP_1) | instskip(NEXT) | instid1(VALU_DEP_1)
	v_lshrrev_b32_e32 v7, 16, v7
	v_cndmask_b32_e32 v7, 0x7fc0, v7, vcc_lo
	global_store_b16 v[0:1], v7, off
.LBB96_82:
	s_mov_b32 s14, 0
.LBB96_83:
	s_delay_alu instid0(SALU_CYCLE_1)
	s_and_b32 vcc_lo, exec_lo, s14
	s_cbranch_vccz .LBB96_86
; %bb.84:
	v_cmp_eq_u16_e32 vcc_lo, 11, v6
	s_mov_b32 s9, -1
	s_cbranch_vccz .LBB96_86
; %bb.85:
	v_cmp_neq_f16_e32 vcc_lo, 0, v5
	s_mov_b32 s9, 0
	s_mov_b32 s0, -1
	v_cndmask_b32_e64 v7, 0, 1, vcc_lo
	global_store_b8 v[0:1], v7, off
.LBB96_86:
.LBB96_87:
	s_and_not1_b32 vcc_lo, exec_lo, s0
	s_cbranch_vccnz .LBB96_248
	s_branch .LBB96_127
.LBB96_88:
	s_and_b32 vcc_lo, exec_lo, s14
	s_cbranch_vccz .LBB96_87
; %bb.89:
	v_cmp_gt_i16_e32 vcc_lo, 5, v6
	s_mov_b32 s0, -1
	s_cbranch_vccnz .LBB96_110
; %bb.90:
	v_cmp_gt_i16_e32 vcc_lo, 8, v6
	s_cbranch_vccnz .LBB96_100
; %bb.91:
	v_cmp_gt_i16_e32 vcc_lo, 9, v6
	s_cbranch_vccnz .LBB96_97
; %bb.92:
	v_cmp_lt_i16_e32 vcc_lo, 9, v6
	s_cbranch_vccz .LBB96_94
; %bb.93:
	v_cvt_f32_f16_e32 v7, v5
	v_mov_b32_e32 v9, 0
	s_mov_b32 s0, 0
	s_delay_alu instid0(VALU_DEP_2) | instskip(NEXT) | instid1(VALU_DEP_2)
	v_cvt_f64_f32_e32 v[7:8], v7
	v_mov_b32_e32 v10, v9
	global_store_b128 v[0:1], v[7:10], off
.LBB96_94:
	s_and_not1_b32 vcc_lo, exec_lo, s0
	s_cbranch_vccnz .LBB96_96
; %bb.95:
	v_cvt_f32_f16_e32 v7, v5
	v_mov_b32_e32 v8, 0
	global_store_b64 v[0:1], v[7:8], off
.LBB96_96:
	s_mov_b32 s0, 0
.LBB96_97:
	s_delay_alu instid0(SALU_CYCLE_1)
	s_and_not1_b32 vcc_lo, exec_lo, s0
	s_cbranch_vccnz .LBB96_99
; %bb.98:
	v_and_b32_e32 v7, 0xffff, v5
	global_store_b32 v[0:1], v7, off
.LBB96_99:
	s_mov_b32 s0, 0
.LBB96_100:
	s_delay_alu instid0(SALU_CYCLE_1)
	s_and_not1_b32 vcc_lo, exec_lo, s0
	s_cbranch_vccnz .LBB96_109
; %bb.101:
	v_cmp_gt_i16_e32 vcc_lo, 6, v6
	s_mov_b32 s0, -1
	s_cbranch_vccnz .LBB96_107
; %bb.102:
	v_cmp_lt_i16_e32 vcc_lo, 6, v6
	s_cbranch_vccz .LBB96_104
; %bb.103:
	v_cvt_f32_f16_e32 v7, v5
	s_mov_b32 s0, 0
	s_delay_alu instid0(VALU_DEP_1)
	v_cvt_f64_f32_e32 v[7:8], v7
	global_store_b64 v[0:1], v[7:8], off
.LBB96_104:
	s_and_not1_b32 vcc_lo, exec_lo, s0
	s_cbranch_vccnz .LBB96_106
; %bb.105:
	v_cvt_f32_f16_e32 v7, v5
	global_store_b32 v[0:1], v7, off
.LBB96_106:
	s_mov_b32 s0, 0
.LBB96_107:
	s_delay_alu instid0(SALU_CYCLE_1)
	s_and_not1_b32 vcc_lo, exec_lo, s0
	s_cbranch_vccnz .LBB96_109
; %bb.108:
	global_store_b16 v[0:1], v5, off
.LBB96_109:
	s_mov_b32 s0, 0
.LBB96_110:
	s_delay_alu instid0(SALU_CYCLE_1)
	s_and_not1_b32 vcc_lo, exec_lo, s0
	s_cbranch_vccnz .LBB96_126
; %bb.111:
	v_cmp_gt_i16_e32 vcc_lo, 2, v6
	s_mov_b32 s0, -1
	s_cbranch_vccnz .LBB96_121
; %bb.112:
	v_cmp_gt_i16_e32 vcc_lo, 3, v6
	s_cbranch_vccnz .LBB96_118
; %bb.113:
	v_cmp_lt_i16_e32 vcc_lo, 3, v6
	s_cbranch_vccz .LBB96_115
; %bb.114:
	v_cvt_f32_f16_e32 v7, v5
	s_mov_b32 s0, 0
	s_delay_alu instid0(VALU_DEP_1) | instskip(NEXT) | instid1(VALU_DEP_1)
	v_cvt_i32_f32_e32 v7, v7
	v_ashrrev_i32_e32 v8, 31, v7
	global_store_b64 v[0:1], v[7:8], off
.LBB96_115:
	s_and_not1_b32 vcc_lo, exec_lo, s0
	s_cbranch_vccnz .LBB96_117
; %bb.116:
	v_cvt_f32_f16_e32 v7, v5
	s_delay_alu instid0(VALU_DEP_1)
	v_cvt_i32_f32_e32 v7, v7
	global_store_b32 v[0:1], v7, off
.LBB96_117:
	s_mov_b32 s0, 0
.LBB96_118:
	s_delay_alu instid0(SALU_CYCLE_1)
	s_and_not1_b32 vcc_lo, exec_lo, s0
	s_cbranch_vccnz .LBB96_120
; %bb.119:
	v_cvt_i16_f16_e32 v7, v5
	global_store_b16 v[0:1], v7, off
.LBB96_120:
	s_mov_b32 s0, 0
.LBB96_121:
	s_delay_alu instid0(SALU_CYCLE_1)
	s_and_not1_b32 vcc_lo, exec_lo, s0
	s_cbranch_vccnz .LBB96_126
; %bb.122:
	v_cmp_lt_i16_e32 vcc_lo, 0, v6
	s_mov_b32 s0, -1
	s_cbranch_vccz .LBB96_124
; %bb.123:
	v_cvt_i16_f16_e32 v6, v5
	s_mov_b32 s0, 0
	global_store_b8 v[0:1], v6, off
.LBB96_124:
	s_and_not1_b32 vcc_lo, exec_lo, s0
	s_cbranch_vccnz .LBB96_126
; %bb.125:
	v_cvt_f32_f16_e32 v5, v5
	s_delay_alu instid0(VALU_DEP_1)
	v_cvt_i32_f32_e32 v5, v5
	global_store_b8 v[0:1], v5, off
.LBB96_126:
.LBB96_127:
	v_add_nc_u32_e32 v3, 0x80, v3
	s_mov_b32 s0, -1
	s_branch .LBB96_249
.LBB96_128:
	s_mov_b32 s0, 0
                                        ; implicit-def: $vgpr5
	s_cbranch_execnz .LBB96_165
	s_branch .LBB96_199
.LBB96_129:
	s_mov_b32 s9, -1
	s_mov_b32 s0, 0
                                        ; implicit-def: $vgpr5
	s_branch .LBB96_146
.LBB96_130:
	s_mov_b32 s9, -1
	s_mov_b32 s0, 0
                                        ; implicit-def: $vgpr5
	s_branch .LBB96_141
.LBB96_131:
	s_mov_b32 s9, -1
	s_branch .LBB96_133
.LBB96_132:
	s_mov_b32 s11, -1
.LBB96_133:
	s_mov_b32 s0, 0
                                        ; implicit-def: $vgpr5
.LBB96_134:
	s_and_b32 vcc_lo, exec_lo, s9
	s_cbranch_vccz .LBB96_140
; %bb.135:
	v_cmp_eq_u16_e32 vcc_lo, 44, v4
	s_cbranch_vccz .LBB96_139
; %bb.136:
	global_load_u8 v5, v[0:1], off
	s_mov_b32 s11, 0
	s_mov_b32 s0, -1
	s_waitcnt vmcnt(0)
	v_lshlrev_b32_e32 v6, 23, v5
	v_cmp_ne_u32_e32 vcc_lo, 0xff, v5
	s_delay_alu instid0(VALU_DEP_2) | instskip(NEXT) | instid1(VALU_DEP_1)
	v_cvt_f16_f32_e32 v6, v6
	v_cndmask_b32_e32 v6, 0x7e00, v6, vcc_lo
	v_cmp_ne_u32_e32 vcc_lo, 0, v5
	s_delay_alu instid0(VALU_DEP_2)
	v_cndmask_b32_e32 v5, 0, v6, vcc_lo
	s_branch .LBB96_140
.LBB96_137:
	s_or_saveexec_b32 s15, s15
                                        ; implicit-def: $sgpr16
	s_delay_alu instid0(SALU_CYCLE_1)
	s_xor_b32 exec_lo, exec_lo, s15
	s_cbranch_execz .LBB96_39
.LBB96_138:
	v_add_f32_e64 v8, 0x46000000, |v7|
	s_and_not1_b32 s14, s14, exec_lo
	s_mov_b32 s16, 0
	s_delay_alu instid0(VALU_DEP_1) | instskip(NEXT) | instid1(VALU_DEP_1)
	v_and_b32_e32 v8, 0xff, v8
	v_cmp_ne_u32_e32 vcc_lo, 0, v8
	s_and_b32 s17, vcc_lo, exec_lo
	s_delay_alu instid0(SALU_CYCLE_1)
	s_or_b32 s14, s14, s17
	s_or_b32 exec_lo, exec_lo, s15
	v_mov_b32_e32 v9, s16
	s_and_saveexec_b32 s15, s14
	s_cbranch_execnz .LBB96_40
	s_branch .LBB96_41
.LBB96_139:
	s_mov_b32 s11, -1
                                        ; implicit-def: $vgpr5
.LBB96_140:
	s_mov_b32 s9, 0
.LBB96_141:
	s_delay_alu instid0(SALU_CYCLE_1)
	s_and_b32 vcc_lo, exec_lo, s9
	s_cbranch_vccz .LBB96_145
; %bb.142:
	v_cmp_eq_u16_e32 vcc_lo, 29, v4
	s_cbranch_vccz .LBB96_144
; %bb.143:
	global_load_b64 v[5:6], v[0:1], off
	s_mov_b32 s0, -1
	s_mov_b32 s11, 0
	s_mov_b32 s9, 0
	s_waitcnt vmcnt(0)
	v_clz_i32_u32_e32 v7, v6
	s_delay_alu instid0(VALU_DEP_1) | instskip(NEXT) | instid1(VALU_DEP_1)
	v_min_u32_e32 v7, 32, v7
	v_lshlrev_b64 v[5:6], v7, v[5:6]
	s_delay_alu instid0(VALU_DEP_1) | instskip(NEXT) | instid1(VALU_DEP_1)
	v_min_u32_e32 v5, 1, v5
	v_or_b32_e32 v5, v6, v5
	v_sub_nc_u32_e32 v6, 32, v7
	s_delay_alu instid0(VALU_DEP_2) | instskip(NEXT) | instid1(VALU_DEP_1)
	v_cvt_f32_u32_e32 v5, v5
	v_ldexp_f32 v5, v5, v6
	s_delay_alu instid0(VALU_DEP_1)
	v_cvt_f16_f32_e32 v5, v5
	s_branch .LBB96_146
.LBB96_144:
	s_mov_b32 s11, -1
                                        ; implicit-def: $vgpr5
.LBB96_145:
	s_mov_b32 s9, 0
.LBB96_146:
	s_delay_alu instid0(SALU_CYCLE_1)
	s_and_b32 vcc_lo, exec_lo, s9
	s_cbranch_vccz .LBB96_164
; %bb.147:
	v_cmp_gt_i16_e32 vcc_lo, 27, v4
	s_cbranch_vccnz .LBB96_150
; %bb.148:
	v_cmp_lt_i16_e32 vcc_lo, 27, v4
	s_cbranch_vccz .LBB96_151
; %bb.149:
	global_load_b32 v5, v[0:1], off
	s_mov_b32 s0, 0
	s_waitcnt vmcnt(0)
	v_cvt_f32_u32_e32 v5, v5
	s_delay_alu instid0(VALU_DEP_1)
	v_cvt_f16_f32_e32 v5, v5
	s_branch .LBB96_152
.LBB96_150:
	s_mov_b32 s0, -1
                                        ; implicit-def: $vgpr5
	s_branch .LBB96_155
.LBB96_151:
	s_mov_b32 s0, -1
                                        ; implicit-def: $vgpr5
.LBB96_152:
	s_delay_alu instid0(SALU_CYCLE_1)
	s_and_not1_b32 vcc_lo, exec_lo, s0
	s_cbranch_vccnz .LBB96_154
; %bb.153:
	global_load_u16 v5, v[0:1], off
	s_waitcnt vmcnt(0)
	v_cvt_f16_u16_e32 v5, v5
.LBB96_154:
	s_mov_b32 s0, 0
.LBB96_155:
	s_delay_alu instid0(SALU_CYCLE_1)
	s_and_not1_b32 vcc_lo, exec_lo, s0
	s_cbranch_vccnz .LBB96_163
; %bb.156:
	global_load_u8 v6, v[0:1], off
	s_mov_b32 s0, 0
	s_mov_b32 s14, exec_lo
                                        ; implicit-def: $sgpr9
	s_waitcnt vmcnt(0)
	v_cmpx_lt_i16_e32 0x7f, v6
	s_xor_b32 s14, exec_lo, s14
	s_cbranch_execz .LBB96_176
; %bb.157:
	s_mov_b32 s0, -1
	s_mov_b32 s15, exec_lo
                                        ; implicit-def: $sgpr9
	v_cmpx_eq_u16_e32 0x80, v6
; %bb.158:
	s_movk_i32 s9, 0x7e00
	s_xor_b32 s0, exec_lo, -1
; %bb.159:
	s_or_b32 exec_lo, exec_lo, s15
	s_delay_alu instid0(SALU_CYCLE_1)
	s_and_b32 s0, s0, exec_lo
	s_or_saveexec_b32 s14, s14
	v_mov_b32_e32 v5, s9
	s_xor_b32 exec_lo, exec_lo, s14
	s_cbranch_execnz .LBB96_177
.LBB96_160:
	s_or_b32 exec_lo, exec_lo, s14
	s_and_saveexec_b32 s9, s0
	s_cbranch_execz .LBB96_162
.LBB96_161:
	v_and_b32_e32 v5, 0xffff, v6
	s_delay_alu instid0(VALU_DEP_1) | instskip(NEXT) | instid1(VALU_DEP_1)
	v_and_b32_e32 v7, 7, v5
	v_clz_i32_u32_e32 v8, v7
	s_delay_alu instid0(VALU_DEP_1) | instskip(NEXT) | instid1(VALU_DEP_1)
	v_min_u32_e32 v8, 32, v8
	v_subrev_nc_u32_e32 v9, 28, v8
	v_sub_nc_u32_e32 v8, 29, v8
	s_delay_alu instid0(VALU_DEP_2) | instskip(SKIP_1) | instid1(VALU_DEP_2)
	v_lshlrev_b32_e32 v9, v9, v5
	v_bfe_u32 v5, v5, 3, 4
	v_and_b32_e32 v9, 7, v9
	s_delay_alu instid0(VALU_DEP_2) | instskip(SKIP_1) | instid1(VALU_DEP_1)
	v_cmp_eq_u32_e32 vcc_lo, 0, v5
	v_dual_cndmask_b32 v5, v5, v8 :: v_dual_lshlrev_b32 v6, 24, v6
	v_dual_cndmask_b32 v7, v7, v9 :: v_dual_and_b32 v6, 0x80000000, v6
	s_delay_alu instid0(VALU_DEP_2) | instskip(NEXT) | instid1(VALU_DEP_2)
	v_lshl_add_u32 v5, v5, 23, 0x3b800000
	v_lshlrev_b32_e32 v7, 20, v7
	s_delay_alu instid0(VALU_DEP_1) | instskip(NEXT) | instid1(VALU_DEP_1)
	v_or3_b32 v5, v6, v5, v7
	v_cvt_f16_f32_e32 v5, v5
.LBB96_162:
	s_or_b32 exec_lo, exec_lo, s9
.LBB96_163:
	s_mov_b32 s0, -1
.LBB96_164:
	s_branch .LBB96_199
.LBB96_165:
	v_cmp_lt_i16_e32 vcc_lo, 22, v4
	s_cbranch_vccz .LBB96_175
; %bb.166:
	v_cmp_gt_i16_e32 vcc_lo, 24, v4
	s_cbranch_vccnz .LBB96_178
; %bb.167:
	v_cmp_lt_i16_e32 vcc_lo, 24, v4
	s_cbranch_vccz .LBB96_179
; %bb.168:
	global_load_u8 v6, v[0:1], off
	s_mov_b32 s0, 0
	s_mov_b32 s14, exec_lo
                                        ; implicit-def: $sgpr9
	s_waitcnt vmcnt(0)
	v_cmpx_lt_i16_e32 0x7f, v6
	s_xor_b32 s14, exec_lo, s14
	s_cbranch_execz .LBB96_191
; %bb.169:
	s_mov_b32 s0, -1
	s_mov_b32 s15, exec_lo
                                        ; implicit-def: $sgpr9
	v_cmpx_eq_u16_e32 0x80, v6
; %bb.170:
	s_movk_i32 s9, 0x7e00
	s_xor_b32 s0, exec_lo, -1
; %bb.171:
	s_or_b32 exec_lo, exec_lo, s15
	s_delay_alu instid0(SALU_CYCLE_1)
	s_and_b32 s0, s0, exec_lo
	s_or_saveexec_b32 s14, s14
	v_mov_b32_e32 v5, s9
	s_xor_b32 exec_lo, exec_lo, s14
	s_cbranch_execnz .LBB96_192
.LBB96_172:
	s_or_b32 exec_lo, exec_lo, s14
	s_and_saveexec_b32 s9, s0
	s_cbranch_execz .LBB96_174
.LBB96_173:
	v_and_b32_e32 v5, 0xffff, v6
	s_delay_alu instid0(VALU_DEP_1) | instskip(NEXT) | instid1(VALU_DEP_1)
	v_and_b32_e32 v7, 3, v5
	v_clz_i32_u32_e32 v8, v7
	s_delay_alu instid0(VALU_DEP_1) | instskip(NEXT) | instid1(VALU_DEP_1)
	v_min_u32_e32 v8, 32, v8
	v_subrev_nc_u32_e32 v9, 29, v8
	v_sub_nc_u32_e32 v8, 30, v8
	s_delay_alu instid0(VALU_DEP_2) | instskip(SKIP_1) | instid1(VALU_DEP_2)
	v_lshlrev_b32_e32 v9, v9, v5
	v_bfe_u32 v5, v5, 2, 5
	v_and_b32_e32 v9, 3, v9
	s_delay_alu instid0(VALU_DEP_2) | instskip(SKIP_1) | instid1(VALU_DEP_1)
	v_cmp_eq_u32_e32 vcc_lo, 0, v5
	v_dual_cndmask_b32 v5, v5, v8 :: v_dual_lshlrev_b32 v6, 24, v6
	v_dual_cndmask_b32 v7, v7, v9 :: v_dual_and_b32 v6, 0x80000000, v6
	s_delay_alu instid0(VALU_DEP_2) | instskip(NEXT) | instid1(VALU_DEP_2)
	v_lshl_add_u32 v5, v5, 23, 0x37800000
	v_lshlrev_b32_e32 v7, 21, v7
	s_delay_alu instid0(VALU_DEP_1) | instskip(NEXT) | instid1(VALU_DEP_1)
	v_or3_b32 v5, v6, v5, v7
	v_cvt_f16_f32_e32 v5, v5
.LBB96_174:
	s_or_b32 exec_lo, exec_lo, s9
	s_mov_b32 s0, 0
	s_branch .LBB96_180
.LBB96_175:
	s_mov_b32 s9, -1
                                        ; implicit-def: $vgpr5
	s_branch .LBB96_186
.LBB96_176:
	s_or_saveexec_b32 s14, s14
	v_mov_b32_e32 v5, s9
	s_xor_b32 exec_lo, exec_lo, s14
	s_cbranch_execz .LBB96_160
.LBB96_177:
	v_cmp_ne_u16_e32 vcc_lo, 0, v6
	v_mov_b32_e32 v5, v6
	s_and_not1_b32 s0, s0, exec_lo
	s_and_b32 s9, vcc_lo, exec_lo
	s_delay_alu instid0(SALU_CYCLE_1)
	s_or_b32 s0, s0, s9
	s_or_b32 exec_lo, exec_lo, s14
	s_and_saveexec_b32 s9, s0
	s_cbranch_execnz .LBB96_161
	s_branch .LBB96_162
.LBB96_178:
	s_mov_b32 s0, -1
                                        ; implicit-def: $vgpr5
	s_branch .LBB96_183
.LBB96_179:
	s_mov_b32 s0, -1
                                        ; implicit-def: $vgpr5
.LBB96_180:
	s_delay_alu instid0(SALU_CYCLE_1)
	s_and_b32 vcc_lo, exec_lo, s0
	s_cbranch_vccz .LBB96_182
; %bb.181:
	global_load_u8 v5, v[0:1], off
	s_waitcnt vmcnt(0)
	v_lshlrev_b32_e32 v5, 24, v5
	s_delay_alu instid0(VALU_DEP_1) | instskip(NEXT) | instid1(VALU_DEP_1)
	v_and_b32_e32 v6, 0x7f000000, v5
	v_clz_i32_u32_e32 v7, v6
	v_add_nc_u32_e32 v9, 0x1000000, v6
	v_cmp_ne_u32_e32 vcc_lo, 0, v6
	s_delay_alu instid0(VALU_DEP_3) | instskip(NEXT) | instid1(VALU_DEP_1)
	v_min_u32_e32 v7, 32, v7
	v_sub_nc_u32_e64 v7, v7, 4 clamp
	s_delay_alu instid0(VALU_DEP_1) | instskip(SKIP_1) | instid1(VALU_DEP_2)
	v_lshlrev_b32_e32 v8, v7, v6
	v_lshlrev_b32_e32 v7, 23, v7
	v_lshrrev_b32_e32 v8, 4, v8
	s_delay_alu instid0(VALU_DEP_1) | instskip(SKIP_1) | instid1(VALU_DEP_2)
	v_sub_nc_u32_e32 v7, v8, v7
	v_ashrrev_i32_e32 v8, 8, v9
	v_add_nc_u32_e32 v7, 0x3c000000, v7
	s_delay_alu instid0(VALU_DEP_1) | instskip(NEXT) | instid1(VALU_DEP_1)
	v_and_or_b32 v7, 0x7f800000, v8, v7
	v_cndmask_b32_e32 v6, 0, v7, vcc_lo
	s_delay_alu instid0(VALU_DEP_1) | instskip(NEXT) | instid1(VALU_DEP_1)
	v_and_or_b32 v5, 0x80000000, v5, v6
	v_cvt_f16_f32_e32 v5, v5
.LBB96_182:
	s_mov_b32 s0, 0
.LBB96_183:
	s_delay_alu instid0(SALU_CYCLE_1)
	s_and_not1_b32 vcc_lo, exec_lo, s0
	s_cbranch_vccnz .LBB96_185
; %bb.184:
	global_load_u8 v5, v[0:1], off
	s_waitcnt vmcnt(0)
	v_lshlrev_b32_e32 v6, 25, v5
	v_lshlrev_b16 v5, 8, v5
	s_delay_alu instid0(VALU_DEP_2) | instskip(NEXT) | instid1(VALU_DEP_2)
	v_lshrrev_b32_e32 v7, 4, v6
	v_and_or_b32 v8, 0x7f00, v5, 0.5
	v_bfe_i32 v5, v5, 0, 16
	s_delay_alu instid0(VALU_DEP_3) | instskip(NEXT) | instid1(VALU_DEP_1)
	v_or_b32_e32 v7, 0x70000000, v7
	v_dual_add_f32 v8, -0.5, v8 :: v_dual_mul_f32 v7, 0x7800000, v7
	v_cmp_gt_u32_e32 vcc_lo, 0x8000000, v6
	s_delay_alu instid0(VALU_DEP_2) | instskip(NEXT) | instid1(VALU_DEP_1)
	v_cndmask_b32_e32 v6, v7, v8, vcc_lo
	v_and_or_b32 v5, 0x80000000, v5, v6
	s_delay_alu instid0(VALU_DEP_1)
	v_cvt_f16_f32_e32 v5, v5
.LBB96_185:
	s_mov_b32 s9, 0
	s_mov_b32 s0, -1
.LBB96_186:
	s_and_not1_b32 vcc_lo, exec_lo, s9
	s_cbranch_vccnz .LBB96_199
; %bb.187:
	v_cmp_lt_i16_e32 vcc_lo, 14, v4
	s_cbranch_vccz .LBB96_190
; %bb.188:
	v_cmp_eq_u16_e32 vcc_lo, 15, v4
	s_cbranch_vccz .LBB96_193
; %bb.189:
	global_load_u16 v5, v[0:1], off
	s_mov_b32 s0, -1
	s_mov_b32 s11, 0
	s_waitcnt vmcnt(0)
	v_lshlrev_b32_e32 v5, 16, v5
	s_delay_alu instid0(VALU_DEP_1)
	v_cvt_f16_f32_e32 v5, v5
	s_branch .LBB96_194
.LBB96_190:
	s_mov_b32 s9, -1
                                        ; implicit-def: $vgpr5
	s_branch .LBB96_195
.LBB96_191:
	s_or_saveexec_b32 s14, s14
	v_mov_b32_e32 v5, s9
	s_xor_b32 exec_lo, exec_lo, s14
	s_cbranch_execz .LBB96_172
.LBB96_192:
	v_cmp_ne_u16_e32 vcc_lo, 0, v6
	v_mov_b32_e32 v5, v6
	s_and_not1_b32 s0, s0, exec_lo
	s_and_b32 s9, vcc_lo, exec_lo
	s_delay_alu instid0(SALU_CYCLE_1)
	s_or_b32 s0, s0, s9
	s_or_b32 exec_lo, exec_lo, s14
	s_and_saveexec_b32 s9, s0
	s_cbranch_execnz .LBB96_173
	s_branch .LBB96_174
.LBB96_193:
	s_mov_b32 s11, -1
                                        ; implicit-def: $vgpr5
.LBB96_194:
	s_mov_b32 s9, 0
.LBB96_195:
	s_delay_alu instid0(SALU_CYCLE_1)
	s_and_b32 vcc_lo, exec_lo, s9
	s_cbranch_vccz .LBB96_199
; %bb.196:
	v_cmp_eq_u16_e32 vcc_lo, 11, v4
	s_cbranch_vccz .LBB96_198
; %bb.197:
	global_load_u8 v5, v[0:1], off
	s_mov_b32 s11, 0
	s_mov_b32 s0, -1
	s_waitcnt vmcnt(0)
	v_cmp_ne_u16_e32 vcc_lo, 0, v5
	v_cndmask_b32_e64 v5, 0, 0x3c00, vcc_lo
	s_branch .LBB96_199
.LBB96_198:
	s_mov_b32 s11, -1
                                        ; implicit-def: $vgpr5
.LBB96_199:
	s_branch .LBB96_10
.LBB96_200:
	v_cmp_gt_i16_e32 vcc_lo, 5, v4
	s_cbranch_vccnz .LBB96_205
; %bb.201:
	v_cmp_gt_i16_e32 vcc_lo, 8, v4
	s_cbranch_vccnz .LBB96_206
; %bb.202:
	;; [unrolled: 3-line block ×3, first 2 shown]
	v_cmp_lt_i16_e32 vcc_lo, 9, v4
	s_cbranch_vccz .LBB96_208
; %bb.204:
	global_load_b64 v[5:6], v[0:1], off
	s_mov_b32 s0, 0
	s_waitcnt vmcnt(0)
	v_cvt_f32_f64_e32 v5, v[5:6]
	s_delay_alu instid0(VALU_DEP_1)
	v_cvt_f16_f32_e32 v5, v5
	s_branch .LBB96_209
.LBB96_205:
                                        ; implicit-def: $vgpr5
	s_branch .LBB96_227
.LBB96_206:
	s_mov_b32 s0, -1
                                        ; implicit-def: $vgpr5
	s_branch .LBB96_215
.LBB96_207:
	s_mov_b32 s0, -1
                                        ; implicit-def: $vgpr5
	s_branch .LBB96_212
.LBB96_208:
	s_mov_b32 s0, -1
                                        ; implicit-def: $vgpr5
.LBB96_209:
	s_delay_alu instid0(SALU_CYCLE_1)
	s_and_not1_b32 vcc_lo, exec_lo, s0
	s_cbranch_vccnz .LBB96_211
; %bb.210:
	global_load_b32 v5, v[0:1], off
	s_waitcnt vmcnt(0)
	v_cvt_f16_f32_e32 v5, v5
.LBB96_211:
	s_mov_b32 s0, 0
.LBB96_212:
	s_delay_alu instid0(SALU_CYCLE_1)
	s_and_not1_b32 vcc_lo, exec_lo, s0
	s_cbranch_vccnz .LBB96_214
; %bb.213:
	global_load_b32 v5, v[0:1], off
.LBB96_214:
	s_mov_b32 s0, 0
.LBB96_215:
	s_delay_alu instid0(SALU_CYCLE_1)
	s_and_not1_b32 vcc_lo, exec_lo, s0
	s_cbranch_vccnz .LBB96_226
; %bb.216:
	v_cmp_gt_i16_e32 vcc_lo, 6, v4
	s_cbranch_vccnz .LBB96_219
; %bb.217:
	v_cmp_lt_i16_e32 vcc_lo, 6, v4
	s_cbranch_vccz .LBB96_220
; %bb.218:
	global_load_b64 v[5:6], v[0:1], off
	s_mov_b32 s0, 0
	s_waitcnt vmcnt(0)
	v_cvt_f32_f64_e32 v5, v[5:6]
	s_delay_alu instid0(VALU_DEP_1)
	v_cvt_f16_f32_e32 v5, v5
	s_branch .LBB96_221
.LBB96_219:
	s_mov_b32 s0, -1
                                        ; implicit-def: $vgpr5
	s_branch .LBB96_224
.LBB96_220:
	s_mov_b32 s0, -1
                                        ; implicit-def: $vgpr5
.LBB96_221:
	s_delay_alu instid0(SALU_CYCLE_1)
	s_and_not1_b32 vcc_lo, exec_lo, s0
	s_cbranch_vccnz .LBB96_223
; %bb.222:
	global_load_b32 v5, v[0:1], off
	s_waitcnt vmcnt(0)
	v_cvt_f16_f32_e32 v5, v5
.LBB96_223:
	s_mov_b32 s0, 0
.LBB96_224:
	s_delay_alu instid0(SALU_CYCLE_1)
	s_and_not1_b32 vcc_lo, exec_lo, s0
	s_cbranch_vccnz .LBB96_226
; %bb.225:
	global_load_u16 v5, v[0:1], off
.LBB96_226:
	s_cbranch_execnz .LBB96_246
.LBB96_227:
	v_cmp_gt_i16_e32 vcc_lo, 2, v4
	s_cbranch_vccnz .LBB96_231
; %bb.228:
	v_cmp_gt_i16_e32 vcc_lo, 3, v4
	s_cbranch_vccnz .LBB96_232
; %bb.229:
	v_cmp_lt_i16_e32 vcc_lo, 3, v4
	s_cbranch_vccz .LBB96_233
; %bb.230:
	global_load_b64 v[5:6], v[0:1], off
	s_mov_b32 s0, 0
	s_waitcnt vmcnt(0)
	v_xor_b32_e32 v7, v5, v6
	v_cls_i32_e32 v8, v6
	s_delay_alu instid0(VALU_DEP_2) | instskip(NEXT) | instid1(VALU_DEP_2)
	v_ashrrev_i32_e32 v7, 31, v7
	v_add_nc_u32_e32 v8, -1, v8
	s_delay_alu instid0(VALU_DEP_2) | instskip(NEXT) | instid1(VALU_DEP_1)
	v_add_nc_u32_e32 v7, 32, v7
	v_min_u32_e32 v7, v8, v7
	s_delay_alu instid0(VALU_DEP_1) | instskip(NEXT) | instid1(VALU_DEP_1)
	v_lshlrev_b64 v[5:6], v7, v[5:6]
	v_min_u32_e32 v5, 1, v5
	s_delay_alu instid0(VALU_DEP_1) | instskip(SKIP_1) | instid1(VALU_DEP_2)
	v_or_b32_e32 v5, v6, v5
	v_sub_nc_u32_e32 v6, 32, v7
	v_cvt_f32_i32_e32 v5, v5
	s_delay_alu instid0(VALU_DEP_1) | instskip(NEXT) | instid1(VALU_DEP_1)
	v_ldexp_f32 v5, v5, v6
	v_cvt_f16_f32_e32 v5, v5
	s_branch .LBB96_234
.LBB96_231:
	s_mov_b32 s0, -1
                                        ; implicit-def: $vgpr5
	s_branch .LBB96_240
.LBB96_232:
	s_mov_b32 s0, -1
                                        ; implicit-def: $vgpr5
	s_branch .LBB96_237
.LBB96_233:
	s_mov_b32 s0, -1
                                        ; implicit-def: $vgpr5
.LBB96_234:
	s_delay_alu instid0(SALU_CYCLE_1)
	s_and_not1_b32 vcc_lo, exec_lo, s0
	s_cbranch_vccnz .LBB96_236
; %bb.235:
	global_load_b32 v5, v[0:1], off
	s_waitcnt vmcnt(0)
	v_cvt_f32_i32_e32 v5, v5
	s_delay_alu instid0(VALU_DEP_1)
	v_cvt_f16_f32_e32 v5, v5
.LBB96_236:
	s_mov_b32 s0, 0
.LBB96_237:
	s_delay_alu instid0(SALU_CYCLE_1)
	s_and_not1_b32 vcc_lo, exec_lo, s0
	s_cbranch_vccnz .LBB96_239
; %bb.238:
	global_load_u16 v5, v[0:1], off
	s_waitcnt vmcnt(0)
	v_cvt_f16_i16_e32 v5, v5
.LBB96_239:
	s_mov_b32 s0, 0
.LBB96_240:
	s_delay_alu instid0(SALU_CYCLE_1)
	s_and_not1_b32 vcc_lo, exec_lo, s0
	s_cbranch_vccnz .LBB96_246
; %bb.241:
	v_cmp_lt_i16_e32 vcc_lo, 0, v4
	s_mov_b32 s0, 0
	s_cbranch_vccz .LBB96_243
; %bb.242:
	global_load_i8 v5, v[0:1], off
	s_waitcnt vmcnt(0)
	v_cvt_f16_i16_e32 v5, v5
	s_branch .LBB96_244
.LBB96_243:
	s_mov_b32 s0, -1
                                        ; implicit-def: $vgpr5
.LBB96_244:
	s_delay_alu instid0(SALU_CYCLE_1)
	s_and_not1_b32 vcc_lo, exec_lo, s0
	s_cbranch_vccnz .LBB96_246
; %bb.245:
	global_load_u8 v0, v[0:1], off
	s_waitcnt vmcnt(0)
	v_cvt_f16_u16_e32 v5, v0
.LBB96_246:
	s_branch .LBB96_11
.LBB96_247:
	s_mov_b32 s9, 0
.LBB96_248:
	s_mov_b32 s0, 0
                                        ; implicit-def: $vgpr3
.LBB96_249:
	s_and_b32 s9, s9, exec_lo
	s_and_b32 s11, s11, exec_lo
	s_or_not1_b32 s15, s0, exec_lo
.LBB96_250:
	s_or_b32 exec_lo, exec_lo, s12
	s_mov_b32 s14, 0
	s_mov_b32 s0, 0
                                        ; implicit-def: $vgpr0_vgpr1
                                        ; implicit-def: $vgpr6
	s_and_saveexec_b32 s12, s15
	s_cbranch_execz .LBB96_854
; %bb.251:
	s_mov_b32 s17, -1
	s_mov_b32 s13, s11
	s_mov_b32 s14, s9
	s_mov_b32 s15, exec_lo
	v_cmpx_gt_i32_e64 s10, v3
	s_cbranch_execz .LBB96_507
; %bb.252:
	v_mul_lo_u32 v0, v3, s3
	v_cmp_gt_i16_e32 vcc_lo, 11, v4
	s_delay_alu instid0(VALU_DEP_2) | instskip(SKIP_1) | instid1(VALU_DEP_1)
	v_ashrrev_i32_e32 v1, 31, v0
	v_add_co_u32 v0, s0, s6, v0
	v_add_co_ci_u32_e64 v1, s0, s7, v1, s0
	s_cbranch_vccnz .LBB96_259
; %bb.253:
	v_cmp_lt_i16_e32 vcc_lo, 25, v4
	s_cbranch_vccz .LBB96_308
; %bb.254:
	v_cmp_lt_i16_e32 vcc_lo, 28, v4
	s_cbranch_vccz .LBB96_309
; %bb.255:
	v_cmp_lt_i16_e32 vcc_lo, 43, v4
	s_cbranch_vccz .LBB96_311
; %bb.256:
	v_cmp_lt_i16_e32 vcc_lo, 45, v4
	s_cbranch_vccz .LBB96_313
; %bb.257:
	v_cmp_eq_u16_e32 vcc_lo, 46, v4
	s_mov_b32 s14, 0
	s_cbranch_vccz .LBB96_317
; %bb.258:
	global_load_b32 v5, v[0:1], off
	s_mov_b32 s0, -1
	s_mov_b32 s13, 0
	s_waitcnt vmcnt(0)
	v_lshlrev_b32_e32 v5, 16, v5
	s_delay_alu instid0(VALU_DEP_1)
	v_cvt_f16_f32_e32 v5, v5
	s_branch .LBB96_319
.LBB96_259:
	s_mov_b32 s0, 0
	s_mov_b32 s13, s11
                                        ; implicit-def: $vgpr5
	s_cbranch_execnz .LBB96_456
.LBB96_260:
	s_and_not1_b32 vcc_lo, exec_lo, s0
	s_cbranch_vccnz .LBB96_504
.LBB96_261:
	s_waitcnt vmcnt(0)
	s_delay_alu instid0(VALU_DEP_1) | instskip(SKIP_3) | instid1(VALU_DEP_1)
	v_cvt_f32_f16_e32 v0, v5
	s_mov_b32 s0, 0x3fb8aa3b
	s_mov_b32 s14, 0
	s_mov_b32 s16, -1
	v_mul_f32_e32 v1, 0x3fb8aa3b, v0
	v_cmp_ngt_f32_e32 vcc_lo, 0xc2ce8ed0, v0
	s_delay_alu instid0(VALU_DEP_2) | instskip(SKIP_2) | instid1(VALU_DEP_2)
	v_rndne_f32_e32 v6, v1
	v_fma_mix_f32 v7, v5, s0, -v1 op_sel_hi:[1,0,0]
	s_mov_b32 s0, 0x32a5705f
	v_sub_f32_e32 v1, v1, v6
	s_delay_alu instid0(VALU_DEP_2) | instskip(SKIP_2) | instid1(VALU_DEP_3)
	v_fma_mix_f32 v5, v5, s0, v7 op_sel_hi:[1,0,0]
	v_mul_lo_u32 v7, v3, s2
	v_cmp_nlt_f32_e64 s0, 0x42b17218, v0
	v_add_f32_e32 v1, v1, v5
	v_cvt_i32_f32_e32 v5, v6
	v_and_b32_e32 v6, 0xff, v2
	s_delay_alu instid0(VALU_DEP_3) | instskip(SKIP_3) | instid1(VALU_DEP_2)
	v_exp_f32_e32 v1, v1
	s_waitcnt_depctr 0xfff
	v_ldexp_f32 v1, v1, v5
	v_ashrrev_i32_e32 v5, 31, v7
	v_cndmask_b32_e32 v1, 0, v1, vcc_lo
	v_cmp_gt_i16_e32 vcc_lo, 11, v6
	s_delay_alu instid0(VALU_DEP_2) | instskip(SKIP_1) | instid1(VALU_DEP_1)
	v_cndmask_b32_e64 v8, 0x7f800000, v1, s0
	v_add_co_u32 v0, s0, s4, v7
	v_add_co_ci_u32_e64 v1, s0, s5, v5, s0
	s_delay_alu instid0(VALU_DEP_3)
	v_cvt_f16_f32_e32 v5, v8
	s_mov_b32 s0, s9
	s_cbranch_vccnz .LBB96_268
; %bb.262:
	v_cmp_lt_i16_e32 vcc_lo, 25, v6
	s_cbranch_vccz .LBB96_310
; %bb.263:
	v_cmp_lt_i16_e32 vcc_lo, 28, v6
	s_cbranch_vccz .LBB96_312
	;; [unrolled: 3-line block ×4, first 2 shown]
; %bb.266:
	v_cmp_eq_u16_e32 vcc_lo, 46, v6
	s_mov_b32 s16, 0
	s_mov_b32 s0, -1
	s_cbranch_vccz .LBB96_323
; %bb.267:
	v_cvt_f32_f16_e32 v7, v5
	v_cmp_o_f16_e32 vcc_lo, v5, v5
	s_mov_b32 s14, -1
	s_mov_b32 s0, 0
	s_delay_alu instid0(VALU_DEP_2) | instskip(NEXT) | instid1(VALU_DEP_1)
	v_bfe_u32 v8, v7, 16, 1
	v_add3_u32 v7, v7, v8, 0x7fff
	s_delay_alu instid0(VALU_DEP_1) | instskip(NEXT) | instid1(VALU_DEP_1)
	v_lshrrev_b32_e32 v7, 16, v7
	v_cndmask_b32_e32 v7, 0x7fc0, v7, vcc_lo
	global_store_b32 v[0:1], v7, off
	s_branch .LBB96_323
.LBB96_268:
	s_and_b32 vcc_lo, exec_lo, s16
	s_cbranch_vccz .LBB96_392
; %bb.269:
	v_cmp_gt_i16_e32 vcc_lo, 5, v6
	s_mov_b32 s14, -1
	s_cbranch_vccnz .LBB96_290
; %bb.270:
	v_cmp_gt_i16_e32 vcc_lo, 8, v6
	s_cbranch_vccnz .LBB96_280
; %bb.271:
	v_cmp_gt_i16_e32 vcc_lo, 9, v6
	s_cbranch_vccnz .LBB96_277
; %bb.272:
	v_cmp_lt_i16_e32 vcc_lo, 9, v6
	s_cbranch_vccz .LBB96_274
; %bb.273:
	v_cvt_f32_f16_e32 v7, v5
	v_mov_b32_e32 v9, 0
	s_mov_b32 s14, 0
	s_delay_alu instid0(VALU_DEP_2) | instskip(NEXT) | instid1(VALU_DEP_2)
	v_cvt_f64_f32_e32 v[7:8], v7
	v_mov_b32_e32 v10, v9
	global_store_b128 v[0:1], v[7:10], off
.LBB96_274:
	s_and_not1_b32 vcc_lo, exec_lo, s14
	s_cbranch_vccnz .LBB96_276
; %bb.275:
	v_cvt_f32_f16_e32 v7, v5
	v_mov_b32_e32 v8, 0
	global_store_b64 v[0:1], v[7:8], off
.LBB96_276:
	s_mov_b32 s14, 0
.LBB96_277:
	s_delay_alu instid0(SALU_CYCLE_1)
	s_and_not1_b32 vcc_lo, exec_lo, s14
	s_cbranch_vccnz .LBB96_279
; %bb.278:
	v_and_b32_e32 v7, 0xffff, v5
	global_store_b32 v[0:1], v7, off
.LBB96_279:
	s_mov_b32 s14, 0
.LBB96_280:
	s_delay_alu instid0(SALU_CYCLE_1)
	s_and_not1_b32 vcc_lo, exec_lo, s14
	s_cbranch_vccnz .LBB96_289
; %bb.281:
	v_cmp_gt_i16_e32 vcc_lo, 6, v6
	s_mov_b32 s14, -1
	s_cbranch_vccnz .LBB96_287
; %bb.282:
	v_cmp_lt_i16_e32 vcc_lo, 6, v6
	s_cbranch_vccz .LBB96_284
; %bb.283:
	v_cvt_f32_f16_e32 v7, v5
	s_mov_b32 s14, 0
	s_delay_alu instid0(VALU_DEP_1)
	v_cvt_f64_f32_e32 v[7:8], v7
	global_store_b64 v[0:1], v[7:8], off
.LBB96_284:
	s_and_not1_b32 vcc_lo, exec_lo, s14
	s_cbranch_vccnz .LBB96_286
; %bb.285:
	v_cvt_f32_f16_e32 v7, v5
	global_store_b32 v[0:1], v7, off
.LBB96_286:
	s_mov_b32 s14, 0
.LBB96_287:
	s_delay_alu instid0(SALU_CYCLE_1)
	s_and_not1_b32 vcc_lo, exec_lo, s14
	s_cbranch_vccnz .LBB96_289
; %bb.288:
	global_store_b16 v[0:1], v5, off
.LBB96_289:
	s_mov_b32 s14, 0
.LBB96_290:
	s_delay_alu instid0(SALU_CYCLE_1)
	s_and_not1_b32 vcc_lo, exec_lo, s14
	s_cbranch_vccnz .LBB96_306
; %bb.291:
	v_cmp_gt_i16_e32 vcc_lo, 2, v6
	s_mov_b32 s14, -1
	s_cbranch_vccnz .LBB96_301
; %bb.292:
	v_cmp_gt_i16_e32 vcc_lo, 3, v6
	s_cbranch_vccnz .LBB96_298
; %bb.293:
	v_cmp_lt_i16_e32 vcc_lo, 3, v6
	s_cbranch_vccz .LBB96_295
; %bb.294:
	v_cvt_f32_f16_e32 v7, v5
	s_mov_b32 s14, 0
	s_delay_alu instid0(VALU_DEP_1) | instskip(NEXT) | instid1(VALU_DEP_1)
	v_cvt_i32_f32_e32 v7, v7
	v_ashrrev_i32_e32 v8, 31, v7
	global_store_b64 v[0:1], v[7:8], off
.LBB96_295:
	s_and_not1_b32 vcc_lo, exec_lo, s14
	s_cbranch_vccnz .LBB96_297
; %bb.296:
	v_cvt_f32_f16_e32 v7, v5
	s_delay_alu instid0(VALU_DEP_1)
	v_cvt_i32_f32_e32 v7, v7
	global_store_b32 v[0:1], v7, off
.LBB96_297:
	s_mov_b32 s14, 0
.LBB96_298:
	s_delay_alu instid0(SALU_CYCLE_1)
	s_and_not1_b32 vcc_lo, exec_lo, s14
	s_cbranch_vccnz .LBB96_300
; %bb.299:
	v_cvt_i16_f16_e32 v7, v5
	global_store_b16 v[0:1], v7, off
.LBB96_300:
	s_mov_b32 s14, 0
.LBB96_301:
	s_delay_alu instid0(SALU_CYCLE_1)
	s_and_not1_b32 vcc_lo, exec_lo, s14
	s_cbranch_vccnz .LBB96_306
; %bb.302:
	v_cmp_lt_i16_e32 vcc_lo, 0, v6
	s_mov_b32 s14, -1
	s_cbranch_vccz .LBB96_304
; %bb.303:
	v_cvt_i16_f16_e32 v6, v5
	s_mov_b32 s14, 0
	global_store_b8 v[0:1], v6, off
.LBB96_304:
	s_and_not1_b32 vcc_lo, exec_lo, s14
	s_cbranch_vccnz .LBB96_306
; %bb.305:
	v_cvt_f32_f16_e32 v5, v5
	s_delay_alu instid0(VALU_DEP_1)
	v_cvt_i32_f32_e32 v5, v5
	global_store_b8 v[0:1], v5, off
.LBB96_306:
	s_branch .LBB96_393
.LBB96_307:
	s_mov_b32 s16, 0
	s_branch .LBB96_505
.LBB96_308:
	s_mov_b32 s14, -1
	s_mov_b32 s0, 0
	s_mov_b32 s13, s11
                                        ; implicit-def: $vgpr5
	s_branch .LBB96_420
.LBB96_309:
	s_mov_b32 s14, -1
	s_mov_b32 s0, 0
	s_mov_b32 s13, s11
                                        ; implicit-def: $vgpr5
	s_branch .LBB96_401
.LBB96_310:
	s_mov_b32 s0, s9
	s_branch .LBB96_350
.LBB96_311:
	s_mov_b32 s14, -1
	s_mov_b32 s0, 0
	s_mov_b32 s13, s11
                                        ; implicit-def: $vgpr5
	s_branch .LBB96_396
.LBB96_312:
	s_mov_b32 s0, s9
	s_branch .LBB96_333
.LBB96_313:
	s_mov_b32 s14, -1
	s_mov_b32 s0, 0
	s_mov_b32 s13, s11
	s_branch .LBB96_318
.LBB96_314:
	s_mov_b32 s0, s9
	s_branch .LBB96_329
.LBB96_315:
	s_or_saveexec_b32 s15, s15
                                        ; implicit-def: $sgpr16
	s_delay_alu instid0(SALU_CYCLE_1)
	s_xor_b32 exec_lo, exec_lo, s15
	s_cbranch_execz .LBB96_52
.LBB96_316:
	v_add_f32_e64 v8, 0x42800000, |v7|
	s_and_not1_b32 s14, s14, exec_lo
	s_mov_b32 s16, 0
	s_delay_alu instid0(VALU_DEP_1) | instskip(NEXT) | instid1(VALU_DEP_1)
	v_and_b32_e32 v8, 0xff, v8
	v_cmp_ne_u32_e32 vcc_lo, 0, v8
	s_and_b32 s17, vcc_lo, exec_lo
	s_delay_alu instid0(SALU_CYCLE_1)
	s_or_b32 s14, s14, s17
	s_or_b32 exec_lo, exec_lo, s15
	v_mov_b32_e32 v9, s16
	s_and_saveexec_b32 s15, s14
	s_cbranch_execnz .LBB96_53
	s_branch .LBB96_54
.LBB96_317:
	s_mov_b32 s13, -1
	s_mov_b32 s0, 0
.LBB96_318:
                                        ; implicit-def: $vgpr5
.LBB96_319:
	s_and_b32 vcc_lo, exec_lo, s14
	s_cbranch_vccz .LBB96_395
; %bb.320:
	v_cmp_eq_u16_e32 vcc_lo, 44, v4
	s_cbranch_vccz .LBB96_394
; %bb.321:
	global_load_u8 v5, v[0:1], off
	s_mov_b32 s13, 0
	s_mov_b32 s0, -1
	s_waitcnt vmcnt(0)
	v_lshlrev_b32_e32 v6, 23, v5
	v_cmp_ne_u32_e32 vcc_lo, 0xff, v5
	s_delay_alu instid0(VALU_DEP_2) | instskip(NEXT) | instid1(VALU_DEP_1)
	v_cvt_f16_f32_e32 v6, v6
	v_cndmask_b32_e32 v6, 0x7e00, v6, vcc_lo
	v_cmp_ne_u32_e32 vcc_lo, 0, v5
	s_delay_alu instid0(VALU_DEP_2)
	v_cndmask_b32_e32 v5, 0, v6, vcc_lo
	s_branch .LBB96_395
.LBB96_322:
	s_mov_b32 s0, s9
.LBB96_323:
	s_and_b32 vcc_lo, exec_lo, s16
	s_cbranch_vccz .LBB96_328
; %bb.324:
	v_cmp_eq_u16_e32 vcc_lo, 44, v6
	s_mov_b32 s0, -1
	s_cbranch_vccz .LBB96_328
; %bb.325:
	v_cvt_f32_f16_e32 v7, v5
	v_mov_b32_e32 v8, 0xff
	s_mov_b32 s14, exec_lo
	s_delay_alu instid0(VALU_DEP_2) | instskip(NEXT) | instid1(VALU_DEP_1)
	v_bfe_u32 v9, v7, 23, 8
	v_cmpx_ne_u32_e32 0xff, v9
; %bb.326:
	v_and_b32_e32 v8, 0x400000, v7
	v_and_or_b32 v9, 0x3fffff, v7, v9
	v_lshrrev_b32_e32 v7, 23, v7
	s_delay_alu instid0(VALU_DEP_3) | instskip(NEXT) | instid1(VALU_DEP_3)
	v_cmp_ne_u32_e32 vcc_lo, 0, v8
	v_cmp_ne_u32_e64 s0, 0, v9
	s_delay_alu instid0(VALU_DEP_1) | instskip(NEXT) | instid1(SALU_CYCLE_1)
	s_and_b32 s0, vcc_lo, s0
	v_cndmask_b32_e64 v8, 0, 1, s0
	s_delay_alu instid0(VALU_DEP_1)
	v_add_nc_u32_e32 v8, v7, v8
; %bb.327:
	s_or_b32 exec_lo, exec_lo, s14
	s_mov_b32 s14, -1
	s_mov_b32 s0, 0
	global_store_b8 v[0:1], v8, off
.LBB96_328:
	s_mov_b32 s16, 0
.LBB96_329:
	s_delay_alu instid0(SALU_CYCLE_1)
	s_and_b32 vcc_lo, exec_lo, s16
	s_cbranch_vccz .LBB96_332
; %bb.330:
	v_cmp_eq_u16_e32 vcc_lo, 29, v6
	s_mov_b32 s0, -1
	s_cbranch_vccz .LBB96_332
; %bb.331:
	v_cvt_f32_f16_e32 v7, v5
	v_mov_b32_e32 v8, 0
	s_mov_b32 s0, 0
	s_mov_b32 s14, -1
	s_mov_b32 s16, 0
	v_cvt_u32_f32_e32 v7, v7
	global_store_b64 v[0:1], v[7:8], off
	s_branch .LBB96_333
.LBB96_332:
	s_mov_b32 s16, 0
.LBB96_333:
	s_delay_alu instid0(SALU_CYCLE_1)
	s_and_b32 vcc_lo, exec_lo, s16
	s_cbranch_vccz .LBB96_349
; %bb.334:
	v_cmp_gt_i16_e32 vcc_lo, 27, v6
	s_mov_b32 s14, -1
	s_cbranch_vccnz .LBB96_340
; %bb.335:
	v_cmp_lt_i16_e32 vcc_lo, 27, v6
	s_cbranch_vccz .LBB96_337
; %bb.336:
	v_cvt_f32_f16_e32 v7, v5
	s_mov_b32 s14, 0
	s_delay_alu instid0(VALU_DEP_1)
	v_cvt_u32_f32_e32 v7, v7
	global_store_b32 v[0:1], v7, off
.LBB96_337:
	s_and_not1_b32 vcc_lo, exec_lo, s14
	s_cbranch_vccnz .LBB96_339
; %bb.338:
	v_cvt_u16_f16_e32 v7, v5
	global_store_b16 v[0:1], v7, off
.LBB96_339:
	s_mov_b32 s14, 0
.LBB96_340:
	s_delay_alu instid0(SALU_CYCLE_1)
	s_and_not1_b32 vcc_lo, exec_lo, s14
	s_cbranch_vccnz .LBB96_348
; %bb.341:
	v_cvt_f32_f16_e32 v7, v5
	v_mov_b32_e32 v9, 0x80
	s_mov_b32 s14, exec_lo
	s_delay_alu instid0(VALU_DEP_2) | instskip(NEXT) | instid1(VALU_DEP_1)
	v_and_b32_e32 v8, 0x7fffffff, v7
	v_cmpx_gt_u32_e32 0x43800000, v8
	s_cbranch_execz .LBB96_347
; %bb.342:
	v_cmp_lt_u32_e32 vcc_lo, 0x3bffffff, v8
	s_mov_b32 s16, 0
                                        ; implicit-def: $vgpr8
	s_and_saveexec_b32 s17, vcc_lo
	s_delay_alu instid0(SALU_CYCLE_1)
	s_xor_b32 s17, exec_lo, s17
	s_cbranch_execz .LBB96_520
; %bb.343:
	v_bfe_u32 v8, v7, 20, 1
	s_mov_b32 s16, exec_lo
	s_delay_alu instid0(VALU_DEP_1) | instskip(NEXT) | instid1(VALU_DEP_1)
	v_add3_u32 v8, v7, v8, 0x487ffff
	v_lshrrev_b32_e32 v8, 20, v8
	s_or_saveexec_b32 s17, s17
                                        ; implicit-def: $sgpr18
	s_delay_alu instid0(SALU_CYCLE_1)
	s_xor_b32 exec_lo, exec_lo, s17
	s_cbranch_execnz .LBB96_521
.LBB96_344:
	s_or_b32 exec_lo, exec_lo, s17
	v_mov_b32_e32 v9, s18
	s_and_saveexec_b32 s17, s16
.LBB96_345:
	v_lshrrev_b32_e32 v7, 24, v7
	s_delay_alu instid0(VALU_DEP_1)
	v_and_or_b32 v9, 0x80, v7, v8
.LBB96_346:
	s_or_b32 exec_lo, exec_lo, s17
.LBB96_347:
	s_delay_alu instid0(SALU_CYCLE_1)
	s_or_b32 exec_lo, exec_lo, s14
	global_store_b8 v[0:1], v9, off
.LBB96_348:
	s_mov_b32 s14, -1
.LBB96_349:
	s_mov_b32 s16, 0
.LBB96_350:
	s_delay_alu instid0(SALU_CYCLE_1)
	s_and_b32 vcc_lo, exec_lo, s16
	s_cbranch_vccz .LBB96_391
; %bb.351:
	v_cmp_lt_i16_e32 vcc_lo, 22, v6
	s_mov_b32 s16, -1
	s_cbranch_vccz .LBB96_383
; %bb.352:
	v_cmp_gt_i16_e32 vcc_lo, 24, v6
	s_mov_b32 s14, -1
	s_cbranch_vccnz .LBB96_372
; %bb.353:
	v_cmp_lt_i16_e32 vcc_lo, 24, v6
	s_cbranch_vccz .LBB96_361
; %bb.354:
	v_cvt_f32_f16_e32 v7, v5
	v_mov_b32_e32 v9, 0x80
	s_mov_b32 s14, exec_lo
	s_delay_alu instid0(VALU_DEP_2) | instskip(NEXT) | instid1(VALU_DEP_1)
	v_and_b32_e32 v8, 0x7fffffff, v7
	v_cmpx_gt_u32_e32 0x47800000, v8
	s_cbranch_execz .LBB96_360
; %bb.355:
	v_cmp_lt_u32_e32 vcc_lo, 0x37ffffff, v8
	s_mov_b32 s16, 0
                                        ; implicit-def: $vgpr8
	s_and_saveexec_b32 s17, vcc_lo
	s_delay_alu instid0(SALU_CYCLE_1)
	s_xor_b32 s17, exec_lo, s17
	s_cbranch_execz .LBB96_523
; %bb.356:
	v_bfe_u32 v8, v7, 21, 1
	s_mov_b32 s16, exec_lo
	s_delay_alu instid0(VALU_DEP_1) | instskip(NEXT) | instid1(VALU_DEP_1)
	v_add3_u32 v8, v7, v8, 0x88fffff
	v_lshrrev_b32_e32 v8, 21, v8
	s_or_saveexec_b32 s17, s17
                                        ; implicit-def: $sgpr18
	s_delay_alu instid0(SALU_CYCLE_1)
	s_xor_b32 exec_lo, exec_lo, s17
	s_cbranch_execnz .LBB96_524
.LBB96_357:
	s_or_b32 exec_lo, exec_lo, s17
	v_mov_b32_e32 v9, s18
	s_and_saveexec_b32 s17, s16
.LBB96_358:
	v_lshrrev_b32_e32 v7, 24, v7
	s_delay_alu instid0(VALU_DEP_1)
	v_and_or_b32 v9, 0x80, v7, v8
.LBB96_359:
	s_or_b32 exec_lo, exec_lo, s17
.LBB96_360:
	s_delay_alu instid0(SALU_CYCLE_1)
	s_or_b32 exec_lo, exec_lo, s14
	s_mov_b32 s14, 0
	global_store_b8 v[0:1], v9, off
.LBB96_361:
	s_and_b32 vcc_lo, exec_lo, s14
	s_cbranch_vccz .LBB96_371
; %bb.362:
	v_cvt_f32_f16_e32 v7, v5
	s_mov_b32 s14, exec_lo
                                        ; implicit-def: $vgpr8
	s_delay_alu instid0(VALU_DEP_1) | instskip(NEXT) | instid1(VALU_DEP_1)
	v_and_b32_e32 v9, 0x7fffffff, v7
	v_cmpx_gt_u32_e32 0x43f00000, v9
	s_xor_b32 s14, exec_lo, s14
	s_cbranch_execz .LBB96_368
; %bb.363:
	s_mov_b32 s16, exec_lo
                                        ; implicit-def: $vgpr8
	v_cmpx_lt_u32_e32 0x3c7fffff, v9
	s_xor_b32 s16, exec_lo, s16
; %bb.364:
	v_bfe_u32 v8, v7, 20, 1
	s_delay_alu instid0(VALU_DEP_1) | instskip(NEXT) | instid1(VALU_DEP_1)
	v_add3_u32 v8, v7, v8, 0x407ffff
	v_and_b32_e32 v9, 0xff00000, v8
	v_lshrrev_b32_e32 v8, 20, v8
	s_delay_alu instid0(VALU_DEP_2) | instskip(NEXT) | instid1(VALU_DEP_2)
	v_cmp_ne_u32_e32 vcc_lo, 0x7f00000, v9
	v_cndmask_b32_e32 v8, 0x7e, v8, vcc_lo
; %bb.365:
	s_and_not1_saveexec_b32 s16, s16
; %bb.366:
	v_add_f32_e64 v8, 0x46800000, |v7|
; %bb.367:
	s_or_b32 exec_lo, exec_lo, s16
                                        ; implicit-def: $vgpr9
.LBB96_368:
	s_and_not1_saveexec_b32 s14, s14
; %bb.369:
	v_mov_b32_e32 v8, 0x7f
	v_cmp_lt_u32_e32 vcc_lo, 0x7f800000, v9
	s_delay_alu instid0(VALU_DEP_2)
	v_cndmask_b32_e32 v8, 0x7e, v8, vcc_lo
; %bb.370:
	s_or_b32 exec_lo, exec_lo, s14
	v_lshrrev_b32_e32 v7, 24, v7
	s_delay_alu instid0(VALU_DEP_1)
	v_and_or_b32 v7, 0x80, v7, v8
	global_store_b8 v[0:1], v7, off
.LBB96_371:
	s_mov_b32 s14, 0
.LBB96_372:
	s_delay_alu instid0(SALU_CYCLE_1)
	s_and_not1_b32 vcc_lo, exec_lo, s14
	s_cbranch_vccnz .LBB96_382
; %bb.373:
	v_cvt_f32_f16_e32 v7, v5
	s_mov_b32 s14, exec_lo
                                        ; implicit-def: $vgpr8
	s_delay_alu instid0(VALU_DEP_1) | instskip(NEXT) | instid1(VALU_DEP_1)
	v_and_b32_e32 v9, 0x7fffffff, v7
	v_cmpx_gt_u32_e32 0x47800000, v9
	s_xor_b32 s14, exec_lo, s14
	s_cbranch_execz .LBB96_379
; %bb.374:
	s_mov_b32 s16, exec_lo
                                        ; implicit-def: $vgpr8
	v_cmpx_lt_u32_e32 0x387fffff, v9
	s_xor_b32 s16, exec_lo, s16
; %bb.375:
	v_bfe_u32 v8, v7, 21, 1
	s_delay_alu instid0(VALU_DEP_1) | instskip(NEXT) | instid1(VALU_DEP_1)
	v_add3_u32 v8, v7, v8, 0x80fffff
	v_lshrrev_b32_e32 v8, 21, v8
; %bb.376:
	s_and_not1_saveexec_b32 s16, s16
; %bb.377:
	v_add_f32_e64 v8, 0x43000000, |v7|
; %bb.378:
	s_or_b32 exec_lo, exec_lo, s16
                                        ; implicit-def: $vgpr9
.LBB96_379:
	s_and_not1_saveexec_b32 s14, s14
; %bb.380:
	v_mov_b32_e32 v8, 0x7f
	v_cmp_lt_u32_e32 vcc_lo, 0x7f800000, v9
	s_delay_alu instid0(VALU_DEP_2)
	v_cndmask_b32_e32 v8, 0x7c, v8, vcc_lo
; %bb.381:
	s_or_b32 exec_lo, exec_lo, s14
	v_lshrrev_b32_e32 v7, 24, v7
	s_delay_alu instid0(VALU_DEP_1)
	v_and_or_b32 v7, 0x80, v7, v8
	global_store_b8 v[0:1], v7, off
.LBB96_382:
	s_mov_b32 s16, 0
	s_mov_b32 s14, -1
.LBB96_383:
	s_and_not1_b32 vcc_lo, exec_lo, s16
	s_cbranch_vccnz .LBB96_391
; %bb.384:
	v_cmp_lt_i16_e32 vcc_lo, 14, v6
	s_mov_b32 s16, -1
	s_cbranch_vccz .LBB96_388
; %bb.385:
	v_cmp_eq_u16_e32 vcc_lo, 15, v6
	s_mov_b32 s0, -1
	s_cbranch_vccz .LBB96_387
; %bb.386:
	v_cvt_f32_f16_e32 v7, v5
	v_cmp_o_f16_e32 vcc_lo, v5, v5
	s_mov_b32 s14, -1
	s_mov_b32 s0, 0
	s_delay_alu instid0(VALU_DEP_2) | instskip(NEXT) | instid1(VALU_DEP_1)
	v_bfe_u32 v8, v7, 16, 1
	v_add3_u32 v7, v7, v8, 0x7fff
	s_delay_alu instid0(VALU_DEP_1) | instskip(NEXT) | instid1(VALU_DEP_1)
	v_lshrrev_b32_e32 v7, 16, v7
	v_cndmask_b32_e32 v7, 0x7fc0, v7, vcc_lo
	global_store_b16 v[0:1], v7, off
.LBB96_387:
	s_mov_b32 s16, 0
.LBB96_388:
	s_delay_alu instid0(SALU_CYCLE_1)
	s_and_b32 vcc_lo, exec_lo, s16
	s_cbranch_vccz .LBB96_391
; %bb.389:
	v_cmp_eq_u16_e32 vcc_lo, 11, v6
	s_mov_b32 s0, -1
	s_cbranch_vccz .LBB96_391
; %bb.390:
	v_cmp_neq_f16_e32 vcc_lo, 0, v5
	s_mov_b32 s0, 0
	s_mov_b32 s14, -1
	v_cndmask_b32_e64 v7, 0, 1, vcc_lo
	global_store_b8 v[0:1], v7, off
.LBB96_391:
.LBB96_392:
	s_and_not1_b32 vcc_lo, exec_lo, s14
	s_cbranch_vccnz .LBB96_307
.LBB96_393:
	v_add_nc_u32_e32 v3, 0x80, v3
	s_mov_b32 s16, -1
	s_branch .LBB96_506
.LBB96_394:
	s_mov_b32 s13, -1
                                        ; implicit-def: $vgpr5
.LBB96_395:
	s_mov_b32 s14, 0
.LBB96_396:
	s_delay_alu instid0(SALU_CYCLE_1)
	s_and_b32 vcc_lo, exec_lo, s14
	s_cbranch_vccz .LBB96_400
; %bb.397:
	v_cmp_eq_u16_e32 vcc_lo, 29, v4
	s_cbranch_vccz .LBB96_399
; %bb.398:
	global_load_b64 v[5:6], v[0:1], off
	s_mov_b32 s0, -1
	s_mov_b32 s13, 0
	s_mov_b32 s14, 0
	s_waitcnt vmcnt(0)
	v_clz_i32_u32_e32 v7, v6
	s_delay_alu instid0(VALU_DEP_1) | instskip(NEXT) | instid1(VALU_DEP_1)
	v_min_u32_e32 v7, 32, v7
	v_lshlrev_b64 v[5:6], v7, v[5:6]
	s_delay_alu instid0(VALU_DEP_1) | instskip(NEXT) | instid1(VALU_DEP_1)
	v_min_u32_e32 v5, 1, v5
	v_or_b32_e32 v5, v6, v5
	v_sub_nc_u32_e32 v6, 32, v7
	s_delay_alu instid0(VALU_DEP_2) | instskip(NEXT) | instid1(VALU_DEP_1)
	v_cvt_f32_u32_e32 v5, v5
	v_ldexp_f32 v5, v5, v6
	s_delay_alu instid0(VALU_DEP_1)
	v_cvt_f16_f32_e32 v5, v5
	s_branch .LBB96_401
.LBB96_399:
	s_mov_b32 s13, -1
                                        ; implicit-def: $vgpr5
.LBB96_400:
	s_mov_b32 s14, 0
.LBB96_401:
	s_delay_alu instid0(SALU_CYCLE_1)
	s_and_b32 vcc_lo, exec_lo, s14
	s_cbranch_vccz .LBB96_419
; %bb.402:
	v_cmp_gt_i16_e32 vcc_lo, 27, v4
	s_cbranch_vccnz .LBB96_405
; %bb.403:
	v_cmp_lt_i16_e32 vcc_lo, 27, v4
	s_cbranch_vccz .LBB96_406
; %bb.404:
	global_load_b32 v5, v[0:1], off
	s_mov_b32 s0, 0
	s_waitcnt vmcnt(0)
	v_cvt_f32_u32_e32 v5, v5
	s_delay_alu instid0(VALU_DEP_1)
	v_cvt_f16_f32_e32 v5, v5
	s_branch .LBB96_407
.LBB96_405:
	s_mov_b32 s0, -1
                                        ; implicit-def: $vgpr5
	s_branch .LBB96_410
.LBB96_406:
	s_mov_b32 s0, -1
                                        ; implicit-def: $vgpr5
.LBB96_407:
	s_delay_alu instid0(SALU_CYCLE_1)
	s_and_not1_b32 vcc_lo, exec_lo, s0
	s_cbranch_vccnz .LBB96_409
; %bb.408:
	global_load_u16 v5, v[0:1], off
	s_waitcnt vmcnt(0)
	v_cvt_f16_u16_e32 v5, v5
.LBB96_409:
	s_mov_b32 s0, 0
.LBB96_410:
	s_delay_alu instid0(SALU_CYCLE_1)
	s_and_not1_b32 vcc_lo, exec_lo, s0
	s_cbranch_vccnz .LBB96_418
; %bb.411:
	global_load_u8 v6, v[0:1], off
	s_mov_b32 s0, 0
	s_mov_b32 s16, exec_lo
                                        ; implicit-def: $sgpr14
	s_waitcnt vmcnt(0)
	v_cmpx_lt_i16_e32 0x7f, v6
	s_xor_b32 s16, exec_lo, s16
	s_cbranch_execz .LBB96_432
; %bb.412:
	s_mov_b32 s0, -1
	s_mov_b32 s17, exec_lo
                                        ; implicit-def: $sgpr14
	v_cmpx_eq_u16_e32 0x80, v6
; %bb.413:
	s_movk_i32 s14, 0x7e00
	s_xor_b32 s0, exec_lo, -1
; %bb.414:
	s_or_b32 exec_lo, exec_lo, s17
	s_delay_alu instid0(SALU_CYCLE_1)
	s_and_b32 s0, s0, exec_lo
	s_or_saveexec_b32 s16, s16
	v_mov_b32_e32 v5, s14
	s_xor_b32 exec_lo, exec_lo, s16
	s_cbranch_execnz .LBB96_433
.LBB96_415:
	s_or_b32 exec_lo, exec_lo, s16
	s_and_saveexec_b32 s14, s0
	s_cbranch_execz .LBB96_417
.LBB96_416:
	v_and_b32_e32 v5, 0xffff, v6
	s_delay_alu instid0(VALU_DEP_1) | instskip(NEXT) | instid1(VALU_DEP_1)
	v_and_b32_e32 v7, 7, v5
	v_clz_i32_u32_e32 v8, v7
	s_delay_alu instid0(VALU_DEP_1) | instskip(NEXT) | instid1(VALU_DEP_1)
	v_min_u32_e32 v8, 32, v8
	v_subrev_nc_u32_e32 v9, 28, v8
	v_sub_nc_u32_e32 v8, 29, v8
	s_delay_alu instid0(VALU_DEP_2) | instskip(SKIP_1) | instid1(VALU_DEP_2)
	v_lshlrev_b32_e32 v9, v9, v5
	v_bfe_u32 v5, v5, 3, 4
	v_and_b32_e32 v9, 7, v9
	s_delay_alu instid0(VALU_DEP_2) | instskip(SKIP_1) | instid1(VALU_DEP_1)
	v_cmp_eq_u32_e32 vcc_lo, 0, v5
	v_dual_cndmask_b32 v5, v5, v8 :: v_dual_lshlrev_b32 v6, 24, v6
	v_dual_cndmask_b32 v7, v7, v9 :: v_dual_and_b32 v6, 0x80000000, v6
	s_delay_alu instid0(VALU_DEP_2) | instskip(NEXT) | instid1(VALU_DEP_2)
	v_lshl_add_u32 v5, v5, 23, 0x3b800000
	v_lshlrev_b32_e32 v7, 20, v7
	s_delay_alu instid0(VALU_DEP_1) | instskip(NEXT) | instid1(VALU_DEP_1)
	v_or3_b32 v5, v6, v5, v7
	v_cvt_f16_f32_e32 v5, v5
.LBB96_417:
	s_or_b32 exec_lo, exec_lo, s14
.LBB96_418:
	s_mov_b32 s0, -1
.LBB96_419:
	s_mov_b32 s14, 0
.LBB96_420:
	s_delay_alu instid0(SALU_CYCLE_1)
	s_and_b32 vcc_lo, exec_lo, s14
	s_cbranch_vccz .LBB96_455
; %bb.421:
	v_cmp_lt_i16_e32 vcc_lo, 22, v4
	s_cbranch_vccz .LBB96_431
; %bb.422:
	v_cmp_gt_i16_e32 vcc_lo, 24, v4
	s_cbranch_vccnz .LBB96_434
; %bb.423:
	v_cmp_lt_i16_e32 vcc_lo, 24, v4
	s_cbranch_vccz .LBB96_435
; %bb.424:
	global_load_u8 v6, v[0:1], off
	s_mov_b32 s0, 0
	s_mov_b32 s16, exec_lo
                                        ; implicit-def: $sgpr14
	s_waitcnt vmcnt(0)
	v_cmpx_lt_i16_e32 0x7f, v6
	s_xor_b32 s16, exec_lo, s16
	s_cbranch_execz .LBB96_447
; %bb.425:
	s_mov_b32 s0, -1
	s_mov_b32 s17, exec_lo
                                        ; implicit-def: $sgpr14
	v_cmpx_eq_u16_e32 0x80, v6
; %bb.426:
	s_movk_i32 s14, 0x7e00
	s_xor_b32 s0, exec_lo, -1
; %bb.427:
	s_or_b32 exec_lo, exec_lo, s17
	s_delay_alu instid0(SALU_CYCLE_1)
	s_and_b32 s0, s0, exec_lo
	s_or_saveexec_b32 s16, s16
	v_mov_b32_e32 v5, s14
	s_xor_b32 exec_lo, exec_lo, s16
	s_cbranch_execnz .LBB96_448
.LBB96_428:
	s_or_b32 exec_lo, exec_lo, s16
	s_and_saveexec_b32 s14, s0
	s_cbranch_execz .LBB96_430
.LBB96_429:
	v_and_b32_e32 v5, 0xffff, v6
	s_delay_alu instid0(VALU_DEP_1) | instskip(NEXT) | instid1(VALU_DEP_1)
	v_and_b32_e32 v7, 3, v5
	v_clz_i32_u32_e32 v8, v7
	s_delay_alu instid0(VALU_DEP_1) | instskip(NEXT) | instid1(VALU_DEP_1)
	v_min_u32_e32 v8, 32, v8
	v_subrev_nc_u32_e32 v9, 29, v8
	v_sub_nc_u32_e32 v8, 30, v8
	s_delay_alu instid0(VALU_DEP_2) | instskip(SKIP_1) | instid1(VALU_DEP_2)
	v_lshlrev_b32_e32 v9, v9, v5
	v_bfe_u32 v5, v5, 2, 5
	v_and_b32_e32 v9, 3, v9
	s_delay_alu instid0(VALU_DEP_2) | instskip(SKIP_1) | instid1(VALU_DEP_1)
	v_cmp_eq_u32_e32 vcc_lo, 0, v5
	v_dual_cndmask_b32 v5, v5, v8 :: v_dual_lshlrev_b32 v6, 24, v6
	v_dual_cndmask_b32 v7, v7, v9 :: v_dual_and_b32 v6, 0x80000000, v6
	s_delay_alu instid0(VALU_DEP_2) | instskip(NEXT) | instid1(VALU_DEP_2)
	v_lshl_add_u32 v5, v5, 23, 0x37800000
	v_lshlrev_b32_e32 v7, 21, v7
	s_delay_alu instid0(VALU_DEP_1) | instskip(NEXT) | instid1(VALU_DEP_1)
	v_or3_b32 v5, v6, v5, v7
	v_cvt_f16_f32_e32 v5, v5
.LBB96_430:
	s_or_b32 exec_lo, exec_lo, s14
	s_mov_b32 s0, 0
	s_branch .LBB96_436
.LBB96_431:
	s_mov_b32 s14, -1
                                        ; implicit-def: $vgpr5
	s_branch .LBB96_442
.LBB96_432:
	s_or_saveexec_b32 s16, s16
	v_mov_b32_e32 v5, s14
	s_xor_b32 exec_lo, exec_lo, s16
	s_cbranch_execz .LBB96_415
.LBB96_433:
	v_cmp_ne_u16_e32 vcc_lo, 0, v6
	v_mov_b32_e32 v5, v6
	s_and_not1_b32 s0, s0, exec_lo
	s_and_b32 s14, vcc_lo, exec_lo
	s_delay_alu instid0(SALU_CYCLE_1)
	s_or_b32 s0, s0, s14
	s_or_b32 exec_lo, exec_lo, s16
	s_and_saveexec_b32 s14, s0
	s_cbranch_execnz .LBB96_416
	s_branch .LBB96_417
.LBB96_434:
	s_mov_b32 s0, -1
                                        ; implicit-def: $vgpr5
	s_branch .LBB96_439
.LBB96_435:
	s_mov_b32 s0, -1
                                        ; implicit-def: $vgpr5
.LBB96_436:
	s_delay_alu instid0(SALU_CYCLE_1)
	s_and_b32 vcc_lo, exec_lo, s0
	s_cbranch_vccz .LBB96_438
; %bb.437:
	global_load_u8 v5, v[0:1], off
	s_waitcnt vmcnt(0)
	v_lshlrev_b32_e32 v5, 24, v5
	s_delay_alu instid0(VALU_DEP_1) | instskip(NEXT) | instid1(VALU_DEP_1)
	v_and_b32_e32 v6, 0x7f000000, v5
	v_clz_i32_u32_e32 v7, v6
	v_add_nc_u32_e32 v9, 0x1000000, v6
	v_cmp_ne_u32_e32 vcc_lo, 0, v6
	s_delay_alu instid0(VALU_DEP_3) | instskip(NEXT) | instid1(VALU_DEP_1)
	v_min_u32_e32 v7, 32, v7
	v_sub_nc_u32_e64 v7, v7, 4 clamp
	s_delay_alu instid0(VALU_DEP_1) | instskip(SKIP_1) | instid1(VALU_DEP_2)
	v_lshlrev_b32_e32 v8, v7, v6
	v_lshlrev_b32_e32 v7, 23, v7
	v_lshrrev_b32_e32 v8, 4, v8
	s_delay_alu instid0(VALU_DEP_1) | instskip(SKIP_1) | instid1(VALU_DEP_2)
	v_sub_nc_u32_e32 v7, v8, v7
	v_ashrrev_i32_e32 v8, 8, v9
	v_add_nc_u32_e32 v7, 0x3c000000, v7
	s_delay_alu instid0(VALU_DEP_1) | instskip(NEXT) | instid1(VALU_DEP_1)
	v_and_or_b32 v7, 0x7f800000, v8, v7
	v_cndmask_b32_e32 v6, 0, v7, vcc_lo
	s_delay_alu instid0(VALU_DEP_1) | instskip(NEXT) | instid1(VALU_DEP_1)
	v_and_or_b32 v5, 0x80000000, v5, v6
	v_cvt_f16_f32_e32 v5, v5
.LBB96_438:
	s_mov_b32 s0, 0
.LBB96_439:
	s_delay_alu instid0(SALU_CYCLE_1)
	s_and_not1_b32 vcc_lo, exec_lo, s0
	s_cbranch_vccnz .LBB96_441
; %bb.440:
	global_load_u8 v5, v[0:1], off
	s_waitcnt vmcnt(0)
	v_lshlrev_b32_e32 v6, 25, v5
	v_lshlrev_b16 v5, 8, v5
	s_delay_alu instid0(VALU_DEP_2) | instskip(NEXT) | instid1(VALU_DEP_2)
	v_lshrrev_b32_e32 v7, 4, v6
	v_and_or_b32 v8, 0x7f00, v5, 0.5
	v_bfe_i32 v5, v5, 0, 16
	s_delay_alu instid0(VALU_DEP_3) | instskip(NEXT) | instid1(VALU_DEP_1)
	v_or_b32_e32 v7, 0x70000000, v7
	v_dual_add_f32 v8, -0.5, v8 :: v_dual_mul_f32 v7, 0x7800000, v7
	v_cmp_gt_u32_e32 vcc_lo, 0x8000000, v6
	s_delay_alu instid0(VALU_DEP_2) | instskip(NEXT) | instid1(VALU_DEP_1)
	v_cndmask_b32_e32 v6, v7, v8, vcc_lo
	v_and_or_b32 v5, 0x80000000, v5, v6
	s_delay_alu instid0(VALU_DEP_1)
	v_cvt_f16_f32_e32 v5, v5
.LBB96_441:
	s_mov_b32 s14, 0
	s_mov_b32 s0, -1
.LBB96_442:
	s_and_not1_b32 vcc_lo, exec_lo, s14
	s_cbranch_vccnz .LBB96_455
; %bb.443:
	v_cmp_lt_i16_e32 vcc_lo, 14, v4
	s_cbranch_vccz .LBB96_446
; %bb.444:
	v_cmp_eq_u16_e32 vcc_lo, 15, v4
	s_cbranch_vccz .LBB96_449
; %bb.445:
	global_load_u16 v5, v[0:1], off
	s_mov_b32 s0, -1
	s_mov_b32 s13, 0
	s_waitcnt vmcnt(0)
	v_lshlrev_b32_e32 v5, 16, v5
	s_delay_alu instid0(VALU_DEP_1)
	v_cvt_f16_f32_e32 v5, v5
	s_branch .LBB96_450
.LBB96_446:
	s_mov_b32 s14, -1
                                        ; implicit-def: $vgpr5
	s_branch .LBB96_451
.LBB96_447:
	s_or_saveexec_b32 s16, s16
	v_mov_b32_e32 v5, s14
	s_xor_b32 exec_lo, exec_lo, s16
	s_cbranch_execz .LBB96_428
.LBB96_448:
	v_cmp_ne_u16_e32 vcc_lo, 0, v6
	v_mov_b32_e32 v5, v6
	s_and_not1_b32 s0, s0, exec_lo
	s_and_b32 s14, vcc_lo, exec_lo
	s_delay_alu instid0(SALU_CYCLE_1)
	s_or_b32 s0, s0, s14
	s_or_b32 exec_lo, exec_lo, s16
	s_and_saveexec_b32 s14, s0
	s_cbranch_execnz .LBB96_429
	s_branch .LBB96_430
.LBB96_449:
	s_mov_b32 s13, -1
                                        ; implicit-def: $vgpr5
.LBB96_450:
	s_mov_b32 s14, 0
.LBB96_451:
	s_delay_alu instid0(SALU_CYCLE_1)
	s_and_b32 vcc_lo, exec_lo, s14
	s_cbranch_vccz .LBB96_455
; %bb.452:
	v_cmp_eq_u16_e32 vcc_lo, 11, v4
	s_cbranch_vccz .LBB96_454
; %bb.453:
	global_load_u8 v5, v[0:1], off
	s_mov_b32 s13, 0
	s_mov_b32 s0, -1
	s_waitcnt vmcnt(0)
	v_cmp_ne_u16_e32 vcc_lo, 0, v5
	v_cndmask_b32_e64 v5, 0, 0x3c00, vcc_lo
	s_branch .LBB96_455
.LBB96_454:
	s_mov_b32 s13, -1
                                        ; implicit-def: $vgpr5
.LBB96_455:
	s_branch .LBB96_260
.LBB96_456:
	v_cmp_gt_i16_e32 vcc_lo, 5, v4
	s_cbranch_vccnz .LBB96_461
; %bb.457:
	v_cmp_gt_i16_e32 vcc_lo, 8, v4
	s_cbranch_vccnz .LBB96_462
; %bb.458:
	v_cmp_gt_i16_e32 vcc_lo, 9, v4
	s_cbranch_vccnz .LBB96_463
; %bb.459:
	v_cmp_lt_i16_e32 vcc_lo, 9, v4
	s_cbranch_vccz .LBB96_464
; %bb.460:
	global_load_b64 v[5:6], v[0:1], off
	s_mov_b32 s0, 0
	s_waitcnt vmcnt(0)
	v_cvt_f32_f64_e32 v5, v[5:6]
	s_delay_alu instid0(VALU_DEP_1)
	v_cvt_f16_f32_e32 v5, v5
	s_branch .LBB96_465
.LBB96_461:
	s_mov_b32 s0, -1
                                        ; implicit-def: $vgpr5
	s_branch .LBB96_483
.LBB96_462:
	s_mov_b32 s0, -1
                                        ; implicit-def: $vgpr5
	s_branch .LBB96_471
.LBB96_463:
	s_mov_b32 s0, -1
                                        ; implicit-def: $vgpr5
	s_branch .LBB96_468
.LBB96_464:
	s_mov_b32 s0, -1
                                        ; implicit-def: $vgpr5
.LBB96_465:
	s_delay_alu instid0(SALU_CYCLE_1)
	s_and_not1_b32 vcc_lo, exec_lo, s0
	s_cbranch_vccnz .LBB96_467
; %bb.466:
	global_load_b32 v5, v[0:1], off
	s_waitcnt vmcnt(0)
	v_cvt_f16_f32_e32 v5, v5
.LBB96_467:
	s_mov_b32 s0, 0
.LBB96_468:
	s_delay_alu instid0(SALU_CYCLE_1)
	s_and_not1_b32 vcc_lo, exec_lo, s0
	s_cbranch_vccnz .LBB96_470
; %bb.469:
	global_load_b32 v5, v[0:1], off
.LBB96_470:
	s_mov_b32 s0, 0
.LBB96_471:
	s_delay_alu instid0(SALU_CYCLE_1)
	s_and_not1_b32 vcc_lo, exec_lo, s0
	s_cbranch_vccnz .LBB96_482
; %bb.472:
	v_cmp_gt_i16_e32 vcc_lo, 6, v4
	s_cbranch_vccnz .LBB96_475
; %bb.473:
	v_cmp_lt_i16_e32 vcc_lo, 6, v4
	s_cbranch_vccz .LBB96_476
; %bb.474:
	global_load_b64 v[5:6], v[0:1], off
	s_mov_b32 s0, 0
	s_waitcnt vmcnt(0)
	v_cvt_f32_f64_e32 v5, v[5:6]
	s_delay_alu instid0(VALU_DEP_1)
	v_cvt_f16_f32_e32 v5, v5
	s_branch .LBB96_477
.LBB96_475:
	s_mov_b32 s0, -1
                                        ; implicit-def: $vgpr5
	s_branch .LBB96_480
.LBB96_476:
	s_mov_b32 s0, -1
                                        ; implicit-def: $vgpr5
.LBB96_477:
	s_delay_alu instid0(SALU_CYCLE_1)
	s_and_not1_b32 vcc_lo, exec_lo, s0
	s_cbranch_vccnz .LBB96_479
; %bb.478:
	global_load_b32 v5, v[0:1], off
	s_waitcnt vmcnt(0)
	v_cvt_f16_f32_e32 v5, v5
.LBB96_479:
	s_mov_b32 s0, 0
.LBB96_480:
	s_delay_alu instid0(SALU_CYCLE_1)
	s_and_not1_b32 vcc_lo, exec_lo, s0
	s_cbranch_vccnz .LBB96_482
; %bb.481:
	global_load_u16 v5, v[0:1], off
.LBB96_482:
	s_mov_b32 s0, 0
.LBB96_483:
	s_delay_alu instid0(SALU_CYCLE_1)
	s_and_not1_b32 vcc_lo, exec_lo, s0
	s_cbranch_vccnz .LBB96_503
; %bb.484:
	v_cmp_gt_i16_e32 vcc_lo, 2, v4
	s_cbranch_vccnz .LBB96_488
; %bb.485:
	v_cmp_gt_i16_e32 vcc_lo, 3, v4
	s_cbranch_vccnz .LBB96_489
; %bb.486:
	v_cmp_lt_i16_e32 vcc_lo, 3, v4
	s_cbranch_vccz .LBB96_490
; %bb.487:
	global_load_b64 v[5:6], v[0:1], off
	s_mov_b32 s0, 0
	s_waitcnt vmcnt(0)
	v_xor_b32_e32 v7, v5, v6
	v_cls_i32_e32 v8, v6
	s_delay_alu instid0(VALU_DEP_2) | instskip(NEXT) | instid1(VALU_DEP_2)
	v_ashrrev_i32_e32 v7, 31, v7
	v_add_nc_u32_e32 v8, -1, v8
	s_delay_alu instid0(VALU_DEP_2) | instskip(NEXT) | instid1(VALU_DEP_1)
	v_add_nc_u32_e32 v7, 32, v7
	v_min_u32_e32 v7, v8, v7
	s_delay_alu instid0(VALU_DEP_1) | instskip(NEXT) | instid1(VALU_DEP_1)
	v_lshlrev_b64 v[5:6], v7, v[5:6]
	v_min_u32_e32 v5, 1, v5
	s_delay_alu instid0(VALU_DEP_1) | instskip(SKIP_1) | instid1(VALU_DEP_2)
	v_or_b32_e32 v5, v6, v5
	v_sub_nc_u32_e32 v6, 32, v7
	v_cvt_f32_i32_e32 v5, v5
	s_delay_alu instid0(VALU_DEP_1) | instskip(NEXT) | instid1(VALU_DEP_1)
	v_ldexp_f32 v5, v5, v6
	v_cvt_f16_f32_e32 v5, v5
	s_branch .LBB96_491
.LBB96_488:
	s_mov_b32 s0, -1
                                        ; implicit-def: $vgpr5
	s_branch .LBB96_497
.LBB96_489:
	s_mov_b32 s0, -1
                                        ; implicit-def: $vgpr5
	s_branch .LBB96_494
.LBB96_490:
	s_mov_b32 s0, -1
                                        ; implicit-def: $vgpr5
.LBB96_491:
	s_delay_alu instid0(SALU_CYCLE_1)
	s_and_not1_b32 vcc_lo, exec_lo, s0
	s_cbranch_vccnz .LBB96_493
; %bb.492:
	global_load_b32 v5, v[0:1], off
	s_waitcnt vmcnt(0)
	v_cvt_f32_i32_e32 v5, v5
	s_delay_alu instid0(VALU_DEP_1)
	v_cvt_f16_f32_e32 v5, v5
.LBB96_493:
	s_mov_b32 s0, 0
.LBB96_494:
	s_delay_alu instid0(SALU_CYCLE_1)
	s_and_not1_b32 vcc_lo, exec_lo, s0
	s_cbranch_vccnz .LBB96_496
; %bb.495:
	global_load_u16 v5, v[0:1], off
	s_waitcnt vmcnt(0)
	v_cvt_f16_i16_e32 v5, v5
.LBB96_496:
	s_mov_b32 s0, 0
.LBB96_497:
	s_delay_alu instid0(SALU_CYCLE_1)
	s_and_not1_b32 vcc_lo, exec_lo, s0
	s_cbranch_vccnz .LBB96_503
; %bb.498:
	v_cmp_lt_i16_e32 vcc_lo, 0, v4
	s_mov_b32 s0, 0
	s_cbranch_vccz .LBB96_500
; %bb.499:
	global_load_i8 v5, v[0:1], off
	s_waitcnt vmcnt(0)
	v_cvt_f16_i16_e32 v5, v5
	s_branch .LBB96_501
.LBB96_500:
	s_mov_b32 s0, -1
                                        ; implicit-def: $vgpr5
.LBB96_501:
	s_delay_alu instid0(SALU_CYCLE_1)
	s_and_not1_b32 vcc_lo, exec_lo, s0
	s_cbranch_vccnz .LBB96_503
; %bb.502:
	global_load_u8 v0, v[0:1], off
	s_waitcnt vmcnt(0)
	v_cvt_f16_u16_e32 v5, v0
.LBB96_503:
	s_branch .LBB96_261
.LBB96_504:
	s_mov_b32 s16, 0
	s_mov_b32 s0, s9
.LBB96_505:
                                        ; implicit-def: $vgpr3
.LBB96_506:
	s_and_not1_b32 s14, s9, exec_lo
	s_and_b32 s0, s0, exec_lo
	s_and_not1_b32 s17, s11, exec_lo
	s_and_b32 s13, s13, exec_lo
	s_or_b32 s14, s14, s0
	s_or_b32 s13, s17, s13
	s_or_not1_b32 s17, s16, exec_lo
.LBB96_507:
	s_or_b32 exec_lo, exec_lo, s15
	s_mov_b32 s16, 0
	s_mov_b32 s18, 0
	;; [unrolled: 1-line block ×3, first 2 shown]
                                        ; implicit-def: $vgpr0_vgpr1
                                        ; implicit-def: $vgpr6
	s_and_saveexec_b32 s15, s17
	s_cbranch_execz .LBB96_853
; %bb.508:
	s_mov_b32 s0, -1
	s_mov_b32 s17, s13
	s_mov_b32 s18, s14
	s_mov_b32 s16, exec_lo
	v_cmpx_gt_i32_e64 s10, v3
	s_cbranch_execz .LBB96_767
; %bb.509:
	v_mul_lo_u32 v0, v3, s3
	v_cmp_gt_i16_e32 vcc_lo, 11, v4
	s_delay_alu instid0(VALU_DEP_2) | instskip(SKIP_1) | instid1(VALU_DEP_1)
	v_ashrrev_i32_e32 v1, 31, v0
	v_add_co_u32 v0, s0, s6, v0
	v_add_co_ci_u32_e64 v1, s0, s7, v1, s0
	s_cbranch_vccnz .LBB96_516
; %bb.510:
	v_cmp_lt_i16_e32 vcc_lo, 25, v4
	s_cbranch_vccz .LBB96_517
; %bb.511:
	v_cmp_lt_i16_e32 vcc_lo, 28, v4
	s_cbranch_vccz .LBB96_518
	;; [unrolled: 3-line block ×4, first 2 shown]
; %bb.514:
	v_cmp_eq_u16_e32 vcc_lo, 46, v4
	s_mov_b32 s18, 0
	s_cbranch_vccz .LBB96_525
; %bb.515:
	global_load_b32 v5, v[0:1], off
	s_mov_b32 s0, -1
	s_mov_b32 s17, 0
	s_waitcnt vmcnt(0)
	v_lshlrev_b32_e32 v5, 16, v5
	s_delay_alu instid0(VALU_DEP_1)
	v_cvt_f16_f32_e32 v5, v5
	s_branch .LBB96_527
.LBB96_516:
	s_mov_b32 s18, -1
	s_mov_b32 s0, 0
	s_mov_b32 s17, s13
                                        ; implicit-def: $vgpr5
	s_branch .LBB96_592
.LBB96_517:
	s_mov_b32 s18, -1
	s_mov_b32 s0, 0
	s_mov_b32 s17, s13
                                        ; implicit-def: $vgpr5
	s_branch .LBB96_556
.LBB96_518:
	s_mov_b32 s18, -1
	s_mov_b32 s0, 0
	s_mov_b32 s17, s13
                                        ; implicit-def: $vgpr5
	s_branch .LBB96_537
.LBB96_519:
	s_mov_b32 s18, -1
	s_mov_b32 s0, 0
	s_mov_b32 s17, s13
                                        ; implicit-def: $vgpr5
	s_branch .LBB96_532
.LBB96_520:
	s_or_saveexec_b32 s17, s17
                                        ; implicit-def: $sgpr18
	s_delay_alu instid0(SALU_CYCLE_1)
	s_xor_b32 exec_lo, exec_lo, s17
	s_cbranch_execz .LBB96_344
.LBB96_521:
	v_add_f32_e64 v8, 0x46000000, |v7|
	s_and_not1_b32 s16, s16, exec_lo
	s_mov_b32 s18, 0
	s_delay_alu instid0(VALU_DEP_1) | instskip(NEXT) | instid1(VALU_DEP_1)
	v_and_b32_e32 v8, 0xff, v8
	v_cmp_ne_u32_e32 vcc_lo, 0, v8
	s_and_b32 s19, vcc_lo, exec_lo
	s_delay_alu instid0(SALU_CYCLE_1)
	s_or_b32 s16, s16, s19
	s_or_b32 exec_lo, exec_lo, s17
	v_mov_b32_e32 v9, s18
	s_and_saveexec_b32 s17, s16
	s_cbranch_execnz .LBB96_345
	s_branch .LBB96_346
.LBB96_522:
	s_mov_b32 s18, -1
	s_mov_b32 s0, 0
	s_mov_b32 s17, s13
	s_branch .LBB96_526
.LBB96_523:
	s_or_saveexec_b32 s17, s17
                                        ; implicit-def: $sgpr18
	s_delay_alu instid0(SALU_CYCLE_1)
	s_xor_b32 exec_lo, exec_lo, s17
	s_cbranch_execz .LBB96_357
.LBB96_524:
	v_add_f32_e64 v8, 0x42800000, |v7|
	s_and_not1_b32 s16, s16, exec_lo
	s_mov_b32 s18, 0
	s_delay_alu instid0(VALU_DEP_1) | instskip(NEXT) | instid1(VALU_DEP_1)
	v_and_b32_e32 v8, 0xff, v8
	v_cmp_ne_u32_e32 vcc_lo, 0, v8
	s_and_b32 s19, vcc_lo, exec_lo
	s_delay_alu instid0(SALU_CYCLE_1)
	s_or_b32 s16, s16, s19
	s_or_b32 exec_lo, exec_lo, s17
	v_mov_b32_e32 v9, s18
	s_and_saveexec_b32 s17, s16
	s_cbranch_execnz .LBB96_358
	s_branch .LBB96_359
.LBB96_525:
	s_mov_b32 s17, -1
	s_mov_b32 s0, 0
.LBB96_526:
                                        ; implicit-def: $vgpr5
.LBB96_527:
	s_and_b32 vcc_lo, exec_lo, s18
	s_cbranch_vccz .LBB96_531
; %bb.528:
	v_cmp_eq_u16_e32 vcc_lo, 44, v4
	s_cbranch_vccz .LBB96_530
; %bb.529:
	global_load_u8 v5, v[0:1], off
	s_mov_b32 s17, 0
	s_mov_b32 s0, -1
	s_waitcnt vmcnt(0)
	v_lshlrev_b32_e32 v6, 23, v5
	v_cmp_ne_u32_e32 vcc_lo, 0xff, v5
	s_delay_alu instid0(VALU_DEP_2) | instskip(NEXT) | instid1(VALU_DEP_1)
	v_cvt_f16_f32_e32 v6, v6
	v_cndmask_b32_e32 v6, 0x7e00, v6, vcc_lo
	v_cmp_ne_u32_e32 vcc_lo, 0, v5
	s_delay_alu instid0(VALU_DEP_2)
	v_cndmask_b32_e32 v5, 0, v6, vcc_lo
	s_branch .LBB96_531
.LBB96_530:
	s_mov_b32 s17, -1
                                        ; implicit-def: $vgpr5
.LBB96_531:
	s_mov_b32 s18, 0
.LBB96_532:
	s_delay_alu instid0(SALU_CYCLE_1)
	s_and_b32 vcc_lo, exec_lo, s18
	s_cbranch_vccz .LBB96_536
; %bb.533:
	v_cmp_eq_u16_e32 vcc_lo, 29, v4
	s_cbranch_vccz .LBB96_535
; %bb.534:
	global_load_b64 v[5:6], v[0:1], off
	s_mov_b32 s0, -1
	s_mov_b32 s17, 0
	s_mov_b32 s18, 0
	s_waitcnt vmcnt(0)
	v_clz_i32_u32_e32 v7, v6
	s_delay_alu instid0(VALU_DEP_1) | instskip(NEXT) | instid1(VALU_DEP_1)
	v_min_u32_e32 v7, 32, v7
	v_lshlrev_b64 v[5:6], v7, v[5:6]
	s_delay_alu instid0(VALU_DEP_1) | instskip(NEXT) | instid1(VALU_DEP_1)
	v_min_u32_e32 v5, 1, v5
	v_or_b32_e32 v5, v6, v5
	v_sub_nc_u32_e32 v6, 32, v7
	s_delay_alu instid0(VALU_DEP_2) | instskip(NEXT) | instid1(VALU_DEP_1)
	v_cvt_f32_u32_e32 v5, v5
	v_ldexp_f32 v5, v5, v6
	s_delay_alu instid0(VALU_DEP_1)
	v_cvt_f16_f32_e32 v5, v5
	s_branch .LBB96_537
.LBB96_535:
	s_mov_b32 s17, -1
                                        ; implicit-def: $vgpr5
.LBB96_536:
	s_mov_b32 s18, 0
.LBB96_537:
	s_delay_alu instid0(SALU_CYCLE_1)
	s_and_b32 vcc_lo, exec_lo, s18
	s_cbranch_vccz .LBB96_555
; %bb.538:
	v_cmp_gt_i16_e32 vcc_lo, 27, v4
	s_cbranch_vccnz .LBB96_541
; %bb.539:
	v_cmp_lt_i16_e32 vcc_lo, 27, v4
	s_cbranch_vccz .LBB96_542
; %bb.540:
	global_load_b32 v5, v[0:1], off
	s_mov_b32 s0, 0
	s_waitcnt vmcnt(0)
	v_cvt_f32_u32_e32 v5, v5
	s_delay_alu instid0(VALU_DEP_1)
	v_cvt_f16_f32_e32 v5, v5
	s_branch .LBB96_543
.LBB96_541:
	s_mov_b32 s0, -1
                                        ; implicit-def: $vgpr5
	s_branch .LBB96_546
.LBB96_542:
	s_mov_b32 s0, -1
                                        ; implicit-def: $vgpr5
.LBB96_543:
	s_delay_alu instid0(SALU_CYCLE_1)
	s_and_not1_b32 vcc_lo, exec_lo, s0
	s_cbranch_vccnz .LBB96_545
; %bb.544:
	global_load_u16 v5, v[0:1], off
	s_waitcnt vmcnt(0)
	v_cvt_f16_u16_e32 v5, v5
.LBB96_545:
	s_mov_b32 s0, 0
.LBB96_546:
	s_delay_alu instid0(SALU_CYCLE_1)
	s_and_not1_b32 vcc_lo, exec_lo, s0
	s_cbranch_vccnz .LBB96_554
; %bb.547:
	global_load_u8 v6, v[0:1], off
	s_mov_b32 s0, 0
	s_mov_b32 s19, exec_lo
                                        ; implicit-def: $sgpr18
	s_waitcnt vmcnt(0)
	v_cmpx_lt_i16_e32 0x7f, v6
	s_xor_b32 s19, exec_lo, s19
	s_cbranch_execz .LBB96_568
; %bb.548:
	s_mov_b32 s0, -1
	s_mov_b32 s20, exec_lo
                                        ; implicit-def: $sgpr18
	v_cmpx_eq_u16_e32 0x80, v6
; %bb.549:
	s_movk_i32 s18, 0x7e00
	s_xor_b32 s0, exec_lo, -1
; %bb.550:
	s_or_b32 exec_lo, exec_lo, s20
	s_delay_alu instid0(SALU_CYCLE_1)
	s_and_b32 s0, s0, exec_lo
	s_or_saveexec_b32 s19, s19
	v_mov_b32_e32 v5, s18
	s_xor_b32 exec_lo, exec_lo, s19
	s_cbranch_execnz .LBB96_569
.LBB96_551:
	s_or_b32 exec_lo, exec_lo, s19
	s_and_saveexec_b32 s18, s0
	s_cbranch_execz .LBB96_553
.LBB96_552:
	v_and_b32_e32 v5, 0xffff, v6
	s_delay_alu instid0(VALU_DEP_1) | instskip(NEXT) | instid1(VALU_DEP_1)
	v_and_b32_e32 v7, 7, v5
	v_clz_i32_u32_e32 v8, v7
	s_delay_alu instid0(VALU_DEP_1) | instskip(NEXT) | instid1(VALU_DEP_1)
	v_min_u32_e32 v8, 32, v8
	v_subrev_nc_u32_e32 v9, 28, v8
	v_sub_nc_u32_e32 v8, 29, v8
	s_delay_alu instid0(VALU_DEP_2) | instskip(SKIP_1) | instid1(VALU_DEP_2)
	v_lshlrev_b32_e32 v9, v9, v5
	v_bfe_u32 v5, v5, 3, 4
	v_and_b32_e32 v9, 7, v9
	s_delay_alu instid0(VALU_DEP_2) | instskip(SKIP_1) | instid1(VALU_DEP_1)
	v_cmp_eq_u32_e32 vcc_lo, 0, v5
	v_dual_cndmask_b32 v5, v5, v8 :: v_dual_lshlrev_b32 v6, 24, v6
	v_dual_cndmask_b32 v7, v7, v9 :: v_dual_and_b32 v6, 0x80000000, v6
	s_delay_alu instid0(VALU_DEP_2) | instskip(NEXT) | instid1(VALU_DEP_2)
	v_lshl_add_u32 v5, v5, 23, 0x3b800000
	v_lshlrev_b32_e32 v7, 20, v7
	s_delay_alu instid0(VALU_DEP_1) | instskip(NEXT) | instid1(VALU_DEP_1)
	v_or3_b32 v5, v6, v5, v7
	v_cvt_f16_f32_e32 v5, v5
.LBB96_553:
	s_or_b32 exec_lo, exec_lo, s18
.LBB96_554:
	s_mov_b32 s0, -1
.LBB96_555:
	s_mov_b32 s18, 0
.LBB96_556:
	s_delay_alu instid0(SALU_CYCLE_1)
	s_and_b32 vcc_lo, exec_lo, s18
	s_cbranch_vccz .LBB96_591
; %bb.557:
	v_cmp_lt_i16_e32 vcc_lo, 22, v4
	s_cbranch_vccz .LBB96_567
; %bb.558:
	v_cmp_gt_i16_e32 vcc_lo, 24, v4
	s_cbranch_vccnz .LBB96_570
; %bb.559:
	v_cmp_lt_i16_e32 vcc_lo, 24, v4
	s_cbranch_vccz .LBB96_571
; %bb.560:
	global_load_u8 v6, v[0:1], off
	s_mov_b32 s0, 0
	s_mov_b32 s19, exec_lo
                                        ; implicit-def: $sgpr18
	s_waitcnt vmcnt(0)
	v_cmpx_lt_i16_e32 0x7f, v6
	s_xor_b32 s19, exec_lo, s19
	s_cbranch_execz .LBB96_583
; %bb.561:
	s_mov_b32 s0, -1
	s_mov_b32 s20, exec_lo
                                        ; implicit-def: $sgpr18
	v_cmpx_eq_u16_e32 0x80, v6
; %bb.562:
	s_movk_i32 s18, 0x7e00
	s_xor_b32 s0, exec_lo, -1
; %bb.563:
	s_or_b32 exec_lo, exec_lo, s20
	s_delay_alu instid0(SALU_CYCLE_1)
	s_and_b32 s0, s0, exec_lo
	s_or_saveexec_b32 s19, s19
	v_mov_b32_e32 v5, s18
	s_xor_b32 exec_lo, exec_lo, s19
	s_cbranch_execnz .LBB96_584
.LBB96_564:
	s_or_b32 exec_lo, exec_lo, s19
	s_and_saveexec_b32 s18, s0
	s_cbranch_execz .LBB96_566
.LBB96_565:
	v_and_b32_e32 v5, 0xffff, v6
	s_delay_alu instid0(VALU_DEP_1) | instskip(NEXT) | instid1(VALU_DEP_1)
	v_and_b32_e32 v7, 3, v5
	v_clz_i32_u32_e32 v8, v7
	s_delay_alu instid0(VALU_DEP_1) | instskip(NEXT) | instid1(VALU_DEP_1)
	v_min_u32_e32 v8, 32, v8
	v_subrev_nc_u32_e32 v9, 29, v8
	v_sub_nc_u32_e32 v8, 30, v8
	s_delay_alu instid0(VALU_DEP_2) | instskip(SKIP_1) | instid1(VALU_DEP_2)
	v_lshlrev_b32_e32 v9, v9, v5
	v_bfe_u32 v5, v5, 2, 5
	v_and_b32_e32 v9, 3, v9
	s_delay_alu instid0(VALU_DEP_2) | instskip(SKIP_1) | instid1(VALU_DEP_1)
	v_cmp_eq_u32_e32 vcc_lo, 0, v5
	v_dual_cndmask_b32 v5, v5, v8 :: v_dual_lshlrev_b32 v6, 24, v6
	v_dual_cndmask_b32 v7, v7, v9 :: v_dual_and_b32 v6, 0x80000000, v6
	s_delay_alu instid0(VALU_DEP_2) | instskip(NEXT) | instid1(VALU_DEP_2)
	v_lshl_add_u32 v5, v5, 23, 0x37800000
	v_lshlrev_b32_e32 v7, 21, v7
	s_delay_alu instid0(VALU_DEP_1) | instskip(NEXT) | instid1(VALU_DEP_1)
	v_or3_b32 v5, v6, v5, v7
	v_cvt_f16_f32_e32 v5, v5
.LBB96_566:
	s_or_b32 exec_lo, exec_lo, s18
	s_mov_b32 s0, 0
	s_branch .LBB96_572
.LBB96_567:
	s_mov_b32 s18, -1
                                        ; implicit-def: $vgpr5
	s_branch .LBB96_578
.LBB96_568:
	s_or_saveexec_b32 s19, s19
	v_mov_b32_e32 v5, s18
	s_xor_b32 exec_lo, exec_lo, s19
	s_cbranch_execz .LBB96_551
.LBB96_569:
	v_cmp_ne_u16_e32 vcc_lo, 0, v6
	v_mov_b32_e32 v5, v6
	s_and_not1_b32 s0, s0, exec_lo
	s_and_b32 s18, vcc_lo, exec_lo
	s_delay_alu instid0(SALU_CYCLE_1)
	s_or_b32 s0, s0, s18
	s_or_b32 exec_lo, exec_lo, s19
	s_and_saveexec_b32 s18, s0
	s_cbranch_execnz .LBB96_552
	s_branch .LBB96_553
.LBB96_570:
	s_mov_b32 s0, -1
                                        ; implicit-def: $vgpr5
	s_branch .LBB96_575
.LBB96_571:
	s_mov_b32 s0, -1
                                        ; implicit-def: $vgpr5
.LBB96_572:
	s_delay_alu instid0(SALU_CYCLE_1)
	s_and_b32 vcc_lo, exec_lo, s0
	s_cbranch_vccz .LBB96_574
; %bb.573:
	global_load_u8 v5, v[0:1], off
	s_waitcnt vmcnt(0)
	v_lshlrev_b32_e32 v5, 24, v5
	s_delay_alu instid0(VALU_DEP_1) | instskip(NEXT) | instid1(VALU_DEP_1)
	v_and_b32_e32 v6, 0x7f000000, v5
	v_clz_i32_u32_e32 v7, v6
	v_add_nc_u32_e32 v9, 0x1000000, v6
	v_cmp_ne_u32_e32 vcc_lo, 0, v6
	s_delay_alu instid0(VALU_DEP_3) | instskip(NEXT) | instid1(VALU_DEP_1)
	v_min_u32_e32 v7, 32, v7
	v_sub_nc_u32_e64 v7, v7, 4 clamp
	s_delay_alu instid0(VALU_DEP_1) | instskip(SKIP_1) | instid1(VALU_DEP_2)
	v_lshlrev_b32_e32 v8, v7, v6
	v_lshlrev_b32_e32 v7, 23, v7
	v_lshrrev_b32_e32 v8, 4, v8
	s_delay_alu instid0(VALU_DEP_1) | instskip(SKIP_1) | instid1(VALU_DEP_2)
	v_sub_nc_u32_e32 v7, v8, v7
	v_ashrrev_i32_e32 v8, 8, v9
	v_add_nc_u32_e32 v7, 0x3c000000, v7
	s_delay_alu instid0(VALU_DEP_1) | instskip(NEXT) | instid1(VALU_DEP_1)
	v_and_or_b32 v7, 0x7f800000, v8, v7
	v_cndmask_b32_e32 v6, 0, v7, vcc_lo
	s_delay_alu instid0(VALU_DEP_1) | instskip(NEXT) | instid1(VALU_DEP_1)
	v_and_or_b32 v5, 0x80000000, v5, v6
	v_cvt_f16_f32_e32 v5, v5
.LBB96_574:
	s_mov_b32 s0, 0
.LBB96_575:
	s_delay_alu instid0(SALU_CYCLE_1)
	s_and_not1_b32 vcc_lo, exec_lo, s0
	s_cbranch_vccnz .LBB96_577
; %bb.576:
	global_load_u8 v5, v[0:1], off
	s_waitcnt vmcnt(0)
	v_lshlrev_b32_e32 v6, 25, v5
	v_lshlrev_b16 v5, 8, v5
	s_delay_alu instid0(VALU_DEP_2) | instskip(NEXT) | instid1(VALU_DEP_2)
	v_lshrrev_b32_e32 v7, 4, v6
	v_and_or_b32 v8, 0x7f00, v5, 0.5
	v_bfe_i32 v5, v5, 0, 16
	s_delay_alu instid0(VALU_DEP_3) | instskip(NEXT) | instid1(VALU_DEP_1)
	v_or_b32_e32 v7, 0x70000000, v7
	v_dual_add_f32 v8, -0.5, v8 :: v_dual_mul_f32 v7, 0x7800000, v7
	v_cmp_gt_u32_e32 vcc_lo, 0x8000000, v6
	s_delay_alu instid0(VALU_DEP_2) | instskip(NEXT) | instid1(VALU_DEP_1)
	v_cndmask_b32_e32 v6, v7, v8, vcc_lo
	v_and_or_b32 v5, 0x80000000, v5, v6
	s_delay_alu instid0(VALU_DEP_1)
	v_cvt_f16_f32_e32 v5, v5
.LBB96_577:
	s_mov_b32 s18, 0
	s_mov_b32 s0, -1
.LBB96_578:
	s_and_not1_b32 vcc_lo, exec_lo, s18
	s_cbranch_vccnz .LBB96_591
; %bb.579:
	v_cmp_lt_i16_e32 vcc_lo, 14, v4
	s_cbranch_vccz .LBB96_582
; %bb.580:
	v_cmp_eq_u16_e32 vcc_lo, 15, v4
	s_cbranch_vccz .LBB96_585
; %bb.581:
	global_load_u16 v5, v[0:1], off
	s_mov_b32 s0, -1
	s_mov_b32 s17, 0
	s_waitcnt vmcnt(0)
	v_lshlrev_b32_e32 v5, 16, v5
	s_delay_alu instid0(VALU_DEP_1)
	v_cvt_f16_f32_e32 v5, v5
	s_branch .LBB96_586
.LBB96_582:
	s_mov_b32 s18, -1
                                        ; implicit-def: $vgpr5
	s_branch .LBB96_587
.LBB96_583:
	s_or_saveexec_b32 s19, s19
	v_mov_b32_e32 v5, s18
	s_xor_b32 exec_lo, exec_lo, s19
	s_cbranch_execz .LBB96_564
.LBB96_584:
	v_cmp_ne_u16_e32 vcc_lo, 0, v6
	v_mov_b32_e32 v5, v6
	s_and_not1_b32 s0, s0, exec_lo
	s_and_b32 s18, vcc_lo, exec_lo
	s_delay_alu instid0(SALU_CYCLE_1)
	s_or_b32 s0, s0, s18
	s_or_b32 exec_lo, exec_lo, s19
	s_and_saveexec_b32 s18, s0
	s_cbranch_execnz .LBB96_565
	s_branch .LBB96_566
.LBB96_585:
	s_mov_b32 s17, -1
                                        ; implicit-def: $vgpr5
.LBB96_586:
	s_mov_b32 s18, 0
.LBB96_587:
	s_delay_alu instid0(SALU_CYCLE_1)
	s_and_b32 vcc_lo, exec_lo, s18
	s_cbranch_vccz .LBB96_591
; %bb.588:
	v_cmp_eq_u16_e32 vcc_lo, 11, v4
	s_cbranch_vccz .LBB96_590
; %bb.589:
	global_load_u8 v5, v[0:1], off
	s_mov_b32 s17, 0
	s_mov_b32 s0, -1
	s_waitcnt vmcnt(0)
	v_cmp_ne_u16_e32 vcc_lo, 0, v5
	v_cndmask_b32_e64 v5, 0, 0x3c00, vcc_lo
	s_branch .LBB96_591
.LBB96_590:
	s_mov_b32 s17, -1
                                        ; implicit-def: $vgpr5
.LBB96_591:
	s_mov_b32 s18, 0
.LBB96_592:
	s_delay_alu instid0(SALU_CYCLE_1)
	s_and_b32 vcc_lo, exec_lo, s18
	s_cbranch_vccz .LBB96_641
; %bb.593:
	v_cmp_gt_i16_e32 vcc_lo, 5, v4
	s_cbranch_vccnz .LBB96_598
; %bb.594:
	v_cmp_gt_i16_e32 vcc_lo, 8, v4
	s_cbranch_vccnz .LBB96_599
	;; [unrolled: 3-line block ×3, first 2 shown]
; %bb.596:
	v_cmp_lt_i16_e32 vcc_lo, 9, v4
	s_cbranch_vccz .LBB96_601
; %bb.597:
	global_load_b64 v[5:6], v[0:1], off
	s_mov_b32 s0, 0
	s_waitcnt vmcnt(0)
	v_cvt_f32_f64_e32 v5, v[5:6]
	s_delay_alu instid0(VALU_DEP_1)
	v_cvt_f16_f32_e32 v5, v5
	s_branch .LBB96_602
.LBB96_598:
	s_mov_b32 s0, -1
                                        ; implicit-def: $vgpr5
	s_branch .LBB96_620
.LBB96_599:
	s_mov_b32 s0, -1
                                        ; implicit-def: $vgpr5
	s_branch .LBB96_608
.LBB96_600:
	s_mov_b32 s0, -1
                                        ; implicit-def: $vgpr5
	s_branch .LBB96_605
.LBB96_601:
	s_mov_b32 s0, -1
                                        ; implicit-def: $vgpr5
.LBB96_602:
	s_delay_alu instid0(SALU_CYCLE_1)
	s_and_not1_b32 vcc_lo, exec_lo, s0
	s_cbranch_vccnz .LBB96_604
; %bb.603:
	global_load_b32 v5, v[0:1], off
	s_waitcnt vmcnt(0)
	v_cvt_f16_f32_e32 v5, v5
.LBB96_604:
	s_mov_b32 s0, 0
.LBB96_605:
	s_delay_alu instid0(SALU_CYCLE_1)
	s_and_not1_b32 vcc_lo, exec_lo, s0
	s_cbranch_vccnz .LBB96_607
; %bb.606:
	global_load_b32 v5, v[0:1], off
.LBB96_607:
	s_mov_b32 s0, 0
.LBB96_608:
	s_delay_alu instid0(SALU_CYCLE_1)
	s_and_not1_b32 vcc_lo, exec_lo, s0
	s_cbranch_vccnz .LBB96_619
; %bb.609:
	v_cmp_gt_i16_e32 vcc_lo, 6, v4
	s_cbranch_vccnz .LBB96_612
; %bb.610:
	v_cmp_lt_i16_e32 vcc_lo, 6, v4
	s_cbranch_vccz .LBB96_613
; %bb.611:
	global_load_b64 v[5:6], v[0:1], off
	s_mov_b32 s0, 0
	s_waitcnt vmcnt(0)
	v_cvt_f32_f64_e32 v5, v[5:6]
	s_delay_alu instid0(VALU_DEP_1)
	v_cvt_f16_f32_e32 v5, v5
	s_branch .LBB96_614
.LBB96_612:
	s_mov_b32 s0, -1
                                        ; implicit-def: $vgpr5
	s_branch .LBB96_617
.LBB96_613:
	s_mov_b32 s0, -1
                                        ; implicit-def: $vgpr5
.LBB96_614:
	s_delay_alu instid0(SALU_CYCLE_1)
	s_and_not1_b32 vcc_lo, exec_lo, s0
	s_cbranch_vccnz .LBB96_616
; %bb.615:
	global_load_b32 v5, v[0:1], off
	s_waitcnt vmcnt(0)
	v_cvt_f16_f32_e32 v5, v5
.LBB96_616:
	s_mov_b32 s0, 0
.LBB96_617:
	s_delay_alu instid0(SALU_CYCLE_1)
	s_and_not1_b32 vcc_lo, exec_lo, s0
	s_cbranch_vccnz .LBB96_619
; %bb.618:
	global_load_u16 v5, v[0:1], off
.LBB96_619:
	s_mov_b32 s0, 0
.LBB96_620:
	s_delay_alu instid0(SALU_CYCLE_1)
	s_and_not1_b32 vcc_lo, exec_lo, s0
	s_cbranch_vccnz .LBB96_640
; %bb.621:
	v_cmp_gt_i16_e32 vcc_lo, 2, v4
	s_cbranch_vccnz .LBB96_625
; %bb.622:
	v_cmp_gt_i16_e32 vcc_lo, 3, v4
	s_cbranch_vccnz .LBB96_626
; %bb.623:
	v_cmp_lt_i16_e32 vcc_lo, 3, v4
	s_cbranch_vccz .LBB96_627
; %bb.624:
	global_load_b64 v[5:6], v[0:1], off
	s_mov_b32 s0, 0
	s_waitcnt vmcnt(0)
	v_xor_b32_e32 v7, v5, v6
	v_cls_i32_e32 v8, v6
	s_delay_alu instid0(VALU_DEP_2) | instskip(NEXT) | instid1(VALU_DEP_2)
	v_ashrrev_i32_e32 v7, 31, v7
	v_add_nc_u32_e32 v8, -1, v8
	s_delay_alu instid0(VALU_DEP_2) | instskip(NEXT) | instid1(VALU_DEP_1)
	v_add_nc_u32_e32 v7, 32, v7
	v_min_u32_e32 v7, v8, v7
	s_delay_alu instid0(VALU_DEP_1) | instskip(NEXT) | instid1(VALU_DEP_1)
	v_lshlrev_b64 v[5:6], v7, v[5:6]
	v_min_u32_e32 v5, 1, v5
	s_delay_alu instid0(VALU_DEP_1) | instskip(SKIP_1) | instid1(VALU_DEP_2)
	v_or_b32_e32 v5, v6, v5
	v_sub_nc_u32_e32 v6, 32, v7
	v_cvt_f32_i32_e32 v5, v5
	s_delay_alu instid0(VALU_DEP_1) | instskip(NEXT) | instid1(VALU_DEP_1)
	v_ldexp_f32 v5, v5, v6
	v_cvt_f16_f32_e32 v5, v5
	s_branch .LBB96_628
.LBB96_625:
	s_mov_b32 s0, -1
                                        ; implicit-def: $vgpr5
	s_branch .LBB96_634
.LBB96_626:
	s_mov_b32 s0, -1
                                        ; implicit-def: $vgpr5
	s_branch .LBB96_631
.LBB96_627:
	s_mov_b32 s0, -1
                                        ; implicit-def: $vgpr5
.LBB96_628:
	s_delay_alu instid0(SALU_CYCLE_1)
	s_and_not1_b32 vcc_lo, exec_lo, s0
	s_cbranch_vccnz .LBB96_630
; %bb.629:
	global_load_b32 v5, v[0:1], off
	s_waitcnt vmcnt(0)
	v_cvt_f32_i32_e32 v5, v5
	s_delay_alu instid0(VALU_DEP_1)
	v_cvt_f16_f32_e32 v5, v5
.LBB96_630:
	s_mov_b32 s0, 0
.LBB96_631:
	s_delay_alu instid0(SALU_CYCLE_1)
	s_and_not1_b32 vcc_lo, exec_lo, s0
	s_cbranch_vccnz .LBB96_633
; %bb.632:
	global_load_u16 v5, v[0:1], off
	s_waitcnt vmcnt(0)
	v_cvt_f16_i16_e32 v5, v5
.LBB96_633:
	s_mov_b32 s0, 0
.LBB96_634:
	s_delay_alu instid0(SALU_CYCLE_1)
	s_and_not1_b32 vcc_lo, exec_lo, s0
	s_cbranch_vccnz .LBB96_640
; %bb.635:
	v_cmp_lt_i16_e32 vcc_lo, 0, v4
	s_mov_b32 s0, 0
	s_cbranch_vccz .LBB96_637
; %bb.636:
	global_load_i8 v5, v[0:1], off
	s_waitcnt vmcnt(0)
	v_cvt_f16_i16_e32 v5, v5
	s_branch .LBB96_638
.LBB96_637:
	s_mov_b32 s0, -1
                                        ; implicit-def: $vgpr5
.LBB96_638:
	s_delay_alu instid0(SALU_CYCLE_1)
	s_and_not1_b32 vcc_lo, exec_lo, s0
	s_cbranch_vccnz .LBB96_640
; %bb.639:
	global_load_u8 v0, v[0:1], off
	s_waitcnt vmcnt(0)
	v_cvt_f16_u16_e32 v5, v0
.LBB96_640:
	s_mov_b32 s0, -1
.LBB96_641:
	s_delay_alu instid0(SALU_CYCLE_1)
	s_and_not1_b32 vcc_lo, exec_lo, s0
	s_cbranch_vccnz .LBB96_649
; %bb.642:
	s_waitcnt vmcnt(0)
	v_cvt_f32_f16_e32 v0, v5
	s_mov_b32 s0, 0x3fb8aa3b
	s_mov_b32 s18, 0
	s_mov_b32 s19, -1
	s_delay_alu instid0(VALU_DEP_1) | instskip(SKIP_1) | instid1(VALU_DEP_2)
	v_mul_f32_e32 v1, 0x3fb8aa3b, v0
	v_cmp_ngt_f32_e32 vcc_lo, 0xc2ce8ed0, v0
	v_rndne_f32_e32 v6, v1
	v_fma_mix_f32 v7, v5, s0, -v1 op_sel_hi:[1,0,0]
	s_mov_b32 s0, 0x32a5705f
	s_delay_alu instid0(VALU_DEP_2) | instskip(NEXT) | instid1(VALU_DEP_2)
	v_sub_f32_e32 v1, v1, v6
	v_fma_mix_f32 v5, v5, s0, v7 op_sel_hi:[1,0,0]
	v_mul_lo_u32 v7, v3, s2
	v_cmp_nlt_f32_e64 s0, 0x42b17218, v0
	s_delay_alu instid0(VALU_DEP_3) | instskip(SKIP_2) | instid1(VALU_DEP_3)
	v_add_f32_e32 v1, v1, v5
	v_cvt_i32_f32_e32 v5, v6
	v_and_b32_e32 v6, 0xff, v2
	v_exp_f32_e32 v1, v1
	s_waitcnt_depctr 0xfff
	v_ldexp_f32 v1, v1, v5
	v_ashrrev_i32_e32 v5, 31, v7
	s_delay_alu instid0(VALU_DEP_2) | instskip(SKIP_1) | instid1(VALU_DEP_2)
	v_cndmask_b32_e32 v1, 0, v1, vcc_lo
	v_cmp_gt_i16_e32 vcc_lo, 11, v6
	v_cndmask_b32_e64 v8, 0x7f800000, v1, s0
	v_add_co_u32 v0, s0, s4, v7
	s_delay_alu instid0(VALU_DEP_1) | instskip(NEXT) | instid1(VALU_DEP_3)
	v_add_co_ci_u32_e64 v1, s0, s5, v5, s0
	v_cvt_f16_f32_e32 v5, v8
	s_mov_b32 s0, s14
	s_cbranch_vccnz .LBB96_650
; %bb.643:
	v_cmp_lt_i16_e32 vcc_lo, 25, v6
	s_cbranch_vccz .LBB96_691
; %bb.644:
	v_cmp_lt_i16_e32 vcc_lo, 28, v6
	s_cbranch_vccz .LBB96_692
	;; [unrolled: 3-line block ×4, first 2 shown]
; %bb.647:
	v_cmp_eq_u16_e32 vcc_lo, 46, v6
	s_mov_b32 s19, 0
	s_mov_b32 s0, -1
	s_cbranch_vccz .LBB96_695
; %bb.648:
	v_cvt_f32_f16_e32 v7, v5
	v_cmp_o_f16_e32 vcc_lo, v5, v5
	s_mov_b32 s18, -1
	s_mov_b32 s0, 0
	s_delay_alu instid0(VALU_DEP_2) | instskip(NEXT) | instid1(VALU_DEP_1)
	v_bfe_u32 v8, v7, 16, 1
	v_add3_u32 v7, v7, v8, 0x7fff
	s_delay_alu instid0(VALU_DEP_1) | instskip(NEXT) | instid1(VALU_DEP_1)
	v_lshrrev_b32_e32 v7, 16, v7
	v_cndmask_b32_e32 v7, 0x7fc0, v7, vcc_lo
	global_store_b32 v[0:1], v7, off
	s_branch .LBB96_695
.LBB96_649:
	s_mov_b32 s19, 0
	s_mov_b32 s0, s14
	s_branch .LBB96_690
.LBB96_650:
	s_and_b32 vcc_lo, exec_lo, s19
	s_cbranch_vccz .LBB96_764
; %bb.651:
	v_cmp_gt_i16_e32 vcc_lo, 5, v6
	s_mov_b32 s18, -1
	s_cbranch_vccnz .LBB96_672
; %bb.652:
	v_cmp_gt_i16_e32 vcc_lo, 8, v6
	s_cbranch_vccnz .LBB96_662
; %bb.653:
	v_cmp_gt_i16_e32 vcc_lo, 9, v6
	s_cbranch_vccnz .LBB96_659
; %bb.654:
	v_cmp_lt_i16_e32 vcc_lo, 9, v6
	s_cbranch_vccz .LBB96_656
; %bb.655:
	v_cvt_f32_f16_e32 v7, v5
	v_mov_b32_e32 v9, 0
	s_mov_b32 s18, 0
	s_delay_alu instid0(VALU_DEP_2) | instskip(NEXT) | instid1(VALU_DEP_2)
	v_cvt_f64_f32_e32 v[7:8], v7
	v_mov_b32_e32 v10, v9
	global_store_b128 v[0:1], v[7:10], off
.LBB96_656:
	s_and_not1_b32 vcc_lo, exec_lo, s18
	s_cbranch_vccnz .LBB96_658
; %bb.657:
	v_cvt_f32_f16_e32 v7, v5
	v_mov_b32_e32 v8, 0
	global_store_b64 v[0:1], v[7:8], off
.LBB96_658:
	s_mov_b32 s18, 0
.LBB96_659:
	s_delay_alu instid0(SALU_CYCLE_1)
	s_and_not1_b32 vcc_lo, exec_lo, s18
	s_cbranch_vccnz .LBB96_661
; %bb.660:
	v_and_b32_e32 v7, 0xffff, v5
	global_store_b32 v[0:1], v7, off
.LBB96_661:
	s_mov_b32 s18, 0
.LBB96_662:
	s_delay_alu instid0(SALU_CYCLE_1)
	s_and_not1_b32 vcc_lo, exec_lo, s18
	s_cbranch_vccnz .LBB96_671
; %bb.663:
	v_cmp_gt_i16_e32 vcc_lo, 6, v6
	s_mov_b32 s18, -1
	s_cbranch_vccnz .LBB96_669
; %bb.664:
	v_cmp_lt_i16_e32 vcc_lo, 6, v6
	s_cbranch_vccz .LBB96_666
; %bb.665:
	v_cvt_f32_f16_e32 v7, v5
	s_mov_b32 s18, 0
	s_delay_alu instid0(VALU_DEP_1)
	v_cvt_f64_f32_e32 v[7:8], v7
	global_store_b64 v[0:1], v[7:8], off
.LBB96_666:
	s_and_not1_b32 vcc_lo, exec_lo, s18
	s_cbranch_vccnz .LBB96_668
; %bb.667:
	v_cvt_f32_f16_e32 v7, v5
	global_store_b32 v[0:1], v7, off
.LBB96_668:
	s_mov_b32 s18, 0
.LBB96_669:
	s_delay_alu instid0(SALU_CYCLE_1)
	s_and_not1_b32 vcc_lo, exec_lo, s18
	s_cbranch_vccnz .LBB96_671
; %bb.670:
	global_store_b16 v[0:1], v5, off
.LBB96_671:
	s_mov_b32 s18, 0
.LBB96_672:
	s_delay_alu instid0(SALU_CYCLE_1)
	s_and_not1_b32 vcc_lo, exec_lo, s18
	s_cbranch_vccnz .LBB96_688
; %bb.673:
	v_cmp_gt_i16_e32 vcc_lo, 2, v6
	s_mov_b32 s18, -1
	s_cbranch_vccnz .LBB96_683
; %bb.674:
	v_cmp_gt_i16_e32 vcc_lo, 3, v6
	s_cbranch_vccnz .LBB96_680
; %bb.675:
	v_cmp_lt_i16_e32 vcc_lo, 3, v6
	s_cbranch_vccz .LBB96_677
; %bb.676:
	v_cvt_f32_f16_e32 v7, v5
	s_mov_b32 s18, 0
	s_delay_alu instid0(VALU_DEP_1) | instskip(NEXT) | instid1(VALU_DEP_1)
	v_cvt_i32_f32_e32 v7, v7
	v_ashrrev_i32_e32 v8, 31, v7
	global_store_b64 v[0:1], v[7:8], off
.LBB96_677:
	s_and_not1_b32 vcc_lo, exec_lo, s18
	s_cbranch_vccnz .LBB96_679
; %bb.678:
	v_cvt_f32_f16_e32 v7, v5
	s_delay_alu instid0(VALU_DEP_1)
	v_cvt_i32_f32_e32 v7, v7
	global_store_b32 v[0:1], v7, off
.LBB96_679:
	s_mov_b32 s18, 0
.LBB96_680:
	s_delay_alu instid0(SALU_CYCLE_1)
	s_and_not1_b32 vcc_lo, exec_lo, s18
	s_cbranch_vccnz .LBB96_682
; %bb.681:
	v_cvt_i16_f16_e32 v7, v5
	global_store_b16 v[0:1], v7, off
.LBB96_682:
	s_mov_b32 s18, 0
.LBB96_683:
	s_delay_alu instid0(SALU_CYCLE_1)
	s_and_not1_b32 vcc_lo, exec_lo, s18
	s_cbranch_vccnz .LBB96_688
; %bb.684:
	v_cmp_lt_i16_e32 vcc_lo, 0, v6
	s_mov_b32 s18, -1
	s_cbranch_vccz .LBB96_686
; %bb.685:
	v_cvt_i16_f16_e32 v6, v5
	s_mov_b32 s18, 0
	global_store_b8 v[0:1], v6, off
.LBB96_686:
	s_and_not1_b32 vcc_lo, exec_lo, s18
	s_cbranch_vccnz .LBB96_688
; %bb.687:
	v_cvt_f32_f16_e32 v5, v5
	s_delay_alu instid0(VALU_DEP_1)
	v_cvt_i32_f32_e32 v5, v5
	global_store_b8 v[0:1], v5, off
.LBB96_688:
	s_branch .LBB96_765
.LBB96_689:
	s_mov_b32 s19, 0
.LBB96_690:
                                        ; implicit-def: $vgpr3
	s_branch .LBB96_766
.LBB96_691:
	s_mov_b32 s0, s14
	s_branch .LBB96_722
.LBB96_692:
	s_mov_b32 s0, s14
	s_branch .LBB96_705
.LBB96_693:
	s_mov_b32 s0, s14
	s_branch .LBB96_701
.LBB96_694:
	s_mov_b32 s0, s14
.LBB96_695:
	s_and_b32 vcc_lo, exec_lo, s19
	s_cbranch_vccz .LBB96_700
; %bb.696:
	v_cmp_eq_u16_e32 vcc_lo, 44, v6
	s_mov_b32 s0, -1
	s_cbranch_vccz .LBB96_700
; %bb.697:
	v_cvt_f32_f16_e32 v7, v5
	v_mov_b32_e32 v8, 0xff
	s_mov_b32 s18, exec_lo
	s_delay_alu instid0(VALU_DEP_2) | instskip(NEXT) | instid1(VALU_DEP_1)
	v_bfe_u32 v9, v7, 23, 8
	v_cmpx_ne_u32_e32 0xff, v9
; %bb.698:
	v_and_b32_e32 v8, 0x400000, v7
	v_and_or_b32 v9, 0x3fffff, v7, v9
	v_lshrrev_b32_e32 v7, 23, v7
	s_delay_alu instid0(VALU_DEP_3) | instskip(NEXT) | instid1(VALU_DEP_3)
	v_cmp_ne_u32_e32 vcc_lo, 0, v8
	v_cmp_ne_u32_e64 s0, 0, v9
	s_delay_alu instid0(VALU_DEP_1) | instskip(NEXT) | instid1(SALU_CYCLE_1)
	s_and_b32 s0, vcc_lo, s0
	v_cndmask_b32_e64 v8, 0, 1, s0
	s_delay_alu instid0(VALU_DEP_1)
	v_add_nc_u32_e32 v8, v7, v8
; %bb.699:
	s_or_b32 exec_lo, exec_lo, s18
	s_mov_b32 s18, -1
	s_mov_b32 s0, 0
	global_store_b8 v[0:1], v8, off
.LBB96_700:
	s_mov_b32 s19, 0
.LBB96_701:
	s_delay_alu instid0(SALU_CYCLE_1)
	s_and_b32 vcc_lo, exec_lo, s19
	s_cbranch_vccz .LBB96_704
; %bb.702:
	v_cmp_eq_u16_e32 vcc_lo, 29, v6
	s_mov_b32 s0, -1
	s_cbranch_vccz .LBB96_704
; %bb.703:
	v_cvt_f32_f16_e32 v7, v5
	v_mov_b32_e32 v8, 0
	s_mov_b32 s0, 0
	s_mov_b32 s18, -1
	s_mov_b32 s19, 0
	v_cvt_u32_f32_e32 v7, v7
	global_store_b64 v[0:1], v[7:8], off
	s_branch .LBB96_705
.LBB96_704:
	s_mov_b32 s19, 0
.LBB96_705:
	s_delay_alu instid0(SALU_CYCLE_1)
	s_and_b32 vcc_lo, exec_lo, s19
	s_cbranch_vccz .LBB96_721
; %bb.706:
	v_cmp_gt_i16_e32 vcc_lo, 27, v6
	s_mov_b32 s18, -1
	s_cbranch_vccnz .LBB96_712
; %bb.707:
	v_cmp_lt_i16_e32 vcc_lo, 27, v6
	s_cbranch_vccz .LBB96_709
; %bb.708:
	v_cvt_f32_f16_e32 v7, v5
	s_mov_b32 s18, 0
	s_delay_alu instid0(VALU_DEP_1)
	v_cvt_u32_f32_e32 v7, v7
	global_store_b32 v[0:1], v7, off
.LBB96_709:
	s_and_not1_b32 vcc_lo, exec_lo, s18
	s_cbranch_vccnz .LBB96_711
; %bb.710:
	v_cvt_u16_f16_e32 v7, v5
	global_store_b16 v[0:1], v7, off
.LBB96_711:
	s_mov_b32 s18, 0
.LBB96_712:
	s_delay_alu instid0(SALU_CYCLE_1)
	s_and_not1_b32 vcc_lo, exec_lo, s18
	s_cbranch_vccnz .LBB96_720
; %bb.713:
	v_cvt_f32_f16_e32 v7, v5
	v_mov_b32_e32 v9, 0x80
	s_mov_b32 s18, exec_lo
	s_delay_alu instid0(VALU_DEP_2) | instskip(NEXT) | instid1(VALU_DEP_1)
	v_and_b32_e32 v8, 0x7fffffff, v7
	v_cmpx_gt_u32_e32 0x43800000, v8
	s_cbranch_execz .LBB96_719
; %bb.714:
	v_cmp_lt_u32_e32 vcc_lo, 0x3bffffff, v8
	s_mov_b32 s19, 0
                                        ; implicit-def: $vgpr8
	s_and_saveexec_b32 s20, vcc_lo
	s_delay_alu instid0(SALU_CYCLE_1)
	s_xor_b32 s20, exec_lo, s20
	s_cbranch_execz .LBB96_780
; %bb.715:
	v_bfe_u32 v8, v7, 20, 1
	s_mov_b32 s19, exec_lo
	s_delay_alu instid0(VALU_DEP_1) | instskip(NEXT) | instid1(VALU_DEP_1)
	v_add3_u32 v8, v7, v8, 0x487ffff
	v_lshrrev_b32_e32 v8, 20, v8
	s_or_saveexec_b32 s20, s20
                                        ; implicit-def: $sgpr21
	s_delay_alu instid0(SALU_CYCLE_1)
	s_xor_b32 exec_lo, exec_lo, s20
	s_cbranch_execnz .LBB96_781
.LBB96_716:
	s_or_b32 exec_lo, exec_lo, s20
	v_mov_b32_e32 v9, s21
	s_and_saveexec_b32 s20, s19
.LBB96_717:
	v_lshrrev_b32_e32 v7, 24, v7
	s_delay_alu instid0(VALU_DEP_1)
	v_and_or_b32 v9, 0x80, v7, v8
.LBB96_718:
	s_or_b32 exec_lo, exec_lo, s20
.LBB96_719:
	s_delay_alu instid0(SALU_CYCLE_1)
	s_or_b32 exec_lo, exec_lo, s18
	global_store_b8 v[0:1], v9, off
.LBB96_720:
	s_mov_b32 s18, -1
.LBB96_721:
	s_mov_b32 s19, 0
.LBB96_722:
	s_delay_alu instid0(SALU_CYCLE_1)
	s_and_b32 vcc_lo, exec_lo, s19
	s_cbranch_vccz .LBB96_763
; %bb.723:
	v_cmp_lt_i16_e32 vcc_lo, 22, v6
	s_mov_b32 s19, -1
	s_cbranch_vccz .LBB96_755
; %bb.724:
	v_cmp_gt_i16_e32 vcc_lo, 24, v6
	s_mov_b32 s18, -1
	s_cbranch_vccnz .LBB96_744
; %bb.725:
	v_cmp_lt_i16_e32 vcc_lo, 24, v6
	s_cbranch_vccz .LBB96_733
; %bb.726:
	v_cvt_f32_f16_e32 v7, v5
	v_mov_b32_e32 v9, 0x80
	s_mov_b32 s18, exec_lo
	s_delay_alu instid0(VALU_DEP_2) | instskip(NEXT) | instid1(VALU_DEP_1)
	v_and_b32_e32 v8, 0x7fffffff, v7
	v_cmpx_gt_u32_e32 0x47800000, v8
	s_cbranch_execz .LBB96_732
; %bb.727:
	v_cmp_lt_u32_e32 vcc_lo, 0x37ffffff, v8
	s_mov_b32 s19, 0
                                        ; implicit-def: $vgpr8
	s_and_saveexec_b32 s20, vcc_lo
	s_delay_alu instid0(SALU_CYCLE_1)
	s_xor_b32 s20, exec_lo, s20
	s_cbranch_execz .LBB96_783
; %bb.728:
	v_bfe_u32 v8, v7, 21, 1
	s_mov_b32 s19, exec_lo
	s_delay_alu instid0(VALU_DEP_1) | instskip(NEXT) | instid1(VALU_DEP_1)
	v_add3_u32 v8, v7, v8, 0x88fffff
	v_lshrrev_b32_e32 v8, 21, v8
	s_or_saveexec_b32 s20, s20
                                        ; implicit-def: $sgpr21
	s_delay_alu instid0(SALU_CYCLE_1)
	s_xor_b32 exec_lo, exec_lo, s20
	s_cbranch_execnz .LBB96_784
.LBB96_729:
	s_or_b32 exec_lo, exec_lo, s20
	v_mov_b32_e32 v9, s21
	s_and_saveexec_b32 s20, s19
.LBB96_730:
	v_lshrrev_b32_e32 v7, 24, v7
	s_delay_alu instid0(VALU_DEP_1)
	v_and_or_b32 v9, 0x80, v7, v8
.LBB96_731:
	s_or_b32 exec_lo, exec_lo, s20
.LBB96_732:
	s_delay_alu instid0(SALU_CYCLE_1)
	s_or_b32 exec_lo, exec_lo, s18
	s_mov_b32 s18, 0
	global_store_b8 v[0:1], v9, off
.LBB96_733:
	s_and_b32 vcc_lo, exec_lo, s18
	s_cbranch_vccz .LBB96_743
; %bb.734:
	v_cvt_f32_f16_e32 v7, v5
	s_mov_b32 s18, exec_lo
                                        ; implicit-def: $vgpr8
	s_delay_alu instid0(VALU_DEP_1) | instskip(NEXT) | instid1(VALU_DEP_1)
	v_and_b32_e32 v9, 0x7fffffff, v7
	v_cmpx_gt_u32_e32 0x43f00000, v9
	s_xor_b32 s18, exec_lo, s18
	s_cbranch_execz .LBB96_740
; %bb.735:
	s_mov_b32 s19, exec_lo
                                        ; implicit-def: $vgpr8
	v_cmpx_lt_u32_e32 0x3c7fffff, v9
	s_xor_b32 s19, exec_lo, s19
; %bb.736:
	v_bfe_u32 v8, v7, 20, 1
	s_delay_alu instid0(VALU_DEP_1) | instskip(NEXT) | instid1(VALU_DEP_1)
	v_add3_u32 v8, v7, v8, 0x407ffff
	v_and_b32_e32 v9, 0xff00000, v8
	v_lshrrev_b32_e32 v8, 20, v8
	s_delay_alu instid0(VALU_DEP_2) | instskip(NEXT) | instid1(VALU_DEP_2)
	v_cmp_ne_u32_e32 vcc_lo, 0x7f00000, v9
	v_cndmask_b32_e32 v8, 0x7e, v8, vcc_lo
; %bb.737:
	s_and_not1_saveexec_b32 s19, s19
; %bb.738:
	v_add_f32_e64 v8, 0x46800000, |v7|
; %bb.739:
	s_or_b32 exec_lo, exec_lo, s19
                                        ; implicit-def: $vgpr9
.LBB96_740:
	s_and_not1_saveexec_b32 s18, s18
; %bb.741:
	v_mov_b32_e32 v8, 0x7f
	v_cmp_lt_u32_e32 vcc_lo, 0x7f800000, v9
	s_delay_alu instid0(VALU_DEP_2)
	v_cndmask_b32_e32 v8, 0x7e, v8, vcc_lo
; %bb.742:
	s_or_b32 exec_lo, exec_lo, s18
	v_lshrrev_b32_e32 v7, 24, v7
	s_delay_alu instid0(VALU_DEP_1)
	v_and_or_b32 v7, 0x80, v7, v8
	global_store_b8 v[0:1], v7, off
.LBB96_743:
	s_mov_b32 s18, 0
.LBB96_744:
	s_delay_alu instid0(SALU_CYCLE_1)
	s_and_not1_b32 vcc_lo, exec_lo, s18
	s_cbranch_vccnz .LBB96_754
; %bb.745:
	v_cvt_f32_f16_e32 v7, v5
	s_mov_b32 s18, exec_lo
                                        ; implicit-def: $vgpr8
	s_delay_alu instid0(VALU_DEP_1) | instskip(NEXT) | instid1(VALU_DEP_1)
	v_and_b32_e32 v9, 0x7fffffff, v7
	v_cmpx_gt_u32_e32 0x47800000, v9
	s_xor_b32 s18, exec_lo, s18
	s_cbranch_execz .LBB96_751
; %bb.746:
	s_mov_b32 s19, exec_lo
                                        ; implicit-def: $vgpr8
	v_cmpx_lt_u32_e32 0x387fffff, v9
	s_xor_b32 s19, exec_lo, s19
; %bb.747:
	v_bfe_u32 v8, v7, 21, 1
	s_delay_alu instid0(VALU_DEP_1) | instskip(NEXT) | instid1(VALU_DEP_1)
	v_add3_u32 v8, v7, v8, 0x80fffff
	v_lshrrev_b32_e32 v8, 21, v8
; %bb.748:
	s_and_not1_saveexec_b32 s19, s19
; %bb.749:
	v_add_f32_e64 v8, 0x43000000, |v7|
; %bb.750:
	s_or_b32 exec_lo, exec_lo, s19
                                        ; implicit-def: $vgpr9
.LBB96_751:
	s_and_not1_saveexec_b32 s18, s18
; %bb.752:
	v_mov_b32_e32 v8, 0x7f
	v_cmp_lt_u32_e32 vcc_lo, 0x7f800000, v9
	s_delay_alu instid0(VALU_DEP_2)
	v_cndmask_b32_e32 v8, 0x7c, v8, vcc_lo
; %bb.753:
	s_or_b32 exec_lo, exec_lo, s18
	v_lshrrev_b32_e32 v7, 24, v7
	s_delay_alu instid0(VALU_DEP_1)
	v_and_or_b32 v7, 0x80, v7, v8
	global_store_b8 v[0:1], v7, off
.LBB96_754:
	s_mov_b32 s19, 0
	s_mov_b32 s18, -1
.LBB96_755:
	s_and_not1_b32 vcc_lo, exec_lo, s19
	s_cbranch_vccnz .LBB96_763
; %bb.756:
	v_cmp_lt_i16_e32 vcc_lo, 14, v6
	s_mov_b32 s19, -1
	s_cbranch_vccz .LBB96_760
; %bb.757:
	v_cmp_eq_u16_e32 vcc_lo, 15, v6
	s_mov_b32 s0, -1
	s_cbranch_vccz .LBB96_759
; %bb.758:
	v_cvt_f32_f16_e32 v7, v5
	v_cmp_o_f16_e32 vcc_lo, v5, v5
	s_mov_b32 s18, -1
	s_mov_b32 s0, 0
	s_delay_alu instid0(VALU_DEP_2) | instskip(NEXT) | instid1(VALU_DEP_1)
	v_bfe_u32 v8, v7, 16, 1
	v_add3_u32 v7, v7, v8, 0x7fff
	s_delay_alu instid0(VALU_DEP_1) | instskip(NEXT) | instid1(VALU_DEP_1)
	v_lshrrev_b32_e32 v7, 16, v7
	v_cndmask_b32_e32 v7, 0x7fc0, v7, vcc_lo
	global_store_b16 v[0:1], v7, off
.LBB96_759:
	s_mov_b32 s19, 0
.LBB96_760:
	s_delay_alu instid0(SALU_CYCLE_1)
	s_and_b32 vcc_lo, exec_lo, s19
	s_cbranch_vccz .LBB96_763
; %bb.761:
	v_cmp_eq_u16_e32 vcc_lo, 11, v6
	s_mov_b32 s0, -1
	s_cbranch_vccz .LBB96_763
; %bb.762:
	v_cmp_neq_f16_e32 vcc_lo, 0, v5
	s_mov_b32 s0, 0
	s_mov_b32 s18, -1
	v_cndmask_b32_e64 v7, 0, 1, vcc_lo
	global_store_b8 v[0:1], v7, off
.LBB96_763:
.LBB96_764:
	s_and_not1_b32 vcc_lo, exec_lo, s18
	s_cbranch_vccnz .LBB96_689
.LBB96_765:
	v_add_nc_u32_e32 v3, 0x80, v3
	s_mov_b32 s19, -1
.LBB96_766:
	s_and_not1_b32 s18, s14, exec_lo
	s_and_b32 s0, s0, exec_lo
	s_and_not1_b32 s20, s13, exec_lo
	s_and_b32 s17, s17, exec_lo
	s_or_b32 s18, s18, s0
	s_or_b32 s17, s20, s17
	s_or_not1_b32 s0, s19, exec_lo
.LBB96_767:
	s_or_b32 exec_lo, exec_lo, s16
	s_mov_b32 s19, 0
	s_mov_b32 s20, 0
	;; [unrolled: 1-line block ×3, first 2 shown]
                                        ; implicit-def: $vgpr0_vgpr1
                                        ; implicit-def: $vgpr6
	s_and_saveexec_b32 s16, s0
	s_cbranch_execz .LBB96_852
; %bb.768:
	v_cmp_gt_i32_e32 vcc_lo, s10, v3
	s_mov_b32 s0, 0
	s_mov_b32 s19, s17
                                        ; implicit-def: $vgpr0_vgpr1
                                        ; implicit-def: $vgpr6
	s_and_saveexec_b32 s10, vcc_lo
	s_cbranch_execz .LBB96_851
; %bb.769:
	v_mul_lo_u32 v0, v3, s3
	v_cmp_gt_i16_e32 vcc_lo, 11, v4
	s_delay_alu instid0(VALU_DEP_2) | instskip(SKIP_1) | instid1(VALU_DEP_1)
	v_ashrrev_i32_e32 v1, 31, v0
	v_add_co_u32 v0, s0, s6, v0
	v_add_co_ci_u32_e64 v1, s0, s7, v1, s0
	s_cbranch_vccnz .LBB96_776
; %bb.770:
	v_cmp_lt_i16_e32 vcc_lo, 25, v4
	s_mov_b32 s19, 0
	s_cbranch_vccz .LBB96_777
; %bb.771:
	v_cmp_lt_i16_e32 vcc_lo, 28, v4
	s_cbranch_vccz .LBB96_778
; %bb.772:
	v_cmp_lt_i16_e32 vcc_lo, 43, v4
	s_cbranch_vccz .LBB96_779
; %bb.773:
	v_cmp_lt_i16_e32 vcc_lo, 45, v4
	s_cbranch_vccz .LBB96_782
; %bb.774:
	v_cmp_eq_u16_e32 vcc_lo, 46, v4
	s_cbranch_vccz .LBB96_785
; %bb.775:
	global_load_b32 v5, v[0:1], off
	s_mov_b32 s0, 0
	s_mov_b32 s20, -1
	s_waitcnt vmcnt(0)
	v_lshlrev_b32_e32 v5, 16, v5
	s_delay_alu instid0(VALU_DEP_1)
	v_cvt_f16_f32_e32 v6, v5
	s_branch .LBB96_787
.LBB96_776:
	s_mov_b32 s22, -1
	s_mov_b32 s19, 0
	s_mov_b32 s0, s17
                                        ; implicit-def: $vgpr6
	s_branch .LBB96_850
.LBB96_777:
	s_mov_b32 s21, -1
	s_mov_b32 s0, s17
                                        ; implicit-def: $vgpr6
	s_branch .LBB96_816
.LBB96_778:
	s_mov_b32 s21, -1
	s_mov_b32 s0, s17
                                        ; implicit-def: $vgpr6
	s_branch .LBB96_797
.LBB96_779:
	s_mov_b32 s21, -1
	s_mov_b32 s0, s17
                                        ; implicit-def: $vgpr6
	s_branch .LBB96_792
.LBB96_780:
	s_or_saveexec_b32 s20, s20
                                        ; implicit-def: $sgpr21
	s_delay_alu instid0(SALU_CYCLE_1)
	s_xor_b32 exec_lo, exec_lo, s20
	s_cbranch_execz .LBB96_716
.LBB96_781:
	v_add_f32_e64 v8, 0x46000000, |v7|
	s_and_not1_b32 s19, s19, exec_lo
	s_mov_b32 s21, 0
	s_delay_alu instid0(VALU_DEP_1) | instskip(NEXT) | instid1(VALU_DEP_1)
	v_and_b32_e32 v8, 0xff, v8
	v_cmp_ne_u32_e32 vcc_lo, 0, v8
	s_and_b32 s22, vcc_lo, exec_lo
	s_delay_alu instid0(SALU_CYCLE_1)
	s_or_b32 s19, s19, s22
	s_or_b32 exec_lo, exec_lo, s20
	v_mov_b32_e32 v9, s21
	s_and_saveexec_b32 s20, s19
	s_cbranch_execnz .LBB96_717
	s_branch .LBB96_718
.LBB96_782:
	s_mov_b32 s21, -1
	s_mov_b32 s0, s17
	s_branch .LBB96_786
.LBB96_783:
	s_or_saveexec_b32 s20, s20
                                        ; implicit-def: $sgpr21
	s_delay_alu instid0(SALU_CYCLE_1)
	s_xor_b32 exec_lo, exec_lo, s20
	s_cbranch_execz .LBB96_729
.LBB96_784:
	v_add_f32_e64 v8, 0x42800000, |v7|
	s_and_not1_b32 s19, s19, exec_lo
	s_mov_b32 s21, 0
	s_delay_alu instid0(VALU_DEP_1) | instskip(NEXT) | instid1(VALU_DEP_1)
	v_and_b32_e32 v8, 0xff, v8
	v_cmp_ne_u32_e32 vcc_lo, 0, v8
	s_and_b32 s22, vcc_lo, exec_lo
	s_delay_alu instid0(SALU_CYCLE_1)
	s_or_b32 s19, s19, s22
	s_or_b32 exec_lo, exec_lo, s20
	v_mov_b32_e32 v9, s21
	s_and_saveexec_b32 s20, s19
	s_cbranch_execnz .LBB96_730
	s_branch .LBB96_731
.LBB96_785:
	s_mov_b32 s0, -1
.LBB96_786:
                                        ; implicit-def: $vgpr6
.LBB96_787:
	s_and_b32 vcc_lo, exec_lo, s21
	s_cbranch_vccz .LBB96_791
; %bb.788:
	v_cmp_eq_u16_e32 vcc_lo, 44, v4
	s_cbranch_vccz .LBB96_790
; %bb.789:
	global_load_u8 v5, v[0:1], off
	s_mov_b32 s0, 0
	s_mov_b32 s20, -1
	s_waitcnt vmcnt(0)
	v_lshlrev_b32_e32 v6, 23, v5
	v_cmp_ne_u32_e32 vcc_lo, 0xff, v5
	s_delay_alu instid0(VALU_DEP_2) | instskip(NEXT) | instid1(VALU_DEP_1)
	v_cvt_f16_f32_e32 v6, v6
	v_cndmask_b32_e32 v6, 0x7e00, v6, vcc_lo
	v_cmp_ne_u32_e32 vcc_lo, 0, v5
	s_delay_alu instid0(VALU_DEP_2)
	v_cndmask_b32_e32 v6, 0, v6, vcc_lo
	s_branch .LBB96_791
.LBB96_790:
	s_mov_b32 s0, -1
                                        ; implicit-def: $vgpr6
.LBB96_791:
	s_mov_b32 s21, 0
.LBB96_792:
	s_delay_alu instid0(SALU_CYCLE_1)
	s_and_b32 vcc_lo, exec_lo, s21
	s_cbranch_vccz .LBB96_796
; %bb.793:
	v_cmp_eq_u16_e32 vcc_lo, 29, v4
	s_cbranch_vccz .LBB96_795
; %bb.794:
	global_load_b64 v[5:6], v[0:1], off
	s_mov_b32 s0, 0
	s_mov_b32 s20, -1
	s_mov_b32 s21, 0
	s_waitcnt vmcnt(0)
	v_clz_i32_u32_e32 v7, v6
	s_delay_alu instid0(VALU_DEP_1) | instskip(NEXT) | instid1(VALU_DEP_1)
	v_min_u32_e32 v7, 32, v7
	v_lshlrev_b64 v[5:6], v7, v[5:6]
	s_delay_alu instid0(VALU_DEP_1) | instskip(NEXT) | instid1(VALU_DEP_1)
	v_min_u32_e32 v5, 1, v5
	v_or_b32_e32 v5, v6, v5
	v_sub_nc_u32_e32 v6, 32, v7
	s_delay_alu instid0(VALU_DEP_2) | instskip(NEXT) | instid1(VALU_DEP_1)
	v_cvt_f32_u32_e32 v5, v5
	v_ldexp_f32 v5, v5, v6
	s_delay_alu instid0(VALU_DEP_1)
	v_cvt_f16_f32_e32 v6, v5
	s_branch .LBB96_797
.LBB96_795:
	s_mov_b32 s0, -1
                                        ; implicit-def: $vgpr6
.LBB96_796:
	s_mov_b32 s21, 0
.LBB96_797:
	s_delay_alu instid0(SALU_CYCLE_1)
	s_and_b32 vcc_lo, exec_lo, s21
	s_cbranch_vccz .LBB96_815
; %bb.798:
	v_cmp_gt_i16_e32 vcc_lo, 27, v4
	s_cbranch_vccnz .LBB96_801
; %bb.799:
	v_cmp_lt_i16_e32 vcc_lo, 27, v4
	s_cbranch_vccz .LBB96_802
; %bb.800:
	global_load_b32 v5, v[0:1], off
	s_mov_b32 s20, 0
	s_waitcnt vmcnt(0)
	v_cvt_f32_u32_e32 v5, v5
	s_delay_alu instid0(VALU_DEP_1)
	v_cvt_f16_f32_e32 v6, v5
	s_branch .LBB96_803
.LBB96_801:
	s_mov_b32 s20, -1
                                        ; implicit-def: $vgpr6
	s_branch .LBB96_806
.LBB96_802:
	s_mov_b32 s20, -1
                                        ; implicit-def: $vgpr6
.LBB96_803:
	s_delay_alu instid0(SALU_CYCLE_1)
	s_and_not1_b32 vcc_lo, exec_lo, s20
	s_cbranch_vccnz .LBB96_805
; %bb.804:
	global_load_u16 v5, v[0:1], off
	s_waitcnt vmcnt(0)
	v_cvt_f16_u16_e32 v6, v5
.LBB96_805:
	s_mov_b32 s20, 0
.LBB96_806:
	s_delay_alu instid0(SALU_CYCLE_1)
	s_and_not1_b32 vcc_lo, exec_lo, s20
	s_cbranch_vccnz .LBB96_814
; %bb.807:
	global_load_u8 v5, v[0:1], off
	s_mov_b32 s20, 0
	s_mov_b32 s22, exec_lo
                                        ; implicit-def: $sgpr21
	s_waitcnt vmcnt(0)
	v_cmpx_lt_i16_e32 0x7f, v5
	s_xor_b32 s22, exec_lo, s22
	s_cbranch_execz .LBB96_828
; %bb.808:
	s_mov_b32 s20, -1
	s_mov_b32 s23, exec_lo
                                        ; implicit-def: $sgpr21
	v_cmpx_eq_u16_e32 0x80, v5
; %bb.809:
	s_movk_i32 s21, 0x7e00
	s_xor_b32 s20, exec_lo, -1
; %bb.810:
	s_or_b32 exec_lo, exec_lo, s23
	s_delay_alu instid0(SALU_CYCLE_1)
	s_and_b32 s20, s20, exec_lo
	s_or_saveexec_b32 s22, s22
	v_mov_b32_e32 v6, s21
	s_xor_b32 exec_lo, exec_lo, s22
	s_cbranch_execnz .LBB96_829
.LBB96_811:
	s_or_b32 exec_lo, exec_lo, s22
	s_and_saveexec_b32 s21, s20
	s_cbranch_execz .LBB96_813
.LBB96_812:
	v_and_b32_e32 v6, 0xffff, v5
	v_lshlrev_b32_e32 v5, 24, v5
	s_delay_alu instid0(VALU_DEP_2) | instskip(NEXT) | instid1(VALU_DEP_2)
	v_and_b32_e32 v7, 7, v6
	v_and_b32_e32 v5, 0x80000000, v5
	s_delay_alu instid0(VALU_DEP_2) | instskip(NEXT) | instid1(VALU_DEP_1)
	v_clz_i32_u32_e32 v8, v7
	v_min_u32_e32 v8, 32, v8
	s_delay_alu instid0(VALU_DEP_1) | instskip(SKIP_1) | instid1(VALU_DEP_2)
	v_subrev_nc_u32_e32 v9, 28, v8
	v_sub_nc_u32_e32 v8, 29, v8
	v_lshlrev_b32_e32 v9, v9, v6
	v_bfe_u32 v6, v6, 3, 4
	s_delay_alu instid0(VALU_DEP_2) | instskip(NEXT) | instid1(VALU_DEP_2)
	v_and_b32_e32 v9, 7, v9
	v_cmp_eq_u32_e32 vcc_lo, 0, v6
	s_delay_alu instid0(VALU_DEP_2) | instskip(NEXT) | instid1(VALU_DEP_1)
	v_dual_cndmask_b32 v6, v6, v8 :: v_dual_cndmask_b32 v7, v7, v9
	v_lshl_add_u32 v6, v6, 23, 0x3b800000
	s_delay_alu instid0(VALU_DEP_2) | instskip(NEXT) | instid1(VALU_DEP_1)
	v_lshlrev_b32_e32 v7, 20, v7
	v_or3_b32 v5, v5, v6, v7
	s_delay_alu instid0(VALU_DEP_1)
	v_cvt_f16_f32_e32 v6, v5
.LBB96_813:
	s_or_b32 exec_lo, exec_lo, s21
.LBB96_814:
	s_mov_b32 s20, -1
.LBB96_815:
	s_mov_b32 s21, 0
.LBB96_816:
	s_delay_alu instid0(SALU_CYCLE_1)
	s_and_b32 vcc_lo, exec_lo, s21
	s_cbranch_vccz .LBB96_849
; %bb.817:
	v_cmp_lt_i16_e32 vcc_lo, 22, v4
	s_cbranch_vccz .LBB96_827
; %bb.818:
	v_cmp_gt_i16_e32 vcc_lo, 24, v4
	s_cbranch_vccnz .LBB96_830
; %bb.819:
	v_cmp_lt_i16_e32 vcc_lo, 24, v4
	s_cbranch_vccz .LBB96_831
; %bb.820:
	global_load_u8 v5, v[0:1], off
	s_mov_b32 s21, exec_lo
                                        ; implicit-def: $sgpr20
	s_waitcnt vmcnt(0)
	v_cmpx_lt_i16_e32 0x7f, v5
	s_xor_b32 s21, exec_lo, s21
	s_cbranch_execz .LBB96_843
; %bb.821:
	s_mov_b32 s19, -1
	s_mov_b32 s22, exec_lo
                                        ; implicit-def: $sgpr20
	v_cmpx_eq_u16_e32 0x80, v5
; %bb.822:
	s_movk_i32 s20, 0x7e00
	s_xor_b32 s19, exec_lo, -1
; %bb.823:
	s_or_b32 exec_lo, exec_lo, s22
	s_delay_alu instid0(SALU_CYCLE_1)
	s_and_b32 s19, s19, exec_lo
	s_or_saveexec_b32 s21, s21
	v_mov_b32_e32 v6, s20
	s_xor_b32 exec_lo, exec_lo, s21
	s_cbranch_execnz .LBB96_844
.LBB96_824:
	s_or_b32 exec_lo, exec_lo, s21
	s_and_saveexec_b32 s20, s19
	s_cbranch_execz .LBB96_826
.LBB96_825:
	v_and_b32_e32 v6, 0xffff, v5
	v_lshlrev_b32_e32 v5, 24, v5
	s_delay_alu instid0(VALU_DEP_2) | instskip(NEXT) | instid1(VALU_DEP_2)
	v_and_b32_e32 v7, 3, v6
	v_and_b32_e32 v5, 0x80000000, v5
	s_delay_alu instid0(VALU_DEP_2) | instskip(NEXT) | instid1(VALU_DEP_1)
	v_clz_i32_u32_e32 v8, v7
	v_min_u32_e32 v8, 32, v8
	s_delay_alu instid0(VALU_DEP_1) | instskip(SKIP_1) | instid1(VALU_DEP_2)
	v_subrev_nc_u32_e32 v9, 29, v8
	v_sub_nc_u32_e32 v8, 30, v8
	v_lshlrev_b32_e32 v9, v9, v6
	v_bfe_u32 v6, v6, 2, 5
	s_delay_alu instid0(VALU_DEP_2) | instskip(NEXT) | instid1(VALU_DEP_2)
	v_and_b32_e32 v9, 3, v9
	v_cmp_eq_u32_e32 vcc_lo, 0, v6
	s_delay_alu instid0(VALU_DEP_2) | instskip(NEXT) | instid1(VALU_DEP_1)
	v_dual_cndmask_b32 v6, v6, v8 :: v_dual_cndmask_b32 v7, v7, v9
	v_lshl_add_u32 v6, v6, 23, 0x37800000
	s_delay_alu instid0(VALU_DEP_2) | instskip(NEXT) | instid1(VALU_DEP_1)
	v_lshlrev_b32_e32 v7, 21, v7
	v_or3_b32 v5, v5, v6, v7
	s_delay_alu instid0(VALU_DEP_1)
	v_cvt_f16_f32_e32 v6, v5
.LBB96_826:
	s_or_b32 exec_lo, exec_lo, s20
	s_mov_b32 s19, 0
	s_branch .LBB96_832
.LBB96_827:
	s_mov_b32 s19, -1
                                        ; implicit-def: $vgpr6
	s_branch .LBB96_838
.LBB96_828:
	s_or_saveexec_b32 s22, s22
	v_mov_b32_e32 v6, s21
	s_xor_b32 exec_lo, exec_lo, s22
	s_cbranch_execz .LBB96_811
.LBB96_829:
	v_cmp_ne_u16_e32 vcc_lo, 0, v5
	v_mov_b32_e32 v6, v5
	s_and_not1_b32 s20, s20, exec_lo
	s_and_b32 s21, vcc_lo, exec_lo
	s_delay_alu instid0(SALU_CYCLE_1)
	s_or_b32 s20, s20, s21
	s_or_b32 exec_lo, exec_lo, s22
	s_and_saveexec_b32 s21, s20
	s_cbranch_execnz .LBB96_812
	s_branch .LBB96_813
.LBB96_830:
	s_mov_b32 s19, -1
                                        ; implicit-def: $vgpr6
	s_branch .LBB96_835
.LBB96_831:
	s_mov_b32 s19, -1
                                        ; implicit-def: $vgpr6
.LBB96_832:
	s_delay_alu instid0(SALU_CYCLE_1)
	s_and_b32 vcc_lo, exec_lo, s19
	s_cbranch_vccz .LBB96_834
; %bb.833:
	global_load_u8 v5, v[0:1], off
	s_waitcnt vmcnt(0)
	v_lshlrev_b32_e32 v5, 24, v5
	s_delay_alu instid0(VALU_DEP_1) | instskip(NEXT) | instid1(VALU_DEP_1)
	v_and_b32_e32 v6, 0x7f000000, v5
	v_clz_i32_u32_e32 v7, v6
	v_add_nc_u32_e32 v9, 0x1000000, v6
	v_cmp_ne_u32_e32 vcc_lo, 0, v6
	s_delay_alu instid0(VALU_DEP_3) | instskip(NEXT) | instid1(VALU_DEP_1)
	v_min_u32_e32 v7, 32, v7
	v_sub_nc_u32_e64 v7, v7, 4 clamp
	s_delay_alu instid0(VALU_DEP_1) | instskip(SKIP_1) | instid1(VALU_DEP_2)
	v_lshlrev_b32_e32 v8, v7, v6
	v_lshlrev_b32_e32 v7, 23, v7
	v_lshrrev_b32_e32 v8, 4, v8
	s_delay_alu instid0(VALU_DEP_1) | instskip(SKIP_1) | instid1(VALU_DEP_2)
	v_sub_nc_u32_e32 v7, v8, v7
	v_ashrrev_i32_e32 v8, 8, v9
	v_add_nc_u32_e32 v7, 0x3c000000, v7
	s_delay_alu instid0(VALU_DEP_1) | instskip(NEXT) | instid1(VALU_DEP_1)
	v_and_or_b32 v7, 0x7f800000, v8, v7
	v_cndmask_b32_e32 v6, 0, v7, vcc_lo
	s_delay_alu instid0(VALU_DEP_1) | instskip(NEXT) | instid1(VALU_DEP_1)
	v_and_or_b32 v5, 0x80000000, v5, v6
	v_cvt_f16_f32_e32 v6, v5
.LBB96_834:
	s_mov_b32 s19, 0
.LBB96_835:
	s_delay_alu instid0(SALU_CYCLE_1)
	s_and_not1_b32 vcc_lo, exec_lo, s19
	s_cbranch_vccnz .LBB96_837
; %bb.836:
	global_load_u8 v5, v[0:1], off
	s_waitcnt vmcnt(0)
	v_lshlrev_b32_e32 v6, 25, v5
	v_lshlrev_b16 v5, 8, v5
	s_delay_alu instid0(VALU_DEP_2) | instskip(NEXT) | instid1(VALU_DEP_2)
	v_lshrrev_b32_e32 v7, 4, v6
	v_and_or_b32 v8, 0x7f00, v5, 0.5
	v_bfe_i32 v5, v5, 0, 16
	s_delay_alu instid0(VALU_DEP_3) | instskip(NEXT) | instid1(VALU_DEP_1)
	v_or_b32_e32 v7, 0x70000000, v7
	v_dual_add_f32 v8, -0.5, v8 :: v_dual_mul_f32 v7, 0x7800000, v7
	v_cmp_gt_u32_e32 vcc_lo, 0x8000000, v6
	s_delay_alu instid0(VALU_DEP_2) | instskip(NEXT) | instid1(VALU_DEP_1)
	v_cndmask_b32_e32 v6, v7, v8, vcc_lo
	v_and_or_b32 v5, 0x80000000, v5, v6
	s_delay_alu instid0(VALU_DEP_1)
	v_cvt_f16_f32_e32 v6, v5
.LBB96_837:
	s_mov_b32 s19, 0
	s_mov_b32 s20, -1
.LBB96_838:
	s_and_not1_b32 vcc_lo, exec_lo, s19
	s_mov_b32 s19, 0
	s_cbranch_vccnz .LBB96_849
; %bb.839:
	v_cmp_lt_i16_e32 vcc_lo, 14, v4
	s_cbranch_vccz .LBB96_842
; %bb.840:
	v_cmp_eq_u16_e32 vcc_lo, 15, v4
	s_cbranch_vccz .LBB96_845
; %bb.841:
	global_load_u16 v5, v[0:1], off
	s_mov_b32 s0, 0
	s_mov_b32 s20, -1
	s_waitcnt vmcnt(0)
	v_lshlrev_b32_e32 v5, 16, v5
	s_delay_alu instid0(VALU_DEP_1)
	v_cvt_f16_f32_e32 v6, v5
	s_branch .LBB96_847
.LBB96_842:
	s_mov_b32 s19, -1
	s_branch .LBB96_846
.LBB96_843:
	s_or_saveexec_b32 s21, s21
	v_mov_b32_e32 v6, s20
	s_xor_b32 exec_lo, exec_lo, s21
	s_cbranch_execz .LBB96_824
.LBB96_844:
	v_cmp_ne_u16_e32 vcc_lo, 0, v5
	v_mov_b32_e32 v6, v5
	s_and_not1_b32 s19, s19, exec_lo
	s_and_b32 s20, vcc_lo, exec_lo
	s_delay_alu instid0(SALU_CYCLE_1)
	s_or_b32 s19, s19, s20
	s_or_b32 exec_lo, exec_lo, s21
	s_and_saveexec_b32 s20, s19
	s_cbranch_execnz .LBB96_825
	s_branch .LBB96_826
.LBB96_845:
	s_mov_b32 s0, -1
.LBB96_846:
                                        ; implicit-def: $vgpr6
.LBB96_847:
	s_and_b32 vcc_lo, exec_lo, s19
	s_mov_b32 s19, 0
	s_cbranch_vccz .LBB96_849
; %bb.848:
	v_cmp_ne_u16_e32 vcc_lo, 11, v4
	s_and_not1_b32 s0, s0, exec_lo
	s_mov_b32 s19, -1
                                        ; implicit-def: $vgpr6
	s_and_b32 s21, vcc_lo, exec_lo
	s_delay_alu instid0(SALU_CYCLE_1)
	s_or_b32 s0, s0, s21
.LBB96_849:
	s_mov_b32 s22, 0
.LBB96_850:
	s_and_b32 s21, s20, exec_lo
	s_and_b32 s20, s22, exec_lo
	s_and_not1_b32 s22, s17, exec_lo
	s_and_b32 s23, s0, exec_lo
	s_and_b32 s0, s19, exec_lo
	s_or_b32 s19, s22, s23
.LBB96_851:
	s_or_b32 exec_lo, exec_lo, s10
	s_delay_alu instid0(SALU_CYCLE_1)
	s_and_not1_b32 s10, s17, exec_lo
	s_and_b32 s17, s19, exec_lo
	s_and_b32 s21, s21, exec_lo
	;; [unrolled: 1-line block ×4, first 2 shown]
	s_or_b32 s17, s10, s17
.LBB96_852:
	s_or_b32 exec_lo, exec_lo, s16
	s_delay_alu instid0(SALU_CYCLE_1)
	s_and_not1_b32 s0, s14, exec_lo
	s_and_b32 s10, s18, exec_lo
	s_and_b32 s18, s20, exec_lo
	s_or_b32 s14, s0, s10
	s_and_not1_b32 s10, s13, exec_lo
	s_and_b32 s13, s17, exec_lo
	s_and_b32 s0, s21, exec_lo
	;; [unrolled: 1-line block ×3, first 2 shown]
	s_or_b32 s13, s10, s13
.LBB96_853:
	s_or_b32 exec_lo, exec_lo, s15
	s_delay_alu instid0(SALU_CYCLE_1)
	s_and_not1_b32 s9, s9, exec_lo
	s_and_b32 s10, s14, exec_lo
	s_and_b32 s0, s0, exec_lo
	s_or_b32 s9, s9, s10
	s_and_not1_b32 s10, s11, exec_lo
	s_and_b32 s11, s13, exec_lo
	s_and_b32 s14, s18, exec_lo
	s_and_b32 s13, s16, exec_lo
	s_or_b32 s11, s10, s11
.LBB96_854:
	s_or_b32 exec_lo, exec_lo, s12
	s_mov_b32 s10, 0
	s_and_saveexec_b32 s12, s11
	s_cbranch_execnz .LBB96_866
; %bb.855:
	s_or_b32 exec_lo, exec_lo, s12
	s_and_saveexec_b32 s11, s13
	s_delay_alu instid0(SALU_CYCLE_1)
	s_xor_b32 s11, exec_lo, s11
	s_cbranch_execz .LBB96_857
.LBB96_856:
	global_load_u8 v5, v[0:1], off
	s_or_b32 s0, s0, exec_lo
	s_waitcnt vmcnt(0)
	v_cmp_ne_u16_e32 vcc_lo, 0, v5
	v_cndmask_b32_e64 v6, 0, 0x3c00, vcc_lo
.LBB96_857:
	s_or_b32 exec_lo, exec_lo, s11
	s_and_saveexec_b32 s11, s14
	s_cbranch_execz .LBB96_905
; %bb.858:
	v_cmp_gt_i16_e32 vcc_lo, 5, v4
	s_cbranch_vccnz .LBB96_863
; %bb.859:
	v_cmp_gt_i16_e32 vcc_lo, 8, v4
	s_cbranch_vccnz .LBB96_864
	;; [unrolled: 3-line block ×3, first 2 shown]
; %bb.861:
	v_cmp_lt_i16_e32 vcc_lo, 9, v4
	s_cbranch_vccz .LBB96_868
; %bb.862:
	global_load_b64 v[5:6], v[0:1], off
	s_mov_b32 s12, 0
	s_waitcnt vmcnt(0)
	v_cvt_f32_f64_e32 v5, v[5:6]
	s_delay_alu instid0(VALU_DEP_1)
	v_cvt_f16_f32_e32 v6, v5
	s_branch .LBB96_869
.LBB96_863:
                                        ; implicit-def: $vgpr6
	s_branch .LBB96_886
.LBB96_864:
                                        ; implicit-def: $vgpr6
	s_branch .LBB96_875
.LBB96_865:
	s_mov_b32 s12, -1
                                        ; implicit-def: $vgpr6
	s_branch .LBB96_872
.LBB96_866:
	s_cbranch_execnz .LBB96_1084
; %bb.867:
	s_mov_b32 s10, exec_lo
	s_and_not1_b32 s13, s13, exec_lo
                                        ; implicit-def: $vgpr6
	s_or_b32 exec_lo, exec_lo, s12
	s_and_saveexec_b32 s11, s13
	s_delay_alu instid0(SALU_CYCLE_1)
	s_xor_b32 s11, exec_lo, s11
	s_cbranch_execnz .LBB96_856
	s_branch .LBB96_857
.LBB96_868:
	s_mov_b32 s12, -1
                                        ; implicit-def: $vgpr6
.LBB96_869:
	s_delay_alu instid0(SALU_CYCLE_1)
	s_and_not1_b32 vcc_lo, exec_lo, s12
	s_cbranch_vccnz .LBB96_871
; %bb.870:
	global_load_b32 v5, v[0:1], off
	s_waitcnt vmcnt(0)
	v_cvt_f16_f32_e32 v6, v5
.LBB96_871:
	s_mov_b32 s12, 0
.LBB96_872:
	s_delay_alu instid0(SALU_CYCLE_1)
	s_and_not1_b32 vcc_lo, exec_lo, s12
	s_cbranch_vccnz .LBB96_874
; %bb.873:
	global_load_b32 v6, v[0:1], off
.LBB96_874:
	s_cbranch_execnz .LBB96_885
.LBB96_875:
	v_cmp_gt_i16_e32 vcc_lo, 6, v4
	s_cbranch_vccnz .LBB96_878
; %bb.876:
	v_cmp_lt_i16_e32 vcc_lo, 6, v4
	s_cbranch_vccz .LBB96_879
; %bb.877:
	global_load_b64 v[5:6], v[0:1], off
	s_mov_b32 s12, 0
	s_waitcnt vmcnt(0)
	v_cvt_f32_f64_e32 v5, v[5:6]
	s_delay_alu instid0(VALU_DEP_1)
	v_cvt_f16_f32_e32 v6, v5
	s_branch .LBB96_880
.LBB96_878:
	s_mov_b32 s12, -1
                                        ; implicit-def: $vgpr6
	s_branch .LBB96_883
.LBB96_879:
	s_mov_b32 s12, -1
                                        ; implicit-def: $vgpr6
.LBB96_880:
	s_delay_alu instid0(SALU_CYCLE_1)
	s_and_not1_b32 vcc_lo, exec_lo, s12
	s_cbranch_vccnz .LBB96_882
; %bb.881:
	global_load_b32 v5, v[0:1], off
	s_waitcnt vmcnt(0)
	v_cvt_f16_f32_e32 v6, v5
.LBB96_882:
	s_mov_b32 s12, 0
.LBB96_883:
	s_delay_alu instid0(SALU_CYCLE_1)
	s_and_not1_b32 vcc_lo, exec_lo, s12
	s_cbranch_vccnz .LBB96_885
; %bb.884:
	global_load_u16 v6, v[0:1], off
.LBB96_885:
	s_cbranch_execnz .LBB96_904
.LBB96_886:
	v_cmp_gt_i16_e32 vcc_lo, 2, v4
	s_cbranch_vccnz .LBB96_890
; %bb.887:
	v_cmp_gt_i16_e32 vcc_lo, 3, v4
	s_cbranch_vccnz .LBB96_891
; %bb.888:
	v_cmp_lt_i16_e32 vcc_lo, 3, v4
	s_cbranch_vccz .LBB96_892
; %bb.889:
	global_load_b64 v[5:6], v[0:1], off
	s_mov_b32 s12, 0
	s_waitcnt vmcnt(0)
	v_xor_b32_e32 v7, v5, v6
	v_cls_i32_e32 v8, v6
	s_delay_alu instid0(VALU_DEP_2) | instskip(NEXT) | instid1(VALU_DEP_2)
	v_ashrrev_i32_e32 v7, 31, v7
	v_add_nc_u32_e32 v8, -1, v8
	s_delay_alu instid0(VALU_DEP_2) | instskip(NEXT) | instid1(VALU_DEP_1)
	v_add_nc_u32_e32 v7, 32, v7
	v_min_u32_e32 v7, v8, v7
	s_delay_alu instid0(VALU_DEP_1) | instskip(NEXT) | instid1(VALU_DEP_1)
	v_lshlrev_b64 v[5:6], v7, v[5:6]
	v_min_u32_e32 v5, 1, v5
	s_delay_alu instid0(VALU_DEP_1) | instskip(SKIP_1) | instid1(VALU_DEP_2)
	v_or_b32_e32 v5, v6, v5
	v_sub_nc_u32_e32 v6, 32, v7
	v_cvt_f32_i32_e32 v5, v5
	s_delay_alu instid0(VALU_DEP_1) | instskip(NEXT) | instid1(VALU_DEP_1)
	v_ldexp_f32 v5, v5, v6
	v_cvt_f16_f32_e32 v6, v5
	s_branch .LBB96_893
.LBB96_890:
                                        ; implicit-def: $vgpr6
	s_branch .LBB96_899
.LBB96_891:
	s_mov_b32 s12, -1
                                        ; implicit-def: $vgpr6
	s_branch .LBB96_896
.LBB96_892:
	s_mov_b32 s12, -1
                                        ; implicit-def: $vgpr6
.LBB96_893:
	s_delay_alu instid0(SALU_CYCLE_1)
	s_and_not1_b32 vcc_lo, exec_lo, s12
	s_cbranch_vccnz .LBB96_895
; %bb.894:
	global_load_b32 v5, v[0:1], off
	s_waitcnt vmcnt(0)
	v_cvt_f32_i32_e32 v5, v5
	s_delay_alu instid0(VALU_DEP_1)
	v_cvt_f16_f32_e32 v6, v5
.LBB96_895:
	s_mov_b32 s12, 0
.LBB96_896:
	s_delay_alu instid0(SALU_CYCLE_1)
	s_and_not1_b32 vcc_lo, exec_lo, s12
	s_cbranch_vccnz .LBB96_898
; %bb.897:
	global_load_u16 v5, v[0:1], off
	s_waitcnt vmcnt(0)
	v_cvt_f16_i16_e32 v6, v5
.LBB96_898:
	s_cbranch_execnz .LBB96_904
.LBB96_899:
	v_cmp_lt_i16_e32 vcc_lo, 0, v4
	s_mov_b32 s12, 0
	s_cbranch_vccz .LBB96_901
; %bb.900:
	global_load_i8 v4, v[0:1], off
	s_waitcnt vmcnt(0)
	v_cvt_f16_i16_e32 v6, v4
	s_branch .LBB96_902
.LBB96_901:
	s_mov_b32 s12, -1
                                        ; implicit-def: $vgpr6
.LBB96_902:
	s_delay_alu instid0(SALU_CYCLE_1)
	s_and_not1_b32 vcc_lo, exec_lo, s12
	s_cbranch_vccnz .LBB96_904
; %bb.903:
	global_load_u8 v0, v[0:1], off
	s_waitcnt vmcnt(0)
	v_cvt_f16_u16_e32 v6, v0
.LBB96_904:
	s_or_b32 s0, s0, exec_lo
.LBB96_905:
	s_or_b32 exec_lo, exec_lo, s11
	s_mov_b32 s13, 0
	s_mov_b32 s12, 0
                                        ; implicit-def: $vgpr5
                                        ; implicit-def: $vgpr0_vgpr1
                                        ; implicit-def: $vgpr4
	s_and_saveexec_b32 s11, s0
	s_cbranch_execz .LBB96_982
; %bb.906:
	s_waitcnt vmcnt(0)
	v_cvt_f32_f16_e32 v0, v6
	s_mov_b32 s0, 0x3fb8aa3b
	v_mul_lo_u32 v3, v3, s2
	s_mov_b32 s12, -1
	s_delay_alu instid0(VALU_DEP_2) | instskip(SKIP_1) | instid1(VALU_DEP_2)
	v_mul_f32_e32 v1, 0x3fb8aa3b, v0
	v_cmp_ngt_f32_e32 vcc_lo, 0xc2ce8ed0, v0
	v_rndne_f32_e32 v4, v1
	v_fma_mix_f32 v5, v6, s0, -v1 op_sel_hi:[1,0,0]
	s_mov_b32 s0, 0x32a5705f
	s_delay_alu instid0(VALU_DEP_2) | instskip(NEXT) | instid1(VALU_DEP_2)
	v_sub_f32_e32 v1, v1, v4
	v_fma_mix_f32 v5, v6, s0, v5 op_sel_hi:[1,0,0]
	v_cvt_i32_f32_e32 v4, v4
	v_cmp_nlt_f32_e64 s0, 0x42b17218, v0
	s_delay_alu instid0(VALU_DEP_3) | instskip(SKIP_2) | instid1(VALU_DEP_3)
	v_add_f32_e32 v1, v1, v5
	v_and_b32_e32 v5, 0xff, v2
	v_ashrrev_i32_e32 v2, 31, v3
	v_exp_f32_e32 v1, v1
	s_waitcnt_depctr 0xfff
	v_ldexp_f32 v1, v1, v4
	s_delay_alu instid0(VALU_DEP_1) | instskip(SKIP_1) | instid1(VALU_DEP_2)
	v_cndmask_b32_e32 v1, 0, v1, vcc_lo
	v_cmp_gt_i16_e32 vcc_lo, 11, v5
	v_cndmask_b32_e64 v4, 0x7f800000, v1, s0
	v_add_co_u32 v0, s0, s4, v3
	s_delay_alu instid0(VALU_DEP_1) | instskip(NEXT) | instid1(VALU_DEP_3)
	v_add_co_ci_u32_e64 v1, s0, s5, v2, s0
	v_cvt_f16_f32_e32 v4, v4
	s_mov_b32 s0, s9
	s_cbranch_vccnz .LBB96_981
; %bb.907:
	v_cmp_lt_i16_e32 vcc_lo, 25, v5
	s_mov_b32 s0, s9
	s_cbranch_vccz .LBB96_940
; %bb.908:
	v_cmp_lt_i16_e32 vcc_lo, 28, v5
	s_mov_b32 s0, s9
	s_cbranch_vccz .LBB96_924
	;; [unrolled: 4-line block ×4, first 2 shown]
; %bb.911:
	v_cmp_eq_u16_e32 vcc_lo, 46, v5
	s_mov_b32 s0, -1
	s_cbranch_vccz .LBB96_913
; %bb.912:
	v_cvt_f32_f16_e32 v2, v4
	v_cmp_o_f16_e32 vcc_lo, v4, v4
	s_mov_b32 s0, 0
	s_delay_alu instid0(VALU_DEP_2) | instskip(NEXT) | instid1(VALU_DEP_1)
	v_bfe_u32 v3, v2, 16, 1
	v_add3_u32 v2, v2, v3, 0x7fff
	s_delay_alu instid0(VALU_DEP_1) | instskip(NEXT) | instid1(VALU_DEP_1)
	v_lshrrev_b32_e32 v2, 16, v2
	v_cndmask_b32_e32 v2, 0x7fc0, v2, vcc_lo
	global_store_b32 v[0:1], v2, off
.LBB96_913:
	s_mov_b32 s12, 0
.LBB96_914:
	s_delay_alu instid0(SALU_CYCLE_1)
	s_and_b32 vcc_lo, exec_lo, s12
	s_cbranch_vccz .LBB96_919
; %bb.915:
	v_cmp_eq_u16_e32 vcc_lo, 44, v5
	s_mov_b32 s0, -1
	s_cbranch_vccz .LBB96_919
; %bb.916:
	v_cvt_f32_f16_e32 v2, v4
	v_mov_b32_e32 v3, 0xff
	s_mov_b32 s12, exec_lo
	s_delay_alu instid0(VALU_DEP_2) | instskip(NEXT) | instid1(VALU_DEP_1)
	v_bfe_u32 v6, v2, 23, 8
	v_cmpx_ne_u32_e32 0xff, v6
; %bb.917:
	v_and_b32_e32 v3, 0x400000, v2
	v_and_or_b32 v6, 0x3fffff, v2, v6
	v_lshrrev_b32_e32 v2, 23, v2
	s_delay_alu instid0(VALU_DEP_3) | instskip(NEXT) | instid1(VALU_DEP_3)
	v_cmp_ne_u32_e32 vcc_lo, 0, v3
	v_cmp_ne_u32_e64 s0, 0, v6
	s_delay_alu instid0(VALU_DEP_1) | instskip(NEXT) | instid1(SALU_CYCLE_1)
	s_and_b32 s0, vcc_lo, s0
	v_cndmask_b32_e64 v3, 0, 1, s0
	s_delay_alu instid0(VALU_DEP_1)
	v_add_nc_u32_e32 v3, v2, v3
; %bb.918:
	s_or_b32 exec_lo, exec_lo, s12
	s_mov_b32 s0, 0
	global_store_b8 v[0:1], v3, off
.LBB96_919:
	s_mov_b32 s12, 0
.LBB96_920:
	s_delay_alu instid0(SALU_CYCLE_1)
	s_and_b32 vcc_lo, exec_lo, s12
	s_cbranch_vccz .LBB96_923
; %bb.921:
	v_cmp_eq_u16_e32 vcc_lo, 29, v5
	s_mov_b32 s0, -1
	s_cbranch_vccz .LBB96_923
; %bb.922:
	v_cvt_f32_f16_e32 v2, v4
	v_mov_b32_e32 v3, 0
	s_mov_b32 s0, 0
	s_delay_alu instid0(VALU_DEP_2)
	v_cvt_u32_f32_e32 v2, v2
	global_store_b64 v[0:1], v[2:3], off
.LBB96_923:
	s_mov_b32 s12, 0
.LBB96_924:
	s_delay_alu instid0(SALU_CYCLE_1)
	s_and_b32 vcc_lo, exec_lo, s12
	s_cbranch_vccz .LBB96_939
; %bb.925:
	v_cmp_gt_i16_e32 vcc_lo, 27, v5
	s_mov_b32 s12, -1
	s_cbranch_vccnz .LBB96_931
; %bb.926:
	v_cmp_lt_i16_e32 vcc_lo, 27, v5
	s_cbranch_vccz .LBB96_928
; %bb.927:
	v_cvt_f32_f16_e32 v2, v4
	s_mov_b32 s12, 0
	s_delay_alu instid0(VALU_DEP_1)
	v_cvt_u32_f32_e32 v2, v2
	global_store_b32 v[0:1], v2, off
.LBB96_928:
	s_and_not1_b32 vcc_lo, exec_lo, s12
	s_cbranch_vccnz .LBB96_930
; %bb.929:
	v_cvt_u16_f16_e32 v2, v4
	global_store_b16 v[0:1], v2, off
.LBB96_930:
	s_mov_b32 s12, 0
.LBB96_931:
	s_delay_alu instid0(SALU_CYCLE_1)
	s_and_not1_b32 vcc_lo, exec_lo, s12
	s_cbranch_vccnz .LBB96_939
; %bb.932:
	v_cvt_f32_f16_e32 v2, v4
	v_mov_b32_e32 v6, 0x80
	s_mov_b32 s12, exec_lo
	s_delay_alu instid0(VALU_DEP_2) | instskip(NEXT) | instid1(VALU_DEP_1)
	v_and_b32_e32 v3, 0x7fffffff, v2
	v_cmpx_gt_u32_e32 0x43800000, v3
	s_cbranch_execz .LBB96_938
; %bb.933:
	v_cmp_lt_u32_e32 vcc_lo, 0x3bffffff, v3
                                        ; implicit-def: $vgpr3
	s_and_saveexec_b32 s14, vcc_lo
	s_delay_alu instid0(SALU_CYCLE_1)
	s_xor_b32 s14, exec_lo, s14
	s_cbranch_execz .LBB96_1175
; %bb.934:
	v_bfe_u32 v3, v2, 20, 1
	s_mov_b32 s13, exec_lo
	s_delay_alu instid0(VALU_DEP_1) | instskip(NEXT) | instid1(VALU_DEP_1)
	v_add3_u32 v3, v2, v3, 0x487ffff
	v_lshrrev_b32_e32 v3, 20, v3
	s_or_saveexec_b32 s14, s14
                                        ; implicit-def: $sgpr15
	s_delay_alu instid0(SALU_CYCLE_1)
	s_xor_b32 exec_lo, exec_lo, s14
	s_cbranch_execnz .LBB96_1176
.LBB96_935:
	s_or_b32 exec_lo, exec_lo, s14
	v_mov_b32_e32 v6, s15
	s_and_saveexec_b32 s14, s13
.LBB96_936:
	v_lshrrev_b32_e32 v2, 24, v2
	s_delay_alu instid0(VALU_DEP_1)
	v_and_or_b32 v6, 0x80, v2, v3
.LBB96_937:
	s_or_b32 exec_lo, exec_lo, s14
.LBB96_938:
	s_delay_alu instid0(SALU_CYCLE_1)
	s_or_b32 exec_lo, exec_lo, s12
	global_store_b8 v[0:1], v6, off
.LBB96_939:
	s_mov_b32 s12, 0
.LBB96_940:
	s_delay_alu instid0(SALU_CYCLE_1)
	s_and_b32 vcc_lo, exec_lo, s12
	s_mov_b32 s12, 0
	s_cbranch_vccz .LBB96_980
; %bb.941:
	v_cmp_lt_i16_e32 vcc_lo, 22, v5
	s_mov_b32 s13, -1
	s_cbranch_vccz .LBB96_973
; %bb.942:
	v_cmp_gt_i16_e32 vcc_lo, 24, v5
	s_cbranch_vccnz .LBB96_962
; %bb.943:
	v_cmp_lt_i16_e32 vcc_lo, 24, v5
	s_cbranch_vccz .LBB96_951
; %bb.944:
	v_cvt_f32_f16_e32 v2, v4
	v_mov_b32_e32 v6, 0x80
	s_mov_b32 s13, exec_lo
	s_delay_alu instid0(VALU_DEP_2) | instskip(NEXT) | instid1(VALU_DEP_1)
	v_and_b32_e32 v3, 0x7fffffff, v2
	v_cmpx_gt_u32_e32 0x47800000, v3
	s_cbranch_execz .LBB96_950
; %bb.945:
	v_cmp_lt_u32_e32 vcc_lo, 0x37ffffff, v3
	s_mov_b32 s14, 0
                                        ; implicit-def: $vgpr3
	s_and_saveexec_b32 s15, vcc_lo
	s_delay_alu instid0(SALU_CYCLE_1)
	s_xor_b32 s15, exec_lo, s15
	s_cbranch_execz .LBB96_1219
; %bb.946:
	v_bfe_u32 v3, v2, 21, 1
	s_mov_b32 s14, exec_lo
	s_delay_alu instid0(VALU_DEP_1) | instskip(NEXT) | instid1(VALU_DEP_1)
	v_add3_u32 v3, v2, v3, 0x88fffff
	v_lshrrev_b32_e32 v3, 21, v3
	s_or_saveexec_b32 s15, s15
                                        ; implicit-def: $sgpr16
	s_delay_alu instid0(SALU_CYCLE_1)
	s_xor_b32 exec_lo, exec_lo, s15
	s_cbranch_execnz .LBB96_1220
.LBB96_947:
	s_or_b32 exec_lo, exec_lo, s15
	v_mov_b32_e32 v6, s16
	s_and_saveexec_b32 s15, s14
.LBB96_948:
	v_lshrrev_b32_e32 v2, 24, v2
	s_delay_alu instid0(VALU_DEP_1)
	v_and_or_b32 v6, 0x80, v2, v3
.LBB96_949:
	s_or_b32 exec_lo, exec_lo, s15
.LBB96_950:
	s_delay_alu instid0(SALU_CYCLE_1)
	s_or_b32 exec_lo, exec_lo, s13
	s_mov_b32 s13, 0
	global_store_b8 v[0:1], v6, off
.LBB96_951:
	s_and_b32 vcc_lo, exec_lo, s13
	s_cbranch_vccz .LBB96_961
; %bb.952:
	v_cvt_f32_f16_e32 v2, v4
	s_mov_b32 s13, exec_lo
                                        ; implicit-def: $vgpr3
	s_delay_alu instid0(VALU_DEP_1) | instskip(NEXT) | instid1(VALU_DEP_1)
	v_and_b32_e32 v6, 0x7fffffff, v2
	v_cmpx_gt_u32_e32 0x43f00000, v6
	s_xor_b32 s13, exec_lo, s13
	s_cbranch_execz .LBB96_958
; %bb.953:
	s_mov_b32 s14, exec_lo
                                        ; implicit-def: $vgpr3
	v_cmpx_lt_u32_e32 0x3c7fffff, v6
	s_xor_b32 s14, exec_lo, s14
; %bb.954:
	v_bfe_u32 v3, v2, 20, 1
	s_delay_alu instid0(VALU_DEP_1) | instskip(NEXT) | instid1(VALU_DEP_1)
	v_add3_u32 v3, v2, v3, 0x407ffff
	v_and_b32_e32 v6, 0xff00000, v3
	v_lshrrev_b32_e32 v3, 20, v3
	s_delay_alu instid0(VALU_DEP_2) | instskip(NEXT) | instid1(VALU_DEP_2)
	v_cmp_ne_u32_e32 vcc_lo, 0x7f00000, v6
	v_cndmask_b32_e32 v3, 0x7e, v3, vcc_lo
; %bb.955:
	s_and_not1_saveexec_b32 s14, s14
; %bb.956:
	v_add_f32_e64 v3, 0x46800000, |v2|
; %bb.957:
	s_or_b32 exec_lo, exec_lo, s14
                                        ; implicit-def: $vgpr6
.LBB96_958:
	s_and_not1_saveexec_b32 s13, s13
; %bb.959:
	v_mov_b32_e32 v3, 0x7f
	v_cmp_lt_u32_e32 vcc_lo, 0x7f800000, v6
	s_delay_alu instid0(VALU_DEP_2)
	v_cndmask_b32_e32 v3, 0x7e, v3, vcc_lo
; %bb.960:
	s_or_b32 exec_lo, exec_lo, s13
	v_lshrrev_b32_e32 v2, 24, v2
	s_delay_alu instid0(VALU_DEP_1)
	v_and_or_b32 v2, 0x80, v2, v3
	global_store_b8 v[0:1], v2, off
.LBB96_961:
	s_mov_b32 s13, 0
.LBB96_962:
	s_delay_alu instid0(SALU_CYCLE_1)
	s_and_not1_b32 vcc_lo, exec_lo, s13
	s_cbranch_vccnz .LBB96_972
; %bb.963:
	v_cvt_f32_f16_e32 v2, v4
	s_mov_b32 s13, exec_lo
                                        ; implicit-def: $vgpr3
	s_delay_alu instid0(VALU_DEP_1) | instskip(NEXT) | instid1(VALU_DEP_1)
	v_and_b32_e32 v6, 0x7fffffff, v2
	v_cmpx_gt_u32_e32 0x47800000, v6
	s_xor_b32 s13, exec_lo, s13
	s_cbranch_execz .LBB96_969
; %bb.964:
	s_mov_b32 s14, exec_lo
                                        ; implicit-def: $vgpr3
	v_cmpx_lt_u32_e32 0x387fffff, v6
	s_xor_b32 s14, exec_lo, s14
; %bb.965:
	v_bfe_u32 v3, v2, 21, 1
	s_delay_alu instid0(VALU_DEP_1) | instskip(NEXT) | instid1(VALU_DEP_1)
	v_add3_u32 v3, v2, v3, 0x80fffff
	v_lshrrev_b32_e32 v3, 21, v3
; %bb.966:
	s_and_not1_saveexec_b32 s14, s14
; %bb.967:
	v_add_f32_e64 v3, 0x43000000, |v2|
; %bb.968:
	s_or_b32 exec_lo, exec_lo, s14
                                        ; implicit-def: $vgpr6
.LBB96_969:
	s_and_not1_saveexec_b32 s13, s13
; %bb.970:
	v_mov_b32_e32 v3, 0x7f
	v_cmp_lt_u32_e32 vcc_lo, 0x7f800000, v6
	s_delay_alu instid0(VALU_DEP_2)
	v_cndmask_b32_e32 v3, 0x7c, v3, vcc_lo
; %bb.971:
	s_or_b32 exec_lo, exec_lo, s13
	v_lshrrev_b32_e32 v2, 24, v2
	s_delay_alu instid0(VALU_DEP_1)
	v_and_or_b32 v2, 0x80, v2, v3
	global_store_b8 v[0:1], v2, off
.LBB96_972:
	s_mov_b32 s13, 0
.LBB96_973:
	s_delay_alu instid0(SALU_CYCLE_1)
	s_and_not1_b32 vcc_lo, exec_lo, s13
	s_mov_b32 s13, 0
	s_cbranch_vccnz .LBB96_981
; %bb.974:
	v_cmp_lt_i16_e32 vcc_lo, 14, v5
	s_mov_b32 s13, -1
	s_cbranch_vccz .LBB96_978
; %bb.975:
	v_cmp_eq_u16_e32 vcc_lo, 15, v5
	s_mov_b32 s0, -1
	s_cbranch_vccz .LBB96_977
; %bb.976:
	v_cvt_f32_f16_e32 v2, v4
	v_cmp_o_f16_e32 vcc_lo, v4, v4
	s_mov_b32 s0, 0
	s_delay_alu instid0(VALU_DEP_2) | instskip(NEXT) | instid1(VALU_DEP_1)
	v_bfe_u32 v3, v2, 16, 1
	v_add3_u32 v2, v2, v3, 0x7fff
	s_delay_alu instid0(VALU_DEP_1) | instskip(NEXT) | instid1(VALU_DEP_1)
	v_lshrrev_b32_e32 v2, 16, v2
	v_cndmask_b32_e32 v2, 0x7fc0, v2, vcc_lo
	global_store_b16 v[0:1], v2, off
.LBB96_977:
	s_mov_b32 s13, 0
.LBB96_978:
	s_delay_alu instid0(SALU_CYCLE_1)
	s_and_b32 vcc_lo, exec_lo, s13
	s_mov_b32 s13, 0
	s_cbranch_vccz .LBB96_981
; %bb.979:
	v_cmp_ne_u16_e32 vcc_lo, 11, v5
	s_and_not1_b32 s0, s0, exec_lo
	s_mov_b32 s13, -1
	s_and_b32 s14, vcc_lo, exec_lo
	s_delay_alu instid0(SALU_CYCLE_1)
	s_or_b32 s0, s0, s14
	s_branch .LBB96_981
.LBB96_980:
	s_mov_b32 s13, 0
.LBB96_981:
	s_and_not1_b32 s9, s9, exec_lo
	s_and_b32 s0, s0, exec_lo
	s_and_b32 s12, s12, exec_lo
	;; [unrolled: 1-line block ×3, first 2 shown]
	s_or_b32 s9, s9, s0
.LBB96_982:
	s_or_b32 exec_lo, exec_lo, s11
	s_and_saveexec_b32 s0, s9
	s_cbranch_execnz .LBB96_1044
; %bb.983:
	s_or_b32 exec_lo, exec_lo, s0
	s_and_saveexec_b32 s0, s13
	s_delay_alu instid0(SALU_CYCLE_1)
	s_xor_b32 s0, exec_lo, s0
	s_cbranch_execz .LBB96_985
.LBB96_984:
	v_cmp_neq_f16_e32 vcc_lo, 0, v4
	v_cndmask_b32_e64 v2, 0, 1, vcc_lo
	global_store_b8 v[0:1], v2, off
.LBB96_985:
	s_or_b32 exec_lo, exec_lo, s0
	s_and_saveexec_b32 s0, s12
	s_delay_alu instid0(SALU_CYCLE_1)
	s_xor_b32 s0, exec_lo, s0
	s_cbranch_execz .LBB96_1023
; %bb.986:
	s_waitcnt vmcnt(0)
	v_cmp_gt_i16_e32 vcc_lo, 5, v5
	s_mov_b32 s9, -1
	s_cbranch_vccnz .LBB96_1007
; %bb.987:
	v_cmp_gt_i16_e32 vcc_lo, 8, v5
	s_cbranch_vccnz .LBB96_997
; %bb.988:
	v_cmp_gt_i16_e32 vcc_lo, 9, v5
	s_cbranch_vccnz .LBB96_994
; %bb.989:
	v_cmp_lt_i16_e32 vcc_lo, 9, v5
	s_cbranch_vccz .LBB96_991
; %bb.990:
	v_cvt_f32_f16_e32 v2, v4
	v_mov_b32_e32 v8, 0
	s_mov_b32 s9, 0
	s_delay_alu instid0(VALU_DEP_2) | instskip(NEXT) | instid1(VALU_DEP_2)
	v_cvt_f64_f32_e32 v[6:7], v2
	v_mov_b32_e32 v9, v8
	global_store_b128 v[0:1], v[6:9], off
.LBB96_991:
	s_and_not1_b32 vcc_lo, exec_lo, s9
	s_cbranch_vccnz .LBB96_993
; %bb.992:
	v_cvt_f32_f16_e32 v2, v4
	v_mov_b32_e32 v3, 0
	global_store_b64 v[0:1], v[2:3], off
.LBB96_993:
	s_mov_b32 s9, 0
.LBB96_994:
	s_delay_alu instid0(SALU_CYCLE_1)
	s_and_not1_b32 vcc_lo, exec_lo, s9
	s_cbranch_vccnz .LBB96_996
; %bb.995:
	v_and_b32_e32 v2, 0xffff, v4
	global_store_b32 v[0:1], v2, off
.LBB96_996:
	s_mov_b32 s9, 0
.LBB96_997:
	s_delay_alu instid0(SALU_CYCLE_1)
	s_and_not1_b32 vcc_lo, exec_lo, s9
	s_cbranch_vccnz .LBB96_1006
; %bb.998:
	v_cmp_gt_i16_e32 vcc_lo, 6, v5
	s_mov_b32 s9, -1
	s_cbranch_vccnz .LBB96_1004
; %bb.999:
	v_cmp_lt_i16_e32 vcc_lo, 6, v5
	s_cbranch_vccz .LBB96_1001
; %bb.1000:
	v_cvt_f32_f16_e32 v2, v4
	s_mov_b32 s9, 0
	s_delay_alu instid0(VALU_DEP_1)
	v_cvt_f64_f32_e32 v[2:3], v2
	global_store_b64 v[0:1], v[2:3], off
.LBB96_1001:
	s_and_not1_b32 vcc_lo, exec_lo, s9
	s_cbranch_vccnz .LBB96_1003
; %bb.1002:
	v_cvt_f32_f16_e32 v2, v4
	global_store_b32 v[0:1], v2, off
.LBB96_1003:
	s_mov_b32 s9, 0
.LBB96_1004:
	s_delay_alu instid0(SALU_CYCLE_1)
	s_and_not1_b32 vcc_lo, exec_lo, s9
	s_cbranch_vccnz .LBB96_1006
; %bb.1005:
	global_store_b16 v[0:1], v4, off
.LBB96_1006:
	s_mov_b32 s9, 0
.LBB96_1007:
	s_delay_alu instid0(SALU_CYCLE_1)
	s_and_not1_b32 vcc_lo, exec_lo, s9
	s_cbranch_vccnz .LBB96_1023
; %bb.1008:
	v_cmp_gt_i16_e32 vcc_lo, 2, v5
	s_mov_b32 s9, -1
	s_cbranch_vccnz .LBB96_1018
; %bb.1009:
	v_cmp_gt_i16_e32 vcc_lo, 3, v5
	s_cbranch_vccnz .LBB96_1015
; %bb.1010:
	v_cmp_lt_i16_e32 vcc_lo, 3, v5
	s_cbranch_vccz .LBB96_1012
; %bb.1011:
	v_cvt_f32_f16_e32 v2, v4
	s_mov_b32 s9, 0
	s_delay_alu instid0(VALU_DEP_1) | instskip(NEXT) | instid1(VALU_DEP_1)
	v_cvt_i32_f32_e32 v2, v2
	v_ashrrev_i32_e32 v3, 31, v2
	global_store_b64 v[0:1], v[2:3], off
.LBB96_1012:
	s_and_not1_b32 vcc_lo, exec_lo, s9
	s_cbranch_vccnz .LBB96_1014
; %bb.1013:
	v_cvt_f32_f16_e32 v2, v4
	s_delay_alu instid0(VALU_DEP_1)
	v_cvt_i32_f32_e32 v2, v2
	global_store_b32 v[0:1], v2, off
.LBB96_1014:
	s_mov_b32 s9, 0
.LBB96_1015:
	s_delay_alu instid0(SALU_CYCLE_1)
	s_and_not1_b32 vcc_lo, exec_lo, s9
	s_cbranch_vccnz .LBB96_1017
; %bb.1016:
	v_cvt_i16_f16_e32 v2, v4
	global_store_b16 v[0:1], v2, off
.LBB96_1017:
	s_mov_b32 s9, 0
.LBB96_1018:
	s_delay_alu instid0(SALU_CYCLE_1)
	s_and_not1_b32 vcc_lo, exec_lo, s9
	s_cbranch_vccnz .LBB96_1023
; %bb.1019:
	v_cmp_lt_i16_e32 vcc_lo, 0, v5
	s_mov_b32 s9, -1
	s_cbranch_vccz .LBB96_1021
; %bb.1020:
	v_cvt_i16_f16_e32 v2, v4
	s_mov_b32 s9, 0
	global_store_b8 v[0:1], v2, off
.LBB96_1021:
	s_and_not1_b32 vcc_lo, exec_lo, s9
	s_cbranch_vccnz .LBB96_1023
; %bb.1022:
	v_cvt_f32_f16_e32 v2, v4
	s_delay_alu instid0(VALU_DEP_1)
	v_cvt_i32_f32_e32 v2, v2
	global_store_b8 v[0:1], v2, off
.LBB96_1023:
	s_or_b32 exec_lo, exec_lo, s0
	s_delay_alu instid0(SALU_CYCLE_1)
	s_and_b32 s9, s10, exec_lo
                                        ; implicit-def: $vgpr3
                                        ; implicit-def: $vgpr4
                                        ; implicit-def: $vgpr2
.LBB96_1024:
	s_or_saveexec_b32 s8, s8
	s_mov_b32 s0, 0
                                        ; implicit-def: $vgpr5
                                        ; implicit-def: $vgpr0_vgpr1
                                        ; implicit-def: $vgpr6
	s_xor_b32 exec_lo, exec_lo, s8
	s_cbranch_execz .LBB96_1988
; %bb.1025:
	s_waitcnt vmcnt(0)
	v_mul_lo_u32 v6, s3, v3
	v_cmp_gt_i16_e32 vcc_lo, 11, v4
	s_delay_alu instid0(VALU_DEP_2) | instskip(SKIP_1) | instid1(VALU_DEP_1)
	v_ashrrev_i32_e32 v1, 31, v6
	v_add_co_u32 v0, s0, s6, v6
	v_add_co_ci_u32_e64 v1, s0, s7, v1, s0
	s_cbranch_vccnz .LBB96_1032
; %bb.1026:
	v_cmp_lt_i16_e32 vcc_lo, 25, v4
	s_mov_b32 s10, 0
	s_cbranch_vccz .LBB96_1038
; %bb.1027:
	v_cmp_lt_i16_e32 vcc_lo, 28, v4
	s_cbranch_vccz .LBB96_1040
; %bb.1028:
	v_cmp_lt_i16_e32 vcc_lo, 43, v4
	s_cbranch_vccz .LBB96_1042
; %bb.1029:
	v_cmp_lt_i16_e32 vcc_lo, 45, v4
	s_cbranch_vccz .LBB96_1046
; %bb.1030:
	v_cmp_eq_u16_e32 vcc_lo, 46, v4
	s_cbranch_vccz .LBB96_1088
; %bb.1031:
	global_load_b32 v5, v[0:1], off
	s_mov_b32 s0, 0
	s_mov_b32 s11, -1
	s_waitcnt vmcnt(0)
	v_lshlrev_b32_e32 v5, 16, v5
	s_delay_alu instid0(VALU_DEP_1)
	v_cvt_f16_f32_e32 v5, v5
	s_branch .LBB96_1090
.LBB96_1032:
	s_mov_b32 s11, 0
	s_mov_b32 s1, s9
                                        ; implicit-def: $vgpr5
	s_cbranch_execz .LBB96_1153
; %bb.1033:
	v_cmp_gt_i16_e32 vcc_lo, 5, v4
	s_cbranch_vccnz .LBB96_1039
; %bb.1034:
	v_cmp_gt_i16_e32 vcc_lo, 8, v4
	s_cbranch_vccnz .LBB96_1041
	;; [unrolled: 3-line block ×3, first 2 shown]
; %bb.1036:
	v_cmp_lt_i16_e32 vcc_lo, 9, v4
	s_cbranch_vccz .LBB96_1047
; %bb.1037:
	global_load_b64 v[7:8], v[0:1], off
	s_mov_b32 s0, 0
	s_waitcnt vmcnt(0)
	v_cvt_f32_f64_e32 v5, v[7:8]
	s_delay_alu instid0(VALU_DEP_1)
	v_cvt_f16_f32_e32 v5, v5
	s_branch .LBB96_1048
.LBB96_1038:
	s_mov_b32 s11, 0
	s_mov_b32 s0, 0
                                        ; implicit-def: $vgpr5
	s_cbranch_execnz .LBB96_1118
	s_branch .LBB96_1149
.LBB96_1039:
                                        ; implicit-def: $vgpr5
	s_branch .LBB96_1065
.LBB96_1040:
	s_mov_b32 s1, -1
	s_mov_b32 s11, 0
	s_mov_b32 s0, 0
                                        ; implicit-def: $vgpr5
	s_branch .LBB96_1099
.LBB96_1041:
                                        ; implicit-def: $vgpr5
	s_branch .LBB96_1054
.LBB96_1042:
	s_mov_b32 s11, 0
	s_mov_b32 s0, 0
                                        ; implicit-def: $vgpr5
	s_cbranch_execnz .LBB96_1095
	s_branch .LBB96_1098
.LBB96_1043:
	s_mov_b32 s0, -1
                                        ; implicit-def: $vgpr5
	s_branch .LBB96_1051
.LBB96_1044:
	s_cbranch_execnz .LBB96_1086
; %bb.1045:
	s_or_b32 s10, s10, exec_lo
	s_and_not1_b32 s13, s13, exec_lo
	s_or_b32 exec_lo, exec_lo, s0
	s_and_saveexec_b32 s0, s13
	s_delay_alu instid0(SALU_CYCLE_1)
	s_xor_b32 s0, exec_lo, s0
	s_cbranch_execnz .LBB96_984
	s_branch .LBB96_985
.LBB96_1046:
	s_mov_b32 s1, -1
	s_mov_b32 s11, 0
	s_mov_b32 s0, 0
	s_branch .LBB96_1089
.LBB96_1047:
	s_mov_b32 s0, -1
                                        ; implicit-def: $vgpr5
.LBB96_1048:
	s_delay_alu instid0(SALU_CYCLE_1)
	s_and_not1_b32 vcc_lo, exec_lo, s0
	s_cbranch_vccnz .LBB96_1050
; %bb.1049:
	global_load_b32 v5, v[0:1], off
	s_waitcnt vmcnt(0)
	v_cvt_f16_f32_e32 v5, v5
.LBB96_1050:
	s_mov_b32 s0, 0
.LBB96_1051:
	s_delay_alu instid0(SALU_CYCLE_1)
	s_and_not1_b32 vcc_lo, exec_lo, s0
	s_cbranch_vccnz .LBB96_1053
; %bb.1052:
	global_load_b32 v5, v[0:1], off
.LBB96_1053:
	s_cbranch_execnz .LBB96_1064
.LBB96_1054:
	v_cmp_gt_i16_e32 vcc_lo, 6, v4
	s_cbranch_vccnz .LBB96_1057
; %bb.1055:
	v_cmp_lt_i16_e32 vcc_lo, 6, v4
	s_cbranch_vccz .LBB96_1058
; %bb.1056:
	global_load_b64 v[7:8], v[0:1], off
	s_mov_b32 s0, 0
	s_waitcnt vmcnt(0)
	v_cvt_f32_f64_e32 v5, v[7:8]
	s_delay_alu instid0(VALU_DEP_1)
	v_cvt_f16_f32_e32 v5, v5
	s_branch .LBB96_1059
.LBB96_1057:
	s_mov_b32 s0, -1
                                        ; implicit-def: $vgpr5
	s_branch .LBB96_1062
.LBB96_1058:
	s_mov_b32 s0, -1
                                        ; implicit-def: $vgpr5
.LBB96_1059:
	s_delay_alu instid0(SALU_CYCLE_1)
	s_and_not1_b32 vcc_lo, exec_lo, s0
	s_cbranch_vccnz .LBB96_1061
; %bb.1060:
	global_load_b32 v5, v[0:1], off
	s_waitcnt vmcnt(0)
	v_cvt_f16_f32_e32 v5, v5
.LBB96_1061:
	s_mov_b32 s0, 0
.LBB96_1062:
	s_delay_alu instid0(SALU_CYCLE_1)
	s_and_not1_b32 vcc_lo, exec_lo, s0
	s_cbranch_vccnz .LBB96_1064
; %bb.1063:
	global_load_u16 v5, v[0:1], off
.LBB96_1064:
	s_cbranch_execnz .LBB96_1083
.LBB96_1065:
	v_cmp_gt_i16_e32 vcc_lo, 2, v4
	s_cbranch_vccnz .LBB96_1069
; %bb.1066:
	v_cmp_gt_i16_e32 vcc_lo, 3, v4
	s_cbranch_vccnz .LBB96_1070
; %bb.1067:
	v_cmp_lt_i16_e32 vcc_lo, 3, v4
	s_cbranch_vccz .LBB96_1071
; %bb.1068:
	global_load_b64 v[7:8], v[0:1], off
	s_mov_b32 s0, 0
	s_waitcnt vmcnt(0)
	v_xor_b32_e32 v5, v7, v8
	v_cls_i32_e32 v9, v8
	s_delay_alu instid0(VALU_DEP_2) | instskip(NEXT) | instid1(VALU_DEP_2)
	v_ashrrev_i32_e32 v5, 31, v5
	v_add_nc_u32_e32 v9, -1, v9
	s_delay_alu instid0(VALU_DEP_2) | instskip(NEXT) | instid1(VALU_DEP_1)
	v_add_nc_u32_e32 v5, 32, v5
	v_min_u32_e32 v5, v9, v5
	s_delay_alu instid0(VALU_DEP_1) | instskip(SKIP_1) | instid1(VALU_DEP_2)
	v_lshlrev_b64 v[7:8], v5, v[7:8]
	v_sub_nc_u32_e32 v5, 32, v5
	v_min_u32_e32 v7, 1, v7
	s_delay_alu instid0(VALU_DEP_1) | instskip(NEXT) | instid1(VALU_DEP_1)
	v_or_b32_e32 v7, v8, v7
	v_cvt_f32_i32_e32 v7, v7
	s_delay_alu instid0(VALU_DEP_1) | instskip(NEXT) | instid1(VALU_DEP_1)
	v_ldexp_f32 v5, v7, v5
	v_cvt_f16_f32_e32 v5, v5
	s_branch .LBB96_1072
.LBB96_1069:
                                        ; implicit-def: $vgpr5
	s_branch .LBB96_1078
.LBB96_1070:
	s_mov_b32 s0, -1
                                        ; implicit-def: $vgpr5
	s_branch .LBB96_1075
.LBB96_1071:
	s_mov_b32 s0, -1
                                        ; implicit-def: $vgpr5
.LBB96_1072:
	s_delay_alu instid0(SALU_CYCLE_1)
	s_and_not1_b32 vcc_lo, exec_lo, s0
	s_cbranch_vccnz .LBB96_1074
; %bb.1073:
	global_load_b32 v5, v[0:1], off
	s_waitcnt vmcnt(0)
	v_cvt_f32_i32_e32 v5, v5
	s_delay_alu instid0(VALU_DEP_1)
	v_cvt_f16_f32_e32 v5, v5
.LBB96_1074:
	s_mov_b32 s0, 0
.LBB96_1075:
	s_delay_alu instid0(SALU_CYCLE_1)
	s_and_not1_b32 vcc_lo, exec_lo, s0
	s_cbranch_vccnz .LBB96_1077
; %bb.1076:
	global_load_u16 v5, v[0:1], off
	s_waitcnt vmcnt(0)
	v_cvt_f16_i16_e32 v5, v5
.LBB96_1077:
	s_cbranch_execnz .LBB96_1083
.LBB96_1078:
	v_cmp_lt_i16_e32 vcc_lo, 0, v4
	s_mov_b32 s0, 0
	s_cbranch_vccz .LBB96_1080
; %bb.1079:
	global_load_i8 v5, v[0:1], off
	s_waitcnt vmcnt(0)
	v_cvt_f16_i16_e32 v5, v5
	s_branch .LBB96_1081
.LBB96_1080:
	s_mov_b32 s0, -1
                                        ; implicit-def: $vgpr5
.LBB96_1081:
	s_delay_alu instid0(SALU_CYCLE_1)
	s_and_not1_b32 vcc_lo, exec_lo, s0
	s_cbranch_vccnz .LBB96_1083
; %bb.1082:
	global_load_u8 v0, v[0:1], off
	s_waitcnt vmcnt(0)
	v_cvt_f16_u16_e32 v5, v0
.LBB96_1083:
	s_branch .LBB96_1154
.LBB96_1084:
	s_trap 2
	s_sendmsg_rtn_b32 s0, sendmsg(MSG_RTN_GET_DOORBELL)
	s_mov_b32 ttmp2, m0
	s_waitcnt lgkmcnt(0)
	s_and_b32 s0, s0, 0x3ff
	s_delay_alu instid0(SALU_CYCLE_1) | instskip(NEXT) | instid1(SALU_CYCLE_1)
	s_bitset1_b32 s0, 10
	s_mov_b32 m0, s0
	s_sendmsg sendmsg(MSG_INTERRUPT)
	s_mov_b32 m0, ttmp2
.LBB96_1085:                            ; =>This Inner Loop Header: Depth=1
	s_sethalt 5
	s_branch .LBB96_1085
.LBB96_1086:
	s_trap 2
	s_sendmsg_rtn_b32 s0, sendmsg(MSG_RTN_GET_DOORBELL)
	s_mov_b32 ttmp2, m0
	s_waitcnt lgkmcnt(0)
	s_and_b32 s0, s0, 0x3ff
	s_delay_alu instid0(SALU_CYCLE_1) | instskip(NEXT) | instid1(SALU_CYCLE_1)
	s_bitset1_b32 s0, 10
	s_mov_b32 m0, s0
	s_sendmsg sendmsg(MSG_INTERRUPT)
	s_mov_b32 m0, ttmp2
.LBB96_1087:                            ; =>This Inner Loop Header: Depth=1
	s_sethalt 5
	s_branch .LBB96_1087
.LBB96_1088:
	s_mov_b32 s0, -1
	s_mov_b32 s11, 0
.LBB96_1089:
                                        ; implicit-def: $vgpr5
.LBB96_1090:
	s_and_b32 vcc_lo, exec_lo, s1
	s_cbranch_vccz .LBB96_1093
; %bb.1091:
	v_cmp_eq_u16_e32 vcc_lo, 44, v4
	s_cbranch_vccz .LBB96_1094
; %bb.1092:
	global_load_u8 v5, v[0:1], off
	s_mov_b32 s0, 0
	s_mov_b32 s11, -1
	s_waitcnt vmcnt(0)
	v_lshlrev_b32_e32 v7, 23, v5
	v_cmp_ne_u32_e32 vcc_lo, 0xff, v5
	s_delay_alu instid0(VALU_DEP_2) | instskip(NEXT) | instid1(VALU_DEP_1)
	v_cvt_f16_f32_e32 v7, v7
	v_cndmask_b32_e32 v7, 0x7e00, v7, vcc_lo
	v_cmp_ne_u32_e32 vcc_lo, 0, v5
	s_delay_alu instid0(VALU_DEP_2)
	v_cndmask_b32_e32 v5, 0, v7, vcc_lo
.LBB96_1093:
	s_branch .LBB96_1098
.LBB96_1094:
	s_mov_b32 s0, -1
                                        ; implicit-def: $vgpr5
	s_branch .LBB96_1098
.LBB96_1095:
	v_cmp_eq_u16_e32 vcc_lo, 29, v4
	s_cbranch_vccz .LBB96_1097
; %bb.1096:
	global_load_b64 v[7:8], v[0:1], off
	s_mov_b32 s0, 0
	s_mov_b32 s11, -1
	s_mov_b32 s1, 0
	s_waitcnt vmcnt(0)
	v_clz_i32_u32_e32 v5, v8
	s_delay_alu instid0(VALU_DEP_1) | instskip(NEXT) | instid1(VALU_DEP_1)
	v_min_u32_e32 v5, 32, v5
	v_lshlrev_b64 v[7:8], v5, v[7:8]
	v_sub_nc_u32_e32 v5, 32, v5
	s_delay_alu instid0(VALU_DEP_2) | instskip(NEXT) | instid1(VALU_DEP_1)
	v_min_u32_e32 v7, 1, v7
	v_or_b32_e32 v7, v8, v7
	s_delay_alu instid0(VALU_DEP_1) | instskip(NEXT) | instid1(VALU_DEP_1)
	v_cvt_f32_u32_e32 v7, v7
	v_ldexp_f32 v5, v7, v5
	s_delay_alu instid0(VALU_DEP_1)
	v_cvt_f16_f32_e32 v5, v5
	s_branch .LBB96_1099
.LBB96_1097:
	s_mov_b32 s0, -1
                                        ; implicit-def: $vgpr5
.LBB96_1098:
	s_mov_b32 s1, 0
.LBB96_1099:
	s_delay_alu instid0(SALU_CYCLE_1)
	s_and_b32 vcc_lo, exec_lo, s1
	s_cbranch_vccz .LBB96_1117
; %bb.1100:
	v_cmp_gt_i16_e32 vcc_lo, 27, v4
	s_cbranch_vccnz .LBB96_1103
; %bb.1101:
	v_cmp_lt_i16_e32 vcc_lo, 27, v4
	s_cbranch_vccz .LBB96_1104
; %bb.1102:
	global_load_b32 v5, v[0:1], off
	s_mov_b32 s1, 0
	s_waitcnt vmcnt(0)
	v_cvt_f32_u32_e32 v5, v5
	s_delay_alu instid0(VALU_DEP_1)
	v_cvt_f16_f32_e32 v5, v5
	s_branch .LBB96_1105
.LBB96_1103:
	s_mov_b32 s1, -1
                                        ; implicit-def: $vgpr5
	s_branch .LBB96_1108
.LBB96_1104:
	s_mov_b32 s1, -1
                                        ; implicit-def: $vgpr5
.LBB96_1105:
	s_delay_alu instid0(SALU_CYCLE_1)
	s_and_not1_b32 vcc_lo, exec_lo, s1
	s_cbranch_vccnz .LBB96_1107
; %bb.1106:
	global_load_u16 v5, v[0:1], off
	s_waitcnt vmcnt(0)
	v_cvt_f16_u16_e32 v5, v5
.LBB96_1107:
	s_mov_b32 s1, 0
.LBB96_1108:
	s_delay_alu instid0(SALU_CYCLE_1)
	s_and_not1_b32 vcc_lo, exec_lo, s1
	s_cbranch_vccnz .LBB96_1116
; %bb.1109:
	global_load_u8 v7, v[0:1], off
	s_mov_b32 s1, 0
	s_mov_b32 s12, exec_lo
                                        ; implicit-def: $sgpr11
	s_waitcnt vmcnt(0)
	v_cmpx_lt_i16_e32 0x7f, v7
	s_xor_b32 s12, exec_lo, s12
	s_cbranch_execz .LBB96_1129
; %bb.1110:
	s_mov_b32 s1, -1
	s_mov_b32 s13, exec_lo
                                        ; implicit-def: $sgpr11
	v_cmpx_eq_u16_e32 0x80, v7
; %bb.1111:
	s_movk_i32 s11, 0x7e00
	s_xor_b32 s1, exec_lo, -1
; %bb.1112:
	s_or_b32 exec_lo, exec_lo, s13
	s_delay_alu instid0(SALU_CYCLE_1)
	s_and_b32 s1, s1, exec_lo
	s_or_saveexec_b32 s12, s12
	v_mov_b32_e32 v5, s11
	s_xor_b32 exec_lo, exec_lo, s12
	s_cbranch_execnz .LBB96_1130
.LBB96_1113:
	s_or_b32 exec_lo, exec_lo, s12
	s_and_saveexec_b32 s11, s1
	s_cbranch_execz .LBB96_1115
.LBB96_1114:
	v_and_b32_e32 v5, 0xffff, v7
	v_lshlrev_b32_e32 v7, 24, v7
	s_delay_alu instid0(VALU_DEP_2) | instskip(NEXT) | instid1(VALU_DEP_2)
	v_and_b32_e32 v8, 7, v5
	v_and_b32_e32 v7, 0x80000000, v7
	s_delay_alu instid0(VALU_DEP_2) | instskip(NEXT) | instid1(VALU_DEP_1)
	v_clz_i32_u32_e32 v9, v8
	v_min_u32_e32 v9, 32, v9
	s_delay_alu instid0(VALU_DEP_1) | instskip(SKIP_1) | instid1(VALU_DEP_2)
	v_subrev_nc_u32_e32 v10, 28, v9
	v_sub_nc_u32_e32 v9, 29, v9
	v_lshlrev_b32_e32 v10, v10, v5
	v_bfe_u32 v5, v5, 3, 4
	s_delay_alu instid0(VALU_DEP_1) | instskip(NEXT) | instid1(VALU_DEP_3)
	v_cmp_eq_u32_e32 vcc_lo, 0, v5
	v_dual_cndmask_b32 v5, v5, v9 :: v_dual_and_b32 v10, 7, v10
	s_delay_alu instid0(VALU_DEP_1) | instskip(NEXT) | instid1(VALU_DEP_2)
	v_cndmask_b32_e32 v8, v8, v10, vcc_lo
	v_lshl_add_u32 v5, v5, 23, 0x3b800000
	s_delay_alu instid0(VALU_DEP_2) | instskip(NEXT) | instid1(VALU_DEP_1)
	v_lshlrev_b32_e32 v8, 20, v8
	v_or3_b32 v5, v7, v5, v8
	s_delay_alu instid0(VALU_DEP_1)
	v_cvt_f16_f32_e32 v5, v5
.LBB96_1115:
	s_or_b32 exec_lo, exec_lo, s11
.LBB96_1116:
	s_mov_b32 s11, -1
.LBB96_1117:
	s_branch .LBB96_1149
.LBB96_1118:
	v_cmp_lt_i16_e32 vcc_lo, 22, v4
	s_cbranch_vccz .LBB96_1128
; %bb.1119:
	v_cmp_gt_i16_e32 vcc_lo, 24, v4
	s_cbranch_vccnz .LBB96_1131
; %bb.1120:
	v_cmp_lt_i16_e32 vcc_lo, 24, v4
	s_cbranch_vccz .LBB96_1132
; %bb.1121:
	global_load_u8 v7, v[0:1], off
	s_mov_b32 s1, 0
	s_mov_b32 s11, exec_lo
                                        ; implicit-def: $sgpr10
	s_waitcnt vmcnt(0)
	v_cmpx_lt_i16_e32 0x7f, v7
	s_xor_b32 s11, exec_lo, s11
	s_cbranch_execz .LBB96_1143
; %bb.1122:
	s_mov_b32 s1, -1
	s_mov_b32 s12, exec_lo
                                        ; implicit-def: $sgpr10
	v_cmpx_eq_u16_e32 0x80, v7
; %bb.1123:
	s_movk_i32 s10, 0x7e00
	s_xor_b32 s1, exec_lo, -1
; %bb.1124:
	s_or_b32 exec_lo, exec_lo, s12
	s_delay_alu instid0(SALU_CYCLE_1)
	s_and_b32 s1, s1, exec_lo
	s_or_saveexec_b32 s11, s11
	v_mov_b32_e32 v5, s10
	s_xor_b32 exec_lo, exec_lo, s11
	s_cbranch_execnz .LBB96_1144
.LBB96_1125:
	s_or_b32 exec_lo, exec_lo, s11
	s_and_saveexec_b32 s10, s1
	s_cbranch_execz .LBB96_1127
.LBB96_1126:
	v_and_b32_e32 v5, 0xffff, v7
	v_lshlrev_b32_e32 v7, 24, v7
	s_delay_alu instid0(VALU_DEP_2) | instskip(NEXT) | instid1(VALU_DEP_2)
	v_and_b32_e32 v8, 3, v5
	v_and_b32_e32 v7, 0x80000000, v7
	s_delay_alu instid0(VALU_DEP_2) | instskip(NEXT) | instid1(VALU_DEP_1)
	v_clz_i32_u32_e32 v9, v8
	v_min_u32_e32 v9, 32, v9
	s_delay_alu instid0(VALU_DEP_1) | instskip(SKIP_1) | instid1(VALU_DEP_2)
	v_subrev_nc_u32_e32 v10, 29, v9
	v_sub_nc_u32_e32 v9, 30, v9
	v_lshlrev_b32_e32 v10, v10, v5
	v_bfe_u32 v5, v5, 2, 5
	s_delay_alu instid0(VALU_DEP_1) | instskip(NEXT) | instid1(VALU_DEP_3)
	v_cmp_eq_u32_e32 vcc_lo, 0, v5
	v_dual_cndmask_b32 v5, v5, v9 :: v_dual_and_b32 v10, 3, v10
	s_delay_alu instid0(VALU_DEP_1) | instskip(NEXT) | instid1(VALU_DEP_2)
	v_cndmask_b32_e32 v8, v8, v10, vcc_lo
	v_lshl_add_u32 v5, v5, 23, 0x37800000
	s_delay_alu instid0(VALU_DEP_2) | instskip(NEXT) | instid1(VALU_DEP_1)
	v_lshlrev_b32_e32 v8, 21, v8
	v_or3_b32 v5, v7, v5, v8
	s_delay_alu instid0(VALU_DEP_1)
	v_cvt_f16_f32_e32 v5, v5
.LBB96_1127:
	s_or_b32 exec_lo, exec_lo, s10
	s_mov_b32 s1, 0
	s_branch .LBB96_1133
.LBB96_1128:
                                        ; implicit-def: $vgpr5
	s_mov_b32 s10, 0
	s_branch .LBB96_1139
.LBB96_1129:
	s_or_saveexec_b32 s12, s12
	v_mov_b32_e32 v5, s11
	s_xor_b32 exec_lo, exec_lo, s12
	s_cbranch_execz .LBB96_1113
.LBB96_1130:
	v_cmp_ne_u16_e32 vcc_lo, 0, v7
	v_mov_b32_e32 v5, v7
	s_and_not1_b32 s1, s1, exec_lo
	s_and_b32 s11, vcc_lo, exec_lo
	s_delay_alu instid0(SALU_CYCLE_1)
	s_or_b32 s1, s1, s11
	s_or_b32 exec_lo, exec_lo, s12
	s_and_saveexec_b32 s11, s1
	s_cbranch_execnz .LBB96_1114
	s_branch .LBB96_1115
.LBB96_1131:
	s_mov_b32 s1, -1
                                        ; implicit-def: $vgpr5
	s_branch .LBB96_1136
.LBB96_1132:
	s_mov_b32 s1, -1
                                        ; implicit-def: $vgpr5
.LBB96_1133:
	s_delay_alu instid0(SALU_CYCLE_1)
	s_and_b32 vcc_lo, exec_lo, s1
	s_cbranch_vccz .LBB96_1135
; %bb.1134:
	global_load_u8 v5, v[0:1], off
	s_waitcnt vmcnt(0)
	v_lshlrev_b32_e32 v5, 24, v5
	s_delay_alu instid0(VALU_DEP_1) | instskip(NEXT) | instid1(VALU_DEP_1)
	v_and_b32_e32 v7, 0x7f000000, v5
	v_clz_i32_u32_e32 v8, v7
	v_cmp_ne_u32_e32 vcc_lo, 0, v7
	v_add_nc_u32_e32 v10, 0x1000000, v7
	s_delay_alu instid0(VALU_DEP_3) | instskip(NEXT) | instid1(VALU_DEP_1)
	v_min_u32_e32 v8, 32, v8
	v_sub_nc_u32_e64 v8, v8, 4 clamp
	s_delay_alu instid0(VALU_DEP_1) | instskip(SKIP_1) | instid1(VALU_DEP_2)
	v_lshlrev_b32_e32 v9, v8, v7
	v_lshlrev_b32_e32 v8, 23, v8
	v_lshrrev_b32_e32 v9, 4, v9
	s_delay_alu instid0(VALU_DEP_1) | instskip(SKIP_1) | instid1(VALU_DEP_2)
	v_sub_nc_u32_e32 v8, v9, v8
	v_ashrrev_i32_e32 v9, 8, v10
	v_add_nc_u32_e32 v8, 0x3c000000, v8
	s_delay_alu instid0(VALU_DEP_1) | instskip(NEXT) | instid1(VALU_DEP_1)
	v_and_or_b32 v8, 0x7f800000, v9, v8
	v_cndmask_b32_e32 v7, 0, v8, vcc_lo
	s_delay_alu instid0(VALU_DEP_1) | instskip(NEXT) | instid1(VALU_DEP_1)
	v_and_or_b32 v5, 0x80000000, v5, v7
	v_cvt_f16_f32_e32 v5, v5
.LBB96_1135:
	s_mov_b32 s1, 0
.LBB96_1136:
	s_delay_alu instid0(SALU_CYCLE_1)
	s_and_not1_b32 vcc_lo, exec_lo, s1
	s_cbranch_vccnz .LBB96_1138
; %bb.1137:
	global_load_u8 v5, v[0:1], off
	s_waitcnt vmcnt(0)
	v_lshlrev_b32_e32 v7, 25, v5
	v_lshlrev_b16 v5, 8, v5
	s_delay_alu instid0(VALU_DEP_2) | instskip(NEXT) | instid1(VALU_DEP_2)
	v_lshrrev_b32_e32 v8, 4, v7
	v_and_or_b32 v9, 0x7f00, v5, 0.5
	v_bfe_i32 v5, v5, 0, 16
	s_delay_alu instid0(VALU_DEP_3) | instskip(NEXT) | instid1(VALU_DEP_1)
	v_or_b32_e32 v8, 0x70000000, v8
	v_dual_add_f32 v9, -0.5, v9 :: v_dual_mul_f32 v8, 0x7800000, v8
	v_cmp_gt_u32_e32 vcc_lo, 0x8000000, v7
	s_delay_alu instid0(VALU_DEP_2) | instskip(NEXT) | instid1(VALU_DEP_1)
	v_cndmask_b32_e32 v7, v8, v9, vcc_lo
	v_and_or_b32 v5, 0x80000000, v5, v7
	s_delay_alu instid0(VALU_DEP_1)
	v_cvt_f16_f32_e32 v5, v5
.LBB96_1138:
	s_mov_b32 s11, -1
	s_mov_b32 s10, 0
	s_cbranch_execnz .LBB96_1149
.LBB96_1139:
	v_cmp_lt_i16_e32 vcc_lo, 14, v4
	s_cbranch_vccz .LBB96_1142
; %bb.1140:
	v_cmp_eq_u16_e32 vcc_lo, 15, v4
	s_cbranch_vccz .LBB96_1145
; %bb.1141:
	global_load_u16 v5, v[0:1], off
	s_mov_b32 s0, 0
	s_mov_b32 s11, -1
	s_waitcnt vmcnt(0)
	v_lshlrev_b32_e32 v5, 16, v5
	s_delay_alu instid0(VALU_DEP_1)
	v_cvt_f16_f32_e32 v5, v5
	s_branch .LBB96_1146
.LBB96_1142:
	s_mov_b32 s1, -1
                                        ; implicit-def: $vgpr5
	s_branch .LBB96_1147
.LBB96_1143:
	s_or_saveexec_b32 s11, s11
	v_mov_b32_e32 v5, s10
	s_xor_b32 exec_lo, exec_lo, s11
	s_cbranch_execz .LBB96_1125
.LBB96_1144:
	v_cmp_ne_u16_e32 vcc_lo, 0, v7
	v_mov_b32_e32 v5, v7
	s_and_not1_b32 s1, s1, exec_lo
	s_and_b32 s10, vcc_lo, exec_lo
	s_delay_alu instid0(SALU_CYCLE_1)
	s_or_b32 s1, s1, s10
	s_or_b32 exec_lo, exec_lo, s11
	s_and_saveexec_b32 s10, s1
	s_cbranch_execnz .LBB96_1126
	s_branch .LBB96_1127
.LBB96_1145:
	s_mov_b32 s0, -1
                                        ; implicit-def: $vgpr5
.LBB96_1146:
	s_mov_b32 s1, 0
.LBB96_1147:
	s_delay_alu instid0(SALU_CYCLE_1)
	s_and_b32 vcc_lo, exec_lo, s1
	s_cbranch_vccz .LBB96_1149
; %bb.1148:
	v_cmp_ne_u16_e64 s0, 11, v4
	s_mov_b32 s10, -1
                                        ; implicit-def: $vgpr5
.LBB96_1149:
	s_delay_alu instid0(VALU_DEP_1)
	s_and_b32 vcc_lo, exec_lo, s0
	s_mov_b32 s1, s9
	s_cbranch_vccnz .LBB96_1173
; %bb.1150:
	s_and_not1_b32 vcc_lo, exec_lo, s10
	s_cbranch_vccnz .LBB96_1152
.LBB96_1151:
	global_load_u8 v5, v[0:1], off
	s_mov_b32 s11, -1
	s_waitcnt vmcnt(0)
	v_cmp_ne_u16_e32 vcc_lo, 0, v5
	v_cndmask_b32_e64 v5, 0, 0x3c00, vcc_lo
.LBB96_1152:
.LBB96_1153:
	s_and_not1_b32 vcc_lo, exec_lo, s11
	s_cbranch_vccnz .LBB96_1986
.LBB96_1154:
	s_lshl_b32 s3, s3, 7
	v_cmp_gt_i16_e32 vcc_lo, 11, v4
	v_add_nc_u32_e32 v7, s3, v6
	s_delay_alu instid0(VALU_DEP_1) | instskip(SKIP_1) | instid1(VALU_DEP_1)
	v_ashrrev_i32_e32 v1, 31, v7
	v_add_co_u32 v0, s0, s6, v7
	v_add_co_ci_u32_e64 v1, s0, s7, v1, s0
	s_cbranch_vccnz .LBB96_1161
; %bb.1155:
	v_cmp_lt_i16_e32 vcc_lo, 25, v4
	s_mov_b32 s10, 0
	s_cbranch_vccz .LBB96_1167
; %bb.1156:
	v_cmp_lt_i16_e32 vcc_lo, 28, v4
	s_cbranch_vccz .LBB96_1169
; %bb.1157:
	v_cmp_lt_i16_e32 vcc_lo, 43, v4
	;; [unrolled: 3-line block ×3, first 2 shown]
	s_cbranch_vccz .LBB96_1177
; %bb.1159:
	v_cmp_eq_u16_e32 vcc_lo, 46, v4
	s_mov_b32 s12, 0
	s_cbranch_vccz .LBB96_1221
; %bb.1160:
	global_load_b32 v6, v[0:1], off
	s_mov_b32 s0, 0
	s_mov_b32 s11, -1
	s_waitcnt vmcnt(0)
	v_lshlrev_b32_e32 v6, 16, v6
	s_delay_alu instid0(VALU_DEP_1)
	v_cvt_f16_f32_e32 v6, v6
	s_branch .LBB96_1223
.LBB96_1161:
	s_mov_b32 s11, 0
                                        ; implicit-def: $vgpr6
	s_cbranch_execz .LBB96_1288
; %bb.1162:
	v_cmp_gt_i16_e32 vcc_lo, 5, v4
	s_cbranch_vccnz .LBB96_1168
; %bb.1163:
	v_cmp_gt_i16_e32 vcc_lo, 8, v4
	s_cbranch_vccnz .LBB96_1170
	;; [unrolled: 3-line block ×3, first 2 shown]
; %bb.1165:
	v_cmp_lt_i16_e32 vcc_lo, 9, v4
	s_cbranch_vccz .LBB96_1178
; %bb.1166:
	global_load_b64 v[8:9], v[0:1], off
	s_mov_b32 s0, 0
	s_waitcnt vmcnt(0)
	v_cvt_f32_f64_e32 v6, v[8:9]
	s_delay_alu instid0(VALU_DEP_1)
	v_cvt_f16_f32_e32 v6, v6
	s_branch .LBB96_1179
.LBB96_1167:
	s_mov_b32 s11, 0
	s_mov_b32 s0, 0
                                        ; implicit-def: $vgpr6
	s_cbranch_execnz .LBB96_1252
	s_branch .LBB96_1284
.LBB96_1168:
                                        ; implicit-def: $vgpr6
	s_branch .LBB96_1197
.LBB96_1169:
	s_mov_b32 s12, -1
	s_mov_b32 s11, 0
	s_mov_b32 s0, 0
                                        ; implicit-def: $vgpr6
	s_branch .LBB96_1233
.LBB96_1170:
	s_mov_b32 s0, -1
                                        ; implicit-def: $vgpr6
	s_branch .LBB96_1185
.LBB96_1171:
	s_mov_b32 s12, -1
	s_mov_b32 s11, 0
	s_mov_b32 s0, 0
                                        ; implicit-def: $vgpr6
	s_branch .LBB96_1228
.LBB96_1172:
	s_mov_b32 s0, -1
                                        ; implicit-def: $vgpr6
	s_branch .LBB96_1182
.LBB96_1173:
	s_cbranch_execnz .LBB96_1217
; %bb.1174:
	s_or_b32 s1, s9, exec_lo
                                        ; implicit-def: $vgpr5
	s_cbranch_execz .LBB96_1151
	s_branch .LBB96_1152
.LBB96_1175:
	s_or_saveexec_b32 s14, s14
                                        ; implicit-def: $sgpr15
	s_delay_alu instid0(SALU_CYCLE_1)
	s_xor_b32 exec_lo, exec_lo, s14
	s_cbranch_execz .LBB96_935
.LBB96_1176:
	v_add_f32_e64 v3, 0x46000000, |v2|
	s_and_not1_b32 s13, s13, exec_lo
	s_mov_b32 s15, 0
	s_delay_alu instid0(VALU_DEP_1) | instskip(NEXT) | instid1(VALU_DEP_1)
	v_and_b32_e32 v3, 0xff, v3
	v_cmp_ne_u32_e32 vcc_lo, 0, v3
	s_and_b32 s16, vcc_lo, exec_lo
	s_delay_alu instid0(SALU_CYCLE_1)
	s_or_b32 s13, s13, s16
	s_or_b32 exec_lo, exec_lo, s14
	v_mov_b32_e32 v6, s15
	s_and_saveexec_b32 s14, s13
	s_cbranch_execnz .LBB96_936
	s_branch .LBB96_937
.LBB96_1177:
	s_mov_b32 s12, -1
	s_mov_b32 s11, 0
	s_mov_b32 s0, 0
	s_branch .LBB96_1222
.LBB96_1178:
	s_mov_b32 s0, -1
                                        ; implicit-def: $vgpr6
.LBB96_1179:
	s_delay_alu instid0(SALU_CYCLE_1)
	s_and_not1_b32 vcc_lo, exec_lo, s0
	s_cbranch_vccnz .LBB96_1181
; %bb.1180:
	global_load_b32 v6, v[0:1], off
	s_waitcnt vmcnt(0)
	v_cvt_f16_f32_e32 v6, v6
.LBB96_1181:
	s_mov_b32 s0, 0
.LBB96_1182:
	s_delay_alu instid0(SALU_CYCLE_1)
	s_and_not1_b32 vcc_lo, exec_lo, s0
	s_cbranch_vccnz .LBB96_1184
; %bb.1183:
	global_load_b32 v6, v[0:1], off
.LBB96_1184:
	s_mov_b32 s0, 0
.LBB96_1185:
	s_delay_alu instid0(SALU_CYCLE_1)
	s_and_not1_b32 vcc_lo, exec_lo, s0
	s_cbranch_vccnz .LBB96_1196
; %bb.1186:
	v_cmp_gt_i16_e32 vcc_lo, 6, v4
	s_cbranch_vccnz .LBB96_1189
; %bb.1187:
	v_cmp_lt_i16_e32 vcc_lo, 6, v4
	s_cbranch_vccz .LBB96_1190
; %bb.1188:
	global_load_b64 v[8:9], v[0:1], off
	s_mov_b32 s0, 0
	s_waitcnt vmcnt(0)
	v_cvt_f32_f64_e32 v6, v[8:9]
	s_delay_alu instid0(VALU_DEP_1)
	v_cvt_f16_f32_e32 v6, v6
	s_branch .LBB96_1191
.LBB96_1189:
	s_mov_b32 s0, -1
                                        ; implicit-def: $vgpr6
	s_branch .LBB96_1194
.LBB96_1190:
	s_mov_b32 s0, -1
                                        ; implicit-def: $vgpr6
.LBB96_1191:
	s_delay_alu instid0(SALU_CYCLE_1)
	s_and_not1_b32 vcc_lo, exec_lo, s0
	s_cbranch_vccnz .LBB96_1193
; %bb.1192:
	global_load_b32 v6, v[0:1], off
	s_waitcnt vmcnt(0)
	v_cvt_f16_f32_e32 v6, v6
.LBB96_1193:
	s_mov_b32 s0, 0
.LBB96_1194:
	s_delay_alu instid0(SALU_CYCLE_1)
	s_and_not1_b32 vcc_lo, exec_lo, s0
	s_cbranch_vccnz .LBB96_1196
; %bb.1195:
	global_load_u16 v6, v[0:1], off
.LBB96_1196:
	s_cbranch_execnz .LBB96_1216
.LBB96_1197:
	v_cmp_gt_i16_e32 vcc_lo, 2, v4
	s_cbranch_vccnz .LBB96_1201
; %bb.1198:
	v_cmp_gt_i16_e32 vcc_lo, 3, v4
	s_cbranch_vccnz .LBB96_1202
; %bb.1199:
	v_cmp_lt_i16_e32 vcc_lo, 3, v4
	s_cbranch_vccz .LBB96_1203
; %bb.1200:
	global_load_b64 v[8:9], v[0:1], off
	s_mov_b32 s0, 0
	s_waitcnt vmcnt(0)
	v_xor_b32_e32 v6, v8, v9
	v_cls_i32_e32 v10, v9
	s_delay_alu instid0(VALU_DEP_2) | instskip(NEXT) | instid1(VALU_DEP_2)
	v_ashrrev_i32_e32 v6, 31, v6
	v_add_nc_u32_e32 v10, -1, v10
	s_delay_alu instid0(VALU_DEP_2) | instskip(NEXT) | instid1(VALU_DEP_1)
	v_add_nc_u32_e32 v6, 32, v6
	v_min_u32_e32 v6, v10, v6
	s_delay_alu instid0(VALU_DEP_1) | instskip(SKIP_1) | instid1(VALU_DEP_2)
	v_lshlrev_b64 v[8:9], v6, v[8:9]
	v_sub_nc_u32_e32 v6, 32, v6
	v_min_u32_e32 v8, 1, v8
	s_delay_alu instid0(VALU_DEP_1) | instskip(NEXT) | instid1(VALU_DEP_1)
	v_or_b32_e32 v8, v9, v8
	v_cvt_f32_i32_e32 v8, v8
	s_delay_alu instid0(VALU_DEP_1) | instskip(NEXT) | instid1(VALU_DEP_1)
	v_ldexp_f32 v6, v8, v6
	v_cvt_f16_f32_e32 v6, v6
	s_branch .LBB96_1204
.LBB96_1201:
	s_mov_b32 s0, -1
                                        ; implicit-def: $vgpr6
	s_branch .LBB96_1210
.LBB96_1202:
	s_mov_b32 s0, -1
                                        ; implicit-def: $vgpr6
	s_branch .LBB96_1207
.LBB96_1203:
	s_mov_b32 s0, -1
                                        ; implicit-def: $vgpr6
.LBB96_1204:
	s_delay_alu instid0(SALU_CYCLE_1)
	s_and_not1_b32 vcc_lo, exec_lo, s0
	s_cbranch_vccnz .LBB96_1206
; %bb.1205:
	global_load_b32 v6, v[0:1], off
	s_waitcnt vmcnt(0)
	v_cvt_f32_i32_e32 v6, v6
	s_delay_alu instid0(VALU_DEP_1)
	v_cvt_f16_f32_e32 v6, v6
.LBB96_1206:
	s_mov_b32 s0, 0
.LBB96_1207:
	s_delay_alu instid0(SALU_CYCLE_1)
	s_and_not1_b32 vcc_lo, exec_lo, s0
	s_cbranch_vccnz .LBB96_1209
; %bb.1208:
	global_load_u16 v6, v[0:1], off
	s_waitcnt vmcnt(0)
	v_cvt_f16_i16_e32 v6, v6
.LBB96_1209:
	s_mov_b32 s0, 0
.LBB96_1210:
	s_delay_alu instid0(SALU_CYCLE_1)
	s_and_not1_b32 vcc_lo, exec_lo, s0
	s_cbranch_vccnz .LBB96_1216
; %bb.1211:
	v_cmp_lt_i16_e32 vcc_lo, 0, v4
	s_mov_b32 s0, 0
	s_cbranch_vccz .LBB96_1213
; %bb.1212:
	global_load_i8 v6, v[0:1], off
	s_waitcnt vmcnt(0)
	v_cvt_f16_i16_e32 v6, v6
	s_branch .LBB96_1214
.LBB96_1213:
	s_mov_b32 s0, -1
                                        ; implicit-def: $vgpr6
.LBB96_1214:
	s_delay_alu instid0(SALU_CYCLE_1)
	s_and_not1_b32 vcc_lo, exec_lo, s0
	s_cbranch_vccnz .LBB96_1216
; %bb.1215:
	global_load_u8 v0, v[0:1], off
	s_waitcnt vmcnt(0)
	v_cvt_f16_u16_e32 v6, v0
.LBB96_1216:
	s_branch .LBB96_1289
.LBB96_1217:
	s_trap 2
	s_sendmsg_rtn_b32 s0, sendmsg(MSG_RTN_GET_DOORBELL)
	s_mov_b32 ttmp2, m0
	s_waitcnt lgkmcnt(0)
	s_and_b32 s0, s0, 0x3ff
	s_delay_alu instid0(SALU_CYCLE_1) | instskip(NEXT) | instid1(SALU_CYCLE_1)
	s_bitset1_b32 s0, 10
	s_mov_b32 m0, s0
	s_sendmsg sendmsg(MSG_INTERRUPT)
	s_mov_b32 m0, ttmp2
.LBB96_1218:                            ; =>This Inner Loop Header: Depth=1
	s_sethalt 5
	s_branch .LBB96_1218
.LBB96_1219:
	s_or_saveexec_b32 s15, s15
                                        ; implicit-def: $sgpr16
	s_delay_alu instid0(SALU_CYCLE_1)
	s_xor_b32 exec_lo, exec_lo, s15
	s_cbranch_execz .LBB96_947
.LBB96_1220:
	v_add_f32_e64 v3, 0x42800000, |v2|
	s_and_not1_b32 s14, s14, exec_lo
	s_mov_b32 s16, 0
	s_delay_alu instid0(VALU_DEP_1) | instskip(NEXT) | instid1(VALU_DEP_1)
	v_and_b32_e32 v3, 0xff, v3
	v_cmp_ne_u32_e32 vcc_lo, 0, v3
	s_and_b32 s17, vcc_lo, exec_lo
	s_delay_alu instid0(SALU_CYCLE_1)
	s_or_b32 s14, s14, s17
	s_or_b32 exec_lo, exec_lo, s15
	v_mov_b32_e32 v6, s16
	s_and_saveexec_b32 s15, s14
	s_cbranch_execnz .LBB96_948
	s_branch .LBB96_949
.LBB96_1221:
	s_mov_b32 s0, -1
	s_mov_b32 s11, 0
.LBB96_1222:
                                        ; implicit-def: $vgpr6
.LBB96_1223:
	s_and_b32 vcc_lo, exec_lo, s12
	s_cbranch_vccz .LBB96_1227
; %bb.1224:
	v_cmp_eq_u16_e32 vcc_lo, 44, v4
	s_cbranch_vccz .LBB96_1226
; %bb.1225:
	global_load_u8 v6, v[0:1], off
	s_mov_b32 s0, 0
	s_mov_b32 s11, -1
	s_waitcnt vmcnt(0)
	v_lshlrev_b32_e32 v8, 23, v6
	v_cmp_ne_u32_e32 vcc_lo, 0xff, v6
	s_delay_alu instid0(VALU_DEP_2) | instskip(NEXT) | instid1(VALU_DEP_1)
	v_cvt_f16_f32_e32 v8, v8
	v_cndmask_b32_e32 v8, 0x7e00, v8, vcc_lo
	v_cmp_ne_u32_e32 vcc_lo, 0, v6
	s_delay_alu instid0(VALU_DEP_2)
	v_cndmask_b32_e32 v6, 0, v8, vcc_lo
	s_branch .LBB96_1227
.LBB96_1226:
	s_mov_b32 s0, -1
                                        ; implicit-def: $vgpr6
.LBB96_1227:
	s_mov_b32 s12, 0
.LBB96_1228:
	s_delay_alu instid0(SALU_CYCLE_1)
	s_and_b32 vcc_lo, exec_lo, s12
	s_cbranch_vccz .LBB96_1232
; %bb.1229:
	v_cmp_eq_u16_e32 vcc_lo, 29, v4
	s_cbranch_vccz .LBB96_1231
; %bb.1230:
	global_load_b64 v[8:9], v[0:1], off
	s_mov_b32 s0, 0
	s_mov_b32 s11, -1
	s_mov_b32 s12, 0
	s_waitcnt vmcnt(0)
	v_clz_i32_u32_e32 v6, v9
	s_delay_alu instid0(VALU_DEP_1) | instskip(NEXT) | instid1(VALU_DEP_1)
	v_min_u32_e32 v6, 32, v6
	v_lshlrev_b64 v[8:9], v6, v[8:9]
	v_sub_nc_u32_e32 v6, 32, v6
	s_delay_alu instid0(VALU_DEP_2) | instskip(NEXT) | instid1(VALU_DEP_1)
	v_min_u32_e32 v8, 1, v8
	v_or_b32_e32 v8, v9, v8
	s_delay_alu instid0(VALU_DEP_1) | instskip(NEXT) | instid1(VALU_DEP_1)
	v_cvt_f32_u32_e32 v8, v8
	v_ldexp_f32 v6, v8, v6
	s_delay_alu instid0(VALU_DEP_1)
	v_cvt_f16_f32_e32 v6, v6
	s_branch .LBB96_1233
.LBB96_1231:
	s_mov_b32 s0, -1
                                        ; implicit-def: $vgpr6
.LBB96_1232:
	s_mov_b32 s12, 0
.LBB96_1233:
	s_delay_alu instid0(SALU_CYCLE_1)
	s_and_b32 vcc_lo, exec_lo, s12
	s_cbranch_vccz .LBB96_1251
; %bb.1234:
	v_cmp_gt_i16_e32 vcc_lo, 27, v4
	s_cbranch_vccnz .LBB96_1237
; %bb.1235:
	v_cmp_lt_i16_e32 vcc_lo, 27, v4
	s_cbranch_vccz .LBB96_1238
; %bb.1236:
	global_load_b32 v6, v[0:1], off
	s_mov_b32 s11, 0
	s_waitcnt vmcnt(0)
	v_cvt_f32_u32_e32 v6, v6
	s_delay_alu instid0(VALU_DEP_1)
	v_cvt_f16_f32_e32 v6, v6
	s_branch .LBB96_1239
.LBB96_1237:
	s_mov_b32 s11, -1
                                        ; implicit-def: $vgpr6
	s_branch .LBB96_1242
.LBB96_1238:
	s_mov_b32 s11, -1
                                        ; implicit-def: $vgpr6
.LBB96_1239:
	s_delay_alu instid0(SALU_CYCLE_1)
	s_and_not1_b32 vcc_lo, exec_lo, s11
	s_cbranch_vccnz .LBB96_1241
; %bb.1240:
	global_load_u16 v6, v[0:1], off
	s_waitcnt vmcnt(0)
	v_cvt_f16_u16_e32 v6, v6
.LBB96_1241:
	s_mov_b32 s11, 0
.LBB96_1242:
	s_delay_alu instid0(SALU_CYCLE_1)
	s_and_not1_b32 vcc_lo, exec_lo, s11
	s_cbranch_vccnz .LBB96_1250
; %bb.1243:
	global_load_u8 v8, v[0:1], off
	s_mov_b32 s11, 0
	s_mov_b32 s13, exec_lo
                                        ; implicit-def: $sgpr12
	s_waitcnt vmcnt(0)
	v_cmpx_lt_i16_e32 0x7f, v8
	s_xor_b32 s13, exec_lo, s13
	s_cbranch_execz .LBB96_1263
; %bb.1244:
	s_mov_b32 s11, -1
	s_mov_b32 s14, exec_lo
                                        ; implicit-def: $sgpr12
	v_cmpx_eq_u16_e32 0x80, v8
; %bb.1245:
	s_movk_i32 s12, 0x7e00
	s_xor_b32 s11, exec_lo, -1
; %bb.1246:
	s_or_b32 exec_lo, exec_lo, s14
	s_delay_alu instid0(SALU_CYCLE_1)
	s_and_b32 s11, s11, exec_lo
	s_or_saveexec_b32 s13, s13
	v_mov_b32_e32 v6, s12
	s_xor_b32 exec_lo, exec_lo, s13
	s_cbranch_execnz .LBB96_1264
.LBB96_1247:
	s_or_b32 exec_lo, exec_lo, s13
	s_and_saveexec_b32 s12, s11
	s_cbranch_execz .LBB96_1249
.LBB96_1248:
	v_and_b32_e32 v6, 0xffff, v8
	v_lshlrev_b32_e32 v8, 24, v8
	s_delay_alu instid0(VALU_DEP_2) | instskip(NEXT) | instid1(VALU_DEP_2)
	v_and_b32_e32 v9, 7, v6
	v_and_b32_e32 v8, 0x80000000, v8
	s_delay_alu instid0(VALU_DEP_2) | instskip(NEXT) | instid1(VALU_DEP_1)
	v_clz_i32_u32_e32 v10, v9
	v_min_u32_e32 v10, 32, v10
	s_delay_alu instid0(VALU_DEP_1) | instskip(SKIP_1) | instid1(VALU_DEP_2)
	v_subrev_nc_u32_e32 v11, 28, v10
	v_sub_nc_u32_e32 v10, 29, v10
	v_lshlrev_b32_e32 v11, v11, v6
	v_bfe_u32 v6, v6, 3, 4
	s_delay_alu instid0(VALU_DEP_1) | instskip(NEXT) | instid1(VALU_DEP_3)
	v_cmp_eq_u32_e32 vcc_lo, 0, v6
	v_dual_cndmask_b32 v6, v6, v10 :: v_dual_and_b32 v11, 7, v11
	s_delay_alu instid0(VALU_DEP_1) | instskip(NEXT) | instid1(VALU_DEP_2)
	v_cndmask_b32_e32 v9, v9, v11, vcc_lo
	v_lshl_add_u32 v6, v6, 23, 0x3b800000
	s_delay_alu instid0(VALU_DEP_2) | instskip(NEXT) | instid1(VALU_DEP_1)
	v_lshlrev_b32_e32 v9, 20, v9
	v_or3_b32 v6, v8, v6, v9
	s_delay_alu instid0(VALU_DEP_1)
	v_cvt_f16_f32_e32 v6, v6
.LBB96_1249:
	s_or_b32 exec_lo, exec_lo, s12
.LBB96_1250:
	s_mov_b32 s11, -1
.LBB96_1251:
	s_branch .LBB96_1284
.LBB96_1252:
	v_cmp_lt_i16_e32 vcc_lo, 22, v4
	s_cbranch_vccz .LBB96_1262
; %bb.1253:
	v_cmp_gt_i16_e32 vcc_lo, 24, v4
	s_cbranch_vccnz .LBB96_1265
; %bb.1254:
	v_cmp_lt_i16_e32 vcc_lo, 24, v4
	s_cbranch_vccz .LBB96_1266
; %bb.1255:
	global_load_u8 v8, v[0:1], off
	s_mov_b32 s12, exec_lo
                                        ; implicit-def: $sgpr11
	s_waitcnt vmcnt(0)
	v_cmpx_lt_i16_e32 0x7f, v8
	s_xor_b32 s12, exec_lo, s12
	s_cbranch_execz .LBB96_1278
; %bb.1256:
	s_mov_b32 s10, -1
	s_mov_b32 s13, exec_lo
                                        ; implicit-def: $sgpr11
	v_cmpx_eq_u16_e32 0x80, v8
; %bb.1257:
	s_movk_i32 s11, 0x7e00
	s_xor_b32 s10, exec_lo, -1
; %bb.1258:
	s_or_b32 exec_lo, exec_lo, s13
	s_delay_alu instid0(SALU_CYCLE_1)
	s_and_b32 s10, s10, exec_lo
	s_or_saveexec_b32 s12, s12
	v_mov_b32_e32 v6, s11
	s_xor_b32 exec_lo, exec_lo, s12
	s_cbranch_execnz .LBB96_1279
.LBB96_1259:
	s_or_b32 exec_lo, exec_lo, s12
	s_and_saveexec_b32 s11, s10
	s_cbranch_execz .LBB96_1261
.LBB96_1260:
	v_and_b32_e32 v6, 0xffff, v8
	v_lshlrev_b32_e32 v8, 24, v8
	s_delay_alu instid0(VALU_DEP_2) | instskip(NEXT) | instid1(VALU_DEP_2)
	v_and_b32_e32 v9, 3, v6
	v_and_b32_e32 v8, 0x80000000, v8
	s_delay_alu instid0(VALU_DEP_2) | instskip(NEXT) | instid1(VALU_DEP_1)
	v_clz_i32_u32_e32 v10, v9
	v_min_u32_e32 v10, 32, v10
	s_delay_alu instid0(VALU_DEP_1) | instskip(SKIP_1) | instid1(VALU_DEP_2)
	v_subrev_nc_u32_e32 v11, 29, v10
	v_sub_nc_u32_e32 v10, 30, v10
	v_lshlrev_b32_e32 v11, v11, v6
	v_bfe_u32 v6, v6, 2, 5
	s_delay_alu instid0(VALU_DEP_1) | instskip(NEXT) | instid1(VALU_DEP_3)
	v_cmp_eq_u32_e32 vcc_lo, 0, v6
	v_dual_cndmask_b32 v6, v6, v10 :: v_dual_and_b32 v11, 3, v11
	s_delay_alu instid0(VALU_DEP_1) | instskip(NEXT) | instid1(VALU_DEP_2)
	v_cndmask_b32_e32 v9, v9, v11, vcc_lo
	v_lshl_add_u32 v6, v6, 23, 0x37800000
	s_delay_alu instid0(VALU_DEP_2) | instskip(NEXT) | instid1(VALU_DEP_1)
	v_lshlrev_b32_e32 v9, 21, v9
	v_or3_b32 v6, v8, v6, v9
	s_delay_alu instid0(VALU_DEP_1)
	v_cvt_f16_f32_e32 v6, v6
.LBB96_1261:
	s_or_b32 exec_lo, exec_lo, s11
	s_mov_b32 s10, 0
	s_branch .LBB96_1267
.LBB96_1262:
	s_mov_b32 s10, -1
                                        ; implicit-def: $vgpr6
	s_branch .LBB96_1273
.LBB96_1263:
	s_or_saveexec_b32 s13, s13
	v_mov_b32_e32 v6, s12
	s_xor_b32 exec_lo, exec_lo, s13
	s_cbranch_execz .LBB96_1247
.LBB96_1264:
	v_cmp_ne_u16_e32 vcc_lo, 0, v8
	v_mov_b32_e32 v6, v8
	s_and_not1_b32 s11, s11, exec_lo
	s_and_b32 s12, vcc_lo, exec_lo
	s_delay_alu instid0(SALU_CYCLE_1)
	s_or_b32 s11, s11, s12
	s_or_b32 exec_lo, exec_lo, s13
	s_and_saveexec_b32 s12, s11
	s_cbranch_execnz .LBB96_1248
	s_branch .LBB96_1249
.LBB96_1265:
	s_mov_b32 s10, -1
                                        ; implicit-def: $vgpr6
	s_branch .LBB96_1270
.LBB96_1266:
	s_mov_b32 s10, -1
                                        ; implicit-def: $vgpr6
.LBB96_1267:
	s_delay_alu instid0(SALU_CYCLE_1)
	s_and_b32 vcc_lo, exec_lo, s10
	s_cbranch_vccz .LBB96_1269
; %bb.1268:
	global_load_u8 v6, v[0:1], off
	s_waitcnt vmcnt(0)
	v_lshlrev_b32_e32 v6, 24, v6
	s_delay_alu instid0(VALU_DEP_1) | instskip(NEXT) | instid1(VALU_DEP_1)
	v_and_b32_e32 v8, 0x7f000000, v6
	v_clz_i32_u32_e32 v9, v8
	v_cmp_ne_u32_e32 vcc_lo, 0, v8
	v_add_nc_u32_e32 v11, 0x1000000, v8
	s_delay_alu instid0(VALU_DEP_3) | instskip(NEXT) | instid1(VALU_DEP_1)
	v_min_u32_e32 v9, 32, v9
	v_sub_nc_u32_e64 v9, v9, 4 clamp
	s_delay_alu instid0(VALU_DEP_1) | instskip(SKIP_1) | instid1(VALU_DEP_2)
	v_lshlrev_b32_e32 v10, v9, v8
	v_lshlrev_b32_e32 v9, 23, v9
	v_lshrrev_b32_e32 v10, 4, v10
	s_delay_alu instid0(VALU_DEP_1) | instskip(SKIP_1) | instid1(VALU_DEP_2)
	v_sub_nc_u32_e32 v9, v10, v9
	v_ashrrev_i32_e32 v10, 8, v11
	v_add_nc_u32_e32 v9, 0x3c000000, v9
	s_delay_alu instid0(VALU_DEP_1) | instskip(NEXT) | instid1(VALU_DEP_1)
	v_and_or_b32 v9, 0x7f800000, v10, v9
	v_cndmask_b32_e32 v8, 0, v9, vcc_lo
	s_delay_alu instid0(VALU_DEP_1) | instskip(NEXT) | instid1(VALU_DEP_1)
	v_and_or_b32 v6, 0x80000000, v6, v8
	v_cvt_f16_f32_e32 v6, v6
.LBB96_1269:
	s_mov_b32 s10, 0
.LBB96_1270:
	s_delay_alu instid0(SALU_CYCLE_1)
	s_and_not1_b32 vcc_lo, exec_lo, s10
	s_cbranch_vccnz .LBB96_1272
; %bb.1271:
	global_load_u8 v6, v[0:1], off
	s_waitcnt vmcnt(0)
	v_lshlrev_b32_e32 v8, 25, v6
	v_lshlrev_b16 v6, 8, v6
	s_delay_alu instid0(VALU_DEP_2) | instskip(NEXT) | instid1(VALU_DEP_2)
	v_lshrrev_b32_e32 v9, 4, v8
	v_and_or_b32 v10, 0x7f00, v6, 0.5
	v_bfe_i32 v6, v6, 0, 16
	s_delay_alu instid0(VALU_DEP_3) | instskip(NEXT) | instid1(VALU_DEP_1)
	v_or_b32_e32 v9, 0x70000000, v9
	v_dual_add_f32 v10, -0.5, v10 :: v_dual_mul_f32 v9, 0x7800000, v9
	v_cmp_gt_u32_e32 vcc_lo, 0x8000000, v8
	s_delay_alu instid0(VALU_DEP_2) | instskip(NEXT) | instid1(VALU_DEP_1)
	v_cndmask_b32_e32 v8, v9, v10, vcc_lo
	v_and_or_b32 v6, 0x80000000, v6, v8
	s_delay_alu instid0(VALU_DEP_1)
	v_cvt_f16_f32_e32 v6, v6
.LBB96_1272:
	s_mov_b32 s10, 0
	s_mov_b32 s11, -1
.LBB96_1273:
	s_and_not1_b32 vcc_lo, exec_lo, s10
	s_mov_b32 s10, 0
	s_cbranch_vccnz .LBB96_1284
; %bb.1274:
	v_cmp_lt_i16_e32 vcc_lo, 14, v4
	s_cbranch_vccz .LBB96_1277
; %bb.1275:
	v_cmp_eq_u16_e32 vcc_lo, 15, v4
	s_cbranch_vccz .LBB96_1280
; %bb.1276:
	global_load_u16 v6, v[0:1], off
	s_mov_b32 s0, 0
	s_mov_b32 s11, -1
	s_waitcnt vmcnt(0)
	v_lshlrev_b32_e32 v6, 16, v6
	s_delay_alu instid0(VALU_DEP_1)
	v_cvt_f16_f32_e32 v6, v6
	s_branch .LBB96_1282
.LBB96_1277:
	s_mov_b32 s10, -1
	s_branch .LBB96_1281
.LBB96_1278:
	s_or_saveexec_b32 s12, s12
	v_mov_b32_e32 v6, s11
	s_xor_b32 exec_lo, exec_lo, s12
	s_cbranch_execz .LBB96_1259
.LBB96_1279:
	v_cmp_ne_u16_e32 vcc_lo, 0, v8
	v_mov_b32_e32 v6, v8
	s_and_not1_b32 s10, s10, exec_lo
	s_and_b32 s11, vcc_lo, exec_lo
	s_delay_alu instid0(SALU_CYCLE_1)
	s_or_b32 s10, s10, s11
	s_or_b32 exec_lo, exec_lo, s12
	s_and_saveexec_b32 s11, s10
	s_cbranch_execnz .LBB96_1260
	s_branch .LBB96_1261
.LBB96_1280:
	s_mov_b32 s0, -1
.LBB96_1281:
                                        ; implicit-def: $vgpr6
.LBB96_1282:
	s_and_b32 vcc_lo, exec_lo, s10
	s_mov_b32 s10, 0
	s_cbranch_vccz .LBB96_1284
; %bb.1283:
	v_cmp_ne_u16_e64 s0, 11, v4
	s_mov_b32 s10, -1
                                        ; implicit-def: $vgpr6
.LBB96_1284:
	s_delay_alu instid0(VALU_DEP_1)
	s_and_b32 vcc_lo, exec_lo, s0
	s_cbranch_vccnz .LBB96_1308
; %bb.1285:
	s_and_not1_b32 vcc_lo, exec_lo, s10
	s_cbranch_vccnz .LBB96_1287
.LBB96_1286:
	global_load_u8 v6, v[0:1], off
	s_mov_b32 s11, -1
	s_waitcnt vmcnt(0)
	v_cmp_ne_u16_e32 vcc_lo, 0, v6
	v_cndmask_b32_e64 v6, 0, 0x3c00, vcc_lo
.LBB96_1287:
.LBB96_1288:
	s_and_not1_b32 vcc_lo, exec_lo, s11
	s_cbranch_vccnz .LBB96_1986
.LBB96_1289:
	v_add_nc_u32_e32 v8, s3, v7
	v_cmp_gt_i16_e32 vcc_lo, 11, v4
	s_delay_alu instid0(VALU_DEP_2) | instskip(SKIP_1) | instid1(VALU_DEP_1)
	v_ashrrev_i32_e32 v1, 31, v8
	v_add_co_u32 v0, s0, s6, v8
	v_add_co_ci_u32_e64 v1, s0, s7, v1, s0
	s_cbranch_vccnz .LBB96_1296
; %bb.1290:
	v_cmp_lt_i16_e32 vcc_lo, 25, v4
	s_mov_b32 s10, 0
	s_cbranch_vccz .LBB96_1302
; %bb.1291:
	v_cmp_lt_i16_e32 vcc_lo, 28, v4
	s_cbranch_vccz .LBB96_1304
; %bb.1292:
	v_cmp_lt_i16_e32 vcc_lo, 43, v4
	;; [unrolled: 3-line block ×3, first 2 shown]
	s_cbranch_vccz .LBB96_1310
; %bb.1294:
	v_cmp_eq_u16_e32 vcc_lo, 46, v4
	s_mov_b32 s12, 0
	s_cbranch_vccz .LBB96_1353
; %bb.1295:
	global_load_b32 v7, v[0:1], off
	s_mov_b32 s0, 0
	s_mov_b32 s11, -1
	s_waitcnt vmcnt(0)
	v_lshlrev_b32_e32 v7, 16, v7
	s_delay_alu instid0(VALU_DEP_1)
	v_cvt_f16_f32_e32 v7, v7
	s_branch .LBB96_1355
.LBB96_1296:
	s_mov_b32 s11, 0
                                        ; implicit-def: $vgpr7
	s_cbranch_execz .LBB96_1421
; %bb.1297:
	v_cmp_gt_i16_e32 vcc_lo, 5, v4
	s_cbranch_vccnz .LBB96_1303
; %bb.1298:
	v_cmp_gt_i16_e32 vcc_lo, 8, v4
	s_cbranch_vccnz .LBB96_1305
	;; [unrolled: 3-line block ×3, first 2 shown]
; %bb.1300:
	v_cmp_lt_i16_e32 vcc_lo, 9, v4
	s_cbranch_vccz .LBB96_1311
; %bb.1301:
	global_load_b64 v[9:10], v[0:1], off
	s_mov_b32 s0, 0
	s_waitcnt vmcnt(0)
	v_cvt_f32_f64_e32 v7, v[9:10]
	s_delay_alu instid0(VALU_DEP_1)
	v_cvt_f16_f32_e32 v7, v7
	s_branch .LBB96_1312
.LBB96_1302:
	s_mov_b32 s12, -1
	s_mov_b32 s11, 0
	s_mov_b32 s0, 0
                                        ; implicit-def: $vgpr7
	s_branch .LBB96_1384
.LBB96_1303:
	s_mov_b32 s0, -1
                                        ; implicit-def: $vgpr7
	s_branch .LBB96_1330
.LBB96_1304:
	s_mov_b32 s12, -1
	s_mov_b32 s11, 0
	s_mov_b32 s0, 0
                                        ; implicit-def: $vgpr7
	s_branch .LBB96_1365
.LBB96_1305:
	s_mov_b32 s0, -1
                                        ; implicit-def: $vgpr7
	s_branch .LBB96_1318
.LBB96_1306:
	s_mov_b32 s12, -1
	s_mov_b32 s11, 0
	s_mov_b32 s0, 0
                                        ; implicit-def: $vgpr7
	s_branch .LBB96_1360
.LBB96_1307:
	s_mov_b32 s0, -1
                                        ; implicit-def: $vgpr7
	s_branch .LBB96_1315
.LBB96_1308:
	s_cbranch_execnz .LBB96_1351
; %bb.1309:
	s_or_b32 s1, s1, exec_lo
                                        ; implicit-def: $vgpr6
	s_cbranch_execz .LBB96_1286
	s_branch .LBB96_1287
.LBB96_1310:
	s_mov_b32 s12, -1
	s_mov_b32 s11, 0
	s_mov_b32 s0, 0
	s_branch .LBB96_1354
.LBB96_1311:
	s_mov_b32 s0, -1
                                        ; implicit-def: $vgpr7
.LBB96_1312:
	s_delay_alu instid0(SALU_CYCLE_1)
	s_and_not1_b32 vcc_lo, exec_lo, s0
	s_cbranch_vccnz .LBB96_1314
; %bb.1313:
	global_load_b32 v7, v[0:1], off
	s_waitcnt vmcnt(0)
	v_cvt_f16_f32_e32 v7, v7
.LBB96_1314:
	s_mov_b32 s0, 0
.LBB96_1315:
	s_delay_alu instid0(SALU_CYCLE_1)
	s_and_not1_b32 vcc_lo, exec_lo, s0
	s_cbranch_vccnz .LBB96_1317
; %bb.1316:
	global_load_b32 v7, v[0:1], off
.LBB96_1317:
	s_mov_b32 s0, 0
.LBB96_1318:
	s_delay_alu instid0(SALU_CYCLE_1)
	s_and_not1_b32 vcc_lo, exec_lo, s0
	s_cbranch_vccnz .LBB96_1329
; %bb.1319:
	v_cmp_gt_i16_e32 vcc_lo, 6, v4
	s_cbranch_vccnz .LBB96_1322
; %bb.1320:
	v_cmp_lt_i16_e32 vcc_lo, 6, v4
	s_cbranch_vccz .LBB96_1323
; %bb.1321:
	global_load_b64 v[9:10], v[0:1], off
	s_mov_b32 s0, 0
	s_waitcnt vmcnt(0)
	v_cvt_f32_f64_e32 v7, v[9:10]
	s_delay_alu instid0(VALU_DEP_1)
	v_cvt_f16_f32_e32 v7, v7
	s_branch .LBB96_1324
.LBB96_1322:
	s_mov_b32 s0, -1
                                        ; implicit-def: $vgpr7
	s_branch .LBB96_1327
.LBB96_1323:
	s_mov_b32 s0, -1
                                        ; implicit-def: $vgpr7
.LBB96_1324:
	s_delay_alu instid0(SALU_CYCLE_1)
	s_and_not1_b32 vcc_lo, exec_lo, s0
	s_cbranch_vccnz .LBB96_1326
; %bb.1325:
	global_load_b32 v7, v[0:1], off
	s_waitcnt vmcnt(0)
	v_cvt_f16_f32_e32 v7, v7
.LBB96_1326:
	s_mov_b32 s0, 0
.LBB96_1327:
	s_delay_alu instid0(SALU_CYCLE_1)
	s_and_not1_b32 vcc_lo, exec_lo, s0
	s_cbranch_vccnz .LBB96_1329
; %bb.1328:
	global_load_u16 v7, v[0:1], off
.LBB96_1329:
	s_mov_b32 s0, 0
.LBB96_1330:
	s_delay_alu instid0(SALU_CYCLE_1)
	s_and_not1_b32 vcc_lo, exec_lo, s0
	s_cbranch_vccnz .LBB96_1350
; %bb.1331:
	v_cmp_gt_i16_e32 vcc_lo, 2, v4
	s_cbranch_vccnz .LBB96_1335
; %bb.1332:
	v_cmp_gt_i16_e32 vcc_lo, 3, v4
	s_cbranch_vccnz .LBB96_1336
; %bb.1333:
	v_cmp_lt_i16_e32 vcc_lo, 3, v4
	s_cbranch_vccz .LBB96_1337
; %bb.1334:
	global_load_b64 v[9:10], v[0:1], off
	s_mov_b32 s0, 0
	s_waitcnt vmcnt(0)
	v_xor_b32_e32 v7, v9, v10
	v_cls_i32_e32 v11, v10
	s_delay_alu instid0(VALU_DEP_2) | instskip(NEXT) | instid1(VALU_DEP_2)
	v_ashrrev_i32_e32 v7, 31, v7
	v_add_nc_u32_e32 v11, -1, v11
	s_delay_alu instid0(VALU_DEP_2) | instskip(NEXT) | instid1(VALU_DEP_1)
	v_add_nc_u32_e32 v7, 32, v7
	v_min_u32_e32 v7, v11, v7
	s_delay_alu instid0(VALU_DEP_1) | instskip(SKIP_1) | instid1(VALU_DEP_2)
	v_lshlrev_b64 v[9:10], v7, v[9:10]
	v_sub_nc_u32_e32 v7, 32, v7
	v_min_u32_e32 v9, 1, v9
	s_delay_alu instid0(VALU_DEP_1) | instskip(NEXT) | instid1(VALU_DEP_1)
	v_or_b32_e32 v9, v10, v9
	v_cvt_f32_i32_e32 v9, v9
	s_delay_alu instid0(VALU_DEP_1) | instskip(NEXT) | instid1(VALU_DEP_1)
	v_ldexp_f32 v7, v9, v7
	v_cvt_f16_f32_e32 v7, v7
	s_branch .LBB96_1338
.LBB96_1335:
	s_mov_b32 s0, -1
                                        ; implicit-def: $vgpr7
	s_branch .LBB96_1344
.LBB96_1336:
	s_mov_b32 s0, -1
                                        ; implicit-def: $vgpr7
	s_branch .LBB96_1341
.LBB96_1337:
	s_mov_b32 s0, -1
                                        ; implicit-def: $vgpr7
.LBB96_1338:
	s_delay_alu instid0(SALU_CYCLE_1)
	s_and_not1_b32 vcc_lo, exec_lo, s0
	s_cbranch_vccnz .LBB96_1340
; %bb.1339:
	global_load_b32 v7, v[0:1], off
	s_waitcnt vmcnt(0)
	v_cvt_f32_i32_e32 v7, v7
	s_delay_alu instid0(VALU_DEP_1)
	v_cvt_f16_f32_e32 v7, v7
.LBB96_1340:
	s_mov_b32 s0, 0
.LBB96_1341:
	s_delay_alu instid0(SALU_CYCLE_1)
	s_and_not1_b32 vcc_lo, exec_lo, s0
	s_cbranch_vccnz .LBB96_1343
; %bb.1342:
	global_load_u16 v7, v[0:1], off
	s_waitcnt vmcnt(0)
	v_cvt_f16_i16_e32 v7, v7
.LBB96_1343:
	s_mov_b32 s0, 0
.LBB96_1344:
	s_delay_alu instid0(SALU_CYCLE_1)
	s_and_not1_b32 vcc_lo, exec_lo, s0
	s_cbranch_vccnz .LBB96_1350
; %bb.1345:
	v_cmp_lt_i16_e32 vcc_lo, 0, v4
	s_mov_b32 s0, 0
	s_cbranch_vccz .LBB96_1347
; %bb.1346:
	global_load_i8 v7, v[0:1], off
	s_waitcnt vmcnt(0)
	v_cvt_f16_i16_e32 v7, v7
	s_branch .LBB96_1348
.LBB96_1347:
	s_mov_b32 s0, -1
                                        ; implicit-def: $vgpr7
.LBB96_1348:
	s_delay_alu instid0(SALU_CYCLE_1)
	s_and_not1_b32 vcc_lo, exec_lo, s0
	s_cbranch_vccnz .LBB96_1350
; %bb.1349:
	global_load_u8 v0, v[0:1], off
	s_waitcnt vmcnt(0)
	v_cvt_f16_u16_e32 v7, v0
.LBB96_1350:
	s_branch .LBB96_1422
.LBB96_1351:
	s_trap 2
	s_sendmsg_rtn_b32 s0, sendmsg(MSG_RTN_GET_DOORBELL)
	s_mov_b32 ttmp2, m0
	s_waitcnt lgkmcnt(0)
	s_and_b32 s0, s0, 0x3ff
	s_delay_alu instid0(SALU_CYCLE_1) | instskip(NEXT) | instid1(SALU_CYCLE_1)
	s_bitset1_b32 s0, 10
	s_mov_b32 m0, s0
	s_sendmsg sendmsg(MSG_INTERRUPT)
	s_mov_b32 m0, ttmp2
.LBB96_1352:                            ; =>This Inner Loop Header: Depth=1
	s_sethalt 5
	s_branch .LBB96_1352
.LBB96_1353:
	s_mov_b32 s0, -1
	s_mov_b32 s11, 0
.LBB96_1354:
                                        ; implicit-def: $vgpr7
.LBB96_1355:
	s_and_b32 vcc_lo, exec_lo, s12
	s_cbranch_vccz .LBB96_1359
; %bb.1356:
	v_cmp_eq_u16_e32 vcc_lo, 44, v4
	s_cbranch_vccz .LBB96_1358
; %bb.1357:
	global_load_u8 v7, v[0:1], off
	s_mov_b32 s0, 0
	s_mov_b32 s11, -1
	s_waitcnt vmcnt(0)
	v_lshlrev_b32_e32 v9, 23, v7
	v_cmp_ne_u32_e32 vcc_lo, 0xff, v7
	s_delay_alu instid0(VALU_DEP_2) | instskip(NEXT) | instid1(VALU_DEP_1)
	v_cvt_f16_f32_e32 v9, v9
	v_cndmask_b32_e32 v9, 0x7e00, v9, vcc_lo
	v_cmp_ne_u32_e32 vcc_lo, 0, v7
	s_delay_alu instid0(VALU_DEP_2)
	v_cndmask_b32_e32 v7, 0, v9, vcc_lo
	s_branch .LBB96_1359
.LBB96_1358:
	s_mov_b32 s0, -1
                                        ; implicit-def: $vgpr7
.LBB96_1359:
	s_mov_b32 s12, 0
.LBB96_1360:
	s_delay_alu instid0(SALU_CYCLE_1)
	s_and_b32 vcc_lo, exec_lo, s12
	s_cbranch_vccz .LBB96_1364
; %bb.1361:
	v_cmp_eq_u16_e32 vcc_lo, 29, v4
	s_cbranch_vccz .LBB96_1363
; %bb.1362:
	global_load_b64 v[9:10], v[0:1], off
	s_mov_b32 s0, 0
	s_mov_b32 s11, -1
	s_mov_b32 s12, 0
	s_waitcnt vmcnt(0)
	v_clz_i32_u32_e32 v7, v10
	s_delay_alu instid0(VALU_DEP_1) | instskip(NEXT) | instid1(VALU_DEP_1)
	v_min_u32_e32 v7, 32, v7
	v_lshlrev_b64 v[9:10], v7, v[9:10]
	v_sub_nc_u32_e32 v7, 32, v7
	s_delay_alu instid0(VALU_DEP_2) | instskip(NEXT) | instid1(VALU_DEP_1)
	v_min_u32_e32 v9, 1, v9
	v_or_b32_e32 v9, v10, v9
	s_delay_alu instid0(VALU_DEP_1) | instskip(NEXT) | instid1(VALU_DEP_1)
	v_cvt_f32_u32_e32 v9, v9
	v_ldexp_f32 v7, v9, v7
	s_delay_alu instid0(VALU_DEP_1)
	v_cvt_f16_f32_e32 v7, v7
	s_branch .LBB96_1365
.LBB96_1363:
	s_mov_b32 s0, -1
                                        ; implicit-def: $vgpr7
.LBB96_1364:
	s_mov_b32 s12, 0
.LBB96_1365:
	s_delay_alu instid0(SALU_CYCLE_1)
	s_and_b32 vcc_lo, exec_lo, s12
	s_cbranch_vccz .LBB96_1383
; %bb.1366:
	v_cmp_gt_i16_e32 vcc_lo, 27, v4
	s_cbranch_vccnz .LBB96_1369
; %bb.1367:
	v_cmp_lt_i16_e32 vcc_lo, 27, v4
	s_cbranch_vccz .LBB96_1370
; %bb.1368:
	global_load_b32 v7, v[0:1], off
	s_mov_b32 s11, 0
	s_waitcnt vmcnt(0)
	v_cvt_f32_u32_e32 v7, v7
	s_delay_alu instid0(VALU_DEP_1)
	v_cvt_f16_f32_e32 v7, v7
	s_branch .LBB96_1371
.LBB96_1369:
	s_mov_b32 s11, -1
                                        ; implicit-def: $vgpr7
	s_branch .LBB96_1374
.LBB96_1370:
	s_mov_b32 s11, -1
                                        ; implicit-def: $vgpr7
.LBB96_1371:
	s_delay_alu instid0(SALU_CYCLE_1)
	s_and_not1_b32 vcc_lo, exec_lo, s11
	s_cbranch_vccnz .LBB96_1373
; %bb.1372:
	global_load_u16 v7, v[0:1], off
	s_waitcnt vmcnt(0)
	v_cvt_f16_u16_e32 v7, v7
.LBB96_1373:
	s_mov_b32 s11, 0
.LBB96_1374:
	s_delay_alu instid0(SALU_CYCLE_1)
	s_and_not1_b32 vcc_lo, exec_lo, s11
	s_cbranch_vccnz .LBB96_1382
; %bb.1375:
	global_load_u8 v9, v[0:1], off
	s_mov_b32 s11, 0
	s_mov_b32 s13, exec_lo
                                        ; implicit-def: $sgpr12
	s_waitcnt vmcnt(0)
	v_cmpx_lt_i16_e32 0x7f, v9
	s_xor_b32 s13, exec_lo, s13
	s_cbranch_execz .LBB96_1396
; %bb.1376:
	s_mov_b32 s11, -1
	s_mov_b32 s14, exec_lo
                                        ; implicit-def: $sgpr12
	v_cmpx_eq_u16_e32 0x80, v9
; %bb.1377:
	s_movk_i32 s12, 0x7e00
	s_xor_b32 s11, exec_lo, -1
; %bb.1378:
	s_or_b32 exec_lo, exec_lo, s14
	s_delay_alu instid0(SALU_CYCLE_1)
	s_and_b32 s11, s11, exec_lo
	s_or_saveexec_b32 s13, s13
	v_mov_b32_e32 v7, s12
	s_xor_b32 exec_lo, exec_lo, s13
	s_cbranch_execnz .LBB96_1397
.LBB96_1379:
	s_or_b32 exec_lo, exec_lo, s13
	s_and_saveexec_b32 s12, s11
	s_cbranch_execz .LBB96_1381
.LBB96_1380:
	v_and_b32_e32 v7, 0xffff, v9
	v_lshlrev_b32_e32 v9, 24, v9
	s_delay_alu instid0(VALU_DEP_2) | instskip(NEXT) | instid1(VALU_DEP_2)
	v_and_b32_e32 v10, 7, v7
	v_and_b32_e32 v9, 0x80000000, v9
	s_delay_alu instid0(VALU_DEP_2) | instskip(NEXT) | instid1(VALU_DEP_1)
	v_clz_i32_u32_e32 v11, v10
	v_min_u32_e32 v11, 32, v11
	s_delay_alu instid0(VALU_DEP_1) | instskip(SKIP_1) | instid1(VALU_DEP_2)
	v_subrev_nc_u32_e32 v12, 28, v11
	v_sub_nc_u32_e32 v11, 29, v11
	v_lshlrev_b32_e32 v12, v12, v7
	v_bfe_u32 v7, v7, 3, 4
	s_delay_alu instid0(VALU_DEP_1) | instskip(NEXT) | instid1(VALU_DEP_3)
	v_cmp_eq_u32_e32 vcc_lo, 0, v7
	v_dual_cndmask_b32 v7, v7, v11 :: v_dual_and_b32 v12, 7, v12
	s_delay_alu instid0(VALU_DEP_1) | instskip(NEXT) | instid1(VALU_DEP_2)
	v_cndmask_b32_e32 v10, v10, v12, vcc_lo
	v_lshl_add_u32 v7, v7, 23, 0x3b800000
	s_delay_alu instid0(VALU_DEP_2) | instskip(NEXT) | instid1(VALU_DEP_1)
	v_lshlrev_b32_e32 v10, 20, v10
	v_or3_b32 v7, v9, v7, v10
	s_delay_alu instid0(VALU_DEP_1)
	v_cvt_f16_f32_e32 v7, v7
.LBB96_1381:
	s_or_b32 exec_lo, exec_lo, s12
.LBB96_1382:
	s_mov_b32 s11, -1
.LBB96_1383:
	s_mov_b32 s12, 0
.LBB96_1384:
	s_delay_alu instid0(SALU_CYCLE_1)
	s_and_b32 vcc_lo, exec_lo, s12
	s_cbranch_vccz .LBB96_1417
; %bb.1385:
	v_cmp_lt_i16_e32 vcc_lo, 22, v4
	s_cbranch_vccz .LBB96_1395
; %bb.1386:
	v_cmp_gt_i16_e32 vcc_lo, 24, v4
	s_cbranch_vccnz .LBB96_1398
; %bb.1387:
	v_cmp_lt_i16_e32 vcc_lo, 24, v4
	s_cbranch_vccz .LBB96_1399
; %bb.1388:
	global_load_u8 v9, v[0:1], off
	s_mov_b32 s12, exec_lo
                                        ; implicit-def: $sgpr11
	s_waitcnt vmcnt(0)
	v_cmpx_lt_i16_e32 0x7f, v9
	s_xor_b32 s12, exec_lo, s12
	s_cbranch_execz .LBB96_1411
; %bb.1389:
	s_mov_b32 s10, -1
	s_mov_b32 s13, exec_lo
                                        ; implicit-def: $sgpr11
	v_cmpx_eq_u16_e32 0x80, v9
; %bb.1390:
	s_movk_i32 s11, 0x7e00
	s_xor_b32 s10, exec_lo, -1
; %bb.1391:
	s_or_b32 exec_lo, exec_lo, s13
	s_delay_alu instid0(SALU_CYCLE_1)
	s_and_b32 s10, s10, exec_lo
	s_or_saveexec_b32 s12, s12
	v_mov_b32_e32 v7, s11
	s_xor_b32 exec_lo, exec_lo, s12
	s_cbranch_execnz .LBB96_1412
.LBB96_1392:
	s_or_b32 exec_lo, exec_lo, s12
	s_and_saveexec_b32 s11, s10
	s_cbranch_execz .LBB96_1394
.LBB96_1393:
	v_and_b32_e32 v7, 0xffff, v9
	v_lshlrev_b32_e32 v9, 24, v9
	s_delay_alu instid0(VALU_DEP_2) | instskip(NEXT) | instid1(VALU_DEP_2)
	v_and_b32_e32 v10, 3, v7
	v_and_b32_e32 v9, 0x80000000, v9
	s_delay_alu instid0(VALU_DEP_2) | instskip(NEXT) | instid1(VALU_DEP_1)
	v_clz_i32_u32_e32 v11, v10
	v_min_u32_e32 v11, 32, v11
	s_delay_alu instid0(VALU_DEP_1) | instskip(SKIP_1) | instid1(VALU_DEP_2)
	v_subrev_nc_u32_e32 v12, 29, v11
	v_sub_nc_u32_e32 v11, 30, v11
	v_lshlrev_b32_e32 v12, v12, v7
	v_bfe_u32 v7, v7, 2, 5
	s_delay_alu instid0(VALU_DEP_1) | instskip(NEXT) | instid1(VALU_DEP_3)
	v_cmp_eq_u32_e32 vcc_lo, 0, v7
	v_dual_cndmask_b32 v7, v7, v11 :: v_dual_and_b32 v12, 3, v12
	s_delay_alu instid0(VALU_DEP_1) | instskip(NEXT) | instid1(VALU_DEP_2)
	v_cndmask_b32_e32 v10, v10, v12, vcc_lo
	v_lshl_add_u32 v7, v7, 23, 0x37800000
	s_delay_alu instid0(VALU_DEP_2) | instskip(NEXT) | instid1(VALU_DEP_1)
	v_lshlrev_b32_e32 v10, 21, v10
	v_or3_b32 v7, v9, v7, v10
	s_delay_alu instid0(VALU_DEP_1)
	v_cvt_f16_f32_e32 v7, v7
.LBB96_1394:
	s_or_b32 exec_lo, exec_lo, s11
	s_mov_b32 s10, 0
	s_branch .LBB96_1400
.LBB96_1395:
	s_mov_b32 s10, -1
                                        ; implicit-def: $vgpr7
	s_branch .LBB96_1406
.LBB96_1396:
	s_or_saveexec_b32 s13, s13
	v_mov_b32_e32 v7, s12
	s_xor_b32 exec_lo, exec_lo, s13
	s_cbranch_execz .LBB96_1379
.LBB96_1397:
	v_cmp_ne_u16_e32 vcc_lo, 0, v9
	v_mov_b32_e32 v7, v9
	s_and_not1_b32 s11, s11, exec_lo
	s_and_b32 s12, vcc_lo, exec_lo
	s_delay_alu instid0(SALU_CYCLE_1)
	s_or_b32 s11, s11, s12
	s_or_b32 exec_lo, exec_lo, s13
	s_and_saveexec_b32 s12, s11
	s_cbranch_execnz .LBB96_1380
	s_branch .LBB96_1381
.LBB96_1398:
	s_mov_b32 s10, -1
                                        ; implicit-def: $vgpr7
	s_branch .LBB96_1403
.LBB96_1399:
	s_mov_b32 s10, -1
                                        ; implicit-def: $vgpr7
.LBB96_1400:
	s_delay_alu instid0(SALU_CYCLE_1)
	s_and_b32 vcc_lo, exec_lo, s10
	s_cbranch_vccz .LBB96_1402
; %bb.1401:
	global_load_u8 v7, v[0:1], off
	s_waitcnt vmcnt(0)
	v_lshlrev_b32_e32 v7, 24, v7
	s_delay_alu instid0(VALU_DEP_1) | instskip(NEXT) | instid1(VALU_DEP_1)
	v_and_b32_e32 v9, 0x7f000000, v7
	v_clz_i32_u32_e32 v10, v9
	v_cmp_ne_u32_e32 vcc_lo, 0, v9
	v_add_nc_u32_e32 v12, 0x1000000, v9
	s_delay_alu instid0(VALU_DEP_3) | instskip(NEXT) | instid1(VALU_DEP_1)
	v_min_u32_e32 v10, 32, v10
	v_sub_nc_u32_e64 v10, v10, 4 clamp
	s_delay_alu instid0(VALU_DEP_1) | instskip(SKIP_1) | instid1(VALU_DEP_2)
	v_lshlrev_b32_e32 v11, v10, v9
	v_lshlrev_b32_e32 v10, 23, v10
	v_lshrrev_b32_e32 v11, 4, v11
	s_delay_alu instid0(VALU_DEP_1) | instskip(SKIP_1) | instid1(VALU_DEP_2)
	v_sub_nc_u32_e32 v10, v11, v10
	v_ashrrev_i32_e32 v11, 8, v12
	v_add_nc_u32_e32 v10, 0x3c000000, v10
	s_delay_alu instid0(VALU_DEP_1) | instskip(NEXT) | instid1(VALU_DEP_1)
	v_and_or_b32 v10, 0x7f800000, v11, v10
	v_cndmask_b32_e32 v9, 0, v10, vcc_lo
	s_delay_alu instid0(VALU_DEP_1) | instskip(NEXT) | instid1(VALU_DEP_1)
	v_and_or_b32 v7, 0x80000000, v7, v9
	v_cvt_f16_f32_e32 v7, v7
.LBB96_1402:
	s_mov_b32 s10, 0
.LBB96_1403:
	s_delay_alu instid0(SALU_CYCLE_1)
	s_and_not1_b32 vcc_lo, exec_lo, s10
	s_cbranch_vccnz .LBB96_1405
; %bb.1404:
	global_load_u8 v7, v[0:1], off
	s_waitcnt vmcnt(0)
	v_lshlrev_b32_e32 v9, 25, v7
	v_lshlrev_b16 v7, 8, v7
	s_delay_alu instid0(VALU_DEP_2) | instskip(NEXT) | instid1(VALU_DEP_2)
	v_lshrrev_b32_e32 v10, 4, v9
	v_and_or_b32 v11, 0x7f00, v7, 0.5
	v_bfe_i32 v7, v7, 0, 16
	s_delay_alu instid0(VALU_DEP_3) | instskip(NEXT) | instid1(VALU_DEP_1)
	v_or_b32_e32 v10, 0x70000000, v10
	v_dual_add_f32 v11, -0.5, v11 :: v_dual_mul_f32 v10, 0x7800000, v10
	v_cmp_gt_u32_e32 vcc_lo, 0x8000000, v9
	s_delay_alu instid0(VALU_DEP_2) | instskip(NEXT) | instid1(VALU_DEP_1)
	v_cndmask_b32_e32 v9, v10, v11, vcc_lo
	v_and_or_b32 v7, 0x80000000, v7, v9
	s_delay_alu instid0(VALU_DEP_1)
	v_cvt_f16_f32_e32 v7, v7
.LBB96_1405:
	s_mov_b32 s10, 0
	s_mov_b32 s11, -1
.LBB96_1406:
	s_and_not1_b32 vcc_lo, exec_lo, s10
	s_mov_b32 s10, 0
	s_cbranch_vccnz .LBB96_1417
; %bb.1407:
	v_cmp_lt_i16_e32 vcc_lo, 14, v4
	s_cbranch_vccz .LBB96_1410
; %bb.1408:
	v_cmp_eq_u16_e32 vcc_lo, 15, v4
	s_cbranch_vccz .LBB96_1413
; %bb.1409:
	global_load_u16 v7, v[0:1], off
	s_mov_b32 s0, 0
	s_mov_b32 s11, -1
	s_waitcnt vmcnt(0)
	v_lshlrev_b32_e32 v7, 16, v7
	s_delay_alu instid0(VALU_DEP_1)
	v_cvt_f16_f32_e32 v7, v7
	s_branch .LBB96_1415
.LBB96_1410:
	s_mov_b32 s10, -1
	s_branch .LBB96_1414
.LBB96_1411:
	s_or_saveexec_b32 s12, s12
	v_mov_b32_e32 v7, s11
	s_xor_b32 exec_lo, exec_lo, s12
	s_cbranch_execz .LBB96_1392
.LBB96_1412:
	v_cmp_ne_u16_e32 vcc_lo, 0, v9
	v_mov_b32_e32 v7, v9
	s_and_not1_b32 s10, s10, exec_lo
	s_and_b32 s11, vcc_lo, exec_lo
	s_delay_alu instid0(SALU_CYCLE_1)
	s_or_b32 s10, s10, s11
	s_or_b32 exec_lo, exec_lo, s12
	s_and_saveexec_b32 s11, s10
	s_cbranch_execnz .LBB96_1393
	s_branch .LBB96_1394
.LBB96_1413:
	s_mov_b32 s0, -1
.LBB96_1414:
                                        ; implicit-def: $vgpr7
.LBB96_1415:
	s_and_b32 vcc_lo, exec_lo, s10
	s_mov_b32 s10, 0
	s_cbranch_vccz .LBB96_1417
; %bb.1416:
	v_cmp_ne_u16_e64 s0, 11, v4
	s_mov_b32 s10, -1
                                        ; implicit-def: $vgpr7
.LBB96_1417:
	s_delay_alu instid0(VALU_DEP_1)
	s_and_b32 vcc_lo, exec_lo, s0
	s_cbranch_vccnz .LBB96_1433
; %bb.1418:
	s_and_not1_b32 vcc_lo, exec_lo, s10
	s_cbranch_vccnz .LBB96_1420
.LBB96_1419:
	global_load_u8 v7, v[0:1], off
	s_mov_b32 s11, -1
	s_waitcnt vmcnt(0)
	v_cmp_ne_u16_e32 vcc_lo, 0, v7
	v_cndmask_b32_e64 v7, 0, 0x3c00, vcc_lo
.LBB96_1420:
.LBB96_1421:
	s_and_not1_b32 vcc_lo, exec_lo, s11
	s_cbranch_vccnz .LBB96_1986
.LBB96_1422:
	v_add_nc_u32_e32 v0, s3, v8
	v_cmp_gt_i16_e32 vcc_lo, 11, v4
	s_delay_alu instid0(VALU_DEP_2) | instskip(SKIP_1) | instid1(VALU_DEP_1)
	v_ashrrev_i32_e32 v1, 31, v0
	v_add_co_u32 v0, s0, s6, v0
	v_add_co_ci_u32_e64 v1, s0, s7, v1, s0
	s_cbranch_vccnz .LBB96_1429
; %bb.1423:
	v_cmp_lt_i16_e32 vcc_lo, 25, v4
	s_mov_b32 s3, 0
	s_cbranch_vccz .LBB96_1430
; %bb.1424:
	v_cmp_lt_i16_e32 vcc_lo, 28, v4
	s_cbranch_vccz .LBB96_1431
; %bb.1425:
	v_cmp_lt_i16_e32 vcc_lo, 43, v4
	s_cbranch_vccz .LBB96_1432
; %bb.1426:
	v_cmp_lt_i16_e32 vcc_lo, 45, v4
	s_cbranch_vccz .LBB96_1435
; %bb.1427:
	v_cmp_eq_u16_e32 vcc_lo, 46, v4
	s_mov_b32 s7, 0
	s_cbranch_vccz .LBB96_1438
; %bb.1428:
	global_load_b32 v8, v[0:1], off
	s_mov_b32 s0, 0
	s_mov_b32 s6, -1
	s_waitcnt vmcnt(0)
	v_lshlrev_b32_e32 v8, 16, v8
	s_delay_alu instid0(VALU_DEP_1)
	v_cvt_f16_f32_e32 v8, v8
	s_branch .LBB96_1440
.LBB96_1429:
	s_mov_b32 s0, -1
	s_mov_b32 s6, 0
                                        ; implicit-def: $vgpr8
	s_branch .LBB96_1506
.LBB96_1430:
	s_mov_b32 s7, -1
	s_mov_b32 s6, 0
	s_mov_b32 s0, 0
                                        ; implicit-def: $vgpr8
	s_branch .LBB96_1469
.LBB96_1431:
	s_mov_b32 s7, -1
	s_mov_b32 s6, 0
	s_mov_b32 s0, 0
                                        ; implicit-def: $vgpr8
	s_branch .LBB96_1450
.LBB96_1432:
	s_mov_b32 s7, -1
	s_mov_b32 s6, 0
	s_mov_b32 s0, 0
                                        ; implicit-def: $vgpr8
	s_branch .LBB96_1445
.LBB96_1433:
	s_cbranch_execnz .LBB96_1436
; %bb.1434:
	s_or_b32 s1, s1, exec_lo
                                        ; implicit-def: $vgpr7
	s_cbranch_execz .LBB96_1419
	s_branch .LBB96_1420
.LBB96_1435:
	s_mov_b32 s7, -1
	s_mov_b32 s6, 0
	s_mov_b32 s0, 0
	s_branch .LBB96_1439
.LBB96_1436:
	s_trap 2
	s_sendmsg_rtn_b32 s0, sendmsg(MSG_RTN_GET_DOORBELL)
	s_mov_b32 ttmp2, m0
	s_waitcnt lgkmcnt(0)
	s_and_b32 s0, s0, 0x3ff
	s_delay_alu instid0(SALU_CYCLE_1) | instskip(NEXT) | instid1(SALU_CYCLE_1)
	s_bitset1_b32 s0, 10
	s_mov_b32 m0, s0
	s_sendmsg sendmsg(MSG_INTERRUPT)
	s_mov_b32 m0, ttmp2
.LBB96_1437:                            ; =>This Inner Loop Header: Depth=1
	s_sethalt 5
	s_branch .LBB96_1437
.LBB96_1438:
	s_mov_b32 s0, -1
	s_mov_b32 s6, 0
.LBB96_1439:
                                        ; implicit-def: $vgpr8
.LBB96_1440:
	s_and_b32 vcc_lo, exec_lo, s7
	s_cbranch_vccz .LBB96_1444
; %bb.1441:
	v_cmp_eq_u16_e32 vcc_lo, 44, v4
	s_cbranch_vccz .LBB96_1443
; %bb.1442:
	global_load_u8 v8, v[0:1], off
	s_mov_b32 s0, 0
	s_mov_b32 s6, -1
	s_waitcnt vmcnt(0)
	v_lshlrev_b32_e32 v9, 23, v8
	v_cmp_ne_u32_e32 vcc_lo, 0xff, v8
	s_delay_alu instid0(VALU_DEP_2) | instskip(NEXT) | instid1(VALU_DEP_1)
	v_cvt_f16_f32_e32 v9, v9
	v_cndmask_b32_e32 v9, 0x7e00, v9, vcc_lo
	v_cmp_ne_u32_e32 vcc_lo, 0, v8
	s_delay_alu instid0(VALU_DEP_2)
	v_cndmask_b32_e32 v8, 0, v9, vcc_lo
	s_branch .LBB96_1444
.LBB96_1443:
	s_mov_b32 s0, -1
                                        ; implicit-def: $vgpr8
.LBB96_1444:
	s_mov_b32 s7, 0
.LBB96_1445:
	s_delay_alu instid0(SALU_CYCLE_1)
	s_and_b32 vcc_lo, exec_lo, s7
	s_cbranch_vccz .LBB96_1449
; %bb.1446:
	v_cmp_eq_u16_e32 vcc_lo, 29, v4
	s_cbranch_vccz .LBB96_1448
; %bb.1447:
	global_load_b64 v[8:9], v[0:1], off
	s_mov_b32 s0, 0
	s_mov_b32 s6, -1
	s_mov_b32 s7, 0
	s_waitcnt vmcnt(0)
	v_clz_i32_u32_e32 v10, v9
	s_delay_alu instid0(VALU_DEP_1) | instskip(NEXT) | instid1(VALU_DEP_1)
	v_min_u32_e32 v10, 32, v10
	v_lshlrev_b64 v[8:9], v10, v[8:9]
	s_delay_alu instid0(VALU_DEP_1) | instskip(NEXT) | instid1(VALU_DEP_1)
	v_min_u32_e32 v8, 1, v8
	v_or_b32_e32 v8, v9, v8
	v_sub_nc_u32_e32 v9, 32, v10
	s_delay_alu instid0(VALU_DEP_2) | instskip(NEXT) | instid1(VALU_DEP_1)
	v_cvt_f32_u32_e32 v8, v8
	v_ldexp_f32 v8, v8, v9
	s_delay_alu instid0(VALU_DEP_1)
	v_cvt_f16_f32_e32 v8, v8
	s_branch .LBB96_1450
.LBB96_1448:
	s_mov_b32 s0, -1
                                        ; implicit-def: $vgpr8
.LBB96_1449:
	s_mov_b32 s7, 0
.LBB96_1450:
	s_delay_alu instid0(SALU_CYCLE_1)
	s_and_b32 vcc_lo, exec_lo, s7
	s_cbranch_vccz .LBB96_1468
; %bb.1451:
	v_cmp_gt_i16_e32 vcc_lo, 27, v4
	s_cbranch_vccnz .LBB96_1454
; %bb.1452:
	v_cmp_lt_i16_e32 vcc_lo, 27, v4
	s_cbranch_vccz .LBB96_1455
; %bb.1453:
	global_load_b32 v8, v[0:1], off
	s_mov_b32 s6, 0
	s_waitcnt vmcnt(0)
	v_cvt_f32_u32_e32 v8, v8
	s_delay_alu instid0(VALU_DEP_1)
	v_cvt_f16_f32_e32 v8, v8
	s_branch .LBB96_1456
.LBB96_1454:
	s_mov_b32 s6, -1
                                        ; implicit-def: $vgpr8
	s_branch .LBB96_1459
.LBB96_1455:
	s_mov_b32 s6, -1
                                        ; implicit-def: $vgpr8
.LBB96_1456:
	s_delay_alu instid0(SALU_CYCLE_1)
	s_and_not1_b32 vcc_lo, exec_lo, s6
	s_cbranch_vccnz .LBB96_1458
; %bb.1457:
	global_load_u16 v8, v[0:1], off
	s_waitcnt vmcnt(0)
	v_cvt_f16_u16_e32 v8, v8
.LBB96_1458:
	s_mov_b32 s6, 0
.LBB96_1459:
	s_delay_alu instid0(SALU_CYCLE_1)
	s_and_not1_b32 vcc_lo, exec_lo, s6
	s_cbranch_vccnz .LBB96_1467
; %bb.1460:
	global_load_u8 v9, v[0:1], off
	s_mov_b32 s6, 0
	s_mov_b32 s10, exec_lo
                                        ; implicit-def: $sgpr7
	s_waitcnt vmcnt(0)
	v_cmpx_lt_i16_e32 0x7f, v9
	s_xor_b32 s10, exec_lo, s10
	s_cbranch_execz .LBB96_1481
; %bb.1461:
	s_mov_b32 s6, -1
	s_mov_b32 s11, exec_lo
                                        ; implicit-def: $sgpr7
	v_cmpx_eq_u16_e32 0x80, v9
; %bb.1462:
	s_movk_i32 s7, 0x7e00
	s_xor_b32 s6, exec_lo, -1
; %bb.1463:
	s_or_b32 exec_lo, exec_lo, s11
	s_delay_alu instid0(SALU_CYCLE_1)
	s_and_b32 s6, s6, exec_lo
	s_or_saveexec_b32 s10, s10
	v_mov_b32_e32 v8, s7
	s_xor_b32 exec_lo, exec_lo, s10
	s_cbranch_execnz .LBB96_1482
.LBB96_1464:
	s_or_b32 exec_lo, exec_lo, s10
	s_and_saveexec_b32 s7, s6
	s_cbranch_execz .LBB96_1466
.LBB96_1465:
	v_and_b32_e32 v8, 0xffff, v9
	s_delay_alu instid0(VALU_DEP_1) | instskip(NEXT) | instid1(VALU_DEP_1)
	v_and_b32_e32 v10, 7, v8
	v_clz_i32_u32_e32 v11, v10
	s_delay_alu instid0(VALU_DEP_1) | instskip(NEXT) | instid1(VALU_DEP_1)
	v_min_u32_e32 v11, 32, v11
	v_subrev_nc_u32_e32 v12, 28, v11
	v_sub_nc_u32_e32 v11, 29, v11
	s_delay_alu instid0(VALU_DEP_2) | instskip(SKIP_1) | instid1(VALU_DEP_2)
	v_lshlrev_b32_e32 v12, v12, v8
	v_bfe_u32 v8, v8, 3, 4
	v_and_b32_e32 v12, 7, v12
	s_delay_alu instid0(VALU_DEP_2) | instskip(SKIP_1) | instid1(VALU_DEP_1)
	v_cmp_eq_u32_e32 vcc_lo, 0, v8
	v_dual_cndmask_b32 v8, v8, v11 :: v_dual_lshlrev_b32 v9, 24, v9
	v_dual_cndmask_b32 v10, v10, v12 :: v_dual_and_b32 v9, 0x80000000, v9
	s_delay_alu instid0(VALU_DEP_2) | instskip(NEXT) | instid1(VALU_DEP_2)
	v_lshl_add_u32 v8, v8, 23, 0x3b800000
	v_lshlrev_b32_e32 v10, 20, v10
	s_delay_alu instid0(VALU_DEP_1) | instskip(NEXT) | instid1(VALU_DEP_1)
	v_or3_b32 v8, v9, v8, v10
	v_cvt_f16_f32_e32 v8, v8
.LBB96_1466:
	s_or_b32 exec_lo, exec_lo, s7
.LBB96_1467:
	s_mov_b32 s6, -1
.LBB96_1468:
	s_mov_b32 s7, 0
.LBB96_1469:
	s_delay_alu instid0(SALU_CYCLE_1)
	s_and_b32 vcc_lo, exec_lo, s7
	s_cbranch_vccz .LBB96_1502
; %bb.1470:
	v_cmp_lt_i16_e32 vcc_lo, 22, v4
	s_cbranch_vccz .LBB96_1480
; %bb.1471:
	v_cmp_gt_i16_e32 vcc_lo, 24, v4
	s_cbranch_vccnz .LBB96_1483
; %bb.1472:
	v_cmp_lt_i16_e32 vcc_lo, 24, v4
	s_cbranch_vccz .LBB96_1484
; %bb.1473:
	global_load_u8 v9, v[0:1], off
	s_mov_b32 s7, exec_lo
                                        ; implicit-def: $sgpr6
	s_waitcnt vmcnt(0)
	v_cmpx_lt_i16_e32 0x7f, v9
	s_xor_b32 s7, exec_lo, s7
	s_cbranch_execz .LBB96_1496
; %bb.1474:
	s_mov_b32 s3, -1
	s_mov_b32 s10, exec_lo
                                        ; implicit-def: $sgpr6
	v_cmpx_eq_u16_e32 0x80, v9
; %bb.1475:
	s_movk_i32 s6, 0x7e00
	s_xor_b32 s3, exec_lo, -1
; %bb.1476:
	s_or_b32 exec_lo, exec_lo, s10
	s_delay_alu instid0(SALU_CYCLE_1)
	s_and_b32 s3, s3, exec_lo
	s_or_saveexec_b32 s7, s7
	v_mov_b32_e32 v8, s6
	s_xor_b32 exec_lo, exec_lo, s7
	s_cbranch_execnz .LBB96_1497
.LBB96_1477:
	s_or_b32 exec_lo, exec_lo, s7
	s_and_saveexec_b32 s6, s3
	s_cbranch_execz .LBB96_1479
.LBB96_1478:
	v_and_b32_e32 v8, 0xffff, v9
	s_delay_alu instid0(VALU_DEP_1) | instskip(NEXT) | instid1(VALU_DEP_1)
	v_and_b32_e32 v10, 3, v8
	v_clz_i32_u32_e32 v11, v10
	s_delay_alu instid0(VALU_DEP_1) | instskip(NEXT) | instid1(VALU_DEP_1)
	v_min_u32_e32 v11, 32, v11
	v_subrev_nc_u32_e32 v12, 29, v11
	v_sub_nc_u32_e32 v11, 30, v11
	s_delay_alu instid0(VALU_DEP_2) | instskip(SKIP_1) | instid1(VALU_DEP_2)
	v_lshlrev_b32_e32 v12, v12, v8
	v_bfe_u32 v8, v8, 2, 5
	v_and_b32_e32 v12, 3, v12
	s_delay_alu instid0(VALU_DEP_2) | instskip(SKIP_1) | instid1(VALU_DEP_1)
	v_cmp_eq_u32_e32 vcc_lo, 0, v8
	v_dual_cndmask_b32 v8, v8, v11 :: v_dual_lshlrev_b32 v9, 24, v9
	v_dual_cndmask_b32 v10, v10, v12 :: v_dual_and_b32 v9, 0x80000000, v9
	s_delay_alu instid0(VALU_DEP_2) | instskip(NEXT) | instid1(VALU_DEP_2)
	v_lshl_add_u32 v8, v8, 23, 0x37800000
	v_lshlrev_b32_e32 v10, 21, v10
	s_delay_alu instid0(VALU_DEP_1) | instskip(NEXT) | instid1(VALU_DEP_1)
	v_or3_b32 v8, v9, v8, v10
	v_cvt_f16_f32_e32 v8, v8
.LBB96_1479:
	s_or_b32 exec_lo, exec_lo, s6
	s_mov_b32 s3, 0
	s_branch .LBB96_1485
.LBB96_1480:
	s_mov_b32 s3, -1
                                        ; implicit-def: $vgpr8
	s_branch .LBB96_1491
.LBB96_1481:
	s_or_saveexec_b32 s10, s10
	v_mov_b32_e32 v8, s7
	s_xor_b32 exec_lo, exec_lo, s10
	s_cbranch_execz .LBB96_1464
.LBB96_1482:
	v_cmp_ne_u16_e32 vcc_lo, 0, v9
	v_mov_b32_e32 v8, v9
	s_and_not1_b32 s6, s6, exec_lo
	s_and_b32 s7, vcc_lo, exec_lo
	s_delay_alu instid0(SALU_CYCLE_1)
	s_or_b32 s6, s6, s7
	s_or_b32 exec_lo, exec_lo, s10
	s_and_saveexec_b32 s7, s6
	s_cbranch_execnz .LBB96_1465
	s_branch .LBB96_1466
.LBB96_1483:
	s_mov_b32 s3, -1
                                        ; implicit-def: $vgpr8
	s_branch .LBB96_1488
.LBB96_1484:
	s_mov_b32 s3, -1
                                        ; implicit-def: $vgpr8
.LBB96_1485:
	s_delay_alu instid0(SALU_CYCLE_1)
	s_and_b32 vcc_lo, exec_lo, s3
	s_cbranch_vccz .LBB96_1487
; %bb.1486:
	global_load_u8 v8, v[0:1], off
	s_waitcnt vmcnt(0)
	v_lshlrev_b32_e32 v8, 24, v8
	s_delay_alu instid0(VALU_DEP_1) | instskip(NEXT) | instid1(VALU_DEP_1)
	v_and_b32_e32 v9, 0x7f000000, v8
	v_clz_i32_u32_e32 v10, v9
	v_add_nc_u32_e32 v12, 0x1000000, v9
	v_cmp_ne_u32_e32 vcc_lo, 0, v9
	s_delay_alu instid0(VALU_DEP_3) | instskip(NEXT) | instid1(VALU_DEP_1)
	v_min_u32_e32 v10, 32, v10
	v_sub_nc_u32_e64 v10, v10, 4 clamp
	s_delay_alu instid0(VALU_DEP_1) | instskip(SKIP_1) | instid1(VALU_DEP_2)
	v_lshlrev_b32_e32 v11, v10, v9
	v_lshlrev_b32_e32 v10, 23, v10
	v_lshrrev_b32_e32 v11, 4, v11
	s_delay_alu instid0(VALU_DEP_1) | instskip(SKIP_1) | instid1(VALU_DEP_2)
	v_sub_nc_u32_e32 v10, v11, v10
	v_ashrrev_i32_e32 v11, 8, v12
	v_add_nc_u32_e32 v10, 0x3c000000, v10
	s_delay_alu instid0(VALU_DEP_1) | instskip(NEXT) | instid1(VALU_DEP_1)
	v_and_or_b32 v10, 0x7f800000, v11, v10
	v_cndmask_b32_e32 v9, 0, v10, vcc_lo
	s_delay_alu instid0(VALU_DEP_1) | instskip(NEXT) | instid1(VALU_DEP_1)
	v_and_or_b32 v8, 0x80000000, v8, v9
	v_cvt_f16_f32_e32 v8, v8
.LBB96_1487:
	s_mov_b32 s3, 0
.LBB96_1488:
	s_delay_alu instid0(SALU_CYCLE_1)
	s_and_not1_b32 vcc_lo, exec_lo, s3
	s_cbranch_vccnz .LBB96_1490
; %bb.1489:
	global_load_u8 v8, v[0:1], off
	s_waitcnt vmcnt(0)
	v_lshlrev_b32_e32 v9, 25, v8
	v_lshlrev_b16 v8, 8, v8
	s_delay_alu instid0(VALU_DEP_2) | instskip(NEXT) | instid1(VALU_DEP_2)
	v_lshrrev_b32_e32 v10, 4, v9
	v_and_or_b32 v11, 0x7f00, v8, 0.5
	v_bfe_i32 v8, v8, 0, 16
	s_delay_alu instid0(VALU_DEP_3) | instskip(NEXT) | instid1(VALU_DEP_1)
	v_or_b32_e32 v10, 0x70000000, v10
	v_dual_add_f32 v11, -0.5, v11 :: v_dual_mul_f32 v10, 0x7800000, v10
	v_cmp_gt_u32_e32 vcc_lo, 0x8000000, v9
	s_delay_alu instid0(VALU_DEP_2) | instskip(NEXT) | instid1(VALU_DEP_1)
	v_cndmask_b32_e32 v9, v10, v11, vcc_lo
	v_and_or_b32 v8, 0x80000000, v8, v9
	s_delay_alu instid0(VALU_DEP_1)
	v_cvt_f16_f32_e32 v8, v8
.LBB96_1490:
	s_mov_b32 s3, 0
	s_mov_b32 s6, -1
.LBB96_1491:
	s_and_not1_b32 vcc_lo, exec_lo, s3
	s_mov_b32 s3, 0
	s_cbranch_vccnz .LBB96_1502
; %bb.1492:
	v_cmp_lt_i16_e32 vcc_lo, 14, v4
	s_cbranch_vccz .LBB96_1495
; %bb.1493:
	v_cmp_eq_u16_e32 vcc_lo, 15, v4
	s_cbranch_vccz .LBB96_1498
; %bb.1494:
	global_load_u16 v8, v[0:1], off
	s_mov_b32 s0, 0
	s_mov_b32 s6, -1
	s_waitcnt vmcnt(0)
	v_lshlrev_b32_e32 v8, 16, v8
	s_delay_alu instid0(VALU_DEP_1)
	v_cvt_f16_f32_e32 v8, v8
	s_branch .LBB96_1500
.LBB96_1495:
	s_mov_b32 s3, -1
	s_branch .LBB96_1499
.LBB96_1496:
	s_or_saveexec_b32 s7, s7
	v_mov_b32_e32 v8, s6
	s_xor_b32 exec_lo, exec_lo, s7
	s_cbranch_execz .LBB96_1477
.LBB96_1497:
	v_cmp_ne_u16_e32 vcc_lo, 0, v9
	v_mov_b32_e32 v8, v9
	s_and_not1_b32 s3, s3, exec_lo
	s_and_b32 s6, vcc_lo, exec_lo
	s_delay_alu instid0(SALU_CYCLE_1)
	s_or_b32 s3, s3, s6
	s_or_b32 exec_lo, exec_lo, s7
	s_and_saveexec_b32 s6, s3
	s_cbranch_execnz .LBB96_1478
	s_branch .LBB96_1479
.LBB96_1498:
	s_mov_b32 s0, -1
.LBB96_1499:
                                        ; implicit-def: $vgpr8
.LBB96_1500:
	s_and_b32 vcc_lo, exec_lo, s3
	s_mov_b32 s3, 0
	s_cbranch_vccz .LBB96_1502
; %bb.1501:
	v_cmp_ne_u16_e64 s0, 11, v4
	s_mov_b32 s3, -1
                                        ; implicit-def: $vgpr8
.LBB96_1502:
	s_delay_alu instid0(VALU_DEP_1)
	s_and_b32 vcc_lo, exec_lo, s0
	s_cbranch_vccnz .LBB96_2031
; %bb.1503:
	s_and_not1_b32 vcc_lo, exec_lo, s3
	s_cbranch_vccnz .LBB96_1505
.LBB96_1504:
	global_load_u8 v8, v[0:1], off
	s_mov_b32 s6, -1
	s_waitcnt vmcnt(0)
	v_cmp_ne_u16_e32 vcc_lo, 0, v8
	v_cndmask_b32_e64 v8, 0, 0x3c00, vcc_lo
.LBB96_1505:
	s_mov_b32 s0, 0
.LBB96_1506:
	s_delay_alu instid0(SALU_CYCLE_1)
	s_and_b32 vcc_lo, exec_lo, s0
	s_cbranch_vccz .LBB96_1555
; %bb.1507:
	v_cmp_gt_i16_e32 vcc_lo, 5, v4
	s_cbranch_vccnz .LBB96_1512
; %bb.1508:
	v_cmp_gt_i16_e32 vcc_lo, 8, v4
	s_cbranch_vccnz .LBB96_1513
	;; [unrolled: 3-line block ×3, first 2 shown]
; %bb.1510:
	v_cmp_lt_i16_e32 vcc_lo, 9, v4
	s_cbranch_vccz .LBB96_1515
; %bb.1511:
	global_load_b64 v[8:9], v[0:1], off
	s_mov_b32 s0, 0
	s_waitcnt vmcnt(0)
	v_cvt_f32_f64_e32 v8, v[8:9]
	s_delay_alu instid0(VALU_DEP_1)
	v_cvt_f16_f32_e32 v8, v8
	s_branch .LBB96_1516
.LBB96_1512:
	s_mov_b32 s0, -1
                                        ; implicit-def: $vgpr8
	s_branch .LBB96_1534
.LBB96_1513:
	s_mov_b32 s0, -1
                                        ; implicit-def: $vgpr8
	s_branch .LBB96_1522
.LBB96_1514:
	s_mov_b32 s0, -1
                                        ; implicit-def: $vgpr8
	s_branch .LBB96_1519
.LBB96_1515:
	s_mov_b32 s0, -1
                                        ; implicit-def: $vgpr8
.LBB96_1516:
	s_delay_alu instid0(SALU_CYCLE_1)
	s_and_not1_b32 vcc_lo, exec_lo, s0
	s_cbranch_vccnz .LBB96_1518
; %bb.1517:
	global_load_b32 v8, v[0:1], off
	s_waitcnt vmcnt(0)
	v_cvt_f16_f32_e32 v8, v8
.LBB96_1518:
	s_mov_b32 s0, 0
.LBB96_1519:
	s_delay_alu instid0(SALU_CYCLE_1)
	s_and_not1_b32 vcc_lo, exec_lo, s0
	s_cbranch_vccnz .LBB96_1521
; %bb.1520:
	global_load_b32 v8, v[0:1], off
.LBB96_1521:
	s_mov_b32 s0, 0
.LBB96_1522:
	s_delay_alu instid0(SALU_CYCLE_1)
	s_and_not1_b32 vcc_lo, exec_lo, s0
	s_cbranch_vccnz .LBB96_1533
; %bb.1523:
	v_cmp_gt_i16_e32 vcc_lo, 6, v4
	s_cbranch_vccnz .LBB96_1526
; %bb.1524:
	v_cmp_lt_i16_e32 vcc_lo, 6, v4
	s_cbranch_vccz .LBB96_1527
; %bb.1525:
	global_load_b64 v[8:9], v[0:1], off
	s_mov_b32 s0, 0
	s_waitcnt vmcnt(0)
	v_cvt_f32_f64_e32 v8, v[8:9]
	s_delay_alu instid0(VALU_DEP_1)
	v_cvt_f16_f32_e32 v8, v8
	s_branch .LBB96_1528
.LBB96_1526:
	s_mov_b32 s0, -1
                                        ; implicit-def: $vgpr8
	s_branch .LBB96_1531
.LBB96_1527:
	s_mov_b32 s0, -1
                                        ; implicit-def: $vgpr8
.LBB96_1528:
	s_delay_alu instid0(SALU_CYCLE_1)
	s_and_not1_b32 vcc_lo, exec_lo, s0
	s_cbranch_vccnz .LBB96_1530
; %bb.1529:
	global_load_b32 v8, v[0:1], off
	s_waitcnt vmcnt(0)
	v_cvt_f16_f32_e32 v8, v8
.LBB96_1530:
	s_mov_b32 s0, 0
.LBB96_1531:
	s_delay_alu instid0(SALU_CYCLE_1)
	s_and_not1_b32 vcc_lo, exec_lo, s0
	s_cbranch_vccnz .LBB96_1533
; %bb.1532:
	global_load_u16 v8, v[0:1], off
.LBB96_1533:
	s_mov_b32 s0, 0
.LBB96_1534:
	s_delay_alu instid0(SALU_CYCLE_1)
	s_and_not1_b32 vcc_lo, exec_lo, s0
	s_cbranch_vccnz .LBB96_1554
; %bb.1535:
	v_cmp_gt_i16_e32 vcc_lo, 2, v4
	s_cbranch_vccnz .LBB96_1539
; %bb.1536:
	v_cmp_gt_i16_e32 vcc_lo, 3, v4
	s_cbranch_vccnz .LBB96_1540
; %bb.1537:
	v_cmp_lt_i16_e32 vcc_lo, 3, v4
	s_cbranch_vccz .LBB96_1541
; %bb.1538:
	global_load_b64 v[8:9], v[0:1], off
	s_mov_b32 s0, 0
	s_waitcnt vmcnt(0)
	v_xor_b32_e32 v10, v8, v9
	v_cls_i32_e32 v11, v9
	s_delay_alu instid0(VALU_DEP_2) | instskip(NEXT) | instid1(VALU_DEP_2)
	v_ashrrev_i32_e32 v10, 31, v10
	v_add_nc_u32_e32 v11, -1, v11
	s_delay_alu instid0(VALU_DEP_2) | instskip(NEXT) | instid1(VALU_DEP_1)
	v_add_nc_u32_e32 v10, 32, v10
	v_min_u32_e32 v10, v11, v10
	s_delay_alu instid0(VALU_DEP_1) | instskip(NEXT) | instid1(VALU_DEP_1)
	v_lshlrev_b64 v[8:9], v10, v[8:9]
	v_min_u32_e32 v8, 1, v8
	s_delay_alu instid0(VALU_DEP_1) | instskip(SKIP_1) | instid1(VALU_DEP_2)
	v_or_b32_e32 v8, v9, v8
	v_sub_nc_u32_e32 v9, 32, v10
	v_cvt_f32_i32_e32 v8, v8
	s_delay_alu instid0(VALU_DEP_1) | instskip(NEXT) | instid1(VALU_DEP_1)
	v_ldexp_f32 v8, v8, v9
	v_cvt_f16_f32_e32 v8, v8
	s_branch .LBB96_1542
.LBB96_1539:
	s_mov_b32 s0, -1
                                        ; implicit-def: $vgpr8
	s_branch .LBB96_1548
.LBB96_1540:
	s_mov_b32 s0, -1
                                        ; implicit-def: $vgpr8
	s_branch .LBB96_1545
.LBB96_1541:
	s_mov_b32 s0, -1
                                        ; implicit-def: $vgpr8
.LBB96_1542:
	s_delay_alu instid0(SALU_CYCLE_1)
	s_and_not1_b32 vcc_lo, exec_lo, s0
	s_cbranch_vccnz .LBB96_1544
; %bb.1543:
	global_load_b32 v8, v[0:1], off
	s_waitcnt vmcnt(0)
	v_cvt_f32_i32_e32 v8, v8
	s_delay_alu instid0(VALU_DEP_1)
	v_cvt_f16_f32_e32 v8, v8
.LBB96_1544:
	s_mov_b32 s0, 0
.LBB96_1545:
	s_delay_alu instid0(SALU_CYCLE_1)
	s_and_not1_b32 vcc_lo, exec_lo, s0
	s_cbranch_vccnz .LBB96_1547
; %bb.1546:
	global_load_u16 v8, v[0:1], off
	s_waitcnt vmcnt(0)
	v_cvt_f16_i16_e32 v8, v8
.LBB96_1547:
	s_mov_b32 s0, 0
.LBB96_1548:
	s_delay_alu instid0(SALU_CYCLE_1)
	s_and_not1_b32 vcc_lo, exec_lo, s0
	s_cbranch_vccnz .LBB96_1554
; %bb.1549:
	v_cmp_lt_i16_e32 vcc_lo, 0, v4
	s_mov_b32 s0, 0
	s_cbranch_vccz .LBB96_1551
; %bb.1550:
	global_load_i8 v4, v[0:1], off
	s_waitcnt vmcnt(0)
	v_cvt_f16_i16_e32 v8, v4
	s_branch .LBB96_1552
.LBB96_1551:
	s_mov_b32 s0, -1
                                        ; implicit-def: $vgpr8
.LBB96_1552:
	s_delay_alu instid0(SALU_CYCLE_1)
	s_and_not1_b32 vcc_lo, exec_lo, s0
	s_cbranch_vccnz .LBB96_1554
; %bb.1553:
	global_load_u8 v0, v[0:1], off
	s_waitcnt vmcnt(0)
	v_cvt_f16_u16_e32 v8, v0
.LBB96_1554:
	s_mov_b32 s6, -1
.LBB96_1555:
	s_delay_alu instid0(SALU_CYCLE_1)
	s_and_not1_b32 vcc_lo, exec_lo, s6
	s_cbranch_vccnz .LBB96_1986
; %bb.1556:
	s_waitcnt vmcnt(0)
	v_cvt_f32_f16_e32 v0, v5
	s_mov_b32 s0, 0x3fb8aa3b
	v_mul_lo_u32 v3, s2, v3
	s_mov_b32 s6, 0
	s_delay_alu instid0(VALU_DEP_2) | instskip(SKIP_1) | instid1(VALU_DEP_2)
	v_mul_f32_e32 v1, 0x3fb8aa3b, v0
	v_cmp_ngt_f32_e32 vcc_lo, 0xc2ce8ed0, v0
	v_rndne_f32_e32 v4, v1
	v_fma_mix_f32 v9, v5, s0, -v1 op_sel_hi:[1,0,0]
	s_mov_b32 s0, 0x32a5705f
	s_delay_alu instid0(VALU_DEP_2) | instskip(NEXT) | instid1(VALU_DEP_2)
	v_sub_f32_e32 v1, v1, v4
	v_fma_mix_f32 v5, v5, s0, v9 op_sel_hi:[1,0,0]
	v_cvt_i32_f32_e32 v4, v4
	v_cmp_nlt_f32_e64 s0, 0x42b17218, v0
	s_delay_alu instid0(VALU_DEP_3) | instskip(SKIP_2) | instid1(VALU_DEP_3)
	v_add_f32_e32 v1, v1, v5
	v_and_b32_e32 v5, 0xff, v2
	v_ashrrev_i32_e32 v2, 31, v3
	v_exp_f32_e32 v1, v1
	s_waitcnt_depctr 0xfff
	v_ldexp_f32 v1, v1, v4
	s_delay_alu instid0(VALU_DEP_1) | instskip(SKIP_1) | instid1(VALU_DEP_2)
	v_cndmask_b32_e32 v1, 0, v1, vcc_lo
	v_cmp_gt_i16_e32 vcc_lo, 11, v5
	v_cndmask_b32_e64 v4, 0x7f800000, v1, s0
	v_add_co_u32 v0, s0, s4, v3
	s_delay_alu instid0(VALU_DEP_1) | instskip(NEXT) | instid1(VALU_DEP_3)
	v_add_co_ci_u32_e64 v1, s0, s5, v2, s0
	v_cvt_f16_f32_e32 v2, v4
	s_mov_b32 s0, -1
	s_cbranch_vccnz .LBB96_1634
; %bb.1557:
	v_cmp_lt_i16_e32 vcc_lo, 25, v5
	s_mov_b32 s7, -1
	s_mov_b32 s3, 0
	s_mov_b32 s0, 0
	s_cbranch_vccz .LBB96_1590
; %bb.1558:
	v_cmp_lt_i16_e32 vcc_lo, 28, v5
	s_cbranch_vccz .LBB96_1573
; %bb.1559:
	v_cmp_lt_i16_e32 vcc_lo, 43, v5
	;; [unrolled: 3-line block ×3, first 2 shown]
	s_cbranch_vccz .LBB96_1563
; %bb.1561:
	v_cmp_eq_u16_e32 vcc_lo, 46, v5
	s_mov_b32 s0, -1
	s_mov_b32 s7, 0
	s_cbranch_vccz .LBB96_1563
; %bb.1562:
	v_cvt_f32_f16_e32 v4, v2
	v_cmp_o_f16_e32 vcc_lo, v2, v2
	s_mov_b32 s0, 0
	s_mov_b32 s6, -1
	s_delay_alu instid0(VALU_DEP_2) | instskip(NEXT) | instid1(VALU_DEP_1)
	v_bfe_u32 v9, v4, 16, 1
	v_add3_u32 v4, v4, v9, 0x7fff
	s_delay_alu instid0(VALU_DEP_1) | instskip(NEXT) | instid1(VALU_DEP_1)
	v_lshrrev_b32_e32 v4, 16, v4
	v_cndmask_b32_e32 v4, 0x7fc0, v4, vcc_lo
	global_store_b32 v[0:1], v4, off
.LBB96_1563:
	s_and_b32 vcc_lo, exec_lo, s7
	s_cbranch_vccz .LBB96_1568
; %bb.1564:
	v_cmp_eq_u16_e32 vcc_lo, 44, v5
	s_mov_b32 s0, -1
	s_cbranch_vccz .LBB96_1568
; %bb.1565:
	v_cvt_f32_f16_e32 v4, v2
	v_mov_b32_e32 v9, 0xff
	s_mov_b32 s6, exec_lo
	s_delay_alu instid0(VALU_DEP_2) | instskip(NEXT) | instid1(VALU_DEP_1)
	v_bfe_u32 v10, v4, 23, 8
	v_cmpx_ne_u32_e32 0xff, v10
; %bb.1566:
	v_and_b32_e32 v9, 0x400000, v4
	v_and_or_b32 v10, 0x3fffff, v4, v10
	v_lshrrev_b32_e32 v4, 23, v4
	s_delay_alu instid0(VALU_DEP_3) | instskip(NEXT) | instid1(VALU_DEP_3)
	v_cmp_ne_u32_e32 vcc_lo, 0, v9
	v_cmp_ne_u32_e64 s0, 0, v10
	s_delay_alu instid0(VALU_DEP_1) | instskip(NEXT) | instid1(SALU_CYCLE_1)
	s_and_b32 s0, vcc_lo, s0
	v_cndmask_b32_e64 v9, 0, 1, s0
	s_delay_alu instid0(VALU_DEP_1)
	v_add_nc_u32_e32 v9, v4, v9
; %bb.1567:
	s_or_b32 exec_lo, exec_lo, s6
	s_mov_b32 s0, 0
	s_mov_b32 s6, -1
	global_store_b8 v[0:1], v9, off
.LBB96_1568:
	s_mov_b32 s7, 0
.LBB96_1569:
	s_delay_alu instid0(SALU_CYCLE_1)
	s_and_b32 vcc_lo, exec_lo, s7
	s_cbranch_vccz .LBB96_1572
; %bb.1570:
	v_cmp_eq_u16_e32 vcc_lo, 29, v5
	s_mov_b32 s0, -1
	s_cbranch_vccz .LBB96_1572
; %bb.1571:
	v_cvt_f32_f16_e32 v4, v2
	v_mov_b32_e32 v10, 0
	s_mov_b32 s0, 0
	s_mov_b32 s6, -1
	s_delay_alu instid0(VALU_DEP_2)
	v_cvt_u32_f32_e32 v9, v4
	global_store_b64 v[0:1], v[9:10], off
.LBB96_1572:
	s_mov_b32 s7, 0
.LBB96_1573:
	s_delay_alu instid0(SALU_CYCLE_1)
	s_and_b32 vcc_lo, exec_lo, s7
	s_cbranch_vccz .LBB96_1589
; %bb.1574:
	v_cmp_gt_i16_e32 vcc_lo, 27, v5
	s_mov_b32 s6, -1
	s_cbranch_vccnz .LBB96_1580
; %bb.1575:
	v_cmp_lt_i16_e32 vcc_lo, 27, v5
	s_cbranch_vccz .LBB96_1577
; %bb.1576:
	v_cvt_f32_f16_e32 v4, v2
	s_mov_b32 s6, 0
	s_delay_alu instid0(VALU_DEP_1)
	v_cvt_u32_f32_e32 v4, v4
	global_store_b32 v[0:1], v4, off
.LBB96_1577:
	s_and_not1_b32 vcc_lo, exec_lo, s6
	s_cbranch_vccnz .LBB96_1579
; %bb.1578:
	v_cvt_u16_f16_e32 v4, v2
	global_store_b16 v[0:1], v4, off
.LBB96_1579:
	s_mov_b32 s6, 0
.LBB96_1580:
	s_delay_alu instid0(SALU_CYCLE_1)
	s_and_not1_b32 vcc_lo, exec_lo, s6
	s_cbranch_vccnz .LBB96_1588
; %bb.1581:
	v_cvt_f32_f16_e32 v4, v2
	v_mov_b32_e32 v10, 0x80
	s_mov_b32 s6, exec_lo
	s_delay_alu instid0(VALU_DEP_2) | instskip(NEXT) | instid1(VALU_DEP_1)
	v_and_b32_e32 v9, 0x7fffffff, v4
	v_cmpx_gt_u32_e32 0x43800000, v9
	s_cbranch_execz .LBB96_1587
; %bb.1582:
	v_cmp_lt_u32_e32 vcc_lo, 0x3bffffff, v9
	s_mov_b32 s7, 0
                                        ; implicit-def: $vgpr9
	s_and_saveexec_b32 s10, vcc_lo
	s_delay_alu instid0(SALU_CYCLE_1)
	s_xor_b32 s10, exec_lo, s10
	s_cbranch_execz .LBB96_2033
; %bb.1583:
	v_bfe_u32 v9, v4, 20, 1
	s_mov_b32 s7, exec_lo
	s_delay_alu instid0(VALU_DEP_1) | instskip(NEXT) | instid1(VALU_DEP_1)
	v_add3_u32 v9, v4, v9, 0x487ffff
	v_lshrrev_b32_e32 v9, 20, v9
	s_or_saveexec_b32 s10, s10
                                        ; implicit-def: $sgpr11
	s_delay_alu instid0(SALU_CYCLE_1)
	s_xor_b32 exec_lo, exec_lo, s10
	s_cbranch_execnz .LBB96_2034
.LBB96_1584:
	s_or_b32 exec_lo, exec_lo, s10
	v_mov_b32_e32 v10, s11
	s_and_saveexec_b32 s10, s7
.LBB96_1585:
	v_lshrrev_b32_e32 v4, 24, v4
	s_delay_alu instid0(VALU_DEP_1)
	v_and_or_b32 v10, 0x80, v4, v9
.LBB96_1586:
	s_or_b32 exec_lo, exec_lo, s10
.LBB96_1587:
	s_delay_alu instid0(SALU_CYCLE_1)
	s_or_b32 exec_lo, exec_lo, s6
	global_store_b8 v[0:1], v10, off
.LBB96_1588:
	s_mov_b32 s6, -1
.LBB96_1589:
	s_mov_b32 s7, 0
.LBB96_1590:
	s_delay_alu instid0(SALU_CYCLE_1)
	s_and_b32 vcc_lo, exec_lo, s7
	s_cbranch_vccz .LBB96_1630
; %bb.1591:
	v_cmp_lt_i16_e32 vcc_lo, 22, v5
	s_mov_b32 s3, -1
	s_cbranch_vccz .LBB96_1623
; %bb.1592:
	v_cmp_gt_i16_e32 vcc_lo, 24, v5
	s_cbranch_vccnz .LBB96_1612
; %bb.1593:
	v_cmp_lt_i16_e32 vcc_lo, 24, v5
	s_cbranch_vccz .LBB96_1601
; %bb.1594:
	v_cvt_f32_f16_e32 v4, v2
	v_mov_b32_e32 v10, 0x80
	s_mov_b32 s3, exec_lo
	s_delay_alu instid0(VALU_DEP_2) | instskip(NEXT) | instid1(VALU_DEP_1)
	v_and_b32_e32 v9, 0x7fffffff, v4
	v_cmpx_gt_u32_e32 0x47800000, v9
	s_cbranch_execz .LBB96_1600
; %bb.1595:
	v_cmp_lt_u32_e32 vcc_lo, 0x37ffffff, v9
	s_mov_b32 s6, 0
                                        ; implicit-def: $vgpr9
	s_and_saveexec_b32 s7, vcc_lo
	s_delay_alu instid0(SALU_CYCLE_1)
	s_xor_b32 s7, exec_lo, s7
	s_cbranch_execz .LBB96_2039
; %bb.1596:
	v_bfe_u32 v9, v4, 21, 1
	s_mov_b32 s6, exec_lo
	s_delay_alu instid0(VALU_DEP_1) | instskip(NEXT) | instid1(VALU_DEP_1)
	v_add3_u32 v9, v4, v9, 0x88fffff
	v_lshrrev_b32_e32 v9, 21, v9
	s_or_saveexec_b32 s7, s7
                                        ; implicit-def: $sgpr10
	s_delay_alu instid0(SALU_CYCLE_1)
	s_xor_b32 exec_lo, exec_lo, s7
	s_cbranch_execnz .LBB96_2040
.LBB96_1597:
	s_or_b32 exec_lo, exec_lo, s7
	v_mov_b32_e32 v10, s10
	s_and_saveexec_b32 s7, s6
.LBB96_1598:
	v_lshrrev_b32_e32 v4, 24, v4
	s_delay_alu instid0(VALU_DEP_1)
	v_and_or_b32 v10, 0x80, v4, v9
.LBB96_1599:
	s_or_b32 exec_lo, exec_lo, s7
.LBB96_1600:
	s_delay_alu instid0(SALU_CYCLE_1)
	s_or_b32 exec_lo, exec_lo, s3
	s_mov_b32 s3, 0
	global_store_b8 v[0:1], v10, off
.LBB96_1601:
	s_and_b32 vcc_lo, exec_lo, s3
	s_cbranch_vccz .LBB96_1611
; %bb.1602:
	v_cvt_f32_f16_e32 v4, v2
	s_mov_b32 s3, exec_lo
                                        ; implicit-def: $vgpr9
	s_delay_alu instid0(VALU_DEP_1) | instskip(NEXT) | instid1(VALU_DEP_1)
	v_and_b32_e32 v10, 0x7fffffff, v4
	v_cmpx_gt_u32_e32 0x43f00000, v10
	s_xor_b32 s3, exec_lo, s3
	s_cbranch_execz .LBB96_1608
; %bb.1603:
	s_mov_b32 s6, exec_lo
                                        ; implicit-def: $vgpr9
	v_cmpx_lt_u32_e32 0x3c7fffff, v10
	s_xor_b32 s6, exec_lo, s6
; %bb.1604:
	v_bfe_u32 v9, v4, 20, 1
	s_delay_alu instid0(VALU_DEP_1) | instskip(NEXT) | instid1(VALU_DEP_1)
	v_add3_u32 v9, v4, v9, 0x407ffff
	v_and_b32_e32 v10, 0xff00000, v9
	v_lshrrev_b32_e32 v9, 20, v9
	s_delay_alu instid0(VALU_DEP_2) | instskip(NEXT) | instid1(VALU_DEP_2)
	v_cmp_ne_u32_e32 vcc_lo, 0x7f00000, v10
	v_cndmask_b32_e32 v9, 0x7e, v9, vcc_lo
; %bb.1605:
	s_and_not1_saveexec_b32 s6, s6
; %bb.1606:
	v_add_f32_e64 v9, 0x46800000, |v4|
; %bb.1607:
	s_or_b32 exec_lo, exec_lo, s6
                                        ; implicit-def: $vgpr10
.LBB96_1608:
	s_and_not1_saveexec_b32 s3, s3
; %bb.1609:
	v_mov_b32_e32 v9, 0x7f
	v_cmp_lt_u32_e32 vcc_lo, 0x7f800000, v10
	s_delay_alu instid0(VALU_DEP_2)
	v_cndmask_b32_e32 v9, 0x7e, v9, vcc_lo
; %bb.1610:
	s_or_b32 exec_lo, exec_lo, s3
	v_lshrrev_b32_e32 v4, 24, v4
	s_delay_alu instid0(VALU_DEP_1)
	v_and_or_b32 v4, 0x80, v4, v9
	global_store_b8 v[0:1], v4, off
.LBB96_1611:
	s_mov_b32 s3, 0
.LBB96_1612:
	s_delay_alu instid0(SALU_CYCLE_1)
	s_and_not1_b32 vcc_lo, exec_lo, s3
	s_cbranch_vccnz .LBB96_1622
; %bb.1613:
	v_cvt_f32_f16_e32 v4, v2
	s_mov_b32 s3, exec_lo
                                        ; implicit-def: $vgpr9
	s_delay_alu instid0(VALU_DEP_1) | instskip(NEXT) | instid1(VALU_DEP_1)
	v_and_b32_e32 v10, 0x7fffffff, v4
	v_cmpx_gt_u32_e32 0x47800000, v10
	s_xor_b32 s3, exec_lo, s3
	s_cbranch_execz .LBB96_1619
; %bb.1614:
	s_mov_b32 s6, exec_lo
                                        ; implicit-def: $vgpr9
	v_cmpx_lt_u32_e32 0x387fffff, v10
	s_xor_b32 s6, exec_lo, s6
; %bb.1615:
	v_bfe_u32 v9, v4, 21, 1
	s_delay_alu instid0(VALU_DEP_1) | instskip(NEXT) | instid1(VALU_DEP_1)
	v_add3_u32 v9, v4, v9, 0x80fffff
	v_lshrrev_b32_e32 v9, 21, v9
; %bb.1616:
	s_and_not1_saveexec_b32 s6, s6
; %bb.1617:
	v_add_f32_e64 v9, 0x43000000, |v4|
; %bb.1618:
	s_or_b32 exec_lo, exec_lo, s6
                                        ; implicit-def: $vgpr10
.LBB96_1619:
	s_and_not1_saveexec_b32 s3, s3
; %bb.1620:
	v_mov_b32_e32 v9, 0x7f
	v_cmp_lt_u32_e32 vcc_lo, 0x7f800000, v10
	s_delay_alu instid0(VALU_DEP_2)
	v_cndmask_b32_e32 v9, 0x7c, v9, vcc_lo
; %bb.1621:
	s_or_b32 exec_lo, exec_lo, s3
	v_lshrrev_b32_e32 v4, 24, v4
	s_delay_alu instid0(VALU_DEP_1)
	v_and_or_b32 v4, 0x80, v4, v9
	global_store_b8 v[0:1], v4, off
.LBB96_1622:
	s_mov_b32 s3, 0
	s_mov_b32 s6, -1
.LBB96_1623:
	s_and_not1_b32 vcc_lo, exec_lo, s3
	s_mov_b32 s3, 0
	s_cbranch_vccnz .LBB96_1630
; %bb.1624:
	v_cmp_lt_i16_e32 vcc_lo, 14, v5
	s_mov_b32 s3, -1
	s_cbranch_vccz .LBB96_1628
; %bb.1625:
	v_cmp_eq_u16_e32 vcc_lo, 15, v5
	s_mov_b32 s0, -1
	s_cbranch_vccz .LBB96_1627
; %bb.1626:
	v_cvt_f32_f16_e32 v4, v2
	v_cmp_o_f16_e32 vcc_lo, v2, v2
	s_mov_b32 s0, 0
	s_mov_b32 s6, -1
	s_delay_alu instid0(VALU_DEP_2) | instskip(NEXT) | instid1(VALU_DEP_1)
	v_bfe_u32 v9, v4, 16, 1
	v_add3_u32 v4, v4, v9, 0x7fff
	s_delay_alu instid0(VALU_DEP_1) | instskip(NEXT) | instid1(VALU_DEP_1)
	v_lshrrev_b32_e32 v4, 16, v4
	v_cndmask_b32_e32 v4, 0x7fc0, v4, vcc_lo
	global_store_b16 v[0:1], v4, off
.LBB96_1627:
	s_mov_b32 s3, 0
.LBB96_1628:
	s_delay_alu instid0(SALU_CYCLE_1)
	s_and_b32 vcc_lo, exec_lo, s3
	s_mov_b32 s3, 0
	s_cbranch_vccz .LBB96_1630
; %bb.1629:
	v_cmp_ne_u16_e64 s0, 11, v5
	s_mov_b32 s3, -1
.LBB96_1630:
	s_delay_alu instid0(VALU_DEP_1)
	s_and_b32 vcc_lo, exec_lo, s0
	s_cbranch_vccnz .LBB96_2037
; %bb.1631:
	s_and_not1_b32 vcc_lo, exec_lo, s3
	s_cbranch_vccnz .LBB96_1633
.LBB96_1632:
	v_cmp_neq_f16_e32 vcc_lo, 0, v2
	s_mov_b32 s6, -1
	v_cndmask_b32_e64 v4, 0, 1, vcc_lo
	global_store_b8 v[0:1], v4, off
.LBB96_1633:
	s_mov_b32 s0, 0
.LBB96_1634:
	s_delay_alu instid0(SALU_CYCLE_1)
	s_and_b32 vcc_lo, exec_lo, s0
	s_cbranch_vccz .LBB96_1673
; %bb.1635:
	v_cmp_gt_i16_e32 vcc_lo, 5, v5
	s_mov_b32 s0, -1
	s_cbranch_vccnz .LBB96_1656
; %bb.1636:
	v_cmp_gt_i16_e32 vcc_lo, 8, v5
	s_cbranch_vccnz .LBB96_1646
; %bb.1637:
	v_cmp_gt_i16_e32 vcc_lo, 9, v5
	s_cbranch_vccnz .LBB96_1643
; %bb.1638:
	v_cmp_lt_i16_e32 vcc_lo, 9, v5
	s_cbranch_vccz .LBB96_1640
; %bb.1639:
	v_cvt_f32_f16_e32 v4, v2
	v_mov_b32_e32 v11, 0
	s_mov_b32 s0, 0
	s_delay_alu instid0(VALU_DEP_2) | instskip(NEXT) | instid1(VALU_DEP_2)
	v_cvt_f64_f32_e32 v[9:10], v4
	v_mov_b32_e32 v12, v11
	global_store_b128 v[0:1], v[9:12], off
.LBB96_1640:
	s_and_not1_b32 vcc_lo, exec_lo, s0
	s_cbranch_vccnz .LBB96_1642
; %bb.1641:
	v_cvt_f32_f16_e32 v9, v2
	v_mov_b32_e32 v10, 0
	global_store_b64 v[0:1], v[9:10], off
.LBB96_1642:
	s_mov_b32 s0, 0
.LBB96_1643:
	s_delay_alu instid0(SALU_CYCLE_1)
	s_and_not1_b32 vcc_lo, exec_lo, s0
	s_cbranch_vccnz .LBB96_1645
; %bb.1644:
	v_and_b32_e32 v4, 0xffff, v2
	global_store_b32 v[0:1], v4, off
.LBB96_1645:
	s_mov_b32 s0, 0
.LBB96_1646:
	s_delay_alu instid0(SALU_CYCLE_1)
	s_and_not1_b32 vcc_lo, exec_lo, s0
	s_cbranch_vccnz .LBB96_1655
; %bb.1647:
	v_cmp_gt_i16_e32 vcc_lo, 6, v5
	s_mov_b32 s0, -1
	s_cbranch_vccnz .LBB96_1653
; %bb.1648:
	v_cmp_lt_i16_e32 vcc_lo, 6, v5
	s_cbranch_vccz .LBB96_1650
; %bb.1649:
	v_cvt_f32_f16_e32 v4, v2
	s_mov_b32 s0, 0
	s_delay_alu instid0(VALU_DEP_1)
	v_cvt_f64_f32_e32 v[9:10], v4
	global_store_b64 v[0:1], v[9:10], off
.LBB96_1650:
	s_and_not1_b32 vcc_lo, exec_lo, s0
	s_cbranch_vccnz .LBB96_1652
; %bb.1651:
	v_cvt_f32_f16_e32 v4, v2
	global_store_b32 v[0:1], v4, off
.LBB96_1652:
	s_mov_b32 s0, 0
.LBB96_1653:
	s_delay_alu instid0(SALU_CYCLE_1)
	s_and_not1_b32 vcc_lo, exec_lo, s0
	s_cbranch_vccnz .LBB96_1655
; %bb.1654:
	global_store_b16 v[0:1], v2, off
.LBB96_1655:
	s_mov_b32 s0, 0
.LBB96_1656:
	s_delay_alu instid0(SALU_CYCLE_1)
	s_and_not1_b32 vcc_lo, exec_lo, s0
	s_cbranch_vccnz .LBB96_1672
; %bb.1657:
	v_cmp_gt_i16_e32 vcc_lo, 2, v5
	s_mov_b32 s0, -1
	s_cbranch_vccnz .LBB96_1667
; %bb.1658:
	v_cmp_gt_i16_e32 vcc_lo, 3, v5
	s_cbranch_vccnz .LBB96_1664
; %bb.1659:
	v_cmp_lt_i16_e32 vcc_lo, 3, v5
	s_cbranch_vccz .LBB96_1661
; %bb.1660:
	v_cvt_f32_f16_e32 v4, v2
	s_mov_b32 s0, 0
	s_delay_alu instid0(VALU_DEP_1) | instskip(NEXT) | instid1(VALU_DEP_1)
	v_cvt_i32_f32_e32 v9, v4
	v_ashrrev_i32_e32 v10, 31, v9
	global_store_b64 v[0:1], v[9:10], off
.LBB96_1661:
	s_and_not1_b32 vcc_lo, exec_lo, s0
	s_cbranch_vccnz .LBB96_1663
; %bb.1662:
	v_cvt_f32_f16_e32 v4, v2
	s_delay_alu instid0(VALU_DEP_1)
	v_cvt_i32_f32_e32 v4, v4
	global_store_b32 v[0:1], v4, off
.LBB96_1663:
	s_mov_b32 s0, 0
.LBB96_1664:
	s_delay_alu instid0(SALU_CYCLE_1)
	s_and_not1_b32 vcc_lo, exec_lo, s0
	s_cbranch_vccnz .LBB96_1666
; %bb.1665:
	v_cvt_i16_f16_e32 v4, v2
	global_store_b16 v[0:1], v4, off
.LBB96_1666:
	s_mov_b32 s0, 0
.LBB96_1667:
	s_delay_alu instid0(SALU_CYCLE_1)
	s_and_not1_b32 vcc_lo, exec_lo, s0
	s_cbranch_vccnz .LBB96_1672
; %bb.1668:
	v_cmp_lt_i16_e32 vcc_lo, 0, v5
	s_mov_b32 s0, -1
	s_cbranch_vccz .LBB96_1670
; %bb.1669:
	v_cvt_i16_f16_e32 v4, v2
	s_mov_b32 s0, 0
	global_store_b8 v[0:1], v4, off
.LBB96_1670:
	s_and_not1_b32 vcc_lo, exec_lo, s0
	s_cbranch_vccnz .LBB96_1672
; %bb.1671:
	v_cvt_f32_f16_e32 v2, v2
	s_delay_alu instid0(VALU_DEP_1)
	v_cvt_i32_f32_e32 v2, v2
	global_store_b8 v[0:1], v2, off
.LBB96_1672:
	s_mov_b32 s6, -1
.LBB96_1673:
	s_delay_alu instid0(SALU_CYCLE_1)
	s_and_not1_b32 vcc_lo, exec_lo, s6
	s_cbranch_vccnz .LBB96_1986
; %bb.1674:
	v_cvt_f32_f16_e32 v0, v6
	s_lshl_b32 s2, s2, 7
	s_mov_b32 s0, 0x3fb8aa3b
	s_mov_b32 s6, 0
	s_delay_alu instid0(VALU_DEP_1) | instskip(SKIP_1) | instid1(VALU_DEP_2)
	v_mul_f32_e32 v1, 0x3fb8aa3b, v0
	v_cmp_ngt_f32_e32 vcc_lo, 0xc2ce8ed0, v0
	v_rndne_f32_e32 v2, v1
	v_fma_mix_f32 v4, v6, s0, -v1 op_sel_hi:[1,0,0]
	s_mov_b32 s0, 0x32a5705f
	s_delay_alu instid0(VALU_DEP_2) | instskip(NEXT) | instid1(VALU_DEP_2)
	v_sub_f32_e32 v1, v1, v2
	v_fma_mix_f32 v4, v6, s0, v4 op_sel_hi:[1,0,0]
	v_cvt_i32_f32_e32 v2, v2
	v_cmp_nlt_f32_e64 s0, 0x42b17218, v0
	s_delay_alu instid0(VALU_DEP_3) | instskip(NEXT) | instid1(VALU_DEP_1)
	v_add_f32_e32 v1, v1, v4
	v_exp_f32_e32 v1, v1
	s_waitcnt_depctr 0xfff
	v_ldexp_f32 v1, v1, v2
	s_delay_alu instid0(VALU_DEP_1) | instskip(NEXT) | instid1(VALU_DEP_1)
	v_dual_cndmask_b32 v1, 0, v1 :: v_dual_add_nc_u32 v2, s2, v3
	v_ashrrev_i32_e32 v3, 31, v2
	v_cmp_gt_i16_e32 vcc_lo, 11, v5
	s_delay_alu instid0(VALU_DEP_3) | instskip(SKIP_1) | instid1(VALU_DEP_1)
	v_cndmask_b32_e64 v4, 0x7f800000, v1, s0
	v_add_co_u32 v0, s0, s4, v2
	v_add_co_ci_u32_e64 v1, s0, s5, v3, s0
	s_delay_alu instid0(VALU_DEP_3)
	v_cvt_f16_f32_e32 v3, v4
	s_mov_b32 s0, -1
	s_cbranch_vccnz .LBB96_1752
; %bb.1675:
	v_cmp_lt_i16_e32 vcc_lo, 25, v5
	s_mov_b32 s7, -1
	s_mov_b32 s3, 0
	s_mov_b32 s0, 0
	s_cbranch_vccz .LBB96_1708
; %bb.1676:
	v_cmp_lt_i16_e32 vcc_lo, 28, v5
	s_cbranch_vccz .LBB96_1691
; %bb.1677:
	v_cmp_lt_i16_e32 vcc_lo, 43, v5
	;; [unrolled: 3-line block ×3, first 2 shown]
	s_cbranch_vccz .LBB96_1681
; %bb.1679:
	v_cmp_eq_u16_e32 vcc_lo, 46, v5
	s_mov_b32 s0, -1
	s_mov_b32 s7, 0
	s_cbranch_vccz .LBB96_1681
; %bb.1680:
	v_cvt_f32_f16_e32 v4, v3
	v_cmp_o_f16_e32 vcc_lo, v3, v3
	s_mov_b32 s0, 0
	s_mov_b32 s6, -1
	s_delay_alu instid0(VALU_DEP_2) | instskip(NEXT) | instid1(VALU_DEP_1)
	v_bfe_u32 v6, v4, 16, 1
	v_add3_u32 v4, v4, v6, 0x7fff
	s_delay_alu instid0(VALU_DEP_1) | instskip(NEXT) | instid1(VALU_DEP_1)
	v_lshrrev_b32_e32 v4, 16, v4
	v_cndmask_b32_e32 v4, 0x7fc0, v4, vcc_lo
	global_store_b32 v[0:1], v4, off
.LBB96_1681:
	s_and_b32 vcc_lo, exec_lo, s7
	s_cbranch_vccz .LBB96_1686
; %bb.1682:
	v_cmp_eq_u16_e32 vcc_lo, 44, v5
	s_mov_b32 s0, -1
	s_cbranch_vccz .LBB96_1686
; %bb.1683:
	v_cvt_f32_f16_e32 v4, v3
	v_mov_b32_e32 v6, 0xff
	s_mov_b32 s6, exec_lo
	s_delay_alu instid0(VALU_DEP_2) | instskip(NEXT) | instid1(VALU_DEP_1)
	v_bfe_u32 v9, v4, 23, 8
	v_cmpx_ne_u32_e32 0xff, v9
; %bb.1684:
	v_and_b32_e32 v6, 0x400000, v4
	v_and_or_b32 v9, 0x3fffff, v4, v9
	v_lshrrev_b32_e32 v4, 23, v4
	s_delay_alu instid0(VALU_DEP_3) | instskip(NEXT) | instid1(VALU_DEP_3)
	v_cmp_ne_u32_e32 vcc_lo, 0, v6
	v_cmp_ne_u32_e64 s0, 0, v9
	s_delay_alu instid0(VALU_DEP_1) | instskip(NEXT) | instid1(SALU_CYCLE_1)
	s_and_b32 s0, vcc_lo, s0
	v_cndmask_b32_e64 v6, 0, 1, s0
	s_delay_alu instid0(VALU_DEP_1)
	v_add_nc_u32_e32 v6, v4, v6
; %bb.1685:
	s_or_b32 exec_lo, exec_lo, s6
	s_mov_b32 s0, 0
	s_mov_b32 s6, -1
	global_store_b8 v[0:1], v6, off
.LBB96_1686:
	s_mov_b32 s7, 0
.LBB96_1687:
	s_delay_alu instid0(SALU_CYCLE_1)
	s_and_b32 vcc_lo, exec_lo, s7
	s_cbranch_vccz .LBB96_1690
; %bb.1688:
	v_cmp_eq_u16_e32 vcc_lo, 29, v5
	s_mov_b32 s0, -1
	s_cbranch_vccz .LBB96_1690
; %bb.1689:
	v_cvt_f32_f16_e32 v4, v3
	v_mov_b32_e32 v10, 0
	s_mov_b32 s0, 0
	s_mov_b32 s6, -1
	s_delay_alu instid0(VALU_DEP_2)
	v_cvt_u32_f32_e32 v9, v4
	global_store_b64 v[0:1], v[9:10], off
.LBB96_1690:
	s_mov_b32 s7, 0
.LBB96_1691:
	s_delay_alu instid0(SALU_CYCLE_1)
	s_and_b32 vcc_lo, exec_lo, s7
	s_cbranch_vccz .LBB96_1707
; %bb.1692:
	v_cmp_gt_i16_e32 vcc_lo, 27, v5
	s_mov_b32 s6, -1
	s_cbranch_vccnz .LBB96_1698
; %bb.1693:
	v_cmp_lt_i16_e32 vcc_lo, 27, v5
	s_cbranch_vccz .LBB96_1695
; %bb.1694:
	v_cvt_f32_f16_e32 v4, v3
	s_mov_b32 s6, 0
	s_delay_alu instid0(VALU_DEP_1)
	v_cvt_u32_f32_e32 v4, v4
	global_store_b32 v[0:1], v4, off
.LBB96_1695:
	s_and_not1_b32 vcc_lo, exec_lo, s6
	s_cbranch_vccnz .LBB96_1697
; %bb.1696:
	v_cvt_u16_f16_e32 v4, v3
	global_store_b16 v[0:1], v4, off
.LBB96_1697:
	s_mov_b32 s6, 0
.LBB96_1698:
	s_delay_alu instid0(SALU_CYCLE_1)
	s_and_not1_b32 vcc_lo, exec_lo, s6
	s_cbranch_vccnz .LBB96_1706
; %bb.1699:
	v_cvt_f32_f16_e32 v4, v3
	v_mov_b32_e32 v9, 0x80
	s_mov_b32 s6, exec_lo
	s_delay_alu instid0(VALU_DEP_2) | instskip(NEXT) | instid1(VALU_DEP_1)
	v_and_b32_e32 v6, 0x7fffffff, v4
	v_cmpx_gt_u32_e32 0x43800000, v6
	s_cbranch_execz .LBB96_1705
; %bb.1700:
	v_cmp_lt_u32_e32 vcc_lo, 0x3bffffff, v6
	s_mov_b32 s7, 0
                                        ; implicit-def: $vgpr6
	s_and_saveexec_b32 s10, vcc_lo
	s_delay_alu instid0(SALU_CYCLE_1)
	s_xor_b32 s10, exec_lo, s10
	s_cbranch_execz .LBB96_2041
; %bb.1701:
	v_bfe_u32 v6, v4, 20, 1
	s_mov_b32 s7, exec_lo
	s_delay_alu instid0(VALU_DEP_1) | instskip(NEXT) | instid1(VALU_DEP_1)
	v_add3_u32 v6, v4, v6, 0x487ffff
	v_lshrrev_b32_e32 v6, 20, v6
	s_or_saveexec_b32 s10, s10
                                        ; implicit-def: $sgpr11
	s_delay_alu instid0(SALU_CYCLE_1)
	s_xor_b32 exec_lo, exec_lo, s10
	s_cbranch_execnz .LBB96_2042
.LBB96_1702:
	s_or_b32 exec_lo, exec_lo, s10
	v_mov_b32_e32 v9, s11
	s_and_saveexec_b32 s10, s7
.LBB96_1703:
	v_lshrrev_b32_e32 v4, 24, v4
	s_delay_alu instid0(VALU_DEP_1)
	v_and_or_b32 v9, 0x80, v4, v6
.LBB96_1704:
	s_or_b32 exec_lo, exec_lo, s10
.LBB96_1705:
	s_delay_alu instid0(SALU_CYCLE_1)
	s_or_b32 exec_lo, exec_lo, s6
	global_store_b8 v[0:1], v9, off
.LBB96_1706:
	s_mov_b32 s6, -1
.LBB96_1707:
	s_mov_b32 s7, 0
.LBB96_1708:
	s_delay_alu instid0(SALU_CYCLE_1)
	s_and_b32 vcc_lo, exec_lo, s7
	s_cbranch_vccz .LBB96_1748
; %bb.1709:
	v_cmp_lt_i16_e32 vcc_lo, 22, v5
	s_mov_b32 s3, -1
	s_cbranch_vccz .LBB96_1741
; %bb.1710:
	v_cmp_gt_i16_e32 vcc_lo, 24, v5
	s_cbranch_vccnz .LBB96_1730
; %bb.1711:
	v_cmp_lt_i16_e32 vcc_lo, 24, v5
	s_cbranch_vccz .LBB96_1719
; %bb.1712:
	v_cvt_f32_f16_e32 v4, v3
	v_mov_b32_e32 v9, 0x80
	s_mov_b32 s3, exec_lo
	s_delay_alu instid0(VALU_DEP_2) | instskip(NEXT) | instid1(VALU_DEP_1)
	v_and_b32_e32 v6, 0x7fffffff, v4
	v_cmpx_gt_u32_e32 0x47800000, v6
	s_cbranch_execz .LBB96_1718
; %bb.1713:
	v_cmp_lt_u32_e32 vcc_lo, 0x37ffffff, v6
	s_mov_b32 s6, 0
                                        ; implicit-def: $vgpr6
	s_and_saveexec_b32 s7, vcc_lo
	s_delay_alu instid0(SALU_CYCLE_1)
	s_xor_b32 s7, exec_lo, s7
	s_cbranch_execz .LBB96_2047
; %bb.1714:
	v_bfe_u32 v6, v4, 21, 1
	s_mov_b32 s6, exec_lo
	s_delay_alu instid0(VALU_DEP_1) | instskip(NEXT) | instid1(VALU_DEP_1)
	v_add3_u32 v6, v4, v6, 0x88fffff
	v_lshrrev_b32_e32 v6, 21, v6
	s_or_saveexec_b32 s7, s7
                                        ; implicit-def: $sgpr10
	s_delay_alu instid0(SALU_CYCLE_1)
	s_xor_b32 exec_lo, exec_lo, s7
	s_cbranch_execnz .LBB96_2048
.LBB96_1715:
	s_or_b32 exec_lo, exec_lo, s7
	v_mov_b32_e32 v9, s10
	s_and_saveexec_b32 s7, s6
.LBB96_1716:
	v_lshrrev_b32_e32 v4, 24, v4
	s_delay_alu instid0(VALU_DEP_1)
	v_and_or_b32 v9, 0x80, v4, v6
.LBB96_1717:
	s_or_b32 exec_lo, exec_lo, s7
.LBB96_1718:
	s_delay_alu instid0(SALU_CYCLE_1)
	s_or_b32 exec_lo, exec_lo, s3
	s_mov_b32 s3, 0
	global_store_b8 v[0:1], v9, off
.LBB96_1719:
	s_and_b32 vcc_lo, exec_lo, s3
	s_cbranch_vccz .LBB96_1729
; %bb.1720:
	v_cvt_f32_f16_e32 v4, v3
	s_mov_b32 s3, exec_lo
                                        ; implicit-def: $vgpr6
	s_delay_alu instid0(VALU_DEP_1) | instskip(NEXT) | instid1(VALU_DEP_1)
	v_and_b32_e32 v9, 0x7fffffff, v4
	v_cmpx_gt_u32_e32 0x43f00000, v9
	s_xor_b32 s3, exec_lo, s3
	s_cbranch_execz .LBB96_1726
; %bb.1721:
	s_mov_b32 s6, exec_lo
                                        ; implicit-def: $vgpr6
	v_cmpx_lt_u32_e32 0x3c7fffff, v9
	s_xor_b32 s6, exec_lo, s6
; %bb.1722:
	v_bfe_u32 v6, v4, 20, 1
	s_delay_alu instid0(VALU_DEP_1) | instskip(NEXT) | instid1(VALU_DEP_1)
	v_add3_u32 v6, v4, v6, 0x407ffff
	v_and_b32_e32 v9, 0xff00000, v6
	v_lshrrev_b32_e32 v6, 20, v6
	s_delay_alu instid0(VALU_DEP_2) | instskip(NEXT) | instid1(VALU_DEP_2)
	v_cmp_ne_u32_e32 vcc_lo, 0x7f00000, v9
	v_cndmask_b32_e32 v6, 0x7e, v6, vcc_lo
; %bb.1723:
	s_and_not1_saveexec_b32 s6, s6
; %bb.1724:
	v_add_f32_e64 v6, 0x46800000, |v4|
; %bb.1725:
	s_or_b32 exec_lo, exec_lo, s6
                                        ; implicit-def: $vgpr9
.LBB96_1726:
	s_and_not1_saveexec_b32 s3, s3
; %bb.1727:
	v_mov_b32_e32 v6, 0x7f
	v_cmp_lt_u32_e32 vcc_lo, 0x7f800000, v9
	s_delay_alu instid0(VALU_DEP_2)
	v_cndmask_b32_e32 v6, 0x7e, v6, vcc_lo
; %bb.1728:
	s_or_b32 exec_lo, exec_lo, s3
	v_lshrrev_b32_e32 v4, 24, v4
	s_delay_alu instid0(VALU_DEP_1)
	v_and_or_b32 v4, 0x80, v4, v6
	global_store_b8 v[0:1], v4, off
.LBB96_1729:
	s_mov_b32 s3, 0
.LBB96_1730:
	s_delay_alu instid0(SALU_CYCLE_1)
	s_and_not1_b32 vcc_lo, exec_lo, s3
	s_cbranch_vccnz .LBB96_1740
; %bb.1731:
	v_cvt_f32_f16_e32 v4, v3
	s_mov_b32 s3, exec_lo
                                        ; implicit-def: $vgpr6
	s_delay_alu instid0(VALU_DEP_1) | instskip(NEXT) | instid1(VALU_DEP_1)
	v_and_b32_e32 v9, 0x7fffffff, v4
	v_cmpx_gt_u32_e32 0x47800000, v9
	s_xor_b32 s3, exec_lo, s3
	s_cbranch_execz .LBB96_1737
; %bb.1732:
	s_mov_b32 s6, exec_lo
                                        ; implicit-def: $vgpr6
	v_cmpx_lt_u32_e32 0x387fffff, v9
	s_xor_b32 s6, exec_lo, s6
; %bb.1733:
	v_bfe_u32 v6, v4, 21, 1
	s_delay_alu instid0(VALU_DEP_1) | instskip(NEXT) | instid1(VALU_DEP_1)
	v_add3_u32 v6, v4, v6, 0x80fffff
	v_lshrrev_b32_e32 v6, 21, v6
; %bb.1734:
	s_and_not1_saveexec_b32 s6, s6
; %bb.1735:
	v_add_f32_e64 v6, 0x43000000, |v4|
; %bb.1736:
	s_or_b32 exec_lo, exec_lo, s6
                                        ; implicit-def: $vgpr9
.LBB96_1737:
	s_and_not1_saveexec_b32 s3, s3
; %bb.1738:
	v_mov_b32_e32 v6, 0x7f
	v_cmp_lt_u32_e32 vcc_lo, 0x7f800000, v9
	s_delay_alu instid0(VALU_DEP_2)
	v_cndmask_b32_e32 v6, 0x7c, v6, vcc_lo
; %bb.1739:
	s_or_b32 exec_lo, exec_lo, s3
	v_lshrrev_b32_e32 v4, 24, v4
	s_delay_alu instid0(VALU_DEP_1)
	v_and_or_b32 v4, 0x80, v4, v6
	global_store_b8 v[0:1], v4, off
.LBB96_1740:
	s_mov_b32 s3, 0
	s_mov_b32 s6, -1
.LBB96_1741:
	s_and_not1_b32 vcc_lo, exec_lo, s3
	s_mov_b32 s3, 0
	s_cbranch_vccnz .LBB96_1748
; %bb.1742:
	v_cmp_lt_i16_e32 vcc_lo, 14, v5
	s_mov_b32 s3, -1
	s_cbranch_vccz .LBB96_1746
; %bb.1743:
	v_cmp_eq_u16_e32 vcc_lo, 15, v5
	s_mov_b32 s0, -1
	s_cbranch_vccz .LBB96_1745
; %bb.1744:
	v_cvt_f32_f16_e32 v4, v3
	v_cmp_o_f16_e32 vcc_lo, v3, v3
	s_mov_b32 s0, 0
	s_mov_b32 s6, -1
	s_delay_alu instid0(VALU_DEP_2) | instskip(NEXT) | instid1(VALU_DEP_1)
	v_bfe_u32 v6, v4, 16, 1
	v_add3_u32 v4, v4, v6, 0x7fff
	s_delay_alu instid0(VALU_DEP_1) | instskip(NEXT) | instid1(VALU_DEP_1)
	v_lshrrev_b32_e32 v4, 16, v4
	v_cndmask_b32_e32 v4, 0x7fc0, v4, vcc_lo
	global_store_b16 v[0:1], v4, off
.LBB96_1745:
	s_mov_b32 s3, 0
.LBB96_1746:
	s_delay_alu instid0(SALU_CYCLE_1)
	s_and_b32 vcc_lo, exec_lo, s3
	s_mov_b32 s3, 0
	s_cbranch_vccz .LBB96_1748
; %bb.1747:
	v_cmp_ne_u16_e64 s0, 11, v5
	s_mov_b32 s3, -1
.LBB96_1748:
	s_delay_alu instid0(VALU_DEP_1)
	s_and_b32 vcc_lo, exec_lo, s0
	s_cbranch_vccnz .LBB96_2045
; %bb.1749:
	s_and_not1_b32 vcc_lo, exec_lo, s3
	s_cbranch_vccnz .LBB96_1751
.LBB96_1750:
	v_cmp_neq_f16_e32 vcc_lo, 0, v3
	s_mov_b32 s6, -1
	v_cndmask_b32_e64 v4, 0, 1, vcc_lo
	global_store_b8 v[0:1], v4, off
.LBB96_1751:
	s_mov_b32 s0, 0
.LBB96_1752:
	s_delay_alu instid0(SALU_CYCLE_1)
	s_and_b32 vcc_lo, exec_lo, s0
	s_cbranch_vccz .LBB96_1791
; %bb.1753:
	v_cmp_gt_i16_e32 vcc_lo, 5, v5
	s_mov_b32 s0, -1
	s_cbranch_vccnz .LBB96_1774
; %bb.1754:
	v_cmp_gt_i16_e32 vcc_lo, 8, v5
	s_cbranch_vccnz .LBB96_1764
; %bb.1755:
	v_cmp_gt_i16_e32 vcc_lo, 9, v5
	s_cbranch_vccnz .LBB96_1761
; %bb.1756:
	v_cmp_lt_i16_e32 vcc_lo, 9, v5
	s_cbranch_vccz .LBB96_1758
; %bb.1757:
	v_cvt_f32_f16_e32 v4, v3
	v_mov_b32_e32 v11, 0
	s_mov_b32 s0, 0
	s_delay_alu instid0(VALU_DEP_2) | instskip(NEXT) | instid1(VALU_DEP_2)
	v_cvt_f64_f32_e32 v[9:10], v4
	v_mov_b32_e32 v12, v11
	global_store_b128 v[0:1], v[9:12], off
.LBB96_1758:
	s_and_not1_b32 vcc_lo, exec_lo, s0
	s_cbranch_vccnz .LBB96_1760
; %bb.1759:
	v_cvt_f32_f16_e32 v9, v3
	v_mov_b32_e32 v10, 0
	global_store_b64 v[0:1], v[9:10], off
.LBB96_1760:
	s_mov_b32 s0, 0
.LBB96_1761:
	s_delay_alu instid0(SALU_CYCLE_1)
	s_and_not1_b32 vcc_lo, exec_lo, s0
	s_cbranch_vccnz .LBB96_1763
; %bb.1762:
	v_and_b32_e32 v4, 0xffff, v3
	global_store_b32 v[0:1], v4, off
.LBB96_1763:
	s_mov_b32 s0, 0
.LBB96_1764:
	s_delay_alu instid0(SALU_CYCLE_1)
	s_and_not1_b32 vcc_lo, exec_lo, s0
	s_cbranch_vccnz .LBB96_1773
; %bb.1765:
	v_cmp_gt_i16_e32 vcc_lo, 6, v5
	s_mov_b32 s0, -1
	s_cbranch_vccnz .LBB96_1771
; %bb.1766:
	v_cmp_lt_i16_e32 vcc_lo, 6, v5
	s_cbranch_vccz .LBB96_1768
; %bb.1767:
	v_cvt_f32_f16_e32 v4, v3
	s_mov_b32 s0, 0
	s_delay_alu instid0(VALU_DEP_1)
	v_cvt_f64_f32_e32 v[9:10], v4
	global_store_b64 v[0:1], v[9:10], off
.LBB96_1768:
	s_and_not1_b32 vcc_lo, exec_lo, s0
	s_cbranch_vccnz .LBB96_1770
; %bb.1769:
	v_cvt_f32_f16_e32 v4, v3
	global_store_b32 v[0:1], v4, off
.LBB96_1770:
	s_mov_b32 s0, 0
.LBB96_1771:
	s_delay_alu instid0(SALU_CYCLE_1)
	s_and_not1_b32 vcc_lo, exec_lo, s0
	s_cbranch_vccnz .LBB96_1773
; %bb.1772:
	global_store_b16 v[0:1], v3, off
.LBB96_1773:
	s_mov_b32 s0, 0
.LBB96_1774:
	s_delay_alu instid0(SALU_CYCLE_1)
	s_and_not1_b32 vcc_lo, exec_lo, s0
	s_cbranch_vccnz .LBB96_1790
; %bb.1775:
	v_cmp_gt_i16_e32 vcc_lo, 2, v5
	s_mov_b32 s0, -1
	s_cbranch_vccnz .LBB96_1785
; %bb.1776:
	v_cmp_gt_i16_e32 vcc_lo, 3, v5
	s_cbranch_vccnz .LBB96_1782
; %bb.1777:
	v_cmp_lt_i16_e32 vcc_lo, 3, v5
	s_cbranch_vccz .LBB96_1779
; %bb.1778:
	v_cvt_f32_f16_e32 v4, v3
	s_mov_b32 s0, 0
	s_delay_alu instid0(VALU_DEP_1) | instskip(NEXT) | instid1(VALU_DEP_1)
	v_cvt_i32_f32_e32 v9, v4
	v_ashrrev_i32_e32 v10, 31, v9
	global_store_b64 v[0:1], v[9:10], off
.LBB96_1779:
	s_and_not1_b32 vcc_lo, exec_lo, s0
	s_cbranch_vccnz .LBB96_1781
; %bb.1780:
	v_cvt_f32_f16_e32 v4, v3
	s_delay_alu instid0(VALU_DEP_1)
	v_cvt_i32_f32_e32 v4, v4
	global_store_b32 v[0:1], v4, off
.LBB96_1781:
	s_mov_b32 s0, 0
.LBB96_1782:
	s_delay_alu instid0(SALU_CYCLE_1)
	s_and_not1_b32 vcc_lo, exec_lo, s0
	s_cbranch_vccnz .LBB96_1784
; %bb.1783:
	v_cvt_i16_f16_e32 v4, v3
	global_store_b16 v[0:1], v4, off
.LBB96_1784:
	s_mov_b32 s0, 0
.LBB96_1785:
	s_delay_alu instid0(SALU_CYCLE_1)
	s_and_not1_b32 vcc_lo, exec_lo, s0
	s_cbranch_vccnz .LBB96_1790
; %bb.1786:
	v_cmp_lt_i16_e32 vcc_lo, 0, v5
	s_mov_b32 s0, -1
	s_cbranch_vccz .LBB96_1788
; %bb.1787:
	v_cvt_i16_f16_e32 v4, v3
	s_mov_b32 s0, 0
	global_store_b8 v[0:1], v4, off
.LBB96_1788:
	s_and_not1_b32 vcc_lo, exec_lo, s0
	s_cbranch_vccnz .LBB96_1790
; %bb.1789:
	v_cvt_f32_f16_e32 v3, v3
	s_delay_alu instid0(VALU_DEP_1)
	v_cvt_i32_f32_e32 v3, v3
	global_store_b8 v[0:1], v3, off
.LBB96_1790:
	s_mov_b32 s6, -1
.LBB96_1791:
	s_delay_alu instid0(SALU_CYCLE_1)
	s_and_not1_b32 vcc_lo, exec_lo, s6
	s_cbranch_vccnz .LBB96_1986
; %bb.1792:
	v_cvt_f32_f16_e32 v0, v7
	s_mov_b32 s0, 0x3fb8aa3b
	s_mov_b32 s6, 0
	s_delay_alu instid0(VALU_DEP_1) | instskip(SKIP_1) | instid1(VALU_DEP_2)
	v_dual_mul_f32 v1, 0x3fb8aa3b, v0 :: v_dual_add_nc_u32 v2, s2, v2
	v_cmp_ngt_f32_e32 vcc_lo, 0xc2ce8ed0, v0
	v_rndne_f32_e32 v3, v1
	v_fma_mix_f32 v4, v7, s0, -v1 op_sel_hi:[1,0,0]
	s_mov_b32 s0, 0x32a5705f
	s_delay_alu instid0(VALU_DEP_2) | instskip(NEXT) | instid1(VALU_DEP_2)
	v_sub_f32_e32 v1, v1, v3
	v_fma_mix_f32 v4, v7, s0, v4 op_sel_hi:[1,0,0]
	v_cvt_i32_f32_e32 v3, v3
	v_cmp_nlt_f32_e64 s0, 0x42b17218, v0
	s_delay_alu instid0(VALU_DEP_3) | instskip(NEXT) | instid1(VALU_DEP_1)
	v_add_f32_e32 v1, v1, v4
	v_exp_f32_e32 v1, v1
	s_waitcnt_depctr 0xfff
	v_ldexp_f32 v1, v1, v3
	v_ashrrev_i32_e32 v3, 31, v2
	s_delay_alu instid0(VALU_DEP_2) | instskip(SKIP_1) | instid1(VALU_DEP_2)
	v_cndmask_b32_e32 v1, 0, v1, vcc_lo
	v_cmp_gt_i16_e32 vcc_lo, 11, v5
	v_cndmask_b32_e64 v4, 0x7f800000, v1, s0
	v_add_co_u32 v0, s0, s4, v2
	s_delay_alu instid0(VALU_DEP_1) | instskip(NEXT) | instid1(VALU_DEP_3)
	v_add_co_ci_u32_e64 v1, s0, s5, v3, s0
	v_cvt_f16_f32_e32 v3, v4
	s_mov_b32 s0, -1
	s_cbranch_vccnz .LBB96_1870
; %bb.1793:
	v_cmp_lt_i16_e32 vcc_lo, 25, v5
	s_mov_b32 s7, -1
	s_mov_b32 s3, 0
	s_mov_b32 s0, 0
	s_cbranch_vccz .LBB96_1826
; %bb.1794:
	v_cmp_lt_i16_e32 vcc_lo, 28, v5
	s_cbranch_vccz .LBB96_1809
; %bb.1795:
	v_cmp_lt_i16_e32 vcc_lo, 43, v5
	;; [unrolled: 3-line block ×3, first 2 shown]
	s_cbranch_vccz .LBB96_1799
; %bb.1797:
	v_cmp_eq_u16_e32 vcc_lo, 46, v5
	s_mov_b32 s0, -1
	s_mov_b32 s7, 0
	s_cbranch_vccz .LBB96_1799
; %bb.1798:
	v_cvt_f32_f16_e32 v4, v3
	v_cmp_o_f16_e32 vcc_lo, v3, v3
	s_mov_b32 s0, 0
	s_mov_b32 s6, -1
	s_delay_alu instid0(VALU_DEP_2) | instskip(NEXT) | instid1(VALU_DEP_1)
	v_bfe_u32 v6, v4, 16, 1
	v_add3_u32 v4, v4, v6, 0x7fff
	s_delay_alu instid0(VALU_DEP_1) | instskip(NEXT) | instid1(VALU_DEP_1)
	v_lshrrev_b32_e32 v4, 16, v4
	v_cndmask_b32_e32 v4, 0x7fc0, v4, vcc_lo
	global_store_b32 v[0:1], v4, off
.LBB96_1799:
	s_and_b32 vcc_lo, exec_lo, s7
	s_cbranch_vccz .LBB96_1804
; %bb.1800:
	v_cmp_eq_u16_e32 vcc_lo, 44, v5
	s_mov_b32 s0, -1
	s_cbranch_vccz .LBB96_1804
; %bb.1801:
	v_cvt_f32_f16_e32 v4, v3
	v_mov_b32_e32 v6, 0xff
	s_mov_b32 s6, exec_lo
	s_delay_alu instid0(VALU_DEP_2) | instskip(NEXT) | instid1(VALU_DEP_1)
	v_bfe_u32 v7, v4, 23, 8
	v_cmpx_ne_u32_e32 0xff, v7
; %bb.1802:
	v_and_b32_e32 v6, 0x400000, v4
	v_and_or_b32 v7, 0x3fffff, v4, v7
	v_lshrrev_b32_e32 v4, 23, v4
	s_delay_alu instid0(VALU_DEP_3) | instskip(NEXT) | instid1(VALU_DEP_3)
	v_cmp_ne_u32_e32 vcc_lo, 0, v6
	v_cmp_ne_u32_e64 s0, 0, v7
	s_delay_alu instid0(VALU_DEP_1) | instskip(NEXT) | instid1(SALU_CYCLE_1)
	s_and_b32 s0, vcc_lo, s0
	v_cndmask_b32_e64 v6, 0, 1, s0
	s_delay_alu instid0(VALU_DEP_1)
	v_add_nc_u32_e32 v6, v4, v6
; %bb.1803:
	s_or_b32 exec_lo, exec_lo, s6
	s_mov_b32 s0, 0
	s_mov_b32 s6, -1
	global_store_b8 v[0:1], v6, off
.LBB96_1804:
	s_mov_b32 s7, 0
.LBB96_1805:
	s_delay_alu instid0(SALU_CYCLE_1)
	s_and_b32 vcc_lo, exec_lo, s7
	s_cbranch_vccz .LBB96_1808
; %bb.1806:
	v_cmp_eq_u16_e32 vcc_lo, 29, v5
	s_mov_b32 s0, -1
	s_cbranch_vccz .LBB96_1808
; %bb.1807:
	v_cvt_f32_f16_e32 v4, v3
	v_mov_b32_e32 v7, 0
	s_mov_b32 s0, 0
	s_mov_b32 s6, -1
	s_delay_alu instid0(VALU_DEP_2)
	v_cvt_u32_f32_e32 v6, v4
	global_store_b64 v[0:1], v[6:7], off
.LBB96_1808:
	s_mov_b32 s7, 0
.LBB96_1809:
	s_delay_alu instid0(SALU_CYCLE_1)
	s_and_b32 vcc_lo, exec_lo, s7
	s_cbranch_vccz .LBB96_1825
; %bb.1810:
	v_cmp_gt_i16_e32 vcc_lo, 27, v5
	s_mov_b32 s6, -1
	s_cbranch_vccnz .LBB96_1816
; %bb.1811:
	v_cmp_lt_i16_e32 vcc_lo, 27, v5
	s_cbranch_vccz .LBB96_1813
; %bb.1812:
	v_cvt_f32_f16_e32 v4, v3
	s_mov_b32 s6, 0
	s_delay_alu instid0(VALU_DEP_1)
	v_cvt_u32_f32_e32 v4, v4
	global_store_b32 v[0:1], v4, off
.LBB96_1813:
	s_and_not1_b32 vcc_lo, exec_lo, s6
	s_cbranch_vccnz .LBB96_1815
; %bb.1814:
	v_cvt_u16_f16_e32 v4, v3
	global_store_b16 v[0:1], v4, off
.LBB96_1815:
	s_mov_b32 s6, 0
.LBB96_1816:
	s_delay_alu instid0(SALU_CYCLE_1)
	s_and_not1_b32 vcc_lo, exec_lo, s6
	s_cbranch_vccnz .LBB96_1824
; %bb.1817:
	v_cvt_f32_f16_e32 v4, v3
	v_mov_b32_e32 v7, 0x80
	s_mov_b32 s6, exec_lo
	s_delay_alu instid0(VALU_DEP_2) | instskip(NEXT) | instid1(VALU_DEP_1)
	v_and_b32_e32 v6, 0x7fffffff, v4
	v_cmpx_gt_u32_e32 0x43800000, v6
	s_cbranch_execz .LBB96_1823
; %bb.1818:
	v_cmp_lt_u32_e32 vcc_lo, 0x3bffffff, v6
	s_mov_b32 s7, 0
                                        ; implicit-def: $vgpr6
	s_and_saveexec_b32 s10, vcc_lo
	s_delay_alu instid0(SALU_CYCLE_1)
	s_xor_b32 s10, exec_lo, s10
	s_cbranch_execz .LBB96_2049
; %bb.1819:
	v_bfe_u32 v6, v4, 20, 1
	s_mov_b32 s7, exec_lo
	s_delay_alu instid0(VALU_DEP_1) | instskip(NEXT) | instid1(VALU_DEP_1)
	v_add3_u32 v6, v4, v6, 0x487ffff
	v_lshrrev_b32_e32 v6, 20, v6
	s_or_saveexec_b32 s10, s10
                                        ; implicit-def: $sgpr11
	s_delay_alu instid0(SALU_CYCLE_1)
	s_xor_b32 exec_lo, exec_lo, s10
	s_cbranch_execnz .LBB96_2050
.LBB96_1820:
	s_or_b32 exec_lo, exec_lo, s10
	v_mov_b32_e32 v7, s11
	s_and_saveexec_b32 s10, s7
.LBB96_1821:
	v_lshrrev_b32_e32 v4, 24, v4
	s_delay_alu instid0(VALU_DEP_1)
	v_and_or_b32 v7, 0x80, v4, v6
.LBB96_1822:
	s_or_b32 exec_lo, exec_lo, s10
.LBB96_1823:
	s_delay_alu instid0(SALU_CYCLE_1)
	s_or_b32 exec_lo, exec_lo, s6
	global_store_b8 v[0:1], v7, off
.LBB96_1824:
	s_mov_b32 s6, -1
.LBB96_1825:
	s_mov_b32 s7, 0
.LBB96_1826:
	s_delay_alu instid0(SALU_CYCLE_1)
	s_and_b32 vcc_lo, exec_lo, s7
	s_cbranch_vccz .LBB96_1866
; %bb.1827:
	v_cmp_lt_i16_e32 vcc_lo, 22, v5
	s_mov_b32 s3, -1
	s_cbranch_vccz .LBB96_1859
; %bb.1828:
	v_cmp_gt_i16_e32 vcc_lo, 24, v5
	s_cbranch_vccnz .LBB96_1848
; %bb.1829:
	v_cmp_lt_i16_e32 vcc_lo, 24, v5
	s_cbranch_vccz .LBB96_1837
; %bb.1830:
	v_cvt_f32_f16_e32 v4, v3
	v_mov_b32_e32 v7, 0x80
	s_mov_b32 s3, exec_lo
	s_delay_alu instid0(VALU_DEP_2) | instskip(NEXT) | instid1(VALU_DEP_1)
	v_and_b32_e32 v6, 0x7fffffff, v4
	v_cmpx_gt_u32_e32 0x47800000, v6
	s_cbranch_execz .LBB96_1836
; %bb.1831:
	v_cmp_lt_u32_e32 vcc_lo, 0x37ffffff, v6
	s_mov_b32 s6, 0
                                        ; implicit-def: $vgpr6
	s_and_saveexec_b32 s7, vcc_lo
	s_delay_alu instid0(SALU_CYCLE_1)
	s_xor_b32 s7, exec_lo, s7
	s_cbranch_execz .LBB96_2055
; %bb.1832:
	v_bfe_u32 v6, v4, 21, 1
	s_mov_b32 s6, exec_lo
	s_delay_alu instid0(VALU_DEP_1) | instskip(NEXT) | instid1(VALU_DEP_1)
	v_add3_u32 v6, v4, v6, 0x88fffff
	v_lshrrev_b32_e32 v6, 21, v6
	s_or_saveexec_b32 s7, s7
                                        ; implicit-def: $sgpr10
	s_delay_alu instid0(SALU_CYCLE_1)
	s_xor_b32 exec_lo, exec_lo, s7
	s_cbranch_execnz .LBB96_2056
.LBB96_1833:
	s_or_b32 exec_lo, exec_lo, s7
	v_mov_b32_e32 v7, s10
	s_and_saveexec_b32 s7, s6
.LBB96_1834:
	v_lshrrev_b32_e32 v4, 24, v4
	s_delay_alu instid0(VALU_DEP_1)
	v_and_or_b32 v7, 0x80, v4, v6
.LBB96_1835:
	s_or_b32 exec_lo, exec_lo, s7
.LBB96_1836:
	s_delay_alu instid0(SALU_CYCLE_1)
	s_or_b32 exec_lo, exec_lo, s3
	s_mov_b32 s3, 0
	global_store_b8 v[0:1], v7, off
.LBB96_1837:
	s_and_b32 vcc_lo, exec_lo, s3
	s_cbranch_vccz .LBB96_1847
; %bb.1838:
	v_cvt_f32_f16_e32 v4, v3
	s_mov_b32 s3, exec_lo
                                        ; implicit-def: $vgpr6
	s_delay_alu instid0(VALU_DEP_1) | instskip(NEXT) | instid1(VALU_DEP_1)
	v_and_b32_e32 v7, 0x7fffffff, v4
	v_cmpx_gt_u32_e32 0x43f00000, v7
	s_xor_b32 s3, exec_lo, s3
	s_cbranch_execz .LBB96_1844
; %bb.1839:
	s_mov_b32 s6, exec_lo
                                        ; implicit-def: $vgpr6
	v_cmpx_lt_u32_e32 0x3c7fffff, v7
	s_xor_b32 s6, exec_lo, s6
; %bb.1840:
	v_bfe_u32 v6, v4, 20, 1
	s_delay_alu instid0(VALU_DEP_1) | instskip(NEXT) | instid1(VALU_DEP_1)
	v_add3_u32 v6, v4, v6, 0x407ffff
	v_and_b32_e32 v7, 0xff00000, v6
	v_lshrrev_b32_e32 v6, 20, v6
	s_delay_alu instid0(VALU_DEP_2) | instskip(NEXT) | instid1(VALU_DEP_2)
	v_cmp_ne_u32_e32 vcc_lo, 0x7f00000, v7
	v_cndmask_b32_e32 v6, 0x7e, v6, vcc_lo
; %bb.1841:
	s_and_not1_saveexec_b32 s6, s6
; %bb.1842:
	v_add_f32_e64 v6, 0x46800000, |v4|
; %bb.1843:
	s_or_b32 exec_lo, exec_lo, s6
                                        ; implicit-def: $vgpr7
.LBB96_1844:
	s_and_not1_saveexec_b32 s3, s3
; %bb.1845:
	v_mov_b32_e32 v6, 0x7f
	v_cmp_lt_u32_e32 vcc_lo, 0x7f800000, v7
	s_delay_alu instid0(VALU_DEP_2)
	v_cndmask_b32_e32 v6, 0x7e, v6, vcc_lo
; %bb.1846:
	s_or_b32 exec_lo, exec_lo, s3
	v_lshrrev_b32_e32 v4, 24, v4
	s_delay_alu instid0(VALU_DEP_1)
	v_and_or_b32 v4, 0x80, v4, v6
	global_store_b8 v[0:1], v4, off
.LBB96_1847:
	s_mov_b32 s3, 0
.LBB96_1848:
	s_delay_alu instid0(SALU_CYCLE_1)
	s_and_not1_b32 vcc_lo, exec_lo, s3
	s_cbranch_vccnz .LBB96_1858
; %bb.1849:
	v_cvt_f32_f16_e32 v4, v3
	s_mov_b32 s3, exec_lo
                                        ; implicit-def: $vgpr6
	s_delay_alu instid0(VALU_DEP_1) | instskip(NEXT) | instid1(VALU_DEP_1)
	v_and_b32_e32 v7, 0x7fffffff, v4
	v_cmpx_gt_u32_e32 0x47800000, v7
	s_xor_b32 s3, exec_lo, s3
	s_cbranch_execz .LBB96_1855
; %bb.1850:
	s_mov_b32 s6, exec_lo
                                        ; implicit-def: $vgpr6
	v_cmpx_lt_u32_e32 0x387fffff, v7
	s_xor_b32 s6, exec_lo, s6
; %bb.1851:
	v_bfe_u32 v6, v4, 21, 1
	s_delay_alu instid0(VALU_DEP_1) | instskip(NEXT) | instid1(VALU_DEP_1)
	v_add3_u32 v6, v4, v6, 0x80fffff
	v_lshrrev_b32_e32 v6, 21, v6
; %bb.1852:
	s_and_not1_saveexec_b32 s6, s6
; %bb.1853:
	v_add_f32_e64 v6, 0x43000000, |v4|
; %bb.1854:
	s_or_b32 exec_lo, exec_lo, s6
                                        ; implicit-def: $vgpr7
.LBB96_1855:
	s_and_not1_saveexec_b32 s3, s3
; %bb.1856:
	v_mov_b32_e32 v6, 0x7f
	v_cmp_lt_u32_e32 vcc_lo, 0x7f800000, v7
	s_delay_alu instid0(VALU_DEP_2)
	v_cndmask_b32_e32 v6, 0x7c, v6, vcc_lo
; %bb.1857:
	s_or_b32 exec_lo, exec_lo, s3
	v_lshrrev_b32_e32 v4, 24, v4
	s_delay_alu instid0(VALU_DEP_1)
	v_and_or_b32 v4, 0x80, v4, v6
	global_store_b8 v[0:1], v4, off
.LBB96_1858:
	s_mov_b32 s3, 0
	s_mov_b32 s6, -1
.LBB96_1859:
	s_and_not1_b32 vcc_lo, exec_lo, s3
	s_mov_b32 s3, 0
	s_cbranch_vccnz .LBB96_1866
; %bb.1860:
	v_cmp_lt_i16_e32 vcc_lo, 14, v5
	s_mov_b32 s3, -1
	s_cbranch_vccz .LBB96_1864
; %bb.1861:
	v_cmp_eq_u16_e32 vcc_lo, 15, v5
	s_mov_b32 s0, -1
	s_cbranch_vccz .LBB96_1863
; %bb.1862:
	v_cvt_f32_f16_e32 v4, v3
	v_cmp_o_f16_e32 vcc_lo, v3, v3
	s_mov_b32 s0, 0
	s_mov_b32 s6, -1
	s_delay_alu instid0(VALU_DEP_2) | instskip(NEXT) | instid1(VALU_DEP_1)
	v_bfe_u32 v6, v4, 16, 1
	v_add3_u32 v4, v4, v6, 0x7fff
	s_delay_alu instid0(VALU_DEP_1) | instskip(NEXT) | instid1(VALU_DEP_1)
	v_lshrrev_b32_e32 v4, 16, v4
	v_cndmask_b32_e32 v4, 0x7fc0, v4, vcc_lo
	global_store_b16 v[0:1], v4, off
.LBB96_1863:
	s_mov_b32 s3, 0
.LBB96_1864:
	s_delay_alu instid0(SALU_CYCLE_1)
	s_and_b32 vcc_lo, exec_lo, s3
	s_mov_b32 s3, 0
	s_cbranch_vccz .LBB96_1866
; %bb.1865:
	v_cmp_ne_u16_e64 s0, 11, v5
	s_mov_b32 s3, -1
.LBB96_1866:
	s_delay_alu instid0(VALU_DEP_1)
	s_and_b32 vcc_lo, exec_lo, s0
	s_cbranch_vccnz .LBB96_2053
; %bb.1867:
	s_and_not1_b32 vcc_lo, exec_lo, s3
	s_cbranch_vccnz .LBB96_1869
.LBB96_1868:
	v_cmp_neq_f16_e32 vcc_lo, 0, v3
	s_mov_b32 s6, -1
	v_cndmask_b32_e64 v4, 0, 1, vcc_lo
	global_store_b8 v[0:1], v4, off
.LBB96_1869:
	s_mov_b32 s0, 0
.LBB96_1870:
	s_delay_alu instid0(SALU_CYCLE_1)
	s_and_b32 vcc_lo, exec_lo, s0
	s_cbranch_vccz .LBB96_1909
; %bb.1871:
	v_cmp_gt_i16_e32 vcc_lo, 5, v5
	s_mov_b32 s0, -1
	s_cbranch_vccnz .LBB96_1892
; %bb.1872:
	v_cmp_gt_i16_e32 vcc_lo, 8, v5
	s_cbranch_vccnz .LBB96_1882
; %bb.1873:
	v_cmp_gt_i16_e32 vcc_lo, 9, v5
	s_cbranch_vccnz .LBB96_1879
; %bb.1874:
	v_cmp_lt_i16_e32 vcc_lo, 9, v5
	s_cbranch_vccz .LBB96_1876
; %bb.1875:
	v_cvt_f32_f16_e32 v4, v3
	v_mov_b32_e32 v11, 0
	s_mov_b32 s0, 0
	s_delay_alu instid0(VALU_DEP_2) | instskip(NEXT) | instid1(VALU_DEP_2)
	v_cvt_f64_f32_e32 v[9:10], v4
	v_mov_b32_e32 v12, v11
	global_store_b128 v[0:1], v[9:12], off
.LBB96_1876:
	s_and_not1_b32 vcc_lo, exec_lo, s0
	s_cbranch_vccnz .LBB96_1878
; %bb.1877:
	v_cvt_f32_f16_e32 v6, v3
	v_mov_b32_e32 v7, 0
	global_store_b64 v[0:1], v[6:7], off
.LBB96_1878:
	s_mov_b32 s0, 0
.LBB96_1879:
	s_delay_alu instid0(SALU_CYCLE_1)
	s_and_not1_b32 vcc_lo, exec_lo, s0
	s_cbranch_vccnz .LBB96_1881
; %bb.1880:
	v_and_b32_e32 v4, 0xffff, v3
	global_store_b32 v[0:1], v4, off
.LBB96_1881:
	s_mov_b32 s0, 0
.LBB96_1882:
	s_delay_alu instid0(SALU_CYCLE_1)
	s_and_not1_b32 vcc_lo, exec_lo, s0
	s_cbranch_vccnz .LBB96_1891
; %bb.1883:
	v_cmp_gt_i16_e32 vcc_lo, 6, v5
	s_mov_b32 s0, -1
	s_cbranch_vccnz .LBB96_1889
; %bb.1884:
	v_cmp_lt_i16_e32 vcc_lo, 6, v5
	s_cbranch_vccz .LBB96_1886
; %bb.1885:
	v_cvt_f32_f16_e32 v4, v3
	s_mov_b32 s0, 0
	s_delay_alu instid0(VALU_DEP_1)
	v_cvt_f64_f32_e32 v[6:7], v4
	global_store_b64 v[0:1], v[6:7], off
.LBB96_1886:
	s_and_not1_b32 vcc_lo, exec_lo, s0
	s_cbranch_vccnz .LBB96_1888
; %bb.1887:
	v_cvt_f32_f16_e32 v4, v3
	global_store_b32 v[0:1], v4, off
.LBB96_1888:
	s_mov_b32 s0, 0
.LBB96_1889:
	s_delay_alu instid0(SALU_CYCLE_1)
	s_and_not1_b32 vcc_lo, exec_lo, s0
	s_cbranch_vccnz .LBB96_1891
; %bb.1890:
	global_store_b16 v[0:1], v3, off
.LBB96_1891:
	s_mov_b32 s0, 0
.LBB96_1892:
	s_delay_alu instid0(SALU_CYCLE_1)
	s_and_not1_b32 vcc_lo, exec_lo, s0
	s_cbranch_vccnz .LBB96_1908
; %bb.1893:
	v_cmp_gt_i16_e32 vcc_lo, 2, v5
	s_mov_b32 s0, -1
	s_cbranch_vccnz .LBB96_1903
; %bb.1894:
	v_cmp_gt_i16_e32 vcc_lo, 3, v5
	s_cbranch_vccnz .LBB96_1900
; %bb.1895:
	v_cmp_lt_i16_e32 vcc_lo, 3, v5
	s_cbranch_vccz .LBB96_1897
; %bb.1896:
	v_cvt_f32_f16_e32 v4, v3
	s_mov_b32 s0, 0
	s_delay_alu instid0(VALU_DEP_1) | instskip(NEXT) | instid1(VALU_DEP_1)
	v_cvt_i32_f32_e32 v6, v4
	v_ashrrev_i32_e32 v7, 31, v6
	global_store_b64 v[0:1], v[6:7], off
.LBB96_1897:
	s_and_not1_b32 vcc_lo, exec_lo, s0
	s_cbranch_vccnz .LBB96_1899
; %bb.1898:
	v_cvt_f32_f16_e32 v4, v3
	s_delay_alu instid0(VALU_DEP_1)
	v_cvt_i32_f32_e32 v4, v4
	global_store_b32 v[0:1], v4, off
.LBB96_1899:
	s_mov_b32 s0, 0
.LBB96_1900:
	s_delay_alu instid0(SALU_CYCLE_1)
	s_and_not1_b32 vcc_lo, exec_lo, s0
	s_cbranch_vccnz .LBB96_1902
; %bb.1901:
	v_cvt_i16_f16_e32 v4, v3
	global_store_b16 v[0:1], v4, off
.LBB96_1902:
	s_mov_b32 s0, 0
.LBB96_1903:
	s_delay_alu instid0(SALU_CYCLE_1)
	s_and_not1_b32 vcc_lo, exec_lo, s0
	s_cbranch_vccnz .LBB96_1908
; %bb.1904:
	v_cmp_lt_i16_e32 vcc_lo, 0, v5
	s_mov_b32 s0, -1
	s_cbranch_vccz .LBB96_1906
; %bb.1905:
	v_cvt_i16_f16_e32 v4, v3
	s_mov_b32 s0, 0
	global_store_b8 v[0:1], v4, off
.LBB96_1906:
	s_and_not1_b32 vcc_lo, exec_lo, s0
	s_cbranch_vccnz .LBB96_1908
; %bb.1907:
	v_cvt_f32_f16_e32 v3, v3
	s_delay_alu instid0(VALU_DEP_1)
	v_cvt_i32_f32_e32 v3, v3
	global_store_b8 v[0:1], v3, off
.LBB96_1908:
	s_mov_b32 s6, -1
.LBB96_1909:
	s_delay_alu instid0(SALU_CYCLE_1)
	s_and_not1_b32 vcc_lo, exec_lo, s6
	s_cbranch_vccnz .LBB96_1986
; %bb.1910:
	v_cvt_f32_f16_e32 v0, v8
	s_mov_b32 s0, 0x3fb8aa3b
	v_add_nc_u32_e32 v2, s2, v2
	s_mov_b32 s2, 0
	s_delay_alu instid0(VALU_DEP_2) | instskip(SKIP_1) | instid1(VALU_DEP_2)
	v_mul_f32_e32 v1, 0x3fb8aa3b, v0
	v_cmp_ngt_f32_e32 vcc_lo, 0xc2ce8ed0, v0
	v_rndne_f32_e32 v3, v1
	v_fma_mix_f32 v4, v8, s0, -v1 op_sel_hi:[1,0,0]
	s_mov_b32 s0, 0x32a5705f
	s_delay_alu instid0(VALU_DEP_2) | instskip(NEXT) | instid1(VALU_DEP_2)
	v_sub_f32_e32 v1, v1, v3
	v_fma_mix_f32 v4, v8, s0, v4 op_sel_hi:[1,0,0]
	v_cvt_i32_f32_e32 v3, v3
	v_cmp_nlt_f32_e64 s0, 0x42b17218, v0
	s_delay_alu instid0(VALU_DEP_3) | instskip(NEXT) | instid1(VALU_DEP_1)
	v_add_f32_e32 v1, v1, v4
	v_exp_f32_e32 v1, v1
	s_waitcnt_depctr 0xfff
	v_ldexp_f32 v1, v1, v3
	v_ashrrev_i32_e32 v3, 31, v2
	s_delay_alu instid0(VALU_DEP_2) | instskip(SKIP_1) | instid1(VALU_DEP_2)
	v_cndmask_b32_e32 v1, 0, v1, vcc_lo
	v_cmp_gt_i16_e32 vcc_lo, 11, v5
	v_cndmask_b32_e64 v4, 0x7f800000, v1, s0
	v_add_co_u32 v0, s0, s4, v2
	s_delay_alu instid0(VALU_DEP_1) | instskip(NEXT) | instid1(VALU_DEP_3)
	v_add_co_ci_u32_e64 v1, s0, s5, v3, s0
	v_cvt_f16_f32_e32 v6, v4
	s_mov_b32 s0, -1
	s_cbranch_vccnz .LBB96_1987
; %bb.1911:
	v_cmp_lt_i16_e32 vcc_lo, 25, v5
	s_mov_b32 s3, -1
	s_mov_b32 s0, 0
	s_cbranch_vccz .LBB96_1944
; %bb.1912:
	v_cmp_lt_i16_e32 vcc_lo, 28, v5
	s_cbranch_vccz .LBB96_1928
; %bb.1913:
	v_cmp_lt_i16_e32 vcc_lo, 43, v5
	;; [unrolled: 3-line block ×3, first 2 shown]
	s_cbranch_vccz .LBB96_1918
; %bb.1915:
	v_cmp_eq_u16_e32 vcc_lo, 46, v5
	s_mov_b32 s0, -1
	s_cbranch_vccz .LBB96_1917
; %bb.1916:
	v_cvt_f32_f16_e32 v2, v6
	v_cmp_o_f16_e32 vcc_lo, v6, v6
	s_mov_b32 s0, 0
	s_delay_alu instid0(VALU_DEP_2) | instskip(NEXT) | instid1(VALU_DEP_1)
	v_bfe_u32 v3, v2, 16, 1
	v_add3_u32 v2, v2, v3, 0x7fff
	s_delay_alu instid0(VALU_DEP_1) | instskip(NEXT) | instid1(VALU_DEP_1)
	v_lshrrev_b32_e32 v2, 16, v2
	v_cndmask_b32_e32 v2, 0x7fc0, v2, vcc_lo
	global_store_b32 v[0:1], v2, off
.LBB96_1917:
	s_mov_b32 s3, 0
.LBB96_1918:
	s_delay_alu instid0(SALU_CYCLE_1)
	s_and_b32 vcc_lo, exec_lo, s3
	s_cbranch_vccz .LBB96_1923
; %bb.1919:
	v_cmp_eq_u16_e32 vcc_lo, 44, v5
	s_mov_b32 s0, -1
	s_cbranch_vccz .LBB96_1923
; %bb.1920:
	v_cvt_f32_f16_e32 v2, v6
	v_mov_b32_e32 v3, 0xff
	s_mov_b32 s3, exec_lo
	s_delay_alu instid0(VALU_DEP_2) | instskip(NEXT) | instid1(VALU_DEP_1)
	v_bfe_u32 v4, v2, 23, 8
	v_cmpx_ne_u32_e32 0xff, v4
; %bb.1921:
	v_and_b32_e32 v3, 0x400000, v2
	v_and_or_b32 v4, 0x3fffff, v2, v4
	v_lshrrev_b32_e32 v2, 23, v2
	s_delay_alu instid0(VALU_DEP_3) | instskip(NEXT) | instid1(VALU_DEP_3)
	v_cmp_ne_u32_e32 vcc_lo, 0, v3
	v_cmp_ne_u32_e64 s0, 0, v4
	s_delay_alu instid0(VALU_DEP_1) | instskip(NEXT) | instid1(SALU_CYCLE_1)
	s_and_b32 s0, vcc_lo, s0
	v_cndmask_b32_e64 v3, 0, 1, s0
	s_delay_alu instid0(VALU_DEP_1)
	v_add_nc_u32_e32 v3, v2, v3
; %bb.1922:
	s_or_b32 exec_lo, exec_lo, s3
	s_mov_b32 s0, 0
	global_store_b8 v[0:1], v3, off
.LBB96_1923:
	s_mov_b32 s3, 0
.LBB96_1924:
	s_delay_alu instid0(SALU_CYCLE_1)
	s_and_b32 vcc_lo, exec_lo, s3
	s_cbranch_vccz .LBB96_1927
; %bb.1925:
	v_cmp_eq_u16_e32 vcc_lo, 29, v5
	s_mov_b32 s0, -1
	s_cbranch_vccz .LBB96_1927
; %bb.1926:
	v_cvt_f32_f16_e32 v2, v6
	v_mov_b32_e32 v3, 0
	s_mov_b32 s0, 0
	s_delay_alu instid0(VALU_DEP_2)
	v_cvt_u32_f32_e32 v2, v2
	global_store_b64 v[0:1], v[2:3], off
.LBB96_1927:
	s_mov_b32 s3, 0
.LBB96_1928:
	s_delay_alu instid0(SALU_CYCLE_1)
	s_and_b32 vcc_lo, exec_lo, s3
	s_cbranch_vccz .LBB96_1943
; %bb.1929:
	v_cmp_gt_i16_e32 vcc_lo, 27, v5
	s_mov_b32 s3, -1
	s_cbranch_vccnz .LBB96_1935
; %bb.1930:
	v_cmp_lt_i16_e32 vcc_lo, 27, v5
	s_cbranch_vccz .LBB96_1932
; %bb.1931:
	v_cvt_f32_f16_e32 v2, v6
	s_mov_b32 s3, 0
	s_delay_alu instid0(VALU_DEP_1)
	v_cvt_u32_f32_e32 v2, v2
	global_store_b32 v[0:1], v2, off
.LBB96_1932:
	s_and_not1_b32 vcc_lo, exec_lo, s3
	s_cbranch_vccnz .LBB96_1934
; %bb.1933:
	v_cvt_u16_f16_e32 v2, v6
	global_store_b16 v[0:1], v2, off
.LBB96_1934:
	s_mov_b32 s3, 0
.LBB96_1935:
	s_delay_alu instid0(SALU_CYCLE_1)
	s_and_not1_b32 vcc_lo, exec_lo, s3
	s_cbranch_vccnz .LBB96_1943
; %bb.1936:
	v_cvt_f32_f16_e32 v2, v6
	v_mov_b32_e32 v4, 0x80
	s_mov_b32 s3, exec_lo
	s_delay_alu instid0(VALU_DEP_2) | instskip(NEXT) | instid1(VALU_DEP_1)
	v_and_b32_e32 v3, 0x7fffffff, v2
	v_cmpx_gt_u32_e32 0x43800000, v3
	s_cbranch_execz .LBB96_1942
; %bb.1937:
	v_cmp_lt_u32_e32 vcc_lo, 0x3bffffff, v3
	s_mov_b32 s4, 0
                                        ; implicit-def: $vgpr3
	s_and_saveexec_b32 s5, vcc_lo
	s_delay_alu instid0(SALU_CYCLE_1)
	s_xor_b32 s5, exec_lo, s5
	s_cbranch_execz .LBB96_2057
; %bb.1938:
	v_bfe_u32 v3, v2, 20, 1
	s_mov_b32 s4, exec_lo
	s_delay_alu instid0(VALU_DEP_1) | instskip(NEXT) | instid1(VALU_DEP_1)
	v_add3_u32 v3, v2, v3, 0x487ffff
	v_lshrrev_b32_e32 v3, 20, v3
	s_or_saveexec_b32 s5, s5
                                        ; implicit-def: $sgpr6
	s_delay_alu instid0(SALU_CYCLE_1)
	s_xor_b32 exec_lo, exec_lo, s5
	s_cbranch_execnz .LBB96_2058
.LBB96_1939:
	s_or_b32 exec_lo, exec_lo, s5
	v_mov_b32_e32 v4, s6
	s_and_saveexec_b32 s5, s4
.LBB96_1940:
	v_lshrrev_b32_e32 v2, 24, v2
	s_delay_alu instid0(VALU_DEP_1)
	v_and_or_b32 v4, 0x80, v2, v3
.LBB96_1941:
	s_or_b32 exec_lo, exec_lo, s5
.LBB96_1942:
	s_delay_alu instid0(SALU_CYCLE_1)
	s_or_b32 exec_lo, exec_lo, s3
	global_store_b8 v[0:1], v4, off
.LBB96_1943:
	s_mov_b32 s3, 0
.LBB96_1944:
	s_delay_alu instid0(SALU_CYCLE_1)
	s_and_b32 vcc_lo, exec_lo, s3
	s_cbranch_vccz .LBB96_1984
; %bb.1945:
	v_cmp_lt_i16_e32 vcc_lo, 22, v5
	s_mov_b32 s2, -1
	s_cbranch_vccz .LBB96_1977
; %bb.1946:
	v_cmp_gt_i16_e32 vcc_lo, 24, v5
	s_cbranch_vccnz .LBB96_1966
; %bb.1947:
	v_cmp_lt_i16_e32 vcc_lo, 24, v5
	s_cbranch_vccz .LBB96_1955
; %bb.1948:
	v_cvt_f32_f16_e32 v2, v6
	v_mov_b32_e32 v4, 0x80
	s_mov_b32 s2, exec_lo
	s_delay_alu instid0(VALU_DEP_2) | instskip(NEXT) | instid1(VALU_DEP_1)
	v_and_b32_e32 v3, 0x7fffffff, v2
	v_cmpx_gt_u32_e32 0x47800000, v3
	s_cbranch_execz .LBB96_1954
; %bb.1949:
	v_cmp_lt_u32_e32 vcc_lo, 0x37ffffff, v3
	s_mov_b32 s3, 0
                                        ; implicit-def: $vgpr3
	s_and_saveexec_b32 s4, vcc_lo
	s_delay_alu instid0(SALU_CYCLE_1)
	s_xor_b32 s4, exec_lo, s4
	s_cbranch_execz .LBB96_2063
; %bb.1950:
	v_bfe_u32 v3, v2, 21, 1
	s_mov_b32 s3, exec_lo
	s_delay_alu instid0(VALU_DEP_1) | instskip(NEXT) | instid1(VALU_DEP_1)
	v_add3_u32 v3, v2, v3, 0x88fffff
	v_lshrrev_b32_e32 v3, 21, v3
	s_or_saveexec_b32 s4, s4
                                        ; implicit-def: $sgpr5
	s_delay_alu instid0(SALU_CYCLE_1)
	s_xor_b32 exec_lo, exec_lo, s4
	s_cbranch_execnz .LBB96_2064
.LBB96_1951:
	s_or_b32 exec_lo, exec_lo, s4
	v_mov_b32_e32 v4, s5
	s_and_saveexec_b32 s4, s3
.LBB96_1952:
	v_lshrrev_b32_e32 v2, 24, v2
	s_delay_alu instid0(VALU_DEP_1)
	v_and_or_b32 v4, 0x80, v2, v3
.LBB96_1953:
	s_or_b32 exec_lo, exec_lo, s4
.LBB96_1954:
	s_delay_alu instid0(SALU_CYCLE_1)
	s_or_b32 exec_lo, exec_lo, s2
	s_mov_b32 s2, 0
	global_store_b8 v[0:1], v4, off
.LBB96_1955:
	s_and_b32 vcc_lo, exec_lo, s2
	s_cbranch_vccz .LBB96_1965
; %bb.1956:
	v_cvt_f32_f16_e32 v2, v6
	s_mov_b32 s2, exec_lo
                                        ; implicit-def: $vgpr3
	s_delay_alu instid0(VALU_DEP_1) | instskip(NEXT) | instid1(VALU_DEP_1)
	v_and_b32_e32 v4, 0x7fffffff, v2
	v_cmpx_gt_u32_e32 0x43f00000, v4
	s_xor_b32 s2, exec_lo, s2
	s_cbranch_execz .LBB96_1962
; %bb.1957:
	s_mov_b32 s3, exec_lo
                                        ; implicit-def: $vgpr3
	v_cmpx_lt_u32_e32 0x3c7fffff, v4
	s_xor_b32 s3, exec_lo, s3
; %bb.1958:
	v_bfe_u32 v3, v2, 20, 1
	s_delay_alu instid0(VALU_DEP_1) | instskip(NEXT) | instid1(VALU_DEP_1)
	v_add3_u32 v3, v2, v3, 0x407ffff
	v_and_b32_e32 v4, 0xff00000, v3
	v_lshrrev_b32_e32 v3, 20, v3
	s_delay_alu instid0(VALU_DEP_2) | instskip(NEXT) | instid1(VALU_DEP_2)
	v_cmp_ne_u32_e32 vcc_lo, 0x7f00000, v4
	v_cndmask_b32_e32 v3, 0x7e, v3, vcc_lo
; %bb.1959:
	s_and_not1_saveexec_b32 s3, s3
; %bb.1960:
	v_add_f32_e64 v3, 0x46800000, |v2|
; %bb.1961:
	s_or_b32 exec_lo, exec_lo, s3
                                        ; implicit-def: $vgpr4
.LBB96_1962:
	s_and_not1_saveexec_b32 s2, s2
; %bb.1963:
	v_mov_b32_e32 v3, 0x7f
	v_cmp_lt_u32_e32 vcc_lo, 0x7f800000, v4
	s_delay_alu instid0(VALU_DEP_2)
	v_cndmask_b32_e32 v3, 0x7e, v3, vcc_lo
; %bb.1964:
	s_or_b32 exec_lo, exec_lo, s2
	v_lshrrev_b32_e32 v2, 24, v2
	s_delay_alu instid0(VALU_DEP_1)
	v_and_or_b32 v2, 0x80, v2, v3
	global_store_b8 v[0:1], v2, off
.LBB96_1965:
	s_mov_b32 s2, 0
.LBB96_1966:
	s_delay_alu instid0(SALU_CYCLE_1)
	s_and_not1_b32 vcc_lo, exec_lo, s2
	s_cbranch_vccnz .LBB96_1976
; %bb.1967:
	v_cvt_f32_f16_e32 v2, v6
	s_mov_b32 s2, exec_lo
                                        ; implicit-def: $vgpr3
	s_delay_alu instid0(VALU_DEP_1) | instskip(NEXT) | instid1(VALU_DEP_1)
	v_and_b32_e32 v4, 0x7fffffff, v2
	v_cmpx_gt_u32_e32 0x47800000, v4
	s_xor_b32 s2, exec_lo, s2
	s_cbranch_execz .LBB96_1973
; %bb.1968:
	s_mov_b32 s3, exec_lo
                                        ; implicit-def: $vgpr3
	v_cmpx_lt_u32_e32 0x387fffff, v4
	s_xor_b32 s3, exec_lo, s3
; %bb.1969:
	v_bfe_u32 v3, v2, 21, 1
	s_delay_alu instid0(VALU_DEP_1) | instskip(NEXT) | instid1(VALU_DEP_1)
	v_add3_u32 v3, v2, v3, 0x80fffff
	v_lshrrev_b32_e32 v3, 21, v3
; %bb.1970:
	s_and_not1_saveexec_b32 s3, s3
; %bb.1971:
	v_add_f32_e64 v3, 0x43000000, |v2|
; %bb.1972:
	s_or_b32 exec_lo, exec_lo, s3
                                        ; implicit-def: $vgpr4
.LBB96_1973:
	s_and_not1_saveexec_b32 s2, s2
; %bb.1974:
	v_mov_b32_e32 v3, 0x7f
	v_cmp_lt_u32_e32 vcc_lo, 0x7f800000, v4
	s_delay_alu instid0(VALU_DEP_2)
	v_cndmask_b32_e32 v3, 0x7c, v3, vcc_lo
; %bb.1975:
	s_or_b32 exec_lo, exec_lo, s2
	v_lshrrev_b32_e32 v2, 24, v2
	s_delay_alu instid0(VALU_DEP_1)
	v_and_or_b32 v2, 0x80, v2, v3
	global_store_b8 v[0:1], v2, off
.LBB96_1976:
	s_mov_b32 s2, 0
.LBB96_1977:
	s_delay_alu instid0(SALU_CYCLE_1)
	s_and_not1_b32 vcc_lo, exec_lo, s2
	s_mov_b32 s2, 0
	s_cbranch_vccnz .LBB96_1984
; %bb.1978:
	v_cmp_lt_i16_e32 vcc_lo, 14, v5
	s_mov_b32 s2, -1
	s_cbranch_vccz .LBB96_1982
; %bb.1979:
	v_cmp_eq_u16_e32 vcc_lo, 15, v5
	s_mov_b32 s0, -1
	s_cbranch_vccz .LBB96_1981
; %bb.1980:
	v_cvt_f32_f16_e32 v2, v6
	v_cmp_o_f16_e32 vcc_lo, v6, v6
	s_mov_b32 s0, 0
	s_delay_alu instid0(VALU_DEP_2) | instskip(NEXT) | instid1(VALU_DEP_1)
	v_bfe_u32 v3, v2, 16, 1
	v_add3_u32 v2, v2, v3, 0x7fff
	s_delay_alu instid0(VALU_DEP_1) | instskip(NEXT) | instid1(VALU_DEP_1)
	v_lshrrev_b32_e32 v2, 16, v2
	v_cndmask_b32_e32 v2, 0x7fc0, v2, vcc_lo
	global_store_b16 v[0:1], v2, off
.LBB96_1981:
	s_mov_b32 s2, 0
.LBB96_1982:
	s_delay_alu instid0(SALU_CYCLE_1)
	s_and_b32 vcc_lo, exec_lo, s2
	s_mov_b32 s2, 0
	s_cbranch_vccz .LBB96_1984
; %bb.1983:
	v_cmp_ne_u16_e64 s0, 11, v5
	s_mov_b32 s2, -1
.LBB96_1984:
	s_delay_alu instid0(VALU_DEP_1)
	s_and_b32 vcc_lo, exec_lo, s0
	s_cbranch_vccnz .LBB96_2061
.LBB96_1985:
	s_mov_b32 s0, 0
	s_branch .LBB96_1987
.LBB96_1986:
	s_mov_b32 s0, 0
	s_mov_b32 s2, 0
                                        ; implicit-def: $vgpr5
                                        ; implicit-def: $vgpr0_vgpr1
                                        ; implicit-def: $vgpr6
.LBB96_1987:
	s_and_not1_b32 s3, s9, exec_lo
	s_and_b32 s4, s1, exec_lo
	s_and_b32 s0, s0, exec_lo
	;; [unrolled: 1-line block ×3, first 2 shown]
	s_or_b32 s9, s3, s4
.LBB96_1988:
	s_or_b32 exec_lo, exec_lo, s8
	s_and_saveexec_b32 s2, s9
	s_cbranch_execz .LBB96_1991
; %bb.1989:
	; divergent unreachable
	s_or_b32 exec_lo, exec_lo, s2
	s_and_saveexec_b32 s2, s1
	s_delay_alu instid0(SALU_CYCLE_1)
	s_xor_b32 s1, exec_lo, s2
	s_cbranch_execnz .LBB96_1992
.LBB96_1990:
	s_or_b32 exec_lo, exec_lo, s1
	s_and_saveexec_b32 s1, s0
	s_cbranch_execnz .LBB96_1993
	s_branch .LBB96_2030
.LBB96_1991:
	s_or_b32 exec_lo, exec_lo, s2
	s_and_saveexec_b32 s2, s1
	s_delay_alu instid0(SALU_CYCLE_1)
	s_xor_b32 s1, exec_lo, s2
	s_cbranch_execz .LBB96_1990
.LBB96_1992:
	s_waitcnt vmcnt(0)
	v_cmp_neq_f16_e32 vcc_lo, 0, v6
	v_cndmask_b32_e64 v2, 0, 1, vcc_lo
	global_store_b8 v[0:1], v2, off
	s_or_b32 exec_lo, exec_lo, s1
	s_and_saveexec_b32 s1, s0
	s_cbranch_execz .LBB96_2030
.LBB96_1993:
	s_waitcnt vmcnt(0)
	v_cmp_gt_i16_e32 vcc_lo, 5, v5
	s_mov_b32 s0, -1
	s_cbranch_vccnz .LBB96_2014
; %bb.1994:
	v_cmp_gt_i16_e32 vcc_lo, 8, v5
	s_cbranch_vccnz .LBB96_2004
; %bb.1995:
	v_cmp_gt_i16_e32 vcc_lo, 9, v5
	s_cbranch_vccnz .LBB96_2001
; %bb.1996:
	v_cmp_lt_i16_e32 vcc_lo, 9, v5
	s_cbranch_vccz .LBB96_1998
; %bb.1997:
	v_cvt_f32_f16_e32 v2, v6
	v_mov_b32_e32 v9, 0
	s_mov_b32 s0, 0
	s_delay_alu instid0(VALU_DEP_2) | instskip(NEXT) | instid1(VALU_DEP_2)
	v_cvt_f64_f32_e32 v[7:8], v2
	v_mov_b32_e32 v10, v9
	global_store_b128 v[0:1], v[7:10], off
.LBB96_1998:
	s_and_not1_b32 vcc_lo, exec_lo, s0
	s_cbranch_vccnz .LBB96_2000
; %bb.1999:
	v_cvt_f32_f16_e32 v2, v6
	v_mov_b32_e32 v3, 0
	global_store_b64 v[0:1], v[2:3], off
.LBB96_2000:
	s_mov_b32 s0, 0
.LBB96_2001:
	s_delay_alu instid0(SALU_CYCLE_1)
	s_and_not1_b32 vcc_lo, exec_lo, s0
	s_cbranch_vccnz .LBB96_2003
; %bb.2002:
	v_and_b32_e32 v2, 0xffff, v6
	global_store_b32 v[0:1], v2, off
.LBB96_2003:
	s_mov_b32 s0, 0
.LBB96_2004:
	s_delay_alu instid0(SALU_CYCLE_1)
	s_and_not1_b32 vcc_lo, exec_lo, s0
	s_cbranch_vccnz .LBB96_2013
; %bb.2005:
	v_cmp_gt_i16_e32 vcc_lo, 6, v5
	s_mov_b32 s0, -1
	s_cbranch_vccnz .LBB96_2011
; %bb.2006:
	v_cmp_lt_i16_e32 vcc_lo, 6, v5
	s_cbranch_vccz .LBB96_2008
; %bb.2007:
	v_cvt_f32_f16_e32 v2, v6
	s_mov_b32 s0, 0
	s_delay_alu instid0(VALU_DEP_1)
	v_cvt_f64_f32_e32 v[2:3], v2
	global_store_b64 v[0:1], v[2:3], off
.LBB96_2008:
	s_and_not1_b32 vcc_lo, exec_lo, s0
	s_cbranch_vccnz .LBB96_2010
; %bb.2009:
	v_cvt_f32_f16_e32 v2, v6
	global_store_b32 v[0:1], v2, off
.LBB96_2010:
	s_mov_b32 s0, 0
.LBB96_2011:
	s_delay_alu instid0(SALU_CYCLE_1)
	s_and_not1_b32 vcc_lo, exec_lo, s0
	s_cbranch_vccnz .LBB96_2013
; %bb.2012:
	global_store_b16 v[0:1], v6, off
.LBB96_2013:
	s_mov_b32 s0, 0
.LBB96_2014:
	s_delay_alu instid0(SALU_CYCLE_1)
	s_and_not1_b32 vcc_lo, exec_lo, s0
	s_cbranch_vccnz .LBB96_2030
; %bb.2015:
	v_cmp_gt_i16_e32 vcc_lo, 2, v5
	s_mov_b32 s0, -1
	s_cbranch_vccnz .LBB96_2025
; %bb.2016:
	v_cmp_gt_i16_e32 vcc_lo, 3, v5
	s_cbranch_vccnz .LBB96_2022
; %bb.2017:
	v_cmp_lt_i16_e32 vcc_lo, 3, v5
	s_cbranch_vccz .LBB96_2019
; %bb.2018:
	v_cvt_f32_f16_e32 v2, v6
	s_mov_b32 s0, 0
	s_delay_alu instid0(VALU_DEP_1) | instskip(NEXT) | instid1(VALU_DEP_1)
	v_cvt_i32_f32_e32 v2, v2
	v_ashrrev_i32_e32 v3, 31, v2
	global_store_b64 v[0:1], v[2:3], off
.LBB96_2019:
	s_and_not1_b32 vcc_lo, exec_lo, s0
	s_cbranch_vccnz .LBB96_2021
; %bb.2020:
	v_cvt_f32_f16_e32 v2, v6
	s_delay_alu instid0(VALU_DEP_1)
	v_cvt_i32_f32_e32 v2, v2
	global_store_b32 v[0:1], v2, off
.LBB96_2021:
	s_mov_b32 s0, 0
.LBB96_2022:
	s_delay_alu instid0(SALU_CYCLE_1)
	s_and_not1_b32 vcc_lo, exec_lo, s0
	s_cbranch_vccnz .LBB96_2024
; %bb.2023:
	v_cvt_i16_f16_e32 v2, v6
	global_store_b16 v[0:1], v2, off
.LBB96_2024:
	s_mov_b32 s0, 0
.LBB96_2025:
	s_delay_alu instid0(SALU_CYCLE_1)
	s_and_not1_b32 vcc_lo, exec_lo, s0
	s_cbranch_vccnz .LBB96_2030
; %bb.2026:
	v_cmp_lt_i16_e32 vcc_lo, 0, v5
	s_mov_b32 s0, -1
	s_cbranch_vccz .LBB96_2028
; %bb.2027:
	v_cvt_i16_f16_e32 v2, v6
	s_mov_b32 s0, 0
	global_store_b8 v[0:1], v2, off
.LBB96_2028:
	s_and_not1_b32 vcc_lo, exec_lo, s0
	s_cbranch_vccnz .LBB96_2030
; %bb.2029:
	v_cvt_f32_f16_e32 v2, v6
	s_delay_alu instid0(VALU_DEP_1)
	v_cvt_i32_f32_e32 v2, v2
	global_store_b8 v[0:1], v2, off
	s_nop 0
	s_sendmsg sendmsg(MSG_DEALLOC_VGPRS)
	s_endpgm
.LBB96_2030:
	s_nop 0
	s_sendmsg sendmsg(MSG_DEALLOC_VGPRS)
	s_endpgm
.LBB96_2031:
	s_cbranch_execnz .LBB96_2035
; %bb.2032:
	s_or_b32 s1, s1, exec_lo
                                        ; implicit-def: $vgpr8
	s_cbranch_execz .LBB96_1504
	s_branch .LBB96_1505
.LBB96_2033:
	s_or_saveexec_b32 s10, s10
                                        ; implicit-def: $sgpr11
	s_delay_alu instid0(SALU_CYCLE_1)
	s_xor_b32 exec_lo, exec_lo, s10
	s_cbranch_execz .LBB96_1584
.LBB96_2034:
	v_add_f32_e64 v9, 0x46000000, |v4|
	s_and_not1_b32 s7, s7, exec_lo
	s_mov_b32 s11, 0
	s_delay_alu instid0(VALU_DEP_1) | instskip(NEXT) | instid1(VALU_DEP_1)
	v_and_b32_e32 v9, 0xff, v9
	v_cmp_ne_u32_e32 vcc_lo, 0, v9
	s_and_b32 s12, vcc_lo, exec_lo
	s_delay_alu instid0(SALU_CYCLE_1)
	s_or_b32 s7, s7, s12
	s_or_b32 exec_lo, exec_lo, s10
	v_mov_b32_e32 v10, s11
	s_and_saveexec_b32 s10, s7
	s_cbranch_execnz .LBB96_1585
	s_branch .LBB96_1586
.LBB96_2035:
	s_trap 2
	s_sendmsg_rtn_b32 s0, sendmsg(MSG_RTN_GET_DOORBELL)
	s_mov_b32 ttmp2, m0
	s_waitcnt lgkmcnt(0)
	s_and_b32 s0, s0, 0x3ff
	s_delay_alu instid0(SALU_CYCLE_1) | instskip(NEXT) | instid1(SALU_CYCLE_1)
	s_bitset1_b32 s0, 10
	s_mov_b32 m0, s0
	s_sendmsg sendmsg(MSG_INTERRUPT)
	s_mov_b32 m0, ttmp2
.LBB96_2036:                            ; =>This Inner Loop Header: Depth=1
	s_sethalt 5
	s_branch .LBB96_2036
.LBB96_2037:
	s_cbranch_execnz .LBB96_2043
; %bb.2038:
	s_or_b32 s1, s1, exec_lo
	s_cbranch_execz .LBB96_1632
	s_branch .LBB96_1633
.LBB96_2039:
	s_or_saveexec_b32 s7, s7
                                        ; implicit-def: $sgpr10
	s_delay_alu instid0(SALU_CYCLE_1)
	s_xor_b32 exec_lo, exec_lo, s7
	s_cbranch_execz .LBB96_1597
.LBB96_2040:
	v_add_f32_e64 v9, 0x42800000, |v4|
	s_and_not1_b32 s6, s6, exec_lo
	s_mov_b32 s10, 0
	s_delay_alu instid0(VALU_DEP_1) | instskip(NEXT) | instid1(VALU_DEP_1)
	v_and_b32_e32 v9, 0xff, v9
	v_cmp_ne_u32_e32 vcc_lo, 0, v9
	s_and_b32 s11, vcc_lo, exec_lo
	s_delay_alu instid0(SALU_CYCLE_1)
	s_or_b32 s6, s6, s11
	s_or_b32 exec_lo, exec_lo, s7
	v_mov_b32_e32 v10, s10
	s_and_saveexec_b32 s7, s6
	s_cbranch_execnz .LBB96_1598
	s_branch .LBB96_1599
.LBB96_2041:
	s_or_saveexec_b32 s10, s10
                                        ; implicit-def: $sgpr11
	s_delay_alu instid0(SALU_CYCLE_1)
	s_xor_b32 exec_lo, exec_lo, s10
	s_cbranch_execz .LBB96_1702
.LBB96_2042:
	v_add_f32_e64 v6, 0x46000000, |v4|
	s_and_not1_b32 s7, s7, exec_lo
	s_mov_b32 s11, 0
	s_delay_alu instid0(VALU_DEP_1) | instskip(NEXT) | instid1(VALU_DEP_1)
	v_and_b32_e32 v6, 0xff, v6
	v_cmp_ne_u32_e32 vcc_lo, 0, v6
	s_and_b32 s12, vcc_lo, exec_lo
	s_delay_alu instid0(SALU_CYCLE_1)
	s_or_b32 s7, s7, s12
	s_or_b32 exec_lo, exec_lo, s10
	v_mov_b32_e32 v9, s11
	s_and_saveexec_b32 s10, s7
	s_cbranch_execnz .LBB96_1703
	s_branch .LBB96_1704
.LBB96_2043:
	s_trap 2
	s_sendmsg_rtn_b32 s0, sendmsg(MSG_RTN_GET_DOORBELL)
	s_mov_b32 ttmp2, m0
	s_waitcnt lgkmcnt(0)
	s_and_b32 s0, s0, 0x3ff
	s_delay_alu instid0(SALU_CYCLE_1) | instskip(NEXT) | instid1(SALU_CYCLE_1)
	s_bitset1_b32 s0, 10
	s_mov_b32 m0, s0
	s_sendmsg sendmsg(MSG_INTERRUPT)
	s_mov_b32 m0, ttmp2
.LBB96_2044:                            ; =>This Inner Loop Header: Depth=1
	s_sethalt 5
	s_branch .LBB96_2044
.LBB96_2045:
	s_cbranch_execnz .LBB96_2051
; %bb.2046:
	s_or_b32 s1, s1, exec_lo
	s_cbranch_execz .LBB96_1750
	s_branch .LBB96_1751
.LBB96_2047:
	s_or_saveexec_b32 s7, s7
                                        ; implicit-def: $sgpr10
	s_delay_alu instid0(SALU_CYCLE_1)
	s_xor_b32 exec_lo, exec_lo, s7
	s_cbranch_execz .LBB96_1715
.LBB96_2048:
	v_add_f32_e64 v6, 0x42800000, |v4|
	s_and_not1_b32 s6, s6, exec_lo
	s_mov_b32 s10, 0
	s_delay_alu instid0(VALU_DEP_1) | instskip(NEXT) | instid1(VALU_DEP_1)
	v_and_b32_e32 v6, 0xff, v6
	v_cmp_ne_u32_e32 vcc_lo, 0, v6
	s_and_b32 s11, vcc_lo, exec_lo
	s_delay_alu instid0(SALU_CYCLE_1)
	s_or_b32 s6, s6, s11
	s_or_b32 exec_lo, exec_lo, s7
	v_mov_b32_e32 v9, s10
	s_and_saveexec_b32 s7, s6
	s_cbranch_execnz .LBB96_1716
	s_branch .LBB96_1717
.LBB96_2049:
	s_or_saveexec_b32 s10, s10
                                        ; implicit-def: $sgpr11
	s_delay_alu instid0(SALU_CYCLE_1)
	s_xor_b32 exec_lo, exec_lo, s10
	s_cbranch_execz .LBB96_1820
.LBB96_2050:
	v_add_f32_e64 v6, 0x46000000, |v4|
	s_and_not1_b32 s7, s7, exec_lo
	s_mov_b32 s11, 0
	s_delay_alu instid0(VALU_DEP_1) | instskip(NEXT) | instid1(VALU_DEP_1)
	v_and_b32_e32 v6, 0xff, v6
	v_cmp_ne_u32_e32 vcc_lo, 0, v6
	s_and_b32 s12, vcc_lo, exec_lo
	s_delay_alu instid0(SALU_CYCLE_1)
	s_or_b32 s7, s7, s12
	s_or_b32 exec_lo, exec_lo, s10
	v_mov_b32_e32 v7, s11
	s_and_saveexec_b32 s10, s7
	s_cbranch_execnz .LBB96_1821
	s_branch .LBB96_1822
.LBB96_2051:
	s_trap 2
	s_sendmsg_rtn_b32 s0, sendmsg(MSG_RTN_GET_DOORBELL)
	s_mov_b32 ttmp2, m0
	s_waitcnt lgkmcnt(0)
	s_and_b32 s0, s0, 0x3ff
	s_delay_alu instid0(SALU_CYCLE_1) | instskip(NEXT) | instid1(SALU_CYCLE_1)
	s_bitset1_b32 s0, 10
	s_mov_b32 m0, s0
	s_sendmsg sendmsg(MSG_INTERRUPT)
	s_mov_b32 m0, ttmp2
.LBB96_2052:                            ; =>This Inner Loop Header: Depth=1
	s_sethalt 5
	s_branch .LBB96_2052
.LBB96_2053:
	s_cbranch_execnz .LBB96_2059
; %bb.2054:
	s_or_b32 s1, s1, exec_lo
	s_cbranch_execz .LBB96_1868
	s_branch .LBB96_1869
.LBB96_2055:
	s_or_saveexec_b32 s7, s7
                                        ; implicit-def: $sgpr10
	s_delay_alu instid0(SALU_CYCLE_1)
	s_xor_b32 exec_lo, exec_lo, s7
	s_cbranch_execz .LBB96_1833
.LBB96_2056:
	v_add_f32_e64 v6, 0x42800000, |v4|
	s_and_not1_b32 s6, s6, exec_lo
	s_mov_b32 s10, 0
	s_delay_alu instid0(VALU_DEP_1) | instskip(NEXT) | instid1(VALU_DEP_1)
	v_and_b32_e32 v6, 0xff, v6
	v_cmp_ne_u32_e32 vcc_lo, 0, v6
	s_and_b32 s11, vcc_lo, exec_lo
	s_delay_alu instid0(SALU_CYCLE_1)
	s_or_b32 s6, s6, s11
	s_or_b32 exec_lo, exec_lo, s7
	v_mov_b32_e32 v7, s10
	s_and_saveexec_b32 s7, s6
	s_cbranch_execnz .LBB96_1834
	s_branch .LBB96_1835
.LBB96_2057:
	s_or_saveexec_b32 s5, s5
                                        ; implicit-def: $sgpr6
	s_delay_alu instid0(SALU_CYCLE_1)
	s_xor_b32 exec_lo, exec_lo, s5
	s_cbranch_execz .LBB96_1939
.LBB96_2058:
	v_add_f32_e64 v3, 0x46000000, |v2|
	s_and_not1_b32 s4, s4, exec_lo
	s_mov_b32 s6, 0
	s_delay_alu instid0(VALU_DEP_1) | instskip(NEXT) | instid1(VALU_DEP_1)
	v_and_b32_e32 v3, 0xff, v3
	v_cmp_ne_u32_e32 vcc_lo, 0, v3
	s_and_b32 s7, vcc_lo, exec_lo
	s_delay_alu instid0(SALU_CYCLE_1)
	s_or_b32 s4, s4, s7
	s_or_b32 exec_lo, exec_lo, s5
	v_mov_b32_e32 v4, s6
	s_and_saveexec_b32 s5, s4
	s_cbranch_execnz .LBB96_1940
	s_branch .LBB96_1941
.LBB96_2059:
	s_trap 2
	s_sendmsg_rtn_b32 s0, sendmsg(MSG_RTN_GET_DOORBELL)
	s_mov_b32 ttmp2, m0
	s_waitcnt lgkmcnt(0)
	s_and_b32 s0, s0, 0x3ff
	s_delay_alu instid0(SALU_CYCLE_1) | instskip(NEXT) | instid1(SALU_CYCLE_1)
	s_bitset1_b32 s0, 10
	s_mov_b32 m0, s0
	s_sendmsg sendmsg(MSG_INTERRUPT)
	s_mov_b32 m0, ttmp2
.LBB96_2060:                            ; =>This Inner Loop Header: Depth=1
	s_sethalt 5
	s_branch .LBB96_2060
.LBB96_2061:
	s_cbranch_execnz .LBB96_2065
; %bb.2062:
	s_mov_b32 s2, 0
	s_or_b32 s1, s1, exec_lo
	s_branch .LBB96_1985
.LBB96_2063:
	s_or_saveexec_b32 s4, s4
                                        ; implicit-def: $sgpr5
	s_delay_alu instid0(SALU_CYCLE_1)
	s_xor_b32 exec_lo, exec_lo, s4
	s_cbranch_execz .LBB96_1951
.LBB96_2064:
	v_add_f32_e64 v3, 0x42800000, |v2|
	s_and_not1_b32 s3, s3, exec_lo
	s_mov_b32 s5, 0
	s_delay_alu instid0(VALU_DEP_1) | instskip(NEXT) | instid1(VALU_DEP_1)
	v_and_b32_e32 v3, 0xff, v3
	v_cmp_ne_u32_e32 vcc_lo, 0, v3
	s_and_b32 s6, vcc_lo, exec_lo
	s_delay_alu instid0(SALU_CYCLE_1)
	s_or_b32 s3, s3, s6
	s_or_b32 exec_lo, exec_lo, s4
	v_mov_b32_e32 v4, s5
	s_and_saveexec_b32 s4, s3
	s_cbranch_execnz .LBB96_1952
	s_branch .LBB96_1953
.LBB96_2065:
	s_trap 2
	s_sendmsg_rtn_b32 s0, sendmsg(MSG_RTN_GET_DOORBELL)
	s_mov_b32 ttmp2, m0
	s_waitcnt lgkmcnt(0)
	s_and_b32 s0, s0, 0x3ff
	s_delay_alu instid0(SALU_CYCLE_1) | instskip(NEXT) | instid1(SALU_CYCLE_1)
	s_bitset1_b32 s0, 10
	s_mov_b32 m0, s0
	s_sendmsg sendmsg(MSG_INTERRUPT)
	s_mov_b32 m0, ttmp2
.LBB96_2066:                            ; =>This Inner Loop Header: Depth=1
	s_sethalt 5
	s_branch .LBB96_2066
	.section	.rodata,"a",@progbits
	.p2align	6, 0x0
	.amdhsa_kernel _ZN2at6native32elementwise_kernel_manual_unrollILi128ELi4EZNS0_15gpu_kernel_implIZZZNS0_15exp_kernel_cudaERNS_18TensorIteratorBaseEENKUlvE0_clEvENKUlvE1_clEvEUlN3c104HalfEE_EEvS4_RKT_EUlibE_EEviT1_
		.amdhsa_group_segment_fixed_size 0
		.amdhsa_private_segment_fixed_size 0
		.amdhsa_kernarg_size 40
		.amdhsa_user_sgpr_count 15
		.amdhsa_user_sgpr_dispatch_ptr 0
		.amdhsa_user_sgpr_queue_ptr 0
		.amdhsa_user_sgpr_kernarg_segment_ptr 1
		.amdhsa_user_sgpr_dispatch_id 0
		.amdhsa_user_sgpr_private_segment_size 0
		.amdhsa_wavefront_size32 1
		.amdhsa_uses_dynamic_stack 0
		.amdhsa_enable_private_segment 0
		.amdhsa_system_sgpr_workgroup_id_x 1
		.amdhsa_system_sgpr_workgroup_id_y 0
		.amdhsa_system_sgpr_workgroup_id_z 0
		.amdhsa_system_sgpr_workgroup_info 0
		.amdhsa_system_vgpr_workitem_id 0
		.amdhsa_next_free_vgpr 13
		.amdhsa_next_free_sgpr 24
		.amdhsa_reserve_vcc 1
		.amdhsa_float_round_mode_32 0
		.amdhsa_float_round_mode_16_64 0
		.amdhsa_float_denorm_mode_32 3
		.amdhsa_float_denorm_mode_16_64 3
		.amdhsa_dx10_clamp 1
		.amdhsa_ieee_mode 1
		.amdhsa_fp16_overflow 0
		.amdhsa_workgroup_processor_mode 1
		.amdhsa_memory_ordered 1
		.amdhsa_forward_progress 0
		.amdhsa_shared_vgpr_count 0
		.amdhsa_exception_fp_ieee_invalid_op 0
		.amdhsa_exception_fp_denorm_src 0
		.amdhsa_exception_fp_ieee_div_zero 0
		.amdhsa_exception_fp_ieee_overflow 0
		.amdhsa_exception_fp_ieee_underflow 0
		.amdhsa_exception_fp_ieee_inexact 0
		.amdhsa_exception_int_div_zero 0
	.end_amdhsa_kernel
	.section	.text._ZN2at6native32elementwise_kernel_manual_unrollILi128ELi4EZNS0_15gpu_kernel_implIZZZNS0_15exp_kernel_cudaERNS_18TensorIteratorBaseEENKUlvE0_clEvENKUlvE1_clEvEUlN3c104HalfEE_EEvS4_RKT_EUlibE_EEviT1_,"axG",@progbits,_ZN2at6native32elementwise_kernel_manual_unrollILi128ELi4EZNS0_15gpu_kernel_implIZZZNS0_15exp_kernel_cudaERNS_18TensorIteratorBaseEENKUlvE0_clEvENKUlvE1_clEvEUlN3c104HalfEE_EEvS4_RKT_EUlibE_EEviT1_,comdat
.Lfunc_end96:
	.size	_ZN2at6native32elementwise_kernel_manual_unrollILi128ELi4EZNS0_15gpu_kernel_implIZZZNS0_15exp_kernel_cudaERNS_18TensorIteratorBaseEENKUlvE0_clEvENKUlvE1_clEvEUlN3c104HalfEE_EEvS4_RKT_EUlibE_EEviT1_, .Lfunc_end96-_ZN2at6native32elementwise_kernel_manual_unrollILi128ELi4EZNS0_15gpu_kernel_implIZZZNS0_15exp_kernel_cudaERNS_18TensorIteratorBaseEENKUlvE0_clEvENKUlvE1_clEvEUlN3c104HalfEE_EEvS4_RKT_EUlibE_EEviT1_
                                        ; -- End function
	.section	.AMDGPU.csdata,"",@progbits
; Kernel info:
; codeLenInByte = 36224
; NumSgprs: 26
; NumVgprs: 13
; ScratchSize: 0
; MemoryBound: 0
; FloatMode: 240
; IeeeMode: 1
; LDSByteSize: 0 bytes/workgroup (compile time only)
; SGPRBlocks: 3
; VGPRBlocks: 1
; NumSGPRsForWavesPerEU: 26
; NumVGPRsForWavesPerEU: 13
; Occupancy: 16
; WaveLimiterHint : 0
; COMPUTE_PGM_RSRC2:SCRATCH_EN: 0
; COMPUTE_PGM_RSRC2:USER_SGPR: 15
; COMPUTE_PGM_RSRC2:TRAP_HANDLER: 0
; COMPUTE_PGM_RSRC2:TGID_X_EN: 1
; COMPUTE_PGM_RSRC2:TGID_Y_EN: 0
; COMPUTE_PGM_RSRC2:TGID_Z_EN: 0
; COMPUTE_PGM_RSRC2:TIDIG_COMP_CNT: 0
	.section	.text._ZN2at6native32elementwise_kernel_manual_unrollILi128ELi4EZNS0_15gpu_kernel_implIZZZNS0_15exp_kernel_cudaERNS_18TensorIteratorBaseEENKUlvE0_clEvENKUlvE1_clEvEUlN3c104HalfEE_EEvS4_RKT_EUlibE0_EEviT1_,"axG",@progbits,_ZN2at6native32elementwise_kernel_manual_unrollILi128ELi4EZNS0_15gpu_kernel_implIZZZNS0_15exp_kernel_cudaERNS_18TensorIteratorBaseEENKUlvE0_clEvENKUlvE1_clEvEUlN3c104HalfEE_EEvS4_RKT_EUlibE0_EEviT1_,comdat
	.globl	_ZN2at6native32elementwise_kernel_manual_unrollILi128ELi4EZNS0_15gpu_kernel_implIZZZNS0_15exp_kernel_cudaERNS_18TensorIteratorBaseEENKUlvE0_clEvENKUlvE1_clEvEUlN3c104HalfEE_EEvS4_RKT_EUlibE0_EEviT1_ ; -- Begin function _ZN2at6native32elementwise_kernel_manual_unrollILi128ELi4EZNS0_15gpu_kernel_implIZZZNS0_15exp_kernel_cudaERNS_18TensorIteratorBaseEENKUlvE0_clEvENKUlvE1_clEvEUlN3c104HalfEE_EEvS4_RKT_EUlibE0_EEviT1_
	.p2align	8
	.type	_ZN2at6native32elementwise_kernel_manual_unrollILi128ELi4EZNS0_15gpu_kernel_implIZZZNS0_15exp_kernel_cudaERNS_18TensorIteratorBaseEENKUlvE0_clEvENKUlvE1_clEvEUlN3c104HalfEE_EEvS4_RKT_EUlibE0_EEviT1_,@function
_ZN2at6native32elementwise_kernel_manual_unrollILi128ELi4EZNS0_15gpu_kernel_implIZZZNS0_15exp_kernel_cudaERNS_18TensorIteratorBaseEENKUlvE0_clEvENKUlvE1_clEvEUlN3c104HalfEE_EEvS4_RKT_EUlibE0_EEviT1_: ; @_ZN2at6native32elementwise_kernel_manual_unrollILi128ELi4EZNS0_15gpu_kernel_implIZZZNS0_15exp_kernel_cudaERNS_18TensorIteratorBaseEENKUlvE0_clEvENKUlvE1_clEvEUlN3c104HalfEE_EEvS4_RKT_EUlibE0_EEviT1_
; %bb.0:
	s_clause 0x1
	s_load_b32 s24, s[0:1], 0x8
	s_load_b32 s30, s[0:1], 0x0
	v_lshl_or_b32 v5, s15, 9, v0
	s_or_b32 s16, s0, 8
	s_mov_b32 s3, -1
	s_mov_b32 s26, 0
	s_mov_b32 s17, s1
	v_or_b32_e32 v8, 0x180, v5
	s_mov_b32 s8, 0
	s_mov_b32 s2, exec_lo
	s_waitcnt lgkmcnt(0)
	s_add_i32 s25, s24, -1
	s_delay_alu instid0(SALU_CYCLE_1)
	s_cmp_gt_u32 s25, 1
	s_cselect_b32 s27, -1, 0
	v_cmpx_le_i32_e64 s30, v8
	s_xor_b32 s28, exec_lo, s2
	s_cbranch_execz .LBB97_1076
; %bb.1:
	v_mov_b32_e32 v0, 0
	s_clause 0x3
	s_load_b128 s[12:15], s[16:17], 0x4
	s_load_b64 s[18:19], s[16:17], 0x14
	s_load_b128 s[8:11], s[16:17], 0xc4
	s_load_b128 s[4:7], s[16:17], 0x148
	s_cmp_lg_u32 s24, 0
	s_mov_b32 s37, 0
	s_cselect_b32 s33, -1, 0
	global_load_u16 v3, v0, s[16:17] offset:345
	s_add_u32 s20, s16, 0xc4
	s_addc_u32 s21, s17, 0
	s_min_u32 s31, s25, 15
	s_cmp_gt_u32 s24, 1
	s_mov_b32 s35, 0
	s_cselect_b32 s29, -1, 0
	s_mov_b32 s34, 0
	s_mov_b32 s36, exec_lo
	s_waitcnt vmcnt(0)
	v_lshrrev_b16 v4, 8, v3
	v_cmpx_gt_i32_e64 s30, v5
	s_cbranch_execz .LBB97_263
; %bb.2:
	s_and_not1_b32 vcc_lo, exec_lo, s27
	s_cbranch_vccnz .LBB97_7
; %bb.3:
	v_dual_mov_b32 v0, 0 :: v_dual_mov_b32 v1, 0
	s_and_not1_b32 vcc_lo, exec_lo, s33
	s_cbranch_vccnz .LBB97_12
; %bb.4:
	v_mov_b32_e32 v0, 0
	s_add_i32 s38, s31, 1
	s_cmp_eq_u32 s25, 2
	s_cbranch_scc1 .LBB97_8
; %bb.5:
	v_dual_mov_b32 v1, 0 :: v_dual_mov_b32 v0, 0
	v_mov_b32_e32 v2, v5
	s_and_b32 s35, s38, 28
	s_mov_b32 s39, 0
	s_mov_b64 s[2:3], s[20:21]
	s_mov_b64 s[22:23], s[16:17]
.LBB97_6:                               ; =>This Inner Loop Header: Depth=1
	s_clause 0x1
	s_load_b256 s[40:47], s[22:23], 0x4
	s_load_b128 s[56:59], s[22:23], 0x24
	s_load_b256 s[48:55], s[2:3], 0x0
	s_add_u32 s22, s22, 48
	s_addc_u32 s23, s23, 0
	s_add_i32 s39, s39, 4
	s_add_u32 s2, s2, 32
	s_addc_u32 s3, s3, 0
	s_cmp_lg_u32 s35, s39
	s_waitcnt lgkmcnt(0)
	v_mul_hi_u32 v6, s41, v2
	s_delay_alu instid0(VALU_DEP_1) | instskip(NEXT) | instid1(VALU_DEP_1)
	v_add_nc_u32_e32 v6, v2, v6
	v_lshrrev_b32_e32 v6, s42, v6
	s_delay_alu instid0(VALU_DEP_1) | instskip(SKIP_1) | instid1(VALU_DEP_2)
	v_mul_hi_u32 v7, s44, v6
	v_mul_lo_u32 v9, v6, s40
	v_add_nc_u32_e32 v7, v6, v7
	s_delay_alu instid0(VALU_DEP_2) | instskip(NEXT) | instid1(VALU_DEP_2)
	v_sub_nc_u32_e32 v2, v2, v9
	v_lshrrev_b32_e32 v7, s45, v7
	s_delay_alu instid0(VALU_DEP_2) | instskip(SKIP_1) | instid1(VALU_DEP_3)
	v_mul_lo_u32 v9, v2, s48
	v_mul_lo_u32 v11, v2, s49
	v_mul_hi_u32 v8, s47, v7
	s_delay_alu instid0(VALU_DEP_1) | instskip(NEXT) | instid1(VALU_DEP_1)
	v_add_nc_u32_e32 v8, v7, v8
	v_lshrrev_b32_e32 v8, s56, v8
	s_delay_alu instid0(VALU_DEP_1) | instskip(SKIP_1) | instid1(VALU_DEP_2)
	v_mul_hi_u32 v10, s58, v8
	v_mul_lo_u32 v12, v8, s46
	v_add_nc_u32_e32 v2, v8, v10
	v_mul_lo_u32 v10, v7, s43
	s_delay_alu instid0(VALU_DEP_3) | instskip(NEXT) | instid1(VALU_DEP_3)
	v_sub_nc_u32_e32 v7, v7, v12
	v_lshrrev_b32_e32 v2, s59, v2
	s_delay_alu instid0(VALU_DEP_2) | instskip(SKIP_2) | instid1(VALU_DEP_4)
	v_mul_lo_u32 v12, v7, s52
	v_mul_lo_u32 v7, v7, s53
	v_sub_nc_u32_e32 v6, v6, v10
	v_mul_lo_u32 v13, v2, s57
	s_delay_alu instid0(VALU_DEP_2) | instskip(SKIP_1) | instid1(VALU_DEP_3)
	v_mul_lo_u32 v10, v6, s50
	v_mul_lo_u32 v6, v6, s51
	v_sub_nc_u32_e32 v8, v8, v13
	s_delay_alu instid0(VALU_DEP_3) | instskip(NEXT) | instid1(VALU_DEP_2)
	v_add3_u32 v0, v9, v0, v10
	v_mul_lo_u32 v13, v8, s54
	v_mul_lo_u32 v8, v8, s55
	v_add3_u32 v1, v11, v1, v6
	s_delay_alu instid0(VALU_DEP_3) | instskip(NEXT) | instid1(VALU_DEP_2)
	v_add3_u32 v0, v12, v0, v13
	v_add3_u32 v1, v7, v1, v8
	s_cbranch_scc1 .LBB97_6
	s_branch .LBB97_9
.LBB97_7:
	s_mov_b32 s34, -1
                                        ; implicit-def: $vgpr0
                                        ; implicit-def: $vgpr1
	s_branch .LBB97_12
.LBB97_8:
	v_dual_mov_b32 v2, v5 :: v_dual_mov_b32 v1, 0
.LBB97_9:
	s_and_b32 s38, s38, 3
	s_delay_alu instid0(SALU_CYCLE_1)
	s_cmp_eq_u32 s38, 0
	s_cbranch_scc1 .LBB97_12
; %bb.10:
	s_lshl_b32 s2, s35, 3
	s_mul_i32 s22, s35, 12
	s_add_u32 s2, s2, s16
	s_addc_u32 s3, s17, 0
	s_add_u32 s2, s2, 0xc4
	s_addc_u32 s3, s3, 0
	;; [unrolled: 2-line block ×3, first 2 shown]
	.p2align	6
.LBB97_11:                              ; =>This Inner Loop Header: Depth=1
	s_clause 0x1
	s_load_b64 s[40:41], s[22:23], 0x4
	s_load_b32 s35, s[22:23], 0xc
	s_load_b64 s[42:43], s[2:3], 0x0
	s_add_u32 s22, s22, 12
	s_addc_u32 s23, s23, 0
	s_add_u32 s2, s2, 8
	s_addc_u32 s3, s3, 0
	s_add_i32 s38, s38, -1
	s_delay_alu instid0(SALU_CYCLE_1) | instskip(SKIP_2) | instid1(VALU_DEP_1)
	s_cmp_lg_u32 s38, 0
	s_waitcnt lgkmcnt(0)
	v_mul_hi_u32 v6, s41, v2
	v_add_nc_u32_e32 v6, v2, v6
	s_delay_alu instid0(VALU_DEP_1) | instskip(NEXT) | instid1(VALU_DEP_1)
	v_lshrrev_b32_e32 v9, s35, v6
	v_mul_lo_u32 v6, v9, s40
	s_delay_alu instid0(VALU_DEP_1) | instskip(NEXT) | instid1(VALU_DEP_1)
	v_sub_nc_u32_e32 v2, v2, v6
	v_mad_u64_u32 v[6:7], null, v2, s42, v[0:1]
	v_mad_u64_u32 v[7:8], null, v2, s43, v[1:2]
	v_mov_b32_e32 v2, v9
	s_delay_alu instid0(VALU_DEP_2)
	v_dual_mov_b32 v0, v6 :: v_dual_mov_b32 v1, v7
	s_cbranch_scc1 .LBB97_11
.LBB97_12:
	s_and_not1_b32 vcc_lo, exec_lo, s34
	s_cbranch_vccnz .LBB97_15
; %bb.13:
	s_waitcnt lgkmcnt(0)
	v_mul_hi_u32 v0, s13, v5
	s_and_not1_b32 vcc_lo, exec_lo, s29
	s_delay_alu instid0(VALU_DEP_1) | instskip(NEXT) | instid1(VALU_DEP_1)
	v_add_nc_u32_e32 v0, v5, v0
	v_lshrrev_b32_e32 v2, s14, v0
	s_delay_alu instid0(VALU_DEP_1) | instskip(NEXT) | instid1(VALU_DEP_1)
	v_mul_lo_u32 v0, v2, s12
	v_sub_nc_u32_e32 v1, v5, v0
	s_delay_alu instid0(VALU_DEP_1)
	v_mul_lo_u32 v0, v1, s8
	v_mul_lo_u32 v1, v1, s9
	s_cbranch_vccnz .LBB97_15
; %bb.14:
	v_mul_hi_u32 v6, s18, v2
	s_delay_alu instid0(VALU_DEP_1) | instskip(NEXT) | instid1(VALU_DEP_1)
	v_add_nc_u32_e32 v6, v2, v6
	v_lshrrev_b32_e32 v6, s19, v6
	s_delay_alu instid0(VALU_DEP_1) | instskip(NEXT) | instid1(VALU_DEP_1)
	v_mul_lo_u32 v6, v6, s15
	v_sub_nc_u32_e32 v2, v2, v6
	s_delay_alu instid0(VALU_DEP_1) | instskip(SKIP_1) | instid1(VALU_DEP_1)
	v_mad_u64_u32 v[6:7], null, v2, s10, v[0:1]
	v_mad_u64_u32 v[7:8], null, v2, s11, v[1:2]
	v_dual_mov_b32 v0, v6 :: v_dual_mov_b32 v1, v7
.LBB97_15:
	v_cmp_gt_i16_e32 vcc_lo, 11, v4
	s_waitcnt lgkmcnt(0)
	s_delay_alu instid0(VALU_DEP_2) | instskip(NEXT) | instid1(VALU_DEP_1)
	v_add_co_u32 v1, s2, s6, v1
	v_add_co_ci_u32_e64 v2, null, s7, 0, s2
	s_mov_b32 s3, 0
	s_cbranch_vccnz .LBB97_22
; %bb.16:
	v_cmp_lt_i16_e32 vcc_lo, 25, v4
	s_cbranch_vccz .LBB97_141
; %bb.17:
	v_cmp_lt_i16_e32 vcc_lo, 28, v4
	s_cbranch_vccz .LBB97_142
	;; [unrolled: 3-line block ×4, first 2 shown]
; %bb.20:
	v_cmp_eq_u16_e32 vcc_lo, 46, v4
	s_mov_b32 s22, 0
	s_cbranch_vccz .LBB97_145
; %bb.21:
	global_load_b32 v6, v[1:2], off
	s_mov_b32 s2, -1
	s_waitcnt vmcnt(0)
	v_lshlrev_b32_e32 v6, 16, v6
	s_delay_alu instid0(VALU_DEP_1)
	v_cvt_f16_f32_e32 v6, v6
	s_branch .LBB97_147
.LBB97_22:
	s_mov_b32 s2, 0
                                        ; implicit-def: $vgpr6
	s_cbranch_execnz .LBB97_213
.LBB97_23:
	s_and_not1_b32 vcc_lo, exec_lo, s2
	s_cbranch_vccnz .LBB97_260
.LBB97_24:
	s_waitcnt vmcnt(0)
	s_delay_alu instid0(VALU_DEP_1) | instskip(SKIP_3) | instid1(VALU_DEP_1)
	v_cvt_f32_f16_e32 v1, v6
	s_mov_b32 s2, 0x3fb8aa3b
	s_mov_b32 s22, 0
	s_mov_b32 s23, -1
	v_mul_f32_e32 v2, 0x3fb8aa3b, v1
	v_cmp_ngt_f32_e32 vcc_lo, 0xc2ce8ed0, v1
	s_delay_alu instid0(VALU_DEP_2) | instskip(SKIP_2) | instid1(VALU_DEP_2)
	v_rndne_f32_e32 v7, v2
	v_fma_mix_f32 v8, v6, s2, -v2 op_sel_hi:[1,0,0]
	s_mov_b32 s2, 0x32a5705f
	v_sub_f32_e32 v2, v2, v7
	s_delay_alu instid0(VALU_DEP_2) | instskip(SKIP_1) | instid1(VALU_DEP_2)
	v_fma_mix_f32 v6, v6, s2, v8 op_sel_hi:[1,0,0]
	v_cmp_nlt_f32_e64 s2, 0x42b17218, v1
	v_add_f32_e32 v2, v2, v6
	v_cvt_i32_f32_e32 v6, v7
	s_delay_alu instid0(VALU_DEP_2) | instskip(SKIP_3) | instid1(VALU_DEP_2)
	v_exp_f32_e32 v2, v2
	s_waitcnt_depctr 0xfff
	v_ldexp_f32 v2, v2, v6
	v_and_b32_e32 v6, 0xff, v3
	v_cndmask_b32_e32 v2, 0, v2, vcc_lo
	s_delay_alu instid0(VALU_DEP_2) | instskip(NEXT) | instid1(VALU_DEP_2)
	v_cmp_gt_i16_e32 vcc_lo, 11, v6
	v_cndmask_b32_e64 v2, 0x7f800000, v2, s2
	v_add_co_u32 v0, s2, s4, v0
	s_delay_alu instid0(VALU_DEP_1) | instskip(NEXT) | instid1(VALU_DEP_3)
	v_add_co_ci_u32_e64 v1, null, s5, 0, s2
	v_cvt_f16_f32_e32 v2, v2
	s_mov_b32 s2, 0
	s_cbranch_vccnz .LBB97_101
; %bb.25:
	v_cmp_lt_i16_e32 vcc_lo, 25, v6
	s_cbranch_vccz .LBB97_58
; %bb.26:
	v_cmp_lt_i16_e32 vcc_lo, 28, v6
	s_cbranch_vccz .LBB97_41
	;; [unrolled: 3-line block ×4, first 2 shown]
; %bb.29:
	v_cmp_eq_u16_e32 vcc_lo, 46, v6
	s_mov_b32 s23, 0
	s_mov_b32 s22, -1
	s_cbranch_vccz .LBB97_31
; %bb.30:
	v_cvt_f32_f16_e32 v7, v2
	v_cmp_o_f16_e32 vcc_lo, v2, v2
	s_mov_b32 s2, -1
	s_mov_b32 s22, 0
	s_delay_alu instid0(VALU_DEP_2) | instskip(NEXT) | instid1(VALU_DEP_1)
	v_bfe_u32 v8, v7, 16, 1
	v_add3_u32 v7, v7, v8, 0x7fff
	s_delay_alu instid0(VALU_DEP_1) | instskip(NEXT) | instid1(VALU_DEP_1)
	v_lshrrev_b32_e32 v7, 16, v7
	v_cndmask_b32_e32 v7, 0x7fc0, v7, vcc_lo
	global_store_b32 v[0:1], v7, off
.LBB97_31:
	s_and_b32 vcc_lo, exec_lo, s23
	s_cbranch_vccz .LBB97_36
; %bb.32:
	v_cmp_eq_u16_e32 vcc_lo, 44, v6
	s_mov_b32 s22, -1
	s_cbranch_vccz .LBB97_36
; %bb.33:
	v_cvt_f32_f16_e32 v7, v2
	v_mov_b32_e32 v8, 0xff
	s_mov_b32 s22, exec_lo
	s_delay_alu instid0(VALU_DEP_2) | instskip(NEXT) | instid1(VALU_DEP_1)
	v_bfe_u32 v9, v7, 23, 8
	v_cmpx_ne_u32_e32 0xff, v9
; %bb.34:
	v_and_b32_e32 v8, 0x400000, v7
	v_and_or_b32 v9, 0x3fffff, v7, v9
	v_lshrrev_b32_e32 v7, 23, v7
	s_delay_alu instid0(VALU_DEP_3) | instskip(NEXT) | instid1(VALU_DEP_3)
	v_cmp_ne_u32_e32 vcc_lo, 0, v8
	v_cmp_ne_u32_e64 s2, 0, v9
	s_delay_alu instid0(VALU_DEP_1) | instskip(NEXT) | instid1(SALU_CYCLE_1)
	s_and_b32 s2, vcc_lo, s2
	v_cndmask_b32_e64 v8, 0, 1, s2
	s_delay_alu instid0(VALU_DEP_1)
	v_add_nc_u32_e32 v8, v7, v8
; %bb.35:
	s_or_b32 exec_lo, exec_lo, s22
	s_mov_b32 s2, -1
	s_mov_b32 s22, 0
	global_store_b8 v[0:1], v8, off
.LBB97_36:
	s_mov_b32 s23, 0
.LBB97_37:
	s_delay_alu instid0(SALU_CYCLE_1)
	s_and_b32 vcc_lo, exec_lo, s23
	s_cbranch_vccz .LBB97_40
; %bb.38:
	v_cmp_eq_u16_e32 vcc_lo, 29, v6
	s_mov_b32 s22, -1
	s_cbranch_vccz .LBB97_40
; %bb.39:
	v_cvt_f32_f16_e32 v7, v2
	v_mov_b32_e32 v8, 0
	s_mov_b32 s22, 0
	s_mov_b32 s2, -1
	s_delay_alu instid0(VALU_DEP_2)
	v_cvt_u32_f32_e32 v7, v7
	global_store_b64 v[0:1], v[7:8], off
.LBB97_40:
	s_mov_b32 s23, 0
.LBB97_41:
	s_delay_alu instid0(SALU_CYCLE_1)
	s_and_b32 vcc_lo, exec_lo, s23
	s_cbranch_vccz .LBB97_57
; %bb.42:
	v_cmp_gt_i16_e32 vcc_lo, 27, v6
	s_mov_b32 s2, -1
	s_cbranch_vccnz .LBB97_48
; %bb.43:
	v_cmp_lt_i16_e32 vcc_lo, 27, v6
	s_cbranch_vccz .LBB97_45
; %bb.44:
	v_cvt_f32_f16_e32 v7, v2
	s_mov_b32 s2, 0
	s_delay_alu instid0(VALU_DEP_1)
	v_cvt_u32_f32_e32 v7, v7
	global_store_b32 v[0:1], v7, off
.LBB97_45:
	s_and_not1_b32 vcc_lo, exec_lo, s2
	s_cbranch_vccnz .LBB97_47
; %bb.46:
	v_cvt_u16_f16_e32 v7, v2
	global_store_b16 v[0:1], v7, off
.LBB97_47:
	s_mov_b32 s2, 0
.LBB97_48:
	s_delay_alu instid0(SALU_CYCLE_1)
	s_and_not1_b32 vcc_lo, exec_lo, s2
	s_cbranch_vccnz .LBB97_56
; %bb.49:
	v_cvt_f32_f16_e32 v7, v2
	v_mov_b32_e32 v9, 0x80
	s_mov_b32 s2, exec_lo
	s_delay_alu instid0(VALU_DEP_2) | instskip(NEXT) | instid1(VALU_DEP_1)
	v_and_b32_e32 v8, 0x7fffffff, v7
	v_cmpx_gt_u32_e32 0x43800000, v8
	s_cbranch_execz .LBB97_55
; %bb.50:
	v_cmp_lt_u32_e32 vcc_lo, 0x3bffffff, v8
	s_mov_b32 s23, 0
                                        ; implicit-def: $vgpr8
	s_and_saveexec_b32 s34, vcc_lo
	s_delay_alu instid0(SALU_CYCLE_1)
	s_xor_b32 s34, exec_lo, s34
	s_cbranch_execz .LBB97_150
; %bb.51:
	v_bfe_u32 v8, v7, 20, 1
	s_mov_b32 s23, exec_lo
	s_delay_alu instid0(VALU_DEP_1) | instskip(NEXT) | instid1(VALU_DEP_1)
	v_add3_u32 v8, v7, v8, 0x487ffff
	v_lshrrev_b32_e32 v8, 20, v8
	s_or_saveexec_b32 s34, s34
                                        ; implicit-def: $sgpr35
	s_delay_alu instid0(SALU_CYCLE_1)
	s_xor_b32 exec_lo, exec_lo, s34
	s_cbranch_execnz .LBB97_151
.LBB97_52:
	s_or_b32 exec_lo, exec_lo, s34
	v_mov_b32_e32 v9, s35
	s_and_saveexec_b32 s34, s23
.LBB97_53:
	v_lshrrev_b32_e32 v7, 24, v7
	s_delay_alu instid0(VALU_DEP_1)
	v_and_or_b32 v9, 0x80, v7, v8
.LBB97_54:
	s_or_b32 exec_lo, exec_lo, s34
.LBB97_55:
	s_delay_alu instid0(SALU_CYCLE_1)
	s_or_b32 exec_lo, exec_lo, s2
	global_store_b8 v[0:1], v9, off
.LBB97_56:
	s_mov_b32 s2, -1
.LBB97_57:
	s_mov_b32 s23, 0
.LBB97_58:
	s_delay_alu instid0(SALU_CYCLE_1)
	s_and_b32 vcc_lo, exec_lo, s23
	s_cbranch_vccz .LBB97_99
; %bb.59:
	v_cmp_lt_i16_e32 vcc_lo, 22, v6
	s_mov_b32 s23, -1
	s_cbranch_vccz .LBB97_91
; %bb.60:
	v_cmp_gt_i16_e32 vcc_lo, 24, v6
	s_mov_b32 s2, -1
	s_cbranch_vccnz .LBB97_80
; %bb.61:
	v_cmp_lt_i16_e32 vcc_lo, 24, v6
	s_cbranch_vccz .LBB97_69
; %bb.62:
	v_cvt_f32_f16_e32 v7, v2
	v_mov_b32_e32 v9, 0x80
	s_mov_b32 s2, exec_lo
	s_delay_alu instid0(VALU_DEP_2) | instskip(NEXT) | instid1(VALU_DEP_1)
	v_and_b32_e32 v8, 0x7fffffff, v7
	v_cmpx_gt_u32_e32 0x47800000, v8
	s_cbranch_execz .LBB97_68
; %bb.63:
	v_cmp_lt_u32_e32 vcc_lo, 0x37ffffff, v8
	s_mov_b32 s23, 0
                                        ; implicit-def: $vgpr8
	s_and_saveexec_b32 s34, vcc_lo
	s_delay_alu instid0(SALU_CYCLE_1)
	s_xor_b32 s34, exec_lo, s34
	s_cbranch_execz .LBB97_341
; %bb.64:
	v_bfe_u32 v8, v7, 21, 1
	s_mov_b32 s23, exec_lo
	s_delay_alu instid0(VALU_DEP_1) | instskip(NEXT) | instid1(VALU_DEP_1)
	v_add3_u32 v8, v7, v8, 0x88fffff
	v_lshrrev_b32_e32 v8, 21, v8
	s_or_saveexec_b32 s34, s34
                                        ; implicit-def: $sgpr35
	s_delay_alu instid0(SALU_CYCLE_1)
	s_xor_b32 exec_lo, exec_lo, s34
	s_cbranch_execnz .LBB97_342
.LBB97_65:
	s_or_b32 exec_lo, exec_lo, s34
	v_mov_b32_e32 v9, s35
	s_and_saveexec_b32 s34, s23
.LBB97_66:
	v_lshrrev_b32_e32 v7, 24, v7
	s_delay_alu instid0(VALU_DEP_1)
	v_and_or_b32 v9, 0x80, v7, v8
.LBB97_67:
	s_or_b32 exec_lo, exec_lo, s34
.LBB97_68:
	s_delay_alu instid0(SALU_CYCLE_1)
	s_or_b32 exec_lo, exec_lo, s2
	s_mov_b32 s2, 0
	global_store_b8 v[0:1], v9, off
.LBB97_69:
	s_and_b32 vcc_lo, exec_lo, s2
	s_cbranch_vccz .LBB97_79
; %bb.70:
	v_cvt_f32_f16_e32 v7, v2
	s_mov_b32 s2, exec_lo
                                        ; implicit-def: $vgpr8
	s_delay_alu instid0(VALU_DEP_1) | instskip(NEXT) | instid1(VALU_DEP_1)
	v_and_b32_e32 v9, 0x7fffffff, v7
	v_cmpx_gt_u32_e32 0x43f00000, v9
	s_xor_b32 s2, exec_lo, s2
	s_cbranch_execz .LBB97_76
; %bb.71:
	s_mov_b32 s23, exec_lo
                                        ; implicit-def: $vgpr8
	v_cmpx_lt_u32_e32 0x3c7fffff, v9
	s_xor_b32 s23, exec_lo, s23
; %bb.72:
	v_bfe_u32 v8, v7, 20, 1
	s_delay_alu instid0(VALU_DEP_1) | instskip(NEXT) | instid1(VALU_DEP_1)
	v_add3_u32 v8, v7, v8, 0x407ffff
	v_and_b32_e32 v9, 0xff00000, v8
	v_lshrrev_b32_e32 v8, 20, v8
	s_delay_alu instid0(VALU_DEP_2) | instskip(NEXT) | instid1(VALU_DEP_2)
	v_cmp_ne_u32_e32 vcc_lo, 0x7f00000, v9
	v_cndmask_b32_e32 v8, 0x7e, v8, vcc_lo
; %bb.73:
	s_and_not1_saveexec_b32 s23, s23
; %bb.74:
	v_add_f32_e64 v8, 0x46800000, |v7|
; %bb.75:
	s_or_b32 exec_lo, exec_lo, s23
                                        ; implicit-def: $vgpr9
.LBB97_76:
	s_and_not1_saveexec_b32 s2, s2
; %bb.77:
	v_mov_b32_e32 v8, 0x7f
	v_cmp_lt_u32_e32 vcc_lo, 0x7f800000, v9
	s_delay_alu instid0(VALU_DEP_2)
	v_cndmask_b32_e32 v8, 0x7e, v8, vcc_lo
; %bb.78:
	s_or_b32 exec_lo, exec_lo, s2
	v_lshrrev_b32_e32 v7, 24, v7
	s_delay_alu instid0(VALU_DEP_1)
	v_and_or_b32 v7, 0x80, v7, v8
	global_store_b8 v[0:1], v7, off
.LBB97_79:
	s_mov_b32 s2, 0
.LBB97_80:
	s_delay_alu instid0(SALU_CYCLE_1)
	s_and_not1_b32 vcc_lo, exec_lo, s2
	s_cbranch_vccnz .LBB97_90
; %bb.81:
	v_cvt_f32_f16_e32 v7, v2
	s_mov_b32 s2, exec_lo
                                        ; implicit-def: $vgpr8
	s_delay_alu instid0(VALU_DEP_1) | instskip(NEXT) | instid1(VALU_DEP_1)
	v_and_b32_e32 v9, 0x7fffffff, v7
	v_cmpx_gt_u32_e32 0x47800000, v9
	s_xor_b32 s2, exec_lo, s2
	s_cbranch_execz .LBB97_87
; %bb.82:
	s_mov_b32 s23, exec_lo
                                        ; implicit-def: $vgpr8
	v_cmpx_lt_u32_e32 0x387fffff, v9
	s_xor_b32 s23, exec_lo, s23
; %bb.83:
	v_bfe_u32 v8, v7, 21, 1
	s_delay_alu instid0(VALU_DEP_1) | instskip(NEXT) | instid1(VALU_DEP_1)
	v_add3_u32 v8, v7, v8, 0x80fffff
	v_lshrrev_b32_e32 v8, 21, v8
; %bb.84:
	s_and_not1_saveexec_b32 s23, s23
; %bb.85:
	v_add_f32_e64 v8, 0x43000000, |v7|
; %bb.86:
	s_or_b32 exec_lo, exec_lo, s23
                                        ; implicit-def: $vgpr9
.LBB97_87:
	s_and_not1_saveexec_b32 s2, s2
; %bb.88:
	v_mov_b32_e32 v8, 0x7f
	v_cmp_lt_u32_e32 vcc_lo, 0x7f800000, v9
	s_delay_alu instid0(VALU_DEP_2)
	v_cndmask_b32_e32 v8, 0x7c, v8, vcc_lo
; %bb.89:
	s_or_b32 exec_lo, exec_lo, s2
	v_lshrrev_b32_e32 v7, 24, v7
	s_delay_alu instid0(VALU_DEP_1)
	v_and_or_b32 v7, 0x80, v7, v8
	global_store_b8 v[0:1], v7, off
.LBB97_90:
	s_mov_b32 s23, 0
	s_mov_b32 s2, -1
.LBB97_91:
	s_and_not1_b32 vcc_lo, exec_lo, s23
	s_cbranch_vccnz .LBB97_99
; %bb.92:
	v_cmp_lt_i16_e32 vcc_lo, 14, v6
	s_mov_b32 s23, -1
	s_cbranch_vccz .LBB97_96
; %bb.93:
	v_cmp_eq_u16_e32 vcc_lo, 15, v6
	s_mov_b32 s22, -1
	s_cbranch_vccz .LBB97_95
; %bb.94:
	v_cvt_f32_f16_e32 v7, v2
	v_cmp_o_f16_e32 vcc_lo, v2, v2
	s_mov_b32 s2, -1
	s_mov_b32 s22, 0
	s_delay_alu instid0(VALU_DEP_2) | instskip(NEXT) | instid1(VALU_DEP_1)
	v_bfe_u32 v8, v7, 16, 1
	v_add3_u32 v7, v7, v8, 0x7fff
	s_delay_alu instid0(VALU_DEP_1) | instskip(NEXT) | instid1(VALU_DEP_1)
	v_lshrrev_b32_e32 v7, 16, v7
	v_cndmask_b32_e32 v7, 0x7fc0, v7, vcc_lo
	global_store_b16 v[0:1], v7, off
.LBB97_95:
	s_mov_b32 s23, 0
.LBB97_96:
	s_delay_alu instid0(SALU_CYCLE_1)
	s_and_b32 vcc_lo, exec_lo, s23
	s_cbranch_vccz .LBB97_99
; %bb.97:
	v_cmp_eq_u16_e32 vcc_lo, 11, v6
	s_mov_b32 s22, -1
	s_cbranch_vccz .LBB97_99
; %bb.98:
	v_cmp_neq_f16_e32 vcc_lo, 0, v2
	s_mov_b32 s22, 0
	s_mov_b32 s2, -1
	v_cndmask_b32_e64 v7, 0, 1, vcc_lo
	global_store_b8 v[0:1], v7, off
.LBB97_99:
.LBB97_100:
	s_and_not1_b32 vcc_lo, exec_lo, s2
	s_cbranch_vccz .LBB97_140
	s_branch .LBB97_261
.LBB97_101:
	s_and_b32 vcc_lo, exec_lo, s23
	s_cbranch_vccz .LBB97_100
; %bb.102:
	v_cmp_gt_i16_e32 vcc_lo, 5, v6
	s_mov_b32 s2, -1
	s_cbranch_vccnz .LBB97_123
; %bb.103:
	v_cmp_gt_i16_e32 vcc_lo, 8, v6
	s_cbranch_vccnz .LBB97_113
; %bb.104:
	v_cmp_gt_i16_e32 vcc_lo, 9, v6
	s_cbranch_vccnz .LBB97_110
; %bb.105:
	v_cmp_lt_i16_e32 vcc_lo, 9, v6
	s_cbranch_vccz .LBB97_107
; %bb.106:
	v_cvt_f32_f16_e32 v7, v2
	v_mov_b32_e32 v9, 0
	s_mov_b32 s2, 0
	s_delay_alu instid0(VALU_DEP_2) | instskip(NEXT) | instid1(VALU_DEP_2)
	v_cvt_f64_f32_e32 v[7:8], v7
	v_mov_b32_e32 v10, v9
	global_store_b128 v[0:1], v[7:10], off
.LBB97_107:
	s_and_not1_b32 vcc_lo, exec_lo, s2
	s_cbranch_vccnz .LBB97_109
; %bb.108:
	v_cvt_f32_f16_e32 v7, v2
	v_mov_b32_e32 v8, 0
	global_store_b64 v[0:1], v[7:8], off
.LBB97_109:
	s_mov_b32 s2, 0
.LBB97_110:
	s_delay_alu instid0(SALU_CYCLE_1)
	s_and_not1_b32 vcc_lo, exec_lo, s2
	s_cbranch_vccnz .LBB97_112
; %bb.111:
	v_and_b32_e32 v7, 0xffff, v2
	global_store_b32 v[0:1], v7, off
.LBB97_112:
	s_mov_b32 s2, 0
.LBB97_113:
	s_delay_alu instid0(SALU_CYCLE_1)
	s_and_not1_b32 vcc_lo, exec_lo, s2
	s_cbranch_vccnz .LBB97_122
; %bb.114:
	v_cmp_gt_i16_e32 vcc_lo, 6, v6
	s_mov_b32 s2, -1
	s_cbranch_vccnz .LBB97_120
; %bb.115:
	v_cmp_lt_i16_e32 vcc_lo, 6, v6
	s_cbranch_vccz .LBB97_117
; %bb.116:
	v_cvt_f32_f16_e32 v7, v2
	s_mov_b32 s2, 0
	s_delay_alu instid0(VALU_DEP_1)
	v_cvt_f64_f32_e32 v[7:8], v7
	global_store_b64 v[0:1], v[7:8], off
.LBB97_117:
	s_and_not1_b32 vcc_lo, exec_lo, s2
	s_cbranch_vccnz .LBB97_119
; %bb.118:
	v_cvt_f32_f16_e32 v7, v2
	global_store_b32 v[0:1], v7, off
.LBB97_119:
	s_mov_b32 s2, 0
.LBB97_120:
	s_delay_alu instid0(SALU_CYCLE_1)
	s_and_not1_b32 vcc_lo, exec_lo, s2
	s_cbranch_vccnz .LBB97_122
; %bb.121:
	global_store_b16 v[0:1], v2, off
.LBB97_122:
	s_mov_b32 s2, 0
.LBB97_123:
	s_delay_alu instid0(SALU_CYCLE_1)
	s_and_not1_b32 vcc_lo, exec_lo, s2
	s_cbranch_vccnz .LBB97_139
; %bb.124:
	v_cmp_gt_i16_e32 vcc_lo, 2, v6
	s_mov_b32 s2, -1
	s_cbranch_vccnz .LBB97_134
; %bb.125:
	v_cmp_gt_i16_e32 vcc_lo, 3, v6
	s_cbranch_vccnz .LBB97_131
; %bb.126:
	v_cmp_lt_i16_e32 vcc_lo, 3, v6
	s_cbranch_vccz .LBB97_128
; %bb.127:
	v_cvt_f32_f16_e32 v7, v2
	s_mov_b32 s2, 0
	s_delay_alu instid0(VALU_DEP_1) | instskip(NEXT) | instid1(VALU_DEP_1)
	v_cvt_i32_f32_e32 v7, v7
	v_ashrrev_i32_e32 v8, 31, v7
	global_store_b64 v[0:1], v[7:8], off
.LBB97_128:
	s_and_not1_b32 vcc_lo, exec_lo, s2
	s_cbranch_vccnz .LBB97_130
; %bb.129:
	v_cvt_f32_f16_e32 v7, v2
	s_delay_alu instid0(VALU_DEP_1)
	v_cvt_i32_f32_e32 v7, v7
	global_store_b32 v[0:1], v7, off
.LBB97_130:
	s_mov_b32 s2, 0
.LBB97_131:
	s_delay_alu instid0(SALU_CYCLE_1)
	s_and_not1_b32 vcc_lo, exec_lo, s2
	s_cbranch_vccnz .LBB97_133
; %bb.132:
	v_cvt_i16_f16_e32 v7, v2
	global_store_b16 v[0:1], v7, off
.LBB97_133:
	s_mov_b32 s2, 0
.LBB97_134:
	s_delay_alu instid0(SALU_CYCLE_1)
	s_and_not1_b32 vcc_lo, exec_lo, s2
	s_cbranch_vccnz .LBB97_139
; %bb.135:
	v_cmp_lt_i16_e32 vcc_lo, 0, v6
	s_mov_b32 s2, -1
	s_cbranch_vccz .LBB97_137
; %bb.136:
	v_cvt_i16_f16_e32 v6, v2
	s_mov_b32 s2, 0
	global_store_b8 v[0:1], v6, off
.LBB97_137:
	s_and_not1_b32 vcc_lo, exec_lo, s2
	s_cbranch_vccnz .LBB97_139
; %bb.138:
	v_cvt_f32_f16_e32 v2, v2
	s_delay_alu instid0(VALU_DEP_1)
	v_cvt_i32_f32_e32 v2, v2
	global_store_b8 v[0:1], v2, off
.LBB97_139:
.LBB97_140:
	v_add_nc_u32_e32 v5, 0x80, v5
	s_mov_b32 s2, -1
	s_branch .LBB97_262
.LBB97_141:
	s_mov_b32 s2, 0
                                        ; implicit-def: $vgpr6
	s_cbranch_execnz .LBB97_178
	s_branch .LBB97_212
.LBB97_142:
	s_mov_b32 s22, -1
	s_mov_b32 s2, 0
                                        ; implicit-def: $vgpr6
	s_branch .LBB97_159
.LBB97_143:
	s_mov_b32 s22, -1
	s_mov_b32 s2, 0
                                        ; implicit-def: $vgpr6
	s_branch .LBB97_154
.LBB97_144:
	s_mov_b32 s22, -1
	s_branch .LBB97_146
.LBB97_145:
	s_mov_b32 s3, -1
.LBB97_146:
	s_mov_b32 s2, 0
                                        ; implicit-def: $vgpr6
.LBB97_147:
	s_and_b32 vcc_lo, exec_lo, s22
	s_cbranch_vccz .LBB97_153
; %bb.148:
	v_cmp_eq_u16_e32 vcc_lo, 44, v4
	s_cbranch_vccz .LBB97_152
; %bb.149:
	global_load_u8 v6, v[1:2], off
	s_mov_b32 s3, 0
	s_mov_b32 s2, -1
	s_waitcnt vmcnt(0)
	v_lshlrev_b32_e32 v7, 23, v6
	v_cmp_ne_u32_e32 vcc_lo, 0xff, v6
	s_delay_alu instid0(VALU_DEP_2) | instskip(NEXT) | instid1(VALU_DEP_1)
	v_cvt_f16_f32_e32 v7, v7
	v_cndmask_b32_e32 v7, 0x7e00, v7, vcc_lo
	v_cmp_ne_u32_e32 vcc_lo, 0, v6
	s_delay_alu instid0(VALU_DEP_2)
	v_cndmask_b32_e32 v6, 0, v7, vcc_lo
	s_branch .LBB97_153
.LBB97_150:
	s_or_saveexec_b32 s34, s34
                                        ; implicit-def: $sgpr35
	s_delay_alu instid0(SALU_CYCLE_1)
	s_xor_b32 exec_lo, exec_lo, s34
	s_cbranch_execz .LBB97_52
.LBB97_151:
	v_add_f32_e64 v8, 0x46000000, |v7|
	s_and_not1_b32 s23, s23, exec_lo
	s_mov_b32 s35, 0
	s_delay_alu instid0(VALU_DEP_1) | instskip(NEXT) | instid1(VALU_DEP_1)
	v_and_b32_e32 v8, 0xff, v8
	v_cmp_ne_u32_e32 vcc_lo, 0, v8
	s_and_b32 s38, vcc_lo, exec_lo
	s_delay_alu instid0(SALU_CYCLE_1)
	s_or_b32 s23, s23, s38
	s_or_b32 exec_lo, exec_lo, s34
	v_mov_b32_e32 v9, s35
	s_and_saveexec_b32 s34, s23
	s_cbranch_execnz .LBB97_53
	s_branch .LBB97_54
.LBB97_152:
	s_mov_b32 s3, -1
                                        ; implicit-def: $vgpr6
.LBB97_153:
	s_mov_b32 s22, 0
.LBB97_154:
	s_delay_alu instid0(SALU_CYCLE_1)
	s_and_b32 vcc_lo, exec_lo, s22
	s_cbranch_vccz .LBB97_158
; %bb.155:
	v_cmp_eq_u16_e32 vcc_lo, 29, v4
	s_cbranch_vccz .LBB97_157
; %bb.156:
	global_load_b64 v[6:7], v[1:2], off
	s_mov_b32 s2, -1
	s_mov_b32 s3, 0
	s_mov_b32 s22, 0
	s_waitcnt vmcnt(0)
	v_clz_i32_u32_e32 v8, v7
	s_delay_alu instid0(VALU_DEP_1) | instskip(NEXT) | instid1(VALU_DEP_1)
	v_min_u32_e32 v8, 32, v8
	v_lshlrev_b64 v[6:7], v8, v[6:7]
	s_delay_alu instid0(VALU_DEP_1) | instskip(NEXT) | instid1(VALU_DEP_1)
	v_min_u32_e32 v6, 1, v6
	v_or_b32_e32 v6, v7, v6
	v_sub_nc_u32_e32 v7, 32, v8
	s_delay_alu instid0(VALU_DEP_2) | instskip(NEXT) | instid1(VALU_DEP_1)
	v_cvt_f32_u32_e32 v6, v6
	v_ldexp_f32 v6, v6, v7
	s_delay_alu instid0(VALU_DEP_1)
	v_cvt_f16_f32_e32 v6, v6
	s_branch .LBB97_159
.LBB97_157:
	s_mov_b32 s3, -1
                                        ; implicit-def: $vgpr6
.LBB97_158:
	s_mov_b32 s22, 0
.LBB97_159:
	s_delay_alu instid0(SALU_CYCLE_1)
	s_and_b32 vcc_lo, exec_lo, s22
	s_cbranch_vccz .LBB97_177
; %bb.160:
	v_cmp_gt_i16_e32 vcc_lo, 27, v4
	s_cbranch_vccnz .LBB97_163
; %bb.161:
	v_cmp_lt_i16_e32 vcc_lo, 27, v4
	s_cbranch_vccz .LBB97_164
; %bb.162:
	global_load_b32 v6, v[1:2], off
	s_mov_b32 s2, 0
	s_waitcnt vmcnt(0)
	v_cvt_f32_u32_e32 v6, v6
	s_delay_alu instid0(VALU_DEP_1)
	v_cvt_f16_f32_e32 v6, v6
	s_branch .LBB97_165
.LBB97_163:
	s_mov_b32 s2, -1
                                        ; implicit-def: $vgpr6
	s_branch .LBB97_168
.LBB97_164:
	s_mov_b32 s2, -1
                                        ; implicit-def: $vgpr6
.LBB97_165:
	s_delay_alu instid0(SALU_CYCLE_1)
	s_and_not1_b32 vcc_lo, exec_lo, s2
	s_cbranch_vccnz .LBB97_167
; %bb.166:
	global_load_u16 v6, v[1:2], off
	s_waitcnt vmcnt(0)
	v_cvt_f16_u16_e32 v6, v6
.LBB97_167:
	s_mov_b32 s2, 0
.LBB97_168:
	s_delay_alu instid0(SALU_CYCLE_1)
	s_and_not1_b32 vcc_lo, exec_lo, s2
	s_cbranch_vccnz .LBB97_176
; %bb.169:
	global_load_u8 v7, v[1:2], off
	s_mov_b32 s2, 0
	s_mov_b32 s23, exec_lo
                                        ; implicit-def: $sgpr22
	s_waitcnt vmcnt(0)
	v_cmpx_lt_i16_e32 0x7f, v7
	s_xor_b32 s23, exec_lo, s23
	s_cbranch_execz .LBB97_189
; %bb.170:
	s_mov_b32 s2, -1
	s_mov_b32 s34, exec_lo
                                        ; implicit-def: $sgpr22
	v_cmpx_eq_u16_e32 0x80, v7
; %bb.171:
	s_movk_i32 s22, 0x7e00
	s_xor_b32 s2, exec_lo, -1
; %bb.172:
	s_or_b32 exec_lo, exec_lo, s34
	s_delay_alu instid0(SALU_CYCLE_1)
	s_and_b32 s2, s2, exec_lo
	s_or_saveexec_b32 s23, s23
	v_mov_b32_e32 v6, s22
	s_xor_b32 exec_lo, exec_lo, s23
	s_cbranch_execnz .LBB97_190
.LBB97_173:
	s_or_b32 exec_lo, exec_lo, s23
	s_and_saveexec_b32 s22, s2
	s_cbranch_execz .LBB97_175
.LBB97_174:
	v_and_b32_e32 v6, 0xffff, v7
	s_delay_alu instid0(VALU_DEP_1) | instskip(NEXT) | instid1(VALU_DEP_1)
	v_and_b32_e32 v8, 7, v6
	v_clz_i32_u32_e32 v9, v8
	s_delay_alu instid0(VALU_DEP_1) | instskip(NEXT) | instid1(VALU_DEP_1)
	v_min_u32_e32 v9, 32, v9
	v_subrev_nc_u32_e32 v10, 28, v9
	v_sub_nc_u32_e32 v9, 29, v9
	s_delay_alu instid0(VALU_DEP_2) | instskip(SKIP_1) | instid1(VALU_DEP_2)
	v_lshlrev_b32_e32 v10, v10, v6
	v_bfe_u32 v6, v6, 3, 4
	v_and_b32_e32 v10, 7, v10
	s_delay_alu instid0(VALU_DEP_2) | instskip(SKIP_1) | instid1(VALU_DEP_1)
	v_cmp_eq_u32_e32 vcc_lo, 0, v6
	v_dual_cndmask_b32 v6, v6, v9 :: v_dual_lshlrev_b32 v7, 24, v7
	v_dual_cndmask_b32 v8, v8, v10 :: v_dual_and_b32 v7, 0x80000000, v7
	s_delay_alu instid0(VALU_DEP_2) | instskip(NEXT) | instid1(VALU_DEP_2)
	v_lshl_add_u32 v6, v6, 23, 0x3b800000
	v_lshlrev_b32_e32 v8, 20, v8
	s_delay_alu instid0(VALU_DEP_1) | instskip(NEXT) | instid1(VALU_DEP_1)
	v_or3_b32 v6, v7, v6, v8
	v_cvt_f16_f32_e32 v6, v6
.LBB97_175:
	s_or_b32 exec_lo, exec_lo, s22
.LBB97_176:
	s_mov_b32 s2, -1
.LBB97_177:
	s_branch .LBB97_212
.LBB97_178:
	v_cmp_lt_i16_e32 vcc_lo, 22, v4
	s_cbranch_vccz .LBB97_188
; %bb.179:
	v_cmp_gt_i16_e32 vcc_lo, 24, v4
	s_cbranch_vccnz .LBB97_191
; %bb.180:
	v_cmp_lt_i16_e32 vcc_lo, 24, v4
	s_cbranch_vccz .LBB97_192
; %bb.181:
	global_load_u8 v7, v[1:2], off
	s_mov_b32 s2, 0
	s_mov_b32 s23, exec_lo
                                        ; implicit-def: $sgpr22
	s_waitcnt vmcnt(0)
	v_cmpx_lt_i16_e32 0x7f, v7
	s_xor_b32 s23, exec_lo, s23
	s_cbranch_execz .LBB97_204
; %bb.182:
	s_mov_b32 s2, -1
	s_mov_b32 s34, exec_lo
                                        ; implicit-def: $sgpr22
	v_cmpx_eq_u16_e32 0x80, v7
; %bb.183:
	s_movk_i32 s22, 0x7e00
	s_xor_b32 s2, exec_lo, -1
; %bb.184:
	s_or_b32 exec_lo, exec_lo, s34
	s_delay_alu instid0(SALU_CYCLE_1)
	s_and_b32 s2, s2, exec_lo
	s_or_saveexec_b32 s23, s23
	v_mov_b32_e32 v6, s22
	s_xor_b32 exec_lo, exec_lo, s23
	s_cbranch_execnz .LBB97_205
.LBB97_185:
	s_or_b32 exec_lo, exec_lo, s23
	s_and_saveexec_b32 s22, s2
	s_cbranch_execz .LBB97_187
.LBB97_186:
	v_and_b32_e32 v6, 0xffff, v7
	s_delay_alu instid0(VALU_DEP_1) | instskip(NEXT) | instid1(VALU_DEP_1)
	v_and_b32_e32 v8, 3, v6
	v_clz_i32_u32_e32 v9, v8
	s_delay_alu instid0(VALU_DEP_1) | instskip(NEXT) | instid1(VALU_DEP_1)
	v_min_u32_e32 v9, 32, v9
	v_subrev_nc_u32_e32 v10, 29, v9
	v_sub_nc_u32_e32 v9, 30, v9
	s_delay_alu instid0(VALU_DEP_2) | instskip(SKIP_1) | instid1(VALU_DEP_2)
	v_lshlrev_b32_e32 v10, v10, v6
	v_bfe_u32 v6, v6, 2, 5
	v_and_b32_e32 v10, 3, v10
	s_delay_alu instid0(VALU_DEP_2) | instskip(SKIP_1) | instid1(VALU_DEP_1)
	v_cmp_eq_u32_e32 vcc_lo, 0, v6
	v_dual_cndmask_b32 v6, v6, v9 :: v_dual_lshlrev_b32 v7, 24, v7
	v_dual_cndmask_b32 v8, v8, v10 :: v_dual_and_b32 v7, 0x80000000, v7
	s_delay_alu instid0(VALU_DEP_2) | instskip(NEXT) | instid1(VALU_DEP_2)
	v_lshl_add_u32 v6, v6, 23, 0x37800000
	v_lshlrev_b32_e32 v8, 21, v8
	s_delay_alu instid0(VALU_DEP_1) | instskip(NEXT) | instid1(VALU_DEP_1)
	v_or3_b32 v6, v7, v6, v8
	v_cvt_f16_f32_e32 v6, v6
.LBB97_187:
	s_or_b32 exec_lo, exec_lo, s22
	s_mov_b32 s2, 0
	s_branch .LBB97_193
.LBB97_188:
	s_mov_b32 s22, -1
                                        ; implicit-def: $vgpr6
	s_branch .LBB97_199
.LBB97_189:
	s_or_saveexec_b32 s23, s23
	v_mov_b32_e32 v6, s22
	s_xor_b32 exec_lo, exec_lo, s23
	s_cbranch_execz .LBB97_173
.LBB97_190:
	v_cmp_ne_u16_e32 vcc_lo, 0, v7
	v_mov_b32_e32 v6, v7
	s_and_not1_b32 s2, s2, exec_lo
	s_and_b32 s22, vcc_lo, exec_lo
	s_delay_alu instid0(SALU_CYCLE_1)
	s_or_b32 s2, s2, s22
	s_or_b32 exec_lo, exec_lo, s23
	s_and_saveexec_b32 s22, s2
	s_cbranch_execnz .LBB97_174
	s_branch .LBB97_175
.LBB97_191:
	s_mov_b32 s2, -1
                                        ; implicit-def: $vgpr6
	s_branch .LBB97_196
.LBB97_192:
	s_mov_b32 s2, -1
                                        ; implicit-def: $vgpr6
.LBB97_193:
	s_delay_alu instid0(SALU_CYCLE_1)
	s_and_b32 vcc_lo, exec_lo, s2
	s_cbranch_vccz .LBB97_195
; %bb.194:
	global_load_u8 v6, v[1:2], off
	s_waitcnt vmcnt(0)
	v_lshlrev_b32_e32 v6, 24, v6
	s_delay_alu instid0(VALU_DEP_1) | instskip(NEXT) | instid1(VALU_DEP_1)
	v_and_b32_e32 v7, 0x7f000000, v6
	v_clz_i32_u32_e32 v8, v7
	v_add_nc_u32_e32 v10, 0x1000000, v7
	v_cmp_ne_u32_e32 vcc_lo, 0, v7
	s_delay_alu instid0(VALU_DEP_3) | instskip(NEXT) | instid1(VALU_DEP_1)
	v_min_u32_e32 v8, 32, v8
	v_sub_nc_u32_e64 v8, v8, 4 clamp
	s_delay_alu instid0(VALU_DEP_1) | instskip(SKIP_1) | instid1(VALU_DEP_2)
	v_lshlrev_b32_e32 v9, v8, v7
	v_lshlrev_b32_e32 v8, 23, v8
	v_lshrrev_b32_e32 v9, 4, v9
	s_delay_alu instid0(VALU_DEP_1) | instskip(SKIP_1) | instid1(VALU_DEP_2)
	v_sub_nc_u32_e32 v8, v9, v8
	v_ashrrev_i32_e32 v9, 8, v10
	v_add_nc_u32_e32 v8, 0x3c000000, v8
	s_delay_alu instid0(VALU_DEP_1) | instskip(NEXT) | instid1(VALU_DEP_1)
	v_and_or_b32 v8, 0x7f800000, v9, v8
	v_cndmask_b32_e32 v7, 0, v8, vcc_lo
	s_delay_alu instid0(VALU_DEP_1) | instskip(NEXT) | instid1(VALU_DEP_1)
	v_and_or_b32 v6, 0x80000000, v6, v7
	v_cvt_f16_f32_e32 v6, v6
.LBB97_195:
	s_mov_b32 s2, 0
.LBB97_196:
	s_delay_alu instid0(SALU_CYCLE_1)
	s_and_not1_b32 vcc_lo, exec_lo, s2
	s_cbranch_vccnz .LBB97_198
; %bb.197:
	global_load_u8 v6, v[1:2], off
	s_waitcnt vmcnt(0)
	v_lshlrev_b32_e32 v7, 25, v6
	v_lshlrev_b16 v6, 8, v6
	s_delay_alu instid0(VALU_DEP_2) | instskip(NEXT) | instid1(VALU_DEP_2)
	v_lshrrev_b32_e32 v8, 4, v7
	v_and_or_b32 v9, 0x7f00, v6, 0.5
	v_bfe_i32 v6, v6, 0, 16
	s_delay_alu instid0(VALU_DEP_3) | instskip(NEXT) | instid1(VALU_DEP_1)
	v_or_b32_e32 v8, 0x70000000, v8
	v_dual_add_f32 v9, -0.5, v9 :: v_dual_mul_f32 v8, 0x7800000, v8
	v_cmp_gt_u32_e32 vcc_lo, 0x8000000, v7
	s_delay_alu instid0(VALU_DEP_2) | instskip(NEXT) | instid1(VALU_DEP_1)
	v_cndmask_b32_e32 v7, v8, v9, vcc_lo
	v_and_or_b32 v6, 0x80000000, v6, v7
	s_delay_alu instid0(VALU_DEP_1)
	v_cvt_f16_f32_e32 v6, v6
.LBB97_198:
	s_mov_b32 s22, 0
	s_mov_b32 s2, -1
.LBB97_199:
	s_and_not1_b32 vcc_lo, exec_lo, s22
	s_cbranch_vccnz .LBB97_212
; %bb.200:
	v_cmp_lt_i16_e32 vcc_lo, 14, v4
	s_cbranch_vccz .LBB97_203
; %bb.201:
	v_cmp_eq_u16_e32 vcc_lo, 15, v4
	s_cbranch_vccz .LBB97_206
; %bb.202:
	global_load_u16 v6, v[1:2], off
	s_mov_b32 s2, -1
	s_mov_b32 s3, 0
	s_waitcnt vmcnt(0)
	v_lshlrev_b32_e32 v6, 16, v6
	s_delay_alu instid0(VALU_DEP_1)
	v_cvt_f16_f32_e32 v6, v6
	s_branch .LBB97_207
.LBB97_203:
	s_mov_b32 s22, -1
                                        ; implicit-def: $vgpr6
	s_branch .LBB97_208
.LBB97_204:
	s_or_saveexec_b32 s23, s23
	v_mov_b32_e32 v6, s22
	s_xor_b32 exec_lo, exec_lo, s23
	s_cbranch_execz .LBB97_185
.LBB97_205:
	v_cmp_ne_u16_e32 vcc_lo, 0, v7
	v_mov_b32_e32 v6, v7
	s_and_not1_b32 s2, s2, exec_lo
	s_and_b32 s22, vcc_lo, exec_lo
	s_delay_alu instid0(SALU_CYCLE_1)
	s_or_b32 s2, s2, s22
	s_or_b32 exec_lo, exec_lo, s23
	s_and_saveexec_b32 s22, s2
	s_cbranch_execnz .LBB97_186
	s_branch .LBB97_187
.LBB97_206:
	s_mov_b32 s3, -1
                                        ; implicit-def: $vgpr6
.LBB97_207:
	s_mov_b32 s22, 0
.LBB97_208:
	s_delay_alu instid0(SALU_CYCLE_1)
	s_and_b32 vcc_lo, exec_lo, s22
	s_cbranch_vccz .LBB97_212
; %bb.209:
	v_cmp_eq_u16_e32 vcc_lo, 11, v4
	s_cbranch_vccz .LBB97_211
; %bb.210:
	global_load_u8 v6, v[1:2], off
	s_mov_b32 s3, 0
	s_mov_b32 s2, -1
	s_waitcnt vmcnt(0)
	v_cmp_ne_u16_e32 vcc_lo, 0, v6
	v_cndmask_b32_e64 v6, 0, 0x3c00, vcc_lo
	s_branch .LBB97_212
.LBB97_211:
	s_mov_b32 s3, -1
                                        ; implicit-def: $vgpr6
.LBB97_212:
	s_branch .LBB97_23
.LBB97_213:
	v_cmp_gt_i16_e32 vcc_lo, 5, v4
	s_cbranch_vccnz .LBB97_218
; %bb.214:
	v_cmp_gt_i16_e32 vcc_lo, 8, v4
	s_cbranch_vccnz .LBB97_219
; %bb.215:
	;; [unrolled: 3-line block ×3, first 2 shown]
	v_cmp_lt_i16_e32 vcc_lo, 9, v4
	s_cbranch_vccz .LBB97_221
; %bb.217:
	global_load_b64 v[6:7], v[1:2], off
	s_mov_b32 s2, 0
	s_waitcnt vmcnt(0)
	v_cvt_f32_f64_e32 v6, v[6:7]
	s_delay_alu instid0(VALU_DEP_1)
	v_cvt_f16_f32_e32 v6, v6
	s_branch .LBB97_222
.LBB97_218:
                                        ; implicit-def: $vgpr6
	s_branch .LBB97_240
.LBB97_219:
	s_mov_b32 s2, -1
                                        ; implicit-def: $vgpr6
	s_branch .LBB97_228
.LBB97_220:
	s_mov_b32 s2, -1
                                        ; implicit-def: $vgpr6
	s_branch .LBB97_225
.LBB97_221:
	s_mov_b32 s2, -1
                                        ; implicit-def: $vgpr6
.LBB97_222:
	s_delay_alu instid0(SALU_CYCLE_1)
	s_and_not1_b32 vcc_lo, exec_lo, s2
	s_cbranch_vccnz .LBB97_224
; %bb.223:
	global_load_b32 v6, v[1:2], off
	s_waitcnt vmcnt(0)
	v_cvt_f16_f32_e32 v6, v6
.LBB97_224:
	s_mov_b32 s2, 0
.LBB97_225:
	s_delay_alu instid0(SALU_CYCLE_1)
	s_and_not1_b32 vcc_lo, exec_lo, s2
	s_cbranch_vccnz .LBB97_227
; %bb.226:
	global_load_b32 v6, v[1:2], off
.LBB97_227:
	s_mov_b32 s2, 0
.LBB97_228:
	s_delay_alu instid0(SALU_CYCLE_1)
	s_and_not1_b32 vcc_lo, exec_lo, s2
	s_cbranch_vccnz .LBB97_239
; %bb.229:
	v_cmp_gt_i16_e32 vcc_lo, 6, v4
	s_cbranch_vccnz .LBB97_232
; %bb.230:
	v_cmp_lt_i16_e32 vcc_lo, 6, v4
	s_cbranch_vccz .LBB97_233
; %bb.231:
	global_load_b64 v[6:7], v[1:2], off
	s_mov_b32 s2, 0
	s_waitcnt vmcnt(0)
	v_cvt_f32_f64_e32 v6, v[6:7]
	s_delay_alu instid0(VALU_DEP_1)
	v_cvt_f16_f32_e32 v6, v6
	s_branch .LBB97_234
.LBB97_232:
	s_mov_b32 s2, -1
                                        ; implicit-def: $vgpr6
	s_branch .LBB97_237
.LBB97_233:
	s_mov_b32 s2, -1
                                        ; implicit-def: $vgpr6
.LBB97_234:
	s_delay_alu instid0(SALU_CYCLE_1)
	s_and_not1_b32 vcc_lo, exec_lo, s2
	s_cbranch_vccnz .LBB97_236
; %bb.235:
	global_load_b32 v6, v[1:2], off
	s_waitcnt vmcnt(0)
	v_cvt_f16_f32_e32 v6, v6
.LBB97_236:
	s_mov_b32 s2, 0
.LBB97_237:
	s_delay_alu instid0(SALU_CYCLE_1)
	s_and_not1_b32 vcc_lo, exec_lo, s2
	s_cbranch_vccnz .LBB97_239
; %bb.238:
	global_load_u16 v6, v[1:2], off
.LBB97_239:
	s_cbranch_execnz .LBB97_259
.LBB97_240:
	v_cmp_gt_i16_e32 vcc_lo, 2, v4
	s_cbranch_vccnz .LBB97_244
; %bb.241:
	v_cmp_gt_i16_e32 vcc_lo, 3, v4
	s_cbranch_vccnz .LBB97_245
; %bb.242:
	v_cmp_lt_i16_e32 vcc_lo, 3, v4
	s_cbranch_vccz .LBB97_246
; %bb.243:
	global_load_b64 v[6:7], v[1:2], off
	s_mov_b32 s2, 0
	s_waitcnt vmcnt(0)
	v_xor_b32_e32 v8, v6, v7
	v_cls_i32_e32 v9, v7
	s_delay_alu instid0(VALU_DEP_2) | instskip(NEXT) | instid1(VALU_DEP_2)
	v_ashrrev_i32_e32 v8, 31, v8
	v_add_nc_u32_e32 v9, -1, v9
	s_delay_alu instid0(VALU_DEP_2) | instskip(NEXT) | instid1(VALU_DEP_1)
	v_add_nc_u32_e32 v8, 32, v8
	v_min_u32_e32 v8, v9, v8
	s_delay_alu instid0(VALU_DEP_1) | instskip(NEXT) | instid1(VALU_DEP_1)
	v_lshlrev_b64 v[6:7], v8, v[6:7]
	v_min_u32_e32 v6, 1, v6
	s_delay_alu instid0(VALU_DEP_1) | instskip(SKIP_1) | instid1(VALU_DEP_2)
	v_or_b32_e32 v6, v7, v6
	v_sub_nc_u32_e32 v7, 32, v8
	v_cvt_f32_i32_e32 v6, v6
	s_delay_alu instid0(VALU_DEP_1) | instskip(NEXT) | instid1(VALU_DEP_1)
	v_ldexp_f32 v6, v6, v7
	v_cvt_f16_f32_e32 v6, v6
	s_branch .LBB97_247
.LBB97_244:
	s_mov_b32 s2, -1
                                        ; implicit-def: $vgpr6
	s_branch .LBB97_253
.LBB97_245:
	s_mov_b32 s2, -1
                                        ; implicit-def: $vgpr6
	s_branch .LBB97_250
.LBB97_246:
	s_mov_b32 s2, -1
                                        ; implicit-def: $vgpr6
.LBB97_247:
	s_delay_alu instid0(SALU_CYCLE_1)
	s_and_not1_b32 vcc_lo, exec_lo, s2
	s_cbranch_vccnz .LBB97_249
; %bb.248:
	global_load_b32 v6, v[1:2], off
	s_waitcnt vmcnt(0)
	v_cvt_f32_i32_e32 v6, v6
	s_delay_alu instid0(VALU_DEP_1)
	v_cvt_f16_f32_e32 v6, v6
.LBB97_249:
	s_mov_b32 s2, 0
.LBB97_250:
	s_delay_alu instid0(SALU_CYCLE_1)
	s_and_not1_b32 vcc_lo, exec_lo, s2
	s_cbranch_vccnz .LBB97_252
; %bb.251:
	global_load_u16 v6, v[1:2], off
	s_waitcnt vmcnt(0)
	v_cvt_f16_i16_e32 v6, v6
.LBB97_252:
	s_mov_b32 s2, 0
.LBB97_253:
	s_delay_alu instid0(SALU_CYCLE_1)
	s_and_not1_b32 vcc_lo, exec_lo, s2
	s_cbranch_vccnz .LBB97_259
; %bb.254:
	v_cmp_lt_i16_e32 vcc_lo, 0, v4
	s_mov_b32 s2, 0
	s_cbranch_vccz .LBB97_256
; %bb.255:
	global_load_i8 v6, v[1:2], off
	s_waitcnt vmcnt(0)
	v_cvt_f16_i16_e32 v6, v6
	s_branch .LBB97_257
.LBB97_256:
	s_mov_b32 s2, -1
                                        ; implicit-def: $vgpr6
.LBB97_257:
	s_delay_alu instid0(SALU_CYCLE_1)
	s_and_not1_b32 vcc_lo, exec_lo, s2
	s_cbranch_vccnz .LBB97_259
; %bb.258:
	global_load_u8 v1, v[1:2], off
	s_waitcnt vmcnt(0)
	v_cvt_f16_u16_e32 v6, v1
.LBB97_259:
	s_branch .LBB97_24
.LBB97_260:
	s_mov_b32 s22, 0
.LBB97_261:
	s_mov_b32 s2, 0
                                        ; implicit-def: $vgpr5
.LBB97_262:
	s_and_b32 s34, s22, exec_lo
	s_and_b32 s35, s3, exec_lo
	s_or_not1_b32 s3, s2, exec_lo
.LBB97_263:
	s_or_b32 exec_lo, exec_lo, s36
	s_mov_b32 s22, 0
	s_mov_b32 s2, 0
                                        ; implicit-def: $vgpr1_vgpr2
                                        ; implicit-def: $vgpr0
                                        ; implicit-def: $vgpr6
	s_and_saveexec_b32 s36, s3
	s_cbranch_execz .LBB97_906
; %bb.264:
	s_mov_b32 s2, -1
	s_mov_b32 s37, s35
	s_mov_b32 s38, s34
	s_mov_b32 s39, exec_lo
	v_cmpx_gt_i32_e64 s30, v5
	s_cbranch_execz .LBB97_533
; %bb.265:
	s_and_not1_b32 vcc_lo, exec_lo, s27
	s_cbranch_vccnz .LBB97_270
; %bb.266:
	v_dual_mov_b32 v0, 0 :: v_dual_mov_b32 v1, 0
	s_and_not1_b32 vcc_lo, exec_lo, s33
	s_mov_b32 s37, 0
	s_cbranch_vccnz .LBB97_275
; %bb.267:
	v_mov_b32_e32 v0, 0
	s_add_i32 s40, s31, 1
	s_cmp_eq_u32 s25, 2
	s_mov_b32 s38, 0
	s_cbranch_scc1 .LBB97_271
; %bb.268:
	v_dual_mov_b32 v1, 0 :: v_dual_mov_b32 v0, 0
	v_mov_b32_e32 v2, v5
	s_and_b32 s38, s40, 28
	s_mov_b32 s41, 0
	s_mov_b64 s[2:3], s[20:21]
	s_mov_b64 s[22:23], s[16:17]
.LBB97_269:                             ; =>This Inner Loop Header: Depth=1
	s_clause 0x1
	s_load_b256 s[44:51], s[22:23], 0x4
	s_load_b128 s[60:63], s[22:23], 0x24
	s_load_b256 s[52:59], s[2:3], 0x0
	s_add_u32 s22, s22, 48
	s_addc_u32 s23, s23, 0
	s_add_i32 s41, s41, 4
	s_add_u32 s2, s2, 32
	s_addc_u32 s3, s3, 0
	s_cmp_eq_u32 s38, s41
	s_waitcnt vmcnt(0) lgkmcnt(0)
	v_mul_hi_u32 v6, s45, v2
	s_delay_alu instid0(VALU_DEP_1) | instskip(NEXT) | instid1(VALU_DEP_1)
	v_add_nc_u32_e32 v6, v2, v6
	v_lshrrev_b32_e32 v6, s46, v6
	s_delay_alu instid0(VALU_DEP_1) | instskip(SKIP_1) | instid1(VALU_DEP_2)
	v_mul_hi_u32 v7, s48, v6
	v_mul_lo_u32 v9, v6, s44
	v_add_nc_u32_e32 v7, v6, v7
	s_delay_alu instid0(VALU_DEP_2) | instskip(NEXT) | instid1(VALU_DEP_2)
	v_sub_nc_u32_e32 v2, v2, v9
	v_lshrrev_b32_e32 v7, s49, v7
	s_delay_alu instid0(VALU_DEP_2) | instskip(SKIP_1) | instid1(VALU_DEP_3)
	v_mul_lo_u32 v9, v2, s52
	v_mul_lo_u32 v11, v2, s53
	v_mul_hi_u32 v8, s51, v7
	s_delay_alu instid0(VALU_DEP_1) | instskip(NEXT) | instid1(VALU_DEP_1)
	v_add_nc_u32_e32 v8, v7, v8
	v_lshrrev_b32_e32 v8, s60, v8
	s_delay_alu instid0(VALU_DEP_1) | instskip(SKIP_1) | instid1(VALU_DEP_2)
	v_mul_hi_u32 v10, s62, v8
	v_mul_lo_u32 v12, v8, s50
	v_add_nc_u32_e32 v2, v8, v10
	v_mul_lo_u32 v10, v7, s47
	s_delay_alu instid0(VALU_DEP_3) | instskip(NEXT) | instid1(VALU_DEP_3)
	v_sub_nc_u32_e32 v7, v7, v12
	v_lshrrev_b32_e32 v2, s63, v2
	s_delay_alu instid0(VALU_DEP_2) | instskip(SKIP_2) | instid1(VALU_DEP_4)
	v_mul_lo_u32 v12, v7, s56
	v_mul_lo_u32 v7, v7, s57
	v_sub_nc_u32_e32 v6, v6, v10
	v_mul_lo_u32 v13, v2, s61
	s_delay_alu instid0(VALU_DEP_2) | instskip(SKIP_1) | instid1(VALU_DEP_3)
	v_mul_lo_u32 v10, v6, s54
	v_mul_lo_u32 v6, v6, s55
	v_sub_nc_u32_e32 v8, v8, v13
	s_delay_alu instid0(VALU_DEP_3) | instskip(NEXT) | instid1(VALU_DEP_2)
	v_add3_u32 v0, v9, v0, v10
	v_mul_lo_u32 v13, v8, s58
	v_mul_lo_u32 v8, v8, s59
	v_add3_u32 v1, v11, v1, v6
	s_delay_alu instid0(VALU_DEP_3) | instskip(NEXT) | instid1(VALU_DEP_2)
	v_add3_u32 v0, v12, v0, v13
	v_add3_u32 v1, v7, v1, v8
	s_cbranch_scc0 .LBB97_269
	s_branch .LBB97_272
.LBB97_270:
	s_mov_b32 s37, -1
                                        ; implicit-def: $vgpr0
                                        ; implicit-def: $vgpr1
	s_branch .LBB97_275
.LBB97_271:
	v_dual_mov_b32 v2, v5 :: v_dual_mov_b32 v1, 0
.LBB97_272:
	s_and_b32 s40, s40, 3
	s_delay_alu instid0(SALU_CYCLE_1)
	s_cmp_eq_u32 s40, 0
	s_cbranch_scc1 .LBB97_275
; %bb.273:
	s_lshl_b32 s2, s38, 3
	s_mul_i32 s22, s38, 12
	s_add_u32 s2, s2, s16
	s_addc_u32 s3, s17, 0
	s_add_u32 s2, s2, 0xc4
	s_addc_u32 s3, s3, 0
	;; [unrolled: 2-line block ×3, first 2 shown]
	.p2align	6
.LBB97_274:                             ; =>This Inner Loop Header: Depth=1
	s_clause 0x1
	s_load_b64 s[42:43], s[22:23], 0x4
	s_load_b32 s38, s[22:23], 0xc
	s_load_b64 s[44:45], s[2:3], 0x0
	s_add_u32 s22, s22, 12
	s_addc_u32 s23, s23, 0
	s_add_u32 s2, s2, 8
	s_addc_u32 s3, s3, 0
	s_add_i32 s40, s40, -1
	s_delay_alu instid0(SALU_CYCLE_1) | instskip(SKIP_2) | instid1(VALU_DEP_1)
	s_cmp_lg_u32 s40, 0
	s_waitcnt vmcnt(0) lgkmcnt(0)
	v_mul_hi_u32 v6, s43, v2
	v_add_nc_u32_e32 v6, v2, v6
	s_delay_alu instid0(VALU_DEP_1) | instskip(NEXT) | instid1(VALU_DEP_1)
	v_lshrrev_b32_e32 v9, s38, v6
	v_mul_lo_u32 v6, v9, s42
	s_delay_alu instid0(VALU_DEP_1) | instskip(NEXT) | instid1(VALU_DEP_1)
	v_sub_nc_u32_e32 v2, v2, v6
	v_mad_u64_u32 v[6:7], null, v2, s44, v[0:1]
	v_mad_u64_u32 v[7:8], null, v2, s45, v[1:2]
	v_mov_b32_e32 v2, v9
	s_delay_alu instid0(VALU_DEP_2)
	v_dual_mov_b32 v0, v6 :: v_dual_mov_b32 v1, v7
	s_cbranch_scc1 .LBB97_274
.LBB97_275:
	s_and_not1_b32 vcc_lo, exec_lo, s37
	s_cbranch_vccnz .LBB97_278
; %bb.276:
	s_waitcnt lgkmcnt(0)
	v_mul_hi_u32 v0, s13, v5
	s_and_not1_b32 vcc_lo, exec_lo, s29
	s_delay_alu instid0(VALU_DEP_1) | instskip(NEXT) | instid1(VALU_DEP_1)
	v_add_nc_u32_e32 v0, v5, v0
	v_lshrrev_b32_e32 v2, s14, v0
	s_delay_alu instid0(VALU_DEP_1) | instskip(NEXT) | instid1(VALU_DEP_1)
	v_mul_lo_u32 v0, v2, s12
	v_sub_nc_u32_e32 v1, v5, v0
	s_delay_alu instid0(VALU_DEP_1)
	v_mul_lo_u32 v0, v1, s8
	v_mul_lo_u32 v1, v1, s9
	s_cbranch_vccnz .LBB97_278
; %bb.277:
	s_waitcnt vmcnt(0)
	v_mul_hi_u32 v6, s18, v2
	s_delay_alu instid0(VALU_DEP_1) | instskip(NEXT) | instid1(VALU_DEP_1)
	v_add_nc_u32_e32 v6, v2, v6
	v_lshrrev_b32_e32 v6, s19, v6
	s_delay_alu instid0(VALU_DEP_1) | instskip(NEXT) | instid1(VALU_DEP_1)
	v_mul_lo_u32 v6, v6, s15
	v_sub_nc_u32_e32 v2, v2, v6
	s_delay_alu instid0(VALU_DEP_1) | instskip(SKIP_1) | instid1(VALU_DEP_1)
	v_mad_u64_u32 v[6:7], null, v2, s10, v[0:1]
	v_mad_u64_u32 v[7:8], null, v2, s11, v[1:2]
	v_dual_mov_b32 v0, v6 :: v_dual_mov_b32 v1, v7
.LBB97_278:
	v_cmp_gt_i16_e32 vcc_lo, 11, v4
	s_waitcnt lgkmcnt(0)
	s_delay_alu instid0(VALU_DEP_2) | instskip(NEXT) | instid1(VALU_DEP_1)
	v_add_co_u32 v1, s2, s6, v1
	v_add_co_ci_u32_e64 v2, null, s7, 0, s2
	s_mov_b32 s2, 0
	s_cbranch_vccnz .LBB97_285
; %bb.279:
	v_cmp_lt_i16_e32 vcc_lo, 25, v4
	s_cbranch_vccz .LBB97_334
; %bb.280:
	v_cmp_lt_i16_e32 vcc_lo, 28, v4
	s_cbranch_vccz .LBB97_335
	;; [unrolled: 3-line block ×4, first 2 shown]
; %bb.283:
	v_cmp_eq_u16_e32 vcc_lo, 46, v4
	s_mov_b32 s22, 0
	s_cbranch_vccz .LBB97_343
; %bb.284:
	global_load_b32 v6, v[1:2], off
	s_mov_b32 s2, -1
	s_mov_b32 s3, 0
	s_waitcnt vmcnt(0)
	v_lshlrev_b32_e32 v6, 16, v6
	s_delay_alu instid0(VALU_DEP_1)
	v_cvt_f16_f32_e32 v6, v6
	s_branch .LBB97_345
.LBB97_285:
	s_mov_b32 s3, s35
                                        ; implicit-def: $vgpr6
	s_cbranch_execnz .LBB97_482
.LBB97_286:
	s_and_not1_b32 vcc_lo, exec_lo, s2
	s_cbranch_vccnz .LBB97_530
.LBB97_287:
	s_waitcnt vmcnt(0)
	s_delay_alu instid0(VALU_DEP_1) | instskip(SKIP_3) | instid1(VALU_DEP_1)
	v_cvt_f32_f16_e32 v1, v6
	s_mov_b32 s2, 0x3fb8aa3b
	s_mov_b32 s22, 0
	s_mov_b32 s23, -1
	v_mul_f32_e32 v2, 0x3fb8aa3b, v1
	v_cmp_ngt_f32_e32 vcc_lo, 0xc2ce8ed0, v1
	s_delay_alu instid0(VALU_DEP_2) | instskip(SKIP_2) | instid1(VALU_DEP_2)
	v_rndne_f32_e32 v7, v2
	v_fma_mix_f32 v8, v6, s2, -v2 op_sel_hi:[1,0,0]
	s_mov_b32 s2, 0x32a5705f
	v_sub_f32_e32 v2, v2, v7
	s_delay_alu instid0(VALU_DEP_2) | instskip(SKIP_1) | instid1(VALU_DEP_2)
	v_fma_mix_f32 v6, v6, s2, v8 op_sel_hi:[1,0,0]
	v_cmp_nlt_f32_e64 s2, 0x42b17218, v1
	v_add_f32_e32 v2, v2, v6
	v_cvt_i32_f32_e32 v6, v7
	s_delay_alu instid0(VALU_DEP_2) | instskip(SKIP_3) | instid1(VALU_DEP_2)
	v_exp_f32_e32 v2, v2
	s_waitcnt_depctr 0xfff
	v_ldexp_f32 v2, v2, v6
	v_and_b32_e32 v6, 0xff, v3
	v_cndmask_b32_e32 v2, 0, v2, vcc_lo
	s_delay_alu instid0(VALU_DEP_2) | instskip(NEXT) | instid1(VALU_DEP_2)
	v_cmp_gt_i16_e32 vcc_lo, 11, v6
	v_cndmask_b32_e64 v2, 0x7f800000, v2, s2
	v_add_co_u32 v0, s2, s4, v0
	s_delay_alu instid0(VALU_DEP_1) | instskip(NEXT) | instid1(VALU_DEP_3)
	v_add_co_ci_u32_e64 v1, null, s5, 0, s2
	v_cvt_f16_f32_e32 v2, v2
	s_mov_b32 s2, s34
	s_cbranch_vccnz .LBB97_294
; %bb.288:
	v_cmp_lt_i16_e32 vcc_lo, 25, v6
	s_cbranch_vccz .LBB97_336
; %bb.289:
	v_cmp_lt_i16_e32 vcc_lo, 28, v6
	s_cbranch_vccz .LBB97_338
	;; [unrolled: 3-line block ×4, first 2 shown]
; %bb.292:
	v_cmp_eq_u16_e32 vcc_lo, 46, v6
	s_mov_b32 s23, 0
	s_mov_b32 s2, -1
	s_cbranch_vccz .LBB97_349
; %bb.293:
	v_cvt_f32_f16_e32 v7, v2
	v_cmp_o_f16_e32 vcc_lo, v2, v2
	s_mov_b32 s22, -1
	s_mov_b32 s2, 0
	s_delay_alu instid0(VALU_DEP_2) | instskip(NEXT) | instid1(VALU_DEP_1)
	v_bfe_u32 v8, v7, 16, 1
	v_add3_u32 v7, v7, v8, 0x7fff
	s_delay_alu instid0(VALU_DEP_1) | instskip(NEXT) | instid1(VALU_DEP_1)
	v_lshrrev_b32_e32 v7, 16, v7
	v_cndmask_b32_e32 v7, 0x7fc0, v7, vcc_lo
	global_store_b32 v[0:1], v7, off
	s_branch .LBB97_349
.LBB97_294:
	s_and_b32 vcc_lo, exec_lo, s23
	s_cbranch_vccz .LBB97_418
; %bb.295:
	v_cmp_gt_i16_e32 vcc_lo, 5, v6
	s_mov_b32 s22, -1
	s_cbranch_vccnz .LBB97_316
; %bb.296:
	v_cmp_gt_i16_e32 vcc_lo, 8, v6
	s_cbranch_vccnz .LBB97_306
; %bb.297:
	v_cmp_gt_i16_e32 vcc_lo, 9, v6
	s_cbranch_vccnz .LBB97_303
; %bb.298:
	v_cmp_lt_i16_e32 vcc_lo, 9, v6
	s_cbranch_vccz .LBB97_300
; %bb.299:
	v_cvt_f32_f16_e32 v7, v2
	v_mov_b32_e32 v9, 0
	s_mov_b32 s22, 0
	s_delay_alu instid0(VALU_DEP_2) | instskip(NEXT) | instid1(VALU_DEP_2)
	v_cvt_f64_f32_e32 v[7:8], v7
	v_mov_b32_e32 v10, v9
	global_store_b128 v[0:1], v[7:10], off
.LBB97_300:
	s_and_not1_b32 vcc_lo, exec_lo, s22
	s_cbranch_vccnz .LBB97_302
; %bb.301:
	v_cvt_f32_f16_e32 v7, v2
	v_mov_b32_e32 v8, 0
	global_store_b64 v[0:1], v[7:8], off
.LBB97_302:
	s_mov_b32 s22, 0
.LBB97_303:
	s_delay_alu instid0(SALU_CYCLE_1)
	s_and_not1_b32 vcc_lo, exec_lo, s22
	s_cbranch_vccnz .LBB97_305
; %bb.304:
	v_and_b32_e32 v7, 0xffff, v2
	global_store_b32 v[0:1], v7, off
.LBB97_305:
	s_mov_b32 s22, 0
.LBB97_306:
	s_delay_alu instid0(SALU_CYCLE_1)
	s_and_not1_b32 vcc_lo, exec_lo, s22
	s_cbranch_vccnz .LBB97_315
; %bb.307:
	v_cmp_gt_i16_e32 vcc_lo, 6, v6
	s_mov_b32 s22, -1
	s_cbranch_vccnz .LBB97_313
; %bb.308:
	v_cmp_lt_i16_e32 vcc_lo, 6, v6
	s_cbranch_vccz .LBB97_310
; %bb.309:
	v_cvt_f32_f16_e32 v7, v2
	s_mov_b32 s22, 0
	s_delay_alu instid0(VALU_DEP_1)
	v_cvt_f64_f32_e32 v[7:8], v7
	global_store_b64 v[0:1], v[7:8], off
.LBB97_310:
	s_and_not1_b32 vcc_lo, exec_lo, s22
	s_cbranch_vccnz .LBB97_312
; %bb.311:
	v_cvt_f32_f16_e32 v7, v2
	global_store_b32 v[0:1], v7, off
.LBB97_312:
	s_mov_b32 s22, 0
.LBB97_313:
	s_delay_alu instid0(SALU_CYCLE_1)
	s_and_not1_b32 vcc_lo, exec_lo, s22
	s_cbranch_vccnz .LBB97_315
; %bb.314:
	global_store_b16 v[0:1], v2, off
.LBB97_315:
	s_mov_b32 s22, 0
.LBB97_316:
	s_delay_alu instid0(SALU_CYCLE_1)
	s_and_not1_b32 vcc_lo, exec_lo, s22
	s_cbranch_vccnz .LBB97_332
; %bb.317:
	v_cmp_gt_i16_e32 vcc_lo, 2, v6
	s_mov_b32 s22, -1
	s_cbranch_vccnz .LBB97_327
; %bb.318:
	v_cmp_gt_i16_e32 vcc_lo, 3, v6
	s_cbranch_vccnz .LBB97_324
; %bb.319:
	v_cmp_lt_i16_e32 vcc_lo, 3, v6
	s_cbranch_vccz .LBB97_321
; %bb.320:
	v_cvt_f32_f16_e32 v7, v2
	s_mov_b32 s22, 0
	s_delay_alu instid0(VALU_DEP_1) | instskip(NEXT) | instid1(VALU_DEP_1)
	v_cvt_i32_f32_e32 v7, v7
	v_ashrrev_i32_e32 v8, 31, v7
	global_store_b64 v[0:1], v[7:8], off
.LBB97_321:
	s_and_not1_b32 vcc_lo, exec_lo, s22
	s_cbranch_vccnz .LBB97_323
; %bb.322:
	v_cvt_f32_f16_e32 v7, v2
	s_delay_alu instid0(VALU_DEP_1)
	v_cvt_i32_f32_e32 v7, v7
	global_store_b32 v[0:1], v7, off
.LBB97_323:
	s_mov_b32 s22, 0
.LBB97_324:
	s_delay_alu instid0(SALU_CYCLE_1)
	s_and_not1_b32 vcc_lo, exec_lo, s22
	s_cbranch_vccnz .LBB97_326
; %bb.325:
	v_cvt_i16_f16_e32 v7, v2
	global_store_b16 v[0:1], v7, off
.LBB97_326:
	s_mov_b32 s22, 0
.LBB97_327:
	s_delay_alu instid0(SALU_CYCLE_1)
	s_and_not1_b32 vcc_lo, exec_lo, s22
	s_cbranch_vccnz .LBB97_332
; %bb.328:
	v_cmp_lt_i16_e32 vcc_lo, 0, v6
	s_mov_b32 s22, -1
	s_cbranch_vccz .LBB97_330
; %bb.329:
	v_cvt_i16_f16_e32 v6, v2
	s_mov_b32 s22, 0
	global_store_b8 v[0:1], v6, off
.LBB97_330:
	s_and_not1_b32 vcc_lo, exec_lo, s22
	s_cbranch_vccnz .LBB97_332
; %bb.331:
	v_cvt_f32_f16_e32 v2, v2
	s_delay_alu instid0(VALU_DEP_1)
	v_cvt_i32_f32_e32 v2, v2
	global_store_b8 v[0:1], v2, off
.LBB97_332:
	s_branch .LBB97_419
.LBB97_333:
	s_mov_b32 s22, 0
	s_branch .LBB97_531
.LBB97_334:
	s_mov_b32 s22, -1
	s_mov_b32 s3, s35
                                        ; implicit-def: $vgpr6
	s_branch .LBB97_446
.LBB97_335:
	s_mov_b32 s22, -1
	s_mov_b32 s3, s35
                                        ; implicit-def: $vgpr6
	s_branch .LBB97_427
.LBB97_336:
	s_mov_b32 s2, s34
	s_branch .LBB97_376
.LBB97_337:
	s_mov_b32 s22, -1
	s_mov_b32 s3, s35
                                        ; implicit-def: $vgpr6
	s_branch .LBB97_422
.LBB97_338:
	s_mov_b32 s2, s34
	s_branch .LBB97_359
.LBB97_339:
	s_mov_b32 s22, -1
	s_mov_b32 s3, s35
	s_branch .LBB97_344
.LBB97_340:
	s_mov_b32 s2, s34
	s_branch .LBB97_355
.LBB97_341:
	s_or_saveexec_b32 s34, s34
                                        ; implicit-def: $sgpr35
	s_delay_alu instid0(SALU_CYCLE_1)
	s_xor_b32 exec_lo, exec_lo, s34
	s_cbranch_execz .LBB97_65
.LBB97_342:
	v_add_f32_e64 v8, 0x42800000, |v7|
	s_and_not1_b32 s23, s23, exec_lo
	s_mov_b32 s35, 0
	s_delay_alu instid0(VALU_DEP_1) | instskip(NEXT) | instid1(VALU_DEP_1)
	v_and_b32_e32 v8, 0xff, v8
	v_cmp_ne_u32_e32 vcc_lo, 0, v8
	s_and_b32 s38, vcc_lo, exec_lo
	s_delay_alu instid0(SALU_CYCLE_1)
	s_or_b32 s23, s23, s38
	s_or_b32 exec_lo, exec_lo, s34
	v_mov_b32_e32 v9, s35
	s_and_saveexec_b32 s34, s23
	s_cbranch_execnz .LBB97_66
	s_branch .LBB97_67
.LBB97_343:
	s_mov_b32 s3, -1
.LBB97_344:
                                        ; implicit-def: $vgpr6
.LBB97_345:
	s_and_b32 vcc_lo, exec_lo, s22
	s_cbranch_vccz .LBB97_421
; %bb.346:
	v_cmp_eq_u16_e32 vcc_lo, 44, v4
	s_cbranch_vccz .LBB97_420
; %bb.347:
	global_load_u8 v6, v[1:2], off
	s_mov_b32 s3, 0
	s_mov_b32 s2, -1
	s_waitcnt vmcnt(0)
	v_lshlrev_b32_e32 v7, 23, v6
	v_cmp_ne_u32_e32 vcc_lo, 0xff, v6
	s_delay_alu instid0(VALU_DEP_2) | instskip(NEXT) | instid1(VALU_DEP_1)
	v_cvt_f16_f32_e32 v7, v7
	v_cndmask_b32_e32 v7, 0x7e00, v7, vcc_lo
	v_cmp_ne_u32_e32 vcc_lo, 0, v6
	s_delay_alu instid0(VALU_DEP_2)
	v_cndmask_b32_e32 v6, 0, v7, vcc_lo
	s_branch .LBB97_421
.LBB97_348:
	s_mov_b32 s2, s34
.LBB97_349:
	s_and_b32 vcc_lo, exec_lo, s23
	s_cbranch_vccz .LBB97_354
; %bb.350:
	v_cmp_eq_u16_e32 vcc_lo, 44, v6
	s_mov_b32 s2, -1
	s_cbranch_vccz .LBB97_354
; %bb.351:
	v_cvt_f32_f16_e32 v7, v2
	v_mov_b32_e32 v8, 0xff
	s_mov_b32 s22, exec_lo
	s_delay_alu instid0(VALU_DEP_2) | instskip(NEXT) | instid1(VALU_DEP_1)
	v_bfe_u32 v9, v7, 23, 8
	v_cmpx_ne_u32_e32 0xff, v9
; %bb.352:
	v_and_b32_e32 v8, 0x400000, v7
	v_and_or_b32 v9, 0x3fffff, v7, v9
	v_lshrrev_b32_e32 v7, 23, v7
	s_delay_alu instid0(VALU_DEP_3) | instskip(NEXT) | instid1(VALU_DEP_3)
	v_cmp_ne_u32_e32 vcc_lo, 0, v8
	v_cmp_ne_u32_e64 s2, 0, v9
	s_delay_alu instid0(VALU_DEP_1) | instskip(NEXT) | instid1(SALU_CYCLE_1)
	s_and_b32 s2, vcc_lo, s2
	v_cndmask_b32_e64 v8, 0, 1, s2
	s_delay_alu instid0(VALU_DEP_1)
	v_add_nc_u32_e32 v8, v7, v8
; %bb.353:
	s_or_b32 exec_lo, exec_lo, s22
	s_mov_b32 s22, -1
	s_mov_b32 s2, 0
	global_store_b8 v[0:1], v8, off
.LBB97_354:
	s_mov_b32 s23, 0
.LBB97_355:
	s_delay_alu instid0(SALU_CYCLE_1)
	s_and_b32 vcc_lo, exec_lo, s23
	s_cbranch_vccz .LBB97_358
; %bb.356:
	v_cmp_eq_u16_e32 vcc_lo, 29, v6
	s_mov_b32 s2, -1
	s_cbranch_vccz .LBB97_358
; %bb.357:
	v_cvt_f32_f16_e32 v7, v2
	v_mov_b32_e32 v8, 0
	s_mov_b32 s2, 0
	s_mov_b32 s22, -1
	s_mov_b32 s23, 0
	v_cvt_u32_f32_e32 v7, v7
	global_store_b64 v[0:1], v[7:8], off
	s_branch .LBB97_359
.LBB97_358:
	s_mov_b32 s23, 0
.LBB97_359:
	s_delay_alu instid0(SALU_CYCLE_1)
	s_and_b32 vcc_lo, exec_lo, s23
	s_cbranch_vccz .LBB97_375
; %bb.360:
	v_cmp_gt_i16_e32 vcc_lo, 27, v6
	s_mov_b32 s22, -1
	s_cbranch_vccnz .LBB97_366
; %bb.361:
	v_cmp_lt_i16_e32 vcc_lo, 27, v6
	s_cbranch_vccz .LBB97_363
; %bb.362:
	v_cvt_f32_f16_e32 v7, v2
	s_mov_b32 s22, 0
	s_delay_alu instid0(VALU_DEP_1)
	v_cvt_u32_f32_e32 v7, v7
	global_store_b32 v[0:1], v7, off
.LBB97_363:
	s_and_not1_b32 vcc_lo, exec_lo, s22
	s_cbranch_vccnz .LBB97_365
; %bb.364:
	v_cvt_u16_f16_e32 v7, v2
	global_store_b16 v[0:1], v7, off
.LBB97_365:
	s_mov_b32 s22, 0
.LBB97_366:
	s_delay_alu instid0(SALU_CYCLE_1)
	s_and_not1_b32 vcc_lo, exec_lo, s22
	s_cbranch_vccnz .LBB97_374
; %bb.367:
	v_cvt_f32_f16_e32 v7, v2
	v_mov_b32_e32 v9, 0x80
	s_mov_b32 s22, exec_lo
	s_delay_alu instid0(VALU_DEP_2) | instskip(NEXT) | instid1(VALU_DEP_1)
	v_and_b32_e32 v8, 0x7fffffff, v7
	v_cmpx_gt_u32_e32 0x43800000, v8
	s_cbranch_execz .LBB97_373
; %bb.368:
	v_cmp_lt_u32_e32 vcc_lo, 0x3bffffff, v8
	s_mov_b32 s23, 0
                                        ; implicit-def: $vgpr8
	s_and_saveexec_b32 s37, vcc_lo
	s_delay_alu instid0(SALU_CYCLE_1)
	s_xor_b32 s37, exec_lo, s37
	s_cbranch_execz .LBB97_559
; %bb.369:
	v_bfe_u32 v8, v7, 20, 1
	s_mov_b32 s23, exec_lo
	s_delay_alu instid0(VALU_DEP_1) | instskip(NEXT) | instid1(VALU_DEP_1)
	v_add3_u32 v8, v7, v8, 0x487ffff
	v_lshrrev_b32_e32 v8, 20, v8
	s_or_saveexec_b32 s37, s37
                                        ; implicit-def: $sgpr38
	s_delay_alu instid0(SALU_CYCLE_1)
	s_xor_b32 exec_lo, exec_lo, s37
	s_cbranch_execnz .LBB97_560
.LBB97_370:
	s_or_b32 exec_lo, exec_lo, s37
	v_mov_b32_e32 v9, s38
	s_and_saveexec_b32 s37, s23
.LBB97_371:
	v_lshrrev_b32_e32 v7, 24, v7
	s_delay_alu instid0(VALU_DEP_1)
	v_and_or_b32 v9, 0x80, v7, v8
.LBB97_372:
	s_or_b32 exec_lo, exec_lo, s37
.LBB97_373:
	s_delay_alu instid0(SALU_CYCLE_1)
	s_or_b32 exec_lo, exec_lo, s22
	global_store_b8 v[0:1], v9, off
.LBB97_374:
	s_mov_b32 s22, -1
.LBB97_375:
	s_mov_b32 s23, 0
.LBB97_376:
	s_delay_alu instid0(SALU_CYCLE_1)
	s_and_b32 vcc_lo, exec_lo, s23
	s_cbranch_vccz .LBB97_417
; %bb.377:
	v_cmp_lt_i16_e32 vcc_lo, 22, v6
	s_mov_b32 s23, -1
	s_cbranch_vccz .LBB97_409
; %bb.378:
	v_cmp_gt_i16_e32 vcc_lo, 24, v6
	s_mov_b32 s22, -1
	s_cbranch_vccnz .LBB97_398
; %bb.379:
	v_cmp_lt_i16_e32 vcc_lo, 24, v6
	s_cbranch_vccz .LBB97_387
; %bb.380:
	v_cvt_f32_f16_e32 v7, v2
	v_mov_b32_e32 v9, 0x80
	s_mov_b32 s22, exec_lo
	s_delay_alu instid0(VALU_DEP_2) | instskip(NEXT) | instid1(VALU_DEP_1)
	v_and_b32_e32 v8, 0x7fffffff, v7
	v_cmpx_gt_u32_e32 0x47800000, v8
	s_cbranch_execz .LBB97_386
; %bb.381:
	v_cmp_lt_u32_e32 vcc_lo, 0x37ffffff, v8
	s_mov_b32 s23, 0
                                        ; implicit-def: $vgpr8
	s_and_saveexec_b32 s37, vcc_lo
	s_delay_alu instid0(SALU_CYCLE_1)
	s_xor_b32 s37, exec_lo, s37
	s_cbranch_execz .LBB97_562
; %bb.382:
	v_bfe_u32 v8, v7, 21, 1
	s_mov_b32 s23, exec_lo
	s_delay_alu instid0(VALU_DEP_1) | instskip(NEXT) | instid1(VALU_DEP_1)
	v_add3_u32 v8, v7, v8, 0x88fffff
	v_lshrrev_b32_e32 v8, 21, v8
	s_or_saveexec_b32 s37, s37
                                        ; implicit-def: $sgpr38
	s_delay_alu instid0(SALU_CYCLE_1)
	s_xor_b32 exec_lo, exec_lo, s37
	s_cbranch_execnz .LBB97_563
.LBB97_383:
	s_or_b32 exec_lo, exec_lo, s37
	v_mov_b32_e32 v9, s38
	s_and_saveexec_b32 s37, s23
.LBB97_384:
	v_lshrrev_b32_e32 v7, 24, v7
	s_delay_alu instid0(VALU_DEP_1)
	v_and_or_b32 v9, 0x80, v7, v8
.LBB97_385:
	s_or_b32 exec_lo, exec_lo, s37
.LBB97_386:
	s_delay_alu instid0(SALU_CYCLE_1)
	s_or_b32 exec_lo, exec_lo, s22
	s_mov_b32 s22, 0
	global_store_b8 v[0:1], v9, off
.LBB97_387:
	s_and_b32 vcc_lo, exec_lo, s22
	s_cbranch_vccz .LBB97_397
; %bb.388:
	v_cvt_f32_f16_e32 v7, v2
	s_mov_b32 s22, exec_lo
                                        ; implicit-def: $vgpr8
	s_delay_alu instid0(VALU_DEP_1) | instskip(NEXT) | instid1(VALU_DEP_1)
	v_and_b32_e32 v9, 0x7fffffff, v7
	v_cmpx_gt_u32_e32 0x43f00000, v9
	s_xor_b32 s22, exec_lo, s22
	s_cbranch_execz .LBB97_394
; %bb.389:
	s_mov_b32 s23, exec_lo
                                        ; implicit-def: $vgpr8
	v_cmpx_lt_u32_e32 0x3c7fffff, v9
	s_xor_b32 s23, exec_lo, s23
; %bb.390:
	v_bfe_u32 v8, v7, 20, 1
	s_delay_alu instid0(VALU_DEP_1) | instskip(NEXT) | instid1(VALU_DEP_1)
	v_add3_u32 v8, v7, v8, 0x407ffff
	v_and_b32_e32 v9, 0xff00000, v8
	v_lshrrev_b32_e32 v8, 20, v8
	s_delay_alu instid0(VALU_DEP_2) | instskip(NEXT) | instid1(VALU_DEP_2)
	v_cmp_ne_u32_e32 vcc_lo, 0x7f00000, v9
	v_cndmask_b32_e32 v8, 0x7e, v8, vcc_lo
; %bb.391:
	s_and_not1_saveexec_b32 s23, s23
; %bb.392:
	v_add_f32_e64 v8, 0x46800000, |v7|
; %bb.393:
	s_or_b32 exec_lo, exec_lo, s23
                                        ; implicit-def: $vgpr9
.LBB97_394:
	s_and_not1_saveexec_b32 s22, s22
; %bb.395:
	v_mov_b32_e32 v8, 0x7f
	v_cmp_lt_u32_e32 vcc_lo, 0x7f800000, v9
	s_delay_alu instid0(VALU_DEP_2)
	v_cndmask_b32_e32 v8, 0x7e, v8, vcc_lo
; %bb.396:
	s_or_b32 exec_lo, exec_lo, s22
	v_lshrrev_b32_e32 v7, 24, v7
	s_delay_alu instid0(VALU_DEP_1)
	v_and_or_b32 v7, 0x80, v7, v8
	global_store_b8 v[0:1], v7, off
.LBB97_397:
	s_mov_b32 s22, 0
.LBB97_398:
	s_delay_alu instid0(SALU_CYCLE_1)
	s_and_not1_b32 vcc_lo, exec_lo, s22
	s_cbranch_vccnz .LBB97_408
; %bb.399:
	v_cvt_f32_f16_e32 v7, v2
	s_mov_b32 s22, exec_lo
                                        ; implicit-def: $vgpr8
	s_delay_alu instid0(VALU_DEP_1) | instskip(NEXT) | instid1(VALU_DEP_1)
	v_and_b32_e32 v9, 0x7fffffff, v7
	v_cmpx_gt_u32_e32 0x47800000, v9
	s_xor_b32 s22, exec_lo, s22
	s_cbranch_execz .LBB97_405
; %bb.400:
	s_mov_b32 s23, exec_lo
                                        ; implicit-def: $vgpr8
	v_cmpx_lt_u32_e32 0x387fffff, v9
	s_xor_b32 s23, exec_lo, s23
; %bb.401:
	v_bfe_u32 v8, v7, 21, 1
	s_delay_alu instid0(VALU_DEP_1) | instskip(NEXT) | instid1(VALU_DEP_1)
	v_add3_u32 v8, v7, v8, 0x80fffff
	v_lshrrev_b32_e32 v8, 21, v8
; %bb.402:
	s_and_not1_saveexec_b32 s23, s23
; %bb.403:
	v_add_f32_e64 v8, 0x43000000, |v7|
; %bb.404:
	s_or_b32 exec_lo, exec_lo, s23
                                        ; implicit-def: $vgpr9
.LBB97_405:
	s_and_not1_saveexec_b32 s22, s22
; %bb.406:
	v_mov_b32_e32 v8, 0x7f
	v_cmp_lt_u32_e32 vcc_lo, 0x7f800000, v9
	s_delay_alu instid0(VALU_DEP_2)
	v_cndmask_b32_e32 v8, 0x7c, v8, vcc_lo
; %bb.407:
	s_or_b32 exec_lo, exec_lo, s22
	v_lshrrev_b32_e32 v7, 24, v7
	s_delay_alu instid0(VALU_DEP_1)
	v_and_or_b32 v7, 0x80, v7, v8
	global_store_b8 v[0:1], v7, off
.LBB97_408:
	s_mov_b32 s23, 0
	s_mov_b32 s22, -1
.LBB97_409:
	s_and_not1_b32 vcc_lo, exec_lo, s23
	s_cbranch_vccnz .LBB97_417
; %bb.410:
	v_cmp_lt_i16_e32 vcc_lo, 14, v6
	s_mov_b32 s23, -1
	s_cbranch_vccz .LBB97_414
; %bb.411:
	v_cmp_eq_u16_e32 vcc_lo, 15, v6
	s_mov_b32 s2, -1
	s_cbranch_vccz .LBB97_413
; %bb.412:
	v_cvt_f32_f16_e32 v7, v2
	v_cmp_o_f16_e32 vcc_lo, v2, v2
	s_mov_b32 s22, -1
	s_mov_b32 s2, 0
	s_delay_alu instid0(VALU_DEP_2) | instskip(NEXT) | instid1(VALU_DEP_1)
	v_bfe_u32 v8, v7, 16, 1
	v_add3_u32 v7, v7, v8, 0x7fff
	s_delay_alu instid0(VALU_DEP_1) | instskip(NEXT) | instid1(VALU_DEP_1)
	v_lshrrev_b32_e32 v7, 16, v7
	v_cndmask_b32_e32 v7, 0x7fc0, v7, vcc_lo
	global_store_b16 v[0:1], v7, off
.LBB97_413:
	s_mov_b32 s23, 0
.LBB97_414:
	s_delay_alu instid0(SALU_CYCLE_1)
	s_and_b32 vcc_lo, exec_lo, s23
	s_cbranch_vccz .LBB97_417
; %bb.415:
	v_cmp_eq_u16_e32 vcc_lo, 11, v6
	s_mov_b32 s2, -1
	s_cbranch_vccz .LBB97_417
; %bb.416:
	v_cmp_neq_f16_e32 vcc_lo, 0, v2
	s_mov_b32 s2, 0
	s_mov_b32 s22, -1
	v_cndmask_b32_e64 v7, 0, 1, vcc_lo
	global_store_b8 v[0:1], v7, off
.LBB97_417:
.LBB97_418:
	s_and_not1_b32 vcc_lo, exec_lo, s22
	s_cbranch_vccnz .LBB97_333
.LBB97_419:
	v_add_nc_u32_e32 v5, 0x80, v5
	s_mov_b32 s22, -1
	s_branch .LBB97_532
.LBB97_420:
	s_mov_b32 s3, -1
                                        ; implicit-def: $vgpr6
.LBB97_421:
	s_mov_b32 s22, 0
.LBB97_422:
	s_delay_alu instid0(SALU_CYCLE_1)
	s_and_b32 vcc_lo, exec_lo, s22
	s_cbranch_vccz .LBB97_426
; %bb.423:
	v_cmp_eq_u16_e32 vcc_lo, 29, v4
	s_cbranch_vccz .LBB97_425
; %bb.424:
	global_load_b64 v[6:7], v[1:2], off
	s_mov_b32 s2, -1
	s_mov_b32 s3, 0
	s_mov_b32 s22, 0
	s_waitcnt vmcnt(0)
	v_clz_i32_u32_e32 v8, v7
	s_delay_alu instid0(VALU_DEP_1) | instskip(NEXT) | instid1(VALU_DEP_1)
	v_min_u32_e32 v8, 32, v8
	v_lshlrev_b64 v[6:7], v8, v[6:7]
	s_delay_alu instid0(VALU_DEP_1) | instskip(NEXT) | instid1(VALU_DEP_1)
	v_min_u32_e32 v6, 1, v6
	v_or_b32_e32 v6, v7, v6
	v_sub_nc_u32_e32 v7, 32, v8
	s_delay_alu instid0(VALU_DEP_2) | instskip(NEXT) | instid1(VALU_DEP_1)
	v_cvt_f32_u32_e32 v6, v6
	v_ldexp_f32 v6, v6, v7
	s_delay_alu instid0(VALU_DEP_1)
	v_cvt_f16_f32_e32 v6, v6
	s_branch .LBB97_427
.LBB97_425:
	s_mov_b32 s3, -1
                                        ; implicit-def: $vgpr6
.LBB97_426:
	s_mov_b32 s22, 0
.LBB97_427:
	s_delay_alu instid0(SALU_CYCLE_1)
	s_and_b32 vcc_lo, exec_lo, s22
	s_cbranch_vccz .LBB97_445
; %bb.428:
	v_cmp_gt_i16_e32 vcc_lo, 27, v4
	s_cbranch_vccnz .LBB97_431
; %bb.429:
	v_cmp_lt_i16_e32 vcc_lo, 27, v4
	s_cbranch_vccz .LBB97_432
; %bb.430:
	global_load_b32 v6, v[1:2], off
	s_mov_b32 s2, 0
	s_waitcnt vmcnt(0)
	v_cvt_f32_u32_e32 v6, v6
	s_delay_alu instid0(VALU_DEP_1)
	v_cvt_f16_f32_e32 v6, v6
	s_branch .LBB97_433
.LBB97_431:
	s_mov_b32 s2, -1
                                        ; implicit-def: $vgpr6
	s_branch .LBB97_436
.LBB97_432:
	s_mov_b32 s2, -1
                                        ; implicit-def: $vgpr6
.LBB97_433:
	s_delay_alu instid0(SALU_CYCLE_1)
	s_and_not1_b32 vcc_lo, exec_lo, s2
	s_cbranch_vccnz .LBB97_435
; %bb.434:
	global_load_u16 v6, v[1:2], off
	s_waitcnt vmcnt(0)
	v_cvt_f16_u16_e32 v6, v6
.LBB97_435:
	s_mov_b32 s2, 0
.LBB97_436:
	s_delay_alu instid0(SALU_CYCLE_1)
	s_and_not1_b32 vcc_lo, exec_lo, s2
	s_cbranch_vccnz .LBB97_444
; %bb.437:
	global_load_u8 v7, v[1:2], off
	s_mov_b32 s2, 0
	s_mov_b32 s23, exec_lo
                                        ; implicit-def: $sgpr22
	s_waitcnt vmcnt(0)
	v_cmpx_lt_i16_e32 0x7f, v7
	s_xor_b32 s23, exec_lo, s23
	s_cbranch_execz .LBB97_458
; %bb.438:
	s_mov_b32 s2, -1
	s_mov_b32 s37, exec_lo
                                        ; implicit-def: $sgpr22
	v_cmpx_eq_u16_e32 0x80, v7
; %bb.439:
	s_movk_i32 s22, 0x7e00
	s_xor_b32 s2, exec_lo, -1
; %bb.440:
	s_or_b32 exec_lo, exec_lo, s37
	s_delay_alu instid0(SALU_CYCLE_1)
	s_and_b32 s2, s2, exec_lo
	s_or_saveexec_b32 s23, s23
	v_mov_b32_e32 v6, s22
	s_xor_b32 exec_lo, exec_lo, s23
	s_cbranch_execnz .LBB97_459
.LBB97_441:
	s_or_b32 exec_lo, exec_lo, s23
	s_and_saveexec_b32 s22, s2
	s_cbranch_execz .LBB97_443
.LBB97_442:
	v_and_b32_e32 v6, 0xffff, v7
	s_delay_alu instid0(VALU_DEP_1) | instskip(NEXT) | instid1(VALU_DEP_1)
	v_and_b32_e32 v8, 7, v6
	v_clz_i32_u32_e32 v9, v8
	s_delay_alu instid0(VALU_DEP_1) | instskip(NEXT) | instid1(VALU_DEP_1)
	v_min_u32_e32 v9, 32, v9
	v_subrev_nc_u32_e32 v10, 28, v9
	v_sub_nc_u32_e32 v9, 29, v9
	s_delay_alu instid0(VALU_DEP_2) | instskip(SKIP_1) | instid1(VALU_DEP_2)
	v_lshlrev_b32_e32 v10, v10, v6
	v_bfe_u32 v6, v6, 3, 4
	v_and_b32_e32 v10, 7, v10
	s_delay_alu instid0(VALU_DEP_2) | instskip(SKIP_1) | instid1(VALU_DEP_1)
	v_cmp_eq_u32_e32 vcc_lo, 0, v6
	v_dual_cndmask_b32 v6, v6, v9 :: v_dual_lshlrev_b32 v7, 24, v7
	v_dual_cndmask_b32 v8, v8, v10 :: v_dual_and_b32 v7, 0x80000000, v7
	s_delay_alu instid0(VALU_DEP_2) | instskip(NEXT) | instid1(VALU_DEP_2)
	v_lshl_add_u32 v6, v6, 23, 0x3b800000
	v_lshlrev_b32_e32 v8, 20, v8
	s_delay_alu instid0(VALU_DEP_1) | instskip(NEXT) | instid1(VALU_DEP_1)
	v_or3_b32 v6, v7, v6, v8
	v_cvt_f16_f32_e32 v6, v6
.LBB97_443:
	s_or_b32 exec_lo, exec_lo, s22
.LBB97_444:
	s_mov_b32 s2, -1
.LBB97_445:
	s_mov_b32 s22, 0
.LBB97_446:
	s_delay_alu instid0(SALU_CYCLE_1)
	s_and_b32 vcc_lo, exec_lo, s22
	s_cbranch_vccz .LBB97_481
; %bb.447:
	v_cmp_lt_i16_e32 vcc_lo, 22, v4
	s_cbranch_vccz .LBB97_457
; %bb.448:
	v_cmp_gt_i16_e32 vcc_lo, 24, v4
	s_cbranch_vccnz .LBB97_460
; %bb.449:
	v_cmp_lt_i16_e32 vcc_lo, 24, v4
	s_cbranch_vccz .LBB97_461
; %bb.450:
	global_load_u8 v7, v[1:2], off
	s_mov_b32 s2, 0
	s_mov_b32 s23, exec_lo
                                        ; implicit-def: $sgpr22
	s_waitcnt vmcnt(0)
	v_cmpx_lt_i16_e32 0x7f, v7
	s_xor_b32 s23, exec_lo, s23
	s_cbranch_execz .LBB97_473
; %bb.451:
	s_mov_b32 s2, -1
	s_mov_b32 s37, exec_lo
                                        ; implicit-def: $sgpr22
	v_cmpx_eq_u16_e32 0x80, v7
; %bb.452:
	s_movk_i32 s22, 0x7e00
	s_xor_b32 s2, exec_lo, -1
; %bb.453:
	s_or_b32 exec_lo, exec_lo, s37
	s_delay_alu instid0(SALU_CYCLE_1)
	s_and_b32 s2, s2, exec_lo
	s_or_saveexec_b32 s23, s23
	v_mov_b32_e32 v6, s22
	s_xor_b32 exec_lo, exec_lo, s23
	s_cbranch_execnz .LBB97_474
.LBB97_454:
	s_or_b32 exec_lo, exec_lo, s23
	s_and_saveexec_b32 s22, s2
	s_cbranch_execz .LBB97_456
.LBB97_455:
	v_and_b32_e32 v6, 0xffff, v7
	s_delay_alu instid0(VALU_DEP_1) | instskip(NEXT) | instid1(VALU_DEP_1)
	v_and_b32_e32 v8, 3, v6
	v_clz_i32_u32_e32 v9, v8
	s_delay_alu instid0(VALU_DEP_1) | instskip(NEXT) | instid1(VALU_DEP_1)
	v_min_u32_e32 v9, 32, v9
	v_subrev_nc_u32_e32 v10, 29, v9
	v_sub_nc_u32_e32 v9, 30, v9
	s_delay_alu instid0(VALU_DEP_2) | instskip(SKIP_1) | instid1(VALU_DEP_2)
	v_lshlrev_b32_e32 v10, v10, v6
	v_bfe_u32 v6, v6, 2, 5
	v_and_b32_e32 v10, 3, v10
	s_delay_alu instid0(VALU_DEP_2) | instskip(SKIP_1) | instid1(VALU_DEP_1)
	v_cmp_eq_u32_e32 vcc_lo, 0, v6
	v_dual_cndmask_b32 v6, v6, v9 :: v_dual_lshlrev_b32 v7, 24, v7
	v_dual_cndmask_b32 v8, v8, v10 :: v_dual_and_b32 v7, 0x80000000, v7
	s_delay_alu instid0(VALU_DEP_2) | instskip(NEXT) | instid1(VALU_DEP_2)
	v_lshl_add_u32 v6, v6, 23, 0x37800000
	v_lshlrev_b32_e32 v8, 21, v8
	s_delay_alu instid0(VALU_DEP_1) | instskip(NEXT) | instid1(VALU_DEP_1)
	v_or3_b32 v6, v7, v6, v8
	v_cvt_f16_f32_e32 v6, v6
.LBB97_456:
	s_or_b32 exec_lo, exec_lo, s22
	s_mov_b32 s2, 0
	s_branch .LBB97_462
.LBB97_457:
	s_mov_b32 s22, -1
                                        ; implicit-def: $vgpr6
	s_branch .LBB97_468
.LBB97_458:
	s_or_saveexec_b32 s23, s23
	v_mov_b32_e32 v6, s22
	s_xor_b32 exec_lo, exec_lo, s23
	s_cbranch_execz .LBB97_441
.LBB97_459:
	v_cmp_ne_u16_e32 vcc_lo, 0, v7
	v_mov_b32_e32 v6, v7
	s_and_not1_b32 s2, s2, exec_lo
	s_and_b32 s22, vcc_lo, exec_lo
	s_delay_alu instid0(SALU_CYCLE_1)
	s_or_b32 s2, s2, s22
	s_or_b32 exec_lo, exec_lo, s23
	s_and_saveexec_b32 s22, s2
	s_cbranch_execnz .LBB97_442
	s_branch .LBB97_443
.LBB97_460:
	s_mov_b32 s2, -1
                                        ; implicit-def: $vgpr6
	s_branch .LBB97_465
.LBB97_461:
	s_mov_b32 s2, -1
                                        ; implicit-def: $vgpr6
.LBB97_462:
	s_delay_alu instid0(SALU_CYCLE_1)
	s_and_b32 vcc_lo, exec_lo, s2
	s_cbranch_vccz .LBB97_464
; %bb.463:
	global_load_u8 v6, v[1:2], off
	s_waitcnt vmcnt(0)
	v_lshlrev_b32_e32 v6, 24, v6
	s_delay_alu instid0(VALU_DEP_1) | instskip(NEXT) | instid1(VALU_DEP_1)
	v_and_b32_e32 v7, 0x7f000000, v6
	v_clz_i32_u32_e32 v8, v7
	v_add_nc_u32_e32 v10, 0x1000000, v7
	v_cmp_ne_u32_e32 vcc_lo, 0, v7
	s_delay_alu instid0(VALU_DEP_3) | instskip(NEXT) | instid1(VALU_DEP_1)
	v_min_u32_e32 v8, 32, v8
	v_sub_nc_u32_e64 v8, v8, 4 clamp
	s_delay_alu instid0(VALU_DEP_1) | instskip(SKIP_1) | instid1(VALU_DEP_2)
	v_lshlrev_b32_e32 v9, v8, v7
	v_lshlrev_b32_e32 v8, 23, v8
	v_lshrrev_b32_e32 v9, 4, v9
	s_delay_alu instid0(VALU_DEP_1) | instskip(SKIP_1) | instid1(VALU_DEP_2)
	v_sub_nc_u32_e32 v8, v9, v8
	v_ashrrev_i32_e32 v9, 8, v10
	v_add_nc_u32_e32 v8, 0x3c000000, v8
	s_delay_alu instid0(VALU_DEP_1) | instskip(NEXT) | instid1(VALU_DEP_1)
	v_and_or_b32 v8, 0x7f800000, v9, v8
	v_cndmask_b32_e32 v7, 0, v8, vcc_lo
	s_delay_alu instid0(VALU_DEP_1) | instskip(NEXT) | instid1(VALU_DEP_1)
	v_and_or_b32 v6, 0x80000000, v6, v7
	v_cvt_f16_f32_e32 v6, v6
.LBB97_464:
	s_mov_b32 s2, 0
.LBB97_465:
	s_delay_alu instid0(SALU_CYCLE_1)
	s_and_not1_b32 vcc_lo, exec_lo, s2
	s_cbranch_vccnz .LBB97_467
; %bb.466:
	global_load_u8 v6, v[1:2], off
	s_waitcnt vmcnt(0)
	v_lshlrev_b32_e32 v7, 25, v6
	v_lshlrev_b16 v6, 8, v6
	s_delay_alu instid0(VALU_DEP_2) | instskip(NEXT) | instid1(VALU_DEP_2)
	v_lshrrev_b32_e32 v8, 4, v7
	v_and_or_b32 v9, 0x7f00, v6, 0.5
	v_bfe_i32 v6, v6, 0, 16
	s_delay_alu instid0(VALU_DEP_3) | instskip(NEXT) | instid1(VALU_DEP_1)
	v_or_b32_e32 v8, 0x70000000, v8
	v_dual_add_f32 v9, -0.5, v9 :: v_dual_mul_f32 v8, 0x7800000, v8
	v_cmp_gt_u32_e32 vcc_lo, 0x8000000, v7
	s_delay_alu instid0(VALU_DEP_2) | instskip(NEXT) | instid1(VALU_DEP_1)
	v_cndmask_b32_e32 v7, v8, v9, vcc_lo
	v_and_or_b32 v6, 0x80000000, v6, v7
	s_delay_alu instid0(VALU_DEP_1)
	v_cvt_f16_f32_e32 v6, v6
.LBB97_467:
	s_mov_b32 s22, 0
	s_mov_b32 s2, -1
.LBB97_468:
	s_and_not1_b32 vcc_lo, exec_lo, s22
	s_cbranch_vccnz .LBB97_481
; %bb.469:
	v_cmp_lt_i16_e32 vcc_lo, 14, v4
	s_cbranch_vccz .LBB97_472
; %bb.470:
	v_cmp_eq_u16_e32 vcc_lo, 15, v4
	s_cbranch_vccz .LBB97_475
; %bb.471:
	global_load_u16 v6, v[1:2], off
	s_mov_b32 s2, -1
	s_mov_b32 s3, 0
	s_waitcnt vmcnt(0)
	v_lshlrev_b32_e32 v6, 16, v6
	s_delay_alu instid0(VALU_DEP_1)
	v_cvt_f16_f32_e32 v6, v6
	s_branch .LBB97_476
.LBB97_472:
	s_mov_b32 s22, -1
                                        ; implicit-def: $vgpr6
	s_branch .LBB97_477
.LBB97_473:
	s_or_saveexec_b32 s23, s23
	v_mov_b32_e32 v6, s22
	s_xor_b32 exec_lo, exec_lo, s23
	s_cbranch_execz .LBB97_454
.LBB97_474:
	v_cmp_ne_u16_e32 vcc_lo, 0, v7
	v_mov_b32_e32 v6, v7
	s_and_not1_b32 s2, s2, exec_lo
	s_and_b32 s22, vcc_lo, exec_lo
	s_delay_alu instid0(SALU_CYCLE_1)
	s_or_b32 s2, s2, s22
	s_or_b32 exec_lo, exec_lo, s23
	s_and_saveexec_b32 s22, s2
	s_cbranch_execnz .LBB97_455
	s_branch .LBB97_456
.LBB97_475:
	s_mov_b32 s3, -1
                                        ; implicit-def: $vgpr6
.LBB97_476:
	s_mov_b32 s22, 0
.LBB97_477:
	s_delay_alu instid0(SALU_CYCLE_1)
	s_and_b32 vcc_lo, exec_lo, s22
	s_cbranch_vccz .LBB97_481
; %bb.478:
	v_cmp_eq_u16_e32 vcc_lo, 11, v4
	s_cbranch_vccz .LBB97_480
; %bb.479:
	global_load_u8 v6, v[1:2], off
	s_mov_b32 s3, 0
	s_mov_b32 s2, -1
	s_waitcnt vmcnt(0)
	v_cmp_ne_u16_e32 vcc_lo, 0, v6
	v_cndmask_b32_e64 v6, 0, 0x3c00, vcc_lo
	s_branch .LBB97_481
.LBB97_480:
	s_mov_b32 s3, -1
                                        ; implicit-def: $vgpr6
.LBB97_481:
	s_branch .LBB97_286
.LBB97_482:
	v_cmp_gt_i16_e32 vcc_lo, 5, v4
	s_cbranch_vccnz .LBB97_487
; %bb.483:
	v_cmp_gt_i16_e32 vcc_lo, 8, v4
	s_cbranch_vccnz .LBB97_488
; %bb.484:
	;; [unrolled: 3-line block ×3, first 2 shown]
	v_cmp_lt_i16_e32 vcc_lo, 9, v4
	s_cbranch_vccz .LBB97_490
; %bb.486:
	global_load_b64 v[6:7], v[1:2], off
	s_mov_b32 s2, 0
	s_waitcnt vmcnt(0)
	v_cvt_f32_f64_e32 v6, v[6:7]
	s_delay_alu instid0(VALU_DEP_1)
	v_cvt_f16_f32_e32 v6, v6
	s_branch .LBB97_491
.LBB97_487:
	s_mov_b32 s2, -1
                                        ; implicit-def: $vgpr6
	s_branch .LBB97_509
.LBB97_488:
	s_mov_b32 s2, -1
                                        ; implicit-def: $vgpr6
	s_branch .LBB97_497
.LBB97_489:
	s_mov_b32 s2, -1
                                        ; implicit-def: $vgpr6
	s_branch .LBB97_494
.LBB97_490:
	s_mov_b32 s2, -1
                                        ; implicit-def: $vgpr6
.LBB97_491:
	s_delay_alu instid0(SALU_CYCLE_1)
	s_and_not1_b32 vcc_lo, exec_lo, s2
	s_cbranch_vccnz .LBB97_493
; %bb.492:
	global_load_b32 v6, v[1:2], off
	s_waitcnt vmcnt(0)
	v_cvt_f16_f32_e32 v6, v6
.LBB97_493:
	s_mov_b32 s2, 0
.LBB97_494:
	s_delay_alu instid0(SALU_CYCLE_1)
	s_and_not1_b32 vcc_lo, exec_lo, s2
	s_cbranch_vccnz .LBB97_496
; %bb.495:
	global_load_b32 v6, v[1:2], off
.LBB97_496:
	s_mov_b32 s2, 0
.LBB97_497:
	s_delay_alu instid0(SALU_CYCLE_1)
	s_and_not1_b32 vcc_lo, exec_lo, s2
	s_cbranch_vccnz .LBB97_508
; %bb.498:
	v_cmp_gt_i16_e32 vcc_lo, 6, v4
	s_cbranch_vccnz .LBB97_501
; %bb.499:
	v_cmp_lt_i16_e32 vcc_lo, 6, v4
	s_cbranch_vccz .LBB97_502
; %bb.500:
	global_load_b64 v[6:7], v[1:2], off
	s_mov_b32 s2, 0
	s_waitcnt vmcnt(0)
	v_cvt_f32_f64_e32 v6, v[6:7]
	s_delay_alu instid0(VALU_DEP_1)
	v_cvt_f16_f32_e32 v6, v6
	s_branch .LBB97_503
.LBB97_501:
	s_mov_b32 s2, -1
                                        ; implicit-def: $vgpr6
	s_branch .LBB97_506
.LBB97_502:
	s_mov_b32 s2, -1
                                        ; implicit-def: $vgpr6
.LBB97_503:
	s_delay_alu instid0(SALU_CYCLE_1)
	s_and_not1_b32 vcc_lo, exec_lo, s2
	s_cbranch_vccnz .LBB97_505
; %bb.504:
	global_load_b32 v6, v[1:2], off
	s_waitcnt vmcnt(0)
	v_cvt_f16_f32_e32 v6, v6
.LBB97_505:
	s_mov_b32 s2, 0
.LBB97_506:
	s_delay_alu instid0(SALU_CYCLE_1)
	s_and_not1_b32 vcc_lo, exec_lo, s2
	s_cbranch_vccnz .LBB97_508
; %bb.507:
	global_load_u16 v6, v[1:2], off
.LBB97_508:
	s_mov_b32 s2, 0
.LBB97_509:
	s_delay_alu instid0(SALU_CYCLE_1)
	s_and_not1_b32 vcc_lo, exec_lo, s2
	s_cbranch_vccnz .LBB97_529
; %bb.510:
	v_cmp_gt_i16_e32 vcc_lo, 2, v4
	s_cbranch_vccnz .LBB97_514
; %bb.511:
	v_cmp_gt_i16_e32 vcc_lo, 3, v4
	s_cbranch_vccnz .LBB97_515
; %bb.512:
	v_cmp_lt_i16_e32 vcc_lo, 3, v4
	s_cbranch_vccz .LBB97_516
; %bb.513:
	global_load_b64 v[6:7], v[1:2], off
	s_mov_b32 s2, 0
	s_waitcnt vmcnt(0)
	v_xor_b32_e32 v8, v6, v7
	v_cls_i32_e32 v9, v7
	s_delay_alu instid0(VALU_DEP_2) | instskip(NEXT) | instid1(VALU_DEP_2)
	v_ashrrev_i32_e32 v8, 31, v8
	v_add_nc_u32_e32 v9, -1, v9
	s_delay_alu instid0(VALU_DEP_2) | instskip(NEXT) | instid1(VALU_DEP_1)
	v_add_nc_u32_e32 v8, 32, v8
	v_min_u32_e32 v8, v9, v8
	s_delay_alu instid0(VALU_DEP_1) | instskip(NEXT) | instid1(VALU_DEP_1)
	v_lshlrev_b64 v[6:7], v8, v[6:7]
	v_min_u32_e32 v6, 1, v6
	s_delay_alu instid0(VALU_DEP_1) | instskip(SKIP_1) | instid1(VALU_DEP_2)
	v_or_b32_e32 v6, v7, v6
	v_sub_nc_u32_e32 v7, 32, v8
	v_cvt_f32_i32_e32 v6, v6
	s_delay_alu instid0(VALU_DEP_1) | instskip(NEXT) | instid1(VALU_DEP_1)
	v_ldexp_f32 v6, v6, v7
	v_cvt_f16_f32_e32 v6, v6
	s_branch .LBB97_517
.LBB97_514:
	s_mov_b32 s2, -1
                                        ; implicit-def: $vgpr6
	s_branch .LBB97_523
.LBB97_515:
	s_mov_b32 s2, -1
                                        ; implicit-def: $vgpr6
	s_branch .LBB97_520
.LBB97_516:
	s_mov_b32 s2, -1
                                        ; implicit-def: $vgpr6
.LBB97_517:
	s_delay_alu instid0(SALU_CYCLE_1)
	s_and_not1_b32 vcc_lo, exec_lo, s2
	s_cbranch_vccnz .LBB97_519
; %bb.518:
	global_load_b32 v6, v[1:2], off
	s_waitcnt vmcnt(0)
	v_cvt_f32_i32_e32 v6, v6
	s_delay_alu instid0(VALU_DEP_1)
	v_cvt_f16_f32_e32 v6, v6
.LBB97_519:
	s_mov_b32 s2, 0
.LBB97_520:
	s_delay_alu instid0(SALU_CYCLE_1)
	s_and_not1_b32 vcc_lo, exec_lo, s2
	s_cbranch_vccnz .LBB97_522
; %bb.521:
	global_load_u16 v6, v[1:2], off
	s_waitcnt vmcnt(0)
	v_cvt_f16_i16_e32 v6, v6
.LBB97_522:
	s_mov_b32 s2, 0
.LBB97_523:
	s_delay_alu instid0(SALU_CYCLE_1)
	s_and_not1_b32 vcc_lo, exec_lo, s2
	s_cbranch_vccnz .LBB97_529
; %bb.524:
	v_cmp_lt_i16_e32 vcc_lo, 0, v4
	s_mov_b32 s2, 0
	s_cbranch_vccz .LBB97_526
; %bb.525:
	global_load_i8 v6, v[1:2], off
	s_waitcnt vmcnt(0)
	v_cvt_f16_i16_e32 v6, v6
	s_branch .LBB97_527
.LBB97_526:
	s_mov_b32 s2, -1
                                        ; implicit-def: $vgpr6
.LBB97_527:
	s_delay_alu instid0(SALU_CYCLE_1)
	s_and_not1_b32 vcc_lo, exec_lo, s2
	s_cbranch_vccnz .LBB97_529
; %bb.528:
	global_load_u8 v1, v[1:2], off
	s_waitcnt vmcnt(0)
	v_cvt_f16_u16_e32 v6, v1
.LBB97_529:
	s_branch .LBB97_287
.LBB97_530:
	s_mov_b32 s22, 0
	s_mov_b32 s2, s34
.LBB97_531:
                                        ; implicit-def: $vgpr5
.LBB97_532:
	s_and_not1_b32 s23, s34, exec_lo
	s_and_b32 s2, s2, exec_lo
	s_and_not1_b32 s37, s35, exec_lo
	s_and_b32 s3, s3, exec_lo
	s_or_b32 s38, s23, s2
	s_or_b32 s37, s37, s3
	s_or_not1_b32 s2, s22, exec_lo
.LBB97_533:
	s_or_b32 exec_lo, exec_lo, s39
	s_mov_b32 s3, 0
	s_mov_b32 s23, 0
	;; [unrolled: 1-line block ×3, first 2 shown]
                                        ; implicit-def: $vgpr1_vgpr2
                                        ; implicit-def: $vgpr0
                                        ; implicit-def: $vgpr6
	s_and_saveexec_b32 s39, s2
	s_cbranch_execz .LBB97_905
; %bb.534:
	s_mov_b32 s42, -1
	s_mov_b32 s22, s37
	s_mov_b32 s23, s38
	s_mov_b32 s40, exec_lo
	v_cmpx_gt_i32_e64 s30, v5
	s_cbranch_execz .LBB97_806
; %bb.535:
	s_and_not1_b32 vcc_lo, exec_lo, s27
	s_cbranch_vccnz .LBB97_540
; %bb.536:
	v_dual_mov_b32 v0, 0 :: v_dual_mov_b32 v1, 0
	s_and_not1_b32 vcc_lo, exec_lo, s33
	s_mov_b32 s41, 0
	s_cbranch_vccnz .LBB97_545
; %bb.537:
	v_mov_b32_e32 v0, 0
	s_add_i32 s43, s31, 1
	s_cmp_eq_u32 s25, 2
	s_mov_b32 s42, 0
	s_cbranch_scc1 .LBB97_541
; %bb.538:
	v_dual_mov_b32 v1, 0 :: v_dual_mov_b32 v0, 0
	v_mov_b32_e32 v2, v5
	s_and_b32 s42, s43, 28
	s_mov_b32 s44, 0
	s_mov_b64 s[2:3], s[20:21]
	s_mov_b64 s[22:23], s[16:17]
.LBB97_539:                             ; =>This Inner Loop Header: Depth=1
	s_clause 0x1
	s_load_b256 s[48:55], s[22:23], 0x4
	s_load_b128 s[64:67], s[22:23], 0x24
	s_load_b256 s[56:63], s[2:3], 0x0
	s_add_u32 s22, s22, 48
	s_addc_u32 s23, s23, 0
	s_add_i32 s44, s44, 4
	s_add_u32 s2, s2, 32
	s_addc_u32 s3, s3, 0
	s_cmp_eq_u32 s42, s44
	s_waitcnt vmcnt(0) lgkmcnt(0)
	v_mul_hi_u32 v6, s49, v2
	s_delay_alu instid0(VALU_DEP_1) | instskip(NEXT) | instid1(VALU_DEP_1)
	v_add_nc_u32_e32 v6, v2, v6
	v_lshrrev_b32_e32 v6, s50, v6
	s_delay_alu instid0(VALU_DEP_1) | instskip(SKIP_1) | instid1(VALU_DEP_2)
	v_mul_hi_u32 v7, s52, v6
	v_mul_lo_u32 v9, v6, s48
	v_add_nc_u32_e32 v7, v6, v7
	s_delay_alu instid0(VALU_DEP_2) | instskip(NEXT) | instid1(VALU_DEP_2)
	v_sub_nc_u32_e32 v2, v2, v9
	v_lshrrev_b32_e32 v7, s53, v7
	s_delay_alu instid0(VALU_DEP_2) | instskip(SKIP_1) | instid1(VALU_DEP_3)
	v_mul_lo_u32 v9, v2, s56
	v_mul_lo_u32 v11, v2, s57
	v_mul_hi_u32 v8, s55, v7
	s_delay_alu instid0(VALU_DEP_1) | instskip(NEXT) | instid1(VALU_DEP_1)
	v_add_nc_u32_e32 v8, v7, v8
	v_lshrrev_b32_e32 v8, s64, v8
	s_delay_alu instid0(VALU_DEP_1) | instskip(SKIP_1) | instid1(VALU_DEP_2)
	v_mul_hi_u32 v10, s66, v8
	v_mul_lo_u32 v12, v8, s54
	v_add_nc_u32_e32 v2, v8, v10
	v_mul_lo_u32 v10, v7, s51
	s_delay_alu instid0(VALU_DEP_3) | instskip(NEXT) | instid1(VALU_DEP_3)
	v_sub_nc_u32_e32 v7, v7, v12
	v_lshrrev_b32_e32 v2, s67, v2
	s_delay_alu instid0(VALU_DEP_2) | instskip(SKIP_2) | instid1(VALU_DEP_4)
	v_mul_lo_u32 v12, v7, s60
	v_mul_lo_u32 v7, v7, s61
	v_sub_nc_u32_e32 v6, v6, v10
	v_mul_lo_u32 v13, v2, s65
	s_delay_alu instid0(VALU_DEP_2) | instskip(SKIP_1) | instid1(VALU_DEP_3)
	v_mul_lo_u32 v10, v6, s58
	v_mul_lo_u32 v6, v6, s59
	v_sub_nc_u32_e32 v8, v8, v13
	s_delay_alu instid0(VALU_DEP_3) | instskip(NEXT) | instid1(VALU_DEP_2)
	v_add3_u32 v0, v9, v0, v10
	v_mul_lo_u32 v13, v8, s62
	v_mul_lo_u32 v8, v8, s63
	v_add3_u32 v1, v11, v1, v6
	s_delay_alu instid0(VALU_DEP_3) | instskip(NEXT) | instid1(VALU_DEP_2)
	v_add3_u32 v0, v12, v0, v13
	v_add3_u32 v1, v7, v1, v8
	s_cbranch_scc0 .LBB97_539
	s_branch .LBB97_542
.LBB97_540:
	s_mov_b32 s41, -1
                                        ; implicit-def: $vgpr0
                                        ; implicit-def: $vgpr1
	s_branch .LBB97_545
.LBB97_541:
	v_dual_mov_b32 v2, v5 :: v_dual_mov_b32 v1, 0
.LBB97_542:
	s_and_b32 s43, s43, 3
	s_delay_alu instid0(SALU_CYCLE_1)
	s_cmp_eq_u32 s43, 0
	s_cbranch_scc1 .LBB97_545
; %bb.543:
	s_lshl_b32 s2, s42, 3
	s_mul_i32 s22, s42, 12
	s_add_u32 s2, s2, s16
	s_addc_u32 s3, s17, 0
	s_add_u32 s2, s2, 0xc4
	s_addc_u32 s3, s3, 0
	;; [unrolled: 2-line block ×3, first 2 shown]
	.p2align	6
.LBB97_544:                             ; =>This Inner Loop Header: Depth=1
	s_clause 0x1
	s_load_b64 s[44:45], s[22:23], 0x4
	s_load_b32 s42, s[22:23], 0xc
	s_load_b64 s[46:47], s[2:3], 0x0
	s_add_u32 s22, s22, 12
	s_addc_u32 s23, s23, 0
	s_add_u32 s2, s2, 8
	s_addc_u32 s3, s3, 0
	s_add_i32 s43, s43, -1
	s_delay_alu instid0(SALU_CYCLE_1) | instskip(SKIP_2) | instid1(VALU_DEP_1)
	s_cmp_lg_u32 s43, 0
	s_waitcnt vmcnt(0) lgkmcnt(0)
	v_mul_hi_u32 v6, s45, v2
	v_add_nc_u32_e32 v6, v2, v6
	s_delay_alu instid0(VALU_DEP_1) | instskip(NEXT) | instid1(VALU_DEP_1)
	v_lshrrev_b32_e32 v9, s42, v6
	v_mul_lo_u32 v6, v9, s44
	s_delay_alu instid0(VALU_DEP_1) | instskip(NEXT) | instid1(VALU_DEP_1)
	v_sub_nc_u32_e32 v2, v2, v6
	v_mad_u64_u32 v[6:7], null, v2, s46, v[0:1]
	v_mad_u64_u32 v[7:8], null, v2, s47, v[1:2]
	v_mov_b32_e32 v2, v9
	s_delay_alu instid0(VALU_DEP_2)
	v_dual_mov_b32 v0, v6 :: v_dual_mov_b32 v1, v7
	s_cbranch_scc1 .LBB97_544
.LBB97_545:
	s_and_not1_b32 vcc_lo, exec_lo, s41
	s_cbranch_vccnz .LBB97_548
; %bb.546:
	s_waitcnt lgkmcnt(0)
	v_mul_hi_u32 v0, s13, v5
	s_and_not1_b32 vcc_lo, exec_lo, s29
	s_delay_alu instid0(VALU_DEP_1) | instskip(NEXT) | instid1(VALU_DEP_1)
	v_add_nc_u32_e32 v0, v5, v0
	v_lshrrev_b32_e32 v2, s14, v0
	s_delay_alu instid0(VALU_DEP_1) | instskip(NEXT) | instid1(VALU_DEP_1)
	v_mul_lo_u32 v0, v2, s12
	v_sub_nc_u32_e32 v1, v5, v0
	s_delay_alu instid0(VALU_DEP_1)
	v_mul_lo_u32 v0, v1, s8
	v_mul_lo_u32 v1, v1, s9
	s_cbranch_vccnz .LBB97_548
; %bb.547:
	s_waitcnt vmcnt(0)
	v_mul_hi_u32 v6, s18, v2
	s_delay_alu instid0(VALU_DEP_1) | instskip(NEXT) | instid1(VALU_DEP_1)
	v_add_nc_u32_e32 v6, v2, v6
	v_lshrrev_b32_e32 v6, s19, v6
	s_delay_alu instid0(VALU_DEP_1) | instskip(NEXT) | instid1(VALU_DEP_1)
	v_mul_lo_u32 v6, v6, s15
	v_sub_nc_u32_e32 v2, v2, v6
	s_delay_alu instid0(VALU_DEP_1) | instskip(SKIP_1) | instid1(VALU_DEP_1)
	v_mad_u64_u32 v[6:7], null, v2, s10, v[0:1]
	v_mad_u64_u32 v[7:8], null, v2, s11, v[1:2]
	v_dual_mov_b32 v0, v6 :: v_dual_mov_b32 v1, v7
.LBB97_548:
	v_cmp_gt_i16_e32 vcc_lo, 11, v4
	s_waitcnt lgkmcnt(0)
	s_delay_alu instid0(VALU_DEP_2) | instskip(NEXT) | instid1(VALU_DEP_1)
	v_add_co_u32 v1, s2, s6, v1
	v_add_co_ci_u32_e64 v2, null, s7, 0, s2
	s_mov_b32 s2, 0
	s_cbranch_vccnz .LBB97_555
; %bb.549:
	v_cmp_lt_i16_e32 vcc_lo, 25, v4
	s_cbranch_vccz .LBB97_556
; %bb.550:
	v_cmp_lt_i16_e32 vcc_lo, 28, v4
	s_cbranch_vccz .LBB97_557
	;; [unrolled: 3-line block ×4, first 2 shown]
; %bb.553:
	v_cmp_eq_u16_e32 vcc_lo, 46, v4
	s_mov_b32 s22, 0
	s_cbranch_vccz .LBB97_564
; %bb.554:
	global_load_b32 v6, v[1:2], off
	s_mov_b32 s2, -1
	s_mov_b32 s3, 0
	s_waitcnt vmcnt(0)
	v_lshlrev_b32_e32 v6, 16, v6
	s_delay_alu instid0(VALU_DEP_1)
	v_cvt_f16_f32_e32 v6, v6
	s_branch .LBB97_566
.LBB97_555:
	s_mov_b32 s22, -1
	s_mov_b32 s3, s37
                                        ; implicit-def: $vgpr6
	s_branch .LBB97_631
.LBB97_556:
	s_mov_b32 s22, -1
	s_mov_b32 s3, s37
                                        ; implicit-def: $vgpr6
	s_branch .LBB97_595
.LBB97_557:
	s_mov_b32 s22, -1
	s_mov_b32 s3, s37
                                        ; implicit-def: $vgpr6
	s_branch .LBB97_576
.LBB97_558:
	s_mov_b32 s22, -1
	s_mov_b32 s3, s37
                                        ; implicit-def: $vgpr6
	s_branch .LBB97_571
.LBB97_559:
	s_or_saveexec_b32 s37, s37
                                        ; implicit-def: $sgpr38
	s_delay_alu instid0(SALU_CYCLE_1)
	s_xor_b32 exec_lo, exec_lo, s37
	s_cbranch_execz .LBB97_370
.LBB97_560:
	v_add_f32_e64 v8, 0x46000000, |v7|
	s_and_not1_b32 s23, s23, exec_lo
	s_mov_b32 s38, 0
	s_delay_alu instid0(VALU_DEP_1) | instskip(NEXT) | instid1(VALU_DEP_1)
	v_and_b32_e32 v8, 0xff, v8
	v_cmp_ne_u32_e32 vcc_lo, 0, v8
	s_and_b32 s40, vcc_lo, exec_lo
	s_delay_alu instid0(SALU_CYCLE_1)
	s_or_b32 s23, s23, s40
	s_or_b32 exec_lo, exec_lo, s37
	v_mov_b32_e32 v9, s38
	s_and_saveexec_b32 s37, s23
	s_cbranch_execnz .LBB97_371
	s_branch .LBB97_372
.LBB97_561:
	s_mov_b32 s22, -1
	s_mov_b32 s3, s37
	s_branch .LBB97_565
.LBB97_562:
	s_or_saveexec_b32 s37, s37
                                        ; implicit-def: $sgpr38
	s_delay_alu instid0(SALU_CYCLE_1)
	s_xor_b32 exec_lo, exec_lo, s37
	s_cbranch_execz .LBB97_383
.LBB97_563:
	v_add_f32_e64 v8, 0x42800000, |v7|
	s_and_not1_b32 s23, s23, exec_lo
	s_mov_b32 s38, 0
	s_delay_alu instid0(VALU_DEP_1) | instskip(NEXT) | instid1(VALU_DEP_1)
	v_and_b32_e32 v8, 0xff, v8
	v_cmp_ne_u32_e32 vcc_lo, 0, v8
	s_and_b32 s40, vcc_lo, exec_lo
	s_delay_alu instid0(SALU_CYCLE_1)
	s_or_b32 s23, s23, s40
	s_or_b32 exec_lo, exec_lo, s37
	v_mov_b32_e32 v9, s38
	s_and_saveexec_b32 s37, s23
	s_cbranch_execnz .LBB97_384
	s_branch .LBB97_385
.LBB97_564:
	s_mov_b32 s3, -1
.LBB97_565:
                                        ; implicit-def: $vgpr6
.LBB97_566:
	s_and_b32 vcc_lo, exec_lo, s22
	s_cbranch_vccz .LBB97_570
; %bb.567:
	v_cmp_eq_u16_e32 vcc_lo, 44, v4
	s_cbranch_vccz .LBB97_569
; %bb.568:
	global_load_u8 v6, v[1:2], off
	s_mov_b32 s3, 0
	s_mov_b32 s2, -1
	s_waitcnt vmcnt(0)
	v_lshlrev_b32_e32 v7, 23, v6
	v_cmp_ne_u32_e32 vcc_lo, 0xff, v6
	s_delay_alu instid0(VALU_DEP_2) | instskip(NEXT) | instid1(VALU_DEP_1)
	v_cvt_f16_f32_e32 v7, v7
	v_cndmask_b32_e32 v7, 0x7e00, v7, vcc_lo
	v_cmp_ne_u32_e32 vcc_lo, 0, v6
	s_delay_alu instid0(VALU_DEP_2)
	v_cndmask_b32_e32 v6, 0, v7, vcc_lo
	s_branch .LBB97_570
.LBB97_569:
	s_mov_b32 s3, -1
                                        ; implicit-def: $vgpr6
.LBB97_570:
	s_mov_b32 s22, 0
.LBB97_571:
	s_delay_alu instid0(SALU_CYCLE_1)
	s_and_b32 vcc_lo, exec_lo, s22
	s_cbranch_vccz .LBB97_575
; %bb.572:
	v_cmp_eq_u16_e32 vcc_lo, 29, v4
	s_cbranch_vccz .LBB97_574
; %bb.573:
	global_load_b64 v[6:7], v[1:2], off
	s_mov_b32 s2, -1
	s_mov_b32 s3, 0
	s_mov_b32 s22, 0
	s_waitcnt vmcnt(0)
	v_clz_i32_u32_e32 v8, v7
	s_delay_alu instid0(VALU_DEP_1) | instskip(NEXT) | instid1(VALU_DEP_1)
	v_min_u32_e32 v8, 32, v8
	v_lshlrev_b64 v[6:7], v8, v[6:7]
	s_delay_alu instid0(VALU_DEP_1) | instskip(NEXT) | instid1(VALU_DEP_1)
	v_min_u32_e32 v6, 1, v6
	v_or_b32_e32 v6, v7, v6
	v_sub_nc_u32_e32 v7, 32, v8
	s_delay_alu instid0(VALU_DEP_2) | instskip(NEXT) | instid1(VALU_DEP_1)
	v_cvt_f32_u32_e32 v6, v6
	v_ldexp_f32 v6, v6, v7
	s_delay_alu instid0(VALU_DEP_1)
	v_cvt_f16_f32_e32 v6, v6
	s_branch .LBB97_576
.LBB97_574:
	s_mov_b32 s3, -1
                                        ; implicit-def: $vgpr6
.LBB97_575:
	s_mov_b32 s22, 0
.LBB97_576:
	s_delay_alu instid0(SALU_CYCLE_1)
	s_and_b32 vcc_lo, exec_lo, s22
	s_cbranch_vccz .LBB97_594
; %bb.577:
	v_cmp_gt_i16_e32 vcc_lo, 27, v4
	s_cbranch_vccnz .LBB97_580
; %bb.578:
	v_cmp_lt_i16_e32 vcc_lo, 27, v4
	s_cbranch_vccz .LBB97_581
; %bb.579:
	global_load_b32 v6, v[1:2], off
	s_mov_b32 s2, 0
	s_waitcnt vmcnt(0)
	v_cvt_f32_u32_e32 v6, v6
	s_delay_alu instid0(VALU_DEP_1)
	v_cvt_f16_f32_e32 v6, v6
	s_branch .LBB97_582
.LBB97_580:
	s_mov_b32 s2, -1
                                        ; implicit-def: $vgpr6
	s_branch .LBB97_585
.LBB97_581:
	s_mov_b32 s2, -1
                                        ; implicit-def: $vgpr6
.LBB97_582:
	s_delay_alu instid0(SALU_CYCLE_1)
	s_and_not1_b32 vcc_lo, exec_lo, s2
	s_cbranch_vccnz .LBB97_584
; %bb.583:
	global_load_u16 v6, v[1:2], off
	s_waitcnt vmcnt(0)
	v_cvt_f16_u16_e32 v6, v6
.LBB97_584:
	s_mov_b32 s2, 0
.LBB97_585:
	s_delay_alu instid0(SALU_CYCLE_1)
	s_and_not1_b32 vcc_lo, exec_lo, s2
	s_cbranch_vccnz .LBB97_593
; %bb.586:
	global_load_u8 v7, v[1:2], off
	s_mov_b32 s2, 0
	s_mov_b32 s23, exec_lo
                                        ; implicit-def: $sgpr22
	s_waitcnt vmcnt(0)
	v_cmpx_lt_i16_e32 0x7f, v7
	s_xor_b32 s23, exec_lo, s23
	s_cbranch_execz .LBB97_607
; %bb.587:
	s_mov_b32 s2, -1
	s_mov_b32 s41, exec_lo
                                        ; implicit-def: $sgpr22
	v_cmpx_eq_u16_e32 0x80, v7
; %bb.588:
	s_movk_i32 s22, 0x7e00
	s_xor_b32 s2, exec_lo, -1
; %bb.589:
	s_or_b32 exec_lo, exec_lo, s41
	s_delay_alu instid0(SALU_CYCLE_1)
	s_and_b32 s2, s2, exec_lo
	s_or_saveexec_b32 s23, s23
	v_mov_b32_e32 v6, s22
	s_xor_b32 exec_lo, exec_lo, s23
	s_cbranch_execnz .LBB97_608
.LBB97_590:
	s_or_b32 exec_lo, exec_lo, s23
	s_and_saveexec_b32 s22, s2
	s_cbranch_execz .LBB97_592
.LBB97_591:
	v_and_b32_e32 v6, 0xffff, v7
	s_delay_alu instid0(VALU_DEP_1) | instskip(NEXT) | instid1(VALU_DEP_1)
	v_and_b32_e32 v8, 7, v6
	v_clz_i32_u32_e32 v9, v8
	s_delay_alu instid0(VALU_DEP_1) | instskip(NEXT) | instid1(VALU_DEP_1)
	v_min_u32_e32 v9, 32, v9
	v_subrev_nc_u32_e32 v10, 28, v9
	v_sub_nc_u32_e32 v9, 29, v9
	s_delay_alu instid0(VALU_DEP_2) | instskip(SKIP_1) | instid1(VALU_DEP_2)
	v_lshlrev_b32_e32 v10, v10, v6
	v_bfe_u32 v6, v6, 3, 4
	v_and_b32_e32 v10, 7, v10
	s_delay_alu instid0(VALU_DEP_2) | instskip(SKIP_1) | instid1(VALU_DEP_1)
	v_cmp_eq_u32_e32 vcc_lo, 0, v6
	v_dual_cndmask_b32 v6, v6, v9 :: v_dual_lshlrev_b32 v7, 24, v7
	v_dual_cndmask_b32 v8, v8, v10 :: v_dual_and_b32 v7, 0x80000000, v7
	s_delay_alu instid0(VALU_DEP_2) | instskip(NEXT) | instid1(VALU_DEP_2)
	v_lshl_add_u32 v6, v6, 23, 0x3b800000
	v_lshlrev_b32_e32 v8, 20, v8
	s_delay_alu instid0(VALU_DEP_1) | instskip(NEXT) | instid1(VALU_DEP_1)
	v_or3_b32 v6, v7, v6, v8
	v_cvt_f16_f32_e32 v6, v6
.LBB97_592:
	s_or_b32 exec_lo, exec_lo, s22
.LBB97_593:
	s_mov_b32 s2, -1
.LBB97_594:
	s_mov_b32 s22, 0
.LBB97_595:
	s_delay_alu instid0(SALU_CYCLE_1)
	s_and_b32 vcc_lo, exec_lo, s22
	s_cbranch_vccz .LBB97_630
; %bb.596:
	v_cmp_lt_i16_e32 vcc_lo, 22, v4
	s_cbranch_vccz .LBB97_606
; %bb.597:
	v_cmp_gt_i16_e32 vcc_lo, 24, v4
	s_cbranch_vccnz .LBB97_609
; %bb.598:
	v_cmp_lt_i16_e32 vcc_lo, 24, v4
	s_cbranch_vccz .LBB97_610
; %bb.599:
	global_load_u8 v7, v[1:2], off
	s_mov_b32 s2, 0
	s_mov_b32 s23, exec_lo
                                        ; implicit-def: $sgpr22
	s_waitcnt vmcnt(0)
	v_cmpx_lt_i16_e32 0x7f, v7
	s_xor_b32 s23, exec_lo, s23
	s_cbranch_execz .LBB97_622
; %bb.600:
	s_mov_b32 s2, -1
	s_mov_b32 s41, exec_lo
                                        ; implicit-def: $sgpr22
	v_cmpx_eq_u16_e32 0x80, v7
; %bb.601:
	s_movk_i32 s22, 0x7e00
	s_xor_b32 s2, exec_lo, -1
; %bb.602:
	s_or_b32 exec_lo, exec_lo, s41
	s_delay_alu instid0(SALU_CYCLE_1)
	s_and_b32 s2, s2, exec_lo
	s_or_saveexec_b32 s23, s23
	v_mov_b32_e32 v6, s22
	s_xor_b32 exec_lo, exec_lo, s23
	s_cbranch_execnz .LBB97_623
.LBB97_603:
	s_or_b32 exec_lo, exec_lo, s23
	s_and_saveexec_b32 s22, s2
	s_cbranch_execz .LBB97_605
.LBB97_604:
	v_and_b32_e32 v6, 0xffff, v7
	s_delay_alu instid0(VALU_DEP_1) | instskip(NEXT) | instid1(VALU_DEP_1)
	v_and_b32_e32 v8, 3, v6
	v_clz_i32_u32_e32 v9, v8
	s_delay_alu instid0(VALU_DEP_1) | instskip(NEXT) | instid1(VALU_DEP_1)
	v_min_u32_e32 v9, 32, v9
	v_subrev_nc_u32_e32 v10, 29, v9
	v_sub_nc_u32_e32 v9, 30, v9
	s_delay_alu instid0(VALU_DEP_2) | instskip(SKIP_1) | instid1(VALU_DEP_2)
	v_lshlrev_b32_e32 v10, v10, v6
	v_bfe_u32 v6, v6, 2, 5
	v_and_b32_e32 v10, 3, v10
	s_delay_alu instid0(VALU_DEP_2) | instskip(SKIP_1) | instid1(VALU_DEP_1)
	v_cmp_eq_u32_e32 vcc_lo, 0, v6
	v_dual_cndmask_b32 v6, v6, v9 :: v_dual_lshlrev_b32 v7, 24, v7
	v_dual_cndmask_b32 v8, v8, v10 :: v_dual_and_b32 v7, 0x80000000, v7
	s_delay_alu instid0(VALU_DEP_2) | instskip(NEXT) | instid1(VALU_DEP_2)
	v_lshl_add_u32 v6, v6, 23, 0x37800000
	v_lshlrev_b32_e32 v8, 21, v8
	s_delay_alu instid0(VALU_DEP_1) | instskip(NEXT) | instid1(VALU_DEP_1)
	v_or3_b32 v6, v7, v6, v8
	v_cvt_f16_f32_e32 v6, v6
.LBB97_605:
	s_or_b32 exec_lo, exec_lo, s22
	s_mov_b32 s2, 0
	s_branch .LBB97_611
.LBB97_606:
	s_mov_b32 s22, -1
                                        ; implicit-def: $vgpr6
	s_branch .LBB97_617
.LBB97_607:
	s_or_saveexec_b32 s23, s23
	v_mov_b32_e32 v6, s22
	s_xor_b32 exec_lo, exec_lo, s23
	s_cbranch_execz .LBB97_590
.LBB97_608:
	v_cmp_ne_u16_e32 vcc_lo, 0, v7
	v_mov_b32_e32 v6, v7
	s_and_not1_b32 s2, s2, exec_lo
	s_and_b32 s22, vcc_lo, exec_lo
	s_delay_alu instid0(SALU_CYCLE_1)
	s_or_b32 s2, s2, s22
	s_or_b32 exec_lo, exec_lo, s23
	s_and_saveexec_b32 s22, s2
	s_cbranch_execnz .LBB97_591
	s_branch .LBB97_592
.LBB97_609:
	s_mov_b32 s2, -1
                                        ; implicit-def: $vgpr6
	s_branch .LBB97_614
.LBB97_610:
	s_mov_b32 s2, -1
                                        ; implicit-def: $vgpr6
.LBB97_611:
	s_delay_alu instid0(SALU_CYCLE_1)
	s_and_b32 vcc_lo, exec_lo, s2
	s_cbranch_vccz .LBB97_613
; %bb.612:
	global_load_u8 v6, v[1:2], off
	s_waitcnt vmcnt(0)
	v_lshlrev_b32_e32 v6, 24, v6
	s_delay_alu instid0(VALU_DEP_1) | instskip(NEXT) | instid1(VALU_DEP_1)
	v_and_b32_e32 v7, 0x7f000000, v6
	v_clz_i32_u32_e32 v8, v7
	v_add_nc_u32_e32 v10, 0x1000000, v7
	v_cmp_ne_u32_e32 vcc_lo, 0, v7
	s_delay_alu instid0(VALU_DEP_3) | instskip(NEXT) | instid1(VALU_DEP_1)
	v_min_u32_e32 v8, 32, v8
	v_sub_nc_u32_e64 v8, v8, 4 clamp
	s_delay_alu instid0(VALU_DEP_1) | instskip(SKIP_1) | instid1(VALU_DEP_2)
	v_lshlrev_b32_e32 v9, v8, v7
	v_lshlrev_b32_e32 v8, 23, v8
	v_lshrrev_b32_e32 v9, 4, v9
	s_delay_alu instid0(VALU_DEP_1) | instskip(SKIP_1) | instid1(VALU_DEP_2)
	v_sub_nc_u32_e32 v8, v9, v8
	v_ashrrev_i32_e32 v9, 8, v10
	v_add_nc_u32_e32 v8, 0x3c000000, v8
	s_delay_alu instid0(VALU_DEP_1) | instskip(NEXT) | instid1(VALU_DEP_1)
	v_and_or_b32 v8, 0x7f800000, v9, v8
	v_cndmask_b32_e32 v7, 0, v8, vcc_lo
	s_delay_alu instid0(VALU_DEP_1) | instskip(NEXT) | instid1(VALU_DEP_1)
	v_and_or_b32 v6, 0x80000000, v6, v7
	v_cvt_f16_f32_e32 v6, v6
.LBB97_613:
	s_mov_b32 s2, 0
.LBB97_614:
	s_delay_alu instid0(SALU_CYCLE_1)
	s_and_not1_b32 vcc_lo, exec_lo, s2
	s_cbranch_vccnz .LBB97_616
; %bb.615:
	global_load_u8 v6, v[1:2], off
	s_waitcnt vmcnt(0)
	v_lshlrev_b32_e32 v7, 25, v6
	v_lshlrev_b16 v6, 8, v6
	s_delay_alu instid0(VALU_DEP_2) | instskip(NEXT) | instid1(VALU_DEP_2)
	v_lshrrev_b32_e32 v8, 4, v7
	v_and_or_b32 v9, 0x7f00, v6, 0.5
	v_bfe_i32 v6, v6, 0, 16
	s_delay_alu instid0(VALU_DEP_3) | instskip(NEXT) | instid1(VALU_DEP_1)
	v_or_b32_e32 v8, 0x70000000, v8
	v_dual_add_f32 v9, -0.5, v9 :: v_dual_mul_f32 v8, 0x7800000, v8
	v_cmp_gt_u32_e32 vcc_lo, 0x8000000, v7
	s_delay_alu instid0(VALU_DEP_2) | instskip(NEXT) | instid1(VALU_DEP_1)
	v_cndmask_b32_e32 v7, v8, v9, vcc_lo
	v_and_or_b32 v6, 0x80000000, v6, v7
	s_delay_alu instid0(VALU_DEP_1)
	v_cvt_f16_f32_e32 v6, v6
.LBB97_616:
	s_mov_b32 s22, 0
	s_mov_b32 s2, -1
.LBB97_617:
	s_and_not1_b32 vcc_lo, exec_lo, s22
	s_cbranch_vccnz .LBB97_630
; %bb.618:
	v_cmp_lt_i16_e32 vcc_lo, 14, v4
	s_cbranch_vccz .LBB97_621
; %bb.619:
	v_cmp_eq_u16_e32 vcc_lo, 15, v4
	s_cbranch_vccz .LBB97_624
; %bb.620:
	global_load_u16 v6, v[1:2], off
	s_mov_b32 s2, -1
	s_mov_b32 s3, 0
	s_waitcnt vmcnt(0)
	v_lshlrev_b32_e32 v6, 16, v6
	s_delay_alu instid0(VALU_DEP_1)
	v_cvt_f16_f32_e32 v6, v6
	s_branch .LBB97_625
.LBB97_621:
	s_mov_b32 s22, -1
                                        ; implicit-def: $vgpr6
	s_branch .LBB97_626
.LBB97_622:
	s_or_saveexec_b32 s23, s23
	v_mov_b32_e32 v6, s22
	s_xor_b32 exec_lo, exec_lo, s23
	s_cbranch_execz .LBB97_603
.LBB97_623:
	v_cmp_ne_u16_e32 vcc_lo, 0, v7
	v_mov_b32_e32 v6, v7
	s_and_not1_b32 s2, s2, exec_lo
	s_and_b32 s22, vcc_lo, exec_lo
	s_delay_alu instid0(SALU_CYCLE_1)
	s_or_b32 s2, s2, s22
	s_or_b32 exec_lo, exec_lo, s23
	s_and_saveexec_b32 s22, s2
	s_cbranch_execnz .LBB97_604
	s_branch .LBB97_605
.LBB97_624:
	s_mov_b32 s3, -1
                                        ; implicit-def: $vgpr6
.LBB97_625:
	s_mov_b32 s22, 0
.LBB97_626:
	s_delay_alu instid0(SALU_CYCLE_1)
	s_and_b32 vcc_lo, exec_lo, s22
	s_cbranch_vccz .LBB97_630
; %bb.627:
	v_cmp_eq_u16_e32 vcc_lo, 11, v4
	s_cbranch_vccz .LBB97_629
; %bb.628:
	global_load_u8 v6, v[1:2], off
	s_mov_b32 s3, 0
	s_mov_b32 s2, -1
	s_waitcnt vmcnt(0)
	v_cmp_ne_u16_e32 vcc_lo, 0, v6
	v_cndmask_b32_e64 v6, 0, 0x3c00, vcc_lo
	s_branch .LBB97_630
.LBB97_629:
	s_mov_b32 s3, -1
                                        ; implicit-def: $vgpr6
.LBB97_630:
	s_mov_b32 s22, 0
.LBB97_631:
	s_delay_alu instid0(SALU_CYCLE_1)
	s_and_b32 vcc_lo, exec_lo, s22
	s_cbranch_vccz .LBB97_680
; %bb.632:
	v_cmp_gt_i16_e32 vcc_lo, 5, v4
	s_cbranch_vccnz .LBB97_637
; %bb.633:
	v_cmp_gt_i16_e32 vcc_lo, 8, v4
	s_cbranch_vccnz .LBB97_638
	;; [unrolled: 3-line block ×3, first 2 shown]
; %bb.635:
	v_cmp_lt_i16_e32 vcc_lo, 9, v4
	s_cbranch_vccz .LBB97_640
; %bb.636:
	global_load_b64 v[6:7], v[1:2], off
	s_mov_b32 s2, 0
	s_waitcnt vmcnt(0)
	v_cvt_f32_f64_e32 v6, v[6:7]
	s_delay_alu instid0(VALU_DEP_1)
	v_cvt_f16_f32_e32 v6, v6
	s_branch .LBB97_641
.LBB97_637:
	s_mov_b32 s2, -1
                                        ; implicit-def: $vgpr6
	s_branch .LBB97_659
.LBB97_638:
	s_mov_b32 s2, -1
                                        ; implicit-def: $vgpr6
	s_branch .LBB97_647
.LBB97_639:
	s_mov_b32 s2, -1
                                        ; implicit-def: $vgpr6
	s_branch .LBB97_644
.LBB97_640:
	s_mov_b32 s2, -1
                                        ; implicit-def: $vgpr6
.LBB97_641:
	s_delay_alu instid0(SALU_CYCLE_1)
	s_and_not1_b32 vcc_lo, exec_lo, s2
	s_cbranch_vccnz .LBB97_643
; %bb.642:
	global_load_b32 v6, v[1:2], off
	s_waitcnt vmcnt(0)
	v_cvt_f16_f32_e32 v6, v6
.LBB97_643:
	s_mov_b32 s2, 0
.LBB97_644:
	s_delay_alu instid0(SALU_CYCLE_1)
	s_and_not1_b32 vcc_lo, exec_lo, s2
	s_cbranch_vccnz .LBB97_646
; %bb.645:
	global_load_b32 v6, v[1:2], off
.LBB97_646:
	s_mov_b32 s2, 0
.LBB97_647:
	s_delay_alu instid0(SALU_CYCLE_1)
	s_and_not1_b32 vcc_lo, exec_lo, s2
	s_cbranch_vccnz .LBB97_658
; %bb.648:
	v_cmp_gt_i16_e32 vcc_lo, 6, v4
	s_cbranch_vccnz .LBB97_651
; %bb.649:
	v_cmp_lt_i16_e32 vcc_lo, 6, v4
	s_cbranch_vccz .LBB97_652
; %bb.650:
	global_load_b64 v[6:7], v[1:2], off
	s_mov_b32 s2, 0
	s_waitcnt vmcnt(0)
	v_cvt_f32_f64_e32 v6, v[6:7]
	s_delay_alu instid0(VALU_DEP_1)
	v_cvt_f16_f32_e32 v6, v6
	s_branch .LBB97_653
.LBB97_651:
	s_mov_b32 s2, -1
                                        ; implicit-def: $vgpr6
	s_branch .LBB97_656
.LBB97_652:
	s_mov_b32 s2, -1
                                        ; implicit-def: $vgpr6
.LBB97_653:
	s_delay_alu instid0(SALU_CYCLE_1)
	s_and_not1_b32 vcc_lo, exec_lo, s2
	s_cbranch_vccnz .LBB97_655
; %bb.654:
	global_load_b32 v6, v[1:2], off
	s_waitcnt vmcnt(0)
	v_cvt_f16_f32_e32 v6, v6
.LBB97_655:
	s_mov_b32 s2, 0
.LBB97_656:
	s_delay_alu instid0(SALU_CYCLE_1)
	s_and_not1_b32 vcc_lo, exec_lo, s2
	s_cbranch_vccnz .LBB97_658
; %bb.657:
	global_load_u16 v6, v[1:2], off
.LBB97_658:
	s_mov_b32 s2, 0
.LBB97_659:
	s_delay_alu instid0(SALU_CYCLE_1)
	s_and_not1_b32 vcc_lo, exec_lo, s2
	s_cbranch_vccnz .LBB97_679
; %bb.660:
	v_cmp_gt_i16_e32 vcc_lo, 2, v4
	s_cbranch_vccnz .LBB97_664
; %bb.661:
	v_cmp_gt_i16_e32 vcc_lo, 3, v4
	s_cbranch_vccnz .LBB97_665
; %bb.662:
	v_cmp_lt_i16_e32 vcc_lo, 3, v4
	s_cbranch_vccz .LBB97_666
; %bb.663:
	global_load_b64 v[6:7], v[1:2], off
	s_mov_b32 s2, 0
	s_waitcnt vmcnt(0)
	v_xor_b32_e32 v8, v6, v7
	v_cls_i32_e32 v9, v7
	s_delay_alu instid0(VALU_DEP_2) | instskip(NEXT) | instid1(VALU_DEP_2)
	v_ashrrev_i32_e32 v8, 31, v8
	v_add_nc_u32_e32 v9, -1, v9
	s_delay_alu instid0(VALU_DEP_2) | instskip(NEXT) | instid1(VALU_DEP_1)
	v_add_nc_u32_e32 v8, 32, v8
	v_min_u32_e32 v8, v9, v8
	s_delay_alu instid0(VALU_DEP_1) | instskip(NEXT) | instid1(VALU_DEP_1)
	v_lshlrev_b64 v[6:7], v8, v[6:7]
	v_min_u32_e32 v6, 1, v6
	s_delay_alu instid0(VALU_DEP_1) | instskip(SKIP_1) | instid1(VALU_DEP_2)
	v_or_b32_e32 v6, v7, v6
	v_sub_nc_u32_e32 v7, 32, v8
	v_cvt_f32_i32_e32 v6, v6
	s_delay_alu instid0(VALU_DEP_1) | instskip(NEXT) | instid1(VALU_DEP_1)
	v_ldexp_f32 v6, v6, v7
	v_cvt_f16_f32_e32 v6, v6
	s_branch .LBB97_667
.LBB97_664:
	s_mov_b32 s2, -1
                                        ; implicit-def: $vgpr6
	s_branch .LBB97_673
.LBB97_665:
	s_mov_b32 s2, -1
                                        ; implicit-def: $vgpr6
	s_branch .LBB97_670
.LBB97_666:
	s_mov_b32 s2, -1
                                        ; implicit-def: $vgpr6
.LBB97_667:
	s_delay_alu instid0(SALU_CYCLE_1)
	s_and_not1_b32 vcc_lo, exec_lo, s2
	s_cbranch_vccnz .LBB97_669
; %bb.668:
	global_load_b32 v6, v[1:2], off
	s_waitcnt vmcnt(0)
	v_cvt_f32_i32_e32 v6, v6
	s_delay_alu instid0(VALU_DEP_1)
	v_cvt_f16_f32_e32 v6, v6
.LBB97_669:
	s_mov_b32 s2, 0
.LBB97_670:
	s_delay_alu instid0(SALU_CYCLE_1)
	s_and_not1_b32 vcc_lo, exec_lo, s2
	s_cbranch_vccnz .LBB97_672
; %bb.671:
	global_load_u16 v6, v[1:2], off
	s_waitcnt vmcnt(0)
	v_cvt_f16_i16_e32 v6, v6
.LBB97_672:
	s_mov_b32 s2, 0
.LBB97_673:
	s_delay_alu instid0(SALU_CYCLE_1)
	s_and_not1_b32 vcc_lo, exec_lo, s2
	s_cbranch_vccnz .LBB97_679
; %bb.674:
	v_cmp_lt_i16_e32 vcc_lo, 0, v4
	s_mov_b32 s2, 0
	s_cbranch_vccz .LBB97_676
; %bb.675:
	global_load_i8 v6, v[1:2], off
	s_waitcnt vmcnt(0)
	v_cvt_f16_i16_e32 v6, v6
	s_branch .LBB97_677
.LBB97_676:
	s_mov_b32 s2, -1
                                        ; implicit-def: $vgpr6
.LBB97_677:
	s_delay_alu instid0(SALU_CYCLE_1)
	s_and_not1_b32 vcc_lo, exec_lo, s2
	s_cbranch_vccnz .LBB97_679
; %bb.678:
	global_load_u8 v1, v[1:2], off
	s_waitcnt vmcnt(0)
	v_cvt_f16_u16_e32 v6, v1
.LBB97_679:
	s_mov_b32 s2, -1
.LBB97_680:
	s_delay_alu instid0(SALU_CYCLE_1)
	s_and_not1_b32 vcc_lo, exec_lo, s2
	s_cbranch_vccnz .LBB97_688
; %bb.681:
	s_waitcnt vmcnt(0)
	v_cvt_f32_f16_e32 v1, v6
	s_mov_b32 s2, 0x3fb8aa3b
	s_mov_b32 s22, 0
	s_mov_b32 s23, -1
	s_delay_alu instid0(VALU_DEP_1) | instskip(SKIP_1) | instid1(VALU_DEP_2)
	v_mul_f32_e32 v2, 0x3fb8aa3b, v1
	v_cmp_ngt_f32_e32 vcc_lo, 0xc2ce8ed0, v1
	v_rndne_f32_e32 v7, v2
	v_fma_mix_f32 v8, v6, s2, -v2 op_sel_hi:[1,0,0]
	s_mov_b32 s2, 0x32a5705f
	s_delay_alu instid0(VALU_DEP_2) | instskip(NEXT) | instid1(VALU_DEP_2)
	v_sub_f32_e32 v2, v2, v7
	v_fma_mix_f32 v6, v6, s2, v8 op_sel_hi:[1,0,0]
	v_cmp_nlt_f32_e64 s2, 0x42b17218, v1
	s_delay_alu instid0(VALU_DEP_2) | instskip(SKIP_1) | instid1(VALU_DEP_2)
	v_add_f32_e32 v2, v2, v6
	v_cvt_i32_f32_e32 v6, v7
	v_exp_f32_e32 v2, v2
	s_waitcnt_depctr 0xfff
	v_ldexp_f32 v2, v2, v6
	v_and_b32_e32 v6, 0xff, v3
	s_delay_alu instid0(VALU_DEP_2) | instskip(NEXT) | instid1(VALU_DEP_2)
	v_cndmask_b32_e32 v2, 0, v2, vcc_lo
	v_cmp_gt_i16_e32 vcc_lo, 11, v6
	s_delay_alu instid0(VALU_DEP_2) | instskip(SKIP_1) | instid1(VALU_DEP_1)
	v_cndmask_b32_e64 v2, 0x7f800000, v2, s2
	v_add_co_u32 v0, s2, s4, v0
	v_add_co_ci_u32_e64 v1, null, s5, 0, s2
	s_delay_alu instid0(VALU_DEP_3)
	v_cvt_f16_f32_e32 v2, v2
	s_mov_b32 s2, s38
	s_cbranch_vccnz .LBB97_689
; %bb.682:
	v_cmp_lt_i16_e32 vcc_lo, 25, v6
	s_cbranch_vccz .LBB97_730
; %bb.683:
	v_cmp_lt_i16_e32 vcc_lo, 28, v6
	s_cbranch_vccz .LBB97_731
	;; [unrolled: 3-line block ×4, first 2 shown]
; %bb.686:
	v_cmp_eq_u16_e32 vcc_lo, 46, v6
	s_mov_b32 s23, 0
	s_mov_b32 s2, -1
	s_cbranch_vccz .LBB97_734
; %bb.687:
	v_cvt_f32_f16_e32 v7, v2
	v_cmp_o_f16_e32 vcc_lo, v2, v2
	s_mov_b32 s22, -1
	s_mov_b32 s2, 0
	s_delay_alu instid0(VALU_DEP_2) | instskip(NEXT) | instid1(VALU_DEP_1)
	v_bfe_u32 v8, v7, 16, 1
	v_add3_u32 v7, v7, v8, 0x7fff
	s_delay_alu instid0(VALU_DEP_1) | instskip(NEXT) | instid1(VALU_DEP_1)
	v_lshrrev_b32_e32 v7, 16, v7
	v_cndmask_b32_e32 v7, 0x7fc0, v7, vcc_lo
	global_store_b32 v[0:1], v7, off
	s_branch .LBB97_734
.LBB97_688:
	s_mov_b32 s41, 0
	s_mov_b32 s2, s38
	s_branch .LBB97_729
.LBB97_689:
	s_and_b32 vcc_lo, exec_lo, s23
	s_cbranch_vccz .LBB97_803
; %bb.690:
	v_cmp_gt_i16_e32 vcc_lo, 5, v6
	s_mov_b32 s22, -1
	s_cbranch_vccnz .LBB97_711
; %bb.691:
	v_cmp_gt_i16_e32 vcc_lo, 8, v6
	s_cbranch_vccnz .LBB97_701
; %bb.692:
	v_cmp_gt_i16_e32 vcc_lo, 9, v6
	s_cbranch_vccnz .LBB97_698
; %bb.693:
	v_cmp_lt_i16_e32 vcc_lo, 9, v6
	s_cbranch_vccz .LBB97_695
; %bb.694:
	v_cvt_f32_f16_e32 v7, v2
	v_mov_b32_e32 v9, 0
	s_mov_b32 s22, 0
	s_delay_alu instid0(VALU_DEP_2) | instskip(NEXT) | instid1(VALU_DEP_2)
	v_cvt_f64_f32_e32 v[7:8], v7
	v_mov_b32_e32 v10, v9
	global_store_b128 v[0:1], v[7:10], off
.LBB97_695:
	s_and_not1_b32 vcc_lo, exec_lo, s22
	s_cbranch_vccnz .LBB97_697
; %bb.696:
	v_cvt_f32_f16_e32 v7, v2
	v_mov_b32_e32 v8, 0
	global_store_b64 v[0:1], v[7:8], off
.LBB97_697:
	s_mov_b32 s22, 0
.LBB97_698:
	s_delay_alu instid0(SALU_CYCLE_1)
	s_and_not1_b32 vcc_lo, exec_lo, s22
	s_cbranch_vccnz .LBB97_700
; %bb.699:
	v_and_b32_e32 v7, 0xffff, v2
	global_store_b32 v[0:1], v7, off
.LBB97_700:
	s_mov_b32 s22, 0
.LBB97_701:
	s_delay_alu instid0(SALU_CYCLE_1)
	s_and_not1_b32 vcc_lo, exec_lo, s22
	s_cbranch_vccnz .LBB97_710
; %bb.702:
	v_cmp_gt_i16_e32 vcc_lo, 6, v6
	s_mov_b32 s22, -1
	s_cbranch_vccnz .LBB97_708
; %bb.703:
	v_cmp_lt_i16_e32 vcc_lo, 6, v6
	s_cbranch_vccz .LBB97_705
; %bb.704:
	v_cvt_f32_f16_e32 v7, v2
	s_mov_b32 s22, 0
	s_delay_alu instid0(VALU_DEP_1)
	v_cvt_f64_f32_e32 v[7:8], v7
	global_store_b64 v[0:1], v[7:8], off
.LBB97_705:
	s_and_not1_b32 vcc_lo, exec_lo, s22
	s_cbranch_vccnz .LBB97_707
; %bb.706:
	v_cvt_f32_f16_e32 v7, v2
	global_store_b32 v[0:1], v7, off
.LBB97_707:
	s_mov_b32 s22, 0
.LBB97_708:
	s_delay_alu instid0(SALU_CYCLE_1)
	s_and_not1_b32 vcc_lo, exec_lo, s22
	s_cbranch_vccnz .LBB97_710
; %bb.709:
	global_store_b16 v[0:1], v2, off
.LBB97_710:
	s_mov_b32 s22, 0
.LBB97_711:
	s_delay_alu instid0(SALU_CYCLE_1)
	s_and_not1_b32 vcc_lo, exec_lo, s22
	s_cbranch_vccnz .LBB97_727
; %bb.712:
	v_cmp_gt_i16_e32 vcc_lo, 2, v6
	s_mov_b32 s22, -1
	s_cbranch_vccnz .LBB97_722
; %bb.713:
	v_cmp_gt_i16_e32 vcc_lo, 3, v6
	s_cbranch_vccnz .LBB97_719
; %bb.714:
	v_cmp_lt_i16_e32 vcc_lo, 3, v6
	s_cbranch_vccz .LBB97_716
; %bb.715:
	v_cvt_f32_f16_e32 v7, v2
	s_mov_b32 s22, 0
	s_delay_alu instid0(VALU_DEP_1) | instskip(NEXT) | instid1(VALU_DEP_1)
	v_cvt_i32_f32_e32 v7, v7
	v_ashrrev_i32_e32 v8, 31, v7
	global_store_b64 v[0:1], v[7:8], off
.LBB97_716:
	s_and_not1_b32 vcc_lo, exec_lo, s22
	s_cbranch_vccnz .LBB97_718
; %bb.717:
	v_cvt_f32_f16_e32 v7, v2
	s_delay_alu instid0(VALU_DEP_1)
	v_cvt_i32_f32_e32 v7, v7
	global_store_b32 v[0:1], v7, off
.LBB97_718:
	s_mov_b32 s22, 0
.LBB97_719:
	s_delay_alu instid0(SALU_CYCLE_1)
	s_and_not1_b32 vcc_lo, exec_lo, s22
	s_cbranch_vccnz .LBB97_721
; %bb.720:
	v_cvt_i16_f16_e32 v7, v2
	global_store_b16 v[0:1], v7, off
.LBB97_721:
	s_mov_b32 s22, 0
.LBB97_722:
	s_delay_alu instid0(SALU_CYCLE_1)
	s_and_not1_b32 vcc_lo, exec_lo, s22
	s_cbranch_vccnz .LBB97_727
; %bb.723:
	v_cmp_lt_i16_e32 vcc_lo, 0, v6
	s_mov_b32 s22, -1
	s_cbranch_vccz .LBB97_725
; %bb.724:
	v_cvt_i16_f16_e32 v6, v2
	s_mov_b32 s22, 0
	global_store_b8 v[0:1], v6, off
.LBB97_725:
	s_and_not1_b32 vcc_lo, exec_lo, s22
	s_cbranch_vccnz .LBB97_727
; %bb.726:
	v_cvt_f32_f16_e32 v2, v2
	s_delay_alu instid0(VALU_DEP_1)
	v_cvt_i32_f32_e32 v2, v2
	global_store_b8 v[0:1], v2, off
.LBB97_727:
	s_branch .LBB97_804
.LBB97_728:
	s_mov_b32 s41, 0
.LBB97_729:
                                        ; implicit-def: $vgpr5
	s_branch .LBB97_805
.LBB97_730:
	s_mov_b32 s2, s38
	s_branch .LBB97_761
.LBB97_731:
	s_mov_b32 s2, s38
	s_branch .LBB97_744
.LBB97_732:
	s_mov_b32 s2, s38
	s_branch .LBB97_740
.LBB97_733:
	s_mov_b32 s2, s38
.LBB97_734:
	s_and_b32 vcc_lo, exec_lo, s23
	s_cbranch_vccz .LBB97_739
; %bb.735:
	v_cmp_eq_u16_e32 vcc_lo, 44, v6
	s_mov_b32 s2, -1
	s_cbranch_vccz .LBB97_739
; %bb.736:
	v_cvt_f32_f16_e32 v7, v2
	v_mov_b32_e32 v8, 0xff
	s_mov_b32 s22, exec_lo
	s_delay_alu instid0(VALU_DEP_2) | instskip(NEXT) | instid1(VALU_DEP_1)
	v_bfe_u32 v9, v7, 23, 8
	v_cmpx_ne_u32_e32 0xff, v9
; %bb.737:
	v_and_b32_e32 v8, 0x400000, v7
	v_and_or_b32 v9, 0x3fffff, v7, v9
	v_lshrrev_b32_e32 v7, 23, v7
	s_delay_alu instid0(VALU_DEP_3) | instskip(NEXT) | instid1(VALU_DEP_3)
	v_cmp_ne_u32_e32 vcc_lo, 0, v8
	v_cmp_ne_u32_e64 s2, 0, v9
	s_delay_alu instid0(VALU_DEP_1) | instskip(NEXT) | instid1(SALU_CYCLE_1)
	s_and_b32 s2, vcc_lo, s2
	v_cndmask_b32_e64 v8, 0, 1, s2
	s_delay_alu instid0(VALU_DEP_1)
	v_add_nc_u32_e32 v8, v7, v8
; %bb.738:
	s_or_b32 exec_lo, exec_lo, s22
	s_mov_b32 s22, -1
	s_mov_b32 s2, 0
	global_store_b8 v[0:1], v8, off
.LBB97_739:
	s_mov_b32 s23, 0
.LBB97_740:
	s_delay_alu instid0(SALU_CYCLE_1)
	s_and_b32 vcc_lo, exec_lo, s23
	s_cbranch_vccz .LBB97_743
; %bb.741:
	v_cmp_eq_u16_e32 vcc_lo, 29, v6
	s_mov_b32 s2, -1
	s_cbranch_vccz .LBB97_743
; %bb.742:
	v_cvt_f32_f16_e32 v7, v2
	v_mov_b32_e32 v8, 0
	s_mov_b32 s2, 0
	s_mov_b32 s22, -1
	s_mov_b32 s23, 0
	v_cvt_u32_f32_e32 v7, v7
	global_store_b64 v[0:1], v[7:8], off
	s_branch .LBB97_744
.LBB97_743:
	s_mov_b32 s23, 0
.LBB97_744:
	s_delay_alu instid0(SALU_CYCLE_1)
	s_and_b32 vcc_lo, exec_lo, s23
	s_cbranch_vccz .LBB97_760
; %bb.745:
	v_cmp_gt_i16_e32 vcc_lo, 27, v6
	s_mov_b32 s22, -1
	s_cbranch_vccnz .LBB97_751
; %bb.746:
	v_cmp_lt_i16_e32 vcc_lo, 27, v6
	s_cbranch_vccz .LBB97_748
; %bb.747:
	v_cvt_f32_f16_e32 v7, v2
	s_mov_b32 s22, 0
	s_delay_alu instid0(VALU_DEP_1)
	v_cvt_u32_f32_e32 v7, v7
	global_store_b32 v[0:1], v7, off
.LBB97_748:
	s_and_not1_b32 vcc_lo, exec_lo, s22
	s_cbranch_vccnz .LBB97_750
; %bb.749:
	v_cvt_u16_f16_e32 v7, v2
	global_store_b16 v[0:1], v7, off
.LBB97_750:
	s_mov_b32 s22, 0
.LBB97_751:
	s_delay_alu instid0(SALU_CYCLE_1)
	s_and_not1_b32 vcc_lo, exec_lo, s22
	s_cbranch_vccnz .LBB97_759
; %bb.752:
	v_cvt_f32_f16_e32 v7, v2
	v_mov_b32_e32 v9, 0x80
	s_mov_b32 s22, exec_lo
	s_delay_alu instid0(VALU_DEP_2) | instskip(NEXT) | instid1(VALU_DEP_1)
	v_and_b32_e32 v8, 0x7fffffff, v7
	v_cmpx_gt_u32_e32 0x43800000, v8
	s_cbranch_execz .LBB97_758
; %bb.753:
	v_cmp_lt_u32_e32 vcc_lo, 0x3bffffff, v8
	s_mov_b32 s23, 0
                                        ; implicit-def: $vgpr8
	s_and_saveexec_b32 s41, vcc_lo
	s_delay_alu instid0(SALU_CYCLE_1)
	s_xor_b32 s41, exec_lo, s41
	s_cbranch_execz .LBB97_832
; %bb.754:
	v_bfe_u32 v8, v7, 20, 1
	s_mov_b32 s23, exec_lo
	s_delay_alu instid0(VALU_DEP_1) | instskip(NEXT) | instid1(VALU_DEP_1)
	v_add3_u32 v8, v7, v8, 0x487ffff
	v_lshrrev_b32_e32 v8, 20, v8
	s_or_saveexec_b32 s41, s41
                                        ; implicit-def: $sgpr42
	s_delay_alu instid0(SALU_CYCLE_1)
	s_xor_b32 exec_lo, exec_lo, s41
	s_cbranch_execnz .LBB97_833
.LBB97_755:
	s_or_b32 exec_lo, exec_lo, s41
	v_mov_b32_e32 v9, s42
	s_and_saveexec_b32 s41, s23
.LBB97_756:
	v_lshrrev_b32_e32 v7, 24, v7
	s_delay_alu instid0(VALU_DEP_1)
	v_and_or_b32 v9, 0x80, v7, v8
.LBB97_757:
	s_or_b32 exec_lo, exec_lo, s41
.LBB97_758:
	s_delay_alu instid0(SALU_CYCLE_1)
	s_or_b32 exec_lo, exec_lo, s22
	global_store_b8 v[0:1], v9, off
.LBB97_759:
	s_mov_b32 s22, -1
.LBB97_760:
	s_mov_b32 s23, 0
.LBB97_761:
	s_delay_alu instid0(SALU_CYCLE_1)
	s_and_b32 vcc_lo, exec_lo, s23
	s_cbranch_vccz .LBB97_802
; %bb.762:
	v_cmp_lt_i16_e32 vcc_lo, 22, v6
	s_mov_b32 s23, -1
	s_cbranch_vccz .LBB97_794
; %bb.763:
	v_cmp_gt_i16_e32 vcc_lo, 24, v6
	s_mov_b32 s22, -1
	s_cbranch_vccnz .LBB97_783
; %bb.764:
	v_cmp_lt_i16_e32 vcc_lo, 24, v6
	s_cbranch_vccz .LBB97_772
; %bb.765:
	v_cvt_f32_f16_e32 v7, v2
	v_mov_b32_e32 v9, 0x80
	s_mov_b32 s22, exec_lo
	s_delay_alu instid0(VALU_DEP_2) | instskip(NEXT) | instid1(VALU_DEP_1)
	v_and_b32_e32 v8, 0x7fffffff, v7
	v_cmpx_gt_u32_e32 0x47800000, v8
	s_cbranch_execz .LBB97_771
; %bb.766:
	v_cmp_lt_u32_e32 vcc_lo, 0x37ffffff, v8
	s_mov_b32 s23, 0
                                        ; implicit-def: $vgpr8
	s_and_saveexec_b32 s41, vcc_lo
	s_delay_alu instid0(SALU_CYCLE_1)
	s_xor_b32 s41, exec_lo, s41
	s_cbranch_execz .LBB97_835
; %bb.767:
	v_bfe_u32 v8, v7, 21, 1
	s_mov_b32 s23, exec_lo
	s_delay_alu instid0(VALU_DEP_1) | instskip(NEXT) | instid1(VALU_DEP_1)
	v_add3_u32 v8, v7, v8, 0x88fffff
	v_lshrrev_b32_e32 v8, 21, v8
	s_or_saveexec_b32 s41, s41
                                        ; implicit-def: $sgpr42
	s_delay_alu instid0(SALU_CYCLE_1)
	s_xor_b32 exec_lo, exec_lo, s41
	s_cbranch_execnz .LBB97_836
.LBB97_768:
	s_or_b32 exec_lo, exec_lo, s41
	v_mov_b32_e32 v9, s42
	s_and_saveexec_b32 s41, s23
.LBB97_769:
	v_lshrrev_b32_e32 v7, 24, v7
	s_delay_alu instid0(VALU_DEP_1)
	v_and_or_b32 v9, 0x80, v7, v8
.LBB97_770:
	s_or_b32 exec_lo, exec_lo, s41
.LBB97_771:
	s_delay_alu instid0(SALU_CYCLE_1)
	s_or_b32 exec_lo, exec_lo, s22
	s_mov_b32 s22, 0
	global_store_b8 v[0:1], v9, off
.LBB97_772:
	s_and_b32 vcc_lo, exec_lo, s22
	s_cbranch_vccz .LBB97_782
; %bb.773:
	v_cvt_f32_f16_e32 v7, v2
	s_mov_b32 s22, exec_lo
                                        ; implicit-def: $vgpr8
	s_delay_alu instid0(VALU_DEP_1) | instskip(NEXT) | instid1(VALU_DEP_1)
	v_and_b32_e32 v9, 0x7fffffff, v7
	v_cmpx_gt_u32_e32 0x43f00000, v9
	s_xor_b32 s22, exec_lo, s22
	s_cbranch_execz .LBB97_779
; %bb.774:
	s_mov_b32 s23, exec_lo
                                        ; implicit-def: $vgpr8
	v_cmpx_lt_u32_e32 0x3c7fffff, v9
	s_xor_b32 s23, exec_lo, s23
; %bb.775:
	v_bfe_u32 v8, v7, 20, 1
	s_delay_alu instid0(VALU_DEP_1) | instskip(NEXT) | instid1(VALU_DEP_1)
	v_add3_u32 v8, v7, v8, 0x407ffff
	v_and_b32_e32 v9, 0xff00000, v8
	v_lshrrev_b32_e32 v8, 20, v8
	s_delay_alu instid0(VALU_DEP_2) | instskip(NEXT) | instid1(VALU_DEP_2)
	v_cmp_ne_u32_e32 vcc_lo, 0x7f00000, v9
	v_cndmask_b32_e32 v8, 0x7e, v8, vcc_lo
; %bb.776:
	s_and_not1_saveexec_b32 s23, s23
; %bb.777:
	v_add_f32_e64 v8, 0x46800000, |v7|
; %bb.778:
	s_or_b32 exec_lo, exec_lo, s23
                                        ; implicit-def: $vgpr9
.LBB97_779:
	s_and_not1_saveexec_b32 s22, s22
; %bb.780:
	v_mov_b32_e32 v8, 0x7f
	v_cmp_lt_u32_e32 vcc_lo, 0x7f800000, v9
	s_delay_alu instid0(VALU_DEP_2)
	v_cndmask_b32_e32 v8, 0x7e, v8, vcc_lo
; %bb.781:
	s_or_b32 exec_lo, exec_lo, s22
	v_lshrrev_b32_e32 v7, 24, v7
	s_delay_alu instid0(VALU_DEP_1)
	v_and_or_b32 v7, 0x80, v7, v8
	global_store_b8 v[0:1], v7, off
.LBB97_782:
	s_mov_b32 s22, 0
.LBB97_783:
	s_delay_alu instid0(SALU_CYCLE_1)
	s_and_not1_b32 vcc_lo, exec_lo, s22
	s_cbranch_vccnz .LBB97_793
; %bb.784:
	v_cvt_f32_f16_e32 v7, v2
	s_mov_b32 s22, exec_lo
                                        ; implicit-def: $vgpr8
	s_delay_alu instid0(VALU_DEP_1) | instskip(NEXT) | instid1(VALU_DEP_1)
	v_and_b32_e32 v9, 0x7fffffff, v7
	v_cmpx_gt_u32_e32 0x47800000, v9
	s_xor_b32 s22, exec_lo, s22
	s_cbranch_execz .LBB97_790
; %bb.785:
	s_mov_b32 s23, exec_lo
                                        ; implicit-def: $vgpr8
	v_cmpx_lt_u32_e32 0x387fffff, v9
	s_xor_b32 s23, exec_lo, s23
; %bb.786:
	v_bfe_u32 v8, v7, 21, 1
	s_delay_alu instid0(VALU_DEP_1) | instskip(NEXT) | instid1(VALU_DEP_1)
	v_add3_u32 v8, v7, v8, 0x80fffff
	v_lshrrev_b32_e32 v8, 21, v8
; %bb.787:
	s_and_not1_saveexec_b32 s23, s23
; %bb.788:
	v_add_f32_e64 v8, 0x43000000, |v7|
; %bb.789:
	s_or_b32 exec_lo, exec_lo, s23
                                        ; implicit-def: $vgpr9
.LBB97_790:
	s_and_not1_saveexec_b32 s22, s22
; %bb.791:
	v_mov_b32_e32 v8, 0x7f
	v_cmp_lt_u32_e32 vcc_lo, 0x7f800000, v9
	s_delay_alu instid0(VALU_DEP_2)
	v_cndmask_b32_e32 v8, 0x7c, v8, vcc_lo
; %bb.792:
	s_or_b32 exec_lo, exec_lo, s22
	v_lshrrev_b32_e32 v7, 24, v7
	s_delay_alu instid0(VALU_DEP_1)
	v_and_or_b32 v7, 0x80, v7, v8
	global_store_b8 v[0:1], v7, off
.LBB97_793:
	s_mov_b32 s23, 0
	s_mov_b32 s22, -1
.LBB97_794:
	s_and_not1_b32 vcc_lo, exec_lo, s23
	s_cbranch_vccnz .LBB97_802
; %bb.795:
	v_cmp_lt_i16_e32 vcc_lo, 14, v6
	s_mov_b32 s23, -1
	s_cbranch_vccz .LBB97_799
; %bb.796:
	v_cmp_eq_u16_e32 vcc_lo, 15, v6
	s_mov_b32 s2, -1
	s_cbranch_vccz .LBB97_798
; %bb.797:
	v_cvt_f32_f16_e32 v7, v2
	v_cmp_o_f16_e32 vcc_lo, v2, v2
	s_mov_b32 s22, -1
	s_mov_b32 s2, 0
	s_delay_alu instid0(VALU_DEP_2) | instskip(NEXT) | instid1(VALU_DEP_1)
	v_bfe_u32 v8, v7, 16, 1
	v_add3_u32 v7, v7, v8, 0x7fff
	s_delay_alu instid0(VALU_DEP_1) | instskip(NEXT) | instid1(VALU_DEP_1)
	v_lshrrev_b32_e32 v7, 16, v7
	v_cndmask_b32_e32 v7, 0x7fc0, v7, vcc_lo
	global_store_b16 v[0:1], v7, off
.LBB97_798:
	s_mov_b32 s23, 0
.LBB97_799:
	s_delay_alu instid0(SALU_CYCLE_1)
	s_and_b32 vcc_lo, exec_lo, s23
	s_cbranch_vccz .LBB97_802
; %bb.800:
	v_cmp_eq_u16_e32 vcc_lo, 11, v6
	s_mov_b32 s2, -1
	s_cbranch_vccz .LBB97_802
; %bb.801:
	v_cmp_neq_f16_e32 vcc_lo, 0, v2
	s_mov_b32 s2, 0
	s_mov_b32 s22, -1
	v_cndmask_b32_e64 v7, 0, 1, vcc_lo
	global_store_b8 v[0:1], v7, off
.LBB97_802:
.LBB97_803:
	s_and_not1_b32 vcc_lo, exec_lo, s22
	s_cbranch_vccnz .LBB97_728
.LBB97_804:
	v_add_nc_u32_e32 v5, 0x80, v5
	s_mov_b32 s41, -1
.LBB97_805:
	s_and_not1_b32 s22, s38, exec_lo
	s_and_b32 s2, s2, exec_lo
	s_and_not1_b32 s42, s37, exec_lo
	s_and_b32 s3, s3, exec_lo
	s_or_b32 s23, s22, s2
	s_or_b32 s22, s42, s3
	s_or_not1_b32 s42, s41, exec_lo
.LBB97_806:
	s_or_b32 exec_lo, exec_lo, s40
	s_mov_b32 s2, 0
	s_mov_b32 s3, 0
	;; [unrolled: 1-line block ×3, first 2 shown]
                                        ; implicit-def: $vgpr1_vgpr2
                                        ; implicit-def: $vgpr0
                                        ; implicit-def: $vgpr6
	s_and_saveexec_b32 s40, s42
	s_cbranch_execz .LBB97_904
; %bb.807:
	v_cmp_gt_i32_e32 vcc_lo, s30, v5
	s_mov_b32 s43, s22
	s_mov_b32 s42, 0
                                        ; implicit-def: $vgpr1_vgpr2
                                        ; implicit-def: $vgpr0
                                        ; implicit-def: $vgpr6
	s_and_saveexec_b32 s30, vcc_lo
	s_cbranch_execz .LBB97_903
; %bb.808:
	s_and_not1_b32 vcc_lo, exec_lo, s27
	s_cbranch_vccnz .LBB97_813
; %bb.809:
	v_dual_mov_b32 v0, 0 :: v_dual_mov_b32 v1, 0
	s_and_not1_b32 vcc_lo, exec_lo, s33
	s_mov_b32 s33, 0
	s_cbranch_vccnz .LBB97_818
; %bb.810:
	v_mov_b32_e32 v0, 0
	s_add_i32 s41, s31, 1
	s_cmp_eq_u32 s25, 2
	s_mov_b32 s31, 0
	s_cbranch_scc1 .LBB97_814
; %bb.811:
	v_dual_mov_b32 v1, 0 :: v_dual_mov_b32 v0, 0
	v_mov_b32_e32 v2, v5
	s_and_b32 s31, s41, 28
	s_mov_b64 s[2:3], s[16:17]
.LBB97_812:                             ; =>This Inner Loop Header: Depth=1
	s_clause 0x1
	s_load_b256 s[44:51], s[2:3], 0x4
	s_load_b128 s[60:63], s[2:3], 0x24
	s_load_b256 s[52:59], s[20:21], 0x0
	s_add_u32 s2, s2, 48
	s_addc_u32 s3, s3, 0
	s_add_i32 s42, s42, 4
	s_add_u32 s20, s20, 32
	s_addc_u32 s21, s21, 0
	s_cmp_eq_u32 s31, s42
	s_waitcnt vmcnt(0) lgkmcnt(0)
	v_mul_hi_u32 v6, s45, v2
	s_delay_alu instid0(VALU_DEP_1) | instskip(NEXT) | instid1(VALU_DEP_1)
	v_add_nc_u32_e32 v6, v2, v6
	v_lshrrev_b32_e32 v6, s46, v6
	s_delay_alu instid0(VALU_DEP_1) | instskip(SKIP_1) | instid1(VALU_DEP_2)
	v_mul_hi_u32 v7, s48, v6
	v_mul_lo_u32 v9, v6, s44
	v_add_nc_u32_e32 v7, v6, v7
	s_delay_alu instid0(VALU_DEP_2) | instskip(NEXT) | instid1(VALU_DEP_2)
	v_sub_nc_u32_e32 v2, v2, v9
	v_lshrrev_b32_e32 v7, s49, v7
	s_delay_alu instid0(VALU_DEP_2) | instskip(SKIP_1) | instid1(VALU_DEP_3)
	v_mul_lo_u32 v9, v2, s52
	v_mul_lo_u32 v11, v2, s53
	v_mul_hi_u32 v8, s51, v7
	s_delay_alu instid0(VALU_DEP_1) | instskip(NEXT) | instid1(VALU_DEP_1)
	v_add_nc_u32_e32 v8, v7, v8
	v_lshrrev_b32_e32 v8, s60, v8
	s_delay_alu instid0(VALU_DEP_1) | instskip(SKIP_1) | instid1(VALU_DEP_2)
	v_mul_hi_u32 v10, s62, v8
	v_mul_lo_u32 v12, v8, s50
	v_add_nc_u32_e32 v2, v8, v10
	v_mul_lo_u32 v10, v7, s47
	s_delay_alu instid0(VALU_DEP_3) | instskip(NEXT) | instid1(VALU_DEP_3)
	v_sub_nc_u32_e32 v7, v7, v12
	v_lshrrev_b32_e32 v2, s63, v2
	s_delay_alu instid0(VALU_DEP_2) | instskip(SKIP_2) | instid1(VALU_DEP_4)
	v_mul_lo_u32 v12, v7, s56
	v_mul_lo_u32 v7, v7, s57
	v_sub_nc_u32_e32 v6, v6, v10
	v_mul_lo_u32 v13, v2, s61
	s_delay_alu instid0(VALU_DEP_2) | instskip(SKIP_1) | instid1(VALU_DEP_3)
	v_mul_lo_u32 v10, v6, s54
	v_mul_lo_u32 v6, v6, s55
	v_sub_nc_u32_e32 v8, v8, v13
	s_delay_alu instid0(VALU_DEP_3) | instskip(NEXT) | instid1(VALU_DEP_2)
	v_add3_u32 v0, v9, v0, v10
	v_mul_lo_u32 v13, v8, s58
	v_mul_lo_u32 v8, v8, s59
	v_add3_u32 v1, v11, v1, v6
	s_delay_alu instid0(VALU_DEP_3) | instskip(NEXT) | instid1(VALU_DEP_2)
	v_add3_u32 v0, v12, v0, v13
	v_add3_u32 v1, v7, v1, v8
	s_cbranch_scc0 .LBB97_812
	s_branch .LBB97_815
.LBB97_813:
	s_mov_b32 s33, -1
                                        ; implicit-def: $vgpr0
                                        ; implicit-def: $vgpr1
	s_branch .LBB97_818
.LBB97_814:
	v_dual_mov_b32 v2, v5 :: v_dual_mov_b32 v1, 0
.LBB97_815:
	s_and_b32 s41, s41, 3
	s_delay_alu instid0(SALU_CYCLE_1)
	s_cmp_eq_u32 s41, 0
	s_cbranch_scc1 .LBB97_818
; %bb.816:
	s_lshl_b32 s2, s31, 3
	s_mul_i32 s20, s31, 12
	s_add_u32 s2, s2, s16
	s_addc_u32 s3, s17, 0
	s_add_u32 s2, s2, 0xc4
	s_addc_u32 s3, s3, 0
	;; [unrolled: 2-line block ×3, first 2 shown]
.LBB97_817:                             ; =>This Inner Loop Header: Depth=1
	s_clause 0x1
	s_load_b64 s[42:43], s[20:21], 0x4
	s_load_b32 s31, s[20:21], 0xc
	s_load_b64 s[44:45], s[2:3], 0x0
	s_add_u32 s20, s20, 12
	s_addc_u32 s21, s21, 0
	s_add_u32 s2, s2, 8
	s_addc_u32 s3, s3, 0
	s_add_i32 s41, s41, -1
	s_delay_alu instid0(SALU_CYCLE_1) | instskip(SKIP_2) | instid1(VALU_DEP_1)
	s_cmp_lg_u32 s41, 0
	s_waitcnt vmcnt(0) lgkmcnt(0)
	v_mul_hi_u32 v6, s43, v2
	v_add_nc_u32_e32 v6, v2, v6
	s_delay_alu instid0(VALU_DEP_1) | instskip(NEXT) | instid1(VALU_DEP_1)
	v_lshrrev_b32_e32 v9, s31, v6
	v_mul_lo_u32 v6, v9, s42
	s_delay_alu instid0(VALU_DEP_1) | instskip(NEXT) | instid1(VALU_DEP_1)
	v_sub_nc_u32_e32 v2, v2, v6
	v_mad_u64_u32 v[6:7], null, v2, s44, v[0:1]
	v_mad_u64_u32 v[7:8], null, v2, s45, v[1:2]
	v_mov_b32_e32 v2, v9
	s_delay_alu instid0(VALU_DEP_2)
	v_dual_mov_b32 v0, v6 :: v_dual_mov_b32 v1, v7
	s_cbranch_scc1 .LBB97_817
.LBB97_818:
	s_and_not1_b32 vcc_lo, exec_lo, s33
	s_cbranch_vccnz .LBB97_821
; %bb.819:
	s_waitcnt lgkmcnt(0)
	v_mul_hi_u32 v0, s13, v5
	s_and_not1_b32 vcc_lo, exec_lo, s29
	s_delay_alu instid0(VALU_DEP_1) | instskip(NEXT) | instid1(VALU_DEP_1)
	v_add_nc_u32_e32 v0, v5, v0
	v_lshrrev_b32_e32 v2, s14, v0
	s_delay_alu instid0(VALU_DEP_1) | instskip(NEXT) | instid1(VALU_DEP_1)
	v_mul_lo_u32 v0, v2, s12
	v_sub_nc_u32_e32 v1, v5, v0
	s_delay_alu instid0(VALU_DEP_1)
	v_mul_lo_u32 v0, v1, s8
	v_mul_lo_u32 v1, v1, s9
	s_cbranch_vccnz .LBB97_821
; %bb.820:
	v_mul_hi_u32 v5, s18, v2
	s_delay_alu instid0(VALU_DEP_1) | instskip(NEXT) | instid1(VALU_DEP_1)
	v_add_nc_u32_e32 v5, v2, v5
	v_lshrrev_b32_e32 v5, s19, v5
	s_delay_alu instid0(VALU_DEP_1) | instskip(NEXT) | instid1(VALU_DEP_1)
	v_mul_lo_u32 v5, v5, s15
	v_sub_nc_u32_e32 v2, v2, v5
	s_waitcnt vmcnt(0)
	s_delay_alu instid0(VALU_DEP_1) | instskip(SKIP_1) | instid1(VALU_DEP_1)
	v_mad_u64_u32 v[5:6], null, v2, s10, v[0:1]
	v_mad_u64_u32 v[6:7], null, v2, s11, v[1:2]
	v_dual_mov_b32 v0, v5 :: v_dual_mov_b32 v1, v6
.LBB97_821:
	v_cmp_gt_i16_e32 vcc_lo, 11, v4
	s_waitcnt lgkmcnt(0)
	s_delay_alu instid0(VALU_DEP_2) | instskip(NEXT) | instid1(VALU_DEP_1)
	v_add_co_u32 v1, s2, s6, v1
	v_add_co_ci_u32_e64 v2, null, s7, 0, s2
	s_mov_b32 s6, 0
	s_cbranch_vccnz .LBB97_828
; %bb.822:
	v_cmp_lt_i16_e32 vcc_lo, 25, v4
	s_mov_b32 s3, 0
	s_cbranch_vccz .LBB97_829
; %bb.823:
	v_cmp_lt_i16_e32 vcc_lo, 28, v4
	s_cbranch_vccz .LBB97_830
; %bb.824:
	v_cmp_lt_i16_e32 vcc_lo, 43, v4
	s_cbranch_vccz .LBB97_831
; %bb.825:
	v_cmp_lt_i16_e32 vcc_lo, 45, v4
	s_cbranch_vccz .LBB97_834
; %bb.826:
	v_cmp_eq_u16_e32 vcc_lo, 46, v4
	s_mov_b32 s7, 0
	s_cbranch_vccz .LBB97_837
; %bb.827:
	global_load_b32 v5, v[1:2], off
	s_mov_b32 s2, 0
	s_mov_b32 s6, -1
	s_waitcnt vmcnt(0)
	v_lshlrev_b32_e32 v5, 16, v5
	s_delay_alu instid0(VALU_DEP_1)
	v_cvt_f16_f32_e32 v6, v5
	s_branch .LBB97_839
.LBB97_828:
	s_mov_b32 s7, -1
	s_mov_b32 s3, 0
	s_mov_b32 s2, s22
                                        ; implicit-def: $vgpr6
	s_branch .LBB97_902
.LBB97_829:
	s_mov_b32 s7, -1
	s_mov_b32 s2, s22
                                        ; implicit-def: $vgpr6
	s_branch .LBB97_868
.LBB97_830:
	s_mov_b32 s7, -1
	s_mov_b32 s2, s22
                                        ; implicit-def: $vgpr6
	s_branch .LBB97_849
.LBB97_831:
	s_mov_b32 s7, -1
	s_mov_b32 s2, s22
                                        ; implicit-def: $vgpr6
	s_branch .LBB97_844
.LBB97_832:
	s_or_saveexec_b32 s41, s41
                                        ; implicit-def: $sgpr42
	s_delay_alu instid0(SALU_CYCLE_1)
	s_xor_b32 exec_lo, exec_lo, s41
	s_cbranch_execz .LBB97_755
.LBB97_833:
	v_add_f32_e64 v8, 0x46000000, |v7|
	s_and_not1_b32 s23, s23, exec_lo
	s_mov_b32 s42, 0
	s_delay_alu instid0(VALU_DEP_1) | instskip(NEXT) | instid1(VALU_DEP_1)
	v_and_b32_e32 v8, 0xff, v8
	v_cmp_ne_u32_e32 vcc_lo, 0, v8
	s_and_b32 s43, vcc_lo, exec_lo
	s_delay_alu instid0(SALU_CYCLE_1)
	s_or_b32 s23, s23, s43
	s_or_b32 exec_lo, exec_lo, s41
	v_mov_b32_e32 v9, s42
	s_and_saveexec_b32 s41, s23
	s_cbranch_execnz .LBB97_756
	s_branch .LBB97_757
.LBB97_834:
	s_mov_b32 s7, -1
	s_mov_b32 s2, s22
	s_branch .LBB97_838
.LBB97_835:
	s_or_saveexec_b32 s41, s41
                                        ; implicit-def: $sgpr42
	s_delay_alu instid0(SALU_CYCLE_1)
	s_xor_b32 exec_lo, exec_lo, s41
	s_cbranch_execz .LBB97_768
.LBB97_836:
	v_add_f32_e64 v8, 0x42800000, |v7|
	s_and_not1_b32 s23, s23, exec_lo
	s_mov_b32 s42, 0
	s_delay_alu instid0(VALU_DEP_1) | instskip(NEXT) | instid1(VALU_DEP_1)
	v_and_b32_e32 v8, 0xff, v8
	v_cmp_ne_u32_e32 vcc_lo, 0, v8
	s_and_b32 s43, vcc_lo, exec_lo
	s_delay_alu instid0(SALU_CYCLE_1)
	s_or_b32 s23, s23, s43
	s_or_b32 exec_lo, exec_lo, s41
	v_mov_b32_e32 v9, s42
	s_and_saveexec_b32 s41, s23
	s_cbranch_execnz .LBB97_769
	s_branch .LBB97_770
.LBB97_837:
	s_mov_b32 s2, -1
.LBB97_838:
                                        ; implicit-def: $vgpr6
.LBB97_839:
	s_and_b32 vcc_lo, exec_lo, s7
	s_cbranch_vccz .LBB97_843
; %bb.840:
	v_cmp_eq_u16_e32 vcc_lo, 44, v4
	s_cbranch_vccz .LBB97_842
; %bb.841:
	global_load_u8 v5, v[1:2], off
	s_mov_b32 s2, 0
	s_mov_b32 s6, -1
	s_waitcnt vmcnt(0)
	v_lshlrev_b32_e32 v6, 23, v5
	v_cmp_ne_u32_e32 vcc_lo, 0xff, v5
	s_delay_alu instid0(VALU_DEP_2) | instskip(NEXT) | instid1(VALU_DEP_1)
	v_cvt_f16_f32_e32 v6, v6
	v_cndmask_b32_e32 v6, 0x7e00, v6, vcc_lo
	v_cmp_ne_u32_e32 vcc_lo, 0, v5
	s_delay_alu instid0(VALU_DEP_2)
	v_cndmask_b32_e32 v6, 0, v6, vcc_lo
	s_branch .LBB97_843
.LBB97_842:
	s_mov_b32 s2, -1
                                        ; implicit-def: $vgpr6
.LBB97_843:
	s_mov_b32 s7, 0
.LBB97_844:
	s_delay_alu instid0(SALU_CYCLE_1)
	s_and_b32 vcc_lo, exec_lo, s7
	s_cbranch_vccz .LBB97_848
; %bb.845:
	v_cmp_eq_u16_e32 vcc_lo, 29, v4
	s_cbranch_vccz .LBB97_847
; %bb.846:
	global_load_b64 v[5:6], v[1:2], off
	s_mov_b32 s2, 0
	s_mov_b32 s6, -1
	s_mov_b32 s7, 0
	s_waitcnt vmcnt(0)
	v_clz_i32_u32_e32 v7, v6
	s_delay_alu instid0(VALU_DEP_1) | instskip(NEXT) | instid1(VALU_DEP_1)
	v_min_u32_e32 v7, 32, v7
	v_lshlrev_b64 v[5:6], v7, v[5:6]
	s_delay_alu instid0(VALU_DEP_1) | instskip(NEXT) | instid1(VALU_DEP_1)
	v_min_u32_e32 v5, 1, v5
	v_or_b32_e32 v5, v6, v5
	v_sub_nc_u32_e32 v6, 32, v7
	s_delay_alu instid0(VALU_DEP_2) | instskip(NEXT) | instid1(VALU_DEP_1)
	v_cvt_f32_u32_e32 v5, v5
	v_ldexp_f32 v5, v5, v6
	s_delay_alu instid0(VALU_DEP_1)
	v_cvt_f16_f32_e32 v6, v5
	s_branch .LBB97_849
.LBB97_847:
	s_mov_b32 s2, -1
                                        ; implicit-def: $vgpr6
.LBB97_848:
	s_mov_b32 s7, 0
.LBB97_849:
	s_delay_alu instid0(SALU_CYCLE_1)
	s_and_b32 vcc_lo, exec_lo, s7
	s_cbranch_vccz .LBB97_867
; %bb.850:
	v_cmp_gt_i16_e32 vcc_lo, 27, v4
	s_cbranch_vccnz .LBB97_853
; %bb.851:
	v_cmp_lt_i16_e32 vcc_lo, 27, v4
	s_cbranch_vccz .LBB97_854
; %bb.852:
	global_load_b32 v5, v[1:2], off
	s_mov_b32 s6, 0
	s_waitcnt vmcnt(0)
	v_cvt_f32_u32_e32 v5, v5
	s_delay_alu instid0(VALU_DEP_1)
	v_cvt_f16_f32_e32 v6, v5
	s_branch .LBB97_855
.LBB97_853:
	s_mov_b32 s6, -1
                                        ; implicit-def: $vgpr6
	s_branch .LBB97_858
.LBB97_854:
	s_mov_b32 s6, -1
                                        ; implicit-def: $vgpr6
.LBB97_855:
	s_delay_alu instid0(SALU_CYCLE_1)
	s_and_not1_b32 vcc_lo, exec_lo, s6
	s_cbranch_vccnz .LBB97_857
; %bb.856:
	global_load_u16 v5, v[1:2], off
	s_waitcnt vmcnt(0)
	v_cvt_f16_u16_e32 v6, v5
.LBB97_857:
	s_mov_b32 s6, 0
.LBB97_858:
	s_delay_alu instid0(SALU_CYCLE_1)
	s_and_not1_b32 vcc_lo, exec_lo, s6
	s_cbranch_vccnz .LBB97_866
; %bb.859:
	global_load_u8 v5, v[1:2], off
	s_mov_b32 s6, 0
	s_mov_b32 s8, exec_lo
                                        ; implicit-def: $sgpr7
	s_waitcnt vmcnt(0)
	v_cmpx_lt_i16_e32 0x7f, v5
	s_xor_b32 s8, exec_lo, s8
	s_cbranch_execz .LBB97_880
; %bb.860:
	s_mov_b32 s6, -1
	s_mov_b32 s9, exec_lo
                                        ; implicit-def: $sgpr7
	v_cmpx_eq_u16_e32 0x80, v5
; %bb.861:
	s_movk_i32 s7, 0x7e00
	s_xor_b32 s6, exec_lo, -1
; %bb.862:
	s_or_b32 exec_lo, exec_lo, s9
	s_delay_alu instid0(SALU_CYCLE_1)
	s_and_b32 s6, s6, exec_lo
	s_or_saveexec_b32 s8, s8
	v_mov_b32_e32 v6, s7
	s_xor_b32 exec_lo, exec_lo, s8
	s_cbranch_execnz .LBB97_881
.LBB97_863:
	s_or_b32 exec_lo, exec_lo, s8
	s_and_saveexec_b32 s7, s6
	s_cbranch_execz .LBB97_865
.LBB97_864:
	v_and_b32_e32 v6, 0xffff, v5
	v_lshlrev_b32_e32 v5, 24, v5
	s_delay_alu instid0(VALU_DEP_2) | instskip(NEXT) | instid1(VALU_DEP_2)
	v_and_b32_e32 v7, 7, v6
	v_and_b32_e32 v5, 0x80000000, v5
	s_delay_alu instid0(VALU_DEP_2) | instskip(NEXT) | instid1(VALU_DEP_1)
	v_clz_i32_u32_e32 v8, v7
	v_min_u32_e32 v8, 32, v8
	s_delay_alu instid0(VALU_DEP_1) | instskip(SKIP_1) | instid1(VALU_DEP_2)
	v_subrev_nc_u32_e32 v9, 28, v8
	v_sub_nc_u32_e32 v8, 29, v8
	v_lshlrev_b32_e32 v9, v9, v6
	v_bfe_u32 v6, v6, 3, 4
	s_delay_alu instid0(VALU_DEP_2) | instskip(NEXT) | instid1(VALU_DEP_2)
	v_and_b32_e32 v9, 7, v9
	v_cmp_eq_u32_e32 vcc_lo, 0, v6
	s_delay_alu instid0(VALU_DEP_2) | instskip(NEXT) | instid1(VALU_DEP_1)
	v_dual_cndmask_b32 v6, v6, v8 :: v_dual_cndmask_b32 v7, v7, v9
	v_lshl_add_u32 v6, v6, 23, 0x3b800000
	s_delay_alu instid0(VALU_DEP_2) | instskip(NEXT) | instid1(VALU_DEP_1)
	v_lshlrev_b32_e32 v7, 20, v7
	v_or3_b32 v5, v5, v6, v7
	s_delay_alu instid0(VALU_DEP_1)
	v_cvt_f16_f32_e32 v6, v5
.LBB97_865:
	s_or_b32 exec_lo, exec_lo, s7
.LBB97_866:
	s_mov_b32 s6, -1
.LBB97_867:
	s_mov_b32 s7, 0
.LBB97_868:
	s_delay_alu instid0(SALU_CYCLE_1)
	s_and_b32 vcc_lo, exec_lo, s7
	s_cbranch_vccz .LBB97_901
; %bb.869:
	v_cmp_lt_i16_e32 vcc_lo, 22, v4
	s_cbranch_vccz .LBB97_879
; %bb.870:
	v_cmp_gt_i16_e32 vcc_lo, 24, v4
	s_cbranch_vccnz .LBB97_882
; %bb.871:
	v_cmp_lt_i16_e32 vcc_lo, 24, v4
	s_cbranch_vccz .LBB97_883
; %bb.872:
	global_load_u8 v5, v[1:2], off
	s_mov_b32 s7, exec_lo
                                        ; implicit-def: $sgpr6
	s_waitcnt vmcnt(0)
	v_cmpx_lt_i16_e32 0x7f, v5
	s_xor_b32 s7, exec_lo, s7
	s_cbranch_execz .LBB97_895
; %bb.873:
	s_mov_b32 s3, -1
	s_mov_b32 s8, exec_lo
                                        ; implicit-def: $sgpr6
	v_cmpx_eq_u16_e32 0x80, v5
; %bb.874:
	s_movk_i32 s6, 0x7e00
	s_xor_b32 s3, exec_lo, -1
; %bb.875:
	s_or_b32 exec_lo, exec_lo, s8
	s_delay_alu instid0(SALU_CYCLE_1)
	s_and_b32 s3, s3, exec_lo
	s_or_saveexec_b32 s7, s7
	v_mov_b32_e32 v6, s6
	s_xor_b32 exec_lo, exec_lo, s7
	s_cbranch_execnz .LBB97_896
.LBB97_876:
	s_or_b32 exec_lo, exec_lo, s7
	s_and_saveexec_b32 s6, s3
	s_cbranch_execz .LBB97_878
.LBB97_877:
	v_and_b32_e32 v6, 0xffff, v5
	v_lshlrev_b32_e32 v5, 24, v5
	s_delay_alu instid0(VALU_DEP_2) | instskip(NEXT) | instid1(VALU_DEP_2)
	v_and_b32_e32 v7, 3, v6
	v_and_b32_e32 v5, 0x80000000, v5
	s_delay_alu instid0(VALU_DEP_2) | instskip(NEXT) | instid1(VALU_DEP_1)
	v_clz_i32_u32_e32 v8, v7
	v_min_u32_e32 v8, 32, v8
	s_delay_alu instid0(VALU_DEP_1) | instskip(SKIP_1) | instid1(VALU_DEP_2)
	v_subrev_nc_u32_e32 v9, 29, v8
	v_sub_nc_u32_e32 v8, 30, v8
	v_lshlrev_b32_e32 v9, v9, v6
	v_bfe_u32 v6, v6, 2, 5
	s_delay_alu instid0(VALU_DEP_2) | instskip(NEXT) | instid1(VALU_DEP_2)
	v_and_b32_e32 v9, 3, v9
	v_cmp_eq_u32_e32 vcc_lo, 0, v6
	s_delay_alu instid0(VALU_DEP_2) | instskip(NEXT) | instid1(VALU_DEP_1)
	v_dual_cndmask_b32 v6, v6, v8 :: v_dual_cndmask_b32 v7, v7, v9
	v_lshl_add_u32 v6, v6, 23, 0x37800000
	s_delay_alu instid0(VALU_DEP_2) | instskip(NEXT) | instid1(VALU_DEP_1)
	v_lshlrev_b32_e32 v7, 21, v7
	v_or3_b32 v5, v5, v6, v7
	s_delay_alu instid0(VALU_DEP_1)
	v_cvt_f16_f32_e32 v6, v5
.LBB97_878:
	s_or_b32 exec_lo, exec_lo, s6
	s_mov_b32 s3, 0
	s_branch .LBB97_884
.LBB97_879:
	s_mov_b32 s3, -1
                                        ; implicit-def: $vgpr6
	s_branch .LBB97_890
.LBB97_880:
	s_or_saveexec_b32 s8, s8
	v_mov_b32_e32 v6, s7
	s_xor_b32 exec_lo, exec_lo, s8
	s_cbranch_execz .LBB97_863
.LBB97_881:
	v_cmp_ne_u16_e32 vcc_lo, 0, v5
	v_mov_b32_e32 v6, v5
	s_and_not1_b32 s6, s6, exec_lo
	s_and_b32 s7, vcc_lo, exec_lo
	s_delay_alu instid0(SALU_CYCLE_1)
	s_or_b32 s6, s6, s7
	s_or_b32 exec_lo, exec_lo, s8
	s_and_saveexec_b32 s7, s6
	s_cbranch_execnz .LBB97_864
	s_branch .LBB97_865
.LBB97_882:
	s_mov_b32 s3, -1
                                        ; implicit-def: $vgpr6
	s_branch .LBB97_887
.LBB97_883:
	s_mov_b32 s3, -1
                                        ; implicit-def: $vgpr6
.LBB97_884:
	s_delay_alu instid0(SALU_CYCLE_1)
	s_and_b32 vcc_lo, exec_lo, s3
	s_cbranch_vccz .LBB97_886
; %bb.885:
	global_load_u8 v5, v[1:2], off
	s_waitcnt vmcnt(0)
	v_lshlrev_b32_e32 v5, 24, v5
	s_delay_alu instid0(VALU_DEP_1) | instskip(NEXT) | instid1(VALU_DEP_1)
	v_and_b32_e32 v6, 0x7f000000, v5
	v_clz_i32_u32_e32 v7, v6
	v_add_nc_u32_e32 v9, 0x1000000, v6
	v_cmp_ne_u32_e32 vcc_lo, 0, v6
	s_delay_alu instid0(VALU_DEP_3) | instskip(NEXT) | instid1(VALU_DEP_1)
	v_min_u32_e32 v7, 32, v7
	v_sub_nc_u32_e64 v7, v7, 4 clamp
	s_delay_alu instid0(VALU_DEP_1) | instskip(SKIP_1) | instid1(VALU_DEP_2)
	v_lshlrev_b32_e32 v8, v7, v6
	v_lshlrev_b32_e32 v7, 23, v7
	v_lshrrev_b32_e32 v8, 4, v8
	s_delay_alu instid0(VALU_DEP_1) | instskip(SKIP_1) | instid1(VALU_DEP_2)
	v_sub_nc_u32_e32 v7, v8, v7
	v_ashrrev_i32_e32 v8, 8, v9
	v_add_nc_u32_e32 v7, 0x3c000000, v7
	s_delay_alu instid0(VALU_DEP_1) | instskip(NEXT) | instid1(VALU_DEP_1)
	v_and_or_b32 v7, 0x7f800000, v8, v7
	v_cndmask_b32_e32 v6, 0, v7, vcc_lo
	s_delay_alu instid0(VALU_DEP_1) | instskip(NEXT) | instid1(VALU_DEP_1)
	v_and_or_b32 v5, 0x80000000, v5, v6
	v_cvt_f16_f32_e32 v6, v5
.LBB97_886:
	s_mov_b32 s3, 0
.LBB97_887:
	s_delay_alu instid0(SALU_CYCLE_1)
	s_and_not1_b32 vcc_lo, exec_lo, s3
	s_cbranch_vccnz .LBB97_889
; %bb.888:
	global_load_u8 v5, v[1:2], off
	s_waitcnt vmcnt(0)
	v_lshlrev_b32_e32 v6, 25, v5
	v_lshlrev_b16 v5, 8, v5
	s_delay_alu instid0(VALU_DEP_2) | instskip(NEXT) | instid1(VALU_DEP_2)
	v_lshrrev_b32_e32 v7, 4, v6
	v_and_or_b32 v8, 0x7f00, v5, 0.5
	v_bfe_i32 v5, v5, 0, 16
	s_delay_alu instid0(VALU_DEP_3) | instskip(NEXT) | instid1(VALU_DEP_1)
	v_or_b32_e32 v7, 0x70000000, v7
	v_dual_add_f32 v8, -0.5, v8 :: v_dual_mul_f32 v7, 0x7800000, v7
	v_cmp_gt_u32_e32 vcc_lo, 0x8000000, v6
	s_delay_alu instid0(VALU_DEP_2) | instskip(NEXT) | instid1(VALU_DEP_1)
	v_cndmask_b32_e32 v6, v7, v8, vcc_lo
	v_and_or_b32 v5, 0x80000000, v5, v6
	s_delay_alu instid0(VALU_DEP_1)
	v_cvt_f16_f32_e32 v6, v5
.LBB97_889:
	s_mov_b32 s3, 0
	s_mov_b32 s6, -1
.LBB97_890:
	s_and_not1_b32 vcc_lo, exec_lo, s3
	s_mov_b32 s3, 0
	s_cbranch_vccnz .LBB97_901
; %bb.891:
	v_cmp_lt_i16_e32 vcc_lo, 14, v4
	s_cbranch_vccz .LBB97_894
; %bb.892:
	v_cmp_eq_u16_e32 vcc_lo, 15, v4
	s_cbranch_vccz .LBB97_897
; %bb.893:
	global_load_u16 v5, v[1:2], off
	s_mov_b32 s2, 0
	s_mov_b32 s6, -1
	s_waitcnt vmcnt(0)
	v_lshlrev_b32_e32 v5, 16, v5
	s_delay_alu instid0(VALU_DEP_1)
	v_cvt_f16_f32_e32 v6, v5
	s_branch .LBB97_899
.LBB97_894:
	s_mov_b32 s3, -1
	s_branch .LBB97_898
.LBB97_895:
	s_or_saveexec_b32 s7, s7
	v_mov_b32_e32 v6, s6
	s_xor_b32 exec_lo, exec_lo, s7
	s_cbranch_execz .LBB97_876
.LBB97_896:
	v_cmp_ne_u16_e32 vcc_lo, 0, v5
	v_mov_b32_e32 v6, v5
	s_and_not1_b32 s3, s3, exec_lo
	s_and_b32 s6, vcc_lo, exec_lo
	s_delay_alu instid0(SALU_CYCLE_1)
	s_or_b32 s3, s3, s6
	s_or_b32 exec_lo, exec_lo, s7
	s_and_saveexec_b32 s6, s3
	s_cbranch_execnz .LBB97_877
	s_branch .LBB97_878
.LBB97_897:
	s_mov_b32 s2, -1
.LBB97_898:
                                        ; implicit-def: $vgpr6
.LBB97_899:
	s_and_b32 vcc_lo, exec_lo, s3
	s_mov_b32 s3, 0
	s_cbranch_vccz .LBB97_901
; %bb.900:
	v_cmp_ne_u16_e32 vcc_lo, 11, v4
	s_and_not1_b32 s2, s2, exec_lo
	s_mov_b32 s3, -1
                                        ; implicit-def: $vgpr6
	s_and_b32 s7, vcc_lo, exec_lo
	s_delay_alu instid0(SALU_CYCLE_1)
	s_or_b32 s2, s2, s7
.LBB97_901:
	s_mov_b32 s7, 0
.LBB97_902:
	s_and_b32 s41, s6, exec_lo
	s_and_b32 s42, s7, exec_lo
	s_and_not1_b32 s6, s22, exec_lo
	s_and_b32 s7, s2, exec_lo
	s_and_b32 s2, s3, exec_lo
	s_or_b32 s43, s6, s7
.LBB97_903:
	s_or_b32 exec_lo, exec_lo, s30
	s_waitcnt lgkmcnt(0)
	s_and_not1_b32 s6, s22, exec_lo
	s_and_b32 s7, s43, exec_lo
	s_and_b32 s41, s41, exec_lo
	;; [unrolled: 1-line block ×4, first 2 shown]
	s_or_b32 s22, s6, s7
.LBB97_904:
	s_or_b32 exec_lo, exec_lo, s40
	s_waitcnt lgkmcnt(0)
	s_and_not1_b32 s6, s38, exec_lo
	s_and_b32 s7, s23, exec_lo
	s_and_b32 s40, s41, exec_lo
	s_or_b32 s38, s6, s7
	s_and_not1_b32 s6, s37, exec_lo
	s_and_b32 s7, s22, exec_lo
	s_and_b32 s23, s3, exec_lo
	;; [unrolled: 1-line block ×3, first 2 shown]
	s_or_b32 s37, s6, s7
.LBB97_905:
	s_or_b32 exec_lo, exec_lo, s39
	s_delay_alu instid0(SALU_CYCLE_1)
	s_and_not1_b32 s2, s34, exec_lo
	s_waitcnt lgkmcnt(0)
	s_and_b32 s6, s38, exec_lo
	s_and_b32 s7, s37, exec_lo
	s_or_b32 s34, s2, s6
	s_and_not1_b32 s6, s35, exec_lo
	s_and_b32 s2, s40, exec_lo
	s_and_b32 s22, s23, exec_lo
	;; [unrolled: 1-line block ×3, first 2 shown]
	s_or_b32 s35, s6, s7
.LBB97_906:
	s_or_b32 exec_lo, exec_lo, s36
	s_mov_b32 s3, 0
	s_waitcnt lgkmcnt(0)
	s_and_saveexec_b32 s6, s35
	s_cbranch_execnz .LBB97_918
; %bb.907:
	s_or_b32 exec_lo, exec_lo, s6
	s_and_saveexec_b32 s6, s37
	s_delay_alu instid0(SALU_CYCLE_1)
	s_xor_b32 s6, exec_lo, s6
	s_cbranch_execz .LBB97_909
.LBB97_908:
	global_load_u8 v5, v[1:2], off
	s_or_b32 s2, s2, exec_lo
	s_waitcnt vmcnt(0)
	v_cmp_ne_u16_e32 vcc_lo, 0, v5
	v_cndmask_b32_e64 v6, 0, 0x3c00, vcc_lo
.LBB97_909:
	s_or_b32 exec_lo, exec_lo, s6
	s_and_saveexec_b32 s6, s22
	s_cbranch_execz .LBB97_957
; %bb.910:
	v_cmp_gt_i16_e32 vcc_lo, 5, v4
	s_cbranch_vccnz .LBB97_915
; %bb.911:
	v_cmp_gt_i16_e32 vcc_lo, 8, v4
	s_cbranch_vccnz .LBB97_916
	;; [unrolled: 3-line block ×3, first 2 shown]
; %bb.913:
	v_cmp_lt_i16_e32 vcc_lo, 9, v4
	s_cbranch_vccz .LBB97_920
; %bb.914:
	global_load_b64 v[5:6], v[1:2], off
	s_mov_b32 s7, 0
	s_waitcnt vmcnt(0)
	v_cvt_f32_f64_e32 v5, v[5:6]
	s_delay_alu instid0(VALU_DEP_1)
	v_cvt_f16_f32_e32 v6, v5
	s_branch .LBB97_921
.LBB97_915:
                                        ; implicit-def: $vgpr6
	s_branch .LBB97_938
.LBB97_916:
                                        ; implicit-def: $vgpr6
	s_branch .LBB97_927
.LBB97_917:
	s_mov_b32 s7, -1
                                        ; implicit-def: $vgpr6
	s_branch .LBB97_924
.LBB97_918:
	s_cbranch_execnz .LBB97_1188
; %bb.919:
	s_mov_b32 s3, exec_lo
	s_and_not1_b32 s37, s37, exec_lo
                                        ; implicit-def: $vgpr6
	s_or_b32 exec_lo, exec_lo, s6
	s_and_saveexec_b32 s6, s37
	s_delay_alu instid0(SALU_CYCLE_1)
	s_xor_b32 s6, exec_lo, s6
	s_cbranch_execnz .LBB97_908
	s_branch .LBB97_909
.LBB97_920:
	s_mov_b32 s7, -1
                                        ; implicit-def: $vgpr6
.LBB97_921:
	s_delay_alu instid0(SALU_CYCLE_1)
	s_and_not1_b32 vcc_lo, exec_lo, s7
	s_cbranch_vccnz .LBB97_923
; %bb.922:
	global_load_b32 v5, v[1:2], off
	s_waitcnt vmcnt(0)
	v_cvt_f16_f32_e32 v6, v5
.LBB97_923:
	s_mov_b32 s7, 0
.LBB97_924:
	s_delay_alu instid0(SALU_CYCLE_1)
	s_and_not1_b32 vcc_lo, exec_lo, s7
	s_cbranch_vccnz .LBB97_926
; %bb.925:
	global_load_b32 v6, v[1:2], off
.LBB97_926:
	s_cbranch_execnz .LBB97_937
.LBB97_927:
	v_cmp_gt_i16_e32 vcc_lo, 6, v4
	s_cbranch_vccnz .LBB97_930
; %bb.928:
	v_cmp_lt_i16_e32 vcc_lo, 6, v4
	s_cbranch_vccz .LBB97_931
; %bb.929:
	global_load_b64 v[5:6], v[1:2], off
	s_mov_b32 s7, 0
	s_waitcnt vmcnt(0)
	v_cvt_f32_f64_e32 v5, v[5:6]
	s_delay_alu instid0(VALU_DEP_1)
	v_cvt_f16_f32_e32 v6, v5
	s_branch .LBB97_932
.LBB97_930:
	s_mov_b32 s7, -1
                                        ; implicit-def: $vgpr6
	s_branch .LBB97_935
.LBB97_931:
	s_mov_b32 s7, -1
                                        ; implicit-def: $vgpr6
.LBB97_932:
	s_delay_alu instid0(SALU_CYCLE_1)
	s_and_not1_b32 vcc_lo, exec_lo, s7
	s_cbranch_vccnz .LBB97_934
; %bb.933:
	global_load_b32 v5, v[1:2], off
	s_waitcnt vmcnt(0)
	v_cvt_f16_f32_e32 v6, v5
.LBB97_934:
	s_mov_b32 s7, 0
.LBB97_935:
	s_delay_alu instid0(SALU_CYCLE_1)
	s_and_not1_b32 vcc_lo, exec_lo, s7
	s_cbranch_vccnz .LBB97_937
; %bb.936:
	global_load_u16 v6, v[1:2], off
.LBB97_937:
	s_cbranch_execnz .LBB97_956
.LBB97_938:
	v_cmp_gt_i16_e32 vcc_lo, 2, v4
	s_cbranch_vccnz .LBB97_942
; %bb.939:
	v_cmp_gt_i16_e32 vcc_lo, 3, v4
	s_cbranch_vccnz .LBB97_943
; %bb.940:
	v_cmp_lt_i16_e32 vcc_lo, 3, v4
	s_cbranch_vccz .LBB97_944
; %bb.941:
	global_load_b64 v[5:6], v[1:2], off
	s_mov_b32 s7, 0
	s_waitcnt vmcnt(0)
	v_xor_b32_e32 v7, v5, v6
	v_cls_i32_e32 v8, v6
	s_delay_alu instid0(VALU_DEP_2) | instskip(NEXT) | instid1(VALU_DEP_2)
	v_ashrrev_i32_e32 v7, 31, v7
	v_add_nc_u32_e32 v8, -1, v8
	s_delay_alu instid0(VALU_DEP_2) | instskip(NEXT) | instid1(VALU_DEP_1)
	v_add_nc_u32_e32 v7, 32, v7
	v_min_u32_e32 v7, v8, v7
	s_delay_alu instid0(VALU_DEP_1) | instskip(NEXT) | instid1(VALU_DEP_1)
	v_lshlrev_b64 v[5:6], v7, v[5:6]
	v_min_u32_e32 v5, 1, v5
	s_delay_alu instid0(VALU_DEP_1) | instskip(SKIP_1) | instid1(VALU_DEP_2)
	v_or_b32_e32 v5, v6, v5
	v_sub_nc_u32_e32 v6, 32, v7
	v_cvt_f32_i32_e32 v5, v5
	s_delay_alu instid0(VALU_DEP_1) | instskip(NEXT) | instid1(VALU_DEP_1)
	v_ldexp_f32 v5, v5, v6
	v_cvt_f16_f32_e32 v6, v5
	s_branch .LBB97_945
.LBB97_942:
                                        ; implicit-def: $vgpr6
	s_branch .LBB97_951
.LBB97_943:
	s_mov_b32 s7, -1
                                        ; implicit-def: $vgpr6
	s_branch .LBB97_948
.LBB97_944:
	s_mov_b32 s7, -1
                                        ; implicit-def: $vgpr6
.LBB97_945:
	s_delay_alu instid0(SALU_CYCLE_1)
	s_and_not1_b32 vcc_lo, exec_lo, s7
	s_cbranch_vccnz .LBB97_947
; %bb.946:
	global_load_b32 v5, v[1:2], off
	s_waitcnt vmcnt(0)
	v_cvt_f32_i32_e32 v5, v5
	s_delay_alu instid0(VALU_DEP_1)
	v_cvt_f16_f32_e32 v6, v5
.LBB97_947:
	s_mov_b32 s7, 0
.LBB97_948:
	s_delay_alu instid0(SALU_CYCLE_1)
	s_and_not1_b32 vcc_lo, exec_lo, s7
	s_cbranch_vccnz .LBB97_950
; %bb.949:
	global_load_u16 v5, v[1:2], off
	s_waitcnt vmcnt(0)
	v_cvt_f16_i16_e32 v6, v5
.LBB97_950:
	s_cbranch_execnz .LBB97_956
.LBB97_951:
	v_cmp_lt_i16_e32 vcc_lo, 0, v4
	s_mov_b32 s7, 0
	s_cbranch_vccz .LBB97_953
; %bb.952:
	global_load_i8 v4, v[1:2], off
	s_waitcnt vmcnt(0)
	v_cvt_f16_i16_e32 v6, v4
	s_branch .LBB97_954
.LBB97_953:
	s_mov_b32 s7, -1
                                        ; implicit-def: $vgpr6
.LBB97_954:
	s_delay_alu instid0(SALU_CYCLE_1)
	s_and_not1_b32 vcc_lo, exec_lo, s7
	s_cbranch_vccnz .LBB97_956
; %bb.955:
	global_load_u8 v1, v[1:2], off
	s_waitcnt vmcnt(0)
	v_cvt_f16_u16_e32 v6, v1
.LBB97_956:
	s_or_b32 s2, s2, exec_lo
.LBB97_957:
	s_or_b32 exec_lo, exec_lo, s6
	s_mov_b32 s8, 0
	s_mov_b32 s7, 0
                                        ; implicit-def: $vgpr5
                                        ; implicit-def: $vgpr1_vgpr2
                                        ; implicit-def: $vgpr4
	s_and_saveexec_b32 s6, s2
	s_cbranch_execz .LBB97_1034
; %bb.958:
	s_waitcnt vmcnt(0)
	v_cvt_f32_f16_e32 v1, v6
	s_mov_b32 s2, 0x3fb8aa3b
	s_delay_alu instid0(VALU_DEP_1) | instskip(SKIP_1) | instid1(VALU_DEP_2)
	v_mul_f32_e32 v2, 0x3fb8aa3b, v1
	v_cmp_ngt_f32_e32 vcc_lo, 0xc2ce8ed0, v1
	v_rndne_f32_e32 v4, v2
	v_fma_mix_f32 v5, v6, s2, -v2 op_sel_hi:[1,0,0]
	s_mov_b32 s2, 0x32a5705f
	s_delay_alu instid0(VALU_DEP_2) | instskip(NEXT) | instid1(VALU_DEP_2)
	v_sub_f32_e32 v2, v2, v4
	v_fma_mix_f32 v5, v6, s2, v5 op_sel_hi:[1,0,0]
	v_cvt_i32_f32_e32 v4, v4
	v_cmp_nlt_f32_e64 s2, 0x42b17218, v1
	s_delay_alu instid0(VALU_DEP_3) | instskip(NEXT) | instid1(VALU_DEP_1)
	v_dual_add_f32 v2, v2, v5 :: v_dual_and_b32 v5, 0xff, v3
	v_exp_f32_e32 v2, v2
	s_waitcnt_depctr 0xfff
	v_ldexp_f32 v2, v2, v4
	s_delay_alu instid0(VALU_DEP_1) | instskip(SKIP_1) | instid1(VALU_DEP_2)
	v_cndmask_b32_e32 v2, 0, v2, vcc_lo
	v_cmp_gt_i16_e32 vcc_lo, 11, v5
	v_cndmask_b32_e64 v3, 0x7f800000, v2, s2
	v_add_co_u32 v1, s2, s4, v0
	s_delay_alu instid0(VALU_DEP_1) | instskip(NEXT) | instid1(VALU_DEP_3)
	v_add_co_ci_u32_e64 v2, null, s5, 0, s2
	v_cvt_f16_f32_e32 v4, v3
	s_mov_b32 s4, -1
	s_mov_b32 s2, s34
	s_cbranch_vccnz .LBB97_1033
; %bb.959:
	v_cmp_lt_i16_e32 vcc_lo, 25, v5
	s_mov_b32 s2, s34
	s_cbranch_vccz .LBB97_992
; %bb.960:
	v_cmp_lt_i16_e32 vcc_lo, 28, v5
	s_mov_b32 s2, s34
	s_cbranch_vccz .LBB97_976
	;; [unrolled: 4-line block ×4, first 2 shown]
; %bb.963:
	v_cmp_eq_u16_e32 vcc_lo, 46, v5
	s_mov_b32 s2, -1
	s_cbranch_vccz .LBB97_965
; %bb.964:
	v_cvt_f32_f16_e32 v0, v4
	v_cmp_o_f16_e32 vcc_lo, v4, v4
	s_mov_b32 s2, 0
	s_delay_alu instid0(VALU_DEP_2) | instskip(NEXT) | instid1(VALU_DEP_1)
	v_bfe_u32 v3, v0, 16, 1
	v_add3_u32 v0, v0, v3, 0x7fff
	s_delay_alu instid0(VALU_DEP_1) | instskip(NEXT) | instid1(VALU_DEP_1)
	v_lshrrev_b32_e32 v0, 16, v0
	v_cndmask_b32_e32 v0, 0x7fc0, v0, vcc_lo
	global_store_b32 v[1:2], v0, off
.LBB97_965:
	s_mov_b32 s4, 0
.LBB97_966:
	s_delay_alu instid0(SALU_CYCLE_1)
	s_and_b32 vcc_lo, exec_lo, s4
	s_cbranch_vccz .LBB97_971
; %bb.967:
	v_cmp_eq_u16_e32 vcc_lo, 44, v5
	s_mov_b32 s2, -1
	s_cbranch_vccz .LBB97_971
; %bb.968:
	v_cvt_f32_f16_e32 v0, v4
	v_mov_b32_e32 v3, 0xff
	s_mov_b32 s4, exec_lo
	s_delay_alu instid0(VALU_DEP_2) | instskip(NEXT) | instid1(VALU_DEP_1)
	v_bfe_u32 v6, v0, 23, 8
	v_cmpx_ne_u32_e32 0xff, v6
; %bb.969:
	v_and_b32_e32 v3, 0x400000, v0
	v_and_or_b32 v6, 0x3fffff, v0, v6
	v_lshrrev_b32_e32 v0, 23, v0
	s_delay_alu instid0(VALU_DEP_3) | instskip(NEXT) | instid1(VALU_DEP_3)
	v_cmp_ne_u32_e32 vcc_lo, 0, v3
	v_cmp_ne_u32_e64 s2, 0, v6
	s_delay_alu instid0(VALU_DEP_1) | instskip(NEXT) | instid1(SALU_CYCLE_1)
	s_and_b32 s2, vcc_lo, s2
	v_cndmask_b32_e64 v3, 0, 1, s2
	s_delay_alu instid0(VALU_DEP_1)
	v_add_nc_u32_e32 v3, v0, v3
; %bb.970:
	s_or_b32 exec_lo, exec_lo, s4
	s_mov_b32 s2, 0
	global_store_b8 v[1:2], v3, off
.LBB97_971:
	s_mov_b32 s4, 0
.LBB97_972:
	s_delay_alu instid0(SALU_CYCLE_1)
	s_and_b32 vcc_lo, exec_lo, s4
	s_cbranch_vccz .LBB97_975
; %bb.973:
	v_cmp_eq_u16_e32 vcc_lo, 29, v5
	s_mov_b32 s2, -1
	s_cbranch_vccz .LBB97_975
; %bb.974:
	v_cvt_f32_f16_e32 v0, v4
	v_mov_b32_e32 v7, 0
	s_mov_b32 s2, 0
	s_delay_alu instid0(VALU_DEP_2)
	v_cvt_u32_f32_e32 v6, v0
	global_store_b64 v[1:2], v[6:7], off
.LBB97_975:
	s_mov_b32 s4, 0
.LBB97_976:
	s_delay_alu instid0(SALU_CYCLE_1)
	s_and_b32 vcc_lo, exec_lo, s4
	s_cbranch_vccz .LBB97_991
; %bb.977:
	v_cmp_gt_i16_e32 vcc_lo, 27, v5
	s_mov_b32 s4, -1
	s_cbranch_vccnz .LBB97_983
; %bb.978:
	v_cmp_lt_i16_e32 vcc_lo, 27, v5
	s_cbranch_vccz .LBB97_980
; %bb.979:
	v_cvt_f32_f16_e32 v0, v4
	s_mov_b32 s4, 0
	s_delay_alu instid0(VALU_DEP_1)
	v_cvt_u32_f32_e32 v0, v0
	global_store_b32 v[1:2], v0, off
.LBB97_980:
	s_and_not1_b32 vcc_lo, exec_lo, s4
	s_cbranch_vccnz .LBB97_982
; %bb.981:
	v_cvt_u16_f16_e32 v0, v4
	global_store_b16 v[1:2], v0, off
.LBB97_982:
	s_mov_b32 s4, 0
.LBB97_983:
	s_delay_alu instid0(SALU_CYCLE_1)
	s_and_not1_b32 vcc_lo, exec_lo, s4
	s_cbranch_vccnz .LBB97_991
; %bb.984:
	v_cvt_f32_f16_e32 v0, v4
	v_mov_b32_e32 v6, 0x80
	s_mov_b32 s4, exec_lo
	s_delay_alu instid0(VALU_DEP_2) | instskip(NEXT) | instid1(VALU_DEP_1)
	v_and_b32_e32 v3, 0x7fffffff, v0
	v_cmpx_gt_u32_e32 0x43800000, v3
	s_cbranch_execz .LBB97_990
; %bb.985:
	v_cmp_lt_u32_e32 vcc_lo, 0x3bffffff, v3
	s_mov_b32 s5, 0
                                        ; implicit-def: $vgpr3
	s_and_saveexec_b32 s7, vcc_lo
	s_delay_alu instid0(SALU_CYCLE_1)
	s_xor_b32 s7, exec_lo, s7
	s_cbranch_execz .LBB97_1279
; %bb.986:
	v_bfe_u32 v3, v0, 20, 1
	s_mov_b32 s5, exec_lo
	s_delay_alu instid0(VALU_DEP_1) | instskip(NEXT) | instid1(VALU_DEP_1)
	v_add3_u32 v3, v0, v3, 0x487ffff
	v_lshrrev_b32_e32 v3, 20, v3
	s_or_saveexec_b32 s7, s7
                                        ; implicit-def: $sgpr8
	s_delay_alu instid0(SALU_CYCLE_1)
	s_xor_b32 exec_lo, exec_lo, s7
	s_cbranch_execnz .LBB97_1280
.LBB97_987:
	s_or_b32 exec_lo, exec_lo, s7
	v_mov_b32_e32 v6, s8
	s_and_saveexec_b32 s7, s5
.LBB97_988:
	v_lshrrev_b32_e32 v0, 24, v0
	s_delay_alu instid0(VALU_DEP_1)
	v_and_or_b32 v6, 0x80, v0, v3
.LBB97_989:
	s_or_b32 exec_lo, exec_lo, s7
.LBB97_990:
	s_delay_alu instid0(SALU_CYCLE_1)
	s_or_b32 exec_lo, exec_lo, s4
	global_store_b8 v[1:2], v6, off
.LBB97_991:
	s_mov_b32 s4, 0
.LBB97_992:
	s_delay_alu instid0(SALU_CYCLE_1)
	s_and_b32 vcc_lo, exec_lo, s4
	s_mov_b32 s4, 0
	s_cbranch_vccz .LBB97_1032
; %bb.993:
	v_cmp_lt_i16_e32 vcc_lo, 22, v5
	s_mov_b32 s5, -1
	s_cbranch_vccz .LBB97_1025
; %bb.994:
	v_cmp_gt_i16_e32 vcc_lo, 24, v5
	s_cbranch_vccnz .LBB97_1014
; %bb.995:
	v_cmp_lt_i16_e32 vcc_lo, 24, v5
	s_cbranch_vccz .LBB97_1003
; %bb.996:
	v_cvt_f32_f16_e32 v0, v4
	v_mov_b32_e32 v6, 0x80
	s_mov_b32 s5, exec_lo
	s_delay_alu instid0(VALU_DEP_2) | instskip(NEXT) | instid1(VALU_DEP_1)
	v_and_b32_e32 v3, 0x7fffffff, v0
	v_cmpx_gt_u32_e32 0x47800000, v3
	s_cbranch_execz .LBB97_1002
; %bb.997:
	v_cmp_lt_u32_e32 vcc_lo, 0x37ffffff, v3
	s_mov_b32 s7, 0
                                        ; implicit-def: $vgpr3
	s_and_saveexec_b32 s8, vcc_lo
	s_delay_alu instid0(SALU_CYCLE_1)
	s_xor_b32 s8, exec_lo, s8
	s_cbranch_execz .LBB97_1323
; %bb.998:
	v_bfe_u32 v3, v0, 21, 1
	s_mov_b32 s7, exec_lo
	s_delay_alu instid0(VALU_DEP_1) | instskip(NEXT) | instid1(VALU_DEP_1)
	v_add3_u32 v3, v0, v3, 0x88fffff
	v_lshrrev_b32_e32 v3, 21, v3
	s_or_saveexec_b32 s8, s8
                                        ; implicit-def: $sgpr9
	s_delay_alu instid0(SALU_CYCLE_1)
	s_xor_b32 exec_lo, exec_lo, s8
	s_cbranch_execnz .LBB97_1324
.LBB97_999:
	s_or_b32 exec_lo, exec_lo, s8
	v_mov_b32_e32 v6, s9
	s_and_saveexec_b32 s8, s7
.LBB97_1000:
	v_lshrrev_b32_e32 v0, 24, v0
	s_delay_alu instid0(VALU_DEP_1)
	v_and_or_b32 v6, 0x80, v0, v3
.LBB97_1001:
	s_or_b32 exec_lo, exec_lo, s8
.LBB97_1002:
	s_delay_alu instid0(SALU_CYCLE_1)
	s_or_b32 exec_lo, exec_lo, s5
	s_mov_b32 s5, 0
	global_store_b8 v[1:2], v6, off
.LBB97_1003:
	s_and_b32 vcc_lo, exec_lo, s5
	s_cbranch_vccz .LBB97_1013
; %bb.1004:
	v_cvt_f32_f16_e32 v0, v4
	s_mov_b32 s5, exec_lo
                                        ; implicit-def: $vgpr3
	s_delay_alu instid0(VALU_DEP_1) | instskip(NEXT) | instid1(VALU_DEP_1)
	v_and_b32_e32 v6, 0x7fffffff, v0
	v_cmpx_gt_u32_e32 0x43f00000, v6
	s_xor_b32 s5, exec_lo, s5
	s_cbranch_execz .LBB97_1010
; %bb.1005:
	s_mov_b32 s7, exec_lo
                                        ; implicit-def: $vgpr3
	v_cmpx_lt_u32_e32 0x3c7fffff, v6
	s_xor_b32 s7, exec_lo, s7
; %bb.1006:
	v_bfe_u32 v3, v0, 20, 1
	s_delay_alu instid0(VALU_DEP_1) | instskip(NEXT) | instid1(VALU_DEP_1)
	v_add3_u32 v3, v0, v3, 0x407ffff
	v_and_b32_e32 v6, 0xff00000, v3
	v_lshrrev_b32_e32 v3, 20, v3
	s_delay_alu instid0(VALU_DEP_2) | instskip(NEXT) | instid1(VALU_DEP_2)
	v_cmp_ne_u32_e32 vcc_lo, 0x7f00000, v6
	v_cndmask_b32_e32 v3, 0x7e, v3, vcc_lo
; %bb.1007:
	s_and_not1_saveexec_b32 s7, s7
; %bb.1008:
	v_add_f32_e64 v3, 0x46800000, |v0|
; %bb.1009:
	s_or_b32 exec_lo, exec_lo, s7
                                        ; implicit-def: $vgpr6
.LBB97_1010:
	s_and_not1_saveexec_b32 s5, s5
; %bb.1011:
	v_mov_b32_e32 v3, 0x7f
	v_cmp_lt_u32_e32 vcc_lo, 0x7f800000, v6
	s_delay_alu instid0(VALU_DEP_2)
	v_cndmask_b32_e32 v3, 0x7e, v3, vcc_lo
; %bb.1012:
	s_or_b32 exec_lo, exec_lo, s5
	v_lshrrev_b32_e32 v0, 24, v0
	s_delay_alu instid0(VALU_DEP_1)
	v_and_or_b32 v0, 0x80, v0, v3
	global_store_b8 v[1:2], v0, off
.LBB97_1013:
	s_mov_b32 s5, 0
.LBB97_1014:
	s_delay_alu instid0(SALU_CYCLE_1)
	s_and_not1_b32 vcc_lo, exec_lo, s5
	s_cbranch_vccnz .LBB97_1024
; %bb.1015:
	v_cvt_f32_f16_e32 v0, v4
	s_mov_b32 s5, exec_lo
                                        ; implicit-def: $vgpr3
	s_delay_alu instid0(VALU_DEP_1) | instskip(NEXT) | instid1(VALU_DEP_1)
	v_and_b32_e32 v6, 0x7fffffff, v0
	v_cmpx_gt_u32_e32 0x47800000, v6
	s_xor_b32 s5, exec_lo, s5
	s_cbranch_execz .LBB97_1021
; %bb.1016:
	s_mov_b32 s7, exec_lo
                                        ; implicit-def: $vgpr3
	v_cmpx_lt_u32_e32 0x387fffff, v6
	s_xor_b32 s7, exec_lo, s7
; %bb.1017:
	v_bfe_u32 v3, v0, 21, 1
	s_delay_alu instid0(VALU_DEP_1) | instskip(NEXT) | instid1(VALU_DEP_1)
	v_add3_u32 v3, v0, v3, 0x80fffff
	v_lshrrev_b32_e32 v3, 21, v3
; %bb.1018:
	s_and_not1_saveexec_b32 s7, s7
; %bb.1019:
	v_add_f32_e64 v3, 0x43000000, |v0|
; %bb.1020:
	s_or_b32 exec_lo, exec_lo, s7
                                        ; implicit-def: $vgpr6
.LBB97_1021:
	s_and_not1_saveexec_b32 s5, s5
; %bb.1022:
	v_mov_b32_e32 v3, 0x7f
	v_cmp_lt_u32_e32 vcc_lo, 0x7f800000, v6
	s_delay_alu instid0(VALU_DEP_2)
	v_cndmask_b32_e32 v3, 0x7c, v3, vcc_lo
; %bb.1023:
	s_or_b32 exec_lo, exec_lo, s5
	v_lshrrev_b32_e32 v0, 24, v0
	s_delay_alu instid0(VALU_DEP_1)
	v_and_or_b32 v0, 0x80, v0, v3
	global_store_b8 v[1:2], v0, off
.LBB97_1024:
	s_mov_b32 s5, 0
.LBB97_1025:
	s_delay_alu instid0(SALU_CYCLE_1)
	s_and_not1_b32 vcc_lo, exec_lo, s5
	s_mov_b32 s8, 0
	s_cbranch_vccnz .LBB97_1033
; %bb.1026:
	v_cmp_lt_i16_e32 vcc_lo, 14, v5
	s_mov_b32 s5, -1
	s_cbranch_vccz .LBB97_1030
; %bb.1027:
	v_cmp_eq_u16_e32 vcc_lo, 15, v5
	s_mov_b32 s2, -1
	s_cbranch_vccz .LBB97_1029
; %bb.1028:
	v_cvt_f32_f16_e32 v0, v4
	v_cmp_o_f16_e32 vcc_lo, v4, v4
	s_mov_b32 s2, 0
	s_delay_alu instid0(VALU_DEP_2) | instskip(NEXT) | instid1(VALU_DEP_1)
	v_bfe_u32 v3, v0, 16, 1
	v_add3_u32 v0, v0, v3, 0x7fff
	s_delay_alu instid0(VALU_DEP_1) | instskip(NEXT) | instid1(VALU_DEP_1)
	v_lshrrev_b32_e32 v0, 16, v0
	v_cndmask_b32_e32 v0, 0x7fc0, v0, vcc_lo
	global_store_b16 v[1:2], v0, off
.LBB97_1029:
	s_mov_b32 s5, 0
.LBB97_1030:
	s_delay_alu instid0(SALU_CYCLE_1)
	s_and_b32 vcc_lo, exec_lo, s5
	s_cbranch_vccz .LBB97_1033
; %bb.1031:
	v_cmp_ne_u16_e32 vcc_lo, 11, v5
	s_and_not1_b32 s2, s2, exec_lo
	s_mov_b32 s8, -1
	s_and_b32 s5, vcc_lo, exec_lo
	s_delay_alu instid0(SALU_CYCLE_1)
	s_or_b32 s2, s2, s5
	s_branch .LBB97_1033
.LBB97_1032:
	s_mov_b32 s8, 0
.LBB97_1033:
	s_and_b32 s7, s4, exec_lo
	s_and_not1_b32 s4, s34, exec_lo
	s_and_b32 s2, s2, exec_lo
	s_and_b32 s8, s8, exec_lo
	s_or_b32 s34, s4, s2
.LBB97_1034:
	s_or_b32 exec_lo, exec_lo, s6
	s_and_saveexec_b32 s2, s34
	s_cbranch_execnz .LBB97_1148
; %bb.1035:
	s_or_b32 exec_lo, exec_lo, s2
	s_and_saveexec_b32 s2, s8
	s_delay_alu instid0(SALU_CYCLE_1)
	s_xor_b32 s2, exec_lo, s2
	s_cbranch_execz .LBB97_1037
.LBB97_1036:
	v_cmp_neq_f16_e32 vcc_lo, 0, v4
	v_cndmask_b32_e64 v0, 0, 1, vcc_lo
	global_store_b8 v[1:2], v0, off
.LBB97_1037:
	s_or_b32 exec_lo, exec_lo, s2
	s_and_saveexec_b32 s2, s7
	s_delay_alu instid0(SALU_CYCLE_1)
	s_xor_b32 s2, exec_lo, s2
	s_cbranch_execz .LBB97_1075
; %bb.1038:
	v_cmp_gt_i16_e32 vcc_lo, 5, v5
	s_mov_b32 s4, -1
	s_cbranch_vccnz .LBB97_1059
; %bb.1039:
	v_cmp_gt_i16_e32 vcc_lo, 8, v5
	s_cbranch_vccnz .LBB97_1049
; %bb.1040:
	v_cmp_gt_i16_e32 vcc_lo, 9, v5
	s_cbranch_vccnz .LBB97_1046
; %bb.1041:
	v_cmp_lt_i16_e32 vcc_lo, 9, v5
	s_cbranch_vccz .LBB97_1043
; %bb.1042:
	v_cvt_f32_f16_e32 v0, v4
	v_mov_b32_e32 v8, 0
	s_mov_b32 s4, 0
	s_waitcnt vmcnt(0)
	s_delay_alu instid0(VALU_DEP_2) | instskip(NEXT) | instid1(VALU_DEP_2)
	v_cvt_f64_f32_e32 v[6:7], v0
	v_mov_b32_e32 v9, v8
	global_store_b128 v[1:2], v[6:9], off
.LBB97_1043:
	s_and_not1_b32 vcc_lo, exec_lo, s4
	s_cbranch_vccnz .LBB97_1045
; %bb.1044:
	s_waitcnt vmcnt(0)
	v_cvt_f32_f16_e32 v6, v4
	v_mov_b32_e32 v7, 0
	global_store_b64 v[1:2], v[6:7], off
.LBB97_1045:
	s_mov_b32 s4, 0
.LBB97_1046:
	s_delay_alu instid0(SALU_CYCLE_1)
	s_and_not1_b32 vcc_lo, exec_lo, s4
	s_cbranch_vccnz .LBB97_1048
; %bb.1047:
	v_and_b32_e32 v0, 0xffff, v4
	global_store_b32 v[1:2], v0, off
.LBB97_1048:
	s_mov_b32 s4, 0
.LBB97_1049:
	s_delay_alu instid0(SALU_CYCLE_1)
	s_and_not1_b32 vcc_lo, exec_lo, s4
	s_cbranch_vccnz .LBB97_1058
; %bb.1050:
	v_cmp_gt_i16_e32 vcc_lo, 6, v5
	s_mov_b32 s4, -1
	s_cbranch_vccnz .LBB97_1056
; %bb.1051:
	v_cmp_lt_i16_e32 vcc_lo, 6, v5
	s_cbranch_vccz .LBB97_1053
; %bb.1052:
	v_cvt_f32_f16_e32 v0, v4
	s_mov_b32 s4, 0
	s_waitcnt vmcnt(0)
	s_delay_alu instid0(VALU_DEP_1)
	v_cvt_f64_f32_e32 v[6:7], v0
	global_store_b64 v[1:2], v[6:7], off
.LBB97_1053:
	s_and_not1_b32 vcc_lo, exec_lo, s4
	s_cbranch_vccnz .LBB97_1055
; %bb.1054:
	v_cvt_f32_f16_e32 v0, v4
	global_store_b32 v[1:2], v0, off
.LBB97_1055:
	s_mov_b32 s4, 0
.LBB97_1056:
	s_delay_alu instid0(SALU_CYCLE_1)
	s_and_not1_b32 vcc_lo, exec_lo, s4
	s_cbranch_vccnz .LBB97_1058
; %bb.1057:
	global_store_b16 v[1:2], v4, off
.LBB97_1058:
	s_mov_b32 s4, 0
.LBB97_1059:
	s_delay_alu instid0(SALU_CYCLE_1)
	s_and_not1_b32 vcc_lo, exec_lo, s4
	s_cbranch_vccnz .LBB97_1075
; %bb.1060:
	v_cmp_gt_i16_e32 vcc_lo, 2, v5
	s_mov_b32 s4, -1
	s_cbranch_vccnz .LBB97_1070
; %bb.1061:
	v_cmp_gt_i16_e32 vcc_lo, 3, v5
	s_cbranch_vccnz .LBB97_1067
; %bb.1062:
	v_cmp_lt_i16_e32 vcc_lo, 3, v5
	s_cbranch_vccz .LBB97_1064
; %bb.1063:
	v_cvt_f32_f16_e32 v0, v4
	s_mov_b32 s4, 0
	s_waitcnt vmcnt(0)
	s_delay_alu instid0(VALU_DEP_1) | instskip(NEXT) | instid1(VALU_DEP_1)
	v_cvt_i32_f32_e32 v6, v0
	v_ashrrev_i32_e32 v7, 31, v6
	global_store_b64 v[1:2], v[6:7], off
.LBB97_1064:
	s_and_not1_b32 vcc_lo, exec_lo, s4
	s_cbranch_vccnz .LBB97_1066
; %bb.1065:
	v_cvt_f32_f16_e32 v0, v4
	s_delay_alu instid0(VALU_DEP_1)
	v_cvt_i32_f32_e32 v0, v0
	global_store_b32 v[1:2], v0, off
.LBB97_1066:
	s_mov_b32 s4, 0
.LBB97_1067:
	s_delay_alu instid0(SALU_CYCLE_1)
	s_and_not1_b32 vcc_lo, exec_lo, s4
	s_cbranch_vccnz .LBB97_1069
; %bb.1068:
	v_cvt_i16_f16_e32 v0, v4
	global_store_b16 v[1:2], v0, off
.LBB97_1069:
	s_mov_b32 s4, 0
.LBB97_1070:
	s_delay_alu instid0(SALU_CYCLE_1)
	s_and_not1_b32 vcc_lo, exec_lo, s4
	s_cbranch_vccnz .LBB97_1075
; %bb.1071:
	v_cmp_lt_i16_e32 vcc_lo, 0, v5
	s_mov_b32 s4, -1
	s_cbranch_vccz .LBB97_1073
; %bb.1072:
	v_cvt_i16_f16_e32 v0, v4
	s_mov_b32 s4, 0
	global_store_b8 v[1:2], v0, off
.LBB97_1073:
	s_and_not1_b32 vcc_lo, exec_lo, s4
	s_cbranch_vccnz .LBB97_1075
; %bb.1074:
	v_cvt_f32_f16_e32 v0, v4
	s_delay_alu instid0(VALU_DEP_1)
	v_cvt_i32_f32_e32 v0, v0
	global_store_b8 v[1:2], v0, off
.LBB97_1075:
	s_or_b32 exec_lo, exec_lo, s2
	s_delay_alu instid0(SALU_CYCLE_1)
	s_and_b32 s8, s3, exec_lo
                                        ; implicit-def: $vgpr8
                                        ; implicit-def: $vgpr5
.LBB97_1076:
	s_or_saveexec_b32 s9, s28
	s_mov_b32 s3, 0
                                        ; implicit-def: $vgpr0_vgpr1
                                        ; implicit-def: $vgpr6
                                        ; implicit-def: $vgpr2
	s_xor_b32 exec_lo, exec_lo, s9
	s_cbranch_execz .LBB97_2092
; %bb.1077:
	v_cndmask_b32_e64 v0, 0, 1, s27
	s_and_not1_b32 vcc_lo, exec_lo, s27
	s_cbranch_vccnz .LBB97_1083
; %bb.1078:
	v_mov_b32_e32 v3, 0
	v_mov_b32_e32 v7, 0
	s_cmp_lg_u32 s24, 0
	s_mov_b32 s6, 0
	s_cbranch_scc0 .LBB97_1087
; %bb.1079:
	s_min_u32 s7, s25, 15
	v_mov_b32_e32 v3, 0
	s_add_i32 s7, s7, 1
	s_cmp_eq_u32 s25, 2
	s_mov_b32 s10, 0
	s_cbranch_scc1 .LBB97_1084
; %bb.1080:
	v_mov_b32_e32 v7, 0
	v_mov_b32_e32 v3, 0
	v_mov_b32_e32 v1, v5
	s_add_u32 s2, s16, 0xc4
	s_addc_u32 s3, s17, 0
	s_and_b32 s10, s7, 28
	s_mov_b32 s11, 0
	s_mov_b64 s[4:5], s[16:17]
.LBB97_1081:                            ; =>This Inner Loop Header: Depth=1
	s_clause 0x1
	s_load_b256 s[36:43], s[4:5], 0x4
	s_load_b128 s[12:15], s[4:5], 0x24
	s_load_b256 s[44:51], s[2:3], 0x0
	s_add_u32 s4, s4, 48
	s_addc_u32 s5, s5, 0
	s_add_i32 s11, s11, 4
	s_add_u32 s2, s2, 32
	s_addc_u32 s3, s3, 0
	s_cmp_lg_u32 s10, s11
	s_waitcnt lgkmcnt(0)
	v_mul_hi_u32 v2, s37, v1
	s_delay_alu instid0(VALU_DEP_1) | instskip(NEXT) | instid1(VALU_DEP_1)
	v_add_nc_u32_e32 v2, v1, v2
	v_lshrrev_b32_e32 v2, s38, v2
	s_delay_alu instid0(VALU_DEP_1) | instskip(SKIP_1) | instid1(VALU_DEP_2)
	v_mul_hi_u32 v4, s40, v2
	v_mul_lo_u32 v9, v2, s36
	v_add_nc_u32_e32 v4, v2, v4
	s_delay_alu instid0(VALU_DEP_2) | instskip(NEXT) | instid1(VALU_DEP_2)
	v_sub_nc_u32_e32 v1, v1, v9
	v_lshrrev_b32_e32 v4, s41, v4
	s_delay_alu instid0(VALU_DEP_2) | instskip(SKIP_2) | instid1(VALU_DEP_3)
	v_mul_lo_u32 v9, v1, s44
	v_mul_lo_u32 v11, v1, s45
	s_waitcnt vmcnt(0)
	v_mul_hi_u32 v6, s43, v4
	s_delay_alu instid0(VALU_DEP_1) | instskip(NEXT) | instid1(VALU_DEP_1)
	v_add_nc_u32_e32 v6, v4, v6
	v_lshrrev_b32_e32 v6, s12, v6
	s_delay_alu instid0(VALU_DEP_1) | instskip(SKIP_1) | instid1(VALU_DEP_2)
	v_mul_hi_u32 v10, s14, v6
	v_mul_lo_u32 v12, v6, s42
	v_add_nc_u32_e32 v1, v6, v10
	v_mul_lo_u32 v10, v4, s39
	s_delay_alu instid0(VALU_DEP_3) | instskip(NEXT) | instid1(VALU_DEP_3)
	v_sub_nc_u32_e32 v4, v4, v12
	v_lshrrev_b32_e32 v1, s15, v1
	s_delay_alu instid0(VALU_DEP_2) | instskip(SKIP_2) | instid1(VALU_DEP_4)
	v_mul_lo_u32 v12, v4, s48
	v_mul_lo_u32 v4, v4, s49
	v_sub_nc_u32_e32 v2, v2, v10
	v_mul_lo_u32 v13, v1, s13
	s_delay_alu instid0(VALU_DEP_2) | instskip(SKIP_1) | instid1(VALU_DEP_3)
	v_mul_lo_u32 v10, v2, s46
	v_mul_lo_u32 v2, v2, s47
	v_sub_nc_u32_e32 v6, v6, v13
	s_delay_alu instid0(VALU_DEP_3) | instskip(NEXT) | instid1(VALU_DEP_2)
	v_add3_u32 v3, v9, v3, v10
	v_mul_lo_u32 v13, v6, s50
	v_mul_lo_u32 v6, v6, s51
	v_add3_u32 v2, v11, v7, v2
	s_delay_alu instid0(VALU_DEP_3) | instskip(NEXT) | instid1(VALU_DEP_2)
	v_add3_u32 v3, v12, v3, v13
	v_add3_u32 v7, v4, v2, v6
	s_cbranch_scc1 .LBB97_1081
; %bb.1082:
	s_and_b32 s7, s7, 3
	s_delay_alu instid0(SALU_CYCLE_1)
	s_cmp_eq_u32 s7, 0
	s_cbranch_scc0 .LBB97_1085
	s_branch .LBB97_1087
.LBB97_1083:
	s_mov_b32 s6, -1
                                        ; implicit-def: $vgpr3
                                        ; implicit-def: $vgpr7
	s_branch .LBB97_1087
.LBB97_1084:
	v_mov_b32_e32 v1, v5
	v_mov_b32_e32 v7, 0
	s_and_b32 s7, s7, 3
	s_delay_alu instid0(SALU_CYCLE_1)
	s_cmp_eq_u32 s7, 0
	s_cbranch_scc1 .LBB97_1087
.LBB97_1085:
	s_lshl_b32 s2, s10, 3
	s_mul_i32 s4, s10, 12
	s_add_u32 s2, s2, s16
	s_addc_u32 s3, 0, s17
	s_add_u32 s2, s2, 0xc4
	s_addc_u32 s3, s3, 0
	;; [unrolled: 2-line block ×3, first 2 shown]
	.p2align	6
.LBB97_1086:                            ; =>This Inner Loop Header: Depth=1
	s_clause 0x1
	s_load_b64 s[10:11], s[4:5], 0x4
	s_load_b32 s14, s[4:5], 0xc
	s_load_b64 s[12:13], s[2:3], 0x0
	s_add_u32 s4, s4, 12
	s_addc_u32 s5, s5, 0
	s_add_u32 s2, s2, 8
	s_addc_u32 s3, s3, 0
	s_add_i32 s7, s7, -1
	s_delay_alu instid0(SALU_CYCLE_1) | instskip(SKIP_2) | instid1(VALU_DEP_1)
	s_cmp_lg_u32 s7, 0
	s_waitcnt lgkmcnt(0)
	v_mul_hi_u32 v2, s11, v1
	v_add_nc_u32_e32 v2, v1, v2
	s_delay_alu instid0(VALU_DEP_1) | instskip(NEXT) | instid1(VALU_DEP_1)
	v_lshrrev_b32_e32 v4, s14, v2
	v_mul_lo_u32 v2, v4, s10
	s_delay_alu instid0(VALU_DEP_1) | instskip(NEXT) | instid1(VALU_DEP_1)
	v_sub_nc_u32_e32 v1, v1, v2
	v_mad_u64_u32 v[9:10], null, v1, s12, v[3:4]
	v_mad_u64_u32 v[2:3], null, v1, s13, v[7:8]
	v_mov_b32_e32 v1, v4
	s_delay_alu instid0(VALU_DEP_3) | instskip(NEXT) | instid1(VALU_DEP_3)
	v_mov_b32_e32 v3, v9
	v_mov_b32_e32 v7, v2
	s_cbranch_scc1 .LBB97_1086
.LBB97_1087:
	s_and_not1_b32 vcc_lo, exec_lo, s6
	s_cbranch_vccnz .LBB97_1090
; %bb.1088:
	s_clause 0x1
	s_load_b128 s[4:7], s[16:17], 0x4
	s_load_b64 s[2:3], s[16:17], 0xc4
	s_cmp_lt_u32 s24, 2
	s_waitcnt lgkmcnt(0)
	v_mul_hi_u32 v1, s5, v5
	s_delay_alu instid0(VALU_DEP_1) | instskip(NEXT) | instid1(VALU_DEP_1)
	v_add_nc_u32_e32 v1, v5, v1
	v_lshrrev_b32_e32 v1, s6, v1
	s_delay_alu instid0(VALU_DEP_1) | instskip(NEXT) | instid1(VALU_DEP_1)
	v_mul_lo_u32 v2, v1, s4
	v_sub_nc_u32_e32 v2, v5, v2
	s_delay_alu instid0(VALU_DEP_1)
	v_mul_lo_u32 v3, v2, s2
	v_mul_lo_u32 v7, v2, s3
	s_cbranch_scc1 .LBB97_1090
; %bb.1089:
	s_clause 0x1
	s_load_b128 s[4:7], s[16:17], 0x10
	s_load_b64 s[2:3], s[16:17], 0xcc
	s_waitcnt lgkmcnt(0)
	v_mul_hi_u32 v2, s5, v1
	s_delay_alu instid0(VALU_DEP_1) | instskip(NEXT) | instid1(VALU_DEP_1)
	v_add_nc_u32_e32 v2, v1, v2
	v_lshrrev_b32_e32 v2, s6, v2
	s_delay_alu instid0(VALU_DEP_1) | instskip(NEXT) | instid1(VALU_DEP_1)
	v_mul_lo_u32 v2, v2, s4
	v_sub_nc_u32_e32 v4, v1, v2
	s_delay_alu instid0(VALU_DEP_1) | instskip(SKIP_1) | instid1(VALU_DEP_2)
	v_mad_u64_u32 v[1:2], null, v4, s2, v[3:4]
	v_mad_u64_u32 v[2:3], null, v4, s3, v[7:8]
	v_mov_b32_e32 v3, v1
	s_delay_alu instid0(VALU_DEP_2)
	v_mov_b32_e32 v7, v2
.LBB97_1090:
	v_cmp_ne_u32_e32 vcc_lo, 1, v0
	v_add_nc_u32_e32 v1, 0x80, v5
	s_cbranch_vccnz .LBB97_1096
; %bb.1091:
	v_mov_b32_e32 v2, 0
	s_waitcnt vmcnt(0)
	v_mov_b32_e32 v6, 0
	s_cmp_lg_u32 s24, 0
	s_mov_b32 s6, 0
	s_cbranch_scc0 .LBB97_1100
; %bb.1092:
	s_min_u32 s7, s25, 15
	v_mov_b32_e32 v2, 0
	s_add_i32 s7, s7, 1
	s_cmp_eq_u32 s25, 2
	s_mov_b32 s10, 0
	s_cbranch_scc1 .LBB97_1097
; %bb.1093:
	v_mov_b32_e32 v6, 0
	v_mov_b32_e32 v2, 0
	;; [unrolled: 1-line block ×3, first 2 shown]
	s_add_u32 s2, s16, 0xc4
	s_addc_u32 s3, s17, 0
	s_and_b32 s10, s7, 28
	s_mov_b32 s11, 0
	s_mov_b64 s[4:5], s[16:17]
.LBB97_1094:                            ; =>This Inner Loop Header: Depth=1
	s_clause 0x1
	s_load_b256 s[36:43], s[4:5], 0x4
	s_load_b128 s[12:15], s[4:5], 0x24
	s_load_b256 s[44:51], s[2:3], 0x0
	s_add_u32 s4, s4, 48
	s_addc_u32 s5, s5, 0
	s_add_i32 s11, s11, 4
	s_add_u32 s2, s2, 32
	s_addc_u32 s3, s3, 0
	s_cmp_lg_u32 s10, s11
	s_waitcnt lgkmcnt(0)
	v_mul_hi_u32 v9, s37, v4
	s_delay_alu instid0(VALU_DEP_1) | instskip(NEXT) | instid1(VALU_DEP_1)
	v_add_nc_u32_e32 v9, v4, v9
	v_lshrrev_b32_e32 v9, s38, v9
	s_delay_alu instid0(VALU_DEP_1) | instskip(SKIP_1) | instid1(VALU_DEP_2)
	v_mul_hi_u32 v10, s40, v9
	v_mul_lo_u32 v12, v9, s36
	v_add_nc_u32_e32 v10, v9, v10
	s_delay_alu instid0(VALU_DEP_2) | instskip(NEXT) | instid1(VALU_DEP_2)
	v_sub_nc_u32_e32 v4, v4, v12
	v_lshrrev_b32_e32 v10, s41, v10
	s_delay_alu instid0(VALU_DEP_2) | instskip(SKIP_1) | instid1(VALU_DEP_3)
	v_mul_lo_u32 v12, v4, s44
	v_mul_lo_u32 v14, v4, s45
	v_mul_hi_u32 v11, s43, v10
	s_delay_alu instid0(VALU_DEP_1) | instskip(NEXT) | instid1(VALU_DEP_1)
	v_add_nc_u32_e32 v11, v10, v11
	v_lshrrev_b32_e32 v11, s12, v11
	s_delay_alu instid0(VALU_DEP_1) | instskip(SKIP_1) | instid1(VALU_DEP_2)
	v_mul_hi_u32 v13, s14, v11
	v_mul_lo_u32 v15, v11, s42
	v_add_nc_u32_e32 v4, v11, v13
	v_mul_lo_u32 v13, v10, s39
	s_delay_alu instid0(VALU_DEP_3) | instskip(NEXT) | instid1(VALU_DEP_3)
	v_sub_nc_u32_e32 v10, v10, v15
	v_lshrrev_b32_e32 v4, s15, v4
	s_delay_alu instid0(VALU_DEP_2) | instskip(SKIP_2) | instid1(VALU_DEP_4)
	v_mul_lo_u32 v15, v10, s48
	v_mul_lo_u32 v10, v10, s49
	v_sub_nc_u32_e32 v9, v9, v13
	v_mul_lo_u32 v16, v4, s13
	s_delay_alu instid0(VALU_DEP_2) | instskip(SKIP_1) | instid1(VALU_DEP_3)
	v_mul_lo_u32 v13, v9, s46
	v_mul_lo_u32 v9, v9, s47
	v_sub_nc_u32_e32 v11, v11, v16
	s_delay_alu instid0(VALU_DEP_3) | instskip(NEXT) | instid1(VALU_DEP_2)
	v_add3_u32 v2, v12, v2, v13
	v_mul_lo_u32 v16, v11, s50
	v_mul_lo_u32 v11, v11, s51
	v_add3_u32 v6, v14, v6, v9
	s_delay_alu instid0(VALU_DEP_3) | instskip(NEXT) | instid1(VALU_DEP_2)
	v_add3_u32 v2, v15, v2, v16
	v_add3_u32 v6, v10, v6, v11
	s_cbranch_scc1 .LBB97_1094
; %bb.1095:
	s_and_b32 s7, s7, 3
	s_delay_alu instid0(SALU_CYCLE_1)
	s_cmp_eq_u32 s7, 0
	s_cbranch_scc0 .LBB97_1098
	s_branch .LBB97_1100
.LBB97_1096:
	s_mov_b32 s6, -1
                                        ; implicit-def: $vgpr2
                                        ; implicit-def: $vgpr6
	s_branch .LBB97_1100
.LBB97_1097:
	v_mov_b32_e32 v4, v1
	v_mov_b32_e32 v6, 0
	s_and_b32 s7, s7, 3
	s_delay_alu instid0(SALU_CYCLE_1)
	s_cmp_eq_u32 s7, 0
	s_cbranch_scc1 .LBB97_1100
.LBB97_1098:
	s_lshl_b32 s2, s10, 3
	s_mul_i32 s4, s10, 12
	s_add_u32 s2, s2, s16
	s_addc_u32 s3, 0, s17
	s_add_u32 s2, s2, 0xc4
	s_addc_u32 s3, s3, 0
	;; [unrolled: 2-line block ×3, first 2 shown]
	.p2align	6
.LBB97_1099:                            ; =>This Inner Loop Header: Depth=1
	s_clause 0x1
	s_load_b64 s[10:11], s[4:5], 0x4
	s_load_b32 s14, s[4:5], 0xc
	s_load_b64 s[12:13], s[2:3], 0x0
	s_add_u32 s4, s4, 12
	s_addc_u32 s5, s5, 0
	s_add_u32 s2, s2, 8
	s_addc_u32 s3, s3, 0
	s_add_i32 s7, s7, -1
	s_delay_alu instid0(SALU_CYCLE_1) | instskip(SKIP_2) | instid1(VALU_DEP_1)
	s_cmp_lg_u32 s7, 0
	s_waitcnt lgkmcnt(0)
	v_mul_hi_u32 v9, s11, v4
	v_add_nc_u32_e32 v9, v4, v9
	s_delay_alu instid0(VALU_DEP_1) | instskip(NEXT) | instid1(VALU_DEP_1)
	v_lshrrev_b32_e32 v12, s14, v9
	v_mul_lo_u32 v9, v12, s10
	s_delay_alu instid0(VALU_DEP_1) | instskip(NEXT) | instid1(VALU_DEP_1)
	v_sub_nc_u32_e32 v4, v4, v9
	v_mad_u64_u32 v[9:10], null, v4, s12, v[2:3]
	v_mad_u64_u32 v[10:11], null, v4, s13, v[6:7]
	v_mov_b32_e32 v4, v12
	s_delay_alu instid0(VALU_DEP_3) | instskip(NEXT) | instid1(VALU_DEP_3)
	v_mov_b32_e32 v2, v9
	v_mov_b32_e32 v6, v10
	s_cbranch_scc1 .LBB97_1099
.LBB97_1100:
	s_and_not1_b32 vcc_lo, exec_lo, s6
	s_cbranch_vccnz .LBB97_1103
; %bb.1101:
	s_clause 0x1
	s_load_b128 s[4:7], s[16:17], 0x4
	s_load_b64 s[2:3], s[16:17], 0xc4
	s_cmp_lt_u32 s24, 2
	s_waitcnt lgkmcnt(0)
	v_mul_hi_u32 v2, s5, v1
	s_delay_alu instid0(VALU_DEP_1) | instskip(NEXT) | instid1(VALU_DEP_1)
	v_add_nc_u32_e32 v2, v1, v2
	v_lshrrev_b32_e32 v4, s6, v2
	s_delay_alu instid0(VALU_DEP_1) | instskip(NEXT) | instid1(VALU_DEP_1)
	v_mul_lo_u32 v2, v4, s4
	v_sub_nc_u32_e32 v1, v1, v2
	s_delay_alu instid0(VALU_DEP_1)
	v_mul_lo_u32 v2, v1, s2
	s_waitcnt vmcnt(0)
	v_mul_lo_u32 v6, v1, s3
	s_cbranch_scc1 .LBB97_1103
; %bb.1102:
	s_clause 0x1
	s_load_b128 s[4:7], s[16:17], 0x10
	s_load_b64 s[2:3], s[16:17], 0xcc
	s_waitcnt lgkmcnt(0)
	v_mul_hi_u32 v1, s5, v4
	s_delay_alu instid0(VALU_DEP_1) | instskip(NEXT) | instid1(VALU_DEP_1)
	v_add_nc_u32_e32 v1, v4, v1
	v_lshrrev_b32_e32 v1, s6, v1
	s_delay_alu instid0(VALU_DEP_1) | instskip(NEXT) | instid1(VALU_DEP_1)
	v_mul_lo_u32 v1, v1, s4
	v_sub_nc_u32_e32 v4, v4, v1
	s_delay_alu instid0(VALU_DEP_1) | instskip(SKIP_1) | instid1(VALU_DEP_2)
	v_mad_u64_u32 v[9:10], null, v4, s2, v[2:3]
	v_mad_u64_u32 v[1:2], null, v4, s3, v[6:7]
	v_mov_b32_e32 v2, v9
	s_delay_alu instid0(VALU_DEP_2)
	v_mov_b32_e32 v6, v1
.LBB97_1103:
	v_cmp_ne_u32_e32 vcc_lo, 1, v0
	v_add_nc_u32_e32 v4, 0x100, v5
	s_cbranch_vccnz .LBB97_1109
; %bb.1104:
	v_mov_b32_e32 v1, 0
	v_mov_b32_e32 v5, 0
	s_cmp_lg_u32 s24, 0
	s_mov_b32 s6, 0
	s_cbranch_scc0 .LBB97_1113
; %bb.1105:
	s_min_u32 s7, s25, 15
	v_mov_b32_e32 v1, 0
	s_add_i32 s7, s7, 1
	s_cmp_eq_u32 s25, 2
	s_mov_b32 s10, 0
	s_cbranch_scc1 .LBB97_1110
; %bb.1106:
	v_mov_b32_e32 v5, 0
	v_mov_b32_e32 v1, 0
	;; [unrolled: 1-line block ×3, first 2 shown]
	s_add_u32 s2, s16, 0xc4
	s_addc_u32 s3, s17, 0
	s_and_b32 s10, s7, 28
	s_mov_b32 s11, 0
	s_mov_b64 s[4:5], s[16:17]
.LBB97_1107:                            ; =>This Inner Loop Header: Depth=1
	s_clause 0x1
	s_load_b256 s[36:43], s[4:5], 0x4
	s_load_b128 s[12:15], s[4:5], 0x24
	s_load_b256 s[44:51], s[2:3], 0x0
	s_add_u32 s4, s4, 48
	s_addc_u32 s5, s5, 0
	s_add_i32 s11, s11, 4
	s_add_u32 s2, s2, 32
	s_addc_u32 s3, s3, 0
	s_cmp_lg_u32 s10, s11
	s_waitcnt lgkmcnt(0)
	v_mul_hi_u32 v10, s37, v9
	s_delay_alu instid0(VALU_DEP_1) | instskip(NEXT) | instid1(VALU_DEP_1)
	v_add_nc_u32_e32 v10, v9, v10
	v_lshrrev_b32_e32 v10, s38, v10
	s_delay_alu instid0(VALU_DEP_1) | instskip(SKIP_1) | instid1(VALU_DEP_2)
	v_mul_hi_u32 v11, s40, v10
	v_mul_lo_u32 v13, v10, s36
	v_add_nc_u32_e32 v11, v10, v11
	s_delay_alu instid0(VALU_DEP_2) | instskip(NEXT) | instid1(VALU_DEP_2)
	v_sub_nc_u32_e32 v9, v9, v13
	v_lshrrev_b32_e32 v11, s41, v11
	s_delay_alu instid0(VALU_DEP_2) | instskip(SKIP_1) | instid1(VALU_DEP_3)
	v_mul_lo_u32 v13, v9, s44
	v_mul_lo_u32 v15, v9, s45
	v_mul_hi_u32 v12, s43, v11
	s_delay_alu instid0(VALU_DEP_1) | instskip(NEXT) | instid1(VALU_DEP_1)
	v_add_nc_u32_e32 v12, v11, v12
	v_lshrrev_b32_e32 v12, s12, v12
	s_delay_alu instid0(VALU_DEP_1) | instskip(SKIP_1) | instid1(VALU_DEP_2)
	v_mul_hi_u32 v14, s14, v12
	v_mul_lo_u32 v16, v12, s42
	v_add_nc_u32_e32 v9, v12, v14
	v_mul_lo_u32 v14, v11, s39
	s_delay_alu instid0(VALU_DEP_3) | instskip(NEXT) | instid1(VALU_DEP_3)
	v_sub_nc_u32_e32 v11, v11, v16
	v_lshrrev_b32_e32 v9, s15, v9
	s_delay_alu instid0(VALU_DEP_2) | instskip(SKIP_2) | instid1(VALU_DEP_4)
	v_mul_lo_u32 v16, v11, s48
	v_mul_lo_u32 v11, v11, s49
	v_sub_nc_u32_e32 v10, v10, v14
	v_mul_lo_u32 v17, v9, s13
	s_delay_alu instid0(VALU_DEP_2) | instskip(SKIP_1) | instid1(VALU_DEP_3)
	v_mul_lo_u32 v14, v10, s46
	v_mul_lo_u32 v10, v10, s47
	v_sub_nc_u32_e32 v12, v12, v17
	s_delay_alu instid0(VALU_DEP_3) | instskip(NEXT) | instid1(VALU_DEP_2)
	v_add3_u32 v1, v13, v1, v14
	v_mul_lo_u32 v17, v12, s50
	v_mul_lo_u32 v12, v12, s51
	v_add3_u32 v5, v15, v5, v10
	s_delay_alu instid0(VALU_DEP_3) | instskip(NEXT) | instid1(VALU_DEP_2)
	v_add3_u32 v1, v16, v1, v17
	v_add3_u32 v5, v11, v5, v12
	s_cbranch_scc1 .LBB97_1107
; %bb.1108:
	s_and_b32 s7, s7, 3
	s_delay_alu instid0(SALU_CYCLE_1)
	s_cmp_eq_u32 s7, 0
	s_cbranch_scc0 .LBB97_1111
	s_branch .LBB97_1113
.LBB97_1109:
	s_mov_b32 s6, -1
                                        ; implicit-def: $vgpr1
                                        ; implicit-def: $vgpr5
	s_branch .LBB97_1113
.LBB97_1110:
	v_mov_b32_e32 v9, v4
	v_mov_b32_e32 v5, 0
	s_and_b32 s7, s7, 3
	s_delay_alu instid0(SALU_CYCLE_1)
	s_cmp_eq_u32 s7, 0
	s_cbranch_scc1 .LBB97_1113
.LBB97_1111:
	s_lshl_b32 s2, s10, 3
	s_mul_i32 s4, s10, 12
	s_add_u32 s2, s2, s16
	s_addc_u32 s3, 0, s17
	s_add_u32 s2, s2, 0xc4
	s_addc_u32 s3, s3, 0
	;; [unrolled: 2-line block ×3, first 2 shown]
	.p2align	6
.LBB97_1112:                            ; =>This Inner Loop Header: Depth=1
	s_clause 0x1
	s_load_b64 s[10:11], s[4:5], 0x4
	s_load_b32 s14, s[4:5], 0xc
	s_load_b64 s[12:13], s[2:3], 0x0
	s_add_u32 s4, s4, 12
	s_addc_u32 s5, s5, 0
	s_add_u32 s2, s2, 8
	s_addc_u32 s3, s3, 0
	s_add_i32 s7, s7, -1
	s_delay_alu instid0(SALU_CYCLE_1) | instskip(SKIP_2) | instid1(VALU_DEP_1)
	s_cmp_lg_u32 s7, 0
	s_waitcnt lgkmcnt(0)
	v_mul_hi_u32 v10, s11, v9
	v_add_nc_u32_e32 v10, v9, v10
	s_delay_alu instid0(VALU_DEP_1) | instskip(NEXT) | instid1(VALU_DEP_1)
	v_lshrrev_b32_e32 v13, s14, v10
	v_mul_lo_u32 v10, v13, s10
	s_delay_alu instid0(VALU_DEP_1) | instskip(NEXT) | instid1(VALU_DEP_1)
	v_sub_nc_u32_e32 v9, v9, v10
	v_mad_u64_u32 v[10:11], null, v9, s12, v[1:2]
	s_waitcnt vmcnt(0)
	v_mad_u64_u32 v[11:12], null, v9, s13, v[5:6]
	v_mov_b32_e32 v9, v13
	s_delay_alu instid0(VALU_DEP_3) | instskip(NEXT) | instid1(VALU_DEP_3)
	v_mov_b32_e32 v1, v10
	v_mov_b32_e32 v5, v11
	s_cbranch_scc1 .LBB97_1112
.LBB97_1113:
	s_and_not1_b32 vcc_lo, exec_lo, s6
	s_cbranch_vccnz .LBB97_1116
; %bb.1114:
	s_clause 0x1
	s_load_b128 s[4:7], s[16:17], 0x4
	s_load_b64 s[2:3], s[16:17], 0xc4
	s_cmp_lt_u32 s24, 2
	s_waitcnt lgkmcnt(0)
	v_mul_hi_u32 v1, s5, v4
	s_delay_alu instid0(VALU_DEP_1) | instskip(NEXT) | instid1(VALU_DEP_1)
	v_add_nc_u32_e32 v1, v4, v1
	v_lshrrev_b32_e32 v9, s6, v1
	s_delay_alu instid0(VALU_DEP_1) | instskip(NEXT) | instid1(VALU_DEP_1)
	v_mul_lo_u32 v1, v9, s4
	v_sub_nc_u32_e32 v4, v4, v1
	s_delay_alu instid0(VALU_DEP_1)
	v_mul_lo_u32 v1, v4, s2
	v_mul_lo_u32 v5, v4, s3
	s_cbranch_scc1 .LBB97_1116
; %bb.1115:
	s_clause 0x1
	s_load_b128 s[4:7], s[16:17], 0x10
	s_load_b64 s[2:3], s[16:17], 0xcc
	s_waitcnt lgkmcnt(0)
	v_mul_hi_u32 v4, s5, v9
	s_delay_alu instid0(VALU_DEP_1) | instskip(NEXT) | instid1(VALU_DEP_1)
	v_add_nc_u32_e32 v4, v9, v4
	v_lshrrev_b32_e32 v4, s6, v4
	s_delay_alu instid0(VALU_DEP_1) | instskip(NEXT) | instid1(VALU_DEP_1)
	v_mul_lo_u32 v4, v4, s4
	v_sub_nc_u32_e32 v4, v9, v4
	s_delay_alu instid0(VALU_DEP_1) | instskip(SKIP_2) | instid1(VALU_DEP_2)
	v_mad_u64_u32 v[9:10], null, v4, s2, v[1:2]
	s_waitcnt vmcnt(0)
	v_mad_u64_u32 v[10:11], null, v4, s3, v[5:6]
	v_mov_b32_e32 v1, v9
	s_delay_alu instid0(VALU_DEP_2)
	v_mov_b32_e32 v5, v10
.LBB97_1116:
	v_cmp_ne_u32_e32 vcc_lo, 1, v0
	s_cbranch_vccnz .LBB97_1122
; %bb.1117:
	v_mov_b32_e32 v0, 0
	v_mov_b32_e32 v4, 0
	s_cmp_lg_u32 s24, 0
	s_mov_b32 s6, 0
	s_cbranch_scc0 .LBB97_1126
; %bb.1118:
	s_min_u32 s7, s25, 15
	v_mov_b32_e32 v0, 0
	s_add_i32 s7, s7, 1
	s_cmp_eq_u32 s25, 2
	s_mov_b32 s10, 0
	s_cbranch_scc1 .LBB97_1123
; %bb.1119:
	v_dual_mov_b32 v4, 0 :: v_dual_mov_b32 v9, v8
	v_mov_b32_e32 v0, 0
	s_add_u32 s2, s16, 0xc4
	s_addc_u32 s3, s17, 0
	s_and_b32 s10, s7, 28
	s_mov_b32 s11, 0
	s_mov_b64 s[4:5], s[16:17]
.LBB97_1120:                            ; =>This Inner Loop Header: Depth=1
	s_clause 0x1
	s_load_b256 s[36:43], s[4:5], 0x4
	s_load_b128 s[12:15], s[4:5], 0x24
	s_load_b256 s[44:51], s[2:3], 0x0
	s_add_u32 s4, s4, 48
	s_addc_u32 s5, s5, 0
	s_add_i32 s11, s11, 4
	s_add_u32 s2, s2, 32
	s_addc_u32 s3, s3, 0
	s_cmp_lg_u32 s10, s11
	s_waitcnt lgkmcnt(0)
	v_mul_hi_u32 v10, s37, v9
	s_delay_alu instid0(VALU_DEP_1) | instskip(NEXT) | instid1(VALU_DEP_1)
	v_add_nc_u32_e32 v10, v9, v10
	v_lshrrev_b32_e32 v10, s38, v10
	s_delay_alu instid0(VALU_DEP_1) | instskip(SKIP_1) | instid1(VALU_DEP_2)
	v_mul_hi_u32 v11, s40, v10
	v_mul_lo_u32 v13, v10, s36
	v_add_nc_u32_e32 v11, v10, v11
	s_delay_alu instid0(VALU_DEP_2) | instskip(NEXT) | instid1(VALU_DEP_2)
	v_sub_nc_u32_e32 v9, v9, v13
	v_lshrrev_b32_e32 v11, s41, v11
	s_delay_alu instid0(VALU_DEP_2) | instskip(SKIP_1) | instid1(VALU_DEP_3)
	v_mul_lo_u32 v13, v9, s44
	v_mul_lo_u32 v15, v9, s45
	v_mul_hi_u32 v12, s43, v11
	s_delay_alu instid0(VALU_DEP_1) | instskip(NEXT) | instid1(VALU_DEP_1)
	v_add_nc_u32_e32 v12, v11, v12
	v_lshrrev_b32_e32 v12, s12, v12
	s_delay_alu instid0(VALU_DEP_1) | instskip(SKIP_1) | instid1(VALU_DEP_2)
	v_mul_hi_u32 v14, s14, v12
	v_mul_lo_u32 v16, v12, s42
	v_add_nc_u32_e32 v9, v12, v14
	v_mul_lo_u32 v14, v11, s39
	s_delay_alu instid0(VALU_DEP_3) | instskip(NEXT) | instid1(VALU_DEP_3)
	v_sub_nc_u32_e32 v11, v11, v16
	v_lshrrev_b32_e32 v9, s15, v9
	s_delay_alu instid0(VALU_DEP_2) | instskip(SKIP_2) | instid1(VALU_DEP_4)
	v_mul_lo_u32 v16, v11, s48
	v_mul_lo_u32 v11, v11, s49
	v_sub_nc_u32_e32 v10, v10, v14
	v_mul_lo_u32 v17, v9, s13
	s_delay_alu instid0(VALU_DEP_2) | instskip(SKIP_1) | instid1(VALU_DEP_3)
	v_mul_lo_u32 v14, v10, s46
	v_mul_lo_u32 v10, v10, s47
	v_sub_nc_u32_e32 v12, v12, v17
	s_delay_alu instid0(VALU_DEP_3) | instskip(NEXT) | instid1(VALU_DEP_2)
	v_add3_u32 v0, v13, v0, v14
	v_mul_lo_u32 v17, v12, s50
	v_mul_lo_u32 v12, v12, s51
	v_add3_u32 v4, v15, v4, v10
	s_delay_alu instid0(VALU_DEP_3) | instskip(NEXT) | instid1(VALU_DEP_2)
	v_add3_u32 v0, v16, v0, v17
	v_add3_u32 v4, v11, v4, v12
	s_cbranch_scc1 .LBB97_1120
; %bb.1121:
	s_and_b32 s7, s7, 3
	s_delay_alu instid0(SALU_CYCLE_1)
	s_cmp_eq_u32 s7, 0
	s_cbranch_scc0 .LBB97_1124
	s_branch .LBB97_1126
.LBB97_1122:
	s_mov_b32 s6, -1
                                        ; implicit-def: $vgpr0
                                        ; implicit-def: $vgpr4
	s_branch .LBB97_1126
.LBB97_1123:
	v_dual_mov_b32 v9, v8 :: v_dual_mov_b32 v4, 0
	s_and_b32 s7, s7, 3
	s_delay_alu instid0(SALU_CYCLE_1)
	s_cmp_eq_u32 s7, 0
	s_cbranch_scc1 .LBB97_1126
.LBB97_1124:
	s_lshl_b32 s2, s10, 3
	s_mul_i32 s4, s10, 12
	s_add_u32 s2, s2, s16
	s_addc_u32 s3, 0, s17
	s_add_u32 s2, s2, 0xc4
	s_addc_u32 s3, s3, 0
	;; [unrolled: 2-line block ×3, first 2 shown]
	.p2align	6
.LBB97_1125:                            ; =>This Inner Loop Header: Depth=1
	s_clause 0x1
	s_load_b64 s[10:11], s[4:5], 0x4
	s_load_b32 s14, s[4:5], 0xc
	s_load_b64 s[12:13], s[2:3], 0x0
	s_add_u32 s4, s4, 12
	s_addc_u32 s5, s5, 0
	s_add_u32 s2, s2, 8
	s_addc_u32 s3, s3, 0
	s_add_i32 s7, s7, -1
	s_delay_alu instid0(SALU_CYCLE_1) | instskip(SKIP_2) | instid1(VALU_DEP_1)
	s_cmp_lg_u32 s7, 0
	s_waitcnt lgkmcnt(0)
	v_mul_hi_u32 v10, s11, v9
	v_add_nc_u32_e32 v10, v9, v10
	s_delay_alu instid0(VALU_DEP_1) | instskip(NEXT) | instid1(VALU_DEP_1)
	v_lshrrev_b32_e32 v13, s14, v10
	v_mul_lo_u32 v10, v13, s10
	s_delay_alu instid0(VALU_DEP_1) | instskip(NEXT) | instid1(VALU_DEP_1)
	v_sub_nc_u32_e32 v9, v9, v10
	v_mad_u64_u32 v[10:11], null, v9, s12, v[0:1]
	v_mad_u64_u32 v[11:12], null, v9, s13, v[4:5]
	s_delay_alu instid0(VALU_DEP_2) | instskip(NEXT) | instid1(VALU_DEP_2)
	v_dual_mov_b32 v9, v13 :: v_dual_mov_b32 v0, v10
	v_mov_b32_e32 v4, v11
	s_cbranch_scc1 .LBB97_1125
.LBB97_1126:
	s_and_not1_b32 vcc_lo, exec_lo, s6
	s_cbranch_vccnz .LBB97_1129
; %bb.1127:
	s_clause 0x1
	s_load_b128 s[4:7], s[16:17], 0x4
	s_load_b64 s[2:3], s[16:17], 0xc4
	s_cmp_lt_u32 s24, 2
	s_waitcnt lgkmcnt(0)
	v_mul_hi_u32 v0, s5, v8
	s_delay_alu instid0(VALU_DEP_1) | instskip(NEXT) | instid1(VALU_DEP_1)
	v_add_nc_u32_e32 v0, v8, v0
	v_lshrrev_b32_e32 v9, s6, v0
	s_delay_alu instid0(VALU_DEP_1) | instskip(NEXT) | instid1(VALU_DEP_1)
	v_mul_lo_u32 v0, v9, s4
	v_sub_nc_u32_e32 v4, v8, v0
	s_delay_alu instid0(VALU_DEP_1)
	v_mul_lo_u32 v0, v4, s2
	v_mul_lo_u32 v4, v4, s3
	s_cbranch_scc1 .LBB97_1129
; %bb.1128:
	s_clause 0x1
	s_load_b128 s[4:7], s[16:17], 0x10
	s_load_b64 s[2:3], s[16:17], 0xcc
	s_waitcnt lgkmcnt(0)
	v_mul_hi_u32 v8, s5, v9
	s_delay_alu instid0(VALU_DEP_1) | instskip(NEXT) | instid1(VALU_DEP_1)
	v_add_nc_u32_e32 v8, v9, v8
	v_lshrrev_b32_e32 v8, s6, v8
	s_delay_alu instid0(VALU_DEP_1) | instskip(NEXT) | instid1(VALU_DEP_1)
	v_mul_lo_u32 v8, v8, s4
	v_sub_nc_u32_e32 v11, v9, v8
	s_delay_alu instid0(VALU_DEP_1) | instskip(SKIP_1) | instid1(VALU_DEP_2)
	v_mad_u64_u32 v[8:9], null, v11, s2, v[0:1]
	v_mad_u64_u32 v[9:10], null, v11, s3, v[4:5]
	v_mov_b32_e32 v0, v8
	s_delay_alu instid0(VALU_DEP_2)
	v_mov_b32_e32 v4, v9
.LBB97_1129:
	s_clause 0x1
	s_load_b32 s0, s[0:1], 0x160
	s_load_b128 s[4:7], s[16:17], 0x148
	s_mov_b32 s3, 0
	s_waitcnt lgkmcnt(0)
	s_lshr_b32 s1, s0, 16
	s_delay_alu instid0(SALU_CYCLE_1) | instskip(SKIP_1) | instid1(VALU_DEP_1)
	v_and_b32_e64 v9, 0xff, s1
	v_add_co_u32 v7, s1, s6, v7
	v_add_co_ci_u32_e64 v8, null, s7, 0, s1
	s_delay_alu instid0(VALU_DEP_3)
	v_cmp_gt_i16_e32 vcc_lo, 11, v9
	s_cbranch_vccnz .LBB97_1136
; %bb.1130:
	v_cmp_lt_i16_e32 vcc_lo, 25, v9
	s_mov_b32 s2, 0
	s_cbranch_vccz .LBB97_1142
; %bb.1131:
	v_cmp_lt_i16_e32 vcc_lo, 28, v9
	s_cbranch_vccz .LBB97_1144
; %bb.1132:
	v_cmp_lt_i16_e32 vcc_lo, 43, v9
	;; [unrolled: 3-line block ×3, first 2 shown]
	s_cbranch_vccz .LBB97_1150
; %bb.1134:
	v_cmp_eq_u16_e32 vcc_lo, 46, v9
	s_mov_b32 s10, 0
	s_cbranch_vccz .LBB97_1192
; %bb.1135:
	global_load_b32 v10, v[7:8], off
	s_mov_b32 s1, 0
	s_mov_b32 s3, -1
	s_waitcnt vmcnt(0)
	v_lshlrev_b32_e32 v10, 16, v10
	s_delay_alu instid0(VALU_DEP_1)
	v_cvt_f16_f32_e32 v10, v10
	s_branch .LBB97_1194
.LBB97_1136:
	s_mov_b32 s1, s8
                                        ; implicit-def: $vgpr10
	s_cbranch_execz .LBB97_1257
; %bb.1137:
	v_cmp_gt_i16_e32 vcc_lo, 5, v9
	s_cbranch_vccnz .LBB97_1143
; %bb.1138:
	v_cmp_gt_i16_e32 vcc_lo, 8, v9
	s_cbranch_vccnz .LBB97_1145
	;; [unrolled: 3-line block ×3, first 2 shown]
; %bb.1140:
	v_cmp_lt_i16_e32 vcc_lo, 9, v9
	s_cbranch_vccz .LBB97_1151
; %bb.1141:
	global_load_b64 v[10:11], v[7:8], off
	s_mov_b32 s2, 0
	s_waitcnt vmcnt(0)
	v_cvt_f32_f64_e32 v10, v[10:11]
	s_delay_alu instid0(VALU_DEP_1)
	v_cvt_f16_f32_e32 v10, v10
	s_branch .LBB97_1152
.LBB97_1142:
	s_mov_b32 s1, 0
                                        ; implicit-def: $vgpr10
	s_cbranch_execnz .LBB97_1222
	s_branch .LBB97_1253
.LBB97_1143:
                                        ; implicit-def: $vgpr10
	s_branch .LBB97_1169
.LBB97_1144:
	s_mov_b32 s10, -1
	s_mov_b32 s1, 0
                                        ; implicit-def: $vgpr10
	s_branch .LBB97_1203
.LBB97_1145:
                                        ; implicit-def: $vgpr10
	s_branch .LBB97_1158
.LBB97_1146:
	s_mov_b32 s1, 0
                                        ; implicit-def: $vgpr10
	s_cbranch_execnz .LBB97_1199
	s_branch .LBB97_1202
.LBB97_1147:
	s_mov_b32 s2, -1
                                        ; implicit-def: $vgpr10
	s_branch .LBB97_1155
.LBB97_1148:
	s_cbranch_execnz .LBB97_1190
; %bb.1149:
	s_or_b32 s3, s3, exec_lo
	s_and_not1_b32 s8, s8, exec_lo
	s_or_b32 exec_lo, exec_lo, s2
	s_and_saveexec_b32 s2, s8
	s_delay_alu instid0(SALU_CYCLE_1)
	s_xor_b32 s2, exec_lo, s2
	s_cbranch_execnz .LBB97_1036
	s_branch .LBB97_1037
.LBB97_1150:
	s_mov_b32 s10, -1
	s_mov_b32 s1, 0
	s_branch .LBB97_1193
.LBB97_1151:
	s_mov_b32 s2, -1
                                        ; implicit-def: $vgpr10
.LBB97_1152:
	s_delay_alu instid0(SALU_CYCLE_1)
	s_and_not1_b32 vcc_lo, exec_lo, s2
	s_cbranch_vccnz .LBB97_1154
; %bb.1153:
	global_load_b32 v10, v[7:8], off
	s_waitcnt vmcnt(0)
	v_cvt_f16_f32_e32 v10, v10
.LBB97_1154:
	s_mov_b32 s2, 0
.LBB97_1155:
	s_delay_alu instid0(SALU_CYCLE_1)
	s_and_not1_b32 vcc_lo, exec_lo, s2
	s_cbranch_vccnz .LBB97_1157
; %bb.1156:
	global_load_b32 v10, v[7:8], off
.LBB97_1157:
	s_cbranch_execnz .LBB97_1168
.LBB97_1158:
	v_cmp_gt_i16_e32 vcc_lo, 6, v9
	s_cbranch_vccnz .LBB97_1161
; %bb.1159:
	v_cmp_lt_i16_e32 vcc_lo, 6, v9
	s_cbranch_vccz .LBB97_1162
; %bb.1160:
	global_load_b64 v[10:11], v[7:8], off
	s_mov_b32 s2, 0
	s_waitcnt vmcnt(0)
	v_cvt_f32_f64_e32 v10, v[10:11]
	s_delay_alu instid0(VALU_DEP_1)
	v_cvt_f16_f32_e32 v10, v10
	s_branch .LBB97_1163
.LBB97_1161:
	s_mov_b32 s2, -1
                                        ; implicit-def: $vgpr10
	s_branch .LBB97_1166
.LBB97_1162:
	s_mov_b32 s2, -1
                                        ; implicit-def: $vgpr10
.LBB97_1163:
	s_delay_alu instid0(SALU_CYCLE_1)
	s_and_not1_b32 vcc_lo, exec_lo, s2
	s_cbranch_vccnz .LBB97_1165
; %bb.1164:
	global_load_b32 v10, v[7:8], off
	s_waitcnt vmcnt(0)
	v_cvt_f16_f32_e32 v10, v10
.LBB97_1165:
	s_mov_b32 s2, 0
.LBB97_1166:
	s_delay_alu instid0(SALU_CYCLE_1)
	s_and_not1_b32 vcc_lo, exec_lo, s2
	s_cbranch_vccnz .LBB97_1168
; %bb.1167:
	global_load_u16 v10, v[7:8], off
.LBB97_1168:
	s_cbranch_execnz .LBB97_1187
.LBB97_1169:
	v_cmp_gt_i16_e32 vcc_lo, 2, v9
	s_cbranch_vccnz .LBB97_1173
; %bb.1170:
	v_cmp_gt_i16_e32 vcc_lo, 3, v9
	s_cbranch_vccnz .LBB97_1174
; %bb.1171:
	v_cmp_lt_i16_e32 vcc_lo, 3, v9
	s_cbranch_vccz .LBB97_1175
; %bb.1172:
	global_load_b64 v[10:11], v[7:8], off
	s_mov_b32 s2, 0
	s_waitcnt vmcnt(0)
	v_xor_b32_e32 v12, v10, v11
	v_cls_i32_e32 v13, v11
	s_delay_alu instid0(VALU_DEP_2) | instskip(NEXT) | instid1(VALU_DEP_2)
	v_ashrrev_i32_e32 v12, 31, v12
	v_add_nc_u32_e32 v13, -1, v13
	s_delay_alu instid0(VALU_DEP_2) | instskip(NEXT) | instid1(VALU_DEP_1)
	v_add_nc_u32_e32 v12, 32, v12
	v_min_u32_e32 v12, v13, v12
	s_delay_alu instid0(VALU_DEP_1) | instskip(NEXT) | instid1(VALU_DEP_1)
	v_lshlrev_b64 v[10:11], v12, v[10:11]
	v_min_u32_e32 v10, 1, v10
	s_delay_alu instid0(VALU_DEP_1) | instskip(SKIP_1) | instid1(VALU_DEP_2)
	v_or_b32_e32 v10, v11, v10
	v_sub_nc_u32_e32 v11, 32, v12
	v_cvt_f32_i32_e32 v10, v10
	s_delay_alu instid0(VALU_DEP_1) | instskip(NEXT) | instid1(VALU_DEP_1)
	v_ldexp_f32 v10, v10, v11
	v_cvt_f16_f32_e32 v10, v10
	s_branch .LBB97_1176
.LBB97_1173:
                                        ; implicit-def: $vgpr10
	s_branch .LBB97_1182
.LBB97_1174:
	s_mov_b32 s2, -1
                                        ; implicit-def: $vgpr10
	s_branch .LBB97_1179
.LBB97_1175:
	s_mov_b32 s2, -1
                                        ; implicit-def: $vgpr10
.LBB97_1176:
	s_delay_alu instid0(SALU_CYCLE_1)
	s_and_not1_b32 vcc_lo, exec_lo, s2
	s_cbranch_vccnz .LBB97_1178
; %bb.1177:
	global_load_b32 v10, v[7:8], off
	s_waitcnt vmcnt(0)
	v_cvt_f32_i32_e32 v10, v10
	s_delay_alu instid0(VALU_DEP_1)
	v_cvt_f16_f32_e32 v10, v10
.LBB97_1178:
	s_mov_b32 s2, 0
.LBB97_1179:
	s_delay_alu instid0(SALU_CYCLE_1)
	s_and_not1_b32 vcc_lo, exec_lo, s2
	s_cbranch_vccnz .LBB97_1181
; %bb.1180:
	global_load_u16 v10, v[7:8], off
	s_waitcnt vmcnt(0)
	v_cvt_f16_i16_e32 v10, v10
.LBB97_1181:
	s_cbranch_execnz .LBB97_1187
.LBB97_1182:
	v_cmp_lt_i16_e32 vcc_lo, 0, v9
	s_mov_b32 s2, 0
	s_cbranch_vccz .LBB97_1184
; %bb.1183:
	global_load_i8 v10, v[7:8], off
	s_waitcnt vmcnt(0)
	v_cvt_f16_i16_e32 v10, v10
	s_branch .LBB97_1185
.LBB97_1184:
	s_mov_b32 s2, -1
                                        ; implicit-def: $vgpr10
.LBB97_1185:
	s_delay_alu instid0(SALU_CYCLE_1)
	s_and_not1_b32 vcc_lo, exec_lo, s2
	s_cbranch_vccnz .LBB97_1187
; %bb.1186:
	global_load_u8 v7, v[7:8], off
	s_waitcnt vmcnt(0)
	v_cvt_f16_u16_e32 v10, v7
.LBB97_1187:
	s_branch .LBB97_1258
.LBB97_1188:
	s_trap 2
	s_sendmsg_rtn_b32 s0, sendmsg(MSG_RTN_GET_DOORBELL)
	s_mov_b32 ttmp2, m0
	s_waitcnt lgkmcnt(0)
	s_and_b32 s0, s0, 0x3ff
	s_delay_alu instid0(SALU_CYCLE_1) | instskip(NEXT) | instid1(SALU_CYCLE_1)
	s_bitset1_b32 s0, 10
	s_mov_b32 m0, s0
	s_sendmsg sendmsg(MSG_INTERRUPT)
	s_mov_b32 m0, ttmp2
.LBB97_1189:                            ; =>This Inner Loop Header: Depth=1
	s_sethalt 5
	s_branch .LBB97_1189
.LBB97_1190:
	s_trap 2
	s_sendmsg_rtn_b32 s0, sendmsg(MSG_RTN_GET_DOORBELL)
	s_mov_b32 ttmp2, m0
	s_waitcnt lgkmcnt(0)
	s_and_b32 s0, s0, 0x3ff
	s_delay_alu instid0(SALU_CYCLE_1) | instskip(NEXT) | instid1(SALU_CYCLE_1)
	s_bitset1_b32 s0, 10
	s_mov_b32 m0, s0
	s_sendmsg sendmsg(MSG_INTERRUPT)
	s_mov_b32 m0, ttmp2
.LBB97_1191:                            ; =>This Inner Loop Header: Depth=1
	s_sethalt 5
	s_branch .LBB97_1191
.LBB97_1192:
	s_mov_b32 s1, -1
.LBB97_1193:
                                        ; implicit-def: $vgpr10
.LBB97_1194:
	s_and_b32 vcc_lo, exec_lo, s10
	s_cbranch_vccz .LBB97_1197
; %bb.1195:
	v_cmp_eq_u16_e32 vcc_lo, 44, v9
	s_cbranch_vccz .LBB97_1198
; %bb.1196:
	global_load_u8 v10, v[7:8], off
	s_mov_b32 s1, 0
	s_mov_b32 s3, -1
	s_waitcnt vmcnt(0)
	v_lshlrev_b32_e32 v11, 23, v10
	v_cmp_ne_u32_e32 vcc_lo, 0xff, v10
	s_delay_alu instid0(VALU_DEP_2) | instskip(NEXT) | instid1(VALU_DEP_1)
	v_cvt_f16_f32_e32 v11, v11
	v_cndmask_b32_e32 v11, 0x7e00, v11, vcc_lo
	v_cmp_ne_u32_e32 vcc_lo, 0, v10
	s_delay_alu instid0(VALU_DEP_2)
	v_cndmask_b32_e32 v10, 0, v11, vcc_lo
.LBB97_1197:
	s_branch .LBB97_1202
.LBB97_1198:
	s_mov_b32 s1, -1
                                        ; implicit-def: $vgpr10
	s_branch .LBB97_1202
.LBB97_1199:
	v_cmp_eq_u16_e32 vcc_lo, 29, v9
	s_cbranch_vccz .LBB97_1201
; %bb.1200:
	global_load_b64 v[10:11], v[7:8], off
	s_mov_b32 s1, 0
	s_mov_b32 s3, -1
	s_mov_b32 s10, 0
	s_waitcnt vmcnt(0)
	v_clz_i32_u32_e32 v12, v11
	s_delay_alu instid0(VALU_DEP_1) | instskip(NEXT) | instid1(VALU_DEP_1)
	v_min_u32_e32 v12, 32, v12
	v_lshlrev_b64 v[10:11], v12, v[10:11]
	s_delay_alu instid0(VALU_DEP_1) | instskip(NEXT) | instid1(VALU_DEP_1)
	v_min_u32_e32 v10, 1, v10
	v_or_b32_e32 v10, v11, v10
	v_sub_nc_u32_e32 v11, 32, v12
	s_delay_alu instid0(VALU_DEP_2) | instskip(NEXT) | instid1(VALU_DEP_1)
	v_cvt_f32_u32_e32 v10, v10
	v_ldexp_f32 v10, v10, v11
	s_delay_alu instid0(VALU_DEP_1)
	v_cvt_f16_f32_e32 v10, v10
	s_branch .LBB97_1203
.LBB97_1201:
	s_mov_b32 s1, -1
                                        ; implicit-def: $vgpr10
.LBB97_1202:
	s_mov_b32 s10, 0
.LBB97_1203:
	s_delay_alu instid0(SALU_CYCLE_1)
	s_and_b32 vcc_lo, exec_lo, s10
	s_cbranch_vccz .LBB97_1221
; %bb.1204:
	v_cmp_gt_i16_e32 vcc_lo, 27, v9
	s_cbranch_vccnz .LBB97_1207
; %bb.1205:
	v_cmp_lt_i16_e32 vcc_lo, 27, v9
	s_cbranch_vccz .LBB97_1208
; %bb.1206:
	global_load_b32 v10, v[7:8], off
	s_mov_b32 s3, 0
	s_waitcnt vmcnt(0)
	v_cvt_f32_u32_e32 v10, v10
	s_delay_alu instid0(VALU_DEP_1)
	v_cvt_f16_f32_e32 v10, v10
	s_branch .LBB97_1209
.LBB97_1207:
	s_mov_b32 s3, -1
                                        ; implicit-def: $vgpr10
	s_branch .LBB97_1212
.LBB97_1208:
	s_mov_b32 s3, -1
                                        ; implicit-def: $vgpr10
.LBB97_1209:
	s_delay_alu instid0(SALU_CYCLE_1)
	s_and_not1_b32 vcc_lo, exec_lo, s3
	s_cbranch_vccnz .LBB97_1211
; %bb.1210:
	global_load_u16 v10, v[7:8], off
	s_waitcnt vmcnt(0)
	v_cvt_f16_u16_e32 v10, v10
.LBB97_1211:
	s_mov_b32 s3, 0
.LBB97_1212:
	s_delay_alu instid0(SALU_CYCLE_1)
	s_and_not1_b32 vcc_lo, exec_lo, s3
	s_cbranch_vccnz .LBB97_1220
; %bb.1213:
	global_load_u8 v11, v[7:8], off
	s_mov_b32 s3, 0
	s_mov_b32 s11, exec_lo
                                        ; implicit-def: $sgpr10
	s_waitcnt vmcnt(0)
	v_cmpx_lt_i16_e32 0x7f, v11
	s_xor_b32 s11, exec_lo, s11
	s_cbranch_execz .LBB97_1233
; %bb.1214:
	s_mov_b32 s3, -1
	s_mov_b32 s12, exec_lo
                                        ; implicit-def: $sgpr10
	v_cmpx_eq_u16_e32 0x80, v11
; %bb.1215:
	s_movk_i32 s10, 0x7e00
	s_xor_b32 s3, exec_lo, -1
; %bb.1216:
	s_or_b32 exec_lo, exec_lo, s12
	s_delay_alu instid0(SALU_CYCLE_1)
	s_and_b32 s3, s3, exec_lo
	s_or_saveexec_b32 s11, s11
	v_mov_b32_e32 v10, s10
	s_xor_b32 exec_lo, exec_lo, s11
	s_cbranch_execnz .LBB97_1234
.LBB97_1217:
	s_or_b32 exec_lo, exec_lo, s11
	s_and_saveexec_b32 s10, s3
	s_cbranch_execz .LBB97_1219
.LBB97_1218:
	v_and_b32_e32 v10, 0xffff, v11
	s_delay_alu instid0(VALU_DEP_1) | instskip(NEXT) | instid1(VALU_DEP_1)
	v_and_b32_e32 v12, 7, v10
	v_clz_i32_u32_e32 v13, v12
	s_delay_alu instid0(VALU_DEP_1) | instskip(NEXT) | instid1(VALU_DEP_1)
	v_min_u32_e32 v13, 32, v13
	v_subrev_nc_u32_e32 v14, 28, v13
	v_sub_nc_u32_e32 v13, 29, v13
	s_delay_alu instid0(VALU_DEP_2) | instskip(SKIP_1) | instid1(VALU_DEP_2)
	v_lshlrev_b32_e32 v14, v14, v10
	v_bfe_u32 v10, v10, 3, 4
	v_and_b32_e32 v14, 7, v14
	s_delay_alu instid0(VALU_DEP_2) | instskip(SKIP_1) | instid1(VALU_DEP_1)
	v_cmp_eq_u32_e32 vcc_lo, 0, v10
	v_dual_cndmask_b32 v10, v10, v13 :: v_dual_lshlrev_b32 v11, 24, v11
	v_dual_cndmask_b32 v12, v12, v14 :: v_dual_and_b32 v11, 0x80000000, v11
	s_delay_alu instid0(VALU_DEP_2) | instskip(NEXT) | instid1(VALU_DEP_2)
	v_lshl_add_u32 v10, v10, 23, 0x3b800000
	v_lshlrev_b32_e32 v12, 20, v12
	s_delay_alu instid0(VALU_DEP_1) | instskip(NEXT) | instid1(VALU_DEP_1)
	v_or3_b32 v10, v11, v10, v12
	v_cvt_f16_f32_e32 v10, v10
.LBB97_1219:
	s_or_b32 exec_lo, exec_lo, s10
.LBB97_1220:
	s_mov_b32 s3, -1
.LBB97_1221:
	s_branch .LBB97_1253
.LBB97_1222:
	v_cmp_lt_i16_e32 vcc_lo, 22, v9
	s_cbranch_vccz .LBB97_1232
; %bb.1223:
	v_cmp_gt_i16_e32 vcc_lo, 24, v9
	s_cbranch_vccnz .LBB97_1235
; %bb.1224:
	v_cmp_lt_i16_e32 vcc_lo, 24, v9
	s_cbranch_vccz .LBB97_1236
; %bb.1225:
	global_load_u8 v11, v[7:8], off
	s_mov_b32 s10, exec_lo
                                        ; implicit-def: $sgpr3
	s_waitcnt vmcnt(0)
	v_cmpx_lt_i16_e32 0x7f, v11
	s_xor_b32 s10, exec_lo, s10
	s_cbranch_execz .LBB97_1247
; %bb.1226:
	s_mov_b32 s2, -1
	s_mov_b32 s11, exec_lo
                                        ; implicit-def: $sgpr3
	v_cmpx_eq_u16_e32 0x80, v11
; %bb.1227:
	s_movk_i32 s3, 0x7e00
	s_xor_b32 s2, exec_lo, -1
; %bb.1228:
	s_or_b32 exec_lo, exec_lo, s11
	s_delay_alu instid0(SALU_CYCLE_1)
	s_and_b32 s2, s2, exec_lo
	s_or_saveexec_b32 s10, s10
	v_mov_b32_e32 v10, s3
	s_xor_b32 exec_lo, exec_lo, s10
	s_cbranch_execnz .LBB97_1248
.LBB97_1229:
	s_or_b32 exec_lo, exec_lo, s10
	s_and_saveexec_b32 s3, s2
	s_cbranch_execz .LBB97_1231
.LBB97_1230:
	v_and_b32_e32 v10, 0xffff, v11
	s_delay_alu instid0(VALU_DEP_1) | instskip(NEXT) | instid1(VALU_DEP_1)
	v_and_b32_e32 v12, 3, v10
	v_clz_i32_u32_e32 v13, v12
	s_delay_alu instid0(VALU_DEP_1) | instskip(NEXT) | instid1(VALU_DEP_1)
	v_min_u32_e32 v13, 32, v13
	v_subrev_nc_u32_e32 v14, 29, v13
	v_sub_nc_u32_e32 v13, 30, v13
	s_delay_alu instid0(VALU_DEP_2) | instskip(SKIP_1) | instid1(VALU_DEP_2)
	v_lshlrev_b32_e32 v14, v14, v10
	v_bfe_u32 v10, v10, 2, 5
	v_and_b32_e32 v14, 3, v14
	s_delay_alu instid0(VALU_DEP_2) | instskip(SKIP_1) | instid1(VALU_DEP_1)
	v_cmp_eq_u32_e32 vcc_lo, 0, v10
	v_dual_cndmask_b32 v10, v10, v13 :: v_dual_lshlrev_b32 v11, 24, v11
	v_dual_cndmask_b32 v12, v12, v14 :: v_dual_and_b32 v11, 0x80000000, v11
	s_delay_alu instid0(VALU_DEP_2) | instskip(NEXT) | instid1(VALU_DEP_2)
	v_lshl_add_u32 v10, v10, 23, 0x37800000
	v_lshlrev_b32_e32 v12, 21, v12
	s_delay_alu instid0(VALU_DEP_1) | instskip(NEXT) | instid1(VALU_DEP_1)
	v_or3_b32 v10, v11, v10, v12
	v_cvt_f16_f32_e32 v10, v10
.LBB97_1231:
	s_or_b32 exec_lo, exec_lo, s3
	s_mov_b32 s2, 0
	s_branch .LBB97_1237
.LBB97_1232:
                                        ; implicit-def: $vgpr10
	s_mov_b32 s2, 0
	s_branch .LBB97_1243
.LBB97_1233:
	s_or_saveexec_b32 s11, s11
	v_mov_b32_e32 v10, s10
	s_xor_b32 exec_lo, exec_lo, s11
	s_cbranch_execz .LBB97_1217
.LBB97_1234:
	v_cmp_ne_u16_e32 vcc_lo, 0, v11
	v_mov_b32_e32 v10, v11
	s_and_not1_b32 s3, s3, exec_lo
	s_and_b32 s10, vcc_lo, exec_lo
	s_delay_alu instid0(SALU_CYCLE_1)
	s_or_b32 s3, s3, s10
	s_or_b32 exec_lo, exec_lo, s11
	s_and_saveexec_b32 s10, s3
	s_cbranch_execnz .LBB97_1218
	s_branch .LBB97_1219
.LBB97_1235:
	s_mov_b32 s2, -1
                                        ; implicit-def: $vgpr10
	s_branch .LBB97_1240
.LBB97_1236:
	s_mov_b32 s2, -1
                                        ; implicit-def: $vgpr10
.LBB97_1237:
	s_delay_alu instid0(SALU_CYCLE_1)
	s_and_b32 vcc_lo, exec_lo, s2
	s_cbranch_vccz .LBB97_1239
; %bb.1238:
	global_load_u8 v10, v[7:8], off
	s_waitcnt vmcnt(0)
	v_lshlrev_b32_e32 v10, 24, v10
	s_delay_alu instid0(VALU_DEP_1) | instskip(NEXT) | instid1(VALU_DEP_1)
	v_and_b32_e32 v11, 0x7f000000, v10
	v_clz_i32_u32_e32 v12, v11
	v_add_nc_u32_e32 v14, 0x1000000, v11
	v_cmp_ne_u32_e32 vcc_lo, 0, v11
	s_delay_alu instid0(VALU_DEP_3) | instskip(NEXT) | instid1(VALU_DEP_1)
	v_min_u32_e32 v12, 32, v12
	v_sub_nc_u32_e64 v12, v12, 4 clamp
	s_delay_alu instid0(VALU_DEP_1) | instskip(SKIP_1) | instid1(VALU_DEP_2)
	v_lshlrev_b32_e32 v13, v12, v11
	v_lshlrev_b32_e32 v12, 23, v12
	v_lshrrev_b32_e32 v13, 4, v13
	s_delay_alu instid0(VALU_DEP_1) | instskip(SKIP_1) | instid1(VALU_DEP_2)
	v_sub_nc_u32_e32 v12, v13, v12
	v_ashrrev_i32_e32 v13, 8, v14
	v_add_nc_u32_e32 v12, 0x3c000000, v12
	s_delay_alu instid0(VALU_DEP_1) | instskip(NEXT) | instid1(VALU_DEP_1)
	v_and_or_b32 v12, 0x7f800000, v13, v12
	v_cndmask_b32_e32 v11, 0, v12, vcc_lo
	s_delay_alu instid0(VALU_DEP_1) | instskip(NEXT) | instid1(VALU_DEP_1)
	v_and_or_b32 v10, 0x80000000, v10, v11
	v_cvt_f16_f32_e32 v10, v10
.LBB97_1239:
	s_mov_b32 s2, 0
.LBB97_1240:
	s_delay_alu instid0(SALU_CYCLE_1)
	s_and_not1_b32 vcc_lo, exec_lo, s2
	s_cbranch_vccnz .LBB97_1242
; %bb.1241:
	global_load_u8 v10, v[7:8], off
	s_waitcnt vmcnt(0)
	v_lshlrev_b32_e32 v11, 25, v10
	v_lshlrev_b16 v10, 8, v10
	s_delay_alu instid0(VALU_DEP_2) | instskip(NEXT) | instid1(VALU_DEP_2)
	v_lshrrev_b32_e32 v12, 4, v11
	v_and_or_b32 v13, 0x7f00, v10, 0.5
	v_bfe_i32 v10, v10, 0, 16
	s_delay_alu instid0(VALU_DEP_3) | instskip(NEXT) | instid1(VALU_DEP_1)
	v_or_b32_e32 v12, 0x70000000, v12
	v_dual_add_f32 v13, -0.5, v13 :: v_dual_mul_f32 v12, 0x7800000, v12
	v_cmp_gt_u32_e32 vcc_lo, 0x8000000, v11
	s_delay_alu instid0(VALU_DEP_2) | instskip(NEXT) | instid1(VALU_DEP_1)
	v_cndmask_b32_e32 v11, v12, v13, vcc_lo
	v_and_or_b32 v10, 0x80000000, v10, v11
	s_delay_alu instid0(VALU_DEP_1)
	v_cvt_f16_f32_e32 v10, v10
.LBB97_1242:
	s_mov_b32 s3, -1
	s_mov_b32 s2, 0
	s_cbranch_execnz .LBB97_1253
.LBB97_1243:
	v_cmp_lt_i16_e32 vcc_lo, 14, v9
	s_cbranch_vccz .LBB97_1246
; %bb.1244:
	v_cmp_eq_u16_e32 vcc_lo, 15, v9
	s_cbranch_vccz .LBB97_1249
; %bb.1245:
	global_load_u16 v10, v[7:8], off
	s_mov_b32 s1, 0
	s_mov_b32 s3, -1
	s_waitcnt vmcnt(0)
	v_lshlrev_b32_e32 v10, 16, v10
	s_delay_alu instid0(VALU_DEP_1)
	v_cvt_f16_f32_e32 v10, v10
	s_branch .LBB97_1251
.LBB97_1246:
	s_mov_b32 s2, -1
	s_branch .LBB97_1250
.LBB97_1247:
	s_or_saveexec_b32 s10, s10
	v_mov_b32_e32 v10, s3
	s_xor_b32 exec_lo, exec_lo, s10
	s_cbranch_execz .LBB97_1229
.LBB97_1248:
	v_cmp_ne_u16_e32 vcc_lo, 0, v11
	v_mov_b32_e32 v10, v11
	s_and_not1_b32 s2, s2, exec_lo
	s_and_b32 s3, vcc_lo, exec_lo
	s_delay_alu instid0(SALU_CYCLE_1)
	s_or_b32 s2, s2, s3
	s_or_b32 exec_lo, exec_lo, s10
	s_and_saveexec_b32 s3, s2
	s_cbranch_execnz .LBB97_1230
	s_branch .LBB97_1231
.LBB97_1249:
	s_mov_b32 s1, -1
.LBB97_1250:
                                        ; implicit-def: $vgpr10
.LBB97_1251:
	s_and_b32 vcc_lo, exec_lo, s2
	s_mov_b32 s2, 0
	s_cbranch_vccz .LBB97_1253
; %bb.1252:
	v_cmp_ne_u16_e64 s1, 11, v9
	s_mov_b32 s2, -1
                                        ; implicit-def: $vgpr10
.LBB97_1253:
	s_delay_alu instid0(VALU_DEP_1)
	s_and_b32 vcc_lo, exec_lo, s1
	s_mov_b32 s1, s8
	s_cbranch_vccnz .LBB97_1277
; %bb.1254:
	s_and_not1_b32 vcc_lo, exec_lo, s2
	s_cbranch_vccnz .LBB97_1256
.LBB97_1255:
	global_load_u8 v10, v[7:8], off
	s_mov_b32 s3, -1
	s_waitcnt vmcnt(0)
	v_cmp_ne_u16_e32 vcc_lo, 0, v10
	v_cndmask_b32_e64 v10, 0, 0x3c00, vcc_lo
.LBB97_1256:
.LBB97_1257:
	s_and_not1_b32 vcc_lo, exec_lo, s3
	s_cbranch_vccnz .LBB97_2090
.LBB97_1258:
	v_cmp_gt_i16_e32 vcc_lo, 11, v9
	s_waitcnt vmcnt(0)
	v_add_co_u32 v6, s2, s6, v6
	s_delay_alu instid0(VALU_DEP_1)
	v_add_co_ci_u32_e64 v7, null, s7, 0, s2
	s_mov_b32 s10, 0
	s_cbranch_vccnz .LBB97_1265
; %bb.1259:
	v_cmp_lt_i16_e32 vcc_lo, 25, v9
	s_mov_b32 s3, 0
	s_cbranch_vccz .LBB97_1271
; %bb.1260:
	v_cmp_lt_i16_e32 vcc_lo, 28, v9
	s_cbranch_vccz .LBB97_1273
; %bb.1261:
	v_cmp_lt_i16_e32 vcc_lo, 43, v9
	;; [unrolled: 3-line block ×3, first 2 shown]
	s_cbranch_vccz .LBB97_1281
; %bb.1263:
	v_cmp_eq_u16_e32 vcc_lo, 46, v9
	s_mov_b32 s11, 0
	s_cbranch_vccz .LBB97_1325
; %bb.1264:
	global_load_b32 v8, v[6:7], off
	s_mov_b32 s2, 0
	s_mov_b32 s10, -1
	s_waitcnt vmcnt(0)
	v_lshlrev_b32_e32 v8, 16, v8
	s_delay_alu instid0(VALU_DEP_1)
	v_cvt_f16_f32_e32 v8, v8
	s_branch .LBB97_1327
.LBB97_1265:
                                        ; implicit-def: $vgpr8
	s_cbranch_execz .LBB97_1392
; %bb.1266:
	v_cmp_gt_i16_e32 vcc_lo, 5, v9
	s_cbranch_vccnz .LBB97_1272
; %bb.1267:
	v_cmp_gt_i16_e32 vcc_lo, 8, v9
	s_cbranch_vccnz .LBB97_1274
; %bb.1268:
	v_cmp_gt_i16_e32 vcc_lo, 9, v9
	s_cbranch_vccnz .LBB97_1276
; %bb.1269:
	v_cmp_lt_i16_e32 vcc_lo, 9, v9
	s_cbranch_vccz .LBB97_1282
; %bb.1270:
	global_load_b64 v[11:12], v[6:7], off
	s_mov_b32 s2, 0
	s_waitcnt vmcnt(0)
	v_cvt_f32_f64_e32 v8, v[11:12]
	s_delay_alu instid0(VALU_DEP_1)
	v_cvt_f16_f32_e32 v8, v8
	s_branch .LBB97_1283
.LBB97_1271:
	s_mov_b32 s2, 0
                                        ; implicit-def: $vgpr8
	s_cbranch_execnz .LBB97_1356
	s_branch .LBB97_1388
.LBB97_1272:
                                        ; implicit-def: $vgpr8
	s_branch .LBB97_1301
.LBB97_1273:
	s_mov_b32 s11, -1
	s_mov_b32 s2, 0
                                        ; implicit-def: $vgpr8
	s_branch .LBB97_1337
.LBB97_1274:
	s_mov_b32 s2, -1
                                        ; implicit-def: $vgpr8
	s_branch .LBB97_1289
.LBB97_1275:
	s_mov_b32 s11, -1
	s_mov_b32 s2, 0
                                        ; implicit-def: $vgpr8
	s_branch .LBB97_1332
.LBB97_1276:
	s_mov_b32 s2, -1
                                        ; implicit-def: $vgpr8
	s_branch .LBB97_1286
.LBB97_1277:
	s_cbranch_execnz .LBB97_1321
; %bb.1278:
	s_or_b32 s1, s8, exec_lo
                                        ; implicit-def: $vgpr10
	s_cbranch_execz .LBB97_1255
	s_branch .LBB97_1256
.LBB97_1279:
	s_or_saveexec_b32 s7, s7
                                        ; implicit-def: $sgpr8
	s_delay_alu instid0(SALU_CYCLE_1)
	s_xor_b32 exec_lo, exec_lo, s7
	s_cbranch_execz .LBB97_987
.LBB97_1280:
	v_add_f32_e64 v3, 0x46000000, |v0|
	s_and_not1_b32 s5, s5, exec_lo
	s_mov_b32 s8, 0
	s_delay_alu instid0(VALU_DEP_1) | instskip(NEXT) | instid1(VALU_DEP_1)
	v_and_b32_e32 v3, 0xff, v3
	v_cmp_ne_u32_e32 vcc_lo, 0, v3
	s_and_b32 s9, vcc_lo, exec_lo
	s_delay_alu instid0(SALU_CYCLE_1)
	s_or_b32 s5, s5, s9
	s_or_b32 exec_lo, exec_lo, s7
	v_mov_b32_e32 v6, s8
	s_and_saveexec_b32 s7, s5
	s_cbranch_execnz .LBB97_988
	s_branch .LBB97_989
.LBB97_1281:
	s_mov_b32 s11, -1
	s_mov_b32 s2, 0
	s_branch .LBB97_1326
.LBB97_1282:
	s_mov_b32 s2, -1
                                        ; implicit-def: $vgpr8
.LBB97_1283:
	s_delay_alu instid0(SALU_CYCLE_1)
	s_and_not1_b32 vcc_lo, exec_lo, s2
	s_cbranch_vccnz .LBB97_1285
; %bb.1284:
	global_load_b32 v8, v[6:7], off
	s_waitcnt vmcnt(0)
	v_cvt_f16_f32_e32 v8, v8
.LBB97_1285:
	s_mov_b32 s2, 0
.LBB97_1286:
	s_delay_alu instid0(SALU_CYCLE_1)
	s_and_not1_b32 vcc_lo, exec_lo, s2
	s_cbranch_vccnz .LBB97_1288
; %bb.1287:
	global_load_b32 v8, v[6:7], off
.LBB97_1288:
	s_mov_b32 s2, 0
.LBB97_1289:
	s_delay_alu instid0(SALU_CYCLE_1)
	s_and_not1_b32 vcc_lo, exec_lo, s2
	s_cbranch_vccnz .LBB97_1300
; %bb.1290:
	v_cmp_gt_i16_e32 vcc_lo, 6, v9
	s_cbranch_vccnz .LBB97_1293
; %bb.1291:
	v_cmp_lt_i16_e32 vcc_lo, 6, v9
	s_cbranch_vccz .LBB97_1294
; %bb.1292:
	global_load_b64 v[11:12], v[6:7], off
	s_mov_b32 s2, 0
	s_waitcnt vmcnt(0)
	v_cvt_f32_f64_e32 v8, v[11:12]
	s_delay_alu instid0(VALU_DEP_1)
	v_cvt_f16_f32_e32 v8, v8
	s_branch .LBB97_1295
.LBB97_1293:
	s_mov_b32 s2, -1
                                        ; implicit-def: $vgpr8
	s_branch .LBB97_1298
.LBB97_1294:
	s_mov_b32 s2, -1
                                        ; implicit-def: $vgpr8
.LBB97_1295:
	s_delay_alu instid0(SALU_CYCLE_1)
	s_and_not1_b32 vcc_lo, exec_lo, s2
	s_cbranch_vccnz .LBB97_1297
; %bb.1296:
	global_load_b32 v8, v[6:7], off
	s_waitcnt vmcnt(0)
	v_cvt_f16_f32_e32 v8, v8
.LBB97_1297:
	s_mov_b32 s2, 0
.LBB97_1298:
	s_delay_alu instid0(SALU_CYCLE_1)
	s_and_not1_b32 vcc_lo, exec_lo, s2
	s_cbranch_vccnz .LBB97_1300
; %bb.1299:
	global_load_u16 v8, v[6:7], off
.LBB97_1300:
	s_cbranch_execnz .LBB97_1320
.LBB97_1301:
	v_cmp_gt_i16_e32 vcc_lo, 2, v9
	s_cbranch_vccnz .LBB97_1305
; %bb.1302:
	v_cmp_gt_i16_e32 vcc_lo, 3, v9
	s_cbranch_vccnz .LBB97_1306
; %bb.1303:
	v_cmp_lt_i16_e32 vcc_lo, 3, v9
	s_cbranch_vccz .LBB97_1307
; %bb.1304:
	global_load_b64 v[11:12], v[6:7], off
	s_mov_b32 s2, 0
	s_waitcnt vmcnt(0)
	v_xor_b32_e32 v8, v11, v12
	v_cls_i32_e32 v13, v12
	s_delay_alu instid0(VALU_DEP_2) | instskip(NEXT) | instid1(VALU_DEP_2)
	v_ashrrev_i32_e32 v8, 31, v8
	v_add_nc_u32_e32 v13, -1, v13
	s_delay_alu instid0(VALU_DEP_2) | instskip(NEXT) | instid1(VALU_DEP_1)
	v_add_nc_u32_e32 v8, 32, v8
	v_min_u32_e32 v8, v13, v8
	s_delay_alu instid0(VALU_DEP_1) | instskip(SKIP_1) | instid1(VALU_DEP_2)
	v_lshlrev_b64 v[11:12], v8, v[11:12]
	v_sub_nc_u32_e32 v8, 32, v8
	v_min_u32_e32 v11, 1, v11
	s_delay_alu instid0(VALU_DEP_1) | instskip(NEXT) | instid1(VALU_DEP_1)
	v_or_b32_e32 v11, v12, v11
	v_cvt_f32_i32_e32 v11, v11
	s_delay_alu instid0(VALU_DEP_1) | instskip(NEXT) | instid1(VALU_DEP_1)
	v_ldexp_f32 v8, v11, v8
	v_cvt_f16_f32_e32 v8, v8
	s_branch .LBB97_1308
.LBB97_1305:
	s_mov_b32 s2, -1
                                        ; implicit-def: $vgpr8
	s_branch .LBB97_1314
.LBB97_1306:
	s_mov_b32 s2, -1
                                        ; implicit-def: $vgpr8
	s_branch .LBB97_1311
.LBB97_1307:
	s_mov_b32 s2, -1
                                        ; implicit-def: $vgpr8
.LBB97_1308:
	s_delay_alu instid0(SALU_CYCLE_1)
	s_and_not1_b32 vcc_lo, exec_lo, s2
	s_cbranch_vccnz .LBB97_1310
; %bb.1309:
	global_load_b32 v8, v[6:7], off
	s_waitcnt vmcnt(0)
	v_cvt_f32_i32_e32 v8, v8
	s_delay_alu instid0(VALU_DEP_1)
	v_cvt_f16_f32_e32 v8, v8
.LBB97_1310:
	s_mov_b32 s2, 0
.LBB97_1311:
	s_delay_alu instid0(SALU_CYCLE_1)
	s_and_not1_b32 vcc_lo, exec_lo, s2
	s_cbranch_vccnz .LBB97_1313
; %bb.1312:
	global_load_u16 v8, v[6:7], off
	s_waitcnt vmcnt(0)
	v_cvt_f16_i16_e32 v8, v8
.LBB97_1313:
	s_mov_b32 s2, 0
.LBB97_1314:
	s_delay_alu instid0(SALU_CYCLE_1)
	s_and_not1_b32 vcc_lo, exec_lo, s2
	s_cbranch_vccnz .LBB97_1320
; %bb.1315:
	v_cmp_lt_i16_e32 vcc_lo, 0, v9
	s_mov_b32 s2, 0
	s_cbranch_vccz .LBB97_1317
; %bb.1316:
	global_load_i8 v8, v[6:7], off
	s_waitcnt vmcnt(0)
	v_cvt_f16_i16_e32 v8, v8
	s_branch .LBB97_1318
.LBB97_1317:
	s_mov_b32 s2, -1
                                        ; implicit-def: $vgpr8
.LBB97_1318:
	s_delay_alu instid0(SALU_CYCLE_1)
	s_and_not1_b32 vcc_lo, exec_lo, s2
	s_cbranch_vccnz .LBB97_1320
; %bb.1319:
	global_load_u8 v6, v[6:7], off
	s_waitcnt vmcnt(0)
	v_cvt_f16_u16_e32 v8, v6
.LBB97_1320:
	s_branch .LBB97_1393
.LBB97_1321:
	s_trap 2
	s_sendmsg_rtn_b32 s0, sendmsg(MSG_RTN_GET_DOORBELL)
	s_mov_b32 ttmp2, m0
	s_waitcnt lgkmcnt(0)
	s_and_b32 s0, s0, 0x3ff
	s_delay_alu instid0(SALU_CYCLE_1) | instskip(NEXT) | instid1(SALU_CYCLE_1)
	s_bitset1_b32 s0, 10
	s_mov_b32 m0, s0
	s_sendmsg sendmsg(MSG_INTERRUPT)
	s_mov_b32 m0, ttmp2
.LBB97_1322:                            ; =>This Inner Loop Header: Depth=1
	s_sethalt 5
	s_branch .LBB97_1322
.LBB97_1323:
	s_or_saveexec_b32 s8, s8
                                        ; implicit-def: $sgpr9
	s_delay_alu instid0(SALU_CYCLE_1)
	s_xor_b32 exec_lo, exec_lo, s8
	s_cbranch_execz .LBB97_999
.LBB97_1324:
	v_add_f32_e64 v3, 0x42800000, |v0|
	s_and_not1_b32 s7, s7, exec_lo
	s_mov_b32 s9, 0
	s_delay_alu instid0(VALU_DEP_1) | instskip(NEXT) | instid1(VALU_DEP_1)
	v_and_b32_e32 v3, 0xff, v3
	v_cmp_ne_u32_e32 vcc_lo, 0, v3
	s_and_b32 s10, vcc_lo, exec_lo
	s_delay_alu instid0(SALU_CYCLE_1)
	s_or_b32 s7, s7, s10
	s_or_b32 exec_lo, exec_lo, s8
	v_mov_b32_e32 v6, s9
	s_and_saveexec_b32 s8, s7
	s_cbranch_execnz .LBB97_1000
	s_branch .LBB97_1001
.LBB97_1325:
	s_mov_b32 s2, -1
.LBB97_1326:
                                        ; implicit-def: $vgpr8
.LBB97_1327:
	s_and_b32 vcc_lo, exec_lo, s11
	s_cbranch_vccz .LBB97_1331
; %bb.1328:
	v_cmp_eq_u16_e32 vcc_lo, 44, v9
	s_cbranch_vccz .LBB97_1330
; %bb.1329:
	global_load_u8 v8, v[6:7], off
	s_mov_b32 s2, 0
	s_mov_b32 s10, -1
	s_waitcnt vmcnt(0)
	v_lshlrev_b32_e32 v11, 23, v8
	v_cmp_ne_u32_e32 vcc_lo, 0xff, v8
	s_delay_alu instid0(VALU_DEP_2) | instskip(NEXT) | instid1(VALU_DEP_1)
	v_cvt_f16_f32_e32 v11, v11
	v_cndmask_b32_e32 v11, 0x7e00, v11, vcc_lo
	v_cmp_ne_u32_e32 vcc_lo, 0, v8
	s_delay_alu instid0(VALU_DEP_2)
	v_cndmask_b32_e32 v8, 0, v11, vcc_lo
	s_branch .LBB97_1331
.LBB97_1330:
	s_mov_b32 s2, -1
                                        ; implicit-def: $vgpr8
.LBB97_1331:
	s_mov_b32 s11, 0
.LBB97_1332:
	s_delay_alu instid0(SALU_CYCLE_1)
	s_and_b32 vcc_lo, exec_lo, s11
	s_cbranch_vccz .LBB97_1336
; %bb.1333:
	v_cmp_eq_u16_e32 vcc_lo, 29, v9
	s_cbranch_vccz .LBB97_1335
; %bb.1334:
	global_load_b64 v[11:12], v[6:7], off
	s_mov_b32 s2, 0
	s_mov_b32 s10, -1
	s_mov_b32 s11, 0
	s_waitcnt vmcnt(0)
	v_clz_i32_u32_e32 v8, v12
	s_delay_alu instid0(VALU_DEP_1) | instskip(NEXT) | instid1(VALU_DEP_1)
	v_min_u32_e32 v8, 32, v8
	v_lshlrev_b64 v[11:12], v8, v[11:12]
	v_sub_nc_u32_e32 v8, 32, v8
	s_delay_alu instid0(VALU_DEP_2) | instskip(NEXT) | instid1(VALU_DEP_1)
	v_min_u32_e32 v11, 1, v11
	v_or_b32_e32 v11, v12, v11
	s_delay_alu instid0(VALU_DEP_1) | instskip(NEXT) | instid1(VALU_DEP_1)
	v_cvt_f32_u32_e32 v11, v11
	v_ldexp_f32 v8, v11, v8
	s_delay_alu instid0(VALU_DEP_1)
	v_cvt_f16_f32_e32 v8, v8
	s_branch .LBB97_1337
.LBB97_1335:
	s_mov_b32 s2, -1
                                        ; implicit-def: $vgpr8
.LBB97_1336:
	s_mov_b32 s11, 0
.LBB97_1337:
	s_delay_alu instid0(SALU_CYCLE_1)
	s_and_b32 vcc_lo, exec_lo, s11
	s_cbranch_vccz .LBB97_1355
; %bb.1338:
	v_cmp_gt_i16_e32 vcc_lo, 27, v9
	s_cbranch_vccnz .LBB97_1341
; %bb.1339:
	v_cmp_lt_i16_e32 vcc_lo, 27, v9
	s_cbranch_vccz .LBB97_1342
; %bb.1340:
	global_load_b32 v8, v[6:7], off
	s_mov_b32 s10, 0
	s_waitcnt vmcnt(0)
	v_cvt_f32_u32_e32 v8, v8
	s_delay_alu instid0(VALU_DEP_1)
	v_cvt_f16_f32_e32 v8, v8
	s_branch .LBB97_1343
.LBB97_1341:
	s_mov_b32 s10, -1
                                        ; implicit-def: $vgpr8
	s_branch .LBB97_1346
.LBB97_1342:
	s_mov_b32 s10, -1
                                        ; implicit-def: $vgpr8
.LBB97_1343:
	s_delay_alu instid0(SALU_CYCLE_1)
	s_and_not1_b32 vcc_lo, exec_lo, s10
	s_cbranch_vccnz .LBB97_1345
; %bb.1344:
	global_load_u16 v8, v[6:7], off
	s_waitcnt vmcnt(0)
	v_cvt_f16_u16_e32 v8, v8
.LBB97_1345:
	s_mov_b32 s10, 0
.LBB97_1346:
	s_delay_alu instid0(SALU_CYCLE_1)
	s_and_not1_b32 vcc_lo, exec_lo, s10
	s_cbranch_vccnz .LBB97_1354
; %bb.1347:
	global_load_u8 v11, v[6:7], off
	s_mov_b32 s10, 0
	s_mov_b32 s12, exec_lo
                                        ; implicit-def: $sgpr11
	s_waitcnt vmcnt(0)
	v_cmpx_lt_i16_e32 0x7f, v11
	s_xor_b32 s12, exec_lo, s12
	s_cbranch_execz .LBB97_1367
; %bb.1348:
	s_mov_b32 s10, -1
	s_mov_b32 s13, exec_lo
                                        ; implicit-def: $sgpr11
	v_cmpx_eq_u16_e32 0x80, v11
; %bb.1349:
	s_movk_i32 s11, 0x7e00
	s_xor_b32 s10, exec_lo, -1
; %bb.1350:
	s_or_b32 exec_lo, exec_lo, s13
	s_delay_alu instid0(SALU_CYCLE_1)
	s_and_b32 s10, s10, exec_lo
	s_or_saveexec_b32 s12, s12
	v_mov_b32_e32 v8, s11
	s_xor_b32 exec_lo, exec_lo, s12
	s_cbranch_execnz .LBB97_1368
.LBB97_1351:
	s_or_b32 exec_lo, exec_lo, s12
	s_and_saveexec_b32 s11, s10
	s_cbranch_execz .LBB97_1353
.LBB97_1352:
	v_and_b32_e32 v8, 0xffff, v11
	s_delay_alu instid0(VALU_DEP_1) | instskip(NEXT) | instid1(VALU_DEP_1)
	v_and_b32_e32 v12, 7, v8
	v_clz_i32_u32_e32 v13, v12
	s_delay_alu instid0(VALU_DEP_1) | instskip(NEXT) | instid1(VALU_DEP_1)
	v_min_u32_e32 v13, 32, v13
	v_subrev_nc_u32_e32 v14, 28, v13
	v_sub_nc_u32_e32 v13, 29, v13
	s_delay_alu instid0(VALU_DEP_2) | instskip(SKIP_1) | instid1(VALU_DEP_2)
	v_lshlrev_b32_e32 v14, v14, v8
	v_bfe_u32 v8, v8, 3, 4
	v_and_b32_e32 v14, 7, v14
	s_delay_alu instid0(VALU_DEP_2) | instskip(SKIP_1) | instid1(VALU_DEP_1)
	v_cmp_eq_u32_e32 vcc_lo, 0, v8
	v_dual_cndmask_b32 v8, v8, v13 :: v_dual_lshlrev_b32 v11, 24, v11
	v_dual_cndmask_b32 v12, v12, v14 :: v_dual_and_b32 v11, 0x80000000, v11
	s_delay_alu instid0(VALU_DEP_2) | instskip(NEXT) | instid1(VALU_DEP_2)
	v_lshl_add_u32 v8, v8, 23, 0x3b800000
	v_lshlrev_b32_e32 v12, 20, v12
	s_delay_alu instid0(VALU_DEP_1) | instskip(NEXT) | instid1(VALU_DEP_1)
	v_or3_b32 v8, v11, v8, v12
	v_cvt_f16_f32_e32 v8, v8
.LBB97_1353:
	s_or_b32 exec_lo, exec_lo, s11
.LBB97_1354:
	s_mov_b32 s10, -1
.LBB97_1355:
	s_branch .LBB97_1388
.LBB97_1356:
	v_cmp_lt_i16_e32 vcc_lo, 22, v9
	s_cbranch_vccz .LBB97_1366
; %bb.1357:
	v_cmp_gt_i16_e32 vcc_lo, 24, v9
	s_cbranch_vccnz .LBB97_1369
; %bb.1358:
	v_cmp_lt_i16_e32 vcc_lo, 24, v9
	s_cbranch_vccz .LBB97_1370
; %bb.1359:
	global_load_u8 v11, v[6:7], off
	s_mov_b32 s11, exec_lo
                                        ; implicit-def: $sgpr10
	s_waitcnt vmcnt(0)
	v_cmpx_lt_i16_e32 0x7f, v11
	s_xor_b32 s11, exec_lo, s11
	s_cbranch_execz .LBB97_1382
; %bb.1360:
	s_mov_b32 s3, -1
	s_mov_b32 s12, exec_lo
                                        ; implicit-def: $sgpr10
	v_cmpx_eq_u16_e32 0x80, v11
; %bb.1361:
	s_movk_i32 s10, 0x7e00
	s_xor_b32 s3, exec_lo, -1
; %bb.1362:
	s_or_b32 exec_lo, exec_lo, s12
	s_delay_alu instid0(SALU_CYCLE_1)
	s_and_b32 s3, s3, exec_lo
	s_or_saveexec_b32 s11, s11
	v_mov_b32_e32 v8, s10
	s_xor_b32 exec_lo, exec_lo, s11
	s_cbranch_execnz .LBB97_1383
.LBB97_1363:
	s_or_b32 exec_lo, exec_lo, s11
	s_and_saveexec_b32 s10, s3
	s_cbranch_execz .LBB97_1365
.LBB97_1364:
	v_and_b32_e32 v8, 0xffff, v11
	s_delay_alu instid0(VALU_DEP_1) | instskip(NEXT) | instid1(VALU_DEP_1)
	v_and_b32_e32 v12, 3, v8
	v_clz_i32_u32_e32 v13, v12
	s_delay_alu instid0(VALU_DEP_1) | instskip(NEXT) | instid1(VALU_DEP_1)
	v_min_u32_e32 v13, 32, v13
	v_subrev_nc_u32_e32 v14, 29, v13
	v_sub_nc_u32_e32 v13, 30, v13
	s_delay_alu instid0(VALU_DEP_2) | instskip(SKIP_1) | instid1(VALU_DEP_2)
	v_lshlrev_b32_e32 v14, v14, v8
	v_bfe_u32 v8, v8, 2, 5
	v_and_b32_e32 v14, 3, v14
	s_delay_alu instid0(VALU_DEP_2) | instskip(SKIP_1) | instid1(VALU_DEP_1)
	v_cmp_eq_u32_e32 vcc_lo, 0, v8
	v_dual_cndmask_b32 v8, v8, v13 :: v_dual_lshlrev_b32 v11, 24, v11
	v_dual_cndmask_b32 v12, v12, v14 :: v_dual_and_b32 v11, 0x80000000, v11
	s_delay_alu instid0(VALU_DEP_2) | instskip(NEXT) | instid1(VALU_DEP_2)
	v_lshl_add_u32 v8, v8, 23, 0x37800000
	v_lshlrev_b32_e32 v12, 21, v12
	s_delay_alu instid0(VALU_DEP_1) | instskip(NEXT) | instid1(VALU_DEP_1)
	v_or3_b32 v8, v11, v8, v12
	v_cvt_f16_f32_e32 v8, v8
.LBB97_1365:
	s_or_b32 exec_lo, exec_lo, s10
	s_mov_b32 s3, 0
	s_branch .LBB97_1371
.LBB97_1366:
	s_mov_b32 s3, -1
                                        ; implicit-def: $vgpr8
	s_branch .LBB97_1377
.LBB97_1367:
	s_or_saveexec_b32 s12, s12
	v_mov_b32_e32 v8, s11
	s_xor_b32 exec_lo, exec_lo, s12
	s_cbranch_execz .LBB97_1351
.LBB97_1368:
	v_cmp_ne_u16_e32 vcc_lo, 0, v11
	v_mov_b32_e32 v8, v11
	s_and_not1_b32 s10, s10, exec_lo
	s_and_b32 s11, vcc_lo, exec_lo
	s_delay_alu instid0(SALU_CYCLE_1)
	s_or_b32 s10, s10, s11
	s_or_b32 exec_lo, exec_lo, s12
	s_and_saveexec_b32 s11, s10
	s_cbranch_execnz .LBB97_1352
	s_branch .LBB97_1353
.LBB97_1369:
	s_mov_b32 s3, -1
                                        ; implicit-def: $vgpr8
	s_branch .LBB97_1374
.LBB97_1370:
	s_mov_b32 s3, -1
                                        ; implicit-def: $vgpr8
.LBB97_1371:
	s_delay_alu instid0(SALU_CYCLE_1)
	s_and_b32 vcc_lo, exec_lo, s3
	s_cbranch_vccz .LBB97_1373
; %bb.1372:
	global_load_u8 v8, v[6:7], off
	s_waitcnt vmcnt(0)
	v_lshlrev_b32_e32 v8, 24, v8
	s_delay_alu instid0(VALU_DEP_1) | instskip(NEXT) | instid1(VALU_DEP_1)
	v_and_b32_e32 v11, 0x7f000000, v8
	v_clz_i32_u32_e32 v12, v11
	v_cmp_ne_u32_e32 vcc_lo, 0, v11
	v_add_nc_u32_e32 v14, 0x1000000, v11
	s_delay_alu instid0(VALU_DEP_3) | instskip(NEXT) | instid1(VALU_DEP_1)
	v_min_u32_e32 v12, 32, v12
	v_sub_nc_u32_e64 v12, v12, 4 clamp
	s_delay_alu instid0(VALU_DEP_1) | instskip(SKIP_1) | instid1(VALU_DEP_2)
	v_lshlrev_b32_e32 v13, v12, v11
	v_lshlrev_b32_e32 v12, 23, v12
	v_lshrrev_b32_e32 v13, 4, v13
	s_delay_alu instid0(VALU_DEP_1) | instskip(SKIP_1) | instid1(VALU_DEP_2)
	v_sub_nc_u32_e32 v12, v13, v12
	v_ashrrev_i32_e32 v13, 8, v14
	v_add_nc_u32_e32 v12, 0x3c000000, v12
	s_delay_alu instid0(VALU_DEP_1) | instskip(NEXT) | instid1(VALU_DEP_1)
	v_and_or_b32 v12, 0x7f800000, v13, v12
	v_cndmask_b32_e32 v11, 0, v12, vcc_lo
	s_delay_alu instid0(VALU_DEP_1) | instskip(NEXT) | instid1(VALU_DEP_1)
	v_and_or_b32 v8, 0x80000000, v8, v11
	v_cvt_f16_f32_e32 v8, v8
.LBB97_1373:
	s_mov_b32 s3, 0
.LBB97_1374:
	s_delay_alu instid0(SALU_CYCLE_1)
	s_and_not1_b32 vcc_lo, exec_lo, s3
	s_cbranch_vccnz .LBB97_1376
; %bb.1375:
	global_load_u8 v8, v[6:7], off
	s_waitcnt vmcnt(0)
	v_lshlrev_b32_e32 v11, 25, v8
	v_lshlrev_b16 v8, 8, v8
	s_delay_alu instid0(VALU_DEP_2) | instskip(NEXT) | instid1(VALU_DEP_2)
	v_lshrrev_b32_e32 v12, 4, v11
	v_and_or_b32 v13, 0x7f00, v8, 0.5
	v_cmp_gt_u32_e32 vcc_lo, 0x8000000, v11
	v_bfe_i32 v8, v8, 0, 16
	s_delay_alu instid0(VALU_DEP_4) | instskip(NEXT) | instid1(VALU_DEP_1)
	v_or_b32_e32 v12, 0x70000000, v12
	v_dual_add_f32 v13, -0.5, v13 :: v_dual_mul_f32 v12, 0x7800000, v12
	s_delay_alu instid0(VALU_DEP_1) | instskip(NEXT) | instid1(VALU_DEP_1)
	v_cndmask_b32_e32 v11, v12, v13, vcc_lo
	v_and_or_b32 v8, 0x80000000, v8, v11
	s_delay_alu instid0(VALU_DEP_1)
	v_cvt_f16_f32_e32 v8, v8
.LBB97_1376:
	s_mov_b32 s3, 0
	s_mov_b32 s10, -1
.LBB97_1377:
	s_and_not1_b32 vcc_lo, exec_lo, s3
	s_mov_b32 s3, 0
	s_cbranch_vccnz .LBB97_1388
; %bb.1378:
	v_cmp_lt_i16_e32 vcc_lo, 14, v9
	s_cbranch_vccz .LBB97_1381
; %bb.1379:
	v_cmp_eq_u16_e32 vcc_lo, 15, v9
	s_cbranch_vccz .LBB97_1384
; %bb.1380:
	global_load_u16 v8, v[6:7], off
	s_mov_b32 s2, 0
	s_mov_b32 s10, -1
	s_waitcnt vmcnt(0)
	v_lshlrev_b32_e32 v8, 16, v8
	s_delay_alu instid0(VALU_DEP_1)
	v_cvt_f16_f32_e32 v8, v8
	s_branch .LBB97_1386
.LBB97_1381:
	s_mov_b32 s3, -1
	s_branch .LBB97_1385
.LBB97_1382:
	s_or_saveexec_b32 s11, s11
	v_mov_b32_e32 v8, s10
	s_xor_b32 exec_lo, exec_lo, s11
	s_cbranch_execz .LBB97_1363
.LBB97_1383:
	v_cmp_ne_u16_e32 vcc_lo, 0, v11
	v_mov_b32_e32 v8, v11
	s_and_not1_b32 s3, s3, exec_lo
	s_and_b32 s10, vcc_lo, exec_lo
	s_delay_alu instid0(SALU_CYCLE_1)
	s_or_b32 s3, s3, s10
	s_or_b32 exec_lo, exec_lo, s11
	s_and_saveexec_b32 s10, s3
	s_cbranch_execnz .LBB97_1364
	s_branch .LBB97_1365
.LBB97_1384:
	s_mov_b32 s2, -1
.LBB97_1385:
                                        ; implicit-def: $vgpr8
.LBB97_1386:
	s_and_b32 vcc_lo, exec_lo, s3
	s_mov_b32 s3, 0
	s_cbranch_vccz .LBB97_1388
; %bb.1387:
	v_cmp_ne_u16_e64 s2, 11, v9
	s_mov_b32 s3, -1
                                        ; implicit-def: $vgpr8
.LBB97_1388:
	s_delay_alu instid0(VALU_DEP_1)
	s_and_b32 vcc_lo, exec_lo, s2
	s_cbranch_vccnz .LBB97_1412
; %bb.1389:
	s_and_not1_b32 vcc_lo, exec_lo, s3
	s_cbranch_vccnz .LBB97_1391
.LBB97_1390:
	global_load_u8 v8, v[6:7], off
	s_mov_b32 s10, -1
	s_waitcnt vmcnt(0)
	v_cmp_ne_u16_e32 vcc_lo, 0, v8
	v_cndmask_b32_e64 v8, 0, 0x3c00, vcc_lo
.LBB97_1391:
.LBB97_1392:
	s_and_not1_b32 vcc_lo, exec_lo, s10
	s_cbranch_vccnz .LBB97_2090
.LBB97_1393:
	v_cmp_gt_i16_e32 vcc_lo, 11, v9
	v_add_co_u32 v5, s2, s6, v5
	s_delay_alu instid0(VALU_DEP_1)
	v_add_co_ci_u32_e64 v6, null, s7, 0, s2
	s_mov_b32 s10, 0
	s_cbranch_vccnz .LBB97_1400
; %bb.1394:
	v_cmp_lt_i16_e32 vcc_lo, 25, v9
	s_mov_b32 s3, 0
	s_cbranch_vccz .LBB97_1406
; %bb.1395:
	v_cmp_lt_i16_e32 vcc_lo, 28, v9
	s_cbranch_vccz .LBB97_1408
; %bb.1396:
	v_cmp_lt_i16_e32 vcc_lo, 43, v9
	s_cbranch_vccz .LBB97_1410
; %bb.1397:
	v_cmp_lt_i16_e32 vcc_lo, 45, v9
	s_cbranch_vccz .LBB97_1414
; %bb.1398:
	v_cmp_eq_u16_e32 vcc_lo, 46, v9
	s_mov_b32 s11, 0
	s_cbranch_vccz .LBB97_1457
; %bb.1399:
	global_load_b32 v7, v[5:6], off
	s_mov_b32 s2, 0
	s_mov_b32 s10, -1
	s_waitcnt vmcnt(0)
	v_lshlrev_b32_e32 v7, 16, v7
	s_delay_alu instid0(VALU_DEP_1)
	v_cvt_f16_f32_e32 v7, v7
	s_branch .LBB97_1459
.LBB97_1400:
                                        ; implicit-def: $vgpr7
	s_cbranch_execz .LBB97_1525
; %bb.1401:
	v_cmp_gt_i16_e32 vcc_lo, 5, v9
	s_cbranch_vccnz .LBB97_1407
; %bb.1402:
	v_cmp_gt_i16_e32 vcc_lo, 8, v9
	s_cbranch_vccnz .LBB97_1409
	;; [unrolled: 3-line block ×3, first 2 shown]
; %bb.1404:
	v_cmp_lt_i16_e32 vcc_lo, 9, v9
	s_cbranch_vccz .LBB97_1415
; %bb.1405:
	global_load_b64 v[11:12], v[5:6], off
	s_mov_b32 s2, 0
	s_waitcnt vmcnt(0)
	v_cvt_f32_f64_e32 v7, v[11:12]
	s_delay_alu instid0(VALU_DEP_1)
	v_cvt_f16_f32_e32 v7, v7
	s_branch .LBB97_1416
.LBB97_1406:
	s_mov_b32 s11, -1
	s_mov_b32 s2, 0
                                        ; implicit-def: $vgpr7
	s_branch .LBB97_1488
.LBB97_1407:
	s_mov_b32 s2, -1
                                        ; implicit-def: $vgpr7
	s_branch .LBB97_1434
.LBB97_1408:
	s_mov_b32 s11, -1
	s_mov_b32 s2, 0
                                        ; implicit-def: $vgpr7
	s_branch .LBB97_1469
.LBB97_1409:
	s_mov_b32 s2, -1
                                        ; implicit-def: $vgpr7
	s_branch .LBB97_1422
.LBB97_1410:
	s_mov_b32 s11, -1
	s_mov_b32 s2, 0
                                        ; implicit-def: $vgpr7
	s_branch .LBB97_1464
.LBB97_1411:
	s_mov_b32 s2, -1
                                        ; implicit-def: $vgpr7
	s_branch .LBB97_1419
.LBB97_1412:
	s_cbranch_execnz .LBB97_1455
; %bb.1413:
	s_or_b32 s1, s1, exec_lo
                                        ; implicit-def: $vgpr8
	s_cbranch_execz .LBB97_1390
	s_branch .LBB97_1391
.LBB97_1414:
	s_mov_b32 s11, -1
	s_mov_b32 s2, 0
	s_branch .LBB97_1458
.LBB97_1415:
	s_mov_b32 s2, -1
                                        ; implicit-def: $vgpr7
.LBB97_1416:
	s_delay_alu instid0(SALU_CYCLE_1)
	s_and_not1_b32 vcc_lo, exec_lo, s2
	s_cbranch_vccnz .LBB97_1418
; %bb.1417:
	global_load_b32 v7, v[5:6], off
	s_waitcnt vmcnt(0)
	v_cvt_f16_f32_e32 v7, v7
.LBB97_1418:
	s_mov_b32 s2, 0
.LBB97_1419:
	s_delay_alu instid0(SALU_CYCLE_1)
	s_and_not1_b32 vcc_lo, exec_lo, s2
	s_cbranch_vccnz .LBB97_1421
; %bb.1420:
	global_load_b32 v7, v[5:6], off
.LBB97_1421:
	s_mov_b32 s2, 0
.LBB97_1422:
	s_delay_alu instid0(SALU_CYCLE_1)
	s_and_not1_b32 vcc_lo, exec_lo, s2
	s_cbranch_vccnz .LBB97_1433
; %bb.1423:
	v_cmp_gt_i16_e32 vcc_lo, 6, v9
	s_cbranch_vccnz .LBB97_1426
; %bb.1424:
	v_cmp_lt_i16_e32 vcc_lo, 6, v9
	s_cbranch_vccz .LBB97_1427
; %bb.1425:
	global_load_b64 v[11:12], v[5:6], off
	s_mov_b32 s2, 0
	s_waitcnt vmcnt(0)
	v_cvt_f32_f64_e32 v7, v[11:12]
	s_delay_alu instid0(VALU_DEP_1)
	v_cvt_f16_f32_e32 v7, v7
	s_branch .LBB97_1428
.LBB97_1426:
	s_mov_b32 s2, -1
                                        ; implicit-def: $vgpr7
	s_branch .LBB97_1431
.LBB97_1427:
	s_mov_b32 s2, -1
                                        ; implicit-def: $vgpr7
.LBB97_1428:
	s_delay_alu instid0(SALU_CYCLE_1)
	s_and_not1_b32 vcc_lo, exec_lo, s2
	s_cbranch_vccnz .LBB97_1430
; %bb.1429:
	global_load_b32 v7, v[5:6], off
	s_waitcnt vmcnt(0)
	v_cvt_f16_f32_e32 v7, v7
.LBB97_1430:
	s_mov_b32 s2, 0
.LBB97_1431:
	s_delay_alu instid0(SALU_CYCLE_1)
	s_and_not1_b32 vcc_lo, exec_lo, s2
	s_cbranch_vccnz .LBB97_1433
; %bb.1432:
	global_load_u16 v7, v[5:6], off
.LBB97_1433:
	s_mov_b32 s2, 0
.LBB97_1434:
	s_delay_alu instid0(SALU_CYCLE_1)
	s_and_not1_b32 vcc_lo, exec_lo, s2
	s_cbranch_vccnz .LBB97_1454
; %bb.1435:
	v_cmp_gt_i16_e32 vcc_lo, 2, v9
	s_cbranch_vccnz .LBB97_1439
; %bb.1436:
	v_cmp_gt_i16_e32 vcc_lo, 3, v9
	s_cbranch_vccnz .LBB97_1440
; %bb.1437:
	v_cmp_lt_i16_e32 vcc_lo, 3, v9
	s_cbranch_vccz .LBB97_1441
; %bb.1438:
	global_load_b64 v[11:12], v[5:6], off
	s_mov_b32 s2, 0
	s_waitcnt vmcnt(0)
	v_xor_b32_e32 v7, v11, v12
	v_cls_i32_e32 v13, v12
	s_delay_alu instid0(VALU_DEP_2) | instskip(NEXT) | instid1(VALU_DEP_2)
	v_ashrrev_i32_e32 v7, 31, v7
	v_add_nc_u32_e32 v13, -1, v13
	s_delay_alu instid0(VALU_DEP_2) | instskip(NEXT) | instid1(VALU_DEP_1)
	v_add_nc_u32_e32 v7, 32, v7
	v_min_u32_e32 v7, v13, v7
	s_delay_alu instid0(VALU_DEP_1) | instskip(SKIP_1) | instid1(VALU_DEP_2)
	v_lshlrev_b64 v[11:12], v7, v[11:12]
	v_sub_nc_u32_e32 v7, 32, v7
	v_min_u32_e32 v11, 1, v11
	s_delay_alu instid0(VALU_DEP_1) | instskip(NEXT) | instid1(VALU_DEP_1)
	v_or_b32_e32 v11, v12, v11
	v_cvt_f32_i32_e32 v11, v11
	s_delay_alu instid0(VALU_DEP_1) | instskip(NEXT) | instid1(VALU_DEP_1)
	v_ldexp_f32 v7, v11, v7
	v_cvt_f16_f32_e32 v7, v7
	s_branch .LBB97_1442
.LBB97_1439:
	s_mov_b32 s2, -1
                                        ; implicit-def: $vgpr7
	s_branch .LBB97_1448
.LBB97_1440:
	s_mov_b32 s2, -1
                                        ; implicit-def: $vgpr7
	s_branch .LBB97_1445
.LBB97_1441:
	s_mov_b32 s2, -1
                                        ; implicit-def: $vgpr7
.LBB97_1442:
	s_delay_alu instid0(SALU_CYCLE_1)
	s_and_not1_b32 vcc_lo, exec_lo, s2
	s_cbranch_vccnz .LBB97_1444
; %bb.1443:
	global_load_b32 v7, v[5:6], off
	s_waitcnt vmcnt(0)
	v_cvt_f32_i32_e32 v7, v7
	s_delay_alu instid0(VALU_DEP_1)
	v_cvt_f16_f32_e32 v7, v7
.LBB97_1444:
	s_mov_b32 s2, 0
.LBB97_1445:
	s_delay_alu instid0(SALU_CYCLE_1)
	s_and_not1_b32 vcc_lo, exec_lo, s2
	s_cbranch_vccnz .LBB97_1447
; %bb.1446:
	global_load_u16 v7, v[5:6], off
	s_waitcnt vmcnt(0)
	v_cvt_f16_i16_e32 v7, v7
.LBB97_1447:
	s_mov_b32 s2, 0
.LBB97_1448:
	s_delay_alu instid0(SALU_CYCLE_1)
	s_and_not1_b32 vcc_lo, exec_lo, s2
	s_cbranch_vccnz .LBB97_1454
; %bb.1449:
	v_cmp_lt_i16_e32 vcc_lo, 0, v9
	s_mov_b32 s2, 0
	s_cbranch_vccz .LBB97_1451
; %bb.1450:
	global_load_i8 v7, v[5:6], off
	s_waitcnt vmcnt(0)
	v_cvt_f16_i16_e32 v7, v7
	s_branch .LBB97_1452
.LBB97_1451:
	s_mov_b32 s2, -1
                                        ; implicit-def: $vgpr7
.LBB97_1452:
	s_delay_alu instid0(SALU_CYCLE_1)
	s_and_not1_b32 vcc_lo, exec_lo, s2
	s_cbranch_vccnz .LBB97_1454
; %bb.1453:
	global_load_u8 v5, v[5:6], off
	s_waitcnt vmcnt(0)
	v_cvt_f16_u16_e32 v7, v5
.LBB97_1454:
	s_branch .LBB97_1526
.LBB97_1455:
	s_trap 2
	s_sendmsg_rtn_b32 s0, sendmsg(MSG_RTN_GET_DOORBELL)
	s_mov_b32 ttmp2, m0
	s_waitcnt lgkmcnt(0)
	s_and_b32 s0, s0, 0x3ff
	s_delay_alu instid0(SALU_CYCLE_1) | instskip(NEXT) | instid1(SALU_CYCLE_1)
	s_bitset1_b32 s0, 10
	s_mov_b32 m0, s0
	s_sendmsg sendmsg(MSG_INTERRUPT)
	s_mov_b32 m0, ttmp2
.LBB97_1456:                            ; =>This Inner Loop Header: Depth=1
	s_sethalt 5
	s_branch .LBB97_1456
.LBB97_1457:
	s_mov_b32 s2, -1
.LBB97_1458:
                                        ; implicit-def: $vgpr7
.LBB97_1459:
	s_and_b32 vcc_lo, exec_lo, s11
	s_cbranch_vccz .LBB97_1463
; %bb.1460:
	v_cmp_eq_u16_e32 vcc_lo, 44, v9
	s_cbranch_vccz .LBB97_1462
; %bb.1461:
	global_load_u8 v7, v[5:6], off
	s_mov_b32 s2, 0
	s_mov_b32 s10, -1
	s_waitcnt vmcnt(0)
	v_lshlrev_b32_e32 v11, 23, v7
	v_cmp_ne_u32_e32 vcc_lo, 0xff, v7
	s_delay_alu instid0(VALU_DEP_2) | instskip(NEXT) | instid1(VALU_DEP_1)
	v_cvt_f16_f32_e32 v11, v11
	v_cndmask_b32_e32 v11, 0x7e00, v11, vcc_lo
	v_cmp_ne_u32_e32 vcc_lo, 0, v7
	s_delay_alu instid0(VALU_DEP_2)
	v_cndmask_b32_e32 v7, 0, v11, vcc_lo
	s_branch .LBB97_1463
.LBB97_1462:
	s_mov_b32 s2, -1
                                        ; implicit-def: $vgpr7
.LBB97_1463:
	s_mov_b32 s11, 0
.LBB97_1464:
	s_delay_alu instid0(SALU_CYCLE_1)
	s_and_b32 vcc_lo, exec_lo, s11
	s_cbranch_vccz .LBB97_1468
; %bb.1465:
	v_cmp_eq_u16_e32 vcc_lo, 29, v9
	s_cbranch_vccz .LBB97_1467
; %bb.1466:
	global_load_b64 v[11:12], v[5:6], off
	s_mov_b32 s2, 0
	s_mov_b32 s10, -1
	s_mov_b32 s11, 0
	s_waitcnt vmcnt(0)
	v_clz_i32_u32_e32 v7, v12
	s_delay_alu instid0(VALU_DEP_1) | instskip(NEXT) | instid1(VALU_DEP_1)
	v_min_u32_e32 v7, 32, v7
	v_lshlrev_b64 v[11:12], v7, v[11:12]
	v_sub_nc_u32_e32 v7, 32, v7
	s_delay_alu instid0(VALU_DEP_2) | instskip(NEXT) | instid1(VALU_DEP_1)
	v_min_u32_e32 v11, 1, v11
	v_or_b32_e32 v11, v12, v11
	s_delay_alu instid0(VALU_DEP_1) | instskip(NEXT) | instid1(VALU_DEP_1)
	v_cvt_f32_u32_e32 v11, v11
	v_ldexp_f32 v7, v11, v7
	s_delay_alu instid0(VALU_DEP_1)
	v_cvt_f16_f32_e32 v7, v7
	s_branch .LBB97_1469
.LBB97_1467:
	s_mov_b32 s2, -1
                                        ; implicit-def: $vgpr7
.LBB97_1468:
	s_mov_b32 s11, 0
.LBB97_1469:
	s_delay_alu instid0(SALU_CYCLE_1)
	s_and_b32 vcc_lo, exec_lo, s11
	s_cbranch_vccz .LBB97_1487
; %bb.1470:
	v_cmp_gt_i16_e32 vcc_lo, 27, v9
	s_cbranch_vccnz .LBB97_1473
; %bb.1471:
	v_cmp_lt_i16_e32 vcc_lo, 27, v9
	s_cbranch_vccz .LBB97_1474
; %bb.1472:
	global_load_b32 v7, v[5:6], off
	s_mov_b32 s10, 0
	s_waitcnt vmcnt(0)
	v_cvt_f32_u32_e32 v7, v7
	s_delay_alu instid0(VALU_DEP_1)
	v_cvt_f16_f32_e32 v7, v7
	s_branch .LBB97_1475
.LBB97_1473:
	s_mov_b32 s10, -1
                                        ; implicit-def: $vgpr7
	s_branch .LBB97_1478
.LBB97_1474:
	s_mov_b32 s10, -1
                                        ; implicit-def: $vgpr7
.LBB97_1475:
	s_delay_alu instid0(SALU_CYCLE_1)
	s_and_not1_b32 vcc_lo, exec_lo, s10
	s_cbranch_vccnz .LBB97_1477
; %bb.1476:
	global_load_u16 v7, v[5:6], off
	s_waitcnt vmcnt(0)
	v_cvt_f16_u16_e32 v7, v7
.LBB97_1477:
	s_mov_b32 s10, 0
.LBB97_1478:
	s_delay_alu instid0(SALU_CYCLE_1)
	s_and_not1_b32 vcc_lo, exec_lo, s10
	s_cbranch_vccnz .LBB97_1486
; %bb.1479:
	global_load_u8 v11, v[5:6], off
	s_mov_b32 s10, 0
	s_mov_b32 s12, exec_lo
                                        ; implicit-def: $sgpr11
	s_waitcnt vmcnt(0)
	v_cmpx_lt_i16_e32 0x7f, v11
	s_xor_b32 s12, exec_lo, s12
	s_cbranch_execz .LBB97_1500
; %bb.1480:
	s_mov_b32 s10, -1
	s_mov_b32 s13, exec_lo
                                        ; implicit-def: $sgpr11
	v_cmpx_eq_u16_e32 0x80, v11
; %bb.1481:
	s_movk_i32 s11, 0x7e00
	s_xor_b32 s10, exec_lo, -1
; %bb.1482:
	s_or_b32 exec_lo, exec_lo, s13
	s_delay_alu instid0(SALU_CYCLE_1)
	s_and_b32 s10, s10, exec_lo
	s_or_saveexec_b32 s12, s12
	v_mov_b32_e32 v7, s11
	s_xor_b32 exec_lo, exec_lo, s12
	s_cbranch_execnz .LBB97_1501
.LBB97_1483:
	s_or_b32 exec_lo, exec_lo, s12
	s_and_saveexec_b32 s11, s10
	s_cbranch_execz .LBB97_1485
.LBB97_1484:
	v_and_b32_e32 v7, 0xffff, v11
	v_lshlrev_b32_e32 v11, 24, v11
	s_delay_alu instid0(VALU_DEP_2) | instskip(NEXT) | instid1(VALU_DEP_2)
	v_and_b32_e32 v12, 7, v7
	v_and_b32_e32 v11, 0x80000000, v11
	s_delay_alu instid0(VALU_DEP_2) | instskip(NEXT) | instid1(VALU_DEP_1)
	v_clz_i32_u32_e32 v13, v12
	v_min_u32_e32 v13, 32, v13
	s_delay_alu instid0(VALU_DEP_1) | instskip(SKIP_1) | instid1(VALU_DEP_2)
	v_subrev_nc_u32_e32 v14, 28, v13
	v_sub_nc_u32_e32 v13, 29, v13
	v_lshlrev_b32_e32 v14, v14, v7
	v_bfe_u32 v7, v7, 3, 4
	s_delay_alu instid0(VALU_DEP_2) | instskip(NEXT) | instid1(VALU_DEP_2)
	v_and_b32_e32 v14, 7, v14
	v_cmp_eq_u32_e32 vcc_lo, 0, v7
	s_delay_alu instid0(VALU_DEP_2) | instskip(NEXT) | instid1(VALU_DEP_1)
	v_dual_cndmask_b32 v7, v7, v13 :: v_dual_cndmask_b32 v12, v12, v14
	v_lshl_add_u32 v7, v7, 23, 0x3b800000
	s_delay_alu instid0(VALU_DEP_2) | instskip(NEXT) | instid1(VALU_DEP_1)
	v_lshlrev_b32_e32 v12, 20, v12
	v_or3_b32 v7, v11, v7, v12
	s_delay_alu instid0(VALU_DEP_1)
	v_cvt_f16_f32_e32 v7, v7
.LBB97_1485:
	s_or_b32 exec_lo, exec_lo, s11
.LBB97_1486:
	s_mov_b32 s10, -1
.LBB97_1487:
	s_mov_b32 s11, 0
.LBB97_1488:
	s_delay_alu instid0(SALU_CYCLE_1)
	s_and_b32 vcc_lo, exec_lo, s11
	s_cbranch_vccz .LBB97_1521
; %bb.1489:
	v_cmp_lt_i16_e32 vcc_lo, 22, v9
	s_cbranch_vccz .LBB97_1499
; %bb.1490:
	v_cmp_gt_i16_e32 vcc_lo, 24, v9
	s_cbranch_vccnz .LBB97_1502
; %bb.1491:
	v_cmp_lt_i16_e32 vcc_lo, 24, v9
	s_cbranch_vccz .LBB97_1503
; %bb.1492:
	global_load_u8 v11, v[5:6], off
	s_mov_b32 s11, exec_lo
                                        ; implicit-def: $sgpr10
	s_waitcnt vmcnt(0)
	v_cmpx_lt_i16_e32 0x7f, v11
	s_xor_b32 s11, exec_lo, s11
	s_cbranch_execz .LBB97_1515
; %bb.1493:
	s_mov_b32 s3, -1
	s_mov_b32 s12, exec_lo
                                        ; implicit-def: $sgpr10
	v_cmpx_eq_u16_e32 0x80, v11
; %bb.1494:
	s_movk_i32 s10, 0x7e00
	s_xor_b32 s3, exec_lo, -1
; %bb.1495:
	s_or_b32 exec_lo, exec_lo, s12
	s_delay_alu instid0(SALU_CYCLE_1)
	s_and_b32 s3, s3, exec_lo
	s_or_saveexec_b32 s11, s11
	v_mov_b32_e32 v7, s10
	s_xor_b32 exec_lo, exec_lo, s11
	s_cbranch_execnz .LBB97_1516
.LBB97_1496:
	s_or_b32 exec_lo, exec_lo, s11
	s_and_saveexec_b32 s10, s3
	s_cbranch_execz .LBB97_1498
.LBB97_1497:
	v_and_b32_e32 v7, 0xffff, v11
	v_lshlrev_b32_e32 v11, 24, v11
	s_delay_alu instid0(VALU_DEP_2) | instskip(NEXT) | instid1(VALU_DEP_2)
	v_and_b32_e32 v12, 3, v7
	v_and_b32_e32 v11, 0x80000000, v11
	s_delay_alu instid0(VALU_DEP_2) | instskip(NEXT) | instid1(VALU_DEP_1)
	v_clz_i32_u32_e32 v13, v12
	v_min_u32_e32 v13, 32, v13
	s_delay_alu instid0(VALU_DEP_1) | instskip(SKIP_1) | instid1(VALU_DEP_2)
	v_subrev_nc_u32_e32 v14, 29, v13
	v_sub_nc_u32_e32 v13, 30, v13
	v_lshlrev_b32_e32 v14, v14, v7
	v_bfe_u32 v7, v7, 2, 5
	s_delay_alu instid0(VALU_DEP_2) | instskip(NEXT) | instid1(VALU_DEP_2)
	v_and_b32_e32 v14, 3, v14
	v_cmp_eq_u32_e32 vcc_lo, 0, v7
	s_delay_alu instid0(VALU_DEP_2) | instskip(NEXT) | instid1(VALU_DEP_1)
	v_dual_cndmask_b32 v7, v7, v13 :: v_dual_cndmask_b32 v12, v12, v14
	v_lshl_add_u32 v7, v7, 23, 0x37800000
	s_delay_alu instid0(VALU_DEP_2) | instskip(NEXT) | instid1(VALU_DEP_1)
	v_lshlrev_b32_e32 v12, 21, v12
	v_or3_b32 v7, v11, v7, v12
	s_delay_alu instid0(VALU_DEP_1)
	v_cvt_f16_f32_e32 v7, v7
.LBB97_1498:
	s_or_b32 exec_lo, exec_lo, s10
	s_mov_b32 s3, 0
	s_branch .LBB97_1504
.LBB97_1499:
	s_mov_b32 s3, -1
                                        ; implicit-def: $vgpr7
	s_branch .LBB97_1510
.LBB97_1500:
	s_or_saveexec_b32 s12, s12
	v_mov_b32_e32 v7, s11
	s_xor_b32 exec_lo, exec_lo, s12
	s_cbranch_execz .LBB97_1483
.LBB97_1501:
	v_cmp_ne_u16_e32 vcc_lo, 0, v11
	v_mov_b32_e32 v7, v11
	s_and_not1_b32 s10, s10, exec_lo
	s_and_b32 s11, vcc_lo, exec_lo
	s_delay_alu instid0(SALU_CYCLE_1)
	s_or_b32 s10, s10, s11
	s_or_b32 exec_lo, exec_lo, s12
	s_and_saveexec_b32 s11, s10
	s_cbranch_execnz .LBB97_1484
	s_branch .LBB97_1485
.LBB97_1502:
	s_mov_b32 s3, -1
                                        ; implicit-def: $vgpr7
	s_branch .LBB97_1507
.LBB97_1503:
	s_mov_b32 s3, -1
                                        ; implicit-def: $vgpr7
.LBB97_1504:
	s_delay_alu instid0(SALU_CYCLE_1)
	s_and_b32 vcc_lo, exec_lo, s3
	s_cbranch_vccz .LBB97_1506
; %bb.1505:
	global_load_u8 v7, v[5:6], off
	s_waitcnt vmcnt(0)
	v_lshlrev_b32_e32 v7, 24, v7
	s_delay_alu instid0(VALU_DEP_1) | instskip(NEXT) | instid1(VALU_DEP_1)
	v_and_b32_e32 v11, 0x7f000000, v7
	v_clz_i32_u32_e32 v12, v11
	v_cmp_ne_u32_e32 vcc_lo, 0, v11
	v_add_nc_u32_e32 v14, 0x1000000, v11
	s_delay_alu instid0(VALU_DEP_3) | instskip(NEXT) | instid1(VALU_DEP_1)
	v_min_u32_e32 v12, 32, v12
	v_sub_nc_u32_e64 v12, v12, 4 clamp
	s_delay_alu instid0(VALU_DEP_1) | instskip(SKIP_1) | instid1(VALU_DEP_2)
	v_lshlrev_b32_e32 v13, v12, v11
	v_lshlrev_b32_e32 v12, 23, v12
	v_lshrrev_b32_e32 v13, 4, v13
	s_delay_alu instid0(VALU_DEP_1) | instskip(SKIP_1) | instid1(VALU_DEP_2)
	v_sub_nc_u32_e32 v12, v13, v12
	v_ashrrev_i32_e32 v13, 8, v14
	v_add_nc_u32_e32 v12, 0x3c000000, v12
	s_delay_alu instid0(VALU_DEP_1) | instskip(NEXT) | instid1(VALU_DEP_1)
	v_and_or_b32 v12, 0x7f800000, v13, v12
	v_cndmask_b32_e32 v11, 0, v12, vcc_lo
	s_delay_alu instid0(VALU_DEP_1) | instskip(NEXT) | instid1(VALU_DEP_1)
	v_and_or_b32 v7, 0x80000000, v7, v11
	v_cvt_f16_f32_e32 v7, v7
.LBB97_1506:
	s_mov_b32 s3, 0
.LBB97_1507:
	s_delay_alu instid0(SALU_CYCLE_1)
	s_and_not1_b32 vcc_lo, exec_lo, s3
	s_cbranch_vccnz .LBB97_1509
; %bb.1508:
	global_load_u8 v7, v[5:6], off
	s_waitcnt vmcnt(0)
	v_lshlrev_b32_e32 v11, 25, v7
	v_lshlrev_b16 v7, 8, v7
	s_delay_alu instid0(VALU_DEP_2) | instskip(NEXT) | instid1(VALU_DEP_2)
	v_lshrrev_b32_e32 v12, 4, v11
	v_and_or_b32 v13, 0x7f00, v7, 0.5
	v_bfe_i32 v7, v7, 0, 16
	s_delay_alu instid0(VALU_DEP_3) | instskip(NEXT) | instid1(VALU_DEP_1)
	v_or_b32_e32 v12, 0x70000000, v12
	v_dual_add_f32 v13, -0.5, v13 :: v_dual_mul_f32 v12, 0x7800000, v12
	v_cmp_gt_u32_e32 vcc_lo, 0x8000000, v11
	s_delay_alu instid0(VALU_DEP_2) | instskip(NEXT) | instid1(VALU_DEP_1)
	v_cndmask_b32_e32 v11, v12, v13, vcc_lo
	v_and_or_b32 v7, 0x80000000, v7, v11
	s_delay_alu instid0(VALU_DEP_1)
	v_cvt_f16_f32_e32 v7, v7
.LBB97_1509:
	s_mov_b32 s3, 0
	s_mov_b32 s10, -1
.LBB97_1510:
	s_and_not1_b32 vcc_lo, exec_lo, s3
	s_mov_b32 s3, 0
	s_cbranch_vccnz .LBB97_1521
; %bb.1511:
	v_cmp_lt_i16_e32 vcc_lo, 14, v9
	s_cbranch_vccz .LBB97_1514
; %bb.1512:
	v_cmp_eq_u16_e32 vcc_lo, 15, v9
	s_cbranch_vccz .LBB97_1517
; %bb.1513:
	global_load_u16 v7, v[5:6], off
	s_mov_b32 s2, 0
	s_mov_b32 s10, -1
	s_waitcnt vmcnt(0)
	v_lshlrev_b32_e32 v7, 16, v7
	s_delay_alu instid0(VALU_DEP_1)
	v_cvt_f16_f32_e32 v7, v7
	s_branch .LBB97_1519
.LBB97_1514:
	s_mov_b32 s3, -1
	s_branch .LBB97_1518
.LBB97_1515:
	s_or_saveexec_b32 s11, s11
	v_mov_b32_e32 v7, s10
	s_xor_b32 exec_lo, exec_lo, s11
	s_cbranch_execz .LBB97_1496
.LBB97_1516:
	v_cmp_ne_u16_e32 vcc_lo, 0, v11
	v_mov_b32_e32 v7, v11
	s_and_not1_b32 s3, s3, exec_lo
	s_and_b32 s10, vcc_lo, exec_lo
	s_delay_alu instid0(SALU_CYCLE_1)
	s_or_b32 s3, s3, s10
	s_or_b32 exec_lo, exec_lo, s11
	s_and_saveexec_b32 s10, s3
	s_cbranch_execnz .LBB97_1497
	s_branch .LBB97_1498
.LBB97_1517:
	s_mov_b32 s2, -1
.LBB97_1518:
                                        ; implicit-def: $vgpr7
.LBB97_1519:
	s_and_b32 vcc_lo, exec_lo, s3
	s_mov_b32 s3, 0
	s_cbranch_vccz .LBB97_1521
; %bb.1520:
	v_cmp_ne_u16_e64 s2, 11, v9
	s_mov_b32 s3, -1
                                        ; implicit-def: $vgpr7
.LBB97_1521:
	s_delay_alu instid0(VALU_DEP_1)
	s_and_b32 vcc_lo, exec_lo, s2
	s_cbranch_vccnz .LBB97_1537
; %bb.1522:
	s_and_not1_b32 vcc_lo, exec_lo, s3
	s_cbranch_vccnz .LBB97_1524
.LBB97_1523:
	global_load_u8 v7, v[5:6], off
	s_mov_b32 s10, -1
	s_waitcnt vmcnt(0)
	v_cmp_ne_u16_e32 vcc_lo, 0, v7
	v_cndmask_b32_e64 v7, 0, 0x3c00, vcc_lo
.LBB97_1524:
.LBB97_1525:
	s_and_not1_b32 vcc_lo, exec_lo, s10
	s_cbranch_vccnz .LBB97_2090
.LBB97_1526:
	v_cmp_gt_i16_e32 vcc_lo, 11, v9
	v_add_co_u32 v4, s2, s6, v4
	s_delay_alu instid0(VALU_DEP_1)
	v_add_co_ci_u32_e64 v5, null, s7, 0, s2
	s_mov_b32 s6, 0
	s_cbranch_vccnz .LBB97_1533
; %bb.1527:
	v_cmp_lt_i16_e32 vcc_lo, 25, v9
	s_mov_b32 s3, 0
	s_cbranch_vccz .LBB97_1534
; %bb.1528:
	v_cmp_lt_i16_e32 vcc_lo, 28, v9
	s_cbranch_vccz .LBB97_1535
; %bb.1529:
	v_cmp_lt_i16_e32 vcc_lo, 43, v9
	;; [unrolled: 3-line block ×3, first 2 shown]
	s_cbranch_vccz .LBB97_1539
; %bb.1531:
	v_cmp_eq_u16_e32 vcc_lo, 46, v9
	s_mov_b32 s7, 0
	s_cbranch_vccz .LBB97_1542
; %bb.1532:
	global_load_b32 v6, v[4:5], off
	s_mov_b32 s2, 0
	s_mov_b32 s6, -1
	s_waitcnt vmcnt(0)
	v_lshlrev_b32_e32 v6, 16, v6
	s_delay_alu instid0(VALU_DEP_1)
	v_cvt_f16_f32_e32 v11, v6
	s_branch .LBB97_1544
.LBB97_1533:
	s_mov_b32 s2, -1
                                        ; implicit-def: $vgpr11
	s_branch .LBB97_1610
.LBB97_1534:
	s_mov_b32 s7, -1
	s_mov_b32 s2, 0
                                        ; implicit-def: $vgpr11
	s_branch .LBB97_1573
.LBB97_1535:
	s_mov_b32 s7, -1
	s_mov_b32 s2, 0
                                        ; implicit-def: $vgpr11
	s_branch .LBB97_1554
.LBB97_1536:
	s_mov_b32 s7, -1
	s_mov_b32 s2, 0
                                        ; implicit-def: $vgpr11
	s_branch .LBB97_1549
.LBB97_1537:
	s_cbranch_execnz .LBB97_1540
; %bb.1538:
	s_or_b32 s1, s1, exec_lo
                                        ; implicit-def: $vgpr7
	s_cbranch_execz .LBB97_1523
	s_branch .LBB97_1524
.LBB97_1539:
	s_mov_b32 s7, -1
	s_mov_b32 s2, 0
	s_branch .LBB97_1543
.LBB97_1540:
	s_trap 2
	s_sendmsg_rtn_b32 s0, sendmsg(MSG_RTN_GET_DOORBELL)
	s_mov_b32 ttmp2, m0
	s_waitcnt lgkmcnt(0)
	s_and_b32 s0, s0, 0x3ff
	s_delay_alu instid0(SALU_CYCLE_1) | instskip(NEXT) | instid1(SALU_CYCLE_1)
	s_bitset1_b32 s0, 10
	s_mov_b32 m0, s0
	s_sendmsg sendmsg(MSG_INTERRUPT)
	s_mov_b32 m0, ttmp2
.LBB97_1541:                            ; =>This Inner Loop Header: Depth=1
	s_sethalt 5
	s_branch .LBB97_1541
.LBB97_1542:
	s_mov_b32 s2, -1
.LBB97_1543:
                                        ; implicit-def: $vgpr11
.LBB97_1544:
	s_and_b32 vcc_lo, exec_lo, s7
	s_cbranch_vccz .LBB97_1548
; %bb.1545:
	v_cmp_eq_u16_e32 vcc_lo, 44, v9
	s_cbranch_vccz .LBB97_1547
; %bb.1546:
	global_load_u8 v6, v[4:5], off
	s_mov_b32 s2, 0
	s_mov_b32 s6, -1
	s_waitcnt vmcnt(0)
	v_lshlrev_b32_e32 v11, 23, v6
	v_cmp_ne_u32_e32 vcc_lo, 0xff, v6
	s_delay_alu instid0(VALU_DEP_2) | instskip(NEXT) | instid1(VALU_DEP_1)
	v_cvt_f16_f32_e32 v11, v11
	v_cndmask_b32_e32 v11, 0x7e00, v11, vcc_lo
	v_cmp_ne_u32_e32 vcc_lo, 0, v6
	s_delay_alu instid0(VALU_DEP_2)
	v_cndmask_b32_e32 v11, 0, v11, vcc_lo
	s_branch .LBB97_1548
.LBB97_1547:
	s_mov_b32 s2, -1
                                        ; implicit-def: $vgpr11
.LBB97_1548:
	s_mov_b32 s7, 0
.LBB97_1549:
	s_delay_alu instid0(SALU_CYCLE_1)
	s_and_b32 vcc_lo, exec_lo, s7
	s_cbranch_vccz .LBB97_1553
; %bb.1550:
	v_cmp_eq_u16_e32 vcc_lo, 29, v9
	s_cbranch_vccz .LBB97_1552
; %bb.1551:
	global_load_b64 v[11:12], v[4:5], off
	s_mov_b32 s2, 0
	s_mov_b32 s6, -1
	s_mov_b32 s7, 0
	s_waitcnt vmcnt(0)
	v_clz_i32_u32_e32 v6, v12
	s_delay_alu instid0(VALU_DEP_1) | instskip(NEXT) | instid1(VALU_DEP_1)
	v_min_u32_e32 v6, 32, v6
	v_lshlrev_b64 v[11:12], v6, v[11:12]
	v_sub_nc_u32_e32 v6, 32, v6
	s_delay_alu instid0(VALU_DEP_2) | instskip(NEXT) | instid1(VALU_DEP_1)
	v_min_u32_e32 v11, 1, v11
	v_or_b32_e32 v11, v12, v11
	s_delay_alu instid0(VALU_DEP_1) | instskip(NEXT) | instid1(VALU_DEP_1)
	v_cvt_f32_u32_e32 v11, v11
	v_ldexp_f32 v6, v11, v6
	s_delay_alu instid0(VALU_DEP_1)
	v_cvt_f16_f32_e32 v11, v6
	s_branch .LBB97_1554
.LBB97_1552:
	s_mov_b32 s2, -1
                                        ; implicit-def: $vgpr11
.LBB97_1553:
	s_mov_b32 s7, 0
.LBB97_1554:
	s_delay_alu instid0(SALU_CYCLE_1)
	s_and_b32 vcc_lo, exec_lo, s7
	s_cbranch_vccz .LBB97_1572
; %bb.1555:
	v_cmp_gt_i16_e32 vcc_lo, 27, v9
	s_cbranch_vccnz .LBB97_1558
; %bb.1556:
	v_cmp_lt_i16_e32 vcc_lo, 27, v9
	s_cbranch_vccz .LBB97_1559
; %bb.1557:
	global_load_b32 v6, v[4:5], off
	s_mov_b32 s6, 0
	s_waitcnt vmcnt(0)
	v_cvt_f32_u32_e32 v6, v6
	s_delay_alu instid0(VALU_DEP_1)
	v_cvt_f16_f32_e32 v11, v6
	s_branch .LBB97_1560
.LBB97_1558:
	s_mov_b32 s6, -1
                                        ; implicit-def: $vgpr11
	s_branch .LBB97_1563
.LBB97_1559:
	s_mov_b32 s6, -1
                                        ; implicit-def: $vgpr11
.LBB97_1560:
	s_delay_alu instid0(SALU_CYCLE_1)
	s_and_not1_b32 vcc_lo, exec_lo, s6
	s_cbranch_vccnz .LBB97_1562
; %bb.1561:
	global_load_u16 v6, v[4:5], off
	s_waitcnt vmcnt(0)
	v_cvt_f16_u16_e32 v11, v6
.LBB97_1562:
	s_mov_b32 s6, 0
.LBB97_1563:
	s_delay_alu instid0(SALU_CYCLE_1)
	s_and_not1_b32 vcc_lo, exec_lo, s6
	s_cbranch_vccnz .LBB97_1571
; %bb.1564:
	global_load_u8 v6, v[4:5], off
	s_mov_b32 s6, 0
	s_mov_b32 s10, exec_lo
                                        ; implicit-def: $sgpr7
	s_waitcnt vmcnt(0)
	v_cmpx_lt_i16_e32 0x7f, v6
	s_xor_b32 s10, exec_lo, s10
	s_cbranch_execz .LBB97_1585
; %bb.1565:
	s_mov_b32 s6, -1
	s_mov_b32 s11, exec_lo
                                        ; implicit-def: $sgpr7
	v_cmpx_eq_u16_e32 0x80, v6
; %bb.1566:
	s_movk_i32 s7, 0x7e00
	s_xor_b32 s6, exec_lo, -1
; %bb.1567:
	s_or_b32 exec_lo, exec_lo, s11
	s_delay_alu instid0(SALU_CYCLE_1)
	s_and_b32 s6, s6, exec_lo
	s_or_saveexec_b32 s10, s10
	v_mov_b32_e32 v11, s7
	s_xor_b32 exec_lo, exec_lo, s10
	s_cbranch_execnz .LBB97_1586
.LBB97_1568:
	s_or_b32 exec_lo, exec_lo, s10
	s_and_saveexec_b32 s7, s6
	s_cbranch_execz .LBB97_1570
.LBB97_1569:
	v_and_b32_e32 v11, 0xffff, v6
	v_lshlrev_b32_e32 v6, 24, v6
	s_delay_alu instid0(VALU_DEP_2) | instskip(NEXT) | instid1(VALU_DEP_2)
	v_and_b32_e32 v12, 7, v11
	v_and_b32_e32 v6, 0x80000000, v6
	s_delay_alu instid0(VALU_DEP_2) | instskip(NEXT) | instid1(VALU_DEP_1)
	v_clz_i32_u32_e32 v13, v12
	v_min_u32_e32 v13, 32, v13
	s_delay_alu instid0(VALU_DEP_1) | instskip(SKIP_1) | instid1(VALU_DEP_2)
	v_subrev_nc_u32_e32 v14, 28, v13
	v_sub_nc_u32_e32 v13, 29, v13
	v_lshlrev_b32_e32 v14, v14, v11
	v_bfe_u32 v11, v11, 3, 4
	s_delay_alu instid0(VALU_DEP_2) | instskip(NEXT) | instid1(VALU_DEP_2)
	v_and_b32_e32 v14, 7, v14
	v_cmp_eq_u32_e32 vcc_lo, 0, v11
	s_delay_alu instid0(VALU_DEP_2) | instskip(NEXT) | instid1(VALU_DEP_1)
	v_dual_cndmask_b32 v11, v11, v13 :: v_dual_cndmask_b32 v12, v12, v14
	v_lshl_add_u32 v11, v11, 23, 0x3b800000
	s_delay_alu instid0(VALU_DEP_2) | instskip(NEXT) | instid1(VALU_DEP_1)
	v_lshlrev_b32_e32 v12, 20, v12
	v_or3_b32 v6, v6, v11, v12
	s_delay_alu instid0(VALU_DEP_1)
	v_cvt_f16_f32_e32 v11, v6
.LBB97_1570:
	s_or_b32 exec_lo, exec_lo, s7
.LBB97_1571:
	s_mov_b32 s6, -1
.LBB97_1572:
	s_mov_b32 s7, 0
.LBB97_1573:
	s_delay_alu instid0(SALU_CYCLE_1)
	s_and_b32 vcc_lo, exec_lo, s7
	s_cbranch_vccz .LBB97_1606
; %bb.1574:
	v_cmp_lt_i16_e32 vcc_lo, 22, v9
	s_cbranch_vccz .LBB97_1584
; %bb.1575:
	v_cmp_gt_i16_e32 vcc_lo, 24, v9
	s_cbranch_vccnz .LBB97_1587
; %bb.1576:
	v_cmp_lt_i16_e32 vcc_lo, 24, v9
	s_cbranch_vccz .LBB97_1588
; %bb.1577:
	global_load_u8 v6, v[4:5], off
	s_mov_b32 s7, exec_lo
                                        ; implicit-def: $sgpr6
	s_waitcnt vmcnt(0)
	v_cmpx_lt_i16_e32 0x7f, v6
	s_xor_b32 s7, exec_lo, s7
	s_cbranch_execz .LBB97_1600
; %bb.1578:
	s_mov_b32 s3, -1
	s_mov_b32 s10, exec_lo
                                        ; implicit-def: $sgpr6
	v_cmpx_eq_u16_e32 0x80, v6
; %bb.1579:
	s_movk_i32 s6, 0x7e00
	s_xor_b32 s3, exec_lo, -1
; %bb.1580:
	s_or_b32 exec_lo, exec_lo, s10
	s_delay_alu instid0(SALU_CYCLE_1)
	s_and_b32 s3, s3, exec_lo
	s_or_saveexec_b32 s7, s7
	v_mov_b32_e32 v11, s6
	s_xor_b32 exec_lo, exec_lo, s7
	s_cbranch_execnz .LBB97_1601
.LBB97_1581:
	s_or_b32 exec_lo, exec_lo, s7
	s_and_saveexec_b32 s6, s3
	s_cbranch_execz .LBB97_1583
.LBB97_1582:
	v_and_b32_e32 v11, 0xffff, v6
	v_lshlrev_b32_e32 v6, 24, v6
	s_delay_alu instid0(VALU_DEP_2) | instskip(NEXT) | instid1(VALU_DEP_2)
	v_and_b32_e32 v12, 3, v11
	v_and_b32_e32 v6, 0x80000000, v6
	s_delay_alu instid0(VALU_DEP_2) | instskip(NEXT) | instid1(VALU_DEP_1)
	v_clz_i32_u32_e32 v13, v12
	v_min_u32_e32 v13, 32, v13
	s_delay_alu instid0(VALU_DEP_1) | instskip(SKIP_1) | instid1(VALU_DEP_2)
	v_subrev_nc_u32_e32 v14, 29, v13
	v_sub_nc_u32_e32 v13, 30, v13
	v_lshlrev_b32_e32 v14, v14, v11
	v_bfe_u32 v11, v11, 2, 5
	s_delay_alu instid0(VALU_DEP_2) | instskip(NEXT) | instid1(VALU_DEP_2)
	v_and_b32_e32 v14, 3, v14
	v_cmp_eq_u32_e32 vcc_lo, 0, v11
	s_delay_alu instid0(VALU_DEP_2) | instskip(NEXT) | instid1(VALU_DEP_1)
	v_dual_cndmask_b32 v11, v11, v13 :: v_dual_cndmask_b32 v12, v12, v14
	v_lshl_add_u32 v11, v11, 23, 0x37800000
	s_delay_alu instid0(VALU_DEP_2) | instskip(NEXT) | instid1(VALU_DEP_1)
	v_lshlrev_b32_e32 v12, 21, v12
	v_or3_b32 v6, v6, v11, v12
	s_delay_alu instid0(VALU_DEP_1)
	v_cvt_f16_f32_e32 v11, v6
.LBB97_1583:
	s_or_b32 exec_lo, exec_lo, s6
	s_mov_b32 s3, 0
	s_branch .LBB97_1589
.LBB97_1584:
	s_mov_b32 s3, -1
                                        ; implicit-def: $vgpr11
	s_branch .LBB97_1595
.LBB97_1585:
	s_or_saveexec_b32 s10, s10
	v_mov_b32_e32 v11, s7
	s_xor_b32 exec_lo, exec_lo, s10
	s_cbranch_execz .LBB97_1568
.LBB97_1586:
	v_cmp_ne_u16_e32 vcc_lo, 0, v6
	v_mov_b32_e32 v11, v6
	s_and_not1_b32 s6, s6, exec_lo
	s_and_b32 s7, vcc_lo, exec_lo
	s_delay_alu instid0(SALU_CYCLE_1)
	s_or_b32 s6, s6, s7
	s_or_b32 exec_lo, exec_lo, s10
	s_and_saveexec_b32 s7, s6
	s_cbranch_execnz .LBB97_1569
	s_branch .LBB97_1570
.LBB97_1587:
	s_mov_b32 s3, -1
                                        ; implicit-def: $vgpr11
	s_branch .LBB97_1592
.LBB97_1588:
	s_mov_b32 s3, -1
                                        ; implicit-def: $vgpr11
.LBB97_1589:
	s_delay_alu instid0(SALU_CYCLE_1)
	s_and_b32 vcc_lo, exec_lo, s3
	s_cbranch_vccz .LBB97_1591
; %bb.1590:
	global_load_u8 v6, v[4:5], off
	s_waitcnt vmcnt(0)
	v_lshlrev_b32_e32 v6, 24, v6
	s_delay_alu instid0(VALU_DEP_1) | instskip(NEXT) | instid1(VALU_DEP_1)
	v_and_b32_e32 v11, 0x7f000000, v6
	v_clz_i32_u32_e32 v12, v11
	v_add_nc_u32_e32 v14, 0x1000000, v11
	v_cmp_ne_u32_e32 vcc_lo, 0, v11
	s_delay_alu instid0(VALU_DEP_3) | instskip(NEXT) | instid1(VALU_DEP_1)
	v_min_u32_e32 v12, 32, v12
	v_sub_nc_u32_e64 v12, v12, 4 clamp
	s_delay_alu instid0(VALU_DEP_1) | instskip(SKIP_1) | instid1(VALU_DEP_2)
	v_lshlrev_b32_e32 v13, v12, v11
	v_lshlrev_b32_e32 v12, 23, v12
	v_lshrrev_b32_e32 v13, 4, v13
	s_delay_alu instid0(VALU_DEP_1) | instskip(SKIP_1) | instid1(VALU_DEP_2)
	v_sub_nc_u32_e32 v12, v13, v12
	v_ashrrev_i32_e32 v13, 8, v14
	v_add_nc_u32_e32 v12, 0x3c000000, v12
	s_delay_alu instid0(VALU_DEP_1) | instskip(NEXT) | instid1(VALU_DEP_1)
	v_and_or_b32 v12, 0x7f800000, v13, v12
	v_cndmask_b32_e32 v11, 0, v12, vcc_lo
	s_delay_alu instid0(VALU_DEP_1) | instskip(NEXT) | instid1(VALU_DEP_1)
	v_and_or_b32 v6, 0x80000000, v6, v11
	v_cvt_f16_f32_e32 v11, v6
.LBB97_1591:
	s_mov_b32 s3, 0
.LBB97_1592:
	s_delay_alu instid0(SALU_CYCLE_1)
	s_and_not1_b32 vcc_lo, exec_lo, s3
	s_cbranch_vccnz .LBB97_1594
; %bb.1593:
	global_load_u8 v6, v[4:5], off
	s_waitcnt vmcnt(0)
	v_lshlrev_b32_e32 v11, 25, v6
	v_lshlrev_b16 v6, 8, v6
	s_delay_alu instid0(VALU_DEP_2) | instskip(NEXT) | instid1(VALU_DEP_2)
	v_lshrrev_b32_e32 v12, 4, v11
	v_and_or_b32 v13, 0x7f00, v6, 0.5
	v_bfe_i32 v6, v6, 0, 16
	s_delay_alu instid0(VALU_DEP_3) | instskip(NEXT) | instid1(VALU_DEP_1)
	v_or_b32_e32 v12, 0x70000000, v12
	v_dual_add_f32 v13, -0.5, v13 :: v_dual_mul_f32 v12, 0x7800000, v12
	v_cmp_gt_u32_e32 vcc_lo, 0x8000000, v11
	s_delay_alu instid0(VALU_DEP_2) | instskip(NEXT) | instid1(VALU_DEP_1)
	v_cndmask_b32_e32 v11, v12, v13, vcc_lo
	v_and_or_b32 v6, 0x80000000, v6, v11
	s_delay_alu instid0(VALU_DEP_1)
	v_cvt_f16_f32_e32 v11, v6
.LBB97_1594:
	s_mov_b32 s3, 0
	s_mov_b32 s6, -1
.LBB97_1595:
	s_and_not1_b32 vcc_lo, exec_lo, s3
	s_mov_b32 s3, 0
	s_cbranch_vccnz .LBB97_1606
; %bb.1596:
	v_cmp_lt_i16_e32 vcc_lo, 14, v9
	s_cbranch_vccz .LBB97_1599
; %bb.1597:
	v_cmp_eq_u16_e32 vcc_lo, 15, v9
	s_cbranch_vccz .LBB97_1602
; %bb.1598:
	global_load_u16 v6, v[4:5], off
	s_mov_b32 s2, 0
	s_mov_b32 s6, -1
	s_waitcnt vmcnt(0)
	v_lshlrev_b32_e32 v6, 16, v6
	s_delay_alu instid0(VALU_DEP_1)
	v_cvt_f16_f32_e32 v11, v6
	s_branch .LBB97_1604
.LBB97_1599:
	s_mov_b32 s3, -1
	s_branch .LBB97_1603
.LBB97_1600:
	s_or_saveexec_b32 s7, s7
	v_mov_b32_e32 v11, s6
	s_xor_b32 exec_lo, exec_lo, s7
	s_cbranch_execz .LBB97_1581
.LBB97_1601:
	v_cmp_ne_u16_e32 vcc_lo, 0, v6
	v_mov_b32_e32 v11, v6
	s_and_not1_b32 s3, s3, exec_lo
	s_and_b32 s6, vcc_lo, exec_lo
	s_delay_alu instid0(SALU_CYCLE_1)
	s_or_b32 s3, s3, s6
	s_or_b32 exec_lo, exec_lo, s7
	s_and_saveexec_b32 s6, s3
	s_cbranch_execnz .LBB97_1582
	s_branch .LBB97_1583
.LBB97_1602:
	s_mov_b32 s2, -1
.LBB97_1603:
                                        ; implicit-def: $vgpr11
.LBB97_1604:
	s_and_b32 vcc_lo, exec_lo, s3
	s_mov_b32 s3, 0
	s_cbranch_vccz .LBB97_1606
; %bb.1605:
	v_cmp_ne_u16_e64 s2, 11, v9
	s_mov_b32 s3, -1
                                        ; implicit-def: $vgpr11
.LBB97_1606:
	s_delay_alu instid0(VALU_DEP_1)
	s_and_b32 vcc_lo, exec_lo, s2
	s_cbranch_vccnz .LBB97_2135
; %bb.1607:
	s_and_not1_b32 vcc_lo, exec_lo, s3
	s_cbranch_vccnz .LBB97_1609
.LBB97_1608:
	global_load_u8 v6, v[4:5], off
	s_mov_b32 s6, -1
	s_waitcnt vmcnt(0)
	v_cmp_ne_u16_e32 vcc_lo, 0, v6
	v_cndmask_b32_e64 v11, 0, 0x3c00, vcc_lo
.LBB97_1609:
	s_mov_b32 s2, 0
.LBB97_1610:
	s_delay_alu instid0(SALU_CYCLE_1)
	s_and_b32 vcc_lo, exec_lo, s2
	s_cbranch_vccz .LBB97_1659
; %bb.1611:
	v_cmp_gt_i16_e32 vcc_lo, 5, v9
	s_cbranch_vccnz .LBB97_1616
; %bb.1612:
	v_cmp_gt_i16_e32 vcc_lo, 8, v9
	s_cbranch_vccnz .LBB97_1617
	;; [unrolled: 3-line block ×3, first 2 shown]
; %bb.1614:
	v_cmp_lt_i16_e32 vcc_lo, 9, v9
	s_cbranch_vccz .LBB97_1619
; %bb.1615:
	global_load_b64 v[11:12], v[4:5], off
	s_mov_b32 s2, 0
	s_waitcnt vmcnt(0)
	v_cvt_f32_f64_e32 v6, v[11:12]
	s_delay_alu instid0(VALU_DEP_1)
	v_cvt_f16_f32_e32 v11, v6
	s_branch .LBB97_1620
.LBB97_1616:
	s_mov_b32 s2, -1
                                        ; implicit-def: $vgpr11
	s_branch .LBB97_1638
.LBB97_1617:
	s_mov_b32 s2, -1
                                        ; implicit-def: $vgpr11
	s_branch .LBB97_1626
.LBB97_1618:
	s_mov_b32 s2, -1
                                        ; implicit-def: $vgpr11
	s_branch .LBB97_1623
.LBB97_1619:
	s_mov_b32 s2, -1
                                        ; implicit-def: $vgpr11
.LBB97_1620:
	s_delay_alu instid0(SALU_CYCLE_1)
	s_and_not1_b32 vcc_lo, exec_lo, s2
	s_cbranch_vccnz .LBB97_1622
; %bb.1621:
	global_load_b32 v6, v[4:5], off
	s_waitcnt vmcnt(0)
	v_cvt_f16_f32_e32 v11, v6
.LBB97_1622:
	s_mov_b32 s2, 0
.LBB97_1623:
	s_delay_alu instid0(SALU_CYCLE_1)
	s_and_not1_b32 vcc_lo, exec_lo, s2
	s_cbranch_vccnz .LBB97_1625
; %bb.1624:
	global_load_b32 v11, v[4:5], off
.LBB97_1625:
	s_mov_b32 s2, 0
.LBB97_1626:
	s_delay_alu instid0(SALU_CYCLE_1)
	s_and_not1_b32 vcc_lo, exec_lo, s2
	s_cbranch_vccnz .LBB97_1637
; %bb.1627:
	v_cmp_gt_i16_e32 vcc_lo, 6, v9
	s_cbranch_vccnz .LBB97_1630
; %bb.1628:
	v_cmp_lt_i16_e32 vcc_lo, 6, v9
	s_cbranch_vccz .LBB97_1631
; %bb.1629:
	global_load_b64 v[11:12], v[4:5], off
	s_mov_b32 s2, 0
	s_waitcnt vmcnt(0)
	v_cvt_f32_f64_e32 v6, v[11:12]
	s_delay_alu instid0(VALU_DEP_1)
	v_cvt_f16_f32_e32 v11, v6
	s_branch .LBB97_1632
.LBB97_1630:
	s_mov_b32 s2, -1
                                        ; implicit-def: $vgpr11
	s_branch .LBB97_1635
.LBB97_1631:
	s_mov_b32 s2, -1
                                        ; implicit-def: $vgpr11
.LBB97_1632:
	s_delay_alu instid0(SALU_CYCLE_1)
	s_and_not1_b32 vcc_lo, exec_lo, s2
	s_cbranch_vccnz .LBB97_1634
; %bb.1633:
	global_load_b32 v6, v[4:5], off
	s_waitcnt vmcnt(0)
	v_cvt_f16_f32_e32 v11, v6
.LBB97_1634:
	s_mov_b32 s2, 0
.LBB97_1635:
	s_delay_alu instid0(SALU_CYCLE_1)
	s_and_not1_b32 vcc_lo, exec_lo, s2
	s_cbranch_vccnz .LBB97_1637
; %bb.1636:
	global_load_u16 v11, v[4:5], off
.LBB97_1637:
	s_mov_b32 s2, 0
.LBB97_1638:
	s_delay_alu instid0(SALU_CYCLE_1)
	s_and_not1_b32 vcc_lo, exec_lo, s2
	s_cbranch_vccnz .LBB97_1658
; %bb.1639:
	v_cmp_gt_i16_e32 vcc_lo, 2, v9
	s_cbranch_vccnz .LBB97_1643
; %bb.1640:
	v_cmp_gt_i16_e32 vcc_lo, 3, v9
	s_cbranch_vccnz .LBB97_1644
; %bb.1641:
	v_cmp_lt_i16_e32 vcc_lo, 3, v9
	s_cbranch_vccz .LBB97_1645
; %bb.1642:
	global_load_b64 v[11:12], v[4:5], off
	s_mov_b32 s2, 0
	s_waitcnt vmcnt(0)
	v_xor_b32_e32 v6, v11, v12
	v_cls_i32_e32 v13, v12
	s_delay_alu instid0(VALU_DEP_2) | instskip(NEXT) | instid1(VALU_DEP_2)
	v_ashrrev_i32_e32 v6, 31, v6
	v_add_nc_u32_e32 v13, -1, v13
	s_delay_alu instid0(VALU_DEP_2) | instskip(NEXT) | instid1(VALU_DEP_1)
	v_add_nc_u32_e32 v6, 32, v6
	v_min_u32_e32 v6, v13, v6
	s_delay_alu instid0(VALU_DEP_1) | instskip(SKIP_1) | instid1(VALU_DEP_2)
	v_lshlrev_b64 v[11:12], v6, v[11:12]
	v_sub_nc_u32_e32 v6, 32, v6
	v_min_u32_e32 v11, 1, v11
	s_delay_alu instid0(VALU_DEP_1) | instskip(NEXT) | instid1(VALU_DEP_1)
	v_or_b32_e32 v11, v12, v11
	v_cvt_f32_i32_e32 v11, v11
	s_delay_alu instid0(VALU_DEP_1) | instskip(NEXT) | instid1(VALU_DEP_1)
	v_ldexp_f32 v6, v11, v6
	v_cvt_f16_f32_e32 v11, v6
	s_branch .LBB97_1646
.LBB97_1643:
	s_mov_b32 s2, -1
                                        ; implicit-def: $vgpr11
	s_branch .LBB97_1652
.LBB97_1644:
	s_mov_b32 s2, -1
                                        ; implicit-def: $vgpr11
	s_branch .LBB97_1649
.LBB97_1645:
	s_mov_b32 s2, -1
                                        ; implicit-def: $vgpr11
.LBB97_1646:
	s_delay_alu instid0(SALU_CYCLE_1)
	s_and_not1_b32 vcc_lo, exec_lo, s2
	s_cbranch_vccnz .LBB97_1648
; %bb.1647:
	global_load_b32 v6, v[4:5], off
	s_waitcnt vmcnt(0)
	v_cvt_f32_i32_e32 v6, v6
	s_delay_alu instid0(VALU_DEP_1)
	v_cvt_f16_f32_e32 v11, v6
.LBB97_1648:
	s_mov_b32 s2, 0
.LBB97_1649:
	s_delay_alu instid0(SALU_CYCLE_1)
	s_and_not1_b32 vcc_lo, exec_lo, s2
	s_cbranch_vccnz .LBB97_1651
; %bb.1650:
	global_load_u16 v6, v[4:5], off
	s_waitcnt vmcnt(0)
	v_cvt_f16_i16_e32 v11, v6
.LBB97_1651:
	s_mov_b32 s2, 0
.LBB97_1652:
	s_delay_alu instid0(SALU_CYCLE_1)
	s_and_not1_b32 vcc_lo, exec_lo, s2
	s_cbranch_vccnz .LBB97_1658
; %bb.1653:
	v_cmp_lt_i16_e32 vcc_lo, 0, v9
	s_mov_b32 s2, 0
	s_cbranch_vccz .LBB97_1655
; %bb.1654:
	global_load_i8 v6, v[4:5], off
	s_waitcnt vmcnt(0)
	v_cvt_f16_i16_e32 v11, v6
	s_branch .LBB97_1656
.LBB97_1655:
	s_mov_b32 s2, -1
                                        ; implicit-def: $vgpr11
.LBB97_1656:
	s_delay_alu instid0(SALU_CYCLE_1)
	s_and_not1_b32 vcc_lo, exec_lo, s2
	s_cbranch_vccnz .LBB97_1658
; %bb.1657:
	global_load_u8 v4, v[4:5], off
	s_waitcnt vmcnt(0)
	v_cvt_f16_u16_e32 v11, v4
.LBB97_1658:
	s_mov_b32 s6, -1
.LBB97_1659:
	s_delay_alu instid0(SALU_CYCLE_1)
	s_and_not1_b32 vcc_lo, exec_lo, s6
	s_cbranch_vccnz .LBB97_2090
; %bb.1660:
	v_cvt_f32_f16_e32 v4, v10
	s_mov_b32 s2, 0x3fb8aa3b
	s_lshr_b32 s0, s0, 8
	s_mov_b32 s3, 0
	s_delay_alu instid0(VALU_DEP_1) | instskip(SKIP_1) | instid1(VALU_DEP_2)
	v_mul_f32_e32 v5, 0x3fb8aa3b, v4
	v_cmp_ngt_f32_e32 vcc_lo, 0xc2ce8ed0, v4
	v_rndne_f32_e32 v6, v5
	v_fma_mix_f32 v9, v10, s2, -v5 op_sel_hi:[1,0,0]
	s_mov_b32 s2, 0x32a5705f
	s_delay_alu instid0(VALU_DEP_2) | instskip(NEXT) | instid1(VALU_DEP_2)
	v_sub_f32_e32 v5, v5, v6
	v_fma_mix_f32 v9, v10, s2, v9 op_sel_hi:[1,0,0]
	v_cvt_i32_f32_e32 v6, v6
	s_delay_alu instid0(VALU_DEP_2) | instskip(NEXT) | instid1(VALU_DEP_1)
	v_add_f32_e32 v5, v5, v9
	v_exp_f32_e32 v5, v5
	s_waitcnt_depctr 0xfff
	v_ldexp_f32 v5, v5, v6
	v_and_b32_e64 v6, 0xff, s0
	v_cmp_nlt_f32_e64 s0, 0x42b17218, v4
	s_delay_alu instid0(VALU_DEP_3) | instskip(NEXT) | instid1(VALU_DEP_3)
	v_cndmask_b32_e32 v5, 0, v5, vcc_lo
	v_cmp_gt_i16_e32 vcc_lo, 11, v6
	s_delay_alu instid0(VALU_DEP_2) | instskip(SKIP_1) | instid1(VALU_DEP_1)
	v_cndmask_b32_e64 v5, 0x7f800000, v5, s0
	v_add_co_u32 v3, s0, s4, v3
	v_add_co_ci_u32_e64 v4, null, s5, 0, s0
	s_delay_alu instid0(VALU_DEP_3)
	v_cvt_f16_f32_e32 v5, v5
	s_mov_b32 s0, -1
	s_cbranch_vccnz .LBB97_1738
; %bb.1661:
	v_cmp_lt_i16_e32 vcc_lo, 25, v6
	s_mov_b32 s6, -1
	s_mov_b32 s2, 0
	s_mov_b32 s0, 0
	s_cbranch_vccz .LBB97_1694
; %bb.1662:
	v_cmp_lt_i16_e32 vcc_lo, 28, v6
	s_cbranch_vccz .LBB97_1677
; %bb.1663:
	v_cmp_lt_i16_e32 vcc_lo, 43, v6
	;; [unrolled: 3-line block ×3, first 2 shown]
	s_cbranch_vccz .LBB97_1667
; %bb.1665:
	v_cmp_eq_u16_e32 vcc_lo, 46, v6
	s_mov_b32 s0, -1
	s_mov_b32 s6, 0
	s_cbranch_vccz .LBB97_1667
; %bb.1666:
	v_cvt_f32_f16_e32 v9, v5
	v_cmp_o_f16_e32 vcc_lo, v5, v5
	s_mov_b32 s0, 0
	s_mov_b32 s3, -1
	s_delay_alu instid0(VALU_DEP_2) | instskip(NEXT) | instid1(VALU_DEP_1)
	v_bfe_u32 v10, v9, 16, 1
	v_add3_u32 v9, v9, v10, 0x7fff
	s_delay_alu instid0(VALU_DEP_1) | instskip(NEXT) | instid1(VALU_DEP_1)
	v_lshrrev_b32_e32 v9, 16, v9
	v_cndmask_b32_e32 v9, 0x7fc0, v9, vcc_lo
	global_store_b32 v[3:4], v9, off
.LBB97_1667:
	s_and_b32 vcc_lo, exec_lo, s6
	s_cbranch_vccz .LBB97_1672
; %bb.1668:
	v_cmp_eq_u16_e32 vcc_lo, 44, v6
	s_mov_b32 s0, -1
	s_cbranch_vccz .LBB97_1672
; %bb.1669:
	v_cvt_f32_f16_e32 v9, v5
	v_mov_b32_e32 v10, 0xff
	s_mov_b32 s3, exec_lo
	s_delay_alu instid0(VALU_DEP_2) | instskip(NEXT) | instid1(VALU_DEP_1)
	v_bfe_u32 v12, v9, 23, 8
	v_cmpx_ne_u32_e32 0xff, v12
; %bb.1670:
	v_and_b32_e32 v10, 0x400000, v9
	v_and_or_b32 v12, 0x3fffff, v9, v12
	v_lshrrev_b32_e32 v9, 23, v9
	s_delay_alu instid0(VALU_DEP_3) | instskip(NEXT) | instid1(VALU_DEP_3)
	v_cmp_ne_u32_e32 vcc_lo, 0, v10
	v_cmp_ne_u32_e64 s0, 0, v12
	s_delay_alu instid0(VALU_DEP_1) | instskip(NEXT) | instid1(SALU_CYCLE_1)
	s_and_b32 s0, vcc_lo, s0
	v_cndmask_b32_e64 v10, 0, 1, s0
	s_delay_alu instid0(VALU_DEP_1)
	v_add_nc_u32_e32 v10, v9, v10
; %bb.1671:
	s_or_b32 exec_lo, exec_lo, s3
	s_mov_b32 s0, 0
	s_mov_b32 s3, -1
	global_store_b8 v[3:4], v10, off
.LBB97_1672:
	s_mov_b32 s6, 0
.LBB97_1673:
	s_delay_alu instid0(SALU_CYCLE_1)
	s_and_b32 vcc_lo, exec_lo, s6
	s_cbranch_vccz .LBB97_1676
; %bb.1674:
	v_cmp_eq_u16_e32 vcc_lo, 29, v6
	s_mov_b32 s0, -1
	s_cbranch_vccz .LBB97_1676
; %bb.1675:
	v_cvt_f32_f16_e32 v9, v5
	v_mov_b32_e32 v10, 0
	s_mov_b32 s0, 0
	s_mov_b32 s3, -1
	s_delay_alu instid0(VALU_DEP_2)
	v_cvt_u32_f32_e32 v9, v9
	global_store_b64 v[3:4], v[9:10], off
.LBB97_1676:
	s_mov_b32 s6, 0
.LBB97_1677:
	s_delay_alu instid0(SALU_CYCLE_1)
	s_and_b32 vcc_lo, exec_lo, s6
	s_cbranch_vccz .LBB97_1693
; %bb.1678:
	v_cmp_gt_i16_e32 vcc_lo, 27, v6
	s_mov_b32 s3, -1
	s_cbranch_vccnz .LBB97_1684
; %bb.1679:
	v_cmp_lt_i16_e32 vcc_lo, 27, v6
	s_cbranch_vccz .LBB97_1681
; %bb.1680:
	v_cvt_f32_f16_e32 v9, v5
	s_mov_b32 s3, 0
	s_delay_alu instid0(VALU_DEP_1)
	v_cvt_u32_f32_e32 v9, v9
	global_store_b32 v[3:4], v9, off
.LBB97_1681:
	s_and_not1_b32 vcc_lo, exec_lo, s3
	s_cbranch_vccnz .LBB97_1683
; %bb.1682:
	v_cvt_u16_f16_e32 v9, v5
	global_store_b16 v[3:4], v9, off
.LBB97_1683:
	s_mov_b32 s3, 0
.LBB97_1684:
	s_delay_alu instid0(SALU_CYCLE_1)
	s_and_not1_b32 vcc_lo, exec_lo, s3
	s_cbranch_vccnz .LBB97_1692
; %bb.1685:
	v_cvt_f32_f16_e32 v9, v5
	v_mov_b32_e32 v12, 0x80
	s_mov_b32 s3, exec_lo
	s_delay_alu instid0(VALU_DEP_2) | instskip(NEXT) | instid1(VALU_DEP_1)
	v_and_b32_e32 v10, 0x7fffffff, v9
	v_cmpx_gt_u32_e32 0x43800000, v10
	s_cbranch_execz .LBB97_1691
; %bb.1686:
	v_cmp_lt_u32_e32 vcc_lo, 0x3bffffff, v10
	s_mov_b32 s6, 0
                                        ; implicit-def: $vgpr10
	s_and_saveexec_b32 s7, vcc_lo
	s_delay_alu instid0(SALU_CYCLE_1)
	s_xor_b32 s7, exec_lo, s7
	s_cbranch_execz .LBB97_2137
; %bb.1687:
	v_bfe_u32 v10, v9, 20, 1
	s_mov_b32 s6, exec_lo
	s_delay_alu instid0(VALU_DEP_1) | instskip(NEXT) | instid1(VALU_DEP_1)
	v_add3_u32 v10, v9, v10, 0x487ffff
	v_lshrrev_b32_e32 v10, 20, v10
	s_or_saveexec_b32 s7, s7
                                        ; implicit-def: $sgpr10
	s_delay_alu instid0(SALU_CYCLE_1)
	s_xor_b32 exec_lo, exec_lo, s7
	s_cbranch_execnz .LBB97_2138
.LBB97_1688:
	s_or_b32 exec_lo, exec_lo, s7
	v_mov_b32_e32 v12, s10
	s_and_saveexec_b32 s7, s6
.LBB97_1689:
	v_lshrrev_b32_e32 v9, 24, v9
	s_delay_alu instid0(VALU_DEP_1)
	v_and_or_b32 v12, 0x80, v9, v10
.LBB97_1690:
	s_or_b32 exec_lo, exec_lo, s7
.LBB97_1691:
	s_delay_alu instid0(SALU_CYCLE_1)
	s_or_b32 exec_lo, exec_lo, s3
	global_store_b8 v[3:4], v12, off
.LBB97_1692:
	s_mov_b32 s3, -1
.LBB97_1693:
	s_mov_b32 s6, 0
.LBB97_1694:
	s_delay_alu instid0(SALU_CYCLE_1)
	s_and_b32 vcc_lo, exec_lo, s6
	s_cbranch_vccz .LBB97_1734
; %bb.1695:
	v_cmp_lt_i16_e32 vcc_lo, 22, v6
	s_mov_b32 s2, -1
	s_cbranch_vccz .LBB97_1727
; %bb.1696:
	v_cmp_gt_i16_e32 vcc_lo, 24, v6
	s_cbranch_vccnz .LBB97_1716
; %bb.1697:
	v_cmp_lt_i16_e32 vcc_lo, 24, v6
	s_cbranch_vccz .LBB97_1705
; %bb.1698:
	v_cvt_f32_f16_e32 v9, v5
	v_mov_b32_e32 v12, 0x80
	s_mov_b32 s2, exec_lo
	s_delay_alu instid0(VALU_DEP_2) | instskip(NEXT) | instid1(VALU_DEP_1)
	v_and_b32_e32 v10, 0x7fffffff, v9
	v_cmpx_gt_u32_e32 0x47800000, v10
	s_cbranch_execz .LBB97_1704
; %bb.1699:
	v_cmp_lt_u32_e32 vcc_lo, 0x37ffffff, v10
	s_mov_b32 s3, 0
                                        ; implicit-def: $vgpr10
	s_and_saveexec_b32 s6, vcc_lo
	s_delay_alu instid0(SALU_CYCLE_1)
	s_xor_b32 s6, exec_lo, s6
	s_cbranch_execz .LBB97_2143
; %bb.1700:
	v_bfe_u32 v10, v9, 21, 1
	s_mov_b32 s3, exec_lo
	s_delay_alu instid0(VALU_DEP_1) | instskip(NEXT) | instid1(VALU_DEP_1)
	v_add3_u32 v10, v9, v10, 0x88fffff
	v_lshrrev_b32_e32 v10, 21, v10
	s_or_saveexec_b32 s6, s6
                                        ; implicit-def: $sgpr7
	s_delay_alu instid0(SALU_CYCLE_1)
	s_xor_b32 exec_lo, exec_lo, s6
	s_cbranch_execnz .LBB97_2144
.LBB97_1701:
	s_or_b32 exec_lo, exec_lo, s6
	v_mov_b32_e32 v12, s7
	s_and_saveexec_b32 s6, s3
.LBB97_1702:
	v_lshrrev_b32_e32 v9, 24, v9
	s_delay_alu instid0(VALU_DEP_1)
	v_and_or_b32 v12, 0x80, v9, v10
.LBB97_1703:
	s_or_b32 exec_lo, exec_lo, s6
.LBB97_1704:
	s_delay_alu instid0(SALU_CYCLE_1)
	s_or_b32 exec_lo, exec_lo, s2
	s_mov_b32 s2, 0
	global_store_b8 v[3:4], v12, off
.LBB97_1705:
	s_and_b32 vcc_lo, exec_lo, s2
	s_cbranch_vccz .LBB97_1715
; %bb.1706:
	v_cvt_f32_f16_e32 v9, v5
	s_mov_b32 s2, exec_lo
                                        ; implicit-def: $vgpr10
	s_delay_alu instid0(VALU_DEP_1) | instskip(NEXT) | instid1(VALU_DEP_1)
	v_and_b32_e32 v12, 0x7fffffff, v9
	v_cmpx_gt_u32_e32 0x43f00000, v12
	s_xor_b32 s2, exec_lo, s2
	s_cbranch_execz .LBB97_1712
; %bb.1707:
	s_mov_b32 s3, exec_lo
                                        ; implicit-def: $vgpr10
	v_cmpx_lt_u32_e32 0x3c7fffff, v12
	s_xor_b32 s3, exec_lo, s3
; %bb.1708:
	v_bfe_u32 v10, v9, 20, 1
	s_delay_alu instid0(VALU_DEP_1) | instskip(NEXT) | instid1(VALU_DEP_1)
	v_add3_u32 v10, v9, v10, 0x407ffff
	v_and_b32_e32 v12, 0xff00000, v10
	v_lshrrev_b32_e32 v10, 20, v10
	s_delay_alu instid0(VALU_DEP_2) | instskip(NEXT) | instid1(VALU_DEP_2)
	v_cmp_ne_u32_e32 vcc_lo, 0x7f00000, v12
	v_cndmask_b32_e32 v10, 0x7e, v10, vcc_lo
; %bb.1709:
	s_and_not1_saveexec_b32 s3, s3
; %bb.1710:
	v_add_f32_e64 v10, 0x46800000, |v9|
; %bb.1711:
	s_or_b32 exec_lo, exec_lo, s3
                                        ; implicit-def: $vgpr12
.LBB97_1712:
	s_and_not1_saveexec_b32 s2, s2
; %bb.1713:
	v_mov_b32_e32 v10, 0x7f
	v_cmp_lt_u32_e32 vcc_lo, 0x7f800000, v12
	s_delay_alu instid0(VALU_DEP_2)
	v_cndmask_b32_e32 v10, 0x7e, v10, vcc_lo
; %bb.1714:
	s_or_b32 exec_lo, exec_lo, s2
	v_lshrrev_b32_e32 v9, 24, v9
	s_delay_alu instid0(VALU_DEP_1)
	v_and_or_b32 v9, 0x80, v9, v10
	global_store_b8 v[3:4], v9, off
.LBB97_1715:
	s_mov_b32 s2, 0
.LBB97_1716:
	s_delay_alu instid0(SALU_CYCLE_1)
	s_and_not1_b32 vcc_lo, exec_lo, s2
	s_cbranch_vccnz .LBB97_1726
; %bb.1717:
	v_cvt_f32_f16_e32 v9, v5
	s_mov_b32 s2, exec_lo
                                        ; implicit-def: $vgpr10
	s_delay_alu instid0(VALU_DEP_1) | instskip(NEXT) | instid1(VALU_DEP_1)
	v_and_b32_e32 v12, 0x7fffffff, v9
	v_cmpx_gt_u32_e32 0x47800000, v12
	s_xor_b32 s2, exec_lo, s2
	s_cbranch_execz .LBB97_1723
; %bb.1718:
	s_mov_b32 s3, exec_lo
                                        ; implicit-def: $vgpr10
	v_cmpx_lt_u32_e32 0x387fffff, v12
	s_xor_b32 s3, exec_lo, s3
; %bb.1719:
	v_bfe_u32 v10, v9, 21, 1
	s_delay_alu instid0(VALU_DEP_1) | instskip(NEXT) | instid1(VALU_DEP_1)
	v_add3_u32 v10, v9, v10, 0x80fffff
	v_lshrrev_b32_e32 v10, 21, v10
; %bb.1720:
	s_and_not1_saveexec_b32 s3, s3
; %bb.1721:
	v_add_f32_e64 v10, 0x43000000, |v9|
; %bb.1722:
	s_or_b32 exec_lo, exec_lo, s3
                                        ; implicit-def: $vgpr12
.LBB97_1723:
	s_and_not1_saveexec_b32 s2, s2
; %bb.1724:
	v_mov_b32_e32 v10, 0x7f
	v_cmp_lt_u32_e32 vcc_lo, 0x7f800000, v12
	s_delay_alu instid0(VALU_DEP_2)
	v_cndmask_b32_e32 v10, 0x7c, v10, vcc_lo
; %bb.1725:
	s_or_b32 exec_lo, exec_lo, s2
	v_lshrrev_b32_e32 v9, 24, v9
	s_delay_alu instid0(VALU_DEP_1)
	v_and_or_b32 v9, 0x80, v9, v10
	global_store_b8 v[3:4], v9, off
.LBB97_1726:
	s_mov_b32 s2, 0
	s_mov_b32 s3, -1
.LBB97_1727:
	s_and_not1_b32 vcc_lo, exec_lo, s2
	s_mov_b32 s2, 0
	s_cbranch_vccnz .LBB97_1734
; %bb.1728:
	v_cmp_lt_i16_e32 vcc_lo, 14, v6
	s_mov_b32 s2, -1
	s_cbranch_vccz .LBB97_1732
; %bb.1729:
	v_cmp_eq_u16_e32 vcc_lo, 15, v6
	s_mov_b32 s0, -1
	s_cbranch_vccz .LBB97_1731
; %bb.1730:
	v_cvt_f32_f16_e32 v9, v5
	v_cmp_o_f16_e32 vcc_lo, v5, v5
	s_mov_b32 s0, 0
	s_mov_b32 s3, -1
	s_delay_alu instid0(VALU_DEP_2) | instskip(NEXT) | instid1(VALU_DEP_1)
	v_bfe_u32 v10, v9, 16, 1
	v_add3_u32 v9, v9, v10, 0x7fff
	s_delay_alu instid0(VALU_DEP_1) | instskip(NEXT) | instid1(VALU_DEP_1)
	v_lshrrev_b32_e32 v9, 16, v9
	v_cndmask_b32_e32 v9, 0x7fc0, v9, vcc_lo
	global_store_b16 v[3:4], v9, off
.LBB97_1731:
	s_mov_b32 s2, 0
.LBB97_1732:
	s_delay_alu instid0(SALU_CYCLE_1)
	s_and_b32 vcc_lo, exec_lo, s2
	s_mov_b32 s2, 0
	s_cbranch_vccz .LBB97_1734
; %bb.1733:
	v_cmp_ne_u16_e64 s0, 11, v6
	s_mov_b32 s2, -1
.LBB97_1734:
	s_delay_alu instid0(VALU_DEP_1)
	s_and_b32 vcc_lo, exec_lo, s0
	s_cbranch_vccnz .LBB97_2141
; %bb.1735:
	s_and_not1_b32 vcc_lo, exec_lo, s2
	s_cbranch_vccnz .LBB97_1737
.LBB97_1736:
	v_cmp_neq_f16_e32 vcc_lo, 0, v5
	s_mov_b32 s3, -1
	v_cndmask_b32_e64 v9, 0, 1, vcc_lo
	global_store_b8 v[3:4], v9, off
.LBB97_1737:
	s_mov_b32 s0, 0
.LBB97_1738:
	s_delay_alu instid0(SALU_CYCLE_1)
	s_and_b32 vcc_lo, exec_lo, s0
	s_cbranch_vccz .LBB97_1777
; %bb.1739:
	v_cmp_gt_i16_e32 vcc_lo, 5, v6
	s_mov_b32 s0, -1
	s_cbranch_vccnz .LBB97_1760
; %bb.1740:
	v_cmp_gt_i16_e32 vcc_lo, 8, v6
	s_cbranch_vccnz .LBB97_1750
; %bb.1741:
	v_cmp_gt_i16_e32 vcc_lo, 9, v6
	s_cbranch_vccnz .LBB97_1747
; %bb.1742:
	v_cmp_lt_i16_e32 vcc_lo, 9, v6
	s_cbranch_vccz .LBB97_1744
; %bb.1743:
	v_cvt_f32_f16_e32 v9, v5
	v_mov_b32_e32 v14, 0
	s_mov_b32 s0, 0
	s_delay_alu instid0(VALU_DEP_2) | instskip(NEXT) | instid1(VALU_DEP_2)
	v_cvt_f64_f32_e32 v[12:13], v9
	v_mov_b32_e32 v15, v14
	global_store_b128 v[3:4], v[12:15], off
.LBB97_1744:
	s_and_not1_b32 vcc_lo, exec_lo, s0
	s_cbranch_vccnz .LBB97_1746
; %bb.1745:
	v_cvt_f32_f16_e32 v9, v5
	v_mov_b32_e32 v10, 0
	global_store_b64 v[3:4], v[9:10], off
.LBB97_1746:
	s_mov_b32 s0, 0
.LBB97_1747:
	s_delay_alu instid0(SALU_CYCLE_1)
	s_and_not1_b32 vcc_lo, exec_lo, s0
	s_cbranch_vccnz .LBB97_1749
; %bb.1748:
	v_and_b32_e32 v9, 0xffff, v5
	global_store_b32 v[3:4], v9, off
.LBB97_1749:
	s_mov_b32 s0, 0
.LBB97_1750:
	s_delay_alu instid0(SALU_CYCLE_1)
	s_and_not1_b32 vcc_lo, exec_lo, s0
	s_cbranch_vccnz .LBB97_1759
; %bb.1751:
	v_cmp_gt_i16_e32 vcc_lo, 6, v6
	s_mov_b32 s0, -1
	s_cbranch_vccnz .LBB97_1757
; %bb.1752:
	v_cmp_lt_i16_e32 vcc_lo, 6, v6
	s_cbranch_vccz .LBB97_1754
; %bb.1753:
	v_cvt_f32_f16_e32 v9, v5
	s_mov_b32 s0, 0
	s_delay_alu instid0(VALU_DEP_1)
	v_cvt_f64_f32_e32 v[9:10], v9
	global_store_b64 v[3:4], v[9:10], off
.LBB97_1754:
	s_and_not1_b32 vcc_lo, exec_lo, s0
	s_cbranch_vccnz .LBB97_1756
; %bb.1755:
	v_cvt_f32_f16_e32 v9, v5
	global_store_b32 v[3:4], v9, off
.LBB97_1756:
	s_mov_b32 s0, 0
.LBB97_1757:
	s_delay_alu instid0(SALU_CYCLE_1)
	s_and_not1_b32 vcc_lo, exec_lo, s0
	s_cbranch_vccnz .LBB97_1759
; %bb.1758:
	global_store_b16 v[3:4], v5, off
.LBB97_1759:
	s_mov_b32 s0, 0
.LBB97_1760:
	s_delay_alu instid0(SALU_CYCLE_1)
	s_and_not1_b32 vcc_lo, exec_lo, s0
	s_cbranch_vccnz .LBB97_1776
; %bb.1761:
	v_cmp_gt_i16_e32 vcc_lo, 2, v6
	s_mov_b32 s0, -1
	s_cbranch_vccnz .LBB97_1771
; %bb.1762:
	v_cmp_gt_i16_e32 vcc_lo, 3, v6
	s_cbranch_vccnz .LBB97_1768
; %bb.1763:
	v_cmp_lt_i16_e32 vcc_lo, 3, v6
	s_cbranch_vccz .LBB97_1765
; %bb.1764:
	v_cvt_f32_f16_e32 v9, v5
	s_mov_b32 s0, 0
	s_delay_alu instid0(VALU_DEP_1) | instskip(NEXT) | instid1(VALU_DEP_1)
	v_cvt_i32_f32_e32 v9, v9
	v_ashrrev_i32_e32 v10, 31, v9
	global_store_b64 v[3:4], v[9:10], off
.LBB97_1765:
	s_and_not1_b32 vcc_lo, exec_lo, s0
	s_cbranch_vccnz .LBB97_1767
; %bb.1766:
	v_cvt_f32_f16_e32 v9, v5
	s_delay_alu instid0(VALU_DEP_1)
	v_cvt_i32_f32_e32 v9, v9
	global_store_b32 v[3:4], v9, off
.LBB97_1767:
	s_mov_b32 s0, 0
.LBB97_1768:
	s_delay_alu instid0(SALU_CYCLE_1)
	s_and_not1_b32 vcc_lo, exec_lo, s0
	s_cbranch_vccnz .LBB97_1770
; %bb.1769:
	v_cvt_i16_f16_e32 v9, v5
	global_store_b16 v[3:4], v9, off
.LBB97_1770:
	s_mov_b32 s0, 0
.LBB97_1771:
	s_delay_alu instid0(SALU_CYCLE_1)
	s_and_not1_b32 vcc_lo, exec_lo, s0
	s_cbranch_vccnz .LBB97_1776
; %bb.1772:
	v_cmp_lt_i16_e32 vcc_lo, 0, v6
	s_mov_b32 s0, -1
	s_cbranch_vccz .LBB97_1774
; %bb.1773:
	v_cvt_i16_f16_e32 v9, v5
	s_mov_b32 s0, 0
	global_store_b8 v[3:4], v9, off
.LBB97_1774:
	s_and_not1_b32 vcc_lo, exec_lo, s0
	s_cbranch_vccnz .LBB97_1776
; %bb.1775:
	v_cvt_f32_f16_e32 v5, v5
	s_delay_alu instid0(VALU_DEP_1)
	v_cvt_i32_f32_e32 v5, v5
	global_store_b8 v[3:4], v5, off
.LBB97_1776:
	s_mov_b32 s3, -1
.LBB97_1777:
	s_delay_alu instid0(SALU_CYCLE_1)
	s_and_not1_b32 vcc_lo, exec_lo, s3
	s_cbranch_vccnz .LBB97_2090
; %bb.1778:
	s_waitcnt vmcnt(0)
	v_cvt_f32_f16_e32 v3, v8
	s_mov_b32 s0, 0x3fb8aa3b
	s_mov_b32 s3, 0
	s_delay_alu instid0(VALU_DEP_1) | instskip(SKIP_1) | instid1(VALU_DEP_2)
	v_mul_f32_e32 v4, 0x3fb8aa3b, v3
	v_cmp_ngt_f32_e32 vcc_lo, 0xc2ce8ed0, v3
	v_rndne_f32_e32 v5, v4
	v_fma_mix_f32 v9, v8, s0, -v4 op_sel_hi:[1,0,0]
	s_mov_b32 s0, 0x32a5705f
	s_delay_alu instid0(VALU_DEP_2) | instskip(NEXT) | instid1(VALU_DEP_2)
	v_sub_f32_e32 v4, v4, v5
	v_fma_mix_f32 v8, v8, s0, v9 op_sel_hi:[1,0,0]
	v_cvt_i32_f32_e32 v5, v5
	v_cmp_nlt_f32_e64 s0, 0x42b17218, v3
	s_delay_alu instid0(VALU_DEP_3) | instskip(NEXT) | instid1(VALU_DEP_1)
	v_add_f32_e32 v4, v4, v8
	v_exp_f32_e32 v4, v4
	s_waitcnt_depctr 0xfff
	v_ldexp_f32 v4, v4, v5
	s_delay_alu instid0(VALU_DEP_1) | instskip(SKIP_1) | instid1(VALU_DEP_2)
	v_cndmask_b32_e32 v4, 0, v4, vcc_lo
	v_cmp_gt_i16_e32 vcc_lo, 11, v6
	v_cndmask_b32_e64 v4, 0x7f800000, v4, s0
	v_add_co_u32 v2, s0, s4, v2
	s_delay_alu instid0(VALU_DEP_1) | instskip(NEXT) | instid1(VALU_DEP_3)
	v_add_co_ci_u32_e64 v3, null, s5, 0, s0
	v_cvt_f16_f32_e32 v4, v4
	s_mov_b32 s0, -1
	s_cbranch_vccnz .LBB97_1856
; %bb.1779:
	v_cmp_lt_i16_e32 vcc_lo, 25, v6
	s_mov_b32 s6, -1
	s_mov_b32 s2, 0
	s_mov_b32 s0, 0
	s_cbranch_vccz .LBB97_1812
; %bb.1780:
	v_cmp_lt_i16_e32 vcc_lo, 28, v6
	s_cbranch_vccz .LBB97_1795
; %bb.1781:
	v_cmp_lt_i16_e32 vcc_lo, 43, v6
	;; [unrolled: 3-line block ×3, first 2 shown]
	s_cbranch_vccz .LBB97_1785
; %bb.1783:
	v_cmp_eq_u16_e32 vcc_lo, 46, v6
	s_mov_b32 s0, -1
	s_mov_b32 s6, 0
	s_cbranch_vccz .LBB97_1785
; %bb.1784:
	v_cvt_f32_f16_e32 v5, v4
	v_cmp_o_f16_e32 vcc_lo, v4, v4
	s_mov_b32 s0, 0
	s_mov_b32 s3, -1
	s_delay_alu instid0(VALU_DEP_2) | instskip(NEXT) | instid1(VALU_DEP_1)
	v_bfe_u32 v8, v5, 16, 1
	v_add3_u32 v5, v5, v8, 0x7fff
	s_delay_alu instid0(VALU_DEP_1) | instskip(NEXT) | instid1(VALU_DEP_1)
	v_lshrrev_b32_e32 v5, 16, v5
	v_cndmask_b32_e32 v5, 0x7fc0, v5, vcc_lo
	global_store_b32 v[2:3], v5, off
.LBB97_1785:
	s_and_b32 vcc_lo, exec_lo, s6
	s_cbranch_vccz .LBB97_1790
; %bb.1786:
	v_cmp_eq_u16_e32 vcc_lo, 44, v6
	s_mov_b32 s0, -1
	s_cbranch_vccz .LBB97_1790
; %bb.1787:
	v_cvt_f32_f16_e32 v5, v4
	v_mov_b32_e32 v8, 0xff
	s_mov_b32 s3, exec_lo
	s_delay_alu instid0(VALU_DEP_2) | instskip(NEXT) | instid1(VALU_DEP_1)
	v_bfe_u32 v9, v5, 23, 8
	v_cmpx_ne_u32_e32 0xff, v9
; %bb.1788:
	v_and_b32_e32 v8, 0x400000, v5
	v_and_or_b32 v9, 0x3fffff, v5, v9
	v_lshrrev_b32_e32 v5, 23, v5
	s_delay_alu instid0(VALU_DEP_3) | instskip(NEXT) | instid1(VALU_DEP_3)
	v_cmp_ne_u32_e32 vcc_lo, 0, v8
	v_cmp_ne_u32_e64 s0, 0, v9
	s_delay_alu instid0(VALU_DEP_1) | instskip(NEXT) | instid1(SALU_CYCLE_1)
	s_and_b32 s0, vcc_lo, s0
	v_cndmask_b32_e64 v8, 0, 1, s0
	s_delay_alu instid0(VALU_DEP_1)
	v_add_nc_u32_e32 v8, v5, v8
; %bb.1789:
	s_or_b32 exec_lo, exec_lo, s3
	s_mov_b32 s0, 0
	s_mov_b32 s3, -1
	global_store_b8 v[2:3], v8, off
.LBB97_1790:
	s_mov_b32 s6, 0
.LBB97_1791:
	s_delay_alu instid0(SALU_CYCLE_1)
	s_and_b32 vcc_lo, exec_lo, s6
	s_cbranch_vccz .LBB97_1794
; %bb.1792:
	v_cmp_eq_u16_e32 vcc_lo, 29, v6
	s_mov_b32 s0, -1
	s_cbranch_vccz .LBB97_1794
; %bb.1793:
	v_cvt_f32_f16_e32 v5, v4
	v_mov_b32_e32 v9, 0
	s_mov_b32 s0, 0
	s_mov_b32 s3, -1
	s_delay_alu instid0(VALU_DEP_2)
	v_cvt_u32_f32_e32 v8, v5
	global_store_b64 v[2:3], v[8:9], off
.LBB97_1794:
	s_mov_b32 s6, 0
.LBB97_1795:
	s_delay_alu instid0(SALU_CYCLE_1)
	s_and_b32 vcc_lo, exec_lo, s6
	s_cbranch_vccz .LBB97_1811
; %bb.1796:
	v_cmp_gt_i16_e32 vcc_lo, 27, v6
	s_mov_b32 s3, -1
	s_cbranch_vccnz .LBB97_1802
; %bb.1797:
	v_cmp_lt_i16_e32 vcc_lo, 27, v6
	s_cbranch_vccz .LBB97_1799
; %bb.1798:
	v_cvt_f32_f16_e32 v5, v4
	s_mov_b32 s3, 0
	s_delay_alu instid0(VALU_DEP_1)
	v_cvt_u32_f32_e32 v5, v5
	global_store_b32 v[2:3], v5, off
.LBB97_1799:
	s_and_not1_b32 vcc_lo, exec_lo, s3
	s_cbranch_vccnz .LBB97_1801
; %bb.1800:
	v_cvt_u16_f16_e32 v5, v4
	global_store_b16 v[2:3], v5, off
.LBB97_1801:
	s_mov_b32 s3, 0
.LBB97_1802:
	s_delay_alu instid0(SALU_CYCLE_1)
	s_and_not1_b32 vcc_lo, exec_lo, s3
	s_cbranch_vccnz .LBB97_1810
; %bb.1803:
	v_cvt_f32_f16_e32 v5, v4
	v_mov_b32_e32 v9, 0x80
	s_mov_b32 s3, exec_lo
	s_delay_alu instid0(VALU_DEP_2) | instskip(NEXT) | instid1(VALU_DEP_1)
	v_and_b32_e32 v8, 0x7fffffff, v5
	v_cmpx_gt_u32_e32 0x43800000, v8
	s_cbranch_execz .LBB97_1809
; %bb.1804:
	v_cmp_lt_u32_e32 vcc_lo, 0x3bffffff, v8
	s_mov_b32 s6, 0
                                        ; implicit-def: $vgpr8
	s_and_saveexec_b32 s7, vcc_lo
	s_delay_alu instid0(SALU_CYCLE_1)
	s_xor_b32 s7, exec_lo, s7
	s_cbranch_execz .LBB97_2145
; %bb.1805:
	v_bfe_u32 v8, v5, 20, 1
	s_mov_b32 s6, exec_lo
	s_delay_alu instid0(VALU_DEP_1) | instskip(NEXT) | instid1(VALU_DEP_1)
	v_add3_u32 v8, v5, v8, 0x487ffff
	v_lshrrev_b32_e32 v8, 20, v8
	s_or_saveexec_b32 s7, s7
                                        ; implicit-def: $sgpr10
	s_delay_alu instid0(SALU_CYCLE_1)
	s_xor_b32 exec_lo, exec_lo, s7
	s_cbranch_execnz .LBB97_2146
.LBB97_1806:
	s_or_b32 exec_lo, exec_lo, s7
	v_mov_b32_e32 v9, s10
	s_and_saveexec_b32 s7, s6
.LBB97_1807:
	v_lshrrev_b32_e32 v5, 24, v5
	s_delay_alu instid0(VALU_DEP_1)
	v_and_or_b32 v9, 0x80, v5, v8
.LBB97_1808:
	s_or_b32 exec_lo, exec_lo, s7
.LBB97_1809:
	s_delay_alu instid0(SALU_CYCLE_1)
	s_or_b32 exec_lo, exec_lo, s3
	global_store_b8 v[2:3], v9, off
.LBB97_1810:
	s_mov_b32 s3, -1
.LBB97_1811:
	s_mov_b32 s6, 0
.LBB97_1812:
	s_delay_alu instid0(SALU_CYCLE_1)
	s_and_b32 vcc_lo, exec_lo, s6
	s_cbranch_vccz .LBB97_1852
; %bb.1813:
	v_cmp_lt_i16_e32 vcc_lo, 22, v6
	s_mov_b32 s2, -1
	s_cbranch_vccz .LBB97_1845
; %bb.1814:
	v_cmp_gt_i16_e32 vcc_lo, 24, v6
	s_cbranch_vccnz .LBB97_1834
; %bb.1815:
	v_cmp_lt_i16_e32 vcc_lo, 24, v6
	s_cbranch_vccz .LBB97_1823
; %bb.1816:
	v_cvt_f32_f16_e32 v5, v4
	v_mov_b32_e32 v9, 0x80
	s_mov_b32 s2, exec_lo
	s_delay_alu instid0(VALU_DEP_2) | instskip(NEXT) | instid1(VALU_DEP_1)
	v_and_b32_e32 v8, 0x7fffffff, v5
	v_cmpx_gt_u32_e32 0x47800000, v8
	s_cbranch_execz .LBB97_1822
; %bb.1817:
	v_cmp_lt_u32_e32 vcc_lo, 0x37ffffff, v8
	s_mov_b32 s3, 0
                                        ; implicit-def: $vgpr8
	s_and_saveexec_b32 s6, vcc_lo
	s_delay_alu instid0(SALU_CYCLE_1)
	s_xor_b32 s6, exec_lo, s6
	s_cbranch_execz .LBB97_2151
; %bb.1818:
	v_bfe_u32 v8, v5, 21, 1
	s_mov_b32 s3, exec_lo
	s_delay_alu instid0(VALU_DEP_1) | instskip(NEXT) | instid1(VALU_DEP_1)
	v_add3_u32 v8, v5, v8, 0x88fffff
	v_lshrrev_b32_e32 v8, 21, v8
	s_or_saveexec_b32 s6, s6
                                        ; implicit-def: $sgpr7
	s_delay_alu instid0(SALU_CYCLE_1)
	s_xor_b32 exec_lo, exec_lo, s6
	s_cbranch_execnz .LBB97_2152
.LBB97_1819:
	s_or_b32 exec_lo, exec_lo, s6
	v_mov_b32_e32 v9, s7
	s_and_saveexec_b32 s6, s3
.LBB97_1820:
	v_lshrrev_b32_e32 v5, 24, v5
	s_delay_alu instid0(VALU_DEP_1)
	v_and_or_b32 v9, 0x80, v5, v8
.LBB97_1821:
	s_or_b32 exec_lo, exec_lo, s6
.LBB97_1822:
	s_delay_alu instid0(SALU_CYCLE_1)
	s_or_b32 exec_lo, exec_lo, s2
	s_mov_b32 s2, 0
	global_store_b8 v[2:3], v9, off
.LBB97_1823:
	s_and_b32 vcc_lo, exec_lo, s2
	s_cbranch_vccz .LBB97_1833
; %bb.1824:
	v_cvt_f32_f16_e32 v5, v4
	s_mov_b32 s2, exec_lo
                                        ; implicit-def: $vgpr8
	s_delay_alu instid0(VALU_DEP_1) | instskip(NEXT) | instid1(VALU_DEP_1)
	v_and_b32_e32 v9, 0x7fffffff, v5
	v_cmpx_gt_u32_e32 0x43f00000, v9
	s_xor_b32 s2, exec_lo, s2
	s_cbranch_execz .LBB97_1830
; %bb.1825:
	s_mov_b32 s3, exec_lo
                                        ; implicit-def: $vgpr8
	v_cmpx_lt_u32_e32 0x3c7fffff, v9
	s_xor_b32 s3, exec_lo, s3
; %bb.1826:
	v_bfe_u32 v8, v5, 20, 1
	s_delay_alu instid0(VALU_DEP_1) | instskip(NEXT) | instid1(VALU_DEP_1)
	v_add3_u32 v8, v5, v8, 0x407ffff
	v_and_b32_e32 v9, 0xff00000, v8
	v_lshrrev_b32_e32 v8, 20, v8
	s_delay_alu instid0(VALU_DEP_2) | instskip(NEXT) | instid1(VALU_DEP_2)
	v_cmp_ne_u32_e32 vcc_lo, 0x7f00000, v9
	v_cndmask_b32_e32 v8, 0x7e, v8, vcc_lo
; %bb.1827:
	s_and_not1_saveexec_b32 s3, s3
; %bb.1828:
	v_add_f32_e64 v8, 0x46800000, |v5|
; %bb.1829:
	s_or_b32 exec_lo, exec_lo, s3
                                        ; implicit-def: $vgpr9
.LBB97_1830:
	s_and_not1_saveexec_b32 s2, s2
; %bb.1831:
	v_mov_b32_e32 v8, 0x7f
	v_cmp_lt_u32_e32 vcc_lo, 0x7f800000, v9
	s_delay_alu instid0(VALU_DEP_2)
	v_cndmask_b32_e32 v8, 0x7e, v8, vcc_lo
; %bb.1832:
	s_or_b32 exec_lo, exec_lo, s2
	v_lshrrev_b32_e32 v5, 24, v5
	s_delay_alu instid0(VALU_DEP_1)
	v_and_or_b32 v5, 0x80, v5, v8
	global_store_b8 v[2:3], v5, off
.LBB97_1833:
	s_mov_b32 s2, 0
.LBB97_1834:
	s_delay_alu instid0(SALU_CYCLE_1)
	s_and_not1_b32 vcc_lo, exec_lo, s2
	s_cbranch_vccnz .LBB97_1844
; %bb.1835:
	v_cvt_f32_f16_e32 v5, v4
	s_mov_b32 s2, exec_lo
                                        ; implicit-def: $vgpr8
	s_delay_alu instid0(VALU_DEP_1) | instskip(NEXT) | instid1(VALU_DEP_1)
	v_and_b32_e32 v9, 0x7fffffff, v5
	v_cmpx_gt_u32_e32 0x47800000, v9
	s_xor_b32 s2, exec_lo, s2
	s_cbranch_execz .LBB97_1841
; %bb.1836:
	s_mov_b32 s3, exec_lo
                                        ; implicit-def: $vgpr8
	v_cmpx_lt_u32_e32 0x387fffff, v9
	s_xor_b32 s3, exec_lo, s3
; %bb.1837:
	v_bfe_u32 v8, v5, 21, 1
	s_delay_alu instid0(VALU_DEP_1) | instskip(NEXT) | instid1(VALU_DEP_1)
	v_add3_u32 v8, v5, v8, 0x80fffff
	v_lshrrev_b32_e32 v8, 21, v8
; %bb.1838:
	s_and_not1_saveexec_b32 s3, s3
; %bb.1839:
	v_add_f32_e64 v8, 0x43000000, |v5|
; %bb.1840:
	s_or_b32 exec_lo, exec_lo, s3
                                        ; implicit-def: $vgpr9
.LBB97_1841:
	s_and_not1_saveexec_b32 s2, s2
; %bb.1842:
	v_mov_b32_e32 v8, 0x7f
	v_cmp_lt_u32_e32 vcc_lo, 0x7f800000, v9
	s_delay_alu instid0(VALU_DEP_2)
	v_cndmask_b32_e32 v8, 0x7c, v8, vcc_lo
; %bb.1843:
	s_or_b32 exec_lo, exec_lo, s2
	v_lshrrev_b32_e32 v5, 24, v5
	s_delay_alu instid0(VALU_DEP_1)
	v_and_or_b32 v5, 0x80, v5, v8
	global_store_b8 v[2:3], v5, off
.LBB97_1844:
	s_mov_b32 s2, 0
	s_mov_b32 s3, -1
.LBB97_1845:
	s_and_not1_b32 vcc_lo, exec_lo, s2
	s_mov_b32 s2, 0
	s_cbranch_vccnz .LBB97_1852
; %bb.1846:
	v_cmp_lt_i16_e32 vcc_lo, 14, v6
	s_mov_b32 s2, -1
	s_cbranch_vccz .LBB97_1850
; %bb.1847:
	v_cmp_eq_u16_e32 vcc_lo, 15, v6
	s_mov_b32 s0, -1
	s_cbranch_vccz .LBB97_1849
; %bb.1848:
	v_cvt_f32_f16_e32 v5, v4
	v_cmp_o_f16_e32 vcc_lo, v4, v4
	s_mov_b32 s0, 0
	s_mov_b32 s3, -1
	s_delay_alu instid0(VALU_DEP_2) | instskip(NEXT) | instid1(VALU_DEP_1)
	v_bfe_u32 v8, v5, 16, 1
	v_add3_u32 v5, v5, v8, 0x7fff
	s_delay_alu instid0(VALU_DEP_1) | instskip(NEXT) | instid1(VALU_DEP_1)
	v_lshrrev_b32_e32 v5, 16, v5
	v_cndmask_b32_e32 v5, 0x7fc0, v5, vcc_lo
	global_store_b16 v[2:3], v5, off
.LBB97_1849:
	s_mov_b32 s2, 0
.LBB97_1850:
	s_delay_alu instid0(SALU_CYCLE_1)
	s_and_b32 vcc_lo, exec_lo, s2
	s_mov_b32 s2, 0
	s_cbranch_vccz .LBB97_1852
; %bb.1851:
	v_cmp_ne_u16_e64 s0, 11, v6
	s_mov_b32 s2, -1
.LBB97_1852:
	s_delay_alu instid0(VALU_DEP_1)
	s_and_b32 vcc_lo, exec_lo, s0
	s_cbranch_vccnz .LBB97_2149
; %bb.1853:
	s_and_not1_b32 vcc_lo, exec_lo, s2
	s_cbranch_vccnz .LBB97_1855
.LBB97_1854:
	v_cmp_neq_f16_e32 vcc_lo, 0, v4
	s_mov_b32 s3, -1
	v_cndmask_b32_e64 v5, 0, 1, vcc_lo
	global_store_b8 v[2:3], v5, off
.LBB97_1855:
	s_mov_b32 s0, 0
.LBB97_1856:
	s_delay_alu instid0(SALU_CYCLE_1)
	s_and_b32 vcc_lo, exec_lo, s0
	s_cbranch_vccz .LBB97_1895
; %bb.1857:
	v_cmp_gt_i16_e32 vcc_lo, 5, v6
	s_mov_b32 s0, -1
	s_cbranch_vccnz .LBB97_1878
; %bb.1858:
	v_cmp_gt_i16_e32 vcc_lo, 8, v6
	s_cbranch_vccnz .LBB97_1868
; %bb.1859:
	v_cmp_gt_i16_e32 vcc_lo, 9, v6
	s_cbranch_vccnz .LBB97_1865
; %bb.1860:
	v_cmp_lt_i16_e32 vcc_lo, 9, v6
	s_cbranch_vccz .LBB97_1862
; %bb.1861:
	v_cvt_f32_f16_e32 v5, v4
	v_mov_b32_e32 v14, 0
	s_mov_b32 s0, 0
	s_delay_alu instid0(VALU_DEP_2) | instskip(NEXT) | instid1(VALU_DEP_2)
	v_cvt_f64_f32_e32 v[12:13], v5
	v_mov_b32_e32 v15, v14
	global_store_b128 v[2:3], v[12:15], off
.LBB97_1862:
	s_and_not1_b32 vcc_lo, exec_lo, s0
	s_cbranch_vccnz .LBB97_1864
; %bb.1863:
	v_cvt_f32_f16_e32 v8, v4
	v_mov_b32_e32 v9, 0
	global_store_b64 v[2:3], v[8:9], off
.LBB97_1864:
	s_mov_b32 s0, 0
.LBB97_1865:
	s_delay_alu instid0(SALU_CYCLE_1)
	s_and_not1_b32 vcc_lo, exec_lo, s0
	s_cbranch_vccnz .LBB97_1867
; %bb.1866:
	v_and_b32_e32 v5, 0xffff, v4
	global_store_b32 v[2:3], v5, off
.LBB97_1867:
	s_mov_b32 s0, 0
.LBB97_1868:
	s_delay_alu instid0(SALU_CYCLE_1)
	s_and_not1_b32 vcc_lo, exec_lo, s0
	s_cbranch_vccnz .LBB97_1877
; %bb.1869:
	v_cmp_gt_i16_e32 vcc_lo, 6, v6
	s_mov_b32 s0, -1
	s_cbranch_vccnz .LBB97_1875
; %bb.1870:
	v_cmp_lt_i16_e32 vcc_lo, 6, v6
	s_cbranch_vccz .LBB97_1872
; %bb.1871:
	v_cvt_f32_f16_e32 v5, v4
	s_mov_b32 s0, 0
	s_delay_alu instid0(VALU_DEP_1)
	v_cvt_f64_f32_e32 v[8:9], v5
	global_store_b64 v[2:3], v[8:9], off
.LBB97_1872:
	s_and_not1_b32 vcc_lo, exec_lo, s0
	s_cbranch_vccnz .LBB97_1874
; %bb.1873:
	v_cvt_f32_f16_e32 v5, v4
	global_store_b32 v[2:3], v5, off
.LBB97_1874:
	s_mov_b32 s0, 0
.LBB97_1875:
	s_delay_alu instid0(SALU_CYCLE_1)
	s_and_not1_b32 vcc_lo, exec_lo, s0
	s_cbranch_vccnz .LBB97_1877
; %bb.1876:
	global_store_b16 v[2:3], v4, off
.LBB97_1877:
	s_mov_b32 s0, 0
.LBB97_1878:
	s_delay_alu instid0(SALU_CYCLE_1)
	s_and_not1_b32 vcc_lo, exec_lo, s0
	s_cbranch_vccnz .LBB97_1894
; %bb.1879:
	v_cmp_gt_i16_e32 vcc_lo, 2, v6
	s_mov_b32 s0, -1
	s_cbranch_vccnz .LBB97_1889
; %bb.1880:
	v_cmp_gt_i16_e32 vcc_lo, 3, v6
	s_cbranch_vccnz .LBB97_1886
; %bb.1881:
	v_cmp_lt_i16_e32 vcc_lo, 3, v6
	s_cbranch_vccz .LBB97_1883
; %bb.1882:
	v_cvt_f32_f16_e32 v5, v4
	s_mov_b32 s0, 0
	s_delay_alu instid0(VALU_DEP_1) | instskip(NEXT) | instid1(VALU_DEP_1)
	v_cvt_i32_f32_e32 v8, v5
	v_ashrrev_i32_e32 v9, 31, v8
	global_store_b64 v[2:3], v[8:9], off
.LBB97_1883:
	s_and_not1_b32 vcc_lo, exec_lo, s0
	s_cbranch_vccnz .LBB97_1885
; %bb.1884:
	v_cvt_f32_f16_e32 v5, v4
	s_delay_alu instid0(VALU_DEP_1)
	v_cvt_i32_f32_e32 v5, v5
	global_store_b32 v[2:3], v5, off
.LBB97_1885:
	s_mov_b32 s0, 0
.LBB97_1886:
	s_delay_alu instid0(SALU_CYCLE_1)
	s_and_not1_b32 vcc_lo, exec_lo, s0
	s_cbranch_vccnz .LBB97_1888
; %bb.1887:
	v_cvt_i16_f16_e32 v5, v4
	global_store_b16 v[2:3], v5, off
.LBB97_1888:
	s_mov_b32 s0, 0
.LBB97_1889:
	s_delay_alu instid0(SALU_CYCLE_1)
	s_and_not1_b32 vcc_lo, exec_lo, s0
	s_cbranch_vccnz .LBB97_1894
; %bb.1890:
	v_cmp_lt_i16_e32 vcc_lo, 0, v6
	s_mov_b32 s0, -1
	s_cbranch_vccz .LBB97_1892
; %bb.1891:
	v_cvt_i16_f16_e32 v5, v4
	s_mov_b32 s0, 0
	global_store_b8 v[2:3], v5, off
.LBB97_1892:
	s_and_not1_b32 vcc_lo, exec_lo, s0
	s_cbranch_vccnz .LBB97_1894
; %bb.1893:
	v_cvt_f32_f16_e32 v4, v4
	s_delay_alu instid0(VALU_DEP_1)
	v_cvt_i32_f32_e32 v4, v4
	global_store_b8 v[2:3], v4, off
.LBB97_1894:
	s_mov_b32 s3, -1
.LBB97_1895:
	s_delay_alu instid0(SALU_CYCLE_1)
	s_and_not1_b32 vcc_lo, exec_lo, s3
	s_cbranch_vccnz .LBB97_2090
; %bb.1896:
	v_cvt_f32_f16_e32 v2, v7
	s_mov_b32 s0, 0x3fb8aa3b
	s_mov_b32 s3, 0
	s_delay_alu instid0(VALU_DEP_1) | instskip(SKIP_1) | instid1(VALU_DEP_2)
	v_mul_f32_e32 v3, 0x3fb8aa3b, v2
	v_cmp_ngt_f32_e32 vcc_lo, 0xc2ce8ed0, v2
	v_rndne_f32_e32 v4, v3
	v_fma_mix_f32 v5, v7, s0, -v3 op_sel_hi:[1,0,0]
	s_mov_b32 s0, 0x32a5705f
	s_delay_alu instid0(VALU_DEP_2) | instskip(NEXT) | instid1(VALU_DEP_2)
	v_sub_f32_e32 v3, v3, v4
	v_fma_mix_f32 v5, v7, s0, v5 op_sel_hi:[1,0,0]
	v_cvt_i32_f32_e32 v4, v4
	v_cmp_nlt_f32_e64 s0, 0x42b17218, v2
	s_delay_alu instid0(VALU_DEP_3) | instskip(NEXT) | instid1(VALU_DEP_1)
	v_add_f32_e32 v3, v3, v5
	v_exp_f32_e32 v3, v3
	s_waitcnt_depctr 0xfff
	v_ldexp_f32 v3, v3, v4
	s_delay_alu instid0(VALU_DEP_1) | instskip(SKIP_1) | instid1(VALU_DEP_2)
	v_cndmask_b32_e32 v3, 0, v3, vcc_lo
	v_cmp_gt_i16_e32 vcc_lo, 11, v6
	v_cndmask_b32_e64 v3, 0x7f800000, v3, s0
	v_add_co_u32 v1, s0, s4, v1
	s_delay_alu instid0(VALU_DEP_1) | instskip(NEXT) | instid1(VALU_DEP_3)
	v_add_co_ci_u32_e64 v2, null, s5, 0, s0
	v_cvt_f16_f32_e32 v3, v3
	s_mov_b32 s0, -1
	s_cbranch_vccnz .LBB97_1974
; %bb.1897:
	v_cmp_lt_i16_e32 vcc_lo, 25, v6
	s_mov_b32 s6, -1
	s_mov_b32 s2, 0
	s_mov_b32 s0, 0
	s_cbranch_vccz .LBB97_1930
; %bb.1898:
	v_cmp_lt_i16_e32 vcc_lo, 28, v6
	s_cbranch_vccz .LBB97_1913
; %bb.1899:
	v_cmp_lt_i16_e32 vcc_lo, 43, v6
	s_cbranch_vccz .LBB97_1909
; %bb.1900:
	v_cmp_lt_i16_e32 vcc_lo, 45, v6
	s_cbranch_vccz .LBB97_1903
; %bb.1901:
	v_cmp_eq_u16_e32 vcc_lo, 46, v6
	s_mov_b32 s0, -1
	s_mov_b32 s6, 0
	s_cbranch_vccz .LBB97_1903
; %bb.1902:
	v_cvt_f32_f16_e32 v4, v3
	v_cmp_o_f16_e32 vcc_lo, v3, v3
	s_mov_b32 s0, 0
	s_mov_b32 s3, -1
	s_delay_alu instid0(VALU_DEP_2) | instskip(NEXT) | instid1(VALU_DEP_1)
	v_bfe_u32 v5, v4, 16, 1
	v_add3_u32 v4, v4, v5, 0x7fff
	s_delay_alu instid0(VALU_DEP_1) | instskip(NEXT) | instid1(VALU_DEP_1)
	v_lshrrev_b32_e32 v4, 16, v4
	v_cndmask_b32_e32 v4, 0x7fc0, v4, vcc_lo
	global_store_b32 v[1:2], v4, off
.LBB97_1903:
	s_and_b32 vcc_lo, exec_lo, s6
	s_cbranch_vccz .LBB97_1908
; %bb.1904:
	v_cmp_eq_u16_e32 vcc_lo, 44, v6
	s_mov_b32 s0, -1
	s_cbranch_vccz .LBB97_1908
; %bb.1905:
	v_cvt_f32_f16_e32 v4, v3
	v_mov_b32_e32 v5, 0xff
	s_mov_b32 s3, exec_lo
	s_delay_alu instid0(VALU_DEP_2) | instskip(NEXT) | instid1(VALU_DEP_1)
	v_bfe_u32 v7, v4, 23, 8
	v_cmpx_ne_u32_e32 0xff, v7
; %bb.1906:
	v_and_b32_e32 v5, 0x400000, v4
	v_and_or_b32 v7, 0x3fffff, v4, v7
	v_lshrrev_b32_e32 v4, 23, v4
	s_delay_alu instid0(VALU_DEP_3) | instskip(NEXT) | instid1(VALU_DEP_3)
	v_cmp_ne_u32_e32 vcc_lo, 0, v5
	v_cmp_ne_u32_e64 s0, 0, v7
	s_delay_alu instid0(VALU_DEP_1) | instskip(NEXT) | instid1(SALU_CYCLE_1)
	s_and_b32 s0, vcc_lo, s0
	v_cndmask_b32_e64 v5, 0, 1, s0
	s_delay_alu instid0(VALU_DEP_1)
	v_add_nc_u32_e32 v5, v4, v5
; %bb.1907:
	s_or_b32 exec_lo, exec_lo, s3
	s_mov_b32 s0, 0
	s_mov_b32 s3, -1
	global_store_b8 v[1:2], v5, off
.LBB97_1908:
	s_mov_b32 s6, 0
.LBB97_1909:
	s_delay_alu instid0(SALU_CYCLE_1)
	s_and_b32 vcc_lo, exec_lo, s6
	s_cbranch_vccz .LBB97_1912
; %bb.1910:
	v_cmp_eq_u16_e32 vcc_lo, 29, v6
	s_mov_b32 s0, -1
	s_cbranch_vccz .LBB97_1912
; %bb.1911:
	v_cvt_f32_f16_e32 v4, v3
	v_mov_b32_e32 v5, 0
	s_mov_b32 s0, 0
	s_mov_b32 s3, -1
	s_delay_alu instid0(VALU_DEP_2)
	v_cvt_u32_f32_e32 v4, v4
	global_store_b64 v[1:2], v[4:5], off
.LBB97_1912:
	s_mov_b32 s6, 0
.LBB97_1913:
	s_delay_alu instid0(SALU_CYCLE_1)
	s_and_b32 vcc_lo, exec_lo, s6
	s_cbranch_vccz .LBB97_1929
; %bb.1914:
	v_cmp_gt_i16_e32 vcc_lo, 27, v6
	s_mov_b32 s3, -1
	s_cbranch_vccnz .LBB97_1920
; %bb.1915:
	v_cmp_lt_i16_e32 vcc_lo, 27, v6
	s_cbranch_vccz .LBB97_1917
; %bb.1916:
	v_cvt_f32_f16_e32 v4, v3
	s_mov_b32 s3, 0
	s_delay_alu instid0(VALU_DEP_1)
	v_cvt_u32_f32_e32 v4, v4
	global_store_b32 v[1:2], v4, off
.LBB97_1917:
	s_and_not1_b32 vcc_lo, exec_lo, s3
	s_cbranch_vccnz .LBB97_1919
; %bb.1918:
	v_cvt_u16_f16_e32 v4, v3
	global_store_b16 v[1:2], v4, off
.LBB97_1919:
	s_mov_b32 s3, 0
.LBB97_1920:
	s_delay_alu instid0(SALU_CYCLE_1)
	s_and_not1_b32 vcc_lo, exec_lo, s3
	s_cbranch_vccnz .LBB97_1928
; %bb.1921:
	v_cvt_f32_f16_e32 v4, v3
	v_mov_b32_e32 v7, 0x80
	s_mov_b32 s3, exec_lo
	s_delay_alu instid0(VALU_DEP_2) | instskip(NEXT) | instid1(VALU_DEP_1)
	v_and_b32_e32 v5, 0x7fffffff, v4
	v_cmpx_gt_u32_e32 0x43800000, v5
	s_cbranch_execz .LBB97_1927
; %bb.1922:
	v_cmp_lt_u32_e32 vcc_lo, 0x3bffffff, v5
	s_mov_b32 s6, 0
                                        ; implicit-def: $vgpr5
	s_and_saveexec_b32 s7, vcc_lo
	s_delay_alu instid0(SALU_CYCLE_1)
	s_xor_b32 s7, exec_lo, s7
	s_cbranch_execz .LBB97_2153
; %bb.1923:
	v_bfe_u32 v5, v4, 20, 1
	s_mov_b32 s6, exec_lo
	s_delay_alu instid0(VALU_DEP_1) | instskip(NEXT) | instid1(VALU_DEP_1)
	v_add3_u32 v5, v4, v5, 0x487ffff
	v_lshrrev_b32_e32 v5, 20, v5
	s_or_saveexec_b32 s7, s7
                                        ; implicit-def: $sgpr10
	s_delay_alu instid0(SALU_CYCLE_1)
	s_xor_b32 exec_lo, exec_lo, s7
	s_cbranch_execnz .LBB97_2154
.LBB97_1924:
	s_or_b32 exec_lo, exec_lo, s7
	v_mov_b32_e32 v7, s10
	s_and_saveexec_b32 s7, s6
.LBB97_1925:
	v_lshrrev_b32_e32 v4, 24, v4
	s_delay_alu instid0(VALU_DEP_1)
	v_and_or_b32 v7, 0x80, v4, v5
.LBB97_1926:
	s_or_b32 exec_lo, exec_lo, s7
.LBB97_1927:
	s_delay_alu instid0(SALU_CYCLE_1)
	s_or_b32 exec_lo, exec_lo, s3
	global_store_b8 v[1:2], v7, off
.LBB97_1928:
	s_mov_b32 s3, -1
.LBB97_1929:
	s_mov_b32 s6, 0
.LBB97_1930:
	s_delay_alu instid0(SALU_CYCLE_1)
	s_and_b32 vcc_lo, exec_lo, s6
	s_cbranch_vccz .LBB97_1970
; %bb.1931:
	v_cmp_lt_i16_e32 vcc_lo, 22, v6
	s_mov_b32 s2, -1
	s_cbranch_vccz .LBB97_1963
; %bb.1932:
	v_cmp_gt_i16_e32 vcc_lo, 24, v6
	s_cbranch_vccnz .LBB97_1952
; %bb.1933:
	v_cmp_lt_i16_e32 vcc_lo, 24, v6
	s_cbranch_vccz .LBB97_1941
; %bb.1934:
	v_cvt_f32_f16_e32 v4, v3
	v_mov_b32_e32 v7, 0x80
	s_mov_b32 s2, exec_lo
	s_delay_alu instid0(VALU_DEP_2) | instskip(NEXT) | instid1(VALU_DEP_1)
	v_and_b32_e32 v5, 0x7fffffff, v4
	v_cmpx_gt_u32_e32 0x47800000, v5
	s_cbranch_execz .LBB97_1940
; %bb.1935:
	v_cmp_lt_u32_e32 vcc_lo, 0x37ffffff, v5
	s_mov_b32 s3, 0
                                        ; implicit-def: $vgpr5
	s_and_saveexec_b32 s6, vcc_lo
	s_delay_alu instid0(SALU_CYCLE_1)
	s_xor_b32 s6, exec_lo, s6
	s_cbranch_execz .LBB97_2159
; %bb.1936:
	v_bfe_u32 v5, v4, 21, 1
	s_mov_b32 s3, exec_lo
	s_delay_alu instid0(VALU_DEP_1) | instskip(NEXT) | instid1(VALU_DEP_1)
	v_add3_u32 v5, v4, v5, 0x88fffff
	v_lshrrev_b32_e32 v5, 21, v5
	s_or_saveexec_b32 s6, s6
                                        ; implicit-def: $sgpr7
	s_delay_alu instid0(SALU_CYCLE_1)
	s_xor_b32 exec_lo, exec_lo, s6
	s_cbranch_execnz .LBB97_2160
.LBB97_1937:
	s_or_b32 exec_lo, exec_lo, s6
	v_mov_b32_e32 v7, s7
	s_and_saveexec_b32 s6, s3
.LBB97_1938:
	v_lshrrev_b32_e32 v4, 24, v4
	s_delay_alu instid0(VALU_DEP_1)
	v_and_or_b32 v7, 0x80, v4, v5
.LBB97_1939:
	s_or_b32 exec_lo, exec_lo, s6
.LBB97_1940:
	s_delay_alu instid0(SALU_CYCLE_1)
	s_or_b32 exec_lo, exec_lo, s2
	s_mov_b32 s2, 0
	global_store_b8 v[1:2], v7, off
.LBB97_1941:
	s_and_b32 vcc_lo, exec_lo, s2
	s_cbranch_vccz .LBB97_1951
; %bb.1942:
	v_cvt_f32_f16_e32 v4, v3
	s_mov_b32 s2, exec_lo
                                        ; implicit-def: $vgpr5
	s_delay_alu instid0(VALU_DEP_1) | instskip(NEXT) | instid1(VALU_DEP_1)
	v_and_b32_e32 v7, 0x7fffffff, v4
	v_cmpx_gt_u32_e32 0x43f00000, v7
	s_xor_b32 s2, exec_lo, s2
	s_cbranch_execz .LBB97_1948
; %bb.1943:
	s_mov_b32 s3, exec_lo
                                        ; implicit-def: $vgpr5
	v_cmpx_lt_u32_e32 0x3c7fffff, v7
	s_xor_b32 s3, exec_lo, s3
; %bb.1944:
	v_bfe_u32 v5, v4, 20, 1
	s_delay_alu instid0(VALU_DEP_1) | instskip(NEXT) | instid1(VALU_DEP_1)
	v_add3_u32 v5, v4, v5, 0x407ffff
	v_and_b32_e32 v7, 0xff00000, v5
	v_lshrrev_b32_e32 v5, 20, v5
	s_delay_alu instid0(VALU_DEP_2) | instskip(NEXT) | instid1(VALU_DEP_2)
	v_cmp_ne_u32_e32 vcc_lo, 0x7f00000, v7
	v_cndmask_b32_e32 v5, 0x7e, v5, vcc_lo
; %bb.1945:
	s_and_not1_saveexec_b32 s3, s3
; %bb.1946:
	v_add_f32_e64 v5, 0x46800000, |v4|
; %bb.1947:
	s_or_b32 exec_lo, exec_lo, s3
                                        ; implicit-def: $vgpr7
.LBB97_1948:
	s_and_not1_saveexec_b32 s2, s2
; %bb.1949:
	v_mov_b32_e32 v5, 0x7f
	v_cmp_lt_u32_e32 vcc_lo, 0x7f800000, v7
	s_delay_alu instid0(VALU_DEP_2)
	v_cndmask_b32_e32 v5, 0x7e, v5, vcc_lo
; %bb.1950:
	s_or_b32 exec_lo, exec_lo, s2
	v_lshrrev_b32_e32 v4, 24, v4
	s_delay_alu instid0(VALU_DEP_1)
	v_and_or_b32 v4, 0x80, v4, v5
	global_store_b8 v[1:2], v4, off
.LBB97_1951:
	s_mov_b32 s2, 0
.LBB97_1952:
	s_delay_alu instid0(SALU_CYCLE_1)
	s_and_not1_b32 vcc_lo, exec_lo, s2
	s_cbranch_vccnz .LBB97_1962
; %bb.1953:
	v_cvt_f32_f16_e32 v4, v3
	s_mov_b32 s2, exec_lo
                                        ; implicit-def: $vgpr5
	s_delay_alu instid0(VALU_DEP_1) | instskip(NEXT) | instid1(VALU_DEP_1)
	v_and_b32_e32 v7, 0x7fffffff, v4
	v_cmpx_gt_u32_e32 0x47800000, v7
	s_xor_b32 s2, exec_lo, s2
	s_cbranch_execz .LBB97_1959
; %bb.1954:
	s_mov_b32 s3, exec_lo
                                        ; implicit-def: $vgpr5
	v_cmpx_lt_u32_e32 0x387fffff, v7
	s_xor_b32 s3, exec_lo, s3
; %bb.1955:
	v_bfe_u32 v5, v4, 21, 1
	s_delay_alu instid0(VALU_DEP_1) | instskip(NEXT) | instid1(VALU_DEP_1)
	v_add3_u32 v5, v4, v5, 0x80fffff
	v_lshrrev_b32_e32 v5, 21, v5
; %bb.1956:
	s_and_not1_saveexec_b32 s3, s3
; %bb.1957:
	v_add_f32_e64 v5, 0x43000000, |v4|
; %bb.1958:
	s_or_b32 exec_lo, exec_lo, s3
                                        ; implicit-def: $vgpr7
.LBB97_1959:
	s_and_not1_saveexec_b32 s2, s2
; %bb.1960:
	v_mov_b32_e32 v5, 0x7f
	v_cmp_lt_u32_e32 vcc_lo, 0x7f800000, v7
	s_delay_alu instid0(VALU_DEP_2)
	v_cndmask_b32_e32 v5, 0x7c, v5, vcc_lo
; %bb.1961:
	s_or_b32 exec_lo, exec_lo, s2
	v_lshrrev_b32_e32 v4, 24, v4
	s_delay_alu instid0(VALU_DEP_1)
	v_and_or_b32 v4, 0x80, v4, v5
	global_store_b8 v[1:2], v4, off
.LBB97_1962:
	s_mov_b32 s2, 0
	s_mov_b32 s3, -1
.LBB97_1963:
	s_and_not1_b32 vcc_lo, exec_lo, s2
	s_mov_b32 s2, 0
	s_cbranch_vccnz .LBB97_1970
; %bb.1964:
	v_cmp_lt_i16_e32 vcc_lo, 14, v6
	s_mov_b32 s2, -1
	s_cbranch_vccz .LBB97_1968
; %bb.1965:
	v_cmp_eq_u16_e32 vcc_lo, 15, v6
	s_mov_b32 s0, -1
	s_cbranch_vccz .LBB97_1967
; %bb.1966:
	v_cvt_f32_f16_e32 v4, v3
	v_cmp_o_f16_e32 vcc_lo, v3, v3
	s_mov_b32 s0, 0
	s_mov_b32 s3, -1
	s_delay_alu instid0(VALU_DEP_2) | instskip(NEXT) | instid1(VALU_DEP_1)
	v_bfe_u32 v5, v4, 16, 1
	v_add3_u32 v4, v4, v5, 0x7fff
	s_delay_alu instid0(VALU_DEP_1) | instskip(NEXT) | instid1(VALU_DEP_1)
	v_lshrrev_b32_e32 v4, 16, v4
	v_cndmask_b32_e32 v4, 0x7fc0, v4, vcc_lo
	global_store_b16 v[1:2], v4, off
.LBB97_1967:
	s_mov_b32 s2, 0
.LBB97_1968:
	s_delay_alu instid0(SALU_CYCLE_1)
	s_and_b32 vcc_lo, exec_lo, s2
	s_mov_b32 s2, 0
	s_cbranch_vccz .LBB97_1970
; %bb.1969:
	v_cmp_ne_u16_e64 s0, 11, v6
	s_mov_b32 s2, -1
.LBB97_1970:
	s_delay_alu instid0(VALU_DEP_1)
	s_and_b32 vcc_lo, exec_lo, s0
	s_cbranch_vccnz .LBB97_2157
; %bb.1971:
	s_and_not1_b32 vcc_lo, exec_lo, s2
	s_cbranch_vccnz .LBB97_1973
.LBB97_1972:
	v_cmp_neq_f16_e32 vcc_lo, 0, v3
	s_mov_b32 s3, -1
	v_cndmask_b32_e64 v4, 0, 1, vcc_lo
	global_store_b8 v[1:2], v4, off
.LBB97_1973:
	s_mov_b32 s0, 0
.LBB97_1974:
	s_delay_alu instid0(SALU_CYCLE_1)
	s_and_b32 vcc_lo, exec_lo, s0
	s_cbranch_vccz .LBB97_2013
; %bb.1975:
	v_cmp_gt_i16_e32 vcc_lo, 5, v6
	s_mov_b32 s0, -1
	s_cbranch_vccnz .LBB97_1996
; %bb.1976:
	v_cmp_gt_i16_e32 vcc_lo, 8, v6
	s_cbranch_vccnz .LBB97_1986
; %bb.1977:
	v_cmp_gt_i16_e32 vcc_lo, 9, v6
	s_cbranch_vccnz .LBB97_1983
; %bb.1978:
	v_cmp_lt_i16_e32 vcc_lo, 9, v6
	s_cbranch_vccz .LBB97_1980
; %bb.1979:
	v_cvt_f32_f16_e32 v4, v3
	v_mov_b32_e32 v9, 0
	s_mov_b32 s0, 0
	s_delay_alu instid0(VALU_DEP_2) | instskip(NEXT) | instid1(VALU_DEP_2)
	v_cvt_f64_f32_e32 v[7:8], v4
	v_mov_b32_e32 v10, v9
	global_store_b128 v[1:2], v[7:10], off
.LBB97_1980:
	s_and_not1_b32 vcc_lo, exec_lo, s0
	s_cbranch_vccnz .LBB97_1982
; %bb.1981:
	v_cvt_f32_f16_e32 v4, v3
	v_mov_b32_e32 v5, 0
	global_store_b64 v[1:2], v[4:5], off
.LBB97_1982:
	s_mov_b32 s0, 0
.LBB97_1983:
	s_delay_alu instid0(SALU_CYCLE_1)
	s_and_not1_b32 vcc_lo, exec_lo, s0
	s_cbranch_vccnz .LBB97_1985
; %bb.1984:
	v_and_b32_e32 v4, 0xffff, v3
	global_store_b32 v[1:2], v4, off
.LBB97_1985:
	s_mov_b32 s0, 0
.LBB97_1986:
	s_delay_alu instid0(SALU_CYCLE_1)
	s_and_not1_b32 vcc_lo, exec_lo, s0
	s_cbranch_vccnz .LBB97_1995
; %bb.1987:
	v_cmp_gt_i16_e32 vcc_lo, 6, v6
	s_mov_b32 s0, -1
	s_cbranch_vccnz .LBB97_1993
; %bb.1988:
	v_cmp_lt_i16_e32 vcc_lo, 6, v6
	s_cbranch_vccz .LBB97_1990
; %bb.1989:
	v_cvt_f32_f16_e32 v4, v3
	s_mov_b32 s0, 0
	s_delay_alu instid0(VALU_DEP_1)
	v_cvt_f64_f32_e32 v[4:5], v4
	global_store_b64 v[1:2], v[4:5], off
.LBB97_1990:
	s_and_not1_b32 vcc_lo, exec_lo, s0
	s_cbranch_vccnz .LBB97_1992
; %bb.1991:
	v_cvt_f32_f16_e32 v4, v3
	global_store_b32 v[1:2], v4, off
.LBB97_1992:
	s_mov_b32 s0, 0
.LBB97_1993:
	s_delay_alu instid0(SALU_CYCLE_1)
	s_and_not1_b32 vcc_lo, exec_lo, s0
	s_cbranch_vccnz .LBB97_1995
; %bb.1994:
	global_store_b16 v[1:2], v3, off
.LBB97_1995:
	s_mov_b32 s0, 0
.LBB97_1996:
	s_delay_alu instid0(SALU_CYCLE_1)
	s_and_not1_b32 vcc_lo, exec_lo, s0
	s_cbranch_vccnz .LBB97_2012
; %bb.1997:
	v_cmp_gt_i16_e32 vcc_lo, 2, v6
	s_mov_b32 s0, -1
	s_cbranch_vccnz .LBB97_2007
; %bb.1998:
	v_cmp_gt_i16_e32 vcc_lo, 3, v6
	s_cbranch_vccnz .LBB97_2004
; %bb.1999:
	v_cmp_lt_i16_e32 vcc_lo, 3, v6
	s_cbranch_vccz .LBB97_2001
; %bb.2000:
	v_cvt_f32_f16_e32 v4, v3
	s_mov_b32 s0, 0
	s_delay_alu instid0(VALU_DEP_1) | instskip(NEXT) | instid1(VALU_DEP_1)
	v_cvt_i32_f32_e32 v4, v4
	v_ashrrev_i32_e32 v5, 31, v4
	global_store_b64 v[1:2], v[4:5], off
.LBB97_2001:
	s_and_not1_b32 vcc_lo, exec_lo, s0
	s_cbranch_vccnz .LBB97_2003
; %bb.2002:
	v_cvt_f32_f16_e32 v4, v3
	s_delay_alu instid0(VALU_DEP_1)
	v_cvt_i32_f32_e32 v4, v4
	global_store_b32 v[1:2], v4, off
.LBB97_2003:
	s_mov_b32 s0, 0
.LBB97_2004:
	s_delay_alu instid0(SALU_CYCLE_1)
	s_and_not1_b32 vcc_lo, exec_lo, s0
	s_cbranch_vccnz .LBB97_2006
; %bb.2005:
	v_cvt_i16_f16_e32 v4, v3
	global_store_b16 v[1:2], v4, off
.LBB97_2006:
	s_mov_b32 s0, 0
.LBB97_2007:
	s_delay_alu instid0(SALU_CYCLE_1)
	s_and_not1_b32 vcc_lo, exec_lo, s0
	s_cbranch_vccnz .LBB97_2012
; %bb.2008:
	v_cmp_lt_i16_e32 vcc_lo, 0, v6
	s_mov_b32 s0, -1
	s_cbranch_vccz .LBB97_2010
; %bb.2009:
	v_cvt_i16_f16_e32 v4, v3
	s_mov_b32 s0, 0
	global_store_b8 v[1:2], v4, off
.LBB97_2010:
	s_and_not1_b32 vcc_lo, exec_lo, s0
	s_cbranch_vccnz .LBB97_2012
; %bb.2011:
	v_cvt_f32_f16_e32 v3, v3
	s_delay_alu instid0(VALU_DEP_1)
	v_cvt_i32_f32_e32 v3, v3
	global_store_b8 v[1:2], v3, off
.LBB97_2012:
	s_mov_b32 s3, -1
.LBB97_2013:
	s_delay_alu instid0(SALU_CYCLE_1)
	s_and_not1_b32 vcc_lo, exec_lo, s3
	s_cbranch_vccnz .LBB97_2090
; %bb.2014:
	v_cvt_f32_f16_e32 v1, v11
	s_mov_b32 s0, 0x3fb8aa3b
	s_mov_b32 s2, 0
	s_delay_alu instid0(VALU_DEP_1) | instskip(SKIP_1) | instid1(VALU_DEP_2)
	v_mul_f32_e32 v2, 0x3fb8aa3b, v1
	v_cmp_ngt_f32_e32 vcc_lo, 0xc2ce8ed0, v1
	v_rndne_f32_e32 v3, v2
	v_fma_mix_f32 v4, v11, s0, -v2 op_sel_hi:[1,0,0]
	s_mov_b32 s0, 0x32a5705f
	s_delay_alu instid0(VALU_DEP_2) | instskip(NEXT) | instid1(VALU_DEP_2)
	v_sub_f32_e32 v2, v2, v3
	v_fma_mix_f32 v4, v11, s0, v4 op_sel_hi:[1,0,0]
	v_cvt_i32_f32_e32 v3, v3
	v_cmp_nlt_f32_e64 s0, 0x42b17218, v1
	s_delay_alu instid0(VALU_DEP_3) | instskip(NEXT) | instid1(VALU_DEP_1)
	v_add_f32_e32 v2, v2, v4
	v_exp_f32_e32 v2, v2
	s_waitcnt_depctr 0xfff
	v_ldexp_f32 v2, v2, v3
	s_delay_alu instid0(VALU_DEP_1) | instskip(SKIP_1) | instid1(VALU_DEP_2)
	v_cndmask_b32_e32 v2, 0, v2, vcc_lo
	v_cmp_gt_i16_e32 vcc_lo, 11, v6
	v_cndmask_b32_e64 v2, 0x7f800000, v2, s0
	v_add_co_u32 v0, s0, s4, v0
	s_delay_alu instid0(VALU_DEP_1) | instskip(NEXT) | instid1(VALU_DEP_3)
	v_add_co_ci_u32_e64 v1, null, s5, 0, s0
	v_cvt_f16_f32_e32 v2, v2
	s_mov_b32 s0, -1
	s_cbranch_vccnz .LBB97_2091
; %bb.2015:
	v_cmp_lt_i16_e32 vcc_lo, 25, v6
	s_mov_b32 s3, -1
	s_mov_b32 s0, 0
	s_cbranch_vccz .LBB97_2048
; %bb.2016:
	v_cmp_lt_i16_e32 vcc_lo, 28, v6
	s_cbranch_vccz .LBB97_2032
; %bb.2017:
	v_cmp_lt_i16_e32 vcc_lo, 43, v6
	;; [unrolled: 3-line block ×3, first 2 shown]
	s_cbranch_vccz .LBB97_2022
; %bb.2019:
	v_cmp_eq_u16_e32 vcc_lo, 46, v6
	s_mov_b32 s0, -1
	s_cbranch_vccz .LBB97_2021
; %bb.2020:
	v_cvt_f32_f16_e32 v3, v2
	v_cmp_o_f16_e32 vcc_lo, v2, v2
	s_mov_b32 s0, 0
	s_delay_alu instid0(VALU_DEP_2) | instskip(NEXT) | instid1(VALU_DEP_1)
	v_bfe_u32 v4, v3, 16, 1
	v_add3_u32 v3, v3, v4, 0x7fff
	s_delay_alu instid0(VALU_DEP_1) | instskip(NEXT) | instid1(VALU_DEP_1)
	v_lshrrev_b32_e32 v3, 16, v3
	v_cndmask_b32_e32 v3, 0x7fc0, v3, vcc_lo
	global_store_b32 v[0:1], v3, off
.LBB97_2021:
	s_mov_b32 s3, 0
.LBB97_2022:
	s_delay_alu instid0(SALU_CYCLE_1)
	s_and_b32 vcc_lo, exec_lo, s3
	s_cbranch_vccz .LBB97_2027
; %bb.2023:
	v_cmp_eq_u16_e32 vcc_lo, 44, v6
	s_mov_b32 s0, -1
	s_cbranch_vccz .LBB97_2027
; %bb.2024:
	v_cvt_f32_f16_e32 v3, v2
	v_mov_b32_e32 v4, 0xff
	s_mov_b32 s3, exec_lo
	s_delay_alu instid0(VALU_DEP_2) | instskip(NEXT) | instid1(VALU_DEP_1)
	v_bfe_u32 v5, v3, 23, 8
	v_cmpx_ne_u32_e32 0xff, v5
; %bb.2025:
	v_and_b32_e32 v4, 0x400000, v3
	v_and_or_b32 v5, 0x3fffff, v3, v5
	v_lshrrev_b32_e32 v3, 23, v3
	s_delay_alu instid0(VALU_DEP_3) | instskip(NEXT) | instid1(VALU_DEP_3)
	v_cmp_ne_u32_e32 vcc_lo, 0, v4
	v_cmp_ne_u32_e64 s0, 0, v5
	s_delay_alu instid0(VALU_DEP_1) | instskip(NEXT) | instid1(SALU_CYCLE_1)
	s_and_b32 s0, vcc_lo, s0
	v_cndmask_b32_e64 v4, 0, 1, s0
	s_delay_alu instid0(VALU_DEP_1)
	v_add_nc_u32_e32 v4, v3, v4
; %bb.2026:
	s_or_b32 exec_lo, exec_lo, s3
	s_mov_b32 s0, 0
	global_store_b8 v[0:1], v4, off
.LBB97_2027:
	s_mov_b32 s3, 0
.LBB97_2028:
	s_delay_alu instid0(SALU_CYCLE_1)
	s_and_b32 vcc_lo, exec_lo, s3
	s_cbranch_vccz .LBB97_2031
; %bb.2029:
	v_cmp_eq_u16_e32 vcc_lo, 29, v6
	s_mov_b32 s0, -1
	s_cbranch_vccz .LBB97_2031
; %bb.2030:
	v_cvt_f32_f16_e32 v3, v2
	v_mov_b32_e32 v4, 0
	s_mov_b32 s0, 0
	s_delay_alu instid0(VALU_DEP_2)
	v_cvt_u32_f32_e32 v3, v3
	global_store_b64 v[0:1], v[3:4], off
.LBB97_2031:
	s_mov_b32 s3, 0
.LBB97_2032:
	s_delay_alu instid0(SALU_CYCLE_1)
	s_and_b32 vcc_lo, exec_lo, s3
	s_cbranch_vccz .LBB97_2047
; %bb.2033:
	v_cmp_gt_i16_e32 vcc_lo, 27, v6
	s_mov_b32 s3, -1
	s_cbranch_vccnz .LBB97_2039
; %bb.2034:
	v_cmp_lt_i16_e32 vcc_lo, 27, v6
	s_cbranch_vccz .LBB97_2036
; %bb.2035:
	v_cvt_f32_f16_e32 v3, v2
	s_mov_b32 s3, 0
	s_delay_alu instid0(VALU_DEP_1)
	v_cvt_u32_f32_e32 v3, v3
	global_store_b32 v[0:1], v3, off
.LBB97_2036:
	s_and_not1_b32 vcc_lo, exec_lo, s3
	s_cbranch_vccnz .LBB97_2038
; %bb.2037:
	v_cvt_u16_f16_e32 v3, v2
	global_store_b16 v[0:1], v3, off
.LBB97_2038:
	s_mov_b32 s3, 0
.LBB97_2039:
	s_delay_alu instid0(SALU_CYCLE_1)
	s_and_not1_b32 vcc_lo, exec_lo, s3
	s_cbranch_vccnz .LBB97_2047
; %bb.2040:
	v_cvt_f32_f16_e32 v3, v2
	v_mov_b32_e32 v5, 0x80
	s_mov_b32 s3, exec_lo
	s_delay_alu instid0(VALU_DEP_2) | instskip(NEXT) | instid1(VALU_DEP_1)
	v_and_b32_e32 v4, 0x7fffffff, v3
	v_cmpx_gt_u32_e32 0x43800000, v4
	s_cbranch_execz .LBB97_2046
; %bb.2041:
	v_cmp_lt_u32_e32 vcc_lo, 0x3bffffff, v4
	s_mov_b32 s4, 0
                                        ; implicit-def: $vgpr4
	s_and_saveexec_b32 s5, vcc_lo
	s_delay_alu instid0(SALU_CYCLE_1)
	s_xor_b32 s5, exec_lo, s5
	s_cbranch_execz .LBB97_2161
; %bb.2042:
	v_bfe_u32 v4, v3, 20, 1
	s_mov_b32 s4, exec_lo
	s_delay_alu instid0(VALU_DEP_1) | instskip(NEXT) | instid1(VALU_DEP_1)
	v_add3_u32 v4, v3, v4, 0x487ffff
	v_lshrrev_b32_e32 v4, 20, v4
	s_or_saveexec_b32 s5, s5
                                        ; implicit-def: $sgpr6
	s_delay_alu instid0(SALU_CYCLE_1)
	s_xor_b32 exec_lo, exec_lo, s5
	s_cbranch_execnz .LBB97_2162
.LBB97_2043:
	s_or_b32 exec_lo, exec_lo, s5
	v_mov_b32_e32 v5, s6
	s_and_saveexec_b32 s5, s4
.LBB97_2044:
	v_lshrrev_b32_e32 v3, 24, v3
	s_delay_alu instid0(VALU_DEP_1)
	v_and_or_b32 v5, 0x80, v3, v4
.LBB97_2045:
	s_or_b32 exec_lo, exec_lo, s5
.LBB97_2046:
	s_delay_alu instid0(SALU_CYCLE_1)
	s_or_b32 exec_lo, exec_lo, s3
	global_store_b8 v[0:1], v5, off
.LBB97_2047:
	s_mov_b32 s3, 0
.LBB97_2048:
	s_delay_alu instid0(SALU_CYCLE_1)
	s_and_b32 vcc_lo, exec_lo, s3
	s_cbranch_vccz .LBB97_2088
; %bb.2049:
	v_cmp_lt_i16_e32 vcc_lo, 22, v6
	s_mov_b32 s2, -1
	s_cbranch_vccz .LBB97_2081
; %bb.2050:
	v_cmp_gt_i16_e32 vcc_lo, 24, v6
	s_cbranch_vccnz .LBB97_2070
; %bb.2051:
	v_cmp_lt_i16_e32 vcc_lo, 24, v6
	s_cbranch_vccz .LBB97_2059
; %bb.2052:
	v_cvt_f32_f16_e32 v3, v2
	v_mov_b32_e32 v5, 0x80
	s_mov_b32 s2, exec_lo
	s_delay_alu instid0(VALU_DEP_2) | instskip(NEXT) | instid1(VALU_DEP_1)
	v_and_b32_e32 v4, 0x7fffffff, v3
	v_cmpx_gt_u32_e32 0x47800000, v4
	s_cbranch_execz .LBB97_2058
; %bb.2053:
	v_cmp_lt_u32_e32 vcc_lo, 0x37ffffff, v4
	s_mov_b32 s3, 0
                                        ; implicit-def: $vgpr4
	s_and_saveexec_b32 s4, vcc_lo
	s_delay_alu instid0(SALU_CYCLE_1)
	s_xor_b32 s4, exec_lo, s4
	s_cbranch_execz .LBB97_2167
; %bb.2054:
	v_bfe_u32 v4, v3, 21, 1
	s_mov_b32 s3, exec_lo
	s_delay_alu instid0(VALU_DEP_1) | instskip(NEXT) | instid1(VALU_DEP_1)
	v_add3_u32 v4, v3, v4, 0x88fffff
	v_lshrrev_b32_e32 v4, 21, v4
	s_or_saveexec_b32 s4, s4
                                        ; implicit-def: $sgpr5
	s_delay_alu instid0(SALU_CYCLE_1)
	s_xor_b32 exec_lo, exec_lo, s4
	s_cbranch_execnz .LBB97_2168
.LBB97_2055:
	s_or_b32 exec_lo, exec_lo, s4
	v_mov_b32_e32 v5, s5
	s_and_saveexec_b32 s4, s3
.LBB97_2056:
	v_lshrrev_b32_e32 v3, 24, v3
	s_delay_alu instid0(VALU_DEP_1)
	v_and_or_b32 v5, 0x80, v3, v4
.LBB97_2057:
	s_or_b32 exec_lo, exec_lo, s4
.LBB97_2058:
	s_delay_alu instid0(SALU_CYCLE_1)
	s_or_b32 exec_lo, exec_lo, s2
	s_mov_b32 s2, 0
	global_store_b8 v[0:1], v5, off
.LBB97_2059:
	s_and_b32 vcc_lo, exec_lo, s2
	s_cbranch_vccz .LBB97_2069
; %bb.2060:
	v_cvt_f32_f16_e32 v3, v2
	s_mov_b32 s2, exec_lo
                                        ; implicit-def: $vgpr4
	s_delay_alu instid0(VALU_DEP_1) | instskip(NEXT) | instid1(VALU_DEP_1)
	v_and_b32_e32 v5, 0x7fffffff, v3
	v_cmpx_gt_u32_e32 0x43f00000, v5
	s_xor_b32 s2, exec_lo, s2
	s_cbranch_execz .LBB97_2066
; %bb.2061:
	s_mov_b32 s3, exec_lo
                                        ; implicit-def: $vgpr4
	v_cmpx_lt_u32_e32 0x3c7fffff, v5
	s_xor_b32 s3, exec_lo, s3
; %bb.2062:
	v_bfe_u32 v4, v3, 20, 1
	s_delay_alu instid0(VALU_DEP_1) | instskip(NEXT) | instid1(VALU_DEP_1)
	v_add3_u32 v4, v3, v4, 0x407ffff
	v_and_b32_e32 v5, 0xff00000, v4
	v_lshrrev_b32_e32 v4, 20, v4
	s_delay_alu instid0(VALU_DEP_2) | instskip(NEXT) | instid1(VALU_DEP_2)
	v_cmp_ne_u32_e32 vcc_lo, 0x7f00000, v5
	v_cndmask_b32_e32 v4, 0x7e, v4, vcc_lo
; %bb.2063:
	s_and_not1_saveexec_b32 s3, s3
; %bb.2064:
	v_add_f32_e64 v4, 0x46800000, |v3|
; %bb.2065:
	s_or_b32 exec_lo, exec_lo, s3
                                        ; implicit-def: $vgpr5
.LBB97_2066:
	s_and_not1_saveexec_b32 s2, s2
; %bb.2067:
	v_mov_b32_e32 v4, 0x7f
	v_cmp_lt_u32_e32 vcc_lo, 0x7f800000, v5
	s_delay_alu instid0(VALU_DEP_2)
	v_cndmask_b32_e32 v4, 0x7e, v4, vcc_lo
; %bb.2068:
	s_or_b32 exec_lo, exec_lo, s2
	v_lshrrev_b32_e32 v3, 24, v3
	s_delay_alu instid0(VALU_DEP_1)
	v_and_or_b32 v3, 0x80, v3, v4
	global_store_b8 v[0:1], v3, off
.LBB97_2069:
	s_mov_b32 s2, 0
.LBB97_2070:
	s_delay_alu instid0(SALU_CYCLE_1)
	s_and_not1_b32 vcc_lo, exec_lo, s2
	s_cbranch_vccnz .LBB97_2080
; %bb.2071:
	v_cvt_f32_f16_e32 v3, v2
	s_mov_b32 s2, exec_lo
                                        ; implicit-def: $vgpr4
	s_delay_alu instid0(VALU_DEP_1) | instskip(NEXT) | instid1(VALU_DEP_1)
	v_and_b32_e32 v5, 0x7fffffff, v3
	v_cmpx_gt_u32_e32 0x47800000, v5
	s_xor_b32 s2, exec_lo, s2
	s_cbranch_execz .LBB97_2077
; %bb.2072:
	s_mov_b32 s3, exec_lo
                                        ; implicit-def: $vgpr4
	v_cmpx_lt_u32_e32 0x387fffff, v5
	s_xor_b32 s3, exec_lo, s3
; %bb.2073:
	v_bfe_u32 v4, v3, 21, 1
	s_delay_alu instid0(VALU_DEP_1) | instskip(NEXT) | instid1(VALU_DEP_1)
	v_add3_u32 v4, v3, v4, 0x80fffff
	v_lshrrev_b32_e32 v4, 21, v4
; %bb.2074:
	s_and_not1_saveexec_b32 s3, s3
; %bb.2075:
	v_add_f32_e64 v4, 0x43000000, |v3|
; %bb.2076:
	s_or_b32 exec_lo, exec_lo, s3
                                        ; implicit-def: $vgpr5
.LBB97_2077:
	s_and_not1_saveexec_b32 s2, s2
; %bb.2078:
	v_mov_b32_e32 v4, 0x7f
	v_cmp_lt_u32_e32 vcc_lo, 0x7f800000, v5
	s_delay_alu instid0(VALU_DEP_2)
	v_cndmask_b32_e32 v4, 0x7c, v4, vcc_lo
; %bb.2079:
	s_or_b32 exec_lo, exec_lo, s2
	v_lshrrev_b32_e32 v3, 24, v3
	s_delay_alu instid0(VALU_DEP_1)
	v_and_or_b32 v3, 0x80, v3, v4
	global_store_b8 v[0:1], v3, off
.LBB97_2080:
	s_mov_b32 s2, 0
.LBB97_2081:
	s_delay_alu instid0(SALU_CYCLE_1)
	s_and_not1_b32 vcc_lo, exec_lo, s2
	s_mov_b32 s2, 0
	s_cbranch_vccnz .LBB97_2088
; %bb.2082:
	v_cmp_lt_i16_e32 vcc_lo, 14, v6
	s_mov_b32 s2, -1
	s_cbranch_vccz .LBB97_2086
; %bb.2083:
	v_cmp_eq_u16_e32 vcc_lo, 15, v6
	s_mov_b32 s0, -1
	s_cbranch_vccz .LBB97_2085
; %bb.2084:
	v_cvt_f32_f16_e32 v3, v2
	v_cmp_o_f16_e32 vcc_lo, v2, v2
	s_mov_b32 s0, 0
	s_delay_alu instid0(VALU_DEP_2) | instskip(NEXT) | instid1(VALU_DEP_1)
	v_bfe_u32 v4, v3, 16, 1
	v_add3_u32 v3, v3, v4, 0x7fff
	s_delay_alu instid0(VALU_DEP_1) | instskip(NEXT) | instid1(VALU_DEP_1)
	v_lshrrev_b32_e32 v3, 16, v3
	v_cndmask_b32_e32 v3, 0x7fc0, v3, vcc_lo
	global_store_b16 v[0:1], v3, off
.LBB97_2085:
	s_mov_b32 s2, 0
.LBB97_2086:
	s_delay_alu instid0(SALU_CYCLE_1)
	s_and_b32 vcc_lo, exec_lo, s2
	s_mov_b32 s2, 0
	s_cbranch_vccz .LBB97_2088
; %bb.2087:
	v_cmp_ne_u16_e64 s0, 11, v6
	s_mov_b32 s2, -1
.LBB97_2088:
	s_delay_alu instid0(VALU_DEP_1)
	s_and_b32 vcc_lo, exec_lo, s0
	s_cbranch_vccnz .LBB97_2165
.LBB97_2089:
	s_mov_b32 s0, 0
	s_branch .LBB97_2091
.LBB97_2090:
	s_mov_b32 s0, 0
	s_mov_b32 s2, 0
                                        ; implicit-def: $vgpr0_vgpr1
                                        ; implicit-def: $vgpr6
                                        ; implicit-def: $vgpr2
.LBB97_2091:
	s_and_b32 s3, s0, exec_lo
	s_and_not1_b32 s0, s8, exec_lo
	s_and_b32 s1, s1, exec_lo
	s_and_b32 s26, s2, exec_lo
	s_or_b32 s8, s0, s1
.LBB97_2092:
	s_or_b32 exec_lo, exec_lo, s9
	s_and_saveexec_b32 s0, s8
	s_cbranch_execz .LBB97_2095
; %bb.2093:
	; divergent unreachable
	s_or_b32 exec_lo, exec_lo, s0
	s_and_saveexec_b32 s0, s26
	s_delay_alu instid0(SALU_CYCLE_1)
	s_xor_b32 s0, exec_lo, s0
	s_cbranch_execnz .LBB97_2096
.LBB97_2094:
	s_or_b32 exec_lo, exec_lo, s0
	s_and_saveexec_b32 s0, s3
	s_cbranch_execnz .LBB97_2097
	s_branch .LBB97_2134
.LBB97_2095:
	s_or_b32 exec_lo, exec_lo, s0
	s_and_saveexec_b32 s0, s26
	s_delay_alu instid0(SALU_CYCLE_1)
	s_xor_b32 s0, exec_lo, s0
	s_cbranch_execz .LBB97_2094
.LBB97_2096:
	v_cmp_neq_f16_e32 vcc_lo, 0, v2
	v_cndmask_b32_e64 v3, 0, 1, vcc_lo
	global_store_b8 v[0:1], v3, off
	s_or_b32 exec_lo, exec_lo, s0
	s_and_saveexec_b32 s0, s3
	s_cbranch_execz .LBB97_2134
.LBB97_2097:
	s_waitcnt vmcnt(0)
	v_cmp_gt_i16_e32 vcc_lo, 5, v6
	s_mov_b32 s0, -1
	s_cbranch_vccnz .LBB97_2118
; %bb.2098:
	v_cmp_gt_i16_e32 vcc_lo, 8, v6
	s_cbranch_vccnz .LBB97_2108
; %bb.2099:
	v_cmp_gt_i16_e32 vcc_lo, 9, v6
	s_cbranch_vccnz .LBB97_2105
; %bb.2100:
	v_cmp_lt_i16_e32 vcc_lo, 9, v6
	s_cbranch_vccz .LBB97_2102
; %bb.2101:
	v_cvt_f32_f16_e32 v3, v2
	v_mov_b32_e32 v9, 0
	s_mov_b32 s0, 0
	s_delay_alu instid0(VALU_DEP_2) | instskip(NEXT) | instid1(VALU_DEP_2)
	v_cvt_f64_f32_e32 v[7:8], v3
	v_mov_b32_e32 v10, v9
	global_store_b128 v[0:1], v[7:10], off
.LBB97_2102:
	s_and_not1_b32 vcc_lo, exec_lo, s0
	s_cbranch_vccnz .LBB97_2104
; %bb.2103:
	v_cvt_f32_f16_e32 v3, v2
	v_mov_b32_e32 v4, 0
	global_store_b64 v[0:1], v[3:4], off
.LBB97_2104:
	s_mov_b32 s0, 0
.LBB97_2105:
	s_delay_alu instid0(SALU_CYCLE_1)
	s_and_not1_b32 vcc_lo, exec_lo, s0
	s_cbranch_vccnz .LBB97_2107
; %bb.2106:
	v_and_b32_e32 v3, 0xffff, v2
	global_store_b32 v[0:1], v3, off
.LBB97_2107:
	s_mov_b32 s0, 0
.LBB97_2108:
	s_delay_alu instid0(SALU_CYCLE_1)
	s_and_not1_b32 vcc_lo, exec_lo, s0
	s_cbranch_vccnz .LBB97_2117
; %bb.2109:
	v_cmp_gt_i16_e32 vcc_lo, 6, v6
	s_mov_b32 s0, -1
	s_cbranch_vccnz .LBB97_2115
; %bb.2110:
	v_cmp_lt_i16_e32 vcc_lo, 6, v6
	s_cbranch_vccz .LBB97_2112
; %bb.2111:
	v_cvt_f32_f16_e32 v3, v2
	s_mov_b32 s0, 0
	s_delay_alu instid0(VALU_DEP_1)
	v_cvt_f64_f32_e32 v[3:4], v3
	global_store_b64 v[0:1], v[3:4], off
.LBB97_2112:
	s_and_not1_b32 vcc_lo, exec_lo, s0
	s_cbranch_vccnz .LBB97_2114
; %bb.2113:
	v_cvt_f32_f16_e32 v3, v2
	global_store_b32 v[0:1], v3, off
.LBB97_2114:
	s_mov_b32 s0, 0
.LBB97_2115:
	s_delay_alu instid0(SALU_CYCLE_1)
	s_and_not1_b32 vcc_lo, exec_lo, s0
	s_cbranch_vccnz .LBB97_2117
; %bb.2116:
	global_store_b16 v[0:1], v2, off
.LBB97_2117:
	s_mov_b32 s0, 0
.LBB97_2118:
	s_delay_alu instid0(SALU_CYCLE_1)
	s_and_not1_b32 vcc_lo, exec_lo, s0
	s_cbranch_vccnz .LBB97_2134
; %bb.2119:
	v_cmp_gt_i16_e32 vcc_lo, 2, v6
	s_mov_b32 s0, -1
	s_cbranch_vccnz .LBB97_2129
; %bb.2120:
	v_cmp_gt_i16_e32 vcc_lo, 3, v6
	s_cbranch_vccnz .LBB97_2126
; %bb.2121:
	v_cmp_lt_i16_e32 vcc_lo, 3, v6
	s_cbranch_vccz .LBB97_2123
; %bb.2122:
	v_cvt_f32_f16_e32 v3, v2
	s_mov_b32 s0, 0
	s_delay_alu instid0(VALU_DEP_1) | instskip(NEXT) | instid1(VALU_DEP_1)
	v_cvt_i32_f32_e32 v3, v3
	v_ashrrev_i32_e32 v4, 31, v3
	global_store_b64 v[0:1], v[3:4], off
.LBB97_2123:
	s_and_not1_b32 vcc_lo, exec_lo, s0
	s_cbranch_vccnz .LBB97_2125
; %bb.2124:
	v_cvt_f32_f16_e32 v3, v2
	s_delay_alu instid0(VALU_DEP_1)
	v_cvt_i32_f32_e32 v3, v3
	global_store_b32 v[0:1], v3, off
.LBB97_2125:
	s_mov_b32 s0, 0
.LBB97_2126:
	s_delay_alu instid0(SALU_CYCLE_1)
	s_and_not1_b32 vcc_lo, exec_lo, s0
	s_cbranch_vccnz .LBB97_2128
; %bb.2127:
	v_cvt_i16_f16_e32 v3, v2
	global_store_b16 v[0:1], v3, off
.LBB97_2128:
	s_mov_b32 s0, 0
.LBB97_2129:
	s_delay_alu instid0(SALU_CYCLE_1)
	s_and_not1_b32 vcc_lo, exec_lo, s0
	s_cbranch_vccnz .LBB97_2134
; %bb.2130:
	v_cmp_lt_i16_e32 vcc_lo, 0, v6
	s_mov_b32 s0, -1
	s_cbranch_vccz .LBB97_2132
; %bb.2131:
	v_cvt_i16_f16_e32 v3, v2
	s_mov_b32 s0, 0
	global_store_b8 v[0:1], v3, off
.LBB97_2132:
	s_and_not1_b32 vcc_lo, exec_lo, s0
	s_cbranch_vccnz .LBB97_2134
; %bb.2133:
	v_cvt_f32_f16_e32 v2, v2
	s_delay_alu instid0(VALU_DEP_1)
	v_cvt_i32_f32_e32 v2, v2
	global_store_b8 v[0:1], v2, off
	s_nop 0
	s_sendmsg sendmsg(MSG_DEALLOC_VGPRS)
	s_endpgm
.LBB97_2134:
	s_nop 0
	s_sendmsg sendmsg(MSG_DEALLOC_VGPRS)
	s_endpgm
.LBB97_2135:
	s_cbranch_execnz .LBB97_2139
; %bb.2136:
	s_or_b32 s1, s1, exec_lo
                                        ; implicit-def: $vgpr11
	s_cbranch_execz .LBB97_1608
	s_branch .LBB97_1609
.LBB97_2137:
	s_or_saveexec_b32 s7, s7
                                        ; implicit-def: $sgpr10
	s_delay_alu instid0(SALU_CYCLE_1)
	s_xor_b32 exec_lo, exec_lo, s7
	s_cbranch_execz .LBB97_1688
.LBB97_2138:
	v_add_f32_e64 v10, 0x46000000, |v9|
	s_and_not1_b32 s6, s6, exec_lo
	s_mov_b32 s10, 0
	s_delay_alu instid0(VALU_DEP_1) | instskip(NEXT) | instid1(VALU_DEP_1)
	v_and_b32_e32 v10, 0xff, v10
	v_cmp_ne_u32_e32 vcc_lo, 0, v10
	s_and_b32 s11, vcc_lo, exec_lo
	s_delay_alu instid0(SALU_CYCLE_1)
	s_or_b32 s6, s6, s11
	s_or_b32 exec_lo, exec_lo, s7
	v_mov_b32_e32 v12, s10
	s_and_saveexec_b32 s7, s6
	s_cbranch_execnz .LBB97_1689
	s_branch .LBB97_1690
.LBB97_2139:
	s_trap 2
	s_sendmsg_rtn_b32 s0, sendmsg(MSG_RTN_GET_DOORBELL)
	s_mov_b32 ttmp2, m0
	s_waitcnt lgkmcnt(0)
	s_and_b32 s0, s0, 0x3ff
	s_delay_alu instid0(SALU_CYCLE_1) | instskip(NEXT) | instid1(SALU_CYCLE_1)
	s_bitset1_b32 s0, 10
	s_mov_b32 m0, s0
	s_sendmsg sendmsg(MSG_INTERRUPT)
	s_mov_b32 m0, ttmp2
.LBB97_2140:                            ; =>This Inner Loop Header: Depth=1
	s_sethalt 5
	s_branch .LBB97_2140
.LBB97_2141:
	s_cbranch_execnz .LBB97_2147
; %bb.2142:
	s_or_b32 s1, s1, exec_lo
	s_cbranch_execz .LBB97_1736
	s_branch .LBB97_1737
.LBB97_2143:
	s_or_saveexec_b32 s6, s6
                                        ; implicit-def: $sgpr7
	s_delay_alu instid0(SALU_CYCLE_1)
	s_xor_b32 exec_lo, exec_lo, s6
	s_cbranch_execz .LBB97_1701
.LBB97_2144:
	v_add_f32_e64 v10, 0x42800000, |v9|
	s_and_not1_b32 s3, s3, exec_lo
	s_mov_b32 s7, 0
	s_delay_alu instid0(VALU_DEP_1) | instskip(NEXT) | instid1(VALU_DEP_1)
	v_and_b32_e32 v10, 0xff, v10
	v_cmp_ne_u32_e32 vcc_lo, 0, v10
	s_and_b32 s10, vcc_lo, exec_lo
	s_delay_alu instid0(SALU_CYCLE_1)
	s_or_b32 s3, s3, s10
	s_or_b32 exec_lo, exec_lo, s6
	v_mov_b32_e32 v12, s7
	s_and_saveexec_b32 s6, s3
	s_cbranch_execnz .LBB97_1702
	s_branch .LBB97_1703
.LBB97_2145:
	s_or_saveexec_b32 s7, s7
                                        ; implicit-def: $sgpr10
	s_delay_alu instid0(SALU_CYCLE_1)
	s_xor_b32 exec_lo, exec_lo, s7
	s_cbranch_execz .LBB97_1806
.LBB97_2146:
	v_add_f32_e64 v8, 0x46000000, |v5|
	s_and_not1_b32 s6, s6, exec_lo
	s_mov_b32 s10, 0
	s_delay_alu instid0(VALU_DEP_1) | instskip(NEXT) | instid1(VALU_DEP_1)
	v_and_b32_e32 v8, 0xff, v8
	v_cmp_ne_u32_e32 vcc_lo, 0, v8
	s_and_b32 s11, vcc_lo, exec_lo
	s_delay_alu instid0(SALU_CYCLE_1)
	s_or_b32 s6, s6, s11
	s_or_b32 exec_lo, exec_lo, s7
	v_mov_b32_e32 v9, s10
	s_and_saveexec_b32 s7, s6
	s_cbranch_execnz .LBB97_1807
	s_branch .LBB97_1808
.LBB97_2147:
	s_trap 2
	s_sendmsg_rtn_b32 s0, sendmsg(MSG_RTN_GET_DOORBELL)
	s_mov_b32 ttmp2, m0
	s_waitcnt lgkmcnt(0)
	s_and_b32 s0, s0, 0x3ff
	s_delay_alu instid0(SALU_CYCLE_1) | instskip(NEXT) | instid1(SALU_CYCLE_1)
	s_bitset1_b32 s0, 10
	s_mov_b32 m0, s0
	s_sendmsg sendmsg(MSG_INTERRUPT)
	s_mov_b32 m0, ttmp2
.LBB97_2148:                            ; =>This Inner Loop Header: Depth=1
	s_sethalt 5
	s_branch .LBB97_2148
.LBB97_2149:
	s_cbranch_execnz .LBB97_2155
; %bb.2150:
	s_or_b32 s1, s1, exec_lo
	s_cbranch_execz .LBB97_1854
	s_branch .LBB97_1855
.LBB97_2151:
	s_or_saveexec_b32 s6, s6
                                        ; implicit-def: $sgpr7
	s_delay_alu instid0(SALU_CYCLE_1)
	s_xor_b32 exec_lo, exec_lo, s6
	s_cbranch_execz .LBB97_1819
.LBB97_2152:
	v_add_f32_e64 v8, 0x42800000, |v5|
	s_and_not1_b32 s3, s3, exec_lo
	s_mov_b32 s7, 0
	s_delay_alu instid0(VALU_DEP_1) | instskip(NEXT) | instid1(VALU_DEP_1)
	v_and_b32_e32 v8, 0xff, v8
	v_cmp_ne_u32_e32 vcc_lo, 0, v8
	s_and_b32 s10, vcc_lo, exec_lo
	s_delay_alu instid0(SALU_CYCLE_1)
	s_or_b32 s3, s3, s10
	s_or_b32 exec_lo, exec_lo, s6
	v_mov_b32_e32 v9, s7
	s_and_saveexec_b32 s6, s3
	s_cbranch_execnz .LBB97_1820
	s_branch .LBB97_1821
.LBB97_2153:
	s_or_saveexec_b32 s7, s7
                                        ; implicit-def: $sgpr10
	s_delay_alu instid0(SALU_CYCLE_1)
	s_xor_b32 exec_lo, exec_lo, s7
	s_cbranch_execz .LBB97_1924
.LBB97_2154:
	v_add_f32_e64 v5, 0x46000000, |v4|
	s_and_not1_b32 s6, s6, exec_lo
	s_mov_b32 s10, 0
	s_delay_alu instid0(VALU_DEP_1) | instskip(NEXT) | instid1(VALU_DEP_1)
	v_and_b32_e32 v5, 0xff, v5
	v_cmp_ne_u32_e32 vcc_lo, 0, v5
	s_and_b32 s11, vcc_lo, exec_lo
	s_delay_alu instid0(SALU_CYCLE_1)
	s_or_b32 s6, s6, s11
	s_or_b32 exec_lo, exec_lo, s7
	v_mov_b32_e32 v7, s10
	s_and_saveexec_b32 s7, s6
	s_cbranch_execnz .LBB97_1925
	s_branch .LBB97_1926
.LBB97_2155:
	s_trap 2
	s_sendmsg_rtn_b32 s0, sendmsg(MSG_RTN_GET_DOORBELL)
	s_mov_b32 ttmp2, m0
	s_waitcnt lgkmcnt(0)
	s_and_b32 s0, s0, 0x3ff
	s_delay_alu instid0(SALU_CYCLE_1) | instskip(NEXT) | instid1(SALU_CYCLE_1)
	s_bitset1_b32 s0, 10
	s_mov_b32 m0, s0
	s_sendmsg sendmsg(MSG_INTERRUPT)
	s_mov_b32 m0, ttmp2
.LBB97_2156:                            ; =>This Inner Loop Header: Depth=1
	s_sethalt 5
	s_branch .LBB97_2156
.LBB97_2157:
	s_cbranch_execnz .LBB97_2163
; %bb.2158:
	s_or_b32 s1, s1, exec_lo
	s_cbranch_execz .LBB97_1972
	s_branch .LBB97_1973
.LBB97_2159:
	s_or_saveexec_b32 s6, s6
                                        ; implicit-def: $sgpr7
	s_delay_alu instid0(SALU_CYCLE_1)
	s_xor_b32 exec_lo, exec_lo, s6
	s_cbranch_execz .LBB97_1937
.LBB97_2160:
	v_add_f32_e64 v5, 0x42800000, |v4|
	s_and_not1_b32 s3, s3, exec_lo
	s_mov_b32 s7, 0
	s_delay_alu instid0(VALU_DEP_1) | instskip(NEXT) | instid1(VALU_DEP_1)
	v_and_b32_e32 v5, 0xff, v5
	v_cmp_ne_u32_e32 vcc_lo, 0, v5
	s_and_b32 s10, vcc_lo, exec_lo
	s_delay_alu instid0(SALU_CYCLE_1)
	s_or_b32 s3, s3, s10
	s_or_b32 exec_lo, exec_lo, s6
	v_mov_b32_e32 v7, s7
	s_and_saveexec_b32 s6, s3
	s_cbranch_execnz .LBB97_1938
	s_branch .LBB97_1939
.LBB97_2161:
	s_or_saveexec_b32 s5, s5
                                        ; implicit-def: $sgpr6
	s_delay_alu instid0(SALU_CYCLE_1)
	s_xor_b32 exec_lo, exec_lo, s5
	s_cbranch_execz .LBB97_2043
.LBB97_2162:
	v_add_f32_e64 v4, 0x46000000, |v3|
	s_and_not1_b32 s4, s4, exec_lo
	s_mov_b32 s6, 0
	s_delay_alu instid0(VALU_DEP_1) | instskip(NEXT) | instid1(VALU_DEP_1)
	v_and_b32_e32 v4, 0xff, v4
	v_cmp_ne_u32_e32 vcc_lo, 0, v4
	s_and_b32 s7, vcc_lo, exec_lo
	s_delay_alu instid0(SALU_CYCLE_1)
	s_or_b32 s4, s4, s7
	s_or_b32 exec_lo, exec_lo, s5
	v_mov_b32_e32 v5, s6
	s_and_saveexec_b32 s5, s4
	s_cbranch_execnz .LBB97_2044
	s_branch .LBB97_2045
.LBB97_2163:
	s_trap 2
	s_sendmsg_rtn_b32 s0, sendmsg(MSG_RTN_GET_DOORBELL)
	s_mov_b32 ttmp2, m0
	s_waitcnt lgkmcnt(0)
	s_and_b32 s0, s0, 0x3ff
	s_delay_alu instid0(SALU_CYCLE_1) | instskip(NEXT) | instid1(SALU_CYCLE_1)
	s_bitset1_b32 s0, 10
	s_mov_b32 m0, s0
	s_sendmsg sendmsg(MSG_INTERRUPT)
	s_mov_b32 m0, ttmp2
.LBB97_2164:                            ; =>This Inner Loop Header: Depth=1
	s_sethalt 5
	s_branch .LBB97_2164
.LBB97_2165:
	s_cbranch_execnz .LBB97_2169
; %bb.2166:
	s_mov_b32 s2, 0
	s_or_b32 s1, s1, exec_lo
	s_branch .LBB97_2089
.LBB97_2167:
	s_or_saveexec_b32 s4, s4
                                        ; implicit-def: $sgpr5
	s_delay_alu instid0(SALU_CYCLE_1)
	s_xor_b32 exec_lo, exec_lo, s4
	s_cbranch_execz .LBB97_2055
.LBB97_2168:
	v_add_f32_e64 v4, 0x42800000, |v3|
	s_and_not1_b32 s3, s3, exec_lo
	s_mov_b32 s5, 0
	s_delay_alu instid0(VALU_DEP_1) | instskip(NEXT) | instid1(VALU_DEP_1)
	v_and_b32_e32 v4, 0xff, v4
	v_cmp_ne_u32_e32 vcc_lo, 0, v4
	s_and_b32 s6, vcc_lo, exec_lo
	s_delay_alu instid0(SALU_CYCLE_1)
	s_or_b32 s3, s3, s6
	s_or_b32 exec_lo, exec_lo, s4
	v_mov_b32_e32 v5, s5
	s_and_saveexec_b32 s4, s3
	s_cbranch_execnz .LBB97_2056
	s_branch .LBB97_2057
.LBB97_2169:
	s_trap 2
	s_sendmsg_rtn_b32 s0, sendmsg(MSG_RTN_GET_DOORBELL)
	s_mov_b32 ttmp2, m0
	s_waitcnt lgkmcnt(0)
	s_and_b32 s0, s0, 0x3ff
	s_delay_alu instid0(SALU_CYCLE_1) | instskip(NEXT) | instid1(SALU_CYCLE_1)
	s_bitset1_b32 s0, 10
	s_mov_b32 m0, s0
	s_sendmsg sendmsg(MSG_INTERRUPT)
	s_mov_b32 m0, ttmp2
.LBB97_2170:                            ; =>This Inner Loop Header: Depth=1
	s_sethalt 5
	s_branch .LBB97_2170
	.section	.rodata,"a",@progbits
	.p2align	6, 0x0
	.amdhsa_kernel _ZN2at6native32elementwise_kernel_manual_unrollILi128ELi4EZNS0_15gpu_kernel_implIZZZNS0_15exp_kernel_cudaERNS_18TensorIteratorBaseEENKUlvE0_clEvENKUlvE1_clEvEUlN3c104HalfEE_EEvS4_RKT_EUlibE0_EEviT1_
		.amdhsa_group_segment_fixed_size 0
		.amdhsa_private_segment_fixed_size 0
		.amdhsa_kernarg_size 360
		.amdhsa_user_sgpr_count 15
		.amdhsa_user_sgpr_dispatch_ptr 0
		.amdhsa_user_sgpr_queue_ptr 0
		.amdhsa_user_sgpr_kernarg_segment_ptr 1
		.amdhsa_user_sgpr_dispatch_id 0
		.amdhsa_user_sgpr_private_segment_size 0
		.amdhsa_wavefront_size32 1
		.amdhsa_uses_dynamic_stack 0
		.amdhsa_enable_private_segment 0
		.amdhsa_system_sgpr_workgroup_id_x 1
		.amdhsa_system_sgpr_workgroup_id_y 0
		.amdhsa_system_sgpr_workgroup_id_z 0
		.amdhsa_system_sgpr_workgroup_info 0
		.amdhsa_system_vgpr_workitem_id 0
		.amdhsa_next_free_vgpr 18
		.amdhsa_next_free_sgpr 68
		.amdhsa_reserve_vcc 1
		.amdhsa_float_round_mode_32 0
		.amdhsa_float_round_mode_16_64 0
		.amdhsa_float_denorm_mode_32 3
		.amdhsa_float_denorm_mode_16_64 3
		.amdhsa_dx10_clamp 1
		.amdhsa_ieee_mode 1
		.amdhsa_fp16_overflow 0
		.amdhsa_workgroup_processor_mode 1
		.amdhsa_memory_ordered 1
		.amdhsa_forward_progress 0
		.amdhsa_shared_vgpr_count 0
		.amdhsa_exception_fp_ieee_invalid_op 0
		.amdhsa_exception_fp_denorm_src 0
		.amdhsa_exception_fp_ieee_div_zero 0
		.amdhsa_exception_fp_ieee_overflow 0
		.amdhsa_exception_fp_ieee_underflow 0
		.amdhsa_exception_fp_ieee_inexact 0
		.amdhsa_exception_int_div_zero 0
	.end_amdhsa_kernel
	.section	.text._ZN2at6native32elementwise_kernel_manual_unrollILi128ELi4EZNS0_15gpu_kernel_implIZZZNS0_15exp_kernel_cudaERNS_18TensorIteratorBaseEENKUlvE0_clEvENKUlvE1_clEvEUlN3c104HalfEE_EEvS4_RKT_EUlibE0_EEviT1_,"axG",@progbits,_ZN2at6native32elementwise_kernel_manual_unrollILi128ELi4EZNS0_15gpu_kernel_implIZZZNS0_15exp_kernel_cudaERNS_18TensorIteratorBaseEENKUlvE0_clEvENKUlvE1_clEvEUlN3c104HalfEE_EEvS4_RKT_EUlibE0_EEviT1_,comdat
.Lfunc_end97:
	.size	_ZN2at6native32elementwise_kernel_manual_unrollILi128ELi4EZNS0_15gpu_kernel_implIZZZNS0_15exp_kernel_cudaERNS_18TensorIteratorBaseEENKUlvE0_clEvENKUlvE1_clEvEUlN3c104HalfEE_EEvS4_RKT_EUlibE0_EEviT1_, .Lfunc_end97-_ZN2at6native32elementwise_kernel_manual_unrollILi128ELi4EZNS0_15gpu_kernel_implIZZZNS0_15exp_kernel_cudaERNS_18TensorIteratorBaseEENKUlvE0_clEvENKUlvE1_clEvEUlN3c104HalfEE_EEvS4_RKT_EUlibE0_EEviT1_
                                        ; -- End function
	.section	.AMDGPU.csdata,"",@progbits
; Kernel info:
; codeLenInByte = 42308
; NumSgprs: 70
; NumVgprs: 18
; ScratchSize: 0
; MemoryBound: 0
; FloatMode: 240
; IeeeMode: 1
; LDSByteSize: 0 bytes/workgroup (compile time only)
; SGPRBlocks: 8
; VGPRBlocks: 2
; NumSGPRsForWavesPerEU: 70
; NumVGPRsForWavesPerEU: 18
; Occupancy: 16
; WaveLimiterHint : 1
; COMPUTE_PGM_RSRC2:SCRATCH_EN: 0
; COMPUTE_PGM_RSRC2:USER_SGPR: 15
; COMPUTE_PGM_RSRC2:TRAP_HANDLER: 0
; COMPUTE_PGM_RSRC2:TGID_X_EN: 1
; COMPUTE_PGM_RSRC2:TGID_Y_EN: 0
; COMPUTE_PGM_RSRC2:TGID_Z_EN: 0
; COMPUTE_PGM_RSRC2:TIDIG_COMP_CNT: 0
	.section	.text._ZN2at6native29vectorized_elementwise_kernelILi16EZZZNS0_15exp_kernel_cudaERNS_18TensorIteratorBaseEENKUlvE0_clEvENKUlvE2_clEvEUlN3c108BFloat16EE_St5arrayIPcLm2EEEEviT0_T1_,"axG",@progbits,_ZN2at6native29vectorized_elementwise_kernelILi16EZZZNS0_15exp_kernel_cudaERNS_18TensorIteratorBaseEENKUlvE0_clEvENKUlvE2_clEvEUlN3c108BFloat16EE_St5arrayIPcLm2EEEEviT0_T1_,comdat
	.globl	_ZN2at6native29vectorized_elementwise_kernelILi16EZZZNS0_15exp_kernel_cudaERNS_18TensorIteratorBaseEENKUlvE0_clEvENKUlvE2_clEvEUlN3c108BFloat16EE_St5arrayIPcLm2EEEEviT0_T1_ ; -- Begin function _ZN2at6native29vectorized_elementwise_kernelILi16EZZZNS0_15exp_kernel_cudaERNS_18TensorIteratorBaseEENKUlvE0_clEvENKUlvE2_clEvEUlN3c108BFloat16EE_St5arrayIPcLm2EEEEviT0_T1_
	.p2align	8
	.type	_ZN2at6native29vectorized_elementwise_kernelILi16EZZZNS0_15exp_kernel_cudaERNS_18TensorIteratorBaseEENKUlvE0_clEvENKUlvE2_clEvEUlN3c108BFloat16EE_St5arrayIPcLm2EEEEviT0_T1_,@function
_ZN2at6native29vectorized_elementwise_kernelILi16EZZZNS0_15exp_kernel_cudaERNS_18TensorIteratorBaseEENKUlvE0_clEvENKUlvE2_clEvEUlN3c108BFloat16EE_St5arrayIPcLm2EEEEviT0_T1_: ; @_ZN2at6native29vectorized_elementwise_kernelILi16EZZZNS0_15exp_kernel_cudaERNS_18TensorIteratorBaseEENKUlvE0_clEvENKUlvE2_clEvEUlN3c108BFloat16EE_St5arrayIPcLm2EEEEviT0_T1_
; %bb.0:
	s_clause 0x1
	s_load_b32 s3, s[0:1], 0x0
	s_load_b128 s[4:7], s[0:1], 0x8
	s_lshl_b32 s2, s15, 11
	s_mov_b32 s0, -1
	s_waitcnt lgkmcnt(0)
	s_sub_i32 s8, s3, s2
	s_delay_alu instid0(SALU_CYCLE_1)
	s_cmpk_gt_i32 s8, 0x7ff
	s_cbranch_scc0 .LBB98_2
; %bb.1:
	s_ashr_i32 s3, s2, 31
	v_lshlrev_b32_e32 v5, 4, v0
	s_lshl_b64 s[0:1], s[2:3], 1
	s_delay_alu instid0(SALU_CYCLE_1)
	s_add_u32 s10, s6, s0
	s_addc_u32 s11, s7, s1
	global_load_b128 v[1:4], v5, s[10:11]
	s_add_u32 s10, s4, s0
	s_addc_u32 s11, s5, s1
	s_mov_b32 s0, 0
	s_waitcnt vmcnt(0)
	v_and_b32_e32 v7, 0xffff0000, v2
	v_lshlrev_b32_e32 v2, 16, v2
	v_and_b32_e32 v6, 0xffff0000, v1
	s_delay_alu instid0(VALU_DEP_2) | instskip(NEXT) | instid1(VALU_DEP_1)
	v_dual_mul_f32 v12, 0x3fb8aa3b, v2 :: v_dual_lshlrev_b32 v1, 16, v1
	v_dual_mul_f32 v11, 0x3fb8aa3b, v6 :: v_dual_mul_f32 v10, 0x3fb8aa3b, v1
	v_cmp_ngt_f32_e32 vcc_lo, 0xc2ce8ed0, v1
	s_delay_alu instid0(VALU_DEP_3)
	v_rndne_f32_e32 v23, v12
	v_and_b32_e32 v9, 0xffff0000, v4
	v_lshlrev_b32_e32 v4, 16, v4
	v_rndne_f32_e32 v19, v10
	v_rndne_f32_e32 v21, v11
	v_and_b32_e32 v8, 0xffff0000, v3
	s_delay_alu instid0(VALU_DEP_4) | instskip(SKIP_1) | instid1(VALU_DEP_4)
	v_dual_mul_f32 v16, 0x3fb8aa3b, v4 :: v_dual_lshlrev_b32 v3, 16, v3
	v_fma_f32 v20, 0x3fb8aa3b, v6, -v11
	v_sub_f32_e32 v11, v11, v21
	s_delay_alu instid0(VALU_DEP_3)
	v_dual_mul_f32 v15, 0x3fb8aa3b, v8 :: v_dual_mul_f32 v14, 0x3fb8aa3b, v3
	v_fma_f32 v18, 0x3fb8aa3b, v1, -v10
	v_sub_f32_e32 v10, v10, v19
	v_mul_f32_e32 v13, 0x3fb8aa3b, v7
	v_fma_f32 v22, 0x3fb8aa3b, v2, -v12
	v_rndne_f32_e32 v27, v14
	v_dual_sub_f32 v12, v12, v23 :: v_dual_mul_f32 v17, 0x3fb8aa3b, v9
	s_delay_alu instid0(VALU_DEP_4)
	v_fma_f32 v24, 0x3fb8aa3b, v7, -v13
	v_rndne_f32_e32 v25, v13
	v_fma_f32 v26, 0x3fb8aa3b, v3, -v14
	v_sub_f32_e32 v14, v14, v27
	v_rndne_f32_e32 v33, v17
	v_fma_f32 v32, 0x3fb8aa3b, v9, -v17
	v_dual_fmac_f32 v20, 0x32a5705f, v6 :: v_dual_sub_f32 v13, v13, v25
	s_delay_alu instid0(VALU_DEP_3) | instskip(NEXT) | instid1(VALU_DEP_2)
	v_dual_fmac_f32 v24, 0x32a5705f, v7 :: v_dual_sub_f32 v17, v17, v33
	v_dual_fmac_f32 v18, 0x32a5705f, v1 :: v_dual_add_f32 v11, v11, v20
	v_cvt_i32_f32_e32 v19, v19
	s_delay_alu instid0(VALU_DEP_3) | instskip(SKIP_1) | instid1(VALU_DEP_4)
	v_add_f32_e32 v13, v13, v24
	v_rndne_f32_e32 v29, v15
	v_add_f32_e32 v10, v10, v18
	v_exp_f32_e32 v11, v11
	v_cvt_i32_f32_e32 v21, v21
	v_fmac_f32_e32 v22, 0x32a5705f, v2
	v_fma_f32 v28, 0x3fb8aa3b, v8, -v15
	v_sub_f32_e32 v15, v15, v29
	v_exp_f32_e32 v10, v10
	v_cvt_i32_f32_e32 v23, v23
	v_add_f32_e32 v12, v12, v22
	v_exp_f32_e32 v13, v13
	v_cvt_i32_f32_e32 v25, v25
	v_ldexp_f32 v11, v11, v21
	v_fma_f32 v30, 0x3fb8aa3b, v4, -v16
	v_exp_f32_e32 v12, v12
	v_cvt_i32_f32_e32 v27, v27
	v_cvt_i32_f32_e32 v29, v29
	v_ldexp_f32 v10, v10, v19
	v_rndne_f32_e32 v31, v16
	v_cvt_i32_f32_e32 v20, v33
	v_ldexp_f32 v13, v13, v25
	s_delay_alu instid0(VALU_DEP_4)
	v_cndmask_b32_e32 v10, 0, v10, vcc_lo
	v_cmp_ngt_f32_e32 vcc_lo, 0xc2ce8ed0, v6
	v_fmac_f32_e32 v28, 0x32a5705f, v8
	v_ldexp_f32 v12, v12, v23
	v_cvt_i32_f32_e32 v18, v31
	v_cndmask_b32_e32 v11, 0, v11, vcc_lo
	s_delay_alu instid0(VALU_DEP_4) | instskip(SKIP_1) | instid1(VALU_DEP_2)
	v_dual_fmac_f32 v26, 0x32a5705f, v3 :: v_dual_add_f32 v15, v15, v28
	v_cmp_ngt_f32_e32 vcc_lo, 0xc2ce8ed0, v2
	v_add_f32_e32 v14, v14, v26
	s_delay_alu instid0(VALU_DEP_3)
	v_exp_f32_e32 v15, v15
	v_cndmask_b32_e32 v12, 0, v12, vcc_lo
	v_cmp_ngt_f32_e32 vcc_lo, 0xc2ce8ed0, v7
	v_fmac_f32_e32 v30, 0x32a5705f, v4
	v_exp_f32_e32 v14, v14
	v_cndmask_b32_e32 v13, 0, v13, vcc_lo
	v_cmp_ngt_f32_e32 vcc_lo, 0xc2ce8ed0, v3
	s_delay_alu instid0(TRANS32_DEP_2) | instskip(SKIP_2) | instid1(VALU_DEP_1)
	v_ldexp_f32 v15, v15, v29
	s_waitcnt_depctr 0xfff
	v_ldexp_f32 v14, v14, v27
	v_cndmask_b32_e32 v14, 0, v14, vcc_lo
	v_cmp_ngt_f32_e32 vcc_lo, 0xc2ce8ed0, v8
	v_dual_fmac_f32 v32, 0x32a5705f, v9 :: v_dual_cndmask_b32 v15, 0, v15
	s_delay_alu instid0(VALU_DEP_1) | instskip(SKIP_1) | instid1(VALU_DEP_2)
	v_dual_sub_f32 v16, v16, v31 :: v_dual_add_f32 v17, v17, v32
	v_cmp_ngt_f32_e32 vcc_lo, 0xc2ce8ed0, v4
	v_add_f32_e32 v16, v16, v30
	s_delay_alu instid0(VALU_DEP_3) | instskip(NEXT) | instid1(VALU_DEP_1)
	v_exp_f32_e32 v17, v17
	v_exp_f32_e32 v16, v16
	s_waitcnt_depctr 0xfff
	v_ldexp_f32 v17, v17, v20
	v_ldexp_f32 v16, v16, v18
	s_delay_alu instid0(VALU_DEP_1) | instskip(SKIP_1) | instid1(VALU_DEP_4)
	v_cndmask_b32_e32 v16, 0, v16, vcc_lo
	v_cmp_ngt_f32_e32 vcc_lo, 0xc2ce8ed0, v9
	v_cndmask_b32_e32 v17, 0, v17, vcc_lo
	v_cmp_nlt_f32_e32 vcc_lo, 0x42b17218, v1
	v_cndmask_b32_e32 v1, 0x7f800000, v10, vcc_lo
	v_cmp_nlt_f32_e32 vcc_lo, 0x42b17218, v6
	;; [unrolled: 2-line block ×3, first 2 shown]
	s_delay_alu instid0(VALU_DEP_4) | instskip(NEXT) | instid1(VALU_DEP_3)
	v_bfe_u32 v11, v1, 16, 1
	v_bfe_u32 v10, v6, 16, 1
	v_cndmask_b32_e32 v2, 0x7f800000, v12, vcc_lo
	v_cmp_nlt_f32_e32 vcc_lo, 0x42b17218, v7
	s_delay_alu instid0(VALU_DEP_4) | instskip(NEXT) | instid1(VALU_DEP_4)
	v_add3_u32 v11, v1, v11, 0x7fff
	v_add3_u32 v10, v6, v10, 0x7fff
	v_cndmask_b32_e32 v7, 0x7f800000, v13, vcc_lo
	v_cmp_nlt_f32_e32 vcc_lo, 0x42b17218, v3
	v_bfe_u32 v13, v2, 16, 1
	s_delay_alu instid0(VALU_DEP_4)
	v_lshrrev_b32_e32 v10, 16, v10
	v_lshrrev_b32_e32 v11, 16, v11
	v_bfe_u32 v12, v7, 16, 1
	v_cndmask_b32_e32 v3, 0x7f800000, v14, vcc_lo
	v_cmp_nlt_f32_e32 vcc_lo, 0x42b17218, v8
	v_add3_u32 v13, v2, v13, 0x7fff
	s_delay_alu instid0(VALU_DEP_4) | instskip(SKIP_2) | instid1(VALU_DEP_4)
	v_add3_u32 v12, v7, v12, 0x7fff
	v_cndmask_b32_e32 v8, 0x7f800000, v15, vcc_lo
	v_cmp_nlt_f32_e32 vcc_lo, 0x42b17218, v4
	v_lshrrev_b32_e32 v13, 16, v13
	s_delay_alu instid0(VALU_DEP_4) | instskip(SKIP_4) | instid1(VALU_DEP_4)
	v_lshrrev_b32_e32 v12, 16, v12
	v_bfe_u32 v15, v3, 16, 1
	v_bfe_u32 v14, v8, 16, 1
	v_cndmask_b32_e32 v4, 0x7f800000, v16, vcc_lo
	v_cmp_nlt_f32_e32 vcc_lo, 0x42b17218, v9
	v_add3_u32 v15, v3, v15, 0x7fff
	s_delay_alu instid0(VALU_DEP_4) | instskip(SKIP_3) | instid1(VALU_DEP_4)
	v_add3_u32 v14, v8, v14, 0x7fff
	v_cndmask_b32_e32 v9, 0x7f800000, v17, vcc_lo
	v_cmp_o_f32_e32 vcc_lo, v6, v6
	v_bfe_u32 v17, v4, 16, 1
	v_lshrrev_b32_e32 v14, 16, v14
	v_lshrrev_b32_e32 v15, 16, v15
	v_bfe_u32 v16, v9, 16, 1
	v_cndmask_b32_e32 v6, 0x7fc0, v10, vcc_lo
	v_cmp_o_f32_e32 vcc_lo, v7, v7
	v_add3_u32 v17, v4, v17, 0x7fff
	s_delay_alu instid0(VALU_DEP_4) | instskip(SKIP_2) | instid1(VALU_DEP_4)
	v_add3_u32 v16, v9, v16, 0x7fff
	v_cndmask_b32_e32 v7, 0x7fc0, v12, vcc_lo
	v_cmp_o_f32_e32 vcc_lo, v2, v2
	v_lshrrev_b32_e32 v17, 16, v17
	s_delay_alu instid0(VALU_DEP_4) | instskip(SKIP_2) | instid1(VALU_DEP_2)
	v_lshrrev_b32_e32 v16, 16, v16
	v_cndmask_b32_e32 v2, 0x7fc0, v13, vcc_lo
	v_cmp_o_f32_e32 vcc_lo, v8, v8
	v_perm_b32 v2, v7, v2, 0x5040100
	v_cndmask_b32_e32 v8, 0x7fc0, v14, vcc_lo
	v_cmp_o_f32_e32 vcc_lo, v9, v9
	v_cndmask_b32_e32 v9, 0x7fc0, v16, vcc_lo
	v_cmp_o_f32_e32 vcc_lo, v4, v4
	;; [unrolled: 2-line block ×3, first 2 shown]
	s_delay_alu instid0(VALU_DEP_2) | instskip(SKIP_2) | instid1(VALU_DEP_2)
	v_perm_b32 v4, v9, v4, 0x5040100
	v_cndmask_b32_e32 v3, 0x7fc0, v15, vcc_lo
	v_cmp_o_f32_e32 vcc_lo, v1, v1
	v_perm_b32 v3, v8, v3, 0x5040100
	v_cndmask_b32_e32 v1, 0x7fc0, v11, vcc_lo
	s_delay_alu instid0(VALU_DEP_1)
	v_perm_b32 v1, v6, v1, 0x5040100
	global_store_b128 v5, v[1:4], s[10:11]
.LBB98_2:
	s_and_not1_b32 vcc_lo, exec_lo, s0
	s_cbranch_vccnz .LBB98_41
; %bb.3:
	v_cmp_gt_i32_e32 vcc_lo, s8, v0
	v_dual_mov_b32 v8, 0 :: v_dual_mov_b32 v7, 0
	v_or_b32_e32 v1, s2, v0
	v_or_b32_e32 v3, 0x100, v0
	v_mov_b32_e32 v5, v0
	s_and_saveexec_b32 s1, vcc_lo
	s_cbranch_execz .LBB98_5
; %bb.4:
	v_mov_b32_e32 v2, 0
	s_delay_alu instid0(VALU_DEP_1) | instskip(NEXT) | instid1(VALU_DEP_1)
	v_lshlrev_b64 v[4:5], 1, v[1:2]
	v_add_co_u32 v4, s0, s6, v4
	s_delay_alu instid0(VALU_DEP_1)
	v_add_co_ci_u32_e64 v5, s0, s7, v5, s0
	global_load_u16 v7, v[4:5], off
	v_or_b32_e32 v5, 0x100, v0
.LBB98_5:
	s_or_b32 exec_lo, exec_lo, s1
	s_delay_alu instid0(SALU_CYCLE_1) | instskip(NEXT) | instid1(VALU_DEP_1)
	s_mov_b32 s1, exec_lo
	v_cmpx_gt_i32_e64 s8, v5
	s_cbranch_execz .LBB98_7
; %bb.6:
	v_dual_mov_b32 v9, 0 :: v_dual_add_nc_u32 v8, s2, v5
	v_add_nc_u32_e32 v5, 0x100, v5
	s_delay_alu instid0(VALU_DEP_2) | instskip(NEXT) | instid1(VALU_DEP_1)
	v_lshlrev_b64 v[8:9], 1, v[8:9]
	v_add_co_u32 v8, s0, s6, v8
	s_delay_alu instid0(VALU_DEP_1)
	v_add_co_ci_u32_e64 v9, s0, s7, v9, s0
	global_load_u16 v8, v[8:9], off
.LBB98_7:
	s_or_b32 exec_lo, exec_lo, s1
	v_dual_mov_b32 v6, 0 :: v_dual_mov_b32 v11, 0
	s_mov_b32 s1, exec_lo
	v_cmpx_gt_i32_e64 s8, v5
	s_cbranch_execz .LBB98_9
; %bb.8:
	v_dual_mov_b32 v10, 0 :: v_dual_add_nc_u32 v9, s2, v5
	v_add_nc_u32_e32 v5, 0x100, v5
	s_delay_alu instid0(VALU_DEP_2) | instskip(NEXT) | instid1(VALU_DEP_1)
	v_lshlrev_b64 v[9:10], 1, v[9:10]
	v_add_co_u32 v9, s0, s6, v9
	s_delay_alu instid0(VALU_DEP_1)
	v_add_co_ci_u32_e64 v10, s0, s7, v10, s0
	global_load_u16 v11, v[9:10], off
.LBB98_9:
	s_or_b32 exec_lo, exec_lo, s1
	s_delay_alu instid0(SALU_CYCLE_1)
	s_mov_b32 s1, exec_lo
	v_cmpx_gt_i32_e64 s8, v5
	s_cbranch_execz .LBB98_11
; %bb.10:
	v_dual_mov_b32 v10, 0 :: v_dual_add_nc_u32 v9, s2, v5
	v_add_nc_u32_e32 v5, 0x100, v5
	s_delay_alu instid0(VALU_DEP_2) | instskip(NEXT) | instid1(VALU_DEP_1)
	v_lshlrev_b64 v[9:10], 1, v[9:10]
	v_add_co_u32 v9, s0, s6, v9
	s_delay_alu instid0(VALU_DEP_1)
	v_add_co_ci_u32_e64 v10, s0, s7, v10, s0
	global_load_u16 v6, v[9:10], off
.LBB98_11:
	s_or_b32 exec_lo, exec_lo, s1
	v_mov_b32_e32 v4, 0
	v_mov_b32_e32 v10, 0
	s_mov_b32 s1, exec_lo
	v_cmpx_gt_i32_e64 s8, v5
	s_cbranch_execz .LBB98_13
; %bb.12:
	v_dual_mov_b32 v10, 0 :: v_dual_add_nc_u32 v9, s2, v5
	v_add_nc_u32_e32 v5, 0x100, v5
	s_delay_alu instid0(VALU_DEP_2) | instskip(NEXT) | instid1(VALU_DEP_1)
	v_lshlrev_b64 v[9:10], 1, v[9:10]
	v_add_co_u32 v9, s0, s6, v9
	s_delay_alu instid0(VALU_DEP_1)
	v_add_co_ci_u32_e64 v10, s0, s7, v10, s0
	global_load_u16 v10, v[9:10], off
.LBB98_13:
	s_or_b32 exec_lo, exec_lo, s1
	s_delay_alu instid0(SALU_CYCLE_1)
	s_mov_b32 s1, exec_lo
	v_cmpx_gt_i32_e64 s8, v5
	s_cbranch_execz .LBB98_15
; %bb.14:
	v_dual_mov_b32 v13, 0 :: v_dual_add_nc_u32 v12, s2, v5
	v_add_nc_u32_e32 v5, 0x100, v5
	s_delay_alu instid0(VALU_DEP_2) | instskip(NEXT) | instid1(VALU_DEP_1)
	v_lshlrev_b64 v[12:13], 1, v[12:13]
	v_add_co_u32 v12, s0, s6, v12
	s_delay_alu instid0(VALU_DEP_1)
	v_add_co_ci_u32_e64 v13, s0, s7, v13, s0
	global_load_u16 v4, v[12:13], off
.LBB98_15:
	s_or_b32 exec_lo, exec_lo, s1
	v_dual_mov_b32 v2, 0 :: v_dual_mov_b32 v9, 0
	s_mov_b32 s1, exec_lo
	v_cmpx_gt_i32_e64 s8, v5
	s_cbranch_execz .LBB98_42
; %bb.16:
	v_dual_mov_b32 v13, 0 :: v_dual_add_nc_u32 v12, s2, v5
	v_add_nc_u32_e32 v5, 0x100, v5
	s_delay_alu instid0(VALU_DEP_2) | instskip(NEXT) | instid1(VALU_DEP_1)
	v_lshlrev_b64 v[12:13], 1, v[12:13]
	v_add_co_u32 v12, s0, s6, v12
	s_delay_alu instid0(VALU_DEP_1) | instskip(SKIP_2) | instid1(SALU_CYCLE_1)
	v_add_co_ci_u32_e64 v13, s0, s7, v13, s0
	global_load_u16 v9, v[12:13], off
	s_or_b32 exec_lo, exec_lo, s1
	s_mov_b32 s1, exec_lo
	v_cmpx_gt_i32_e64 s8, v5
	s_cbranch_execnz .LBB98_43
.LBB98_17:
	s_or_b32 exec_lo, exec_lo, s1
                                        ; implicit-def: $vgpr5
	s_and_saveexec_b32 s1, vcc_lo
	s_cbranch_execz .LBB98_19
.LBB98_18:
	s_waitcnt vmcnt(0)
	v_lshlrev_b32_e32 v5, 16, v7
	s_delay_alu instid0(VALU_DEP_1) | instskip(SKIP_1) | instid1(VALU_DEP_2)
	v_mul_f32_e32 v7, 0x3fb8aa3b, v5
	v_cmp_ngt_f32_e64 s0, 0xc2ce8ed0, v5
	v_rndne_f32_e32 v12, v7
	v_fma_f32 v13, 0x3fb8aa3b, v5, -v7
	s_delay_alu instid0(VALU_DEP_2) | instskip(NEXT) | instid1(VALU_DEP_2)
	v_sub_f32_e32 v7, v7, v12
	v_fmamk_f32 v13, v5, 0x32a5705f, v13
	v_cvt_i32_f32_e32 v12, v12
	s_delay_alu instid0(VALU_DEP_2) | instskip(NEXT) | instid1(VALU_DEP_1)
	v_add_f32_e32 v7, v7, v13
	v_exp_f32_e32 v7, v7
	s_waitcnt_depctr 0xfff
	v_ldexp_f32 v7, v7, v12
	s_delay_alu instid0(VALU_DEP_1) | instskip(SKIP_1) | instid1(VALU_DEP_1)
	v_cndmask_b32_e64 v7, 0, v7, s0
	v_cmp_nlt_f32_e64 s0, 0x42b17218, v5
	v_cndmask_b32_e64 v5, 0x7f800000, v7, s0
	s_delay_alu instid0(VALU_DEP_1) | instskip(SKIP_1) | instid1(VALU_DEP_2)
	v_bfe_u32 v7, v5, 16, 1
	v_cmp_o_f32_e64 s0, v5, v5
	v_add3_u32 v7, v5, v7, 0x7fff
	s_delay_alu instid0(VALU_DEP_1) | instskip(NEXT) | instid1(VALU_DEP_1)
	v_lshrrev_b32_e32 v7, 16, v7
	v_cndmask_b32_e64 v5, 0x7fc0, v7, s0
.LBB98_19:
	s_or_b32 exec_lo, exec_lo, s1
	s_delay_alu instid0(SALU_CYCLE_1)
	s_mov_b32 s1, exec_lo
                                        ; implicit-def: $vgpr7
	v_cmpx_gt_i32_e64 s8, v3
	s_cbranch_execz .LBB98_21
; %bb.20:
	s_waitcnt vmcnt(0)
	v_lshlrev_b32_e32 v7, 16, v8
	s_delay_alu instid0(VALU_DEP_1) | instskip(NEXT) | instid1(VALU_DEP_1)
	v_mul_f32_e32 v8, 0x3fb8aa3b, v7
	v_rndne_f32_e32 v12, v8
	v_fma_f32 v13, 0x3fb8aa3b, v7, -v8
	s_delay_alu instid0(VALU_DEP_1) | instskip(SKIP_1) | instid1(VALU_DEP_2)
	v_dual_sub_f32 v8, v8, v12 :: v_dual_fmamk_f32 v13, v7, 0x32a5705f, v13
	v_cvt_i32_f32_e32 v12, v12
	v_add_f32_e32 v8, v8, v13
	v_cmp_ngt_f32_e64 s0, 0xc2ce8ed0, v7
	s_delay_alu instid0(VALU_DEP_2) | instskip(SKIP_2) | instid1(VALU_DEP_1)
	v_exp_f32_e32 v8, v8
	s_waitcnt_depctr 0xfff
	v_ldexp_f32 v8, v8, v12
	v_cndmask_b32_e64 v8, 0, v8, s0
	v_cmp_nlt_f32_e64 s0, 0x42b17218, v7
	s_delay_alu instid0(VALU_DEP_1) | instskip(NEXT) | instid1(VALU_DEP_1)
	v_cndmask_b32_e64 v7, 0x7f800000, v8, s0
	v_bfe_u32 v8, v7, 16, 1
	v_cmp_o_f32_e64 s0, v7, v7
	s_delay_alu instid0(VALU_DEP_2) | instskip(NEXT) | instid1(VALU_DEP_1)
	v_add3_u32 v8, v7, v8, 0x7fff
	v_lshrrev_b32_e32 v8, 16, v8
	s_delay_alu instid0(VALU_DEP_1)
	v_cndmask_b32_e64 v7, 0x7fc0, v8, s0
.LBB98_21:
	s_or_b32 exec_lo, exec_lo, s1
	s_waitcnt vmcnt(0)
	v_or_b32_e32 v8, 0x200, v0
	s_delay_alu instid0(VALU_DEP_1) | instskip(NEXT) | instid1(VALU_DEP_1)
	v_cmp_gt_i32_e64 s0, s8, v8
                                        ; implicit-def: $vgpr8
	s_and_saveexec_b32 s1, s0
	s_cbranch_execz .LBB98_23
; %bb.22:
	v_lshlrev_b32_e32 v8, 16, v11
	s_delay_alu instid0(VALU_DEP_1) | instskip(NEXT) | instid1(VALU_DEP_1)
	v_mul_f32_e32 v11, 0x3fb8aa3b, v8
	v_rndne_f32_e32 v12, v11
	v_fma_f32 v13, 0x3fb8aa3b, v8, -v11
	s_delay_alu instid0(VALU_DEP_2) | instskip(NEXT) | instid1(VALU_DEP_2)
	v_sub_f32_e32 v11, v11, v12
	v_fmamk_f32 v13, v8, 0x32a5705f, v13
	v_cvt_i32_f32_e32 v12, v12
	v_cmp_ngt_f32_e64 s0, 0xc2ce8ed0, v8
	s_delay_alu instid0(VALU_DEP_3) | instskip(NEXT) | instid1(VALU_DEP_1)
	v_add_f32_e32 v11, v11, v13
	v_exp_f32_e32 v11, v11
	s_waitcnt_depctr 0xfff
	v_ldexp_f32 v11, v11, v12
	s_delay_alu instid0(VALU_DEP_1) | instskip(SKIP_1) | instid1(VALU_DEP_1)
	v_cndmask_b32_e64 v11, 0, v11, s0
	v_cmp_nlt_f32_e64 s0, 0x42b17218, v8
	v_cndmask_b32_e64 v8, 0x7f800000, v11, s0
	s_delay_alu instid0(VALU_DEP_1) | instskip(SKIP_1) | instid1(VALU_DEP_2)
	v_bfe_u32 v11, v8, 16, 1
	v_cmp_o_f32_e64 s0, v8, v8
	v_add3_u32 v11, v8, v11, 0x7fff
	s_delay_alu instid0(VALU_DEP_1) | instskip(NEXT) | instid1(VALU_DEP_1)
	v_lshrrev_b32_e32 v11, 16, v11
	v_cndmask_b32_e64 v8, 0x7fc0, v11, s0
.LBB98_23:
	s_or_b32 exec_lo, exec_lo, s1
	v_or_b32_e32 v11, 0x300, v0
	s_delay_alu instid0(VALU_DEP_1) | instskip(NEXT) | instid1(VALU_DEP_1)
	v_cmp_gt_i32_e64 s0, s8, v11
                                        ; implicit-def: $vgpr11
	s_and_saveexec_b32 s1, s0
	s_cbranch_execz .LBB98_25
; %bb.24:
	v_lshlrev_b32_e32 v6, 16, v6
	s_delay_alu instid0(VALU_DEP_1) | instskip(NEXT) | instid1(VALU_DEP_1)
	v_mul_f32_e32 v11, 0x3fb8aa3b, v6
	v_rndne_f32_e32 v12, v11
	v_fma_f32 v13, 0x3fb8aa3b, v6, -v11
	s_delay_alu instid0(VALU_DEP_2) | instskip(NEXT) | instid1(VALU_DEP_2)
	v_sub_f32_e32 v11, v11, v12
	v_fmamk_f32 v13, v6, 0x32a5705f, v13
	v_cvt_i32_f32_e32 v12, v12
	v_cmp_ngt_f32_e64 s0, 0xc2ce8ed0, v6
	s_delay_alu instid0(VALU_DEP_3) | instskip(NEXT) | instid1(VALU_DEP_1)
	v_add_f32_e32 v11, v11, v13
	v_exp_f32_e32 v11, v11
	s_waitcnt_depctr 0xfff
	v_ldexp_f32 v11, v11, v12
	s_delay_alu instid0(VALU_DEP_1) | instskip(SKIP_1) | instid1(VALU_DEP_1)
	v_cndmask_b32_e64 v11, 0, v11, s0
	v_cmp_nlt_f32_e64 s0, 0x42b17218, v6
	v_cndmask_b32_e64 v6, 0x7f800000, v11, s0
	s_delay_alu instid0(VALU_DEP_1) | instskip(SKIP_1) | instid1(VALU_DEP_2)
	v_bfe_u32 v11, v6, 16, 1
	v_cmp_o_f32_e64 s0, v6, v6
	v_add3_u32 v11, v6, v11, 0x7fff
	s_delay_alu instid0(VALU_DEP_1) | instskip(NEXT) | instid1(VALU_DEP_1)
	v_lshrrev_b32_e32 v11, 16, v11
	v_cndmask_b32_e64 v11, 0x7fc0, v11, s0
.LBB98_25:
	s_or_b32 exec_lo, exec_lo, s1
	v_or_b32_e32 v6, 0x400, v0
	s_delay_alu instid0(VALU_DEP_1) | instskip(NEXT) | instid1(VALU_DEP_1)
	v_cmp_gt_i32_e64 s0, s8, v6
                                        ; implicit-def: $vgpr6
	s_and_saveexec_b32 s1, s0
	s_cbranch_execz .LBB98_27
; %bb.26:
	v_lshlrev_b32_e32 v6, 16, v10
	s_delay_alu instid0(VALU_DEP_1) | instskip(SKIP_1) | instid1(VALU_DEP_2)
	v_mul_f32_e32 v10, 0x3fb8aa3b, v6
	v_cmp_ngt_f32_e64 s0, 0xc2ce8ed0, v6
	v_rndne_f32_e32 v12, v10
	v_fma_f32 v13, 0x3fb8aa3b, v6, -v10
	s_delay_alu instid0(VALU_DEP_2) | instskip(NEXT) | instid1(VALU_DEP_2)
	v_sub_f32_e32 v10, v10, v12
	v_fmamk_f32 v13, v6, 0x32a5705f, v13
	v_cvt_i32_f32_e32 v12, v12
	s_delay_alu instid0(VALU_DEP_2) | instskip(NEXT) | instid1(VALU_DEP_1)
	v_add_f32_e32 v10, v10, v13
	v_exp_f32_e32 v10, v10
	s_waitcnt_depctr 0xfff
	v_ldexp_f32 v10, v10, v12
	s_delay_alu instid0(VALU_DEP_1) | instskip(SKIP_1) | instid1(VALU_DEP_1)
	v_cndmask_b32_e64 v10, 0, v10, s0
	v_cmp_nlt_f32_e64 s0, 0x42b17218, v6
	v_cndmask_b32_e64 v6, 0x7f800000, v10, s0
	s_delay_alu instid0(VALU_DEP_1) | instskip(SKIP_1) | instid1(VALU_DEP_2)
	v_bfe_u32 v10, v6, 16, 1
	v_cmp_o_f32_e64 s0, v6, v6
	v_add3_u32 v10, v6, v10, 0x7fff
	s_delay_alu instid0(VALU_DEP_1) | instskip(NEXT) | instid1(VALU_DEP_1)
	v_lshrrev_b32_e32 v10, 16, v10
	v_cndmask_b32_e64 v6, 0x7fc0, v10, s0
.LBB98_27:
	s_or_b32 exec_lo, exec_lo, s1
	v_or_b32_e32 v10, 0x500, v0
	s_delay_alu instid0(VALU_DEP_1) | instskip(NEXT) | instid1(VALU_DEP_1)
	v_cmp_gt_i32_e64 s0, s8, v10
                                        ; implicit-def: $vgpr10
	s_and_saveexec_b32 s1, s0
	s_cbranch_execz .LBB98_29
; %bb.28:
	v_lshlrev_b32_e32 v4, 16, v4
	s_delay_alu instid0(VALU_DEP_1) | instskip(SKIP_1) | instid1(VALU_DEP_2)
	v_mul_f32_e32 v10, 0x3fb8aa3b, v4
	v_cmp_ngt_f32_e64 s0, 0xc2ce8ed0, v4
	v_rndne_f32_e32 v12, v10
	v_fma_f32 v13, 0x3fb8aa3b, v4, -v10
	s_delay_alu instid0(VALU_DEP_1) | instskip(SKIP_1) | instid1(VALU_DEP_2)
	v_dual_sub_f32 v10, v10, v12 :: v_dual_fmamk_f32 v13, v4, 0x32a5705f, v13
	v_cvt_i32_f32_e32 v12, v12
	v_add_f32_e32 v10, v10, v13
	s_delay_alu instid0(VALU_DEP_1) | instskip(SKIP_2) | instid1(VALU_DEP_1)
	v_exp_f32_e32 v10, v10
	s_waitcnt_depctr 0xfff
	v_ldexp_f32 v10, v10, v12
	v_cndmask_b32_e64 v10, 0, v10, s0
	v_cmp_nlt_f32_e64 s0, 0x42b17218, v4
	s_delay_alu instid0(VALU_DEP_1) | instskip(NEXT) | instid1(VALU_DEP_1)
	v_cndmask_b32_e64 v4, 0x7f800000, v10, s0
	v_bfe_u32 v10, v4, 16, 1
	v_cmp_o_f32_e64 s0, v4, v4
	s_delay_alu instid0(VALU_DEP_2) | instskip(NEXT) | instid1(VALU_DEP_1)
	v_add3_u32 v10, v4, v10, 0x7fff
	v_lshrrev_b32_e32 v10, 16, v10
	s_delay_alu instid0(VALU_DEP_1)
	v_cndmask_b32_e64 v10, 0x7fc0, v10, s0
.LBB98_29:
	s_or_b32 exec_lo, exec_lo, s1
	v_or_b32_e32 v4, 0x600, v0
	s_delay_alu instid0(VALU_DEP_1) | instskip(NEXT) | instid1(VALU_DEP_1)
	v_cmp_gt_i32_e64 s0, s8, v4
                                        ; implicit-def: $vgpr4
	s_and_saveexec_b32 s1, s0
	s_cbranch_execz .LBB98_31
; %bb.30:
	v_lshlrev_b32_e32 v4, 16, v9
	s_delay_alu instid0(VALU_DEP_1) | instskip(NEXT) | instid1(VALU_DEP_1)
	v_mul_f32_e32 v9, 0x3fb8aa3b, v4
	v_rndne_f32_e32 v12, v9
	v_fma_f32 v13, 0x3fb8aa3b, v4, -v9
	s_delay_alu instid0(VALU_DEP_2) | instskip(NEXT) | instid1(VALU_DEP_2)
	v_sub_f32_e32 v9, v9, v12
	v_fmamk_f32 v13, v4, 0x32a5705f, v13
	v_cvt_i32_f32_e32 v12, v12
	v_cmp_ngt_f32_e64 s0, 0xc2ce8ed0, v4
	s_delay_alu instid0(VALU_DEP_3) | instskip(NEXT) | instid1(VALU_DEP_1)
	v_add_f32_e32 v9, v9, v13
	v_exp_f32_e32 v9, v9
	s_waitcnt_depctr 0xfff
	v_ldexp_f32 v9, v9, v12
	s_delay_alu instid0(VALU_DEP_1) | instskip(SKIP_1) | instid1(VALU_DEP_1)
	v_cndmask_b32_e64 v9, 0, v9, s0
	v_cmp_nlt_f32_e64 s0, 0x42b17218, v4
	v_cndmask_b32_e64 v4, 0x7f800000, v9, s0
	s_delay_alu instid0(VALU_DEP_1) | instskip(SKIP_1) | instid1(VALU_DEP_2)
	v_bfe_u32 v9, v4, 16, 1
	v_cmp_o_f32_e64 s0, v4, v4
	v_add3_u32 v9, v4, v9, 0x7fff
	s_delay_alu instid0(VALU_DEP_1) | instskip(NEXT) | instid1(VALU_DEP_1)
	v_lshrrev_b32_e32 v9, 16, v9
	v_cndmask_b32_e64 v4, 0x7fc0, v9, s0
.LBB98_31:
	s_or_b32 exec_lo, exec_lo, s1
	v_or_b32_e32 v9, 0x700, v0
	s_delay_alu instid0(VALU_DEP_1) | instskip(NEXT) | instid1(VALU_DEP_1)
	v_cmp_gt_i32_e64 s0, s8, v9
                                        ; implicit-def: $vgpr9
	s_and_saveexec_b32 s1, s0
	s_cbranch_execz .LBB98_44
; %bb.32:
	v_lshlrev_b32_e32 v2, 16, v2
	s_delay_alu instid0(VALU_DEP_1) | instskip(NEXT) | instid1(VALU_DEP_1)
	v_mul_f32_e32 v9, 0x3fb8aa3b, v2
	v_rndne_f32_e32 v12, v9
	v_fma_f32 v13, 0x3fb8aa3b, v2, -v9
	s_delay_alu instid0(VALU_DEP_2) | instskip(NEXT) | instid1(VALU_DEP_2)
	v_sub_f32_e32 v9, v9, v12
	v_fmamk_f32 v13, v2, 0x32a5705f, v13
	v_cvt_i32_f32_e32 v12, v12
	v_cmp_ngt_f32_e64 s0, 0xc2ce8ed0, v2
	s_delay_alu instid0(VALU_DEP_3) | instskip(NEXT) | instid1(VALU_DEP_1)
	v_add_f32_e32 v9, v9, v13
	v_exp_f32_e32 v9, v9
	s_waitcnt_depctr 0xfff
	v_ldexp_f32 v9, v9, v12
	s_delay_alu instid0(VALU_DEP_1) | instskip(SKIP_1) | instid1(VALU_DEP_1)
	v_cndmask_b32_e64 v9, 0, v9, s0
	v_cmp_nlt_f32_e64 s0, 0x42b17218, v2
	v_cndmask_b32_e64 v2, 0x7f800000, v9, s0
	s_delay_alu instid0(VALU_DEP_1) | instskip(SKIP_1) | instid1(VALU_DEP_2)
	v_bfe_u32 v9, v2, 16, 1
	v_cmp_o_f32_e64 s0, v2, v2
	v_add3_u32 v9, v2, v9, 0x7fff
	s_delay_alu instid0(VALU_DEP_1) | instskip(NEXT) | instid1(VALU_DEP_1)
	v_lshrrev_b32_e32 v9, 16, v9
	v_cndmask_b32_e64 v9, 0x7fc0, v9, s0
	s_or_b32 exec_lo, exec_lo, s1
	s_and_saveexec_b32 s0, vcc_lo
	s_delay_alu instid0(SALU_CYCLE_1)
	s_xor_b32 s0, exec_lo, s0
	s_cbranch_execnz .LBB98_45
.LBB98_33:
	s_or_b32 exec_lo, exec_lo, s0
	s_delay_alu instid0(SALU_CYCLE_1)
	s_mov_b32 s0, exec_lo
	v_cmpx_gt_i32_e64 s8, v0
	s_cbranch_execz .LBB98_46
.LBB98_34:
	v_dual_mov_b32 v2, 0 :: v_dual_add_nc_u32 v1, s2, v0
	v_add_nc_u32_e32 v0, 0x100, v0
	s_delay_alu instid0(VALU_DEP_2) | instskip(NEXT) | instid1(VALU_DEP_1)
	v_lshlrev_b64 v[1:2], 1, v[1:2]
	v_add_co_u32 v1, vcc_lo, s4, v1
	s_delay_alu instid0(VALU_DEP_2) | instskip(SKIP_2) | instid1(SALU_CYCLE_1)
	v_add_co_ci_u32_e32 v2, vcc_lo, s5, v2, vcc_lo
	global_store_b16 v[1:2], v7, off
	s_or_b32 exec_lo, exec_lo, s0
	s_mov_b32 s0, exec_lo
	v_cmpx_gt_i32_e64 s8, v0
	s_cbranch_execnz .LBB98_47
.LBB98_35:
	s_or_b32 exec_lo, exec_lo, s0
	s_delay_alu instid0(SALU_CYCLE_1)
	s_mov_b32 s0, exec_lo
	v_cmpx_gt_i32_e64 s8, v0
	s_cbranch_execz .LBB98_48
.LBB98_36:
	v_dual_mov_b32 v2, 0 :: v_dual_add_nc_u32 v1, s2, v0
	v_add_nc_u32_e32 v0, 0x100, v0
	s_delay_alu instid0(VALU_DEP_2) | instskip(NEXT) | instid1(VALU_DEP_1)
	v_lshlrev_b64 v[1:2], 1, v[1:2]
	v_add_co_u32 v1, vcc_lo, s4, v1
	s_delay_alu instid0(VALU_DEP_2) | instskip(SKIP_2) | instid1(SALU_CYCLE_1)
	v_add_co_ci_u32_e32 v2, vcc_lo, s5, v2, vcc_lo
	global_store_b16 v[1:2], v11, off
	s_or_b32 exec_lo, exec_lo, s0
	s_mov_b32 s0, exec_lo
	v_cmpx_gt_i32_e64 s8, v0
	s_cbranch_execnz .LBB98_49
.LBB98_37:
	s_or_b32 exec_lo, exec_lo, s0
	s_delay_alu instid0(SALU_CYCLE_1)
	s_mov_b32 s0, exec_lo
	v_cmpx_gt_i32_e64 s8, v0
	s_cbranch_execz .LBB98_50
.LBB98_38:
	v_dual_mov_b32 v2, 0 :: v_dual_add_nc_u32 v1, s2, v0
	v_add_nc_u32_e32 v0, 0x100, v0
	s_delay_alu instid0(VALU_DEP_2) | instskip(NEXT) | instid1(VALU_DEP_1)
	v_lshlrev_b64 v[1:2], 1, v[1:2]
	v_add_co_u32 v1, vcc_lo, s4, v1
	s_delay_alu instid0(VALU_DEP_2) | instskip(SKIP_2) | instid1(SALU_CYCLE_1)
	v_add_co_ci_u32_e32 v2, vcc_lo, s5, v2, vcc_lo
	global_store_b16 v[1:2], v10, off
	s_or_b32 exec_lo, exec_lo, s0
	s_mov_b32 s0, exec_lo
	v_cmpx_gt_i32_e64 s8, v0
	s_cbranch_execnz .LBB98_51
.LBB98_39:
	s_or_b32 exec_lo, exec_lo, s0
	s_delay_alu instid0(SALU_CYCLE_1)
	s_mov_b32 s0, exec_lo
	v_cmpx_gt_i32_e64 s8, v0
	s_cbranch_execz .LBB98_41
.LBB98_40:
	v_dual_mov_b32 v1, 0 :: v_dual_add_nc_u32 v0, s2, v0
	s_delay_alu instid0(VALU_DEP_1) | instskip(NEXT) | instid1(VALU_DEP_1)
	v_lshlrev_b64 v[0:1], 1, v[0:1]
	v_add_co_u32 v0, vcc_lo, s4, v0
	s_delay_alu instid0(VALU_DEP_2)
	v_add_co_ci_u32_e32 v1, vcc_lo, s5, v1, vcc_lo
	global_store_b16 v[0:1], v9, off
.LBB98_41:
	s_nop 0
	s_sendmsg sendmsg(MSG_DEALLOC_VGPRS)
	s_endpgm
.LBB98_42:
	s_or_b32 exec_lo, exec_lo, s1
	s_delay_alu instid0(SALU_CYCLE_1)
	s_mov_b32 s1, exec_lo
	v_cmpx_gt_i32_e64 s8, v5
	s_cbranch_execz .LBB98_17
.LBB98_43:
	v_dual_mov_b32 v13, 0 :: v_dual_add_nc_u32 v12, s2, v5
	s_delay_alu instid0(VALU_DEP_1) | instskip(NEXT) | instid1(VALU_DEP_1)
	v_lshlrev_b64 v[12:13], 1, v[12:13]
	v_add_co_u32 v12, s0, s6, v12
	s_delay_alu instid0(VALU_DEP_1)
	v_add_co_ci_u32_e64 v13, s0, s7, v13, s0
	global_load_u16 v2, v[12:13], off
	s_or_b32 exec_lo, exec_lo, s1
                                        ; implicit-def: $vgpr5
	s_and_saveexec_b32 s1, vcc_lo
	s_cbranch_execz .LBB98_19
	s_branch .LBB98_18
.LBB98_44:
	s_or_b32 exec_lo, exec_lo, s1
	s_and_saveexec_b32 s0, vcc_lo
	s_delay_alu instid0(SALU_CYCLE_1)
	s_xor_b32 s0, exec_lo, s0
	s_cbranch_execz .LBB98_33
.LBB98_45:
	v_mov_b32_e32 v2, 0
	s_delay_alu instid0(VALU_DEP_1) | instskip(NEXT) | instid1(VALU_DEP_1)
	v_lshlrev_b64 v[0:1], 1, v[1:2]
	v_add_co_u32 v12, vcc_lo, s4, v0
	s_delay_alu instid0(VALU_DEP_2) | instskip(SKIP_3) | instid1(SALU_CYCLE_1)
	v_add_co_ci_u32_e32 v13, vcc_lo, s5, v1, vcc_lo
	v_mov_b32_e32 v0, v3
	global_store_b16 v[12:13], v5, off
	s_or_b32 exec_lo, exec_lo, s0
	s_mov_b32 s0, exec_lo
	v_cmpx_gt_i32_e64 s8, v0
	s_cbranch_execnz .LBB98_34
.LBB98_46:
	s_or_b32 exec_lo, exec_lo, s0
	s_delay_alu instid0(SALU_CYCLE_1)
	s_mov_b32 s0, exec_lo
	v_cmpx_gt_i32_e64 s8, v0
	s_cbranch_execz .LBB98_35
.LBB98_47:
	v_dual_mov_b32 v2, 0 :: v_dual_add_nc_u32 v1, s2, v0
	v_add_nc_u32_e32 v0, 0x100, v0
	s_delay_alu instid0(VALU_DEP_2) | instskip(NEXT) | instid1(VALU_DEP_1)
	v_lshlrev_b64 v[1:2], 1, v[1:2]
	v_add_co_u32 v1, vcc_lo, s4, v1
	s_delay_alu instid0(VALU_DEP_2) | instskip(SKIP_2) | instid1(SALU_CYCLE_1)
	v_add_co_ci_u32_e32 v2, vcc_lo, s5, v2, vcc_lo
	global_store_b16 v[1:2], v8, off
	s_or_b32 exec_lo, exec_lo, s0
	s_mov_b32 s0, exec_lo
	v_cmpx_gt_i32_e64 s8, v0
	s_cbranch_execnz .LBB98_36
.LBB98_48:
	s_or_b32 exec_lo, exec_lo, s0
	s_delay_alu instid0(SALU_CYCLE_1)
	s_mov_b32 s0, exec_lo
	v_cmpx_gt_i32_e64 s8, v0
	s_cbranch_execz .LBB98_37
.LBB98_49:
	v_dual_mov_b32 v2, 0 :: v_dual_add_nc_u32 v1, s2, v0
	v_add_nc_u32_e32 v0, 0x100, v0
	s_delay_alu instid0(VALU_DEP_2) | instskip(NEXT) | instid1(VALU_DEP_1)
	v_lshlrev_b64 v[1:2], 1, v[1:2]
	v_add_co_u32 v1, vcc_lo, s4, v1
	s_delay_alu instid0(VALU_DEP_2) | instskip(SKIP_2) | instid1(SALU_CYCLE_1)
	v_add_co_ci_u32_e32 v2, vcc_lo, s5, v2, vcc_lo
	global_store_b16 v[1:2], v6, off
	s_or_b32 exec_lo, exec_lo, s0
	s_mov_b32 s0, exec_lo
	v_cmpx_gt_i32_e64 s8, v0
	s_cbranch_execnz .LBB98_38
.LBB98_50:
	s_or_b32 exec_lo, exec_lo, s0
	s_delay_alu instid0(SALU_CYCLE_1)
	s_mov_b32 s0, exec_lo
	v_cmpx_gt_i32_e64 s8, v0
	s_cbranch_execz .LBB98_39
.LBB98_51:
	v_dual_mov_b32 v2, 0 :: v_dual_add_nc_u32 v1, s2, v0
	v_add_nc_u32_e32 v0, 0x100, v0
	s_delay_alu instid0(VALU_DEP_2) | instskip(NEXT) | instid1(VALU_DEP_1)
	v_lshlrev_b64 v[1:2], 1, v[1:2]
	v_add_co_u32 v1, vcc_lo, s4, v1
	s_delay_alu instid0(VALU_DEP_2) | instskip(SKIP_2) | instid1(SALU_CYCLE_1)
	v_add_co_ci_u32_e32 v2, vcc_lo, s5, v2, vcc_lo
	global_store_b16 v[1:2], v4, off
	s_or_b32 exec_lo, exec_lo, s0
	s_mov_b32 s0, exec_lo
	v_cmpx_gt_i32_e64 s8, v0
	s_cbranch_execnz .LBB98_40
	s_branch .LBB98_41
	.section	.rodata,"a",@progbits
	.p2align	6, 0x0
	.amdhsa_kernel _ZN2at6native29vectorized_elementwise_kernelILi16EZZZNS0_15exp_kernel_cudaERNS_18TensorIteratorBaseEENKUlvE0_clEvENKUlvE2_clEvEUlN3c108BFloat16EE_St5arrayIPcLm2EEEEviT0_T1_
		.amdhsa_group_segment_fixed_size 0
		.amdhsa_private_segment_fixed_size 0
		.amdhsa_kernarg_size 24
		.amdhsa_user_sgpr_count 15
		.amdhsa_user_sgpr_dispatch_ptr 0
		.amdhsa_user_sgpr_queue_ptr 0
		.amdhsa_user_sgpr_kernarg_segment_ptr 1
		.amdhsa_user_sgpr_dispatch_id 0
		.amdhsa_user_sgpr_private_segment_size 0
		.amdhsa_wavefront_size32 1
		.amdhsa_uses_dynamic_stack 0
		.amdhsa_enable_private_segment 0
		.amdhsa_system_sgpr_workgroup_id_x 1
		.amdhsa_system_sgpr_workgroup_id_y 0
		.amdhsa_system_sgpr_workgroup_id_z 0
		.amdhsa_system_sgpr_workgroup_info 0
		.amdhsa_system_vgpr_workitem_id 0
		.amdhsa_next_free_vgpr 34
		.amdhsa_next_free_sgpr 16
		.amdhsa_reserve_vcc 1
		.amdhsa_float_round_mode_32 0
		.amdhsa_float_round_mode_16_64 0
		.amdhsa_float_denorm_mode_32 3
		.amdhsa_float_denorm_mode_16_64 3
		.amdhsa_dx10_clamp 1
		.amdhsa_ieee_mode 1
		.amdhsa_fp16_overflow 0
		.amdhsa_workgroup_processor_mode 1
		.amdhsa_memory_ordered 1
		.amdhsa_forward_progress 0
		.amdhsa_shared_vgpr_count 0
		.amdhsa_exception_fp_ieee_invalid_op 0
		.amdhsa_exception_fp_denorm_src 0
		.amdhsa_exception_fp_ieee_div_zero 0
		.amdhsa_exception_fp_ieee_overflow 0
		.amdhsa_exception_fp_ieee_underflow 0
		.amdhsa_exception_fp_ieee_inexact 0
		.amdhsa_exception_int_div_zero 0
	.end_amdhsa_kernel
	.section	.text._ZN2at6native29vectorized_elementwise_kernelILi16EZZZNS0_15exp_kernel_cudaERNS_18TensorIteratorBaseEENKUlvE0_clEvENKUlvE2_clEvEUlN3c108BFloat16EE_St5arrayIPcLm2EEEEviT0_T1_,"axG",@progbits,_ZN2at6native29vectorized_elementwise_kernelILi16EZZZNS0_15exp_kernel_cudaERNS_18TensorIteratorBaseEENKUlvE0_clEvENKUlvE2_clEvEUlN3c108BFloat16EE_St5arrayIPcLm2EEEEviT0_T1_,comdat
.Lfunc_end98:
	.size	_ZN2at6native29vectorized_elementwise_kernelILi16EZZZNS0_15exp_kernel_cudaERNS_18TensorIteratorBaseEENKUlvE0_clEvENKUlvE2_clEvEUlN3c108BFloat16EE_St5arrayIPcLm2EEEEviT0_T1_, .Lfunc_end98-_ZN2at6native29vectorized_elementwise_kernelILi16EZZZNS0_15exp_kernel_cudaERNS_18TensorIteratorBaseEENKUlvE0_clEvENKUlvE2_clEvEUlN3c108BFloat16EE_St5arrayIPcLm2EEEEviT0_T1_
                                        ; -- End function
	.section	.AMDGPU.csdata,"",@progbits
; Kernel info:
; codeLenInByte = 4364
; NumSgprs: 18
; NumVgprs: 34
; ScratchSize: 0
; MemoryBound: 0
; FloatMode: 240
; IeeeMode: 1
; LDSByteSize: 0 bytes/workgroup (compile time only)
; SGPRBlocks: 2
; VGPRBlocks: 4
; NumSGPRsForWavesPerEU: 18
; NumVGPRsForWavesPerEU: 34
; Occupancy: 16
; WaveLimiterHint : 0
; COMPUTE_PGM_RSRC2:SCRATCH_EN: 0
; COMPUTE_PGM_RSRC2:USER_SGPR: 15
; COMPUTE_PGM_RSRC2:TRAP_HANDLER: 0
; COMPUTE_PGM_RSRC2:TGID_X_EN: 1
; COMPUTE_PGM_RSRC2:TGID_Y_EN: 0
; COMPUTE_PGM_RSRC2:TGID_Z_EN: 0
; COMPUTE_PGM_RSRC2:TIDIG_COMP_CNT: 0
	.section	.text._ZN2at6native29vectorized_elementwise_kernelILi8EZZZNS0_15exp_kernel_cudaERNS_18TensorIteratorBaseEENKUlvE0_clEvENKUlvE2_clEvEUlN3c108BFloat16EE_St5arrayIPcLm2EEEEviT0_T1_,"axG",@progbits,_ZN2at6native29vectorized_elementwise_kernelILi8EZZZNS0_15exp_kernel_cudaERNS_18TensorIteratorBaseEENKUlvE0_clEvENKUlvE2_clEvEUlN3c108BFloat16EE_St5arrayIPcLm2EEEEviT0_T1_,comdat
	.globl	_ZN2at6native29vectorized_elementwise_kernelILi8EZZZNS0_15exp_kernel_cudaERNS_18TensorIteratorBaseEENKUlvE0_clEvENKUlvE2_clEvEUlN3c108BFloat16EE_St5arrayIPcLm2EEEEviT0_T1_ ; -- Begin function _ZN2at6native29vectorized_elementwise_kernelILi8EZZZNS0_15exp_kernel_cudaERNS_18TensorIteratorBaseEENKUlvE0_clEvENKUlvE2_clEvEUlN3c108BFloat16EE_St5arrayIPcLm2EEEEviT0_T1_
	.p2align	8
	.type	_ZN2at6native29vectorized_elementwise_kernelILi8EZZZNS0_15exp_kernel_cudaERNS_18TensorIteratorBaseEENKUlvE0_clEvENKUlvE2_clEvEUlN3c108BFloat16EE_St5arrayIPcLm2EEEEviT0_T1_,@function
_ZN2at6native29vectorized_elementwise_kernelILi8EZZZNS0_15exp_kernel_cudaERNS_18TensorIteratorBaseEENKUlvE0_clEvENKUlvE2_clEvEUlN3c108BFloat16EE_St5arrayIPcLm2EEEEviT0_T1_: ; @_ZN2at6native29vectorized_elementwise_kernelILi8EZZZNS0_15exp_kernel_cudaERNS_18TensorIteratorBaseEENKUlvE0_clEvENKUlvE2_clEvEUlN3c108BFloat16EE_St5arrayIPcLm2EEEEviT0_T1_
; %bb.0:
	s_clause 0x1
	s_load_b32 s3, s[0:1], 0x0
	s_load_b128 s[4:7], s[0:1], 0x8
	s_lshl_b32 s2, s15, 11
	s_mov_b32 s0, -1
	s_waitcnt lgkmcnt(0)
	s_sub_i32 s8, s3, s2
	s_delay_alu instid0(SALU_CYCLE_1)
	s_cmpk_gt_i32 s8, 0x7ff
	s_cbranch_scc0 .LBB99_2
; %bb.1:
	s_ashr_i32 s3, s2, 31
	v_lshlrev_b32_e32 v5, 4, v0
	s_lshl_b64 s[0:1], s[2:3], 1
	s_delay_alu instid0(SALU_CYCLE_1)
	s_add_u32 s10, s6, s0
	s_addc_u32 s11, s7, s1
	global_load_b128 v[1:4], v5, s[10:11]
	s_add_u32 s10, s4, s0
	s_addc_u32 s11, s5, s1
	s_mov_b32 s0, 0
	s_waitcnt vmcnt(0)
	v_and_b32_e32 v7, 0xffff0000, v2
	v_lshlrev_b32_e32 v2, 16, v2
	v_and_b32_e32 v6, 0xffff0000, v1
	s_delay_alu instid0(VALU_DEP_2) | instskip(NEXT) | instid1(VALU_DEP_1)
	v_dual_mul_f32 v12, 0x3fb8aa3b, v2 :: v_dual_lshlrev_b32 v1, 16, v1
	v_dual_mul_f32 v11, 0x3fb8aa3b, v6 :: v_dual_mul_f32 v10, 0x3fb8aa3b, v1
	v_cmp_ngt_f32_e32 vcc_lo, 0xc2ce8ed0, v1
	s_delay_alu instid0(VALU_DEP_3)
	v_rndne_f32_e32 v23, v12
	v_and_b32_e32 v9, 0xffff0000, v4
	v_lshlrev_b32_e32 v4, 16, v4
	v_rndne_f32_e32 v19, v10
	v_rndne_f32_e32 v21, v11
	v_and_b32_e32 v8, 0xffff0000, v3
	s_delay_alu instid0(VALU_DEP_4) | instskip(SKIP_1) | instid1(VALU_DEP_4)
	v_dual_mul_f32 v16, 0x3fb8aa3b, v4 :: v_dual_lshlrev_b32 v3, 16, v3
	v_fma_f32 v20, 0x3fb8aa3b, v6, -v11
	v_sub_f32_e32 v11, v11, v21
	s_delay_alu instid0(VALU_DEP_3)
	v_dual_mul_f32 v15, 0x3fb8aa3b, v8 :: v_dual_mul_f32 v14, 0x3fb8aa3b, v3
	v_fma_f32 v18, 0x3fb8aa3b, v1, -v10
	v_sub_f32_e32 v10, v10, v19
	v_mul_f32_e32 v13, 0x3fb8aa3b, v7
	v_fma_f32 v22, 0x3fb8aa3b, v2, -v12
	v_rndne_f32_e32 v27, v14
	v_dual_sub_f32 v12, v12, v23 :: v_dual_mul_f32 v17, 0x3fb8aa3b, v9
	s_delay_alu instid0(VALU_DEP_4)
	v_fma_f32 v24, 0x3fb8aa3b, v7, -v13
	v_rndne_f32_e32 v25, v13
	v_fma_f32 v26, 0x3fb8aa3b, v3, -v14
	v_sub_f32_e32 v14, v14, v27
	v_rndne_f32_e32 v33, v17
	v_fma_f32 v32, 0x3fb8aa3b, v9, -v17
	v_dual_fmac_f32 v20, 0x32a5705f, v6 :: v_dual_sub_f32 v13, v13, v25
	s_delay_alu instid0(VALU_DEP_3) | instskip(NEXT) | instid1(VALU_DEP_2)
	v_dual_fmac_f32 v24, 0x32a5705f, v7 :: v_dual_sub_f32 v17, v17, v33
	v_dual_fmac_f32 v18, 0x32a5705f, v1 :: v_dual_add_f32 v11, v11, v20
	v_cvt_i32_f32_e32 v19, v19
	s_delay_alu instid0(VALU_DEP_3) | instskip(SKIP_1) | instid1(VALU_DEP_4)
	v_add_f32_e32 v13, v13, v24
	v_rndne_f32_e32 v29, v15
	v_add_f32_e32 v10, v10, v18
	v_exp_f32_e32 v11, v11
	v_cvt_i32_f32_e32 v21, v21
	v_fmac_f32_e32 v22, 0x32a5705f, v2
	v_fma_f32 v28, 0x3fb8aa3b, v8, -v15
	v_sub_f32_e32 v15, v15, v29
	v_exp_f32_e32 v10, v10
	v_cvt_i32_f32_e32 v23, v23
	v_add_f32_e32 v12, v12, v22
	v_exp_f32_e32 v13, v13
	v_cvt_i32_f32_e32 v25, v25
	v_ldexp_f32 v11, v11, v21
	v_fma_f32 v30, 0x3fb8aa3b, v4, -v16
	v_exp_f32_e32 v12, v12
	v_cvt_i32_f32_e32 v27, v27
	v_cvt_i32_f32_e32 v29, v29
	v_ldexp_f32 v10, v10, v19
	v_rndne_f32_e32 v31, v16
	v_cvt_i32_f32_e32 v20, v33
	v_ldexp_f32 v13, v13, v25
	s_delay_alu instid0(VALU_DEP_4)
	v_cndmask_b32_e32 v10, 0, v10, vcc_lo
	v_cmp_ngt_f32_e32 vcc_lo, 0xc2ce8ed0, v6
	v_fmac_f32_e32 v28, 0x32a5705f, v8
	v_ldexp_f32 v12, v12, v23
	v_cvt_i32_f32_e32 v18, v31
	v_cndmask_b32_e32 v11, 0, v11, vcc_lo
	s_delay_alu instid0(VALU_DEP_4) | instskip(SKIP_1) | instid1(VALU_DEP_2)
	v_dual_fmac_f32 v26, 0x32a5705f, v3 :: v_dual_add_f32 v15, v15, v28
	v_cmp_ngt_f32_e32 vcc_lo, 0xc2ce8ed0, v2
	v_add_f32_e32 v14, v14, v26
	s_delay_alu instid0(VALU_DEP_3)
	v_exp_f32_e32 v15, v15
	v_cndmask_b32_e32 v12, 0, v12, vcc_lo
	v_cmp_ngt_f32_e32 vcc_lo, 0xc2ce8ed0, v7
	v_fmac_f32_e32 v30, 0x32a5705f, v4
	v_exp_f32_e32 v14, v14
	v_cndmask_b32_e32 v13, 0, v13, vcc_lo
	v_cmp_ngt_f32_e32 vcc_lo, 0xc2ce8ed0, v3
	s_delay_alu instid0(TRANS32_DEP_2) | instskip(SKIP_2) | instid1(VALU_DEP_1)
	v_ldexp_f32 v15, v15, v29
	s_waitcnt_depctr 0xfff
	v_ldexp_f32 v14, v14, v27
	v_cndmask_b32_e32 v14, 0, v14, vcc_lo
	v_cmp_ngt_f32_e32 vcc_lo, 0xc2ce8ed0, v8
	v_dual_fmac_f32 v32, 0x32a5705f, v9 :: v_dual_cndmask_b32 v15, 0, v15
	s_delay_alu instid0(VALU_DEP_1) | instskip(SKIP_1) | instid1(VALU_DEP_2)
	v_dual_sub_f32 v16, v16, v31 :: v_dual_add_f32 v17, v17, v32
	v_cmp_ngt_f32_e32 vcc_lo, 0xc2ce8ed0, v4
	v_add_f32_e32 v16, v16, v30
	s_delay_alu instid0(VALU_DEP_3) | instskip(NEXT) | instid1(VALU_DEP_1)
	v_exp_f32_e32 v17, v17
	v_exp_f32_e32 v16, v16
	s_waitcnt_depctr 0xfff
	v_ldexp_f32 v17, v17, v20
	v_ldexp_f32 v16, v16, v18
	s_delay_alu instid0(VALU_DEP_1) | instskip(SKIP_1) | instid1(VALU_DEP_4)
	v_cndmask_b32_e32 v16, 0, v16, vcc_lo
	v_cmp_ngt_f32_e32 vcc_lo, 0xc2ce8ed0, v9
	v_cndmask_b32_e32 v17, 0, v17, vcc_lo
	v_cmp_nlt_f32_e32 vcc_lo, 0x42b17218, v1
	v_cndmask_b32_e32 v1, 0x7f800000, v10, vcc_lo
	v_cmp_nlt_f32_e32 vcc_lo, 0x42b17218, v6
	;; [unrolled: 2-line block ×3, first 2 shown]
	s_delay_alu instid0(VALU_DEP_4) | instskip(NEXT) | instid1(VALU_DEP_3)
	v_bfe_u32 v11, v1, 16, 1
	v_bfe_u32 v10, v6, 16, 1
	v_cndmask_b32_e32 v2, 0x7f800000, v12, vcc_lo
	v_cmp_nlt_f32_e32 vcc_lo, 0x42b17218, v7
	s_delay_alu instid0(VALU_DEP_4) | instskip(NEXT) | instid1(VALU_DEP_4)
	v_add3_u32 v11, v1, v11, 0x7fff
	v_add3_u32 v10, v6, v10, 0x7fff
	v_cndmask_b32_e32 v7, 0x7f800000, v13, vcc_lo
	v_cmp_nlt_f32_e32 vcc_lo, 0x42b17218, v3
	v_bfe_u32 v13, v2, 16, 1
	s_delay_alu instid0(VALU_DEP_4)
	v_lshrrev_b32_e32 v10, 16, v10
	v_lshrrev_b32_e32 v11, 16, v11
	v_bfe_u32 v12, v7, 16, 1
	v_cndmask_b32_e32 v3, 0x7f800000, v14, vcc_lo
	v_cmp_nlt_f32_e32 vcc_lo, 0x42b17218, v8
	v_add3_u32 v13, v2, v13, 0x7fff
	s_delay_alu instid0(VALU_DEP_4) | instskip(SKIP_2) | instid1(VALU_DEP_4)
	v_add3_u32 v12, v7, v12, 0x7fff
	v_cndmask_b32_e32 v8, 0x7f800000, v15, vcc_lo
	v_cmp_nlt_f32_e32 vcc_lo, 0x42b17218, v4
	v_lshrrev_b32_e32 v13, 16, v13
	s_delay_alu instid0(VALU_DEP_4) | instskip(SKIP_4) | instid1(VALU_DEP_4)
	v_lshrrev_b32_e32 v12, 16, v12
	v_bfe_u32 v15, v3, 16, 1
	v_bfe_u32 v14, v8, 16, 1
	v_cndmask_b32_e32 v4, 0x7f800000, v16, vcc_lo
	v_cmp_nlt_f32_e32 vcc_lo, 0x42b17218, v9
	v_add3_u32 v15, v3, v15, 0x7fff
	s_delay_alu instid0(VALU_DEP_4) | instskip(SKIP_3) | instid1(VALU_DEP_4)
	v_add3_u32 v14, v8, v14, 0x7fff
	v_cndmask_b32_e32 v9, 0x7f800000, v17, vcc_lo
	v_cmp_o_f32_e32 vcc_lo, v6, v6
	v_bfe_u32 v17, v4, 16, 1
	v_lshrrev_b32_e32 v14, 16, v14
	v_lshrrev_b32_e32 v15, 16, v15
	v_bfe_u32 v16, v9, 16, 1
	v_cndmask_b32_e32 v6, 0x7fc0, v10, vcc_lo
	v_cmp_o_f32_e32 vcc_lo, v7, v7
	v_add3_u32 v17, v4, v17, 0x7fff
	s_delay_alu instid0(VALU_DEP_4) | instskip(SKIP_2) | instid1(VALU_DEP_4)
	v_add3_u32 v16, v9, v16, 0x7fff
	v_cndmask_b32_e32 v7, 0x7fc0, v12, vcc_lo
	v_cmp_o_f32_e32 vcc_lo, v2, v2
	v_lshrrev_b32_e32 v17, 16, v17
	s_delay_alu instid0(VALU_DEP_4) | instskip(SKIP_2) | instid1(VALU_DEP_2)
	v_lshrrev_b32_e32 v16, 16, v16
	v_cndmask_b32_e32 v2, 0x7fc0, v13, vcc_lo
	v_cmp_o_f32_e32 vcc_lo, v8, v8
	v_perm_b32 v2, v7, v2, 0x5040100
	v_cndmask_b32_e32 v8, 0x7fc0, v14, vcc_lo
	v_cmp_o_f32_e32 vcc_lo, v9, v9
	v_cndmask_b32_e32 v9, 0x7fc0, v16, vcc_lo
	v_cmp_o_f32_e32 vcc_lo, v4, v4
	;; [unrolled: 2-line block ×3, first 2 shown]
	s_delay_alu instid0(VALU_DEP_2) | instskip(SKIP_2) | instid1(VALU_DEP_2)
	v_perm_b32 v4, v9, v4, 0x5040100
	v_cndmask_b32_e32 v3, 0x7fc0, v15, vcc_lo
	v_cmp_o_f32_e32 vcc_lo, v1, v1
	v_perm_b32 v3, v8, v3, 0x5040100
	v_cndmask_b32_e32 v1, 0x7fc0, v11, vcc_lo
	s_delay_alu instid0(VALU_DEP_1)
	v_perm_b32 v1, v6, v1, 0x5040100
	global_store_b128 v5, v[1:4], s[10:11]
.LBB99_2:
	s_and_not1_b32 vcc_lo, exec_lo, s0
	s_cbranch_vccnz .LBB99_41
; %bb.3:
	v_cmp_gt_i32_e32 vcc_lo, s8, v0
	v_dual_mov_b32 v8, 0 :: v_dual_mov_b32 v7, 0
	v_or_b32_e32 v1, s2, v0
	v_or_b32_e32 v3, 0x100, v0
	v_mov_b32_e32 v5, v0
	s_and_saveexec_b32 s1, vcc_lo
	s_cbranch_execz .LBB99_5
; %bb.4:
	v_mov_b32_e32 v2, 0
	s_delay_alu instid0(VALU_DEP_1) | instskip(NEXT) | instid1(VALU_DEP_1)
	v_lshlrev_b64 v[4:5], 1, v[1:2]
	v_add_co_u32 v4, s0, s6, v4
	s_delay_alu instid0(VALU_DEP_1)
	v_add_co_ci_u32_e64 v5, s0, s7, v5, s0
	global_load_u16 v7, v[4:5], off
	v_or_b32_e32 v5, 0x100, v0
.LBB99_5:
	s_or_b32 exec_lo, exec_lo, s1
	s_delay_alu instid0(SALU_CYCLE_1) | instskip(NEXT) | instid1(VALU_DEP_1)
	s_mov_b32 s1, exec_lo
	v_cmpx_gt_i32_e64 s8, v5
	s_cbranch_execz .LBB99_7
; %bb.6:
	v_dual_mov_b32 v9, 0 :: v_dual_add_nc_u32 v8, s2, v5
	v_add_nc_u32_e32 v5, 0x100, v5
	s_delay_alu instid0(VALU_DEP_2) | instskip(NEXT) | instid1(VALU_DEP_1)
	v_lshlrev_b64 v[8:9], 1, v[8:9]
	v_add_co_u32 v8, s0, s6, v8
	s_delay_alu instid0(VALU_DEP_1)
	v_add_co_ci_u32_e64 v9, s0, s7, v9, s0
	global_load_u16 v8, v[8:9], off
.LBB99_7:
	s_or_b32 exec_lo, exec_lo, s1
	v_dual_mov_b32 v6, 0 :: v_dual_mov_b32 v11, 0
	s_mov_b32 s1, exec_lo
	v_cmpx_gt_i32_e64 s8, v5
	s_cbranch_execz .LBB99_9
; %bb.8:
	v_dual_mov_b32 v10, 0 :: v_dual_add_nc_u32 v9, s2, v5
	v_add_nc_u32_e32 v5, 0x100, v5
	s_delay_alu instid0(VALU_DEP_2) | instskip(NEXT) | instid1(VALU_DEP_1)
	v_lshlrev_b64 v[9:10], 1, v[9:10]
	v_add_co_u32 v9, s0, s6, v9
	s_delay_alu instid0(VALU_DEP_1)
	v_add_co_ci_u32_e64 v10, s0, s7, v10, s0
	global_load_u16 v11, v[9:10], off
.LBB99_9:
	s_or_b32 exec_lo, exec_lo, s1
	s_delay_alu instid0(SALU_CYCLE_1)
	s_mov_b32 s1, exec_lo
	v_cmpx_gt_i32_e64 s8, v5
	s_cbranch_execz .LBB99_11
; %bb.10:
	v_dual_mov_b32 v10, 0 :: v_dual_add_nc_u32 v9, s2, v5
	v_add_nc_u32_e32 v5, 0x100, v5
	s_delay_alu instid0(VALU_DEP_2) | instskip(NEXT) | instid1(VALU_DEP_1)
	v_lshlrev_b64 v[9:10], 1, v[9:10]
	v_add_co_u32 v9, s0, s6, v9
	s_delay_alu instid0(VALU_DEP_1)
	v_add_co_ci_u32_e64 v10, s0, s7, v10, s0
	global_load_u16 v6, v[9:10], off
.LBB99_11:
	s_or_b32 exec_lo, exec_lo, s1
	v_mov_b32_e32 v4, 0
	v_mov_b32_e32 v10, 0
	s_mov_b32 s1, exec_lo
	v_cmpx_gt_i32_e64 s8, v5
	s_cbranch_execz .LBB99_13
; %bb.12:
	v_dual_mov_b32 v10, 0 :: v_dual_add_nc_u32 v9, s2, v5
	v_add_nc_u32_e32 v5, 0x100, v5
	s_delay_alu instid0(VALU_DEP_2) | instskip(NEXT) | instid1(VALU_DEP_1)
	v_lshlrev_b64 v[9:10], 1, v[9:10]
	v_add_co_u32 v9, s0, s6, v9
	s_delay_alu instid0(VALU_DEP_1)
	v_add_co_ci_u32_e64 v10, s0, s7, v10, s0
	global_load_u16 v10, v[9:10], off
.LBB99_13:
	s_or_b32 exec_lo, exec_lo, s1
	s_delay_alu instid0(SALU_CYCLE_1)
	s_mov_b32 s1, exec_lo
	v_cmpx_gt_i32_e64 s8, v5
	s_cbranch_execz .LBB99_15
; %bb.14:
	v_dual_mov_b32 v13, 0 :: v_dual_add_nc_u32 v12, s2, v5
	v_add_nc_u32_e32 v5, 0x100, v5
	s_delay_alu instid0(VALU_DEP_2) | instskip(NEXT) | instid1(VALU_DEP_1)
	v_lshlrev_b64 v[12:13], 1, v[12:13]
	v_add_co_u32 v12, s0, s6, v12
	s_delay_alu instid0(VALU_DEP_1)
	v_add_co_ci_u32_e64 v13, s0, s7, v13, s0
	global_load_u16 v4, v[12:13], off
.LBB99_15:
	s_or_b32 exec_lo, exec_lo, s1
	v_dual_mov_b32 v2, 0 :: v_dual_mov_b32 v9, 0
	s_mov_b32 s1, exec_lo
	v_cmpx_gt_i32_e64 s8, v5
	s_cbranch_execz .LBB99_42
; %bb.16:
	v_dual_mov_b32 v13, 0 :: v_dual_add_nc_u32 v12, s2, v5
	v_add_nc_u32_e32 v5, 0x100, v5
	s_delay_alu instid0(VALU_DEP_2) | instskip(NEXT) | instid1(VALU_DEP_1)
	v_lshlrev_b64 v[12:13], 1, v[12:13]
	v_add_co_u32 v12, s0, s6, v12
	s_delay_alu instid0(VALU_DEP_1) | instskip(SKIP_2) | instid1(SALU_CYCLE_1)
	v_add_co_ci_u32_e64 v13, s0, s7, v13, s0
	global_load_u16 v9, v[12:13], off
	s_or_b32 exec_lo, exec_lo, s1
	s_mov_b32 s1, exec_lo
	v_cmpx_gt_i32_e64 s8, v5
	s_cbranch_execnz .LBB99_43
.LBB99_17:
	s_or_b32 exec_lo, exec_lo, s1
                                        ; implicit-def: $vgpr5
	s_and_saveexec_b32 s1, vcc_lo
	s_cbranch_execz .LBB99_19
.LBB99_18:
	s_waitcnt vmcnt(0)
	v_lshlrev_b32_e32 v5, 16, v7
	s_delay_alu instid0(VALU_DEP_1) | instskip(SKIP_1) | instid1(VALU_DEP_2)
	v_mul_f32_e32 v7, 0x3fb8aa3b, v5
	v_cmp_ngt_f32_e64 s0, 0xc2ce8ed0, v5
	v_rndne_f32_e32 v12, v7
	v_fma_f32 v13, 0x3fb8aa3b, v5, -v7
	s_delay_alu instid0(VALU_DEP_2) | instskip(NEXT) | instid1(VALU_DEP_2)
	v_sub_f32_e32 v7, v7, v12
	v_fmamk_f32 v13, v5, 0x32a5705f, v13
	v_cvt_i32_f32_e32 v12, v12
	s_delay_alu instid0(VALU_DEP_2) | instskip(NEXT) | instid1(VALU_DEP_1)
	v_add_f32_e32 v7, v7, v13
	v_exp_f32_e32 v7, v7
	s_waitcnt_depctr 0xfff
	v_ldexp_f32 v7, v7, v12
	s_delay_alu instid0(VALU_DEP_1) | instskip(SKIP_1) | instid1(VALU_DEP_1)
	v_cndmask_b32_e64 v7, 0, v7, s0
	v_cmp_nlt_f32_e64 s0, 0x42b17218, v5
	v_cndmask_b32_e64 v5, 0x7f800000, v7, s0
	s_delay_alu instid0(VALU_DEP_1) | instskip(SKIP_1) | instid1(VALU_DEP_2)
	v_bfe_u32 v7, v5, 16, 1
	v_cmp_o_f32_e64 s0, v5, v5
	v_add3_u32 v7, v5, v7, 0x7fff
	s_delay_alu instid0(VALU_DEP_1) | instskip(NEXT) | instid1(VALU_DEP_1)
	v_lshrrev_b32_e32 v7, 16, v7
	v_cndmask_b32_e64 v5, 0x7fc0, v7, s0
.LBB99_19:
	s_or_b32 exec_lo, exec_lo, s1
	s_delay_alu instid0(SALU_CYCLE_1)
	s_mov_b32 s1, exec_lo
                                        ; implicit-def: $vgpr7
	v_cmpx_gt_i32_e64 s8, v3
	s_cbranch_execz .LBB99_21
; %bb.20:
	s_waitcnt vmcnt(0)
	v_lshlrev_b32_e32 v7, 16, v8
	s_delay_alu instid0(VALU_DEP_1) | instskip(NEXT) | instid1(VALU_DEP_1)
	v_mul_f32_e32 v8, 0x3fb8aa3b, v7
	v_rndne_f32_e32 v12, v8
	v_fma_f32 v13, 0x3fb8aa3b, v7, -v8
	s_delay_alu instid0(VALU_DEP_1) | instskip(SKIP_1) | instid1(VALU_DEP_2)
	v_dual_sub_f32 v8, v8, v12 :: v_dual_fmamk_f32 v13, v7, 0x32a5705f, v13
	v_cvt_i32_f32_e32 v12, v12
	v_add_f32_e32 v8, v8, v13
	v_cmp_ngt_f32_e64 s0, 0xc2ce8ed0, v7
	s_delay_alu instid0(VALU_DEP_2) | instskip(SKIP_2) | instid1(VALU_DEP_1)
	v_exp_f32_e32 v8, v8
	s_waitcnt_depctr 0xfff
	v_ldexp_f32 v8, v8, v12
	v_cndmask_b32_e64 v8, 0, v8, s0
	v_cmp_nlt_f32_e64 s0, 0x42b17218, v7
	s_delay_alu instid0(VALU_DEP_1) | instskip(NEXT) | instid1(VALU_DEP_1)
	v_cndmask_b32_e64 v7, 0x7f800000, v8, s0
	v_bfe_u32 v8, v7, 16, 1
	v_cmp_o_f32_e64 s0, v7, v7
	s_delay_alu instid0(VALU_DEP_2) | instskip(NEXT) | instid1(VALU_DEP_1)
	v_add3_u32 v8, v7, v8, 0x7fff
	v_lshrrev_b32_e32 v8, 16, v8
	s_delay_alu instid0(VALU_DEP_1)
	v_cndmask_b32_e64 v7, 0x7fc0, v8, s0
.LBB99_21:
	s_or_b32 exec_lo, exec_lo, s1
	s_waitcnt vmcnt(0)
	v_or_b32_e32 v8, 0x200, v0
	s_delay_alu instid0(VALU_DEP_1) | instskip(NEXT) | instid1(VALU_DEP_1)
	v_cmp_gt_i32_e64 s0, s8, v8
                                        ; implicit-def: $vgpr8
	s_and_saveexec_b32 s1, s0
	s_cbranch_execz .LBB99_23
; %bb.22:
	v_lshlrev_b32_e32 v8, 16, v11
	s_delay_alu instid0(VALU_DEP_1) | instskip(NEXT) | instid1(VALU_DEP_1)
	v_mul_f32_e32 v11, 0x3fb8aa3b, v8
	v_rndne_f32_e32 v12, v11
	v_fma_f32 v13, 0x3fb8aa3b, v8, -v11
	s_delay_alu instid0(VALU_DEP_2) | instskip(NEXT) | instid1(VALU_DEP_2)
	v_sub_f32_e32 v11, v11, v12
	v_fmamk_f32 v13, v8, 0x32a5705f, v13
	v_cvt_i32_f32_e32 v12, v12
	v_cmp_ngt_f32_e64 s0, 0xc2ce8ed0, v8
	s_delay_alu instid0(VALU_DEP_3) | instskip(NEXT) | instid1(VALU_DEP_1)
	v_add_f32_e32 v11, v11, v13
	v_exp_f32_e32 v11, v11
	s_waitcnt_depctr 0xfff
	v_ldexp_f32 v11, v11, v12
	s_delay_alu instid0(VALU_DEP_1) | instskip(SKIP_1) | instid1(VALU_DEP_1)
	v_cndmask_b32_e64 v11, 0, v11, s0
	v_cmp_nlt_f32_e64 s0, 0x42b17218, v8
	v_cndmask_b32_e64 v8, 0x7f800000, v11, s0
	s_delay_alu instid0(VALU_DEP_1) | instskip(SKIP_1) | instid1(VALU_DEP_2)
	v_bfe_u32 v11, v8, 16, 1
	v_cmp_o_f32_e64 s0, v8, v8
	v_add3_u32 v11, v8, v11, 0x7fff
	s_delay_alu instid0(VALU_DEP_1) | instskip(NEXT) | instid1(VALU_DEP_1)
	v_lshrrev_b32_e32 v11, 16, v11
	v_cndmask_b32_e64 v8, 0x7fc0, v11, s0
.LBB99_23:
	s_or_b32 exec_lo, exec_lo, s1
	v_or_b32_e32 v11, 0x300, v0
	s_delay_alu instid0(VALU_DEP_1) | instskip(NEXT) | instid1(VALU_DEP_1)
	v_cmp_gt_i32_e64 s0, s8, v11
                                        ; implicit-def: $vgpr11
	s_and_saveexec_b32 s1, s0
	s_cbranch_execz .LBB99_25
; %bb.24:
	v_lshlrev_b32_e32 v6, 16, v6
	s_delay_alu instid0(VALU_DEP_1) | instskip(NEXT) | instid1(VALU_DEP_1)
	v_mul_f32_e32 v11, 0x3fb8aa3b, v6
	v_rndne_f32_e32 v12, v11
	v_fma_f32 v13, 0x3fb8aa3b, v6, -v11
	s_delay_alu instid0(VALU_DEP_2) | instskip(NEXT) | instid1(VALU_DEP_2)
	v_sub_f32_e32 v11, v11, v12
	v_fmamk_f32 v13, v6, 0x32a5705f, v13
	v_cvt_i32_f32_e32 v12, v12
	v_cmp_ngt_f32_e64 s0, 0xc2ce8ed0, v6
	s_delay_alu instid0(VALU_DEP_3) | instskip(NEXT) | instid1(VALU_DEP_1)
	v_add_f32_e32 v11, v11, v13
	v_exp_f32_e32 v11, v11
	s_waitcnt_depctr 0xfff
	v_ldexp_f32 v11, v11, v12
	s_delay_alu instid0(VALU_DEP_1) | instskip(SKIP_1) | instid1(VALU_DEP_1)
	v_cndmask_b32_e64 v11, 0, v11, s0
	v_cmp_nlt_f32_e64 s0, 0x42b17218, v6
	v_cndmask_b32_e64 v6, 0x7f800000, v11, s0
	s_delay_alu instid0(VALU_DEP_1) | instskip(SKIP_1) | instid1(VALU_DEP_2)
	v_bfe_u32 v11, v6, 16, 1
	v_cmp_o_f32_e64 s0, v6, v6
	v_add3_u32 v11, v6, v11, 0x7fff
	s_delay_alu instid0(VALU_DEP_1) | instskip(NEXT) | instid1(VALU_DEP_1)
	v_lshrrev_b32_e32 v11, 16, v11
	v_cndmask_b32_e64 v11, 0x7fc0, v11, s0
.LBB99_25:
	s_or_b32 exec_lo, exec_lo, s1
	v_or_b32_e32 v6, 0x400, v0
	s_delay_alu instid0(VALU_DEP_1) | instskip(NEXT) | instid1(VALU_DEP_1)
	v_cmp_gt_i32_e64 s0, s8, v6
                                        ; implicit-def: $vgpr6
	s_and_saveexec_b32 s1, s0
	s_cbranch_execz .LBB99_27
; %bb.26:
	v_lshlrev_b32_e32 v6, 16, v10
	s_delay_alu instid0(VALU_DEP_1) | instskip(SKIP_1) | instid1(VALU_DEP_2)
	v_mul_f32_e32 v10, 0x3fb8aa3b, v6
	v_cmp_ngt_f32_e64 s0, 0xc2ce8ed0, v6
	v_rndne_f32_e32 v12, v10
	v_fma_f32 v13, 0x3fb8aa3b, v6, -v10
	s_delay_alu instid0(VALU_DEP_2) | instskip(NEXT) | instid1(VALU_DEP_2)
	v_sub_f32_e32 v10, v10, v12
	v_fmamk_f32 v13, v6, 0x32a5705f, v13
	v_cvt_i32_f32_e32 v12, v12
	s_delay_alu instid0(VALU_DEP_2) | instskip(NEXT) | instid1(VALU_DEP_1)
	v_add_f32_e32 v10, v10, v13
	v_exp_f32_e32 v10, v10
	s_waitcnt_depctr 0xfff
	v_ldexp_f32 v10, v10, v12
	s_delay_alu instid0(VALU_DEP_1) | instskip(SKIP_1) | instid1(VALU_DEP_1)
	v_cndmask_b32_e64 v10, 0, v10, s0
	v_cmp_nlt_f32_e64 s0, 0x42b17218, v6
	v_cndmask_b32_e64 v6, 0x7f800000, v10, s0
	s_delay_alu instid0(VALU_DEP_1) | instskip(SKIP_1) | instid1(VALU_DEP_2)
	v_bfe_u32 v10, v6, 16, 1
	v_cmp_o_f32_e64 s0, v6, v6
	v_add3_u32 v10, v6, v10, 0x7fff
	s_delay_alu instid0(VALU_DEP_1) | instskip(NEXT) | instid1(VALU_DEP_1)
	v_lshrrev_b32_e32 v10, 16, v10
	v_cndmask_b32_e64 v6, 0x7fc0, v10, s0
.LBB99_27:
	s_or_b32 exec_lo, exec_lo, s1
	v_or_b32_e32 v10, 0x500, v0
	s_delay_alu instid0(VALU_DEP_1) | instskip(NEXT) | instid1(VALU_DEP_1)
	v_cmp_gt_i32_e64 s0, s8, v10
                                        ; implicit-def: $vgpr10
	s_and_saveexec_b32 s1, s0
	s_cbranch_execz .LBB99_29
; %bb.28:
	v_lshlrev_b32_e32 v4, 16, v4
	s_delay_alu instid0(VALU_DEP_1) | instskip(SKIP_1) | instid1(VALU_DEP_2)
	v_mul_f32_e32 v10, 0x3fb8aa3b, v4
	v_cmp_ngt_f32_e64 s0, 0xc2ce8ed0, v4
	v_rndne_f32_e32 v12, v10
	v_fma_f32 v13, 0x3fb8aa3b, v4, -v10
	s_delay_alu instid0(VALU_DEP_1) | instskip(SKIP_1) | instid1(VALU_DEP_2)
	v_dual_sub_f32 v10, v10, v12 :: v_dual_fmamk_f32 v13, v4, 0x32a5705f, v13
	v_cvt_i32_f32_e32 v12, v12
	v_add_f32_e32 v10, v10, v13
	s_delay_alu instid0(VALU_DEP_1) | instskip(SKIP_2) | instid1(VALU_DEP_1)
	v_exp_f32_e32 v10, v10
	s_waitcnt_depctr 0xfff
	v_ldexp_f32 v10, v10, v12
	v_cndmask_b32_e64 v10, 0, v10, s0
	v_cmp_nlt_f32_e64 s0, 0x42b17218, v4
	s_delay_alu instid0(VALU_DEP_1) | instskip(NEXT) | instid1(VALU_DEP_1)
	v_cndmask_b32_e64 v4, 0x7f800000, v10, s0
	v_bfe_u32 v10, v4, 16, 1
	v_cmp_o_f32_e64 s0, v4, v4
	s_delay_alu instid0(VALU_DEP_2) | instskip(NEXT) | instid1(VALU_DEP_1)
	v_add3_u32 v10, v4, v10, 0x7fff
	v_lshrrev_b32_e32 v10, 16, v10
	s_delay_alu instid0(VALU_DEP_1)
	v_cndmask_b32_e64 v10, 0x7fc0, v10, s0
.LBB99_29:
	s_or_b32 exec_lo, exec_lo, s1
	v_or_b32_e32 v4, 0x600, v0
	s_delay_alu instid0(VALU_DEP_1) | instskip(NEXT) | instid1(VALU_DEP_1)
	v_cmp_gt_i32_e64 s0, s8, v4
                                        ; implicit-def: $vgpr4
	s_and_saveexec_b32 s1, s0
	s_cbranch_execz .LBB99_31
; %bb.30:
	v_lshlrev_b32_e32 v4, 16, v9
	s_delay_alu instid0(VALU_DEP_1) | instskip(NEXT) | instid1(VALU_DEP_1)
	v_mul_f32_e32 v9, 0x3fb8aa3b, v4
	v_rndne_f32_e32 v12, v9
	v_fma_f32 v13, 0x3fb8aa3b, v4, -v9
	s_delay_alu instid0(VALU_DEP_2) | instskip(NEXT) | instid1(VALU_DEP_2)
	v_sub_f32_e32 v9, v9, v12
	v_fmamk_f32 v13, v4, 0x32a5705f, v13
	v_cvt_i32_f32_e32 v12, v12
	v_cmp_ngt_f32_e64 s0, 0xc2ce8ed0, v4
	s_delay_alu instid0(VALU_DEP_3) | instskip(NEXT) | instid1(VALU_DEP_1)
	v_add_f32_e32 v9, v9, v13
	v_exp_f32_e32 v9, v9
	s_waitcnt_depctr 0xfff
	v_ldexp_f32 v9, v9, v12
	s_delay_alu instid0(VALU_DEP_1) | instskip(SKIP_1) | instid1(VALU_DEP_1)
	v_cndmask_b32_e64 v9, 0, v9, s0
	v_cmp_nlt_f32_e64 s0, 0x42b17218, v4
	v_cndmask_b32_e64 v4, 0x7f800000, v9, s0
	s_delay_alu instid0(VALU_DEP_1) | instskip(SKIP_1) | instid1(VALU_DEP_2)
	v_bfe_u32 v9, v4, 16, 1
	v_cmp_o_f32_e64 s0, v4, v4
	v_add3_u32 v9, v4, v9, 0x7fff
	s_delay_alu instid0(VALU_DEP_1) | instskip(NEXT) | instid1(VALU_DEP_1)
	v_lshrrev_b32_e32 v9, 16, v9
	v_cndmask_b32_e64 v4, 0x7fc0, v9, s0
.LBB99_31:
	s_or_b32 exec_lo, exec_lo, s1
	v_or_b32_e32 v9, 0x700, v0
	s_delay_alu instid0(VALU_DEP_1) | instskip(NEXT) | instid1(VALU_DEP_1)
	v_cmp_gt_i32_e64 s0, s8, v9
                                        ; implicit-def: $vgpr9
	s_and_saveexec_b32 s1, s0
	s_cbranch_execz .LBB99_44
; %bb.32:
	v_lshlrev_b32_e32 v2, 16, v2
	s_delay_alu instid0(VALU_DEP_1) | instskip(NEXT) | instid1(VALU_DEP_1)
	v_mul_f32_e32 v9, 0x3fb8aa3b, v2
	v_rndne_f32_e32 v12, v9
	v_fma_f32 v13, 0x3fb8aa3b, v2, -v9
	s_delay_alu instid0(VALU_DEP_2) | instskip(NEXT) | instid1(VALU_DEP_2)
	v_sub_f32_e32 v9, v9, v12
	v_fmamk_f32 v13, v2, 0x32a5705f, v13
	v_cvt_i32_f32_e32 v12, v12
	v_cmp_ngt_f32_e64 s0, 0xc2ce8ed0, v2
	s_delay_alu instid0(VALU_DEP_3) | instskip(NEXT) | instid1(VALU_DEP_1)
	v_add_f32_e32 v9, v9, v13
	v_exp_f32_e32 v9, v9
	s_waitcnt_depctr 0xfff
	v_ldexp_f32 v9, v9, v12
	s_delay_alu instid0(VALU_DEP_1) | instskip(SKIP_1) | instid1(VALU_DEP_1)
	v_cndmask_b32_e64 v9, 0, v9, s0
	v_cmp_nlt_f32_e64 s0, 0x42b17218, v2
	v_cndmask_b32_e64 v2, 0x7f800000, v9, s0
	s_delay_alu instid0(VALU_DEP_1) | instskip(SKIP_1) | instid1(VALU_DEP_2)
	v_bfe_u32 v9, v2, 16, 1
	v_cmp_o_f32_e64 s0, v2, v2
	v_add3_u32 v9, v2, v9, 0x7fff
	s_delay_alu instid0(VALU_DEP_1) | instskip(NEXT) | instid1(VALU_DEP_1)
	v_lshrrev_b32_e32 v9, 16, v9
	v_cndmask_b32_e64 v9, 0x7fc0, v9, s0
	s_or_b32 exec_lo, exec_lo, s1
	s_and_saveexec_b32 s0, vcc_lo
	s_delay_alu instid0(SALU_CYCLE_1)
	s_xor_b32 s0, exec_lo, s0
	s_cbranch_execnz .LBB99_45
.LBB99_33:
	s_or_b32 exec_lo, exec_lo, s0
	s_delay_alu instid0(SALU_CYCLE_1)
	s_mov_b32 s0, exec_lo
	v_cmpx_gt_i32_e64 s8, v0
	s_cbranch_execz .LBB99_46
.LBB99_34:
	v_dual_mov_b32 v2, 0 :: v_dual_add_nc_u32 v1, s2, v0
	v_add_nc_u32_e32 v0, 0x100, v0
	s_delay_alu instid0(VALU_DEP_2) | instskip(NEXT) | instid1(VALU_DEP_1)
	v_lshlrev_b64 v[1:2], 1, v[1:2]
	v_add_co_u32 v1, vcc_lo, s4, v1
	s_delay_alu instid0(VALU_DEP_2) | instskip(SKIP_2) | instid1(SALU_CYCLE_1)
	v_add_co_ci_u32_e32 v2, vcc_lo, s5, v2, vcc_lo
	global_store_b16 v[1:2], v7, off
	s_or_b32 exec_lo, exec_lo, s0
	s_mov_b32 s0, exec_lo
	v_cmpx_gt_i32_e64 s8, v0
	s_cbranch_execnz .LBB99_47
.LBB99_35:
	s_or_b32 exec_lo, exec_lo, s0
	s_delay_alu instid0(SALU_CYCLE_1)
	s_mov_b32 s0, exec_lo
	v_cmpx_gt_i32_e64 s8, v0
	s_cbranch_execz .LBB99_48
.LBB99_36:
	v_dual_mov_b32 v2, 0 :: v_dual_add_nc_u32 v1, s2, v0
	v_add_nc_u32_e32 v0, 0x100, v0
	s_delay_alu instid0(VALU_DEP_2) | instskip(NEXT) | instid1(VALU_DEP_1)
	v_lshlrev_b64 v[1:2], 1, v[1:2]
	v_add_co_u32 v1, vcc_lo, s4, v1
	s_delay_alu instid0(VALU_DEP_2) | instskip(SKIP_2) | instid1(SALU_CYCLE_1)
	v_add_co_ci_u32_e32 v2, vcc_lo, s5, v2, vcc_lo
	global_store_b16 v[1:2], v11, off
	s_or_b32 exec_lo, exec_lo, s0
	s_mov_b32 s0, exec_lo
	v_cmpx_gt_i32_e64 s8, v0
	s_cbranch_execnz .LBB99_49
.LBB99_37:
	s_or_b32 exec_lo, exec_lo, s0
	s_delay_alu instid0(SALU_CYCLE_1)
	s_mov_b32 s0, exec_lo
	v_cmpx_gt_i32_e64 s8, v0
	s_cbranch_execz .LBB99_50
.LBB99_38:
	v_dual_mov_b32 v2, 0 :: v_dual_add_nc_u32 v1, s2, v0
	v_add_nc_u32_e32 v0, 0x100, v0
	s_delay_alu instid0(VALU_DEP_2) | instskip(NEXT) | instid1(VALU_DEP_1)
	v_lshlrev_b64 v[1:2], 1, v[1:2]
	v_add_co_u32 v1, vcc_lo, s4, v1
	s_delay_alu instid0(VALU_DEP_2) | instskip(SKIP_2) | instid1(SALU_CYCLE_1)
	v_add_co_ci_u32_e32 v2, vcc_lo, s5, v2, vcc_lo
	global_store_b16 v[1:2], v10, off
	s_or_b32 exec_lo, exec_lo, s0
	s_mov_b32 s0, exec_lo
	v_cmpx_gt_i32_e64 s8, v0
	s_cbranch_execnz .LBB99_51
.LBB99_39:
	s_or_b32 exec_lo, exec_lo, s0
	s_delay_alu instid0(SALU_CYCLE_1)
	s_mov_b32 s0, exec_lo
	v_cmpx_gt_i32_e64 s8, v0
	s_cbranch_execz .LBB99_41
.LBB99_40:
	v_dual_mov_b32 v1, 0 :: v_dual_add_nc_u32 v0, s2, v0
	s_delay_alu instid0(VALU_DEP_1) | instskip(NEXT) | instid1(VALU_DEP_1)
	v_lshlrev_b64 v[0:1], 1, v[0:1]
	v_add_co_u32 v0, vcc_lo, s4, v0
	s_delay_alu instid0(VALU_DEP_2)
	v_add_co_ci_u32_e32 v1, vcc_lo, s5, v1, vcc_lo
	global_store_b16 v[0:1], v9, off
.LBB99_41:
	s_nop 0
	s_sendmsg sendmsg(MSG_DEALLOC_VGPRS)
	s_endpgm
.LBB99_42:
	s_or_b32 exec_lo, exec_lo, s1
	s_delay_alu instid0(SALU_CYCLE_1)
	s_mov_b32 s1, exec_lo
	v_cmpx_gt_i32_e64 s8, v5
	s_cbranch_execz .LBB99_17
.LBB99_43:
	v_dual_mov_b32 v13, 0 :: v_dual_add_nc_u32 v12, s2, v5
	s_delay_alu instid0(VALU_DEP_1) | instskip(NEXT) | instid1(VALU_DEP_1)
	v_lshlrev_b64 v[12:13], 1, v[12:13]
	v_add_co_u32 v12, s0, s6, v12
	s_delay_alu instid0(VALU_DEP_1)
	v_add_co_ci_u32_e64 v13, s0, s7, v13, s0
	global_load_u16 v2, v[12:13], off
	s_or_b32 exec_lo, exec_lo, s1
                                        ; implicit-def: $vgpr5
	s_and_saveexec_b32 s1, vcc_lo
	s_cbranch_execz .LBB99_19
	s_branch .LBB99_18
.LBB99_44:
	s_or_b32 exec_lo, exec_lo, s1
	s_and_saveexec_b32 s0, vcc_lo
	s_delay_alu instid0(SALU_CYCLE_1)
	s_xor_b32 s0, exec_lo, s0
	s_cbranch_execz .LBB99_33
.LBB99_45:
	v_mov_b32_e32 v2, 0
	s_delay_alu instid0(VALU_DEP_1) | instskip(NEXT) | instid1(VALU_DEP_1)
	v_lshlrev_b64 v[0:1], 1, v[1:2]
	v_add_co_u32 v12, vcc_lo, s4, v0
	s_delay_alu instid0(VALU_DEP_2) | instskip(SKIP_3) | instid1(SALU_CYCLE_1)
	v_add_co_ci_u32_e32 v13, vcc_lo, s5, v1, vcc_lo
	v_mov_b32_e32 v0, v3
	global_store_b16 v[12:13], v5, off
	s_or_b32 exec_lo, exec_lo, s0
	s_mov_b32 s0, exec_lo
	v_cmpx_gt_i32_e64 s8, v0
	s_cbranch_execnz .LBB99_34
.LBB99_46:
	s_or_b32 exec_lo, exec_lo, s0
	s_delay_alu instid0(SALU_CYCLE_1)
	s_mov_b32 s0, exec_lo
	v_cmpx_gt_i32_e64 s8, v0
	s_cbranch_execz .LBB99_35
.LBB99_47:
	v_dual_mov_b32 v2, 0 :: v_dual_add_nc_u32 v1, s2, v0
	v_add_nc_u32_e32 v0, 0x100, v0
	s_delay_alu instid0(VALU_DEP_2) | instskip(NEXT) | instid1(VALU_DEP_1)
	v_lshlrev_b64 v[1:2], 1, v[1:2]
	v_add_co_u32 v1, vcc_lo, s4, v1
	s_delay_alu instid0(VALU_DEP_2) | instskip(SKIP_2) | instid1(SALU_CYCLE_1)
	v_add_co_ci_u32_e32 v2, vcc_lo, s5, v2, vcc_lo
	global_store_b16 v[1:2], v8, off
	s_or_b32 exec_lo, exec_lo, s0
	s_mov_b32 s0, exec_lo
	v_cmpx_gt_i32_e64 s8, v0
	s_cbranch_execnz .LBB99_36
.LBB99_48:
	s_or_b32 exec_lo, exec_lo, s0
	s_delay_alu instid0(SALU_CYCLE_1)
	s_mov_b32 s0, exec_lo
	v_cmpx_gt_i32_e64 s8, v0
	s_cbranch_execz .LBB99_37
.LBB99_49:
	v_dual_mov_b32 v2, 0 :: v_dual_add_nc_u32 v1, s2, v0
	v_add_nc_u32_e32 v0, 0x100, v0
	s_delay_alu instid0(VALU_DEP_2) | instskip(NEXT) | instid1(VALU_DEP_1)
	v_lshlrev_b64 v[1:2], 1, v[1:2]
	v_add_co_u32 v1, vcc_lo, s4, v1
	s_delay_alu instid0(VALU_DEP_2) | instskip(SKIP_2) | instid1(SALU_CYCLE_1)
	v_add_co_ci_u32_e32 v2, vcc_lo, s5, v2, vcc_lo
	global_store_b16 v[1:2], v6, off
	s_or_b32 exec_lo, exec_lo, s0
	s_mov_b32 s0, exec_lo
	v_cmpx_gt_i32_e64 s8, v0
	s_cbranch_execnz .LBB99_38
.LBB99_50:
	s_or_b32 exec_lo, exec_lo, s0
	s_delay_alu instid0(SALU_CYCLE_1)
	s_mov_b32 s0, exec_lo
	v_cmpx_gt_i32_e64 s8, v0
	s_cbranch_execz .LBB99_39
.LBB99_51:
	v_dual_mov_b32 v2, 0 :: v_dual_add_nc_u32 v1, s2, v0
	v_add_nc_u32_e32 v0, 0x100, v0
	s_delay_alu instid0(VALU_DEP_2) | instskip(NEXT) | instid1(VALU_DEP_1)
	v_lshlrev_b64 v[1:2], 1, v[1:2]
	v_add_co_u32 v1, vcc_lo, s4, v1
	s_delay_alu instid0(VALU_DEP_2) | instskip(SKIP_2) | instid1(SALU_CYCLE_1)
	v_add_co_ci_u32_e32 v2, vcc_lo, s5, v2, vcc_lo
	global_store_b16 v[1:2], v4, off
	s_or_b32 exec_lo, exec_lo, s0
	s_mov_b32 s0, exec_lo
	v_cmpx_gt_i32_e64 s8, v0
	s_cbranch_execnz .LBB99_40
	s_branch .LBB99_41
	.section	.rodata,"a",@progbits
	.p2align	6, 0x0
	.amdhsa_kernel _ZN2at6native29vectorized_elementwise_kernelILi8EZZZNS0_15exp_kernel_cudaERNS_18TensorIteratorBaseEENKUlvE0_clEvENKUlvE2_clEvEUlN3c108BFloat16EE_St5arrayIPcLm2EEEEviT0_T1_
		.amdhsa_group_segment_fixed_size 0
		.amdhsa_private_segment_fixed_size 0
		.amdhsa_kernarg_size 24
		.amdhsa_user_sgpr_count 15
		.amdhsa_user_sgpr_dispatch_ptr 0
		.amdhsa_user_sgpr_queue_ptr 0
		.amdhsa_user_sgpr_kernarg_segment_ptr 1
		.amdhsa_user_sgpr_dispatch_id 0
		.amdhsa_user_sgpr_private_segment_size 0
		.amdhsa_wavefront_size32 1
		.amdhsa_uses_dynamic_stack 0
		.amdhsa_enable_private_segment 0
		.amdhsa_system_sgpr_workgroup_id_x 1
		.amdhsa_system_sgpr_workgroup_id_y 0
		.amdhsa_system_sgpr_workgroup_id_z 0
		.amdhsa_system_sgpr_workgroup_info 0
		.amdhsa_system_vgpr_workitem_id 0
		.amdhsa_next_free_vgpr 34
		.amdhsa_next_free_sgpr 16
		.amdhsa_reserve_vcc 1
		.amdhsa_float_round_mode_32 0
		.amdhsa_float_round_mode_16_64 0
		.amdhsa_float_denorm_mode_32 3
		.amdhsa_float_denorm_mode_16_64 3
		.amdhsa_dx10_clamp 1
		.amdhsa_ieee_mode 1
		.amdhsa_fp16_overflow 0
		.amdhsa_workgroup_processor_mode 1
		.amdhsa_memory_ordered 1
		.amdhsa_forward_progress 0
		.amdhsa_shared_vgpr_count 0
		.amdhsa_exception_fp_ieee_invalid_op 0
		.amdhsa_exception_fp_denorm_src 0
		.amdhsa_exception_fp_ieee_div_zero 0
		.amdhsa_exception_fp_ieee_overflow 0
		.amdhsa_exception_fp_ieee_underflow 0
		.amdhsa_exception_fp_ieee_inexact 0
		.amdhsa_exception_int_div_zero 0
	.end_amdhsa_kernel
	.section	.text._ZN2at6native29vectorized_elementwise_kernelILi8EZZZNS0_15exp_kernel_cudaERNS_18TensorIteratorBaseEENKUlvE0_clEvENKUlvE2_clEvEUlN3c108BFloat16EE_St5arrayIPcLm2EEEEviT0_T1_,"axG",@progbits,_ZN2at6native29vectorized_elementwise_kernelILi8EZZZNS0_15exp_kernel_cudaERNS_18TensorIteratorBaseEENKUlvE0_clEvENKUlvE2_clEvEUlN3c108BFloat16EE_St5arrayIPcLm2EEEEviT0_T1_,comdat
.Lfunc_end99:
	.size	_ZN2at6native29vectorized_elementwise_kernelILi8EZZZNS0_15exp_kernel_cudaERNS_18TensorIteratorBaseEENKUlvE0_clEvENKUlvE2_clEvEUlN3c108BFloat16EE_St5arrayIPcLm2EEEEviT0_T1_, .Lfunc_end99-_ZN2at6native29vectorized_elementwise_kernelILi8EZZZNS0_15exp_kernel_cudaERNS_18TensorIteratorBaseEENKUlvE0_clEvENKUlvE2_clEvEUlN3c108BFloat16EE_St5arrayIPcLm2EEEEviT0_T1_
                                        ; -- End function
	.section	.AMDGPU.csdata,"",@progbits
; Kernel info:
; codeLenInByte = 4364
; NumSgprs: 18
; NumVgprs: 34
; ScratchSize: 0
; MemoryBound: 0
; FloatMode: 240
; IeeeMode: 1
; LDSByteSize: 0 bytes/workgroup (compile time only)
; SGPRBlocks: 2
; VGPRBlocks: 4
; NumSGPRsForWavesPerEU: 18
; NumVGPRsForWavesPerEU: 34
; Occupancy: 16
; WaveLimiterHint : 0
; COMPUTE_PGM_RSRC2:SCRATCH_EN: 0
; COMPUTE_PGM_RSRC2:USER_SGPR: 15
; COMPUTE_PGM_RSRC2:TRAP_HANDLER: 0
; COMPUTE_PGM_RSRC2:TGID_X_EN: 1
; COMPUTE_PGM_RSRC2:TGID_Y_EN: 0
; COMPUTE_PGM_RSRC2:TGID_Z_EN: 0
; COMPUTE_PGM_RSRC2:TIDIG_COMP_CNT: 0
	.section	.text._ZN2at6native29vectorized_elementwise_kernelILi4EZZZNS0_15exp_kernel_cudaERNS_18TensorIteratorBaseEENKUlvE0_clEvENKUlvE2_clEvEUlN3c108BFloat16EE_St5arrayIPcLm2EEEEviT0_T1_,"axG",@progbits,_ZN2at6native29vectorized_elementwise_kernelILi4EZZZNS0_15exp_kernel_cudaERNS_18TensorIteratorBaseEENKUlvE0_clEvENKUlvE2_clEvEUlN3c108BFloat16EE_St5arrayIPcLm2EEEEviT0_T1_,comdat
	.globl	_ZN2at6native29vectorized_elementwise_kernelILi4EZZZNS0_15exp_kernel_cudaERNS_18TensorIteratorBaseEENKUlvE0_clEvENKUlvE2_clEvEUlN3c108BFloat16EE_St5arrayIPcLm2EEEEviT0_T1_ ; -- Begin function _ZN2at6native29vectorized_elementwise_kernelILi4EZZZNS0_15exp_kernel_cudaERNS_18TensorIteratorBaseEENKUlvE0_clEvENKUlvE2_clEvEUlN3c108BFloat16EE_St5arrayIPcLm2EEEEviT0_T1_
	.p2align	8
	.type	_ZN2at6native29vectorized_elementwise_kernelILi4EZZZNS0_15exp_kernel_cudaERNS_18TensorIteratorBaseEENKUlvE0_clEvENKUlvE2_clEvEUlN3c108BFloat16EE_St5arrayIPcLm2EEEEviT0_T1_,@function
_ZN2at6native29vectorized_elementwise_kernelILi4EZZZNS0_15exp_kernel_cudaERNS_18TensorIteratorBaseEENKUlvE0_clEvENKUlvE2_clEvEUlN3c108BFloat16EE_St5arrayIPcLm2EEEEviT0_T1_: ; @_ZN2at6native29vectorized_elementwise_kernelILi4EZZZNS0_15exp_kernel_cudaERNS_18TensorIteratorBaseEENKUlvE0_clEvENKUlvE2_clEvEUlN3c108BFloat16EE_St5arrayIPcLm2EEEEviT0_T1_
; %bb.0:
	s_clause 0x1
	s_load_b32 s3, s[0:1], 0x0
	s_load_b128 s[4:7], s[0:1], 0x8
	s_lshl_b32 s2, s15, 11
	s_mov_b32 s0, -1
	s_waitcnt lgkmcnt(0)
	s_sub_i32 s8, s3, s2
	s_delay_alu instid0(SALU_CYCLE_1)
	s_cmpk_gt_i32 s8, 0x7ff
	s_cbranch_scc0 .LBB100_2
; %bb.1:
	s_ashr_i32 s3, s2, 31
	v_lshlrev_b32_e32 v5, 3, v0
	s_lshl_b64 s[0:1], s[2:3], 1
	s_delay_alu instid0(SALU_CYCLE_1)
	s_add_u32 s10, s6, s0
	s_addc_u32 s11, s7, s1
	s_clause 0x1
	global_load_b64 v[1:2], v5, s[10:11]
	global_load_b64 v[3:4], v5, s[10:11] offset:2048
	s_add_u32 s10, s4, s0
	s_addc_u32 s11, s5, s1
	s_mov_b32 s0, 0
	s_waitcnt vmcnt(1)
	v_and_b32_e32 v6, 0xffff0000, v1
	v_lshlrev_b32_e32 v1, 16, v1
	s_delay_alu instid0(VALU_DEP_1) | instskip(NEXT) | instid1(VALU_DEP_1)
	v_dual_mul_f32 v11, 0x3fb8aa3b, v6 :: v_dual_mul_f32 v10, 0x3fb8aa3b, v1
	v_rndne_f32_e32 v21, v11
	s_delay_alu instid0(VALU_DEP_2)
	v_rndne_f32_e32 v19, v10
	v_and_b32_e32 v7, 0xffff0000, v2
	v_lshlrev_b32_e32 v2, 16, v2
	s_waitcnt vmcnt(0)
	v_and_b32_e32 v8, 0xffff0000, v3
	v_fma_f32 v20, 0x3fb8aa3b, v6, -v11
	v_sub_f32_e32 v11, v11, v21
	v_cvt_i32_f32_e32 v21, v21
	s_delay_alu instid0(VALU_DEP_4) | instskip(SKIP_3) | instid1(VALU_DEP_4)
	v_dual_mul_f32 v12, 0x3fb8aa3b, v2 :: v_dual_mul_f32 v15, 0x3fb8aa3b, v8
	v_fma_f32 v18, 0x3fb8aa3b, v1, -v10
	v_sub_f32_e32 v10, v10, v19
	v_mul_f32_e32 v13, 0x3fb8aa3b, v7
	v_rndne_f32_e32 v23, v12
	v_and_b32_e32 v9, 0xffff0000, v4
	v_lshlrev_b32_e32 v4, 16, v4
	v_lshlrev_b32_e32 v3, 16, v3
	v_fma_f32 v22, 0x3fb8aa3b, v2, -v12
	v_sub_f32_e32 v12, v12, v23
	v_fma_f32 v24, 0x3fb8aa3b, v7, -v13
	v_mul_f32_e32 v16, 0x3fb8aa3b, v4
	v_mul_f32_e32 v14, 0x3fb8aa3b, v3
	v_rndne_f32_e32 v25, v13
	v_fmac_f32_e32 v20, 0x32a5705f, v6
	v_cvt_i32_f32_e32 v19, v19
	v_rndne_f32_e32 v29, v15
	v_rndne_f32_e32 v27, v14
	v_sub_f32_e32 v13, v13, v25
	v_mul_f32_e32 v17, 0x3fb8aa3b, v9
	v_fma_f32 v26, 0x3fb8aa3b, v3, -v14
	s_delay_alu instid0(VALU_DEP_4) | instskip(SKIP_1) | instid1(VALU_DEP_4)
	v_dual_add_f32 v11, v11, v20 :: v_dual_sub_f32 v14, v14, v27
	v_fmac_f32_e32 v22, 0x32a5705f, v2
	v_rndne_f32_e32 v33, v17
	v_fma_f32 v32, 0x3fb8aa3b, v9, -v17
	v_fmac_f32_e32 v24, 0x32a5705f, v7
	v_exp_f32_e32 v11, v11
	v_cmp_ngt_f32_e32 vcc_lo, 0xc2ce8ed0, v1
	v_sub_f32_e32 v17, v17, v33
	s_delay_alu instid0(VALU_DEP_3) | instskip(SKIP_2) | instid1(VALU_DEP_3)
	v_dual_fmac_f32 v18, 0x32a5705f, v1 :: v_dual_add_f32 v13, v13, v24
	v_fma_f32 v28, 0x3fb8aa3b, v8, -v15
	v_dual_sub_f32 v15, v15, v29 :: v_dual_add_f32 v12, v12, v22
	v_add_f32_e32 v10, v10, v18
	v_cvt_i32_f32_e32 v23, v23
	s_delay_alu instid0(TRANS32_DEP_1)
	v_ldexp_f32 v11, v11, v21
	v_exp_f32_e32 v13, v13
	v_exp_f32_e32 v12, v12
	;; [unrolled: 1-line block ×3, first 2 shown]
	v_cvt_i32_f32_e32 v25, v25
	v_fma_f32 v30, 0x3fb8aa3b, v4, -v16
	v_cvt_i32_f32_e32 v27, v27
	v_cvt_i32_f32_e32 v29, v29
	v_rndne_f32_e32 v31, v16
	v_cvt_i32_f32_e32 v20, v33
	s_delay_alu instid0(TRANS32_DEP_3) | instskip(NEXT) | instid1(TRANS32_DEP_2)
	v_ldexp_f32 v13, v13, v25
	v_ldexp_f32 v12, v12, v23
	s_delay_alu instid0(TRANS32_DEP_1) | instskip(SKIP_1) | instid1(VALU_DEP_2)
	v_ldexp_f32 v10, v10, v19
	v_cvt_i32_f32_e32 v18, v31
	v_cndmask_b32_e32 v10, 0, v10, vcc_lo
	v_cmp_ngt_f32_e32 vcc_lo, 0xc2ce8ed0, v6
	v_dual_fmac_f32 v28, 0x32a5705f, v8 :: v_dual_cndmask_b32 v11, 0, v11
	s_delay_alu instid0(VALU_DEP_1) | instskip(SKIP_1) | instid1(VALU_DEP_2)
	v_dual_fmac_f32 v26, 0x32a5705f, v3 :: v_dual_add_f32 v15, v15, v28
	v_cmp_ngt_f32_e32 vcc_lo, 0xc2ce8ed0, v2
	v_add_f32_e32 v14, v14, v26
	s_delay_alu instid0(VALU_DEP_3)
	v_exp_f32_e32 v15, v15
	v_cndmask_b32_e32 v12, 0, v12, vcc_lo
	v_cmp_ngt_f32_e32 vcc_lo, 0xc2ce8ed0, v7
	v_fmac_f32_e32 v30, 0x32a5705f, v4
	v_exp_f32_e32 v14, v14
	v_cndmask_b32_e32 v13, 0, v13, vcc_lo
	v_cmp_ngt_f32_e32 vcc_lo, 0xc2ce8ed0, v3
	s_delay_alu instid0(TRANS32_DEP_2) | instskip(SKIP_2) | instid1(VALU_DEP_1)
	v_ldexp_f32 v15, v15, v29
	s_waitcnt_depctr 0xfff
	v_ldexp_f32 v14, v14, v27
	v_cndmask_b32_e32 v14, 0, v14, vcc_lo
	v_cmp_ngt_f32_e32 vcc_lo, 0xc2ce8ed0, v8
	v_dual_fmac_f32 v32, 0x32a5705f, v9 :: v_dual_cndmask_b32 v15, 0, v15
	s_delay_alu instid0(VALU_DEP_1) | instskip(SKIP_1) | instid1(VALU_DEP_2)
	v_dual_sub_f32 v16, v16, v31 :: v_dual_add_f32 v17, v17, v32
	v_cmp_ngt_f32_e32 vcc_lo, 0xc2ce8ed0, v4
	v_add_f32_e32 v16, v16, v30
	s_delay_alu instid0(VALU_DEP_3) | instskip(NEXT) | instid1(VALU_DEP_1)
	v_exp_f32_e32 v17, v17
	v_exp_f32_e32 v16, v16
	s_waitcnt_depctr 0xfff
	v_ldexp_f32 v17, v17, v20
	v_ldexp_f32 v16, v16, v18
	s_delay_alu instid0(VALU_DEP_1) | instskip(SKIP_1) | instid1(VALU_DEP_4)
	v_cndmask_b32_e32 v16, 0, v16, vcc_lo
	v_cmp_ngt_f32_e32 vcc_lo, 0xc2ce8ed0, v9
	v_cndmask_b32_e32 v17, 0, v17, vcc_lo
	v_cmp_nlt_f32_e32 vcc_lo, 0x42b17218, v1
	v_cndmask_b32_e32 v1, 0x7f800000, v10, vcc_lo
	v_cmp_nlt_f32_e32 vcc_lo, 0x42b17218, v6
	s_delay_alu instid0(VALU_DEP_2) | instskip(SKIP_2) | instid1(VALU_DEP_3)
	v_bfe_u32 v10, v1, 16, 1
	v_cndmask_b32_e32 v6, 0x7f800000, v11, vcc_lo
	v_cmp_nlt_f32_e32 vcc_lo, 0x42b17218, v2
	v_add3_u32 v10, v1, v10, 0x7fff
	s_delay_alu instid0(VALU_DEP_3) | instskip(SKIP_2) | instid1(VALU_DEP_4)
	v_bfe_u32 v11, v6, 16, 1
	v_cndmask_b32_e32 v2, 0x7f800000, v12, vcc_lo
	v_cmp_nlt_f32_e32 vcc_lo, 0x42b17218, v7
	v_lshrrev_b32_e32 v10, 16, v10
	s_delay_alu instid0(VALU_DEP_4) | instskip(NEXT) | instid1(VALU_DEP_4)
	v_add3_u32 v11, v6, v11, 0x7fff
	v_bfe_u32 v12, v2, 16, 1
	v_cndmask_b32_e32 v7, 0x7f800000, v13, vcc_lo
	v_cmp_nlt_f32_e32 vcc_lo, 0x42b17218, v3
	s_delay_alu instid0(VALU_DEP_4) | instskip(NEXT) | instid1(VALU_DEP_4)
	v_and_b32_e32 v11, 0xffff0000, v11
	v_add3_u32 v12, v2, v12, 0x7fff
	s_delay_alu instid0(VALU_DEP_4) | instskip(SKIP_2) | instid1(VALU_DEP_4)
	v_bfe_u32 v13, v7, 16, 1
	v_cndmask_b32_e32 v3, 0x7f800000, v14, vcc_lo
	v_cmp_nlt_f32_e32 vcc_lo, 0x42b17218, v8
	v_lshrrev_b32_e32 v12, 16, v12
	s_delay_alu instid0(VALU_DEP_4) | instskip(NEXT) | instid1(VALU_DEP_4)
	v_add3_u32 v13, v7, v13, 0x7fff
	v_bfe_u32 v14, v3, 16, 1
	v_cndmask_b32_e32 v8, 0x7f800000, v15, vcc_lo
	v_cmp_nlt_f32_e32 vcc_lo, 0x42b17218, v4
	s_delay_alu instid0(VALU_DEP_4) | instskip(NEXT) | instid1(VALU_DEP_4)
	v_and_b32_e32 v13, 0xffff0000, v13
	v_add3_u32 v14, v3, v14, 0x7fff
	s_delay_alu instid0(VALU_DEP_4) | instskip(SKIP_2) | instid1(VALU_DEP_4)
	v_bfe_u32 v15, v8, 16, 1
	v_cndmask_b32_e32 v4, 0x7f800000, v16, vcc_lo
	v_cmp_nlt_f32_e32 vcc_lo, 0x42b17218, v9
	v_lshrrev_b32_e32 v14, 16, v14
	s_delay_alu instid0(VALU_DEP_4) | instskip(NEXT) | instid1(VALU_DEP_4)
	v_add3_u32 v15, v8, v15, 0x7fff
	v_bfe_u32 v16, v4, 16, 1
	v_cndmask_b32_e32 v9, 0x7f800000, v17, vcc_lo
	v_cmp_o_f32_e32 vcc_lo, v7, v7
	s_delay_alu instid0(VALU_DEP_4) | instskip(NEXT) | instid1(VALU_DEP_4)
	v_and_b32_e32 v15, 0xffff0000, v15
	v_add3_u32 v16, v4, v16, 0x7fff
	s_delay_alu instid0(VALU_DEP_4) | instskip(SKIP_2) | instid1(VALU_DEP_4)
	v_bfe_u32 v17, v9, 16, 1
	v_cndmask_b32_e32 v7, 0x7fc00000, v13, vcc_lo
	v_cmp_o_f32_e32 vcc_lo, v2, v2
	v_lshrrev_b32_e32 v16, 16, v16
	s_delay_alu instid0(VALU_DEP_4) | instskip(SKIP_2) | instid1(VALU_DEP_3)
	v_add3_u32 v17, v9, v17, 0x7fff
	v_cndmask_b32_e32 v2, 0x7fc0, v12, vcc_lo
	v_cmp_o_f32_e32 vcc_lo, v6, v6
	v_and_b32_e32 v17, 0xffff0000, v17
	s_delay_alu instid0(VALU_DEP_3) | instskip(SKIP_4) | instid1(VALU_DEP_2)
	v_or3_b32 v2, 0, v2, v7
	v_cndmask_b32_e32 v6, 0x7fc00000, v11, vcc_lo
	v_cmp_o_f32_e32 vcc_lo, v1, v1
	v_cndmask_b32_e32 v1, 0x7fc0, v10, vcc_lo
	v_cmp_o_f32_e32 vcc_lo, v8, v8
	v_or_b32_e32 v1, v6, v1
	v_cndmask_b32_e32 v8, 0x7fc00000, v15, vcc_lo
	v_cmp_o_f32_e32 vcc_lo, v3, v3
	s_delay_alu instid0(VALU_DEP_3) | instskip(SKIP_2) | instid1(VALU_DEP_2)
	v_or3_b32 v1, v1, 0, 0
	v_cndmask_b32_e32 v3, 0x7fc0, v14, vcc_lo
	v_cmp_o_f32_e32 vcc_lo, v9, v9
	v_or_b32_e32 v3, v8, v3
	v_cndmask_b32_e32 v9, 0x7fc00000, v17, vcc_lo
	v_cmp_o_f32_e32 vcc_lo, v4, v4
	s_delay_alu instid0(VALU_DEP_3) | instskip(SKIP_1) | instid1(VALU_DEP_1)
	v_or3_b32 v3, v3, 0, 0
	v_cndmask_b32_e32 v4, 0x7fc0, v16, vcc_lo
	v_or3_b32 v4, 0, v4, v9
	s_clause 0x1
	global_store_b64 v5, v[1:2], s[10:11]
	global_store_b64 v5, v[3:4], s[10:11] offset:2048
.LBB100_2:
	s_and_not1_b32 vcc_lo, exec_lo, s0
	s_cbranch_vccnz .LBB100_41
; %bb.3:
	v_cmp_gt_i32_e32 vcc_lo, s8, v0
	v_dual_mov_b32 v8, 0 :: v_dual_mov_b32 v7, 0
	v_or_b32_e32 v1, s2, v0
	v_or_b32_e32 v3, 0x100, v0
	v_mov_b32_e32 v5, v0
	s_and_saveexec_b32 s1, vcc_lo
	s_cbranch_execz .LBB100_5
; %bb.4:
	v_mov_b32_e32 v2, 0
	s_delay_alu instid0(VALU_DEP_1) | instskip(NEXT) | instid1(VALU_DEP_1)
	v_lshlrev_b64 v[4:5], 1, v[1:2]
	v_add_co_u32 v4, s0, s6, v4
	s_delay_alu instid0(VALU_DEP_1)
	v_add_co_ci_u32_e64 v5, s0, s7, v5, s0
	global_load_u16 v7, v[4:5], off
	v_or_b32_e32 v5, 0x100, v0
.LBB100_5:
	s_or_b32 exec_lo, exec_lo, s1
	s_delay_alu instid0(SALU_CYCLE_1) | instskip(NEXT) | instid1(VALU_DEP_1)
	s_mov_b32 s1, exec_lo
	v_cmpx_gt_i32_e64 s8, v5
	s_cbranch_execz .LBB100_7
; %bb.6:
	v_dual_mov_b32 v9, 0 :: v_dual_add_nc_u32 v8, s2, v5
	v_add_nc_u32_e32 v5, 0x100, v5
	s_delay_alu instid0(VALU_DEP_2) | instskip(NEXT) | instid1(VALU_DEP_1)
	v_lshlrev_b64 v[8:9], 1, v[8:9]
	v_add_co_u32 v8, s0, s6, v8
	s_delay_alu instid0(VALU_DEP_1)
	v_add_co_ci_u32_e64 v9, s0, s7, v9, s0
	global_load_u16 v8, v[8:9], off
.LBB100_7:
	s_or_b32 exec_lo, exec_lo, s1
	v_dual_mov_b32 v6, 0 :: v_dual_mov_b32 v11, 0
	s_mov_b32 s1, exec_lo
	v_cmpx_gt_i32_e64 s8, v5
	s_cbranch_execz .LBB100_9
; %bb.8:
	v_dual_mov_b32 v10, 0 :: v_dual_add_nc_u32 v9, s2, v5
	v_add_nc_u32_e32 v5, 0x100, v5
	s_delay_alu instid0(VALU_DEP_2) | instskip(NEXT) | instid1(VALU_DEP_1)
	v_lshlrev_b64 v[9:10], 1, v[9:10]
	v_add_co_u32 v9, s0, s6, v9
	s_delay_alu instid0(VALU_DEP_1)
	v_add_co_ci_u32_e64 v10, s0, s7, v10, s0
	global_load_u16 v11, v[9:10], off
.LBB100_9:
	s_or_b32 exec_lo, exec_lo, s1
	s_delay_alu instid0(SALU_CYCLE_1)
	s_mov_b32 s1, exec_lo
	v_cmpx_gt_i32_e64 s8, v5
	s_cbranch_execz .LBB100_11
; %bb.10:
	v_dual_mov_b32 v10, 0 :: v_dual_add_nc_u32 v9, s2, v5
	v_add_nc_u32_e32 v5, 0x100, v5
	s_delay_alu instid0(VALU_DEP_2) | instskip(NEXT) | instid1(VALU_DEP_1)
	v_lshlrev_b64 v[9:10], 1, v[9:10]
	v_add_co_u32 v9, s0, s6, v9
	s_delay_alu instid0(VALU_DEP_1)
	v_add_co_ci_u32_e64 v10, s0, s7, v10, s0
	global_load_u16 v6, v[9:10], off
.LBB100_11:
	s_or_b32 exec_lo, exec_lo, s1
	v_mov_b32_e32 v4, 0
	v_mov_b32_e32 v10, 0
	s_mov_b32 s1, exec_lo
	v_cmpx_gt_i32_e64 s8, v5
	s_cbranch_execz .LBB100_13
; %bb.12:
	v_dual_mov_b32 v10, 0 :: v_dual_add_nc_u32 v9, s2, v5
	v_add_nc_u32_e32 v5, 0x100, v5
	s_delay_alu instid0(VALU_DEP_2) | instskip(NEXT) | instid1(VALU_DEP_1)
	v_lshlrev_b64 v[9:10], 1, v[9:10]
	v_add_co_u32 v9, s0, s6, v9
	s_delay_alu instid0(VALU_DEP_1)
	v_add_co_ci_u32_e64 v10, s0, s7, v10, s0
	global_load_u16 v10, v[9:10], off
.LBB100_13:
	s_or_b32 exec_lo, exec_lo, s1
	s_delay_alu instid0(SALU_CYCLE_1)
	s_mov_b32 s1, exec_lo
	v_cmpx_gt_i32_e64 s8, v5
	s_cbranch_execz .LBB100_15
; %bb.14:
	v_dual_mov_b32 v13, 0 :: v_dual_add_nc_u32 v12, s2, v5
	v_add_nc_u32_e32 v5, 0x100, v5
	s_delay_alu instid0(VALU_DEP_2) | instskip(NEXT) | instid1(VALU_DEP_1)
	v_lshlrev_b64 v[12:13], 1, v[12:13]
	v_add_co_u32 v12, s0, s6, v12
	s_delay_alu instid0(VALU_DEP_1)
	v_add_co_ci_u32_e64 v13, s0, s7, v13, s0
	global_load_u16 v4, v[12:13], off
.LBB100_15:
	s_or_b32 exec_lo, exec_lo, s1
	v_dual_mov_b32 v2, 0 :: v_dual_mov_b32 v9, 0
	s_mov_b32 s1, exec_lo
	v_cmpx_gt_i32_e64 s8, v5
	s_cbranch_execz .LBB100_42
; %bb.16:
	v_dual_mov_b32 v13, 0 :: v_dual_add_nc_u32 v12, s2, v5
	v_add_nc_u32_e32 v5, 0x100, v5
	s_delay_alu instid0(VALU_DEP_2) | instskip(NEXT) | instid1(VALU_DEP_1)
	v_lshlrev_b64 v[12:13], 1, v[12:13]
	v_add_co_u32 v12, s0, s6, v12
	s_delay_alu instid0(VALU_DEP_1) | instskip(SKIP_2) | instid1(SALU_CYCLE_1)
	v_add_co_ci_u32_e64 v13, s0, s7, v13, s0
	global_load_u16 v9, v[12:13], off
	s_or_b32 exec_lo, exec_lo, s1
	s_mov_b32 s1, exec_lo
	v_cmpx_gt_i32_e64 s8, v5
	s_cbranch_execnz .LBB100_43
.LBB100_17:
	s_or_b32 exec_lo, exec_lo, s1
                                        ; implicit-def: $vgpr5
	s_and_saveexec_b32 s1, vcc_lo
	s_cbranch_execz .LBB100_19
.LBB100_18:
	s_waitcnt vmcnt(0)
	v_lshlrev_b32_e32 v5, 16, v7
	s_delay_alu instid0(VALU_DEP_1) | instskip(SKIP_1) | instid1(VALU_DEP_2)
	v_mul_f32_e32 v7, 0x3fb8aa3b, v5
	v_cmp_ngt_f32_e64 s0, 0xc2ce8ed0, v5
	v_rndne_f32_e32 v12, v7
	v_fma_f32 v13, 0x3fb8aa3b, v5, -v7
	s_delay_alu instid0(VALU_DEP_2) | instskip(NEXT) | instid1(VALU_DEP_2)
	v_sub_f32_e32 v7, v7, v12
	v_fmamk_f32 v13, v5, 0x32a5705f, v13
	v_cvt_i32_f32_e32 v12, v12
	s_delay_alu instid0(VALU_DEP_2) | instskip(NEXT) | instid1(VALU_DEP_1)
	v_add_f32_e32 v7, v7, v13
	v_exp_f32_e32 v7, v7
	s_waitcnt_depctr 0xfff
	v_ldexp_f32 v7, v7, v12
	s_delay_alu instid0(VALU_DEP_1) | instskip(SKIP_1) | instid1(VALU_DEP_1)
	v_cndmask_b32_e64 v7, 0, v7, s0
	v_cmp_nlt_f32_e64 s0, 0x42b17218, v5
	v_cndmask_b32_e64 v5, 0x7f800000, v7, s0
	s_delay_alu instid0(VALU_DEP_1) | instskip(SKIP_1) | instid1(VALU_DEP_2)
	v_bfe_u32 v7, v5, 16, 1
	v_cmp_o_f32_e64 s0, v5, v5
	v_add3_u32 v7, v5, v7, 0x7fff
	s_delay_alu instid0(VALU_DEP_1) | instskip(NEXT) | instid1(VALU_DEP_1)
	v_lshrrev_b32_e32 v7, 16, v7
	v_cndmask_b32_e64 v5, 0x7fc0, v7, s0
.LBB100_19:
	s_or_b32 exec_lo, exec_lo, s1
	s_delay_alu instid0(SALU_CYCLE_1)
	s_mov_b32 s1, exec_lo
                                        ; implicit-def: $vgpr7
	v_cmpx_gt_i32_e64 s8, v3
	s_cbranch_execz .LBB100_21
; %bb.20:
	s_waitcnt vmcnt(0)
	v_lshlrev_b32_e32 v7, 16, v8
	s_delay_alu instid0(VALU_DEP_1) | instskip(NEXT) | instid1(VALU_DEP_1)
	v_mul_f32_e32 v8, 0x3fb8aa3b, v7
	v_rndne_f32_e32 v12, v8
	v_fma_f32 v13, 0x3fb8aa3b, v7, -v8
	s_delay_alu instid0(VALU_DEP_1) | instskip(SKIP_1) | instid1(VALU_DEP_2)
	v_dual_sub_f32 v8, v8, v12 :: v_dual_fmamk_f32 v13, v7, 0x32a5705f, v13
	v_cvt_i32_f32_e32 v12, v12
	v_add_f32_e32 v8, v8, v13
	v_cmp_ngt_f32_e64 s0, 0xc2ce8ed0, v7
	s_delay_alu instid0(VALU_DEP_2) | instskip(SKIP_2) | instid1(VALU_DEP_1)
	v_exp_f32_e32 v8, v8
	s_waitcnt_depctr 0xfff
	v_ldexp_f32 v8, v8, v12
	v_cndmask_b32_e64 v8, 0, v8, s0
	v_cmp_nlt_f32_e64 s0, 0x42b17218, v7
	s_delay_alu instid0(VALU_DEP_1) | instskip(NEXT) | instid1(VALU_DEP_1)
	v_cndmask_b32_e64 v7, 0x7f800000, v8, s0
	v_bfe_u32 v8, v7, 16, 1
	v_cmp_o_f32_e64 s0, v7, v7
	s_delay_alu instid0(VALU_DEP_2) | instskip(NEXT) | instid1(VALU_DEP_1)
	v_add3_u32 v8, v7, v8, 0x7fff
	v_lshrrev_b32_e32 v8, 16, v8
	s_delay_alu instid0(VALU_DEP_1)
	v_cndmask_b32_e64 v7, 0x7fc0, v8, s0
.LBB100_21:
	s_or_b32 exec_lo, exec_lo, s1
	s_waitcnt vmcnt(0)
	v_or_b32_e32 v8, 0x200, v0
	s_delay_alu instid0(VALU_DEP_1) | instskip(NEXT) | instid1(VALU_DEP_1)
	v_cmp_gt_i32_e64 s0, s8, v8
                                        ; implicit-def: $vgpr8
	s_and_saveexec_b32 s1, s0
	s_cbranch_execz .LBB100_23
; %bb.22:
	v_lshlrev_b32_e32 v8, 16, v11
	s_delay_alu instid0(VALU_DEP_1) | instskip(NEXT) | instid1(VALU_DEP_1)
	v_mul_f32_e32 v11, 0x3fb8aa3b, v8
	v_rndne_f32_e32 v12, v11
	v_fma_f32 v13, 0x3fb8aa3b, v8, -v11
	s_delay_alu instid0(VALU_DEP_2) | instskip(NEXT) | instid1(VALU_DEP_2)
	v_sub_f32_e32 v11, v11, v12
	v_fmamk_f32 v13, v8, 0x32a5705f, v13
	v_cvt_i32_f32_e32 v12, v12
	v_cmp_ngt_f32_e64 s0, 0xc2ce8ed0, v8
	s_delay_alu instid0(VALU_DEP_3) | instskip(NEXT) | instid1(VALU_DEP_1)
	v_add_f32_e32 v11, v11, v13
	v_exp_f32_e32 v11, v11
	s_waitcnt_depctr 0xfff
	v_ldexp_f32 v11, v11, v12
	s_delay_alu instid0(VALU_DEP_1) | instskip(SKIP_1) | instid1(VALU_DEP_1)
	v_cndmask_b32_e64 v11, 0, v11, s0
	v_cmp_nlt_f32_e64 s0, 0x42b17218, v8
	v_cndmask_b32_e64 v8, 0x7f800000, v11, s0
	s_delay_alu instid0(VALU_DEP_1) | instskip(SKIP_1) | instid1(VALU_DEP_2)
	v_bfe_u32 v11, v8, 16, 1
	v_cmp_o_f32_e64 s0, v8, v8
	v_add3_u32 v11, v8, v11, 0x7fff
	s_delay_alu instid0(VALU_DEP_1) | instskip(NEXT) | instid1(VALU_DEP_1)
	v_lshrrev_b32_e32 v11, 16, v11
	v_cndmask_b32_e64 v8, 0x7fc0, v11, s0
.LBB100_23:
	s_or_b32 exec_lo, exec_lo, s1
	v_or_b32_e32 v11, 0x300, v0
	s_delay_alu instid0(VALU_DEP_1) | instskip(NEXT) | instid1(VALU_DEP_1)
	v_cmp_gt_i32_e64 s0, s8, v11
                                        ; implicit-def: $vgpr11
	s_and_saveexec_b32 s1, s0
	s_cbranch_execz .LBB100_25
; %bb.24:
	v_lshlrev_b32_e32 v6, 16, v6
	s_delay_alu instid0(VALU_DEP_1) | instskip(NEXT) | instid1(VALU_DEP_1)
	v_mul_f32_e32 v11, 0x3fb8aa3b, v6
	v_rndne_f32_e32 v12, v11
	v_fma_f32 v13, 0x3fb8aa3b, v6, -v11
	s_delay_alu instid0(VALU_DEP_2) | instskip(NEXT) | instid1(VALU_DEP_2)
	v_sub_f32_e32 v11, v11, v12
	v_fmamk_f32 v13, v6, 0x32a5705f, v13
	v_cvt_i32_f32_e32 v12, v12
	v_cmp_ngt_f32_e64 s0, 0xc2ce8ed0, v6
	s_delay_alu instid0(VALU_DEP_3) | instskip(NEXT) | instid1(VALU_DEP_1)
	v_add_f32_e32 v11, v11, v13
	v_exp_f32_e32 v11, v11
	s_waitcnt_depctr 0xfff
	v_ldexp_f32 v11, v11, v12
	s_delay_alu instid0(VALU_DEP_1) | instskip(SKIP_1) | instid1(VALU_DEP_1)
	v_cndmask_b32_e64 v11, 0, v11, s0
	v_cmp_nlt_f32_e64 s0, 0x42b17218, v6
	v_cndmask_b32_e64 v6, 0x7f800000, v11, s0
	s_delay_alu instid0(VALU_DEP_1) | instskip(SKIP_1) | instid1(VALU_DEP_2)
	v_bfe_u32 v11, v6, 16, 1
	v_cmp_o_f32_e64 s0, v6, v6
	v_add3_u32 v11, v6, v11, 0x7fff
	s_delay_alu instid0(VALU_DEP_1) | instskip(NEXT) | instid1(VALU_DEP_1)
	v_lshrrev_b32_e32 v11, 16, v11
	v_cndmask_b32_e64 v11, 0x7fc0, v11, s0
.LBB100_25:
	s_or_b32 exec_lo, exec_lo, s1
	v_or_b32_e32 v6, 0x400, v0
	s_delay_alu instid0(VALU_DEP_1) | instskip(NEXT) | instid1(VALU_DEP_1)
	v_cmp_gt_i32_e64 s0, s8, v6
                                        ; implicit-def: $vgpr6
	s_and_saveexec_b32 s1, s0
	s_cbranch_execz .LBB100_27
; %bb.26:
	v_lshlrev_b32_e32 v6, 16, v10
	s_delay_alu instid0(VALU_DEP_1) | instskip(SKIP_1) | instid1(VALU_DEP_2)
	v_mul_f32_e32 v10, 0x3fb8aa3b, v6
	v_cmp_ngt_f32_e64 s0, 0xc2ce8ed0, v6
	v_rndne_f32_e32 v12, v10
	v_fma_f32 v13, 0x3fb8aa3b, v6, -v10
	s_delay_alu instid0(VALU_DEP_2) | instskip(NEXT) | instid1(VALU_DEP_2)
	v_sub_f32_e32 v10, v10, v12
	v_fmamk_f32 v13, v6, 0x32a5705f, v13
	v_cvt_i32_f32_e32 v12, v12
	s_delay_alu instid0(VALU_DEP_2) | instskip(NEXT) | instid1(VALU_DEP_1)
	v_add_f32_e32 v10, v10, v13
	v_exp_f32_e32 v10, v10
	s_waitcnt_depctr 0xfff
	v_ldexp_f32 v10, v10, v12
	s_delay_alu instid0(VALU_DEP_1) | instskip(SKIP_1) | instid1(VALU_DEP_1)
	v_cndmask_b32_e64 v10, 0, v10, s0
	v_cmp_nlt_f32_e64 s0, 0x42b17218, v6
	v_cndmask_b32_e64 v6, 0x7f800000, v10, s0
	s_delay_alu instid0(VALU_DEP_1) | instskip(SKIP_1) | instid1(VALU_DEP_2)
	v_bfe_u32 v10, v6, 16, 1
	v_cmp_o_f32_e64 s0, v6, v6
	v_add3_u32 v10, v6, v10, 0x7fff
	s_delay_alu instid0(VALU_DEP_1) | instskip(NEXT) | instid1(VALU_DEP_1)
	v_lshrrev_b32_e32 v10, 16, v10
	v_cndmask_b32_e64 v6, 0x7fc0, v10, s0
.LBB100_27:
	s_or_b32 exec_lo, exec_lo, s1
	v_or_b32_e32 v10, 0x500, v0
	s_delay_alu instid0(VALU_DEP_1) | instskip(NEXT) | instid1(VALU_DEP_1)
	v_cmp_gt_i32_e64 s0, s8, v10
                                        ; implicit-def: $vgpr10
	s_and_saveexec_b32 s1, s0
	s_cbranch_execz .LBB100_29
; %bb.28:
	v_lshlrev_b32_e32 v4, 16, v4
	s_delay_alu instid0(VALU_DEP_1) | instskip(SKIP_1) | instid1(VALU_DEP_2)
	v_mul_f32_e32 v10, 0x3fb8aa3b, v4
	v_cmp_ngt_f32_e64 s0, 0xc2ce8ed0, v4
	v_rndne_f32_e32 v12, v10
	v_fma_f32 v13, 0x3fb8aa3b, v4, -v10
	s_delay_alu instid0(VALU_DEP_1) | instskip(SKIP_1) | instid1(VALU_DEP_2)
	v_dual_sub_f32 v10, v10, v12 :: v_dual_fmamk_f32 v13, v4, 0x32a5705f, v13
	v_cvt_i32_f32_e32 v12, v12
	v_add_f32_e32 v10, v10, v13
	s_delay_alu instid0(VALU_DEP_1) | instskip(SKIP_2) | instid1(VALU_DEP_1)
	v_exp_f32_e32 v10, v10
	s_waitcnt_depctr 0xfff
	v_ldexp_f32 v10, v10, v12
	v_cndmask_b32_e64 v10, 0, v10, s0
	v_cmp_nlt_f32_e64 s0, 0x42b17218, v4
	s_delay_alu instid0(VALU_DEP_1) | instskip(NEXT) | instid1(VALU_DEP_1)
	v_cndmask_b32_e64 v4, 0x7f800000, v10, s0
	v_bfe_u32 v10, v4, 16, 1
	v_cmp_o_f32_e64 s0, v4, v4
	s_delay_alu instid0(VALU_DEP_2) | instskip(NEXT) | instid1(VALU_DEP_1)
	v_add3_u32 v10, v4, v10, 0x7fff
	v_lshrrev_b32_e32 v10, 16, v10
	s_delay_alu instid0(VALU_DEP_1)
	v_cndmask_b32_e64 v10, 0x7fc0, v10, s0
.LBB100_29:
	s_or_b32 exec_lo, exec_lo, s1
	v_or_b32_e32 v4, 0x600, v0
	s_delay_alu instid0(VALU_DEP_1) | instskip(NEXT) | instid1(VALU_DEP_1)
	v_cmp_gt_i32_e64 s0, s8, v4
                                        ; implicit-def: $vgpr4
	s_and_saveexec_b32 s1, s0
	s_cbranch_execz .LBB100_31
; %bb.30:
	v_lshlrev_b32_e32 v4, 16, v9
	s_delay_alu instid0(VALU_DEP_1) | instskip(NEXT) | instid1(VALU_DEP_1)
	v_mul_f32_e32 v9, 0x3fb8aa3b, v4
	v_rndne_f32_e32 v12, v9
	v_fma_f32 v13, 0x3fb8aa3b, v4, -v9
	s_delay_alu instid0(VALU_DEP_2) | instskip(NEXT) | instid1(VALU_DEP_2)
	v_sub_f32_e32 v9, v9, v12
	v_fmamk_f32 v13, v4, 0x32a5705f, v13
	v_cvt_i32_f32_e32 v12, v12
	v_cmp_ngt_f32_e64 s0, 0xc2ce8ed0, v4
	s_delay_alu instid0(VALU_DEP_3) | instskip(NEXT) | instid1(VALU_DEP_1)
	v_add_f32_e32 v9, v9, v13
	v_exp_f32_e32 v9, v9
	s_waitcnt_depctr 0xfff
	v_ldexp_f32 v9, v9, v12
	s_delay_alu instid0(VALU_DEP_1) | instskip(SKIP_1) | instid1(VALU_DEP_1)
	v_cndmask_b32_e64 v9, 0, v9, s0
	v_cmp_nlt_f32_e64 s0, 0x42b17218, v4
	v_cndmask_b32_e64 v4, 0x7f800000, v9, s0
	s_delay_alu instid0(VALU_DEP_1) | instskip(SKIP_1) | instid1(VALU_DEP_2)
	v_bfe_u32 v9, v4, 16, 1
	v_cmp_o_f32_e64 s0, v4, v4
	v_add3_u32 v9, v4, v9, 0x7fff
	s_delay_alu instid0(VALU_DEP_1) | instskip(NEXT) | instid1(VALU_DEP_1)
	v_lshrrev_b32_e32 v9, 16, v9
	v_cndmask_b32_e64 v4, 0x7fc0, v9, s0
.LBB100_31:
	s_or_b32 exec_lo, exec_lo, s1
	v_or_b32_e32 v9, 0x700, v0
	s_delay_alu instid0(VALU_DEP_1) | instskip(NEXT) | instid1(VALU_DEP_1)
	v_cmp_gt_i32_e64 s0, s8, v9
                                        ; implicit-def: $vgpr9
	s_and_saveexec_b32 s1, s0
	s_cbranch_execz .LBB100_44
; %bb.32:
	v_lshlrev_b32_e32 v2, 16, v2
	s_delay_alu instid0(VALU_DEP_1) | instskip(NEXT) | instid1(VALU_DEP_1)
	v_mul_f32_e32 v9, 0x3fb8aa3b, v2
	v_rndne_f32_e32 v12, v9
	v_fma_f32 v13, 0x3fb8aa3b, v2, -v9
	s_delay_alu instid0(VALU_DEP_2) | instskip(NEXT) | instid1(VALU_DEP_2)
	v_sub_f32_e32 v9, v9, v12
	v_fmamk_f32 v13, v2, 0x32a5705f, v13
	v_cvt_i32_f32_e32 v12, v12
	v_cmp_ngt_f32_e64 s0, 0xc2ce8ed0, v2
	s_delay_alu instid0(VALU_DEP_3) | instskip(NEXT) | instid1(VALU_DEP_1)
	v_add_f32_e32 v9, v9, v13
	v_exp_f32_e32 v9, v9
	s_waitcnt_depctr 0xfff
	v_ldexp_f32 v9, v9, v12
	s_delay_alu instid0(VALU_DEP_1) | instskip(SKIP_1) | instid1(VALU_DEP_1)
	v_cndmask_b32_e64 v9, 0, v9, s0
	v_cmp_nlt_f32_e64 s0, 0x42b17218, v2
	v_cndmask_b32_e64 v2, 0x7f800000, v9, s0
	s_delay_alu instid0(VALU_DEP_1) | instskip(SKIP_1) | instid1(VALU_DEP_2)
	v_bfe_u32 v9, v2, 16, 1
	v_cmp_o_f32_e64 s0, v2, v2
	v_add3_u32 v9, v2, v9, 0x7fff
	s_delay_alu instid0(VALU_DEP_1) | instskip(NEXT) | instid1(VALU_DEP_1)
	v_lshrrev_b32_e32 v9, 16, v9
	v_cndmask_b32_e64 v9, 0x7fc0, v9, s0
	s_or_b32 exec_lo, exec_lo, s1
	s_and_saveexec_b32 s0, vcc_lo
	s_delay_alu instid0(SALU_CYCLE_1)
	s_xor_b32 s0, exec_lo, s0
	s_cbranch_execnz .LBB100_45
.LBB100_33:
	s_or_b32 exec_lo, exec_lo, s0
	s_delay_alu instid0(SALU_CYCLE_1)
	s_mov_b32 s0, exec_lo
	v_cmpx_gt_i32_e64 s8, v0
	s_cbranch_execz .LBB100_46
.LBB100_34:
	v_dual_mov_b32 v2, 0 :: v_dual_add_nc_u32 v1, s2, v0
	v_add_nc_u32_e32 v0, 0x100, v0
	s_delay_alu instid0(VALU_DEP_2) | instskip(NEXT) | instid1(VALU_DEP_1)
	v_lshlrev_b64 v[1:2], 1, v[1:2]
	v_add_co_u32 v1, vcc_lo, s4, v1
	s_delay_alu instid0(VALU_DEP_2) | instskip(SKIP_2) | instid1(SALU_CYCLE_1)
	v_add_co_ci_u32_e32 v2, vcc_lo, s5, v2, vcc_lo
	global_store_b16 v[1:2], v7, off
	s_or_b32 exec_lo, exec_lo, s0
	s_mov_b32 s0, exec_lo
	v_cmpx_gt_i32_e64 s8, v0
	s_cbranch_execnz .LBB100_47
.LBB100_35:
	s_or_b32 exec_lo, exec_lo, s0
	s_delay_alu instid0(SALU_CYCLE_1)
	s_mov_b32 s0, exec_lo
	v_cmpx_gt_i32_e64 s8, v0
	s_cbranch_execz .LBB100_48
.LBB100_36:
	v_dual_mov_b32 v2, 0 :: v_dual_add_nc_u32 v1, s2, v0
	v_add_nc_u32_e32 v0, 0x100, v0
	s_delay_alu instid0(VALU_DEP_2) | instskip(NEXT) | instid1(VALU_DEP_1)
	v_lshlrev_b64 v[1:2], 1, v[1:2]
	v_add_co_u32 v1, vcc_lo, s4, v1
	s_delay_alu instid0(VALU_DEP_2) | instskip(SKIP_2) | instid1(SALU_CYCLE_1)
	v_add_co_ci_u32_e32 v2, vcc_lo, s5, v2, vcc_lo
	global_store_b16 v[1:2], v11, off
	s_or_b32 exec_lo, exec_lo, s0
	s_mov_b32 s0, exec_lo
	v_cmpx_gt_i32_e64 s8, v0
	s_cbranch_execnz .LBB100_49
.LBB100_37:
	s_or_b32 exec_lo, exec_lo, s0
	s_delay_alu instid0(SALU_CYCLE_1)
	s_mov_b32 s0, exec_lo
	v_cmpx_gt_i32_e64 s8, v0
	s_cbranch_execz .LBB100_50
.LBB100_38:
	v_dual_mov_b32 v2, 0 :: v_dual_add_nc_u32 v1, s2, v0
	v_add_nc_u32_e32 v0, 0x100, v0
	s_delay_alu instid0(VALU_DEP_2) | instskip(NEXT) | instid1(VALU_DEP_1)
	v_lshlrev_b64 v[1:2], 1, v[1:2]
	v_add_co_u32 v1, vcc_lo, s4, v1
	s_delay_alu instid0(VALU_DEP_2) | instskip(SKIP_2) | instid1(SALU_CYCLE_1)
	v_add_co_ci_u32_e32 v2, vcc_lo, s5, v2, vcc_lo
	global_store_b16 v[1:2], v10, off
	s_or_b32 exec_lo, exec_lo, s0
	s_mov_b32 s0, exec_lo
	v_cmpx_gt_i32_e64 s8, v0
	s_cbranch_execnz .LBB100_51
.LBB100_39:
	s_or_b32 exec_lo, exec_lo, s0
	s_delay_alu instid0(SALU_CYCLE_1)
	s_mov_b32 s0, exec_lo
	v_cmpx_gt_i32_e64 s8, v0
	s_cbranch_execz .LBB100_41
.LBB100_40:
	v_dual_mov_b32 v1, 0 :: v_dual_add_nc_u32 v0, s2, v0
	s_delay_alu instid0(VALU_DEP_1) | instskip(NEXT) | instid1(VALU_DEP_1)
	v_lshlrev_b64 v[0:1], 1, v[0:1]
	v_add_co_u32 v0, vcc_lo, s4, v0
	s_delay_alu instid0(VALU_DEP_2)
	v_add_co_ci_u32_e32 v1, vcc_lo, s5, v1, vcc_lo
	global_store_b16 v[0:1], v9, off
.LBB100_41:
	s_nop 0
	s_sendmsg sendmsg(MSG_DEALLOC_VGPRS)
	s_endpgm
.LBB100_42:
	s_or_b32 exec_lo, exec_lo, s1
	s_delay_alu instid0(SALU_CYCLE_1)
	s_mov_b32 s1, exec_lo
	v_cmpx_gt_i32_e64 s8, v5
	s_cbranch_execz .LBB100_17
.LBB100_43:
	v_dual_mov_b32 v13, 0 :: v_dual_add_nc_u32 v12, s2, v5
	s_delay_alu instid0(VALU_DEP_1) | instskip(NEXT) | instid1(VALU_DEP_1)
	v_lshlrev_b64 v[12:13], 1, v[12:13]
	v_add_co_u32 v12, s0, s6, v12
	s_delay_alu instid0(VALU_DEP_1)
	v_add_co_ci_u32_e64 v13, s0, s7, v13, s0
	global_load_u16 v2, v[12:13], off
	s_or_b32 exec_lo, exec_lo, s1
                                        ; implicit-def: $vgpr5
	s_and_saveexec_b32 s1, vcc_lo
	s_cbranch_execz .LBB100_19
	s_branch .LBB100_18
.LBB100_44:
	s_or_b32 exec_lo, exec_lo, s1
	s_and_saveexec_b32 s0, vcc_lo
	s_delay_alu instid0(SALU_CYCLE_1)
	s_xor_b32 s0, exec_lo, s0
	s_cbranch_execz .LBB100_33
.LBB100_45:
	v_mov_b32_e32 v2, 0
	s_delay_alu instid0(VALU_DEP_1) | instskip(NEXT) | instid1(VALU_DEP_1)
	v_lshlrev_b64 v[0:1], 1, v[1:2]
	v_add_co_u32 v12, vcc_lo, s4, v0
	s_delay_alu instid0(VALU_DEP_2) | instskip(SKIP_3) | instid1(SALU_CYCLE_1)
	v_add_co_ci_u32_e32 v13, vcc_lo, s5, v1, vcc_lo
	v_mov_b32_e32 v0, v3
	global_store_b16 v[12:13], v5, off
	s_or_b32 exec_lo, exec_lo, s0
	s_mov_b32 s0, exec_lo
	v_cmpx_gt_i32_e64 s8, v0
	s_cbranch_execnz .LBB100_34
.LBB100_46:
	s_or_b32 exec_lo, exec_lo, s0
	s_delay_alu instid0(SALU_CYCLE_1)
	s_mov_b32 s0, exec_lo
	v_cmpx_gt_i32_e64 s8, v0
	s_cbranch_execz .LBB100_35
.LBB100_47:
	v_dual_mov_b32 v2, 0 :: v_dual_add_nc_u32 v1, s2, v0
	v_add_nc_u32_e32 v0, 0x100, v0
	s_delay_alu instid0(VALU_DEP_2) | instskip(NEXT) | instid1(VALU_DEP_1)
	v_lshlrev_b64 v[1:2], 1, v[1:2]
	v_add_co_u32 v1, vcc_lo, s4, v1
	s_delay_alu instid0(VALU_DEP_2) | instskip(SKIP_2) | instid1(SALU_CYCLE_1)
	v_add_co_ci_u32_e32 v2, vcc_lo, s5, v2, vcc_lo
	global_store_b16 v[1:2], v8, off
	s_or_b32 exec_lo, exec_lo, s0
	s_mov_b32 s0, exec_lo
	v_cmpx_gt_i32_e64 s8, v0
	s_cbranch_execnz .LBB100_36
.LBB100_48:
	s_or_b32 exec_lo, exec_lo, s0
	s_delay_alu instid0(SALU_CYCLE_1)
	s_mov_b32 s0, exec_lo
	v_cmpx_gt_i32_e64 s8, v0
	s_cbranch_execz .LBB100_37
.LBB100_49:
	v_dual_mov_b32 v2, 0 :: v_dual_add_nc_u32 v1, s2, v0
	v_add_nc_u32_e32 v0, 0x100, v0
	s_delay_alu instid0(VALU_DEP_2) | instskip(NEXT) | instid1(VALU_DEP_1)
	v_lshlrev_b64 v[1:2], 1, v[1:2]
	v_add_co_u32 v1, vcc_lo, s4, v1
	s_delay_alu instid0(VALU_DEP_2) | instskip(SKIP_2) | instid1(SALU_CYCLE_1)
	v_add_co_ci_u32_e32 v2, vcc_lo, s5, v2, vcc_lo
	global_store_b16 v[1:2], v6, off
	s_or_b32 exec_lo, exec_lo, s0
	s_mov_b32 s0, exec_lo
	v_cmpx_gt_i32_e64 s8, v0
	s_cbranch_execnz .LBB100_38
.LBB100_50:
	s_or_b32 exec_lo, exec_lo, s0
	s_delay_alu instid0(SALU_CYCLE_1)
	s_mov_b32 s0, exec_lo
	v_cmpx_gt_i32_e64 s8, v0
	s_cbranch_execz .LBB100_39
.LBB100_51:
	v_dual_mov_b32 v2, 0 :: v_dual_add_nc_u32 v1, s2, v0
	v_add_nc_u32_e32 v0, 0x100, v0
	s_delay_alu instid0(VALU_DEP_2) | instskip(NEXT) | instid1(VALU_DEP_1)
	v_lshlrev_b64 v[1:2], 1, v[1:2]
	v_add_co_u32 v1, vcc_lo, s4, v1
	s_delay_alu instid0(VALU_DEP_2) | instskip(SKIP_2) | instid1(SALU_CYCLE_1)
	v_add_co_ci_u32_e32 v2, vcc_lo, s5, v2, vcc_lo
	global_store_b16 v[1:2], v4, off
	s_or_b32 exec_lo, exec_lo, s0
	s_mov_b32 s0, exec_lo
	v_cmpx_gt_i32_e64 s8, v0
	s_cbranch_execnz .LBB100_40
	s_branch .LBB100_41
	.section	.rodata,"a",@progbits
	.p2align	6, 0x0
	.amdhsa_kernel _ZN2at6native29vectorized_elementwise_kernelILi4EZZZNS0_15exp_kernel_cudaERNS_18TensorIteratorBaseEENKUlvE0_clEvENKUlvE2_clEvEUlN3c108BFloat16EE_St5arrayIPcLm2EEEEviT0_T1_
		.amdhsa_group_segment_fixed_size 0
		.amdhsa_private_segment_fixed_size 0
		.amdhsa_kernarg_size 24
		.amdhsa_user_sgpr_count 15
		.amdhsa_user_sgpr_dispatch_ptr 0
		.amdhsa_user_sgpr_queue_ptr 0
		.amdhsa_user_sgpr_kernarg_segment_ptr 1
		.amdhsa_user_sgpr_dispatch_id 0
		.amdhsa_user_sgpr_private_segment_size 0
		.amdhsa_wavefront_size32 1
		.amdhsa_uses_dynamic_stack 0
		.amdhsa_enable_private_segment 0
		.amdhsa_system_sgpr_workgroup_id_x 1
		.amdhsa_system_sgpr_workgroup_id_y 0
		.amdhsa_system_sgpr_workgroup_id_z 0
		.amdhsa_system_sgpr_workgroup_info 0
		.amdhsa_system_vgpr_workitem_id 0
		.amdhsa_next_free_vgpr 34
		.amdhsa_next_free_sgpr 16
		.amdhsa_reserve_vcc 1
		.amdhsa_float_round_mode_32 0
		.amdhsa_float_round_mode_16_64 0
		.amdhsa_float_denorm_mode_32 3
		.amdhsa_float_denorm_mode_16_64 3
		.amdhsa_dx10_clamp 1
		.amdhsa_ieee_mode 1
		.amdhsa_fp16_overflow 0
		.amdhsa_workgroup_processor_mode 1
		.amdhsa_memory_ordered 1
		.amdhsa_forward_progress 0
		.amdhsa_shared_vgpr_count 0
		.amdhsa_exception_fp_ieee_invalid_op 0
		.amdhsa_exception_fp_denorm_src 0
		.amdhsa_exception_fp_ieee_div_zero 0
		.amdhsa_exception_fp_ieee_overflow 0
		.amdhsa_exception_fp_ieee_underflow 0
		.amdhsa_exception_fp_ieee_inexact 0
		.amdhsa_exception_int_div_zero 0
	.end_amdhsa_kernel
	.section	.text._ZN2at6native29vectorized_elementwise_kernelILi4EZZZNS0_15exp_kernel_cudaERNS_18TensorIteratorBaseEENKUlvE0_clEvENKUlvE2_clEvEUlN3c108BFloat16EE_St5arrayIPcLm2EEEEviT0_T1_,"axG",@progbits,_ZN2at6native29vectorized_elementwise_kernelILi4EZZZNS0_15exp_kernel_cudaERNS_18TensorIteratorBaseEENKUlvE0_clEvENKUlvE2_clEvEUlN3c108BFloat16EE_St5arrayIPcLm2EEEEviT0_T1_,comdat
.Lfunc_end100:
	.size	_ZN2at6native29vectorized_elementwise_kernelILi4EZZZNS0_15exp_kernel_cudaERNS_18TensorIteratorBaseEENKUlvE0_clEvENKUlvE2_clEvEUlN3c108BFloat16EE_St5arrayIPcLm2EEEEviT0_T1_, .Lfunc_end100-_ZN2at6native29vectorized_elementwise_kernelILi4EZZZNS0_15exp_kernel_cudaERNS_18TensorIteratorBaseEENKUlvE0_clEvENKUlvE2_clEvEUlN3c108BFloat16EE_St5arrayIPcLm2EEEEviT0_T1_
                                        ; -- End function
	.section	.AMDGPU.csdata,"",@progbits
; Kernel info:
; codeLenInByte = 4420
; NumSgprs: 18
; NumVgprs: 34
; ScratchSize: 0
; MemoryBound: 0
; FloatMode: 240
; IeeeMode: 1
; LDSByteSize: 0 bytes/workgroup (compile time only)
; SGPRBlocks: 2
; VGPRBlocks: 4
; NumSGPRsForWavesPerEU: 18
; NumVGPRsForWavesPerEU: 34
; Occupancy: 16
; WaveLimiterHint : 1
; COMPUTE_PGM_RSRC2:SCRATCH_EN: 0
; COMPUTE_PGM_RSRC2:USER_SGPR: 15
; COMPUTE_PGM_RSRC2:TRAP_HANDLER: 0
; COMPUTE_PGM_RSRC2:TGID_X_EN: 1
; COMPUTE_PGM_RSRC2:TGID_Y_EN: 0
; COMPUTE_PGM_RSRC2:TGID_Z_EN: 0
; COMPUTE_PGM_RSRC2:TIDIG_COMP_CNT: 0
	.section	.text._ZN2at6native29vectorized_elementwise_kernelILi2EZZZNS0_15exp_kernel_cudaERNS_18TensorIteratorBaseEENKUlvE0_clEvENKUlvE2_clEvEUlN3c108BFloat16EE_St5arrayIPcLm2EEEEviT0_T1_,"axG",@progbits,_ZN2at6native29vectorized_elementwise_kernelILi2EZZZNS0_15exp_kernel_cudaERNS_18TensorIteratorBaseEENKUlvE0_clEvENKUlvE2_clEvEUlN3c108BFloat16EE_St5arrayIPcLm2EEEEviT0_T1_,comdat
	.globl	_ZN2at6native29vectorized_elementwise_kernelILi2EZZZNS0_15exp_kernel_cudaERNS_18TensorIteratorBaseEENKUlvE0_clEvENKUlvE2_clEvEUlN3c108BFloat16EE_St5arrayIPcLm2EEEEviT0_T1_ ; -- Begin function _ZN2at6native29vectorized_elementwise_kernelILi2EZZZNS0_15exp_kernel_cudaERNS_18TensorIteratorBaseEENKUlvE0_clEvENKUlvE2_clEvEUlN3c108BFloat16EE_St5arrayIPcLm2EEEEviT0_T1_
	.p2align	8
	.type	_ZN2at6native29vectorized_elementwise_kernelILi2EZZZNS0_15exp_kernel_cudaERNS_18TensorIteratorBaseEENKUlvE0_clEvENKUlvE2_clEvEUlN3c108BFloat16EE_St5arrayIPcLm2EEEEviT0_T1_,@function
_ZN2at6native29vectorized_elementwise_kernelILi2EZZZNS0_15exp_kernel_cudaERNS_18TensorIteratorBaseEENKUlvE0_clEvENKUlvE2_clEvEUlN3c108BFloat16EE_St5arrayIPcLm2EEEEviT0_T1_: ; @_ZN2at6native29vectorized_elementwise_kernelILi2EZZZNS0_15exp_kernel_cudaERNS_18TensorIteratorBaseEENKUlvE0_clEvENKUlvE2_clEvEUlN3c108BFloat16EE_St5arrayIPcLm2EEEEviT0_T1_
; %bb.0:
	s_clause 0x1
	s_load_b32 s3, s[0:1], 0x0
	s_load_b128 s[4:7], s[0:1], 0x8
	s_lshl_b32 s2, s15, 11
	s_waitcnt lgkmcnt(0)
	s_sub_i32 s8, s3, s2
	s_mov_b32 s3, -1
	s_cmpk_gt_i32 s8, 0x7ff
	s_cbranch_scc0 .LBB101_2
; %bb.1:
	s_ashr_i32 s3, s2, 31
	v_lshlrev_b32_e32 v1, 2, v0
	s_lshl_b64 s[0:1], s[2:3], 1
	s_mov_b32 s3, 0
	s_add_u32 s10, s6, s0
	s_addc_u32 s11, s7, s1
	s_add_u32 s0, s4, s0
	s_clause 0x3
	global_load_b32 v2, v1, s[10:11]
	global_load_b32 v3, v1, s[10:11] offset:1024
	global_load_b32 v4, v1, s[10:11] offset:2048
	;; [unrolled: 1-line block ×3, first 2 shown]
	s_addc_u32 s1, s5, s1
	s_waitcnt vmcnt(3)
	v_and_b32_e32 v6, 0xffff0000, v2
	v_lshlrev_b32_e32 v2, 16, v2
	s_delay_alu instid0(VALU_DEP_2) | instskip(NEXT) | instid1(VALU_DEP_2)
	v_mul_f32_e32 v11, 0x3fb8aa3b, v6
	v_mul_f32_e32 v10, 0x3fb8aa3b, v2
	s_delay_alu instid0(VALU_DEP_2) | instskip(NEXT) | instid1(VALU_DEP_2)
	v_fma_f32 v20, 0x3fb8aa3b, v6, -v11
	v_fma_f32 v18, 0x3fb8aa3b, v2, -v10
	v_rndne_f32_e32 v19, v10
	s_waitcnt vmcnt(0)
	v_and_b32_e32 v9, 0xffff0000, v5
	v_rndne_f32_e32 v21, v11
	v_fmac_f32_e32 v18, 0x32a5705f, v2
	v_sub_f32_e32 v10, v10, v19
	v_and_b32_e32 v7, 0xffff0000, v3
	v_cvt_i32_f32_e32 v19, v19
	v_sub_f32_e32 v11, v11, v21
	v_cvt_i32_f32_e32 v21, v21
	s_delay_alu instid0(VALU_DEP_4) | instskip(SKIP_1) | instid1(VALU_DEP_2)
	v_dual_add_f32 v10, v10, v18 :: v_dual_mul_f32 v13, 0x3fb8aa3b, v7
	v_cmp_ngt_f32_e32 vcc_lo, 0xc2ce8ed0, v2
	v_exp_f32_e32 v10, v10
	s_delay_alu instid0(VALU_DEP_2)
	v_rndne_f32_e32 v25, v13
	v_and_b32_e32 v8, 0xffff0000, v4
	v_lshlrev_b32_e32 v4, 16, v4
	v_lshlrev_b32_e32 v3, 16, v3
	v_fma_f32 v24, 0x3fb8aa3b, v7, -v13
	v_sub_f32_e32 v13, v13, v25
	v_cvt_i32_f32_e32 v25, v25
	v_dual_mul_f32 v14, 0x3fb8aa3b, v4 :: v_dual_lshlrev_b32 v5, 16, v5
	v_mul_f32_e32 v12, 0x3fb8aa3b, v3
	v_ldexp_f32 v10, v10, v19
	v_mul_f32_e32 v15, 0x3fb8aa3b, v8
	s_delay_alu instid0(VALU_DEP_4)
	v_fma_f32 v26, 0x3fb8aa3b, v4, -v14
	v_mul_f32_e32 v16, 0x3fb8aa3b, v5
	v_rndne_f32_e32 v23, v12
	v_mul_f32_e32 v17, 0x3fb8aa3b, v9
	v_fma_f32 v22, 0x3fb8aa3b, v3, -v12
	v_cndmask_b32_e32 v10, 0, v10, vcc_lo
	v_cmp_ngt_f32_e32 vcc_lo, 0xc2ce8ed0, v6
	v_sub_f32_e32 v12, v12, v23
	v_rndne_f32_e32 v33, v17
	v_fmac_f32_e32 v20, 0x32a5705f, v6
	v_fma_f32 v32, 0x3fb8aa3b, v9, -v17
	v_cvt_i32_f32_e32 v23, v23
	v_fma_f32 v28, 0x3fb8aa3b, v8, -v15
	v_dual_sub_f32 v17, v17, v33 :: v_dual_fmac_f32 v22, 0x32a5705f, v3
	v_add_f32_e32 v11, v11, v20
	v_rndne_f32_e32 v29, v15
	v_rndne_f32_e32 v27, v14
	v_fma_f32 v30, 0x3fb8aa3b, v5, -v16
	v_add_f32_e32 v12, v12, v22
	v_exp_f32_e32 v11, v11
	v_sub_f32_e32 v15, v15, v29
	v_cvt_i32_f32_e32 v29, v29
	v_rndne_f32_e32 v31, v16
	v_exp_f32_e32 v12, v12
	v_cvt_i32_f32_e32 v20, v33
	s_delay_alu instid0(VALU_DEP_2) | instskip(NEXT) | instid1(TRANS32_DEP_2)
	v_cvt_i32_f32_e32 v18, v31
	v_ldexp_f32 v11, v11, v21
	v_fmac_f32_e32 v26, 0x32a5705f, v4
	s_waitcnt_depctr 0xfff
	v_ldexp_f32 v12, v12, v23
	v_cndmask_b32_e32 v11, 0, v11, vcc_lo
	v_cmp_ngt_f32_e32 vcc_lo, 0xc2ce8ed0, v3
	s_delay_alu instid0(VALU_DEP_3) | instskip(SKIP_2) | instid1(VALU_DEP_1)
	v_cndmask_b32_e32 v12, 0, v12, vcc_lo
	v_cmp_ngt_f32_e32 vcc_lo, 0xc2ce8ed0, v7
	v_fmac_f32_e32 v28, 0x32a5705f, v8
	v_dual_fmac_f32 v24, 0x32a5705f, v7 :: v_dual_add_f32 v15, v15, v28
	s_delay_alu instid0(VALU_DEP_1) | instskip(SKIP_1) | instid1(VALU_DEP_3)
	v_dual_sub_f32 v14, v14, v27 :: v_dual_add_f32 v13, v13, v24
	v_cvt_i32_f32_e32 v27, v27
	v_exp_f32_e32 v15, v15
	s_delay_alu instid0(VALU_DEP_2) | instskip(NEXT) | instid1(VALU_DEP_3)
	v_add_f32_e32 v14, v14, v26
	v_exp_f32_e32 v13, v13
	s_delay_alu instid0(VALU_DEP_1) | instskip(NEXT) | instid1(TRANS32_DEP_3)
	v_exp_f32_e32 v14, v14
	v_ldexp_f32 v15, v15, v29
	s_waitcnt_depctr 0xfff
	v_ldexp_f32 v13, v13, v25
	v_ldexp_f32 v14, v14, v27
	s_delay_alu instid0(VALU_DEP_2) | instskip(SKIP_1) | instid1(VALU_DEP_3)
	v_cndmask_b32_e32 v13, 0, v13, vcc_lo
	v_cmp_ngt_f32_e32 vcc_lo, 0xc2ce8ed0, v4
	v_cndmask_b32_e32 v14, 0, v14, vcc_lo
	v_cmp_ngt_f32_e32 vcc_lo, 0xc2ce8ed0, v8
	v_dual_fmac_f32 v32, 0x32a5705f, v9 :: v_dual_cndmask_b32 v15, 0, v15
	s_delay_alu instid0(VALU_DEP_1) | instskip(SKIP_1) | instid1(VALU_DEP_2)
	v_dual_fmac_f32 v30, 0x32a5705f, v5 :: v_dual_add_f32 v17, v17, v32
	v_cmp_ngt_f32_e32 vcc_lo, 0xc2ce8ed0, v5
	v_exp_f32_e32 v17, v17
	s_waitcnt_depctr 0xfff
	v_ldexp_f32 v17, v17, v20
	v_sub_f32_e32 v16, v16, v31
	s_delay_alu instid0(VALU_DEP_1) | instskip(NEXT) | instid1(VALU_DEP_1)
	v_add_f32_e32 v16, v16, v30
	v_exp_f32_e32 v16, v16
	s_waitcnt_depctr 0xfff
	v_ldexp_f32 v16, v16, v18
	s_delay_alu instid0(VALU_DEP_1)
	v_cndmask_b32_e32 v16, 0, v16, vcc_lo
	v_cmp_ngt_f32_e32 vcc_lo, 0xc2ce8ed0, v9
	v_cndmask_b32_e32 v17, 0, v17, vcc_lo
	v_cmp_nlt_f32_e32 vcc_lo, 0x42b17218, v2
	v_cndmask_b32_e32 v2, 0x7f800000, v10, vcc_lo
	v_cmp_nlt_f32_e32 vcc_lo, 0x42b17218, v6
	s_delay_alu instid0(VALU_DEP_2) | instskip(SKIP_2) | instid1(VALU_DEP_3)
	v_bfe_u32 v10, v2, 16, 1
	v_cndmask_b32_e32 v6, 0x7f800000, v11, vcc_lo
	v_cmp_nlt_f32_e32 vcc_lo, 0x42b17218, v3
	v_add3_u32 v10, v2, v10, 0x7fff
	s_delay_alu instid0(VALU_DEP_3) | instskip(SKIP_2) | instid1(VALU_DEP_4)
	v_bfe_u32 v11, v6, 16, 1
	v_cndmask_b32_e32 v3, 0x7f800000, v12, vcc_lo
	v_cmp_nlt_f32_e32 vcc_lo, 0x42b17218, v7
	v_lshrrev_b32_e32 v10, 16, v10
	s_delay_alu instid0(VALU_DEP_4) | instskip(NEXT) | instid1(VALU_DEP_4)
	v_add3_u32 v11, v6, v11, 0x7fff
	v_bfe_u32 v12, v3, 16, 1
	v_cndmask_b32_e32 v7, 0x7f800000, v13, vcc_lo
	v_cmp_nlt_f32_e32 vcc_lo, 0x42b17218, v4
	s_delay_alu instid0(VALU_DEP_4) | instskip(NEXT) | instid1(VALU_DEP_4)
	v_and_b32_e32 v11, 0xffff0000, v11
	v_add3_u32 v12, v3, v12, 0x7fff
	s_delay_alu instid0(VALU_DEP_4) | instskip(SKIP_2) | instid1(VALU_DEP_4)
	v_bfe_u32 v13, v7, 16, 1
	v_cndmask_b32_e32 v4, 0x7f800000, v14, vcc_lo
	v_cmp_nlt_f32_e32 vcc_lo, 0x42b17218, v8
	v_lshrrev_b32_e32 v12, 16, v12
	s_delay_alu instid0(VALU_DEP_4) | instskip(NEXT) | instid1(VALU_DEP_4)
	v_add3_u32 v13, v7, v13, 0x7fff
	v_bfe_u32 v14, v4, 16, 1
	v_cndmask_b32_e32 v8, 0x7f800000, v15, vcc_lo
	v_cmp_nlt_f32_e32 vcc_lo, 0x42b17218, v5
	s_delay_alu instid0(VALU_DEP_4) | instskip(NEXT) | instid1(VALU_DEP_4)
	v_and_b32_e32 v13, 0xffff0000, v13
	v_add3_u32 v14, v4, v14, 0x7fff
	s_delay_alu instid0(VALU_DEP_4) | instskip(SKIP_2) | instid1(VALU_DEP_4)
	v_bfe_u32 v15, v8, 16, 1
	v_cndmask_b32_e32 v5, 0x7f800000, v16, vcc_lo
	v_cmp_nlt_f32_e32 vcc_lo, 0x42b17218, v9
	v_lshrrev_b32_e32 v14, 16, v14
	s_delay_alu instid0(VALU_DEP_4) | instskip(NEXT) | instid1(VALU_DEP_4)
	v_add3_u32 v15, v8, v15, 0x7fff
	v_bfe_u32 v16, v5, 16, 1
	v_cndmask_b32_e32 v9, 0x7f800000, v17, vcc_lo
	v_cmp_o_f32_e32 vcc_lo, v6, v6
	s_delay_alu instid0(VALU_DEP_4) | instskip(NEXT) | instid1(VALU_DEP_4)
	v_and_b32_e32 v15, 0xffff0000, v15
	v_add3_u32 v16, v5, v16, 0x7fff
	s_delay_alu instid0(VALU_DEP_4) | instskip(SKIP_2) | instid1(VALU_DEP_4)
	v_bfe_u32 v17, v9, 16, 1
	v_cndmask_b32_e32 v6, 0x7fc00000, v11, vcc_lo
	v_cmp_o_f32_e32 vcc_lo, v2, v2
	v_lshrrev_b32_e32 v16, 16, v16
	s_delay_alu instid0(VALU_DEP_4) | instskip(SKIP_2) | instid1(VALU_DEP_3)
	v_add3_u32 v17, v9, v17, 0x7fff
	v_cndmask_b32_e32 v2, 0x7fc0, v10, vcc_lo
	v_cmp_o_f32_e32 vcc_lo, v7, v7
	v_and_b32_e32 v17, 0xffff0000, v17
	s_delay_alu instid0(VALU_DEP_3) | instskip(SKIP_4) | instid1(VALU_DEP_2)
	v_or_b32_e32 v2, v6, v2
	v_cndmask_b32_e32 v7, 0x7fc00000, v13, vcc_lo
	v_cmp_o_f32_e32 vcc_lo, v3, v3
	v_cndmask_b32_e32 v3, 0x7fc0, v12, vcc_lo
	v_cmp_o_f32_e32 vcc_lo, v8, v8
	v_or_b32_e32 v3, v7, v3
	v_cndmask_b32_e32 v8, 0x7fc00000, v15, vcc_lo
	v_cmp_o_f32_e32 vcc_lo, v4, v4
	v_cndmask_b32_e32 v4, 0x7fc0, v14, vcc_lo
	v_cmp_o_f32_e32 vcc_lo, v9, v9
	s_delay_alu instid0(VALU_DEP_2) | instskip(SKIP_3) | instid1(VALU_DEP_1)
	v_or_b32_e32 v4, v8, v4
	v_cndmask_b32_e32 v9, 0x7fc00000, v17, vcc_lo
	v_cmp_o_f32_e32 vcc_lo, v5, v5
	v_cndmask_b32_e32 v5, 0x7fc0, v16, vcc_lo
	v_or_b32_e32 v5, v9, v5
	s_clause 0x3
	global_store_b32 v1, v2, s[0:1]
	global_store_b32 v1, v3, s[0:1] offset:1024
	global_store_b32 v1, v4, s[0:1] offset:2048
	;; [unrolled: 1-line block ×3, first 2 shown]
.LBB101_2:
	s_and_not1_b32 vcc_lo, exec_lo, s3
	s_cbranch_vccnz .LBB101_41
; %bb.3:
	v_cmp_gt_i32_e32 vcc_lo, s8, v0
	v_dual_mov_b32 v8, 0 :: v_dual_mov_b32 v7, 0
	v_or_b32_e32 v1, s2, v0
	v_or_b32_e32 v3, 0x100, v0
	v_mov_b32_e32 v5, v0
	s_and_saveexec_b32 s1, vcc_lo
	s_cbranch_execz .LBB101_5
; %bb.4:
	v_mov_b32_e32 v2, 0
	s_delay_alu instid0(VALU_DEP_1) | instskip(NEXT) | instid1(VALU_DEP_1)
	v_lshlrev_b64 v[4:5], 1, v[1:2]
	v_add_co_u32 v4, s0, s6, v4
	s_delay_alu instid0(VALU_DEP_1)
	v_add_co_ci_u32_e64 v5, s0, s7, v5, s0
	global_load_u16 v7, v[4:5], off
	v_or_b32_e32 v5, 0x100, v0
.LBB101_5:
	s_or_b32 exec_lo, exec_lo, s1
	s_delay_alu instid0(SALU_CYCLE_1) | instskip(NEXT) | instid1(VALU_DEP_1)
	s_mov_b32 s1, exec_lo
	v_cmpx_gt_i32_e64 s8, v5
	s_cbranch_execz .LBB101_7
; %bb.6:
	v_dual_mov_b32 v9, 0 :: v_dual_add_nc_u32 v8, s2, v5
	v_add_nc_u32_e32 v5, 0x100, v5
	s_delay_alu instid0(VALU_DEP_2) | instskip(NEXT) | instid1(VALU_DEP_1)
	v_lshlrev_b64 v[8:9], 1, v[8:9]
	v_add_co_u32 v8, s0, s6, v8
	s_delay_alu instid0(VALU_DEP_1)
	v_add_co_ci_u32_e64 v9, s0, s7, v9, s0
	global_load_u16 v8, v[8:9], off
.LBB101_7:
	s_or_b32 exec_lo, exec_lo, s1
	v_dual_mov_b32 v6, 0 :: v_dual_mov_b32 v11, 0
	s_mov_b32 s1, exec_lo
	v_cmpx_gt_i32_e64 s8, v5
	s_cbranch_execz .LBB101_9
; %bb.8:
	v_dual_mov_b32 v10, 0 :: v_dual_add_nc_u32 v9, s2, v5
	v_add_nc_u32_e32 v5, 0x100, v5
	s_delay_alu instid0(VALU_DEP_2) | instskip(NEXT) | instid1(VALU_DEP_1)
	v_lshlrev_b64 v[9:10], 1, v[9:10]
	v_add_co_u32 v9, s0, s6, v9
	s_delay_alu instid0(VALU_DEP_1)
	v_add_co_ci_u32_e64 v10, s0, s7, v10, s0
	global_load_u16 v11, v[9:10], off
.LBB101_9:
	s_or_b32 exec_lo, exec_lo, s1
	s_delay_alu instid0(SALU_CYCLE_1)
	s_mov_b32 s1, exec_lo
	v_cmpx_gt_i32_e64 s8, v5
	s_cbranch_execz .LBB101_11
; %bb.10:
	v_dual_mov_b32 v10, 0 :: v_dual_add_nc_u32 v9, s2, v5
	v_add_nc_u32_e32 v5, 0x100, v5
	s_delay_alu instid0(VALU_DEP_2) | instskip(NEXT) | instid1(VALU_DEP_1)
	v_lshlrev_b64 v[9:10], 1, v[9:10]
	v_add_co_u32 v9, s0, s6, v9
	s_delay_alu instid0(VALU_DEP_1)
	v_add_co_ci_u32_e64 v10, s0, s7, v10, s0
	global_load_u16 v6, v[9:10], off
.LBB101_11:
	s_or_b32 exec_lo, exec_lo, s1
	v_mov_b32_e32 v4, 0
	v_mov_b32_e32 v10, 0
	s_mov_b32 s1, exec_lo
	v_cmpx_gt_i32_e64 s8, v5
	s_cbranch_execz .LBB101_13
; %bb.12:
	v_dual_mov_b32 v10, 0 :: v_dual_add_nc_u32 v9, s2, v5
	v_add_nc_u32_e32 v5, 0x100, v5
	s_delay_alu instid0(VALU_DEP_2) | instskip(NEXT) | instid1(VALU_DEP_1)
	v_lshlrev_b64 v[9:10], 1, v[9:10]
	v_add_co_u32 v9, s0, s6, v9
	s_delay_alu instid0(VALU_DEP_1)
	v_add_co_ci_u32_e64 v10, s0, s7, v10, s0
	global_load_u16 v10, v[9:10], off
.LBB101_13:
	s_or_b32 exec_lo, exec_lo, s1
	s_delay_alu instid0(SALU_CYCLE_1)
	s_mov_b32 s1, exec_lo
	v_cmpx_gt_i32_e64 s8, v5
	s_cbranch_execz .LBB101_15
; %bb.14:
	v_dual_mov_b32 v13, 0 :: v_dual_add_nc_u32 v12, s2, v5
	v_add_nc_u32_e32 v5, 0x100, v5
	s_delay_alu instid0(VALU_DEP_2) | instskip(NEXT) | instid1(VALU_DEP_1)
	v_lshlrev_b64 v[12:13], 1, v[12:13]
	v_add_co_u32 v12, s0, s6, v12
	s_delay_alu instid0(VALU_DEP_1)
	v_add_co_ci_u32_e64 v13, s0, s7, v13, s0
	global_load_u16 v4, v[12:13], off
.LBB101_15:
	s_or_b32 exec_lo, exec_lo, s1
	v_dual_mov_b32 v2, 0 :: v_dual_mov_b32 v9, 0
	s_mov_b32 s1, exec_lo
	v_cmpx_gt_i32_e64 s8, v5
	s_cbranch_execz .LBB101_42
; %bb.16:
	v_dual_mov_b32 v13, 0 :: v_dual_add_nc_u32 v12, s2, v5
	v_add_nc_u32_e32 v5, 0x100, v5
	s_delay_alu instid0(VALU_DEP_2) | instskip(NEXT) | instid1(VALU_DEP_1)
	v_lshlrev_b64 v[12:13], 1, v[12:13]
	v_add_co_u32 v12, s0, s6, v12
	s_delay_alu instid0(VALU_DEP_1) | instskip(SKIP_2) | instid1(SALU_CYCLE_1)
	v_add_co_ci_u32_e64 v13, s0, s7, v13, s0
	global_load_u16 v9, v[12:13], off
	s_or_b32 exec_lo, exec_lo, s1
	s_mov_b32 s1, exec_lo
	v_cmpx_gt_i32_e64 s8, v5
	s_cbranch_execnz .LBB101_43
.LBB101_17:
	s_or_b32 exec_lo, exec_lo, s1
                                        ; implicit-def: $vgpr5
	s_and_saveexec_b32 s1, vcc_lo
	s_cbranch_execz .LBB101_19
.LBB101_18:
	s_waitcnt vmcnt(0)
	v_lshlrev_b32_e32 v5, 16, v7
	s_delay_alu instid0(VALU_DEP_1) | instskip(SKIP_1) | instid1(VALU_DEP_2)
	v_mul_f32_e32 v7, 0x3fb8aa3b, v5
	v_cmp_ngt_f32_e64 s0, 0xc2ce8ed0, v5
	v_rndne_f32_e32 v12, v7
	v_fma_f32 v13, 0x3fb8aa3b, v5, -v7
	s_delay_alu instid0(VALU_DEP_2) | instskip(NEXT) | instid1(VALU_DEP_2)
	v_sub_f32_e32 v7, v7, v12
	v_fmamk_f32 v13, v5, 0x32a5705f, v13
	v_cvt_i32_f32_e32 v12, v12
	s_delay_alu instid0(VALU_DEP_2) | instskip(NEXT) | instid1(VALU_DEP_1)
	v_add_f32_e32 v7, v7, v13
	v_exp_f32_e32 v7, v7
	s_waitcnt_depctr 0xfff
	v_ldexp_f32 v7, v7, v12
	s_delay_alu instid0(VALU_DEP_1) | instskip(SKIP_1) | instid1(VALU_DEP_1)
	v_cndmask_b32_e64 v7, 0, v7, s0
	v_cmp_nlt_f32_e64 s0, 0x42b17218, v5
	v_cndmask_b32_e64 v5, 0x7f800000, v7, s0
	s_delay_alu instid0(VALU_DEP_1) | instskip(SKIP_1) | instid1(VALU_DEP_2)
	v_bfe_u32 v7, v5, 16, 1
	v_cmp_o_f32_e64 s0, v5, v5
	v_add3_u32 v7, v5, v7, 0x7fff
	s_delay_alu instid0(VALU_DEP_1) | instskip(NEXT) | instid1(VALU_DEP_1)
	v_lshrrev_b32_e32 v7, 16, v7
	v_cndmask_b32_e64 v5, 0x7fc0, v7, s0
.LBB101_19:
	s_or_b32 exec_lo, exec_lo, s1
	s_delay_alu instid0(SALU_CYCLE_1)
	s_mov_b32 s1, exec_lo
                                        ; implicit-def: $vgpr7
	v_cmpx_gt_i32_e64 s8, v3
	s_cbranch_execz .LBB101_21
; %bb.20:
	s_waitcnt vmcnt(0)
	v_lshlrev_b32_e32 v7, 16, v8
	s_delay_alu instid0(VALU_DEP_1) | instskip(NEXT) | instid1(VALU_DEP_1)
	v_mul_f32_e32 v8, 0x3fb8aa3b, v7
	v_rndne_f32_e32 v12, v8
	v_fma_f32 v13, 0x3fb8aa3b, v7, -v8
	s_delay_alu instid0(VALU_DEP_1) | instskip(SKIP_1) | instid1(VALU_DEP_2)
	v_dual_sub_f32 v8, v8, v12 :: v_dual_fmamk_f32 v13, v7, 0x32a5705f, v13
	v_cvt_i32_f32_e32 v12, v12
	v_add_f32_e32 v8, v8, v13
	v_cmp_ngt_f32_e64 s0, 0xc2ce8ed0, v7
	s_delay_alu instid0(VALU_DEP_2) | instskip(SKIP_2) | instid1(VALU_DEP_1)
	v_exp_f32_e32 v8, v8
	s_waitcnt_depctr 0xfff
	v_ldexp_f32 v8, v8, v12
	v_cndmask_b32_e64 v8, 0, v8, s0
	v_cmp_nlt_f32_e64 s0, 0x42b17218, v7
	s_delay_alu instid0(VALU_DEP_1) | instskip(NEXT) | instid1(VALU_DEP_1)
	v_cndmask_b32_e64 v7, 0x7f800000, v8, s0
	v_bfe_u32 v8, v7, 16, 1
	v_cmp_o_f32_e64 s0, v7, v7
	s_delay_alu instid0(VALU_DEP_2) | instskip(NEXT) | instid1(VALU_DEP_1)
	v_add3_u32 v8, v7, v8, 0x7fff
	v_lshrrev_b32_e32 v8, 16, v8
	s_delay_alu instid0(VALU_DEP_1)
	v_cndmask_b32_e64 v7, 0x7fc0, v8, s0
.LBB101_21:
	s_or_b32 exec_lo, exec_lo, s1
	s_waitcnt vmcnt(0)
	v_or_b32_e32 v8, 0x200, v0
	s_delay_alu instid0(VALU_DEP_1) | instskip(NEXT) | instid1(VALU_DEP_1)
	v_cmp_gt_i32_e64 s0, s8, v8
                                        ; implicit-def: $vgpr8
	s_and_saveexec_b32 s1, s0
	s_cbranch_execz .LBB101_23
; %bb.22:
	v_lshlrev_b32_e32 v8, 16, v11
	s_delay_alu instid0(VALU_DEP_1) | instskip(NEXT) | instid1(VALU_DEP_1)
	v_mul_f32_e32 v11, 0x3fb8aa3b, v8
	v_rndne_f32_e32 v12, v11
	v_fma_f32 v13, 0x3fb8aa3b, v8, -v11
	s_delay_alu instid0(VALU_DEP_2) | instskip(NEXT) | instid1(VALU_DEP_2)
	v_sub_f32_e32 v11, v11, v12
	v_fmamk_f32 v13, v8, 0x32a5705f, v13
	v_cvt_i32_f32_e32 v12, v12
	v_cmp_ngt_f32_e64 s0, 0xc2ce8ed0, v8
	s_delay_alu instid0(VALU_DEP_3) | instskip(NEXT) | instid1(VALU_DEP_1)
	v_add_f32_e32 v11, v11, v13
	v_exp_f32_e32 v11, v11
	s_waitcnt_depctr 0xfff
	v_ldexp_f32 v11, v11, v12
	s_delay_alu instid0(VALU_DEP_1) | instskip(SKIP_1) | instid1(VALU_DEP_1)
	v_cndmask_b32_e64 v11, 0, v11, s0
	v_cmp_nlt_f32_e64 s0, 0x42b17218, v8
	v_cndmask_b32_e64 v8, 0x7f800000, v11, s0
	s_delay_alu instid0(VALU_DEP_1) | instskip(SKIP_1) | instid1(VALU_DEP_2)
	v_bfe_u32 v11, v8, 16, 1
	v_cmp_o_f32_e64 s0, v8, v8
	v_add3_u32 v11, v8, v11, 0x7fff
	s_delay_alu instid0(VALU_DEP_1) | instskip(NEXT) | instid1(VALU_DEP_1)
	v_lshrrev_b32_e32 v11, 16, v11
	v_cndmask_b32_e64 v8, 0x7fc0, v11, s0
.LBB101_23:
	s_or_b32 exec_lo, exec_lo, s1
	v_or_b32_e32 v11, 0x300, v0
	s_delay_alu instid0(VALU_DEP_1) | instskip(NEXT) | instid1(VALU_DEP_1)
	v_cmp_gt_i32_e64 s0, s8, v11
                                        ; implicit-def: $vgpr11
	s_and_saveexec_b32 s1, s0
	s_cbranch_execz .LBB101_25
; %bb.24:
	v_lshlrev_b32_e32 v6, 16, v6
	s_delay_alu instid0(VALU_DEP_1) | instskip(NEXT) | instid1(VALU_DEP_1)
	v_mul_f32_e32 v11, 0x3fb8aa3b, v6
	v_rndne_f32_e32 v12, v11
	v_fma_f32 v13, 0x3fb8aa3b, v6, -v11
	s_delay_alu instid0(VALU_DEP_2) | instskip(NEXT) | instid1(VALU_DEP_2)
	v_sub_f32_e32 v11, v11, v12
	v_fmamk_f32 v13, v6, 0x32a5705f, v13
	v_cvt_i32_f32_e32 v12, v12
	v_cmp_ngt_f32_e64 s0, 0xc2ce8ed0, v6
	s_delay_alu instid0(VALU_DEP_3) | instskip(NEXT) | instid1(VALU_DEP_1)
	v_add_f32_e32 v11, v11, v13
	v_exp_f32_e32 v11, v11
	s_waitcnt_depctr 0xfff
	v_ldexp_f32 v11, v11, v12
	s_delay_alu instid0(VALU_DEP_1) | instskip(SKIP_1) | instid1(VALU_DEP_1)
	v_cndmask_b32_e64 v11, 0, v11, s0
	v_cmp_nlt_f32_e64 s0, 0x42b17218, v6
	v_cndmask_b32_e64 v6, 0x7f800000, v11, s0
	s_delay_alu instid0(VALU_DEP_1) | instskip(SKIP_1) | instid1(VALU_DEP_2)
	v_bfe_u32 v11, v6, 16, 1
	v_cmp_o_f32_e64 s0, v6, v6
	v_add3_u32 v11, v6, v11, 0x7fff
	s_delay_alu instid0(VALU_DEP_1) | instskip(NEXT) | instid1(VALU_DEP_1)
	v_lshrrev_b32_e32 v11, 16, v11
	v_cndmask_b32_e64 v11, 0x7fc0, v11, s0
.LBB101_25:
	s_or_b32 exec_lo, exec_lo, s1
	v_or_b32_e32 v6, 0x400, v0
	s_delay_alu instid0(VALU_DEP_1) | instskip(NEXT) | instid1(VALU_DEP_1)
	v_cmp_gt_i32_e64 s0, s8, v6
                                        ; implicit-def: $vgpr6
	s_and_saveexec_b32 s1, s0
	s_cbranch_execz .LBB101_27
; %bb.26:
	v_lshlrev_b32_e32 v6, 16, v10
	s_delay_alu instid0(VALU_DEP_1) | instskip(SKIP_1) | instid1(VALU_DEP_2)
	v_mul_f32_e32 v10, 0x3fb8aa3b, v6
	v_cmp_ngt_f32_e64 s0, 0xc2ce8ed0, v6
	v_rndne_f32_e32 v12, v10
	v_fma_f32 v13, 0x3fb8aa3b, v6, -v10
	s_delay_alu instid0(VALU_DEP_2) | instskip(NEXT) | instid1(VALU_DEP_2)
	v_sub_f32_e32 v10, v10, v12
	v_fmamk_f32 v13, v6, 0x32a5705f, v13
	v_cvt_i32_f32_e32 v12, v12
	s_delay_alu instid0(VALU_DEP_2) | instskip(NEXT) | instid1(VALU_DEP_1)
	v_add_f32_e32 v10, v10, v13
	v_exp_f32_e32 v10, v10
	s_waitcnt_depctr 0xfff
	v_ldexp_f32 v10, v10, v12
	s_delay_alu instid0(VALU_DEP_1) | instskip(SKIP_1) | instid1(VALU_DEP_1)
	v_cndmask_b32_e64 v10, 0, v10, s0
	v_cmp_nlt_f32_e64 s0, 0x42b17218, v6
	v_cndmask_b32_e64 v6, 0x7f800000, v10, s0
	s_delay_alu instid0(VALU_DEP_1) | instskip(SKIP_1) | instid1(VALU_DEP_2)
	v_bfe_u32 v10, v6, 16, 1
	v_cmp_o_f32_e64 s0, v6, v6
	v_add3_u32 v10, v6, v10, 0x7fff
	s_delay_alu instid0(VALU_DEP_1) | instskip(NEXT) | instid1(VALU_DEP_1)
	v_lshrrev_b32_e32 v10, 16, v10
	v_cndmask_b32_e64 v6, 0x7fc0, v10, s0
.LBB101_27:
	s_or_b32 exec_lo, exec_lo, s1
	v_or_b32_e32 v10, 0x500, v0
	s_delay_alu instid0(VALU_DEP_1) | instskip(NEXT) | instid1(VALU_DEP_1)
	v_cmp_gt_i32_e64 s0, s8, v10
                                        ; implicit-def: $vgpr10
	s_and_saveexec_b32 s1, s0
	s_cbranch_execz .LBB101_29
; %bb.28:
	v_lshlrev_b32_e32 v4, 16, v4
	s_delay_alu instid0(VALU_DEP_1) | instskip(SKIP_1) | instid1(VALU_DEP_2)
	v_mul_f32_e32 v10, 0x3fb8aa3b, v4
	v_cmp_ngt_f32_e64 s0, 0xc2ce8ed0, v4
	v_rndne_f32_e32 v12, v10
	v_fma_f32 v13, 0x3fb8aa3b, v4, -v10
	s_delay_alu instid0(VALU_DEP_1) | instskip(SKIP_1) | instid1(VALU_DEP_2)
	v_dual_sub_f32 v10, v10, v12 :: v_dual_fmamk_f32 v13, v4, 0x32a5705f, v13
	v_cvt_i32_f32_e32 v12, v12
	v_add_f32_e32 v10, v10, v13
	s_delay_alu instid0(VALU_DEP_1) | instskip(SKIP_2) | instid1(VALU_DEP_1)
	v_exp_f32_e32 v10, v10
	s_waitcnt_depctr 0xfff
	v_ldexp_f32 v10, v10, v12
	v_cndmask_b32_e64 v10, 0, v10, s0
	v_cmp_nlt_f32_e64 s0, 0x42b17218, v4
	s_delay_alu instid0(VALU_DEP_1) | instskip(NEXT) | instid1(VALU_DEP_1)
	v_cndmask_b32_e64 v4, 0x7f800000, v10, s0
	v_bfe_u32 v10, v4, 16, 1
	v_cmp_o_f32_e64 s0, v4, v4
	s_delay_alu instid0(VALU_DEP_2) | instskip(NEXT) | instid1(VALU_DEP_1)
	v_add3_u32 v10, v4, v10, 0x7fff
	v_lshrrev_b32_e32 v10, 16, v10
	s_delay_alu instid0(VALU_DEP_1)
	v_cndmask_b32_e64 v10, 0x7fc0, v10, s0
.LBB101_29:
	s_or_b32 exec_lo, exec_lo, s1
	v_or_b32_e32 v4, 0x600, v0
	s_delay_alu instid0(VALU_DEP_1) | instskip(NEXT) | instid1(VALU_DEP_1)
	v_cmp_gt_i32_e64 s0, s8, v4
                                        ; implicit-def: $vgpr4
	s_and_saveexec_b32 s1, s0
	s_cbranch_execz .LBB101_31
; %bb.30:
	v_lshlrev_b32_e32 v4, 16, v9
	s_delay_alu instid0(VALU_DEP_1) | instskip(NEXT) | instid1(VALU_DEP_1)
	v_mul_f32_e32 v9, 0x3fb8aa3b, v4
	v_rndne_f32_e32 v12, v9
	v_fma_f32 v13, 0x3fb8aa3b, v4, -v9
	s_delay_alu instid0(VALU_DEP_2) | instskip(NEXT) | instid1(VALU_DEP_2)
	v_sub_f32_e32 v9, v9, v12
	v_fmamk_f32 v13, v4, 0x32a5705f, v13
	v_cvt_i32_f32_e32 v12, v12
	v_cmp_ngt_f32_e64 s0, 0xc2ce8ed0, v4
	s_delay_alu instid0(VALU_DEP_3) | instskip(NEXT) | instid1(VALU_DEP_1)
	v_add_f32_e32 v9, v9, v13
	v_exp_f32_e32 v9, v9
	s_waitcnt_depctr 0xfff
	v_ldexp_f32 v9, v9, v12
	s_delay_alu instid0(VALU_DEP_1) | instskip(SKIP_1) | instid1(VALU_DEP_1)
	v_cndmask_b32_e64 v9, 0, v9, s0
	v_cmp_nlt_f32_e64 s0, 0x42b17218, v4
	v_cndmask_b32_e64 v4, 0x7f800000, v9, s0
	s_delay_alu instid0(VALU_DEP_1) | instskip(SKIP_1) | instid1(VALU_DEP_2)
	v_bfe_u32 v9, v4, 16, 1
	v_cmp_o_f32_e64 s0, v4, v4
	v_add3_u32 v9, v4, v9, 0x7fff
	s_delay_alu instid0(VALU_DEP_1) | instskip(NEXT) | instid1(VALU_DEP_1)
	v_lshrrev_b32_e32 v9, 16, v9
	v_cndmask_b32_e64 v4, 0x7fc0, v9, s0
.LBB101_31:
	s_or_b32 exec_lo, exec_lo, s1
	v_or_b32_e32 v9, 0x700, v0
	s_delay_alu instid0(VALU_DEP_1) | instskip(NEXT) | instid1(VALU_DEP_1)
	v_cmp_gt_i32_e64 s0, s8, v9
                                        ; implicit-def: $vgpr9
	s_and_saveexec_b32 s1, s0
	s_cbranch_execz .LBB101_44
; %bb.32:
	v_lshlrev_b32_e32 v2, 16, v2
	s_delay_alu instid0(VALU_DEP_1) | instskip(NEXT) | instid1(VALU_DEP_1)
	v_mul_f32_e32 v9, 0x3fb8aa3b, v2
	v_rndne_f32_e32 v12, v9
	v_fma_f32 v13, 0x3fb8aa3b, v2, -v9
	s_delay_alu instid0(VALU_DEP_2) | instskip(NEXT) | instid1(VALU_DEP_2)
	v_sub_f32_e32 v9, v9, v12
	v_fmamk_f32 v13, v2, 0x32a5705f, v13
	v_cvt_i32_f32_e32 v12, v12
	v_cmp_ngt_f32_e64 s0, 0xc2ce8ed0, v2
	s_delay_alu instid0(VALU_DEP_3) | instskip(NEXT) | instid1(VALU_DEP_1)
	v_add_f32_e32 v9, v9, v13
	v_exp_f32_e32 v9, v9
	s_waitcnt_depctr 0xfff
	v_ldexp_f32 v9, v9, v12
	s_delay_alu instid0(VALU_DEP_1) | instskip(SKIP_1) | instid1(VALU_DEP_1)
	v_cndmask_b32_e64 v9, 0, v9, s0
	v_cmp_nlt_f32_e64 s0, 0x42b17218, v2
	v_cndmask_b32_e64 v2, 0x7f800000, v9, s0
	s_delay_alu instid0(VALU_DEP_1) | instskip(SKIP_1) | instid1(VALU_DEP_2)
	v_bfe_u32 v9, v2, 16, 1
	v_cmp_o_f32_e64 s0, v2, v2
	v_add3_u32 v9, v2, v9, 0x7fff
	s_delay_alu instid0(VALU_DEP_1) | instskip(NEXT) | instid1(VALU_DEP_1)
	v_lshrrev_b32_e32 v9, 16, v9
	v_cndmask_b32_e64 v9, 0x7fc0, v9, s0
	s_or_b32 exec_lo, exec_lo, s1
	s_and_saveexec_b32 s0, vcc_lo
	s_delay_alu instid0(SALU_CYCLE_1)
	s_xor_b32 s0, exec_lo, s0
	s_cbranch_execnz .LBB101_45
.LBB101_33:
	s_or_b32 exec_lo, exec_lo, s0
	s_delay_alu instid0(SALU_CYCLE_1)
	s_mov_b32 s0, exec_lo
	v_cmpx_gt_i32_e64 s8, v0
	s_cbranch_execz .LBB101_46
.LBB101_34:
	v_dual_mov_b32 v2, 0 :: v_dual_add_nc_u32 v1, s2, v0
	v_add_nc_u32_e32 v0, 0x100, v0
	s_delay_alu instid0(VALU_DEP_2) | instskip(NEXT) | instid1(VALU_DEP_1)
	v_lshlrev_b64 v[1:2], 1, v[1:2]
	v_add_co_u32 v1, vcc_lo, s4, v1
	s_delay_alu instid0(VALU_DEP_2) | instskip(SKIP_2) | instid1(SALU_CYCLE_1)
	v_add_co_ci_u32_e32 v2, vcc_lo, s5, v2, vcc_lo
	global_store_b16 v[1:2], v7, off
	s_or_b32 exec_lo, exec_lo, s0
	s_mov_b32 s0, exec_lo
	v_cmpx_gt_i32_e64 s8, v0
	s_cbranch_execnz .LBB101_47
.LBB101_35:
	s_or_b32 exec_lo, exec_lo, s0
	s_delay_alu instid0(SALU_CYCLE_1)
	s_mov_b32 s0, exec_lo
	v_cmpx_gt_i32_e64 s8, v0
	s_cbranch_execz .LBB101_48
.LBB101_36:
	v_dual_mov_b32 v2, 0 :: v_dual_add_nc_u32 v1, s2, v0
	v_add_nc_u32_e32 v0, 0x100, v0
	s_delay_alu instid0(VALU_DEP_2) | instskip(NEXT) | instid1(VALU_DEP_1)
	v_lshlrev_b64 v[1:2], 1, v[1:2]
	v_add_co_u32 v1, vcc_lo, s4, v1
	s_delay_alu instid0(VALU_DEP_2) | instskip(SKIP_2) | instid1(SALU_CYCLE_1)
	v_add_co_ci_u32_e32 v2, vcc_lo, s5, v2, vcc_lo
	global_store_b16 v[1:2], v11, off
	s_or_b32 exec_lo, exec_lo, s0
	s_mov_b32 s0, exec_lo
	v_cmpx_gt_i32_e64 s8, v0
	s_cbranch_execnz .LBB101_49
.LBB101_37:
	s_or_b32 exec_lo, exec_lo, s0
	s_delay_alu instid0(SALU_CYCLE_1)
	s_mov_b32 s0, exec_lo
	v_cmpx_gt_i32_e64 s8, v0
	s_cbranch_execz .LBB101_50
.LBB101_38:
	v_dual_mov_b32 v2, 0 :: v_dual_add_nc_u32 v1, s2, v0
	v_add_nc_u32_e32 v0, 0x100, v0
	s_delay_alu instid0(VALU_DEP_2) | instskip(NEXT) | instid1(VALU_DEP_1)
	v_lshlrev_b64 v[1:2], 1, v[1:2]
	v_add_co_u32 v1, vcc_lo, s4, v1
	s_delay_alu instid0(VALU_DEP_2) | instskip(SKIP_2) | instid1(SALU_CYCLE_1)
	v_add_co_ci_u32_e32 v2, vcc_lo, s5, v2, vcc_lo
	global_store_b16 v[1:2], v10, off
	s_or_b32 exec_lo, exec_lo, s0
	s_mov_b32 s0, exec_lo
	v_cmpx_gt_i32_e64 s8, v0
	s_cbranch_execnz .LBB101_51
.LBB101_39:
	s_or_b32 exec_lo, exec_lo, s0
	s_delay_alu instid0(SALU_CYCLE_1)
	s_mov_b32 s0, exec_lo
	v_cmpx_gt_i32_e64 s8, v0
	s_cbranch_execz .LBB101_41
.LBB101_40:
	v_dual_mov_b32 v1, 0 :: v_dual_add_nc_u32 v0, s2, v0
	s_delay_alu instid0(VALU_DEP_1) | instskip(NEXT) | instid1(VALU_DEP_1)
	v_lshlrev_b64 v[0:1], 1, v[0:1]
	v_add_co_u32 v0, vcc_lo, s4, v0
	s_delay_alu instid0(VALU_DEP_2)
	v_add_co_ci_u32_e32 v1, vcc_lo, s5, v1, vcc_lo
	global_store_b16 v[0:1], v9, off
.LBB101_41:
	s_nop 0
	s_sendmsg sendmsg(MSG_DEALLOC_VGPRS)
	s_endpgm
.LBB101_42:
	s_or_b32 exec_lo, exec_lo, s1
	s_delay_alu instid0(SALU_CYCLE_1)
	s_mov_b32 s1, exec_lo
	v_cmpx_gt_i32_e64 s8, v5
	s_cbranch_execz .LBB101_17
.LBB101_43:
	v_dual_mov_b32 v13, 0 :: v_dual_add_nc_u32 v12, s2, v5
	s_delay_alu instid0(VALU_DEP_1) | instskip(NEXT) | instid1(VALU_DEP_1)
	v_lshlrev_b64 v[12:13], 1, v[12:13]
	v_add_co_u32 v12, s0, s6, v12
	s_delay_alu instid0(VALU_DEP_1)
	v_add_co_ci_u32_e64 v13, s0, s7, v13, s0
	global_load_u16 v2, v[12:13], off
	s_or_b32 exec_lo, exec_lo, s1
                                        ; implicit-def: $vgpr5
	s_and_saveexec_b32 s1, vcc_lo
	s_cbranch_execz .LBB101_19
	s_branch .LBB101_18
.LBB101_44:
	s_or_b32 exec_lo, exec_lo, s1
	s_and_saveexec_b32 s0, vcc_lo
	s_delay_alu instid0(SALU_CYCLE_1)
	s_xor_b32 s0, exec_lo, s0
	s_cbranch_execz .LBB101_33
.LBB101_45:
	v_mov_b32_e32 v2, 0
	s_delay_alu instid0(VALU_DEP_1) | instskip(NEXT) | instid1(VALU_DEP_1)
	v_lshlrev_b64 v[0:1], 1, v[1:2]
	v_add_co_u32 v12, vcc_lo, s4, v0
	s_delay_alu instid0(VALU_DEP_2) | instskip(SKIP_3) | instid1(SALU_CYCLE_1)
	v_add_co_ci_u32_e32 v13, vcc_lo, s5, v1, vcc_lo
	v_mov_b32_e32 v0, v3
	global_store_b16 v[12:13], v5, off
	s_or_b32 exec_lo, exec_lo, s0
	s_mov_b32 s0, exec_lo
	v_cmpx_gt_i32_e64 s8, v0
	s_cbranch_execnz .LBB101_34
.LBB101_46:
	s_or_b32 exec_lo, exec_lo, s0
	s_delay_alu instid0(SALU_CYCLE_1)
	s_mov_b32 s0, exec_lo
	v_cmpx_gt_i32_e64 s8, v0
	s_cbranch_execz .LBB101_35
.LBB101_47:
	v_dual_mov_b32 v2, 0 :: v_dual_add_nc_u32 v1, s2, v0
	v_add_nc_u32_e32 v0, 0x100, v0
	s_delay_alu instid0(VALU_DEP_2) | instskip(NEXT) | instid1(VALU_DEP_1)
	v_lshlrev_b64 v[1:2], 1, v[1:2]
	v_add_co_u32 v1, vcc_lo, s4, v1
	s_delay_alu instid0(VALU_DEP_2) | instskip(SKIP_2) | instid1(SALU_CYCLE_1)
	v_add_co_ci_u32_e32 v2, vcc_lo, s5, v2, vcc_lo
	global_store_b16 v[1:2], v8, off
	s_or_b32 exec_lo, exec_lo, s0
	s_mov_b32 s0, exec_lo
	v_cmpx_gt_i32_e64 s8, v0
	s_cbranch_execnz .LBB101_36
.LBB101_48:
	s_or_b32 exec_lo, exec_lo, s0
	s_delay_alu instid0(SALU_CYCLE_1)
	s_mov_b32 s0, exec_lo
	v_cmpx_gt_i32_e64 s8, v0
	s_cbranch_execz .LBB101_37
.LBB101_49:
	v_dual_mov_b32 v2, 0 :: v_dual_add_nc_u32 v1, s2, v0
	v_add_nc_u32_e32 v0, 0x100, v0
	s_delay_alu instid0(VALU_DEP_2) | instskip(NEXT) | instid1(VALU_DEP_1)
	v_lshlrev_b64 v[1:2], 1, v[1:2]
	v_add_co_u32 v1, vcc_lo, s4, v1
	s_delay_alu instid0(VALU_DEP_2) | instskip(SKIP_2) | instid1(SALU_CYCLE_1)
	v_add_co_ci_u32_e32 v2, vcc_lo, s5, v2, vcc_lo
	global_store_b16 v[1:2], v6, off
	s_or_b32 exec_lo, exec_lo, s0
	s_mov_b32 s0, exec_lo
	v_cmpx_gt_i32_e64 s8, v0
	s_cbranch_execnz .LBB101_38
.LBB101_50:
	s_or_b32 exec_lo, exec_lo, s0
	s_delay_alu instid0(SALU_CYCLE_1)
	s_mov_b32 s0, exec_lo
	v_cmpx_gt_i32_e64 s8, v0
	s_cbranch_execz .LBB101_39
.LBB101_51:
	v_dual_mov_b32 v2, 0 :: v_dual_add_nc_u32 v1, s2, v0
	v_add_nc_u32_e32 v0, 0x100, v0
	s_delay_alu instid0(VALU_DEP_2) | instskip(NEXT) | instid1(VALU_DEP_1)
	v_lshlrev_b64 v[1:2], 1, v[1:2]
	v_add_co_u32 v1, vcc_lo, s4, v1
	s_delay_alu instid0(VALU_DEP_2) | instskip(SKIP_2) | instid1(SALU_CYCLE_1)
	v_add_co_ci_u32_e32 v2, vcc_lo, s5, v2, vcc_lo
	global_store_b16 v[1:2], v4, off
	s_or_b32 exec_lo, exec_lo, s0
	s_mov_b32 s0, exec_lo
	v_cmpx_gt_i32_e64 s8, v0
	s_cbranch_execnz .LBB101_40
	s_branch .LBB101_41
	.section	.rodata,"a",@progbits
	.p2align	6, 0x0
	.amdhsa_kernel _ZN2at6native29vectorized_elementwise_kernelILi2EZZZNS0_15exp_kernel_cudaERNS_18TensorIteratorBaseEENKUlvE0_clEvENKUlvE2_clEvEUlN3c108BFloat16EE_St5arrayIPcLm2EEEEviT0_T1_
		.amdhsa_group_segment_fixed_size 0
		.amdhsa_private_segment_fixed_size 0
		.amdhsa_kernarg_size 24
		.amdhsa_user_sgpr_count 15
		.amdhsa_user_sgpr_dispatch_ptr 0
		.amdhsa_user_sgpr_queue_ptr 0
		.amdhsa_user_sgpr_kernarg_segment_ptr 1
		.amdhsa_user_sgpr_dispatch_id 0
		.amdhsa_user_sgpr_private_segment_size 0
		.amdhsa_wavefront_size32 1
		.amdhsa_uses_dynamic_stack 0
		.amdhsa_enable_private_segment 0
		.amdhsa_system_sgpr_workgroup_id_x 1
		.amdhsa_system_sgpr_workgroup_id_y 0
		.amdhsa_system_sgpr_workgroup_id_z 0
		.amdhsa_system_sgpr_workgroup_info 0
		.amdhsa_system_vgpr_workitem_id 0
		.amdhsa_next_free_vgpr 34
		.amdhsa_next_free_sgpr 16
		.amdhsa_reserve_vcc 1
		.amdhsa_float_round_mode_32 0
		.amdhsa_float_round_mode_16_64 0
		.amdhsa_float_denorm_mode_32 3
		.amdhsa_float_denorm_mode_16_64 3
		.amdhsa_dx10_clamp 1
		.amdhsa_ieee_mode 1
		.amdhsa_fp16_overflow 0
		.amdhsa_workgroup_processor_mode 1
		.amdhsa_memory_ordered 1
		.amdhsa_forward_progress 0
		.amdhsa_shared_vgpr_count 0
		.amdhsa_exception_fp_ieee_invalid_op 0
		.amdhsa_exception_fp_denorm_src 0
		.amdhsa_exception_fp_ieee_div_zero 0
		.amdhsa_exception_fp_ieee_overflow 0
		.amdhsa_exception_fp_ieee_underflow 0
		.amdhsa_exception_fp_ieee_inexact 0
		.amdhsa_exception_int_div_zero 0
	.end_amdhsa_kernel
	.section	.text._ZN2at6native29vectorized_elementwise_kernelILi2EZZZNS0_15exp_kernel_cudaERNS_18TensorIteratorBaseEENKUlvE0_clEvENKUlvE2_clEvEUlN3c108BFloat16EE_St5arrayIPcLm2EEEEviT0_T1_,"axG",@progbits,_ZN2at6native29vectorized_elementwise_kernelILi2EZZZNS0_15exp_kernel_cudaERNS_18TensorIteratorBaseEENKUlvE0_clEvENKUlvE2_clEvEUlN3c108BFloat16EE_St5arrayIPcLm2EEEEviT0_T1_,comdat
.Lfunc_end101:
	.size	_ZN2at6native29vectorized_elementwise_kernelILi2EZZZNS0_15exp_kernel_cudaERNS_18TensorIteratorBaseEENKUlvE0_clEvENKUlvE2_clEvEUlN3c108BFloat16EE_St5arrayIPcLm2EEEEviT0_T1_, .Lfunc_end101-_ZN2at6native29vectorized_elementwise_kernelILi2EZZZNS0_15exp_kernel_cudaERNS_18TensorIteratorBaseEENKUlvE0_clEvENKUlvE2_clEvEUlN3c108BFloat16EE_St5arrayIPcLm2EEEEviT0_T1_
                                        ; -- End function
	.section	.AMDGPU.csdata,"",@progbits
; Kernel info:
; codeLenInByte = 4432
; NumSgprs: 18
; NumVgprs: 34
; ScratchSize: 0
; MemoryBound: 0
; FloatMode: 240
; IeeeMode: 1
; LDSByteSize: 0 bytes/workgroup (compile time only)
; SGPRBlocks: 2
; VGPRBlocks: 4
; NumSGPRsForWavesPerEU: 18
; NumVGPRsForWavesPerEU: 34
; Occupancy: 16
; WaveLimiterHint : 1
; COMPUTE_PGM_RSRC2:SCRATCH_EN: 0
; COMPUTE_PGM_RSRC2:USER_SGPR: 15
; COMPUTE_PGM_RSRC2:TRAP_HANDLER: 0
; COMPUTE_PGM_RSRC2:TGID_X_EN: 1
; COMPUTE_PGM_RSRC2:TGID_Y_EN: 0
; COMPUTE_PGM_RSRC2:TGID_Z_EN: 0
; COMPUTE_PGM_RSRC2:TIDIG_COMP_CNT: 0
	.section	.text._ZN2at6native27unrolled_elementwise_kernelIZZZNS0_15exp_kernel_cudaERNS_18TensorIteratorBaseEENKUlvE0_clEvENKUlvE2_clEvEUlN3c108BFloat16EE_St5arrayIPcLm2EELi4E23TrivialOffsetCalculatorILi1EjESD_NS0_6memory15LoadWithoutCastENSE_16StoreWithoutCastEEEviT_T0_T2_T3_T4_T5_,"axG",@progbits,_ZN2at6native27unrolled_elementwise_kernelIZZZNS0_15exp_kernel_cudaERNS_18TensorIteratorBaseEENKUlvE0_clEvENKUlvE2_clEvEUlN3c108BFloat16EE_St5arrayIPcLm2EELi4E23TrivialOffsetCalculatorILi1EjESD_NS0_6memory15LoadWithoutCastENSE_16StoreWithoutCastEEEviT_T0_T2_T3_T4_T5_,comdat
	.globl	_ZN2at6native27unrolled_elementwise_kernelIZZZNS0_15exp_kernel_cudaERNS_18TensorIteratorBaseEENKUlvE0_clEvENKUlvE2_clEvEUlN3c108BFloat16EE_St5arrayIPcLm2EELi4E23TrivialOffsetCalculatorILi1EjESD_NS0_6memory15LoadWithoutCastENSE_16StoreWithoutCastEEEviT_T0_T2_T3_T4_T5_ ; -- Begin function _ZN2at6native27unrolled_elementwise_kernelIZZZNS0_15exp_kernel_cudaERNS_18TensorIteratorBaseEENKUlvE0_clEvENKUlvE2_clEvEUlN3c108BFloat16EE_St5arrayIPcLm2EELi4E23TrivialOffsetCalculatorILi1EjESD_NS0_6memory15LoadWithoutCastENSE_16StoreWithoutCastEEEviT_T0_T2_T3_T4_T5_
	.p2align	8
	.type	_ZN2at6native27unrolled_elementwise_kernelIZZZNS0_15exp_kernel_cudaERNS_18TensorIteratorBaseEENKUlvE0_clEvENKUlvE2_clEvEUlN3c108BFloat16EE_St5arrayIPcLm2EELi4E23TrivialOffsetCalculatorILi1EjESD_NS0_6memory15LoadWithoutCastENSE_16StoreWithoutCastEEEviT_T0_T2_T3_T4_T5_,@function
_ZN2at6native27unrolled_elementwise_kernelIZZZNS0_15exp_kernel_cudaERNS_18TensorIteratorBaseEENKUlvE0_clEvENKUlvE2_clEvEUlN3c108BFloat16EE_St5arrayIPcLm2EELi4E23TrivialOffsetCalculatorILi1EjESD_NS0_6memory15LoadWithoutCastENSE_16StoreWithoutCastEEEviT_T0_T2_T3_T4_T5_: ; @_ZN2at6native27unrolled_elementwise_kernelIZZZNS0_15exp_kernel_cudaERNS_18TensorIteratorBaseEENKUlvE0_clEvENKUlvE2_clEvEUlN3c108BFloat16EE_St5arrayIPcLm2EELi4E23TrivialOffsetCalculatorILi1EjESD_NS0_6memory15LoadWithoutCastENSE_16StoreWithoutCastEEEviT_T0_T2_T3_T4_T5_
; %bb.0:
	s_clause 0x1
	s_load_b32 s2, s[0:1], 0x0
	s_load_b128 s[4:7], s[0:1], 0x8
	s_lshl_b32 s1, s15, 10
	v_dual_mov_b32 v4, 0 :: v_dual_mov_b32 v7, 0
	v_or_b32_e32 v1, s1, v0
	v_or_b32_e32 v3, 0x100, v0
	v_mov_b32_e32 v5, v0
	s_waitcnt lgkmcnt(0)
	s_sub_i32 s2, s2, s1
	s_delay_alu instid0(SALU_CYCLE_1)
	v_cmp_gt_i32_e32 vcc_lo, s2, v0
	s_and_saveexec_b32 s3, vcc_lo
	s_cbranch_execz .LBB102_2
; %bb.1:
	v_mov_b32_e32 v2, 0
	s_delay_alu instid0(VALU_DEP_1) | instskip(NEXT) | instid1(VALU_DEP_1)
	v_lshlrev_b64 v[5:6], 1, v[1:2]
	v_add_co_u32 v5, s0, s6, v5
	s_delay_alu instid0(VALU_DEP_1)
	v_add_co_ci_u32_e64 v6, s0, s7, v6, s0
	global_load_u16 v2, v[5:6], off
	v_or_b32_e32 v5, 0x100, v0
	s_waitcnt vmcnt(0)
	v_lshlrev_b32_e32 v7, 16, v2
.LBB102_2:
	s_or_b32 exec_lo, exec_lo, s3
	s_delay_alu instid0(SALU_CYCLE_1)
	s_mov_b32 s3, exec_lo
	v_cmpx_gt_i32_e64 s2, v5
	s_cbranch_execz .LBB102_4
; %bb.3:
	v_dual_mov_b32 v9, 0 :: v_dual_add_nc_u32 v8, s1, v5
	v_add_nc_u32_e32 v5, 0x100, v5
	s_delay_alu instid0(VALU_DEP_2) | instskip(NEXT) | instid1(VALU_DEP_1)
	v_lshlrev_b64 v[8:9], 1, v[8:9]
	v_add_co_u32 v8, s0, s6, v8
	s_delay_alu instid0(VALU_DEP_1)
	v_add_co_ci_u32_e64 v9, s0, s7, v9, s0
	global_load_u16 v2, v[8:9], off
	s_waitcnt vmcnt(0)
	v_lshlrev_b32_e32 v4, 16, v2
.LBB102_4:
	s_or_b32 exec_lo, exec_lo, s3
	v_mov_b32_e32 v2, 0
	v_mov_b32_e32 v6, 0
	s_mov_b32 s3, exec_lo
	v_cmpx_gt_i32_e64 s2, v5
	s_cbranch_execz .LBB102_18
; %bb.5:
	v_dual_mov_b32 v9, 0 :: v_dual_add_nc_u32 v8, s1, v5
	v_add_nc_u32_e32 v5, 0x100, v5
	s_delay_alu instid0(VALU_DEP_2) | instskip(NEXT) | instid1(VALU_DEP_1)
	v_lshlrev_b64 v[8:9], 1, v[8:9]
	v_add_co_u32 v8, s0, s6, v8
	s_delay_alu instid0(VALU_DEP_1) | instskip(SKIP_4) | instid1(SALU_CYCLE_1)
	v_add_co_ci_u32_e64 v9, s0, s7, v9, s0
	global_load_u16 v6, v[8:9], off
	s_waitcnt vmcnt(0)
	v_lshlrev_b32_e32 v6, 16, v6
	s_or_b32 exec_lo, exec_lo, s3
	s_mov_b32 s3, exec_lo
	v_cmpx_gt_i32_e64 s2, v5
	s_cbranch_execnz .LBB102_19
.LBB102_6:
	s_or_b32 exec_lo, exec_lo, s3
                                        ; implicit-def: $vgpr5
	s_and_saveexec_b32 s3, vcc_lo
	s_cbranch_execz .LBB102_8
.LBB102_7:
	v_mul_f32_e32 v5, 0x3fb8aa3b, v7
	v_cmp_ngt_f32_e64 s0, 0xc2ce8ed0, v7
	s_delay_alu instid0(VALU_DEP_2) | instskip(SKIP_1) | instid1(VALU_DEP_2)
	v_rndne_f32_e32 v8, v5
	v_fma_f32 v9, 0x3fb8aa3b, v7, -v5
	v_sub_f32_e32 v5, v5, v8
	s_delay_alu instid0(VALU_DEP_2) | instskip(SKIP_1) | instid1(VALU_DEP_2)
	v_fmamk_f32 v9, v7, 0x32a5705f, v9
	v_cvt_i32_f32_e32 v8, v8
	v_add_f32_e32 v5, v5, v9
	s_delay_alu instid0(VALU_DEP_1) | instskip(SKIP_2) | instid1(VALU_DEP_1)
	v_exp_f32_e32 v5, v5
	s_waitcnt_depctr 0xfff
	v_ldexp_f32 v5, v5, v8
	v_cndmask_b32_e64 v5, 0, v5, s0
	v_cmp_nlt_f32_e64 s0, 0x42b17218, v7
	s_delay_alu instid0(VALU_DEP_1) | instskip(NEXT) | instid1(VALU_DEP_1)
	v_cndmask_b32_e64 v5, 0x7f800000, v5, s0
	v_bfe_u32 v7, v5, 16, 1
	v_cmp_o_f32_e64 s0, v5, v5
	s_delay_alu instid0(VALU_DEP_2) | instskip(NEXT) | instid1(VALU_DEP_1)
	v_add3_u32 v7, v5, v7, 0x7fff
	v_lshrrev_b32_e32 v7, 16, v7
	s_delay_alu instid0(VALU_DEP_1)
	v_cndmask_b32_e64 v5, 0x7fc0, v7, s0
.LBB102_8:
	s_or_b32 exec_lo, exec_lo, s3
	s_delay_alu instid0(SALU_CYCLE_1)
	s_mov_b32 s3, exec_lo
                                        ; implicit-def: $vgpr7
	v_cmpx_gt_i32_e64 s2, v3
	s_cbranch_execz .LBB102_10
; %bb.9:
	v_mul_f32_e32 v7, 0x3fb8aa3b, v4
	v_cmp_ngt_f32_e64 s0, 0xc2ce8ed0, v4
	s_delay_alu instid0(VALU_DEP_2) | instskip(SKIP_1) | instid1(VALU_DEP_2)
	v_rndne_f32_e32 v8, v7
	v_fma_f32 v9, 0x3fb8aa3b, v4, -v7
	v_sub_f32_e32 v7, v7, v8
	s_delay_alu instid0(VALU_DEP_2) | instskip(SKIP_1) | instid1(VALU_DEP_2)
	v_fmamk_f32 v9, v4, 0x32a5705f, v9
	v_cvt_i32_f32_e32 v8, v8
	v_add_f32_e32 v7, v7, v9
	s_delay_alu instid0(VALU_DEP_1) | instskip(SKIP_2) | instid1(VALU_DEP_1)
	v_exp_f32_e32 v7, v7
	s_waitcnt_depctr 0xfff
	v_ldexp_f32 v7, v7, v8
	v_cndmask_b32_e64 v7, 0, v7, s0
	v_cmp_nlt_f32_e64 s0, 0x42b17218, v4
	s_delay_alu instid0(VALU_DEP_1) | instskip(NEXT) | instid1(VALU_DEP_1)
	v_cndmask_b32_e64 v4, 0x7f800000, v7, s0
	v_bfe_u32 v7, v4, 16, 1
	v_cmp_o_f32_e64 s0, v4, v4
	s_delay_alu instid0(VALU_DEP_2) | instskip(NEXT) | instid1(VALU_DEP_1)
	v_add3_u32 v7, v4, v7, 0x7fff
	v_lshrrev_b32_e32 v7, 16, v7
	s_delay_alu instid0(VALU_DEP_1)
	v_cndmask_b32_e64 v7, 0x7fc0, v7, s0
.LBB102_10:
	s_or_b32 exec_lo, exec_lo, s3
	v_or_b32_e32 v4, 0x200, v0
	s_delay_alu instid0(VALU_DEP_1) | instskip(NEXT) | instid1(VALU_DEP_1)
	v_cmp_gt_i32_e64 s0, s2, v4
                                        ; implicit-def: $vgpr4
	s_and_saveexec_b32 s3, s0
	s_cbranch_execz .LBB102_12
; %bb.11:
	v_mul_f32_e32 v4, 0x3fb8aa3b, v6
	v_cmp_ngt_f32_e64 s0, 0xc2ce8ed0, v6
	s_delay_alu instid0(VALU_DEP_2) | instskip(SKIP_1) | instid1(VALU_DEP_1)
	v_rndne_f32_e32 v8, v4
	v_fma_f32 v9, 0x3fb8aa3b, v6, -v4
	v_dual_sub_f32 v4, v4, v8 :: v_dual_fmamk_f32 v9, v6, 0x32a5705f, v9
	v_cvt_i32_f32_e32 v8, v8
	s_delay_alu instid0(VALU_DEP_2) | instskip(NEXT) | instid1(VALU_DEP_1)
	v_add_f32_e32 v4, v4, v9
	v_exp_f32_e32 v4, v4
	s_waitcnt_depctr 0xfff
	v_ldexp_f32 v4, v4, v8
	s_delay_alu instid0(VALU_DEP_1) | instskip(SKIP_1) | instid1(VALU_DEP_1)
	v_cndmask_b32_e64 v4, 0, v4, s0
	v_cmp_nlt_f32_e64 s0, 0x42b17218, v6
	v_cndmask_b32_e64 v4, 0x7f800000, v4, s0
	s_delay_alu instid0(VALU_DEP_1) | instskip(SKIP_1) | instid1(VALU_DEP_2)
	v_bfe_u32 v6, v4, 16, 1
	v_cmp_o_f32_e64 s0, v4, v4
	v_add3_u32 v6, v4, v6, 0x7fff
	s_delay_alu instid0(VALU_DEP_1) | instskip(NEXT) | instid1(VALU_DEP_1)
	v_lshrrev_b32_e32 v6, 16, v6
	v_cndmask_b32_e64 v4, 0x7fc0, v6, s0
.LBB102_12:
	s_or_b32 exec_lo, exec_lo, s3
	v_or_b32_e32 v6, 0x300, v0
	s_delay_alu instid0(VALU_DEP_1) | instskip(NEXT) | instid1(VALU_DEP_1)
	v_cmp_gt_i32_e64 s0, s2, v6
                                        ; implicit-def: $vgpr6
	s_and_saveexec_b32 s3, s0
	s_cbranch_execz .LBB102_20
; %bb.13:
	v_mul_f32_e32 v6, 0x3fb8aa3b, v2
	v_cmp_ngt_f32_e64 s0, 0xc2ce8ed0, v2
	s_delay_alu instid0(VALU_DEP_2) | instskip(SKIP_1) | instid1(VALU_DEP_2)
	v_rndne_f32_e32 v8, v6
	v_fma_f32 v9, 0x3fb8aa3b, v2, -v6
	v_sub_f32_e32 v6, v6, v8
	s_delay_alu instid0(VALU_DEP_2) | instskip(SKIP_1) | instid1(VALU_DEP_2)
	v_fmamk_f32 v9, v2, 0x32a5705f, v9
	v_cvt_i32_f32_e32 v8, v8
	v_add_f32_e32 v6, v6, v9
	s_delay_alu instid0(VALU_DEP_1) | instskip(SKIP_2) | instid1(VALU_DEP_1)
	v_exp_f32_e32 v6, v6
	s_waitcnt_depctr 0xfff
	v_ldexp_f32 v6, v6, v8
	v_cndmask_b32_e64 v6, 0, v6, s0
	v_cmp_nlt_f32_e64 s0, 0x42b17218, v2
	s_delay_alu instid0(VALU_DEP_1) | instskip(NEXT) | instid1(VALU_DEP_1)
	v_cndmask_b32_e64 v2, 0x7f800000, v6, s0
	v_bfe_u32 v6, v2, 16, 1
	v_cmp_o_f32_e64 s0, v2, v2
	s_delay_alu instid0(VALU_DEP_2) | instskip(NEXT) | instid1(VALU_DEP_1)
	v_add3_u32 v6, v2, v6, 0x7fff
	v_lshrrev_b32_e32 v6, 16, v6
	s_delay_alu instid0(VALU_DEP_1) | instskip(SKIP_2) | instid1(SALU_CYCLE_1)
	v_cndmask_b32_e64 v6, 0x7fc0, v6, s0
	s_or_b32 exec_lo, exec_lo, s3
	s_and_saveexec_b32 s0, vcc_lo
	s_xor_b32 s0, exec_lo, s0
	s_cbranch_execnz .LBB102_21
.LBB102_14:
	s_or_b32 exec_lo, exec_lo, s0
	s_delay_alu instid0(SALU_CYCLE_1)
	s_mov_b32 s0, exec_lo
	v_cmpx_gt_i32_e64 s2, v0
	s_cbranch_execz .LBB102_22
.LBB102_15:
	v_dual_mov_b32 v2, 0 :: v_dual_add_nc_u32 v1, s1, v0
	v_add_nc_u32_e32 v0, 0x100, v0
	s_delay_alu instid0(VALU_DEP_2) | instskip(NEXT) | instid1(VALU_DEP_1)
	v_lshlrev_b64 v[1:2], 1, v[1:2]
	v_add_co_u32 v1, vcc_lo, s4, v1
	s_delay_alu instid0(VALU_DEP_2) | instskip(SKIP_2) | instid1(SALU_CYCLE_1)
	v_add_co_ci_u32_e32 v2, vcc_lo, s5, v2, vcc_lo
	global_store_b16 v[1:2], v7, off
	s_or_b32 exec_lo, exec_lo, s0
	s_mov_b32 s0, exec_lo
	v_cmpx_gt_i32_e64 s2, v0
	s_cbranch_execnz .LBB102_23
.LBB102_16:
	s_or_b32 exec_lo, exec_lo, s0
	s_delay_alu instid0(SALU_CYCLE_1)
	s_mov_b32 s0, exec_lo
	v_cmpx_gt_i32_e64 s2, v0
	s_cbranch_execz .LBB102_24
.LBB102_17:
	v_dual_mov_b32 v1, 0 :: v_dual_add_nc_u32 v0, s1, v0
	s_delay_alu instid0(VALU_DEP_1) | instskip(NEXT) | instid1(VALU_DEP_1)
	v_lshlrev_b64 v[0:1], 1, v[0:1]
	v_add_co_u32 v0, vcc_lo, s4, v0
	s_delay_alu instid0(VALU_DEP_2)
	v_add_co_ci_u32_e32 v1, vcc_lo, s5, v1, vcc_lo
	global_store_b16 v[0:1], v6, off
	s_nop 0
	s_sendmsg sendmsg(MSG_DEALLOC_VGPRS)
	s_endpgm
.LBB102_18:
	s_or_b32 exec_lo, exec_lo, s3
	s_delay_alu instid0(SALU_CYCLE_1)
	s_mov_b32 s3, exec_lo
	v_cmpx_gt_i32_e64 s2, v5
	s_cbranch_execz .LBB102_6
.LBB102_19:
	v_dual_mov_b32 v9, 0 :: v_dual_add_nc_u32 v8, s1, v5
	s_delay_alu instid0(VALU_DEP_1) | instskip(NEXT) | instid1(VALU_DEP_1)
	v_lshlrev_b64 v[8:9], 1, v[8:9]
	v_add_co_u32 v8, s0, s6, v8
	s_delay_alu instid0(VALU_DEP_1)
	v_add_co_ci_u32_e64 v9, s0, s7, v9, s0
	global_load_u16 v2, v[8:9], off
	s_waitcnt vmcnt(0)
	v_lshlrev_b32_e32 v2, 16, v2
	s_or_b32 exec_lo, exec_lo, s3
                                        ; implicit-def: $vgpr5
	s_and_saveexec_b32 s3, vcc_lo
	s_cbranch_execz .LBB102_8
	s_branch .LBB102_7
.LBB102_20:
	s_or_b32 exec_lo, exec_lo, s3
	s_and_saveexec_b32 s0, vcc_lo
	s_delay_alu instid0(SALU_CYCLE_1)
	s_xor_b32 s0, exec_lo, s0
	s_cbranch_execz .LBB102_14
.LBB102_21:
	v_mov_b32_e32 v2, 0
	s_delay_alu instid0(VALU_DEP_1) | instskip(NEXT) | instid1(VALU_DEP_1)
	v_lshlrev_b64 v[0:1], 1, v[1:2]
	v_add_co_u32 v8, vcc_lo, s4, v0
	s_delay_alu instid0(VALU_DEP_2) | instskip(SKIP_3) | instid1(SALU_CYCLE_1)
	v_add_co_ci_u32_e32 v9, vcc_lo, s5, v1, vcc_lo
	v_mov_b32_e32 v0, v3
	global_store_b16 v[8:9], v5, off
	s_or_b32 exec_lo, exec_lo, s0
	s_mov_b32 s0, exec_lo
	v_cmpx_gt_i32_e64 s2, v0
	s_cbranch_execnz .LBB102_15
.LBB102_22:
	s_or_b32 exec_lo, exec_lo, s0
	s_delay_alu instid0(SALU_CYCLE_1)
	s_mov_b32 s0, exec_lo
	v_cmpx_gt_i32_e64 s2, v0
	s_cbranch_execz .LBB102_16
.LBB102_23:
	v_dual_mov_b32 v2, 0 :: v_dual_add_nc_u32 v1, s1, v0
	v_add_nc_u32_e32 v0, 0x100, v0
	s_delay_alu instid0(VALU_DEP_2) | instskip(NEXT) | instid1(VALU_DEP_1)
	v_lshlrev_b64 v[1:2], 1, v[1:2]
	v_add_co_u32 v1, vcc_lo, s4, v1
	s_delay_alu instid0(VALU_DEP_2) | instskip(SKIP_2) | instid1(SALU_CYCLE_1)
	v_add_co_ci_u32_e32 v2, vcc_lo, s5, v2, vcc_lo
	global_store_b16 v[1:2], v4, off
	s_or_b32 exec_lo, exec_lo, s0
	s_mov_b32 s0, exec_lo
	v_cmpx_gt_i32_e64 s2, v0
	s_cbranch_execnz .LBB102_17
.LBB102_24:
	s_nop 0
	s_sendmsg sendmsg(MSG_DEALLOC_VGPRS)
	s_endpgm
	.section	.rodata,"a",@progbits
	.p2align	6, 0x0
	.amdhsa_kernel _ZN2at6native27unrolled_elementwise_kernelIZZZNS0_15exp_kernel_cudaERNS_18TensorIteratorBaseEENKUlvE0_clEvENKUlvE2_clEvEUlN3c108BFloat16EE_St5arrayIPcLm2EELi4E23TrivialOffsetCalculatorILi1EjESD_NS0_6memory15LoadWithoutCastENSE_16StoreWithoutCastEEEviT_T0_T2_T3_T4_T5_
		.amdhsa_group_segment_fixed_size 0
		.amdhsa_private_segment_fixed_size 0
		.amdhsa_kernarg_size 28
		.amdhsa_user_sgpr_count 15
		.amdhsa_user_sgpr_dispatch_ptr 0
		.amdhsa_user_sgpr_queue_ptr 0
		.amdhsa_user_sgpr_kernarg_segment_ptr 1
		.amdhsa_user_sgpr_dispatch_id 0
		.amdhsa_user_sgpr_private_segment_size 0
		.amdhsa_wavefront_size32 1
		.amdhsa_uses_dynamic_stack 0
		.amdhsa_enable_private_segment 0
		.amdhsa_system_sgpr_workgroup_id_x 1
		.amdhsa_system_sgpr_workgroup_id_y 0
		.amdhsa_system_sgpr_workgroup_id_z 0
		.amdhsa_system_sgpr_workgroup_info 0
		.amdhsa_system_vgpr_workitem_id 0
		.amdhsa_next_free_vgpr 10
		.amdhsa_next_free_sgpr 16
		.amdhsa_reserve_vcc 1
		.amdhsa_float_round_mode_32 0
		.amdhsa_float_round_mode_16_64 0
		.amdhsa_float_denorm_mode_32 3
		.amdhsa_float_denorm_mode_16_64 3
		.amdhsa_dx10_clamp 1
		.amdhsa_ieee_mode 1
		.amdhsa_fp16_overflow 0
		.amdhsa_workgroup_processor_mode 1
		.amdhsa_memory_ordered 1
		.amdhsa_forward_progress 0
		.amdhsa_shared_vgpr_count 0
		.amdhsa_exception_fp_ieee_invalid_op 0
		.amdhsa_exception_fp_denorm_src 0
		.amdhsa_exception_fp_ieee_div_zero 0
		.amdhsa_exception_fp_ieee_overflow 0
		.amdhsa_exception_fp_ieee_underflow 0
		.amdhsa_exception_fp_ieee_inexact 0
		.amdhsa_exception_int_div_zero 0
	.end_amdhsa_kernel
	.section	.text._ZN2at6native27unrolled_elementwise_kernelIZZZNS0_15exp_kernel_cudaERNS_18TensorIteratorBaseEENKUlvE0_clEvENKUlvE2_clEvEUlN3c108BFloat16EE_St5arrayIPcLm2EELi4E23TrivialOffsetCalculatorILi1EjESD_NS0_6memory15LoadWithoutCastENSE_16StoreWithoutCastEEEviT_T0_T2_T3_T4_T5_,"axG",@progbits,_ZN2at6native27unrolled_elementwise_kernelIZZZNS0_15exp_kernel_cudaERNS_18TensorIteratorBaseEENKUlvE0_clEvENKUlvE2_clEvEUlN3c108BFloat16EE_St5arrayIPcLm2EELi4E23TrivialOffsetCalculatorILi1EjESD_NS0_6memory15LoadWithoutCastENSE_16StoreWithoutCastEEEviT_T0_T2_T3_T4_T5_,comdat
.Lfunc_end102:
	.size	_ZN2at6native27unrolled_elementwise_kernelIZZZNS0_15exp_kernel_cudaERNS_18TensorIteratorBaseEENKUlvE0_clEvENKUlvE2_clEvEUlN3c108BFloat16EE_St5arrayIPcLm2EELi4E23TrivialOffsetCalculatorILi1EjESD_NS0_6memory15LoadWithoutCastENSE_16StoreWithoutCastEEEviT_T0_T2_T3_T4_T5_, .Lfunc_end102-_ZN2at6native27unrolled_elementwise_kernelIZZZNS0_15exp_kernel_cudaERNS_18TensorIteratorBaseEENKUlvE0_clEvENKUlvE2_clEvEUlN3c108BFloat16EE_St5arrayIPcLm2EELi4E23TrivialOffsetCalculatorILi1EjESD_NS0_6memory15LoadWithoutCastENSE_16StoreWithoutCastEEEviT_T0_T2_T3_T4_T5_
                                        ; -- End function
	.section	.AMDGPU.csdata,"",@progbits
; Kernel info:
; codeLenInByte = 1596
; NumSgprs: 18
; NumVgprs: 10
; ScratchSize: 0
; MemoryBound: 0
; FloatMode: 240
; IeeeMode: 1
; LDSByteSize: 0 bytes/workgroup (compile time only)
; SGPRBlocks: 2
; VGPRBlocks: 1
; NumSGPRsForWavesPerEU: 18
; NumVGPRsForWavesPerEU: 10
; Occupancy: 16
; WaveLimiterHint : 0
; COMPUTE_PGM_RSRC2:SCRATCH_EN: 0
; COMPUTE_PGM_RSRC2:USER_SGPR: 15
; COMPUTE_PGM_RSRC2:TRAP_HANDLER: 0
; COMPUTE_PGM_RSRC2:TGID_X_EN: 1
; COMPUTE_PGM_RSRC2:TGID_Y_EN: 0
; COMPUTE_PGM_RSRC2:TGID_Z_EN: 0
; COMPUTE_PGM_RSRC2:TIDIG_COMP_CNT: 0
	.section	.text._ZN2at6native32elementwise_kernel_manual_unrollILi128ELi8EZNS0_22gpu_kernel_impl_nocastIZZZNS0_15exp_kernel_cudaERNS_18TensorIteratorBaseEENKUlvE0_clEvENKUlvE2_clEvEUlN3c108BFloat16EE_EEvS4_RKT_EUlibE_EEviT1_,"axG",@progbits,_ZN2at6native32elementwise_kernel_manual_unrollILi128ELi8EZNS0_22gpu_kernel_impl_nocastIZZZNS0_15exp_kernel_cudaERNS_18TensorIteratorBaseEENKUlvE0_clEvENKUlvE2_clEvEUlN3c108BFloat16EE_EEvS4_RKT_EUlibE_EEviT1_,comdat
	.globl	_ZN2at6native32elementwise_kernel_manual_unrollILi128ELi8EZNS0_22gpu_kernel_impl_nocastIZZZNS0_15exp_kernel_cudaERNS_18TensorIteratorBaseEENKUlvE0_clEvENKUlvE2_clEvEUlN3c108BFloat16EE_EEvS4_RKT_EUlibE_EEviT1_ ; -- Begin function _ZN2at6native32elementwise_kernel_manual_unrollILi128ELi8EZNS0_22gpu_kernel_impl_nocastIZZZNS0_15exp_kernel_cudaERNS_18TensorIteratorBaseEENKUlvE0_clEvENKUlvE2_clEvEUlN3c108BFloat16EE_EEvS4_RKT_EUlibE_EEviT1_
	.p2align	8
	.type	_ZN2at6native32elementwise_kernel_manual_unrollILi128ELi8EZNS0_22gpu_kernel_impl_nocastIZZZNS0_15exp_kernel_cudaERNS_18TensorIteratorBaseEENKUlvE0_clEvENKUlvE2_clEvEUlN3c108BFloat16EE_EEvS4_RKT_EUlibE_EEviT1_,@function
_ZN2at6native32elementwise_kernel_manual_unrollILi128ELi8EZNS0_22gpu_kernel_impl_nocastIZZZNS0_15exp_kernel_cudaERNS_18TensorIteratorBaseEENKUlvE0_clEvENKUlvE2_clEvEUlN3c108BFloat16EE_EEvS4_RKT_EUlibE_EEviT1_: ; @_ZN2at6native32elementwise_kernel_manual_unrollILi128ELi8EZNS0_22gpu_kernel_impl_nocastIZZZNS0_15exp_kernel_cudaERNS_18TensorIteratorBaseEENKUlvE0_clEvENKUlvE2_clEvEUlN3c108BFloat16EE_EEvS4_RKT_EUlibE_EEviT1_
; %bb.0:
	s_clause 0x1
	s_load_b32 s22, s[0:1], 0x8
	s_load_b32 s27, s[0:1], 0x0
	v_lshl_or_b32 v12, s15, 10, v0
	s_or_b32 s0, s0, 8
	s_mov_b32 s2, exec_lo
	s_delay_alu instid0(VALU_DEP_1) | instskip(SKIP_2) | instid1(SALU_CYCLE_1)
	v_or_b32_e32 v16, 0x380, v12
	s_waitcnt lgkmcnt(0)
	s_add_i32 s23, s22, -1
	s_cmp_gt_u32 s23, 1
	s_cselect_b32 s24, -1, 0
	v_cmpx_le_i32_e64 s27, v16
	s_xor_b32 s25, exec_lo, s2
	s_cbranch_execz .LBB103_7
; %bb.1:
	s_clause 0x3
	s_load_b128 s[12:15], s[0:1], 0x4
	s_load_b64 s[2:3], s[0:1], 0x14
	s_load_b128 s[8:11], s[0:1], 0xc4
	s_load_b128 s[4:7], s[0:1], 0x148
	s_cmp_lg_u32 s22, 0
	s_mov_b32 s30, exec_lo
	s_cselect_b32 s29, -1, 0
	s_add_u32 s16, s0, 0xc4
	s_addc_u32 s17, s1, 0
	s_min_u32 s28, s23, 15
	s_cmp_gt_u32 s22, 1
	s_cselect_b32 s26, -1, 0
	v_cmpx_gt_i32_e64 s27, v12
	s_cbranch_execz .LBB103_14
; %bb.2:
	s_and_not1_b32 vcc_lo, exec_lo, s24
	s_cbranch_vccnz .LBB103_21
; %bb.3:
	v_dual_mov_b32 v0, 0 :: v_dual_mov_b32 v1, 0
	s_and_not1_b32 vcc_lo, exec_lo, s29
	s_mov_b32 s31, 0
	s_cbranch_vccnz .LBB103_125
; %bb.4:
	v_mov_b32_e32 v0, 0
	s_add_i32 s34, s28, 1
	s_cmp_eq_u32 s23, 2
	s_mov_b32 s33, 0
	s_cbranch_scc1 .LBB103_121
; %bb.5:
	v_dual_mov_b32 v1, 0 :: v_dual_mov_b32 v0, 0
	v_mov_b32_e32 v2, v12
	s_and_b32 s33, s34, 28
	s_mov_b32 s35, 0
	s_mov_b64 s[18:19], s[16:17]
	s_mov_b64 s[20:21], s[0:1]
.LBB103_6:                              ; =>This Inner Loop Header: Depth=1
	s_clause 0x1
	s_load_b256 s[36:43], s[20:21], 0x4
	s_load_b128 s[52:55], s[20:21], 0x24
	s_load_b256 s[44:51], s[18:19], 0x0
	s_add_u32 s20, s20, 48
	s_addc_u32 s21, s21, 0
	s_add_i32 s35, s35, 4
	s_add_u32 s18, s18, 32
	s_addc_u32 s19, s19, 0
	s_cmp_lg_u32 s33, s35
	s_waitcnt lgkmcnt(0)
	v_mul_hi_u32 v3, s37, v2
	s_delay_alu instid0(VALU_DEP_1) | instskip(NEXT) | instid1(VALU_DEP_1)
	v_add_nc_u32_e32 v3, v2, v3
	v_lshrrev_b32_e32 v3, s38, v3
	s_delay_alu instid0(VALU_DEP_1) | instskip(SKIP_1) | instid1(VALU_DEP_2)
	v_mul_hi_u32 v4, s40, v3
	v_mul_lo_u32 v6, v3, s36
	v_add_nc_u32_e32 v4, v3, v4
	s_delay_alu instid0(VALU_DEP_2) | instskip(NEXT) | instid1(VALU_DEP_2)
	v_sub_nc_u32_e32 v2, v2, v6
	v_lshrrev_b32_e32 v4, s41, v4
	s_delay_alu instid0(VALU_DEP_2) | instskip(SKIP_1) | instid1(VALU_DEP_3)
	v_mul_lo_u32 v6, v2, s44
	v_mul_lo_u32 v8, v2, s45
	v_mul_hi_u32 v5, s43, v4
	s_delay_alu instid0(VALU_DEP_1) | instskip(NEXT) | instid1(VALU_DEP_1)
	v_add_nc_u32_e32 v5, v4, v5
	v_lshrrev_b32_e32 v5, s52, v5
	s_delay_alu instid0(VALU_DEP_1) | instskip(SKIP_1) | instid1(VALU_DEP_2)
	v_mul_hi_u32 v7, s54, v5
	v_mul_lo_u32 v9, v5, s42
	v_add_nc_u32_e32 v2, v5, v7
	v_mul_lo_u32 v7, v4, s39
	s_delay_alu instid0(VALU_DEP_3) | instskip(NEXT) | instid1(VALU_DEP_3)
	v_sub_nc_u32_e32 v4, v4, v9
	v_lshrrev_b32_e32 v2, s55, v2
	s_delay_alu instid0(VALU_DEP_2) | instskip(SKIP_2) | instid1(VALU_DEP_4)
	v_mul_lo_u32 v9, v4, s48
	v_mul_lo_u32 v4, v4, s49
	v_sub_nc_u32_e32 v3, v3, v7
	v_mul_lo_u32 v10, v2, s53
	s_delay_alu instid0(VALU_DEP_2) | instskip(SKIP_1) | instid1(VALU_DEP_3)
	v_mul_lo_u32 v7, v3, s46
	v_mul_lo_u32 v3, v3, s47
	v_sub_nc_u32_e32 v5, v5, v10
	s_delay_alu instid0(VALU_DEP_3) | instskip(NEXT) | instid1(VALU_DEP_2)
	v_add3_u32 v0, v6, v0, v7
	v_mul_lo_u32 v10, v5, s50
	v_mul_lo_u32 v5, v5, s51
	v_add3_u32 v1, v8, v1, v3
	s_delay_alu instid0(VALU_DEP_3) | instskip(NEXT) | instid1(VALU_DEP_2)
	v_add3_u32 v0, v9, v0, v10
	v_add3_u32 v1, v4, v1, v5
	s_cbranch_scc1 .LBB103_6
	s_branch .LBB103_122
.LBB103_7:
	s_and_not1_saveexec_b32 s2, s25
	s_cbranch_execz .LBB103_206
.LBB103_8:
	v_cndmask_b32_e64 v14, 0, 1, s24
	s_and_not1_b32 vcc_lo, exec_lo, s24
	s_cbranch_vccnz .LBB103_20
; %bb.9:
	v_mov_b32_e32 v0, 0
	v_mov_b32_e32 v2, 0
	s_cmp_lg_u32 s22, 0
	s_mov_b32 s6, 0
	s_cbranch_scc0 .LBB103_26
; %bb.10:
	s_min_u32 s7, s23, 15
	v_mov_b32_e32 v0, 0
	s_add_i32 s7, s7, 1
	s_cmp_eq_u32 s23, 2
	s_mov_b32 s8, 0
	s_cbranch_scc1 .LBB103_23
; %bb.11:
	v_dual_mov_b32 v2, 0 :: v_dual_mov_b32 v1, v12
	v_mov_b32_e32 v0, 0
	s_add_u32 s2, s0, 0xc4
	s_addc_u32 s3, s1, 0
	s_and_b32 s8, s7, 28
	s_mov_b32 s9, 0
	s_mov_b64 s[4:5], s[0:1]
.LBB103_12:                             ; =>This Inner Loop Header: Depth=1
	s_clause 0x1
	s_load_b256 s[12:19], s[4:5], 0x4
	s_load_b128 s[36:39], s[4:5], 0x24
	s_load_b256 s[24:31], s[2:3], 0x0
	s_add_u32 s4, s4, 48
	s_addc_u32 s5, s5, 0
	s_add_i32 s9, s9, 4
	s_add_u32 s2, s2, 32
	s_addc_u32 s3, s3, 0
	s_cmp_lg_u32 s8, s9
	s_waitcnt lgkmcnt(0)
	v_mul_hi_u32 v3, s13, v1
	s_delay_alu instid0(VALU_DEP_1) | instskip(NEXT) | instid1(VALU_DEP_1)
	v_add_nc_u32_e32 v3, v1, v3
	v_lshrrev_b32_e32 v3, s14, v3
	s_delay_alu instid0(VALU_DEP_1) | instskip(SKIP_1) | instid1(VALU_DEP_2)
	v_mul_hi_u32 v4, s16, v3
	v_mul_lo_u32 v6, v3, s12
	v_add_nc_u32_e32 v4, v3, v4
	s_delay_alu instid0(VALU_DEP_2) | instskip(NEXT) | instid1(VALU_DEP_2)
	v_sub_nc_u32_e32 v1, v1, v6
	v_lshrrev_b32_e32 v4, s17, v4
	s_delay_alu instid0(VALU_DEP_2) | instskip(SKIP_1) | instid1(VALU_DEP_3)
	v_mul_lo_u32 v6, v1, s24
	v_mul_lo_u32 v8, v1, s25
	v_mul_hi_u32 v5, s19, v4
	s_delay_alu instid0(VALU_DEP_1) | instskip(NEXT) | instid1(VALU_DEP_1)
	v_add_nc_u32_e32 v5, v4, v5
	v_lshrrev_b32_e32 v5, s36, v5
	s_delay_alu instid0(VALU_DEP_1) | instskip(SKIP_1) | instid1(VALU_DEP_2)
	v_mul_hi_u32 v7, s38, v5
	v_mul_lo_u32 v9, v5, s18
	v_add_nc_u32_e32 v1, v5, v7
	v_mul_lo_u32 v7, v4, s15
	s_delay_alu instid0(VALU_DEP_3) | instskip(NEXT) | instid1(VALU_DEP_3)
	v_sub_nc_u32_e32 v4, v4, v9
	v_lshrrev_b32_e32 v1, s39, v1
	s_delay_alu instid0(VALU_DEP_2) | instskip(SKIP_2) | instid1(VALU_DEP_4)
	v_mul_lo_u32 v9, v4, s28
	v_mul_lo_u32 v4, v4, s29
	v_sub_nc_u32_e32 v3, v3, v7
	v_mul_lo_u32 v10, v1, s37
	s_delay_alu instid0(VALU_DEP_2) | instskip(SKIP_1) | instid1(VALU_DEP_3)
	v_mul_lo_u32 v7, v3, s26
	v_mul_lo_u32 v3, v3, s27
	v_sub_nc_u32_e32 v5, v5, v10
	s_delay_alu instid0(VALU_DEP_3) | instskip(NEXT) | instid1(VALU_DEP_2)
	v_add3_u32 v0, v6, v0, v7
	v_mul_lo_u32 v10, v5, s30
	v_mul_lo_u32 v5, v5, s31
	v_add3_u32 v2, v8, v2, v3
	s_delay_alu instid0(VALU_DEP_3) | instskip(NEXT) | instid1(VALU_DEP_2)
	v_add3_u32 v0, v9, v0, v10
	v_add3_u32 v2, v4, v2, v5
	s_cbranch_scc1 .LBB103_12
; %bb.13:
	s_and_b32 s7, s7, 3
	s_delay_alu instid0(SALU_CYCLE_1)
	s_cmp_eq_u32 s7, 0
	s_cbranch_scc0 .LBB103_24
	s_branch .LBB103_26
.LBB103_14:
	s_or_b32 exec_lo, exec_lo, s30
	s_delay_alu instid0(SALU_CYCLE_1)
	s_mov_b32 s30, exec_lo
	v_cmpx_gt_i32_e64 s27, v12
	s_cbranch_execz .LBB103_129
.LBB103_15:
	s_and_not1_b32 vcc_lo, exec_lo, s24
	s_cbranch_vccnz .LBB103_22
; %bb.16:
	v_dual_mov_b32 v0, 0 :: v_dual_mov_b32 v1, 0
	s_and_not1_b32 vcc_lo, exec_lo, s29
	s_mov_b32 s31, 0
	s_cbranch_vccnz .LBB103_140
; %bb.17:
	v_mov_b32_e32 v0, 0
	s_add_i32 s34, s28, 1
	s_cmp_eq_u32 s23, 2
	s_mov_b32 s33, 0
	s_cbranch_scc1 .LBB103_136
; %bb.18:
	v_dual_mov_b32 v1, 0 :: v_dual_mov_b32 v0, 0
	v_mov_b32_e32 v2, v12
	s_and_b32 s33, s34, 28
	s_mov_b32 s35, 0
	s_mov_b64 s[18:19], s[16:17]
	s_mov_b64 s[20:21], s[0:1]
.LBB103_19:                             ; =>This Inner Loop Header: Depth=1
	s_clause 0x1
	s_load_b256 s[36:43], s[20:21], 0x4
	s_load_b128 s[52:55], s[20:21], 0x24
	s_load_b256 s[44:51], s[18:19], 0x0
	s_add_u32 s20, s20, 48
	s_addc_u32 s21, s21, 0
	s_add_i32 s35, s35, 4
	s_add_u32 s18, s18, 32
	s_addc_u32 s19, s19, 0
	s_cmp_eq_u32 s33, s35
	s_waitcnt lgkmcnt(0)
	v_mul_hi_u32 v3, s37, v2
	s_delay_alu instid0(VALU_DEP_1) | instskip(NEXT) | instid1(VALU_DEP_1)
	v_add_nc_u32_e32 v3, v2, v3
	v_lshrrev_b32_e32 v3, s38, v3
	s_delay_alu instid0(VALU_DEP_1) | instskip(SKIP_1) | instid1(VALU_DEP_2)
	v_mul_hi_u32 v4, s40, v3
	v_mul_lo_u32 v6, v3, s36
	v_add_nc_u32_e32 v4, v3, v4
	s_delay_alu instid0(VALU_DEP_2) | instskip(NEXT) | instid1(VALU_DEP_2)
	v_sub_nc_u32_e32 v2, v2, v6
	v_lshrrev_b32_e32 v4, s41, v4
	s_delay_alu instid0(VALU_DEP_2) | instskip(SKIP_1) | instid1(VALU_DEP_3)
	v_mul_lo_u32 v6, v2, s44
	v_mul_lo_u32 v8, v2, s45
	v_mul_hi_u32 v5, s43, v4
	s_delay_alu instid0(VALU_DEP_1) | instskip(NEXT) | instid1(VALU_DEP_1)
	v_add_nc_u32_e32 v5, v4, v5
	v_lshrrev_b32_e32 v5, s52, v5
	s_delay_alu instid0(VALU_DEP_1) | instskip(SKIP_1) | instid1(VALU_DEP_2)
	v_mul_hi_u32 v7, s54, v5
	v_mul_lo_u32 v9, v5, s42
	v_add_nc_u32_e32 v2, v5, v7
	v_mul_lo_u32 v7, v4, s39
	s_delay_alu instid0(VALU_DEP_3) | instskip(NEXT) | instid1(VALU_DEP_3)
	v_sub_nc_u32_e32 v4, v4, v9
	v_lshrrev_b32_e32 v2, s55, v2
	s_delay_alu instid0(VALU_DEP_2) | instskip(SKIP_2) | instid1(VALU_DEP_4)
	v_mul_lo_u32 v9, v4, s48
	v_mul_lo_u32 v4, v4, s49
	v_sub_nc_u32_e32 v3, v3, v7
	v_mul_lo_u32 v10, v2, s53
	s_delay_alu instid0(VALU_DEP_2) | instskip(SKIP_1) | instid1(VALU_DEP_3)
	v_mul_lo_u32 v7, v3, s46
	v_mul_lo_u32 v3, v3, s47
	v_sub_nc_u32_e32 v5, v5, v10
	s_delay_alu instid0(VALU_DEP_3) | instskip(NEXT) | instid1(VALU_DEP_2)
	v_add3_u32 v0, v6, v0, v7
	v_mul_lo_u32 v10, v5, s50
	v_mul_lo_u32 v5, v5, s51
	v_add3_u32 v1, v8, v1, v3
	s_delay_alu instid0(VALU_DEP_3) | instskip(NEXT) | instid1(VALU_DEP_2)
	v_add3_u32 v0, v9, v0, v10
	v_add3_u32 v1, v4, v1, v5
	s_cbranch_scc0 .LBB103_19
	s_branch .LBB103_137
.LBB103_20:
	s_mov_b32 s6, -1
                                        ; implicit-def: $vgpr0
                                        ; implicit-def: $vgpr2
	s_branch .LBB103_26
.LBB103_21:
	s_mov_b32 s31, -1
                                        ; implicit-def: $vgpr0
                                        ; implicit-def: $vgpr1
	s_branch .LBB103_125
.LBB103_22:
	s_mov_b32 s31, -1
                                        ; implicit-def: $vgpr0
                                        ; implicit-def: $vgpr1
	s_branch .LBB103_140
.LBB103_23:
	v_dual_mov_b32 v1, v12 :: v_dual_mov_b32 v2, 0
	s_and_b32 s7, s7, 3
	s_delay_alu instid0(SALU_CYCLE_1)
	s_cmp_eq_u32 s7, 0
	s_cbranch_scc1 .LBB103_26
.LBB103_24:
	s_lshl_b32 s2, s8, 3
	s_mul_i32 s4, s8, 12
	s_add_u32 s2, s2, s0
	s_addc_u32 s3, 0, s1
	s_add_u32 s2, s2, 0xc4
	s_addc_u32 s3, s3, 0
	;; [unrolled: 2-line block ×3, first 2 shown]
	.p2align	6
.LBB103_25:                             ; =>This Inner Loop Header: Depth=1
	s_clause 0x1
	s_load_b64 s[8:9], s[4:5], 0x4
	s_load_b32 s12, s[4:5], 0xc
	s_load_b64 s[10:11], s[2:3], 0x0
	s_add_u32 s4, s4, 12
	s_addc_u32 s5, s5, 0
	s_add_u32 s2, s2, 8
	s_addc_u32 s3, s3, 0
	s_add_i32 s7, s7, -1
	s_delay_alu instid0(SALU_CYCLE_1) | instskip(SKIP_2) | instid1(VALU_DEP_1)
	s_cmp_lg_u32 s7, 0
	s_waitcnt lgkmcnt(0)
	v_mul_hi_u32 v3, s9, v1
	v_add_nc_u32_e32 v3, v1, v3
	s_delay_alu instid0(VALU_DEP_1) | instskip(NEXT) | instid1(VALU_DEP_1)
	v_lshrrev_b32_e32 v6, s12, v3
	v_mul_lo_u32 v3, v6, s8
	s_delay_alu instid0(VALU_DEP_1) | instskip(NEXT) | instid1(VALU_DEP_1)
	v_sub_nc_u32_e32 v1, v1, v3
	v_mad_u64_u32 v[3:4], null, v1, s10, v[0:1]
	s_delay_alu instid0(VALU_DEP_1) | instskip(SKIP_1) | instid1(VALU_DEP_2)
	v_mad_u64_u32 v[4:5], null, v1, s11, v[2:3]
	v_dual_mov_b32 v1, v6 :: v_dual_mov_b32 v0, v3
	v_mov_b32_e32 v2, v4
	s_cbranch_scc1 .LBB103_25
.LBB103_26:
	s_and_not1_b32 vcc_lo, exec_lo, s6
	s_cbranch_vccnz .LBB103_29
; %bb.27:
	s_clause 0x1
	s_load_b128 s[4:7], s[0:1], 0x4
	s_load_b64 s[2:3], s[0:1], 0xc4
	s_cmp_lt_u32 s22, 2
	s_waitcnt lgkmcnt(0)
	v_mul_hi_u32 v0, s5, v12
	s_delay_alu instid0(VALU_DEP_1) | instskip(NEXT) | instid1(VALU_DEP_1)
	v_add_nc_u32_e32 v0, v12, v0
	v_lshrrev_b32_e32 v1, s6, v0
	s_delay_alu instid0(VALU_DEP_1) | instskip(NEXT) | instid1(VALU_DEP_1)
	v_mul_lo_u32 v0, v1, s4
	v_sub_nc_u32_e32 v2, v12, v0
	s_delay_alu instid0(VALU_DEP_1)
	v_mul_lo_u32 v0, v2, s2
	v_mul_lo_u32 v2, v2, s3
	s_cbranch_scc1 .LBB103_29
; %bb.28:
	s_clause 0x1
	s_load_b128 s[4:7], s[0:1], 0x10
	s_load_b64 s[2:3], s[0:1], 0xcc
	s_waitcnt lgkmcnt(0)
	v_mul_hi_u32 v3, s5, v1
	s_delay_alu instid0(VALU_DEP_1) | instskip(NEXT) | instid1(VALU_DEP_1)
	v_add_nc_u32_e32 v3, v1, v3
	v_lshrrev_b32_e32 v3, s6, v3
	s_delay_alu instid0(VALU_DEP_1) | instskip(NEXT) | instid1(VALU_DEP_1)
	v_mul_lo_u32 v3, v3, s4
	v_sub_nc_u32_e32 v1, v1, v3
	s_delay_alu instid0(VALU_DEP_1) | instskip(NEXT) | instid1(VALU_DEP_1)
	v_mad_u64_u32 v[3:4], null, v1, s2, v[0:1]
	v_mad_u64_u32 v[4:5], null, v1, s3, v[2:3]
	v_mov_b32_e32 v0, v3
	s_delay_alu instid0(VALU_DEP_2)
	v_mov_b32_e32 v2, v4
.LBB103_29:
	v_cmp_ne_u32_e32 vcc_lo, 1, v14
	v_add_nc_u32_e32 v4, 0x80, v12
	s_cbranch_vccnz .LBB103_35
; %bb.30:
	v_mov_b32_e32 v1, 0
	v_mov_b32_e32 v3, 0
	s_cmp_lg_u32 s22, 0
	s_mov_b32 s6, 0
	s_cbranch_scc0 .LBB103_39
; %bb.31:
	s_min_u32 s7, s23, 15
	v_mov_b32_e32 v1, 0
	s_add_i32 s7, s7, 1
	s_cmp_eq_u32 s23, 2
	s_mov_b32 s8, 0
	s_cbranch_scc1 .LBB103_36
; %bb.32:
	v_mov_b32_e32 v3, 0
	v_mov_b32_e32 v1, 0
	;; [unrolled: 1-line block ×3, first 2 shown]
	s_add_u32 s2, s0, 0xc4
	s_addc_u32 s3, s1, 0
	s_and_b32 s8, s7, 28
	s_mov_b32 s9, 0
	s_mov_b64 s[4:5], s[0:1]
.LBB103_33:                             ; =>This Inner Loop Header: Depth=1
	s_clause 0x1
	s_load_b256 s[12:19], s[4:5], 0x4
	s_load_b128 s[36:39], s[4:5], 0x24
	s_load_b256 s[24:31], s[2:3], 0x0
	s_add_u32 s4, s4, 48
	s_addc_u32 s5, s5, 0
	s_add_i32 s9, s9, 4
	s_add_u32 s2, s2, 32
	s_addc_u32 s3, s3, 0
	s_cmp_lg_u32 s8, s9
	s_waitcnt lgkmcnt(0)
	v_mul_hi_u32 v6, s13, v5
	s_delay_alu instid0(VALU_DEP_1) | instskip(NEXT) | instid1(VALU_DEP_1)
	v_add_nc_u32_e32 v6, v5, v6
	v_lshrrev_b32_e32 v6, s14, v6
	s_delay_alu instid0(VALU_DEP_1) | instskip(SKIP_1) | instid1(VALU_DEP_2)
	v_mul_hi_u32 v7, s16, v6
	v_mul_lo_u32 v9, v6, s12
	v_add_nc_u32_e32 v7, v6, v7
	s_delay_alu instid0(VALU_DEP_2) | instskip(NEXT) | instid1(VALU_DEP_2)
	v_sub_nc_u32_e32 v5, v5, v9
	v_lshrrev_b32_e32 v7, s17, v7
	s_delay_alu instid0(VALU_DEP_2) | instskip(SKIP_1) | instid1(VALU_DEP_3)
	v_mul_lo_u32 v9, v5, s24
	v_mul_lo_u32 v11, v5, s25
	v_mul_hi_u32 v8, s19, v7
	s_delay_alu instid0(VALU_DEP_1) | instskip(NEXT) | instid1(VALU_DEP_1)
	v_add_nc_u32_e32 v8, v7, v8
	v_lshrrev_b32_e32 v8, s36, v8
	s_delay_alu instid0(VALU_DEP_1) | instskip(SKIP_1) | instid1(VALU_DEP_2)
	v_mul_hi_u32 v10, s38, v8
	v_mul_lo_u32 v13, v8, s18
	v_add_nc_u32_e32 v5, v8, v10
	v_mul_lo_u32 v10, v7, s15
	s_delay_alu instid0(VALU_DEP_3) | instskip(NEXT) | instid1(VALU_DEP_3)
	v_sub_nc_u32_e32 v7, v7, v13
	v_lshrrev_b32_e32 v5, s39, v5
	s_delay_alu instid0(VALU_DEP_2) | instskip(SKIP_2) | instid1(VALU_DEP_4)
	v_mul_lo_u32 v13, v7, s28
	v_mul_lo_u32 v7, v7, s29
	v_sub_nc_u32_e32 v6, v6, v10
	v_mul_lo_u32 v15, v5, s37
	s_delay_alu instid0(VALU_DEP_2) | instskip(SKIP_1) | instid1(VALU_DEP_3)
	v_mul_lo_u32 v10, v6, s26
	v_mul_lo_u32 v6, v6, s27
	v_sub_nc_u32_e32 v8, v8, v15
	s_delay_alu instid0(VALU_DEP_3) | instskip(NEXT) | instid1(VALU_DEP_2)
	v_add3_u32 v1, v9, v1, v10
	v_mul_lo_u32 v15, v8, s30
	v_mul_lo_u32 v8, v8, s31
	v_add3_u32 v3, v11, v3, v6
	s_delay_alu instid0(VALU_DEP_3) | instskip(NEXT) | instid1(VALU_DEP_2)
	v_add3_u32 v1, v13, v1, v15
	v_add3_u32 v3, v7, v3, v8
	s_cbranch_scc1 .LBB103_33
; %bb.34:
	s_and_b32 s7, s7, 3
	s_delay_alu instid0(SALU_CYCLE_1)
	s_cmp_eq_u32 s7, 0
	s_cbranch_scc0 .LBB103_37
	s_branch .LBB103_39
.LBB103_35:
	s_mov_b32 s6, -1
                                        ; implicit-def: $vgpr1
                                        ; implicit-def: $vgpr3
	s_branch .LBB103_39
.LBB103_36:
	v_mov_b32_e32 v5, v4
	v_mov_b32_e32 v3, 0
	s_and_b32 s7, s7, 3
	s_delay_alu instid0(SALU_CYCLE_1)
	s_cmp_eq_u32 s7, 0
	s_cbranch_scc1 .LBB103_39
.LBB103_37:
	s_lshl_b32 s2, s8, 3
	s_mul_i32 s4, s8, 12
	s_add_u32 s2, s2, s0
	s_addc_u32 s3, 0, s1
	s_add_u32 s2, s2, 0xc4
	s_addc_u32 s3, s3, 0
	;; [unrolled: 2-line block ×3, first 2 shown]
	.p2align	6
.LBB103_38:                             ; =>This Inner Loop Header: Depth=1
	s_clause 0x1
	s_load_b64 s[8:9], s[4:5], 0x4
	s_load_b32 s12, s[4:5], 0xc
	s_load_b64 s[10:11], s[2:3], 0x0
	s_add_u32 s4, s4, 12
	s_addc_u32 s5, s5, 0
	s_add_u32 s2, s2, 8
	s_addc_u32 s3, s3, 0
	s_add_i32 s7, s7, -1
	s_delay_alu instid0(SALU_CYCLE_1) | instskip(SKIP_2) | instid1(VALU_DEP_1)
	s_cmp_lg_u32 s7, 0
	s_waitcnt lgkmcnt(0)
	v_mul_hi_u32 v6, s9, v5
	v_add_nc_u32_e32 v6, v5, v6
	s_delay_alu instid0(VALU_DEP_1) | instskip(NEXT) | instid1(VALU_DEP_1)
	v_lshrrev_b32_e32 v9, s12, v6
	v_mul_lo_u32 v6, v9, s8
	s_delay_alu instid0(VALU_DEP_1) | instskip(NEXT) | instid1(VALU_DEP_1)
	v_sub_nc_u32_e32 v5, v5, v6
	v_mad_u64_u32 v[6:7], null, v5, s10, v[1:2]
	v_mad_u64_u32 v[7:8], null, v5, s11, v[3:4]
	v_mov_b32_e32 v5, v9
	s_delay_alu instid0(VALU_DEP_3) | instskip(NEXT) | instid1(VALU_DEP_3)
	v_mov_b32_e32 v1, v6
	v_mov_b32_e32 v3, v7
	s_cbranch_scc1 .LBB103_38
.LBB103_39:
	s_and_not1_b32 vcc_lo, exec_lo, s6
	s_cbranch_vccnz .LBB103_42
; %bb.40:
	s_clause 0x1
	s_load_b128 s[4:7], s[0:1], 0x4
	s_load_b64 s[2:3], s[0:1], 0xc4
	s_cmp_lt_u32 s22, 2
	s_waitcnt lgkmcnt(0)
	v_mul_hi_u32 v1, s5, v4
	s_delay_alu instid0(VALU_DEP_1) | instskip(NEXT) | instid1(VALU_DEP_1)
	v_add_nc_u32_e32 v1, v4, v1
	v_lshrrev_b32_e32 v5, s6, v1
	s_delay_alu instid0(VALU_DEP_1) | instskip(NEXT) | instid1(VALU_DEP_1)
	v_mul_lo_u32 v1, v5, s4
	v_sub_nc_u32_e32 v3, v4, v1
	s_delay_alu instid0(VALU_DEP_1)
	v_mul_lo_u32 v1, v3, s2
	v_mul_lo_u32 v3, v3, s3
	s_cbranch_scc1 .LBB103_42
; %bb.41:
	s_clause 0x1
	s_load_b128 s[4:7], s[0:1], 0x10
	s_load_b64 s[2:3], s[0:1], 0xcc
	s_waitcnt lgkmcnt(0)
	v_mul_hi_u32 v4, s5, v5
	s_delay_alu instid0(VALU_DEP_1) | instskip(NEXT) | instid1(VALU_DEP_1)
	v_add_nc_u32_e32 v4, v5, v4
	v_lshrrev_b32_e32 v4, s6, v4
	s_delay_alu instid0(VALU_DEP_1) | instskip(NEXT) | instid1(VALU_DEP_1)
	v_mul_lo_u32 v4, v4, s4
	v_sub_nc_u32_e32 v7, v5, v4
	s_delay_alu instid0(VALU_DEP_1) | instskip(NEXT) | instid1(VALU_DEP_1)
	v_mad_u64_u32 v[4:5], null, v7, s2, v[1:2]
	v_mad_u64_u32 v[5:6], null, v7, s3, v[3:4]
	v_mov_b32_e32 v1, v4
	s_delay_alu instid0(VALU_DEP_2)
	v_mov_b32_e32 v3, v5
.LBB103_42:
	v_cmp_ne_u32_e32 vcc_lo, 1, v14
	v_add_nc_u32_e32 v6, 0x100, v12
	s_cbranch_vccnz .LBB103_48
; %bb.43:
	v_dual_mov_b32 v4, 0 :: v_dual_mov_b32 v5, 0
	s_cmp_lg_u32 s22, 0
	s_mov_b32 s6, 0
	s_cbranch_scc0 .LBB103_52
; %bb.44:
	s_min_u32 s7, s23, 15
	v_mov_b32_e32 v4, 0
	s_add_i32 s7, s7, 1
	s_cmp_eq_u32 s23, 2
	s_mov_b32 s8, 0
	s_cbranch_scc1 .LBB103_49
; %bb.45:
	v_dual_mov_b32 v5, 0 :: v_dual_mov_b32 v4, 0
	v_mov_b32_e32 v7, v6
	s_add_u32 s2, s0, 0xc4
	s_addc_u32 s3, s1, 0
	s_and_b32 s8, s7, 28
	s_mov_b32 s9, 0
	s_mov_b64 s[4:5], s[0:1]
.LBB103_46:                             ; =>This Inner Loop Header: Depth=1
	s_clause 0x1
	s_load_b256 s[12:19], s[4:5], 0x4
	s_load_b128 s[36:39], s[4:5], 0x24
	s_load_b256 s[24:31], s[2:3], 0x0
	s_add_u32 s4, s4, 48
	s_addc_u32 s5, s5, 0
	s_add_i32 s9, s9, 4
	s_add_u32 s2, s2, 32
	s_addc_u32 s3, s3, 0
	s_cmp_lg_u32 s8, s9
	s_waitcnt lgkmcnt(0)
	v_mul_hi_u32 v8, s13, v7
	s_delay_alu instid0(VALU_DEP_1) | instskip(NEXT) | instid1(VALU_DEP_1)
	v_add_nc_u32_e32 v8, v7, v8
	v_lshrrev_b32_e32 v8, s14, v8
	s_delay_alu instid0(VALU_DEP_1) | instskip(SKIP_1) | instid1(VALU_DEP_2)
	v_mul_hi_u32 v9, s16, v8
	v_mul_lo_u32 v11, v8, s12
	v_add_nc_u32_e32 v9, v8, v9
	s_delay_alu instid0(VALU_DEP_2) | instskip(NEXT) | instid1(VALU_DEP_2)
	v_sub_nc_u32_e32 v7, v7, v11
	v_lshrrev_b32_e32 v9, s17, v9
	s_delay_alu instid0(VALU_DEP_2) | instskip(SKIP_1) | instid1(VALU_DEP_3)
	v_mul_lo_u32 v11, v7, s24
	v_mul_lo_u32 v15, v7, s25
	v_mul_hi_u32 v10, s19, v9
	s_delay_alu instid0(VALU_DEP_1) | instskip(NEXT) | instid1(VALU_DEP_1)
	v_add_nc_u32_e32 v10, v9, v10
	v_lshrrev_b32_e32 v10, s36, v10
	s_delay_alu instid0(VALU_DEP_1) | instskip(SKIP_1) | instid1(VALU_DEP_2)
	v_mul_hi_u32 v13, s38, v10
	v_mul_lo_u32 v17, v10, s18
	v_add_nc_u32_e32 v7, v10, v13
	v_mul_lo_u32 v13, v9, s15
	s_delay_alu instid0(VALU_DEP_3) | instskip(NEXT) | instid1(VALU_DEP_3)
	v_sub_nc_u32_e32 v9, v9, v17
	v_lshrrev_b32_e32 v7, s39, v7
	s_delay_alu instid0(VALU_DEP_2) | instskip(SKIP_2) | instid1(VALU_DEP_4)
	v_mul_lo_u32 v17, v9, s28
	v_mul_lo_u32 v9, v9, s29
	v_sub_nc_u32_e32 v8, v8, v13
	v_mul_lo_u32 v18, v7, s37
	s_delay_alu instid0(VALU_DEP_2) | instskip(SKIP_1) | instid1(VALU_DEP_3)
	v_mul_lo_u32 v13, v8, s26
	v_mul_lo_u32 v8, v8, s27
	v_sub_nc_u32_e32 v10, v10, v18
	s_delay_alu instid0(VALU_DEP_3) | instskip(NEXT) | instid1(VALU_DEP_2)
	v_add3_u32 v4, v11, v4, v13
	v_mul_lo_u32 v18, v10, s30
	v_mul_lo_u32 v10, v10, s31
	v_add3_u32 v5, v15, v5, v8
	s_delay_alu instid0(VALU_DEP_3) | instskip(NEXT) | instid1(VALU_DEP_2)
	v_add3_u32 v4, v17, v4, v18
	v_add3_u32 v5, v9, v5, v10
	s_cbranch_scc1 .LBB103_46
; %bb.47:
	s_and_b32 s7, s7, 3
	s_delay_alu instid0(SALU_CYCLE_1)
	s_cmp_eq_u32 s7, 0
	s_cbranch_scc0 .LBB103_50
	s_branch .LBB103_52
.LBB103_48:
	s_mov_b32 s6, -1
                                        ; implicit-def: $vgpr4
                                        ; implicit-def: $vgpr5
	s_branch .LBB103_52
.LBB103_49:
	v_mov_b32_e32 v7, v6
	v_mov_b32_e32 v5, 0
	s_and_b32 s7, s7, 3
	s_delay_alu instid0(SALU_CYCLE_1)
	s_cmp_eq_u32 s7, 0
	s_cbranch_scc1 .LBB103_52
.LBB103_50:
	s_lshl_b32 s2, s8, 3
	s_mul_i32 s4, s8, 12
	s_add_u32 s2, s2, s0
	s_addc_u32 s3, 0, s1
	s_add_u32 s2, s2, 0xc4
	s_addc_u32 s3, s3, 0
	;; [unrolled: 2-line block ×3, first 2 shown]
	.p2align	6
.LBB103_51:                             ; =>This Inner Loop Header: Depth=1
	s_clause 0x1
	s_load_b64 s[8:9], s[4:5], 0x4
	s_load_b32 s12, s[4:5], 0xc
	s_load_b64 s[10:11], s[2:3], 0x0
	s_add_u32 s4, s4, 12
	s_addc_u32 s5, s5, 0
	s_add_u32 s2, s2, 8
	s_addc_u32 s3, s3, 0
	s_add_i32 s7, s7, -1
	s_delay_alu instid0(SALU_CYCLE_1) | instskip(SKIP_2) | instid1(VALU_DEP_1)
	s_cmp_lg_u32 s7, 0
	s_waitcnt lgkmcnt(0)
	v_mul_hi_u32 v8, s9, v7
	v_add_nc_u32_e32 v8, v7, v8
	s_delay_alu instid0(VALU_DEP_1) | instskip(NEXT) | instid1(VALU_DEP_1)
	v_lshrrev_b32_e32 v11, s12, v8
	v_mul_lo_u32 v8, v11, s8
	s_delay_alu instid0(VALU_DEP_1) | instskip(NEXT) | instid1(VALU_DEP_1)
	v_sub_nc_u32_e32 v7, v7, v8
	v_mad_u64_u32 v[8:9], null, v7, s10, v[4:5]
	v_mad_u64_u32 v[9:10], null, v7, s11, v[5:6]
	s_delay_alu instid0(VALU_DEP_2) | instskip(NEXT) | instid1(VALU_DEP_2)
	v_dual_mov_b32 v7, v11 :: v_dual_mov_b32 v4, v8
	v_mov_b32_e32 v5, v9
	s_cbranch_scc1 .LBB103_51
.LBB103_52:
	s_and_not1_b32 vcc_lo, exec_lo, s6
	s_cbranch_vccnz .LBB103_55
; %bb.53:
	s_clause 0x1
	s_load_b128 s[4:7], s[0:1], 0x4
	s_load_b64 s[2:3], s[0:1], 0xc4
	s_cmp_lt_u32 s22, 2
	s_waitcnt lgkmcnt(0)
	v_mul_hi_u32 v4, s5, v6
	s_delay_alu instid0(VALU_DEP_1) | instskip(NEXT) | instid1(VALU_DEP_1)
	v_add_nc_u32_e32 v4, v6, v4
	v_lshrrev_b32_e32 v7, s6, v4
	s_delay_alu instid0(VALU_DEP_1) | instskip(NEXT) | instid1(VALU_DEP_1)
	v_mul_lo_u32 v4, v7, s4
	v_sub_nc_u32_e32 v5, v6, v4
	s_delay_alu instid0(VALU_DEP_1)
	v_mul_lo_u32 v4, v5, s2
	v_mul_lo_u32 v5, v5, s3
	s_cbranch_scc1 .LBB103_55
; %bb.54:
	s_clause 0x1
	s_load_b128 s[4:7], s[0:1], 0x10
	s_load_b64 s[2:3], s[0:1], 0xcc
	s_waitcnt lgkmcnt(0)
	v_mul_hi_u32 v6, s5, v7
	s_delay_alu instid0(VALU_DEP_1) | instskip(NEXT) | instid1(VALU_DEP_1)
	v_add_nc_u32_e32 v6, v7, v6
	v_lshrrev_b32_e32 v6, s6, v6
	s_delay_alu instid0(VALU_DEP_1) | instskip(NEXT) | instid1(VALU_DEP_1)
	v_mul_lo_u32 v6, v6, s4
	v_sub_nc_u32_e32 v9, v7, v6
	s_delay_alu instid0(VALU_DEP_1) | instskip(NEXT) | instid1(VALU_DEP_1)
	v_mad_u64_u32 v[6:7], null, v9, s2, v[4:5]
	v_mad_u64_u32 v[7:8], null, v9, s3, v[5:6]
	s_delay_alu instid0(VALU_DEP_1)
	v_dual_mov_b32 v4, v6 :: v_dual_mov_b32 v5, v7
.LBB103_55:
	v_cmp_ne_u32_e32 vcc_lo, 1, v14
	v_add_nc_u32_e32 v8, 0x180, v12
	s_cbranch_vccnz .LBB103_61
; %bb.56:
	v_dual_mov_b32 v6, 0 :: v_dual_mov_b32 v7, 0
	s_cmp_lg_u32 s22, 0
	s_mov_b32 s6, 0
	s_cbranch_scc0 .LBB103_65
; %bb.57:
	s_min_u32 s7, s23, 15
	v_mov_b32_e32 v6, 0
	s_add_i32 s7, s7, 1
	s_cmp_eq_u32 s23, 2
	s_mov_b32 s8, 0
	s_cbranch_scc1 .LBB103_62
; %bb.58:
	v_dual_mov_b32 v7, 0 :: v_dual_mov_b32 v6, 0
	v_mov_b32_e32 v9, v8
	s_add_u32 s2, s0, 0xc4
	s_addc_u32 s3, s1, 0
	s_and_b32 s8, s7, 28
	s_mov_b32 s9, 0
	s_mov_b64 s[4:5], s[0:1]
.LBB103_59:                             ; =>This Inner Loop Header: Depth=1
	s_clause 0x1
	s_load_b256 s[12:19], s[4:5], 0x4
	s_load_b128 s[36:39], s[4:5], 0x24
	s_load_b256 s[24:31], s[2:3], 0x0
	s_add_u32 s4, s4, 48
	s_addc_u32 s5, s5, 0
	s_add_i32 s9, s9, 4
	s_add_u32 s2, s2, 32
	s_addc_u32 s3, s3, 0
	s_cmp_lg_u32 s8, s9
	s_waitcnt lgkmcnt(0)
	v_mul_hi_u32 v10, s13, v9
	s_delay_alu instid0(VALU_DEP_1) | instskip(NEXT) | instid1(VALU_DEP_1)
	v_add_nc_u32_e32 v10, v9, v10
	v_lshrrev_b32_e32 v10, s14, v10
	s_delay_alu instid0(VALU_DEP_1) | instskip(SKIP_1) | instid1(VALU_DEP_2)
	v_mul_hi_u32 v11, s16, v10
	v_mul_lo_u32 v15, v10, s12
	v_add_nc_u32_e32 v11, v10, v11
	s_delay_alu instid0(VALU_DEP_2) | instskip(NEXT) | instid1(VALU_DEP_2)
	v_sub_nc_u32_e32 v9, v9, v15
	v_lshrrev_b32_e32 v11, s17, v11
	s_delay_alu instid0(VALU_DEP_2) | instskip(SKIP_1) | instid1(VALU_DEP_3)
	v_mul_lo_u32 v15, v9, s24
	v_mul_lo_u32 v18, v9, s25
	v_mul_hi_u32 v13, s19, v11
	s_delay_alu instid0(VALU_DEP_1) | instskip(NEXT) | instid1(VALU_DEP_1)
	v_add_nc_u32_e32 v13, v11, v13
	v_lshrrev_b32_e32 v13, s36, v13
	s_delay_alu instid0(VALU_DEP_1) | instskip(SKIP_1) | instid1(VALU_DEP_2)
	v_mul_hi_u32 v17, s38, v13
	v_mul_lo_u32 v19, v13, s18
	v_add_nc_u32_e32 v9, v13, v17
	v_mul_lo_u32 v17, v11, s15
	s_delay_alu instid0(VALU_DEP_3) | instskip(NEXT) | instid1(VALU_DEP_3)
	v_sub_nc_u32_e32 v11, v11, v19
	v_lshrrev_b32_e32 v9, s39, v9
	s_delay_alu instid0(VALU_DEP_2) | instskip(SKIP_2) | instid1(VALU_DEP_4)
	v_mul_lo_u32 v19, v11, s28
	v_mul_lo_u32 v11, v11, s29
	v_sub_nc_u32_e32 v10, v10, v17
	v_mul_lo_u32 v20, v9, s37
	s_delay_alu instid0(VALU_DEP_2) | instskip(SKIP_1) | instid1(VALU_DEP_3)
	v_mul_lo_u32 v17, v10, s26
	v_mul_lo_u32 v10, v10, s27
	v_sub_nc_u32_e32 v13, v13, v20
	s_delay_alu instid0(VALU_DEP_3) | instskip(NEXT) | instid1(VALU_DEP_2)
	v_add3_u32 v6, v15, v6, v17
	v_mul_lo_u32 v20, v13, s30
	v_mul_lo_u32 v13, v13, s31
	v_add3_u32 v7, v18, v7, v10
	s_delay_alu instid0(VALU_DEP_3) | instskip(NEXT) | instid1(VALU_DEP_2)
	v_add3_u32 v6, v19, v6, v20
	v_add3_u32 v7, v11, v7, v13
	s_cbranch_scc1 .LBB103_59
; %bb.60:
	s_and_b32 s7, s7, 3
	s_delay_alu instid0(SALU_CYCLE_1)
	s_cmp_eq_u32 s7, 0
	s_cbranch_scc0 .LBB103_63
	s_branch .LBB103_65
.LBB103_61:
	s_mov_b32 s6, -1
                                        ; implicit-def: $vgpr6
                                        ; implicit-def: $vgpr7
	s_branch .LBB103_65
.LBB103_62:
	v_mov_b32_e32 v9, v8
	v_mov_b32_e32 v7, 0
	s_and_b32 s7, s7, 3
	s_delay_alu instid0(SALU_CYCLE_1)
	s_cmp_eq_u32 s7, 0
	s_cbranch_scc1 .LBB103_65
.LBB103_63:
	s_lshl_b32 s2, s8, 3
	s_mul_i32 s4, s8, 12
	s_add_u32 s2, s2, s0
	s_addc_u32 s3, 0, s1
	s_add_u32 s2, s2, 0xc4
	s_addc_u32 s3, s3, 0
	;; [unrolled: 2-line block ×3, first 2 shown]
	.p2align	6
.LBB103_64:                             ; =>This Inner Loop Header: Depth=1
	s_clause 0x1
	s_load_b64 s[8:9], s[4:5], 0x4
	s_load_b32 s12, s[4:5], 0xc
	s_load_b64 s[10:11], s[2:3], 0x0
	s_add_u32 s4, s4, 12
	s_addc_u32 s5, s5, 0
	s_add_u32 s2, s2, 8
	s_addc_u32 s3, s3, 0
	s_add_i32 s7, s7, -1
	s_delay_alu instid0(SALU_CYCLE_1) | instskip(SKIP_2) | instid1(VALU_DEP_1)
	s_cmp_lg_u32 s7, 0
	s_waitcnt lgkmcnt(0)
	v_mul_hi_u32 v10, s9, v9
	v_add_nc_u32_e32 v10, v9, v10
	s_delay_alu instid0(VALU_DEP_1) | instskip(NEXT) | instid1(VALU_DEP_1)
	v_lshrrev_b32_e32 v13, s12, v10
	v_mul_lo_u32 v10, v13, s8
	s_delay_alu instid0(VALU_DEP_1) | instskip(NEXT) | instid1(VALU_DEP_1)
	v_sub_nc_u32_e32 v9, v9, v10
	v_mad_u64_u32 v[10:11], null, v9, s10, v[6:7]
	v_mad_u64_u32 v[17:18], null, v9, s11, v[7:8]
	s_delay_alu instid0(VALU_DEP_2) | instskip(NEXT) | instid1(VALU_DEP_2)
	v_dual_mov_b32 v9, v13 :: v_dual_mov_b32 v6, v10
	v_mov_b32_e32 v7, v17
	s_cbranch_scc1 .LBB103_64
.LBB103_65:
	s_and_not1_b32 vcc_lo, exec_lo, s6
	s_cbranch_vccnz .LBB103_68
; %bb.66:
	s_clause 0x1
	s_load_b128 s[4:7], s[0:1], 0x4
	s_load_b64 s[2:3], s[0:1], 0xc4
	s_cmp_lt_u32 s22, 2
	s_waitcnt lgkmcnt(0)
	v_mul_hi_u32 v6, s5, v8
	s_delay_alu instid0(VALU_DEP_1) | instskip(NEXT) | instid1(VALU_DEP_1)
	v_add_nc_u32_e32 v6, v8, v6
	v_lshrrev_b32_e32 v9, s6, v6
	s_delay_alu instid0(VALU_DEP_1) | instskip(NEXT) | instid1(VALU_DEP_1)
	v_mul_lo_u32 v6, v9, s4
	v_sub_nc_u32_e32 v7, v8, v6
	s_delay_alu instid0(VALU_DEP_1)
	v_mul_lo_u32 v6, v7, s2
	v_mul_lo_u32 v7, v7, s3
	s_cbranch_scc1 .LBB103_68
; %bb.67:
	s_clause 0x1
	s_load_b128 s[4:7], s[0:1], 0x10
	s_load_b64 s[2:3], s[0:1], 0xcc
	s_waitcnt lgkmcnt(0)
	v_mul_hi_u32 v8, s5, v9
	s_delay_alu instid0(VALU_DEP_1) | instskip(NEXT) | instid1(VALU_DEP_1)
	v_add_nc_u32_e32 v8, v9, v8
	v_lshrrev_b32_e32 v8, s6, v8
	s_delay_alu instid0(VALU_DEP_1) | instskip(NEXT) | instid1(VALU_DEP_1)
	v_mul_lo_u32 v8, v8, s4
	v_sub_nc_u32_e32 v11, v9, v8
	s_delay_alu instid0(VALU_DEP_1) | instskip(NEXT) | instid1(VALU_DEP_1)
	v_mad_u64_u32 v[8:9], null, v11, s2, v[6:7]
	v_mad_u64_u32 v[9:10], null, v11, s3, v[7:8]
	s_delay_alu instid0(VALU_DEP_1)
	v_dual_mov_b32 v6, v8 :: v_dual_mov_b32 v7, v9
.LBB103_68:
	v_cmp_ne_u32_e32 vcc_lo, 1, v14
	v_add_nc_u32_e32 v10, 0x200, v12
	s_cbranch_vccnz .LBB103_74
; %bb.69:
	v_dual_mov_b32 v8, 0 :: v_dual_mov_b32 v9, 0
	s_cmp_lg_u32 s22, 0
	s_mov_b32 s6, 0
	s_cbranch_scc0 .LBB103_78
; %bb.70:
	s_min_u32 s7, s23, 15
	v_mov_b32_e32 v8, 0
	s_add_i32 s7, s7, 1
	s_cmp_eq_u32 s23, 2
	s_mov_b32 s8, 0
	s_cbranch_scc1 .LBB103_75
; %bb.71:
	v_dual_mov_b32 v9, 0 :: v_dual_mov_b32 v8, 0
	v_mov_b32_e32 v11, v10
	s_add_u32 s2, s0, 0xc4
	s_addc_u32 s3, s1, 0
	s_and_b32 s8, s7, 28
	s_mov_b32 s9, 0
	s_mov_b64 s[4:5], s[0:1]
.LBB103_72:                             ; =>This Inner Loop Header: Depth=1
	s_clause 0x1
	s_load_b256 s[12:19], s[4:5], 0x4
	s_load_b128 s[36:39], s[4:5], 0x24
	s_load_b256 s[24:31], s[2:3], 0x0
	s_add_u32 s4, s4, 48
	s_addc_u32 s5, s5, 0
	s_add_i32 s9, s9, 4
	s_add_u32 s2, s2, 32
	s_addc_u32 s3, s3, 0
	s_cmp_lg_u32 s8, s9
	s_waitcnt lgkmcnt(0)
	v_mul_hi_u32 v13, s13, v11
	s_delay_alu instid0(VALU_DEP_1) | instskip(NEXT) | instid1(VALU_DEP_1)
	v_add_nc_u32_e32 v13, v11, v13
	v_lshrrev_b32_e32 v13, s14, v13
	s_delay_alu instid0(VALU_DEP_1) | instskip(SKIP_1) | instid1(VALU_DEP_2)
	v_mul_hi_u32 v15, s16, v13
	v_mul_lo_u32 v18, v13, s12
	v_add_nc_u32_e32 v15, v13, v15
	s_delay_alu instid0(VALU_DEP_2) | instskip(NEXT) | instid1(VALU_DEP_2)
	v_sub_nc_u32_e32 v11, v11, v18
	v_lshrrev_b32_e32 v15, s17, v15
	s_delay_alu instid0(VALU_DEP_2) | instskip(SKIP_1) | instid1(VALU_DEP_3)
	v_mul_lo_u32 v18, v11, s24
	v_mul_lo_u32 v20, v11, s25
	v_mul_hi_u32 v17, s19, v15
	s_delay_alu instid0(VALU_DEP_1) | instskip(NEXT) | instid1(VALU_DEP_1)
	v_add_nc_u32_e32 v17, v15, v17
	v_lshrrev_b32_e32 v17, s36, v17
	s_delay_alu instid0(VALU_DEP_1) | instskip(SKIP_1) | instid1(VALU_DEP_2)
	v_mul_hi_u32 v19, s38, v17
	v_mul_lo_u32 v21, v17, s18
	v_add_nc_u32_e32 v11, v17, v19
	v_mul_lo_u32 v19, v15, s15
	s_delay_alu instid0(VALU_DEP_3) | instskip(NEXT) | instid1(VALU_DEP_3)
	v_sub_nc_u32_e32 v15, v15, v21
	v_lshrrev_b32_e32 v11, s39, v11
	s_delay_alu instid0(VALU_DEP_2) | instskip(SKIP_2) | instid1(VALU_DEP_4)
	v_mul_lo_u32 v21, v15, s28
	v_mul_lo_u32 v15, v15, s29
	v_sub_nc_u32_e32 v13, v13, v19
	v_mul_lo_u32 v22, v11, s37
	s_delay_alu instid0(VALU_DEP_2) | instskip(SKIP_1) | instid1(VALU_DEP_3)
	v_mul_lo_u32 v19, v13, s26
	v_mul_lo_u32 v13, v13, s27
	v_sub_nc_u32_e32 v17, v17, v22
	s_delay_alu instid0(VALU_DEP_3) | instskip(NEXT) | instid1(VALU_DEP_2)
	v_add3_u32 v8, v18, v8, v19
	v_mul_lo_u32 v22, v17, s30
	v_mul_lo_u32 v17, v17, s31
	v_add3_u32 v9, v20, v9, v13
	s_delay_alu instid0(VALU_DEP_3) | instskip(NEXT) | instid1(VALU_DEP_2)
	v_add3_u32 v8, v21, v8, v22
	v_add3_u32 v9, v15, v9, v17
	s_cbranch_scc1 .LBB103_72
; %bb.73:
	s_and_b32 s7, s7, 3
	s_delay_alu instid0(SALU_CYCLE_1)
	s_cmp_eq_u32 s7, 0
	s_cbranch_scc0 .LBB103_76
	s_branch .LBB103_78
.LBB103_74:
	s_mov_b32 s6, -1
                                        ; implicit-def: $vgpr8
                                        ; implicit-def: $vgpr9
	s_branch .LBB103_78
.LBB103_75:
	v_mov_b32_e32 v11, v10
	v_mov_b32_e32 v9, 0
	s_and_b32 s7, s7, 3
	s_delay_alu instid0(SALU_CYCLE_1)
	s_cmp_eq_u32 s7, 0
	s_cbranch_scc1 .LBB103_78
.LBB103_76:
	s_lshl_b32 s2, s8, 3
	s_mul_i32 s4, s8, 12
	s_add_u32 s2, s2, s0
	s_addc_u32 s3, 0, s1
	s_add_u32 s2, s2, 0xc4
	s_addc_u32 s3, s3, 0
	;; [unrolled: 2-line block ×3, first 2 shown]
	.p2align	6
.LBB103_77:                             ; =>This Inner Loop Header: Depth=1
	s_clause 0x1
	s_load_b64 s[8:9], s[4:5], 0x4
	s_load_b32 s12, s[4:5], 0xc
	s_load_b64 s[10:11], s[2:3], 0x0
	s_add_u32 s4, s4, 12
	s_addc_u32 s5, s5, 0
	s_add_u32 s2, s2, 8
	s_addc_u32 s3, s3, 0
	s_add_i32 s7, s7, -1
	s_delay_alu instid0(SALU_CYCLE_1) | instskip(SKIP_2) | instid1(VALU_DEP_1)
	s_cmp_lg_u32 s7, 0
	s_waitcnt lgkmcnt(0)
	v_mul_hi_u32 v13, s9, v11
	v_add_nc_u32_e32 v13, v11, v13
	s_delay_alu instid0(VALU_DEP_1) | instskip(NEXT) | instid1(VALU_DEP_1)
	v_lshrrev_b32_e32 v13, s12, v13
	v_mul_lo_u32 v15, v13, s8
	s_delay_alu instid0(VALU_DEP_1) | instskip(NEXT) | instid1(VALU_DEP_1)
	v_sub_nc_u32_e32 v11, v11, v15
	v_mad_u64_u32 v[17:18], null, v11, s10, v[8:9]
	v_mad_u64_u32 v[18:19], null, v11, s11, v[9:10]
	v_mov_b32_e32 v11, v13
	s_delay_alu instid0(VALU_DEP_2)
	v_dual_mov_b32 v8, v17 :: v_dual_mov_b32 v9, v18
	s_cbranch_scc1 .LBB103_77
.LBB103_78:
	s_and_not1_b32 vcc_lo, exec_lo, s6
	s_cbranch_vccnz .LBB103_81
; %bb.79:
	s_clause 0x1
	s_load_b128 s[4:7], s[0:1], 0x4
	s_load_b64 s[2:3], s[0:1], 0xc4
	s_cmp_lt_u32 s22, 2
	s_waitcnt lgkmcnt(0)
	v_mul_hi_u32 v8, s5, v10
	s_delay_alu instid0(VALU_DEP_1) | instskip(NEXT) | instid1(VALU_DEP_1)
	v_add_nc_u32_e32 v8, v10, v8
	v_lshrrev_b32_e32 v11, s6, v8
	s_delay_alu instid0(VALU_DEP_1) | instskip(NEXT) | instid1(VALU_DEP_1)
	v_mul_lo_u32 v8, v11, s4
	v_sub_nc_u32_e32 v9, v10, v8
	s_delay_alu instid0(VALU_DEP_1)
	v_mul_lo_u32 v8, v9, s2
	v_mul_lo_u32 v9, v9, s3
	s_cbranch_scc1 .LBB103_81
; %bb.80:
	s_clause 0x1
	s_load_b128 s[4:7], s[0:1], 0x10
	s_load_b64 s[2:3], s[0:1], 0xcc
	s_waitcnt lgkmcnt(0)
	v_mul_hi_u32 v10, s5, v11
	s_delay_alu instid0(VALU_DEP_1) | instskip(NEXT) | instid1(VALU_DEP_1)
	v_add_nc_u32_e32 v10, v11, v10
	v_lshrrev_b32_e32 v10, s6, v10
	s_delay_alu instid0(VALU_DEP_1) | instskip(NEXT) | instid1(VALU_DEP_1)
	v_mul_lo_u32 v10, v10, s4
	v_sub_nc_u32_e32 v13, v11, v10
	s_delay_alu instid0(VALU_DEP_1) | instskip(NEXT) | instid1(VALU_DEP_1)
	v_mad_u64_u32 v[10:11], null, v13, s2, v[8:9]
	v_mad_u64_u32 v[17:18], null, v13, s3, v[9:10]
	s_delay_alu instid0(VALU_DEP_1)
	v_dual_mov_b32 v8, v10 :: v_dual_mov_b32 v9, v17
.LBB103_81:
	v_cmp_ne_u32_e32 vcc_lo, 1, v14
	v_add_nc_u32_e32 v13, 0x280, v12
	s_cbranch_vccnz .LBB103_87
; %bb.82:
	v_dual_mov_b32 v10, 0 :: v_dual_mov_b32 v11, 0
	s_cmp_lg_u32 s22, 0
	s_mov_b32 s6, 0
	s_cbranch_scc0 .LBB103_91
; %bb.83:
	s_min_u32 s7, s23, 15
	v_mov_b32_e32 v10, 0
	s_add_i32 s7, s7, 1
	s_cmp_eq_u32 s23, 2
	s_mov_b32 s8, 0
	s_cbranch_scc1 .LBB103_88
; %bb.84:
	v_dual_mov_b32 v11, 0 :: v_dual_mov_b32 v10, 0
	v_mov_b32_e32 v15, v13
	s_add_u32 s2, s0, 0xc4
	s_addc_u32 s3, s1, 0
	s_and_b32 s8, s7, 28
	s_mov_b32 s9, 0
	s_mov_b64 s[4:5], s[0:1]
.LBB103_85:                             ; =>This Inner Loop Header: Depth=1
	s_clause 0x1
	s_load_b256 s[12:19], s[4:5], 0x4
	s_load_b128 s[36:39], s[4:5], 0x24
	s_load_b256 s[24:31], s[2:3], 0x0
	s_add_u32 s4, s4, 48
	s_addc_u32 s5, s5, 0
	s_add_i32 s9, s9, 4
	s_add_u32 s2, s2, 32
	s_addc_u32 s3, s3, 0
	s_cmp_lg_u32 s8, s9
	s_waitcnt lgkmcnt(0)
	v_mul_hi_u32 v17, s13, v15
	s_delay_alu instid0(VALU_DEP_1) | instskip(NEXT) | instid1(VALU_DEP_1)
	v_add_nc_u32_e32 v17, v15, v17
	v_lshrrev_b32_e32 v17, s14, v17
	s_delay_alu instid0(VALU_DEP_1) | instskip(SKIP_1) | instid1(VALU_DEP_2)
	v_mul_hi_u32 v18, s16, v17
	v_mul_lo_u32 v20, v17, s12
	v_add_nc_u32_e32 v18, v17, v18
	s_delay_alu instid0(VALU_DEP_2) | instskip(NEXT) | instid1(VALU_DEP_2)
	v_sub_nc_u32_e32 v15, v15, v20
	v_lshrrev_b32_e32 v18, s17, v18
	s_delay_alu instid0(VALU_DEP_2) | instskip(SKIP_1) | instid1(VALU_DEP_3)
	v_mul_lo_u32 v20, v15, s24
	v_mul_lo_u32 v22, v15, s25
	v_mul_hi_u32 v19, s19, v18
	s_delay_alu instid0(VALU_DEP_1) | instskip(NEXT) | instid1(VALU_DEP_1)
	v_add_nc_u32_e32 v19, v18, v19
	v_lshrrev_b32_e32 v19, s36, v19
	s_delay_alu instid0(VALU_DEP_1) | instskip(SKIP_1) | instid1(VALU_DEP_2)
	v_mul_hi_u32 v21, s38, v19
	v_mul_lo_u32 v23, v19, s18
	v_add_nc_u32_e32 v15, v19, v21
	v_mul_lo_u32 v21, v18, s15
	s_delay_alu instid0(VALU_DEP_3) | instskip(NEXT) | instid1(VALU_DEP_3)
	v_sub_nc_u32_e32 v18, v18, v23
	v_lshrrev_b32_e32 v15, s39, v15
	s_delay_alu instid0(VALU_DEP_2) | instskip(SKIP_2) | instid1(VALU_DEP_4)
	v_mul_lo_u32 v23, v18, s28
	v_mul_lo_u32 v18, v18, s29
	v_sub_nc_u32_e32 v17, v17, v21
	v_mul_lo_u32 v24, v15, s37
	s_delay_alu instid0(VALU_DEP_2) | instskip(SKIP_1) | instid1(VALU_DEP_3)
	v_mul_lo_u32 v21, v17, s26
	v_mul_lo_u32 v17, v17, s27
	v_sub_nc_u32_e32 v19, v19, v24
	s_delay_alu instid0(VALU_DEP_3) | instskip(NEXT) | instid1(VALU_DEP_2)
	v_add3_u32 v10, v20, v10, v21
	v_mul_lo_u32 v24, v19, s30
	v_mul_lo_u32 v19, v19, s31
	v_add3_u32 v11, v22, v11, v17
	s_delay_alu instid0(VALU_DEP_3) | instskip(NEXT) | instid1(VALU_DEP_2)
	v_add3_u32 v10, v23, v10, v24
	v_add3_u32 v11, v18, v11, v19
	s_cbranch_scc1 .LBB103_85
; %bb.86:
	s_and_b32 s7, s7, 3
	s_delay_alu instid0(SALU_CYCLE_1)
	s_cmp_eq_u32 s7, 0
	s_cbranch_scc0 .LBB103_89
	s_branch .LBB103_91
.LBB103_87:
	s_mov_b32 s6, -1
                                        ; implicit-def: $vgpr10
                                        ; implicit-def: $vgpr11
	s_branch .LBB103_91
.LBB103_88:
	v_mov_b32_e32 v15, v13
	v_mov_b32_e32 v11, 0
	s_and_b32 s7, s7, 3
	s_delay_alu instid0(SALU_CYCLE_1)
	s_cmp_eq_u32 s7, 0
	s_cbranch_scc1 .LBB103_91
.LBB103_89:
	s_lshl_b32 s2, s8, 3
	s_mul_i32 s4, s8, 12
	s_add_u32 s2, s2, s0
	s_addc_u32 s3, 0, s1
	s_add_u32 s2, s2, 0xc4
	s_addc_u32 s3, s3, 0
	;; [unrolled: 2-line block ×3, first 2 shown]
	.p2align	6
.LBB103_90:                             ; =>This Inner Loop Header: Depth=1
	s_clause 0x1
	s_load_b64 s[8:9], s[4:5], 0x4
	s_load_b32 s12, s[4:5], 0xc
	s_load_b64 s[10:11], s[2:3], 0x0
	s_add_u32 s4, s4, 12
	s_addc_u32 s5, s5, 0
	s_add_u32 s2, s2, 8
	s_addc_u32 s3, s3, 0
	s_add_i32 s7, s7, -1
	s_delay_alu instid0(SALU_CYCLE_1) | instskip(SKIP_2) | instid1(VALU_DEP_1)
	s_cmp_lg_u32 s7, 0
	s_waitcnt lgkmcnt(0)
	v_mul_hi_u32 v17, s9, v15
	v_add_nc_u32_e32 v17, v15, v17
	s_delay_alu instid0(VALU_DEP_1) | instskip(NEXT) | instid1(VALU_DEP_1)
	v_lshrrev_b32_e32 v20, s12, v17
	v_mul_lo_u32 v17, v20, s8
	s_delay_alu instid0(VALU_DEP_1) | instskip(NEXT) | instid1(VALU_DEP_1)
	v_sub_nc_u32_e32 v15, v15, v17
	v_mad_u64_u32 v[17:18], null, v15, s10, v[10:11]
	v_mad_u64_u32 v[18:19], null, v15, s11, v[11:12]
	s_delay_alu instid0(VALU_DEP_2) | instskip(NEXT) | instid1(VALU_DEP_2)
	v_dual_mov_b32 v15, v20 :: v_dual_mov_b32 v10, v17
	v_mov_b32_e32 v11, v18
	s_cbranch_scc1 .LBB103_90
.LBB103_91:
	s_and_not1_b32 vcc_lo, exec_lo, s6
	s_cbranch_vccnz .LBB103_94
; %bb.92:
	s_clause 0x1
	s_load_b128 s[4:7], s[0:1], 0x4
	s_load_b64 s[2:3], s[0:1], 0xc4
	s_cmp_lt_u32 s22, 2
	s_waitcnt lgkmcnt(0)
	v_mul_hi_u32 v10, s5, v13
	s_delay_alu instid0(VALU_DEP_1) | instskip(NEXT) | instid1(VALU_DEP_1)
	v_add_nc_u32_e32 v10, v13, v10
	v_lshrrev_b32_e32 v15, s6, v10
	s_delay_alu instid0(VALU_DEP_1) | instskip(NEXT) | instid1(VALU_DEP_1)
	v_mul_lo_u32 v10, v15, s4
	v_sub_nc_u32_e32 v11, v13, v10
	s_delay_alu instid0(VALU_DEP_1)
	v_mul_lo_u32 v10, v11, s2
	v_mul_lo_u32 v11, v11, s3
	s_cbranch_scc1 .LBB103_94
; %bb.93:
	s_clause 0x1
	s_load_b128 s[4:7], s[0:1], 0x10
	s_load_b64 s[2:3], s[0:1], 0xcc
	s_waitcnt lgkmcnt(0)
	v_mul_hi_u32 v13, s5, v15
	s_delay_alu instid0(VALU_DEP_1) | instskip(NEXT) | instid1(VALU_DEP_1)
	v_add_nc_u32_e32 v13, v15, v13
	v_lshrrev_b32_e32 v13, s6, v13
	s_delay_alu instid0(VALU_DEP_1) | instskip(NEXT) | instid1(VALU_DEP_1)
	v_mul_lo_u32 v13, v13, s4
	v_sub_nc_u32_e32 v13, v15, v13
	s_delay_alu instid0(VALU_DEP_1) | instskip(SKIP_1) | instid1(VALU_DEP_1)
	v_mad_u64_u32 v[17:18], null, v13, s2, v[10:11]
	v_mad_u64_u32 v[18:19], null, v13, s3, v[11:12]
	v_dual_mov_b32 v10, v17 :: v_dual_mov_b32 v11, v18
.LBB103_94:
	v_cmp_ne_u32_e32 vcc_lo, 1, v14
	v_add_nc_u32_e32 v15, 0x300, v12
	s_cbranch_vccnz .LBB103_100
; %bb.95:
	v_dual_mov_b32 v12, 0 :: v_dual_mov_b32 v13, 0
	s_cmp_lg_u32 s22, 0
	s_mov_b32 s6, 0
	s_cbranch_scc0 .LBB103_104
; %bb.96:
	s_min_u32 s7, s23, 15
	v_mov_b32_e32 v12, 0
	s_add_i32 s7, s7, 1
	s_cmp_eq_u32 s23, 2
	s_mov_b32 s8, 0
	s_cbranch_scc1 .LBB103_101
; %bb.97:
	v_dual_mov_b32 v13, 0 :: v_dual_mov_b32 v12, 0
	v_mov_b32_e32 v17, v15
	s_add_u32 s2, s0, 0xc4
	s_addc_u32 s3, s1, 0
	s_and_b32 s8, s7, 28
	s_mov_b32 s9, 0
	s_mov_b64 s[4:5], s[0:1]
.LBB103_98:                             ; =>This Inner Loop Header: Depth=1
	s_clause 0x1
	s_load_b256 s[12:19], s[4:5], 0x4
	s_load_b128 s[36:39], s[4:5], 0x24
	s_load_b256 s[24:31], s[2:3], 0x0
	s_add_u32 s4, s4, 48
	s_addc_u32 s5, s5, 0
	s_add_i32 s9, s9, 4
	s_add_u32 s2, s2, 32
	s_addc_u32 s3, s3, 0
	s_cmp_lg_u32 s8, s9
	s_waitcnt lgkmcnt(0)
	v_mul_hi_u32 v18, s13, v17
	s_delay_alu instid0(VALU_DEP_1) | instskip(NEXT) | instid1(VALU_DEP_1)
	v_add_nc_u32_e32 v18, v17, v18
	v_lshrrev_b32_e32 v18, s14, v18
	s_delay_alu instid0(VALU_DEP_1) | instskip(SKIP_1) | instid1(VALU_DEP_2)
	v_mul_hi_u32 v19, s16, v18
	v_mul_lo_u32 v21, v18, s12
	v_add_nc_u32_e32 v19, v18, v19
	s_delay_alu instid0(VALU_DEP_2) | instskip(NEXT) | instid1(VALU_DEP_2)
	v_sub_nc_u32_e32 v17, v17, v21
	v_lshrrev_b32_e32 v19, s17, v19
	s_delay_alu instid0(VALU_DEP_2) | instskip(SKIP_1) | instid1(VALU_DEP_3)
	v_mul_lo_u32 v21, v17, s24
	v_mul_lo_u32 v23, v17, s25
	v_mul_hi_u32 v20, s19, v19
	s_delay_alu instid0(VALU_DEP_1) | instskip(NEXT) | instid1(VALU_DEP_1)
	v_add_nc_u32_e32 v20, v19, v20
	v_lshrrev_b32_e32 v20, s36, v20
	s_delay_alu instid0(VALU_DEP_1) | instskip(SKIP_1) | instid1(VALU_DEP_2)
	v_mul_hi_u32 v22, s38, v20
	v_mul_lo_u32 v24, v20, s18
	v_add_nc_u32_e32 v17, v20, v22
	v_mul_lo_u32 v22, v19, s15
	s_delay_alu instid0(VALU_DEP_3) | instskip(NEXT) | instid1(VALU_DEP_3)
	v_sub_nc_u32_e32 v19, v19, v24
	v_lshrrev_b32_e32 v17, s39, v17
	s_delay_alu instid0(VALU_DEP_2) | instskip(SKIP_2) | instid1(VALU_DEP_4)
	v_mul_lo_u32 v24, v19, s28
	v_mul_lo_u32 v19, v19, s29
	v_sub_nc_u32_e32 v18, v18, v22
	v_mul_lo_u32 v25, v17, s37
	s_delay_alu instid0(VALU_DEP_2) | instskip(SKIP_1) | instid1(VALU_DEP_3)
	v_mul_lo_u32 v22, v18, s26
	v_mul_lo_u32 v18, v18, s27
	v_sub_nc_u32_e32 v20, v20, v25
	s_delay_alu instid0(VALU_DEP_3) | instskip(NEXT) | instid1(VALU_DEP_2)
	v_add3_u32 v12, v21, v12, v22
	v_mul_lo_u32 v25, v20, s30
	v_mul_lo_u32 v20, v20, s31
	v_add3_u32 v13, v23, v13, v18
	s_delay_alu instid0(VALU_DEP_3) | instskip(NEXT) | instid1(VALU_DEP_2)
	v_add3_u32 v12, v24, v12, v25
	v_add3_u32 v13, v19, v13, v20
	s_cbranch_scc1 .LBB103_98
; %bb.99:
	s_and_b32 s7, s7, 3
	s_delay_alu instid0(SALU_CYCLE_1)
	s_cmp_eq_u32 s7, 0
	s_cbranch_scc0 .LBB103_102
	s_branch .LBB103_104
.LBB103_100:
	s_mov_b32 s6, -1
                                        ; implicit-def: $vgpr12
                                        ; implicit-def: $vgpr13
	s_branch .LBB103_104
.LBB103_101:
	v_mov_b32_e32 v17, v15
	v_mov_b32_e32 v13, 0
	s_and_b32 s7, s7, 3
	s_delay_alu instid0(SALU_CYCLE_1)
	s_cmp_eq_u32 s7, 0
	s_cbranch_scc1 .LBB103_104
.LBB103_102:
	s_lshl_b32 s2, s8, 3
	s_mul_i32 s4, s8, 12
	s_add_u32 s2, s2, s0
	s_addc_u32 s3, 0, s1
	s_add_u32 s2, s2, 0xc4
	s_addc_u32 s3, s3, 0
	s_add_u32 s4, s0, s4
	s_addc_u32 s5, 0, s1
	.p2align	6
.LBB103_103:                            ; =>This Inner Loop Header: Depth=1
	s_clause 0x1
	s_load_b64 s[8:9], s[4:5], 0x4
	s_load_b32 s12, s[4:5], 0xc
	s_load_b64 s[10:11], s[2:3], 0x0
	s_add_u32 s4, s4, 12
	s_addc_u32 s5, s5, 0
	s_add_u32 s2, s2, 8
	s_addc_u32 s3, s3, 0
	s_add_i32 s7, s7, -1
	s_delay_alu instid0(SALU_CYCLE_1) | instskip(SKIP_2) | instid1(VALU_DEP_1)
	s_cmp_lg_u32 s7, 0
	s_waitcnt lgkmcnt(0)
	v_mul_hi_u32 v18, s9, v17
	v_add_nc_u32_e32 v18, v17, v18
	s_delay_alu instid0(VALU_DEP_1) | instskip(NEXT) | instid1(VALU_DEP_1)
	v_lshrrev_b32_e32 v21, s12, v18
	v_mul_lo_u32 v18, v21, s8
	s_delay_alu instid0(VALU_DEP_1) | instskip(NEXT) | instid1(VALU_DEP_1)
	v_sub_nc_u32_e32 v17, v17, v18
	v_mad_u64_u32 v[18:19], null, v17, s10, v[12:13]
	v_mad_u64_u32 v[19:20], null, v17, s11, v[13:14]
	s_delay_alu instid0(VALU_DEP_2) | instskip(NEXT) | instid1(VALU_DEP_2)
	v_dual_mov_b32 v17, v21 :: v_dual_mov_b32 v12, v18
	v_mov_b32_e32 v13, v19
	s_cbranch_scc1 .LBB103_103
.LBB103_104:
	s_and_not1_b32 vcc_lo, exec_lo, s6
	s_cbranch_vccnz .LBB103_107
; %bb.105:
	s_clause 0x1
	s_load_b128 s[4:7], s[0:1], 0x4
	s_load_b64 s[2:3], s[0:1], 0xc4
	s_cmp_lt_u32 s22, 2
	s_waitcnt lgkmcnt(0)
	v_mul_hi_u32 v12, s5, v15
	s_delay_alu instid0(VALU_DEP_1) | instskip(NEXT) | instid1(VALU_DEP_1)
	v_add_nc_u32_e32 v12, v15, v12
	v_lshrrev_b32_e32 v17, s6, v12
	s_delay_alu instid0(VALU_DEP_1) | instskip(NEXT) | instid1(VALU_DEP_1)
	v_mul_lo_u32 v12, v17, s4
	v_sub_nc_u32_e32 v13, v15, v12
	s_delay_alu instid0(VALU_DEP_1)
	v_mul_lo_u32 v12, v13, s2
	v_mul_lo_u32 v13, v13, s3
	s_cbranch_scc1 .LBB103_107
; %bb.106:
	s_clause 0x1
	s_load_b128 s[4:7], s[0:1], 0x10
	s_load_b64 s[2:3], s[0:1], 0xcc
	s_waitcnt lgkmcnt(0)
	v_mul_hi_u32 v15, s5, v17
	s_delay_alu instid0(VALU_DEP_1) | instskip(NEXT) | instid1(VALU_DEP_1)
	v_add_nc_u32_e32 v15, v17, v15
	v_lshrrev_b32_e32 v15, s6, v15
	s_delay_alu instid0(VALU_DEP_1) | instskip(NEXT) | instid1(VALU_DEP_1)
	v_mul_lo_u32 v15, v15, s4
	v_sub_nc_u32_e32 v15, v17, v15
	s_delay_alu instid0(VALU_DEP_1) | instskip(SKIP_1) | instid1(VALU_DEP_1)
	v_mad_u64_u32 v[17:18], null, v15, s2, v[12:13]
	v_mad_u64_u32 v[18:19], null, v15, s3, v[13:14]
	v_dual_mov_b32 v12, v17 :: v_dual_mov_b32 v13, v18
.LBB103_107:
	v_cmp_ne_u32_e32 vcc_lo, 1, v14
	s_cbranch_vccnz .LBB103_113
; %bb.108:
	v_dual_mov_b32 v14, 0 :: v_dual_mov_b32 v15, 0
	s_cmp_lg_u32 s22, 0
	s_mov_b32 s6, 0
	s_cbranch_scc0 .LBB103_117
; %bb.109:
	s_min_u32 s7, s23, 15
	v_mov_b32_e32 v14, 0
	s_add_i32 s7, s7, 1
	s_cmp_eq_u32 s23, 2
	s_mov_b32 s8, 0
	s_cbranch_scc1 .LBB103_114
; %bb.110:
	v_dual_mov_b32 v15, 0 :: v_dual_mov_b32 v14, 0
	v_mov_b32_e32 v17, v16
	s_add_u32 s2, s0, 0xc4
	s_addc_u32 s3, s1, 0
	s_and_b32 s8, s7, 28
	s_mov_b32 s9, 0
	s_mov_b64 s[4:5], s[0:1]
.LBB103_111:                            ; =>This Inner Loop Header: Depth=1
	s_clause 0x1
	s_load_b256 s[12:19], s[4:5], 0x4
	s_load_b128 s[36:39], s[4:5], 0x24
	s_load_b256 s[24:31], s[2:3], 0x0
	s_add_u32 s4, s4, 48
	s_addc_u32 s5, s5, 0
	s_add_i32 s9, s9, 4
	s_add_u32 s2, s2, 32
	s_addc_u32 s3, s3, 0
	s_cmp_lg_u32 s8, s9
	s_waitcnt lgkmcnt(0)
	v_mul_hi_u32 v18, s13, v17
	s_delay_alu instid0(VALU_DEP_1) | instskip(NEXT) | instid1(VALU_DEP_1)
	v_add_nc_u32_e32 v18, v17, v18
	v_lshrrev_b32_e32 v18, s14, v18
	s_delay_alu instid0(VALU_DEP_1) | instskip(SKIP_1) | instid1(VALU_DEP_2)
	v_mul_hi_u32 v19, s16, v18
	v_mul_lo_u32 v21, v18, s12
	v_add_nc_u32_e32 v19, v18, v19
	s_delay_alu instid0(VALU_DEP_2) | instskip(NEXT) | instid1(VALU_DEP_2)
	v_sub_nc_u32_e32 v17, v17, v21
	v_lshrrev_b32_e32 v19, s17, v19
	s_delay_alu instid0(VALU_DEP_2) | instskip(SKIP_1) | instid1(VALU_DEP_3)
	v_mul_lo_u32 v21, v17, s24
	v_mul_lo_u32 v23, v17, s25
	v_mul_hi_u32 v20, s19, v19
	s_delay_alu instid0(VALU_DEP_1) | instskip(NEXT) | instid1(VALU_DEP_1)
	v_add_nc_u32_e32 v20, v19, v20
	v_lshrrev_b32_e32 v20, s36, v20
	s_delay_alu instid0(VALU_DEP_1) | instskip(SKIP_1) | instid1(VALU_DEP_2)
	v_mul_hi_u32 v22, s38, v20
	v_mul_lo_u32 v24, v20, s18
	v_add_nc_u32_e32 v17, v20, v22
	v_mul_lo_u32 v22, v19, s15
	s_delay_alu instid0(VALU_DEP_3) | instskip(NEXT) | instid1(VALU_DEP_3)
	v_sub_nc_u32_e32 v19, v19, v24
	v_lshrrev_b32_e32 v17, s39, v17
	s_delay_alu instid0(VALU_DEP_2) | instskip(SKIP_2) | instid1(VALU_DEP_4)
	v_mul_lo_u32 v24, v19, s28
	v_mul_lo_u32 v19, v19, s29
	v_sub_nc_u32_e32 v18, v18, v22
	v_mul_lo_u32 v25, v17, s37
	s_delay_alu instid0(VALU_DEP_2) | instskip(SKIP_1) | instid1(VALU_DEP_3)
	v_mul_lo_u32 v22, v18, s26
	v_mul_lo_u32 v18, v18, s27
	v_sub_nc_u32_e32 v20, v20, v25
	s_delay_alu instid0(VALU_DEP_3) | instskip(NEXT) | instid1(VALU_DEP_2)
	v_add3_u32 v14, v21, v14, v22
	v_mul_lo_u32 v25, v20, s30
	v_mul_lo_u32 v20, v20, s31
	v_add3_u32 v15, v23, v15, v18
	s_delay_alu instid0(VALU_DEP_3) | instskip(NEXT) | instid1(VALU_DEP_2)
	v_add3_u32 v14, v24, v14, v25
	v_add3_u32 v15, v19, v15, v20
	s_cbranch_scc1 .LBB103_111
; %bb.112:
	s_and_b32 s7, s7, 3
	s_delay_alu instid0(SALU_CYCLE_1)
	s_cmp_eq_u32 s7, 0
	s_cbranch_scc0 .LBB103_115
	s_branch .LBB103_117
.LBB103_113:
	s_mov_b32 s6, -1
                                        ; implicit-def: $vgpr14
                                        ; implicit-def: $vgpr15
	s_branch .LBB103_117
.LBB103_114:
	v_mov_b32_e32 v17, v16
	v_mov_b32_e32 v15, 0
	s_and_b32 s7, s7, 3
	s_delay_alu instid0(SALU_CYCLE_1)
	s_cmp_eq_u32 s7, 0
	s_cbranch_scc1 .LBB103_117
.LBB103_115:
	s_lshl_b32 s2, s8, 3
	s_mul_i32 s4, s8, 12
	s_add_u32 s2, s2, s0
	s_addc_u32 s3, 0, s1
	s_add_u32 s2, s2, 0xc4
	s_addc_u32 s3, s3, 0
	;; [unrolled: 2-line block ×3, first 2 shown]
	.p2align	6
.LBB103_116:                            ; =>This Inner Loop Header: Depth=1
	s_clause 0x1
	s_load_b64 s[8:9], s[4:5], 0x4
	s_load_b32 s12, s[4:5], 0xc
	s_load_b64 s[10:11], s[2:3], 0x0
	s_add_u32 s4, s4, 12
	s_addc_u32 s5, s5, 0
	s_add_u32 s2, s2, 8
	s_addc_u32 s3, s3, 0
	s_add_i32 s7, s7, -1
	s_delay_alu instid0(SALU_CYCLE_1) | instskip(SKIP_2) | instid1(VALU_DEP_1)
	s_cmp_lg_u32 s7, 0
	s_waitcnt lgkmcnt(0)
	v_mul_hi_u32 v18, s9, v17
	v_add_nc_u32_e32 v18, v17, v18
	s_delay_alu instid0(VALU_DEP_1) | instskip(NEXT) | instid1(VALU_DEP_1)
	v_lshrrev_b32_e32 v21, s12, v18
	v_mul_lo_u32 v18, v21, s8
	s_delay_alu instid0(VALU_DEP_1) | instskip(NEXT) | instid1(VALU_DEP_1)
	v_sub_nc_u32_e32 v17, v17, v18
	v_mad_u64_u32 v[18:19], null, v17, s10, v[14:15]
	v_mad_u64_u32 v[19:20], null, v17, s11, v[15:16]
	s_delay_alu instid0(VALU_DEP_2) | instskip(NEXT) | instid1(VALU_DEP_2)
	v_dual_mov_b32 v17, v21 :: v_dual_mov_b32 v14, v18
	v_mov_b32_e32 v15, v19
	s_cbranch_scc1 .LBB103_116
.LBB103_117:
	s_and_not1_b32 vcc_lo, exec_lo, s6
	s_cbranch_vccnz .LBB103_120
; %bb.118:
	s_clause 0x1
	s_load_b128 s[4:7], s[0:1], 0x4
	s_load_b64 s[2:3], s[0:1], 0xc4
	s_cmp_lt_u32 s22, 2
	s_waitcnt lgkmcnt(0)
	v_mul_hi_u32 v14, s5, v16
	s_delay_alu instid0(VALU_DEP_1) | instskip(NEXT) | instid1(VALU_DEP_1)
	v_add_nc_u32_e32 v14, v16, v14
	v_lshrrev_b32_e32 v17, s6, v14
	s_delay_alu instid0(VALU_DEP_1) | instskip(NEXT) | instid1(VALU_DEP_1)
	v_mul_lo_u32 v14, v17, s4
	v_sub_nc_u32_e32 v15, v16, v14
	s_delay_alu instid0(VALU_DEP_1)
	v_mul_lo_u32 v14, v15, s2
	v_mul_lo_u32 v15, v15, s3
	s_cbranch_scc1 .LBB103_120
; %bb.119:
	s_clause 0x1
	s_load_b128 s[4:7], s[0:1], 0x10
	s_load_b64 s[2:3], s[0:1], 0xcc
	s_waitcnt lgkmcnt(0)
	v_mul_hi_u32 v16, s5, v17
	s_delay_alu instid0(VALU_DEP_1) | instskip(NEXT) | instid1(VALU_DEP_1)
	v_add_nc_u32_e32 v16, v17, v16
	v_lshrrev_b32_e32 v16, s6, v16
	s_delay_alu instid0(VALU_DEP_1) | instskip(NEXT) | instid1(VALU_DEP_1)
	v_mul_lo_u32 v16, v16, s4
	v_sub_nc_u32_e32 v19, v17, v16
	s_delay_alu instid0(VALU_DEP_1) | instskip(NEXT) | instid1(VALU_DEP_1)
	v_mad_u64_u32 v[16:17], null, v19, s2, v[14:15]
	v_mad_u64_u32 v[17:18], null, v19, s3, v[15:16]
	s_delay_alu instid0(VALU_DEP_1)
	v_dual_mov_b32 v14, v16 :: v_dual_mov_b32 v15, v17
.LBB103_120:
	s_load_b128 s[0:3], s[0:1], 0x148
	s_waitcnt lgkmcnt(0)
	s_clause 0x7
	global_load_u16 v2, v2, s[2:3]
	global_load_u16 v3, v3, s[2:3]
	;; [unrolled: 1-line block ×8, first 2 shown]
	s_waitcnt vmcnt(6)
	v_lshlrev_b32_e32 v3, 16, v3
	s_delay_alu instid0(VALU_DEP_1) | instskip(NEXT) | instid1(VALU_DEP_1)
	v_dual_mul_f32 v17, 0x3fb8aa3b, v3 :: v_dual_lshlrev_b32 v2, 16, v2
	v_mul_f32_e32 v16, 0x3fb8aa3b, v2
	v_cmp_ngt_f32_e32 vcc_lo, 0xc2ce8ed0, v2
	s_delay_alu instid0(VALU_DEP_3) | instskip(NEXT) | instid1(VALU_DEP_3)
	v_fma_f32 v26, 0x3fb8aa3b, v3, -v17
	v_fma_f32 v24, 0x3fb8aa3b, v2, -v16
	s_waitcnt vmcnt(5)
	v_lshlrev_b32_e32 v5, 16, v5
	v_rndne_f32_e32 v25, v16
	s_waitcnt vmcnt(3)
	v_dual_fmac_f32 v26, 0x32a5705f, v3 :: v_dual_lshlrev_b32 v9, 16, v9
	v_dual_fmac_f32 v24, 0x32a5705f, v2 :: v_dual_lshlrev_b32 v7, 16, v7
	s_waitcnt vmcnt(2)
	v_dual_mul_f32 v18, 0x3fb8aa3b, v5 :: v_dual_lshlrev_b32 v11, 16, v11
	s_delay_alu instid0(VALU_DEP_3) | instskip(NEXT) | instid1(VALU_DEP_3)
	v_mul_f32_e32 v20, 0x3fb8aa3b, v9
	v_dual_sub_f32 v16, v16, v25 :: v_dual_mul_f32 v19, 0x3fb8aa3b, v7
	v_rndne_f32_e32 v27, v17
	s_delay_alu instid0(VALU_DEP_4)
	v_rndne_f32_e32 v29, v18
	v_mul_f32_e32 v21, 0x3fb8aa3b, v11
	v_fma_f32 v28, 0x3fb8aa3b, v5, -v18
	v_fma_f32 v30, 0x3fb8aa3b, v7, -v19
	s_waitcnt vmcnt(1)
	v_lshlrev_b32_e32 v13, 16, v13
	v_dual_sub_f32 v17, v17, v27 :: v_dual_sub_f32 v18, v18, v29
	v_fmac_f32_e32 v28, 0x32a5705f, v5
	v_fmac_f32_e32 v30, 0x32a5705f, v7
	s_waitcnt vmcnt(0)
	v_dual_mul_f32 v22, 0x3fb8aa3b, v13 :: v_dual_lshlrev_b32 v15, 16, v15
	v_fma_f32 v34, 0x3fb8aa3b, v11, -v21
	v_rndne_f32_e32 v35, v21
	v_rndne_f32_e32 v31, v19
	;; [unrolled: 1-line block ×3, first 2 shown]
	v_fma_f32 v36, 0x3fb8aa3b, v13, -v22
	v_mul_f32_e32 v23, 0x3fb8aa3b, v15
	v_dual_fmac_f32 v34, 0x32a5705f, v11 :: v_dual_add_f32 v17, v17, v26
	s_delay_alu instid0(VALU_DEP_3) | instskip(SKIP_3) | instid1(VALU_DEP_4)
	v_dual_sub_f32 v21, v21, v35 :: v_dual_fmac_f32 v36, 0x32a5705f, v13
	v_add_f32_e32 v16, v16, v24
	v_fma_f32 v32, 0x3fb8aa3b, v9, -v20
	v_rndne_f32_e32 v37, v22
	v_add_f32_e32 v21, v21, v34
	v_dual_sub_f32 v19, v19, v31 :: v_dual_sub_f32 v20, v20, v33
	s_delay_alu instid0(VALU_DEP_4)
	v_fmac_f32_e32 v32, 0x32a5705f, v9
	v_fma_f32 v38, 0x3fb8aa3b, v15, -v23
	v_rndne_f32_e32 v39, v23
	v_exp_f32_e32 v16, v16
	v_cvt_i32_f32_e32 v25, v25
	v_sub_f32_e32 v22, v22, v37
	v_dual_fmac_f32 v38, 0x32a5705f, v15 :: v_dual_add_f32 v19, v19, v30
	v_dual_sub_f32 v23, v23, v39 :: v_dual_add_f32 v18, v18, v28
	v_exp_f32_e32 v17, v17
	v_exp_f32_e32 v21, v21
	v_cvt_i32_f32_e32 v27, v27
	s_delay_alu instid0(VALU_DEP_2)
	v_add_f32_e32 v23, v23, v38
	v_cvt_i32_f32_e32 v35, v35
	v_exp_f32_e32 v18, v18
	v_ldexp_f32 v16, v16, v25
	v_cvt_i32_f32_e32 v29, v29
	v_exp_f32_e32 v19, v19
	v_exp_f32_e32 v23, v23
	v_ldexp_f32 v17, v17, v27
	v_ldexp_f32 v21, v21, v35
	v_cndmask_b32_e32 v16, 0, v16, vcc_lo
	v_cmp_ngt_f32_e32 vcc_lo, 0xc2ce8ed0, v3
	v_add_f32_e32 v20, v20, v32
	v_cvt_i32_f32_e32 v31, v31
	v_cvt_i32_f32_e32 v26, v39
	v_ldexp_f32 v18, v18, v29
	v_cndmask_b32_e32 v17, 0, v17, vcc_lo
	v_exp_f32_e32 v20, v20
	v_cmp_ngt_f32_e32 vcc_lo, 0xc2ce8ed0, v5
	v_cvt_i32_f32_e32 v33, v33
	v_ldexp_f32 v19, v19, v31
	v_ldexp_f32 v23, v23, v26
	v_cvt_i32_f32_e32 v24, v37
	v_cndmask_b32_e32 v18, 0, v18, vcc_lo
	v_cmp_ngt_f32_e32 vcc_lo, 0xc2ce8ed0, v7
	v_add_f32_e32 v22, v22, v36
	s_delay_alu instid0(TRANS32_DEP_1) | instskip(SKIP_1) | instid1(VALU_DEP_3)
	v_ldexp_f32 v20, v20, v33
	v_cndmask_b32_e32 v19, 0, v19, vcc_lo
	v_exp_f32_e32 v22, v22
	v_cmp_ngt_f32_e32 vcc_lo, 0xc2ce8ed0, v9
	s_delay_alu instid0(VALU_DEP_3)
	v_cndmask_b32_e32 v20, 0, v20, vcc_lo
	v_cmp_ngt_f32_e32 vcc_lo, 0xc2ce8ed0, v11
	s_waitcnt_depctr 0xfff
	v_ldexp_f32 v22, v22, v24
	v_cndmask_b32_e32 v21, 0, v21, vcc_lo
	v_cmp_ngt_f32_e32 vcc_lo, 0xc2ce8ed0, v13
	s_delay_alu instid0(VALU_DEP_3)
	v_cndmask_b32_e32 v22, 0, v22, vcc_lo
	v_cmp_ngt_f32_e32 vcc_lo, 0xc2ce8ed0, v15
	v_cndmask_b32_e32 v23, 0, v23, vcc_lo
	v_cmp_nlt_f32_e32 vcc_lo, 0x42b17218, v2
	v_cndmask_b32_e32 v2, 0x7f800000, v16, vcc_lo
	v_cmp_nlt_f32_e32 vcc_lo, 0x42b17218, v3
	s_delay_alu instid0(VALU_DEP_2) | instskip(SKIP_2) | instid1(VALU_DEP_3)
	v_bfe_u32 v16, v2, 16, 1
	v_cndmask_b32_e32 v3, 0x7f800000, v17, vcc_lo
	v_cmp_nlt_f32_e32 vcc_lo, 0x42b17218, v5
	v_add3_u32 v16, v2, v16, 0x7fff
	s_delay_alu instid0(VALU_DEP_3) | instskip(SKIP_2) | instid1(VALU_DEP_4)
	v_bfe_u32 v17, v3, 16, 1
	v_cndmask_b32_e32 v5, 0x7f800000, v18, vcc_lo
	v_cmp_nlt_f32_e32 vcc_lo, 0x42b17218, v7
	v_lshrrev_b32_e32 v16, 16, v16
	s_delay_alu instid0(VALU_DEP_4) | instskip(NEXT) | instid1(VALU_DEP_4)
	v_add3_u32 v17, v3, v17, 0x7fff
	v_bfe_u32 v18, v5, 16, 1
	v_cndmask_b32_e32 v7, 0x7f800000, v19, vcc_lo
	v_cmp_nlt_f32_e32 vcc_lo, 0x42b17218, v9
	s_delay_alu instid0(VALU_DEP_4) | instskip(NEXT) | instid1(VALU_DEP_4)
	v_lshrrev_b32_e32 v17, 16, v17
	v_add3_u32 v18, v5, v18, 0x7fff
	s_delay_alu instid0(VALU_DEP_4) | instskip(SKIP_2) | instid1(VALU_DEP_4)
	v_bfe_u32 v19, v7, 16, 1
	v_cndmask_b32_e32 v9, 0x7f800000, v20, vcc_lo
	v_cmp_nlt_f32_e32 vcc_lo, 0x42b17218, v11
	v_lshrrev_b32_e32 v18, 16, v18
	s_delay_alu instid0(VALU_DEP_4) | instskip(NEXT) | instid1(VALU_DEP_4)
	v_add3_u32 v19, v7, v19, 0x7fff
	v_bfe_u32 v20, v9, 16, 1
	v_cndmask_b32_e32 v11, 0x7f800000, v21, vcc_lo
	v_cmp_nlt_f32_e32 vcc_lo, 0x42b17218, v13
	s_delay_alu instid0(VALU_DEP_4) | instskip(NEXT) | instid1(VALU_DEP_4)
	v_lshrrev_b32_e32 v19, 16, v19
	v_add3_u32 v20, v9, v20, 0x7fff
	s_delay_alu instid0(VALU_DEP_4) | instskip(SKIP_2) | instid1(VALU_DEP_4)
	v_bfe_u32 v21, v11, 16, 1
	v_cndmask_b32_e32 v13, 0x7f800000, v22, vcc_lo
	v_cmp_nlt_f32_e32 vcc_lo, 0x42b17218, v15
	v_lshrrev_b32_e32 v20, 16, v20
	s_delay_alu instid0(VALU_DEP_4) | instskip(NEXT) | instid1(VALU_DEP_4)
	v_add3_u32 v21, v11, v21, 0x7fff
	v_bfe_u32 v22, v13, 16, 1
	v_cndmask_b32_e32 v15, 0x7f800000, v23, vcc_lo
	v_cmp_o_f32_e32 vcc_lo, v2, v2
	s_delay_alu instid0(VALU_DEP_4) | instskip(NEXT) | instid1(VALU_DEP_4)
	v_lshrrev_b32_e32 v21, 16, v21
	v_add3_u32 v22, v13, v22, 0x7fff
	s_delay_alu instid0(VALU_DEP_4) | instskip(SKIP_2) | instid1(VALU_DEP_4)
	v_bfe_u32 v23, v15, 16, 1
	v_cndmask_b32_e32 v2, 0x7fc0, v16, vcc_lo
	v_cmp_o_f32_e32 vcc_lo, v3, v3
	v_lshrrev_b32_e32 v22, 16, v22
	s_delay_alu instid0(VALU_DEP_4) | instskip(SKIP_2) | instid1(VALU_DEP_3)
	v_add3_u32 v23, v15, v23, 0x7fff
	v_cndmask_b32_e32 v3, 0x7fc0, v17, vcc_lo
	v_cmp_o_f32_e32 vcc_lo, v5, v5
	v_lshrrev_b32_e32 v23, 16, v23
	v_cndmask_b32_e32 v5, 0x7fc0, v18, vcc_lo
	v_cmp_o_f32_e32 vcc_lo, v7, v7
	v_cndmask_b32_e32 v7, 0x7fc0, v19, vcc_lo
	v_cmp_o_f32_e32 vcc_lo, v9, v9
	;; [unrolled: 2-line block ×5, first 2 shown]
	v_cndmask_b32_e32 v15, 0x7fc0, v23, vcc_lo
	s_clause 0x7
	global_store_b16 v0, v2, s[0:1]
	global_store_b16 v1, v3, s[0:1]
	;; [unrolled: 1-line block ×8, first 2 shown]
	s_nop 0
	s_sendmsg sendmsg(MSG_DEALLOC_VGPRS)
	s_endpgm
.LBB103_121:
	v_dual_mov_b32 v2, v12 :: v_dual_mov_b32 v1, 0
.LBB103_122:
	s_and_b32 s34, s34, 3
	s_delay_alu instid0(SALU_CYCLE_1)
	s_cmp_eq_u32 s34, 0
	s_cbranch_scc1 .LBB103_125
; %bb.123:
	s_lshl_b32 s18, s33, 3
	s_mul_i32 s20, s33, 12
	s_add_u32 s18, s18, s0
	s_addc_u32 s19, s1, 0
	s_add_u32 s18, s18, 0xc4
	s_addc_u32 s19, s19, 0
	;; [unrolled: 2-line block ×3, first 2 shown]
	.p2align	6
.LBB103_124:                            ; =>This Inner Loop Header: Depth=1
	s_clause 0x1
	s_load_b64 s[36:37], s[20:21], 0x4
	s_load_b32 s33, s[20:21], 0xc
	s_load_b64 s[38:39], s[18:19], 0x0
	s_add_u32 s20, s20, 12
	s_addc_u32 s21, s21, 0
	s_add_u32 s18, s18, 8
	s_addc_u32 s19, s19, 0
	s_add_i32 s34, s34, -1
	s_delay_alu instid0(SALU_CYCLE_1) | instskip(SKIP_2) | instid1(VALU_DEP_1)
	s_cmp_lg_u32 s34, 0
	s_waitcnt lgkmcnt(0)
	v_mul_hi_u32 v3, s37, v2
	v_add_nc_u32_e32 v3, v2, v3
	s_delay_alu instid0(VALU_DEP_1) | instskip(NEXT) | instid1(VALU_DEP_1)
	v_lshrrev_b32_e32 v6, s33, v3
	v_mul_lo_u32 v3, v6, s36
	s_delay_alu instid0(VALU_DEP_1) | instskip(NEXT) | instid1(VALU_DEP_1)
	v_sub_nc_u32_e32 v2, v2, v3
	v_mad_u64_u32 v[3:4], null, v2, s38, v[0:1]
	v_mad_u64_u32 v[4:5], null, v2, s39, v[1:2]
	v_mov_b32_e32 v2, v6
	s_delay_alu instid0(VALU_DEP_2)
	v_dual_mov_b32 v0, v3 :: v_dual_mov_b32 v1, v4
	s_cbranch_scc1 .LBB103_124
.LBB103_125:
	s_and_not1_b32 vcc_lo, exec_lo, s31
	s_cbranch_vccnz .LBB103_128
; %bb.126:
	s_waitcnt lgkmcnt(0)
	v_mul_hi_u32 v0, s13, v12
	s_and_not1_b32 vcc_lo, exec_lo, s26
	s_delay_alu instid0(VALU_DEP_1) | instskip(NEXT) | instid1(VALU_DEP_1)
	v_add_nc_u32_e32 v0, v12, v0
	v_lshrrev_b32_e32 v2, s14, v0
	s_delay_alu instid0(VALU_DEP_1) | instskip(NEXT) | instid1(VALU_DEP_1)
	v_mul_lo_u32 v0, v2, s12
	v_sub_nc_u32_e32 v1, v12, v0
	s_delay_alu instid0(VALU_DEP_1)
	v_mul_lo_u32 v0, v1, s8
	v_mul_lo_u32 v1, v1, s9
	s_cbranch_vccnz .LBB103_128
; %bb.127:
	v_mul_hi_u32 v3, s2, v2
	s_delay_alu instid0(VALU_DEP_1) | instskip(NEXT) | instid1(VALU_DEP_1)
	v_add_nc_u32_e32 v3, v2, v3
	v_lshrrev_b32_e32 v3, s3, v3
	s_delay_alu instid0(VALU_DEP_1) | instskip(NEXT) | instid1(VALU_DEP_1)
	v_mul_lo_u32 v3, v3, s15
	v_sub_nc_u32_e32 v5, v2, v3
	s_delay_alu instid0(VALU_DEP_1) | instskip(NEXT) | instid1(VALU_DEP_1)
	v_mad_u64_u32 v[2:3], null, v5, s10, v[0:1]
	v_mad_u64_u32 v[3:4], null, v5, s11, v[1:2]
	s_delay_alu instid0(VALU_DEP_1)
	v_dual_mov_b32 v0, v2 :: v_dual_mov_b32 v1, v3
.LBB103_128:
	s_waitcnt lgkmcnt(0)
	global_load_u16 v1, v1, s[6:7]
	v_add_nc_u32_e32 v12, 0x80, v12
	s_waitcnt vmcnt(0)
	v_lshlrev_b32_e32 v1, 16, v1
	s_delay_alu instid0(VALU_DEP_1) | instskip(NEXT) | instid1(VALU_DEP_1)
	v_mul_f32_e32 v2, 0x3fb8aa3b, v1
	v_fma_f32 v3, 0x3fb8aa3b, v1, -v2
	v_rndne_f32_e32 v4, v2
	s_delay_alu instid0(VALU_DEP_1) | instskip(SKIP_1) | instid1(VALU_DEP_4)
	v_sub_f32_e32 v2, v2, v4
	v_cmp_ngt_f32_e32 vcc_lo, 0xc2ce8ed0, v1
	v_fmamk_f32 v3, v1, 0x32a5705f, v3
	s_delay_alu instid0(VALU_DEP_1) | instskip(SKIP_1) | instid1(VALU_DEP_2)
	v_add_f32_e32 v2, v2, v3
	v_cvt_i32_f32_e32 v3, v4
	v_exp_f32_e32 v2, v2
	s_waitcnt_depctr 0xfff
	v_ldexp_f32 v2, v2, v3
	s_delay_alu instid0(VALU_DEP_1) | instskip(SKIP_1) | instid1(VALU_DEP_2)
	v_cndmask_b32_e32 v2, 0, v2, vcc_lo
	v_cmp_nlt_f32_e32 vcc_lo, 0x42b17218, v1
	v_cndmask_b32_e32 v1, 0x7f800000, v2, vcc_lo
	s_delay_alu instid0(VALU_DEP_1) | instskip(SKIP_1) | instid1(VALU_DEP_2)
	v_bfe_u32 v2, v1, 16, 1
	v_cmp_o_f32_e32 vcc_lo, v1, v1
	v_add3_u32 v2, v1, v2, 0x7fff
	s_delay_alu instid0(VALU_DEP_1) | instskip(NEXT) | instid1(VALU_DEP_1)
	v_lshrrev_b32_e32 v2, 16, v2
	v_cndmask_b32_e32 v1, 0x7fc0, v2, vcc_lo
	global_store_b16 v0, v1, s[4:5]
	s_or_b32 exec_lo, exec_lo, s30
	s_delay_alu instid0(SALU_CYCLE_1)
	s_mov_b32 s30, exec_lo
	v_cmpx_gt_i32_e64 s27, v12
	s_cbranch_execnz .LBB103_15
.LBB103_129:
	s_or_b32 exec_lo, exec_lo, s30
	s_delay_alu instid0(SALU_CYCLE_1)
	s_mov_b32 s30, exec_lo
	v_cmpx_gt_i32_e64 s27, v12
	s_cbranch_execz .LBB103_144
.LBB103_130:
	s_and_not1_b32 vcc_lo, exec_lo, s24
	s_cbranch_vccnz .LBB103_135
; %bb.131:
	v_dual_mov_b32 v0, 0 :: v_dual_mov_b32 v1, 0
	s_and_not1_b32 vcc_lo, exec_lo, s29
	s_mov_b32 s31, 0
	s_cbranch_vccnz .LBB103_155
; %bb.132:
	v_mov_b32_e32 v0, 0
	s_add_i32 s34, s28, 1
	s_cmp_eq_u32 s23, 2
	s_mov_b32 s33, 0
	s_cbranch_scc1 .LBB103_151
; %bb.133:
	v_dual_mov_b32 v1, 0 :: v_dual_mov_b32 v0, 0
	v_mov_b32_e32 v2, v12
	s_and_b32 s33, s34, 28
	s_mov_b32 s35, 0
	s_mov_b64 s[18:19], s[16:17]
	s_mov_b64 s[20:21], s[0:1]
.LBB103_134:                            ; =>This Inner Loop Header: Depth=1
	s_clause 0x1
	s_load_b256 s[36:43], s[20:21], 0x4
	s_load_b128 s[52:55], s[20:21], 0x24
	s_load_b256 s[44:51], s[18:19], 0x0
	s_add_u32 s20, s20, 48
	s_addc_u32 s21, s21, 0
	s_add_i32 s35, s35, 4
	s_add_u32 s18, s18, 32
	s_addc_u32 s19, s19, 0
	s_cmp_eq_u32 s33, s35
	s_waitcnt lgkmcnt(0)
	v_mul_hi_u32 v3, s37, v2
	s_delay_alu instid0(VALU_DEP_1) | instskip(NEXT) | instid1(VALU_DEP_1)
	v_add_nc_u32_e32 v3, v2, v3
	v_lshrrev_b32_e32 v3, s38, v3
	s_delay_alu instid0(VALU_DEP_1) | instskip(SKIP_1) | instid1(VALU_DEP_2)
	v_mul_hi_u32 v4, s40, v3
	v_mul_lo_u32 v6, v3, s36
	v_add_nc_u32_e32 v4, v3, v4
	s_delay_alu instid0(VALU_DEP_2) | instskip(NEXT) | instid1(VALU_DEP_2)
	v_sub_nc_u32_e32 v2, v2, v6
	v_lshrrev_b32_e32 v4, s41, v4
	s_delay_alu instid0(VALU_DEP_2) | instskip(SKIP_1) | instid1(VALU_DEP_3)
	v_mul_lo_u32 v6, v2, s44
	v_mul_lo_u32 v8, v2, s45
	v_mul_hi_u32 v5, s43, v4
	s_delay_alu instid0(VALU_DEP_1) | instskip(NEXT) | instid1(VALU_DEP_1)
	v_add_nc_u32_e32 v5, v4, v5
	v_lshrrev_b32_e32 v5, s52, v5
	s_delay_alu instid0(VALU_DEP_1) | instskip(SKIP_1) | instid1(VALU_DEP_2)
	v_mul_hi_u32 v7, s54, v5
	v_mul_lo_u32 v9, v5, s42
	v_add_nc_u32_e32 v2, v5, v7
	v_mul_lo_u32 v7, v4, s39
	s_delay_alu instid0(VALU_DEP_3) | instskip(NEXT) | instid1(VALU_DEP_3)
	v_sub_nc_u32_e32 v4, v4, v9
	v_lshrrev_b32_e32 v2, s55, v2
	s_delay_alu instid0(VALU_DEP_2) | instskip(SKIP_2) | instid1(VALU_DEP_4)
	v_mul_lo_u32 v9, v4, s48
	v_mul_lo_u32 v4, v4, s49
	v_sub_nc_u32_e32 v3, v3, v7
	v_mul_lo_u32 v10, v2, s53
	s_delay_alu instid0(VALU_DEP_2) | instskip(SKIP_1) | instid1(VALU_DEP_3)
	v_mul_lo_u32 v7, v3, s46
	v_mul_lo_u32 v3, v3, s47
	v_sub_nc_u32_e32 v5, v5, v10
	s_delay_alu instid0(VALU_DEP_3) | instskip(NEXT) | instid1(VALU_DEP_2)
	v_add3_u32 v0, v6, v0, v7
	v_mul_lo_u32 v10, v5, s50
	v_mul_lo_u32 v5, v5, s51
	v_add3_u32 v1, v8, v1, v3
	s_delay_alu instid0(VALU_DEP_3) | instskip(NEXT) | instid1(VALU_DEP_2)
	v_add3_u32 v0, v9, v0, v10
	v_add3_u32 v1, v4, v1, v5
	s_cbranch_scc0 .LBB103_134
	s_branch .LBB103_152
.LBB103_135:
	s_mov_b32 s31, -1
                                        ; implicit-def: $vgpr0
                                        ; implicit-def: $vgpr1
	s_branch .LBB103_155
.LBB103_136:
	v_dual_mov_b32 v2, v12 :: v_dual_mov_b32 v1, 0
.LBB103_137:
	s_and_b32 s34, s34, 3
	s_delay_alu instid0(SALU_CYCLE_1)
	s_cmp_eq_u32 s34, 0
	s_cbranch_scc1 .LBB103_140
; %bb.138:
	s_lshl_b32 s18, s33, 3
	s_mul_i32 s20, s33, 12
	s_add_u32 s18, s18, s0
	s_addc_u32 s19, s1, 0
	s_add_u32 s18, s18, 0xc4
	s_addc_u32 s19, s19, 0
	;; [unrolled: 2-line block ×3, first 2 shown]
	.p2align	6
.LBB103_139:                            ; =>This Inner Loop Header: Depth=1
	s_clause 0x1
	s_load_b64 s[36:37], s[20:21], 0x4
	s_load_b32 s33, s[20:21], 0xc
	s_load_b64 s[38:39], s[18:19], 0x0
	s_add_u32 s20, s20, 12
	s_addc_u32 s21, s21, 0
	s_add_u32 s18, s18, 8
	s_addc_u32 s19, s19, 0
	s_add_i32 s34, s34, -1
	s_delay_alu instid0(SALU_CYCLE_1) | instskip(SKIP_2) | instid1(VALU_DEP_1)
	s_cmp_lg_u32 s34, 0
	s_waitcnt lgkmcnt(0)
	v_mul_hi_u32 v3, s37, v2
	v_add_nc_u32_e32 v3, v2, v3
	s_delay_alu instid0(VALU_DEP_1) | instskip(NEXT) | instid1(VALU_DEP_1)
	v_lshrrev_b32_e32 v6, s33, v3
	v_mul_lo_u32 v3, v6, s36
	s_delay_alu instid0(VALU_DEP_1) | instskip(NEXT) | instid1(VALU_DEP_1)
	v_sub_nc_u32_e32 v2, v2, v3
	v_mad_u64_u32 v[3:4], null, v2, s38, v[0:1]
	v_mad_u64_u32 v[4:5], null, v2, s39, v[1:2]
	v_mov_b32_e32 v2, v6
	s_delay_alu instid0(VALU_DEP_2)
	v_dual_mov_b32 v0, v3 :: v_dual_mov_b32 v1, v4
	s_cbranch_scc1 .LBB103_139
.LBB103_140:
	s_and_not1_b32 vcc_lo, exec_lo, s31
	s_cbranch_vccnz .LBB103_143
; %bb.141:
	s_waitcnt lgkmcnt(0)
	v_mul_hi_u32 v0, s13, v12
	s_and_not1_b32 vcc_lo, exec_lo, s26
	s_delay_alu instid0(VALU_DEP_1) | instskip(NEXT) | instid1(VALU_DEP_1)
	v_add_nc_u32_e32 v0, v12, v0
	v_lshrrev_b32_e32 v2, s14, v0
	s_delay_alu instid0(VALU_DEP_1) | instskip(NEXT) | instid1(VALU_DEP_1)
	v_mul_lo_u32 v0, v2, s12
	v_sub_nc_u32_e32 v1, v12, v0
	s_delay_alu instid0(VALU_DEP_1)
	v_mul_lo_u32 v0, v1, s8
	v_mul_lo_u32 v1, v1, s9
	s_cbranch_vccnz .LBB103_143
; %bb.142:
	v_mul_hi_u32 v3, s2, v2
	s_delay_alu instid0(VALU_DEP_1) | instskip(NEXT) | instid1(VALU_DEP_1)
	v_add_nc_u32_e32 v3, v2, v3
	v_lshrrev_b32_e32 v3, s3, v3
	s_delay_alu instid0(VALU_DEP_1) | instskip(NEXT) | instid1(VALU_DEP_1)
	v_mul_lo_u32 v3, v3, s15
	v_sub_nc_u32_e32 v5, v2, v3
	s_delay_alu instid0(VALU_DEP_1) | instskip(NEXT) | instid1(VALU_DEP_1)
	v_mad_u64_u32 v[2:3], null, v5, s10, v[0:1]
	v_mad_u64_u32 v[3:4], null, v5, s11, v[1:2]
	s_delay_alu instid0(VALU_DEP_1)
	v_dual_mov_b32 v0, v2 :: v_dual_mov_b32 v1, v3
.LBB103_143:
	s_waitcnt lgkmcnt(0)
	global_load_u16 v1, v1, s[6:7]
	v_add_nc_u32_e32 v12, 0x80, v12
	s_waitcnt vmcnt(0)
	v_lshlrev_b32_e32 v1, 16, v1
	s_delay_alu instid0(VALU_DEP_1) | instskip(NEXT) | instid1(VALU_DEP_1)
	v_mul_f32_e32 v2, 0x3fb8aa3b, v1
	v_fma_f32 v3, 0x3fb8aa3b, v1, -v2
	v_rndne_f32_e32 v4, v2
	s_delay_alu instid0(VALU_DEP_1) | instskip(SKIP_1) | instid1(VALU_DEP_4)
	v_sub_f32_e32 v2, v2, v4
	v_cmp_ngt_f32_e32 vcc_lo, 0xc2ce8ed0, v1
	v_fmamk_f32 v3, v1, 0x32a5705f, v3
	s_delay_alu instid0(VALU_DEP_1) | instskip(SKIP_1) | instid1(VALU_DEP_2)
	v_add_f32_e32 v2, v2, v3
	v_cvt_i32_f32_e32 v3, v4
	v_exp_f32_e32 v2, v2
	s_waitcnt_depctr 0xfff
	v_ldexp_f32 v2, v2, v3
	s_delay_alu instid0(VALU_DEP_1) | instskip(SKIP_1) | instid1(VALU_DEP_2)
	v_cndmask_b32_e32 v2, 0, v2, vcc_lo
	v_cmp_nlt_f32_e32 vcc_lo, 0x42b17218, v1
	v_cndmask_b32_e32 v1, 0x7f800000, v2, vcc_lo
	s_delay_alu instid0(VALU_DEP_1) | instskip(SKIP_1) | instid1(VALU_DEP_2)
	v_bfe_u32 v2, v1, 16, 1
	v_cmp_o_f32_e32 vcc_lo, v1, v1
	v_add3_u32 v2, v1, v2, 0x7fff
	s_delay_alu instid0(VALU_DEP_1) | instskip(NEXT) | instid1(VALU_DEP_1)
	v_lshrrev_b32_e32 v2, 16, v2
	v_cndmask_b32_e32 v1, 0x7fc0, v2, vcc_lo
	global_store_b16 v0, v1, s[4:5]
	s_or_b32 exec_lo, exec_lo, s30
	s_delay_alu instid0(SALU_CYCLE_1)
	s_mov_b32 s30, exec_lo
	v_cmpx_gt_i32_e64 s27, v12
	s_cbranch_execnz .LBB103_130
.LBB103_144:
	s_or_b32 exec_lo, exec_lo, s30
	s_delay_alu instid0(SALU_CYCLE_1)
	s_mov_b32 s30, exec_lo
	v_cmpx_gt_i32_e64 s27, v12
	s_cbranch_execz .LBB103_159
.LBB103_145:
	s_and_not1_b32 vcc_lo, exec_lo, s24
	s_cbranch_vccnz .LBB103_150
; %bb.146:
	v_dual_mov_b32 v0, 0 :: v_dual_mov_b32 v1, 0
	s_and_not1_b32 vcc_lo, exec_lo, s29
	s_mov_b32 s31, 0
	s_cbranch_vccnz .LBB103_170
; %bb.147:
	v_mov_b32_e32 v0, 0
	s_add_i32 s34, s28, 1
	s_cmp_eq_u32 s23, 2
	s_mov_b32 s33, 0
	s_cbranch_scc1 .LBB103_166
; %bb.148:
	v_dual_mov_b32 v1, 0 :: v_dual_mov_b32 v0, 0
	v_mov_b32_e32 v2, v12
	s_and_b32 s33, s34, 28
	s_mov_b32 s35, 0
	s_mov_b64 s[18:19], s[16:17]
	s_mov_b64 s[20:21], s[0:1]
.LBB103_149:                            ; =>This Inner Loop Header: Depth=1
	s_clause 0x1
	s_load_b256 s[36:43], s[20:21], 0x4
	s_load_b128 s[52:55], s[20:21], 0x24
	s_load_b256 s[44:51], s[18:19], 0x0
	s_add_u32 s20, s20, 48
	s_addc_u32 s21, s21, 0
	s_add_i32 s35, s35, 4
	s_add_u32 s18, s18, 32
	s_addc_u32 s19, s19, 0
	s_cmp_eq_u32 s33, s35
	s_waitcnt lgkmcnt(0)
	v_mul_hi_u32 v3, s37, v2
	s_delay_alu instid0(VALU_DEP_1) | instskip(NEXT) | instid1(VALU_DEP_1)
	v_add_nc_u32_e32 v3, v2, v3
	v_lshrrev_b32_e32 v3, s38, v3
	s_delay_alu instid0(VALU_DEP_1) | instskip(SKIP_1) | instid1(VALU_DEP_2)
	v_mul_hi_u32 v4, s40, v3
	v_mul_lo_u32 v6, v3, s36
	v_add_nc_u32_e32 v4, v3, v4
	s_delay_alu instid0(VALU_DEP_2) | instskip(NEXT) | instid1(VALU_DEP_2)
	v_sub_nc_u32_e32 v2, v2, v6
	v_lshrrev_b32_e32 v4, s41, v4
	s_delay_alu instid0(VALU_DEP_2) | instskip(SKIP_1) | instid1(VALU_DEP_3)
	v_mul_lo_u32 v6, v2, s44
	v_mul_lo_u32 v8, v2, s45
	v_mul_hi_u32 v5, s43, v4
	s_delay_alu instid0(VALU_DEP_1) | instskip(NEXT) | instid1(VALU_DEP_1)
	v_add_nc_u32_e32 v5, v4, v5
	v_lshrrev_b32_e32 v5, s52, v5
	s_delay_alu instid0(VALU_DEP_1) | instskip(SKIP_1) | instid1(VALU_DEP_2)
	v_mul_hi_u32 v7, s54, v5
	v_mul_lo_u32 v9, v5, s42
	v_add_nc_u32_e32 v2, v5, v7
	v_mul_lo_u32 v7, v4, s39
	s_delay_alu instid0(VALU_DEP_3) | instskip(NEXT) | instid1(VALU_DEP_3)
	v_sub_nc_u32_e32 v4, v4, v9
	v_lshrrev_b32_e32 v2, s55, v2
	s_delay_alu instid0(VALU_DEP_2) | instskip(SKIP_2) | instid1(VALU_DEP_4)
	v_mul_lo_u32 v9, v4, s48
	v_mul_lo_u32 v4, v4, s49
	v_sub_nc_u32_e32 v3, v3, v7
	v_mul_lo_u32 v10, v2, s53
	s_delay_alu instid0(VALU_DEP_2) | instskip(SKIP_1) | instid1(VALU_DEP_3)
	v_mul_lo_u32 v7, v3, s46
	v_mul_lo_u32 v3, v3, s47
	v_sub_nc_u32_e32 v5, v5, v10
	s_delay_alu instid0(VALU_DEP_3) | instskip(NEXT) | instid1(VALU_DEP_2)
	v_add3_u32 v0, v6, v0, v7
	v_mul_lo_u32 v10, v5, s50
	v_mul_lo_u32 v5, v5, s51
	v_add3_u32 v1, v8, v1, v3
	s_delay_alu instid0(VALU_DEP_3) | instskip(NEXT) | instid1(VALU_DEP_2)
	v_add3_u32 v0, v9, v0, v10
	v_add3_u32 v1, v4, v1, v5
	s_cbranch_scc0 .LBB103_149
	s_branch .LBB103_167
.LBB103_150:
	s_mov_b32 s31, -1
                                        ; implicit-def: $vgpr0
                                        ; implicit-def: $vgpr1
	s_branch .LBB103_170
.LBB103_151:
	v_dual_mov_b32 v2, v12 :: v_dual_mov_b32 v1, 0
.LBB103_152:
	s_and_b32 s34, s34, 3
	s_delay_alu instid0(SALU_CYCLE_1)
	s_cmp_eq_u32 s34, 0
	s_cbranch_scc1 .LBB103_155
; %bb.153:
	s_lshl_b32 s18, s33, 3
	s_mul_i32 s20, s33, 12
	s_add_u32 s18, s18, s0
	s_addc_u32 s19, s1, 0
	s_add_u32 s18, s18, 0xc4
	s_addc_u32 s19, s19, 0
	s_add_u32 s20, s0, s20
	s_addc_u32 s21, s1, 0
	.p2align	6
.LBB103_154:                            ; =>This Inner Loop Header: Depth=1
	s_clause 0x1
	s_load_b64 s[36:37], s[20:21], 0x4
	s_load_b32 s33, s[20:21], 0xc
	s_load_b64 s[38:39], s[18:19], 0x0
	s_add_u32 s20, s20, 12
	s_addc_u32 s21, s21, 0
	s_add_u32 s18, s18, 8
	s_addc_u32 s19, s19, 0
	s_add_i32 s34, s34, -1
	s_delay_alu instid0(SALU_CYCLE_1) | instskip(SKIP_2) | instid1(VALU_DEP_1)
	s_cmp_lg_u32 s34, 0
	s_waitcnt lgkmcnt(0)
	v_mul_hi_u32 v3, s37, v2
	v_add_nc_u32_e32 v3, v2, v3
	s_delay_alu instid0(VALU_DEP_1) | instskip(NEXT) | instid1(VALU_DEP_1)
	v_lshrrev_b32_e32 v6, s33, v3
	v_mul_lo_u32 v3, v6, s36
	s_delay_alu instid0(VALU_DEP_1) | instskip(NEXT) | instid1(VALU_DEP_1)
	v_sub_nc_u32_e32 v2, v2, v3
	v_mad_u64_u32 v[3:4], null, v2, s38, v[0:1]
	v_mad_u64_u32 v[4:5], null, v2, s39, v[1:2]
	v_mov_b32_e32 v2, v6
	s_delay_alu instid0(VALU_DEP_2)
	v_dual_mov_b32 v0, v3 :: v_dual_mov_b32 v1, v4
	s_cbranch_scc1 .LBB103_154
.LBB103_155:
	s_and_not1_b32 vcc_lo, exec_lo, s31
	s_cbranch_vccnz .LBB103_158
; %bb.156:
	s_waitcnt lgkmcnt(0)
	v_mul_hi_u32 v0, s13, v12
	s_and_not1_b32 vcc_lo, exec_lo, s26
	s_delay_alu instid0(VALU_DEP_1) | instskip(NEXT) | instid1(VALU_DEP_1)
	v_add_nc_u32_e32 v0, v12, v0
	v_lshrrev_b32_e32 v2, s14, v0
	s_delay_alu instid0(VALU_DEP_1) | instskip(NEXT) | instid1(VALU_DEP_1)
	v_mul_lo_u32 v0, v2, s12
	v_sub_nc_u32_e32 v1, v12, v0
	s_delay_alu instid0(VALU_DEP_1)
	v_mul_lo_u32 v0, v1, s8
	v_mul_lo_u32 v1, v1, s9
	s_cbranch_vccnz .LBB103_158
; %bb.157:
	v_mul_hi_u32 v3, s2, v2
	s_delay_alu instid0(VALU_DEP_1) | instskip(NEXT) | instid1(VALU_DEP_1)
	v_add_nc_u32_e32 v3, v2, v3
	v_lshrrev_b32_e32 v3, s3, v3
	s_delay_alu instid0(VALU_DEP_1) | instskip(NEXT) | instid1(VALU_DEP_1)
	v_mul_lo_u32 v3, v3, s15
	v_sub_nc_u32_e32 v5, v2, v3
	s_delay_alu instid0(VALU_DEP_1) | instskip(NEXT) | instid1(VALU_DEP_1)
	v_mad_u64_u32 v[2:3], null, v5, s10, v[0:1]
	v_mad_u64_u32 v[3:4], null, v5, s11, v[1:2]
	s_delay_alu instid0(VALU_DEP_1)
	v_dual_mov_b32 v0, v2 :: v_dual_mov_b32 v1, v3
.LBB103_158:
	s_waitcnt lgkmcnt(0)
	global_load_u16 v1, v1, s[6:7]
	v_add_nc_u32_e32 v12, 0x80, v12
	s_waitcnt vmcnt(0)
	v_lshlrev_b32_e32 v1, 16, v1
	s_delay_alu instid0(VALU_DEP_1) | instskip(NEXT) | instid1(VALU_DEP_1)
	v_mul_f32_e32 v2, 0x3fb8aa3b, v1
	v_fma_f32 v3, 0x3fb8aa3b, v1, -v2
	v_rndne_f32_e32 v4, v2
	s_delay_alu instid0(VALU_DEP_1) | instskip(SKIP_1) | instid1(VALU_DEP_4)
	v_sub_f32_e32 v2, v2, v4
	v_cmp_ngt_f32_e32 vcc_lo, 0xc2ce8ed0, v1
	v_fmamk_f32 v3, v1, 0x32a5705f, v3
	s_delay_alu instid0(VALU_DEP_1) | instskip(SKIP_1) | instid1(VALU_DEP_2)
	v_add_f32_e32 v2, v2, v3
	v_cvt_i32_f32_e32 v3, v4
	v_exp_f32_e32 v2, v2
	s_waitcnt_depctr 0xfff
	v_ldexp_f32 v2, v2, v3
	s_delay_alu instid0(VALU_DEP_1) | instskip(SKIP_1) | instid1(VALU_DEP_2)
	v_cndmask_b32_e32 v2, 0, v2, vcc_lo
	v_cmp_nlt_f32_e32 vcc_lo, 0x42b17218, v1
	v_cndmask_b32_e32 v1, 0x7f800000, v2, vcc_lo
	s_delay_alu instid0(VALU_DEP_1) | instskip(SKIP_1) | instid1(VALU_DEP_2)
	v_bfe_u32 v2, v1, 16, 1
	v_cmp_o_f32_e32 vcc_lo, v1, v1
	v_add3_u32 v2, v1, v2, 0x7fff
	s_delay_alu instid0(VALU_DEP_1) | instskip(NEXT) | instid1(VALU_DEP_1)
	v_lshrrev_b32_e32 v2, 16, v2
	v_cndmask_b32_e32 v1, 0x7fc0, v2, vcc_lo
	global_store_b16 v0, v1, s[4:5]
	s_or_b32 exec_lo, exec_lo, s30
	s_delay_alu instid0(SALU_CYCLE_1)
	s_mov_b32 s30, exec_lo
	v_cmpx_gt_i32_e64 s27, v12
	s_cbranch_execnz .LBB103_145
.LBB103_159:
	s_or_b32 exec_lo, exec_lo, s30
	s_delay_alu instid0(SALU_CYCLE_1)
	s_mov_b32 s30, exec_lo
	v_cmpx_gt_i32_e64 s27, v12
	s_cbranch_execz .LBB103_174
.LBB103_160:
	s_and_not1_b32 vcc_lo, exec_lo, s24
	s_cbranch_vccnz .LBB103_165
; %bb.161:
	v_dual_mov_b32 v0, 0 :: v_dual_mov_b32 v1, 0
	s_and_not1_b32 vcc_lo, exec_lo, s29
	s_mov_b32 s31, 0
	s_cbranch_vccnz .LBB103_185
; %bb.162:
	v_mov_b32_e32 v0, 0
	s_add_i32 s34, s28, 1
	s_cmp_eq_u32 s23, 2
	s_mov_b32 s33, 0
	s_cbranch_scc1 .LBB103_181
; %bb.163:
	v_dual_mov_b32 v1, 0 :: v_dual_mov_b32 v0, 0
	v_mov_b32_e32 v2, v12
	s_and_b32 s33, s34, 28
	s_mov_b32 s35, 0
	s_mov_b64 s[18:19], s[16:17]
	s_mov_b64 s[20:21], s[0:1]
.LBB103_164:                            ; =>This Inner Loop Header: Depth=1
	s_clause 0x1
	s_load_b256 s[36:43], s[20:21], 0x4
	s_load_b128 s[52:55], s[20:21], 0x24
	s_load_b256 s[44:51], s[18:19], 0x0
	s_add_u32 s20, s20, 48
	s_addc_u32 s21, s21, 0
	s_add_i32 s35, s35, 4
	s_add_u32 s18, s18, 32
	s_addc_u32 s19, s19, 0
	s_cmp_eq_u32 s33, s35
	s_waitcnt lgkmcnt(0)
	v_mul_hi_u32 v3, s37, v2
	s_delay_alu instid0(VALU_DEP_1) | instskip(NEXT) | instid1(VALU_DEP_1)
	v_add_nc_u32_e32 v3, v2, v3
	v_lshrrev_b32_e32 v3, s38, v3
	s_delay_alu instid0(VALU_DEP_1) | instskip(SKIP_1) | instid1(VALU_DEP_2)
	v_mul_hi_u32 v4, s40, v3
	v_mul_lo_u32 v6, v3, s36
	v_add_nc_u32_e32 v4, v3, v4
	s_delay_alu instid0(VALU_DEP_2) | instskip(NEXT) | instid1(VALU_DEP_2)
	v_sub_nc_u32_e32 v2, v2, v6
	v_lshrrev_b32_e32 v4, s41, v4
	s_delay_alu instid0(VALU_DEP_2) | instskip(SKIP_1) | instid1(VALU_DEP_3)
	v_mul_lo_u32 v6, v2, s44
	v_mul_lo_u32 v8, v2, s45
	v_mul_hi_u32 v5, s43, v4
	s_delay_alu instid0(VALU_DEP_1) | instskip(NEXT) | instid1(VALU_DEP_1)
	v_add_nc_u32_e32 v5, v4, v5
	v_lshrrev_b32_e32 v5, s52, v5
	s_delay_alu instid0(VALU_DEP_1) | instskip(SKIP_1) | instid1(VALU_DEP_2)
	v_mul_hi_u32 v7, s54, v5
	v_mul_lo_u32 v9, v5, s42
	v_add_nc_u32_e32 v2, v5, v7
	v_mul_lo_u32 v7, v4, s39
	s_delay_alu instid0(VALU_DEP_3) | instskip(NEXT) | instid1(VALU_DEP_3)
	v_sub_nc_u32_e32 v4, v4, v9
	v_lshrrev_b32_e32 v2, s55, v2
	s_delay_alu instid0(VALU_DEP_2) | instskip(SKIP_2) | instid1(VALU_DEP_4)
	v_mul_lo_u32 v9, v4, s48
	v_mul_lo_u32 v4, v4, s49
	v_sub_nc_u32_e32 v3, v3, v7
	v_mul_lo_u32 v10, v2, s53
	s_delay_alu instid0(VALU_DEP_2) | instskip(SKIP_1) | instid1(VALU_DEP_3)
	v_mul_lo_u32 v7, v3, s46
	v_mul_lo_u32 v3, v3, s47
	v_sub_nc_u32_e32 v5, v5, v10
	s_delay_alu instid0(VALU_DEP_3) | instskip(NEXT) | instid1(VALU_DEP_2)
	v_add3_u32 v0, v6, v0, v7
	v_mul_lo_u32 v10, v5, s50
	v_mul_lo_u32 v5, v5, s51
	v_add3_u32 v1, v8, v1, v3
	s_delay_alu instid0(VALU_DEP_3) | instskip(NEXT) | instid1(VALU_DEP_2)
	v_add3_u32 v0, v9, v0, v10
	v_add3_u32 v1, v4, v1, v5
	s_cbranch_scc0 .LBB103_164
	s_branch .LBB103_182
.LBB103_165:
	s_mov_b32 s31, -1
                                        ; implicit-def: $vgpr0
                                        ; implicit-def: $vgpr1
	s_branch .LBB103_185
.LBB103_166:
	v_dual_mov_b32 v2, v12 :: v_dual_mov_b32 v1, 0
.LBB103_167:
	s_and_b32 s34, s34, 3
	s_delay_alu instid0(SALU_CYCLE_1)
	s_cmp_eq_u32 s34, 0
	s_cbranch_scc1 .LBB103_170
; %bb.168:
	s_lshl_b32 s18, s33, 3
	s_mul_i32 s20, s33, 12
	s_add_u32 s18, s18, s0
	s_addc_u32 s19, s1, 0
	s_add_u32 s18, s18, 0xc4
	s_addc_u32 s19, s19, 0
	;; [unrolled: 2-line block ×3, first 2 shown]
	.p2align	6
.LBB103_169:                            ; =>This Inner Loop Header: Depth=1
	s_clause 0x1
	s_load_b64 s[36:37], s[20:21], 0x4
	s_load_b32 s33, s[20:21], 0xc
	s_load_b64 s[38:39], s[18:19], 0x0
	s_add_u32 s20, s20, 12
	s_addc_u32 s21, s21, 0
	s_add_u32 s18, s18, 8
	s_addc_u32 s19, s19, 0
	s_add_i32 s34, s34, -1
	s_delay_alu instid0(SALU_CYCLE_1) | instskip(SKIP_2) | instid1(VALU_DEP_1)
	s_cmp_lg_u32 s34, 0
	s_waitcnt lgkmcnt(0)
	v_mul_hi_u32 v3, s37, v2
	v_add_nc_u32_e32 v3, v2, v3
	s_delay_alu instid0(VALU_DEP_1) | instskip(NEXT) | instid1(VALU_DEP_1)
	v_lshrrev_b32_e32 v6, s33, v3
	v_mul_lo_u32 v3, v6, s36
	s_delay_alu instid0(VALU_DEP_1) | instskip(NEXT) | instid1(VALU_DEP_1)
	v_sub_nc_u32_e32 v2, v2, v3
	v_mad_u64_u32 v[3:4], null, v2, s38, v[0:1]
	v_mad_u64_u32 v[4:5], null, v2, s39, v[1:2]
	v_mov_b32_e32 v2, v6
	s_delay_alu instid0(VALU_DEP_2)
	v_dual_mov_b32 v0, v3 :: v_dual_mov_b32 v1, v4
	s_cbranch_scc1 .LBB103_169
.LBB103_170:
	s_and_not1_b32 vcc_lo, exec_lo, s31
	s_cbranch_vccnz .LBB103_173
; %bb.171:
	s_waitcnt lgkmcnt(0)
	v_mul_hi_u32 v0, s13, v12
	s_and_not1_b32 vcc_lo, exec_lo, s26
	s_delay_alu instid0(VALU_DEP_1) | instskip(NEXT) | instid1(VALU_DEP_1)
	v_add_nc_u32_e32 v0, v12, v0
	v_lshrrev_b32_e32 v2, s14, v0
	s_delay_alu instid0(VALU_DEP_1) | instskip(NEXT) | instid1(VALU_DEP_1)
	v_mul_lo_u32 v0, v2, s12
	v_sub_nc_u32_e32 v1, v12, v0
	s_delay_alu instid0(VALU_DEP_1)
	v_mul_lo_u32 v0, v1, s8
	v_mul_lo_u32 v1, v1, s9
	s_cbranch_vccnz .LBB103_173
; %bb.172:
	v_mul_hi_u32 v3, s2, v2
	s_delay_alu instid0(VALU_DEP_1) | instskip(NEXT) | instid1(VALU_DEP_1)
	v_add_nc_u32_e32 v3, v2, v3
	v_lshrrev_b32_e32 v3, s3, v3
	s_delay_alu instid0(VALU_DEP_1) | instskip(NEXT) | instid1(VALU_DEP_1)
	v_mul_lo_u32 v3, v3, s15
	v_sub_nc_u32_e32 v5, v2, v3
	s_delay_alu instid0(VALU_DEP_1) | instskip(NEXT) | instid1(VALU_DEP_1)
	v_mad_u64_u32 v[2:3], null, v5, s10, v[0:1]
	v_mad_u64_u32 v[3:4], null, v5, s11, v[1:2]
	s_delay_alu instid0(VALU_DEP_1)
	v_dual_mov_b32 v0, v2 :: v_dual_mov_b32 v1, v3
.LBB103_173:
	s_waitcnt lgkmcnt(0)
	global_load_u16 v1, v1, s[6:7]
	v_add_nc_u32_e32 v12, 0x80, v12
	s_waitcnt vmcnt(0)
	v_lshlrev_b32_e32 v1, 16, v1
	s_delay_alu instid0(VALU_DEP_1) | instskip(NEXT) | instid1(VALU_DEP_1)
	v_mul_f32_e32 v2, 0x3fb8aa3b, v1
	v_fma_f32 v3, 0x3fb8aa3b, v1, -v2
	v_rndne_f32_e32 v4, v2
	s_delay_alu instid0(VALU_DEP_1) | instskip(SKIP_1) | instid1(VALU_DEP_4)
	v_sub_f32_e32 v2, v2, v4
	v_cmp_ngt_f32_e32 vcc_lo, 0xc2ce8ed0, v1
	v_fmamk_f32 v3, v1, 0x32a5705f, v3
	s_delay_alu instid0(VALU_DEP_1) | instskip(SKIP_1) | instid1(VALU_DEP_2)
	v_add_f32_e32 v2, v2, v3
	v_cvt_i32_f32_e32 v3, v4
	v_exp_f32_e32 v2, v2
	s_waitcnt_depctr 0xfff
	v_ldexp_f32 v2, v2, v3
	s_delay_alu instid0(VALU_DEP_1) | instskip(SKIP_1) | instid1(VALU_DEP_2)
	v_cndmask_b32_e32 v2, 0, v2, vcc_lo
	v_cmp_nlt_f32_e32 vcc_lo, 0x42b17218, v1
	v_cndmask_b32_e32 v1, 0x7f800000, v2, vcc_lo
	s_delay_alu instid0(VALU_DEP_1) | instskip(SKIP_1) | instid1(VALU_DEP_2)
	v_bfe_u32 v2, v1, 16, 1
	v_cmp_o_f32_e32 vcc_lo, v1, v1
	v_add3_u32 v2, v1, v2, 0x7fff
	s_delay_alu instid0(VALU_DEP_1) | instskip(NEXT) | instid1(VALU_DEP_1)
	v_lshrrev_b32_e32 v2, 16, v2
	v_cndmask_b32_e32 v1, 0x7fc0, v2, vcc_lo
	global_store_b16 v0, v1, s[4:5]
	s_or_b32 exec_lo, exec_lo, s30
	s_delay_alu instid0(SALU_CYCLE_1)
	s_mov_b32 s30, exec_lo
	v_cmpx_gt_i32_e64 s27, v12
	s_cbranch_execnz .LBB103_160
.LBB103_174:
	s_or_b32 exec_lo, exec_lo, s30
	s_delay_alu instid0(SALU_CYCLE_1)
	s_mov_b32 s30, exec_lo
	v_cmpx_gt_i32_e64 s27, v12
	s_cbranch_execz .LBB103_189
.LBB103_175:
	s_and_not1_b32 vcc_lo, exec_lo, s24
	s_cbranch_vccnz .LBB103_180
; %bb.176:
	v_dual_mov_b32 v0, 0 :: v_dual_mov_b32 v1, 0
	s_and_not1_b32 vcc_lo, exec_lo, s29
	s_mov_b32 s31, 0
	s_cbranch_vccnz .LBB103_200
; %bb.177:
	v_mov_b32_e32 v0, 0
	s_add_i32 s34, s28, 1
	s_cmp_eq_u32 s23, 2
	s_mov_b32 s33, 0
	s_cbranch_scc1 .LBB103_196
; %bb.178:
	v_dual_mov_b32 v1, 0 :: v_dual_mov_b32 v0, 0
	v_mov_b32_e32 v2, v12
	s_and_b32 s33, s34, 28
	s_mov_b32 s35, 0
	s_mov_b64 s[18:19], s[16:17]
	s_mov_b64 s[20:21], s[0:1]
.LBB103_179:                            ; =>This Inner Loop Header: Depth=1
	s_clause 0x1
	s_load_b256 s[36:43], s[20:21], 0x4
	s_load_b128 s[52:55], s[20:21], 0x24
	s_load_b256 s[44:51], s[18:19], 0x0
	s_add_u32 s20, s20, 48
	s_addc_u32 s21, s21, 0
	s_add_i32 s35, s35, 4
	s_add_u32 s18, s18, 32
	s_addc_u32 s19, s19, 0
	s_cmp_eq_u32 s33, s35
	s_waitcnt lgkmcnt(0)
	v_mul_hi_u32 v3, s37, v2
	s_delay_alu instid0(VALU_DEP_1) | instskip(NEXT) | instid1(VALU_DEP_1)
	v_add_nc_u32_e32 v3, v2, v3
	v_lshrrev_b32_e32 v3, s38, v3
	s_delay_alu instid0(VALU_DEP_1) | instskip(SKIP_1) | instid1(VALU_DEP_2)
	v_mul_hi_u32 v4, s40, v3
	v_mul_lo_u32 v6, v3, s36
	v_add_nc_u32_e32 v4, v3, v4
	s_delay_alu instid0(VALU_DEP_2) | instskip(NEXT) | instid1(VALU_DEP_2)
	v_sub_nc_u32_e32 v2, v2, v6
	v_lshrrev_b32_e32 v4, s41, v4
	s_delay_alu instid0(VALU_DEP_2) | instskip(SKIP_1) | instid1(VALU_DEP_3)
	v_mul_lo_u32 v6, v2, s44
	v_mul_lo_u32 v8, v2, s45
	v_mul_hi_u32 v5, s43, v4
	s_delay_alu instid0(VALU_DEP_1) | instskip(NEXT) | instid1(VALU_DEP_1)
	v_add_nc_u32_e32 v5, v4, v5
	v_lshrrev_b32_e32 v5, s52, v5
	s_delay_alu instid0(VALU_DEP_1) | instskip(SKIP_1) | instid1(VALU_DEP_2)
	v_mul_hi_u32 v7, s54, v5
	v_mul_lo_u32 v9, v5, s42
	v_add_nc_u32_e32 v2, v5, v7
	v_mul_lo_u32 v7, v4, s39
	s_delay_alu instid0(VALU_DEP_3) | instskip(NEXT) | instid1(VALU_DEP_3)
	v_sub_nc_u32_e32 v4, v4, v9
	v_lshrrev_b32_e32 v2, s55, v2
	s_delay_alu instid0(VALU_DEP_2) | instskip(SKIP_2) | instid1(VALU_DEP_4)
	v_mul_lo_u32 v9, v4, s48
	v_mul_lo_u32 v4, v4, s49
	v_sub_nc_u32_e32 v3, v3, v7
	v_mul_lo_u32 v10, v2, s53
	s_delay_alu instid0(VALU_DEP_2) | instskip(SKIP_1) | instid1(VALU_DEP_3)
	v_mul_lo_u32 v7, v3, s46
	v_mul_lo_u32 v3, v3, s47
	v_sub_nc_u32_e32 v5, v5, v10
	s_delay_alu instid0(VALU_DEP_3) | instskip(NEXT) | instid1(VALU_DEP_2)
	v_add3_u32 v0, v6, v0, v7
	v_mul_lo_u32 v10, v5, s50
	v_mul_lo_u32 v5, v5, s51
	v_add3_u32 v1, v8, v1, v3
	s_delay_alu instid0(VALU_DEP_3) | instskip(NEXT) | instid1(VALU_DEP_2)
	v_add3_u32 v0, v9, v0, v10
	v_add3_u32 v1, v4, v1, v5
	s_cbranch_scc0 .LBB103_179
	s_branch .LBB103_197
.LBB103_180:
	s_mov_b32 s31, -1
                                        ; implicit-def: $vgpr0
                                        ; implicit-def: $vgpr1
	s_branch .LBB103_200
.LBB103_181:
	v_dual_mov_b32 v2, v12 :: v_dual_mov_b32 v1, 0
.LBB103_182:
	s_and_b32 s34, s34, 3
	s_delay_alu instid0(SALU_CYCLE_1)
	s_cmp_eq_u32 s34, 0
	s_cbranch_scc1 .LBB103_185
; %bb.183:
	s_lshl_b32 s18, s33, 3
	s_mul_i32 s20, s33, 12
	s_add_u32 s18, s18, s0
	s_addc_u32 s19, s1, 0
	s_add_u32 s18, s18, 0xc4
	s_addc_u32 s19, s19, 0
	;; [unrolled: 2-line block ×3, first 2 shown]
	.p2align	6
.LBB103_184:                            ; =>This Inner Loop Header: Depth=1
	s_clause 0x1
	s_load_b64 s[36:37], s[20:21], 0x4
	s_load_b32 s33, s[20:21], 0xc
	s_load_b64 s[38:39], s[18:19], 0x0
	s_add_u32 s20, s20, 12
	s_addc_u32 s21, s21, 0
	s_add_u32 s18, s18, 8
	s_addc_u32 s19, s19, 0
	s_add_i32 s34, s34, -1
	s_delay_alu instid0(SALU_CYCLE_1) | instskip(SKIP_2) | instid1(VALU_DEP_1)
	s_cmp_lg_u32 s34, 0
	s_waitcnt lgkmcnt(0)
	v_mul_hi_u32 v3, s37, v2
	v_add_nc_u32_e32 v3, v2, v3
	s_delay_alu instid0(VALU_DEP_1) | instskip(NEXT) | instid1(VALU_DEP_1)
	v_lshrrev_b32_e32 v6, s33, v3
	v_mul_lo_u32 v3, v6, s36
	s_delay_alu instid0(VALU_DEP_1) | instskip(NEXT) | instid1(VALU_DEP_1)
	v_sub_nc_u32_e32 v2, v2, v3
	v_mad_u64_u32 v[3:4], null, v2, s38, v[0:1]
	v_mad_u64_u32 v[4:5], null, v2, s39, v[1:2]
	v_mov_b32_e32 v2, v6
	s_delay_alu instid0(VALU_DEP_2)
	v_dual_mov_b32 v0, v3 :: v_dual_mov_b32 v1, v4
	s_cbranch_scc1 .LBB103_184
.LBB103_185:
	s_and_not1_b32 vcc_lo, exec_lo, s31
	s_cbranch_vccnz .LBB103_188
; %bb.186:
	s_waitcnt lgkmcnt(0)
	v_mul_hi_u32 v0, s13, v12
	s_and_not1_b32 vcc_lo, exec_lo, s26
	s_delay_alu instid0(VALU_DEP_1) | instskip(NEXT) | instid1(VALU_DEP_1)
	v_add_nc_u32_e32 v0, v12, v0
	v_lshrrev_b32_e32 v2, s14, v0
	s_delay_alu instid0(VALU_DEP_1) | instskip(NEXT) | instid1(VALU_DEP_1)
	v_mul_lo_u32 v0, v2, s12
	v_sub_nc_u32_e32 v1, v12, v0
	s_delay_alu instid0(VALU_DEP_1)
	v_mul_lo_u32 v0, v1, s8
	v_mul_lo_u32 v1, v1, s9
	s_cbranch_vccnz .LBB103_188
; %bb.187:
	v_mul_hi_u32 v3, s2, v2
	s_delay_alu instid0(VALU_DEP_1) | instskip(NEXT) | instid1(VALU_DEP_1)
	v_add_nc_u32_e32 v3, v2, v3
	v_lshrrev_b32_e32 v3, s3, v3
	s_delay_alu instid0(VALU_DEP_1) | instskip(NEXT) | instid1(VALU_DEP_1)
	v_mul_lo_u32 v3, v3, s15
	v_sub_nc_u32_e32 v5, v2, v3
	s_delay_alu instid0(VALU_DEP_1) | instskip(NEXT) | instid1(VALU_DEP_1)
	v_mad_u64_u32 v[2:3], null, v5, s10, v[0:1]
	v_mad_u64_u32 v[3:4], null, v5, s11, v[1:2]
	s_delay_alu instid0(VALU_DEP_1)
	v_dual_mov_b32 v0, v2 :: v_dual_mov_b32 v1, v3
.LBB103_188:
	s_waitcnt lgkmcnt(0)
	global_load_u16 v1, v1, s[6:7]
	v_add_nc_u32_e32 v12, 0x80, v12
	s_waitcnt vmcnt(0)
	v_lshlrev_b32_e32 v1, 16, v1
	s_delay_alu instid0(VALU_DEP_1) | instskip(NEXT) | instid1(VALU_DEP_1)
	v_mul_f32_e32 v2, 0x3fb8aa3b, v1
	v_fma_f32 v3, 0x3fb8aa3b, v1, -v2
	v_rndne_f32_e32 v4, v2
	s_delay_alu instid0(VALU_DEP_1) | instskip(SKIP_1) | instid1(VALU_DEP_4)
	v_sub_f32_e32 v2, v2, v4
	v_cmp_ngt_f32_e32 vcc_lo, 0xc2ce8ed0, v1
	v_fmamk_f32 v3, v1, 0x32a5705f, v3
	s_delay_alu instid0(VALU_DEP_1) | instskip(SKIP_1) | instid1(VALU_DEP_2)
	v_add_f32_e32 v2, v2, v3
	v_cvt_i32_f32_e32 v3, v4
	v_exp_f32_e32 v2, v2
	s_waitcnt_depctr 0xfff
	v_ldexp_f32 v2, v2, v3
	s_delay_alu instid0(VALU_DEP_1) | instskip(SKIP_1) | instid1(VALU_DEP_2)
	v_cndmask_b32_e32 v2, 0, v2, vcc_lo
	v_cmp_nlt_f32_e32 vcc_lo, 0x42b17218, v1
	v_cndmask_b32_e32 v1, 0x7f800000, v2, vcc_lo
	s_delay_alu instid0(VALU_DEP_1) | instskip(SKIP_1) | instid1(VALU_DEP_2)
	v_bfe_u32 v2, v1, 16, 1
	v_cmp_o_f32_e32 vcc_lo, v1, v1
	v_add3_u32 v2, v1, v2, 0x7fff
	s_delay_alu instid0(VALU_DEP_1) | instskip(NEXT) | instid1(VALU_DEP_1)
	v_lshrrev_b32_e32 v2, 16, v2
	v_cndmask_b32_e32 v1, 0x7fc0, v2, vcc_lo
	global_store_b16 v0, v1, s[4:5]
	s_or_b32 exec_lo, exec_lo, s30
	s_delay_alu instid0(SALU_CYCLE_1)
	s_mov_b32 s30, exec_lo
	v_cmpx_gt_i32_e64 s27, v12
	s_cbranch_execnz .LBB103_175
.LBB103_189:
	s_or_b32 exec_lo, exec_lo, s30
	s_delay_alu instid0(SALU_CYCLE_1)
	s_mov_b32 s30, exec_lo
	v_cmpx_gt_i32_e64 s27, v12
	s_cbranch_execz .LBB103_204
.LBB103_190:
	s_and_not1_b32 vcc_lo, exec_lo, s24
	s_cbranch_vccnz .LBB103_195
; %bb.191:
	v_dual_mov_b32 v0, 0 :: v_dual_mov_b32 v1, 0
	s_and_not1_b32 vcc_lo, exec_lo, s29
	s_mov_b32 s31, 0
	s_cbranch_vccnz .LBB103_211
; %bb.192:
	v_mov_b32_e32 v0, 0
	s_add_i32 s34, s28, 1
	s_cmp_eq_u32 s23, 2
	s_mov_b32 s33, 0
	s_cbranch_scc1 .LBB103_207
; %bb.193:
	v_dual_mov_b32 v1, 0 :: v_dual_mov_b32 v0, 0
	v_mov_b32_e32 v2, v12
	s_and_b32 s33, s34, 28
	s_mov_b32 s35, 0
	s_mov_b64 s[18:19], s[16:17]
	s_mov_b64 s[20:21], s[0:1]
.LBB103_194:                            ; =>This Inner Loop Header: Depth=1
	s_clause 0x1
	s_load_b256 s[36:43], s[20:21], 0x4
	s_load_b128 s[52:55], s[20:21], 0x24
	s_load_b256 s[44:51], s[18:19], 0x0
	s_add_u32 s20, s20, 48
	s_addc_u32 s21, s21, 0
	s_add_i32 s35, s35, 4
	s_add_u32 s18, s18, 32
	s_addc_u32 s19, s19, 0
	s_cmp_eq_u32 s33, s35
	s_waitcnt lgkmcnt(0)
	v_mul_hi_u32 v3, s37, v2
	s_delay_alu instid0(VALU_DEP_1) | instskip(NEXT) | instid1(VALU_DEP_1)
	v_add_nc_u32_e32 v3, v2, v3
	v_lshrrev_b32_e32 v3, s38, v3
	s_delay_alu instid0(VALU_DEP_1) | instskip(SKIP_1) | instid1(VALU_DEP_2)
	v_mul_hi_u32 v4, s40, v3
	v_mul_lo_u32 v6, v3, s36
	v_add_nc_u32_e32 v4, v3, v4
	s_delay_alu instid0(VALU_DEP_2) | instskip(NEXT) | instid1(VALU_DEP_2)
	v_sub_nc_u32_e32 v2, v2, v6
	v_lshrrev_b32_e32 v4, s41, v4
	s_delay_alu instid0(VALU_DEP_2) | instskip(SKIP_1) | instid1(VALU_DEP_3)
	v_mul_lo_u32 v6, v2, s44
	v_mul_lo_u32 v8, v2, s45
	v_mul_hi_u32 v5, s43, v4
	s_delay_alu instid0(VALU_DEP_1) | instskip(NEXT) | instid1(VALU_DEP_1)
	v_add_nc_u32_e32 v5, v4, v5
	v_lshrrev_b32_e32 v5, s52, v5
	s_delay_alu instid0(VALU_DEP_1) | instskip(SKIP_1) | instid1(VALU_DEP_2)
	v_mul_hi_u32 v7, s54, v5
	v_mul_lo_u32 v9, v5, s42
	v_add_nc_u32_e32 v2, v5, v7
	v_mul_lo_u32 v7, v4, s39
	s_delay_alu instid0(VALU_DEP_3) | instskip(NEXT) | instid1(VALU_DEP_3)
	v_sub_nc_u32_e32 v4, v4, v9
	v_lshrrev_b32_e32 v2, s55, v2
	s_delay_alu instid0(VALU_DEP_2) | instskip(SKIP_2) | instid1(VALU_DEP_4)
	v_mul_lo_u32 v9, v4, s48
	v_mul_lo_u32 v4, v4, s49
	v_sub_nc_u32_e32 v3, v3, v7
	v_mul_lo_u32 v10, v2, s53
	s_delay_alu instid0(VALU_DEP_2) | instskip(SKIP_1) | instid1(VALU_DEP_3)
	v_mul_lo_u32 v7, v3, s46
	v_mul_lo_u32 v3, v3, s47
	v_sub_nc_u32_e32 v5, v5, v10
	s_delay_alu instid0(VALU_DEP_3) | instskip(NEXT) | instid1(VALU_DEP_2)
	v_add3_u32 v0, v6, v0, v7
	v_mul_lo_u32 v10, v5, s50
	v_mul_lo_u32 v5, v5, s51
	v_add3_u32 v1, v8, v1, v3
	s_delay_alu instid0(VALU_DEP_3) | instskip(NEXT) | instid1(VALU_DEP_2)
	v_add3_u32 v0, v9, v0, v10
	v_add3_u32 v1, v4, v1, v5
	s_cbranch_scc0 .LBB103_194
	s_branch .LBB103_208
.LBB103_195:
	s_mov_b32 s31, -1
                                        ; implicit-def: $vgpr0
                                        ; implicit-def: $vgpr1
	s_branch .LBB103_211
.LBB103_196:
	v_dual_mov_b32 v2, v12 :: v_dual_mov_b32 v1, 0
.LBB103_197:
	s_and_b32 s34, s34, 3
	s_delay_alu instid0(SALU_CYCLE_1)
	s_cmp_eq_u32 s34, 0
	s_cbranch_scc1 .LBB103_200
; %bb.198:
	s_lshl_b32 s18, s33, 3
	s_mul_i32 s20, s33, 12
	s_add_u32 s18, s18, s0
	s_addc_u32 s19, s1, 0
	s_add_u32 s18, s18, 0xc4
	s_addc_u32 s19, s19, 0
	;; [unrolled: 2-line block ×3, first 2 shown]
	.p2align	6
.LBB103_199:                            ; =>This Inner Loop Header: Depth=1
	s_clause 0x1
	s_load_b64 s[36:37], s[20:21], 0x4
	s_load_b32 s33, s[20:21], 0xc
	s_load_b64 s[38:39], s[18:19], 0x0
	s_add_u32 s20, s20, 12
	s_addc_u32 s21, s21, 0
	s_add_u32 s18, s18, 8
	s_addc_u32 s19, s19, 0
	s_add_i32 s34, s34, -1
	s_delay_alu instid0(SALU_CYCLE_1) | instskip(SKIP_2) | instid1(VALU_DEP_1)
	s_cmp_lg_u32 s34, 0
	s_waitcnt lgkmcnt(0)
	v_mul_hi_u32 v3, s37, v2
	v_add_nc_u32_e32 v3, v2, v3
	s_delay_alu instid0(VALU_DEP_1) | instskip(NEXT) | instid1(VALU_DEP_1)
	v_lshrrev_b32_e32 v6, s33, v3
	v_mul_lo_u32 v3, v6, s36
	s_delay_alu instid0(VALU_DEP_1) | instskip(NEXT) | instid1(VALU_DEP_1)
	v_sub_nc_u32_e32 v2, v2, v3
	v_mad_u64_u32 v[3:4], null, v2, s38, v[0:1]
	v_mad_u64_u32 v[4:5], null, v2, s39, v[1:2]
	v_mov_b32_e32 v2, v6
	s_delay_alu instid0(VALU_DEP_2)
	v_dual_mov_b32 v0, v3 :: v_dual_mov_b32 v1, v4
	s_cbranch_scc1 .LBB103_199
.LBB103_200:
	s_and_not1_b32 vcc_lo, exec_lo, s31
	s_cbranch_vccnz .LBB103_203
; %bb.201:
	s_waitcnt lgkmcnt(0)
	v_mul_hi_u32 v0, s13, v12
	s_and_not1_b32 vcc_lo, exec_lo, s26
	s_delay_alu instid0(VALU_DEP_1) | instskip(NEXT) | instid1(VALU_DEP_1)
	v_add_nc_u32_e32 v0, v12, v0
	v_lshrrev_b32_e32 v2, s14, v0
	s_delay_alu instid0(VALU_DEP_1) | instskip(NEXT) | instid1(VALU_DEP_1)
	v_mul_lo_u32 v0, v2, s12
	v_sub_nc_u32_e32 v1, v12, v0
	s_delay_alu instid0(VALU_DEP_1)
	v_mul_lo_u32 v0, v1, s8
	v_mul_lo_u32 v1, v1, s9
	s_cbranch_vccnz .LBB103_203
; %bb.202:
	v_mul_hi_u32 v3, s2, v2
	s_delay_alu instid0(VALU_DEP_1) | instskip(NEXT) | instid1(VALU_DEP_1)
	v_add_nc_u32_e32 v3, v2, v3
	v_lshrrev_b32_e32 v3, s3, v3
	s_delay_alu instid0(VALU_DEP_1) | instskip(NEXT) | instid1(VALU_DEP_1)
	v_mul_lo_u32 v3, v3, s15
	v_sub_nc_u32_e32 v5, v2, v3
	s_delay_alu instid0(VALU_DEP_1) | instskip(NEXT) | instid1(VALU_DEP_1)
	v_mad_u64_u32 v[2:3], null, v5, s10, v[0:1]
	v_mad_u64_u32 v[3:4], null, v5, s11, v[1:2]
	s_delay_alu instid0(VALU_DEP_1)
	v_dual_mov_b32 v0, v2 :: v_dual_mov_b32 v1, v3
.LBB103_203:
	s_waitcnt lgkmcnt(0)
	global_load_u16 v1, v1, s[6:7]
	v_add_nc_u32_e32 v12, 0x80, v12
	s_waitcnt vmcnt(0)
	v_lshlrev_b32_e32 v1, 16, v1
	s_delay_alu instid0(VALU_DEP_1) | instskip(NEXT) | instid1(VALU_DEP_1)
	v_mul_f32_e32 v2, 0x3fb8aa3b, v1
	v_fma_f32 v3, 0x3fb8aa3b, v1, -v2
	v_rndne_f32_e32 v4, v2
	s_delay_alu instid0(VALU_DEP_1) | instskip(SKIP_1) | instid1(VALU_DEP_4)
	v_sub_f32_e32 v2, v2, v4
	v_cmp_ngt_f32_e32 vcc_lo, 0xc2ce8ed0, v1
	v_fmamk_f32 v3, v1, 0x32a5705f, v3
	s_delay_alu instid0(VALU_DEP_1) | instskip(SKIP_1) | instid1(VALU_DEP_2)
	v_add_f32_e32 v2, v2, v3
	v_cvt_i32_f32_e32 v3, v4
	v_exp_f32_e32 v2, v2
	s_waitcnt_depctr 0xfff
	v_ldexp_f32 v2, v2, v3
	s_delay_alu instid0(VALU_DEP_1) | instskip(SKIP_1) | instid1(VALU_DEP_2)
	v_cndmask_b32_e32 v2, 0, v2, vcc_lo
	v_cmp_nlt_f32_e32 vcc_lo, 0x42b17218, v1
	v_cndmask_b32_e32 v1, 0x7f800000, v2, vcc_lo
	s_delay_alu instid0(VALU_DEP_1) | instskip(SKIP_1) | instid1(VALU_DEP_2)
	v_bfe_u32 v2, v1, 16, 1
	v_cmp_o_f32_e32 vcc_lo, v1, v1
	v_add3_u32 v2, v1, v2, 0x7fff
	s_delay_alu instid0(VALU_DEP_1) | instskip(NEXT) | instid1(VALU_DEP_1)
	v_lshrrev_b32_e32 v2, 16, v2
	v_cndmask_b32_e32 v1, 0x7fc0, v2, vcc_lo
	global_store_b16 v0, v1, s[4:5]
	s_or_b32 exec_lo, exec_lo, s30
	s_delay_alu instid0(SALU_CYCLE_1)
	s_mov_b32 s30, exec_lo
	v_cmpx_gt_i32_e64 s27, v12
	s_cbranch_execnz .LBB103_190
.LBB103_204:
	s_or_b32 exec_lo, exec_lo, s30
	s_delay_alu instid0(SALU_CYCLE_1)
	s_mov_b32 s20, exec_lo
	v_cmpx_gt_i32_e64 s27, v12
	s_cbranch_execnz .LBB103_215
.LBB103_205:
	s_or_b32 exec_lo, exec_lo, s20
                                        ; implicit-def: $vgpr16
                                        ; implicit-def: $vgpr12
	s_waitcnt lgkmcnt(0)
	s_and_not1_saveexec_b32 s2, s25
	s_cbranch_execnz .LBB103_8
.LBB103_206:
	s_nop 0
	s_sendmsg sendmsg(MSG_DEALLOC_VGPRS)
	s_endpgm
.LBB103_207:
	v_dual_mov_b32 v2, v12 :: v_dual_mov_b32 v1, 0
.LBB103_208:
	s_and_b32 s34, s34, 3
	s_delay_alu instid0(SALU_CYCLE_1)
	s_cmp_eq_u32 s34, 0
	s_cbranch_scc1 .LBB103_211
; %bb.209:
	s_lshl_b32 s18, s33, 3
	s_mul_i32 s20, s33, 12
	s_add_u32 s18, s18, s0
	s_addc_u32 s19, s1, 0
	s_add_u32 s18, s18, 0xc4
	s_addc_u32 s19, s19, 0
	;; [unrolled: 2-line block ×3, first 2 shown]
	.p2align	6
.LBB103_210:                            ; =>This Inner Loop Header: Depth=1
	s_clause 0x1
	s_load_b64 s[36:37], s[20:21], 0x4
	s_load_b32 s33, s[20:21], 0xc
	s_load_b64 s[38:39], s[18:19], 0x0
	s_add_u32 s20, s20, 12
	s_addc_u32 s21, s21, 0
	s_add_u32 s18, s18, 8
	s_addc_u32 s19, s19, 0
	s_add_i32 s34, s34, -1
	s_delay_alu instid0(SALU_CYCLE_1) | instskip(SKIP_2) | instid1(VALU_DEP_1)
	s_cmp_lg_u32 s34, 0
	s_waitcnt lgkmcnt(0)
	v_mul_hi_u32 v3, s37, v2
	v_add_nc_u32_e32 v3, v2, v3
	s_delay_alu instid0(VALU_DEP_1) | instskip(NEXT) | instid1(VALU_DEP_1)
	v_lshrrev_b32_e32 v6, s33, v3
	v_mul_lo_u32 v3, v6, s36
	s_delay_alu instid0(VALU_DEP_1) | instskip(NEXT) | instid1(VALU_DEP_1)
	v_sub_nc_u32_e32 v2, v2, v3
	v_mad_u64_u32 v[3:4], null, v2, s38, v[0:1]
	v_mad_u64_u32 v[4:5], null, v2, s39, v[1:2]
	v_mov_b32_e32 v2, v6
	s_delay_alu instid0(VALU_DEP_2)
	v_dual_mov_b32 v0, v3 :: v_dual_mov_b32 v1, v4
	s_cbranch_scc1 .LBB103_210
.LBB103_211:
	s_and_not1_b32 vcc_lo, exec_lo, s31
	s_cbranch_vccnz .LBB103_214
; %bb.212:
	s_waitcnt lgkmcnt(0)
	v_mul_hi_u32 v0, s13, v12
	s_and_not1_b32 vcc_lo, exec_lo, s26
	s_delay_alu instid0(VALU_DEP_1) | instskip(NEXT) | instid1(VALU_DEP_1)
	v_add_nc_u32_e32 v0, v12, v0
	v_lshrrev_b32_e32 v2, s14, v0
	s_delay_alu instid0(VALU_DEP_1) | instskip(NEXT) | instid1(VALU_DEP_1)
	v_mul_lo_u32 v0, v2, s12
	v_sub_nc_u32_e32 v1, v12, v0
	s_delay_alu instid0(VALU_DEP_1)
	v_mul_lo_u32 v0, v1, s8
	v_mul_lo_u32 v1, v1, s9
	s_cbranch_vccnz .LBB103_214
; %bb.213:
	v_mul_hi_u32 v3, s2, v2
	s_delay_alu instid0(VALU_DEP_1) | instskip(NEXT) | instid1(VALU_DEP_1)
	v_add_nc_u32_e32 v3, v2, v3
	v_lshrrev_b32_e32 v3, s3, v3
	s_delay_alu instid0(VALU_DEP_1) | instskip(NEXT) | instid1(VALU_DEP_1)
	v_mul_lo_u32 v3, v3, s15
	v_sub_nc_u32_e32 v5, v2, v3
	s_delay_alu instid0(VALU_DEP_1) | instskip(NEXT) | instid1(VALU_DEP_1)
	v_mad_u64_u32 v[2:3], null, v5, s10, v[0:1]
	v_mad_u64_u32 v[3:4], null, v5, s11, v[1:2]
	s_delay_alu instid0(VALU_DEP_1)
	v_dual_mov_b32 v0, v2 :: v_dual_mov_b32 v1, v3
.LBB103_214:
	s_waitcnt lgkmcnt(0)
	global_load_u16 v1, v1, s[6:7]
	v_add_nc_u32_e32 v12, 0x80, v12
	s_waitcnt vmcnt(0)
	v_lshlrev_b32_e32 v1, 16, v1
	s_delay_alu instid0(VALU_DEP_1) | instskip(NEXT) | instid1(VALU_DEP_1)
	v_mul_f32_e32 v2, 0x3fb8aa3b, v1
	v_fma_f32 v3, 0x3fb8aa3b, v1, -v2
	v_rndne_f32_e32 v4, v2
	s_delay_alu instid0(VALU_DEP_1) | instskip(SKIP_1) | instid1(VALU_DEP_4)
	v_sub_f32_e32 v2, v2, v4
	v_cmp_ngt_f32_e32 vcc_lo, 0xc2ce8ed0, v1
	v_fmamk_f32 v3, v1, 0x32a5705f, v3
	s_delay_alu instid0(VALU_DEP_1) | instskip(SKIP_1) | instid1(VALU_DEP_2)
	v_add_f32_e32 v2, v2, v3
	v_cvt_i32_f32_e32 v3, v4
	v_exp_f32_e32 v2, v2
	s_waitcnt_depctr 0xfff
	v_ldexp_f32 v2, v2, v3
	s_delay_alu instid0(VALU_DEP_1) | instskip(SKIP_1) | instid1(VALU_DEP_2)
	v_cndmask_b32_e32 v2, 0, v2, vcc_lo
	v_cmp_nlt_f32_e32 vcc_lo, 0x42b17218, v1
	v_cndmask_b32_e32 v1, 0x7f800000, v2, vcc_lo
	s_delay_alu instid0(VALU_DEP_1) | instskip(SKIP_1) | instid1(VALU_DEP_2)
	v_bfe_u32 v2, v1, 16, 1
	v_cmp_o_f32_e32 vcc_lo, v1, v1
	v_add3_u32 v2, v1, v2, 0x7fff
	s_delay_alu instid0(VALU_DEP_1) | instskip(NEXT) | instid1(VALU_DEP_1)
	v_lshrrev_b32_e32 v2, 16, v2
	v_cndmask_b32_e32 v1, 0x7fc0, v2, vcc_lo
	global_store_b16 v0, v1, s[4:5]
	s_or_b32 exec_lo, exec_lo, s30
	s_delay_alu instid0(SALU_CYCLE_1)
	s_mov_b32 s20, exec_lo
	v_cmpx_gt_i32_e64 s27, v12
	s_cbranch_execz .LBB103_205
.LBB103_215:
	s_and_not1_b32 vcc_lo, exec_lo, s24
	s_cbranch_vccnz .LBB103_220
; %bb.216:
	v_dual_mov_b32 v0, 0 :: v_dual_mov_b32 v1, 0
	s_and_not1_b32 vcc_lo, exec_lo, s29
	s_mov_b32 s21, 0
	s_cbranch_vccnz .LBB103_225
; %bb.217:
	v_mov_b32_e32 v0, 0
	s_add_i32 s28, s28, 1
	s_cmp_eq_u32 s23, 2
	s_mov_b32 s27, 0
	s_cbranch_scc1 .LBB103_221
; %bb.218:
	v_dual_mov_b32 v1, 0 :: v_dual_mov_b32 v0, 0
	v_mov_b32_e32 v2, v12
	s_and_b32 s27, s28, 28
	s_mov_b32 s29, 0
	s_mov_b64 s[18:19], s[0:1]
.LBB103_219:                            ; =>This Inner Loop Header: Depth=1
	s_clause 0x1
	s_load_b256 s[36:43], s[18:19], 0x4
	s_load_b128 s[52:55], s[18:19], 0x24
	s_load_b256 s[44:51], s[16:17], 0x0
	s_add_u32 s18, s18, 48
	s_addc_u32 s19, s19, 0
	s_add_i32 s29, s29, 4
	s_add_u32 s16, s16, 32
	s_addc_u32 s17, s17, 0
	s_cmp_eq_u32 s27, s29
	s_waitcnt lgkmcnt(0)
	v_mul_hi_u32 v3, s37, v2
	s_delay_alu instid0(VALU_DEP_1) | instskip(NEXT) | instid1(VALU_DEP_1)
	v_add_nc_u32_e32 v3, v2, v3
	v_lshrrev_b32_e32 v3, s38, v3
	s_delay_alu instid0(VALU_DEP_1) | instskip(SKIP_1) | instid1(VALU_DEP_2)
	v_mul_hi_u32 v4, s40, v3
	v_mul_lo_u32 v6, v3, s36
	v_add_nc_u32_e32 v4, v3, v4
	s_delay_alu instid0(VALU_DEP_2) | instskip(NEXT) | instid1(VALU_DEP_2)
	v_sub_nc_u32_e32 v2, v2, v6
	v_lshrrev_b32_e32 v4, s41, v4
	s_delay_alu instid0(VALU_DEP_2) | instskip(SKIP_1) | instid1(VALU_DEP_3)
	v_mul_lo_u32 v6, v2, s44
	v_mul_lo_u32 v8, v2, s45
	v_mul_hi_u32 v5, s43, v4
	s_delay_alu instid0(VALU_DEP_1) | instskip(NEXT) | instid1(VALU_DEP_1)
	v_add_nc_u32_e32 v5, v4, v5
	v_lshrrev_b32_e32 v5, s52, v5
	s_delay_alu instid0(VALU_DEP_1) | instskip(SKIP_1) | instid1(VALU_DEP_2)
	v_mul_hi_u32 v7, s54, v5
	v_mul_lo_u32 v9, v5, s42
	v_add_nc_u32_e32 v2, v5, v7
	v_mul_lo_u32 v7, v4, s39
	s_delay_alu instid0(VALU_DEP_3) | instskip(NEXT) | instid1(VALU_DEP_3)
	v_sub_nc_u32_e32 v4, v4, v9
	v_lshrrev_b32_e32 v2, s55, v2
	s_delay_alu instid0(VALU_DEP_2) | instskip(SKIP_2) | instid1(VALU_DEP_4)
	v_mul_lo_u32 v9, v4, s48
	v_mul_lo_u32 v4, v4, s49
	v_sub_nc_u32_e32 v3, v3, v7
	v_mul_lo_u32 v10, v2, s53
	s_delay_alu instid0(VALU_DEP_2) | instskip(SKIP_1) | instid1(VALU_DEP_3)
	v_mul_lo_u32 v7, v3, s46
	v_mul_lo_u32 v3, v3, s47
	v_sub_nc_u32_e32 v5, v5, v10
	s_delay_alu instid0(VALU_DEP_3) | instskip(NEXT) | instid1(VALU_DEP_2)
	v_add3_u32 v0, v6, v0, v7
	v_mul_lo_u32 v10, v5, s50
	v_mul_lo_u32 v5, v5, s51
	v_add3_u32 v1, v8, v1, v3
	s_delay_alu instid0(VALU_DEP_3) | instskip(NEXT) | instid1(VALU_DEP_2)
	v_add3_u32 v0, v9, v0, v10
	v_add3_u32 v1, v4, v1, v5
	s_cbranch_scc0 .LBB103_219
	s_branch .LBB103_222
.LBB103_220:
	s_mov_b32 s21, -1
                                        ; implicit-def: $vgpr0
                                        ; implicit-def: $vgpr1
	s_branch .LBB103_225
.LBB103_221:
	v_dual_mov_b32 v2, v12 :: v_dual_mov_b32 v1, 0
.LBB103_222:
	s_and_b32 s28, s28, 3
	s_delay_alu instid0(SALU_CYCLE_1)
	s_cmp_eq_u32 s28, 0
	s_cbranch_scc1 .LBB103_225
; %bb.223:
	s_lshl_b32 s16, s27, 3
	s_mul_i32 s18, s27, 12
	s_add_u32 s16, s16, s0
	s_addc_u32 s17, s1, 0
	s_add_u32 s16, s16, 0xc4
	s_addc_u32 s17, s17, 0
	;; [unrolled: 2-line block ×3, first 2 shown]
	.p2align	6
.LBB103_224:                            ; =>This Inner Loop Header: Depth=1
	s_clause 0x1
	s_load_b64 s[30:31], s[18:19], 0x4
	s_load_b32 s27, s[18:19], 0xc
	s_load_b64 s[34:35], s[16:17], 0x0
	s_add_u32 s18, s18, 12
	s_addc_u32 s19, s19, 0
	s_add_u32 s16, s16, 8
	s_addc_u32 s17, s17, 0
	s_add_i32 s28, s28, -1
	s_delay_alu instid0(SALU_CYCLE_1) | instskip(SKIP_2) | instid1(VALU_DEP_1)
	s_cmp_lg_u32 s28, 0
	s_waitcnt lgkmcnt(0)
	v_mul_hi_u32 v3, s31, v2
	v_add_nc_u32_e32 v3, v2, v3
	s_delay_alu instid0(VALU_DEP_1) | instskip(NEXT) | instid1(VALU_DEP_1)
	v_lshrrev_b32_e32 v6, s27, v3
	v_mul_lo_u32 v3, v6, s30
	s_delay_alu instid0(VALU_DEP_1) | instskip(NEXT) | instid1(VALU_DEP_1)
	v_sub_nc_u32_e32 v2, v2, v3
	v_mad_u64_u32 v[3:4], null, v2, s34, v[0:1]
	v_mad_u64_u32 v[4:5], null, v2, s35, v[1:2]
	v_mov_b32_e32 v2, v6
	s_delay_alu instid0(VALU_DEP_2)
	v_dual_mov_b32 v0, v3 :: v_dual_mov_b32 v1, v4
	s_cbranch_scc1 .LBB103_224
.LBB103_225:
	s_and_not1_b32 vcc_lo, exec_lo, s21
	s_cbranch_vccnz .LBB103_228
; %bb.226:
	s_waitcnt lgkmcnt(0)
	v_mul_hi_u32 v0, s13, v12
	s_and_not1_b32 vcc_lo, exec_lo, s26
	s_delay_alu instid0(VALU_DEP_1) | instskip(NEXT) | instid1(VALU_DEP_1)
	v_add_nc_u32_e32 v0, v12, v0
	v_lshrrev_b32_e32 v2, s14, v0
	s_delay_alu instid0(VALU_DEP_1) | instskip(NEXT) | instid1(VALU_DEP_1)
	v_mul_lo_u32 v0, v2, s12
	v_sub_nc_u32_e32 v1, v12, v0
	s_delay_alu instid0(VALU_DEP_1)
	v_mul_lo_u32 v0, v1, s8
	v_mul_lo_u32 v1, v1, s9
	s_cbranch_vccnz .LBB103_228
; %bb.227:
	v_mul_hi_u32 v3, s2, v2
	s_delay_alu instid0(VALU_DEP_1) | instskip(NEXT) | instid1(VALU_DEP_1)
	v_add_nc_u32_e32 v3, v2, v3
	v_lshrrev_b32_e32 v3, s3, v3
	s_delay_alu instid0(VALU_DEP_1) | instskip(NEXT) | instid1(VALU_DEP_1)
	v_mul_lo_u32 v3, v3, s15
	v_sub_nc_u32_e32 v5, v2, v3
	s_delay_alu instid0(VALU_DEP_1) | instskip(NEXT) | instid1(VALU_DEP_1)
	v_mad_u64_u32 v[2:3], null, v5, s10, v[0:1]
	v_mad_u64_u32 v[3:4], null, v5, s11, v[1:2]
	s_delay_alu instid0(VALU_DEP_1)
	v_dual_mov_b32 v0, v2 :: v_dual_mov_b32 v1, v3
.LBB103_228:
	s_waitcnt lgkmcnt(0)
	global_load_u16 v1, v1, s[6:7]
	s_waitcnt vmcnt(0)
	v_lshlrev_b32_e32 v1, 16, v1
	s_delay_alu instid0(VALU_DEP_1) | instskip(NEXT) | instid1(VALU_DEP_1)
	v_mul_f32_e32 v2, 0x3fb8aa3b, v1
	v_fma_f32 v3, 0x3fb8aa3b, v1, -v2
	v_rndne_f32_e32 v4, v2
	s_delay_alu instid0(VALU_DEP_1) | instskip(SKIP_1) | instid1(VALU_DEP_4)
	v_sub_f32_e32 v2, v2, v4
	v_cmp_ngt_f32_e32 vcc_lo, 0xc2ce8ed0, v1
	v_fmamk_f32 v3, v1, 0x32a5705f, v3
	s_delay_alu instid0(VALU_DEP_1) | instskip(SKIP_1) | instid1(VALU_DEP_2)
	v_add_f32_e32 v2, v2, v3
	v_cvt_i32_f32_e32 v3, v4
	v_exp_f32_e32 v2, v2
	s_waitcnt_depctr 0xfff
	v_ldexp_f32 v2, v2, v3
	s_delay_alu instid0(VALU_DEP_1) | instskip(SKIP_1) | instid1(VALU_DEP_2)
	v_cndmask_b32_e32 v2, 0, v2, vcc_lo
	v_cmp_nlt_f32_e32 vcc_lo, 0x42b17218, v1
	v_cndmask_b32_e32 v1, 0x7f800000, v2, vcc_lo
	s_delay_alu instid0(VALU_DEP_1) | instskip(SKIP_1) | instid1(VALU_DEP_2)
	v_bfe_u32 v2, v1, 16, 1
	v_cmp_o_f32_e32 vcc_lo, v1, v1
	v_add3_u32 v2, v1, v2, 0x7fff
	s_delay_alu instid0(VALU_DEP_1) | instskip(NEXT) | instid1(VALU_DEP_1)
	v_lshrrev_b32_e32 v2, 16, v2
	v_cndmask_b32_e32 v1, 0x7fc0, v2, vcc_lo
	global_store_b16 v0, v1, s[4:5]
	s_or_b32 exec_lo, exec_lo, s20
                                        ; implicit-def: $vgpr16
                                        ; implicit-def: $vgpr12
	s_and_not1_saveexec_b32 s2, s25
	s_cbranch_execz .LBB103_206
	s_branch .LBB103_8
	.section	.rodata,"a",@progbits
	.p2align	6, 0x0
	.amdhsa_kernel _ZN2at6native32elementwise_kernel_manual_unrollILi128ELi8EZNS0_22gpu_kernel_impl_nocastIZZZNS0_15exp_kernel_cudaERNS_18TensorIteratorBaseEENKUlvE0_clEvENKUlvE2_clEvEUlN3c108BFloat16EE_EEvS4_RKT_EUlibE_EEviT1_
		.amdhsa_group_segment_fixed_size 0
		.amdhsa_private_segment_fixed_size 0
		.amdhsa_kernarg_size 360
		.amdhsa_user_sgpr_count 15
		.amdhsa_user_sgpr_dispatch_ptr 0
		.amdhsa_user_sgpr_queue_ptr 0
		.amdhsa_user_sgpr_kernarg_segment_ptr 1
		.amdhsa_user_sgpr_dispatch_id 0
		.amdhsa_user_sgpr_private_segment_size 0
		.amdhsa_wavefront_size32 1
		.amdhsa_uses_dynamic_stack 0
		.amdhsa_enable_private_segment 0
		.amdhsa_system_sgpr_workgroup_id_x 1
		.amdhsa_system_sgpr_workgroup_id_y 0
		.amdhsa_system_sgpr_workgroup_id_z 0
		.amdhsa_system_sgpr_workgroup_info 0
		.amdhsa_system_vgpr_workitem_id 0
		.amdhsa_next_free_vgpr 40
		.amdhsa_next_free_sgpr 56
		.amdhsa_reserve_vcc 1
		.amdhsa_float_round_mode_32 0
		.amdhsa_float_round_mode_16_64 0
		.amdhsa_float_denorm_mode_32 3
		.amdhsa_float_denorm_mode_16_64 3
		.amdhsa_dx10_clamp 1
		.amdhsa_ieee_mode 1
		.amdhsa_fp16_overflow 0
		.amdhsa_workgroup_processor_mode 1
		.amdhsa_memory_ordered 1
		.amdhsa_forward_progress 0
		.amdhsa_shared_vgpr_count 0
		.amdhsa_exception_fp_ieee_invalid_op 0
		.amdhsa_exception_fp_denorm_src 0
		.amdhsa_exception_fp_ieee_div_zero 0
		.amdhsa_exception_fp_ieee_overflow 0
		.amdhsa_exception_fp_ieee_underflow 0
		.amdhsa_exception_fp_ieee_inexact 0
		.amdhsa_exception_int_div_zero 0
	.end_amdhsa_kernel
	.section	.text._ZN2at6native32elementwise_kernel_manual_unrollILi128ELi8EZNS0_22gpu_kernel_impl_nocastIZZZNS0_15exp_kernel_cudaERNS_18TensorIteratorBaseEENKUlvE0_clEvENKUlvE2_clEvEUlN3c108BFloat16EE_EEvS4_RKT_EUlibE_EEviT1_,"axG",@progbits,_ZN2at6native32elementwise_kernel_manual_unrollILi128ELi8EZNS0_22gpu_kernel_impl_nocastIZZZNS0_15exp_kernel_cudaERNS_18TensorIteratorBaseEENKUlvE0_clEvENKUlvE2_clEvEUlN3c108BFloat16EE_EEvS4_RKT_EUlibE_EEviT1_,comdat
.Lfunc_end103:
	.size	_ZN2at6native32elementwise_kernel_manual_unrollILi128ELi8EZNS0_22gpu_kernel_impl_nocastIZZZNS0_15exp_kernel_cudaERNS_18TensorIteratorBaseEENKUlvE0_clEvENKUlvE2_clEvEUlN3c108BFloat16EE_EEvS4_RKT_EUlibE_EEviT1_, .Lfunc_end103-_ZN2at6native32elementwise_kernel_manual_unrollILi128ELi8EZNS0_22gpu_kernel_impl_nocastIZZZNS0_15exp_kernel_cudaERNS_18TensorIteratorBaseEENKUlvE0_clEvENKUlvE2_clEvEUlN3c108BFloat16EE_EEvS4_RKT_EUlibE_EEviT1_
                                        ; -- End function
	.section	.AMDGPU.csdata,"",@progbits
; Kernel info:
; codeLenInByte = 15680
; NumSgprs: 58
; NumVgprs: 40
; ScratchSize: 0
; MemoryBound: 0
; FloatMode: 240
; IeeeMode: 1
; LDSByteSize: 0 bytes/workgroup (compile time only)
; SGPRBlocks: 7
; VGPRBlocks: 4
; NumSGPRsForWavesPerEU: 58
; NumVGPRsForWavesPerEU: 40
; Occupancy: 16
; WaveLimiterHint : 1
; COMPUTE_PGM_RSRC2:SCRATCH_EN: 0
; COMPUTE_PGM_RSRC2:USER_SGPR: 15
; COMPUTE_PGM_RSRC2:TRAP_HANDLER: 0
; COMPUTE_PGM_RSRC2:TGID_X_EN: 1
; COMPUTE_PGM_RSRC2:TGID_Y_EN: 0
; COMPUTE_PGM_RSRC2:TGID_Z_EN: 0
; COMPUTE_PGM_RSRC2:TIDIG_COMP_CNT: 0
	.section	.text._ZN2at6native32elementwise_kernel_manual_unrollILi128ELi4EZNS0_15gpu_kernel_implIZZZNS0_15exp_kernel_cudaERNS_18TensorIteratorBaseEENKUlvE0_clEvENKUlvE2_clEvEUlN3c108BFloat16EE_EEvS4_RKT_EUlibE_EEviT1_,"axG",@progbits,_ZN2at6native32elementwise_kernel_manual_unrollILi128ELi4EZNS0_15gpu_kernel_implIZZZNS0_15exp_kernel_cudaERNS_18TensorIteratorBaseEENKUlvE0_clEvENKUlvE2_clEvEUlN3c108BFloat16EE_EEvS4_RKT_EUlibE_EEviT1_,comdat
	.globl	_ZN2at6native32elementwise_kernel_manual_unrollILi128ELi4EZNS0_15gpu_kernel_implIZZZNS0_15exp_kernel_cudaERNS_18TensorIteratorBaseEENKUlvE0_clEvENKUlvE2_clEvEUlN3c108BFloat16EE_EEvS4_RKT_EUlibE_EEviT1_ ; -- Begin function _ZN2at6native32elementwise_kernel_manual_unrollILi128ELi4EZNS0_15gpu_kernel_implIZZZNS0_15exp_kernel_cudaERNS_18TensorIteratorBaseEENKUlvE0_clEvENKUlvE2_clEvEUlN3c108BFloat16EE_EEvS4_RKT_EUlibE_EEviT1_
	.p2align	8
	.type	_ZN2at6native32elementwise_kernel_manual_unrollILi128ELi4EZNS0_15gpu_kernel_implIZZZNS0_15exp_kernel_cudaERNS_18TensorIteratorBaseEENKUlvE0_clEvENKUlvE2_clEvEUlN3c108BFloat16EE_EEvS4_RKT_EUlibE_EEviT1_,@function
_ZN2at6native32elementwise_kernel_manual_unrollILi128ELi4EZNS0_15gpu_kernel_implIZZZNS0_15exp_kernel_cudaERNS_18TensorIteratorBaseEENKUlvE0_clEvENKUlvE2_clEvEUlN3c108BFloat16EE_EEvS4_RKT_EUlibE_EEviT1_: ; @_ZN2at6native32elementwise_kernel_manual_unrollILi128ELi4EZNS0_15gpu_kernel_implIZZZNS0_15exp_kernel_cudaERNS_18TensorIteratorBaseEENKUlvE0_clEvENKUlvE2_clEvEUlN3c108BFloat16EE_EEvS4_RKT_EUlibE_EEviT1_
; %bb.0:
	v_mov_b32_e32 v1, 0
	s_clause 0x2
	s_load_b32 s10, s[0:1], 0x0
	s_load_b64 s[2:3], s[0:1], 0x18
	s_load_b128 s[4:7], s[0:1], 0x8
	v_lshl_or_b32 v3, s15, 9, v0
	s_mov_b32 s9, 0
	global_load_u16 v2, v1, s[0:1] offset:33
	s_mov_b32 s1, 0
	v_or_b32_e32 v0, 0x180, v3
	s_mov_b32 s0, exec_lo
	s_waitcnt vmcnt(0)
	v_lshrrev_b16 v4, 8, v2
	s_waitcnt lgkmcnt(0)
	v_cmpx_le_i32_e64 s10, v0
	s_xor_b32 s8, exec_lo, s0
	s_cbranch_execz .LBB104_1024
; %bb.1:
	s_mov_b32 s15, -1
	s_mov_b32 s13, 0
	s_mov_b32 s11, 0
	s_mov_b32 s12, exec_lo
	v_cmpx_gt_i32_e64 s10, v3
	s_cbranch_execz .LBB104_250
; %bb.2:
	v_mul_lo_u32 v0, v3, s3
	v_cmp_gt_i16_e32 vcc_lo, 11, v4
	s_delay_alu instid0(VALU_DEP_2) | instskip(SKIP_1) | instid1(VALU_DEP_1)
	v_ashrrev_i32_e32 v1, 31, v0
	v_add_co_u32 v0, s0, s6, v0
	v_add_co_ci_u32_e64 v1, s0, s7, v1, s0
	s_cbranch_vccnz .LBB104_9
; %bb.3:
	v_cmp_lt_i16_e32 vcc_lo, 25, v4
	s_cbranch_vccz .LBB104_128
; %bb.4:
	v_cmp_lt_i16_e32 vcc_lo, 28, v4
	s_cbranch_vccz .LBB104_129
	;; [unrolled: 3-line block ×4, first 2 shown]
; %bb.7:
	v_cmp_eq_u16_e32 vcc_lo, 46, v4
	s_cbranch_vccz .LBB104_132
; %bb.8:
	global_load_b32 v5, v[0:1], off
	s_mov_b32 s0, -1
	s_branch .LBB104_134
.LBB104_9:
	s_mov_b32 s0, 0
                                        ; implicit-def: $vgpr5
	s_cbranch_execnz .LBB104_200
.LBB104_10:
	s_and_not1_b32 vcc_lo, exec_lo, s0
	s_cbranch_vccnz .LBB104_247
.LBB104_11:
	s_waitcnt vmcnt(0)
	s_delay_alu instid0(VALU_DEP_1) | instskip(SKIP_2) | instid1(VALU_DEP_1)
	v_lshlrev_b32_e32 v0, 16, v5
	s_mov_b32 s9, 0
	s_mov_b32 s14, -1
	v_mul_f32_e32 v1, 0x3fb8aa3b, v0
	s_delay_alu instid0(VALU_DEP_1) | instskip(SKIP_1) | instid1(VALU_DEP_1)
	v_rndne_f32_e32 v5, v1
	v_fma_f32 v6, 0x3fb8aa3b, v0, -v1
	v_dual_sub_f32 v1, v1, v5 :: v_dual_fmamk_f32 v6, v0, 0x32a5705f, v6
	v_cvt_i32_f32_e32 v5, v5
	s_delay_alu instid0(VALU_DEP_2) | instskip(SKIP_1) | instid1(VALU_DEP_2)
	v_add_f32_e32 v1, v1, v6
	v_cmp_ngt_f32_e32 vcc_lo, 0xc2ce8ed0, v0
	v_exp_f32_e32 v1, v1
	s_waitcnt_depctr 0xfff
	v_ldexp_f32 v1, v1, v5
	v_and_b32_e32 v5, 0xff, v2
	s_delay_alu instid0(VALU_DEP_2) | instskip(SKIP_1) | instid1(VALU_DEP_2)
	v_cndmask_b32_e32 v1, 0, v1, vcc_lo
	v_cmp_nlt_f32_e32 vcc_lo, 0x42b17218, v0
	v_cndmask_b32_e32 v6, 0x7f800000, v1, vcc_lo
	v_mul_lo_u32 v1, v3, s2
	v_cmp_gt_i16_e32 vcc_lo, 11, v5
	s_delay_alu instid0(VALU_DEP_3) | instskip(SKIP_1) | instid1(VALU_DEP_3)
	v_bfe_u32 v0, v6, 16, 1
	s_and_b32 vcc_lo, exec_lo, vcc_lo
	v_ashrrev_i32_e32 v7, 31, v1
	s_delay_alu instid0(VALU_DEP_2) | instskip(NEXT) | instid1(VALU_DEP_1)
	v_add3_u32 v0, v6, v0, 0x7fff
	v_lshrrev_b32_e32 v8, 16, v0
	v_add_co_u32 v0, s0, s4, v1
	s_delay_alu instid0(VALU_DEP_1) | instskip(SKIP_1) | instid1(VALU_DEP_1)
	v_add_co_ci_u32_e64 v1, s0, s5, v7, s0
	v_cmp_o_f32_e64 s0, v6, v6
	v_cndmask_b32_e64 v6, 0x7fc0, v8, s0
	s_mov_b32 s0, 0
	s_cbranch_vccnz .LBB104_88
; %bb.12:
	v_cmp_lt_i16_e32 vcc_lo, 25, v5
	s_cbranch_vccz .LBB104_45
; %bb.13:
	v_cmp_lt_i16_e32 vcc_lo, 28, v5
	s_cbranch_vccz .LBB104_28
	;; [unrolled: 3-line block ×4, first 2 shown]
; %bb.16:
	v_cmp_eq_u16_e32 vcc_lo, 46, v5
	s_mov_b32 s14, 0
	s_mov_b32 s9, -1
	s_cbranch_vccz .LBB104_18
; %bb.17:
	v_and_b32_e32 v7, 0xffff, v6
	s_mov_b32 s0, -1
	s_mov_b32 s9, 0
	global_store_b32 v[0:1], v7, off
.LBB104_18:
	s_and_b32 vcc_lo, exec_lo, s14
	s_cbranch_vccz .LBB104_23
; %bb.19:
	v_cmp_eq_u16_e32 vcc_lo, 44, v5
	s_mov_b32 s9, -1
	s_cbranch_vccz .LBB104_23
; %bb.20:
	v_and_b32_e32 v7, 0xffff, v6
	v_mov_b32_e32 v8, 0xff
	s_mov_b32 s9, exec_lo
	s_delay_alu instid0(VALU_DEP_2) | instskip(NEXT) | instid1(VALU_DEP_1)
	v_bfe_u32 v9, v7, 7, 8
	v_cmpx_ne_u32_e32 0xff, v9
; %bb.21:
	v_lshlrev_b32_e32 v8, 16, v7
	v_and_b32_e32 v10, 64, v7
	v_lshrrev_b32_e32 v7, 7, v7
	s_delay_alu instid0(VALU_DEP_3) | instskip(NEXT) | instid1(VALU_DEP_3)
	v_and_or_b32 v8, 0x3f0000, v8, v9
	v_cmp_ne_u32_e32 vcc_lo, 0, v10
	s_delay_alu instid0(VALU_DEP_2) | instskip(NEXT) | instid1(VALU_DEP_1)
	v_cmp_ne_u32_e64 s0, 0, v8
	s_and_b32 s0, vcc_lo, s0
	s_delay_alu instid0(SALU_CYCLE_1) | instskip(NEXT) | instid1(VALU_DEP_1)
	v_cndmask_b32_e64 v8, 0, 1, s0
	v_add_nc_u32_e32 v8, v7, v8
; %bb.22:
	s_or_b32 exec_lo, exec_lo, s9
	s_mov_b32 s0, -1
	s_mov_b32 s9, 0
	global_store_b8 v[0:1], v8, off
.LBB104_23:
	s_mov_b32 s14, 0
.LBB104_24:
	s_delay_alu instid0(SALU_CYCLE_1)
	s_and_b32 vcc_lo, exec_lo, s14
	s_cbranch_vccz .LBB104_27
; %bb.25:
	v_cmp_eq_u16_e32 vcc_lo, 29, v5
	s_mov_b32 s9, -1
	s_cbranch_vccz .LBB104_27
; %bb.26:
	v_lshlrev_b32_e32 v7, 16, v6
	s_mov_b32 s0, -1
	s_mov_b32 s9, 0
	s_delay_alu instid0(VALU_DEP_1) | instskip(NEXT) | instid1(VALU_DEP_1)
	v_trunc_f32_e32 v7, v7
	v_mul_f32_e32 v8, 0x2f800000, v7
	s_delay_alu instid0(VALU_DEP_1) | instskip(NEXT) | instid1(VALU_DEP_1)
	v_floor_f32_e32 v8, v8
	v_fmamk_f32 v7, v8, 0xcf800000, v7
	v_cvt_u32_f32_e32 v8, v8
	s_delay_alu instid0(VALU_DEP_2)
	v_cvt_u32_f32_e32 v7, v7
	global_store_b64 v[0:1], v[7:8], off
.LBB104_27:
	s_mov_b32 s14, 0
.LBB104_28:
	s_delay_alu instid0(SALU_CYCLE_1)
	s_and_b32 vcc_lo, exec_lo, s14
	s_cbranch_vccz .LBB104_44
; %bb.29:
	v_cmp_gt_i16_e32 vcc_lo, 27, v5
	s_mov_b32 s0, -1
	s_cbranch_vccnz .LBB104_35
; %bb.30:
	v_cmp_lt_i16_e32 vcc_lo, 27, v5
	s_cbranch_vccz .LBB104_32
; %bb.31:
	v_lshlrev_b32_e32 v7, 16, v6
	s_mov_b32 s0, 0
	s_delay_alu instid0(VALU_DEP_1)
	v_cvt_u32_f32_e32 v7, v7
	global_store_b32 v[0:1], v7, off
.LBB104_32:
	s_and_not1_b32 vcc_lo, exec_lo, s0
	s_cbranch_vccnz .LBB104_34
; %bb.33:
	v_lshlrev_b32_e32 v7, 16, v6
	s_delay_alu instid0(VALU_DEP_1)
	v_cvt_u32_f32_e32 v7, v7
	global_store_b16 v[0:1], v7, off
.LBB104_34:
	s_mov_b32 s0, 0
.LBB104_35:
	s_delay_alu instid0(SALU_CYCLE_1)
	s_and_not1_b32 vcc_lo, exec_lo, s0
	s_cbranch_vccnz .LBB104_43
; %bb.36:
	v_dual_mov_b32 v10, 0x80 :: v_dual_lshlrev_b32 v9, 16, v6
	s_mov_b32 s0, exec_lo
	s_delay_alu instid0(VALU_DEP_1) | instskip(NEXT) | instid1(VALU_DEP_1)
	v_and_b32_e32 v8, 0x7fffffff, v9
	v_cmpx_gt_u32_e32 0x43800000, v8
	s_cbranch_execz .LBB104_42
; %bb.37:
	v_and_b32_e32 v7, 0xffff, v6
	v_cmp_lt_u32_e32 vcc_lo, 0x3bffffff, v8
	s_mov_b32 s14, 0
                                        ; implicit-def: $vgpr8
	s_and_saveexec_b32 s15, vcc_lo
	s_delay_alu instid0(SALU_CYCLE_1)
	s_xor_b32 s15, exec_lo, s15
	s_cbranch_execz .LBB104_137
; %bb.38:
	v_bfe_u32 v8, v7, 4, 1
	s_mov_b32 s14, exec_lo
	s_delay_alu instid0(VALU_DEP_1) | instskip(NEXT) | instid1(VALU_DEP_1)
	v_add3_u32 v8, v9, v8, 0x487ffff
                                        ; implicit-def: $vgpr9
	v_lshrrev_b32_e32 v8, 20, v8
	s_or_saveexec_b32 s15, s15
                                        ; implicit-def: $sgpr16
	s_delay_alu instid0(SALU_CYCLE_1)
	s_xor_b32 exec_lo, exec_lo, s15
	s_cbranch_execnz .LBB104_138
.LBB104_39:
	s_or_b32 exec_lo, exec_lo, s15
	v_mov_b32_e32 v10, s16
	s_and_saveexec_b32 s15, s14
.LBB104_40:
	v_lshrrev_b32_e32 v7, 8, v7
	s_delay_alu instid0(VALU_DEP_1)
	v_and_or_b32 v10, 0x80, v7, v8
.LBB104_41:
	s_or_b32 exec_lo, exec_lo, s15
.LBB104_42:
	s_delay_alu instid0(SALU_CYCLE_1)
	s_or_b32 exec_lo, exec_lo, s0
	global_store_b8 v[0:1], v10, off
.LBB104_43:
	s_mov_b32 s0, -1
.LBB104_44:
	s_mov_b32 s14, 0
.LBB104_45:
	s_delay_alu instid0(SALU_CYCLE_1)
	s_and_b32 vcc_lo, exec_lo, s14
	s_cbranch_vccz .LBB104_86
; %bb.46:
	v_cmp_lt_i16_e32 vcc_lo, 22, v5
	s_mov_b32 s14, -1
	s_cbranch_vccz .LBB104_78
; %bb.47:
	v_cmp_gt_i16_e32 vcc_lo, 24, v5
	s_mov_b32 s0, -1
	s_cbranch_vccnz .LBB104_67
; %bb.48:
	v_cmp_lt_i16_e32 vcc_lo, 24, v5
	s_cbranch_vccz .LBB104_56
; %bb.49:
	v_dual_mov_b32 v10, 0x80 :: v_dual_lshlrev_b32 v9, 16, v6
	s_mov_b32 s0, exec_lo
	s_delay_alu instid0(VALU_DEP_1) | instskip(NEXT) | instid1(VALU_DEP_1)
	v_and_b32_e32 v8, 0x7fffffff, v9
	v_cmpx_gt_u32_e32 0x47800000, v8
	s_cbranch_execz .LBB104_55
; %bb.50:
	v_and_b32_e32 v7, 0xffff, v6
	v_cmp_lt_u32_e32 vcc_lo, 0x37ffffff, v8
	s_mov_b32 s14, 0
                                        ; implicit-def: $vgpr8
	s_and_saveexec_b32 s15, vcc_lo
	s_delay_alu instid0(SALU_CYCLE_1)
	s_xor_b32 s15, exec_lo, s15
	s_cbranch_execz .LBB104_315
; %bb.51:
	v_bfe_u32 v8, v7, 5, 1
	s_mov_b32 s14, exec_lo
	s_delay_alu instid0(VALU_DEP_1) | instskip(NEXT) | instid1(VALU_DEP_1)
	v_add3_u32 v8, v9, v8, 0x88fffff
                                        ; implicit-def: $vgpr9
	v_lshrrev_b32_e32 v8, 21, v8
	s_or_saveexec_b32 s15, s15
                                        ; implicit-def: $sgpr16
	s_delay_alu instid0(SALU_CYCLE_1)
	s_xor_b32 exec_lo, exec_lo, s15
	s_cbranch_execnz .LBB104_316
.LBB104_52:
	s_or_b32 exec_lo, exec_lo, s15
	v_mov_b32_e32 v10, s16
	s_and_saveexec_b32 s15, s14
.LBB104_53:
	v_lshrrev_b32_e32 v7, 8, v7
	s_delay_alu instid0(VALU_DEP_1)
	v_and_or_b32 v10, 0x80, v7, v8
.LBB104_54:
	s_or_b32 exec_lo, exec_lo, s15
.LBB104_55:
	s_delay_alu instid0(SALU_CYCLE_1)
	s_or_b32 exec_lo, exec_lo, s0
	s_mov_b32 s0, 0
	global_store_b8 v[0:1], v10, off
.LBB104_56:
	s_and_b32 vcc_lo, exec_lo, s0
	s_cbranch_vccz .LBB104_66
; %bb.57:
	v_lshlrev_b32_e32 v9, 16, v6
	v_and_b32_e32 v7, 0xffff, v6
	s_mov_b32 s0, exec_lo
                                        ; implicit-def: $vgpr8
	s_delay_alu instid0(VALU_DEP_2) | instskip(NEXT) | instid1(VALU_DEP_1)
	v_and_b32_e32 v10, 0x7fffffff, v9
	v_cmpx_gt_u32_e32 0x43f00000, v10
	s_xor_b32 s0, exec_lo, s0
	s_cbranch_execz .LBB104_63
; %bb.58:
	s_mov_b32 s14, exec_lo
                                        ; implicit-def: $vgpr8
	v_cmpx_lt_u32_e32 0x3c7fffff, v10
	s_xor_b32 s14, exec_lo, s14
; %bb.59:
	v_bfe_u32 v8, v7, 4, 1
	s_delay_alu instid0(VALU_DEP_1) | instskip(NEXT) | instid1(VALU_DEP_1)
	v_add3_u32 v8, v9, v8, 0x407ffff
	v_and_b32_e32 v9, 0xff00000, v8
	v_lshrrev_b32_e32 v8, 20, v8
	s_delay_alu instid0(VALU_DEP_2) | instskip(NEXT) | instid1(VALU_DEP_2)
	v_cmp_ne_u32_e32 vcc_lo, 0x7f00000, v9
                                        ; implicit-def: $vgpr9
	v_cndmask_b32_e32 v8, 0x7e, v8, vcc_lo
; %bb.60:
	s_and_not1_saveexec_b32 s14, s14
; %bb.61:
	v_add_f32_e64 v8, 0x46800000, |v9|
; %bb.62:
	s_or_b32 exec_lo, exec_lo, s14
                                        ; implicit-def: $vgpr10
.LBB104_63:
	s_and_not1_saveexec_b32 s0, s0
; %bb.64:
	v_mov_b32_e32 v8, 0x7f
	v_cmp_lt_u32_e32 vcc_lo, 0x7f800000, v10
	s_delay_alu instid0(VALU_DEP_2)
	v_cndmask_b32_e32 v8, 0x7e, v8, vcc_lo
; %bb.65:
	s_or_b32 exec_lo, exec_lo, s0
	v_lshrrev_b32_e32 v7, 8, v7
	s_delay_alu instid0(VALU_DEP_1)
	v_and_or_b32 v7, 0x80, v7, v8
	global_store_b8 v[0:1], v7, off
.LBB104_66:
	s_mov_b32 s0, 0
.LBB104_67:
	s_delay_alu instid0(SALU_CYCLE_1)
	s_and_not1_b32 vcc_lo, exec_lo, s0
	s_cbranch_vccnz .LBB104_77
; %bb.68:
	v_lshlrev_b32_e32 v9, 16, v6
	v_and_b32_e32 v7, 0xffff, v6
	s_mov_b32 s0, exec_lo
                                        ; implicit-def: $vgpr8
	s_delay_alu instid0(VALU_DEP_2) | instskip(NEXT) | instid1(VALU_DEP_1)
	v_and_b32_e32 v10, 0x7fffffff, v9
	v_cmpx_gt_u32_e32 0x47800000, v10
	s_xor_b32 s0, exec_lo, s0
	s_cbranch_execz .LBB104_74
; %bb.69:
	s_mov_b32 s14, exec_lo
                                        ; implicit-def: $vgpr8
	v_cmpx_lt_u32_e32 0x387fffff, v10
	s_xor_b32 s14, exec_lo, s14
; %bb.70:
	v_bfe_u32 v8, v7, 5, 1
	s_delay_alu instid0(VALU_DEP_1) | instskip(NEXT) | instid1(VALU_DEP_1)
	v_add3_u32 v8, v9, v8, 0x80fffff
                                        ; implicit-def: $vgpr9
	v_lshrrev_b32_e32 v8, 21, v8
; %bb.71:
	s_and_not1_saveexec_b32 s14, s14
; %bb.72:
	v_add_f32_e64 v8, 0x43000000, |v9|
; %bb.73:
	s_or_b32 exec_lo, exec_lo, s14
                                        ; implicit-def: $vgpr10
.LBB104_74:
	s_and_not1_saveexec_b32 s0, s0
; %bb.75:
	v_mov_b32_e32 v8, 0x7f
	v_cmp_lt_u32_e32 vcc_lo, 0x7f800000, v10
	s_delay_alu instid0(VALU_DEP_2)
	v_cndmask_b32_e32 v8, 0x7c, v8, vcc_lo
; %bb.76:
	s_or_b32 exec_lo, exec_lo, s0
	v_lshrrev_b32_e32 v7, 8, v7
	s_delay_alu instid0(VALU_DEP_1)
	v_and_or_b32 v7, 0x80, v7, v8
	global_store_b8 v[0:1], v7, off
.LBB104_77:
	s_mov_b32 s14, 0
	s_mov_b32 s0, -1
.LBB104_78:
	s_and_not1_b32 vcc_lo, exec_lo, s14
	s_cbranch_vccnz .LBB104_86
; %bb.79:
	v_cmp_lt_i16_e32 vcc_lo, 14, v5
	s_mov_b32 s14, -1
	s_cbranch_vccz .LBB104_83
; %bb.80:
	v_cmp_eq_u16_e32 vcc_lo, 15, v5
	s_mov_b32 s9, -1
	s_cbranch_vccz .LBB104_82
; %bb.81:
	s_mov_b32 s0, -1
	s_mov_b32 s9, 0
	global_store_b16 v[0:1], v6, off
.LBB104_82:
	s_mov_b32 s14, 0
.LBB104_83:
	s_delay_alu instid0(SALU_CYCLE_1)
	s_and_b32 vcc_lo, exec_lo, s14
	s_cbranch_vccz .LBB104_86
; %bb.84:
	v_cmp_eq_u16_e32 vcc_lo, 11, v5
	s_mov_b32 s9, -1
	s_cbranch_vccz .LBB104_86
; %bb.85:
	v_and_b32_e32 v7, 0x7fff, v6
	s_mov_b32 s9, 0
	s_mov_b32 s0, -1
	s_delay_alu instid0(VALU_DEP_1)
	v_cmp_ne_u16_e32 vcc_lo, 0, v7
	v_cndmask_b32_e64 v7, 0, 1, vcc_lo
	global_store_b8 v[0:1], v7, off
.LBB104_86:
.LBB104_87:
	s_and_not1_b32 vcc_lo, exec_lo, s0
	s_cbranch_vccnz .LBB104_248
	s_branch .LBB104_127
.LBB104_88:
	s_and_b32 vcc_lo, exec_lo, s14
	s_cbranch_vccz .LBB104_87
; %bb.89:
	v_cmp_gt_i16_e32 vcc_lo, 5, v5
	s_mov_b32 s0, -1
	s_cbranch_vccnz .LBB104_110
; %bb.90:
	v_cmp_gt_i16_e32 vcc_lo, 8, v5
	s_cbranch_vccnz .LBB104_100
; %bb.91:
	v_cmp_gt_i16_e32 vcc_lo, 9, v5
	s_cbranch_vccnz .LBB104_97
; %bb.92:
	v_cmp_lt_i16_e32 vcc_lo, 9, v5
	s_cbranch_vccz .LBB104_94
; %bb.93:
	v_mov_b32_e32 v9, 0
	v_lshlrev_b32_e32 v7, 16, v6
	s_mov_b32 s0, 0
	s_delay_alu instid0(VALU_DEP_2) | instskip(NEXT) | instid1(VALU_DEP_2)
	v_mov_b32_e32 v10, v9
	v_cvt_f64_f32_e32 v[7:8], v7
	global_store_b128 v[0:1], v[7:10], off
.LBB104_94:
	s_and_not1_b32 vcc_lo, exec_lo, s0
	s_cbranch_vccnz .LBB104_96
; %bb.95:
	v_dual_mov_b32 v8, 0 :: v_dual_lshlrev_b32 v7, 16, v6
	global_store_b64 v[0:1], v[7:8], off
.LBB104_96:
	s_mov_b32 s0, 0
.LBB104_97:
	s_delay_alu instid0(SALU_CYCLE_1)
	s_and_not1_b32 vcc_lo, exec_lo, s0
	s_cbranch_vccnz .LBB104_99
; %bb.98:
	v_lshlrev_b32_e32 v7, 16, v6
	s_delay_alu instid0(VALU_DEP_1) | instskip(NEXT) | instid1(VALU_DEP_1)
	v_cvt_f16_f32_e32 v7, v7
	v_and_b32_e32 v7, 0xffff, v7
	global_store_b32 v[0:1], v7, off
.LBB104_99:
	s_mov_b32 s0, 0
.LBB104_100:
	s_delay_alu instid0(SALU_CYCLE_1)
	s_and_not1_b32 vcc_lo, exec_lo, s0
	s_cbranch_vccnz .LBB104_109
; %bb.101:
	v_cmp_gt_i16_e32 vcc_lo, 6, v5
	s_mov_b32 s0, -1
	s_cbranch_vccnz .LBB104_107
; %bb.102:
	v_cmp_lt_i16_e32 vcc_lo, 6, v5
	s_cbranch_vccz .LBB104_104
; %bb.103:
	v_lshlrev_b32_e32 v7, 16, v6
	s_mov_b32 s0, 0
	s_delay_alu instid0(VALU_DEP_1)
	v_cvt_f64_f32_e32 v[7:8], v7
	global_store_b64 v[0:1], v[7:8], off
.LBB104_104:
	s_and_not1_b32 vcc_lo, exec_lo, s0
	s_cbranch_vccnz .LBB104_106
; %bb.105:
	v_lshlrev_b32_e32 v7, 16, v6
	global_store_b32 v[0:1], v7, off
.LBB104_106:
	s_mov_b32 s0, 0
.LBB104_107:
	s_delay_alu instid0(SALU_CYCLE_1)
	s_and_not1_b32 vcc_lo, exec_lo, s0
	s_cbranch_vccnz .LBB104_109
; %bb.108:
	v_lshlrev_b32_e32 v7, 16, v6
	s_delay_alu instid0(VALU_DEP_1)
	v_cvt_f16_f32_e32 v7, v7
	global_store_b16 v[0:1], v7, off
.LBB104_109:
	s_mov_b32 s0, 0
.LBB104_110:
	s_delay_alu instid0(SALU_CYCLE_1)
	s_and_not1_b32 vcc_lo, exec_lo, s0
	s_cbranch_vccnz .LBB104_126
; %bb.111:
	v_cmp_gt_i16_e32 vcc_lo, 2, v5
	s_mov_b32 s0, -1
	s_cbranch_vccnz .LBB104_121
; %bb.112:
	v_cmp_gt_i16_e32 vcc_lo, 3, v5
	s_cbranch_vccnz .LBB104_118
; %bb.113:
	v_cmp_lt_i16_e32 vcc_lo, 3, v5
	s_cbranch_vccz .LBB104_115
; %bb.114:
	v_lshlrev_b32_e32 v7, 16, v6
	s_mov_b32 s0, 0
	s_delay_alu instid0(VALU_DEP_1) | instskip(NEXT) | instid1(VALU_DEP_1)
	v_trunc_f32_e32 v7, v7
	v_mul_f32_e64 v8, 0x2f800000, |v7|
	v_ashrrev_i32_e32 v10, 31, v7
	s_delay_alu instid0(VALU_DEP_2) | instskip(NEXT) | instid1(VALU_DEP_1)
	v_floor_f32_e32 v8, v8
	v_fma_f32 v9, 0xcf800000, v8, |v7|
	v_cvt_u32_f32_e32 v8, v8
	s_delay_alu instid0(VALU_DEP_2) | instskip(NEXT) | instid1(VALU_DEP_2)
	v_cvt_u32_f32_e32 v7, v9
	v_xor_b32_e32 v8, v8, v10
	s_delay_alu instid0(VALU_DEP_2) | instskip(NEXT) | instid1(VALU_DEP_1)
	v_xor_b32_e32 v7, v7, v10
	v_sub_co_u32 v7, vcc_lo, v7, v10
	s_delay_alu instid0(VALU_DEP_3)
	v_sub_co_ci_u32_e32 v8, vcc_lo, v8, v10, vcc_lo
	global_store_b64 v[0:1], v[7:8], off
.LBB104_115:
	s_and_not1_b32 vcc_lo, exec_lo, s0
	s_cbranch_vccnz .LBB104_117
; %bb.116:
	v_lshlrev_b32_e32 v7, 16, v6
	s_delay_alu instid0(VALU_DEP_1)
	v_cvt_i32_f32_e32 v7, v7
	global_store_b32 v[0:1], v7, off
.LBB104_117:
	s_mov_b32 s0, 0
.LBB104_118:
	s_delay_alu instid0(SALU_CYCLE_1)
	s_and_not1_b32 vcc_lo, exec_lo, s0
	s_cbranch_vccnz .LBB104_120
; %bb.119:
	v_lshlrev_b32_e32 v7, 16, v6
	s_delay_alu instid0(VALU_DEP_1)
	v_cvt_i32_f32_e32 v7, v7
	global_store_b16 v[0:1], v7, off
.LBB104_120:
	s_mov_b32 s0, 0
.LBB104_121:
	s_delay_alu instid0(SALU_CYCLE_1)
	s_and_not1_b32 vcc_lo, exec_lo, s0
	s_cbranch_vccnz .LBB104_126
; %bb.122:
	v_cmp_lt_i16_e32 vcc_lo, 0, v5
	v_lshlrev_b32_e32 v5, 16, v6
	s_mov_b32 s0, -1
	s_cbranch_vccz .LBB104_124
; %bb.123:
	s_delay_alu instid0(VALU_DEP_1)
	v_cvt_i32_f32_e32 v6, v5
	s_mov_b32 s0, 0
	global_store_b8 v[0:1], v6, off
.LBB104_124:
	s_and_not1_b32 vcc_lo, exec_lo, s0
	s_cbranch_vccnz .LBB104_126
; %bb.125:
	v_trunc_f32_e32 v5, v5
	s_delay_alu instid0(VALU_DEP_1) | instskip(NEXT) | instid1(VALU_DEP_1)
	v_mul_f32_e64 v6, 0x2f800000, |v5|
	v_floor_f32_e32 v6, v6
	s_delay_alu instid0(VALU_DEP_1) | instskip(SKIP_1) | instid1(VALU_DEP_2)
	v_fma_f32 v6, 0xcf800000, v6, |v5|
	v_ashrrev_i32_e32 v5, 31, v5
	v_cvt_u32_f32_e32 v6, v6
	s_delay_alu instid0(VALU_DEP_1) | instskip(NEXT) | instid1(VALU_DEP_1)
	v_xor_b32_e32 v6, v6, v5
	v_sub_nc_u32_e32 v5, v6, v5
	global_store_b8 v[0:1], v5, off
.LBB104_126:
.LBB104_127:
	v_add_nc_u32_e32 v3, 0x80, v3
	s_mov_b32 s0, -1
	s_branch .LBB104_249
.LBB104_128:
	s_mov_b32 s0, 0
                                        ; implicit-def: $vgpr5
	s_cbranch_execnz .LBB104_165
	s_branch .LBB104_199
.LBB104_129:
	s_mov_b32 s9, -1
	s_mov_b32 s0, 0
                                        ; implicit-def: $vgpr5
	s_branch .LBB104_146
.LBB104_130:
	s_mov_b32 s9, -1
	s_mov_b32 s0, 0
                                        ; implicit-def: $vgpr5
	s_branch .LBB104_141
.LBB104_131:
	s_mov_b32 s9, -1
	s_branch .LBB104_133
.LBB104_132:
	s_mov_b32 s11, -1
.LBB104_133:
	s_mov_b32 s0, 0
                                        ; implicit-def: $vgpr5
.LBB104_134:
	s_and_b32 vcc_lo, exec_lo, s9
	s_cbranch_vccz .LBB104_140
; %bb.135:
	v_cmp_eq_u16_e32 vcc_lo, 44, v4
	s_cbranch_vccz .LBB104_139
; %bb.136:
	global_load_u8 v5, v[0:1], off
	s_mov_b32 s11, 0
	s_mov_b32 s0, -1
	s_waitcnt vmcnt(0)
	v_lshlrev_b32_e32 v6, 23, v5
	v_cmp_ne_u32_e32 vcc_lo, 0xff, v5
	s_delay_alu instid0(VALU_DEP_2) | instskip(SKIP_1) | instid1(VALU_DEP_2)
	v_cndmask_b32_e32 v6, 0x7f800001, v6, vcc_lo
	v_cmp_ne_u32_e32 vcc_lo, 0, v5
	v_cndmask_b32_e32 v5, 0x400000, v6, vcc_lo
	s_delay_alu instid0(VALU_DEP_1) | instskip(SKIP_1) | instid1(VALU_DEP_2)
	v_add_nc_u32_e32 v6, 0x7fff, v5
	v_cmp_o_f32_e32 vcc_lo, v5, v5
	v_lshrrev_b32_e32 v6, 16, v6
	s_delay_alu instid0(VALU_DEP_1)
	v_cndmask_b32_e32 v5, 0x7fc0, v6, vcc_lo
	s_branch .LBB104_140
.LBB104_137:
	s_or_saveexec_b32 s15, s15
                                        ; implicit-def: $sgpr16
	s_delay_alu instid0(SALU_CYCLE_1)
	s_xor_b32 exec_lo, exec_lo, s15
	s_cbranch_execz .LBB104_39
.LBB104_138:
	v_add_f32_e64 v8, 0x46000000, |v9|
	s_and_not1_b32 s14, s14, exec_lo
	s_mov_b32 s16, 0
	s_delay_alu instid0(VALU_DEP_1) | instskip(NEXT) | instid1(VALU_DEP_1)
	v_and_b32_e32 v8, 0xff, v8
	v_cmp_ne_u32_e32 vcc_lo, 0, v8
	s_and_b32 s17, vcc_lo, exec_lo
	s_delay_alu instid0(SALU_CYCLE_1)
	s_or_b32 s14, s14, s17
	s_or_b32 exec_lo, exec_lo, s15
	v_mov_b32_e32 v10, s16
	s_and_saveexec_b32 s15, s14
	s_cbranch_execnz .LBB104_40
	s_branch .LBB104_41
.LBB104_139:
	s_mov_b32 s11, -1
                                        ; implicit-def: $vgpr5
.LBB104_140:
	s_mov_b32 s9, 0
.LBB104_141:
	s_delay_alu instid0(SALU_CYCLE_1)
	s_and_b32 vcc_lo, exec_lo, s9
	s_cbranch_vccz .LBB104_145
; %bb.142:
	v_cmp_eq_u16_e32 vcc_lo, 29, v4
	s_cbranch_vccz .LBB104_144
; %bb.143:
	global_load_b64 v[5:6], v[0:1], off
	s_mov_b32 s0, -1
	s_mov_b32 s11, 0
	s_mov_b32 s9, 0
	s_waitcnt vmcnt(0)
	v_clz_i32_u32_e32 v7, v6
	s_delay_alu instid0(VALU_DEP_1) | instskip(NEXT) | instid1(VALU_DEP_1)
	v_min_u32_e32 v7, 32, v7
	v_lshlrev_b64 v[5:6], v7, v[5:6]
	s_delay_alu instid0(VALU_DEP_1) | instskip(NEXT) | instid1(VALU_DEP_1)
	v_min_u32_e32 v5, 1, v5
	v_or_b32_e32 v5, v6, v5
	v_sub_nc_u32_e32 v6, 32, v7
	s_delay_alu instid0(VALU_DEP_2) | instskip(NEXT) | instid1(VALU_DEP_1)
	v_cvt_f32_u32_e32 v5, v5
	v_ldexp_f32 v5, v5, v6
	s_delay_alu instid0(VALU_DEP_1) | instskip(NEXT) | instid1(VALU_DEP_1)
	v_bfe_u32 v6, v5, 16, 1
	v_add3_u32 v5, v5, v6, 0x7fff
	s_delay_alu instid0(VALU_DEP_1)
	v_lshrrev_b32_e32 v5, 16, v5
	s_branch .LBB104_146
.LBB104_144:
	s_mov_b32 s11, -1
                                        ; implicit-def: $vgpr5
.LBB104_145:
	s_mov_b32 s9, 0
.LBB104_146:
	s_delay_alu instid0(SALU_CYCLE_1)
	s_and_b32 vcc_lo, exec_lo, s9
	s_cbranch_vccz .LBB104_164
; %bb.147:
	v_cmp_gt_i16_e32 vcc_lo, 27, v4
	s_cbranch_vccnz .LBB104_150
; %bb.148:
	v_cmp_lt_i16_e32 vcc_lo, 27, v4
	s_cbranch_vccz .LBB104_151
; %bb.149:
	global_load_b32 v5, v[0:1], off
	s_mov_b32 s0, 0
	s_waitcnt vmcnt(0)
	v_cvt_f32_u32_e32 v5, v5
	s_delay_alu instid0(VALU_DEP_1) | instskip(NEXT) | instid1(VALU_DEP_1)
	v_bfe_u32 v6, v5, 16, 1
	v_add3_u32 v5, v5, v6, 0x7fff
	s_delay_alu instid0(VALU_DEP_1)
	v_lshrrev_b32_e32 v5, 16, v5
	s_branch .LBB104_152
.LBB104_150:
	s_mov_b32 s0, -1
                                        ; implicit-def: $vgpr5
	s_branch .LBB104_155
.LBB104_151:
	s_mov_b32 s0, -1
                                        ; implicit-def: $vgpr5
.LBB104_152:
	s_delay_alu instid0(SALU_CYCLE_1)
	s_and_not1_b32 vcc_lo, exec_lo, s0
	s_cbranch_vccnz .LBB104_154
; %bb.153:
	global_load_u16 v5, v[0:1], off
	s_waitcnt vmcnt(0)
	v_cvt_f32_u32_e32 v5, v5
	s_delay_alu instid0(VALU_DEP_1) | instskip(NEXT) | instid1(VALU_DEP_1)
	v_bfe_u32 v6, v5, 16, 1
	v_add3_u32 v5, v5, v6, 0x7fff
	s_delay_alu instid0(VALU_DEP_1)
	v_lshrrev_b32_e32 v5, 16, v5
.LBB104_154:
	s_mov_b32 s0, 0
.LBB104_155:
	s_delay_alu instid0(SALU_CYCLE_1)
	s_and_not1_b32 vcc_lo, exec_lo, s0
	s_cbranch_vccnz .LBB104_163
; %bb.156:
	global_load_u8 v5, v[0:1], off
	s_mov_b32 s0, 0
	s_mov_b32 s14, exec_lo
                                        ; implicit-def: $sgpr9
	s_waitcnt vmcnt(0)
	v_cmpx_lt_i16_e32 0x7f, v5
	s_xor_b32 s14, exec_lo, s14
	s_cbranch_execz .LBB104_176
; %bb.157:
	s_mov_b32 s0, -1
	s_mov_b32 s15, exec_lo
                                        ; implicit-def: $sgpr9
	v_cmpx_eq_u16_e32 0x80, v5
; %bb.158:
	s_mov_b32 s9, 0x7f800001
	s_xor_b32 s0, exec_lo, -1
; %bb.159:
	s_or_b32 exec_lo, exec_lo, s15
	s_delay_alu instid0(SALU_CYCLE_1)
	s_and_b32 s0, s0, exec_lo
	s_or_saveexec_b32 s14, s14
	v_mov_b32_e32 v6, s9
	s_xor_b32 exec_lo, exec_lo, s14
	s_cbranch_execnz .LBB104_177
.LBB104_160:
	s_or_b32 exec_lo, exec_lo, s14
	s_and_saveexec_b32 s9, s0
	s_cbranch_execz .LBB104_162
.LBB104_161:
	v_and_b32_e32 v6, 0xffff, v5
	v_lshlrev_b32_e32 v5, 24, v5
	s_delay_alu instid0(VALU_DEP_2) | instskip(NEXT) | instid1(VALU_DEP_2)
	v_and_b32_e32 v7, 7, v6
	v_and_b32_e32 v5, 0x80000000, v5
	s_delay_alu instid0(VALU_DEP_2) | instskip(NEXT) | instid1(VALU_DEP_1)
	v_clz_i32_u32_e32 v8, v7
	v_min_u32_e32 v8, 32, v8
	s_delay_alu instid0(VALU_DEP_1) | instskip(SKIP_1) | instid1(VALU_DEP_2)
	v_subrev_nc_u32_e32 v9, 28, v8
	v_sub_nc_u32_e32 v8, 29, v8
	v_lshlrev_b32_e32 v9, v9, v6
	v_bfe_u32 v6, v6, 3, 4
	s_delay_alu instid0(VALU_DEP_2) | instskip(NEXT) | instid1(VALU_DEP_2)
	v_and_b32_e32 v9, 7, v9
	v_cmp_eq_u32_e32 vcc_lo, 0, v6
	s_delay_alu instid0(VALU_DEP_2) | instskip(NEXT) | instid1(VALU_DEP_1)
	v_dual_cndmask_b32 v6, v6, v8 :: v_dual_cndmask_b32 v7, v7, v9
	v_lshl_add_u32 v6, v6, 23, 0x3b800000
	s_delay_alu instid0(VALU_DEP_2) | instskip(NEXT) | instid1(VALU_DEP_1)
	v_lshlrev_b32_e32 v7, 20, v7
	v_or3_b32 v6, v5, v6, v7
.LBB104_162:
	s_or_b32 exec_lo, exec_lo, s9
	s_delay_alu instid0(VALU_DEP_1) | instskip(SKIP_1) | instid1(VALU_DEP_2)
	v_bfe_u32 v5, v6, 16, 1
	v_cmp_o_f32_e32 vcc_lo, v6, v6
	v_add3_u32 v5, v6, v5, 0x7fff
	s_delay_alu instid0(VALU_DEP_1) | instskip(NEXT) | instid1(VALU_DEP_1)
	v_lshrrev_b32_e32 v5, 16, v5
	v_cndmask_b32_e32 v5, 0x7fc0, v5, vcc_lo
.LBB104_163:
	s_mov_b32 s0, -1
.LBB104_164:
	s_branch .LBB104_199
.LBB104_165:
	v_cmp_lt_i16_e32 vcc_lo, 22, v4
	s_cbranch_vccz .LBB104_175
; %bb.166:
	v_cmp_gt_i16_e32 vcc_lo, 24, v4
	s_cbranch_vccnz .LBB104_178
; %bb.167:
	v_cmp_lt_i16_e32 vcc_lo, 24, v4
	s_cbranch_vccz .LBB104_179
; %bb.168:
	global_load_u8 v5, v[0:1], off
	s_mov_b32 s0, 0
	s_mov_b32 s14, exec_lo
                                        ; implicit-def: $sgpr9
	s_waitcnt vmcnt(0)
	v_cmpx_lt_i16_e32 0x7f, v5
	s_xor_b32 s14, exec_lo, s14
	s_cbranch_execz .LBB104_191
; %bb.169:
	s_mov_b32 s0, -1
	s_mov_b32 s15, exec_lo
                                        ; implicit-def: $sgpr9
	v_cmpx_eq_u16_e32 0x80, v5
; %bb.170:
	s_mov_b32 s9, 0x7f800001
	s_xor_b32 s0, exec_lo, -1
; %bb.171:
	s_or_b32 exec_lo, exec_lo, s15
	s_delay_alu instid0(SALU_CYCLE_1)
	s_and_b32 s0, s0, exec_lo
	s_or_saveexec_b32 s14, s14
	v_mov_b32_e32 v6, s9
	s_xor_b32 exec_lo, exec_lo, s14
	s_cbranch_execnz .LBB104_192
.LBB104_172:
	s_or_b32 exec_lo, exec_lo, s14
	s_and_saveexec_b32 s9, s0
	s_cbranch_execz .LBB104_174
.LBB104_173:
	v_and_b32_e32 v6, 0xffff, v5
	v_lshlrev_b32_e32 v5, 24, v5
	s_delay_alu instid0(VALU_DEP_2) | instskip(NEXT) | instid1(VALU_DEP_2)
	v_and_b32_e32 v7, 3, v6
	v_and_b32_e32 v5, 0x80000000, v5
	s_delay_alu instid0(VALU_DEP_2) | instskip(NEXT) | instid1(VALU_DEP_1)
	v_clz_i32_u32_e32 v8, v7
	v_min_u32_e32 v8, 32, v8
	s_delay_alu instid0(VALU_DEP_1) | instskip(SKIP_1) | instid1(VALU_DEP_2)
	v_subrev_nc_u32_e32 v9, 29, v8
	v_sub_nc_u32_e32 v8, 30, v8
	v_lshlrev_b32_e32 v9, v9, v6
	v_bfe_u32 v6, v6, 2, 5
	s_delay_alu instid0(VALU_DEP_2) | instskip(NEXT) | instid1(VALU_DEP_2)
	v_and_b32_e32 v9, 3, v9
	v_cmp_eq_u32_e32 vcc_lo, 0, v6
	s_delay_alu instid0(VALU_DEP_2) | instskip(NEXT) | instid1(VALU_DEP_1)
	v_dual_cndmask_b32 v6, v6, v8 :: v_dual_cndmask_b32 v7, v7, v9
	v_lshl_add_u32 v6, v6, 23, 0x37800000
	s_delay_alu instid0(VALU_DEP_2) | instskip(NEXT) | instid1(VALU_DEP_1)
	v_lshlrev_b32_e32 v7, 21, v7
	v_or3_b32 v6, v5, v6, v7
.LBB104_174:
	s_or_b32 exec_lo, exec_lo, s9
	s_delay_alu instid0(VALU_DEP_1) | instskip(SKIP_2) | instid1(VALU_DEP_2)
	v_bfe_u32 v5, v6, 16, 1
	v_cmp_o_f32_e32 vcc_lo, v6, v6
	s_mov_b32 s0, 0
	v_add3_u32 v5, v6, v5, 0x7fff
	s_delay_alu instid0(VALU_DEP_1) | instskip(NEXT) | instid1(VALU_DEP_1)
	v_lshrrev_b32_e32 v5, 16, v5
	v_cndmask_b32_e32 v5, 0x7fc0, v5, vcc_lo
	s_branch .LBB104_180
.LBB104_175:
	s_mov_b32 s9, -1
                                        ; implicit-def: $vgpr5
	s_branch .LBB104_186
.LBB104_176:
	s_or_saveexec_b32 s14, s14
	v_mov_b32_e32 v6, s9
	s_xor_b32 exec_lo, exec_lo, s14
	s_cbranch_execz .LBB104_160
.LBB104_177:
	v_cmp_ne_u16_e32 vcc_lo, 0, v5
	v_mov_b32_e32 v6, 0
	s_and_not1_b32 s0, s0, exec_lo
	s_and_b32 s9, vcc_lo, exec_lo
	s_delay_alu instid0(SALU_CYCLE_1)
	s_or_b32 s0, s0, s9
	s_or_b32 exec_lo, exec_lo, s14
	s_and_saveexec_b32 s9, s0
	s_cbranch_execnz .LBB104_161
	s_branch .LBB104_162
.LBB104_178:
	s_mov_b32 s0, -1
                                        ; implicit-def: $vgpr5
	s_branch .LBB104_183
.LBB104_179:
	s_mov_b32 s0, -1
                                        ; implicit-def: $vgpr5
.LBB104_180:
	s_delay_alu instid0(SALU_CYCLE_1)
	s_and_b32 vcc_lo, exec_lo, s0
	s_cbranch_vccz .LBB104_182
; %bb.181:
	global_load_u8 v5, v[0:1], off
	s_waitcnt vmcnt(0)
	v_lshlrev_b32_e32 v5, 24, v5
	s_delay_alu instid0(VALU_DEP_1) | instskip(NEXT) | instid1(VALU_DEP_1)
	v_and_b32_e32 v6, 0x7f000000, v5
	v_clz_i32_u32_e32 v7, v6
	v_add_nc_u32_e32 v9, 0x1000000, v6
	v_cmp_ne_u32_e32 vcc_lo, 0, v6
	s_delay_alu instid0(VALU_DEP_3) | instskip(NEXT) | instid1(VALU_DEP_1)
	v_min_u32_e32 v7, 32, v7
	v_sub_nc_u32_e64 v7, v7, 4 clamp
	s_delay_alu instid0(VALU_DEP_1) | instskip(SKIP_1) | instid1(VALU_DEP_2)
	v_lshlrev_b32_e32 v8, v7, v6
	v_lshlrev_b32_e32 v7, 23, v7
	v_lshrrev_b32_e32 v8, 4, v8
	s_delay_alu instid0(VALU_DEP_1) | instskip(SKIP_1) | instid1(VALU_DEP_2)
	v_sub_nc_u32_e32 v7, v8, v7
	v_ashrrev_i32_e32 v8, 8, v9
	v_add_nc_u32_e32 v7, 0x3c000000, v7
	s_delay_alu instid0(VALU_DEP_1) | instskip(NEXT) | instid1(VALU_DEP_1)
	v_and_or_b32 v7, 0x7f800000, v8, v7
	v_cndmask_b32_e32 v6, 0, v7, vcc_lo
	s_delay_alu instid0(VALU_DEP_1) | instskip(SKIP_1) | instid1(VALU_DEP_2)
	v_and_or_b32 v5, 0x80000000, v5, v6
	v_bfe_u32 v6, v6, 16, 1
	v_cmp_o_f32_e32 vcc_lo, v5, v5
	s_delay_alu instid0(VALU_DEP_2) | instskip(NEXT) | instid1(VALU_DEP_1)
	v_add3_u32 v6, v5, v6, 0x7fff
	v_lshrrev_b32_e32 v6, 16, v6
	s_delay_alu instid0(VALU_DEP_1)
	v_cndmask_b32_e32 v5, 0x7fc0, v6, vcc_lo
.LBB104_182:
	s_mov_b32 s0, 0
.LBB104_183:
	s_delay_alu instid0(SALU_CYCLE_1)
	s_and_not1_b32 vcc_lo, exec_lo, s0
	s_cbranch_vccnz .LBB104_185
; %bb.184:
	global_load_u8 v5, v[0:1], off
	s_waitcnt vmcnt(0)
	v_lshlrev_b32_e32 v6, 25, v5
	v_lshlrev_b16 v5, 8, v5
	s_delay_alu instid0(VALU_DEP_2) | instskip(NEXT) | instid1(VALU_DEP_2)
	v_lshrrev_b32_e32 v7, 4, v6
	v_and_or_b32 v8, 0x7f00, v5, 0.5
	v_bfe_i32 v5, v5, 0, 16
	s_delay_alu instid0(VALU_DEP_3) | instskip(NEXT) | instid1(VALU_DEP_1)
	v_or_b32_e32 v7, 0x70000000, v7
	v_dual_add_f32 v8, -0.5, v8 :: v_dual_mul_f32 v7, 0x7800000, v7
	v_cmp_gt_u32_e32 vcc_lo, 0x8000000, v6
	s_delay_alu instid0(VALU_DEP_2) | instskip(NEXT) | instid1(VALU_DEP_1)
	v_cndmask_b32_e32 v6, v7, v8, vcc_lo
	v_and_or_b32 v5, 0x80000000, v5, v6
	v_bfe_u32 v6, v6, 16, 1
	s_delay_alu instid0(VALU_DEP_2) | instskip(NEXT) | instid1(VALU_DEP_2)
	v_cmp_o_f32_e32 vcc_lo, v5, v5
	v_add3_u32 v6, v5, v6, 0x7fff
	s_delay_alu instid0(VALU_DEP_1) | instskip(NEXT) | instid1(VALU_DEP_1)
	v_lshrrev_b32_e32 v6, 16, v6
	v_cndmask_b32_e32 v5, 0x7fc0, v6, vcc_lo
.LBB104_185:
	s_mov_b32 s9, 0
	s_mov_b32 s0, -1
.LBB104_186:
	s_and_not1_b32 vcc_lo, exec_lo, s9
	s_cbranch_vccnz .LBB104_199
; %bb.187:
	v_cmp_lt_i16_e32 vcc_lo, 14, v4
	s_cbranch_vccz .LBB104_190
; %bb.188:
	v_cmp_eq_u16_e32 vcc_lo, 15, v4
	s_cbranch_vccz .LBB104_193
; %bb.189:
	global_load_u16 v5, v[0:1], off
	s_mov_b32 s0, -1
	s_mov_b32 s11, 0
	s_branch .LBB104_194
.LBB104_190:
	s_mov_b32 s9, -1
                                        ; implicit-def: $vgpr5
	s_branch .LBB104_195
.LBB104_191:
	s_or_saveexec_b32 s14, s14
	v_mov_b32_e32 v6, s9
	s_xor_b32 exec_lo, exec_lo, s14
	s_cbranch_execz .LBB104_172
.LBB104_192:
	v_cmp_ne_u16_e32 vcc_lo, 0, v5
	v_mov_b32_e32 v6, 0
	s_and_not1_b32 s0, s0, exec_lo
	s_and_b32 s9, vcc_lo, exec_lo
	s_delay_alu instid0(SALU_CYCLE_1)
	s_or_b32 s0, s0, s9
	s_or_b32 exec_lo, exec_lo, s14
	s_and_saveexec_b32 s9, s0
	s_cbranch_execnz .LBB104_173
	s_branch .LBB104_174
.LBB104_193:
	s_mov_b32 s11, -1
                                        ; implicit-def: $vgpr5
.LBB104_194:
	s_mov_b32 s9, 0
.LBB104_195:
	s_delay_alu instid0(SALU_CYCLE_1)
	s_and_b32 vcc_lo, exec_lo, s9
	s_cbranch_vccz .LBB104_199
; %bb.196:
	v_cmp_eq_u16_e32 vcc_lo, 11, v4
	s_cbranch_vccz .LBB104_198
; %bb.197:
	global_load_u8 v5, v[0:1], off
	s_mov_b32 s11, 0
	s_mov_b32 s0, -1
	s_waitcnt vmcnt(0)
	v_cmp_ne_u16_e32 vcc_lo, 0, v5
	v_cndmask_b32_e64 v5, 0, 1.0, vcc_lo
	s_delay_alu instid0(VALU_DEP_1)
	v_lshrrev_b32_e32 v5, 16, v5
	s_branch .LBB104_199
.LBB104_198:
	s_mov_b32 s11, -1
                                        ; implicit-def: $vgpr5
.LBB104_199:
	s_branch .LBB104_10
.LBB104_200:
	v_cmp_gt_i16_e32 vcc_lo, 5, v4
	s_cbranch_vccnz .LBB104_205
; %bb.201:
	v_cmp_gt_i16_e32 vcc_lo, 8, v4
	s_cbranch_vccnz .LBB104_206
; %bb.202:
	;; [unrolled: 3-line block ×3, first 2 shown]
	v_cmp_lt_i16_e32 vcc_lo, 9, v4
	s_cbranch_vccz .LBB104_208
; %bb.204:
	global_load_b64 v[5:6], v[0:1], off
	s_mov_b32 s0, 0
	s_waitcnt vmcnt(0)
	v_cvt_f32_f64_e32 v5, v[5:6]
	s_delay_alu instid0(VALU_DEP_1) | instskip(SKIP_1) | instid1(VALU_DEP_2)
	v_bfe_u32 v6, v5, 16, 1
	v_cmp_o_f32_e32 vcc_lo, v5, v5
	v_add3_u32 v6, v5, v6, 0x7fff
	s_delay_alu instid0(VALU_DEP_1) | instskip(NEXT) | instid1(VALU_DEP_1)
	v_lshrrev_b32_e32 v6, 16, v6
	v_cndmask_b32_e32 v5, 0x7fc0, v6, vcc_lo
	s_branch .LBB104_209
.LBB104_205:
                                        ; implicit-def: $vgpr5
	s_branch .LBB104_227
.LBB104_206:
	s_mov_b32 s0, -1
                                        ; implicit-def: $vgpr5
	s_branch .LBB104_215
.LBB104_207:
	s_mov_b32 s0, -1
                                        ; implicit-def: $vgpr5
	s_branch .LBB104_212
.LBB104_208:
	s_mov_b32 s0, -1
                                        ; implicit-def: $vgpr5
.LBB104_209:
	s_delay_alu instid0(SALU_CYCLE_1)
	s_and_not1_b32 vcc_lo, exec_lo, s0
	s_cbranch_vccnz .LBB104_211
; %bb.210:
	global_load_b32 v5, v[0:1], off
	s_waitcnt vmcnt(0)
	v_bfe_u32 v6, v5, 16, 1
	v_cmp_o_f32_e32 vcc_lo, v5, v5
	s_delay_alu instid0(VALU_DEP_2) | instskip(NEXT) | instid1(VALU_DEP_1)
	v_add3_u32 v6, v5, v6, 0x7fff
	v_lshrrev_b32_e32 v6, 16, v6
	s_delay_alu instid0(VALU_DEP_1)
	v_cndmask_b32_e32 v5, 0x7fc0, v6, vcc_lo
.LBB104_211:
	s_mov_b32 s0, 0
.LBB104_212:
	s_delay_alu instid0(SALU_CYCLE_1)
	s_and_not1_b32 vcc_lo, exec_lo, s0
	s_cbranch_vccnz .LBB104_214
; %bb.213:
	global_load_b32 v5, v[0:1], off
	s_waitcnt vmcnt(0)
	v_cvt_f32_f16_e32 v6, v5
	v_cmp_o_f16_e32 vcc_lo, v5, v5
	s_delay_alu instid0(VALU_DEP_2) | instskip(NEXT) | instid1(VALU_DEP_1)
	v_bfe_u32 v7, v6, 16, 1
	v_add3_u32 v6, v6, v7, 0x7fff
	s_delay_alu instid0(VALU_DEP_1) | instskip(NEXT) | instid1(VALU_DEP_1)
	v_lshrrev_b32_e32 v6, 16, v6
	v_cndmask_b32_e32 v5, 0x7fc0, v6, vcc_lo
.LBB104_214:
	s_mov_b32 s0, 0
.LBB104_215:
	s_delay_alu instid0(SALU_CYCLE_1)
	s_and_not1_b32 vcc_lo, exec_lo, s0
	s_cbranch_vccnz .LBB104_226
; %bb.216:
	v_cmp_gt_i16_e32 vcc_lo, 6, v4
	s_cbranch_vccnz .LBB104_219
; %bb.217:
	v_cmp_lt_i16_e32 vcc_lo, 6, v4
	s_cbranch_vccz .LBB104_220
; %bb.218:
	global_load_b64 v[5:6], v[0:1], off
	s_mov_b32 s0, 0
	s_waitcnt vmcnt(0)
	v_cvt_f32_f64_e32 v5, v[5:6]
	s_delay_alu instid0(VALU_DEP_1) | instskip(SKIP_1) | instid1(VALU_DEP_2)
	v_bfe_u32 v6, v5, 16, 1
	v_cmp_o_f32_e32 vcc_lo, v5, v5
	v_add3_u32 v6, v5, v6, 0x7fff
	s_delay_alu instid0(VALU_DEP_1) | instskip(NEXT) | instid1(VALU_DEP_1)
	v_lshrrev_b32_e32 v6, 16, v6
	v_cndmask_b32_e32 v5, 0x7fc0, v6, vcc_lo
	s_branch .LBB104_221
.LBB104_219:
	s_mov_b32 s0, -1
                                        ; implicit-def: $vgpr5
	s_branch .LBB104_224
.LBB104_220:
	s_mov_b32 s0, -1
                                        ; implicit-def: $vgpr5
.LBB104_221:
	s_delay_alu instid0(SALU_CYCLE_1)
	s_and_not1_b32 vcc_lo, exec_lo, s0
	s_cbranch_vccnz .LBB104_223
; %bb.222:
	global_load_b32 v5, v[0:1], off
	s_waitcnt vmcnt(0)
	v_bfe_u32 v6, v5, 16, 1
	v_cmp_o_f32_e32 vcc_lo, v5, v5
	s_delay_alu instid0(VALU_DEP_2) | instskip(NEXT) | instid1(VALU_DEP_1)
	v_add3_u32 v6, v5, v6, 0x7fff
	v_lshrrev_b32_e32 v6, 16, v6
	s_delay_alu instid0(VALU_DEP_1)
	v_cndmask_b32_e32 v5, 0x7fc0, v6, vcc_lo
.LBB104_223:
	s_mov_b32 s0, 0
.LBB104_224:
	s_delay_alu instid0(SALU_CYCLE_1)
	s_and_not1_b32 vcc_lo, exec_lo, s0
	s_cbranch_vccnz .LBB104_226
; %bb.225:
	global_load_u16 v5, v[0:1], off
	s_waitcnt vmcnt(0)
	v_cvt_f32_f16_e32 v6, v5
	v_cmp_o_f16_e32 vcc_lo, v5, v5
	s_delay_alu instid0(VALU_DEP_2) | instskip(NEXT) | instid1(VALU_DEP_1)
	v_bfe_u32 v7, v6, 16, 1
	v_add3_u32 v6, v6, v7, 0x7fff
	s_delay_alu instid0(VALU_DEP_1) | instskip(NEXT) | instid1(VALU_DEP_1)
	v_lshrrev_b32_e32 v6, 16, v6
	v_cndmask_b32_e32 v5, 0x7fc0, v6, vcc_lo
.LBB104_226:
	s_cbranch_execnz .LBB104_246
.LBB104_227:
	v_cmp_gt_i16_e32 vcc_lo, 2, v4
	s_cbranch_vccnz .LBB104_231
; %bb.228:
	v_cmp_gt_i16_e32 vcc_lo, 3, v4
	s_cbranch_vccnz .LBB104_232
; %bb.229:
	v_cmp_lt_i16_e32 vcc_lo, 3, v4
	s_cbranch_vccz .LBB104_233
; %bb.230:
	global_load_b64 v[5:6], v[0:1], off
	s_mov_b32 s0, 0
	s_waitcnt vmcnt(0)
	v_xor_b32_e32 v7, v5, v6
	v_cls_i32_e32 v8, v6
	s_delay_alu instid0(VALU_DEP_2) | instskip(NEXT) | instid1(VALU_DEP_2)
	v_ashrrev_i32_e32 v7, 31, v7
	v_add_nc_u32_e32 v8, -1, v8
	s_delay_alu instid0(VALU_DEP_2) | instskip(NEXT) | instid1(VALU_DEP_1)
	v_add_nc_u32_e32 v7, 32, v7
	v_min_u32_e32 v7, v8, v7
	s_delay_alu instid0(VALU_DEP_1) | instskip(NEXT) | instid1(VALU_DEP_1)
	v_lshlrev_b64 v[5:6], v7, v[5:6]
	v_min_u32_e32 v5, 1, v5
	s_delay_alu instid0(VALU_DEP_1) | instskip(SKIP_1) | instid1(VALU_DEP_2)
	v_or_b32_e32 v5, v6, v5
	v_sub_nc_u32_e32 v6, 32, v7
	v_cvt_f32_i32_e32 v5, v5
	s_delay_alu instid0(VALU_DEP_1) | instskip(NEXT) | instid1(VALU_DEP_1)
	v_ldexp_f32 v5, v5, v6
	v_bfe_u32 v6, v5, 16, 1
	s_delay_alu instid0(VALU_DEP_1) | instskip(NEXT) | instid1(VALU_DEP_1)
	v_add3_u32 v5, v5, v6, 0x7fff
	v_lshrrev_b32_e32 v5, 16, v5
	s_branch .LBB104_234
.LBB104_231:
	s_mov_b32 s0, -1
                                        ; implicit-def: $vgpr5
	s_branch .LBB104_240
.LBB104_232:
	s_mov_b32 s0, -1
                                        ; implicit-def: $vgpr5
	s_branch .LBB104_237
.LBB104_233:
	s_mov_b32 s0, -1
                                        ; implicit-def: $vgpr5
.LBB104_234:
	s_delay_alu instid0(SALU_CYCLE_1)
	s_and_not1_b32 vcc_lo, exec_lo, s0
	s_cbranch_vccnz .LBB104_236
; %bb.235:
	global_load_b32 v5, v[0:1], off
	s_waitcnt vmcnt(0)
	v_cvt_f32_i32_e32 v5, v5
	s_delay_alu instid0(VALU_DEP_1) | instskip(NEXT) | instid1(VALU_DEP_1)
	v_bfe_u32 v6, v5, 16, 1
	v_add3_u32 v5, v5, v6, 0x7fff
	s_delay_alu instid0(VALU_DEP_1)
	v_lshrrev_b32_e32 v5, 16, v5
.LBB104_236:
	s_mov_b32 s0, 0
.LBB104_237:
	s_delay_alu instid0(SALU_CYCLE_1)
	s_and_not1_b32 vcc_lo, exec_lo, s0
	s_cbranch_vccnz .LBB104_239
; %bb.238:
	global_load_i16 v5, v[0:1], off
	s_waitcnt vmcnt(0)
	v_cvt_f32_i32_e32 v5, v5
	s_delay_alu instid0(VALU_DEP_1) | instskip(NEXT) | instid1(VALU_DEP_1)
	v_bfe_u32 v6, v5, 16, 1
	v_add3_u32 v5, v5, v6, 0x7fff
	s_delay_alu instid0(VALU_DEP_1)
	v_lshrrev_b32_e32 v5, 16, v5
.LBB104_239:
	s_mov_b32 s0, 0
.LBB104_240:
	s_delay_alu instid0(SALU_CYCLE_1)
	s_and_not1_b32 vcc_lo, exec_lo, s0
	s_cbranch_vccnz .LBB104_246
; %bb.241:
	v_cmp_lt_i16_e32 vcc_lo, 0, v4
	s_mov_b32 s0, 0
	s_cbranch_vccz .LBB104_243
; %bb.242:
	global_load_i8 v5, v[0:1], off
	s_waitcnt vmcnt(0)
	v_cvt_f32_i32_e32 v5, v5
	s_delay_alu instid0(VALU_DEP_1) | instskip(NEXT) | instid1(VALU_DEP_1)
	v_bfe_u32 v6, v5, 16, 1
	v_add3_u32 v5, v5, v6, 0x7fff
	s_delay_alu instid0(VALU_DEP_1)
	v_lshrrev_b32_e32 v5, 16, v5
	s_branch .LBB104_244
.LBB104_243:
	s_mov_b32 s0, -1
                                        ; implicit-def: $vgpr5
.LBB104_244:
	s_delay_alu instid0(SALU_CYCLE_1)
	s_and_not1_b32 vcc_lo, exec_lo, s0
	s_cbranch_vccnz .LBB104_246
; %bb.245:
	global_load_u8 v0, v[0:1], off
	s_waitcnt vmcnt(0)
	v_cvt_f32_ubyte0_e32 v0, v0
	s_delay_alu instid0(VALU_DEP_1) | instskip(NEXT) | instid1(VALU_DEP_1)
	v_bfe_u32 v1, v0, 16, 1
	v_add3_u32 v0, v0, v1, 0x7fff
	s_delay_alu instid0(VALU_DEP_1)
	v_lshrrev_b32_e32 v5, 16, v0
.LBB104_246:
	s_branch .LBB104_11
.LBB104_247:
	s_mov_b32 s9, 0
.LBB104_248:
	s_mov_b32 s0, 0
                                        ; implicit-def: $vgpr3
.LBB104_249:
	s_and_b32 s9, s9, exec_lo
	s_and_b32 s11, s11, exec_lo
	s_or_not1_b32 s15, s0, exec_lo
.LBB104_250:
	s_or_b32 exec_lo, exec_lo, s12
	s_mov_b32 s14, 0
	s_mov_b32 s0, 0
                                        ; implicit-def: $vgpr0_vgpr1
                                        ; implicit-def: $vgpr6
	s_and_saveexec_b32 s12, s15
	s_cbranch_execz .LBB104_854
; %bb.251:
	s_mov_b32 s17, -1
	s_mov_b32 s13, s11
	s_mov_b32 s14, s9
	s_mov_b32 s15, exec_lo
	v_cmpx_gt_i32_e64 s10, v3
	s_cbranch_execz .LBB104_507
; %bb.252:
	v_mul_lo_u32 v0, v3, s3
	v_cmp_gt_i16_e32 vcc_lo, 11, v4
	s_delay_alu instid0(VALU_DEP_2) | instskip(SKIP_1) | instid1(VALU_DEP_1)
	v_ashrrev_i32_e32 v1, 31, v0
	v_add_co_u32 v0, s0, s6, v0
	v_add_co_ci_u32_e64 v1, s0, s7, v1, s0
	s_cbranch_vccnz .LBB104_259
; %bb.253:
	v_cmp_lt_i16_e32 vcc_lo, 25, v4
	s_cbranch_vccz .LBB104_308
; %bb.254:
	v_cmp_lt_i16_e32 vcc_lo, 28, v4
	s_cbranch_vccz .LBB104_309
	;; [unrolled: 3-line block ×4, first 2 shown]
; %bb.257:
	v_cmp_eq_u16_e32 vcc_lo, 46, v4
	s_mov_b32 s14, 0
	s_cbranch_vccz .LBB104_317
; %bb.258:
	global_load_b32 v5, v[0:1], off
	s_mov_b32 s0, -1
	s_mov_b32 s13, 0
	s_branch .LBB104_319
.LBB104_259:
	s_mov_b32 s0, 0
	s_mov_b32 s13, s11
                                        ; implicit-def: $vgpr5
	s_cbranch_execnz .LBB104_456
.LBB104_260:
	s_and_not1_b32 vcc_lo, exec_lo, s0
	s_cbranch_vccnz .LBB104_504
.LBB104_261:
	s_waitcnt vmcnt(0)
	s_delay_alu instid0(VALU_DEP_1) | instskip(SKIP_2) | instid1(VALU_DEP_1)
	v_lshlrev_b32_e32 v0, 16, v5
	s_mov_b32 s14, 0
	s_mov_b32 s16, -1
	v_mul_f32_e32 v1, 0x3fb8aa3b, v0
	s_delay_alu instid0(VALU_DEP_1) | instskip(SKIP_1) | instid1(VALU_DEP_1)
	v_rndne_f32_e32 v5, v1
	v_fma_f32 v6, 0x3fb8aa3b, v0, -v1
	v_dual_sub_f32 v1, v1, v5 :: v_dual_fmamk_f32 v6, v0, 0x32a5705f, v6
	v_cvt_i32_f32_e32 v5, v5
	s_delay_alu instid0(VALU_DEP_2) | instskip(SKIP_2) | instid1(VALU_DEP_3)
	v_add_f32_e32 v1, v1, v6
	v_cmp_ngt_f32_e32 vcc_lo, 0xc2ce8ed0, v0
	v_and_b32_e32 v6, 0xff, v2
	v_exp_f32_e32 v1, v1
	s_waitcnt_depctr 0xfff
	v_ldexp_f32 v1, v1, v5
	s_delay_alu instid0(VALU_DEP_1) | instskip(SKIP_1) | instid1(VALU_DEP_2)
	v_cndmask_b32_e32 v1, 0, v1, vcc_lo
	v_cmp_nlt_f32_e32 vcc_lo, 0x42b17218, v0
	v_cndmask_b32_e32 v5, 0x7f800000, v1, vcc_lo
	v_mul_lo_u32 v1, v3, s2
	v_cmp_gt_i16_e32 vcc_lo, 11, v6
	s_delay_alu instid0(VALU_DEP_3) | instskip(SKIP_1) | instid1(VALU_DEP_3)
	v_bfe_u32 v0, v5, 16, 1
	s_and_b32 vcc_lo, exec_lo, vcc_lo
	v_ashrrev_i32_e32 v7, 31, v1
	s_delay_alu instid0(VALU_DEP_2) | instskip(NEXT) | instid1(VALU_DEP_1)
	v_add3_u32 v0, v5, v0, 0x7fff
	v_lshrrev_b32_e32 v8, 16, v0
	v_add_co_u32 v0, s0, s4, v1
	s_delay_alu instid0(VALU_DEP_1) | instskip(SKIP_1) | instid1(VALU_DEP_1)
	v_add_co_ci_u32_e64 v1, s0, s5, v7, s0
	v_cmp_o_f32_e64 s0, v5, v5
	v_cndmask_b32_e64 v5, 0x7fc0, v8, s0
	s_mov_b32 s0, s9
	s_cbranch_vccnz .LBB104_268
; %bb.262:
	v_cmp_lt_i16_e32 vcc_lo, 25, v6
	s_cbranch_vccz .LBB104_310
; %bb.263:
	v_cmp_lt_i16_e32 vcc_lo, 28, v6
	s_cbranch_vccz .LBB104_312
	;; [unrolled: 3-line block ×4, first 2 shown]
; %bb.266:
	v_cmp_eq_u16_e32 vcc_lo, 46, v6
	s_mov_b32 s16, 0
	s_mov_b32 s0, -1
	s_cbranch_vccz .LBB104_323
; %bb.267:
	v_and_b32_e32 v7, 0xffff, v5
	s_mov_b32 s14, -1
	s_mov_b32 s0, 0
	global_store_b32 v[0:1], v7, off
	s_branch .LBB104_323
.LBB104_268:
	s_and_b32 vcc_lo, exec_lo, s16
	s_cbranch_vccz .LBB104_392
; %bb.269:
	v_cmp_gt_i16_e32 vcc_lo, 5, v6
	s_mov_b32 s14, -1
	s_cbranch_vccnz .LBB104_290
; %bb.270:
	v_cmp_gt_i16_e32 vcc_lo, 8, v6
	s_cbranch_vccnz .LBB104_280
; %bb.271:
	v_cmp_gt_i16_e32 vcc_lo, 9, v6
	s_cbranch_vccnz .LBB104_277
; %bb.272:
	v_cmp_lt_i16_e32 vcc_lo, 9, v6
	s_cbranch_vccz .LBB104_274
; %bb.273:
	v_mov_b32_e32 v9, 0
	v_lshlrev_b32_e32 v7, 16, v5
	s_mov_b32 s14, 0
	s_delay_alu instid0(VALU_DEP_2) | instskip(NEXT) | instid1(VALU_DEP_2)
	v_mov_b32_e32 v10, v9
	v_cvt_f64_f32_e32 v[7:8], v7
	global_store_b128 v[0:1], v[7:10], off
.LBB104_274:
	s_and_not1_b32 vcc_lo, exec_lo, s14
	s_cbranch_vccnz .LBB104_276
; %bb.275:
	v_dual_mov_b32 v8, 0 :: v_dual_lshlrev_b32 v7, 16, v5
	global_store_b64 v[0:1], v[7:8], off
.LBB104_276:
	s_mov_b32 s14, 0
.LBB104_277:
	s_delay_alu instid0(SALU_CYCLE_1)
	s_and_not1_b32 vcc_lo, exec_lo, s14
	s_cbranch_vccnz .LBB104_279
; %bb.278:
	v_lshlrev_b32_e32 v7, 16, v5
	s_delay_alu instid0(VALU_DEP_1) | instskip(NEXT) | instid1(VALU_DEP_1)
	v_cvt_f16_f32_e32 v7, v7
	v_and_b32_e32 v7, 0xffff, v7
	global_store_b32 v[0:1], v7, off
.LBB104_279:
	s_mov_b32 s14, 0
.LBB104_280:
	s_delay_alu instid0(SALU_CYCLE_1)
	s_and_not1_b32 vcc_lo, exec_lo, s14
	s_cbranch_vccnz .LBB104_289
; %bb.281:
	v_cmp_gt_i16_e32 vcc_lo, 6, v6
	s_mov_b32 s14, -1
	s_cbranch_vccnz .LBB104_287
; %bb.282:
	v_cmp_lt_i16_e32 vcc_lo, 6, v6
	s_cbranch_vccz .LBB104_284
; %bb.283:
	v_lshlrev_b32_e32 v7, 16, v5
	s_mov_b32 s14, 0
	s_delay_alu instid0(VALU_DEP_1)
	v_cvt_f64_f32_e32 v[7:8], v7
	global_store_b64 v[0:1], v[7:8], off
.LBB104_284:
	s_and_not1_b32 vcc_lo, exec_lo, s14
	s_cbranch_vccnz .LBB104_286
; %bb.285:
	v_lshlrev_b32_e32 v7, 16, v5
	global_store_b32 v[0:1], v7, off
.LBB104_286:
	s_mov_b32 s14, 0
.LBB104_287:
	s_delay_alu instid0(SALU_CYCLE_1)
	s_and_not1_b32 vcc_lo, exec_lo, s14
	s_cbranch_vccnz .LBB104_289
; %bb.288:
	v_lshlrev_b32_e32 v7, 16, v5
	s_delay_alu instid0(VALU_DEP_1)
	v_cvt_f16_f32_e32 v7, v7
	global_store_b16 v[0:1], v7, off
.LBB104_289:
	s_mov_b32 s14, 0
.LBB104_290:
	s_delay_alu instid0(SALU_CYCLE_1)
	s_and_not1_b32 vcc_lo, exec_lo, s14
	s_cbranch_vccnz .LBB104_306
; %bb.291:
	v_cmp_gt_i16_e32 vcc_lo, 2, v6
	s_mov_b32 s14, -1
	s_cbranch_vccnz .LBB104_301
; %bb.292:
	v_cmp_gt_i16_e32 vcc_lo, 3, v6
	s_cbranch_vccnz .LBB104_298
; %bb.293:
	v_cmp_lt_i16_e32 vcc_lo, 3, v6
	s_cbranch_vccz .LBB104_295
; %bb.294:
	v_lshlrev_b32_e32 v7, 16, v5
	s_mov_b32 s14, 0
	s_delay_alu instid0(VALU_DEP_1) | instskip(NEXT) | instid1(VALU_DEP_1)
	v_trunc_f32_e32 v7, v7
	v_mul_f32_e64 v8, 0x2f800000, |v7|
	v_ashrrev_i32_e32 v10, 31, v7
	s_delay_alu instid0(VALU_DEP_2) | instskip(NEXT) | instid1(VALU_DEP_1)
	v_floor_f32_e32 v8, v8
	v_fma_f32 v9, 0xcf800000, v8, |v7|
	v_cvt_u32_f32_e32 v8, v8
	s_delay_alu instid0(VALU_DEP_2) | instskip(NEXT) | instid1(VALU_DEP_2)
	v_cvt_u32_f32_e32 v7, v9
	v_xor_b32_e32 v8, v8, v10
	s_delay_alu instid0(VALU_DEP_2) | instskip(NEXT) | instid1(VALU_DEP_1)
	v_xor_b32_e32 v7, v7, v10
	v_sub_co_u32 v7, vcc_lo, v7, v10
	s_delay_alu instid0(VALU_DEP_3)
	v_sub_co_ci_u32_e32 v8, vcc_lo, v8, v10, vcc_lo
	global_store_b64 v[0:1], v[7:8], off
.LBB104_295:
	s_and_not1_b32 vcc_lo, exec_lo, s14
	s_cbranch_vccnz .LBB104_297
; %bb.296:
	v_lshlrev_b32_e32 v7, 16, v5
	s_delay_alu instid0(VALU_DEP_1)
	v_cvt_i32_f32_e32 v7, v7
	global_store_b32 v[0:1], v7, off
.LBB104_297:
	s_mov_b32 s14, 0
.LBB104_298:
	s_delay_alu instid0(SALU_CYCLE_1)
	s_and_not1_b32 vcc_lo, exec_lo, s14
	s_cbranch_vccnz .LBB104_300
; %bb.299:
	v_lshlrev_b32_e32 v7, 16, v5
	s_delay_alu instid0(VALU_DEP_1)
	v_cvt_i32_f32_e32 v7, v7
	global_store_b16 v[0:1], v7, off
.LBB104_300:
	s_mov_b32 s14, 0
.LBB104_301:
	s_delay_alu instid0(SALU_CYCLE_1)
	s_and_not1_b32 vcc_lo, exec_lo, s14
	s_cbranch_vccnz .LBB104_306
; %bb.302:
	v_cmp_lt_i16_e32 vcc_lo, 0, v6
	s_mov_b32 s14, -1
	s_cbranch_vccz .LBB104_304
; %bb.303:
	v_lshlrev_b32_e32 v6, 16, v5
	s_mov_b32 s14, 0
	s_delay_alu instid0(VALU_DEP_1)
	v_cvt_i32_f32_e32 v6, v6
	global_store_b8 v[0:1], v6, off
.LBB104_304:
	s_and_not1_b32 vcc_lo, exec_lo, s14
	s_cbranch_vccnz .LBB104_306
; %bb.305:
	v_lshlrev_b32_e32 v5, 16, v5
	s_delay_alu instid0(VALU_DEP_1) | instskip(NEXT) | instid1(VALU_DEP_1)
	v_trunc_f32_e32 v5, v5
	v_mul_f32_e64 v6, 0x2f800000, |v5|
	s_delay_alu instid0(VALU_DEP_1) | instskip(NEXT) | instid1(VALU_DEP_1)
	v_floor_f32_e32 v6, v6
	v_fma_f32 v6, 0xcf800000, v6, |v5|
	v_ashrrev_i32_e32 v5, 31, v5
	s_delay_alu instid0(VALU_DEP_2) | instskip(NEXT) | instid1(VALU_DEP_1)
	v_cvt_u32_f32_e32 v6, v6
	v_xor_b32_e32 v6, v6, v5
	s_delay_alu instid0(VALU_DEP_1)
	v_sub_nc_u32_e32 v5, v6, v5
	global_store_b8 v[0:1], v5, off
.LBB104_306:
	s_branch .LBB104_393
.LBB104_307:
	s_mov_b32 s16, 0
	s_branch .LBB104_505
.LBB104_308:
	s_mov_b32 s14, -1
	s_mov_b32 s0, 0
	s_mov_b32 s13, s11
                                        ; implicit-def: $vgpr5
	s_branch .LBB104_420
.LBB104_309:
	s_mov_b32 s14, -1
	s_mov_b32 s0, 0
	s_mov_b32 s13, s11
                                        ; implicit-def: $vgpr5
	s_branch .LBB104_401
.LBB104_310:
	s_mov_b32 s0, s9
	s_branch .LBB104_350
.LBB104_311:
	s_mov_b32 s14, -1
	s_mov_b32 s0, 0
	s_mov_b32 s13, s11
                                        ; implicit-def: $vgpr5
	s_branch .LBB104_396
.LBB104_312:
	s_mov_b32 s0, s9
	s_branch .LBB104_333
.LBB104_313:
	s_mov_b32 s14, -1
	s_mov_b32 s0, 0
	s_mov_b32 s13, s11
	s_branch .LBB104_318
.LBB104_314:
	s_mov_b32 s0, s9
	s_branch .LBB104_329
.LBB104_315:
	s_or_saveexec_b32 s15, s15
                                        ; implicit-def: $sgpr16
	s_delay_alu instid0(SALU_CYCLE_1)
	s_xor_b32 exec_lo, exec_lo, s15
	s_cbranch_execz .LBB104_52
.LBB104_316:
	v_add_f32_e64 v8, 0x42800000, |v9|
	s_and_not1_b32 s14, s14, exec_lo
	s_mov_b32 s16, 0
	s_delay_alu instid0(VALU_DEP_1) | instskip(NEXT) | instid1(VALU_DEP_1)
	v_and_b32_e32 v8, 0xff, v8
	v_cmp_ne_u32_e32 vcc_lo, 0, v8
	s_and_b32 s17, vcc_lo, exec_lo
	s_delay_alu instid0(SALU_CYCLE_1)
	s_or_b32 s14, s14, s17
	s_or_b32 exec_lo, exec_lo, s15
	v_mov_b32_e32 v10, s16
	s_and_saveexec_b32 s15, s14
	s_cbranch_execnz .LBB104_53
	s_branch .LBB104_54
.LBB104_317:
	s_mov_b32 s13, -1
	s_mov_b32 s0, 0
.LBB104_318:
                                        ; implicit-def: $vgpr5
.LBB104_319:
	s_and_b32 vcc_lo, exec_lo, s14
	s_cbranch_vccz .LBB104_395
; %bb.320:
	v_cmp_eq_u16_e32 vcc_lo, 44, v4
	s_cbranch_vccz .LBB104_394
; %bb.321:
	global_load_u8 v5, v[0:1], off
	s_mov_b32 s13, 0
	s_mov_b32 s0, -1
	s_waitcnt vmcnt(0)
	v_lshlrev_b32_e32 v6, 23, v5
	v_cmp_ne_u32_e32 vcc_lo, 0xff, v5
	s_delay_alu instid0(VALU_DEP_2) | instskip(SKIP_1) | instid1(VALU_DEP_2)
	v_cndmask_b32_e32 v6, 0x7f800001, v6, vcc_lo
	v_cmp_ne_u32_e32 vcc_lo, 0, v5
	v_cndmask_b32_e32 v5, 0x400000, v6, vcc_lo
	s_delay_alu instid0(VALU_DEP_1) | instskip(SKIP_1) | instid1(VALU_DEP_2)
	v_add_nc_u32_e32 v6, 0x7fff, v5
	v_cmp_o_f32_e32 vcc_lo, v5, v5
	v_lshrrev_b32_e32 v6, 16, v6
	s_delay_alu instid0(VALU_DEP_1)
	v_cndmask_b32_e32 v5, 0x7fc0, v6, vcc_lo
	s_branch .LBB104_395
.LBB104_322:
	s_mov_b32 s0, s9
.LBB104_323:
	s_and_b32 vcc_lo, exec_lo, s16
	s_cbranch_vccz .LBB104_328
; %bb.324:
	v_cmp_eq_u16_e32 vcc_lo, 44, v6
	s_mov_b32 s0, -1
	s_cbranch_vccz .LBB104_328
; %bb.325:
	v_and_b32_e32 v7, 0xffff, v5
	v_mov_b32_e32 v8, 0xff
	s_mov_b32 s14, exec_lo
	s_delay_alu instid0(VALU_DEP_2) | instskip(NEXT) | instid1(VALU_DEP_1)
	v_bfe_u32 v9, v7, 7, 8
	v_cmpx_ne_u32_e32 0xff, v9
; %bb.326:
	v_lshlrev_b32_e32 v8, 16, v7
	v_and_b32_e32 v10, 64, v7
	v_lshrrev_b32_e32 v7, 7, v7
	s_delay_alu instid0(VALU_DEP_3) | instskip(NEXT) | instid1(VALU_DEP_3)
	v_and_or_b32 v8, 0x3f0000, v8, v9
	v_cmp_ne_u32_e32 vcc_lo, 0, v10
	s_delay_alu instid0(VALU_DEP_2) | instskip(NEXT) | instid1(VALU_DEP_1)
	v_cmp_ne_u32_e64 s0, 0, v8
	s_and_b32 s0, vcc_lo, s0
	s_delay_alu instid0(SALU_CYCLE_1) | instskip(NEXT) | instid1(VALU_DEP_1)
	v_cndmask_b32_e64 v8, 0, 1, s0
	v_add_nc_u32_e32 v8, v7, v8
; %bb.327:
	s_or_b32 exec_lo, exec_lo, s14
	s_mov_b32 s14, -1
	s_mov_b32 s0, 0
	global_store_b8 v[0:1], v8, off
.LBB104_328:
	s_mov_b32 s16, 0
.LBB104_329:
	s_delay_alu instid0(SALU_CYCLE_1)
	s_and_b32 vcc_lo, exec_lo, s16
	s_cbranch_vccz .LBB104_332
; %bb.330:
	v_cmp_eq_u16_e32 vcc_lo, 29, v6
	s_mov_b32 s0, -1
	s_cbranch_vccz .LBB104_332
; %bb.331:
	v_lshlrev_b32_e32 v7, 16, v5
	s_mov_b32 s14, -1
	s_mov_b32 s0, 0
	s_mov_b32 s16, 0
	s_delay_alu instid0(VALU_DEP_1) | instskip(NEXT) | instid1(VALU_DEP_1)
	v_trunc_f32_e32 v7, v7
	v_mul_f32_e32 v8, 0x2f800000, v7
	s_delay_alu instid0(VALU_DEP_1) | instskip(NEXT) | instid1(VALU_DEP_1)
	v_floor_f32_e32 v8, v8
	v_fmamk_f32 v7, v8, 0xcf800000, v7
	v_cvt_u32_f32_e32 v8, v8
	s_delay_alu instid0(VALU_DEP_2)
	v_cvt_u32_f32_e32 v7, v7
	global_store_b64 v[0:1], v[7:8], off
	s_branch .LBB104_333
.LBB104_332:
	s_mov_b32 s16, 0
.LBB104_333:
	s_delay_alu instid0(SALU_CYCLE_1)
	s_and_b32 vcc_lo, exec_lo, s16
	s_cbranch_vccz .LBB104_349
; %bb.334:
	v_cmp_gt_i16_e32 vcc_lo, 27, v6
	s_mov_b32 s14, -1
	s_cbranch_vccnz .LBB104_340
; %bb.335:
	v_cmp_lt_i16_e32 vcc_lo, 27, v6
	s_cbranch_vccz .LBB104_337
; %bb.336:
	v_lshlrev_b32_e32 v7, 16, v5
	s_mov_b32 s14, 0
	s_delay_alu instid0(VALU_DEP_1)
	v_cvt_u32_f32_e32 v7, v7
	global_store_b32 v[0:1], v7, off
.LBB104_337:
	s_and_not1_b32 vcc_lo, exec_lo, s14
	s_cbranch_vccnz .LBB104_339
; %bb.338:
	v_lshlrev_b32_e32 v7, 16, v5
	s_delay_alu instid0(VALU_DEP_1)
	v_cvt_u32_f32_e32 v7, v7
	global_store_b16 v[0:1], v7, off
.LBB104_339:
	s_mov_b32 s14, 0
.LBB104_340:
	s_delay_alu instid0(SALU_CYCLE_1)
	s_and_not1_b32 vcc_lo, exec_lo, s14
	s_cbranch_vccnz .LBB104_348
; %bb.341:
	v_dual_mov_b32 v10, 0x80 :: v_dual_lshlrev_b32 v9, 16, v5
	s_mov_b32 s14, exec_lo
	s_delay_alu instid0(VALU_DEP_1) | instskip(NEXT) | instid1(VALU_DEP_1)
	v_and_b32_e32 v8, 0x7fffffff, v9
	v_cmpx_gt_u32_e32 0x43800000, v8
	s_cbranch_execz .LBB104_347
; %bb.342:
	v_and_b32_e32 v7, 0xffff, v5
	v_cmp_lt_u32_e32 vcc_lo, 0x3bffffff, v8
	s_mov_b32 s16, 0
                                        ; implicit-def: $vgpr8
	s_and_saveexec_b32 s17, vcc_lo
	s_delay_alu instid0(SALU_CYCLE_1)
	s_xor_b32 s17, exec_lo, s17
	s_cbranch_execz .LBB104_520
; %bb.343:
	v_bfe_u32 v8, v7, 4, 1
	s_mov_b32 s16, exec_lo
	s_delay_alu instid0(VALU_DEP_1) | instskip(NEXT) | instid1(VALU_DEP_1)
	v_add3_u32 v8, v9, v8, 0x487ffff
                                        ; implicit-def: $vgpr9
	v_lshrrev_b32_e32 v8, 20, v8
	s_or_saveexec_b32 s17, s17
                                        ; implicit-def: $sgpr18
	s_delay_alu instid0(SALU_CYCLE_1)
	s_xor_b32 exec_lo, exec_lo, s17
	s_cbranch_execnz .LBB104_521
.LBB104_344:
	s_or_b32 exec_lo, exec_lo, s17
	v_mov_b32_e32 v10, s18
	s_and_saveexec_b32 s17, s16
.LBB104_345:
	v_lshrrev_b32_e32 v7, 8, v7
	s_delay_alu instid0(VALU_DEP_1)
	v_and_or_b32 v10, 0x80, v7, v8
.LBB104_346:
	s_or_b32 exec_lo, exec_lo, s17
.LBB104_347:
	s_delay_alu instid0(SALU_CYCLE_1)
	s_or_b32 exec_lo, exec_lo, s14
	global_store_b8 v[0:1], v10, off
.LBB104_348:
	s_mov_b32 s14, -1
.LBB104_349:
	s_mov_b32 s16, 0
.LBB104_350:
	s_delay_alu instid0(SALU_CYCLE_1)
	s_and_b32 vcc_lo, exec_lo, s16
	s_cbranch_vccz .LBB104_391
; %bb.351:
	v_cmp_lt_i16_e32 vcc_lo, 22, v6
	s_mov_b32 s16, -1
	s_cbranch_vccz .LBB104_383
; %bb.352:
	v_cmp_gt_i16_e32 vcc_lo, 24, v6
	s_mov_b32 s14, -1
	s_cbranch_vccnz .LBB104_372
; %bb.353:
	v_cmp_lt_i16_e32 vcc_lo, 24, v6
	s_cbranch_vccz .LBB104_361
; %bb.354:
	v_dual_mov_b32 v10, 0x80 :: v_dual_lshlrev_b32 v9, 16, v5
	s_mov_b32 s14, exec_lo
	s_delay_alu instid0(VALU_DEP_1) | instskip(NEXT) | instid1(VALU_DEP_1)
	v_and_b32_e32 v8, 0x7fffffff, v9
	v_cmpx_gt_u32_e32 0x47800000, v8
	s_cbranch_execz .LBB104_360
; %bb.355:
	v_and_b32_e32 v7, 0xffff, v5
	v_cmp_lt_u32_e32 vcc_lo, 0x37ffffff, v8
	s_mov_b32 s16, 0
                                        ; implicit-def: $vgpr8
	s_and_saveexec_b32 s17, vcc_lo
	s_delay_alu instid0(SALU_CYCLE_1)
	s_xor_b32 s17, exec_lo, s17
	s_cbranch_execz .LBB104_523
; %bb.356:
	v_bfe_u32 v8, v7, 5, 1
	s_mov_b32 s16, exec_lo
	s_delay_alu instid0(VALU_DEP_1) | instskip(NEXT) | instid1(VALU_DEP_1)
	v_add3_u32 v8, v9, v8, 0x88fffff
                                        ; implicit-def: $vgpr9
	v_lshrrev_b32_e32 v8, 21, v8
	s_or_saveexec_b32 s17, s17
                                        ; implicit-def: $sgpr18
	s_delay_alu instid0(SALU_CYCLE_1)
	s_xor_b32 exec_lo, exec_lo, s17
	s_cbranch_execnz .LBB104_524
.LBB104_357:
	s_or_b32 exec_lo, exec_lo, s17
	v_mov_b32_e32 v10, s18
	s_and_saveexec_b32 s17, s16
.LBB104_358:
	v_lshrrev_b32_e32 v7, 8, v7
	s_delay_alu instid0(VALU_DEP_1)
	v_and_or_b32 v10, 0x80, v7, v8
.LBB104_359:
	s_or_b32 exec_lo, exec_lo, s17
.LBB104_360:
	s_delay_alu instid0(SALU_CYCLE_1)
	s_or_b32 exec_lo, exec_lo, s14
	s_mov_b32 s14, 0
	global_store_b8 v[0:1], v10, off
.LBB104_361:
	s_and_b32 vcc_lo, exec_lo, s14
	s_cbranch_vccz .LBB104_371
; %bb.362:
	v_lshlrev_b32_e32 v9, 16, v5
	v_and_b32_e32 v7, 0xffff, v5
	s_mov_b32 s14, exec_lo
                                        ; implicit-def: $vgpr8
	s_delay_alu instid0(VALU_DEP_2) | instskip(NEXT) | instid1(VALU_DEP_1)
	v_and_b32_e32 v10, 0x7fffffff, v9
	v_cmpx_gt_u32_e32 0x43f00000, v10
	s_xor_b32 s14, exec_lo, s14
	s_cbranch_execz .LBB104_368
; %bb.363:
	s_mov_b32 s16, exec_lo
                                        ; implicit-def: $vgpr8
	v_cmpx_lt_u32_e32 0x3c7fffff, v10
	s_xor_b32 s16, exec_lo, s16
; %bb.364:
	v_bfe_u32 v8, v7, 4, 1
	s_delay_alu instid0(VALU_DEP_1) | instskip(NEXT) | instid1(VALU_DEP_1)
	v_add3_u32 v8, v9, v8, 0x407ffff
	v_and_b32_e32 v9, 0xff00000, v8
	v_lshrrev_b32_e32 v8, 20, v8
	s_delay_alu instid0(VALU_DEP_2) | instskip(NEXT) | instid1(VALU_DEP_2)
	v_cmp_ne_u32_e32 vcc_lo, 0x7f00000, v9
                                        ; implicit-def: $vgpr9
	v_cndmask_b32_e32 v8, 0x7e, v8, vcc_lo
; %bb.365:
	s_and_not1_saveexec_b32 s16, s16
; %bb.366:
	v_add_f32_e64 v8, 0x46800000, |v9|
; %bb.367:
	s_or_b32 exec_lo, exec_lo, s16
                                        ; implicit-def: $vgpr10
.LBB104_368:
	s_and_not1_saveexec_b32 s14, s14
; %bb.369:
	v_mov_b32_e32 v8, 0x7f
	v_cmp_lt_u32_e32 vcc_lo, 0x7f800000, v10
	s_delay_alu instid0(VALU_DEP_2)
	v_cndmask_b32_e32 v8, 0x7e, v8, vcc_lo
; %bb.370:
	s_or_b32 exec_lo, exec_lo, s14
	v_lshrrev_b32_e32 v7, 8, v7
	s_delay_alu instid0(VALU_DEP_1)
	v_and_or_b32 v7, 0x80, v7, v8
	global_store_b8 v[0:1], v7, off
.LBB104_371:
	s_mov_b32 s14, 0
.LBB104_372:
	s_delay_alu instid0(SALU_CYCLE_1)
	s_and_not1_b32 vcc_lo, exec_lo, s14
	s_cbranch_vccnz .LBB104_382
; %bb.373:
	v_lshlrev_b32_e32 v9, 16, v5
	v_and_b32_e32 v7, 0xffff, v5
	s_mov_b32 s14, exec_lo
                                        ; implicit-def: $vgpr8
	s_delay_alu instid0(VALU_DEP_2) | instskip(NEXT) | instid1(VALU_DEP_1)
	v_and_b32_e32 v10, 0x7fffffff, v9
	v_cmpx_gt_u32_e32 0x47800000, v10
	s_xor_b32 s14, exec_lo, s14
	s_cbranch_execz .LBB104_379
; %bb.374:
	s_mov_b32 s16, exec_lo
                                        ; implicit-def: $vgpr8
	v_cmpx_lt_u32_e32 0x387fffff, v10
	s_xor_b32 s16, exec_lo, s16
; %bb.375:
	v_bfe_u32 v8, v7, 5, 1
	s_delay_alu instid0(VALU_DEP_1) | instskip(NEXT) | instid1(VALU_DEP_1)
	v_add3_u32 v8, v9, v8, 0x80fffff
                                        ; implicit-def: $vgpr9
	v_lshrrev_b32_e32 v8, 21, v8
; %bb.376:
	s_and_not1_saveexec_b32 s16, s16
; %bb.377:
	v_add_f32_e64 v8, 0x43000000, |v9|
; %bb.378:
	s_or_b32 exec_lo, exec_lo, s16
                                        ; implicit-def: $vgpr10
.LBB104_379:
	s_and_not1_saveexec_b32 s14, s14
; %bb.380:
	v_mov_b32_e32 v8, 0x7f
	v_cmp_lt_u32_e32 vcc_lo, 0x7f800000, v10
	s_delay_alu instid0(VALU_DEP_2)
	v_cndmask_b32_e32 v8, 0x7c, v8, vcc_lo
; %bb.381:
	s_or_b32 exec_lo, exec_lo, s14
	v_lshrrev_b32_e32 v7, 8, v7
	s_delay_alu instid0(VALU_DEP_1)
	v_and_or_b32 v7, 0x80, v7, v8
	global_store_b8 v[0:1], v7, off
.LBB104_382:
	s_mov_b32 s16, 0
	s_mov_b32 s14, -1
.LBB104_383:
	s_and_not1_b32 vcc_lo, exec_lo, s16
	s_cbranch_vccnz .LBB104_391
; %bb.384:
	v_cmp_lt_i16_e32 vcc_lo, 14, v6
	s_mov_b32 s16, -1
	s_cbranch_vccz .LBB104_388
; %bb.385:
	v_cmp_eq_u16_e32 vcc_lo, 15, v6
	s_mov_b32 s0, -1
	s_cbranch_vccz .LBB104_387
; %bb.386:
	s_mov_b32 s14, -1
	s_mov_b32 s0, 0
	global_store_b16 v[0:1], v5, off
.LBB104_387:
	s_mov_b32 s16, 0
.LBB104_388:
	s_delay_alu instid0(SALU_CYCLE_1)
	s_and_b32 vcc_lo, exec_lo, s16
	s_cbranch_vccz .LBB104_391
; %bb.389:
	v_cmp_eq_u16_e32 vcc_lo, 11, v6
	s_mov_b32 s0, -1
	s_cbranch_vccz .LBB104_391
; %bb.390:
	v_and_b32_e32 v7, 0x7fff, v5
	s_mov_b32 s0, 0
	s_mov_b32 s14, -1
	s_delay_alu instid0(VALU_DEP_1)
	v_cmp_ne_u16_e32 vcc_lo, 0, v7
	v_cndmask_b32_e64 v7, 0, 1, vcc_lo
	global_store_b8 v[0:1], v7, off
.LBB104_391:
.LBB104_392:
	s_and_not1_b32 vcc_lo, exec_lo, s14
	s_cbranch_vccnz .LBB104_307
.LBB104_393:
	v_add_nc_u32_e32 v3, 0x80, v3
	s_mov_b32 s16, -1
	s_branch .LBB104_506
.LBB104_394:
	s_mov_b32 s13, -1
                                        ; implicit-def: $vgpr5
.LBB104_395:
	s_mov_b32 s14, 0
.LBB104_396:
	s_delay_alu instid0(SALU_CYCLE_1)
	s_and_b32 vcc_lo, exec_lo, s14
	s_cbranch_vccz .LBB104_400
; %bb.397:
	v_cmp_eq_u16_e32 vcc_lo, 29, v4
	s_cbranch_vccz .LBB104_399
; %bb.398:
	global_load_b64 v[5:6], v[0:1], off
	s_mov_b32 s0, -1
	s_mov_b32 s13, 0
	s_mov_b32 s14, 0
	s_waitcnt vmcnt(0)
	v_clz_i32_u32_e32 v7, v6
	s_delay_alu instid0(VALU_DEP_1) | instskip(NEXT) | instid1(VALU_DEP_1)
	v_min_u32_e32 v7, 32, v7
	v_lshlrev_b64 v[5:6], v7, v[5:6]
	s_delay_alu instid0(VALU_DEP_1) | instskip(NEXT) | instid1(VALU_DEP_1)
	v_min_u32_e32 v5, 1, v5
	v_or_b32_e32 v5, v6, v5
	v_sub_nc_u32_e32 v6, 32, v7
	s_delay_alu instid0(VALU_DEP_2) | instskip(NEXT) | instid1(VALU_DEP_1)
	v_cvt_f32_u32_e32 v5, v5
	v_ldexp_f32 v5, v5, v6
	s_delay_alu instid0(VALU_DEP_1) | instskip(NEXT) | instid1(VALU_DEP_1)
	v_bfe_u32 v6, v5, 16, 1
	v_add3_u32 v5, v5, v6, 0x7fff
	s_delay_alu instid0(VALU_DEP_1)
	v_lshrrev_b32_e32 v5, 16, v5
	s_branch .LBB104_401
.LBB104_399:
	s_mov_b32 s13, -1
                                        ; implicit-def: $vgpr5
.LBB104_400:
	s_mov_b32 s14, 0
.LBB104_401:
	s_delay_alu instid0(SALU_CYCLE_1)
	s_and_b32 vcc_lo, exec_lo, s14
	s_cbranch_vccz .LBB104_419
; %bb.402:
	v_cmp_gt_i16_e32 vcc_lo, 27, v4
	s_cbranch_vccnz .LBB104_405
; %bb.403:
	v_cmp_lt_i16_e32 vcc_lo, 27, v4
	s_cbranch_vccz .LBB104_406
; %bb.404:
	global_load_b32 v5, v[0:1], off
	s_mov_b32 s0, 0
	s_waitcnt vmcnt(0)
	v_cvt_f32_u32_e32 v5, v5
	s_delay_alu instid0(VALU_DEP_1) | instskip(NEXT) | instid1(VALU_DEP_1)
	v_bfe_u32 v6, v5, 16, 1
	v_add3_u32 v5, v5, v6, 0x7fff
	s_delay_alu instid0(VALU_DEP_1)
	v_lshrrev_b32_e32 v5, 16, v5
	s_branch .LBB104_407
.LBB104_405:
	s_mov_b32 s0, -1
                                        ; implicit-def: $vgpr5
	s_branch .LBB104_410
.LBB104_406:
	s_mov_b32 s0, -1
                                        ; implicit-def: $vgpr5
.LBB104_407:
	s_delay_alu instid0(SALU_CYCLE_1)
	s_and_not1_b32 vcc_lo, exec_lo, s0
	s_cbranch_vccnz .LBB104_409
; %bb.408:
	global_load_u16 v5, v[0:1], off
	s_waitcnt vmcnt(0)
	v_cvt_f32_u32_e32 v5, v5
	s_delay_alu instid0(VALU_DEP_1) | instskip(NEXT) | instid1(VALU_DEP_1)
	v_bfe_u32 v6, v5, 16, 1
	v_add3_u32 v5, v5, v6, 0x7fff
	s_delay_alu instid0(VALU_DEP_1)
	v_lshrrev_b32_e32 v5, 16, v5
.LBB104_409:
	s_mov_b32 s0, 0
.LBB104_410:
	s_delay_alu instid0(SALU_CYCLE_1)
	s_and_not1_b32 vcc_lo, exec_lo, s0
	s_cbranch_vccnz .LBB104_418
; %bb.411:
	global_load_u8 v5, v[0:1], off
	s_mov_b32 s0, 0
	s_mov_b32 s16, exec_lo
                                        ; implicit-def: $sgpr14
	s_waitcnt vmcnt(0)
	v_cmpx_lt_i16_e32 0x7f, v5
	s_xor_b32 s16, exec_lo, s16
	s_cbranch_execz .LBB104_432
; %bb.412:
	s_mov_b32 s0, -1
	s_mov_b32 s17, exec_lo
                                        ; implicit-def: $sgpr14
	v_cmpx_eq_u16_e32 0x80, v5
; %bb.413:
	s_mov_b32 s14, 0x7f800001
	s_xor_b32 s0, exec_lo, -1
; %bb.414:
	s_or_b32 exec_lo, exec_lo, s17
	s_delay_alu instid0(SALU_CYCLE_1)
	s_and_b32 s0, s0, exec_lo
	s_or_saveexec_b32 s16, s16
	v_mov_b32_e32 v6, s14
	s_xor_b32 exec_lo, exec_lo, s16
	s_cbranch_execnz .LBB104_433
.LBB104_415:
	s_or_b32 exec_lo, exec_lo, s16
	s_and_saveexec_b32 s14, s0
	s_cbranch_execz .LBB104_417
.LBB104_416:
	v_and_b32_e32 v6, 0xffff, v5
	v_lshlrev_b32_e32 v5, 24, v5
	s_delay_alu instid0(VALU_DEP_2) | instskip(NEXT) | instid1(VALU_DEP_2)
	v_and_b32_e32 v7, 7, v6
	v_and_b32_e32 v5, 0x80000000, v5
	s_delay_alu instid0(VALU_DEP_2) | instskip(NEXT) | instid1(VALU_DEP_1)
	v_clz_i32_u32_e32 v8, v7
	v_min_u32_e32 v8, 32, v8
	s_delay_alu instid0(VALU_DEP_1) | instskip(SKIP_1) | instid1(VALU_DEP_2)
	v_subrev_nc_u32_e32 v9, 28, v8
	v_sub_nc_u32_e32 v8, 29, v8
	v_lshlrev_b32_e32 v9, v9, v6
	v_bfe_u32 v6, v6, 3, 4
	s_delay_alu instid0(VALU_DEP_2) | instskip(NEXT) | instid1(VALU_DEP_2)
	v_and_b32_e32 v9, 7, v9
	v_cmp_eq_u32_e32 vcc_lo, 0, v6
	s_delay_alu instid0(VALU_DEP_2) | instskip(NEXT) | instid1(VALU_DEP_1)
	v_dual_cndmask_b32 v6, v6, v8 :: v_dual_cndmask_b32 v7, v7, v9
	v_lshl_add_u32 v6, v6, 23, 0x3b800000
	s_delay_alu instid0(VALU_DEP_2) | instskip(NEXT) | instid1(VALU_DEP_1)
	v_lshlrev_b32_e32 v7, 20, v7
	v_or3_b32 v6, v5, v6, v7
.LBB104_417:
	s_or_b32 exec_lo, exec_lo, s14
	s_delay_alu instid0(VALU_DEP_1) | instskip(SKIP_1) | instid1(VALU_DEP_2)
	v_bfe_u32 v5, v6, 16, 1
	v_cmp_o_f32_e32 vcc_lo, v6, v6
	v_add3_u32 v5, v6, v5, 0x7fff
	s_delay_alu instid0(VALU_DEP_1) | instskip(NEXT) | instid1(VALU_DEP_1)
	v_lshrrev_b32_e32 v5, 16, v5
	v_cndmask_b32_e32 v5, 0x7fc0, v5, vcc_lo
.LBB104_418:
	s_mov_b32 s0, -1
.LBB104_419:
	s_mov_b32 s14, 0
.LBB104_420:
	s_delay_alu instid0(SALU_CYCLE_1)
	s_and_b32 vcc_lo, exec_lo, s14
	s_cbranch_vccz .LBB104_455
; %bb.421:
	v_cmp_lt_i16_e32 vcc_lo, 22, v4
	s_cbranch_vccz .LBB104_431
; %bb.422:
	v_cmp_gt_i16_e32 vcc_lo, 24, v4
	s_cbranch_vccnz .LBB104_434
; %bb.423:
	v_cmp_lt_i16_e32 vcc_lo, 24, v4
	s_cbranch_vccz .LBB104_435
; %bb.424:
	global_load_u8 v5, v[0:1], off
	s_mov_b32 s0, 0
	s_mov_b32 s16, exec_lo
                                        ; implicit-def: $sgpr14
	s_waitcnt vmcnt(0)
	v_cmpx_lt_i16_e32 0x7f, v5
	s_xor_b32 s16, exec_lo, s16
	s_cbranch_execz .LBB104_447
; %bb.425:
	s_mov_b32 s0, -1
	s_mov_b32 s17, exec_lo
                                        ; implicit-def: $sgpr14
	v_cmpx_eq_u16_e32 0x80, v5
; %bb.426:
	s_mov_b32 s14, 0x7f800001
	s_xor_b32 s0, exec_lo, -1
; %bb.427:
	s_or_b32 exec_lo, exec_lo, s17
	s_delay_alu instid0(SALU_CYCLE_1)
	s_and_b32 s0, s0, exec_lo
	s_or_saveexec_b32 s16, s16
	v_mov_b32_e32 v6, s14
	s_xor_b32 exec_lo, exec_lo, s16
	s_cbranch_execnz .LBB104_448
.LBB104_428:
	s_or_b32 exec_lo, exec_lo, s16
	s_and_saveexec_b32 s14, s0
	s_cbranch_execz .LBB104_430
.LBB104_429:
	v_and_b32_e32 v6, 0xffff, v5
	v_lshlrev_b32_e32 v5, 24, v5
	s_delay_alu instid0(VALU_DEP_2) | instskip(NEXT) | instid1(VALU_DEP_2)
	v_and_b32_e32 v7, 3, v6
	v_and_b32_e32 v5, 0x80000000, v5
	s_delay_alu instid0(VALU_DEP_2) | instskip(NEXT) | instid1(VALU_DEP_1)
	v_clz_i32_u32_e32 v8, v7
	v_min_u32_e32 v8, 32, v8
	s_delay_alu instid0(VALU_DEP_1) | instskip(SKIP_1) | instid1(VALU_DEP_2)
	v_subrev_nc_u32_e32 v9, 29, v8
	v_sub_nc_u32_e32 v8, 30, v8
	v_lshlrev_b32_e32 v9, v9, v6
	v_bfe_u32 v6, v6, 2, 5
	s_delay_alu instid0(VALU_DEP_2) | instskip(NEXT) | instid1(VALU_DEP_2)
	v_and_b32_e32 v9, 3, v9
	v_cmp_eq_u32_e32 vcc_lo, 0, v6
	s_delay_alu instid0(VALU_DEP_2) | instskip(NEXT) | instid1(VALU_DEP_1)
	v_dual_cndmask_b32 v6, v6, v8 :: v_dual_cndmask_b32 v7, v7, v9
	v_lshl_add_u32 v6, v6, 23, 0x37800000
	s_delay_alu instid0(VALU_DEP_2) | instskip(NEXT) | instid1(VALU_DEP_1)
	v_lshlrev_b32_e32 v7, 21, v7
	v_or3_b32 v6, v5, v6, v7
.LBB104_430:
	s_or_b32 exec_lo, exec_lo, s14
	s_delay_alu instid0(VALU_DEP_1) | instskip(SKIP_2) | instid1(VALU_DEP_2)
	v_bfe_u32 v5, v6, 16, 1
	v_cmp_o_f32_e32 vcc_lo, v6, v6
	s_mov_b32 s0, 0
	v_add3_u32 v5, v6, v5, 0x7fff
	s_delay_alu instid0(VALU_DEP_1) | instskip(NEXT) | instid1(VALU_DEP_1)
	v_lshrrev_b32_e32 v5, 16, v5
	v_cndmask_b32_e32 v5, 0x7fc0, v5, vcc_lo
	s_branch .LBB104_436
.LBB104_431:
	s_mov_b32 s14, -1
                                        ; implicit-def: $vgpr5
	s_branch .LBB104_442
.LBB104_432:
	s_or_saveexec_b32 s16, s16
	v_mov_b32_e32 v6, s14
	s_xor_b32 exec_lo, exec_lo, s16
	s_cbranch_execz .LBB104_415
.LBB104_433:
	v_cmp_ne_u16_e32 vcc_lo, 0, v5
	v_mov_b32_e32 v6, 0
	s_and_not1_b32 s0, s0, exec_lo
	s_and_b32 s14, vcc_lo, exec_lo
	s_delay_alu instid0(SALU_CYCLE_1)
	s_or_b32 s0, s0, s14
	s_or_b32 exec_lo, exec_lo, s16
	s_and_saveexec_b32 s14, s0
	s_cbranch_execnz .LBB104_416
	s_branch .LBB104_417
.LBB104_434:
	s_mov_b32 s0, -1
                                        ; implicit-def: $vgpr5
	s_branch .LBB104_439
.LBB104_435:
	s_mov_b32 s0, -1
                                        ; implicit-def: $vgpr5
.LBB104_436:
	s_delay_alu instid0(SALU_CYCLE_1)
	s_and_b32 vcc_lo, exec_lo, s0
	s_cbranch_vccz .LBB104_438
; %bb.437:
	global_load_u8 v5, v[0:1], off
	s_waitcnt vmcnt(0)
	v_lshlrev_b32_e32 v5, 24, v5
	s_delay_alu instid0(VALU_DEP_1) | instskip(NEXT) | instid1(VALU_DEP_1)
	v_and_b32_e32 v6, 0x7f000000, v5
	v_clz_i32_u32_e32 v7, v6
	v_add_nc_u32_e32 v9, 0x1000000, v6
	v_cmp_ne_u32_e32 vcc_lo, 0, v6
	s_delay_alu instid0(VALU_DEP_3) | instskip(NEXT) | instid1(VALU_DEP_1)
	v_min_u32_e32 v7, 32, v7
	v_sub_nc_u32_e64 v7, v7, 4 clamp
	s_delay_alu instid0(VALU_DEP_1) | instskip(SKIP_1) | instid1(VALU_DEP_2)
	v_lshlrev_b32_e32 v8, v7, v6
	v_lshlrev_b32_e32 v7, 23, v7
	v_lshrrev_b32_e32 v8, 4, v8
	s_delay_alu instid0(VALU_DEP_1) | instskip(SKIP_1) | instid1(VALU_DEP_2)
	v_sub_nc_u32_e32 v7, v8, v7
	v_ashrrev_i32_e32 v8, 8, v9
	v_add_nc_u32_e32 v7, 0x3c000000, v7
	s_delay_alu instid0(VALU_DEP_1) | instskip(NEXT) | instid1(VALU_DEP_1)
	v_and_or_b32 v7, 0x7f800000, v8, v7
	v_cndmask_b32_e32 v6, 0, v7, vcc_lo
	s_delay_alu instid0(VALU_DEP_1) | instskip(SKIP_1) | instid1(VALU_DEP_2)
	v_and_or_b32 v5, 0x80000000, v5, v6
	v_bfe_u32 v6, v6, 16, 1
	v_cmp_o_f32_e32 vcc_lo, v5, v5
	s_delay_alu instid0(VALU_DEP_2) | instskip(NEXT) | instid1(VALU_DEP_1)
	v_add3_u32 v6, v5, v6, 0x7fff
	v_lshrrev_b32_e32 v6, 16, v6
	s_delay_alu instid0(VALU_DEP_1)
	v_cndmask_b32_e32 v5, 0x7fc0, v6, vcc_lo
.LBB104_438:
	s_mov_b32 s0, 0
.LBB104_439:
	s_delay_alu instid0(SALU_CYCLE_1)
	s_and_not1_b32 vcc_lo, exec_lo, s0
	s_cbranch_vccnz .LBB104_441
; %bb.440:
	global_load_u8 v5, v[0:1], off
	s_waitcnt vmcnt(0)
	v_lshlrev_b32_e32 v6, 25, v5
	v_lshlrev_b16 v5, 8, v5
	s_delay_alu instid0(VALU_DEP_2) | instskip(NEXT) | instid1(VALU_DEP_2)
	v_lshrrev_b32_e32 v7, 4, v6
	v_and_or_b32 v8, 0x7f00, v5, 0.5
	v_bfe_i32 v5, v5, 0, 16
	s_delay_alu instid0(VALU_DEP_3) | instskip(NEXT) | instid1(VALU_DEP_1)
	v_or_b32_e32 v7, 0x70000000, v7
	v_dual_add_f32 v8, -0.5, v8 :: v_dual_mul_f32 v7, 0x7800000, v7
	v_cmp_gt_u32_e32 vcc_lo, 0x8000000, v6
	s_delay_alu instid0(VALU_DEP_2) | instskip(NEXT) | instid1(VALU_DEP_1)
	v_cndmask_b32_e32 v6, v7, v8, vcc_lo
	v_and_or_b32 v5, 0x80000000, v5, v6
	v_bfe_u32 v6, v6, 16, 1
	s_delay_alu instid0(VALU_DEP_2) | instskip(NEXT) | instid1(VALU_DEP_2)
	v_cmp_o_f32_e32 vcc_lo, v5, v5
	v_add3_u32 v6, v5, v6, 0x7fff
	s_delay_alu instid0(VALU_DEP_1) | instskip(NEXT) | instid1(VALU_DEP_1)
	v_lshrrev_b32_e32 v6, 16, v6
	v_cndmask_b32_e32 v5, 0x7fc0, v6, vcc_lo
.LBB104_441:
	s_mov_b32 s14, 0
	s_mov_b32 s0, -1
.LBB104_442:
	s_and_not1_b32 vcc_lo, exec_lo, s14
	s_cbranch_vccnz .LBB104_455
; %bb.443:
	v_cmp_lt_i16_e32 vcc_lo, 14, v4
	s_cbranch_vccz .LBB104_446
; %bb.444:
	v_cmp_eq_u16_e32 vcc_lo, 15, v4
	s_cbranch_vccz .LBB104_449
; %bb.445:
	global_load_u16 v5, v[0:1], off
	s_mov_b32 s0, -1
	s_mov_b32 s13, 0
	s_branch .LBB104_450
.LBB104_446:
	s_mov_b32 s14, -1
                                        ; implicit-def: $vgpr5
	s_branch .LBB104_451
.LBB104_447:
	s_or_saveexec_b32 s16, s16
	v_mov_b32_e32 v6, s14
	s_xor_b32 exec_lo, exec_lo, s16
	s_cbranch_execz .LBB104_428
.LBB104_448:
	v_cmp_ne_u16_e32 vcc_lo, 0, v5
	v_mov_b32_e32 v6, 0
	s_and_not1_b32 s0, s0, exec_lo
	s_and_b32 s14, vcc_lo, exec_lo
	s_delay_alu instid0(SALU_CYCLE_1)
	s_or_b32 s0, s0, s14
	s_or_b32 exec_lo, exec_lo, s16
	s_and_saveexec_b32 s14, s0
	s_cbranch_execnz .LBB104_429
	s_branch .LBB104_430
.LBB104_449:
	s_mov_b32 s13, -1
                                        ; implicit-def: $vgpr5
.LBB104_450:
	s_mov_b32 s14, 0
.LBB104_451:
	s_delay_alu instid0(SALU_CYCLE_1)
	s_and_b32 vcc_lo, exec_lo, s14
	s_cbranch_vccz .LBB104_455
; %bb.452:
	v_cmp_eq_u16_e32 vcc_lo, 11, v4
	s_cbranch_vccz .LBB104_454
; %bb.453:
	global_load_u8 v5, v[0:1], off
	s_mov_b32 s13, 0
	s_mov_b32 s0, -1
	s_waitcnt vmcnt(0)
	v_cmp_ne_u16_e32 vcc_lo, 0, v5
	v_cndmask_b32_e64 v5, 0, 1.0, vcc_lo
	s_delay_alu instid0(VALU_DEP_1)
	v_lshrrev_b32_e32 v5, 16, v5
	s_branch .LBB104_455
.LBB104_454:
	s_mov_b32 s13, -1
                                        ; implicit-def: $vgpr5
.LBB104_455:
	s_branch .LBB104_260
.LBB104_456:
	v_cmp_gt_i16_e32 vcc_lo, 5, v4
	s_cbranch_vccnz .LBB104_461
; %bb.457:
	v_cmp_gt_i16_e32 vcc_lo, 8, v4
	s_cbranch_vccnz .LBB104_462
; %bb.458:
	;; [unrolled: 3-line block ×3, first 2 shown]
	v_cmp_lt_i16_e32 vcc_lo, 9, v4
	s_cbranch_vccz .LBB104_464
; %bb.460:
	global_load_b64 v[5:6], v[0:1], off
	s_mov_b32 s0, 0
	s_waitcnt vmcnt(0)
	v_cvt_f32_f64_e32 v5, v[5:6]
	s_delay_alu instid0(VALU_DEP_1) | instskip(SKIP_1) | instid1(VALU_DEP_2)
	v_bfe_u32 v6, v5, 16, 1
	v_cmp_o_f32_e32 vcc_lo, v5, v5
	v_add3_u32 v6, v5, v6, 0x7fff
	s_delay_alu instid0(VALU_DEP_1) | instskip(NEXT) | instid1(VALU_DEP_1)
	v_lshrrev_b32_e32 v6, 16, v6
	v_cndmask_b32_e32 v5, 0x7fc0, v6, vcc_lo
	s_branch .LBB104_465
.LBB104_461:
	s_mov_b32 s0, -1
                                        ; implicit-def: $vgpr5
	s_branch .LBB104_483
.LBB104_462:
	s_mov_b32 s0, -1
                                        ; implicit-def: $vgpr5
	s_branch .LBB104_471
.LBB104_463:
	s_mov_b32 s0, -1
                                        ; implicit-def: $vgpr5
	s_branch .LBB104_468
.LBB104_464:
	s_mov_b32 s0, -1
                                        ; implicit-def: $vgpr5
.LBB104_465:
	s_delay_alu instid0(SALU_CYCLE_1)
	s_and_not1_b32 vcc_lo, exec_lo, s0
	s_cbranch_vccnz .LBB104_467
; %bb.466:
	global_load_b32 v5, v[0:1], off
	s_waitcnt vmcnt(0)
	v_bfe_u32 v6, v5, 16, 1
	v_cmp_o_f32_e32 vcc_lo, v5, v5
	s_delay_alu instid0(VALU_DEP_2) | instskip(NEXT) | instid1(VALU_DEP_1)
	v_add3_u32 v6, v5, v6, 0x7fff
	v_lshrrev_b32_e32 v6, 16, v6
	s_delay_alu instid0(VALU_DEP_1)
	v_cndmask_b32_e32 v5, 0x7fc0, v6, vcc_lo
.LBB104_467:
	s_mov_b32 s0, 0
.LBB104_468:
	s_delay_alu instid0(SALU_CYCLE_1)
	s_and_not1_b32 vcc_lo, exec_lo, s0
	s_cbranch_vccnz .LBB104_470
; %bb.469:
	global_load_b32 v5, v[0:1], off
	s_waitcnt vmcnt(0)
	v_cvt_f32_f16_e32 v6, v5
	v_cmp_o_f16_e32 vcc_lo, v5, v5
	s_delay_alu instid0(VALU_DEP_2) | instskip(NEXT) | instid1(VALU_DEP_1)
	v_bfe_u32 v7, v6, 16, 1
	v_add3_u32 v6, v6, v7, 0x7fff
	s_delay_alu instid0(VALU_DEP_1) | instskip(NEXT) | instid1(VALU_DEP_1)
	v_lshrrev_b32_e32 v6, 16, v6
	v_cndmask_b32_e32 v5, 0x7fc0, v6, vcc_lo
.LBB104_470:
	s_mov_b32 s0, 0
.LBB104_471:
	s_delay_alu instid0(SALU_CYCLE_1)
	s_and_not1_b32 vcc_lo, exec_lo, s0
	s_cbranch_vccnz .LBB104_482
; %bb.472:
	v_cmp_gt_i16_e32 vcc_lo, 6, v4
	s_cbranch_vccnz .LBB104_475
; %bb.473:
	v_cmp_lt_i16_e32 vcc_lo, 6, v4
	s_cbranch_vccz .LBB104_476
; %bb.474:
	global_load_b64 v[5:6], v[0:1], off
	s_mov_b32 s0, 0
	s_waitcnt vmcnt(0)
	v_cvt_f32_f64_e32 v5, v[5:6]
	s_delay_alu instid0(VALU_DEP_1) | instskip(SKIP_1) | instid1(VALU_DEP_2)
	v_bfe_u32 v6, v5, 16, 1
	v_cmp_o_f32_e32 vcc_lo, v5, v5
	v_add3_u32 v6, v5, v6, 0x7fff
	s_delay_alu instid0(VALU_DEP_1) | instskip(NEXT) | instid1(VALU_DEP_1)
	v_lshrrev_b32_e32 v6, 16, v6
	v_cndmask_b32_e32 v5, 0x7fc0, v6, vcc_lo
	s_branch .LBB104_477
.LBB104_475:
	s_mov_b32 s0, -1
                                        ; implicit-def: $vgpr5
	s_branch .LBB104_480
.LBB104_476:
	s_mov_b32 s0, -1
                                        ; implicit-def: $vgpr5
.LBB104_477:
	s_delay_alu instid0(SALU_CYCLE_1)
	s_and_not1_b32 vcc_lo, exec_lo, s0
	s_cbranch_vccnz .LBB104_479
; %bb.478:
	global_load_b32 v5, v[0:1], off
	s_waitcnt vmcnt(0)
	v_bfe_u32 v6, v5, 16, 1
	v_cmp_o_f32_e32 vcc_lo, v5, v5
	s_delay_alu instid0(VALU_DEP_2) | instskip(NEXT) | instid1(VALU_DEP_1)
	v_add3_u32 v6, v5, v6, 0x7fff
	v_lshrrev_b32_e32 v6, 16, v6
	s_delay_alu instid0(VALU_DEP_1)
	v_cndmask_b32_e32 v5, 0x7fc0, v6, vcc_lo
.LBB104_479:
	s_mov_b32 s0, 0
.LBB104_480:
	s_delay_alu instid0(SALU_CYCLE_1)
	s_and_not1_b32 vcc_lo, exec_lo, s0
	s_cbranch_vccnz .LBB104_482
; %bb.481:
	global_load_u16 v5, v[0:1], off
	s_waitcnt vmcnt(0)
	v_cvt_f32_f16_e32 v6, v5
	v_cmp_o_f16_e32 vcc_lo, v5, v5
	s_delay_alu instid0(VALU_DEP_2) | instskip(NEXT) | instid1(VALU_DEP_1)
	v_bfe_u32 v7, v6, 16, 1
	v_add3_u32 v6, v6, v7, 0x7fff
	s_delay_alu instid0(VALU_DEP_1) | instskip(NEXT) | instid1(VALU_DEP_1)
	v_lshrrev_b32_e32 v6, 16, v6
	v_cndmask_b32_e32 v5, 0x7fc0, v6, vcc_lo
.LBB104_482:
	s_mov_b32 s0, 0
.LBB104_483:
	s_delay_alu instid0(SALU_CYCLE_1)
	s_and_not1_b32 vcc_lo, exec_lo, s0
	s_cbranch_vccnz .LBB104_503
; %bb.484:
	v_cmp_gt_i16_e32 vcc_lo, 2, v4
	s_cbranch_vccnz .LBB104_488
; %bb.485:
	v_cmp_gt_i16_e32 vcc_lo, 3, v4
	s_cbranch_vccnz .LBB104_489
; %bb.486:
	v_cmp_lt_i16_e32 vcc_lo, 3, v4
	s_cbranch_vccz .LBB104_490
; %bb.487:
	global_load_b64 v[5:6], v[0:1], off
	s_mov_b32 s0, 0
	s_waitcnt vmcnt(0)
	v_xor_b32_e32 v7, v5, v6
	v_cls_i32_e32 v8, v6
	s_delay_alu instid0(VALU_DEP_2) | instskip(NEXT) | instid1(VALU_DEP_2)
	v_ashrrev_i32_e32 v7, 31, v7
	v_add_nc_u32_e32 v8, -1, v8
	s_delay_alu instid0(VALU_DEP_2) | instskip(NEXT) | instid1(VALU_DEP_1)
	v_add_nc_u32_e32 v7, 32, v7
	v_min_u32_e32 v7, v8, v7
	s_delay_alu instid0(VALU_DEP_1) | instskip(NEXT) | instid1(VALU_DEP_1)
	v_lshlrev_b64 v[5:6], v7, v[5:6]
	v_min_u32_e32 v5, 1, v5
	s_delay_alu instid0(VALU_DEP_1) | instskip(SKIP_1) | instid1(VALU_DEP_2)
	v_or_b32_e32 v5, v6, v5
	v_sub_nc_u32_e32 v6, 32, v7
	v_cvt_f32_i32_e32 v5, v5
	s_delay_alu instid0(VALU_DEP_1) | instskip(NEXT) | instid1(VALU_DEP_1)
	v_ldexp_f32 v5, v5, v6
	v_bfe_u32 v6, v5, 16, 1
	s_delay_alu instid0(VALU_DEP_1) | instskip(NEXT) | instid1(VALU_DEP_1)
	v_add3_u32 v5, v5, v6, 0x7fff
	v_lshrrev_b32_e32 v5, 16, v5
	s_branch .LBB104_491
.LBB104_488:
	s_mov_b32 s0, -1
                                        ; implicit-def: $vgpr5
	s_branch .LBB104_497
.LBB104_489:
	s_mov_b32 s0, -1
                                        ; implicit-def: $vgpr5
	s_branch .LBB104_494
.LBB104_490:
	s_mov_b32 s0, -1
                                        ; implicit-def: $vgpr5
.LBB104_491:
	s_delay_alu instid0(SALU_CYCLE_1)
	s_and_not1_b32 vcc_lo, exec_lo, s0
	s_cbranch_vccnz .LBB104_493
; %bb.492:
	global_load_b32 v5, v[0:1], off
	s_waitcnt vmcnt(0)
	v_cvt_f32_i32_e32 v5, v5
	s_delay_alu instid0(VALU_DEP_1) | instskip(NEXT) | instid1(VALU_DEP_1)
	v_bfe_u32 v6, v5, 16, 1
	v_add3_u32 v5, v5, v6, 0x7fff
	s_delay_alu instid0(VALU_DEP_1)
	v_lshrrev_b32_e32 v5, 16, v5
.LBB104_493:
	s_mov_b32 s0, 0
.LBB104_494:
	s_delay_alu instid0(SALU_CYCLE_1)
	s_and_not1_b32 vcc_lo, exec_lo, s0
	s_cbranch_vccnz .LBB104_496
; %bb.495:
	global_load_i16 v5, v[0:1], off
	s_waitcnt vmcnt(0)
	v_cvt_f32_i32_e32 v5, v5
	s_delay_alu instid0(VALU_DEP_1) | instskip(NEXT) | instid1(VALU_DEP_1)
	v_bfe_u32 v6, v5, 16, 1
	v_add3_u32 v5, v5, v6, 0x7fff
	s_delay_alu instid0(VALU_DEP_1)
	v_lshrrev_b32_e32 v5, 16, v5
.LBB104_496:
	s_mov_b32 s0, 0
.LBB104_497:
	s_delay_alu instid0(SALU_CYCLE_1)
	s_and_not1_b32 vcc_lo, exec_lo, s0
	s_cbranch_vccnz .LBB104_503
; %bb.498:
	v_cmp_lt_i16_e32 vcc_lo, 0, v4
	s_mov_b32 s0, 0
	s_cbranch_vccz .LBB104_500
; %bb.499:
	global_load_i8 v5, v[0:1], off
	s_waitcnt vmcnt(0)
	v_cvt_f32_i32_e32 v5, v5
	s_delay_alu instid0(VALU_DEP_1) | instskip(NEXT) | instid1(VALU_DEP_1)
	v_bfe_u32 v6, v5, 16, 1
	v_add3_u32 v5, v5, v6, 0x7fff
	s_delay_alu instid0(VALU_DEP_1)
	v_lshrrev_b32_e32 v5, 16, v5
	s_branch .LBB104_501
.LBB104_500:
	s_mov_b32 s0, -1
                                        ; implicit-def: $vgpr5
.LBB104_501:
	s_delay_alu instid0(SALU_CYCLE_1)
	s_and_not1_b32 vcc_lo, exec_lo, s0
	s_cbranch_vccnz .LBB104_503
; %bb.502:
	global_load_u8 v0, v[0:1], off
	s_waitcnt vmcnt(0)
	v_cvt_f32_ubyte0_e32 v0, v0
	s_delay_alu instid0(VALU_DEP_1) | instskip(NEXT) | instid1(VALU_DEP_1)
	v_bfe_u32 v1, v0, 16, 1
	v_add3_u32 v0, v0, v1, 0x7fff
	s_delay_alu instid0(VALU_DEP_1)
	v_lshrrev_b32_e32 v5, 16, v0
.LBB104_503:
	s_branch .LBB104_261
.LBB104_504:
	s_mov_b32 s16, 0
	s_mov_b32 s0, s9
.LBB104_505:
                                        ; implicit-def: $vgpr3
.LBB104_506:
	s_and_not1_b32 s14, s9, exec_lo
	s_and_b32 s0, s0, exec_lo
	s_and_not1_b32 s17, s11, exec_lo
	s_and_b32 s13, s13, exec_lo
	s_or_b32 s14, s14, s0
	s_or_b32 s13, s17, s13
	s_or_not1_b32 s17, s16, exec_lo
.LBB104_507:
	s_or_b32 exec_lo, exec_lo, s15
	s_mov_b32 s16, 0
	s_mov_b32 s18, 0
	;; [unrolled: 1-line block ×3, first 2 shown]
                                        ; implicit-def: $vgpr0_vgpr1
                                        ; implicit-def: $vgpr6
	s_and_saveexec_b32 s15, s17
	s_cbranch_execz .LBB104_853
; %bb.508:
	s_mov_b32 s0, -1
	s_mov_b32 s17, s13
	s_mov_b32 s18, s14
	s_mov_b32 s16, exec_lo
	v_cmpx_gt_i32_e64 s10, v3
	s_cbranch_execz .LBB104_767
; %bb.509:
	v_mul_lo_u32 v0, v3, s3
	v_cmp_gt_i16_e32 vcc_lo, 11, v4
	s_delay_alu instid0(VALU_DEP_2) | instskip(SKIP_1) | instid1(VALU_DEP_1)
	v_ashrrev_i32_e32 v1, 31, v0
	v_add_co_u32 v0, s0, s6, v0
	v_add_co_ci_u32_e64 v1, s0, s7, v1, s0
	s_cbranch_vccnz .LBB104_516
; %bb.510:
	v_cmp_lt_i16_e32 vcc_lo, 25, v4
	s_cbranch_vccz .LBB104_517
; %bb.511:
	v_cmp_lt_i16_e32 vcc_lo, 28, v4
	s_cbranch_vccz .LBB104_518
	;; [unrolled: 3-line block ×4, first 2 shown]
; %bb.514:
	v_cmp_eq_u16_e32 vcc_lo, 46, v4
	s_mov_b32 s18, 0
	s_cbranch_vccz .LBB104_525
; %bb.515:
	global_load_b32 v5, v[0:1], off
	s_mov_b32 s0, -1
	s_mov_b32 s17, 0
	s_branch .LBB104_527
.LBB104_516:
	s_mov_b32 s18, -1
	s_mov_b32 s0, 0
	s_mov_b32 s17, s13
                                        ; implicit-def: $vgpr5
	s_branch .LBB104_592
.LBB104_517:
	s_mov_b32 s18, -1
	s_mov_b32 s0, 0
	s_mov_b32 s17, s13
                                        ; implicit-def: $vgpr5
	s_branch .LBB104_556
.LBB104_518:
	s_mov_b32 s18, -1
	s_mov_b32 s0, 0
	s_mov_b32 s17, s13
                                        ; implicit-def: $vgpr5
	s_branch .LBB104_537
.LBB104_519:
	s_mov_b32 s18, -1
	s_mov_b32 s0, 0
	s_mov_b32 s17, s13
                                        ; implicit-def: $vgpr5
	s_branch .LBB104_532
.LBB104_520:
	s_or_saveexec_b32 s17, s17
                                        ; implicit-def: $sgpr18
	s_delay_alu instid0(SALU_CYCLE_1)
	s_xor_b32 exec_lo, exec_lo, s17
	s_cbranch_execz .LBB104_344
.LBB104_521:
	v_add_f32_e64 v8, 0x46000000, |v9|
	s_and_not1_b32 s16, s16, exec_lo
	s_mov_b32 s18, 0
	s_delay_alu instid0(VALU_DEP_1) | instskip(NEXT) | instid1(VALU_DEP_1)
	v_and_b32_e32 v8, 0xff, v8
	v_cmp_ne_u32_e32 vcc_lo, 0, v8
	s_and_b32 s19, vcc_lo, exec_lo
	s_delay_alu instid0(SALU_CYCLE_1)
	s_or_b32 s16, s16, s19
	s_or_b32 exec_lo, exec_lo, s17
	v_mov_b32_e32 v10, s18
	s_and_saveexec_b32 s17, s16
	s_cbranch_execnz .LBB104_345
	s_branch .LBB104_346
.LBB104_522:
	s_mov_b32 s18, -1
	s_mov_b32 s0, 0
	s_mov_b32 s17, s13
	s_branch .LBB104_526
.LBB104_523:
	s_or_saveexec_b32 s17, s17
                                        ; implicit-def: $sgpr18
	s_delay_alu instid0(SALU_CYCLE_1)
	s_xor_b32 exec_lo, exec_lo, s17
	s_cbranch_execz .LBB104_357
.LBB104_524:
	v_add_f32_e64 v8, 0x42800000, |v9|
	s_and_not1_b32 s16, s16, exec_lo
	s_mov_b32 s18, 0
	s_delay_alu instid0(VALU_DEP_1) | instskip(NEXT) | instid1(VALU_DEP_1)
	v_and_b32_e32 v8, 0xff, v8
	v_cmp_ne_u32_e32 vcc_lo, 0, v8
	s_and_b32 s19, vcc_lo, exec_lo
	s_delay_alu instid0(SALU_CYCLE_1)
	s_or_b32 s16, s16, s19
	s_or_b32 exec_lo, exec_lo, s17
	v_mov_b32_e32 v10, s18
	s_and_saveexec_b32 s17, s16
	s_cbranch_execnz .LBB104_358
	s_branch .LBB104_359
.LBB104_525:
	s_mov_b32 s17, -1
	s_mov_b32 s0, 0
.LBB104_526:
                                        ; implicit-def: $vgpr5
.LBB104_527:
	s_and_b32 vcc_lo, exec_lo, s18
	s_cbranch_vccz .LBB104_531
; %bb.528:
	v_cmp_eq_u16_e32 vcc_lo, 44, v4
	s_cbranch_vccz .LBB104_530
; %bb.529:
	global_load_u8 v5, v[0:1], off
	s_mov_b32 s17, 0
	s_mov_b32 s0, -1
	s_waitcnt vmcnt(0)
	v_lshlrev_b32_e32 v6, 23, v5
	v_cmp_ne_u32_e32 vcc_lo, 0xff, v5
	s_delay_alu instid0(VALU_DEP_2) | instskip(SKIP_1) | instid1(VALU_DEP_2)
	v_cndmask_b32_e32 v6, 0x7f800001, v6, vcc_lo
	v_cmp_ne_u32_e32 vcc_lo, 0, v5
	v_cndmask_b32_e32 v5, 0x400000, v6, vcc_lo
	s_delay_alu instid0(VALU_DEP_1) | instskip(SKIP_1) | instid1(VALU_DEP_2)
	v_add_nc_u32_e32 v6, 0x7fff, v5
	v_cmp_o_f32_e32 vcc_lo, v5, v5
	v_lshrrev_b32_e32 v6, 16, v6
	s_delay_alu instid0(VALU_DEP_1)
	v_cndmask_b32_e32 v5, 0x7fc0, v6, vcc_lo
	s_branch .LBB104_531
.LBB104_530:
	s_mov_b32 s17, -1
                                        ; implicit-def: $vgpr5
.LBB104_531:
	s_mov_b32 s18, 0
.LBB104_532:
	s_delay_alu instid0(SALU_CYCLE_1)
	s_and_b32 vcc_lo, exec_lo, s18
	s_cbranch_vccz .LBB104_536
; %bb.533:
	v_cmp_eq_u16_e32 vcc_lo, 29, v4
	s_cbranch_vccz .LBB104_535
; %bb.534:
	global_load_b64 v[5:6], v[0:1], off
	s_mov_b32 s0, -1
	s_mov_b32 s17, 0
	s_mov_b32 s18, 0
	s_waitcnt vmcnt(0)
	v_clz_i32_u32_e32 v7, v6
	s_delay_alu instid0(VALU_DEP_1) | instskip(NEXT) | instid1(VALU_DEP_1)
	v_min_u32_e32 v7, 32, v7
	v_lshlrev_b64 v[5:6], v7, v[5:6]
	s_delay_alu instid0(VALU_DEP_1) | instskip(NEXT) | instid1(VALU_DEP_1)
	v_min_u32_e32 v5, 1, v5
	v_or_b32_e32 v5, v6, v5
	v_sub_nc_u32_e32 v6, 32, v7
	s_delay_alu instid0(VALU_DEP_2) | instskip(NEXT) | instid1(VALU_DEP_1)
	v_cvt_f32_u32_e32 v5, v5
	v_ldexp_f32 v5, v5, v6
	s_delay_alu instid0(VALU_DEP_1) | instskip(NEXT) | instid1(VALU_DEP_1)
	v_bfe_u32 v6, v5, 16, 1
	v_add3_u32 v5, v5, v6, 0x7fff
	s_delay_alu instid0(VALU_DEP_1)
	v_lshrrev_b32_e32 v5, 16, v5
	s_branch .LBB104_537
.LBB104_535:
	s_mov_b32 s17, -1
                                        ; implicit-def: $vgpr5
.LBB104_536:
	s_mov_b32 s18, 0
.LBB104_537:
	s_delay_alu instid0(SALU_CYCLE_1)
	s_and_b32 vcc_lo, exec_lo, s18
	s_cbranch_vccz .LBB104_555
; %bb.538:
	v_cmp_gt_i16_e32 vcc_lo, 27, v4
	s_cbranch_vccnz .LBB104_541
; %bb.539:
	v_cmp_lt_i16_e32 vcc_lo, 27, v4
	s_cbranch_vccz .LBB104_542
; %bb.540:
	global_load_b32 v5, v[0:1], off
	s_mov_b32 s0, 0
	s_waitcnt vmcnt(0)
	v_cvt_f32_u32_e32 v5, v5
	s_delay_alu instid0(VALU_DEP_1) | instskip(NEXT) | instid1(VALU_DEP_1)
	v_bfe_u32 v6, v5, 16, 1
	v_add3_u32 v5, v5, v6, 0x7fff
	s_delay_alu instid0(VALU_DEP_1)
	v_lshrrev_b32_e32 v5, 16, v5
	s_branch .LBB104_543
.LBB104_541:
	s_mov_b32 s0, -1
                                        ; implicit-def: $vgpr5
	s_branch .LBB104_546
.LBB104_542:
	s_mov_b32 s0, -1
                                        ; implicit-def: $vgpr5
.LBB104_543:
	s_delay_alu instid0(SALU_CYCLE_1)
	s_and_not1_b32 vcc_lo, exec_lo, s0
	s_cbranch_vccnz .LBB104_545
; %bb.544:
	global_load_u16 v5, v[0:1], off
	s_waitcnt vmcnt(0)
	v_cvt_f32_u32_e32 v5, v5
	s_delay_alu instid0(VALU_DEP_1) | instskip(NEXT) | instid1(VALU_DEP_1)
	v_bfe_u32 v6, v5, 16, 1
	v_add3_u32 v5, v5, v6, 0x7fff
	s_delay_alu instid0(VALU_DEP_1)
	v_lshrrev_b32_e32 v5, 16, v5
.LBB104_545:
	s_mov_b32 s0, 0
.LBB104_546:
	s_delay_alu instid0(SALU_CYCLE_1)
	s_and_not1_b32 vcc_lo, exec_lo, s0
	s_cbranch_vccnz .LBB104_554
; %bb.547:
	global_load_u8 v5, v[0:1], off
	s_mov_b32 s0, 0
	s_mov_b32 s19, exec_lo
                                        ; implicit-def: $sgpr18
	s_waitcnt vmcnt(0)
	v_cmpx_lt_i16_e32 0x7f, v5
	s_xor_b32 s19, exec_lo, s19
	s_cbranch_execz .LBB104_568
; %bb.548:
	s_mov_b32 s0, -1
	s_mov_b32 s20, exec_lo
                                        ; implicit-def: $sgpr18
	v_cmpx_eq_u16_e32 0x80, v5
; %bb.549:
	s_mov_b32 s18, 0x7f800001
	s_xor_b32 s0, exec_lo, -1
; %bb.550:
	s_or_b32 exec_lo, exec_lo, s20
	s_delay_alu instid0(SALU_CYCLE_1)
	s_and_b32 s0, s0, exec_lo
	s_or_saveexec_b32 s19, s19
	v_mov_b32_e32 v6, s18
	s_xor_b32 exec_lo, exec_lo, s19
	s_cbranch_execnz .LBB104_569
.LBB104_551:
	s_or_b32 exec_lo, exec_lo, s19
	s_and_saveexec_b32 s18, s0
	s_cbranch_execz .LBB104_553
.LBB104_552:
	v_and_b32_e32 v6, 0xffff, v5
	v_lshlrev_b32_e32 v5, 24, v5
	s_delay_alu instid0(VALU_DEP_2) | instskip(NEXT) | instid1(VALU_DEP_2)
	v_and_b32_e32 v7, 7, v6
	v_and_b32_e32 v5, 0x80000000, v5
	s_delay_alu instid0(VALU_DEP_2) | instskip(NEXT) | instid1(VALU_DEP_1)
	v_clz_i32_u32_e32 v8, v7
	v_min_u32_e32 v8, 32, v8
	s_delay_alu instid0(VALU_DEP_1) | instskip(SKIP_1) | instid1(VALU_DEP_2)
	v_subrev_nc_u32_e32 v9, 28, v8
	v_sub_nc_u32_e32 v8, 29, v8
	v_lshlrev_b32_e32 v9, v9, v6
	v_bfe_u32 v6, v6, 3, 4
	s_delay_alu instid0(VALU_DEP_2) | instskip(NEXT) | instid1(VALU_DEP_2)
	v_and_b32_e32 v9, 7, v9
	v_cmp_eq_u32_e32 vcc_lo, 0, v6
	s_delay_alu instid0(VALU_DEP_2) | instskip(NEXT) | instid1(VALU_DEP_1)
	v_dual_cndmask_b32 v6, v6, v8 :: v_dual_cndmask_b32 v7, v7, v9
	v_lshl_add_u32 v6, v6, 23, 0x3b800000
	s_delay_alu instid0(VALU_DEP_2) | instskip(NEXT) | instid1(VALU_DEP_1)
	v_lshlrev_b32_e32 v7, 20, v7
	v_or3_b32 v6, v5, v6, v7
.LBB104_553:
	s_or_b32 exec_lo, exec_lo, s18
	s_delay_alu instid0(VALU_DEP_1) | instskip(SKIP_1) | instid1(VALU_DEP_2)
	v_bfe_u32 v5, v6, 16, 1
	v_cmp_o_f32_e32 vcc_lo, v6, v6
	v_add3_u32 v5, v6, v5, 0x7fff
	s_delay_alu instid0(VALU_DEP_1) | instskip(NEXT) | instid1(VALU_DEP_1)
	v_lshrrev_b32_e32 v5, 16, v5
	v_cndmask_b32_e32 v5, 0x7fc0, v5, vcc_lo
.LBB104_554:
	s_mov_b32 s0, -1
.LBB104_555:
	s_mov_b32 s18, 0
.LBB104_556:
	s_delay_alu instid0(SALU_CYCLE_1)
	s_and_b32 vcc_lo, exec_lo, s18
	s_cbranch_vccz .LBB104_591
; %bb.557:
	v_cmp_lt_i16_e32 vcc_lo, 22, v4
	s_cbranch_vccz .LBB104_567
; %bb.558:
	v_cmp_gt_i16_e32 vcc_lo, 24, v4
	s_cbranch_vccnz .LBB104_570
; %bb.559:
	v_cmp_lt_i16_e32 vcc_lo, 24, v4
	s_cbranch_vccz .LBB104_571
; %bb.560:
	global_load_u8 v5, v[0:1], off
	s_mov_b32 s0, 0
	s_mov_b32 s19, exec_lo
                                        ; implicit-def: $sgpr18
	s_waitcnt vmcnt(0)
	v_cmpx_lt_i16_e32 0x7f, v5
	s_xor_b32 s19, exec_lo, s19
	s_cbranch_execz .LBB104_583
; %bb.561:
	s_mov_b32 s0, -1
	s_mov_b32 s20, exec_lo
                                        ; implicit-def: $sgpr18
	v_cmpx_eq_u16_e32 0x80, v5
; %bb.562:
	s_mov_b32 s18, 0x7f800001
	s_xor_b32 s0, exec_lo, -1
; %bb.563:
	s_or_b32 exec_lo, exec_lo, s20
	s_delay_alu instid0(SALU_CYCLE_1)
	s_and_b32 s0, s0, exec_lo
	s_or_saveexec_b32 s19, s19
	v_mov_b32_e32 v6, s18
	s_xor_b32 exec_lo, exec_lo, s19
	s_cbranch_execnz .LBB104_584
.LBB104_564:
	s_or_b32 exec_lo, exec_lo, s19
	s_and_saveexec_b32 s18, s0
	s_cbranch_execz .LBB104_566
.LBB104_565:
	v_and_b32_e32 v6, 0xffff, v5
	v_lshlrev_b32_e32 v5, 24, v5
	s_delay_alu instid0(VALU_DEP_2) | instskip(NEXT) | instid1(VALU_DEP_2)
	v_and_b32_e32 v7, 3, v6
	v_and_b32_e32 v5, 0x80000000, v5
	s_delay_alu instid0(VALU_DEP_2) | instskip(NEXT) | instid1(VALU_DEP_1)
	v_clz_i32_u32_e32 v8, v7
	v_min_u32_e32 v8, 32, v8
	s_delay_alu instid0(VALU_DEP_1) | instskip(SKIP_1) | instid1(VALU_DEP_2)
	v_subrev_nc_u32_e32 v9, 29, v8
	v_sub_nc_u32_e32 v8, 30, v8
	v_lshlrev_b32_e32 v9, v9, v6
	v_bfe_u32 v6, v6, 2, 5
	s_delay_alu instid0(VALU_DEP_2) | instskip(NEXT) | instid1(VALU_DEP_2)
	v_and_b32_e32 v9, 3, v9
	v_cmp_eq_u32_e32 vcc_lo, 0, v6
	s_delay_alu instid0(VALU_DEP_2) | instskip(NEXT) | instid1(VALU_DEP_1)
	v_dual_cndmask_b32 v6, v6, v8 :: v_dual_cndmask_b32 v7, v7, v9
	v_lshl_add_u32 v6, v6, 23, 0x37800000
	s_delay_alu instid0(VALU_DEP_2) | instskip(NEXT) | instid1(VALU_DEP_1)
	v_lshlrev_b32_e32 v7, 21, v7
	v_or3_b32 v6, v5, v6, v7
.LBB104_566:
	s_or_b32 exec_lo, exec_lo, s18
	s_delay_alu instid0(VALU_DEP_1) | instskip(SKIP_2) | instid1(VALU_DEP_2)
	v_bfe_u32 v5, v6, 16, 1
	v_cmp_o_f32_e32 vcc_lo, v6, v6
	s_mov_b32 s0, 0
	v_add3_u32 v5, v6, v5, 0x7fff
	s_delay_alu instid0(VALU_DEP_1) | instskip(NEXT) | instid1(VALU_DEP_1)
	v_lshrrev_b32_e32 v5, 16, v5
	v_cndmask_b32_e32 v5, 0x7fc0, v5, vcc_lo
	s_branch .LBB104_572
.LBB104_567:
	s_mov_b32 s18, -1
                                        ; implicit-def: $vgpr5
	s_branch .LBB104_578
.LBB104_568:
	s_or_saveexec_b32 s19, s19
	v_mov_b32_e32 v6, s18
	s_xor_b32 exec_lo, exec_lo, s19
	s_cbranch_execz .LBB104_551
.LBB104_569:
	v_cmp_ne_u16_e32 vcc_lo, 0, v5
	v_mov_b32_e32 v6, 0
	s_and_not1_b32 s0, s0, exec_lo
	s_and_b32 s18, vcc_lo, exec_lo
	s_delay_alu instid0(SALU_CYCLE_1)
	s_or_b32 s0, s0, s18
	s_or_b32 exec_lo, exec_lo, s19
	s_and_saveexec_b32 s18, s0
	s_cbranch_execnz .LBB104_552
	s_branch .LBB104_553
.LBB104_570:
	s_mov_b32 s0, -1
                                        ; implicit-def: $vgpr5
	s_branch .LBB104_575
.LBB104_571:
	s_mov_b32 s0, -1
                                        ; implicit-def: $vgpr5
.LBB104_572:
	s_delay_alu instid0(SALU_CYCLE_1)
	s_and_b32 vcc_lo, exec_lo, s0
	s_cbranch_vccz .LBB104_574
; %bb.573:
	global_load_u8 v5, v[0:1], off
	s_waitcnt vmcnt(0)
	v_lshlrev_b32_e32 v5, 24, v5
	s_delay_alu instid0(VALU_DEP_1) | instskip(NEXT) | instid1(VALU_DEP_1)
	v_and_b32_e32 v6, 0x7f000000, v5
	v_clz_i32_u32_e32 v7, v6
	v_add_nc_u32_e32 v9, 0x1000000, v6
	v_cmp_ne_u32_e32 vcc_lo, 0, v6
	s_delay_alu instid0(VALU_DEP_3) | instskip(NEXT) | instid1(VALU_DEP_1)
	v_min_u32_e32 v7, 32, v7
	v_sub_nc_u32_e64 v7, v7, 4 clamp
	s_delay_alu instid0(VALU_DEP_1) | instskip(SKIP_1) | instid1(VALU_DEP_2)
	v_lshlrev_b32_e32 v8, v7, v6
	v_lshlrev_b32_e32 v7, 23, v7
	v_lshrrev_b32_e32 v8, 4, v8
	s_delay_alu instid0(VALU_DEP_1) | instskip(SKIP_1) | instid1(VALU_DEP_2)
	v_sub_nc_u32_e32 v7, v8, v7
	v_ashrrev_i32_e32 v8, 8, v9
	v_add_nc_u32_e32 v7, 0x3c000000, v7
	s_delay_alu instid0(VALU_DEP_1) | instskip(NEXT) | instid1(VALU_DEP_1)
	v_and_or_b32 v7, 0x7f800000, v8, v7
	v_cndmask_b32_e32 v6, 0, v7, vcc_lo
	s_delay_alu instid0(VALU_DEP_1) | instskip(SKIP_1) | instid1(VALU_DEP_2)
	v_and_or_b32 v5, 0x80000000, v5, v6
	v_bfe_u32 v6, v6, 16, 1
	v_cmp_o_f32_e32 vcc_lo, v5, v5
	s_delay_alu instid0(VALU_DEP_2) | instskip(NEXT) | instid1(VALU_DEP_1)
	v_add3_u32 v6, v5, v6, 0x7fff
	v_lshrrev_b32_e32 v6, 16, v6
	s_delay_alu instid0(VALU_DEP_1)
	v_cndmask_b32_e32 v5, 0x7fc0, v6, vcc_lo
.LBB104_574:
	s_mov_b32 s0, 0
.LBB104_575:
	s_delay_alu instid0(SALU_CYCLE_1)
	s_and_not1_b32 vcc_lo, exec_lo, s0
	s_cbranch_vccnz .LBB104_577
; %bb.576:
	global_load_u8 v5, v[0:1], off
	s_waitcnt vmcnt(0)
	v_lshlrev_b32_e32 v6, 25, v5
	v_lshlrev_b16 v5, 8, v5
	s_delay_alu instid0(VALU_DEP_2) | instskip(NEXT) | instid1(VALU_DEP_2)
	v_lshrrev_b32_e32 v7, 4, v6
	v_and_or_b32 v8, 0x7f00, v5, 0.5
	v_bfe_i32 v5, v5, 0, 16
	s_delay_alu instid0(VALU_DEP_3) | instskip(NEXT) | instid1(VALU_DEP_1)
	v_or_b32_e32 v7, 0x70000000, v7
	v_dual_add_f32 v8, -0.5, v8 :: v_dual_mul_f32 v7, 0x7800000, v7
	v_cmp_gt_u32_e32 vcc_lo, 0x8000000, v6
	s_delay_alu instid0(VALU_DEP_2) | instskip(NEXT) | instid1(VALU_DEP_1)
	v_cndmask_b32_e32 v6, v7, v8, vcc_lo
	v_and_or_b32 v5, 0x80000000, v5, v6
	v_bfe_u32 v6, v6, 16, 1
	s_delay_alu instid0(VALU_DEP_2) | instskip(NEXT) | instid1(VALU_DEP_2)
	v_cmp_o_f32_e32 vcc_lo, v5, v5
	v_add3_u32 v6, v5, v6, 0x7fff
	s_delay_alu instid0(VALU_DEP_1) | instskip(NEXT) | instid1(VALU_DEP_1)
	v_lshrrev_b32_e32 v6, 16, v6
	v_cndmask_b32_e32 v5, 0x7fc0, v6, vcc_lo
.LBB104_577:
	s_mov_b32 s18, 0
	s_mov_b32 s0, -1
.LBB104_578:
	s_and_not1_b32 vcc_lo, exec_lo, s18
	s_cbranch_vccnz .LBB104_591
; %bb.579:
	v_cmp_lt_i16_e32 vcc_lo, 14, v4
	s_cbranch_vccz .LBB104_582
; %bb.580:
	v_cmp_eq_u16_e32 vcc_lo, 15, v4
	s_cbranch_vccz .LBB104_585
; %bb.581:
	global_load_u16 v5, v[0:1], off
	s_mov_b32 s0, -1
	s_mov_b32 s17, 0
	s_branch .LBB104_586
.LBB104_582:
	s_mov_b32 s18, -1
                                        ; implicit-def: $vgpr5
	s_branch .LBB104_587
.LBB104_583:
	s_or_saveexec_b32 s19, s19
	v_mov_b32_e32 v6, s18
	s_xor_b32 exec_lo, exec_lo, s19
	s_cbranch_execz .LBB104_564
.LBB104_584:
	v_cmp_ne_u16_e32 vcc_lo, 0, v5
	v_mov_b32_e32 v6, 0
	s_and_not1_b32 s0, s0, exec_lo
	s_and_b32 s18, vcc_lo, exec_lo
	s_delay_alu instid0(SALU_CYCLE_1)
	s_or_b32 s0, s0, s18
	s_or_b32 exec_lo, exec_lo, s19
	s_and_saveexec_b32 s18, s0
	s_cbranch_execnz .LBB104_565
	s_branch .LBB104_566
.LBB104_585:
	s_mov_b32 s17, -1
                                        ; implicit-def: $vgpr5
.LBB104_586:
	s_mov_b32 s18, 0
.LBB104_587:
	s_delay_alu instid0(SALU_CYCLE_1)
	s_and_b32 vcc_lo, exec_lo, s18
	s_cbranch_vccz .LBB104_591
; %bb.588:
	v_cmp_eq_u16_e32 vcc_lo, 11, v4
	s_cbranch_vccz .LBB104_590
; %bb.589:
	global_load_u8 v5, v[0:1], off
	s_mov_b32 s17, 0
	s_mov_b32 s0, -1
	s_waitcnt vmcnt(0)
	v_cmp_ne_u16_e32 vcc_lo, 0, v5
	v_cndmask_b32_e64 v5, 0, 1.0, vcc_lo
	s_delay_alu instid0(VALU_DEP_1)
	v_lshrrev_b32_e32 v5, 16, v5
	s_branch .LBB104_591
.LBB104_590:
	s_mov_b32 s17, -1
                                        ; implicit-def: $vgpr5
.LBB104_591:
	s_mov_b32 s18, 0
.LBB104_592:
	s_delay_alu instid0(SALU_CYCLE_1)
	s_and_b32 vcc_lo, exec_lo, s18
	s_cbranch_vccz .LBB104_641
; %bb.593:
	v_cmp_gt_i16_e32 vcc_lo, 5, v4
	s_cbranch_vccnz .LBB104_598
; %bb.594:
	v_cmp_gt_i16_e32 vcc_lo, 8, v4
	s_cbranch_vccnz .LBB104_599
	;; [unrolled: 3-line block ×3, first 2 shown]
; %bb.596:
	v_cmp_lt_i16_e32 vcc_lo, 9, v4
	s_cbranch_vccz .LBB104_601
; %bb.597:
	global_load_b64 v[5:6], v[0:1], off
	s_mov_b32 s0, 0
	s_waitcnt vmcnt(0)
	v_cvt_f32_f64_e32 v5, v[5:6]
	s_delay_alu instid0(VALU_DEP_1) | instskip(SKIP_1) | instid1(VALU_DEP_2)
	v_bfe_u32 v6, v5, 16, 1
	v_cmp_o_f32_e32 vcc_lo, v5, v5
	v_add3_u32 v6, v5, v6, 0x7fff
	s_delay_alu instid0(VALU_DEP_1) | instskip(NEXT) | instid1(VALU_DEP_1)
	v_lshrrev_b32_e32 v6, 16, v6
	v_cndmask_b32_e32 v5, 0x7fc0, v6, vcc_lo
	s_branch .LBB104_602
.LBB104_598:
	s_mov_b32 s0, -1
                                        ; implicit-def: $vgpr5
	s_branch .LBB104_620
.LBB104_599:
	s_mov_b32 s0, -1
                                        ; implicit-def: $vgpr5
	s_branch .LBB104_608
.LBB104_600:
	s_mov_b32 s0, -1
                                        ; implicit-def: $vgpr5
	s_branch .LBB104_605
.LBB104_601:
	s_mov_b32 s0, -1
                                        ; implicit-def: $vgpr5
.LBB104_602:
	s_delay_alu instid0(SALU_CYCLE_1)
	s_and_not1_b32 vcc_lo, exec_lo, s0
	s_cbranch_vccnz .LBB104_604
; %bb.603:
	global_load_b32 v5, v[0:1], off
	s_waitcnt vmcnt(0)
	v_bfe_u32 v6, v5, 16, 1
	v_cmp_o_f32_e32 vcc_lo, v5, v5
	s_delay_alu instid0(VALU_DEP_2) | instskip(NEXT) | instid1(VALU_DEP_1)
	v_add3_u32 v6, v5, v6, 0x7fff
	v_lshrrev_b32_e32 v6, 16, v6
	s_delay_alu instid0(VALU_DEP_1)
	v_cndmask_b32_e32 v5, 0x7fc0, v6, vcc_lo
.LBB104_604:
	s_mov_b32 s0, 0
.LBB104_605:
	s_delay_alu instid0(SALU_CYCLE_1)
	s_and_not1_b32 vcc_lo, exec_lo, s0
	s_cbranch_vccnz .LBB104_607
; %bb.606:
	global_load_b32 v5, v[0:1], off
	s_waitcnt vmcnt(0)
	v_cvt_f32_f16_e32 v6, v5
	v_cmp_o_f16_e32 vcc_lo, v5, v5
	s_delay_alu instid0(VALU_DEP_2) | instskip(NEXT) | instid1(VALU_DEP_1)
	v_bfe_u32 v7, v6, 16, 1
	v_add3_u32 v6, v6, v7, 0x7fff
	s_delay_alu instid0(VALU_DEP_1) | instskip(NEXT) | instid1(VALU_DEP_1)
	v_lshrrev_b32_e32 v6, 16, v6
	v_cndmask_b32_e32 v5, 0x7fc0, v6, vcc_lo
.LBB104_607:
	s_mov_b32 s0, 0
.LBB104_608:
	s_delay_alu instid0(SALU_CYCLE_1)
	s_and_not1_b32 vcc_lo, exec_lo, s0
	s_cbranch_vccnz .LBB104_619
; %bb.609:
	v_cmp_gt_i16_e32 vcc_lo, 6, v4
	s_cbranch_vccnz .LBB104_612
; %bb.610:
	v_cmp_lt_i16_e32 vcc_lo, 6, v4
	s_cbranch_vccz .LBB104_613
; %bb.611:
	global_load_b64 v[5:6], v[0:1], off
	s_mov_b32 s0, 0
	s_waitcnt vmcnt(0)
	v_cvt_f32_f64_e32 v5, v[5:6]
	s_delay_alu instid0(VALU_DEP_1) | instskip(SKIP_1) | instid1(VALU_DEP_2)
	v_bfe_u32 v6, v5, 16, 1
	v_cmp_o_f32_e32 vcc_lo, v5, v5
	v_add3_u32 v6, v5, v6, 0x7fff
	s_delay_alu instid0(VALU_DEP_1) | instskip(NEXT) | instid1(VALU_DEP_1)
	v_lshrrev_b32_e32 v6, 16, v6
	v_cndmask_b32_e32 v5, 0x7fc0, v6, vcc_lo
	s_branch .LBB104_614
.LBB104_612:
	s_mov_b32 s0, -1
                                        ; implicit-def: $vgpr5
	s_branch .LBB104_617
.LBB104_613:
	s_mov_b32 s0, -1
                                        ; implicit-def: $vgpr5
.LBB104_614:
	s_delay_alu instid0(SALU_CYCLE_1)
	s_and_not1_b32 vcc_lo, exec_lo, s0
	s_cbranch_vccnz .LBB104_616
; %bb.615:
	global_load_b32 v5, v[0:1], off
	s_waitcnt vmcnt(0)
	v_bfe_u32 v6, v5, 16, 1
	v_cmp_o_f32_e32 vcc_lo, v5, v5
	s_delay_alu instid0(VALU_DEP_2) | instskip(NEXT) | instid1(VALU_DEP_1)
	v_add3_u32 v6, v5, v6, 0x7fff
	v_lshrrev_b32_e32 v6, 16, v6
	s_delay_alu instid0(VALU_DEP_1)
	v_cndmask_b32_e32 v5, 0x7fc0, v6, vcc_lo
.LBB104_616:
	s_mov_b32 s0, 0
.LBB104_617:
	s_delay_alu instid0(SALU_CYCLE_1)
	s_and_not1_b32 vcc_lo, exec_lo, s0
	s_cbranch_vccnz .LBB104_619
; %bb.618:
	global_load_u16 v5, v[0:1], off
	s_waitcnt vmcnt(0)
	v_cvt_f32_f16_e32 v6, v5
	v_cmp_o_f16_e32 vcc_lo, v5, v5
	s_delay_alu instid0(VALU_DEP_2) | instskip(NEXT) | instid1(VALU_DEP_1)
	v_bfe_u32 v7, v6, 16, 1
	v_add3_u32 v6, v6, v7, 0x7fff
	s_delay_alu instid0(VALU_DEP_1) | instskip(NEXT) | instid1(VALU_DEP_1)
	v_lshrrev_b32_e32 v6, 16, v6
	v_cndmask_b32_e32 v5, 0x7fc0, v6, vcc_lo
.LBB104_619:
	s_mov_b32 s0, 0
.LBB104_620:
	s_delay_alu instid0(SALU_CYCLE_1)
	s_and_not1_b32 vcc_lo, exec_lo, s0
	s_cbranch_vccnz .LBB104_640
; %bb.621:
	v_cmp_gt_i16_e32 vcc_lo, 2, v4
	s_cbranch_vccnz .LBB104_625
; %bb.622:
	v_cmp_gt_i16_e32 vcc_lo, 3, v4
	s_cbranch_vccnz .LBB104_626
; %bb.623:
	v_cmp_lt_i16_e32 vcc_lo, 3, v4
	s_cbranch_vccz .LBB104_627
; %bb.624:
	global_load_b64 v[5:6], v[0:1], off
	s_mov_b32 s0, 0
	s_waitcnt vmcnt(0)
	v_xor_b32_e32 v7, v5, v6
	v_cls_i32_e32 v8, v6
	s_delay_alu instid0(VALU_DEP_2) | instskip(NEXT) | instid1(VALU_DEP_2)
	v_ashrrev_i32_e32 v7, 31, v7
	v_add_nc_u32_e32 v8, -1, v8
	s_delay_alu instid0(VALU_DEP_2) | instskip(NEXT) | instid1(VALU_DEP_1)
	v_add_nc_u32_e32 v7, 32, v7
	v_min_u32_e32 v7, v8, v7
	s_delay_alu instid0(VALU_DEP_1) | instskip(NEXT) | instid1(VALU_DEP_1)
	v_lshlrev_b64 v[5:6], v7, v[5:6]
	v_min_u32_e32 v5, 1, v5
	s_delay_alu instid0(VALU_DEP_1) | instskip(SKIP_1) | instid1(VALU_DEP_2)
	v_or_b32_e32 v5, v6, v5
	v_sub_nc_u32_e32 v6, 32, v7
	v_cvt_f32_i32_e32 v5, v5
	s_delay_alu instid0(VALU_DEP_1) | instskip(NEXT) | instid1(VALU_DEP_1)
	v_ldexp_f32 v5, v5, v6
	v_bfe_u32 v6, v5, 16, 1
	s_delay_alu instid0(VALU_DEP_1) | instskip(NEXT) | instid1(VALU_DEP_1)
	v_add3_u32 v5, v5, v6, 0x7fff
	v_lshrrev_b32_e32 v5, 16, v5
	s_branch .LBB104_628
.LBB104_625:
	s_mov_b32 s0, -1
                                        ; implicit-def: $vgpr5
	s_branch .LBB104_634
.LBB104_626:
	s_mov_b32 s0, -1
                                        ; implicit-def: $vgpr5
	s_branch .LBB104_631
.LBB104_627:
	s_mov_b32 s0, -1
                                        ; implicit-def: $vgpr5
.LBB104_628:
	s_delay_alu instid0(SALU_CYCLE_1)
	s_and_not1_b32 vcc_lo, exec_lo, s0
	s_cbranch_vccnz .LBB104_630
; %bb.629:
	global_load_b32 v5, v[0:1], off
	s_waitcnt vmcnt(0)
	v_cvt_f32_i32_e32 v5, v5
	s_delay_alu instid0(VALU_DEP_1) | instskip(NEXT) | instid1(VALU_DEP_1)
	v_bfe_u32 v6, v5, 16, 1
	v_add3_u32 v5, v5, v6, 0x7fff
	s_delay_alu instid0(VALU_DEP_1)
	v_lshrrev_b32_e32 v5, 16, v5
.LBB104_630:
	s_mov_b32 s0, 0
.LBB104_631:
	s_delay_alu instid0(SALU_CYCLE_1)
	s_and_not1_b32 vcc_lo, exec_lo, s0
	s_cbranch_vccnz .LBB104_633
; %bb.632:
	global_load_i16 v5, v[0:1], off
	s_waitcnt vmcnt(0)
	v_cvt_f32_i32_e32 v5, v5
	s_delay_alu instid0(VALU_DEP_1) | instskip(NEXT) | instid1(VALU_DEP_1)
	v_bfe_u32 v6, v5, 16, 1
	v_add3_u32 v5, v5, v6, 0x7fff
	s_delay_alu instid0(VALU_DEP_1)
	v_lshrrev_b32_e32 v5, 16, v5
.LBB104_633:
	s_mov_b32 s0, 0
.LBB104_634:
	s_delay_alu instid0(SALU_CYCLE_1)
	s_and_not1_b32 vcc_lo, exec_lo, s0
	s_cbranch_vccnz .LBB104_640
; %bb.635:
	v_cmp_lt_i16_e32 vcc_lo, 0, v4
	s_mov_b32 s0, 0
	s_cbranch_vccz .LBB104_637
; %bb.636:
	global_load_i8 v5, v[0:1], off
	s_waitcnt vmcnt(0)
	v_cvt_f32_i32_e32 v5, v5
	s_delay_alu instid0(VALU_DEP_1) | instskip(NEXT) | instid1(VALU_DEP_1)
	v_bfe_u32 v6, v5, 16, 1
	v_add3_u32 v5, v5, v6, 0x7fff
	s_delay_alu instid0(VALU_DEP_1)
	v_lshrrev_b32_e32 v5, 16, v5
	s_branch .LBB104_638
.LBB104_637:
	s_mov_b32 s0, -1
                                        ; implicit-def: $vgpr5
.LBB104_638:
	s_delay_alu instid0(SALU_CYCLE_1)
	s_and_not1_b32 vcc_lo, exec_lo, s0
	s_cbranch_vccnz .LBB104_640
; %bb.639:
	global_load_u8 v0, v[0:1], off
	s_waitcnt vmcnt(0)
	v_cvt_f32_ubyte0_e32 v0, v0
	s_delay_alu instid0(VALU_DEP_1) | instskip(NEXT) | instid1(VALU_DEP_1)
	v_bfe_u32 v1, v0, 16, 1
	v_add3_u32 v0, v0, v1, 0x7fff
	s_delay_alu instid0(VALU_DEP_1)
	v_lshrrev_b32_e32 v5, 16, v0
.LBB104_640:
	s_mov_b32 s0, -1
.LBB104_641:
	s_delay_alu instid0(SALU_CYCLE_1)
	s_and_not1_b32 vcc_lo, exec_lo, s0
	s_cbranch_vccnz .LBB104_649
; %bb.642:
	s_waitcnt vmcnt(0)
	v_lshlrev_b32_e32 v0, 16, v5
	s_mov_b32 s18, 0
	s_mov_b32 s19, -1
	s_delay_alu instid0(VALU_DEP_1) | instskip(NEXT) | instid1(VALU_DEP_1)
	v_mul_f32_e32 v1, 0x3fb8aa3b, v0
	v_rndne_f32_e32 v5, v1
	v_fma_f32 v6, 0x3fb8aa3b, v0, -v1
	s_delay_alu instid0(VALU_DEP_1) | instskip(SKIP_1) | instid1(VALU_DEP_2)
	v_dual_sub_f32 v1, v1, v5 :: v_dual_fmamk_f32 v6, v0, 0x32a5705f, v6
	v_cvt_i32_f32_e32 v5, v5
	v_add_f32_e32 v1, v1, v6
	v_cmp_ngt_f32_e32 vcc_lo, 0xc2ce8ed0, v0
	v_and_b32_e32 v6, 0xff, v2
	s_delay_alu instid0(VALU_DEP_3) | instskip(SKIP_2) | instid1(VALU_DEP_1)
	v_exp_f32_e32 v1, v1
	s_waitcnt_depctr 0xfff
	v_ldexp_f32 v1, v1, v5
	v_cndmask_b32_e32 v1, 0, v1, vcc_lo
	v_cmp_nlt_f32_e32 vcc_lo, 0x42b17218, v0
	s_delay_alu instid0(VALU_DEP_2) | instskip(SKIP_2) | instid1(VALU_DEP_3)
	v_cndmask_b32_e32 v5, 0x7f800000, v1, vcc_lo
	v_mul_lo_u32 v1, v3, s2
	v_cmp_gt_i16_e32 vcc_lo, 11, v6
	v_bfe_u32 v0, v5, 16, 1
	s_and_b32 vcc_lo, exec_lo, vcc_lo
	s_delay_alu instid0(VALU_DEP_3) | instskip(NEXT) | instid1(VALU_DEP_2)
	v_ashrrev_i32_e32 v7, 31, v1
	v_add3_u32 v0, v5, v0, 0x7fff
	s_delay_alu instid0(VALU_DEP_1) | instskip(SKIP_1) | instid1(VALU_DEP_1)
	v_lshrrev_b32_e32 v8, 16, v0
	v_add_co_u32 v0, s0, s4, v1
	v_add_co_ci_u32_e64 v1, s0, s5, v7, s0
	v_cmp_o_f32_e64 s0, v5, v5
	s_delay_alu instid0(VALU_DEP_1)
	v_cndmask_b32_e64 v5, 0x7fc0, v8, s0
	s_mov_b32 s0, s14
	s_cbranch_vccnz .LBB104_650
; %bb.643:
	v_cmp_lt_i16_e32 vcc_lo, 25, v6
	s_cbranch_vccz .LBB104_691
; %bb.644:
	v_cmp_lt_i16_e32 vcc_lo, 28, v6
	s_cbranch_vccz .LBB104_692
	;; [unrolled: 3-line block ×4, first 2 shown]
; %bb.647:
	v_cmp_eq_u16_e32 vcc_lo, 46, v6
	s_mov_b32 s19, 0
	s_mov_b32 s0, -1
	s_cbranch_vccz .LBB104_695
; %bb.648:
	v_and_b32_e32 v7, 0xffff, v5
	s_mov_b32 s18, -1
	s_mov_b32 s0, 0
	global_store_b32 v[0:1], v7, off
	s_branch .LBB104_695
.LBB104_649:
	s_mov_b32 s19, 0
	s_mov_b32 s0, s14
	s_branch .LBB104_690
.LBB104_650:
	s_and_b32 vcc_lo, exec_lo, s19
	s_cbranch_vccz .LBB104_764
; %bb.651:
	v_cmp_gt_i16_e32 vcc_lo, 5, v6
	s_mov_b32 s18, -1
	s_cbranch_vccnz .LBB104_672
; %bb.652:
	v_cmp_gt_i16_e32 vcc_lo, 8, v6
	s_cbranch_vccnz .LBB104_662
; %bb.653:
	v_cmp_gt_i16_e32 vcc_lo, 9, v6
	s_cbranch_vccnz .LBB104_659
; %bb.654:
	v_cmp_lt_i16_e32 vcc_lo, 9, v6
	s_cbranch_vccz .LBB104_656
; %bb.655:
	v_mov_b32_e32 v9, 0
	v_lshlrev_b32_e32 v7, 16, v5
	s_mov_b32 s18, 0
	s_delay_alu instid0(VALU_DEP_2) | instskip(NEXT) | instid1(VALU_DEP_2)
	v_mov_b32_e32 v10, v9
	v_cvt_f64_f32_e32 v[7:8], v7
	global_store_b128 v[0:1], v[7:10], off
.LBB104_656:
	s_and_not1_b32 vcc_lo, exec_lo, s18
	s_cbranch_vccnz .LBB104_658
; %bb.657:
	v_dual_mov_b32 v8, 0 :: v_dual_lshlrev_b32 v7, 16, v5
	global_store_b64 v[0:1], v[7:8], off
.LBB104_658:
	s_mov_b32 s18, 0
.LBB104_659:
	s_delay_alu instid0(SALU_CYCLE_1)
	s_and_not1_b32 vcc_lo, exec_lo, s18
	s_cbranch_vccnz .LBB104_661
; %bb.660:
	v_lshlrev_b32_e32 v7, 16, v5
	s_delay_alu instid0(VALU_DEP_1) | instskip(NEXT) | instid1(VALU_DEP_1)
	v_cvt_f16_f32_e32 v7, v7
	v_and_b32_e32 v7, 0xffff, v7
	global_store_b32 v[0:1], v7, off
.LBB104_661:
	s_mov_b32 s18, 0
.LBB104_662:
	s_delay_alu instid0(SALU_CYCLE_1)
	s_and_not1_b32 vcc_lo, exec_lo, s18
	s_cbranch_vccnz .LBB104_671
; %bb.663:
	v_cmp_gt_i16_e32 vcc_lo, 6, v6
	s_mov_b32 s18, -1
	s_cbranch_vccnz .LBB104_669
; %bb.664:
	v_cmp_lt_i16_e32 vcc_lo, 6, v6
	s_cbranch_vccz .LBB104_666
; %bb.665:
	v_lshlrev_b32_e32 v7, 16, v5
	s_mov_b32 s18, 0
	s_delay_alu instid0(VALU_DEP_1)
	v_cvt_f64_f32_e32 v[7:8], v7
	global_store_b64 v[0:1], v[7:8], off
.LBB104_666:
	s_and_not1_b32 vcc_lo, exec_lo, s18
	s_cbranch_vccnz .LBB104_668
; %bb.667:
	v_lshlrev_b32_e32 v7, 16, v5
	global_store_b32 v[0:1], v7, off
.LBB104_668:
	s_mov_b32 s18, 0
.LBB104_669:
	s_delay_alu instid0(SALU_CYCLE_1)
	s_and_not1_b32 vcc_lo, exec_lo, s18
	s_cbranch_vccnz .LBB104_671
; %bb.670:
	v_lshlrev_b32_e32 v7, 16, v5
	s_delay_alu instid0(VALU_DEP_1)
	v_cvt_f16_f32_e32 v7, v7
	global_store_b16 v[0:1], v7, off
.LBB104_671:
	s_mov_b32 s18, 0
.LBB104_672:
	s_delay_alu instid0(SALU_CYCLE_1)
	s_and_not1_b32 vcc_lo, exec_lo, s18
	s_cbranch_vccnz .LBB104_688
; %bb.673:
	v_cmp_gt_i16_e32 vcc_lo, 2, v6
	s_mov_b32 s18, -1
	s_cbranch_vccnz .LBB104_683
; %bb.674:
	v_cmp_gt_i16_e32 vcc_lo, 3, v6
	s_cbranch_vccnz .LBB104_680
; %bb.675:
	v_cmp_lt_i16_e32 vcc_lo, 3, v6
	s_cbranch_vccz .LBB104_677
; %bb.676:
	v_lshlrev_b32_e32 v7, 16, v5
	s_mov_b32 s18, 0
	s_delay_alu instid0(VALU_DEP_1) | instskip(NEXT) | instid1(VALU_DEP_1)
	v_trunc_f32_e32 v7, v7
	v_mul_f32_e64 v8, 0x2f800000, |v7|
	v_ashrrev_i32_e32 v10, 31, v7
	s_delay_alu instid0(VALU_DEP_2) | instskip(NEXT) | instid1(VALU_DEP_1)
	v_floor_f32_e32 v8, v8
	v_fma_f32 v9, 0xcf800000, v8, |v7|
	v_cvt_u32_f32_e32 v8, v8
	s_delay_alu instid0(VALU_DEP_2) | instskip(NEXT) | instid1(VALU_DEP_2)
	v_cvt_u32_f32_e32 v7, v9
	v_xor_b32_e32 v8, v8, v10
	s_delay_alu instid0(VALU_DEP_2) | instskip(NEXT) | instid1(VALU_DEP_1)
	v_xor_b32_e32 v7, v7, v10
	v_sub_co_u32 v7, vcc_lo, v7, v10
	s_delay_alu instid0(VALU_DEP_3)
	v_sub_co_ci_u32_e32 v8, vcc_lo, v8, v10, vcc_lo
	global_store_b64 v[0:1], v[7:8], off
.LBB104_677:
	s_and_not1_b32 vcc_lo, exec_lo, s18
	s_cbranch_vccnz .LBB104_679
; %bb.678:
	v_lshlrev_b32_e32 v7, 16, v5
	s_delay_alu instid0(VALU_DEP_1)
	v_cvt_i32_f32_e32 v7, v7
	global_store_b32 v[0:1], v7, off
.LBB104_679:
	s_mov_b32 s18, 0
.LBB104_680:
	s_delay_alu instid0(SALU_CYCLE_1)
	s_and_not1_b32 vcc_lo, exec_lo, s18
	s_cbranch_vccnz .LBB104_682
; %bb.681:
	v_lshlrev_b32_e32 v7, 16, v5
	s_delay_alu instid0(VALU_DEP_1)
	v_cvt_i32_f32_e32 v7, v7
	global_store_b16 v[0:1], v7, off
.LBB104_682:
	s_mov_b32 s18, 0
.LBB104_683:
	s_delay_alu instid0(SALU_CYCLE_1)
	s_and_not1_b32 vcc_lo, exec_lo, s18
	s_cbranch_vccnz .LBB104_688
; %bb.684:
	v_cmp_lt_i16_e32 vcc_lo, 0, v6
	s_mov_b32 s18, -1
	s_cbranch_vccz .LBB104_686
; %bb.685:
	v_lshlrev_b32_e32 v6, 16, v5
	s_mov_b32 s18, 0
	s_delay_alu instid0(VALU_DEP_1)
	v_cvt_i32_f32_e32 v6, v6
	global_store_b8 v[0:1], v6, off
.LBB104_686:
	s_and_not1_b32 vcc_lo, exec_lo, s18
	s_cbranch_vccnz .LBB104_688
; %bb.687:
	v_lshlrev_b32_e32 v5, 16, v5
	s_delay_alu instid0(VALU_DEP_1) | instskip(NEXT) | instid1(VALU_DEP_1)
	v_trunc_f32_e32 v5, v5
	v_mul_f32_e64 v6, 0x2f800000, |v5|
	s_delay_alu instid0(VALU_DEP_1) | instskip(NEXT) | instid1(VALU_DEP_1)
	v_floor_f32_e32 v6, v6
	v_fma_f32 v6, 0xcf800000, v6, |v5|
	v_ashrrev_i32_e32 v5, 31, v5
	s_delay_alu instid0(VALU_DEP_2) | instskip(NEXT) | instid1(VALU_DEP_1)
	v_cvt_u32_f32_e32 v6, v6
	v_xor_b32_e32 v6, v6, v5
	s_delay_alu instid0(VALU_DEP_1)
	v_sub_nc_u32_e32 v5, v6, v5
	global_store_b8 v[0:1], v5, off
.LBB104_688:
	s_branch .LBB104_765
.LBB104_689:
	s_mov_b32 s19, 0
.LBB104_690:
                                        ; implicit-def: $vgpr3
	s_branch .LBB104_766
.LBB104_691:
	s_mov_b32 s0, s14
	s_branch .LBB104_722
.LBB104_692:
	s_mov_b32 s0, s14
	s_branch .LBB104_705
.LBB104_693:
	s_mov_b32 s0, s14
	s_branch .LBB104_701
.LBB104_694:
	s_mov_b32 s0, s14
.LBB104_695:
	s_and_b32 vcc_lo, exec_lo, s19
	s_cbranch_vccz .LBB104_700
; %bb.696:
	v_cmp_eq_u16_e32 vcc_lo, 44, v6
	s_mov_b32 s0, -1
	s_cbranch_vccz .LBB104_700
; %bb.697:
	v_and_b32_e32 v7, 0xffff, v5
	v_mov_b32_e32 v8, 0xff
	s_mov_b32 s18, exec_lo
	s_delay_alu instid0(VALU_DEP_2) | instskip(NEXT) | instid1(VALU_DEP_1)
	v_bfe_u32 v9, v7, 7, 8
	v_cmpx_ne_u32_e32 0xff, v9
; %bb.698:
	v_lshlrev_b32_e32 v8, 16, v7
	v_and_b32_e32 v10, 64, v7
	v_lshrrev_b32_e32 v7, 7, v7
	s_delay_alu instid0(VALU_DEP_3) | instskip(NEXT) | instid1(VALU_DEP_3)
	v_and_or_b32 v8, 0x3f0000, v8, v9
	v_cmp_ne_u32_e32 vcc_lo, 0, v10
	s_delay_alu instid0(VALU_DEP_2) | instskip(NEXT) | instid1(VALU_DEP_1)
	v_cmp_ne_u32_e64 s0, 0, v8
	s_and_b32 s0, vcc_lo, s0
	s_delay_alu instid0(SALU_CYCLE_1) | instskip(NEXT) | instid1(VALU_DEP_1)
	v_cndmask_b32_e64 v8, 0, 1, s0
	v_add_nc_u32_e32 v8, v7, v8
; %bb.699:
	s_or_b32 exec_lo, exec_lo, s18
	s_mov_b32 s18, -1
	s_mov_b32 s0, 0
	global_store_b8 v[0:1], v8, off
.LBB104_700:
	s_mov_b32 s19, 0
.LBB104_701:
	s_delay_alu instid0(SALU_CYCLE_1)
	s_and_b32 vcc_lo, exec_lo, s19
	s_cbranch_vccz .LBB104_704
; %bb.702:
	v_cmp_eq_u16_e32 vcc_lo, 29, v6
	s_mov_b32 s0, -1
	s_cbranch_vccz .LBB104_704
; %bb.703:
	v_lshlrev_b32_e32 v7, 16, v5
	s_mov_b32 s18, -1
	s_mov_b32 s0, 0
	s_mov_b32 s19, 0
	s_delay_alu instid0(VALU_DEP_1) | instskip(NEXT) | instid1(VALU_DEP_1)
	v_trunc_f32_e32 v7, v7
	v_mul_f32_e32 v8, 0x2f800000, v7
	s_delay_alu instid0(VALU_DEP_1) | instskip(NEXT) | instid1(VALU_DEP_1)
	v_floor_f32_e32 v8, v8
	v_fmamk_f32 v7, v8, 0xcf800000, v7
	v_cvt_u32_f32_e32 v8, v8
	s_delay_alu instid0(VALU_DEP_2)
	v_cvt_u32_f32_e32 v7, v7
	global_store_b64 v[0:1], v[7:8], off
	s_branch .LBB104_705
.LBB104_704:
	s_mov_b32 s19, 0
.LBB104_705:
	s_delay_alu instid0(SALU_CYCLE_1)
	s_and_b32 vcc_lo, exec_lo, s19
	s_cbranch_vccz .LBB104_721
; %bb.706:
	v_cmp_gt_i16_e32 vcc_lo, 27, v6
	s_mov_b32 s18, -1
	s_cbranch_vccnz .LBB104_712
; %bb.707:
	v_cmp_lt_i16_e32 vcc_lo, 27, v6
	s_cbranch_vccz .LBB104_709
; %bb.708:
	v_lshlrev_b32_e32 v7, 16, v5
	s_mov_b32 s18, 0
	s_delay_alu instid0(VALU_DEP_1)
	v_cvt_u32_f32_e32 v7, v7
	global_store_b32 v[0:1], v7, off
.LBB104_709:
	s_and_not1_b32 vcc_lo, exec_lo, s18
	s_cbranch_vccnz .LBB104_711
; %bb.710:
	v_lshlrev_b32_e32 v7, 16, v5
	s_delay_alu instid0(VALU_DEP_1)
	v_cvt_u32_f32_e32 v7, v7
	global_store_b16 v[0:1], v7, off
.LBB104_711:
	s_mov_b32 s18, 0
.LBB104_712:
	s_delay_alu instid0(SALU_CYCLE_1)
	s_and_not1_b32 vcc_lo, exec_lo, s18
	s_cbranch_vccnz .LBB104_720
; %bb.713:
	v_dual_mov_b32 v10, 0x80 :: v_dual_lshlrev_b32 v9, 16, v5
	s_mov_b32 s18, exec_lo
	s_delay_alu instid0(VALU_DEP_1) | instskip(NEXT) | instid1(VALU_DEP_1)
	v_and_b32_e32 v8, 0x7fffffff, v9
	v_cmpx_gt_u32_e32 0x43800000, v8
	s_cbranch_execz .LBB104_719
; %bb.714:
	v_and_b32_e32 v7, 0xffff, v5
	v_cmp_lt_u32_e32 vcc_lo, 0x3bffffff, v8
	s_mov_b32 s19, 0
                                        ; implicit-def: $vgpr8
	s_and_saveexec_b32 s20, vcc_lo
	s_delay_alu instid0(SALU_CYCLE_1)
	s_xor_b32 s20, exec_lo, s20
	s_cbranch_execz .LBB104_780
; %bb.715:
	v_bfe_u32 v8, v7, 4, 1
	s_mov_b32 s19, exec_lo
	s_delay_alu instid0(VALU_DEP_1) | instskip(NEXT) | instid1(VALU_DEP_1)
	v_add3_u32 v8, v9, v8, 0x487ffff
                                        ; implicit-def: $vgpr9
	v_lshrrev_b32_e32 v8, 20, v8
	s_or_saveexec_b32 s20, s20
                                        ; implicit-def: $sgpr21
	s_delay_alu instid0(SALU_CYCLE_1)
	s_xor_b32 exec_lo, exec_lo, s20
	s_cbranch_execnz .LBB104_781
.LBB104_716:
	s_or_b32 exec_lo, exec_lo, s20
	v_mov_b32_e32 v10, s21
	s_and_saveexec_b32 s20, s19
.LBB104_717:
	v_lshrrev_b32_e32 v7, 8, v7
	s_delay_alu instid0(VALU_DEP_1)
	v_and_or_b32 v10, 0x80, v7, v8
.LBB104_718:
	s_or_b32 exec_lo, exec_lo, s20
.LBB104_719:
	s_delay_alu instid0(SALU_CYCLE_1)
	s_or_b32 exec_lo, exec_lo, s18
	global_store_b8 v[0:1], v10, off
.LBB104_720:
	s_mov_b32 s18, -1
.LBB104_721:
	s_mov_b32 s19, 0
.LBB104_722:
	s_delay_alu instid0(SALU_CYCLE_1)
	s_and_b32 vcc_lo, exec_lo, s19
	s_cbranch_vccz .LBB104_763
; %bb.723:
	v_cmp_lt_i16_e32 vcc_lo, 22, v6
	s_mov_b32 s19, -1
	s_cbranch_vccz .LBB104_755
; %bb.724:
	v_cmp_gt_i16_e32 vcc_lo, 24, v6
	s_mov_b32 s18, -1
	s_cbranch_vccnz .LBB104_744
; %bb.725:
	v_cmp_lt_i16_e32 vcc_lo, 24, v6
	s_cbranch_vccz .LBB104_733
; %bb.726:
	v_dual_mov_b32 v10, 0x80 :: v_dual_lshlrev_b32 v9, 16, v5
	s_mov_b32 s18, exec_lo
	s_delay_alu instid0(VALU_DEP_1) | instskip(NEXT) | instid1(VALU_DEP_1)
	v_and_b32_e32 v8, 0x7fffffff, v9
	v_cmpx_gt_u32_e32 0x47800000, v8
	s_cbranch_execz .LBB104_732
; %bb.727:
	v_and_b32_e32 v7, 0xffff, v5
	v_cmp_lt_u32_e32 vcc_lo, 0x37ffffff, v8
	s_mov_b32 s19, 0
                                        ; implicit-def: $vgpr8
	s_and_saveexec_b32 s20, vcc_lo
	s_delay_alu instid0(SALU_CYCLE_1)
	s_xor_b32 s20, exec_lo, s20
	s_cbranch_execz .LBB104_783
; %bb.728:
	v_bfe_u32 v8, v7, 5, 1
	s_mov_b32 s19, exec_lo
	s_delay_alu instid0(VALU_DEP_1) | instskip(NEXT) | instid1(VALU_DEP_1)
	v_add3_u32 v8, v9, v8, 0x88fffff
                                        ; implicit-def: $vgpr9
	v_lshrrev_b32_e32 v8, 21, v8
	s_or_saveexec_b32 s20, s20
                                        ; implicit-def: $sgpr21
	s_delay_alu instid0(SALU_CYCLE_1)
	s_xor_b32 exec_lo, exec_lo, s20
	s_cbranch_execnz .LBB104_784
.LBB104_729:
	s_or_b32 exec_lo, exec_lo, s20
	v_mov_b32_e32 v10, s21
	s_and_saveexec_b32 s20, s19
.LBB104_730:
	v_lshrrev_b32_e32 v7, 8, v7
	s_delay_alu instid0(VALU_DEP_1)
	v_and_or_b32 v10, 0x80, v7, v8
.LBB104_731:
	s_or_b32 exec_lo, exec_lo, s20
.LBB104_732:
	s_delay_alu instid0(SALU_CYCLE_1)
	s_or_b32 exec_lo, exec_lo, s18
	s_mov_b32 s18, 0
	global_store_b8 v[0:1], v10, off
.LBB104_733:
	s_and_b32 vcc_lo, exec_lo, s18
	s_cbranch_vccz .LBB104_743
; %bb.734:
	v_lshlrev_b32_e32 v9, 16, v5
	v_and_b32_e32 v7, 0xffff, v5
	s_mov_b32 s18, exec_lo
                                        ; implicit-def: $vgpr8
	s_delay_alu instid0(VALU_DEP_2) | instskip(NEXT) | instid1(VALU_DEP_1)
	v_and_b32_e32 v10, 0x7fffffff, v9
	v_cmpx_gt_u32_e32 0x43f00000, v10
	s_xor_b32 s18, exec_lo, s18
	s_cbranch_execz .LBB104_740
; %bb.735:
	s_mov_b32 s19, exec_lo
                                        ; implicit-def: $vgpr8
	v_cmpx_lt_u32_e32 0x3c7fffff, v10
	s_xor_b32 s19, exec_lo, s19
; %bb.736:
	v_bfe_u32 v8, v7, 4, 1
	s_delay_alu instid0(VALU_DEP_1) | instskip(NEXT) | instid1(VALU_DEP_1)
	v_add3_u32 v8, v9, v8, 0x407ffff
	v_and_b32_e32 v9, 0xff00000, v8
	v_lshrrev_b32_e32 v8, 20, v8
	s_delay_alu instid0(VALU_DEP_2) | instskip(NEXT) | instid1(VALU_DEP_2)
	v_cmp_ne_u32_e32 vcc_lo, 0x7f00000, v9
                                        ; implicit-def: $vgpr9
	v_cndmask_b32_e32 v8, 0x7e, v8, vcc_lo
; %bb.737:
	s_and_not1_saveexec_b32 s19, s19
; %bb.738:
	v_add_f32_e64 v8, 0x46800000, |v9|
; %bb.739:
	s_or_b32 exec_lo, exec_lo, s19
                                        ; implicit-def: $vgpr10
.LBB104_740:
	s_and_not1_saveexec_b32 s18, s18
; %bb.741:
	v_mov_b32_e32 v8, 0x7f
	v_cmp_lt_u32_e32 vcc_lo, 0x7f800000, v10
	s_delay_alu instid0(VALU_DEP_2)
	v_cndmask_b32_e32 v8, 0x7e, v8, vcc_lo
; %bb.742:
	s_or_b32 exec_lo, exec_lo, s18
	v_lshrrev_b32_e32 v7, 8, v7
	s_delay_alu instid0(VALU_DEP_1)
	v_and_or_b32 v7, 0x80, v7, v8
	global_store_b8 v[0:1], v7, off
.LBB104_743:
	s_mov_b32 s18, 0
.LBB104_744:
	s_delay_alu instid0(SALU_CYCLE_1)
	s_and_not1_b32 vcc_lo, exec_lo, s18
	s_cbranch_vccnz .LBB104_754
; %bb.745:
	v_lshlrev_b32_e32 v9, 16, v5
	v_and_b32_e32 v7, 0xffff, v5
	s_mov_b32 s18, exec_lo
                                        ; implicit-def: $vgpr8
	s_delay_alu instid0(VALU_DEP_2) | instskip(NEXT) | instid1(VALU_DEP_1)
	v_and_b32_e32 v10, 0x7fffffff, v9
	v_cmpx_gt_u32_e32 0x47800000, v10
	s_xor_b32 s18, exec_lo, s18
	s_cbranch_execz .LBB104_751
; %bb.746:
	s_mov_b32 s19, exec_lo
                                        ; implicit-def: $vgpr8
	v_cmpx_lt_u32_e32 0x387fffff, v10
	s_xor_b32 s19, exec_lo, s19
; %bb.747:
	v_bfe_u32 v8, v7, 5, 1
	s_delay_alu instid0(VALU_DEP_1) | instskip(NEXT) | instid1(VALU_DEP_1)
	v_add3_u32 v8, v9, v8, 0x80fffff
                                        ; implicit-def: $vgpr9
	v_lshrrev_b32_e32 v8, 21, v8
; %bb.748:
	s_and_not1_saveexec_b32 s19, s19
; %bb.749:
	v_add_f32_e64 v8, 0x43000000, |v9|
; %bb.750:
	s_or_b32 exec_lo, exec_lo, s19
                                        ; implicit-def: $vgpr10
.LBB104_751:
	s_and_not1_saveexec_b32 s18, s18
; %bb.752:
	v_mov_b32_e32 v8, 0x7f
	v_cmp_lt_u32_e32 vcc_lo, 0x7f800000, v10
	s_delay_alu instid0(VALU_DEP_2)
	v_cndmask_b32_e32 v8, 0x7c, v8, vcc_lo
; %bb.753:
	s_or_b32 exec_lo, exec_lo, s18
	v_lshrrev_b32_e32 v7, 8, v7
	s_delay_alu instid0(VALU_DEP_1)
	v_and_or_b32 v7, 0x80, v7, v8
	global_store_b8 v[0:1], v7, off
.LBB104_754:
	s_mov_b32 s19, 0
	s_mov_b32 s18, -1
.LBB104_755:
	s_and_not1_b32 vcc_lo, exec_lo, s19
	s_cbranch_vccnz .LBB104_763
; %bb.756:
	v_cmp_lt_i16_e32 vcc_lo, 14, v6
	s_mov_b32 s19, -1
	s_cbranch_vccz .LBB104_760
; %bb.757:
	v_cmp_eq_u16_e32 vcc_lo, 15, v6
	s_mov_b32 s0, -1
	s_cbranch_vccz .LBB104_759
; %bb.758:
	s_mov_b32 s18, -1
	s_mov_b32 s0, 0
	global_store_b16 v[0:1], v5, off
.LBB104_759:
	s_mov_b32 s19, 0
.LBB104_760:
	s_delay_alu instid0(SALU_CYCLE_1)
	s_and_b32 vcc_lo, exec_lo, s19
	s_cbranch_vccz .LBB104_763
; %bb.761:
	v_cmp_eq_u16_e32 vcc_lo, 11, v6
	s_mov_b32 s0, -1
	s_cbranch_vccz .LBB104_763
; %bb.762:
	v_and_b32_e32 v7, 0x7fff, v5
	s_mov_b32 s0, 0
	s_mov_b32 s18, -1
	s_delay_alu instid0(VALU_DEP_1)
	v_cmp_ne_u16_e32 vcc_lo, 0, v7
	v_cndmask_b32_e64 v7, 0, 1, vcc_lo
	global_store_b8 v[0:1], v7, off
.LBB104_763:
.LBB104_764:
	s_and_not1_b32 vcc_lo, exec_lo, s18
	s_cbranch_vccnz .LBB104_689
.LBB104_765:
	v_add_nc_u32_e32 v3, 0x80, v3
	s_mov_b32 s19, -1
.LBB104_766:
	s_and_not1_b32 s18, s14, exec_lo
	s_and_b32 s0, s0, exec_lo
	s_and_not1_b32 s20, s13, exec_lo
	s_and_b32 s17, s17, exec_lo
	s_or_b32 s18, s18, s0
	s_or_b32 s17, s20, s17
	s_or_not1_b32 s0, s19, exec_lo
.LBB104_767:
	s_or_b32 exec_lo, exec_lo, s16
	s_mov_b32 s19, 0
	s_mov_b32 s20, 0
	s_mov_b32 s21, 0
                                        ; implicit-def: $vgpr0_vgpr1
                                        ; implicit-def: $vgpr6
	s_and_saveexec_b32 s16, s0
	s_cbranch_execz .LBB104_852
; %bb.768:
	v_cmp_gt_i32_e32 vcc_lo, s10, v3
	s_mov_b32 s0, 0
	s_mov_b32 s19, s17
                                        ; implicit-def: $vgpr0_vgpr1
                                        ; implicit-def: $vgpr6
	s_and_saveexec_b32 s10, vcc_lo
	s_cbranch_execz .LBB104_851
; %bb.769:
	v_mul_lo_u32 v0, v3, s3
	v_cmp_gt_i16_e32 vcc_lo, 11, v4
	s_delay_alu instid0(VALU_DEP_2) | instskip(SKIP_1) | instid1(VALU_DEP_1)
	v_ashrrev_i32_e32 v1, 31, v0
	v_add_co_u32 v0, s0, s6, v0
	v_add_co_ci_u32_e64 v1, s0, s7, v1, s0
	s_cbranch_vccnz .LBB104_776
; %bb.770:
	v_cmp_lt_i16_e32 vcc_lo, 25, v4
	s_mov_b32 s19, 0
	s_cbranch_vccz .LBB104_777
; %bb.771:
	v_cmp_lt_i16_e32 vcc_lo, 28, v4
	s_cbranch_vccz .LBB104_778
; %bb.772:
	v_cmp_lt_i16_e32 vcc_lo, 43, v4
	;; [unrolled: 3-line block ×3, first 2 shown]
	s_cbranch_vccz .LBB104_782
; %bb.774:
	v_cmp_eq_u16_e32 vcc_lo, 46, v4
	s_cbranch_vccz .LBB104_785
; %bb.775:
	global_load_b32 v6, v[0:1], off
	s_mov_b32 s0, 0
	s_mov_b32 s20, -1
	s_branch .LBB104_787
.LBB104_776:
	s_mov_b32 s22, -1
	s_mov_b32 s19, 0
	s_mov_b32 s0, s17
                                        ; implicit-def: $vgpr6
	s_branch .LBB104_850
.LBB104_777:
	s_mov_b32 s21, -1
	s_mov_b32 s0, s17
                                        ; implicit-def: $vgpr6
	s_branch .LBB104_816
.LBB104_778:
	s_mov_b32 s21, -1
	s_mov_b32 s0, s17
                                        ; implicit-def: $vgpr6
	s_branch .LBB104_797
.LBB104_779:
	s_mov_b32 s21, -1
	s_mov_b32 s0, s17
                                        ; implicit-def: $vgpr6
	s_branch .LBB104_792
.LBB104_780:
	s_or_saveexec_b32 s20, s20
                                        ; implicit-def: $sgpr21
	s_delay_alu instid0(SALU_CYCLE_1)
	s_xor_b32 exec_lo, exec_lo, s20
	s_cbranch_execz .LBB104_716
.LBB104_781:
	v_add_f32_e64 v8, 0x46000000, |v9|
	s_and_not1_b32 s19, s19, exec_lo
	s_mov_b32 s21, 0
	s_delay_alu instid0(VALU_DEP_1) | instskip(NEXT) | instid1(VALU_DEP_1)
	v_and_b32_e32 v8, 0xff, v8
	v_cmp_ne_u32_e32 vcc_lo, 0, v8
	s_and_b32 s22, vcc_lo, exec_lo
	s_delay_alu instid0(SALU_CYCLE_1)
	s_or_b32 s19, s19, s22
	s_or_b32 exec_lo, exec_lo, s20
	v_mov_b32_e32 v10, s21
	s_and_saveexec_b32 s20, s19
	s_cbranch_execnz .LBB104_717
	s_branch .LBB104_718
.LBB104_782:
	s_mov_b32 s21, -1
	s_mov_b32 s0, s17
	s_branch .LBB104_786
.LBB104_783:
	s_or_saveexec_b32 s20, s20
                                        ; implicit-def: $sgpr21
	s_delay_alu instid0(SALU_CYCLE_1)
	s_xor_b32 exec_lo, exec_lo, s20
	s_cbranch_execz .LBB104_729
.LBB104_784:
	v_add_f32_e64 v8, 0x42800000, |v9|
	s_and_not1_b32 s19, s19, exec_lo
	s_mov_b32 s21, 0
	s_delay_alu instid0(VALU_DEP_1) | instskip(NEXT) | instid1(VALU_DEP_1)
	v_and_b32_e32 v8, 0xff, v8
	v_cmp_ne_u32_e32 vcc_lo, 0, v8
	s_and_b32 s22, vcc_lo, exec_lo
	s_delay_alu instid0(SALU_CYCLE_1)
	s_or_b32 s19, s19, s22
	s_or_b32 exec_lo, exec_lo, s20
	v_mov_b32_e32 v10, s21
	s_and_saveexec_b32 s20, s19
	s_cbranch_execnz .LBB104_730
	s_branch .LBB104_731
.LBB104_785:
	s_mov_b32 s0, -1
.LBB104_786:
                                        ; implicit-def: $vgpr6
.LBB104_787:
	s_and_b32 vcc_lo, exec_lo, s21
	s_cbranch_vccz .LBB104_791
; %bb.788:
	v_cmp_eq_u16_e32 vcc_lo, 44, v4
	s_cbranch_vccz .LBB104_790
; %bb.789:
	global_load_u8 v5, v[0:1], off
	s_mov_b32 s0, 0
	s_mov_b32 s20, -1
	s_waitcnt vmcnt(0)
	v_lshlrev_b32_e32 v6, 23, v5
	v_cmp_ne_u32_e32 vcc_lo, 0xff, v5
	s_delay_alu instid0(VALU_DEP_2) | instskip(SKIP_1) | instid1(VALU_DEP_2)
	v_cndmask_b32_e32 v6, 0x7f800001, v6, vcc_lo
	v_cmp_ne_u32_e32 vcc_lo, 0, v5
	v_cndmask_b32_e32 v5, 0x400000, v6, vcc_lo
	s_delay_alu instid0(VALU_DEP_1) | instskip(SKIP_1) | instid1(VALU_DEP_2)
	v_add_nc_u32_e32 v6, 0x7fff, v5
	v_cmp_o_f32_e32 vcc_lo, v5, v5
	v_lshrrev_b32_e32 v6, 16, v6
	s_delay_alu instid0(VALU_DEP_1)
	v_cndmask_b32_e32 v6, 0x7fc0, v6, vcc_lo
	s_branch .LBB104_791
.LBB104_790:
	s_mov_b32 s0, -1
                                        ; implicit-def: $vgpr6
.LBB104_791:
	s_mov_b32 s21, 0
.LBB104_792:
	s_delay_alu instid0(SALU_CYCLE_1)
	s_and_b32 vcc_lo, exec_lo, s21
	s_cbranch_vccz .LBB104_796
; %bb.793:
	v_cmp_eq_u16_e32 vcc_lo, 29, v4
	s_cbranch_vccz .LBB104_795
; %bb.794:
	global_load_b64 v[5:6], v[0:1], off
	s_mov_b32 s0, 0
	s_mov_b32 s20, -1
	s_mov_b32 s21, 0
	s_waitcnt vmcnt(0)
	v_clz_i32_u32_e32 v7, v6
	s_delay_alu instid0(VALU_DEP_1) | instskip(NEXT) | instid1(VALU_DEP_1)
	v_min_u32_e32 v7, 32, v7
	v_lshlrev_b64 v[5:6], v7, v[5:6]
	s_delay_alu instid0(VALU_DEP_1) | instskip(NEXT) | instid1(VALU_DEP_1)
	v_min_u32_e32 v5, 1, v5
	v_or_b32_e32 v5, v6, v5
	v_sub_nc_u32_e32 v6, 32, v7
	s_delay_alu instid0(VALU_DEP_2) | instskip(NEXT) | instid1(VALU_DEP_1)
	v_cvt_f32_u32_e32 v5, v5
	v_ldexp_f32 v5, v5, v6
	s_delay_alu instid0(VALU_DEP_1) | instskip(NEXT) | instid1(VALU_DEP_1)
	v_bfe_u32 v6, v5, 16, 1
	v_add3_u32 v5, v5, v6, 0x7fff
	s_delay_alu instid0(VALU_DEP_1)
	v_lshrrev_b32_e32 v6, 16, v5
	s_branch .LBB104_797
.LBB104_795:
	s_mov_b32 s0, -1
                                        ; implicit-def: $vgpr6
.LBB104_796:
	s_mov_b32 s21, 0
.LBB104_797:
	s_delay_alu instid0(SALU_CYCLE_1)
	s_and_b32 vcc_lo, exec_lo, s21
	s_cbranch_vccz .LBB104_815
; %bb.798:
	v_cmp_gt_i16_e32 vcc_lo, 27, v4
	s_cbranch_vccnz .LBB104_801
; %bb.799:
	v_cmp_lt_i16_e32 vcc_lo, 27, v4
	s_cbranch_vccz .LBB104_802
; %bb.800:
	global_load_b32 v5, v[0:1], off
	s_mov_b32 s20, 0
	s_waitcnt vmcnt(0)
	v_cvt_f32_u32_e32 v5, v5
	s_delay_alu instid0(VALU_DEP_1) | instskip(NEXT) | instid1(VALU_DEP_1)
	v_bfe_u32 v6, v5, 16, 1
	v_add3_u32 v5, v5, v6, 0x7fff
	s_delay_alu instid0(VALU_DEP_1)
	v_lshrrev_b32_e32 v6, 16, v5
	s_branch .LBB104_803
.LBB104_801:
	s_mov_b32 s20, -1
                                        ; implicit-def: $vgpr6
	s_branch .LBB104_806
.LBB104_802:
	s_mov_b32 s20, -1
                                        ; implicit-def: $vgpr6
.LBB104_803:
	s_delay_alu instid0(SALU_CYCLE_1)
	s_and_not1_b32 vcc_lo, exec_lo, s20
	s_cbranch_vccnz .LBB104_805
; %bb.804:
	global_load_u16 v5, v[0:1], off
	s_waitcnt vmcnt(0)
	v_cvt_f32_u32_e32 v5, v5
	s_delay_alu instid0(VALU_DEP_1) | instskip(NEXT) | instid1(VALU_DEP_1)
	v_bfe_u32 v6, v5, 16, 1
	v_add3_u32 v5, v5, v6, 0x7fff
	s_delay_alu instid0(VALU_DEP_1)
	v_lshrrev_b32_e32 v6, 16, v5
.LBB104_805:
	s_mov_b32 s20, 0
.LBB104_806:
	s_delay_alu instid0(SALU_CYCLE_1)
	s_and_not1_b32 vcc_lo, exec_lo, s20
	s_cbranch_vccnz .LBB104_814
; %bb.807:
	global_load_u8 v5, v[0:1], off
	s_mov_b32 s20, 0
	s_mov_b32 s22, exec_lo
                                        ; implicit-def: $sgpr21
	s_waitcnt vmcnt(0)
	v_cmpx_lt_i16_e32 0x7f, v5
	s_xor_b32 s22, exec_lo, s22
	s_cbranch_execz .LBB104_828
; %bb.808:
	s_mov_b32 s20, -1
	s_mov_b32 s23, exec_lo
                                        ; implicit-def: $sgpr21
	v_cmpx_eq_u16_e32 0x80, v5
; %bb.809:
	s_mov_b32 s21, 0x7f800001
	s_xor_b32 s20, exec_lo, -1
; %bb.810:
	s_or_b32 exec_lo, exec_lo, s23
	s_delay_alu instid0(SALU_CYCLE_1)
	s_and_b32 s20, s20, exec_lo
	s_or_saveexec_b32 s22, s22
	v_mov_b32_e32 v6, s21
	s_xor_b32 exec_lo, exec_lo, s22
	s_cbranch_execnz .LBB104_829
.LBB104_811:
	s_or_b32 exec_lo, exec_lo, s22
	s_and_saveexec_b32 s21, s20
	s_cbranch_execz .LBB104_813
.LBB104_812:
	v_and_b32_e32 v6, 0xffff, v5
	v_lshlrev_b32_e32 v5, 24, v5
	s_delay_alu instid0(VALU_DEP_2) | instskip(NEXT) | instid1(VALU_DEP_2)
	v_and_b32_e32 v7, 7, v6
	v_and_b32_e32 v5, 0x80000000, v5
	s_delay_alu instid0(VALU_DEP_2) | instskip(NEXT) | instid1(VALU_DEP_1)
	v_clz_i32_u32_e32 v8, v7
	v_min_u32_e32 v8, 32, v8
	s_delay_alu instid0(VALU_DEP_1) | instskip(SKIP_1) | instid1(VALU_DEP_2)
	v_subrev_nc_u32_e32 v9, 28, v8
	v_sub_nc_u32_e32 v8, 29, v8
	v_lshlrev_b32_e32 v9, v9, v6
	v_bfe_u32 v6, v6, 3, 4
	s_delay_alu instid0(VALU_DEP_2) | instskip(NEXT) | instid1(VALU_DEP_2)
	v_and_b32_e32 v9, 7, v9
	v_cmp_eq_u32_e32 vcc_lo, 0, v6
	s_delay_alu instid0(VALU_DEP_2) | instskip(NEXT) | instid1(VALU_DEP_1)
	v_dual_cndmask_b32 v6, v6, v8 :: v_dual_cndmask_b32 v7, v7, v9
	v_lshl_add_u32 v6, v6, 23, 0x3b800000
	s_delay_alu instid0(VALU_DEP_2) | instskip(NEXT) | instid1(VALU_DEP_1)
	v_lshlrev_b32_e32 v7, 20, v7
	v_or3_b32 v6, v5, v6, v7
.LBB104_813:
	s_or_b32 exec_lo, exec_lo, s21
	s_delay_alu instid0(VALU_DEP_1) | instskip(SKIP_1) | instid1(VALU_DEP_2)
	v_bfe_u32 v5, v6, 16, 1
	v_cmp_o_f32_e32 vcc_lo, v6, v6
	v_add3_u32 v5, v6, v5, 0x7fff
	s_delay_alu instid0(VALU_DEP_1) | instskip(NEXT) | instid1(VALU_DEP_1)
	v_lshrrev_b32_e32 v5, 16, v5
	v_cndmask_b32_e32 v6, 0x7fc0, v5, vcc_lo
.LBB104_814:
	s_mov_b32 s20, -1
.LBB104_815:
	s_mov_b32 s21, 0
.LBB104_816:
	s_delay_alu instid0(SALU_CYCLE_1)
	s_and_b32 vcc_lo, exec_lo, s21
	s_cbranch_vccz .LBB104_849
; %bb.817:
	v_cmp_lt_i16_e32 vcc_lo, 22, v4
	s_cbranch_vccz .LBB104_827
; %bb.818:
	v_cmp_gt_i16_e32 vcc_lo, 24, v4
	s_cbranch_vccnz .LBB104_830
; %bb.819:
	v_cmp_lt_i16_e32 vcc_lo, 24, v4
	s_cbranch_vccz .LBB104_831
; %bb.820:
	global_load_u8 v5, v[0:1], off
	s_mov_b32 s21, exec_lo
                                        ; implicit-def: $sgpr20
	s_waitcnt vmcnt(0)
	v_cmpx_lt_i16_e32 0x7f, v5
	s_xor_b32 s21, exec_lo, s21
	s_cbranch_execz .LBB104_843
; %bb.821:
	s_mov_b32 s19, -1
	s_mov_b32 s22, exec_lo
                                        ; implicit-def: $sgpr20
	v_cmpx_eq_u16_e32 0x80, v5
; %bb.822:
	s_mov_b32 s20, 0x7f800001
	s_xor_b32 s19, exec_lo, -1
; %bb.823:
	s_or_b32 exec_lo, exec_lo, s22
	s_delay_alu instid0(SALU_CYCLE_1)
	s_and_b32 s19, s19, exec_lo
	s_or_saveexec_b32 s21, s21
	v_mov_b32_e32 v6, s20
	s_xor_b32 exec_lo, exec_lo, s21
	s_cbranch_execnz .LBB104_844
.LBB104_824:
	s_or_b32 exec_lo, exec_lo, s21
	s_and_saveexec_b32 s20, s19
	s_cbranch_execz .LBB104_826
.LBB104_825:
	v_and_b32_e32 v6, 0xffff, v5
	v_lshlrev_b32_e32 v5, 24, v5
	s_delay_alu instid0(VALU_DEP_2) | instskip(NEXT) | instid1(VALU_DEP_2)
	v_and_b32_e32 v7, 3, v6
	v_and_b32_e32 v5, 0x80000000, v5
	s_delay_alu instid0(VALU_DEP_2) | instskip(NEXT) | instid1(VALU_DEP_1)
	v_clz_i32_u32_e32 v8, v7
	v_min_u32_e32 v8, 32, v8
	s_delay_alu instid0(VALU_DEP_1) | instskip(SKIP_1) | instid1(VALU_DEP_2)
	v_subrev_nc_u32_e32 v9, 29, v8
	v_sub_nc_u32_e32 v8, 30, v8
	v_lshlrev_b32_e32 v9, v9, v6
	v_bfe_u32 v6, v6, 2, 5
	s_delay_alu instid0(VALU_DEP_2) | instskip(NEXT) | instid1(VALU_DEP_2)
	v_and_b32_e32 v9, 3, v9
	v_cmp_eq_u32_e32 vcc_lo, 0, v6
	s_delay_alu instid0(VALU_DEP_2) | instskip(NEXT) | instid1(VALU_DEP_1)
	v_dual_cndmask_b32 v6, v6, v8 :: v_dual_cndmask_b32 v7, v7, v9
	v_lshl_add_u32 v6, v6, 23, 0x37800000
	s_delay_alu instid0(VALU_DEP_2) | instskip(NEXT) | instid1(VALU_DEP_1)
	v_lshlrev_b32_e32 v7, 21, v7
	v_or3_b32 v6, v5, v6, v7
.LBB104_826:
	s_or_b32 exec_lo, exec_lo, s20
	s_delay_alu instid0(VALU_DEP_1) | instskip(SKIP_2) | instid1(VALU_DEP_2)
	v_bfe_u32 v5, v6, 16, 1
	v_cmp_o_f32_e32 vcc_lo, v6, v6
	s_mov_b32 s19, 0
	v_add3_u32 v5, v6, v5, 0x7fff
	s_delay_alu instid0(VALU_DEP_1) | instskip(NEXT) | instid1(VALU_DEP_1)
	v_lshrrev_b32_e32 v5, 16, v5
	v_cndmask_b32_e32 v6, 0x7fc0, v5, vcc_lo
	s_branch .LBB104_832
.LBB104_827:
	s_mov_b32 s19, -1
                                        ; implicit-def: $vgpr6
	s_branch .LBB104_838
.LBB104_828:
	s_or_saveexec_b32 s22, s22
	v_mov_b32_e32 v6, s21
	s_xor_b32 exec_lo, exec_lo, s22
	s_cbranch_execz .LBB104_811
.LBB104_829:
	v_cmp_ne_u16_e32 vcc_lo, 0, v5
	v_mov_b32_e32 v6, 0
	s_and_not1_b32 s20, s20, exec_lo
	s_and_b32 s21, vcc_lo, exec_lo
	s_delay_alu instid0(SALU_CYCLE_1)
	s_or_b32 s20, s20, s21
	s_or_b32 exec_lo, exec_lo, s22
	s_and_saveexec_b32 s21, s20
	s_cbranch_execnz .LBB104_812
	s_branch .LBB104_813
.LBB104_830:
	s_mov_b32 s19, -1
                                        ; implicit-def: $vgpr6
	s_branch .LBB104_835
.LBB104_831:
	s_mov_b32 s19, -1
                                        ; implicit-def: $vgpr6
.LBB104_832:
	s_delay_alu instid0(SALU_CYCLE_1)
	s_and_b32 vcc_lo, exec_lo, s19
	s_cbranch_vccz .LBB104_834
; %bb.833:
	global_load_u8 v5, v[0:1], off
	s_waitcnt vmcnt(0)
	v_lshlrev_b32_e32 v5, 24, v5
	s_delay_alu instid0(VALU_DEP_1) | instskip(NEXT) | instid1(VALU_DEP_1)
	v_and_b32_e32 v6, 0x7f000000, v5
	v_clz_i32_u32_e32 v7, v6
	v_add_nc_u32_e32 v9, 0x1000000, v6
	v_cmp_ne_u32_e32 vcc_lo, 0, v6
	s_delay_alu instid0(VALU_DEP_3) | instskip(NEXT) | instid1(VALU_DEP_1)
	v_min_u32_e32 v7, 32, v7
	v_sub_nc_u32_e64 v7, v7, 4 clamp
	s_delay_alu instid0(VALU_DEP_1) | instskip(SKIP_1) | instid1(VALU_DEP_2)
	v_lshlrev_b32_e32 v8, v7, v6
	v_lshlrev_b32_e32 v7, 23, v7
	v_lshrrev_b32_e32 v8, 4, v8
	s_delay_alu instid0(VALU_DEP_1) | instskip(SKIP_1) | instid1(VALU_DEP_2)
	v_sub_nc_u32_e32 v7, v8, v7
	v_ashrrev_i32_e32 v8, 8, v9
	v_add_nc_u32_e32 v7, 0x3c000000, v7
	s_delay_alu instid0(VALU_DEP_1) | instskip(NEXT) | instid1(VALU_DEP_1)
	v_and_or_b32 v7, 0x7f800000, v8, v7
	v_cndmask_b32_e32 v6, 0, v7, vcc_lo
	s_delay_alu instid0(VALU_DEP_1) | instskip(SKIP_1) | instid1(VALU_DEP_2)
	v_and_or_b32 v5, 0x80000000, v5, v6
	v_bfe_u32 v6, v6, 16, 1
	v_cmp_o_f32_e32 vcc_lo, v5, v5
	s_delay_alu instid0(VALU_DEP_2) | instskip(NEXT) | instid1(VALU_DEP_1)
	v_add3_u32 v6, v5, v6, 0x7fff
	v_lshrrev_b32_e32 v6, 16, v6
	s_delay_alu instid0(VALU_DEP_1)
	v_cndmask_b32_e32 v6, 0x7fc0, v6, vcc_lo
.LBB104_834:
	s_mov_b32 s19, 0
.LBB104_835:
	s_delay_alu instid0(SALU_CYCLE_1)
	s_and_not1_b32 vcc_lo, exec_lo, s19
	s_cbranch_vccnz .LBB104_837
; %bb.836:
	global_load_u8 v5, v[0:1], off
	s_waitcnt vmcnt(0)
	v_lshlrev_b32_e32 v6, 25, v5
	v_lshlrev_b16 v5, 8, v5
	s_delay_alu instid0(VALU_DEP_2) | instskip(NEXT) | instid1(VALU_DEP_2)
	v_lshrrev_b32_e32 v7, 4, v6
	v_and_or_b32 v8, 0x7f00, v5, 0.5
	v_bfe_i32 v5, v5, 0, 16
	s_delay_alu instid0(VALU_DEP_3) | instskip(NEXT) | instid1(VALU_DEP_1)
	v_or_b32_e32 v7, 0x70000000, v7
	v_dual_add_f32 v8, -0.5, v8 :: v_dual_mul_f32 v7, 0x7800000, v7
	v_cmp_gt_u32_e32 vcc_lo, 0x8000000, v6
	s_delay_alu instid0(VALU_DEP_2) | instskip(NEXT) | instid1(VALU_DEP_1)
	v_cndmask_b32_e32 v6, v7, v8, vcc_lo
	v_and_or_b32 v5, 0x80000000, v5, v6
	v_bfe_u32 v6, v6, 16, 1
	s_delay_alu instid0(VALU_DEP_2) | instskip(NEXT) | instid1(VALU_DEP_2)
	v_cmp_o_f32_e32 vcc_lo, v5, v5
	v_add3_u32 v6, v5, v6, 0x7fff
	s_delay_alu instid0(VALU_DEP_1) | instskip(NEXT) | instid1(VALU_DEP_1)
	v_lshrrev_b32_e32 v6, 16, v6
	v_cndmask_b32_e32 v6, 0x7fc0, v6, vcc_lo
.LBB104_837:
	s_mov_b32 s19, 0
	s_mov_b32 s20, -1
.LBB104_838:
	s_and_not1_b32 vcc_lo, exec_lo, s19
	s_mov_b32 s19, 0
	s_cbranch_vccnz .LBB104_849
; %bb.839:
	v_cmp_lt_i16_e32 vcc_lo, 14, v4
	s_cbranch_vccz .LBB104_842
; %bb.840:
	v_cmp_eq_u16_e32 vcc_lo, 15, v4
	s_cbranch_vccz .LBB104_845
; %bb.841:
	global_load_u16 v6, v[0:1], off
	s_mov_b32 s0, 0
	s_mov_b32 s20, -1
	s_branch .LBB104_847
.LBB104_842:
	s_mov_b32 s19, -1
	s_branch .LBB104_846
.LBB104_843:
	s_or_saveexec_b32 s21, s21
	v_mov_b32_e32 v6, s20
	s_xor_b32 exec_lo, exec_lo, s21
	s_cbranch_execz .LBB104_824
.LBB104_844:
	v_cmp_ne_u16_e32 vcc_lo, 0, v5
	v_mov_b32_e32 v6, 0
	s_and_not1_b32 s19, s19, exec_lo
	s_and_b32 s20, vcc_lo, exec_lo
	s_delay_alu instid0(SALU_CYCLE_1)
	s_or_b32 s19, s19, s20
	s_or_b32 exec_lo, exec_lo, s21
	s_and_saveexec_b32 s20, s19
	s_cbranch_execnz .LBB104_825
	s_branch .LBB104_826
.LBB104_845:
	s_mov_b32 s0, -1
.LBB104_846:
                                        ; implicit-def: $vgpr6
.LBB104_847:
	s_and_b32 vcc_lo, exec_lo, s19
	s_mov_b32 s19, 0
	s_cbranch_vccz .LBB104_849
; %bb.848:
	v_cmp_ne_u16_e32 vcc_lo, 11, v4
	s_and_not1_b32 s0, s0, exec_lo
	s_mov_b32 s19, -1
                                        ; implicit-def: $vgpr6
	s_and_b32 s21, vcc_lo, exec_lo
	s_delay_alu instid0(SALU_CYCLE_1)
	s_or_b32 s0, s0, s21
.LBB104_849:
	s_mov_b32 s22, 0
.LBB104_850:
	s_and_b32 s21, s20, exec_lo
	s_and_b32 s20, s22, exec_lo
	s_and_not1_b32 s22, s17, exec_lo
	s_and_b32 s23, s0, exec_lo
	s_and_b32 s0, s19, exec_lo
	s_or_b32 s19, s22, s23
.LBB104_851:
	s_or_b32 exec_lo, exec_lo, s10
	s_delay_alu instid0(SALU_CYCLE_1)
	s_and_not1_b32 s10, s17, exec_lo
	s_and_b32 s17, s19, exec_lo
	s_and_b32 s21, s21, exec_lo
	;; [unrolled: 1-line block ×4, first 2 shown]
	s_or_b32 s17, s10, s17
.LBB104_852:
	s_or_b32 exec_lo, exec_lo, s16
	s_delay_alu instid0(SALU_CYCLE_1)
	s_and_not1_b32 s0, s14, exec_lo
	s_and_b32 s10, s18, exec_lo
	s_and_b32 s18, s20, exec_lo
	s_or_b32 s14, s0, s10
	s_and_not1_b32 s10, s13, exec_lo
	s_and_b32 s13, s17, exec_lo
	s_and_b32 s0, s21, exec_lo
	;; [unrolled: 1-line block ×3, first 2 shown]
	s_or_b32 s13, s10, s13
.LBB104_853:
	s_or_b32 exec_lo, exec_lo, s15
	s_delay_alu instid0(SALU_CYCLE_1)
	s_and_not1_b32 s9, s9, exec_lo
	s_and_b32 s10, s14, exec_lo
	s_and_b32 s0, s0, exec_lo
	s_or_b32 s9, s9, s10
	s_and_not1_b32 s10, s11, exec_lo
	s_and_b32 s11, s13, exec_lo
	s_and_b32 s14, s18, exec_lo
	;; [unrolled: 1-line block ×3, first 2 shown]
	s_or_b32 s11, s10, s11
.LBB104_854:
	s_or_b32 exec_lo, exec_lo, s12
	s_mov_b32 s10, 0
	s_and_saveexec_b32 s12, s11
	s_cbranch_execnz .LBB104_866
; %bb.855:
	s_or_b32 exec_lo, exec_lo, s12
	s_and_saveexec_b32 s11, s13
	s_delay_alu instid0(SALU_CYCLE_1)
	s_xor_b32 s11, exec_lo, s11
	s_cbranch_execz .LBB104_857
.LBB104_856:
	global_load_u8 v5, v[0:1], off
	s_or_b32 s0, s0, exec_lo
	s_waitcnt vmcnt(0)
	v_cmp_ne_u16_e32 vcc_lo, 0, v5
	v_cndmask_b32_e64 v5, 0, 1.0, vcc_lo
	s_delay_alu instid0(VALU_DEP_1)
	v_lshrrev_b32_e32 v6, 16, v5
.LBB104_857:
	s_or_b32 exec_lo, exec_lo, s11
	s_and_saveexec_b32 s11, s14
	s_cbranch_execz .LBB104_905
; %bb.858:
	v_cmp_gt_i16_e32 vcc_lo, 5, v4
	s_cbranch_vccnz .LBB104_863
; %bb.859:
	v_cmp_gt_i16_e32 vcc_lo, 8, v4
	s_cbranch_vccnz .LBB104_864
	;; [unrolled: 3-line block ×3, first 2 shown]
; %bb.861:
	v_cmp_lt_i16_e32 vcc_lo, 9, v4
	s_cbranch_vccz .LBB104_868
; %bb.862:
	global_load_b64 v[5:6], v[0:1], off
	s_mov_b32 s12, 0
	s_waitcnt vmcnt(0)
	v_cvt_f32_f64_e32 v5, v[5:6]
	s_delay_alu instid0(VALU_DEP_1) | instskip(SKIP_1) | instid1(VALU_DEP_2)
	v_bfe_u32 v6, v5, 16, 1
	v_cmp_o_f32_e32 vcc_lo, v5, v5
	v_add3_u32 v6, v5, v6, 0x7fff
	s_delay_alu instid0(VALU_DEP_1) | instskip(NEXT) | instid1(VALU_DEP_1)
	v_lshrrev_b32_e32 v6, 16, v6
	v_cndmask_b32_e32 v6, 0x7fc0, v6, vcc_lo
	s_branch .LBB104_869
.LBB104_863:
                                        ; implicit-def: $vgpr6
	s_branch .LBB104_886
.LBB104_864:
                                        ; implicit-def: $vgpr6
	s_branch .LBB104_875
.LBB104_865:
	s_mov_b32 s12, -1
                                        ; implicit-def: $vgpr6
	s_branch .LBB104_872
.LBB104_866:
	s_cbranch_execnz .LBB104_1084
; %bb.867:
	s_mov_b32 s10, exec_lo
	s_and_not1_b32 s13, s13, exec_lo
                                        ; implicit-def: $vgpr6
	s_or_b32 exec_lo, exec_lo, s12
	s_and_saveexec_b32 s11, s13
	s_delay_alu instid0(SALU_CYCLE_1)
	s_xor_b32 s11, exec_lo, s11
	s_cbranch_execnz .LBB104_856
	s_branch .LBB104_857
.LBB104_868:
	s_mov_b32 s12, -1
                                        ; implicit-def: $vgpr6
.LBB104_869:
	s_delay_alu instid0(SALU_CYCLE_1)
	s_and_not1_b32 vcc_lo, exec_lo, s12
	s_cbranch_vccnz .LBB104_871
; %bb.870:
	global_load_b32 v5, v[0:1], off
	s_waitcnt vmcnt(0)
	v_bfe_u32 v6, v5, 16, 1
	v_cmp_o_f32_e32 vcc_lo, v5, v5
	s_delay_alu instid0(VALU_DEP_2) | instskip(NEXT) | instid1(VALU_DEP_1)
	v_add3_u32 v6, v5, v6, 0x7fff
	v_lshrrev_b32_e32 v6, 16, v6
	s_delay_alu instid0(VALU_DEP_1)
	v_cndmask_b32_e32 v6, 0x7fc0, v6, vcc_lo
.LBB104_871:
	s_mov_b32 s12, 0
.LBB104_872:
	s_delay_alu instid0(SALU_CYCLE_1)
	s_and_not1_b32 vcc_lo, exec_lo, s12
	s_cbranch_vccnz .LBB104_874
; %bb.873:
	global_load_b32 v5, v[0:1], off
	s_waitcnt vmcnt(0)
	v_cvt_f32_f16_e32 v6, v5
	v_cmp_o_f16_e32 vcc_lo, v5, v5
	s_delay_alu instid0(VALU_DEP_2) | instskip(NEXT) | instid1(VALU_DEP_1)
	v_bfe_u32 v7, v6, 16, 1
	v_add3_u32 v6, v6, v7, 0x7fff
	s_delay_alu instid0(VALU_DEP_1) | instskip(NEXT) | instid1(VALU_DEP_1)
	v_lshrrev_b32_e32 v6, 16, v6
	v_cndmask_b32_e32 v6, 0x7fc0, v6, vcc_lo
.LBB104_874:
	s_cbranch_execnz .LBB104_885
.LBB104_875:
	v_cmp_gt_i16_e32 vcc_lo, 6, v4
	s_cbranch_vccnz .LBB104_878
; %bb.876:
	v_cmp_lt_i16_e32 vcc_lo, 6, v4
	s_cbranch_vccz .LBB104_879
; %bb.877:
	global_load_b64 v[5:6], v[0:1], off
	s_mov_b32 s12, 0
	s_waitcnt vmcnt(0)
	v_cvt_f32_f64_e32 v5, v[5:6]
	s_delay_alu instid0(VALU_DEP_1) | instskip(SKIP_1) | instid1(VALU_DEP_2)
	v_bfe_u32 v6, v5, 16, 1
	v_cmp_o_f32_e32 vcc_lo, v5, v5
	v_add3_u32 v6, v5, v6, 0x7fff
	s_delay_alu instid0(VALU_DEP_1) | instskip(NEXT) | instid1(VALU_DEP_1)
	v_lshrrev_b32_e32 v6, 16, v6
	v_cndmask_b32_e32 v6, 0x7fc0, v6, vcc_lo
	s_branch .LBB104_880
.LBB104_878:
	s_mov_b32 s12, -1
                                        ; implicit-def: $vgpr6
	s_branch .LBB104_883
.LBB104_879:
	s_mov_b32 s12, -1
                                        ; implicit-def: $vgpr6
.LBB104_880:
	s_delay_alu instid0(SALU_CYCLE_1)
	s_and_not1_b32 vcc_lo, exec_lo, s12
	s_cbranch_vccnz .LBB104_882
; %bb.881:
	global_load_b32 v5, v[0:1], off
	s_waitcnt vmcnt(0)
	v_bfe_u32 v6, v5, 16, 1
	v_cmp_o_f32_e32 vcc_lo, v5, v5
	s_delay_alu instid0(VALU_DEP_2) | instskip(NEXT) | instid1(VALU_DEP_1)
	v_add3_u32 v6, v5, v6, 0x7fff
	v_lshrrev_b32_e32 v6, 16, v6
	s_delay_alu instid0(VALU_DEP_1)
	v_cndmask_b32_e32 v6, 0x7fc0, v6, vcc_lo
.LBB104_882:
	s_mov_b32 s12, 0
.LBB104_883:
	s_delay_alu instid0(SALU_CYCLE_1)
	s_and_not1_b32 vcc_lo, exec_lo, s12
	s_cbranch_vccnz .LBB104_885
; %bb.884:
	global_load_u16 v5, v[0:1], off
	s_waitcnt vmcnt(0)
	v_cvt_f32_f16_e32 v6, v5
	v_cmp_o_f16_e32 vcc_lo, v5, v5
	s_delay_alu instid0(VALU_DEP_2) | instskip(NEXT) | instid1(VALU_DEP_1)
	v_bfe_u32 v7, v6, 16, 1
	v_add3_u32 v6, v6, v7, 0x7fff
	s_delay_alu instid0(VALU_DEP_1) | instskip(NEXT) | instid1(VALU_DEP_1)
	v_lshrrev_b32_e32 v6, 16, v6
	v_cndmask_b32_e32 v6, 0x7fc0, v6, vcc_lo
.LBB104_885:
	s_cbranch_execnz .LBB104_904
.LBB104_886:
	v_cmp_gt_i16_e32 vcc_lo, 2, v4
	s_cbranch_vccnz .LBB104_890
; %bb.887:
	v_cmp_gt_i16_e32 vcc_lo, 3, v4
	s_cbranch_vccnz .LBB104_891
; %bb.888:
	v_cmp_lt_i16_e32 vcc_lo, 3, v4
	s_cbranch_vccz .LBB104_892
; %bb.889:
	global_load_b64 v[5:6], v[0:1], off
	s_mov_b32 s12, 0
	s_waitcnt vmcnt(0)
	v_xor_b32_e32 v7, v5, v6
	v_cls_i32_e32 v8, v6
	s_delay_alu instid0(VALU_DEP_2) | instskip(NEXT) | instid1(VALU_DEP_2)
	v_ashrrev_i32_e32 v7, 31, v7
	v_add_nc_u32_e32 v8, -1, v8
	s_delay_alu instid0(VALU_DEP_2) | instskip(NEXT) | instid1(VALU_DEP_1)
	v_add_nc_u32_e32 v7, 32, v7
	v_min_u32_e32 v7, v8, v7
	s_delay_alu instid0(VALU_DEP_1) | instskip(NEXT) | instid1(VALU_DEP_1)
	v_lshlrev_b64 v[5:6], v7, v[5:6]
	v_min_u32_e32 v5, 1, v5
	s_delay_alu instid0(VALU_DEP_1) | instskip(SKIP_1) | instid1(VALU_DEP_2)
	v_or_b32_e32 v5, v6, v5
	v_sub_nc_u32_e32 v6, 32, v7
	v_cvt_f32_i32_e32 v5, v5
	s_delay_alu instid0(VALU_DEP_1) | instskip(NEXT) | instid1(VALU_DEP_1)
	v_ldexp_f32 v5, v5, v6
	v_bfe_u32 v6, v5, 16, 1
	s_delay_alu instid0(VALU_DEP_1) | instskip(NEXT) | instid1(VALU_DEP_1)
	v_add3_u32 v5, v5, v6, 0x7fff
	v_lshrrev_b32_e32 v6, 16, v5
	s_branch .LBB104_893
.LBB104_890:
                                        ; implicit-def: $vgpr6
	s_branch .LBB104_899
.LBB104_891:
	s_mov_b32 s12, -1
                                        ; implicit-def: $vgpr6
	s_branch .LBB104_896
.LBB104_892:
	s_mov_b32 s12, -1
                                        ; implicit-def: $vgpr6
.LBB104_893:
	s_delay_alu instid0(SALU_CYCLE_1)
	s_and_not1_b32 vcc_lo, exec_lo, s12
	s_cbranch_vccnz .LBB104_895
; %bb.894:
	global_load_b32 v5, v[0:1], off
	s_waitcnt vmcnt(0)
	v_cvt_f32_i32_e32 v5, v5
	s_delay_alu instid0(VALU_DEP_1) | instskip(NEXT) | instid1(VALU_DEP_1)
	v_bfe_u32 v6, v5, 16, 1
	v_add3_u32 v5, v5, v6, 0x7fff
	s_delay_alu instid0(VALU_DEP_1)
	v_lshrrev_b32_e32 v6, 16, v5
.LBB104_895:
	s_mov_b32 s12, 0
.LBB104_896:
	s_delay_alu instid0(SALU_CYCLE_1)
	s_and_not1_b32 vcc_lo, exec_lo, s12
	s_cbranch_vccnz .LBB104_898
; %bb.897:
	global_load_i16 v5, v[0:1], off
	s_waitcnt vmcnt(0)
	v_cvt_f32_i32_e32 v5, v5
	s_delay_alu instid0(VALU_DEP_1) | instskip(NEXT) | instid1(VALU_DEP_1)
	v_bfe_u32 v6, v5, 16, 1
	v_add3_u32 v5, v5, v6, 0x7fff
	s_delay_alu instid0(VALU_DEP_1)
	v_lshrrev_b32_e32 v6, 16, v5
.LBB104_898:
	s_cbranch_execnz .LBB104_904
.LBB104_899:
	v_cmp_lt_i16_e32 vcc_lo, 0, v4
	s_mov_b32 s12, 0
	s_cbranch_vccz .LBB104_901
; %bb.900:
	global_load_i8 v4, v[0:1], off
	s_waitcnt vmcnt(0)
	v_cvt_f32_i32_e32 v4, v4
	s_delay_alu instid0(VALU_DEP_1) | instskip(NEXT) | instid1(VALU_DEP_1)
	v_bfe_u32 v5, v4, 16, 1
	v_add3_u32 v4, v4, v5, 0x7fff
	s_delay_alu instid0(VALU_DEP_1)
	v_lshrrev_b32_e32 v6, 16, v4
	s_branch .LBB104_902
.LBB104_901:
	s_mov_b32 s12, -1
                                        ; implicit-def: $vgpr6
.LBB104_902:
	s_delay_alu instid0(SALU_CYCLE_1)
	s_and_not1_b32 vcc_lo, exec_lo, s12
	s_cbranch_vccnz .LBB104_904
; %bb.903:
	global_load_u8 v0, v[0:1], off
	s_waitcnt vmcnt(0)
	v_cvt_f32_ubyte0_e32 v0, v0
	s_delay_alu instid0(VALU_DEP_1) | instskip(NEXT) | instid1(VALU_DEP_1)
	v_bfe_u32 v1, v0, 16, 1
	v_add3_u32 v0, v0, v1, 0x7fff
	s_delay_alu instid0(VALU_DEP_1)
	v_lshrrev_b32_e32 v6, 16, v0
.LBB104_904:
	s_or_b32 s0, s0, exec_lo
.LBB104_905:
	s_or_b32 exec_lo, exec_lo, s11
	s_mov_b32 s13, 0
	s_mov_b32 s12, 0
                                        ; implicit-def: $vgpr5
                                        ; implicit-def: $vgpr0_vgpr1
                                        ; implicit-def: $vgpr4
	s_and_saveexec_b32 s11, s0
	s_cbranch_execz .LBB104_982
; %bb.906:
	s_waitcnt vmcnt(0)
	v_lshlrev_b32_e32 v0, 16, v6
	s_mov_b32 s12, -1
	s_delay_alu instid0(VALU_DEP_1) | instskip(NEXT) | instid1(VALU_DEP_1)
	v_mul_f32_e32 v1, 0x3fb8aa3b, v0
	v_rndne_f32_e32 v4, v1
	v_fma_f32 v5, 0x3fb8aa3b, v0, -v1
	s_delay_alu instid0(VALU_DEP_2) | instskip(NEXT) | instid1(VALU_DEP_2)
	v_sub_f32_e32 v1, v1, v4
	v_fmamk_f32 v5, v0, 0x32a5705f, v5
	v_cvt_i32_f32_e32 v4, v4
	v_cmp_ngt_f32_e32 vcc_lo, 0xc2ce8ed0, v0
	s_delay_alu instid0(VALU_DEP_3) | instskip(SKIP_1) | instid1(VALU_DEP_2)
	v_add_f32_e32 v1, v1, v5
	v_and_b32_e32 v5, 0xff, v2
	v_exp_f32_e32 v1, v1
	s_waitcnt_depctr 0xfff
	v_ldexp_f32 v1, v1, v4
	s_delay_alu instid0(VALU_DEP_1) | instskip(SKIP_1) | instid1(VALU_DEP_2)
	v_cndmask_b32_e32 v1, 0, v1, vcc_lo
	v_cmp_nlt_f32_e32 vcc_lo, 0x42b17218, v0
	v_cndmask_b32_e32 v4, 0x7f800000, v1, vcc_lo
	v_mul_lo_u32 v1, v3, s2
	v_cmp_gt_i16_e32 vcc_lo, 11, v5
	s_delay_alu instid0(VALU_DEP_3) | instskip(SKIP_1) | instid1(VALU_DEP_3)
	v_bfe_u32 v0, v4, 16, 1
	s_and_b32 vcc_lo, exec_lo, vcc_lo
	v_ashrrev_i32_e32 v2, 31, v1
	s_delay_alu instid0(VALU_DEP_2) | instskip(NEXT) | instid1(VALU_DEP_1)
	v_add3_u32 v0, v4, v0, 0x7fff
	v_lshrrev_b32_e32 v3, 16, v0
	v_add_co_u32 v0, s0, s4, v1
	s_delay_alu instid0(VALU_DEP_1) | instskip(SKIP_1) | instid1(VALU_DEP_1)
	v_add_co_ci_u32_e64 v1, s0, s5, v2, s0
	v_cmp_o_f32_e64 s0, v4, v4
	v_cndmask_b32_e64 v4, 0x7fc0, v3, s0
	s_mov_b32 s0, s9
	s_cbranch_vccnz .LBB104_981
; %bb.907:
	v_cmp_lt_i16_e32 vcc_lo, 25, v5
	s_mov_b32 s0, s9
	s_cbranch_vccz .LBB104_940
; %bb.908:
	v_cmp_lt_i16_e32 vcc_lo, 28, v5
	s_mov_b32 s0, s9
	s_cbranch_vccz .LBB104_924
	;; [unrolled: 4-line block ×4, first 2 shown]
; %bb.911:
	v_cmp_eq_u16_e32 vcc_lo, 46, v5
	s_mov_b32 s0, -1
	s_cbranch_vccz .LBB104_913
; %bb.912:
	v_and_b32_e32 v2, 0xffff, v4
	s_mov_b32 s0, 0
	global_store_b32 v[0:1], v2, off
.LBB104_913:
	s_mov_b32 s12, 0
.LBB104_914:
	s_delay_alu instid0(SALU_CYCLE_1)
	s_and_b32 vcc_lo, exec_lo, s12
	s_cbranch_vccz .LBB104_919
; %bb.915:
	v_cmp_eq_u16_e32 vcc_lo, 44, v5
	s_mov_b32 s0, -1
	s_cbranch_vccz .LBB104_919
; %bb.916:
	v_and_b32_e32 v2, 0xffff, v4
	v_mov_b32_e32 v3, 0xff
	s_mov_b32 s12, exec_lo
	s_delay_alu instid0(VALU_DEP_2) | instskip(NEXT) | instid1(VALU_DEP_1)
	v_bfe_u32 v6, v2, 7, 8
	v_cmpx_ne_u32_e32 0xff, v6
; %bb.917:
	v_lshlrev_b32_e32 v3, 16, v2
	v_and_b32_e32 v7, 64, v2
	v_lshrrev_b32_e32 v2, 7, v2
	s_delay_alu instid0(VALU_DEP_3) | instskip(NEXT) | instid1(VALU_DEP_3)
	v_and_or_b32 v3, 0x3f0000, v3, v6
	v_cmp_ne_u32_e32 vcc_lo, 0, v7
	s_delay_alu instid0(VALU_DEP_2) | instskip(NEXT) | instid1(VALU_DEP_1)
	v_cmp_ne_u32_e64 s0, 0, v3
	s_and_b32 s0, vcc_lo, s0
	s_delay_alu instid0(SALU_CYCLE_1) | instskip(NEXT) | instid1(VALU_DEP_1)
	v_cndmask_b32_e64 v3, 0, 1, s0
	v_add_nc_u32_e32 v3, v2, v3
; %bb.918:
	s_or_b32 exec_lo, exec_lo, s12
	s_mov_b32 s0, 0
	global_store_b8 v[0:1], v3, off
.LBB104_919:
	s_mov_b32 s12, 0
.LBB104_920:
	s_delay_alu instid0(SALU_CYCLE_1)
	s_and_b32 vcc_lo, exec_lo, s12
	s_cbranch_vccz .LBB104_923
; %bb.921:
	v_cmp_eq_u16_e32 vcc_lo, 29, v5
	s_mov_b32 s0, -1
	s_cbranch_vccz .LBB104_923
; %bb.922:
	v_lshlrev_b32_e32 v2, 16, v4
	s_mov_b32 s0, 0
	s_delay_alu instid0(VALU_DEP_1) | instskip(NEXT) | instid1(VALU_DEP_1)
	v_trunc_f32_e32 v2, v2
	v_mul_f32_e32 v3, 0x2f800000, v2
	s_delay_alu instid0(VALU_DEP_1) | instskip(NEXT) | instid1(VALU_DEP_1)
	v_floor_f32_e32 v3, v3
	v_fmamk_f32 v2, v3, 0xcf800000, v2
	v_cvt_u32_f32_e32 v3, v3
	s_delay_alu instid0(VALU_DEP_2)
	v_cvt_u32_f32_e32 v2, v2
	global_store_b64 v[0:1], v[2:3], off
.LBB104_923:
	s_mov_b32 s12, 0
.LBB104_924:
	s_delay_alu instid0(SALU_CYCLE_1)
	s_and_b32 vcc_lo, exec_lo, s12
	s_cbranch_vccz .LBB104_939
; %bb.925:
	v_cmp_gt_i16_e32 vcc_lo, 27, v5
	s_mov_b32 s12, -1
	s_cbranch_vccnz .LBB104_931
; %bb.926:
	v_cmp_lt_i16_e32 vcc_lo, 27, v5
	s_cbranch_vccz .LBB104_928
; %bb.927:
	v_lshlrev_b32_e32 v2, 16, v4
	s_mov_b32 s12, 0
	s_delay_alu instid0(VALU_DEP_1)
	v_cvt_u32_f32_e32 v2, v2
	global_store_b32 v[0:1], v2, off
.LBB104_928:
	s_and_not1_b32 vcc_lo, exec_lo, s12
	s_cbranch_vccnz .LBB104_930
; %bb.929:
	v_lshlrev_b32_e32 v2, 16, v4
	s_delay_alu instid0(VALU_DEP_1)
	v_cvt_u32_f32_e32 v2, v2
	global_store_b16 v[0:1], v2, off
.LBB104_930:
	s_mov_b32 s12, 0
.LBB104_931:
	s_delay_alu instid0(SALU_CYCLE_1)
	s_and_not1_b32 vcc_lo, exec_lo, s12
	s_cbranch_vccnz .LBB104_939
; %bb.932:
	v_dual_mov_b32 v7, 0x80 :: v_dual_lshlrev_b32 v6, 16, v4
	s_mov_b32 s12, exec_lo
	s_delay_alu instid0(VALU_DEP_1) | instskip(NEXT) | instid1(VALU_DEP_1)
	v_and_b32_e32 v3, 0x7fffffff, v6
	v_cmpx_gt_u32_e32 0x43800000, v3
	s_cbranch_execz .LBB104_938
; %bb.933:
	v_and_b32_e32 v2, 0xffff, v4
	v_cmp_lt_u32_e32 vcc_lo, 0x3bffffff, v3
                                        ; implicit-def: $vgpr3
	s_and_saveexec_b32 s14, vcc_lo
	s_delay_alu instid0(SALU_CYCLE_1)
	s_xor_b32 s14, exec_lo, s14
	s_cbranch_execz .LBB104_1175
; %bb.934:
	v_bfe_u32 v3, v2, 4, 1
	s_mov_b32 s13, exec_lo
	s_delay_alu instid0(VALU_DEP_1) | instskip(NEXT) | instid1(VALU_DEP_1)
	v_add3_u32 v3, v6, v3, 0x487ffff
                                        ; implicit-def: $vgpr6
	v_lshrrev_b32_e32 v3, 20, v3
	s_or_saveexec_b32 s14, s14
                                        ; implicit-def: $sgpr15
	s_delay_alu instid0(SALU_CYCLE_1)
	s_xor_b32 exec_lo, exec_lo, s14
	s_cbranch_execnz .LBB104_1176
.LBB104_935:
	s_or_b32 exec_lo, exec_lo, s14
	v_mov_b32_e32 v7, s15
	s_and_saveexec_b32 s14, s13
.LBB104_936:
	v_lshrrev_b32_e32 v2, 8, v2
	s_delay_alu instid0(VALU_DEP_1)
	v_and_or_b32 v7, 0x80, v2, v3
.LBB104_937:
	s_or_b32 exec_lo, exec_lo, s14
.LBB104_938:
	s_delay_alu instid0(SALU_CYCLE_1)
	s_or_b32 exec_lo, exec_lo, s12
	global_store_b8 v[0:1], v7, off
.LBB104_939:
	s_mov_b32 s12, 0
.LBB104_940:
	s_delay_alu instid0(SALU_CYCLE_1)
	s_and_b32 vcc_lo, exec_lo, s12
	s_mov_b32 s12, 0
	s_cbranch_vccz .LBB104_980
; %bb.941:
	v_cmp_lt_i16_e32 vcc_lo, 22, v5
	s_mov_b32 s13, -1
	s_cbranch_vccz .LBB104_973
; %bb.942:
	v_cmp_gt_i16_e32 vcc_lo, 24, v5
	s_cbranch_vccnz .LBB104_962
; %bb.943:
	v_cmp_lt_i16_e32 vcc_lo, 24, v5
	s_cbranch_vccz .LBB104_951
; %bb.944:
	v_dual_mov_b32 v7, 0x80 :: v_dual_lshlrev_b32 v6, 16, v4
	s_mov_b32 s13, exec_lo
	s_delay_alu instid0(VALU_DEP_1) | instskip(NEXT) | instid1(VALU_DEP_1)
	v_and_b32_e32 v3, 0x7fffffff, v6
	v_cmpx_gt_u32_e32 0x47800000, v3
	s_cbranch_execz .LBB104_950
; %bb.945:
	v_and_b32_e32 v2, 0xffff, v4
	v_cmp_lt_u32_e32 vcc_lo, 0x37ffffff, v3
	s_mov_b32 s14, 0
                                        ; implicit-def: $vgpr3
	s_and_saveexec_b32 s15, vcc_lo
	s_delay_alu instid0(SALU_CYCLE_1)
	s_xor_b32 s15, exec_lo, s15
	s_cbranch_execz .LBB104_1219
; %bb.946:
	v_bfe_u32 v3, v2, 5, 1
	s_mov_b32 s14, exec_lo
	s_delay_alu instid0(VALU_DEP_1) | instskip(NEXT) | instid1(VALU_DEP_1)
	v_add3_u32 v3, v6, v3, 0x88fffff
                                        ; implicit-def: $vgpr6
	v_lshrrev_b32_e32 v3, 21, v3
	s_or_saveexec_b32 s15, s15
                                        ; implicit-def: $sgpr16
	s_delay_alu instid0(SALU_CYCLE_1)
	s_xor_b32 exec_lo, exec_lo, s15
	s_cbranch_execnz .LBB104_1220
.LBB104_947:
	s_or_b32 exec_lo, exec_lo, s15
	v_mov_b32_e32 v7, s16
	s_and_saveexec_b32 s15, s14
.LBB104_948:
	v_lshrrev_b32_e32 v2, 8, v2
	s_delay_alu instid0(VALU_DEP_1)
	v_and_or_b32 v7, 0x80, v2, v3
.LBB104_949:
	s_or_b32 exec_lo, exec_lo, s15
.LBB104_950:
	s_delay_alu instid0(SALU_CYCLE_1)
	s_or_b32 exec_lo, exec_lo, s13
	s_mov_b32 s13, 0
	global_store_b8 v[0:1], v7, off
.LBB104_951:
	s_and_b32 vcc_lo, exec_lo, s13
	s_cbranch_vccz .LBB104_961
; %bb.952:
	v_lshlrev_b32_e32 v6, 16, v4
	v_and_b32_e32 v2, 0xffff, v4
	s_mov_b32 s13, exec_lo
                                        ; implicit-def: $vgpr3
	s_delay_alu instid0(VALU_DEP_2) | instskip(NEXT) | instid1(VALU_DEP_1)
	v_and_b32_e32 v7, 0x7fffffff, v6
	v_cmpx_gt_u32_e32 0x43f00000, v7
	s_xor_b32 s13, exec_lo, s13
	s_cbranch_execz .LBB104_958
; %bb.953:
	s_mov_b32 s14, exec_lo
                                        ; implicit-def: $vgpr3
	v_cmpx_lt_u32_e32 0x3c7fffff, v7
	s_xor_b32 s14, exec_lo, s14
; %bb.954:
	v_bfe_u32 v3, v2, 4, 1
	s_delay_alu instid0(VALU_DEP_1) | instskip(NEXT) | instid1(VALU_DEP_1)
	v_add3_u32 v3, v6, v3, 0x407ffff
	v_and_b32_e32 v6, 0xff00000, v3
	v_lshrrev_b32_e32 v3, 20, v3
	s_delay_alu instid0(VALU_DEP_2) | instskip(NEXT) | instid1(VALU_DEP_2)
	v_cmp_ne_u32_e32 vcc_lo, 0x7f00000, v6
                                        ; implicit-def: $vgpr6
	v_cndmask_b32_e32 v3, 0x7e, v3, vcc_lo
; %bb.955:
	s_and_not1_saveexec_b32 s14, s14
; %bb.956:
	v_add_f32_e64 v3, 0x46800000, |v6|
; %bb.957:
	s_or_b32 exec_lo, exec_lo, s14
                                        ; implicit-def: $vgpr7
.LBB104_958:
	s_and_not1_saveexec_b32 s13, s13
; %bb.959:
	v_mov_b32_e32 v3, 0x7f
	v_cmp_lt_u32_e32 vcc_lo, 0x7f800000, v7
	s_delay_alu instid0(VALU_DEP_2)
	v_cndmask_b32_e32 v3, 0x7e, v3, vcc_lo
; %bb.960:
	s_or_b32 exec_lo, exec_lo, s13
	v_lshrrev_b32_e32 v2, 8, v2
	s_delay_alu instid0(VALU_DEP_1)
	v_and_or_b32 v2, 0x80, v2, v3
	global_store_b8 v[0:1], v2, off
.LBB104_961:
	s_mov_b32 s13, 0
.LBB104_962:
	s_delay_alu instid0(SALU_CYCLE_1)
	s_and_not1_b32 vcc_lo, exec_lo, s13
	s_cbranch_vccnz .LBB104_972
; %bb.963:
	v_lshlrev_b32_e32 v6, 16, v4
	v_and_b32_e32 v2, 0xffff, v4
	s_mov_b32 s13, exec_lo
                                        ; implicit-def: $vgpr3
	s_delay_alu instid0(VALU_DEP_2) | instskip(NEXT) | instid1(VALU_DEP_1)
	v_and_b32_e32 v7, 0x7fffffff, v6
	v_cmpx_gt_u32_e32 0x47800000, v7
	s_xor_b32 s13, exec_lo, s13
	s_cbranch_execz .LBB104_969
; %bb.964:
	s_mov_b32 s14, exec_lo
                                        ; implicit-def: $vgpr3
	v_cmpx_lt_u32_e32 0x387fffff, v7
	s_xor_b32 s14, exec_lo, s14
; %bb.965:
	v_bfe_u32 v3, v2, 5, 1
	s_delay_alu instid0(VALU_DEP_1) | instskip(NEXT) | instid1(VALU_DEP_1)
	v_add3_u32 v3, v6, v3, 0x80fffff
                                        ; implicit-def: $vgpr6
	v_lshrrev_b32_e32 v3, 21, v3
; %bb.966:
	s_and_not1_saveexec_b32 s14, s14
; %bb.967:
	v_add_f32_e64 v3, 0x43000000, |v6|
; %bb.968:
	s_or_b32 exec_lo, exec_lo, s14
                                        ; implicit-def: $vgpr7
.LBB104_969:
	s_and_not1_saveexec_b32 s13, s13
; %bb.970:
	v_mov_b32_e32 v3, 0x7f
	v_cmp_lt_u32_e32 vcc_lo, 0x7f800000, v7
	s_delay_alu instid0(VALU_DEP_2)
	v_cndmask_b32_e32 v3, 0x7c, v3, vcc_lo
; %bb.971:
	s_or_b32 exec_lo, exec_lo, s13
	v_lshrrev_b32_e32 v2, 8, v2
	s_delay_alu instid0(VALU_DEP_1)
	v_and_or_b32 v2, 0x80, v2, v3
	global_store_b8 v[0:1], v2, off
.LBB104_972:
	s_mov_b32 s13, 0
.LBB104_973:
	s_delay_alu instid0(SALU_CYCLE_1)
	s_and_not1_b32 vcc_lo, exec_lo, s13
	s_mov_b32 s13, 0
	s_cbranch_vccnz .LBB104_981
; %bb.974:
	v_cmp_lt_i16_e32 vcc_lo, 14, v5
	s_mov_b32 s13, -1
	s_cbranch_vccz .LBB104_978
; %bb.975:
	v_cmp_eq_u16_e32 vcc_lo, 15, v5
	s_mov_b32 s0, -1
	s_cbranch_vccz .LBB104_977
; %bb.976:
	s_mov_b32 s0, 0
	global_store_b16 v[0:1], v4, off
.LBB104_977:
	s_mov_b32 s13, 0
.LBB104_978:
	s_delay_alu instid0(SALU_CYCLE_1)
	s_and_b32 vcc_lo, exec_lo, s13
	s_mov_b32 s13, 0
	s_cbranch_vccz .LBB104_981
; %bb.979:
	v_cmp_ne_u16_e32 vcc_lo, 11, v5
	s_and_not1_b32 s0, s0, exec_lo
	s_mov_b32 s13, -1
	s_and_b32 s14, vcc_lo, exec_lo
	s_delay_alu instid0(SALU_CYCLE_1)
	s_or_b32 s0, s0, s14
	s_branch .LBB104_981
.LBB104_980:
	s_mov_b32 s13, 0
.LBB104_981:
	s_and_not1_b32 s9, s9, exec_lo
	s_and_b32 s0, s0, exec_lo
	s_and_b32 s12, s12, exec_lo
	;; [unrolled: 1-line block ×3, first 2 shown]
	s_or_b32 s9, s9, s0
.LBB104_982:
	s_or_b32 exec_lo, exec_lo, s11
	s_and_saveexec_b32 s0, s9
	s_cbranch_execnz .LBB104_1044
; %bb.983:
	s_or_b32 exec_lo, exec_lo, s0
	s_and_saveexec_b32 s0, s13
	s_delay_alu instid0(SALU_CYCLE_1)
	s_xor_b32 s0, exec_lo, s0
	s_cbranch_execz .LBB104_985
.LBB104_984:
	v_and_b32_e32 v2, 0x7fff, v4
	s_delay_alu instid0(VALU_DEP_1)
	v_cmp_ne_u16_e32 vcc_lo, 0, v2
	v_cndmask_b32_e64 v2, 0, 1, vcc_lo
	global_store_b8 v[0:1], v2, off
.LBB104_985:
	s_or_b32 exec_lo, exec_lo, s0
	s_and_saveexec_b32 s0, s12
	s_delay_alu instid0(SALU_CYCLE_1)
	s_xor_b32 s0, exec_lo, s0
	s_cbranch_execz .LBB104_1023
; %bb.986:
	s_waitcnt vmcnt(0)
	v_cmp_gt_i16_e32 vcc_lo, 5, v5
	s_mov_b32 s9, -1
	s_cbranch_vccnz .LBB104_1007
; %bb.987:
	v_cmp_gt_i16_e32 vcc_lo, 8, v5
	s_cbranch_vccnz .LBB104_997
; %bb.988:
	v_cmp_gt_i16_e32 vcc_lo, 9, v5
	s_cbranch_vccnz .LBB104_994
; %bb.989:
	v_cmp_lt_i16_e32 vcc_lo, 9, v5
	s_cbranch_vccz .LBB104_991
; %bb.990:
	v_mov_b32_e32 v8, 0
	v_lshlrev_b32_e32 v2, 16, v4
	s_mov_b32 s9, 0
	s_delay_alu instid0(VALU_DEP_2) | instskip(NEXT) | instid1(VALU_DEP_2)
	v_mov_b32_e32 v9, v8
	v_cvt_f64_f32_e32 v[6:7], v2
	global_store_b128 v[0:1], v[6:9], off
.LBB104_991:
	s_and_not1_b32 vcc_lo, exec_lo, s9
	s_cbranch_vccnz .LBB104_993
; %bb.992:
	v_dual_mov_b32 v3, 0 :: v_dual_lshlrev_b32 v2, 16, v4
	global_store_b64 v[0:1], v[2:3], off
.LBB104_993:
	s_mov_b32 s9, 0
.LBB104_994:
	s_delay_alu instid0(SALU_CYCLE_1)
	s_and_not1_b32 vcc_lo, exec_lo, s9
	s_cbranch_vccnz .LBB104_996
; %bb.995:
	v_lshlrev_b32_e32 v2, 16, v4
	s_delay_alu instid0(VALU_DEP_1) | instskip(NEXT) | instid1(VALU_DEP_1)
	v_cvt_f16_f32_e32 v2, v2
	v_and_b32_e32 v2, 0xffff, v2
	global_store_b32 v[0:1], v2, off
.LBB104_996:
	s_mov_b32 s9, 0
.LBB104_997:
	s_delay_alu instid0(SALU_CYCLE_1)
	s_and_not1_b32 vcc_lo, exec_lo, s9
	s_cbranch_vccnz .LBB104_1006
; %bb.998:
	v_cmp_gt_i16_e32 vcc_lo, 6, v5
	s_mov_b32 s9, -1
	s_cbranch_vccnz .LBB104_1004
; %bb.999:
	v_cmp_lt_i16_e32 vcc_lo, 6, v5
	s_cbranch_vccz .LBB104_1001
; %bb.1000:
	v_lshlrev_b32_e32 v2, 16, v4
	s_mov_b32 s9, 0
	s_delay_alu instid0(VALU_DEP_1)
	v_cvt_f64_f32_e32 v[2:3], v2
	global_store_b64 v[0:1], v[2:3], off
.LBB104_1001:
	s_and_not1_b32 vcc_lo, exec_lo, s9
	s_cbranch_vccnz .LBB104_1003
; %bb.1002:
	v_lshlrev_b32_e32 v2, 16, v4
	global_store_b32 v[0:1], v2, off
.LBB104_1003:
	s_mov_b32 s9, 0
.LBB104_1004:
	s_delay_alu instid0(SALU_CYCLE_1)
	s_and_not1_b32 vcc_lo, exec_lo, s9
	s_cbranch_vccnz .LBB104_1006
; %bb.1005:
	v_lshlrev_b32_e32 v2, 16, v4
	s_delay_alu instid0(VALU_DEP_1)
	v_cvt_f16_f32_e32 v2, v2
	global_store_b16 v[0:1], v2, off
.LBB104_1006:
	s_mov_b32 s9, 0
.LBB104_1007:
	s_delay_alu instid0(SALU_CYCLE_1)
	s_and_not1_b32 vcc_lo, exec_lo, s9
	s_cbranch_vccnz .LBB104_1023
; %bb.1008:
	v_cmp_gt_i16_e32 vcc_lo, 2, v5
	s_mov_b32 s9, -1
	s_cbranch_vccnz .LBB104_1018
; %bb.1009:
	v_cmp_gt_i16_e32 vcc_lo, 3, v5
	s_cbranch_vccnz .LBB104_1015
; %bb.1010:
	v_cmp_lt_i16_e32 vcc_lo, 3, v5
	s_cbranch_vccz .LBB104_1012
; %bb.1011:
	v_lshlrev_b32_e32 v2, 16, v4
	s_mov_b32 s9, 0
	s_delay_alu instid0(VALU_DEP_1) | instskip(NEXT) | instid1(VALU_DEP_1)
	v_trunc_f32_e32 v2, v2
	v_mul_f32_e64 v3, 0x2f800000, |v2|
	v_ashrrev_i32_e32 v7, 31, v2
	s_delay_alu instid0(VALU_DEP_2) | instskip(NEXT) | instid1(VALU_DEP_1)
	v_floor_f32_e32 v3, v3
	v_fma_f32 v6, 0xcf800000, v3, |v2|
	v_cvt_u32_f32_e32 v3, v3
	s_delay_alu instid0(VALU_DEP_2) | instskip(NEXT) | instid1(VALU_DEP_2)
	v_cvt_u32_f32_e32 v2, v6
	v_xor_b32_e32 v3, v3, v7
	s_delay_alu instid0(VALU_DEP_2) | instskip(NEXT) | instid1(VALU_DEP_1)
	v_xor_b32_e32 v2, v2, v7
	v_sub_co_u32 v2, vcc_lo, v2, v7
	s_delay_alu instid0(VALU_DEP_3)
	v_sub_co_ci_u32_e32 v3, vcc_lo, v3, v7, vcc_lo
	global_store_b64 v[0:1], v[2:3], off
.LBB104_1012:
	s_and_not1_b32 vcc_lo, exec_lo, s9
	s_cbranch_vccnz .LBB104_1014
; %bb.1013:
	v_lshlrev_b32_e32 v2, 16, v4
	s_delay_alu instid0(VALU_DEP_1)
	v_cvt_i32_f32_e32 v2, v2
	global_store_b32 v[0:1], v2, off
.LBB104_1014:
	s_mov_b32 s9, 0
.LBB104_1015:
	s_delay_alu instid0(SALU_CYCLE_1)
	s_and_not1_b32 vcc_lo, exec_lo, s9
	s_cbranch_vccnz .LBB104_1017
; %bb.1016:
	v_lshlrev_b32_e32 v2, 16, v4
	s_delay_alu instid0(VALU_DEP_1)
	v_cvt_i32_f32_e32 v2, v2
	global_store_b16 v[0:1], v2, off
.LBB104_1017:
	s_mov_b32 s9, 0
.LBB104_1018:
	s_delay_alu instid0(SALU_CYCLE_1)
	s_and_not1_b32 vcc_lo, exec_lo, s9
	s_cbranch_vccnz .LBB104_1023
; %bb.1019:
	v_cmp_lt_i16_e32 vcc_lo, 0, v5
	s_mov_b32 s9, -1
	s_cbranch_vccz .LBB104_1021
; %bb.1020:
	v_lshlrev_b32_e32 v2, 16, v4
	s_mov_b32 s9, 0
	s_delay_alu instid0(VALU_DEP_1)
	v_cvt_i32_f32_e32 v2, v2
	global_store_b8 v[0:1], v2, off
.LBB104_1021:
	s_and_not1_b32 vcc_lo, exec_lo, s9
	s_cbranch_vccnz .LBB104_1023
; %bb.1022:
	v_lshlrev_b32_e32 v2, 16, v4
	s_delay_alu instid0(VALU_DEP_1) | instskip(NEXT) | instid1(VALU_DEP_1)
	v_trunc_f32_e32 v2, v2
	v_mul_f32_e64 v3, 0x2f800000, |v2|
	s_delay_alu instid0(VALU_DEP_1) | instskip(NEXT) | instid1(VALU_DEP_1)
	v_floor_f32_e32 v3, v3
	v_fma_f32 v3, 0xcf800000, v3, |v2|
	v_ashrrev_i32_e32 v2, 31, v2
	s_delay_alu instid0(VALU_DEP_2) | instskip(NEXT) | instid1(VALU_DEP_1)
	v_cvt_u32_f32_e32 v3, v3
	v_xor_b32_e32 v3, v3, v2
	s_delay_alu instid0(VALU_DEP_1)
	v_sub_nc_u32_e32 v2, v3, v2
	global_store_b8 v[0:1], v2, off
.LBB104_1023:
	s_or_b32 exec_lo, exec_lo, s0
	s_delay_alu instid0(SALU_CYCLE_1)
	s_and_b32 s9, s10, exec_lo
                                        ; implicit-def: $vgpr3
                                        ; implicit-def: $vgpr4
                                        ; implicit-def: $vgpr2
.LBB104_1024:
	s_or_saveexec_b32 s8, s8
	s_mov_b32 s0, 0
                                        ; implicit-def: $vgpr5
                                        ; implicit-def: $vgpr0_vgpr1
                                        ; implicit-def: $vgpr6
	s_xor_b32 exec_lo, exec_lo, s8
	s_cbranch_execz .LBB104_1988
; %bb.1025:
	s_waitcnt vmcnt(0)
	v_mul_lo_u32 v6, s3, v3
	v_cmp_gt_i16_e32 vcc_lo, 11, v4
	s_delay_alu instid0(VALU_DEP_2) | instskip(SKIP_1) | instid1(VALU_DEP_1)
	v_ashrrev_i32_e32 v1, 31, v6
	v_add_co_u32 v0, s0, s6, v6
	v_add_co_ci_u32_e64 v1, s0, s7, v1, s0
	s_cbranch_vccnz .LBB104_1032
; %bb.1026:
	v_cmp_lt_i16_e32 vcc_lo, 25, v4
	s_mov_b32 s10, 0
	s_cbranch_vccz .LBB104_1038
; %bb.1027:
	v_cmp_lt_i16_e32 vcc_lo, 28, v4
	s_cbranch_vccz .LBB104_1040
; %bb.1028:
	v_cmp_lt_i16_e32 vcc_lo, 43, v4
	;; [unrolled: 3-line block ×3, first 2 shown]
	s_cbranch_vccz .LBB104_1046
; %bb.1030:
	v_cmp_eq_u16_e32 vcc_lo, 46, v4
	s_cbranch_vccz .LBB104_1088
; %bb.1031:
	global_load_b32 v5, v[0:1], off
	s_mov_b32 s0, 0
	s_mov_b32 s11, -1
	s_branch .LBB104_1090
.LBB104_1032:
	s_mov_b32 s11, 0
	s_mov_b32 s1, s9
                                        ; implicit-def: $vgpr5
	s_cbranch_execz .LBB104_1153
; %bb.1033:
	v_cmp_gt_i16_e32 vcc_lo, 5, v4
	s_cbranch_vccnz .LBB104_1039
; %bb.1034:
	v_cmp_gt_i16_e32 vcc_lo, 8, v4
	s_cbranch_vccnz .LBB104_1041
	;; [unrolled: 3-line block ×3, first 2 shown]
; %bb.1036:
	v_cmp_lt_i16_e32 vcc_lo, 9, v4
	s_cbranch_vccz .LBB104_1047
; %bb.1037:
	global_load_b64 v[7:8], v[0:1], off
	s_mov_b32 s0, 0
	s_waitcnt vmcnt(0)
	v_cvt_f32_f64_e32 v5, v[7:8]
	s_delay_alu instid0(VALU_DEP_1) | instskip(SKIP_1) | instid1(VALU_DEP_2)
	v_bfe_u32 v7, v5, 16, 1
	v_cmp_o_f32_e32 vcc_lo, v5, v5
	v_add3_u32 v7, v5, v7, 0x7fff
	s_delay_alu instid0(VALU_DEP_1) | instskip(NEXT) | instid1(VALU_DEP_1)
	v_lshrrev_b32_e32 v7, 16, v7
	v_cndmask_b32_e32 v5, 0x7fc0, v7, vcc_lo
	s_branch .LBB104_1048
.LBB104_1038:
	s_mov_b32 s11, 0
	s_mov_b32 s0, 0
                                        ; implicit-def: $vgpr5
	s_cbranch_execnz .LBB104_1118
	s_branch .LBB104_1149
.LBB104_1039:
                                        ; implicit-def: $vgpr5
	s_branch .LBB104_1065
.LBB104_1040:
	s_mov_b32 s1, -1
	s_mov_b32 s11, 0
	s_mov_b32 s0, 0
                                        ; implicit-def: $vgpr5
	s_branch .LBB104_1099
.LBB104_1041:
                                        ; implicit-def: $vgpr5
	s_branch .LBB104_1054
.LBB104_1042:
	s_mov_b32 s11, 0
	s_mov_b32 s0, 0
                                        ; implicit-def: $vgpr5
	s_cbranch_execnz .LBB104_1095
	s_branch .LBB104_1098
.LBB104_1043:
	s_mov_b32 s0, -1
                                        ; implicit-def: $vgpr5
	s_branch .LBB104_1051
.LBB104_1044:
	s_cbranch_execnz .LBB104_1086
; %bb.1045:
	s_or_b32 s10, s10, exec_lo
	s_and_not1_b32 s13, s13, exec_lo
	s_or_b32 exec_lo, exec_lo, s0
	s_and_saveexec_b32 s0, s13
	s_delay_alu instid0(SALU_CYCLE_1)
	s_xor_b32 s0, exec_lo, s0
	s_cbranch_execnz .LBB104_984
	s_branch .LBB104_985
.LBB104_1046:
	s_mov_b32 s1, -1
	s_mov_b32 s11, 0
	s_mov_b32 s0, 0
	s_branch .LBB104_1089
.LBB104_1047:
	s_mov_b32 s0, -1
                                        ; implicit-def: $vgpr5
.LBB104_1048:
	s_delay_alu instid0(SALU_CYCLE_1)
	s_and_not1_b32 vcc_lo, exec_lo, s0
	s_cbranch_vccnz .LBB104_1050
; %bb.1049:
	global_load_b32 v5, v[0:1], off
	s_waitcnt vmcnt(0)
	v_bfe_u32 v7, v5, 16, 1
	v_cmp_o_f32_e32 vcc_lo, v5, v5
	s_delay_alu instid0(VALU_DEP_2) | instskip(NEXT) | instid1(VALU_DEP_1)
	v_add3_u32 v7, v5, v7, 0x7fff
	v_lshrrev_b32_e32 v7, 16, v7
	s_delay_alu instid0(VALU_DEP_1)
	v_cndmask_b32_e32 v5, 0x7fc0, v7, vcc_lo
.LBB104_1050:
	s_mov_b32 s0, 0
.LBB104_1051:
	s_delay_alu instid0(SALU_CYCLE_1)
	s_and_not1_b32 vcc_lo, exec_lo, s0
	s_cbranch_vccnz .LBB104_1053
; %bb.1052:
	global_load_b32 v5, v[0:1], off
	s_waitcnt vmcnt(0)
	v_cvt_f32_f16_e32 v7, v5
	v_cmp_o_f16_e32 vcc_lo, v5, v5
	s_delay_alu instid0(VALU_DEP_2) | instskip(NEXT) | instid1(VALU_DEP_1)
	v_bfe_u32 v8, v7, 16, 1
	v_add3_u32 v7, v7, v8, 0x7fff
	s_delay_alu instid0(VALU_DEP_1) | instskip(NEXT) | instid1(VALU_DEP_1)
	v_lshrrev_b32_e32 v7, 16, v7
	v_cndmask_b32_e32 v5, 0x7fc0, v7, vcc_lo
.LBB104_1053:
	s_cbranch_execnz .LBB104_1064
.LBB104_1054:
	v_cmp_gt_i16_e32 vcc_lo, 6, v4
	s_cbranch_vccnz .LBB104_1057
; %bb.1055:
	v_cmp_lt_i16_e32 vcc_lo, 6, v4
	s_cbranch_vccz .LBB104_1058
; %bb.1056:
	global_load_b64 v[7:8], v[0:1], off
	s_mov_b32 s0, 0
	s_waitcnt vmcnt(0)
	v_cvt_f32_f64_e32 v5, v[7:8]
	s_delay_alu instid0(VALU_DEP_1) | instskip(SKIP_1) | instid1(VALU_DEP_2)
	v_bfe_u32 v7, v5, 16, 1
	v_cmp_o_f32_e32 vcc_lo, v5, v5
	v_add3_u32 v7, v5, v7, 0x7fff
	s_delay_alu instid0(VALU_DEP_1) | instskip(NEXT) | instid1(VALU_DEP_1)
	v_lshrrev_b32_e32 v7, 16, v7
	v_cndmask_b32_e32 v5, 0x7fc0, v7, vcc_lo
	s_branch .LBB104_1059
.LBB104_1057:
	s_mov_b32 s0, -1
                                        ; implicit-def: $vgpr5
	s_branch .LBB104_1062
.LBB104_1058:
	s_mov_b32 s0, -1
                                        ; implicit-def: $vgpr5
.LBB104_1059:
	s_delay_alu instid0(SALU_CYCLE_1)
	s_and_not1_b32 vcc_lo, exec_lo, s0
	s_cbranch_vccnz .LBB104_1061
; %bb.1060:
	global_load_b32 v5, v[0:1], off
	s_waitcnt vmcnt(0)
	v_bfe_u32 v7, v5, 16, 1
	v_cmp_o_f32_e32 vcc_lo, v5, v5
	s_delay_alu instid0(VALU_DEP_2) | instskip(NEXT) | instid1(VALU_DEP_1)
	v_add3_u32 v7, v5, v7, 0x7fff
	v_lshrrev_b32_e32 v7, 16, v7
	s_delay_alu instid0(VALU_DEP_1)
	v_cndmask_b32_e32 v5, 0x7fc0, v7, vcc_lo
.LBB104_1061:
	s_mov_b32 s0, 0
.LBB104_1062:
	s_delay_alu instid0(SALU_CYCLE_1)
	s_and_not1_b32 vcc_lo, exec_lo, s0
	s_cbranch_vccnz .LBB104_1064
; %bb.1063:
	global_load_u16 v5, v[0:1], off
	s_waitcnt vmcnt(0)
	v_cvt_f32_f16_e32 v7, v5
	v_cmp_o_f16_e32 vcc_lo, v5, v5
	s_delay_alu instid0(VALU_DEP_2) | instskip(NEXT) | instid1(VALU_DEP_1)
	v_bfe_u32 v8, v7, 16, 1
	v_add3_u32 v7, v7, v8, 0x7fff
	s_delay_alu instid0(VALU_DEP_1) | instskip(NEXT) | instid1(VALU_DEP_1)
	v_lshrrev_b32_e32 v7, 16, v7
	v_cndmask_b32_e32 v5, 0x7fc0, v7, vcc_lo
.LBB104_1064:
	s_cbranch_execnz .LBB104_1083
.LBB104_1065:
	v_cmp_gt_i16_e32 vcc_lo, 2, v4
	s_cbranch_vccnz .LBB104_1069
; %bb.1066:
	v_cmp_gt_i16_e32 vcc_lo, 3, v4
	s_cbranch_vccnz .LBB104_1070
; %bb.1067:
	v_cmp_lt_i16_e32 vcc_lo, 3, v4
	s_cbranch_vccz .LBB104_1071
; %bb.1068:
	global_load_b64 v[7:8], v[0:1], off
	s_mov_b32 s0, 0
	s_waitcnt vmcnt(0)
	v_xor_b32_e32 v5, v7, v8
	v_cls_i32_e32 v9, v8
	s_delay_alu instid0(VALU_DEP_2) | instskip(NEXT) | instid1(VALU_DEP_2)
	v_ashrrev_i32_e32 v5, 31, v5
	v_add_nc_u32_e32 v9, -1, v9
	s_delay_alu instid0(VALU_DEP_2) | instskip(NEXT) | instid1(VALU_DEP_1)
	v_add_nc_u32_e32 v5, 32, v5
	v_min_u32_e32 v5, v9, v5
	s_delay_alu instid0(VALU_DEP_1) | instskip(SKIP_1) | instid1(VALU_DEP_2)
	v_lshlrev_b64 v[7:8], v5, v[7:8]
	v_sub_nc_u32_e32 v5, 32, v5
	v_min_u32_e32 v7, 1, v7
	s_delay_alu instid0(VALU_DEP_1) | instskip(NEXT) | instid1(VALU_DEP_1)
	v_or_b32_e32 v7, v8, v7
	v_cvt_f32_i32_e32 v7, v7
	s_delay_alu instid0(VALU_DEP_1) | instskip(NEXT) | instid1(VALU_DEP_1)
	v_ldexp_f32 v5, v7, v5
	v_bfe_u32 v7, v5, 16, 1
	s_delay_alu instid0(VALU_DEP_1) | instskip(NEXT) | instid1(VALU_DEP_1)
	v_add3_u32 v5, v5, v7, 0x7fff
	v_lshrrev_b32_e32 v5, 16, v5
	s_branch .LBB104_1072
.LBB104_1069:
                                        ; implicit-def: $vgpr5
	s_branch .LBB104_1078
.LBB104_1070:
	s_mov_b32 s0, -1
                                        ; implicit-def: $vgpr5
	s_branch .LBB104_1075
.LBB104_1071:
	s_mov_b32 s0, -1
                                        ; implicit-def: $vgpr5
.LBB104_1072:
	s_delay_alu instid0(SALU_CYCLE_1)
	s_and_not1_b32 vcc_lo, exec_lo, s0
	s_cbranch_vccnz .LBB104_1074
; %bb.1073:
	global_load_b32 v5, v[0:1], off
	s_waitcnt vmcnt(0)
	v_cvt_f32_i32_e32 v5, v5
	s_delay_alu instid0(VALU_DEP_1) | instskip(NEXT) | instid1(VALU_DEP_1)
	v_bfe_u32 v7, v5, 16, 1
	v_add3_u32 v5, v5, v7, 0x7fff
	s_delay_alu instid0(VALU_DEP_1)
	v_lshrrev_b32_e32 v5, 16, v5
.LBB104_1074:
	s_mov_b32 s0, 0
.LBB104_1075:
	s_delay_alu instid0(SALU_CYCLE_1)
	s_and_not1_b32 vcc_lo, exec_lo, s0
	s_cbranch_vccnz .LBB104_1077
; %bb.1076:
	global_load_i16 v5, v[0:1], off
	s_waitcnt vmcnt(0)
	v_cvt_f32_i32_e32 v5, v5
	s_delay_alu instid0(VALU_DEP_1) | instskip(NEXT) | instid1(VALU_DEP_1)
	v_bfe_u32 v7, v5, 16, 1
	v_add3_u32 v5, v5, v7, 0x7fff
	s_delay_alu instid0(VALU_DEP_1)
	v_lshrrev_b32_e32 v5, 16, v5
.LBB104_1077:
	s_cbranch_execnz .LBB104_1083
.LBB104_1078:
	v_cmp_lt_i16_e32 vcc_lo, 0, v4
	s_mov_b32 s0, 0
	s_cbranch_vccz .LBB104_1080
; %bb.1079:
	global_load_i8 v5, v[0:1], off
	s_waitcnt vmcnt(0)
	v_cvt_f32_i32_e32 v5, v5
	s_delay_alu instid0(VALU_DEP_1) | instskip(NEXT) | instid1(VALU_DEP_1)
	v_bfe_u32 v7, v5, 16, 1
	v_add3_u32 v5, v5, v7, 0x7fff
	s_delay_alu instid0(VALU_DEP_1)
	v_lshrrev_b32_e32 v5, 16, v5
	s_branch .LBB104_1081
.LBB104_1080:
	s_mov_b32 s0, -1
                                        ; implicit-def: $vgpr5
.LBB104_1081:
	s_delay_alu instid0(SALU_CYCLE_1)
	s_and_not1_b32 vcc_lo, exec_lo, s0
	s_cbranch_vccnz .LBB104_1083
; %bb.1082:
	global_load_u8 v0, v[0:1], off
	s_waitcnt vmcnt(0)
	v_cvt_f32_ubyte0_e32 v0, v0
	s_delay_alu instid0(VALU_DEP_1) | instskip(NEXT) | instid1(VALU_DEP_1)
	v_bfe_u32 v1, v0, 16, 1
	v_add3_u32 v0, v0, v1, 0x7fff
	s_delay_alu instid0(VALU_DEP_1)
	v_lshrrev_b32_e32 v5, 16, v0
.LBB104_1083:
	s_branch .LBB104_1154
.LBB104_1084:
	s_trap 2
	s_sendmsg_rtn_b32 s0, sendmsg(MSG_RTN_GET_DOORBELL)
	s_mov_b32 ttmp2, m0
	s_waitcnt lgkmcnt(0)
	s_and_b32 s0, s0, 0x3ff
	s_delay_alu instid0(SALU_CYCLE_1) | instskip(NEXT) | instid1(SALU_CYCLE_1)
	s_bitset1_b32 s0, 10
	s_mov_b32 m0, s0
	s_sendmsg sendmsg(MSG_INTERRUPT)
	s_mov_b32 m0, ttmp2
.LBB104_1085:                           ; =>This Inner Loop Header: Depth=1
	s_sethalt 5
	s_branch .LBB104_1085
.LBB104_1086:
	s_trap 2
	s_sendmsg_rtn_b32 s0, sendmsg(MSG_RTN_GET_DOORBELL)
	s_mov_b32 ttmp2, m0
	s_waitcnt lgkmcnt(0)
	s_and_b32 s0, s0, 0x3ff
	s_delay_alu instid0(SALU_CYCLE_1) | instskip(NEXT) | instid1(SALU_CYCLE_1)
	s_bitset1_b32 s0, 10
	s_mov_b32 m0, s0
	s_sendmsg sendmsg(MSG_INTERRUPT)
	s_mov_b32 m0, ttmp2
.LBB104_1087:                           ; =>This Inner Loop Header: Depth=1
	s_sethalt 5
	s_branch .LBB104_1087
.LBB104_1088:
	s_mov_b32 s0, -1
	s_mov_b32 s11, 0
.LBB104_1089:
                                        ; implicit-def: $vgpr5
.LBB104_1090:
	s_and_b32 vcc_lo, exec_lo, s1
	s_cbranch_vccz .LBB104_1093
; %bb.1091:
	v_cmp_eq_u16_e32 vcc_lo, 44, v4
	s_cbranch_vccz .LBB104_1094
; %bb.1092:
	global_load_u8 v5, v[0:1], off
	s_mov_b32 s0, 0
	s_mov_b32 s11, -1
	s_waitcnt vmcnt(0)
	v_lshlrev_b32_e32 v7, 23, v5
	v_cmp_ne_u32_e32 vcc_lo, 0xff, v5
	s_delay_alu instid0(VALU_DEP_2) | instskip(SKIP_1) | instid1(VALU_DEP_2)
	v_cndmask_b32_e32 v7, 0x7f800001, v7, vcc_lo
	v_cmp_ne_u32_e32 vcc_lo, 0, v5
	v_cndmask_b32_e32 v5, 0x400000, v7, vcc_lo
	s_delay_alu instid0(VALU_DEP_1) | instskip(SKIP_1) | instid1(VALU_DEP_2)
	v_add_nc_u32_e32 v7, 0x7fff, v5
	v_cmp_o_f32_e32 vcc_lo, v5, v5
	v_lshrrev_b32_e32 v7, 16, v7
	s_delay_alu instid0(VALU_DEP_1)
	v_cndmask_b32_e32 v5, 0x7fc0, v7, vcc_lo
.LBB104_1093:
	s_branch .LBB104_1098
.LBB104_1094:
	s_mov_b32 s0, -1
                                        ; implicit-def: $vgpr5
	s_branch .LBB104_1098
.LBB104_1095:
	v_cmp_eq_u16_e32 vcc_lo, 29, v4
	s_cbranch_vccz .LBB104_1097
; %bb.1096:
	global_load_b64 v[7:8], v[0:1], off
	s_mov_b32 s0, 0
	s_mov_b32 s11, -1
	s_mov_b32 s1, 0
	s_waitcnt vmcnt(0)
	v_clz_i32_u32_e32 v5, v8
	s_delay_alu instid0(VALU_DEP_1) | instskip(NEXT) | instid1(VALU_DEP_1)
	v_min_u32_e32 v5, 32, v5
	v_lshlrev_b64 v[7:8], v5, v[7:8]
	v_sub_nc_u32_e32 v5, 32, v5
	s_delay_alu instid0(VALU_DEP_2) | instskip(NEXT) | instid1(VALU_DEP_1)
	v_min_u32_e32 v7, 1, v7
	v_or_b32_e32 v7, v8, v7
	s_delay_alu instid0(VALU_DEP_1) | instskip(NEXT) | instid1(VALU_DEP_1)
	v_cvt_f32_u32_e32 v7, v7
	v_ldexp_f32 v5, v7, v5
	s_delay_alu instid0(VALU_DEP_1) | instskip(NEXT) | instid1(VALU_DEP_1)
	v_bfe_u32 v7, v5, 16, 1
	v_add3_u32 v5, v5, v7, 0x7fff
	s_delay_alu instid0(VALU_DEP_1)
	v_lshrrev_b32_e32 v5, 16, v5
	s_branch .LBB104_1099
.LBB104_1097:
	s_mov_b32 s0, -1
                                        ; implicit-def: $vgpr5
.LBB104_1098:
	s_mov_b32 s1, 0
.LBB104_1099:
	s_delay_alu instid0(SALU_CYCLE_1)
	s_and_b32 vcc_lo, exec_lo, s1
	s_cbranch_vccz .LBB104_1117
; %bb.1100:
	v_cmp_gt_i16_e32 vcc_lo, 27, v4
	s_cbranch_vccnz .LBB104_1103
; %bb.1101:
	v_cmp_lt_i16_e32 vcc_lo, 27, v4
	s_cbranch_vccz .LBB104_1104
; %bb.1102:
	global_load_b32 v5, v[0:1], off
	s_mov_b32 s1, 0
	s_waitcnt vmcnt(0)
	v_cvt_f32_u32_e32 v5, v5
	s_delay_alu instid0(VALU_DEP_1) | instskip(NEXT) | instid1(VALU_DEP_1)
	v_bfe_u32 v7, v5, 16, 1
	v_add3_u32 v5, v5, v7, 0x7fff
	s_delay_alu instid0(VALU_DEP_1)
	v_lshrrev_b32_e32 v5, 16, v5
	s_branch .LBB104_1105
.LBB104_1103:
	s_mov_b32 s1, -1
                                        ; implicit-def: $vgpr5
	s_branch .LBB104_1108
.LBB104_1104:
	s_mov_b32 s1, -1
                                        ; implicit-def: $vgpr5
.LBB104_1105:
	s_delay_alu instid0(SALU_CYCLE_1)
	s_and_not1_b32 vcc_lo, exec_lo, s1
	s_cbranch_vccnz .LBB104_1107
; %bb.1106:
	global_load_u16 v5, v[0:1], off
	s_waitcnt vmcnt(0)
	v_cvt_f32_u32_e32 v5, v5
	s_delay_alu instid0(VALU_DEP_1) | instskip(NEXT) | instid1(VALU_DEP_1)
	v_bfe_u32 v7, v5, 16, 1
	v_add3_u32 v5, v5, v7, 0x7fff
	s_delay_alu instid0(VALU_DEP_1)
	v_lshrrev_b32_e32 v5, 16, v5
.LBB104_1107:
	s_mov_b32 s1, 0
.LBB104_1108:
	s_delay_alu instid0(SALU_CYCLE_1)
	s_and_not1_b32 vcc_lo, exec_lo, s1
	s_cbranch_vccnz .LBB104_1116
; %bb.1109:
	global_load_u8 v5, v[0:1], off
	s_mov_b32 s1, 0
	s_mov_b32 s12, exec_lo
                                        ; implicit-def: $sgpr11
	s_waitcnt vmcnt(0)
	v_cmpx_lt_i16_e32 0x7f, v5
	s_xor_b32 s12, exec_lo, s12
	s_cbranch_execz .LBB104_1129
; %bb.1110:
	s_mov_b32 s1, -1
	s_mov_b32 s13, exec_lo
                                        ; implicit-def: $sgpr11
	v_cmpx_eq_u16_e32 0x80, v5
; %bb.1111:
	s_mov_b32 s11, 0x7f800001
	s_xor_b32 s1, exec_lo, -1
; %bb.1112:
	s_or_b32 exec_lo, exec_lo, s13
	s_delay_alu instid0(SALU_CYCLE_1)
	s_and_b32 s1, s1, exec_lo
	s_or_saveexec_b32 s12, s12
	v_mov_b32_e32 v7, s11
	s_xor_b32 exec_lo, exec_lo, s12
	s_cbranch_execnz .LBB104_1130
.LBB104_1113:
	s_or_b32 exec_lo, exec_lo, s12
	s_and_saveexec_b32 s11, s1
	s_cbranch_execz .LBB104_1115
.LBB104_1114:
	v_and_b32_e32 v7, 0xffff, v5
	v_lshlrev_b32_e32 v5, 24, v5
	s_delay_alu instid0(VALU_DEP_2) | instskip(NEXT) | instid1(VALU_DEP_2)
	v_and_b32_e32 v8, 7, v7
	v_and_b32_e32 v5, 0x80000000, v5
	s_delay_alu instid0(VALU_DEP_2) | instskip(NEXT) | instid1(VALU_DEP_1)
	v_clz_i32_u32_e32 v9, v8
	v_min_u32_e32 v9, 32, v9
	s_delay_alu instid0(VALU_DEP_1) | instskip(SKIP_1) | instid1(VALU_DEP_2)
	v_subrev_nc_u32_e32 v10, 28, v9
	v_sub_nc_u32_e32 v9, 29, v9
	v_lshlrev_b32_e32 v10, v10, v7
	v_bfe_u32 v7, v7, 3, 4
	s_delay_alu instid0(VALU_DEP_2) | instskip(NEXT) | instid1(VALU_DEP_2)
	v_and_b32_e32 v10, 7, v10
	v_cmp_eq_u32_e32 vcc_lo, 0, v7
	s_delay_alu instid0(VALU_DEP_2) | instskip(NEXT) | instid1(VALU_DEP_1)
	v_dual_cndmask_b32 v7, v7, v9 :: v_dual_cndmask_b32 v8, v8, v10
	v_lshl_add_u32 v7, v7, 23, 0x3b800000
	s_delay_alu instid0(VALU_DEP_2) | instskip(NEXT) | instid1(VALU_DEP_1)
	v_lshlrev_b32_e32 v8, 20, v8
	v_or3_b32 v7, v5, v7, v8
.LBB104_1115:
	s_or_b32 exec_lo, exec_lo, s11
	s_delay_alu instid0(VALU_DEP_1) | instskip(SKIP_1) | instid1(VALU_DEP_2)
	v_bfe_u32 v5, v7, 16, 1
	v_cmp_o_f32_e32 vcc_lo, v7, v7
	v_add3_u32 v5, v7, v5, 0x7fff
	s_delay_alu instid0(VALU_DEP_1) | instskip(NEXT) | instid1(VALU_DEP_1)
	v_lshrrev_b32_e32 v5, 16, v5
	v_cndmask_b32_e32 v5, 0x7fc0, v5, vcc_lo
.LBB104_1116:
	s_mov_b32 s11, -1
.LBB104_1117:
	s_branch .LBB104_1149
.LBB104_1118:
	v_cmp_lt_i16_e32 vcc_lo, 22, v4
	s_cbranch_vccz .LBB104_1128
; %bb.1119:
	v_cmp_gt_i16_e32 vcc_lo, 24, v4
	s_cbranch_vccnz .LBB104_1131
; %bb.1120:
	v_cmp_lt_i16_e32 vcc_lo, 24, v4
	s_cbranch_vccz .LBB104_1132
; %bb.1121:
	global_load_u8 v5, v[0:1], off
	s_mov_b32 s1, 0
	s_mov_b32 s11, exec_lo
                                        ; implicit-def: $sgpr10
	s_waitcnt vmcnt(0)
	v_cmpx_lt_i16_e32 0x7f, v5
	s_xor_b32 s11, exec_lo, s11
	s_cbranch_execz .LBB104_1143
; %bb.1122:
	s_mov_b32 s1, -1
	s_mov_b32 s12, exec_lo
                                        ; implicit-def: $sgpr10
	v_cmpx_eq_u16_e32 0x80, v5
; %bb.1123:
	s_mov_b32 s10, 0x7f800001
	s_xor_b32 s1, exec_lo, -1
; %bb.1124:
	s_or_b32 exec_lo, exec_lo, s12
	s_delay_alu instid0(SALU_CYCLE_1)
	s_and_b32 s1, s1, exec_lo
	s_or_saveexec_b32 s11, s11
	v_mov_b32_e32 v7, s10
	s_xor_b32 exec_lo, exec_lo, s11
	s_cbranch_execnz .LBB104_1144
.LBB104_1125:
	s_or_b32 exec_lo, exec_lo, s11
	s_and_saveexec_b32 s10, s1
	s_cbranch_execz .LBB104_1127
.LBB104_1126:
	v_and_b32_e32 v7, 0xffff, v5
	v_lshlrev_b32_e32 v5, 24, v5
	s_delay_alu instid0(VALU_DEP_2) | instskip(NEXT) | instid1(VALU_DEP_2)
	v_and_b32_e32 v8, 3, v7
	v_and_b32_e32 v5, 0x80000000, v5
	s_delay_alu instid0(VALU_DEP_2) | instskip(NEXT) | instid1(VALU_DEP_1)
	v_clz_i32_u32_e32 v9, v8
	v_min_u32_e32 v9, 32, v9
	s_delay_alu instid0(VALU_DEP_1) | instskip(SKIP_1) | instid1(VALU_DEP_2)
	v_subrev_nc_u32_e32 v10, 29, v9
	v_sub_nc_u32_e32 v9, 30, v9
	v_lshlrev_b32_e32 v10, v10, v7
	v_bfe_u32 v7, v7, 2, 5
	s_delay_alu instid0(VALU_DEP_2) | instskip(NEXT) | instid1(VALU_DEP_2)
	v_and_b32_e32 v10, 3, v10
	v_cmp_eq_u32_e32 vcc_lo, 0, v7
	s_delay_alu instid0(VALU_DEP_2) | instskip(NEXT) | instid1(VALU_DEP_1)
	v_dual_cndmask_b32 v7, v7, v9 :: v_dual_cndmask_b32 v8, v8, v10
	v_lshl_add_u32 v7, v7, 23, 0x37800000
	s_delay_alu instid0(VALU_DEP_2) | instskip(NEXT) | instid1(VALU_DEP_1)
	v_lshlrev_b32_e32 v8, 21, v8
	v_or3_b32 v7, v5, v7, v8
.LBB104_1127:
	s_or_b32 exec_lo, exec_lo, s10
	s_delay_alu instid0(VALU_DEP_1) | instskip(SKIP_2) | instid1(VALU_DEP_2)
	v_bfe_u32 v5, v7, 16, 1
	v_cmp_o_f32_e32 vcc_lo, v7, v7
	s_mov_b32 s1, 0
	v_add3_u32 v5, v7, v5, 0x7fff
	s_delay_alu instid0(VALU_DEP_1) | instskip(NEXT) | instid1(VALU_DEP_1)
	v_lshrrev_b32_e32 v5, 16, v5
	v_cndmask_b32_e32 v5, 0x7fc0, v5, vcc_lo
	s_branch .LBB104_1133
.LBB104_1128:
                                        ; implicit-def: $vgpr5
	s_mov_b32 s10, 0
	s_branch .LBB104_1139
.LBB104_1129:
	s_or_saveexec_b32 s12, s12
	v_mov_b32_e32 v7, s11
	s_xor_b32 exec_lo, exec_lo, s12
	s_cbranch_execz .LBB104_1113
.LBB104_1130:
	v_cmp_ne_u16_e32 vcc_lo, 0, v5
	v_mov_b32_e32 v7, 0
	s_and_not1_b32 s1, s1, exec_lo
	s_and_b32 s11, vcc_lo, exec_lo
	s_delay_alu instid0(SALU_CYCLE_1)
	s_or_b32 s1, s1, s11
	s_or_b32 exec_lo, exec_lo, s12
	s_and_saveexec_b32 s11, s1
	s_cbranch_execnz .LBB104_1114
	s_branch .LBB104_1115
.LBB104_1131:
	s_mov_b32 s1, -1
                                        ; implicit-def: $vgpr5
	s_branch .LBB104_1136
.LBB104_1132:
	s_mov_b32 s1, -1
                                        ; implicit-def: $vgpr5
.LBB104_1133:
	s_delay_alu instid0(SALU_CYCLE_1)
	s_and_b32 vcc_lo, exec_lo, s1
	s_cbranch_vccz .LBB104_1135
; %bb.1134:
	global_load_u8 v5, v[0:1], off
	s_waitcnt vmcnt(0)
	v_lshlrev_b32_e32 v5, 24, v5
	s_delay_alu instid0(VALU_DEP_1) | instskip(NEXT) | instid1(VALU_DEP_1)
	v_and_b32_e32 v7, 0x7f000000, v5
	v_clz_i32_u32_e32 v8, v7
	v_cmp_ne_u32_e32 vcc_lo, 0, v7
	v_add_nc_u32_e32 v10, 0x1000000, v7
	s_delay_alu instid0(VALU_DEP_3) | instskip(NEXT) | instid1(VALU_DEP_1)
	v_min_u32_e32 v8, 32, v8
	v_sub_nc_u32_e64 v8, v8, 4 clamp
	s_delay_alu instid0(VALU_DEP_1) | instskip(SKIP_1) | instid1(VALU_DEP_2)
	v_lshlrev_b32_e32 v9, v8, v7
	v_lshlrev_b32_e32 v8, 23, v8
	v_lshrrev_b32_e32 v9, 4, v9
	s_delay_alu instid0(VALU_DEP_1) | instskip(SKIP_1) | instid1(VALU_DEP_2)
	v_sub_nc_u32_e32 v8, v9, v8
	v_ashrrev_i32_e32 v9, 8, v10
	v_add_nc_u32_e32 v8, 0x3c000000, v8
	s_delay_alu instid0(VALU_DEP_1) | instskip(NEXT) | instid1(VALU_DEP_1)
	v_and_or_b32 v8, 0x7f800000, v9, v8
	v_cndmask_b32_e32 v7, 0, v8, vcc_lo
	s_delay_alu instid0(VALU_DEP_1) | instskip(SKIP_1) | instid1(VALU_DEP_2)
	v_and_or_b32 v5, 0x80000000, v5, v7
	v_bfe_u32 v7, v7, 16, 1
	v_cmp_o_f32_e32 vcc_lo, v5, v5
	s_delay_alu instid0(VALU_DEP_2) | instskip(NEXT) | instid1(VALU_DEP_1)
	v_add3_u32 v7, v5, v7, 0x7fff
	v_lshrrev_b32_e32 v7, 16, v7
	s_delay_alu instid0(VALU_DEP_1)
	v_cndmask_b32_e32 v5, 0x7fc0, v7, vcc_lo
.LBB104_1135:
	s_mov_b32 s1, 0
.LBB104_1136:
	s_delay_alu instid0(SALU_CYCLE_1)
	s_and_not1_b32 vcc_lo, exec_lo, s1
	s_cbranch_vccnz .LBB104_1138
; %bb.1137:
	global_load_u8 v5, v[0:1], off
	s_waitcnt vmcnt(0)
	v_lshlrev_b32_e32 v7, 25, v5
	v_lshlrev_b16 v5, 8, v5
	s_delay_alu instid0(VALU_DEP_2) | instskip(NEXT) | instid1(VALU_DEP_2)
	v_lshrrev_b32_e32 v8, 4, v7
	v_and_or_b32 v9, 0x7f00, v5, 0.5
	v_bfe_i32 v5, v5, 0, 16
	s_delay_alu instid0(VALU_DEP_3) | instskip(NEXT) | instid1(VALU_DEP_1)
	v_or_b32_e32 v8, 0x70000000, v8
	v_dual_add_f32 v9, -0.5, v9 :: v_dual_mul_f32 v8, 0x7800000, v8
	v_cmp_gt_u32_e32 vcc_lo, 0x8000000, v7
	s_delay_alu instid0(VALU_DEP_2) | instskip(NEXT) | instid1(VALU_DEP_1)
	v_cndmask_b32_e32 v7, v8, v9, vcc_lo
	v_and_or_b32 v5, 0x80000000, v5, v7
	v_bfe_u32 v7, v7, 16, 1
	s_delay_alu instid0(VALU_DEP_2) | instskip(NEXT) | instid1(VALU_DEP_2)
	v_cmp_o_f32_e32 vcc_lo, v5, v5
	v_add3_u32 v7, v5, v7, 0x7fff
	s_delay_alu instid0(VALU_DEP_1) | instskip(NEXT) | instid1(VALU_DEP_1)
	v_lshrrev_b32_e32 v7, 16, v7
	v_cndmask_b32_e32 v5, 0x7fc0, v7, vcc_lo
.LBB104_1138:
	s_mov_b32 s11, -1
	s_mov_b32 s10, 0
	s_cbranch_execnz .LBB104_1149
.LBB104_1139:
	v_cmp_lt_i16_e32 vcc_lo, 14, v4
	s_cbranch_vccz .LBB104_1142
; %bb.1140:
	v_cmp_eq_u16_e32 vcc_lo, 15, v4
	s_cbranch_vccz .LBB104_1145
; %bb.1141:
	global_load_u16 v5, v[0:1], off
	s_mov_b32 s0, 0
	s_mov_b32 s11, -1
	s_branch .LBB104_1146
.LBB104_1142:
	s_mov_b32 s1, -1
                                        ; implicit-def: $vgpr5
	s_branch .LBB104_1147
.LBB104_1143:
	s_or_saveexec_b32 s11, s11
	v_mov_b32_e32 v7, s10
	s_xor_b32 exec_lo, exec_lo, s11
	s_cbranch_execz .LBB104_1125
.LBB104_1144:
	v_cmp_ne_u16_e32 vcc_lo, 0, v5
	v_mov_b32_e32 v7, 0
	s_and_not1_b32 s1, s1, exec_lo
	s_and_b32 s10, vcc_lo, exec_lo
	s_delay_alu instid0(SALU_CYCLE_1)
	s_or_b32 s1, s1, s10
	s_or_b32 exec_lo, exec_lo, s11
	s_and_saveexec_b32 s10, s1
	s_cbranch_execnz .LBB104_1126
	s_branch .LBB104_1127
.LBB104_1145:
	s_mov_b32 s0, -1
                                        ; implicit-def: $vgpr5
.LBB104_1146:
	s_mov_b32 s1, 0
.LBB104_1147:
	s_delay_alu instid0(SALU_CYCLE_1)
	s_and_b32 vcc_lo, exec_lo, s1
	s_cbranch_vccz .LBB104_1149
; %bb.1148:
	v_cmp_ne_u16_e64 s0, 11, v4
	s_mov_b32 s10, -1
                                        ; implicit-def: $vgpr5
.LBB104_1149:
	s_delay_alu instid0(VALU_DEP_1)
	s_and_b32 vcc_lo, exec_lo, s0
	s_mov_b32 s1, s9
	s_cbranch_vccnz .LBB104_1173
; %bb.1150:
	s_and_not1_b32 vcc_lo, exec_lo, s10
	s_cbranch_vccnz .LBB104_1152
.LBB104_1151:
	global_load_u8 v5, v[0:1], off
	s_mov_b32 s11, -1
	s_waitcnt vmcnt(0)
	v_cmp_ne_u16_e32 vcc_lo, 0, v5
	v_cndmask_b32_e64 v5, 0, 1.0, vcc_lo
	s_delay_alu instid0(VALU_DEP_1)
	v_lshrrev_b32_e32 v5, 16, v5
.LBB104_1152:
.LBB104_1153:
	s_and_not1_b32 vcc_lo, exec_lo, s11
	s_cbranch_vccnz .LBB104_1986
.LBB104_1154:
	s_lshl_b32 s3, s3, 7
	v_cmp_gt_i16_e32 vcc_lo, 11, v4
	v_add_nc_u32_e32 v7, s3, v6
	s_delay_alu instid0(VALU_DEP_1) | instskip(SKIP_1) | instid1(VALU_DEP_1)
	v_ashrrev_i32_e32 v1, 31, v7
	v_add_co_u32 v0, s0, s6, v7
	v_add_co_ci_u32_e64 v1, s0, s7, v1, s0
	s_cbranch_vccnz .LBB104_1161
; %bb.1155:
	v_cmp_lt_i16_e32 vcc_lo, 25, v4
	s_mov_b32 s10, 0
	s_cbranch_vccz .LBB104_1167
; %bb.1156:
	v_cmp_lt_i16_e32 vcc_lo, 28, v4
	s_cbranch_vccz .LBB104_1169
; %bb.1157:
	v_cmp_lt_i16_e32 vcc_lo, 43, v4
	;; [unrolled: 3-line block ×3, first 2 shown]
	s_cbranch_vccz .LBB104_1177
; %bb.1159:
	v_cmp_eq_u16_e32 vcc_lo, 46, v4
	s_mov_b32 s12, 0
	s_cbranch_vccz .LBB104_1221
; %bb.1160:
	global_load_b32 v6, v[0:1], off
	s_mov_b32 s0, 0
	s_mov_b32 s11, -1
	s_branch .LBB104_1223
.LBB104_1161:
	s_mov_b32 s11, 0
                                        ; implicit-def: $vgpr6
	s_cbranch_execz .LBB104_1288
; %bb.1162:
	v_cmp_gt_i16_e32 vcc_lo, 5, v4
	s_cbranch_vccnz .LBB104_1168
; %bb.1163:
	v_cmp_gt_i16_e32 vcc_lo, 8, v4
	s_cbranch_vccnz .LBB104_1170
	;; [unrolled: 3-line block ×3, first 2 shown]
; %bb.1165:
	v_cmp_lt_i16_e32 vcc_lo, 9, v4
	s_cbranch_vccz .LBB104_1178
; %bb.1166:
	global_load_b64 v[8:9], v[0:1], off
	s_mov_b32 s0, 0
	s_waitcnt vmcnt(0)
	v_cvt_f32_f64_e32 v6, v[8:9]
	s_delay_alu instid0(VALU_DEP_1) | instskip(SKIP_1) | instid1(VALU_DEP_2)
	v_bfe_u32 v8, v6, 16, 1
	v_cmp_o_f32_e32 vcc_lo, v6, v6
	v_add3_u32 v8, v6, v8, 0x7fff
	s_delay_alu instid0(VALU_DEP_1) | instskip(NEXT) | instid1(VALU_DEP_1)
	v_lshrrev_b32_e32 v8, 16, v8
	v_cndmask_b32_e32 v6, 0x7fc0, v8, vcc_lo
	s_branch .LBB104_1179
.LBB104_1167:
	s_mov_b32 s11, 0
	s_mov_b32 s0, 0
                                        ; implicit-def: $vgpr6
	s_cbranch_execnz .LBB104_1252
	s_branch .LBB104_1284
.LBB104_1168:
                                        ; implicit-def: $vgpr6
	s_branch .LBB104_1197
.LBB104_1169:
	s_mov_b32 s12, -1
	s_mov_b32 s11, 0
	s_mov_b32 s0, 0
                                        ; implicit-def: $vgpr6
	s_branch .LBB104_1233
.LBB104_1170:
	s_mov_b32 s0, -1
                                        ; implicit-def: $vgpr6
	s_branch .LBB104_1185
.LBB104_1171:
	s_mov_b32 s12, -1
	s_mov_b32 s11, 0
	s_mov_b32 s0, 0
                                        ; implicit-def: $vgpr6
	s_branch .LBB104_1228
.LBB104_1172:
	s_mov_b32 s0, -1
                                        ; implicit-def: $vgpr6
	s_branch .LBB104_1182
.LBB104_1173:
	s_cbranch_execnz .LBB104_1217
; %bb.1174:
	s_or_b32 s1, s9, exec_lo
                                        ; implicit-def: $vgpr5
	s_cbranch_execz .LBB104_1151
	s_branch .LBB104_1152
.LBB104_1175:
	s_or_saveexec_b32 s14, s14
                                        ; implicit-def: $sgpr15
	s_delay_alu instid0(SALU_CYCLE_1)
	s_xor_b32 exec_lo, exec_lo, s14
	s_cbranch_execz .LBB104_935
.LBB104_1176:
	v_add_f32_e64 v3, 0x46000000, |v6|
	s_and_not1_b32 s13, s13, exec_lo
	s_mov_b32 s15, 0
	s_delay_alu instid0(VALU_DEP_1) | instskip(NEXT) | instid1(VALU_DEP_1)
	v_and_b32_e32 v3, 0xff, v3
	v_cmp_ne_u32_e32 vcc_lo, 0, v3
	s_and_b32 s16, vcc_lo, exec_lo
	s_delay_alu instid0(SALU_CYCLE_1)
	s_or_b32 s13, s13, s16
	s_or_b32 exec_lo, exec_lo, s14
	v_mov_b32_e32 v7, s15
	s_and_saveexec_b32 s14, s13
	s_cbranch_execnz .LBB104_936
	s_branch .LBB104_937
.LBB104_1177:
	s_mov_b32 s12, -1
	s_mov_b32 s11, 0
	s_mov_b32 s0, 0
	s_branch .LBB104_1222
.LBB104_1178:
	s_mov_b32 s0, -1
                                        ; implicit-def: $vgpr6
.LBB104_1179:
	s_delay_alu instid0(SALU_CYCLE_1)
	s_and_not1_b32 vcc_lo, exec_lo, s0
	s_cbranch_vccnz .LBB104_1181
; %bb.1180:
	global_load_b32 v6, v[0:1], off
	s_waitcnt vmcnt(0)
	v_bfe_u32 v8, v6, 16, 1
	v_cmp_o_f32_e32 vcc_lo, v6, v6
	s_delay_alu instid0(VALU_DEP_2) | instskip(NEXT) | instid1(VALU_DEP_1)
	v_add3_u32 v8, v6, v8, 0x7fff
	v_lshrrev_b32_e32 v8, 16, v8
	s_delay_alu instid0(VALU_DEP_1)
	v_cndmask_b32_e32 v6, 0x7fc0, v8, vcc_lo
.LBB104_1181:
	s_mov_b32 s0, 0
.LBB104_1182:
	s_delay_alu instid0(SALU_CYCLE_1)
	s_and_not1_b32 vcc_lo, exec_lo, s0
	s_cbranch_vccnz .LBB104_1184
; %bb.1183:
	global_load_b32 v6, v[0:1], off
	s_waitcnt vmcnt(0)
	v_cvt_f32_f16_e32 v8, v6
	v_cmp_o_f16_e32 vcc_lo, v6, v6
	s_delay_alu instid0(VALU_DEP_2) | instskip(NEXT) | instid1(VALU_DEP_1)
	v_bfe_u32 v9, v8, 16, 1
	v_add3_u32 v8, v8, v9, 0x7fff
	s_delay_alu instid0(VALU_DEP_1) | instskip(NEXT) | instid1(VALU_DEP_1)
	v_lshrrev_b32_e32 v8, 16, v8
	v_cndmask_b32_e32 v6, 0x7fc0, v8, vcc_lo
.LBB104_1184:
	s_mov_b32 s0, 0
.LBB104_1185:
	s_delay_alu instid0(SALU_CYCLE_1)
	s_and_not1_b32 vcc_lo, exec_lo, s0
	s_cbranch_vccnz .LBB104_1196
; %bb.1186:
	v_cmp_gt_i16_e32 vcc_lo, 6, v4
	s_cbranch_vccnz .LBB104_1189
; %bb.1187:
	v_cmp_lt_i16_e32 vcc_lo, 6, v4
	s_cbranch_vccz .LBB104_1190
; %bb.1188:
	global_load_b64 v[8:9], v[0:1], off
	s_mov_b32 s0, 0
	s_waitcnt vmcnt(0)
	v_cvt_f32_f64_e32 v6, v[8:9]
	s_delay_alu instid0(VALU_DEP_1) | instskip(SKIP_1) | instid1(VALU_DEP_2)
	v_bfe_u32 v8, v6, 16, 1
	v_cmp_o_f32_e32 vcc_lo, v6, v6
	v_add3_u32 v8, v6, v8, 0x7fff
	s_delay_alu instid0(VALU_DEP_1) | instskip(NEXT) | instid1(VALU_DEP_1)
	v_lshrrev_b32_e32 v8, 16, v8
	v_cndmask_b32_e32 v6, 0x7fc0, v8, vcc_lo
	s_branch .LBB104_1191
.LBB104_1189:
	s_mov_b32 s0, -1
                                        ; implicit-def: $vgpr6
	s_branch .LBB104_1194
.LBB104_1190:
	s_mov_b32 s0, -1
                                        ; implicit-def: $vgpr6
.LBB104_1191:
	s_delay_alu instid0(SALU_CYCLE_1)
	s_and_not1_b32 vcc_lo, exec_lo, s0
	s_cbranch_vccnz .LBB104_1193
; %bb.1192:
	global_load_b32 v6, v[0:1], off
	s_waitcnt vmcnt(0)
	v_bfe_u32 v8, v6, 16, 1
	v_cmp_o_f32_e32 vcc_lo, v6, v6
	s_delay_alu instid0(VALU_DEP_2) | instskip(NEXT) | instid1(VALU_DEP_1)
	v_add3_u32 v8, v6, v8, 0x7fff
	v_lshrrev_b32_e32 v8, 16, v8
	s_delay_alu instid0(VALU_DEP_1)
	v_cndmask_b32_e32 v6, 0x7fc0, v8, vcc_lo
.LBB104_1193:
	s_mov_b32 s0, 0
.LBB104_1194:
	s_delay_alu instid0(SALU_CYCLE_1)
	s_and_not1_b32 vcc_lo, exec_lo, s0
	s_cbranch_vccnz .LBB104_1196
; %bb.1195:
	global_load_u16 v6, v[0:1], off
	s_waitcnt vmcnt(0)
	v_cvt_f32_f16_e32 v8, v6
	v_cmp_o_f16_e32 vcc_lo, v6, v6
	s_delay_alu instid0(VALU_DEP_2) | instskip(NEXT) | instid1(VALU_DEP_1)
	v_bfe_u32 v9, v8, 16, 1
	v_add3_u32 v8, v8, v9, 0x7fff
	s_delay_alu instid0(VALU_DEP_1) | instskip(NEXT) | instid1(VALU_DEP_1)
	v_lshrrev_b32_e32 v8, 16, v8
	v_cndmask_b32_e32 v6, 0x7fc0, v8, vcc_lo
.LBB104_1196:
	s_cbranch_execnz .LBB104_1216
.LBB104_1197:
	v_cmp_gt_i16_e32 vcc_lo, 2, v4
	s_cbranch_vccnz .LBB104_1201
; %bb.1198:
	v_cmp_gt_i16_e32 vcc_lo, 3, v4
	s_cbranch_vccnz .LBB104_1202
; %bb.1199:
	v_cmp_lt_i16_e32 vcc_lo, 3, v4
	s_cbranch_vccz .LBB104_1203
; %bb.1200:
	global_load_b64 v[8:9], v[0:1], off
	s_mov_b32 s0, 0
	s_waitcnt vmcnt(0)
	v_xor_b32_e32 v6, v8, v9
	v_cls_i32_e32 v10, v9
	s_delay_alu instid0(VALU_DEP_2) | instskip(NEXT) | instid1(VALU_DEP_2)
	v_ashrrev_i32_e32 v6, 31, v6
	v_add_nc_u32_e32 v10, -1, v10
	s_delay_alu instid0(VALU_DEP_2) | instskip(NEXT) | instid1(VALU_DEP_1)
	v_add_nc_u32_e32 v6, 32, v6
	v_min_u32_e32 v6, v10, v6
	s_delay_alu instid0(VALU_DEP_1) | instskip(SKIP_1) | instid1(VALU_DEP_2)
	v_lshlrev_b64 v[8:9], v6, v[8:9]
	v_sub_nc_u32_e32 v6, 32, v6
	v_min_u32_e32 v8, 1, v8
	s_delay_alu instid0(VALU_DEP_1) | instskip(NEXT) | instid1(VALU_DEP_1)
	v_or_b32_e32 v8, v9, v8
	v_cvt_f32_i32_e32 v8, v8
	s_delay_alu instid0(VALU_DEP_1) | instskip(NEXT) | instid1(VALU_DEP_1)
	v_ldexp_f32 v6, v8, v6
	v_bfe_u32 v8, v6, 16, 1
	s_delay_alu instid0(VALU_DEP_1) | instskip(NEXT) | instid1(VALU_DEP_1)
	v_add3_u32 v6, v6, v8, 0x7fff
	v_lshrrev_b32_e32 v6, 16, v6
	s_branch .LBB104_1204
.LBB104_1201:
	s_mov_b32 s0, -1
                                        ; implicit-def: $vgpr6
	s_branch .LBB104_1210
.LBB104_1202:
	s_mov_b32 s0, -1
                                        ; implicit-def: $vgpr6
	s_branch .LBB104_1207
.LBB104_1203:
	s_mov_b32 s0, -1
                                        ; implicit-def: $vgpr6
.LBB104_1204:
	s_delay_alu instid0(SALU_CYCLE_1)
	s_and_not1_b32 vcc_lo, exec_lo, s0
	s_cbranch_vccnz .LBB104_1206
; %bb.1205:
	global_load_b32 v6, v[0:1], off
	s_waitcnt vmcnt(0)
	v_cvt_f32_i32_e32 v6, v6
	s_delay_alu instid0(VALU_DEP_1) | instskip(NEXT) | instid1(VALU_DEP_1)
	v_bfe_u32 v8, v6, 16, 1
	v_add3_u32 v6, v6, v8, 0x7fff
	s_delay_alu instid0(VALU_DEP_1)
	v_lshrrev_b32_e32 v6, 16, v6
.LBB104_1206:
	s_mov_b32 s0, 0
.LBB104_1207:
	s_delay_alu instid0(SALU_CYCLE_1)
	s_and_not1_b32 vcc_lo, exec_lo, s0
	s_cbranch_vccnz .LBB104_1209
; %bb.1208:
	global_load_i16 v6, v[0:1], off
	s_waitcnt vmcnt(0)
	v_cvt_f32_i32_e32 v6, v6
	s_delay_alu instid0(VALU_DEP_1) | instskip(NEXT) | instid1(VALU_DEP_1)
	v_bfe_u32 v8, v6, 16, 1
	v_add3_u32 v6, v6, v8, 0x7fff
	s_delay_alu instid0(VALU_DEP_1)
	v_lshrrev_b32_e32 v6, 16, v6
.LBB104_1209:
	s_mov_b32 s0, 0
.LBB104_1210:
	s_delay_alu instid0(SALU_CYCLE_1)
	s_and_not1_b32 vcc_lo, exec_lo, s0
	s_cbranch_vccnz .LBB104_1216
; %bb.1211:
	v_cmp_lt_i16_e32 vcc_lo, 0, v4
	s_mov_b32 s0, 0
	s_cbranch_vccz .LBB104_1213
; %bb.1212:
	global_load_i8 v6, v[0:1], off
	s_waitcnt vmcnt(0)
	v_cvt_f32_i32_e32 v6, v6
	s_delay_alu instid0(VALU_DEP_1) | instskip(NEXT) | instid1(VALU_DEP_1)
	v_bfe_u32 v8, v6, 16, 1
	v_add3_u32 v6, v6, v8, 0x7fff
	s_delay_alu instid0(VALU_DEP_1)
	v_lshrrev_b32_e32 v6, 16, v6
	s_branch .LBB104_1214
.LBB104_1213:
	s_mov_b32 s0, -1
                                        ; implicit-def: $vgpr6
.LBB104_1214:
	s_delay_alu instid0(SALU_CYCLE_1)
	s_and_not1_b32 vcc_lo, exec_lo, s0
	s_cbranch_vccnz .LBB104_1216
; %bb.1215:
	global_load_u8 v0, v[0:1], off
	s_waitcnt vmcnt(0)
	v_cvt_f32_ubyte0_e32 v0, v0
	s_delay_alu instid0(VALU_DEP_1) | instskip(NEXT) | instid1(VALU_DEP_1)
	v_bfe_u32 v1, v0, 16, 1
	v_add3_u32 v0, v0, v1, 0x7fff
	s_delay_alu instid0(VALU_DEP_1)
	v_lshrrev_b32_e32 v6, 16, v0
.LBB104_1216:
	s_branch .LBB104_1289
.LBB104_1217:
	s_trap 2
	s_sendmsg_rtn_b32 s0, sendmsg(MSG_RTN_GET_DOORBELL)
	s_mov_b32 ttmp2, m0
	s_waitcnt lgkmcnt(0)
	s_and_b32 s0, s0, 0x3ff
	s_delay_alu instid0(SALU_CYCLE_1) | instskip(NEXT) | instid1(SALU_CYCLE_1)
	s_bitset1_b32 s0, 10
	s_mov_b32 m0, s0
	s_sendmsg sendmsg(MSG_INTERRUPT)
	s_mov_b32 m0, ttmp2
.LBB104_1218:                           ; =>This Inner Loop Header: Depth=1
	s_sethalt 5
	s_branch .LBB104_1218
.LBB104_1219:
	s_or_saveexec_b32 s15, s15
                                        ; implicit-def: $sgpr16
	s_delay_alu instid0(SALU_CYCLE_1)
	s_xor_b32 exec_lo, exec_lo, s15
	s_cbranch_execz .LBB104_947
.LBB104_1220:
	v_add_f32_e64 v3, 0x42800000, |v6|
	s_and_not1_b32 s14, s14, exec_lo
	s_mov_b32 s16, 0
	s_delay_alu instid0(VALU_DEP_1) | instskip(NEXT) | instid1(VALU_DEP_1)
	v_and_b32_e32 v3, 0xff, v3
	v_cmp_ne_u32_e32 vcc_lo, 0, v3
	s_and_b32 s17, vcc_lo, exec_lo
	s_delay_alu instid0(SALU_CYCLE_1)
	s_or_b32 s14, s14, s17
	s_or_b32 exec_lo, exec_lo, s15
	v_mov_b32_e32 v7, s16
	s_and_saveexec_b32 s15, s14
	s_cbranch_execnz .LBB104_948
	s_branch .LBB104_949
.LBB104_1221:
	s_mov_b32 s0, -1
	s_mov_b32 s11, 0
.LBB104_1222:
                                        ; implicit-def: $vgpr6
.LBB104_1223:
	s_and_b32 vcc_lo, exec_lo, s12
	s_cbranch_vccz .LBB104_1227
; %bb.1224:
	v_cmp_eq_u16_e32 vcc_lo, 44, v4
	s_cbranch_vccz .LBB104_1226
; %bb.1225:
	global_load_u8 v6, v[0:1], off
	s_mov_b32 s0, 0
	s_mov_b32 s11, -1
	s_waitcnt vmcnt(0)
	v_lshlrev_b32_e32 v8, 23, v6
	v_cmp_ne_u32_e32 vcc_lo, 0xff, v6
	s_delay_alu instid0(VALU_DEP_2) | instskip(SKIP_1) | instid1(VALU_DEP_2)
	v_cndmask_b32_e32 v8, 0x7f800001, v8, vcc_lo
	v_cmp_ne_u32_e32 vcc_lo, 0, v6
	v_cndmask_b32_e32 v6, 0x400000, v8, vcc_lo
	s_delay_alu instid0(VALU_DEP_1) | instskip(SKIP_1) | instid1(VALU_DEP_2)
	v_add_nc_u32_e32 v8, 0x7fff, v6
	v_cmp_o_f32_e32 vcc_lo, v6, v6
	v_lshrrev_b32_e32 v8, 16, v8
	s_delay_alu instid0(VALU_DEP_1)
	v_cndmask_b32_e32 v6, 0x7fc0, v8, vcc_lo
	s_branch .LBB104_1227
.LBB104_1226:
	s_mov_b32 s0, -1
                                        ; implicit-def: $vgpr6
.LBB104_1227:
	s_mov_b32 s12, 0
.LBB104_1228:
	s_delay_alu instid0(SALU_CYCLE_1)
	s_and_b32 vcc_lo, exec_lo, s12
	s_cbranch_vccz .LBB104_1232
; %bb.1229:
	v_cmp_eq_u16_e32 vcc_lo, 29, v4
	s_cbranch_vccz .LBB104_1231
; %bb.1230:
	global_load_b64 v[8:9], v[0:1], off
	s_mov_b32 s0, 0
	s_mov_b32 s11, -1
	s_mov_b32 s12, 0
	s_waitcnt vmcnt(0)
	v_clz_i32_u32_e32 v6, v9
	s_delay_alu instid0(VALU_DEP_1) | instskip(NEXT) | instid1(VALU_DEP_1)
	v_min_u32_e32 v6, 32, v6
	v_lshlrev_b64 v[8:9], v6, v[8:9]
	v_sub_nc_u32_e32 v6, 32, v6
	s_delay_alu instid0(VALU_DEP_2) | instskip(NEXT) | instid1(VALU_DEP_1)
	v_min_u32_e32 v8, 1, v8
	v_or_b32_e32 v8, v9, v8
	s_delay_alu instid0(VALU_DEP_1) | instskip(NEXT) | instid1(VALU_DEP_1)
	v_cvt_f32_u32_e32 v8, v8
	v_ldexp_f32 v6, v8, v6
	s_delay_alu instid0(VALU_DEP_1) | instskip(NEXT) | instid1(VALU_DEP_1)
	v_bfe_u32 v8, v6, 16, 1
	v_add3_u32 v6, v6, v8, 0x7fff
	s_delay_alu instid0(VALU_DEP_1)
	v_lshrrev_b32_e32 v6, 16, v6
	s_branch .LBB104_1233
.LBB104_1231:
	s_mov_b32 s0, -1
                                        ; implicit-def: $vgpr6
.LBB104_1232:
	s_mov_b32 s12, 0
.LBB104_1233:
	s_delay_alu instid0(SALU_CYCLE_1)
	s_and_b32 vcc_lo, exec_lo, s12
	s_cbranch_vccz .LBB104_1251
; %bb.1234:
	v_cmp_gt_i16_e32 vcc_lo, 27, v4
	s_cbranch_vccnz .LBB104_1237
; %bb.1235:
	v_cmp_lt_i16_e32 vcc_lo, 27, v4
	s_cbranch_vccz .LBB104_1238
; %bb.1236:
	global_load_b32 v6, v[0:1], off
	s_mov_b32 s11, 0
	s_waitcnt vmcnt(0)
	v_cvt_f32_u32_e32 v6, v6
	s_delay_alu instid0(VALU_DEP_1) | instskip(NEXT) | instid1(VALU_DEP_1)
	v_bfe_u32 v8, v6, 16, 1
	v_add3_u32 v6, v6, v8, 0x7fff
	s_delay_alu instid0(VALU_DEP_1)
	v_lshrrev_b32_e32 v6, 16, v6
	s_branch .LBB104_1239
.LBB104_1237:
	s_mov_b32 s11, -1
                                        ; implicit-def: $vgpr6
	s_branch .LBB104_1242
.LBB104_1238:
	s_mov_b32 s11, -1
                                        ; implicit-def: $vgpr6
.LBB104_1239:
	s_delay_alu instid0(SALU_CYCLE_1)
	s_and_not1_b32 vcc_lo, exec_lo, s11
	s_cbranch_vccnz .LBB104_1241
; %bb.1240:
	global_load_u16 v6, v[0:1], off
	s_waitcnt vmcnt(0)
	v_cvt_f32_u32_e32 v6, v6
	s_delay_alu instid0(VALU_DEP_1) | instskip(NEXT) | instid1(VALU_DEP_1)
	v_bfe_u32 v8, v6, 16, 1
	v_add3_u32 v6, v6, v8, 0x7fff
	s_delay_alu instid0(VALU_DEP_1)
	v_lshrrev_b32_e32 v6, 16, v6
.LBB104_1241:
	s_mov_b32 s11, 0
.LBB104_1242:
	s_delay_alu instid0(SALU_CYCLE_1)
	s_and_not1_b32 vcc_lo, exec_lo, s11
	s_cbranch_vccnz .LBB104_1250
; %bb.1243:
	global_load_u8 v6, v[0:1], off
	s_mov_b32 s11, 0
	s_mov_b32 s13, exec_lo
                                        ; implicit-def: $sgpr12
	s_waitcnt vmcnt(0)
	v_cmpx_lt_i16_e32 0x7f, v6
	s_xor_b32 s13, exec_lo, s13
	s_cbranch_execz .LBB104_1263
; %bb.1244:
	s_mov_b32 s11, -1
	s_mov_b32 s14, exec_lo
                                        ; implicit-def: $sgpr12
	v_cmpx_eq_u16_e32 0x80, v6
; %bb.1245:
	s_mov_b32 s12, 0x7f800001
	s_xor_b32 s11, exec_lo, -1
; %bb.1246:
	s_or_b32 exec_lo, exec_lo, s14
	s_delay_alu instid0(SALU_CYCLE_1)
	s_and_b32 s11, s11, exec_lo
	s_or_saveexec_b32 s13, s13
	v_mov_b32_e32 v8, s12
	s_xor_b32 exec_lo, exec_lo, s13
	s_cbranch_execnz .LBB104_1264
.LBB104_1247:
	s_or_b32 exec_lo, exec_lo, s13
	s_and_saveexec_b32 s12, s11
	s_cbranch_execz .LBB104_1249
.LBB104_1248:
	v_and_b32_e32 v8, 0xffff, v6
	v_lshlrev_b32_e32 v6, 24, v6
	s_delay_alu instid0(VALU_DEP_2) | instskip(NEXT) | instid1(VALU_DEP_2)
	v_and_b32_e32 v9, 7, v8
	v_and_b32_e32 v6, 0x80000000, v6
	s_delay_alu instid0(VALU_DEP_2) | instskip(NEXT) | instid1(VALU_DEP_1)
	v_clz_i32_u32_e32 v10, v9
	v_min_u32_e32 v10, 32, v10
	s_delay_alu instid0(VALU_DEP_1) | instskip(SKIP_1) | instid1(VALU_DEP_2)
	v_subrev_nc_u32_e32 v11, 28, v10
	v_sub_nc_u32_e32 v10, 29, v10
	v_lshlrev_b32_e32 v11, v11, v8
	v_bfe_u32 v8, v8, 3, 4
	s_delay_alu instid0(VALU_DEP_2) | instskip(NEXT) | instid1(VALU_DEP_2)
	v_and_b32_e32 v11, 7, v11
	v_cmp_eq_u32_e32 vcc_lo, 0, v8
	s_delay_alu instid0(VALU_DEP_2) | instskip(NEXT) | instid1(VALU_DEP_1)
	v_dual_cndmask_b32 v8, v8, v10 :: v_dual_cndmask_b32 v9, v9, v11
	v_lshl_add_u32 v8, v8, 23, 0x3b800000
	s_delay_alu instid0(VALU_DEP_2) | instskip(NEXT) | instid1(VALU_DEP_1)
	v_lshlrev_b32_e32 v9, 20, v9
	v_or3_b32 v8, v6, v8, v9
.LBB104_1249:
	s_or_b32 exec_lo, exec_lo, s12
	s_delay_alu instid0(VALU_DEP_1) | instskip(SKIP_1) | instid1(VALU_DEP_2)
	v_bfe_u32 v6, v8, 16, 1
	v_cmp_o_f32_e32 vcc_lo, v8, v8
	v_add3_u32 v6, v8, v6, 0x7fff
	s_delay_alu instid0(VALU_DEP_1) | instskip(NEXT) | instid1(VALU_DEP_1)
	v_lshrrev_b32_e32 v6, 16, v6
	v_cndmask_b32_e32 v6, 0x7fc0, v6, vcc_lo
.LBB104_1250:
	s_mov_b32 s11, -1
.LBB104_1251:
	s_branch .LBB104_1284
.LBB104_1252:
	v_cmp_lt_i16_e32 vcc_lo, 22, v4
	s_cbranch_vccz .LBB104_1262
; %bb.1253:
	v_cmp_gt_i16_e32 vcc_lo, 24, v4
	s_cbranch_vccnz .LBB104_1265
; %bb.1254:
	v_cmp_lt_i16_e32 vcc_lo, 24, v4
	s_cbranch_vccz .LBB104_1266
; %bb.1255:
	global_load_u8 v6, v[0:1], off
	s_mov_b32 s12, exec_lo
                                        ; implicit-def: $sgpr11
	s_waitcnt vmcnt(0)
	v_cmpx_lt_i16_e32 0x7f, v6
	s_xor_b32 s12, exec_lo, s12
	s_cbranch_execz .LBB104_1278
; %bb.1256:
	s_mov_b32 s10, -1
	s_mov_b32 s13, exec_lo
                                        ; implicit-def: $sgpr11
	v_cmpx_eq_u16_e32 0x80, v6
; %bb.1257:
	s_mov_b32 s11, 0x7f800001
	s_xor_b32 s10, exec_lo, -1
; %bb.1258:
	s_or_b32 exec_lo, exec_lo, s13
	s_delay_alu instid0(SALU_CYCLE_1)
	s_and_b32 s10, s10, exec_lo
	s_or_saveexec_b32 s12, s12
	v_mov_b32_e32 v8, s11
	s_xor_b32 exec_lo, exec_lo, s12
	s_cbranch_execnz .LBB104_1279
.LBB104_1259:
	s_or_b32 exec_lo, exec_lo, s12
	s_and_saveexec_b32 s11, s10
	s_cbranch_execz .LBB104_1261
.LBB104_1260:
	v_and_b32_e32 v8, 0xffff, v6
	v_lshlrev_b32_e32 v6, 24, v6
	s_delay_alu instid0(VALU_DEP_2) | instskip(NEXT) | instid1(VALU_DEP_2)
	v_and_b32_e32 v9, 3, v8
	v_and_b32_e32 v6, 0x80000000, v6
	s_delay_alu instid0(VALU_DEP_2) | instskip(NEXT) | instid1(VALU_DEP_1)
	v_clz_i32_u32_e32 v10, v9
	v_min_u32_e32 v10, 32, v10
	s_delay_alu instid0(VALU_DEP_1) | instskip(SKIP_1) | instid1(VALU_DEP_2)
	v_subrev_nc_u32_e32 v11, 29, v10
	v_sub_nc_u32_e32 v10, 30, v10
	v_lshlrev_b32_e32 v11, v11, v8
	v_bfe_u32 v8, v8, 2, 5
	s_delay_alu instid0(VALU_DEP_2) | instskip(NEXT) | instid1(VALU_DEP_2)
	v_and_b32_e32 v11, 3, v11
	v_cmp_eq_u32_e32 vcc_lo, 0, v8
	s_delay_alu instid0(VALU_DEP_2) | instskip(NEXT) | instid1(VALU_DEP_1)
	v_dual_cndmask_b32 v8, v8, v10 :: v_dual_cndmask_b32 v9, v9, v11
	v_lshl_add_u32 v8, v8, 23, 0x37800000
	s_delay_alu instid0(VALU_DEP_2) | instskip(NEXT) | instid1(VALU_DEP_1)
	v_lshlrev_b32_e32 v9, 21, v9
	v_or3_b32 v8, v6, v8, v9
.LBB104_1261:
	s_or_b32 exec_lo, exec_lo, s11
	s_delay_alu instid0(VALU_DEP_1) | instskip(SKIP_2) | instid1(VALU_DEP_2)
	v_bfe_u32 v6, v8, 16, 1
	v_cmp_o_f32_e32 vcc_lo, v8, v8
	s_mov_b32 s10, 0
	v_add3_u32 v6, v8, v6, 0x7fff
	s_delay_alu instid0(VALU_DEP_1) | instskip(NEXT) | instid1(VALU_DEP_1)
	v_lshrrev_b32_e32 v6, 16, v6
	v_cndmask_b32_e32 v6, 0x7fc0, v6, vcc_lo
	s_branch .LBB104_1267
.LBB104_1262:
	s_mov_b32 s10, -1
                                        ; implicit-def: $vgpr6
	s_branch .LBB104_1273
.LBB104_1263:
	s_or_saveexec_b32 s13, s13
	v_mov_b32_e32 v8, s12
	s_xor_b32 exec_lo, exec_lo, s13
	s_cbranch_execz .LBB104_1247
.LBB104_1264:
	v_cmp_ne_u16_e32 vcc_lo, 0, v6
	v_mov_b32_e32 v8, 0
	s_and_not1_b32 s11, s11, exec_lo
	s_and_b32 s12, vcc_lo, exec_lo
	s_delay_alu instid0(SALU_CYCLE_1)
	s_or_b32 s11, s11, s12
	s_or_b32 exec_lo, exec_lo, s13
	s_and_saveexec_b32 s12, s11
	s_cbranch_execnz .LBB104_1248
	s_branch .LBB104_1249
.LBB104_1265:
	s_mov_b32 s10, -1
                                        ; implicit-def: $vgpr6
	s_branch .LBB104_1270
.LBB104_1266:
	s_mov_b32 s10, -1
                                        ; implicit-def: $vgpr6
.LBB104_1267:
	s_delay_alu instid0(SALU_CYCLE_1)
	s_and_b32 vcc_lo, exec_lo, s10
	s_cbranch_vccz .LBB104_1269
; %bb.1268:
	global_load_u8 v6, v[0:1], off
	s_waitcnt vmcnt(0)
	v_lshlrev_b32_e32 v6, 24, v6
	s_delay_alu instid0(VALU_DEP_1) | instskip(NEXT) | instid1(VALU_DEP_1)
	v_and_b32_e32 v8, 0x7f000000, v6
	v_clz_i32_u32_e32 v9, v8
	v_cmp_ne_u32_e32 vcc_lo, 0, v8
	v_add_nc_u32_e32 v11, 0x1000000, v8
	s_delay_alu instid0(VALU_DEP_3) | instskip(NEXT) | instid1(VALU_DEP_1)
	v_min_u32_e32 v9, 32, v9
	v_sub_nc_u32_e64 v9, v9, 4 clamp
	s_delay_alu instid0(VALU_DEP_1) | instskip(SKIP_1) | instid1(VALU_DEP_2)
	v_lshlrev_b32_e32 v10, v9, v8
	v_lshlrev_b32_e32 v9, 23, v9
	v_lshrrev_b32_e32 v10, 4, v10
	s_delay_alu instid0(VALU_DEP_1) | instskip(SKIP_1) | instid1(VALU_DEP_2)
	v_sub_nc_u32_e32 v9, v10, v9
	v_ashrrev_i32_e32 v10, 8, v11
	v_add_nc_u32_e32 v9, 0x3c000000, v9
	s_delay_alu instid0(VALU_DEP_1) | instskip(NEXT) | instid1(VALU_DEP_1)
	v_and_or_b32 v9, 0x7f800000, v10, v9
	v_cndmask_b32_e32 v8, 0, v9, vcc_lo
	s_delay_alu instid0(VALU_DEP_1) | instskip(SKIP_1) | instid1(VALU_DEP_2)
	v_and_or_b32 v6, 0x80000000, v6, v8
	v_bfe_u32 v8, v8, 16, 1
	v_cmp_o_f32_e32 vcc_lo, v6, v6
	s_delay_alu instid0(VALU_DEP_2) | instskip(NEXT) | instid1(VALU_DEP_1)
	v_add3_u32 v8, v6, v8, 0x7fff
	v_lshrrev_b32_e32 v8, 16, v8
	s_delay_alu instid0(VALU_DEP_1)
	v_cndmask_b32_e32 v6, 0x7fc0, v8, vcc_lo
.LBB104_1269:
	s_mov_b32 s10, 0
.LBB104_1270:
	s_delay_alu instid0(SALU_CYCLE_1)
	s_and_not1_b32 vcc_lo, exec_lo, s10
	s_cbranch_vccnz .LBB104_1272
; %bb.1271:
	global_load_u8 v6, v[0:1], off
	s_waitcnt vmcnt(0)
	v_lshlrev_b32_e32 v8, 25, v6
	v_lshlrev_b16 v6, 8, v6
	s_delay_alu instid0(VALU_DEP_2) | instskip(NEXT) | instid1(VALU_DEP_2)
	v_lshrrev_b32_e32 v9, 4, v8
	v_and_or_b32 v10, 0x7f00, v6, 0.5
	v_bfe_i32 v6, v6, 0, 16
	s_delay_alu instid0(VALU_DEP_3) | instskip(NEXT) | instid1(VALU_DEP_1)
	v_or_b32_e32 v9, 0x70000000, v9
	v_dual_add_f32 v10, -0.5, v10 :: v_dual_mul_f32 v9, 0x7800000, v9
	v_cmp_gt_u32_e32 vcc_lo, 0x8000000, v8
	s_delay_alu instid0(VALU_DEP_2) | instskip(NEXT) | instid1(VALU_DEP_1)
	v_cndmask_b32_e32 v8, v9, v10, vcc_lo
	v_and_or_b32 v6, 0x80000000, v6, v8
	v_bfe_u32 v8, v8, 16, 1
	s_delay_alu instid0(VALU_DEP_2) | instskip(NEXT) | instid1(VALU_DEP_2)
	v_cmp_o_f32_e32 vcc_lo, v6, v6
	v_add3_u32 v8, v6, v8, 0x7fff
	s_delay_alu instid0(VALU_DEP_1) | instskip(NEXT) | instid1(VALU_DEP_1)
	v_lshrrev_b32_e32 v8, 16, v8
	v_cndmask_b32_e32 v6, 0x7fc0, v8, vcc_lo
.LBB104_1272:
	s_mov_b32 s10, 0
	s_mov_b32 s11, -1
.LBB104_1273:
	s_and_not1_b32 vcc_lo, exec_lo, s10
	s_mov_b32 s10, 0
	s_cbranch_vccnz .LBB104_1284
; %bb.1274:
	v_cmp_lt_i16_e32 vcc_lo, 14, v4
	s_cbranch_vccz .LBB104_1277
; %bb.1275:
	v_cmp_eq_u16_e32 vcc_lo, 15, v4
	s_cbranch_vccz .LBB104_1280
; %bb.1276:
	global_load_u16 v6, v[0:1], off
	s_mov_b32 s0, 0
	s_mov_b32 s11, -1
	s_branch .LBB104_1282
.LBB104_1277:
	s_mov_b32 s10, -1
	s_branch .LBB104_1281
.LBB104_1278:
	s_or_saveexec_b32 s12, s12
	v_mov_b32_e32 v8, s11
	s_xor_b32 exec_lo, exec_lo, s12
	s_cbranch_execz .LBB104_1259
.LBB104_1279:
	v_cmp_ne_u16_e32 vcc_lo, 0, v6
	v_mov_b32_e32 v8, 0
	s_and_not1_b32 s10, s10, exec_lo
	s_and_b32 s11, vcc_lo, exec_lo
	s_delay_alu instid0(SALU_CYCLE_1)
	s_or_b32 s10, s10, s11
	s_or_b32 exec_lo, exec_lo, s12
	s_and_saveexec_b32 s11, s10
	s_cbranch_execnz .LBB104_1260
	s_branch .LBB104_1261
.LBB104_1280:
	s_mov_b32 s0, -1
.LBB104_1281:
                                        ; implicit-def: $vgpr6
.LBB104_1282:
	s_and_b32 vcc_lo, exec_lo, s10
	s_mov_b32 s10, 0
	s_cbranch_vccz .LBB104_1284
; %bb.1283:
	v_cmp_ne_u16_e64 s0, 11, v4
	s_mov_b32 s10, -1
                                        ; implicit-def: $vgpr6
.LBB104_1284:
	s_delay_alu instid0(VALU_DEP_1)
	s_and_b32 vcc_lo, exec_lo, s0
	s_cbranch_vccnz .LBB104_1308
; %bb.1285:
	s_and_not1_b32 vcc_lo, exec_lo, s10
	s_cbranch_vccnz .LBB104_1287
.LBB104_1286:
	global_load_u8 v6, v[0:1], off
	s_mov_b32 s11, -1
	s_waitcnt vmcnt(0)
	v_cmp_ne_u16_e32 vcc_lo, 0, v6
	v_cndmask_b32_e64 v6, 0, 1.0, vcc_lo
	s_delay_alu instid0(VALU_DEP_1)
	v_lshrrev_b32_e32 v6, 16, v6
.LBB104_1287:
.LBB104_1288:
	s_and_not1_b32 vcc_lo, exec_lo, s11
	s_cbranch_vccnz .LBB104_1986
.LBB104_1289:
	v_add_nc_u32_e32 v8, s3, v7
	v_cmp_gt_i16_e32 vcc_lo, 11, v4
	s_delay_alu instid0(VALU_DEP_2) | instskip(SKIP_1) | instid1(VALU_DEP_1)
	v_ashrrev_i32_e32 v1, 31, v8
	v_add_co_u32 v0, s0, s6, v8
	v_add_co_ci_u32_e64 v1, s0, s7, v1, s0
	s_cbranch_vccnz .LBB104_1296
; %bb.1290:
	v_cmp_lt_i16_e32 vcc_lo, 25, v4
	s_mov_b32 s10, 0
	s_cbranch_vccz .LBB104_1302
; %bb.1291:
	v_cmp_lt_i16_e32 vcc_lo, 28, v4
	s_cbranch_vccz .LBB104_1304
; %bb.1292:
	v_cmp_lt_i16_e32 vcc_lo, 43, v4
	;; [unrolled: 3-line block ×3, first 2 shown]
	s_cbranch_vccz .LBB104_1310
; %bb.1294:
	v_cmp_eq_u16_e32 vcc_lo, 46, v4
	s_mov_b32 s12, 0
	s_cbranch_vccz .LBB104_1353
; %bb.1295:
	global_load_b32 v7, v[0:1], off
	s_mov_b32 s0, 0
	s_mov_b32 s11, -1
	s_branch .LBB104_1355
.LBB104_1296:
	s_mov_b32 s11, 0
                                        ; implicit-def: $vgpr7
	s_cbranch_execz .LBB104_1421
; %bb.1297:
	v_cmp_gt_i16_e32 vcc_lo, 5, v4
	s_cbranch_vccnz .LBB104_1303
; %bb.1298:
	v_cmp_gt_i16_e32 vcc_lo, 8, v4
	s_cbranch_vccnz .LBB104_1305
	;; [unrolled: 3-line block ×3, first 2 shown]
; %bb.1300:
	v_cmp_lt_i16_e32 vcc_lo, 9, v4
	s_cbranch_vccz .LBB104_1311
; %bb.1301:
	global_load_b64 v[9:10], v[0:1], off
	s_mov_b32 s0, 0
	s_waitcnt vmcnt(0)
	v_cvt_f32_f64_e32 v7, v[9:10]
	s_delay_alu instid0(VALU_DEP_1) | instskip(SKIP_1) | instid1(VALU_DEP_2)
	v_bfe_u32 v9, v7, 16, 1
	v_cmp_o_f32_e32 vcc_lo, v7, v7
	v_add3_u32 v9, v7, v9, 0x7fff
	s_delay_alu instid0(VALU_DEP_1) | instskip(NEXT) | instid1(VALU_DEP_1)
	v_lshrrev_b32_e32 v9, 16, v9
	v_cndmask_b32_e32 v7, 0x7fc0, v9, vcc_lo
	s_branch .LBB104_1312
.LBB104_1302:
	s_mov_b32 s12, -1
	s_mov_b32 s11, 0
	s_mov_b32 s0, 0
                                        ; implicit-def: $vgpr7
	s_branch .LBB104_1384
.LBB104_1303:
	s_mov_b32 s0, -1
                                        ; implicit-def: $vgpr7
	s_branch .LBB104_1330
.LBB104_1304:
	s_mov_b32 s12, -1
	s_mov_b32 s11, 0
	s_mov_b32 s0, 0
                                        ; implicit-def: $vgpr7
	s_branch .LBB104_1365
.LBB104_1305:
	s_mov_b32 s0, -1
                                        ; implicit-def: $vgpr7
	s_branch .LBB104_1318
.LBB104_1306:
	s_mov_b32 s12, -1
	s_mov_b32 s11, 0
	s_mov_b32 s0, 0
                                        ; implicit-def: $vgpr7
	s_branch .LBB104_1360
.LBB104_1307:
	s_mov_b32 s0, -1
                                        ; implicit-def: $vgpr7
	s_branch .LBB104_1315
.LBB104_1308:
	s_cbranch_execnz .LBB104_1351
; %bb.1309:
	s_or_b32 s1, s1, exec_lo
                                        ; implicit-def: $vgpr6
	s_cbranch_execz .LBB104_1286
	s_branch .LBB104_1287
.LBB104_1310:
	s_mov_b32 s12, -1
	s_mov_b32 s11, 0
	s_mov_b32 s0, 0
	s_branch .LBB104_1354
.LBB104_1311:
	s_mov_b32 s0, -1
                                        ; implicit-def: $vgpr7
.LBB104_1312:
	s_delay_alu instid0(SALU_CYCLE_1)
	s_and_not1_b32 vcc_lo, exec_lo, s0
	s_cbranch_vccnz .LBB104_1314
; %bb.1313:
	global_load_b32 v7, v[0:1], off
	s_waitcnt vmcnt(0)
	v_bfe_u32 v9, v7, 16, 1
	v_cmp_o_f32_e32 vcc_lo, v7, v7
	s_delay_alu instid0(VALU_DEP_2) | instskip(NEXT) | instid1(VALU_DEP_1)
	v_add3_u32 v9, v7, v9, 0x7fff
	v_lshrrev_b32_e32 v9, 16, v9
	s_delay_alu instid0(VALU_DEP_1)
	v_cndmask_b32_e32 v7, 0x7fc0, v9, vcc_lo
.LBB104_1314:
	s_mov_b32 s0, 0
.LBB104_1315:
	s_delay_alu instid0(SALU_CYCLE_1)
	s_and_not1_b32 vcc_lo, exec_lo, s0
	s_cbranch_vccnz .LBB104_1317
; %bb.1316:
	global_load_b32 v7, v[0:1], off
	s_waitcnt vmcnt(0)
	v_cvt_f32_f16_e32 v9, v7
	v_cmp_o_f16_e32 vcc_lo, v7, v7
	s_delay_alu instid0(VALU_DEP_2) | instskip(NEXT) | instid1(VALU_DEP_1)
	v_bfe_u32 v10, v9, 16, 1
	v_add3_u32 v9, v9, v10, 0x7fff
	s_delay_alu instid0(VALU_DEP_1) | instskip(NEXT) | instid1(VALU_DEP_1)
	v_lshrrev_b32_e32 v9, 16, v9
	v_cndmask_b32_e32 v7, 0x7fc0, v9, vcc_lo
.LBB104_1317:
	s_mov_b32 s0, 0
.LBB104_1318:
	s_delay_alu instid0(SALU_CYCLE_1)
	s_and_not1_b32 vcc_lo, exec_lo, s0
	s_cbranch_vccnz .LBB104_1329
; %bb.1319:
	v_cmp_gt_i16_e32 vcc_lo, 6, v4
	s_cbranch_vccnz .LBB104_1322
; %bb.1320:
	v_cmp_lt_i16_e32 vcc_lo, 6, v4
	s_cbranch_vccz .LBB104_1323
; %bb.1321:
	global_load_b64 v[9:10], v[0:1], off
	s_mov_b32 s0, 0
	s_waitcnt vmcnt(0)
	v_cvt_f32_f64_e32 v7, v[9:10]
	s_delay_alu instid0(VALU_DEP_1) | instskip(SKIP_1) | instid1(VALU_DEP_2)
	v_bfe_u32 v9, v7, 16, 1
	v_cmp_o_f32_e32 vcc_lo, v7, v7
	v_add3_u32 v9, v7, v9, 0x7fff
	s_delay_alu instid0(VALU_DEP_1) | instskip(NEXT) | instid1(VALU_DEP_1)
	v_lshrrev_b32_e32 v9, 16, v9
	v_cndmask_b32_e32 v7, 0x7fc0, v9, vcc_lo
	s_branch .LBB104_1324
.LBB104_1322:
	s_mov_b32 s0, -1
                                        ; implicit-def: $vgpr7
	s_branch .LBB104_1327
.LBB104_1323:
	s_mov_b32 s0, -1
                                        ; implicit-def: $vgpr7
.LBB104_1324:
	s_delay_alu instid0(SALU_CYCLE_1)
	s_and_not1_b32 vcc_lo, exec_lo, s0
	s_cbranch_vccnz .LBB104_1326
; %bb.1325:
	global_load_b32 v7, v[0:1], off
	s_waitcnt vmcnt(0)
	v_bfe_u32 v9, v7, 16, 1
	v_cmp_o_f32_e32 vcc_lo, v7, v7
	s_delay_alu instid0(VALU_DEP_2) | instskip(NEXT) | instid1(VALU_DEP_1)
	v_add3_u32 v9, v7, v9, 0x7fff
	v_lshrrev_b32_e32 v9, 16, v9
	s_delay_alu instid0(VALU_DEP_1)
	v_cndmask_b32_e32 v7, 0x7fc0, v9, vcc_lo
.LBB104_1326:
	s_mov_b32 s0, 0
.LBB104_1327:
	s_delay_alu instid0(SALU_CYCLE_1)
	s_and_not1_b32 vcc_lo, exec_lo, s0
	s_cbranch_vccnz .LBB104_1329
; %bb.1328:
	global_load_u16 v7, v[0:1], off
	s_waitcnt vmcnt(0)
	v_cvt_f32_f16_e32 v9, v7
	v_cmp_o_f16_e32 vcc_lo, v7, v7
	s_delay_alu instid0(VALU_DEP_2) | instskip(NEXT) | instid1(VALU_DEP_1)
	v_bfe_u32 v10, v9, 16, 1
	v_add3_u32 v9, v9, v10, 0x7fff
	s_delay_alu instid0(VALU_DEP_1) | instskip(NEXT) | instid1(VALU_DEP_1)
	v_lshrrev_b32_e32 v9, 16, v9
	v_cndmask_b32_e32 v7, 0x7fc0, v9, vcc_lo
.LBB104_1329:
	s_mov_b32 s0, 0
.LBB104_1330:
	s_delay_alu instid0(SALU_CYCLE_1)
	s_and_not1_b32 vcc_lo, exec_lo, s0
	s_cbranch_vccnz .LBB104_1350
; %bb.1331:
	v_cmp_gt_i16_e32 vcc_lo, 2, v4
	s_cbranch_vccnz .LBB104_1335
; %bb.1332:
	v_cmp_gt_i16_e32 vcc_lo, 3, v4
	s_cbranch_vccnz .LBB104_1336
; %bb.1333:
	v_cmp_lt_i16_e32 vcc_lo, 3, v4
	s_cbranch_vccz .LBB104_1337
; %bb.1334:
	global_load_b64 v[9:10], v[0:1], off
	s_mov_b32 s0, 0
	s_waitcnt vmcnt(0)
	v_xor_b32_e32 v7, v9, v10
	v_cls_i32_e32 v11, v10
	s_delay_alu instid0(VALU_DEP_2) | instskip(NEXT) | instid1(VALU_DEP_2)
	v_ashrrev_i32_e32 v7, 31, v7
	v_add_nc_u32_e32 v11, -1, v11
	s_delay_alu instid0(VALU_DEP_2) | instskip(NEXT) | instid1(VALU_DEP_1)
	v_add_nc_u32_e32 v7, 32, v7
	v_min_u32_e32 v7, v11, v7
	s_delay_alu instid0(VALU_DEP_1) | instskip(SKIP_1) | instid1(VALU_DEP_2)
	v_lshlrev_b64 v[9:10], v7, v[9:10]
	v_sub_nc_u32_e32 v7, 32, v7
	v_min_u32_e32 v9, 1, v9
	s_delay_alu instid0(VALU_DEP_1) | instskip(NEXT) | instid1(VALU_DEP_1)
	v_or_b32_e32 v9, v10, v9
	v_cvt_f32_i32_e32 v9, v9
	s_delay_alu instid0(VALU_DEP_1) | instskip(NEXT) | instid1(VALU_DEP_1)
	v_ldexp_f32 v7, v9, v7
	v_bfe_u32 v9, v7, 16, 1
	s_delay_alu instid0(VALU_DEP_1) | instskip(NEXT) | instid1(VALU_DEP_1)
	v_add3_u32 v7, v7, v9, 0x7fff
	v_lshrrev_b32_e32 v7, 16, v7
	s_branch .LBB104_1338
.LBB104_1335:
	s_mov_b32 s0, -1
                                        ; implicit-def: $vgpr7
	s_branch .LBB104_1344
.LBB104_1336:
	s_mov_b32 s0, -1
                                        ; implicit-def: $vgpr7
	s_branch .LBB104_1341
.LBB104_1337:
	s_mov_b32 s0, -1
                                        ; implicit-def: $vgpr7
.LBB104_1338:
	s_delay_alu instid0(SALU_CYCLE_1)
	s_and_not1_b32 vcc_lo, exec_lo, s0
	s_cbranch_vccnz .LBB104_1340
; %bb.1339:
	global_load_b32 v7, v[0:1], off
	s_waitcnt vmcnt(0)
	v_cvt_f32_i32_e32 v7, v7
	s_delay_alu instid0(VALU_DEP_1) | instskip(NEXT) | instid1(VALU_DEP_1)
	v_bfe_u32 v9, v7, 16, 1
	v_add3_u32 v7, v7, v9, 0x7fff
	s_delay_alu instid0(VALU_DEP_1)
	v_lshrrev_b32_e32 v7, 16, v7
.LBB104_1340:
	s_mov_b32 s0, 0
.LBB104_1341:
	s_delay_alu instid0(SALU_CYCLE_1)
	s_and_not1_b32 vcc_lo, exec_lo, s0
	s_cbranch_vccnz .LBB104_1343
; %bb.1342:
	global_load_i16 v7, v[0:1], off
	s_waitcnt vmcnt(0)
	v_cvt_f32_i32_e32 v7, v7
	s_delay_alu instid0(VALU_DEP_1) | instskip(NEXT) | instid1(VALU_DEP_1)
	v_bfe_u32 v9, v7, 16, 1
	v_add3_u32 v7, v7, v9, 0x7fff
	s_delay_alu instid0(VALU_DEP_1)
	v_lshrrev_b32_e32 v7, 16, v7
.LBB104_1343:
	s_mov_b32 s0, 0
.LBB104_1344:
	s_delay_alu instid0(SALU_CYCLE_1)
	s_and_not1_b32 vcc_lo, exec_lo, s0
	s_cbranch_vccnz .LBB104_1350
; %bb.1345:
	v_cmp_lt_i16_e32 vcc_lo, 0, v4
	s_mov_b32 s0, 0
	s_cbranch_vccz .LBB104_1347
; %bb.1346:
	global_load_i8 v7, v[0:1], off
	s_waitcnt vmcnt(0)
	v_cvt_f32_i32_e32 v7, v7
	s_delay_alu instid0(VALU_DEP_1) | instskip(NEXT) | instid1(VALU_DEP_1)
	v_bfe_u32 v9, v7, 16, 1
	v_add3_u32 v7, v7, v9, 0x7fff
	s_delay_alu instid0(VALU_DEP_1)
	v_lshrrev_b32_e32 v7, 16, v7
	s_branch .LBB104_1348
.LBB104_1347:
	s_mov_b32 s0, -1
                                        ; implicit-def: $vgpr7
.LBB104_1348:
	s_delay_alu instid0(SALU_CYCLE_1)
	s_and_not1_b32 vcc_lo, exec_lo, s0
	s_cbranch_vccnz .LBB104_1350
; %bb.1349:
	global_load_u8 v0, v[0:1], off
	s_waitcnt vmcnt(0)
	v_cvt_f32_ubyte0_e32 v0, v0
	s_delay_alu instid0(VALU_DEP_1) | instskip(NEXT) | instid1(VALU_DEP_1)
	v_bfe_u32 v1, v0, 16, 1
	v_add3_u32 v0, v0, v1, 0x7fff
	s_delay_alu instid0(VALU_DEP_1)
	v_lshrrev_b32_e32 v7, 16, v0
.LBB104_1350:
	s_branch .LBB104_1422
.LBB104_1351:
	s_trap 2
	s_sendmsg_rtn_b32 s0, sendmsg(MSG_RTN_GET_DOORBELL)
	s_mov_b32 ttmp2, m0
	s_waitcnt lgkmcnt(0)
	s_and_b32 s0, s0, 0x3ff
	s_delay_alu instid0(SALU_CYCLE_1) | instskip(NEXT) | instid1(SALU_CYCLE_1)
	s_bitset1_b32 s0, 10
	s_mov_b32 m0, s0
	s_sendmsg sendmsg(MSG_INTERRUPT)
	s_mov_b32 m0, ttmp2
.LBB104_1352:                           ; =>This Inner Loop Header: Depth=1
	s_sethalt 5
	s_branch .LBB104_1352
.LBB104_1353:
	s_mov_b32 s0, -1
	s_mov_b32 s11, 0
.LBB104_1354:
                                        ; implicit-def: $vgpr7
.LBB104_1355:
	s_and_b32 vcc_lo, exec_lo, s12
	s_cbranch_vccz .LBB104_1359
; %bb.1356:
	v_cmp_eq_u16_e32 vcc_lo, 44, v4
	s_cbranch_vccz .LBB104_1358
; %bb.1357:
	global_load_u8 v7, v[0:1], off
	s_mov_b32 s0, 0
	s_mov_b32 s11, -1
	s_waitcnt vmcnt(0)
	v_lshlrev_b32_e32 v9, 23, v7
	v_cmp_ne_u32_e32 vcc_lo, 0xff, v7
	s_delay_alu instid0(VALU_DEP_2) | instskip(SKIP_1) | instid1(VALU_DEP_2)
	v_cndmask_b32_e32 v9, 0x7f800001, v9, vcc_lo
	v_cmp_ne_u32_e32 vcc_lo, 0, v7
	v_cndmask_b32_e32 v7, 0x400000, v9, vcc_lo
	s_delay_alu instid0(VALU_DEP_1) | instskip(SKIP_1) | instid1(VALU_DEP_2)
	v_add_nc_u32_e32 v9, 0x7fff, v7
	v_cmp_o_f32_e32 vcc_lo, v7, v7
	v_lshrrev_b32_e32 v9, 16, v9
	s_delay_alu instid0(VALU_DEP_1)
	v_cndmask_b32_e32 v7, 0x7fc0, v9, vcc_lo
	s_branch .LBB104_1359
.LBB104_1358:
	s_mov_b32 s0, -1
                                        ; implicit-def: $vgpr7
.LBB104_1359:
	s_mov_b32 s12, 0
.LBB104_1360:
	s_delay_alu instid0(SALU_CYCLE_1)
	s_and_b32 vcc_lo, exec_lo, s12
	s_cbranch_vccz .LBB104_1364
; %bb.1361:
	v_cmp_eq_u16_e32 vcc_lo, 29, v4
	s_cbranch_vccz .LBB104_1363
; %bb.1362:
	global_load_b64 v[9:10], v[0:1], off
	s_mov_b32 s0, 0
	s_mov_b32 s11, -1
	s_mov_b32 s12, 0
	s_waitcnt vmcnt(0)
	v_clz_i32_u32_e32 v7, v10
	s_delay_alu instid0(VALU_DEP_1) | instskip(NEXT) | instid1(VALU_DEP_1)
	v_min_u32_e32 v7, 32, v7
	v_lshlrev_b64 v[9:10], v7, v[9:10]
	v_sub_nc_u32_e32 v7, 32, v7
	s_delay_alu instid0(VALU_DEP_2) | instskip(NEXT) | instid1(VALU_DEP_1)
	v_min_u32_e32 v9, 1, v9
	v_or_b32_e32 v9, v10, v9
	s_delay_alu instid0(VALU_DEP_1) | instskip(NEXT) | instid1(VALU_DEP_1)
	v_cvt_f32_u32_e32 v9, v9
	v_ldexp_f32 v7, v9, v7
	s_delay_alu instid0(VALU_DEP_1) | instskip(NEXT) | instid1(VALU_DEP_1)
	v_bfe_u32 v9, v7, 16, 1
	v_add3_u32 v7, v7, v9, 0x7fff
	s_delay_alu instid0(VALU_DEP_1)
	v_lshrrev_b32_e32 v7, 16, v7
	s_branch .LBB104_1365
.LBB104_1363:
	s_mov_b32 s0, -1
                                        ; implicit-def: $vgpr7
.LBB104_1364:
	s_mov_b32 s12, 0
.LBB104_1365:
	s_delay_alu instid0(SALU_CYCLE_1)
	s_and_b32 vcc_lo, exec_lo, s12
	s_cbranch_vccz .LBB104_1383
; %bb.1366:
	v_cmp_gt_i16_e32 vcc_lo, 27, v4
	s_cbranch_vccnz .LBB104_1369
; %bb.1367:
	v_cmp_lt_i16_e32 vcc_lo, 27, v4
	s_cbranch_vccz .LBB104_1370
; %bb.1368:
	global_load_b32 v7, v[0:1], off
	s_mov_b32 s11, 0
	s_waitcnt vmcnt(0)
	v_cvt_f32_u32_e32 v7, v7
	s_delay_alu instid0(VALU_DEP_1) | instskip(NEXT) | instid1(VALU_DEP_1)
	v_bfe_u32 v9, v7, 16, 1
	v_add3_u32 v7, v7, v9, 0x7fff
	s_delay_alu instid0(VALU_DEP_1)
	v_lshrrev_b32_e32 v7, 16, v7
	s_branch .LBB104_1371
.LBB104_1369:
	s_mov_b32 s11, -1
                                        ; implicit-def: $vgpr7
	s_branch .LBB104_1374
.LBB104_1370:
	s_mov_b32 s11, -1
                                        ; implicit-def: $vgpr7
.LBB104_1371:
	s_delay_alu instid0(SALU_CYCLE_1)
	s_and_not1_b32 vcc_lo, exec_lo, s11
	s_cbranch_vccnz .LBB104_1373
; %bb.1372:
	global_load_u16 v7, v[0:1], off
	s_waitcnt vmcnt(0)
	v_cvt_f32_u32_e32 v7, v7
	s_delay_alu instid0(VALU_DEP_1) | instskip(NEXT) | instid1(VALU_DEP_1)
	v_bfe_u32 v9, v7, 16, 1
	v_add3_u32 v7, v7, v9, 0x7fff
	s_delay_alu instid0(VALU_DEP_1)
	v_lshrrev_b32_e32 v7, 16, v7
.LBB104_1373:
	s_mov_b32 s11, 0
.LBB104_1374:
	s_delay_alu instid0(SALU_CYCLE_1)
	s_and_not1_b32 vcc_lo, exec_lo, s11
	s_cbranch_vccnz .LBB104_1382
; %bb.1375:
	global_load_u8 v7, v[0:1], off
	s_mov_b32 s11, 0
	s_mov_b32 s13, exec_lo
                                        ; implicit-def: $sgpr12
	s_waitcnt vmcnt(0)
	v_cmpx_lt_i16_e32 0x7f, v7
	s_xor_b32 s13, exec_lo, s13
	s_cbranch_execz .LBB104_1396
; %bb.1376:
	s_mov_b32 s11, -1
	s_mov_b32 s14, exec_lo
                                        ; implicit-def: $sgpr12
	v_cmpx_eq_u16_e32 0x80, v7
; %bb.1377:
	s_mov_b32 s12, 0x7f800001
	s_xor_b32 s11, exec_lo, -1
; %bb.1378:
	s_or_b32 exec_lo, exec_lo, s14
	s_delay_alu instid0(SALU_CYCLE_1)
	s_and_b32 s11, s11, exec_lo
	s_or_saveexec_b32 s13, s13
	v_mov_b32_e32 v9, s12
	s_xor_b32 exec_lo, exec_lo, s13
	s_cbranch_execnz .LBB104_1397
.LBB104_1379:
	s_or_b32 exec_lo, exec_lo, s13
	s_and_saveexec_b32 s12, s11
	s_cbranch_execz .LBB104_1381
.LBB104_1380:
	v_and_b32_e32 v9, 0xffff, v7
	v_lshlrev_b32_e32 v7, 24, v7
	s_delay_alu instid0(VALU_DEP_2) | instskip(NEXT) | instid1(VALU_DEP_2)
	v_and_b32_e32 v10, 7, v9
	v_and_b32_e32 v7, 0x80000000, v7
	s_delay_alu instid0(VALU_DEP_2) | instskip(NEXT) | instid1(VALU_DEP_1)
	v_clz_i32_u32_e32 v11, v10
	v_min_u32_e32 v11, 32, v11
	s_delay_alu instid0(VALU_DEP_1) | instskip(SKIP_1) | instid1(VALU_DEP_2)
	v_subrev_nc_u32_e32 v12, 28, v11
	v_sub_nc_u32_e32 v11, 29, v11
	v_lshlrev_b32_e32 v12, v12, v9
	v_bfe_u32 v9, v9, 3, 4
	s_delay_alu instid0(VALU_DEP_2) | instskip(NEXT) | instid1(VALU_DEP_2)
	v_and_b32_e32 v12, 7, v12
	v_cmp_eq_u32_e32 vcc_lo, 0, v9
	s_delay_alu instid0(VALU_DEP_2) | instskip(NEXT) | instid1(VALU_DEP_1)
	v_dual_cndmask_b32 v9, v9, v11 :: v_dual_cndmask_b32 v10, v10, v12
	v_lshl_add_u32 v9, v9, 23, 0x3b800000
	s_delay_alu instid0(VALU_DEP_2) | instskip(NEXT) | instid1(VALU_DEP_1)
	v_lshlrev_b32_e32 v10, 20, v10
	v_or3_b32 v9, v7, v9, v10
.LBB104_1381:
	s_or_b32 exec_lo, exec_lo, s12
	s_delay_alu instid0(VALU_DEP_1) | instskip(SKIP_1) | instid1(VALU_DEP_2)
	v_bfe_u32 v7, v9, 16, 1
	v_cmp_o_f32_e32 vcc_lo, v9, v9
	v_add3_u32 v7, v9, v7, 0x7fff
	s_delay_alu instid0(VALU_DEP_1) | instskip(NEXT) | instid1(VALU_DEP_1)
	v_lshrrev_b32_e32 v7, 16, v7
	v_cndmask_b32_e32 v7, 0x7fc0, v7, vcc_lo
.LBB104_1382:
	s_mov_b32 s11, -1
.LBB104_1383:
	s_mov_b32 s12, 0
.LBB104_1384:
	s_delay_alu instid0(SALU_CYCLE_1)
	s_and_b32 vcc_lo, exec_lo, s12
	s_cbranch_vccz .LBB104_1417
; %bb.1385:
	v_cmp_lt_i16_e32 vcc_lo, 22, v4
	s_cbranch_vccz .LBB104_1395
; %bb.1386:
	v_cmp_gt_i16_e32 vcc_lo, 24, v4
	s_cbranch_vccnz .LBB104_1398
; %bb.1387:
	v_cmp_lt_i16_e32 vcc_lo, 24, v4
	s_cbranch_vccz .LBB104_1399
; %bb.1388:
	global_load_u8 v7, v[0:1], off
	s_mov_b32 s12, exec_lo
                                        ; implicit-def: $sgpr11
	s_waitcnt vmcnt(0)
	v_cmpx_lt_i16_e32 0x7f, v7
	s_xor_b32 s12, exec_lo, s12
	s_cbranch_execz .LBB104_1411
; %bb.1389:
	s_mov_b32 s10, -1
	s_mov_b32 s13, exec_lo
                                        ; implicit-def: $sgpr11
	v_cmpx_eq_u16_e32 0x80, v7
; %bb.1390:
	s_mov_b32 s11, 0x7f800001
	s_xor_b32 s10, exec_lo, -1
; %bb.1391:
	s_or_b32 exec_lo, exec_lo, s13
	s_delay_alu instid0(SALU_CYCLE_1)
	s_and_b32 s10, s10, exec_lo
	s_or_saveexec_b32 s12, s12
	v_mov_b32_e32 v9, s11
	s_xor_b32 exec_lo, exec_lo, s12
	s_cbranch_execnz .LBB104_1412
.LBB104_1392:
	s_or_b32 exec_lo, exec_lo, s12
	s_and_saveexec_b32 s11, s10
	s_cbranch_execz .LBB104_1394
.LBB104_1393:
	v_and_b32_e32 v9, 0xffff, v7
	v_lshlrev_b32_e32 v7, 24, v7
	s_delay_alu instid0(VALU_DEP_2) | instskip(NEXT) | instid1(VALU_DEP_2)
	v_and_b32_e32 v10, 3, v9
	v_and_b32_e32 v7, 0x80000000, v7
	s_delay_alu instid0(VALU_DEP_2) | instskip(NEXT) | instid1(VALU_DEP_1)
	v_clz_i32_u32_e32 v11, v10
	v_min_u32_e32 v11, 32, v11
	s_delay_alu instid0(VALU_DEP_1) | instskip(SKIP_1) | instid1(VALU_DEP_2)
	v_subrev_nc_u32_e32 v12, 29, v11
	v_sub_nc_u32_e32 v11, 30, v11
	v_lshlrev_b32_e32 v12, v12, v9
	v_bfe_u32 v9, v9, 2, 5
	s_delay_alu instid0(VALU_DEP_2) | instskip(NEXT) | instid1(VALU_DEP_2)
	v_and_b32_e32 v12, 3, v12
	v_cmp_eq_u32_e32 vcc_lo, 0, v9
	s_delay_alu instid0(VALU_DEP_2) | instskip(NEXT) | instid1(VALU_DEP_1)
	v_dual_cndmask_b32 v9, v9, v11 :: v_dual_cndmask_b32 v10, v10, v12
	v_lshl_add_u32 v9, v9, 23, 0x37800000
	s_delay_alu instid0(VALU_DEP_2) | instskip(NEXT) | instid1(VALU_DEP_1)
	v_lshlrev_b32_e32 v10, 21, v10
	v_or3_b32 v9, v7, v9, v10
.LBB104_1394:
	s_or_b32 exec_lo, exec_lo, s11
	s_delay_alu instid0(VALU_DEP_1) | instskip(SKIP_2) | instid1(VALU_DEP_2)
	v_bfe_u32 v7, v9, 16, 1
	v_cmp_o_f32_e32 vcc_lo, v9, v9
	s_mov_b32 s10, 0
	v_add3_u32 v7, v9, v7, 0x7fff
	s_delay_alu instid0(VALU_DEP_1) | instskip(NEXT) | instid1(VALU_DEP_1)
	v_lshrrev_b32_e32 v7, 16, v7
	v_cndmask_b32_e32 v7, 0x7fc0, v7, vcc_lo
	s_branch .LBB104_1400
.LBB104_1395:
	s_mov_b32 s10, -1
                                        ; implicit-def: $vgpr7
	s_branch .LBB104_1406
.LBB104_1396:
	s_or_saveexec_b32 s13, s13
	v_mov_b32_e32 v9, s12
	s_xor_b32 exec_lo, exec_lo, s13
	s_cbranch_execz .LBB104_1379
.LBB104_1397:
	v_cmp_ne_u16_e32 vcc_lo, 0, v7
	v_mov_b32_e32 v9, 0
	s_and_not1_b32 s11, s11, exec_lo
	s_and_b32 s12, vcc_lo, exec_lo
	s_delay_alu instid0(SALU_CYCLE_1)
	s_or_b32 s11, s11, s12
	s_or_b32 exec_lo, exec_lo, s13
	s_and_saveexec_b32 s12, s11
	s_cbranch_execnz .LBB104_1380
	s_branch .LBB104_1381
.LBB104_1398:
	s_mov_b32 s10, -1
                                        ; implicit-def: $vgpr7
	s_branch .LBB104_1403
.LBB104_1399:
	s_mov_b32 s10, -1
                                        ; implicit-def: $vgpr7
.LBB104_1400:
	s_delay_alu instid0(SALU_CYCLE_1)
	s_and_b32 vcc_lo, exec_lo, s10
	s_cbranch_vccz .LBB104_1402
; %bb.1401:
	global_load_u8 v7, v[0:1], off
	s_waitcnt vmcnt(0)
	v_lshlrev_b32_e32 v7, 24, v7
	s_delay_alu instid0(VALU_DEP_1) | instskip(NEXT) | instid1(VALU_DEP_1)
	v_and_b32_e32 v9, 0x7f000000, v7
	v_clz_i32_u32_e32 v10, v9
	v_cmp_ne_u32_e32 vcc_lo, 0, v9
	v_add_nc_u32_e32 v12, 0x1000000, v9
	s_delay_alu instid0(VALU_DEP_3) | instskip(NEXT) | instid1(VALU_DEP_1)
	v_min_u32_e32 v10, 32, v10
	v_sub_nc_u32_e64 v10, v10, 4 clamp
	s_delay_alu instid0(VALU_DEP_1) | instskip(SKIP_1) | instid1(VALU_DEP_2)
	v_lshlrev_b32_e32 v11, v10, v9
	v_lshlrev_b32_e32 v10, 23, v10
	v_lshrrev_b32_e32 v11, 4, v11
	s_delay_alu instid0(VALU_DEP_1) | instskip(SKIP_1) | instid1(VALU_DEP_2)
	v_sub_nc_u32_e32 v10, v11, v10
	v_ashrrev_i32_e32 v11, 8, v12
	v_add_nc_u32_e32 v10, 0x3c000000, v10
	s_delay_alu instid0(VALU_DEP_1) | instskip(NEXT) | instid1(VALU_DEP_1)
	v_and_or_b32 v10, 0x7f800000, v11, v10
	v_cndmask_b32_e32 v9, 0, v10, vcc_lo
	s_delay_alu instid0(VALU_DEP_1) | instskip(SKIP_1) | instid1(VALU_DEP_2)
	v_and_or_b32 v7, 0x80000000, v7, v9
	v_bfe_u32 v9, v9, 16, 1
	v_cmp_o_f32_e32 vcc_lo, v7, v7
	s_delay_alu instid0(VALU_DEP_2) | instskip(NEXT) | instid1(VALU_DEP_1)
	v_add3_u32 v9, v7, v9, 0x7fff
	v_lshrrev_b32_e32 v9, 16, v9
	s_delay_alu instid0(VALU_DEP_1)
	v_cndmask_b32_e32 v7, 0x7fc0, v9, vcc_lo
.LBB104_1402:
	s_mov_b32 s10, 0
.LBB104_1403:
	s_delay_alu instid0(SALU_CYCLE_1)
	s_and_not1_b32 vcc_lo, exec_lo, s10
	s_cbranch_vccnz .LBB104_1405
; %bb.1404:
	global_load_u8 v7, v[0:1], off
	s_waitcnt vmcnt(0)
	v_lshlrev_b32_e32 v9, 25, v7
	v_lshlrev_b16 v7, 8, v7
	s_delay_alu instid0(VALU_DEP_2) | instskip(NEXT) | instid1(VALU_DEP_2)
	v_lshrrev_b32_e32 v10, 4, v9
	v_and_or_b32 v11, 0x7f00, v7, 0.5
	v_bfe_i32 v7, v7, 0, 16
	s_delay_alu instid0(VALU_DEP_3) | instskip(NEXT) | instid1(VALU_DEP_1)
	v_or_b32_e32 v10, 0x70000000, v10
	v_dual_add_f32 v11, -0.5, v11 :: v_dual_mul_f32 v10, 0x7800000, v10
	v_cmp_gt_u32_e32 vcc_lo, 0x8000000, v9
	s_delay_alu instid0(VALU_DEP_2) | instskip(NEXT) | instid1(VALU_DEP_1)
	v_cndmask_b32_e32 v9, v10, v11, vcc_lo
	v_and_or_b32 v7, 0x80000000, v7, v9
	v_bfe_u32 v9, v9, 16, 1
	s_delay_alu instid0(VALU_DEP_2) | instskip(NEXT) | instid1(VALU_DEP_2)
	v_cmp_o_f32_e32 vcc_lo, v7, v7
	v_add3_u32 v9, v7, v9, 0x7fff
	s_delay_alu instid0(VALU_DEP_1) | instskip(NEXT) | instid1(VALU_DEP_1)
	v_lshrrev_b32_e32 v9, 16, v9
	v_cndmask_b32_e32 v7, 0x7fc0, v9, vcc_lo
.LBB104_1405:
	s_mov_b32 s10, 0
	s_mov_b32 s11, -1
.LBB104_1406:
	s_and_not1_b32 vcc_lo, exec_lo, s10
	s_mov_b32 s10, 0
	s_cbranch_vccnz .LBB104_1417
; %bb.1407:
	v_cmp_lt_i16_e32 vcc_lo, 14, v4
	s_cbranch_vccz .LBB104_1410
; %bb.1408:
	v_cmp_eq_u16_e32 vcc_lo, 15, v4
	s_cbranch_vccz .LBB104_1413
; %bb.1409:
	global_load_u16 v7, v[0:1], off
	s_mov_b32 s0, 0
	s_mov_b32 s11, -1
	s_branch .LBB104_1415
.LBB104_1410:
	s_mov_b32 s10, -1
	s_branch .LBB104_1414
.LBB104_1411:
	s_or_saveexec_b32 s12, s12
	v_mov_b32_e32 v9, s11
	s_xor_b32 exec_lo, exec_lo, s12
	s_cbranch_execz .LBB104_1392
.LBB104_1412:
	v_cmp_ne_u16_e32 vcc_lo, 0, v7
	v_mov_b32_e32 v9, 0
	s_and_not1_b32 s10, s10, exec_lo
	s_and_b32 s11, vcc_lo, exec_lo
	s_delay_alu instid0(SALU_CYCLE_1)
	s_or_b32 s10, s10, s11
	s_or_b32 exec_lo, exec_lo, s12
	s_and_saveexec_b32 s11, s10
	s_cbranch_execnz .LBB104_1393
	s_branch .LBB104_1394
.LBB104_1413:
	s_mov_b32 s0, -1
.LBB104_1414:
                                        ; implicit-def: $vgpr7
.LBB104_1415:
	s_and_b32 vcc_lo, exec_lo, s10
	s_mov_b32 s10, 0
	s_cbranch_vccz .LBB104_1417
; %bb.1416:
	v_cmp_ne_u16_e64 s0, 11, v4
	s_mov_b32 s10, -1
                                        ; implicit-def: $vgpr7
.LBB104_1417:
	s_delay_alu instid0(VALU_DEP_1)
	s_and_b32 vcc_lo, exec_lo, s0
	s_cbranch_vccnz .LBB104_1433
; %bb.1418:
	s_and_not1_b32 vcc_lo, exec_lo, s10
	s_cbranch_vccnz .LBB104_1420
.LBB104_1419:
	global_load_u8 v7, v[0:1], off
	s_mov_b32 s11, -1
	s_waitcnt vmcnt(0)
	v_cmp_ne_u16_e32 vcc_lo, 0, v7
	v_cndmask_b32_e64 v7, 0, 1.0, vcc_lo
	s_delay_alu instid0(VALU_DEP_1)
	v_lshrrev_b32_e32 v7, 16, v7
.LBB104_1420:
.LBB104_1421:
	s_and_not1_b32 vcc_lo, exec_lo, s11
	s_cbranch_vccnz .LBB104_1986
.LBB104_1422:
	v_add_nc_u32_e32 v0, s3, v8
	v_cmp_gt_i16_e32 vcc_lo, 11, v4
	s_delay_alu instid0(VALU_DEP_2) | instskip(SKIP_1) | instid1(VALU_DEP_1)
	v_ashrrev_i32_e32 v1, 31, v0
	v_add_co_u32 v0, s0, s6, v0
	v_add_co_ci_u32_e64 v1, s0, s7, v1, s0
	s_cbranch_vccnz .LBB104_1429
; %bb.1423:
	v_cmp_lt_i16_e32 vcc_lo, 25, v4
	s_mov_b32 s3, 0
	s_cbranch_vccz .LBB104_1430
; %bb.1424:
	v_cmp_lt_i16_e32 vcc_lo, 28, v4
	s_cbranch_vccz .LBB104_1431
; %bb.1425:
	v_cmp_lt_i16_e32 vcc_lo, 43, v4
	;; [unrolled: 3-line block ×3, first 2 shown]
	s_cbranch_vccz .LBB104_1435
; %bb.1427:
	v_cmp_eq_u16_e32 vcc_lo, 46, v4
	s_mov_b32 s7, 0
	s_cbranch_vccz .LBB104_1438
; %bb.1428:
	global_load_b32 v8, v[0:1], off
	s_mov_b32 s0, 0
	s_mov_b32 s6, -1
	s_branch .LBB104_1440
.LBB104_1429:
	s_mov_b32 s0, -1
	s_mov_b32 s6, 0
                                        ; implicit-def: $vgpr8
	s_branch .LBB104_1506
.LBB104_1430:
	s_mov_b32 s7, -1
	s_mov_b32 s6, 0
	s_mov_b32 s0, 0
                                        ; implicit-def: $vgpr8
	s_branch .LBB104_1469
.LBB104_1431:
	s_mov_b32 s7, -1
	s_mov_b32 s6, 0
	s_mov_b32 s0, 0
                                        ; implicit-def: $vgpr8
	s_branch .LBB104_1450
.LBB104_1432:
	s_mov_b32 s7, -1
	s_mov_b32 s6, 0
	s_mov_b32 s0, 0
                                        ; implicit-def: $vgpr8
	s_branch .LBB104_1445
.LBB104_1433:
	s_cbranch_execnz .LBB104_1436
; %bb.1434:
	s_or_b32 s1, s1, exec_lo
                                        ; implicit-def: $vgpr7
	s_cbranch_execz .LBB104_1419
	s_branch .LBB104_1420
.LBB104_1435:
	s_mov_b32 s7, -1
	s_mov_b32 s6, 0
	s_mov_b32 s0, 0
	s_branch .LBB104_1439
.LBB104_1436:
	s_trap 2
	s_sendmsg_rtn_b32 s0, sendmsg(MSG_RTN_GET_DOORBELL)
	s_mov_b32 ttmp2, m0
	s_waitcnt lgkmcnt(0)
	s_and_b32 s0, s0, 0x3ff
	s_delay_alu instid0(SALU_CYCLE_1) | instskip(NEXT) | instid1(SALU_CYCLE_1)
	s_bitset1_b32 s0, 10
	s_mov_b32 m0, s0
	s_sendmsg sendmsg(MSG_INTERRUPT)
	s_mov_b32 m0, ttmp2
.LBB104_1437:                           ; =>This Inner Loop Header: Depth=1
	s_sethalt 5
	s_branch .LBB104_1437
.LBB104_1438:
	s_mov_b32 s0, -1
	s_mov_b32 s6, 0
.LBB104_1439:
                                        ; implicit-def: $vgpr8
.LBB104_1440:
	s_and_b32 vcc_lo, exec_lo, s7
	s_cbranch_vccz .LBB104_1444
; %bb.1441:
	v_cmp_eq_u16_e32 vcc_lo, 44, v4
	s_cbranch_vccz .LBB104_1443
; %bb.1442:
	global_load_u8 v8, v[0:1], off
	s_mov_b32 s0, 0
	s_mov_b32 s6, -1
	s_waitcnt vmcnt(0)
	v_lshlrev_b32_e32 v9, 23, v8
	v_cmp_ne_u32_e32 vcc_lo, 0xff, v8
	s_delay_alu instid0(VALU_DEP_2) | instskip(SKIP_1) | instid1(VALU_DEP_2)
	v_cndmask_b32_e32 v9, 0x7f800001, v9, vcc_lo
	v_cmp_ne_u32_e32 vcc_lo, 0, v8
	v_cndmask_b32_e32 v8, 0x400000, v9, vcc_lo
	s_delay_alu instid0(VALU_DEP_1) | instskip(SKIP_1) | instid1(VALU_DEP_2)
	v_add_nc_u32_e32 v9, 0x7fff, v8
	v_cmp_o_f32_e32 vcc_lo, v8, v8
	v_lshrrev_b32_e32 v9, 16, v9
	s_delay_alu instid0(VALU_DEP_1)
	v_cndmask_b32_e32 v8, 0x7fc0, v9, vcc_lo
	s_branch .LBB104_1444
.LBB104_1443:
	s_mov_b32 s0, -1
                                        ; implicit-def: $vgpr8
.LBB104_1444:
	s_mov_b32 s7, 0
.LBB104_1445:
	s_delay_alu instid0(SALU_CYCLE_1)
	s_and_b32 vcc_lo, exec_lo, s7
	s_cbranch_vccz .LBB104_1449
; %bb.1446:
	v_cmp_eq_u16_e32 vcc_lo, 29, v4
	s_cbranch_vccz .LBB104_1448
; %bb.1447:
	global_load_b64 v[8:9], v[0:1], off
	s_mov_b32 s0, 0
	s_mov_b32 s6, -1
	s_mov_b32 s7, 0
	s_waitcnt vmcnt(0)
	v_clz_i32_u32_e32 v10, v9
	s_delay_alu instid0(VALU_DEP_1) | instskip(NEXT) | instid1(VALU_DEP_1)
	v_min_u32_e32 v10, 32, v10
	v_lshlrev_b64 v[8:9], v10, v[8:9]
	s_delay_alu instid0(VALU_DEP_1) | instskip(NEXT) | instid1(VALU_DEP_1)
	v_min_u32_e32 v8, 1, v8
	v_or_b32_e32 v8, v9, v8
	v_sub_nc_u32_e32 v9, 32, v10
	s_delay_alu instid0(VALU_DEP_2) | instskip(NEXT) | instid1(VALU_DEP_1)
	v_cvt_f32_u32_e32 v8, v8
	v_ldexp_f32 v8, v8, v9
	s_delay_alu instid0(VALU_DEP_1) | instskip(NEXT) | instid1(VALU_DEP_1)
	v_bfe_u32 v9, v8, 16, 1
	v_add3_u32 v8, v8, v9, 0x7fff
	s_delay_alu instid0(VALU_DEP_1)
	v_lshrrev_b32_e32 v8, 16, v8
	s_branch .LBB104_1450
.LBB104_1448:
	s_mov_b32 s0, -1
                                        ; implicit-def: $vgpr8
.LBB104_1449:
	s_mov_b32 s7, 0
.LBB104_1450:
	s_delay_alu instid0(SALU_CYCLE_1)
	s_and_b32 vcc_lo, exec_lo, s7
	s_cbranch_vccz .LBB104_1468
; %bb.1451:
	v_cmp_gt_i16_e32 vcc_lo, 27, v4
	s_cbranch_vccnz .LBB104_1454
; %bb.1452:
	v_cmp_lt_i16_e32 vcc_lo, 27, v4
	s_cbranch_vccz .LBB104_1455
; %bb.1453:
	global_load_b32 v8, v[0:1], off
	s_mov_b32 s6, 0
	s_waitcnt vmcnt(0)
	v_cvt_f32_u32_e32 v8, v8
	s_delay_alu instid0(VALU_DEP_1) | instskip(NEXT) | instid1(VALU_DEP_1)
	v_bfe_u32 v9, v8, 16, 1
	v_add3_u32 v8, v8, v9, 0x7fff
	s_delay_alu instid0(VALU_DEP_1)
	v_lshrrev_b32_e32 v8, 16, v8
	s_branch .LBB104_1456
.LBB104_1454:
	s_mov_b32 s6, -1
                                        ; implicit-def: $vgpr8
	s_branch .LBB104_1459
.LBB104_1455:
	s_mov_b32 s6, -1
                                        ; implicit-def: $vgpr8
.LBB104_1456:
	s_delay_alu instid0(SALU_CYCLE_1)
	s_and_not1_b32 vcc_lo, exec_lo, s6
	s_cbranch_vccnz .LBB104_1458
; %bb.1457:
	global_load_u16 v8, v[0:1], off
	s_waitcnt vmcnt(0)
	v_cvt_f32_u32_e32 v8, v8
	s_delay_alu instid0(VALU_DEP_1) | instskip(NEXT) | instid1(VALU_DEP_1)
	v_bfe_u32 v9, v8, 16, 1
	v_add3_u32 v8, v8, v9, 0x7fff
	s_delay_alu instid0(VALU_DEP_1)
	v_lshrrev_b32_e32 v8, 16, v8
.LBB104_1458:
	s_mov_b32 s6, 0
.LBB104_1459:
	s_delay_alu instid0(SALU_CYCLE_1)
	s_and_not1_b32 vcc_lo, exec_lo, s6
	s_cbranch_vccnz .LBB104_1467
; %bb.1460:
	global_load_u8 v8, v[0:1], off
	s_mov_b32 s6, 0
	s_mov_b32 s10, exec_lo
                                        ; implicit-def: $sgpr7
	s_waitcnt vmcnt(0)
	v_cmpx_lt_i16_e32 0x7f, v8
	s_xor_b32 s10, exec_lo, s10
	s_cbranch_execz .LBB104_1481
; %bb.1461:
	s_mov_b32 s6, -1
	s_mov_b32 s11, exec_lo
                                        ; implicit-def: $sgpr7
	v_cmpx_eq_u16_e32 0x80, v8
; %bb.1462:
	s_mov_b32 s7, 0x7f800001
	s_xor_b32 s6, exec_lo, -1
; %bb.1463:
	s_or_b32 exec_lo, exec_lo, s11
	s_delay_alu instid0(SALU_CYCLE_1)
	s_and_b32 s6, s6, exec_lo
	s_or_saveexec_b32 s10, s10
	v_mov_b32_e32 v9, s7
	s_xor_b32 exec_lo, exec_lo, s10
	s_cbranch_execnz .LBB104_1482
.LBB104_1464:
	s_or_b32 exec_lo, exec_lo, s10
	s_and_saveexec_b32 s7, s6
	s_cbranch_execz .LBB104_1466
.LBB104_1465:
	v_and_b32_e32 v9, 0xffff, v8
	v_lshlrev_b32_e32 v8, 24, v8
	s_delay_alu instid0(VALU_DEP_2) | instskip(NEXT) | instid1(VALU_DEP_2)
	v_and_b32_e32 v10, 7, v9
	v_and_b32_e32 v8, 0x80000000, v8
	s_delay_alu instid0(VALU_DEP_2) | instskip(NEXT) | instid1(VALU_DEP_1)
	v_clz_i32_u32_e32 v11, v10
	v_min_u32_e32 v11, 32, v11
	s_delay_alu instid0(VALU_DEP_1) | instskip(SKIP_1) | instid1(VALU_DEP_2)
	v_subrev_nc_u32_e32 v12, 28, v11
	v_sub_nc_u32_e32 v11, 29, v11
	v_lshlrev_b32_e32 v12, v12, v9
	v_bfe_u32 v9, v9, 3, 4
	s_delay_alu instid0(VALU_DEP_2) | instskip(NEXT) | instid1(VALU_DEP_2)
	v_and_b32_e32 v12, 7, v12
	v_cmp_eq_u32_e32 vcc_lo, 0, v9
	s_delay_alu instid0(VALU_DEP_2) | instskip(NEXT) | instid1(VALU_DEP_1)
	v_dual_cndmask_b32 v9, v9, v11 :: v_dual_cndmask_b32 v10, v10, v12
	v_lshl_add_u32 v9, v9, 23, 0x3b800000
	s_delay_alu instid0(VALU_DEP_2) | instskip(NEXT) | instid1(VALU_DEP_1)
	v_lshlrev_b32_e32 v10, 20, v10
	v_or3_b32 v9, v8, v9, v10
.LBB104_1466:
	s_or_b32 exec_lo, exec_lo, s7
	s_delay_alu instid0(VALU_DEP_1) | instskip(SKIP_1) | instid1(VALU_DEP_2)
	v_bfe_u32 v8, v9, 16, 1
	v_cmp_o_f32_e32 vcc_lo, v9, v9
	v_add3_u32 v8, v9, v8, 0x7fff
	s_delay_alu instid0(VALU_DEP_1) | instskip(NEXT) | instid1(VALU_DEP_1)
	v_lshrrev_b32_e32 v8, 16, v8
	v_cndmask_b32_e32 v8, 0x7fc0, v8, vcc_lo
.LBB104_1467:
	s_mov_b32 s6, -1
.LBB104_1468:
	s_mov_b32 s7, 0
.LBB104_1469:
	s_delay_alu instid0(SALU_CYCLE_1)
	s_and_b32 vcc_lo, exec_lo, s7
	s_cbranch_vccz .LBB104_1502
; %bb.1470:
	v_cmp_lt_i16_e32 vcc_lo, 22, v4
	s_cbranch_vccz .LBB104_1480
; %bb.1471:
	v_cmp_gt_i16_e32 vcc_lo, 24, v4
	s_cbranch_vccnz .LBB104_1483
; %bb.1472:
	v_cmp_lt_i16_e32 vcc_lo, 24, v4
	s_cbranch_vccz .LBB104_1484
; %bb.1473:
	global_load_u8 v8, v[0:1], off
	s_mov_b32 s7, exec_lo
                                        ; implicit-def: $sgpr6
	s_waitcnt vmcnt(0)
	v_cmpx_lt_i16_e32 0x7f, v8
	s_xor_b32 s7, exec_lo, s7
	s_cbranch_execz .LBB104_1496
; %bb.1474:
	s_mov_b32 s3, -1
	s_mov_b32 s10, exec_lo
                                        ; implicit-def: $sgpr6
	v_cmpx_eq_u16_e32 0x80, v8
; %bb.1475:
	s_mov_b32 s6, 0x7f800001
	s_xor_b32 s3, exec_lo, -1
; %bb.1476:
	s_or_b32 exec_lo, exec_lo, s10
	s_delay_alu instid0(SALU_CYCLE_1)
	s_and_b32 s3, s3, exec_lo
	s_or_saveexec_b32 s7, s7
	v_mov_b32_e32 v9, s6
	s_xor_b32 exec_lo, exec_lo, s7
	s_cbranch_execnz .LBB104_1497
.LBB104_1477:
	s_or_b32 exec_lo, exec_lo, s7
	s_and_saveexec_b32 s6, s3
	s_cbranch_execz .LBB104_1479
.LBB104_1478:
	v_and_b32_e32 v9, 0xffff, v8
	v_lshlrev_b32_e32 v8, 24, v8
	s_delay_alu instid0(VALU_DEP_2) | instskip(NEXT) | instid1(VALU_DEP_2)
	v_and_b32_e32 v10, 3, v9
	v_and_b32_e32 v8, 0x80000000, v8
	s_delay_alu instid0(VALU_DEP_2) | instskip(NEXT) | instid1(VALU_DEP_1)
	v_clz_i32_u32_e32 v11, v10
	v_min_u32_e32 v11, 32, v11
	s_delay_alu instid0(VALU_DEP_1) | instskip(SKIP_1) | instid1(VALU_DEP_2)
	v_subrev_nc_u32_e32 v12, 29, v11
	v_sub_nc_u32_e32 v11, 30, v11
	v_lshlrev_b32_e32 v12, v12, v9
	v_bfe_u32 v9, v9, 2, 5
	s_delay_alu instid0(VALU_DEP_2) | instskip(NEXT) | instid1(VALU_DEP_2)
	v_and_b32_e32 v12, 3, v12
	v_cmp_eq_u32_e32 vcc_lo, 0, v9
	s_delay_alu instid0(VALU_DEP_2) | instskip(NEXT) | instid1(VALU_DEP_1)
	v_dual_cndmask_b32 v9, v9, v11 :: v_dual_cndmask_b32 v10, v10, v12
	v_lshl_add_u32 v9, v9, 23, 0x37800000
	s_delay_alu instid0(VALU_DEP_2) | instskip(NEXT) | instid1(VALU_DEP_1)
	v_lshlrev_b32_e32 v10, 21, v10
	v_or3_b32 v9, v8, v9, v10
.LBB104_1479:
	s_or_b32 exec_lo, exec_lo, s6
	s_delay_alu instid0(VALU_DEP_1) | instskip(SKIP_2) | instid1(VALU_DEP_2)
	v_bfe_u32 v8, v9, 16, 1
	v_cmp_o_f32_e32 vcc_lo, v9, v9
	s_mov_b32 s3, 0
	v_add3_u32 v8, v9, v8, 0x7fff
	s_delay_alu instid0(VALU_DEP_1) | instskip(NEXT) | instid1(VALU_DEP_1)
	v_lshrrev_b32_e32 v8, 16, v8
	v_cndmask_b32_e32 v8, 0x7fc0, v8, vcc_lo
	s_branch .LBB104_1485
.LBB104_1480:
	s_mov_b32 s3, -1
                                        ; implicit-def: $vgpr8
	s_branch .LBB104_1491
.LBB104_1481:
	s_or_saveexec_b32 s10, s10
	v_mov_b32_e32 v9, s7
	s_xor_b32 exec_lo, exec_lo, s10
	s_cbranch_execz .LBB104_1464
.LBB104_1482:
	v_cmp_ne_u16_e32 vcc_lo, 0, v8
	v_mov_b32_e32 v9, 0
	s_and_not1_b32 s6, s6, exec_lo
	s_and_b32 s7, vcc_lo, exec_lo
	s_delay_alu instid0(SALU_CYCLE_1)
	s_or_b32 s6, s6, s7
	s_or_b32 exec_lo, exec_lo, s10
	s_and_saveexec_b32 s7, s6
	s_cbranch_execnz .LBB104_1465
	s_branch .LBB104_1466
.LBB104_1483:
	s_mov_b32 s3, -1
                                        ; implicit-def: $vgpr8
	s_branch .LBB104_1488
.LBB104_1484:
	s_mov_b32 s3, -1
                                        ; implicit-def: $vgpr8
.LBB104_1485:
	s_delay_alu instid0(SALU_CYCLE_1)
	s_and_b32 vcc_lo, exec_lo, s3
	s_cbranch_vccz .LBB104_1487
; %bb.1486:
	global_load_u8 v8, v[0:1], off
	s_waitcnt vmcnt(0)
	v_lshlrev_b32_e32 v8, 24, v8
	s_delay_alu instid0(VALU_DEP_1) | instskip(NEXT) | instid1(VALU_DEP_1)
	v_and_b32_e32 v9, 0x7f000000, v8
	v_clz_i32_u32_e32 v10, v9
	v_add_nc_u32_e32 v12, 0x1000000, v9
	v_cmp_ne_u32_e32 vcc_lo, 0, v9
	s_delay_alu instid0(VALU_DEP_3) | instskip(NEXT) | instid1(VALU_DEP_1)
	v_min_u32_e32 v10, 32, v10
	v_sub_nc_u32_e64 v10, v10, 4 clamp
	s_delay_alu instid0(VALU_DEP_1) | instskip(SKIP_1) | instid1(VALU_DEP_2)
	v_lshlrev_b32_e32 v11, v10, v9
	v_lshlrev_b32_e32 v10, 23, v10
	v_lshrrev_b32_e32 v11, 4, v11
	s_delay_alu instid0(VALU_DEP_1) | instskip(SKIP_1) | instid1(VALU_DEP_2)
	v_sub_nc_u32_e32 v10, v11, v10
	v_ashrrev_i32_e32 v11, 8, v12
	v_add_nc_u32_e32 v10, 0x3c000000, v10
	s_delay_alu instid0(VALU_DEP_1) | instskip(NEXT) | instid1(VALU_DEP_1)
	v_and_or_b32 v10, 0x7f800000, v11, v10
	v_cndmask_b32_e32 v9, 0, v10, vcc_lo
	s_delay_alu instid0(VALU_DEP_1) | instskip(SKIP_1) | instid1(VALU_DEP_2)
	v_and_or_b32 v8, 0x80000000, v8, v9
	v_bfe_u32 v9, v9, 16, 1
	v_cmp_o_f32_e32 vcc_lo, v8, v8
	s_delay_alu instid0(VALU_DEP_2) | instskip(NEXT) | instid1(VALU_DEP_1)
	v_add3_u32 v9, v8, v9, 0x7fff
	v_lshrrev_b32_e32 v9, 16, v9
	s_delay_alu instid0(VALU_DEP_1)
	v_cndmask_b32_e32 v8, 0x7fc0, v9, vcc_lo
.LBB104_1487:
	s_mov_b32 s3, 0
.LBB104_1488:
	s_delay_alu instid0(SALU_CYCLE_1)
	s_and_not1_b32 vcc_lo, exec_lo, s3
	s_cbranch_vccnz .LBB104_1490
; %bb.1489:
	global_load_u8 v8, v[0:1], off
	s_waitcnt vmcnt(0)
	v_lshlrev_b32_e32 v9, 25, v8
	v_lshlrev_b16 v8, 8, v8
	s_delay_alu instid0(VALU_DEP_2) | instskip(NEXT) | instid1(VALU_DEP_2)
	v_lshrrev_b32_e32 v10, 4, v9
	v_and_or_b32 v11, 0x7f00, v8, 0.5
	v_bfe_i32 v8, v8, 0, 16
	s_delay_alu instid0(VALU_DEP_3) | instskip(NEXT) | instid1(VALU_DEP_1)
	v_or_b32_e32 v10, 0x70000000, v10
	v_dual_add_f32 v11, -0.5, v11 :: v_dual_mul_f32 v10, 0x7800000, v10
	v_cmp_gt_u32_e32 vcc_lo, 0x8000000, v9
	s_delay_alu instid0(VALU_DEP_2) | instskip(NEXT) | instid1(VALU_DEP_1)
	v_cndmask_b32_e32 v9, v10, v11, vcc_lo
	v_and_or_b32 v8, 0x80000000, v8, v9
	v_bfe_u32 v9, v9, 16, 1
	s_delay_alu instid0(VALU_DEP_2) | instskip(NEXT) | instid1(VALU_DEP_2)
	v_cmp_o_f32_e32 vcc_lo, v8, v8
	v_add3_u32 v9, v8, v9, 0x7fff
	s_delay_alu instid0(VALU_DEP_1) | instskip(NEXT) | instid1(VALU_DEP_1)
	v_lshrrev_b32_e32 v9, 16, v9
	v_cndmask_b32_e32 v8, 0x7fc0, v9, vcc_lo
.LBB104_1490:
	s_mov_b32 s3, 0
	s_mov_b32 s6, -1
.LBB104_1491:
	s_and_not1_b32 vcc_lo, exec_lo, s3
	s_mov_b32 s3, 0
	s_cbranch_vccnz .LBB104_1502
; %bb.1492:
	v_cmp_lt_i16_e32 vcc_lo, 14, v4
	s_cbranch_vccz .LBB104_1495
; %bb.1493:
	v_cmp_eq_u16_e32 vcc_lo, 15, v4
	s_cbranch_vccz .LBB104_1498
; %bb.1494:
	global_load_u16 v8, v[0:1], off
	s_mov_b32 s0, 0
	s_mov_b32 s6, -1
	s_branch .LBB104_1500
.LBB104_1495:
	s_mov_b32 s3, -1
	s_branch .LBB104_1499
.LBB104_1496:
	s_or_saveexec_b32 s7, s7
	v_mov_b32_e32 v9, s6
	s_xor_b32 exec_lo, exec_lo, s7
	s_cbranch_execz .LBB104_1477
.LBB104_1497:
	v_cmp_ne_u16_e32 vcc_lo, 0, v8
	v_mov_b32_e32 v9, 0
	s_and_not1_b32 s3, s3, exec_lo
	s_and_b32 s6, vcc_lo, exec_lo
	s_delay_alu instid0(SALU_CYCLE_1)
	s_or_b32 s3, s3, s6
	s_or_b32 exec_lo, exec_lo, s7
	s_and_saveexec_b32 s6, s3
	s_cbranch_execnz .LBB104_1478
	s_branch .LBB104_1479
.LBB104_1498:
	s_mov_b32 s0, -1
.LBB104_1499:
                                        ; implicit-def: $vgpr8
.LBB104_1500:
	s_and_b32 vcc_lo, exec_lo, s3
	s_mov_b32 s3, 0
	s_cbranch_vccz .LBB104_1502
; %bb.1501:
	v_cmp_ne_u16_e64 s0, 11, v4
	s_mov_b32 s3, -1
                                        ; implicit-def: $vgpr8
.LBB104_1502:
	s_delay_alu instid0(VALU_DEP_1)
	s_and_b32 vcc_lo, exec_lo, s0
	s_cbranch_vccnz .LBB104_2031
; %bb.1503:
	s_and_not1_b32 vcc_lo, exec_lo, s3
	s_cbranch_vccnz .LBB104_1505
.LBB104_1504:
	global_load_u8 v8, v[0:1], off
	s_mov_b32 s6, -1
	s_waitcnt vmcnt(0)
	v_cmp_ne_u16_e32 vcc_lo, 0, v8
	v_cndmask_b32_e64 v8, 0, 1.0, vcc_lo
	s_delay_alu instid0(VALU_DEP_1)
	v_lshrrev_b32_e32 v8, 16, v8
.LBB104_1505:
	s_mov_b32 s0, 0
.LBB104_1506:
	s_delay_alu instid0(SALU_CYCLE_1)
	s_and_b32 vcc_lo, exec_lo, s0
	s_cbranch_vccz .LBB104_1555
; %bb.1507:
	v_cmp_gt_i16_e32 vcc_lo, 5, v4
	s_cbranch_vccnz .LBB104_1512
; %bb.1508:
	v_cmp_gt_i16_e32 vcc_lo, 8, v4
	s_cbranch_vccnz .LBB104_1513
	;; [unrolled: 3-line block ×3, first 2 shown]
; %bb.1510:
	v_cmp_lt_i16_e32 vcc_lo, 9, v4
	s_cbranch_vccz .LBB104_1515
; %bb.1511:
	global_load_b64 v[8:9], v[0:1], off
	s_mov_b32 s0, 0
	s_waitcnt vmcnt(0)
	v_cvt_f32_f64_e32 v8, v[8:9]
	s_delay_alu instid0(VALU_DEP_1) | instskip(SKIP_1) | instid1(VALU_DEP_2)
	v_bfe_u32 v9, v8, 16, 1
	v_cmp_o_f32_e32 vcc_lo, v8, v8
	v_add3_u32 v9, v8, v9, 0x7fff
	s_delay_alu instid0(VALU_DEP_1) | instskip(NEXT) | instid1(VALU_DEP_1)
	v_lshrrev_b32_e32 v9, 16, v9
	v_cndmask_b32_e32 v8, 0x7fc0, v9, vcc_lo
	s_branch .LBB104_1516
.LBB104_1512:
	s_mov_b32 s0, -1
                                        ; implicit-def: $vgpr8
	s_branch .LBB104_1534
.LBB104_1513:
	s_mov_b32 s0, -1
                                        ; implicit-def: $vgpr8
	s_branch .LBB104_1522
.LBB104_1514:
	s_mov_b32 s0, -1
                                        ; implicit-def: $vgpr8
	s_branch .LBB104_1519
.LBB104_1515:
	s_mov_b32 s0, -1
                                        ; implicit-def: $vgpr8
.LBB104_1516:
	s_delay_alu instid0(SALU_CYCLE_1)
	s_and_not1_b32 vcc_lo, exec_lo, s0
	s_cbranch_vccnz .LBB104_1518
; %bb.1517:
	global_load_b32 v8, v[0:1], off
	s_waitcnt vmcnt(0)
	v_bfe_u32 v9, v8, 16, 1
	v_cmp_o_f32_e32 vcc_lo, v8, v8
	s_delay_alu instid0(VALU_DEP_2) | instskip(NEXT) | instid1(VALU_DEP_1)
	v_add3_u32 v9, v8, v9, 0x7fff
	v_lshrrev_b32_e32 v9, 16, v9
	s_delay_alu instid0(VALU_DEP_1)
	v_cndmask_b32_e32 v8, 0x7fc0, v9, vcc_lo
.LBB104_1518:
	s_mov_b32 s0, 0
.LBB104_1519:
	s_delay_alu instid0(SALU_CYCLE_1)
	s_and_not1_b32 vcc_lo, exec_lo, s0
	s_cbranch_vccnz .LBB104_1521
; %bb.1520:
	global_load_b32 v8, v[0:1], off
	s_waitcnt vmcnt(0)
	v_cvt_f32_f16_e32 v9, v8
	v_cmp_o_f16_e32 vcc_lo, v8, v8
	s_delay_alu instid0(VALU_DEP_2) | instskip(NEXT) | instid1(VALU_DEP_1)
	v_bfe_u32 v10, v9, 16, 1
	v_add3_u32 v9, v9, v10, 0x7fff
	s_delay_alu instid0(VALU_DEP_1) | instskip(NEXT) | instid1(VALU_DEP_1)
	v_lshrrev_b32_e32 v9, 16, v9
	v_cndmask_b32_e32 v8, 0x7fc0, v9, vcc_lo
.LBB104_1521:
	s_mov_b32 s0, 0
.LBB104_1522:
	s_delay_alu instid0(SALU_CYCLE_1)
	s_and_not1_b32 vcc_lo, exec_lo, s0
	s_cbranch_vccnz .LBB104_1533
; %bb.1523:
	v_cmp_gt_i16_e32 vcc_lo, 6, v4
	s_cbranch_vccnz .LBB104_1526
; %bb.1524:
	v_cmp_lt_i16_e32 vcc_lo, 6, v4
	s_cbranch_vccz .LBB104_1527
; %bb.1525:
	global_load_b64 v[8:9], v[0:1], off
	s_mov_b32 s0, 0
	s_waitcnt vmcnt(0)
	v_cvt_f32_f64_e32 v8, v[8:9]
	s_delay_alu instid0(VALU_DEP_1) | instskip(SKIP_1) | instid1(VALU_DEP_2)
	v_bfe_u32 v9, v8, 16, 1
	v_cmp_o_f32_e32 vcc_lo, v8, v8
	v_add3_u32 v9, v8, v9, 0x7fff
	s_delay_alu instid0(VALU_DEP_1) | instskip(NEXT) | instid1(VALU_DEP_1)
	v_lshrrev_b32_e32 v9, 16, v9
	v_cndmask_b32_e32 v8, 0x7fc0, v9, vcc_lo
	s_branch .LBB104_1528
.LBB104_1526:
	s_mov_b32 s0, -1
                                        ; implicit-def: $vgpr8
	s_branch .LBB104_1531
.LBB104_1527:
	s_mov_b32 s0, -1
                                        ; implicit-def: $vgpr8
.LBB104_1528:
	s_delay_alu instid0(SALU_CYCLE_1)
	s_and_not1_b32 vcc_lo, exec_lo, s0
	s_cbranch_vccnz .LBB104_1530
; %bb.1529:
	global_load_b32 v8, v[0:1], off
	s_waitcnt vmcnt(0)
	v_bfe_u32 v9, v8, 16, 1
	v_cmp_o_f32_e32 vcc_lo, v8, v8
	s_delay_alu instid0(VALU_DEP_2) | instskip(NEXT) | instid1(VALU_DEP_1)
	v_add3_u32 v9, v8, v9, 0x7fff
	v_lshrrev_b32_e32 v9, 16, v9
	s_delay_alu instid0(VALU_DEP_1)
	v_cndmask_b32_e32 v8, 0x7fc0, v9, vcc_lo
.LBB104_1530:
	s_mov_b32 s0, 0
.LBB104_1531:
	s_delay_alu instid0(SALU_CYCLE_1)
	s_and_not1_b32 vcc_lo, exec_lo, s0
	s_cbranch_vccnz .LBB104_1533
; %bb.1532:
	global_load_u16 v8, v[0:1], off
	s_waitcnt vmcnt(0)
	v_cvt_f32_f16_e32 v9, v8
	v_cmp_o_f16_e32 vcc_lo, v8, v8
	s_delay_alu instid0(VALU_DEP_2) | instskip(NEXT) | instid1(VALU_DEP_1)
	v_bfe_u32 v10, v9, 16, 1
	v_add3_u32 v9, v9, v10, 0x7fff
	s_delay_alu instid0(VALU_DEP_1) | instskip(NEXT) | instid1(VALU_DEP_1)
	v_lshrrev_b32_e32 v9, 16, v9
	v_cndmask_b32_e32 v8, 0x7fc0, v9, vcc_lo
.LBB104_1533:
	s_mov_b32 s0, 0
.LBB104_1534:
	s_delay_alu instid0(SALU_CYCLE_1)
	s_and_not1_b32 vcc_lo, exec_lo, s0
	s_cbranch_vccnz .LBB104_1554
; %bb.1535:
	v_cmp_gt_i16_e32 vcc_lo, 2, v4
	s_cbranch_vccnz .LBB104_1539
; %bb.1536:
	v_cmp_gt_i16_e32 vcc_lo, 3, v4
	s_cbranch_vccnz .LBB104_1540
; %bb.1537:
	v_cmp_lt_i16_e32 vcc_lo, 3, v4
	s_cbranch_vccz .LBB104_1541
; %bb.1538:
	global_load_b64 v[8:9], v[0:1], off
	s_mov_b32 s0, 0
	s_waitcnt vmcnt(0)
	v_xor_b32_e32 v10, v8, v9
	v_cls_i32_e32 v11, v9
	s_delay_alu instid0(VALU_DEP_2) | instskip(NEXT) | instid1(VALU_DEP_2)
	v_ashrrev_i32_e32 v10, 31, v10
	v_add_nc_u32_e32 v11, -1, v11
	s_delay_alu instid0(VALU_DEP_2) | instskip(NEXT) | instid1(VALU_DEP_1)
	v_add_nc_u32_e32 v10, 32, v10
	v_min_u32_e32 v10, v11, v10
	s_delay_alu instid0(VALU_DEP_1) | instskip(NEXT) | instid1(VALU_DEP_1)
	v_lshlrev_b64 v[8:9], v10, v[8:9]
	v_min_u32_e32 v8, 1, v8
	s_delay_alu instid0(VALU_DEP_1) | instskip(SKIP_1) | instid1(VALU_DEP_2)
	v_or_b32_e32 v8, v9, v8
	v_sub_nc_u32_e32 v9, 32, v10
	v_cvt_f32_i32_e32 v8, v8
	s_delay_alu instid0(VALU_DEP_1) | instskip(NEXT) | instid1(VALU_DEP_1)
	v_ldexp_f32 v8, v8, v9
	v_bfe_u32 v9, v8, 16, 1
	s_delay_alu instid0(VALU_DEP_1) | instskip(NEXT) | instid1(VALU_DEP_1)
	v_add3_u32 v8, v8, v9, 0x7fff
	v_lshrrev_b32_e32 v8, 16, v8
	s_branch .LBB104_1542
.LBB104_1539:
	s_mov_b32 s0, -1
                                        ; implicit-def: $vgpr8
	s_branch .LBB104_1548
.LBB104_1540:
	s_mov_b32 s0, -1
                                        ; implicit-def: $vgpr8
	s_branch .LBB104_1545
.LBB104_1541:
	s_mov_b32 s0, -1
                                        ; implicit-def: $vgpr8
.LBB104_1542:
	s_delay_alu instid0(SALU_CYCLE_1)
	s_and_not1_b32 vcc_lo, exec_lo, s0
	s_cbranch_vccnz .LBB104_1544
; %bb.1543:
	global_load_b32 v8, v[0:1], off
	s_waitcnt vmcnt(0)
	v_cvt_f32_i32_e32 v8, v8
	s_delay_alu instid0(VALU_DEP_1) | instskip(NEXT) | instid1(VALU_DEP_1)
	v_bfe_u32 v9, v8, 16, 1
	v_add3_u32 v8, v8, v9, 0x7fff
	s_delay_alu instid0(VALU_DEP_1)
	v_lshrrev_b32_e32 v8, 16, v8
.LBB104_1544:
	s_mov_b32 s0, 0
.LBB104_1545:
	s_delay_alu instid0(SALU_CYCLE_1)
	s_and_not1_b32 vcc_lo, exec_lo, s0
	s_cbranch_vccnz .LBB104_1547
; %bb.1546:
	global_load_i16 v8, v[0:1], off
	s_waitcnt vmcnt(0)
	v_cvt_f32_i32_e32 v8, v8
	s_delay_alu instid0(VALU_DEP_1) | instskip(NEXT) | instid1(VALU_DEP_1)
	v_bfe_u32 v9, v8, 16, 1
	v_add3_u32 v8, v8, v9, 0x7fff
	s_delay_alu instid0(VALU_DEP_1)
	v_lshrrev_b32_e32 v8, 16, v8
.LBB104_1547:
	s_mov_b32 s0, 0
.LBB104_1548:
	s_delay_alu instid0(SALU_CYCLE_1)
	s_and_not1_b32 vcc_lo, exec_lo, s0
	s_cbranch_vccnz .LBB104_1554
; %bb.1549:
	v_cmp_lt_i16_e32 vcc_lo, 0, v4
	s_mov_b32 s0, 0
	s_cbranch_vccz .LBB104_1551
; %bb.1550:
	global_load_i8 v4, v[0:1], off
	s_waitcnt vmcnt(0)
	v_cvt_f32_i32_e32 v4, v4
	s_delay_alu instid0(VALU_DEP_1) | instskip(NEXT) | instid1(VALU_DEP_1)
	v_bfe_u32 v8, v4, 16, 1
	v_add3_u32 v4, v4, v8, 0x7fff
	s_delay_alu instid0(VALU_DEP_1)
	v_lshrrev_b32_e32 v8, 16, v4
	s_branch .LBB104_1552
.LBB104_1551:
	s_mov_b32 s0, -1
                                        ; implicit-def: $vgpr8
.LBB104_1552:
	s_delay_alu instid0(SALU_CYCLE_1)
	s_and_not1_b32 vcc_lo, exec_lo, s0
	s_cbranch_vccnz .LBB104_1554
; %bb.1553:
	global_load_u8 v0, v[0:1], off
	s_waitcnt vmcnt(0)
	v_cvt_f32_ubyte0_e32 v0, v0
	s_delay_alu instid0(VALU_DEP_1) | instskip(NEXT) | instid1(VALU_DEP_1)
	v_bfe_u32 v1, v0, 16, 1
	v_add3_u32 v0, v0, v1, 0x7fff
	s_delay_alu instid0(VALU_DEP_1)
	v_lshrrev_b32_e32 v8, 16, v0
.LBB104_1554:
	s_mov_b32 s6, -1
.LBB104_1555:
	s_delay_alu instid0(SALU_CYCLE_1)
	s_and_not1_b32 vcc_lo, exec_lo, s6
	s_cbranch_vccnz .LBB104_1986
; %bb.1556:
	s_waitcnt vmcnt(0)
	v_lshlrev_b32_e32 v0, 16, v5
	v_mul_lo_u32 v3, s2, v3
	s_mov_b32 s6, 0
	s_delay_alu instid0(VALU_DEP_2) | instskip(NEXT) | instid1(VALU_DEP_1)
	v_mul_f32_e32 v1, 0x3fb8aa3b, v0
	v_rndne_f32_e32 v4, v1
	v_fma_f32 v5, 0x3fb8aa3b, v0, -v1
	s_delay_alu instid0(VALU_DEP_2) | instskip(NEXT) | instid1(VALU_DEP_2)
	v_sub_f32_e32 v1, v1, v4
	v_fmamk_f32 v5, v0, 0x32a5705f, v5
	v_cvt_i32_f32_e32 v4, v4
	v_cmp_ngt_f32_e32 vcc_lo, 0xc2ce8ed0, v0
	s_delay_alu instid0(VALU_DEP_3) | instskip(SKIP_1) | instid1(VALU_DEP_2)
	v_add_f32_e32 v1, v1, v5
	v_and_b32_e32 v5, 0xff, v2
	v_exp_f32_e32 v1, v1
	s_waitcnt_depctr 0xfff
	v_ldexp_f32 v1, v1, v4
	s_delay_alu instid0(VALU_DEP_1) | instskip(SKIP_1) | instid1(VALU_DEP_2)
	v_cndmask_b32_e32 v1, 0, v1, vcc_lo
	v_cmp_nlt_f32_e32 vcc_lo, 0x42b17218, v0
	v_cndmask_b32_e32 v4, 0x7f800000, v1, vcc_lo
	v_ashrrev_i32_e32 v1, 31, v3
	v_cmp_gt_i16_e32 vcc_lo, 11, v5
	s_delay_alu instid0(VALU_DEP_3) | instskip(SKIP_1) | instid1(VALU_DEP_1)
	v_bfe_u32 v0, v4, 16, 1
	s_and_b32 vcc_lo, exec_lo, vcc_lo
	v_add3_u32 v0, v4, v0, 0x7fff
	s_delay_alu instid0(VALU_DEP_1) | instskip(SKIP_1) | instid1(VALU_DEP_1)
	v_lshrrev_b32_e32 v2, 16, v0
	v_add_co_u32 v0, s0, s4, v3
	v_add_co_ci_u32_e64 v1, s0, s5, v1, s0
	v_cmp_o_f32_e64 s0, v4, v4
	s_delay_alu instid0(VALU_DEP_1)
	v_cndmask_b32_e64 v2, 0x7fc0, v2, s0
	s_mov_b32 s0, -1
	s_cbranch_vccnz .LBB104_1634
; %bb.1557:
	v_cmp_lt_i16_e32 vcc_lo, 25, v5
	s_mov_b32 s7, -1
	s_mov_b32 s3, 0
	s_mov_b32 s0, 0
	s_cbranch_vccz .LBB104_1590
; %bb.1558:
	v_cmp_lt_i16_e32 vcc_lo, 28, v5
	s_cbranch_vccz .LBB104_1573
; %bb.1559:
	v_cmp_lt_i16_e32 vcc_lo, 43, v5
	;; [unrolled: 3-line block ×3, first 2 shown]
	s_cbranch_vccz .LBB104_1563
; %bb.1561:
	v_cmp_eq_u16_e32 vcc_lo, 46, v5
	s_mov_b32 s0, -1
	s_mov_b32 s7, 0
	s_cbranch_vccz .LBB104_1563
; %bb.1562:
	v_and_b32_e32 v4, 0xffff, v2
	s_mov_b32 s0, 0
	s_mov_b32 s6, -1
	global_store_b32 v[0:1], v4, off
.LBB104_1563:
	s_and_b32 vcc_lo, exec_lo, s7
	s_cbranch_vccz .LBB104_1568
; %bb.1564:
	v_cmp_eq_u16_e32 vcc_lo, 44, v5
	s_mov_b32 s0, -1
	s_cbranch_vccz .LBB104_1568
; %bb.1565:
	v_and_b32_e32 v4, 0xffff, v2
	v_mov_b32_e32 v9, 0xff
	s_mov_b32 s6, exec_lo
	s_delay_alu instid0(VALU_DEP_2) | instskip(NEXT) | instid1(VALU_DEP_1)
	v_bfe_u32 v10, v4, 7, 8
	v_cmpx_ne_u32_e32 0xff, v10
; %bb.1566:
	v_lshlrev_b32_e32 v9, 16, v4
	v_and_b32_e32 v11, 64, v4
	v_lshrrev_b32_e32 v4, 7, v4
	s_delay_alu instid0(VALU_DEP_3) | instskip(NEXT) | instid1(VALU_DEP_3)
	v_and_or_b32 v9, 0x3f0000, v9, v10
	v_cmp_ne_u32_e32 vcc_lo, 0, v11
	s_delay_alu instid0(VALU_DEP_2) | instskip(NEXT) | instid1(VALU_DEP_1)
	v_cmp_ne_u32_e64 s0, 0, v9
	s_and_b32 s0, vcc_lo, s0
	s_delay_alu instid0(SALU_CYCLE_1) | instskip(NEXT) | instid1(VALU_DEP_1)
	v_cndmask_b32_e64 v9, 0, 1, s0
	v_add_nc_u32_e32 v9, v4, v9
; %bb.1567:
	s_or_b32 exec_lo, exec_lo, s6
	s_mov_b32 s0, 0
	s_mov_b32 s6, -1
	global_store_b8 v[0:1], v9, off
.LBB104_1568:
	s_mov_b32 s7, 0
.LBB104_1569:
	s_delay_alu instid0(SALU_CYCLE_1)
	s_and_b32 vcc_lo, exec_lo, s7
	s_cbranch_vccz .LBB104_1572
; %bb.1570:
	v_cmp_eq_u16_e32 vcc_lo, 29, v5
	s_mov_b32 s0, -1
	s_cbranch_vccz .LBB104_1572
; %bb.1571:
	v_lshlrev_b32_e32 v4, 16, v2
	s_mov_b32 s0, 0
	s_mov_b32 s6, -1
	s_delay_alu instid0(VALU_DEP_1) | instskip(NEXT) | instid1(VALU_DEP_1)
	v_trunc_f32_e32 v4, v4
	v_mul_f32_e32 v9, 0x2f800000, v4
	s_delay_alu instid0(VALU_DEP_1) | instskip(NEXT) | instid1(VALU_DEP_1)
	v_floor_f32_e32 v9, v9
	v_fmamk_f32 v4, v9, 0xcf800000, v4
	v_cvt_u32_f32_e32 v10, v9
	s_delay_alu instid0(VALU_DEP_2)
	v_cvt_u32_f32_e32 v9, v4
	global_store_b64 v[0:1], v[9:10], off
.LBB104_1572:
	s_mov_b32 s7, 0
.LBB104_1573:
	s_delay_alu instid0(SALU_CYCLE_1)
	s_and_b32 vcc_lo, exec_lo, s7
	s_cbranch_vccz .LBB104_1589
; %bb.1574:
	v_cmp_gt_i16_e32 vcc_lo, 27, v5
	s_mov_b32 s6, -1
	s_cbranch_vccnz .LBB104_1580
; %bb.1575:
	v_cmp_lt_i16_e32 vcc_lo, 27, v5
	s_cbranch_vccz .LBB104_1577
; %bb.1576:
	v_lshlrev_b32_e32 v4, 16, v2
	s_mov_b32 s6, 0
	s_delay_alu instid0(VALU_DEP_1)
	v_cvt_u32_f32_e32 v4, v4
	global_store_b32 v[0:1], v4, off
.LBB104_1577:
	s_and_not1_b32 vcc_lo, exec_lo, s6
	s_cbranch_vccnz .LBB104_1579
; %bb.1578:
	v_lshlrev_b32_e32 v4, 16, v2
	s_delay_alu instid0(VALU_DEP_1)
	v_cvt_u32_f32_e32 v4, v4
	global_store_b16 v[0:1], v4, off
.LBB104_1579:
	s_mov_b32 s6, 0
.LBB104_1580:
	s_delay_alu instid0(SALU_CYCLE_1)
	s_and_not1_b32 vcc_lo, exec_lo, s6
	s_cbranch_vccnz .LBB104_1588
; %bb.1581:
	v_dual_mov_b32 v11, 0x80 :: v_dual_lshlrev_b32 v10, 16, v2
	s_mov_b32 s6, exec_lo
	s_delay_alu instid0(VALU_DEP_1) | instskip(NEXT) | instid1(VALU_DEP_1)
	v_and_b32_e32 v9, 0x7fffffff, v10
	v_cmpx_gt_u32_e32 0x43800000, v9
	s_cbranch_execz .LBB104_1587
; %bb.1582:
	v_and_b32_e32 v4, 0xffff, v2
	v_cmp_lt_u32_e32 vcc_lo, 0x3bffffff, v9
	s_mov_b32 s7, 0
                                        ; implicit-def: $vgpr9
	s_and_saveexec_b32 s10, vcc_lo
	s_delay_alu instid0(SALU_CYCLE_1)
	s_xor_b32 s10, exec_lo, s10
	s_cbranch_execz .LBB104_2033
; %bb.1583:
	v_bfe_u32 v9, v4, 4, 1
	s_mov_b32 s7, exec_lo
	s_delay_alu instid0(VALU_DEP_1) | instskip(NEXT) | instid1(VALU_DEP_1)
	v_add3_u32 v9, v10, v9, 0x487ffff
                                        ; implicit-def: $vgpr10
	v_lshrrev_b32_e32 v9, 20, v9
	s_or_saveexec_b32 s10, s10
                                        ; implicit-def: $sgpr11
	s_delay_alu instid0(SALU_CYCLE_1)
	s_xor_b32 exec_lo, exec_lo, s10
	s_cbranch_execnz .LBB104_2034
.LBB104_1584:
	s_or_b32 exec_lo, exec_lo, s10
	v_mov_b32_e32 v11, s11
	s_and_saveexec_b32 s10, s7
.LBB104_1585:
	v_lshrrev_b32_e32 v4, 8, v4
	s_delay_alu instid0(VALU_DEP_1)
	v_and_or_b32 v11, 0x80, v4, v9
.LBB104_1586:
	s_or_b32 exec_lo, exec_lo, s10
.LBB104_1587:
	s_delay_alu instid0(SALU_CYCLE_1)
	s_or_b32 exec_lo, exec_lo, s6
	global_store_b8 v[0:1], v11, off
.LBB104_1588:
	s_mov_b32 s6, -1
.LBB104_1589:
	s_mov_b32 s7, 0
.LBB104_1590:
	s_delay_alu instid0(SALU_CYCLE_1)
	s_and_b32 vcc_lo, exec_lo, s7
	s_cbranch_vccz .LBB104_1630
; %bb.1591:
	v_cmp_lt_i16_e32 vcc_lo, 22, v5
	s_mov_b32 s3, -1
	s_cbranch_vccz .LBB104_1623
; %bb.1592:
	v_cmp_gt_i16_e32 vcc_lo, 24, v5
	s_cbranch_vccnz .LBB104_1612
; %bb.1593:
	v_cmp_lt_i16_e32 vcc_lo, 24, v5
	s_cbranch_vccz .LBB104_1601
; %bb.1594:
	v_dual_mov_b32 v11, 0x80 :: v_dual_lshlrev_b32 v10, 16, v2
	s_mov_b32 s3, exec_lo
	s_delay_alu instid0(VALU_DEP_1) | instskip(NEXT) | instid1(VALU_DEP_1)
	v_and_b32_e32 v9, 0x7fffffff, v10
	v_cmpx_gt_u32_e32 0x47800000, v9
	s_cbranch_execz .LBB104_1600
; %bb.1595:
	v_and_b32_e32 v4, 0xffff, v2
	v_cmp_lt_u32_e32 vcc_lo, 0x37ffffff, v9
	s_mov_b32 s6, 0
                                        ; implicit-def: $vgpr9
	s_and_saveexec_b32 s7, vcc_lo
	s_delay_alu instid0(SALU_CYCLE_1)
	s_xor_b32 s7, exec_lo, s7
	s_cbranch_execz .LBB104_2039
; %bb.1596:
	v_bfe_u32 v9, v4, 5, 1
	s_mov_b32 s6, exec_lo
	s_delay_alu instid0(VALU_DEP_1) | instskip(NEXT) | instid1(VALU_DEP_1)
	v_add3_u32 v9, v10, v9, 0x88fffff
                                        ; implicit-def: $vgpr10
	v_lshrrev_b32_e32 v9, 21, v9
	s_or_saveexec_b32 s7, s7
                                        ; implicit-def: $sgpr10
	s_delay_alu instid0(SALU_CYCLE_1)
	s_xor_b32 exec_lo, exec_lo, s7
	s_cbranch_execnz .LBB104_2040
.LBB104_1597:
	s_or_b32 exec_lo, exec_lo, s7
	v_mov_b32_e32 v11, s10
	s_and_saveexec_b32 s7, s6
.LBB104_1598:
	v_lshrrev_b32_e32 v4, 8, v4
	s_delay_alu instid0(VALU_DEP_1)
	v_and_or_b32 v11, 0x80, v4, v9
.LBB104_1599:
	s_or_b32 exec_lo, exec_lo, s7
.LBB104_1600:
	s_delay_alu instid0(SALU_CYCLE_1)
	s_or_b32 exec_lo, exec_lo, s3
	s_mov_b32 s3, 0
	global_store_b8 v[0:1], v11, off
.LBB104_1601:
	s_and_b32 vcc_lo, exec_lo, s3
	s_cbranch_vccz .LBB104_1611
; %bb.1602:
	v_lshlrev_b32_e32 v10, 16, v2
	v_and_b32_e32 v4, 0xffff, v2
	s_mov_b32 s3, exec_lo
                                        ; implicit-def: $vgpr9
	s_delay_alu instid0(VALU_DEP_2) | instskip(NEXT) | instid1(VALU_DEP_1)
	v_and_b32_e32 v11, 0x7fffffff, v10
	v_cmpx_gt_u32_e32 0x43f00000, v11
	s_xor_b32 s3, exec_lo, s3
	s_cbranch_execz .LBB104_1608
; %bb.1603:
	s_mov_b32 s6, exec_lo
                                        ; implicit-def: $vgpr9
	v_cmpx_lt_u32_e32 0x3c7fffff, v11
	s_xor_b32 s6, exec_lo, s6
; %bb.1604:
	v_bfe_u32 v9, v4, 4, 1
	s_delay_alu instid0(VALU_DEP_1) | instskip(NEXT) | instid1(VALU_DEP_1)
	v_add3_u32 v9, v10, v9, 0x407ffff
	v_and_b32_e32 v10, 0xff00000, v9
	v_lshrrev_b32_e32 v9, 20, v9
	s_delay_alu instid0(VALU_DEP_2) | instskip(NEXT) | instid1(VALU_DEP_2)
	v_cmp_ne_u32_e32 vcc_lo, 0x7f00000, v10
                                        ; implicit-def: $vgpr10
	v_cndmask_b32_e32 v9, 0x7e, v9, vcc_lo
; %bb.1605:
	s_and_not1_saveexec_b32 s6, s6
; %bb.1606:
	v_add_f32_e64 v9, 0x46800000, |v10|
; %bb.1607:
	s_or_b32 exec_lo, exec_lo, s6
                                        ; implicit-def: $vgpr11
.LBB104_1608:
	s_and_not1_saveexec_b32 s3, s3
; %bb.1609:
	v_mov_b32_e32 v9, 0x7f
	v_cmp_lt_u32_e32 vcc_lo, 0x7f800000, v11
	s_delay_alu instid0(VALU_DEP_2)
	v_cndmask_b32_e32 v9, 0x7e, v9, vcc_lo
; %bb.1610:
	s_or_b32 exec_lo, exec_lo, s3
	v_lshrrev_b32_e32 v4, 8, v4
	s_delay_alu instid0(VALU_DEP_1)
	v_and_or_b32 v4, 0x80, v4, v9
	global_store_b8 v[0:1], v4, off
.LBB104_1611:
	s_mov_b32 s3, 0
.LBB104_1612:
	s_delay_alu instid0(SALU_CYCLE_1)
	s_and_not1_b32 vcc_lo, exec_lo, s3
	s_cbranch_vccnz .LBB104_1622
; %bb.1613:
	v_lshlrev_b32_e32 v10, 16, v2
	v_and_b32_e32 v4, 0xffff, v2
	s_mov_b32 s3, exec_lo
                                        ; implicit-def: $vgpr9
	s_delay_alu instid0(VALU_DEP_2) | instskip(NEXT) | instid1(VALU_DEP_1)
	v_and_b32_e32 v11, 0x7fffffff, v10
	v_cmpx_gt_u32_e32 0x47800000, v11
	s_xor_b32 s3, exec_lo, s3
	s_cbranch_execz .LBB104_1619
; %bb.1614:
	s_mov_b32 s6, exec_lo
                                        ; implicit-def: $vgpr9
	v_cmpx_lt_u32_e32 0x387fffff, v11
	s_xor_b32 s6, exec_lo, s6
; %bb.1615:
	v_bfe_u32 v9, v4, 5, 1
	s_delay_alu instid0(VALU_DEP_1) | instskip(NEXT) | instid1(VALU_DEP_1)
	v_add3_u32 v9, v10, v9, 0x80fffff
                                        ; implicit-def: $vgpr10
	v_lshrrev_b32_e32 v9, 21, v9
; %bb.1616:
	s_and_not1_saveexec_b32 s6, s6
; %bb.1617:
	v_add_f32_e64 v9, 0x43000000, |v10|
; %bb.1618:
	s_or_b32 exec_lo, exec_lo, s6
                                        ; implicit-def: $vgpr11
.LBB104_1619:
	s_and_not1_saveexec_b32 s3, s3
; %bb.1620:
	v_mov_b32_e32 v9, 0x7f
	v_cmp_lt_u32_e32 vcc_lo, 0x7f800000, v11
	s_delay_alu instid0(VALU_DEP_2)
	v_cndmask_b32_e32 v9, 0x7c, v9, vcc_lo
; %bb.1621:
	s_or_b32 exec_lo, exec_lo, s3
	v_lshrrev_b32_e32 v4, 8, v4
	s_delay_alu instid0(VALU_DEP_1)
	v_and_or_b32 v4, 0x80, v4, v9
	global_store_b8 v[0:1], v4, off
.LBB104_1622:
	s_mov_b32 s3, 0
	s_mov_b32 s6, -1
.LBB104_1623:
	s_and_not1_b32 vcc_lo, exec_lo, s3
	s_mov_b32 s3, 0
	s_cbranch_vccnz .LBB104_1630
; %bb.1624:
	v_cmp_lt_i16_e32 vcc_lo, 14, v5
	s_mov_b32 s3, -1
	s_cbranch_vccz .LBB104_1628
; %bb.1625:
	v_cmp_eq_u16_e32 vcc_lo, 15, v5
	s_mov_b32 s0, -1
	s_cbranch_vccz .LBB104_1627
; %bb.1626:
	s_mov_b32 s0, 0
	s_mov_b32 s6, -1
	global_store_b16 v[0:1], v2, off
.LBB104_1627:
	s_mov_b32 s3, 0
.LBB104_1628:
	s_delay_alu instid0(SALU_CYCLE_1)
	s_and_b32 vcc_lo, exec_lo, s3
	s_mov_b32 s3, 0
	s_cbranch_vccz .LBB104_1630
; %bb.1629:
	v_cmp_ne_u16_e64 s0, 11, v5
	s_mov_b32 s3, -1
.LBB104_1630:
	s_delay_alu instid0(VALU_DEP_1)
	s_and_b32 vcc_lo, exec_lo, s0
	s_cbranch_vccnz .LBB104_2037
; %bb.1631:
	s_and_not1_b32 vcc_lo, exec_lo, s3
	s_cbranch_vccnz .LBB104_1633
.LBB104_1632:
	v_and_b32_e32 v4, 0x7fff, v2
	s_mov_b32 s6, -1
	s_delay_alu instid0(VALU_DEP_1)
	v_cmp_ne_u16_e32 vcc_lo, 0, v4
	v_cndmask_b32_e64 v4, 0, 1, vcc_lo
	global_store_b8 v[0:1], v4, off
.LBB104_1633:
	s_mov_b32 s0, 0
.LBB104_1634:
	s_delay_alu instid0(SALU_CYCLE_1)
	s_and_b32 vcc_lo, exec_lo, s0
	s_cbranch_vccz .LBB104_1673
; %bb.1635:
	v_cmp_gt_i16_e32 vcc_lo, 5, v5
	s_mov_b32 s0, -1
	s_cbranch_vccnz .LBB104_1656
; %bb.1636:
	v_cmp_gt_i16_e32 vcc_lo, 8, v5
	s_cbranch_vccnz .LBB104_1646
; %bb.1637:
	v_cmp_gt_i16_e32 vcc_lo, 9, v5
	s_cbranch_vccnz .LBB104_1643
; %bb.1638:
	v_cmp_lt_i16_e32 vcc_lo, 9, v5
	s_cbranch_vccz .LBB104_1640
; %bb.1639:
	v_dual_mov_b32 v11, 0 :: v_dual_lshlrev_b32 v4, 16, v2
	s_mov_b32 s0, 0
	s_delay_alu instid0(VALU_DEP_1) | instskip(NEXT) | instid1(VALU_DEP_2)
	v_cvt_f64_f32_e32 v[9:10], v4
	v_mov_b32_e32 v12, v11
	global_store_b128 v[0:1], v[9:12], off
.LBB104_1640:
	s_and_not1_b32 vcc_lo, exec_lo, s0
	s_cbranch_vccnz .LBB104_1642
; %bb.1641:
	v_dual_mov_b32 v10, 0 :: v_dual_lshlrev_b32 v9, 16, v2
	global_store_b64 v[0:1], v[9:10], off
.LBB104_1642:
	s_mov_b32 s0, 0
.LBB104_1643:
	s_delay_alu instid0(SALU_CYCLE_1)
	s_and_not1_b32 vcc_lo, exec_lo, s0
	s_cbranch_vccnz .LBB104_1645
; %bb.1644:
	v_lshlrev_b32_e32 v4, 16, v2
	s_delay_alu instid0(VALU_DEP_1) | instskip(NEXT) | instid1(VALU_DEP_1)
	v_cvt_f16_f32_e32 v4, v4
	v_and_b32_e32 v4, 0xffff, v4
	global_store_b32 v[0:1], v4, off
.LBB104_1645:
	s_mov_b32 s0, 0
.LBB104_1646:
	s_delay_alu instid0(SALU_CYCLE_1)
	s_and_not1_b32 vcc_lo, exec_lo, s0
	s_cbranch_vccnz .LBB104_1655
; %bb.1647:
	v_cmp_gt_i16_e32 vcc_lo, 6, v5
	s_mov_b32 s0, -1
	s_cbranch_vccnz .LBB104_1653
; %bb.1648:
	v_cmp_lt_i16_e32 vcc_lo, 6, v5
	s_cbranch_vccz .LBB104_1650
; %bb.1649:
	v_lshlrev_b32_e32 v4, 16, v2
	s_mov_b32 s0, 0
	s_delay_alu instid0(VALU_DEP_1)
	v_cvt_f64_f32_e32 v[9:10], v4
	global_store_b64 v[0:1], v[9:10], off
.LBB104_1650:
	s_and_not1_b32 vcc_lo, exec_lo, s0
	s_cbranch_vccnz .LBB104_1652
; %bb.1651:
	v_lshlrev_b32_e32 v4, 16, v2
	global_store_b32 v[0:1], v4, off
.LBB104_1652:
	s_mov_b32 s0, 0
.LBB104_1653:
	s_delay_alu instid0(SALU_CYCLE_1)
	s_and_not1_b32 vcc_lo, exec_lo, s0
	s_cbranch_vccnz .LBB104_1655
; %bb.1654:
	v_lshlrev_b32_e32 v4, 16, v2
	s_delay_alu instid0(VALU_DEP_1)
	v_cvt_f16_f32_e32 v4, v4
	global_store_b16 v[0:1], v4, off
.LBB104_1655:
	s_mov_b32 s0, 0
.LBB104_1656:
	s_delay_alu instid0(SALU_CYCLE_1)
	s_and_not1_b32 vcc_lo, exec_lo, s0
	s_cbranch_vccnz .LBB104_1672
; %bb.1657:
	v_cmp_gt_i16_e32 vcc_lo, 2, v5
	s_mov_b32 s0, -1
	s_cbranch_vccnz .LBB104_1667
; %bb.1658:
	v_cmp_gt_i16_e32 vcc_lo, 3, v5
	s_cbranch_vccnz .LBB104_1664
; %bb.1659:
	v_cmp_lt_i16_e32 vcc_lo, 3, v5
	s_cbranch_vccz .LBB104_1661
; %bb.1660:
	v_lshlrev_b32_e32 v4, 16, v2
	s_mov_b32 s0, 0
	s_delay_alu instid0(VALU_DEP_1) | instskip(NEXT) | instid1(VALU_DEP_1)
	v_trunc_f32_e32 v4, v4
	v_mul_f32_e64 v9, 0x2f800000, |v4|
	s_delay_alu instid0(VALU_DEP_1) | instskip(NEXT) | instid1(VALU_DEP_1)
	v_floor_f32_e32 v9, v9
	v_fma_f32 v10, 0xcf800000, v9, |v4|
	v_ashrrev_i32_e32 v4, 31, v4
	v_cvt_u32_f32_e32 v9, v9
	s_delay_alu instid0(VALU_DEP_3) | instskip(NEXT) | instid1(VALU_DEP_2)
	v_cvt_u32_f32_e32 v10, v10
	v_xor_b32_e32 v11, v9, v4
	s_delay_alu instid0(VALU_DEP_2) | instskip(NEXT) | instid1(VALU_DEP_1)
	v_xor_b32_e32 v10, v10, v4
	v_sub_co_u32 v9, vcc_lo, v10, v4
	s_delay_alu instid0(VALU_DEP_3)
	v_sub_co_ci_u32_e32 v10, vcc_lo, v11, v4, vcc_lo
	global_store_b64 v[0:1], v[9:10], off
.LBB104_1661:
	s_and_not1_b32 vcc_lo, exec_lo, s0
	s_cbranch_vccnz .LBB104_1663
; %bb.1662:
	v_lshlrev_b32_e32 v4, 16, v2
	s_delay_alu instid0(VALU_DEP_1)
	v_cvt_i32_f32_e32 v4, v4
	global_store_b32 v[0:1], v4, off
.LBB104_1663:
	s_mov_b32 s0, 0
.LBB104_1664:
	s_delay_alu instid0(SALU_CYCLE_1)
	s_and_not1_b32 vcc_lo, exec_lo, s0
	s_cbranch_vccnz .LBB104_1666
; %bb.1665:
	v_lshlrev_b32_e32 v4, 16, v2
	s_delay_alu instid0(VALU_DEP_1)
	v_cvt_i32_f32_e32 v4, v4
	global_store_b16 v[0:1], v4, off
.LBB104_1666:
	s_mov_b32 s0, 0
.LBB104_1667:
	s_delay_alu instid0(SALU_CYCLE_1)
	s_and_not1_b32 vcc_lo, exec_lo, s0
	s_cbranch_vccnz .LBB104_1672
; %bb.1668:
	v_cmp_lt_i16_e32 vcc_lo, 0, v5
	s_mov_b32 s0, -1
	s_cbranch_vccz .LBB104_1670
; %bb.1669:
	v_lshlrev_b32_e32 v4, 16, v2
	s_mov_b32 s0, 0
	s_delay_alu instid0(VALU_DEP_1)
	v_cvt_i32_f32_e32 v4, v4
	global_store_b8 v[0:1], v4, off
.LBB104_1670:
	s_and_not1_b32 vcc_lo, exec_lo, s0
	s_cbranch_vccnz .LBB104_1672
; %bb.1671:
	v_lshlrev_b32_e32 v2, 16, v2
	s_delay_alu instid0(VALU_DEP_1) | instskip(NEXT) | instid1(VALU_DEP_1)
	v_trunc_f32_e32 v2, v2
	v_mul_f32_e64 v4, 0x2f800000, |v2|
	s_delay_alu instid0(VALU_DEP_1) | instskip(NEXT) | instid1(VALU_DEP_1)
	v_floor_f32_e32 v4, v4
	v_fma_f32 v4, 0xcf800000, v4, |v2|
	v_ashrrev_i32_e32 v2, 31, v2
	s_delay_alu instid0(VALU_DEP_2) | instskip(NEXT) | instid1(VALU_DEP_1)
	v_cvt_u32_f32_e32 v4, v4
	v_xor_b32_e32 v4, v4, v2
	s_delay_alu instid0(VALU_DEP_1)
	v_sub_nc_u32_e32 v2, v4, v2
	global_store_b8 v[0:1], v2, off
.LBB104_1672:
	s_mov_b32 s6, -1
.LBB104_1673:
	s_delay_alu instid0(SALU_CYCLE_1)
	s_and_not1_b32 vcc_lo, exec_lo, s6
	s_cbranch_vccnz .LBB104_1986
; %bb.1674:
	v_lshlrev_b32_e32 v0, 16, v6
	s_lshl_b32 s2, s2, 7
	s_mov_b32 s6, 0
	s_delay_alu instid0(VALU_DEP_1) | instskip(NEXT) | instid1(VALU_DEP_1)
	v_mul_f32_e32 v1, 0x3fb8aa3b, v0
	v_rndne_f32_e32 v2, v1
	v_fma_f32 v4, 0x3fb8aa3b, v0, -v1
	s_delay_alu instid0(VALU_DEP_1) | instskip(SKIP_1) | instid1(VALU_DEP_2)
	v_dual_sub_f32 v1, v1, v2 :: v_dual_fmamk_f32 v4, v0, 0x32a5705f, v4
	v_cvt_i32_f32_e32 v2, v2
	v_add_f32_e32 v1, v1, v4
	v_cmp_ngt_f32_e32 vcc_lo, 0xc2ce8ed0, v0
	s_delay_alu instid0(VALU_DEP_2) | instskip(SKIP_2) | instid1(VALU_DEP_1)
	v_exp_f32_e32 v1, v1
	s_waitcnt_depctr 0xfff
	v_ldexp_f32 v1, v1, v2
	v_dual_cndmask_b32 v1, 0, v1 :: v_dual_add_nc_u32 v2, s2, v3
	v_cmp_nlt_f32_e32 vcc_lo, 0x42b17218, v0
	s_delay_alu instid0(VALU_DEP_2) | instskip(NEXT) | instid1(VALU_DEP_3)
	v_cndmask_b32_e32 v4, 0x7f800000, v1, vcc_lo
	v_ashrrev_i32_e32 v1, 31, v2
	v_cmp_gt_i16_e32 vcc_lo, 11, v5
	s_delay_alu instid0(VALU_DEP_3) | instskip(SKIP_1) | instid1(VALU_DEP_1)
	v_bfe_u32 v0, v4, 16, 1
	s_and_b32 vcc_lo, exec_lo, vcc_lo
	v_add3_u32 v0, v4, v0, 0x7fff
	s_delay_alu instid0(VALU_DEP_1) | instskip(SKIP_1) | instid1(VALU_DEP_1)
	v_lshrrev_b32_e32 v3, 16, v0
	v_add_co_u32 v0, s0, s4, v2
	v_add_co_ci_u32_e64 v1, s0, s5, v1, s0
	v_cmp_o_f32_e64 s0, v4, v4
	s_delay_alu instid0(VALU_DEP_1)
	v_cndmask_b32_e64 v3, 0x7fc0, v3, s0
	s_mov_b32 s0, -1
	s_cbranch_vccnz .LBB104_1752
; %bb.1675:
	v_cmp_lt_i16_e32 vcc_lo, 25, v5
	s_mov_b32 s7, -1
	s_mov_b32 s3, 0
	s_mov_b32 s0, 0
	s_cbranch_vccz .LBB104_1708
; %bb.1676:
	v_cmp_lt_i16_e32 vcc_lo, 28, v5
	s_cbranch_vccz .LBB104_1691
; %bb.1677:
	v_cmp_lt_i16_e32 vcc_lo, 43, v5
	;; [unrolled: 3-line block ×3, first 2 shown]
	s_cbranch_vccz .LBB104_1681
; %bb.1679:
	v_cmp_eq_u16_e32 vcc_lo, 46, v5
	s_mov_b32 s0, -1
	s_mov_b32 s7, 0
	s_cbranch_vccz .LBB104_1681
; %bb.1680:
	v_and_b32_e32 v4, 0xffff, v3
	s_mov_b32 s0, 0
	s_mov_b32 s6, -1
	global_store_b32 v[0:1], v4, off
.LBB104_1681:
	s_and_b32 vcc_lo, exec_lo, s7
	s_cbranch_vccz .LBB104_1686
; %bb.1682:
	v_cmp_eq_u16_e32 vcc_lo, 44, v5
	s_mov_b32 s0, -1
	s_cbranch_vccz .LBB104_1686
; %bb.1683:
	v_and_b32_e32 v4, 0xffff, v3
	v_mov_b32_e32 v6, 0xff
	s_mov_b32 s6, exec_lo
	s_delay_alu instid0(VALU_DEP_2) | instskip(NEXT) | instid1(VALU_DEP_1)
	v_bfe_u32 v9, v4, 7, 8
	v_cmpx_ne_u32_e32 0xff, v9
; %bb.1684:
	v_lshlrev_b32_e32 v6, 16, v4
	v_and_b32_e32 v10, 64, v4
	v_lshrrev_b32_e32 v4, 7, v4
	s_delay_alu instid0(VALU_DEP_3) | instskip(NEXT) | instid1(VALU_DEP_3)
	v_and_or_b32 v6, 0x3f0000, v6, v9
	v_cmp_ne_u32_e32 vcc_lo, 0, v10
	s_delay_alu instid0(VALU_DEP_2) | instskip(NEXT) | instid1(VALU_DEP_1)
	v_cmp_ne_u32_e64 s0, 0, v6
	s_and_b32 s0, vcc_lo, s0
	s_delay_alu instid0(SALU_CYCLE_1) | instskip(NEXT) | instid1(VALU_DEP_1)
	v_cndmask_b32_e64 v6, 0, 1, s0
	v_add_nc_u32_e32 v6, v4, v6
; %bb.1685:
	s_or_b32 exec_lo, exec_lo, s6
	s_mov_b32 s0, 0
	s_mov_b32 s6, -1
	global_store_b8 v[0:1], v6, off
.LBB104_1686:
	s_mov_b32 s7, 0
.LBB104_1687:
	s_delay_alu instid0(SALU_CYCLE_1)
	s_and_b32 vcc_lo, exec_lo, s7
	s_cbranch_vccz .LBB104_1690
; %bb.1688:
	v_cmp_eq_u16_e32 vcc_lo, 29, v5
	s_mov_b32 s0, -1
	s_cbranch_vccz .LBB104_1690
; %bb.1689:
	v_lshlrev_b32_e32 v4, 16, v3
	s_mov_b32 s0, 0
	s_mov_b32 s6, -1
	s_delay_alu instid0(VALU_DEP_1) | instskip(NEXT) | instid1(VALU_DEP_1)
	v_trunc_f32_e32 v4, v4
	v_mul_f32_e32 v6, 0x2f800000, v4
	s_delay_alu instid0(VALU_DEP_1) | instskip(NEXT) | instid1(VALU_DEP_1)
	v_floor_f32_e32 v6, v6
	v_fmamk_f32 v4, v6, 0xcf800000, v4
	v_cvt_u32_f32_e32 v10, v6
	s_delay_alu instid0(VALU_DEP_2)
	v_cvt_u32_f32_e32 v9, v4
	global_store_b64 v[0:1], v[9:10], off
.LBB104_1690:
	s_mov_b32 s7, 0
.LBB104_1691:
	s_delay_alu instid0(SALU_CYCLE_1)
	s_and_b32 vcc_lo, exec_lo, s7
	s_cbranch_vccz .LBB104_1707
; %bb.1692:
	v_cmp_gt_i16_e32 vcc_lo, 27, v5
	s_mov_b32 s6, -1
	s_cbranch_vccnz .LBB104_1698
; %bb.1693:
	v_cmp_lt_i16_e32 vcc_lo, 27, v5
	s_cbranch_vccz .LBB104_1695
; %bb.1694:
	v_lshlrev_b32_e32 v4, 16, v3
	s_mov_b32 s6, 0
	s_delay_alu instid0(VALU_DEP_1)
	v_cvt_u32_f32_e32 v4, v4
	global_store_b32 v[0:1], v4, off
.LBB104_1695:
	s_and_not1_b32 vcc_lo, exec_lo, s6
	s_cbranch_vccnz .LBB104_1697
; %bb.1696:
	v_lshlrev_b32_e32 v4, 16, v3
	s_delay_alu instid0(VALU_DEP_1)
	v_cvt_u32_f32_e32 v4, v4
	global_store_b16 v[0:1], v4, off
.LBB104_1697:
	s_mov_b32 s6, 0
.LBB104_1698:
	s_delay_alu instid0(SALU_CYCLE_1)
	s_and_not1_b32 vcc_lo, exec_lo, s6
	s_cbranch_vccnz .LBB104_1706
; %bb.1699:
	v_dual_mov_b32 v10, 0x80 :: v_dual_lshlrev_b32 v9, 16, v3
	s_mov_b32 s6, exec_lo
	s_delay_alu instid0(VALU_DEP_1) | instskip(NEXT) | instid1(VALU_DEP_1)
	v_and_b32_e32 v6, 0x7fffffff, v9
	v_cmpx_gt_u32_e32 0x43800000, v6
	s_cbranch_execz .LBB104_1705
; %bb.1700:
	v_and_b32_e32 v4, 0xffff, v3
	v_cmp_lt_u32_e32 vcc_lo, 0x3bffffff, v6
	s_mov_b32 s7, 0
                                        ; implicit-def: $vgpr6
	s_and_saveexec_b32 s10, vcc_lo
	s_delay_alu instid0(SALU_CYCLE_1)
	s_xor_b32 s10, exec_lo, s10
	s_cbranch_execz .LBB104_2041
; %bb.1701:
	v_bfe_u32 v6, v4, 4, 1
	s_mov_b32 s7, exec_lo
	s_delay_alu instid0(VALU_DEP_1) | instskip(NEXT) | instid1(VALU_DEP_1)
	v_add3_u32 v6, v9, v6, 0x487ffff
                                        ; implicit-def: $vgpr9
	v_lshrrev_b32_e32 v6, 20, v6
	s_or_saveexec_b32 s10, s10
                                        ; implicit-def: $sgpr11
	s_delay_alu instid0(SALU_CYCLE_1)
	s_xor_b32 exec_lo, exec_lo, s10
	s_cbranch_execnz .LBB104_2042
.LBB104_1702:
	s_or_b32 exec_lo, exec_lo, s10
	v_mov_b32_e32 v10, s11
	s_and_saveexec_b32 s10, s7
.LBB104_1703:
	v_lshrrev_b32_e32 v4, 8, v4
	s_delay_alu instid0(VALU_DEP_1)
	v_and_or_b32 v10, 0x80, v4, v6
.LBB104_1704:
	s_or_b32 exec_lo, exec_lo, s10
.LBB104_1705:
	s_delay_alu instid0(SALU_CYCLE_1)
	s_or_b32 exec_lo, exec_lo, s6
	global_store_b8 v[0:1], v10, off
.LBB104_1706:
	s_mov_b32 s6, -1
.LBB104_1707:
	s_mov_b32 s7, 0
.LBB104_1708:
	s_delay_alu instid0(SALU_CYCLE_1)
	s_and_b32 vcc_lo, exec_lo, s7
	s_cbranch_vccz .LBB104_1748
; %bb.1709:
	v_cmp_lt_i16_e32 vcc_lo, 22, v5
	s_mov_b32 s3, -1
	s_cbranch_vccz .LBB104_1741
; %bb.1710:
	v_cmp_gt_i16_e32 vcc_lo, 24, v5
	s_cbranch_vccnz .LBB104_1730
; %bb.1711:
	v_cmp_lt_i16_e32 vcc_lo, 24, v5
	s_cbranch_vccz .LBB104_1719
; %bb.1712:
	v_dual_mov_b32 v10, 0x80 :: v_dual_lshlrev_b32 v9, 16, v3
	s_mov_b32 s3, exec_lo
	s_delay_alu instid0(VALU_DEP_1) | instskip(NEXT) | instid1(VALU_DEP_1)
	v_and_b32_e32 v6, 0x7fffffff, v9
	v_cmpx_gt_u32_e32 0x47800000, v6
	s_cbranch_execz .LBB104_1718
; %bb.1713:
	v_and_b32_e32 v4, 0xffff, v3
	v_cmp_lt_u32_e32 vcc_lo, 0x37ffffff, v6
	s_mov_b32 s6, 0
                                        ; implicit-def: $vgpr6
	s_and_saveexec_b32 s7, vcc_lo
	s_delay_alu instid0(SALU_CYCLE_1)
	s_xor_b32 s7, exec_lo, s7
	s_cbranch_execz .LBB104_2047
; %bb.1714:
	v_bfe_u32 v6, v4, 5, 1
	s_mov_b32 s6, exec_lo
	s_delay_alu instid0(VALU_DEP_1) | instskip(NEXT) | instid1(VALU_DEP_1)
	v_add3_u32 v6, v9, v6, 0x88fffff
                                        ; implicit-def: $vgpr9
	v_lshrrev_b32_e32 v6, 21, v6
	s_or_saveexec_b32 s7, s7
                                        ; implicit-def: $sgpr10
	s_delay_alu instid0(SALU_CYCLE_1)
	s_xor_b32 exec_lo, exec_lo, s7
	s_cbranch_execnz .LBB104_2048
.LBB104_1715:
	s_or_b32 exec_lo, exec_lo, s7
	v_mov_b32_e32 v10, s10
	s_and_saveexec_b32 s7, s6
.LBB104_1716:
	v_lshrrev_b32_e32 v4, 8, v4
	s_delay_alu instid0(VALU_DEP_1)
	v_and_or_b32 v10, 0x80, v4, v6
.LBB104_1717:
	s_or_b32 exec_lo, exec_lo, s7
.LBB104_1718:
	s_delay_alu instid0(SALU_CYCLE_1)
	s_or_b32 exec_lo, exec_lo, s3
	s_mov_b32 s3, 0
	global_store_b8 v[0:1], v10, off
.LBB104_1719:
	s_and_b32 vcc_lo, exec_lo, s3
	s_cbranch_vccz .LBB104_1729
; %bb.1720:
	v_lshlrev_b32_e32 v9, 16, v3
	v_and_b32_e32 v4, 0xffff, v3
	s_mov_b32 s3, exec_lo
                                        ; implicit-def: $vgpr6
	s_delay_alu instid0(VALU_DEP_2) | instskip(NEXT) | instid1(VALU_DEP_1)
	v_and_b32_e32 v10, 0x7fffffff, v9
	v_cmpx_gt_u32_e32 0x43f00000, v10
	s_xor_b32 s3, exec_lo, s3
	s_cbranch_execz .LBB104_1726
; %bb.1721:
	s_mov_b32 s6, exec_lo
                                        ; implicit-def: $vgpr6
	v_cmpx_lt_u32_e32 0x3c7fffff, v10
	s_xor_b32 s6, exec_lo, s6
; %bb.1722:
	v_bfe_u32 v6, v4, 4, 1
	s_delay_alu instid0(VALU_DEP_1) | instskip(NEXT) | instid1(VALU_DEP_1)
	v_add3_u32 v6, v9, v6, 0x407ffff
	v_and_b32_e32 v9, 0xff00000, v6
	v_lshrrev_b32_e32 v6, 20, v6
	s_delay_alu instid0(VALU_DEP_2) | instskip(NEXT) | instid1(VALU_DEP_2)
	v_cmp_ne_u32_e32 vcc_lo, 0x7f00000, v9
                                        ; implicit-def: $vgpr9
	v_cndmask_b32_e32 v6, 0x7e, v6, vcc_lo
; %bb.1723:
	s_and_not1_saveexec_b32 s6, s6
; %bb.1724:
	v_add_f32_e64 v6, 0x46800000, |v9|
; %bb.1725:
	s_or_b32 exec_lo, exec_lo, s6
                                        ; implicit-def: $vgpr10
.LBB104_1726:
	s_and_not1_saveexec_b32 s3, s3
; %bb.1727:
	v_mov_b32_e32 v6, 0x7f
	v_cmp_lt_u32_e32 vcc_lo, 0x7f800000, v10
	s_delay_alu instid0(VALU_DEP_2)
	v_cndmask_b32_e32 v6, 0x7e, v6, vcc_lo
; %bb.1728:
	s_or_b32 exec_lo, exec_lo, s3
	v_lshrrev_b32_e32 v4, 8, v4
	s_delay_alu instid0(VALU_DEP_1)
	v_and_or_b32 v4, 0x80, v4, v6
	global_store_b8 v[0:1], v4, off
.LBB104_1729:
	s_mov_b32 s3, 0
.LBB104_1730:
	s_delay_alu instid0(SALU_CYCLE_1)
	s_and_not1_b32 vcc_lo, exec_lo, s3
	s_cbranch_vccnz .LBB104_1740
; %bb.1731:
	v_lshlrev_b32_e32 v9, 16, v3
	v_and_b32_e32 v4, 0xffff, v3
	s_mov_b32 s3, exec_lo
                                        ; implicit-def: $vgpr6
	s_delay_alu instid0(VALU_DEP_2) | instskip(NEXT) | instid1(VALU_DEP_1)
	v_and_b32_e32 v10, 0x7fffffff, v9
	v_cmpx_gt_u32_e32 0x47800000, v10
	s_xor_b32 s3, exec_lo, s3
	s_cbranch_execz .LBB104_1737
; %bb.1732:
	s_mov_b32 s6, exec_lo
                                        ; implicit-def: $vgpr6
	v_cmpx_lt_u32_e32 0x387fffff, v10
	s_xor_b32 s6, exec_lo, s6
; %bb.1733:
	v_bfe_u32 v6, v4, 5, 1
	s_delay_alu instid0(VALU_DEP_1) | instskip(NEXT) | instid1(VALU_DEP_1)
	v_add3_u32 v6, v9, v6, 0x80fffff
                                        ; implicit-def: $vgpr9
	v_lshrrev_b32_e32 v6, 21, v6
; %bb.1734:
	s_and_not1_saveexec_b32 s6, s6
; %bb.1735:
	v_add_f32_e64 v6, 0x43000000, |v9|
; %bb.1736:
	s_or_b32 exec_lo, exec_lo, s6
                                        ; implicit-def: $vgpr10
.LBB104_1737:
	s_and_not1_saveexec_b32 s3, s3
; %bb.1738:
	v_mov_b32_e32 v6, 0x7f
	v_cmp_lt_u32_e32 vcc_lo, 0x7f800000, v10
	s_delay_alu instid0(VALU_DEP_2)
	v_cndmask_b32_e32 v6, 0x7c, v6, vcc_lo
; %bb.1739:
	s_or_b32 exec_lo, exec_lo, s3
	v_lshrrev_b32_e32 v4, 8, v4
	s_delay_alu instid0(VALU_DEP_1)
	v_and_or_b32 v4, 0x80, v4, v6
	global_store_b8 v[0:1], v4, off
.LBB104_1740:
	s_mov_b32 s3, 0
	s_mov_b32 s6, -1
.LBB104_1741:
	s_and_not1_b32 vcc_lo, exec_lo, s3
	s_mov_b32 s3, 0
	s_cbranch_vccnz .LBB104_1748
; %bb.1742:
	v_cmp_lt_i16_e32 vcc_lo, 14, v5
	s_mov_b32 s3, -1
	s_cbranch_vccz .LBB104_1746
; %bb.1743:
	v_cmp_eq_u16_e32 vcc_lo, 15, v5
	s_mov_b32 s0, -1
	s_cbranch_vccz .LBB104_1745
; %bb.1744:
	s_mov_b32 s0, 0
	s_mov_b32 s6, -1
	global_store_b16 v[0:1], v3, off
.LBB104_1745:
	s_mov_b32 s3, 0
.LBB104_1746:
	s_delay_alu instid0(SALU_CYCLE_1)
	s_and_b32 vcc_lo, exec_lo, s3
	s_mov_b32 s3, 0
	s_cbranch_vccz .LBB104_1748
; %bb.1747:
	v_cmp_ne_u16_e64 s0, 11, v5
	s_mov_b32 s3, -1
.LBB104_1748:
	s_delay_alu instid0(VALU_DEP_1)
	s_and_b32 vcc_lo, exec_lo, s0
	s_cbranch_vccnz .LBB104_2045
; %bb.1749:
	s_and_not1_b32 vcc_lo, exec_lo, s3
	s_cbranch_vccnz .LBB104_1751
.LBB104_1750:
	v_and_b32_e32 v4, 0x7fff, v3
	s_mov_b32 s6, -1
	s_delay_alu instid0(VALU_DEP_1)
	v_cmp_ne_u16_e32 vcc_lo, 0, v4
	v_cndmask_b32_e64 v4, 0, 1, vcc_lo
	global_store_b8 v[0:1], v4, off
.LBB104_1751:
	s_mov_b32 s0, 0
.LBB104_1752:
	s_delay_alu instid0(SALU_CYCLE_1)
	s_and_b32 vcc_lo, exec_lo, s0
	s_cbranch_vccz .LBB104_1791
; %bb.1753:
	v_cmp_gt_i16_e32 vcc_lo, 5, v5
	s_mov_b32 s0, -1
	s_cbranch_vccnz .LBB104_1774
; %bb.1754:
	v_cmp_gt_i16_e32 vcc_lo, 8, v5
	s_cbranch_vccnz .LBB104_1764
; %bb.1755:
	v_cmp_gt_i16_e32 vcc_lo, 9, v5
	s_cbranch_vccnz .LBB104_1761
; %bb.1756:
	v_cmp_lt_i16_e32 vcc_lo, 9, v5
	s_cbranch_vccz .LBB104_1758
; %bb.1757:
	v_dual_mov_b32 v11, 0 :: v_dual_lshlrev_b32 v4, 16, v3
	s_mov_b32 s0, 0
	s_delay_alu instid0(VALU_DEP_1) | instskip(NEXT) | instid1(VALU_DEP_2)
	v_cvt_f64_f32_e32 v[9:10], v4
	v_mov_b32_e32 v12, v11
	global_store_b128 v[0:1], v[9:12], off
.LBB104_1758:
	s_and_not1_b32 vcc_lo, exec_lo, s0
	s_cbranch_vccnz .LBB104_1760
; %bb.1759:
	v_dual_mov_b32 v10, 0 :: v_dual_lshlrev_b32 v9, 16, v3
	global_store_b64 v[0:1], v[9:10], off
.LBB104_1760:
	s_mov_b32 s0, 0
.LBB104_1761:
	s_delay_alu instid0(SALU_CYCLE_1)
	s_and_not1_b32 vcc_lo, exec_lo, s0
	s_cbranch_vccnz .LBB104_1763
; %bb.1762:
	v_lshlrev_b32_e32 v4, 16, v3
	s_delay_alu instid0(VALU_DEP_1) | instskip(NEXT) | instid1(VALU_DEP_1)
	v_cvt_f16_f32_e32 v4, v4
	v_and_b32_e32 v4, 0xffff, v4
	global_store_b32 v[0:1], v4, off
.LBB104_1763:
	s_mov_b32 s0, 0
.LBB104_1764:
	s_delay_alu instid0(SALU_CYCLE_1)
	s_and_not1_b32 vcc_lo, exec_lo, s0
	s_cbranch_vccnz .LBB104_1773
; %bb.1765:
	v_cmp_gt_i16_e32 vcc_lo, 6, v5
	s_mov_b32 s0, -1
	s_cbranch_vccnz .LBB104_1771
; %bb.1766:
	v_cmp_lt_i16_e32 vcc_lo, 6, v5
	s_cbranch_vccz .LBB104_1768
; %bb.1767:
	v_lshlrev_b32_e32 v4, 16, v3
	s_mov_b32 s0, 0
	s_delay_alu instid0(VALU_DEP_1)
	v_cvt_f64_f32_e32 v[9:10], v4
	global_store_b64 v[0:1], v[9:10], off
.LBB104_1768:
	s_and_not1_b32 vcc_lo, exec_lo, s0
	s_cbranch_vccnz .LBB104_1770
; %bb.1769:
	v_lshlrev_b32_e32 v4, 16, v3
	global_store_b32 v[0:1], v4, off
.LBB104_1770:
	s_mov_b32 s0, 0
.LBB104_1771:
	s_delay_alu instid0(SALU_CYCLE_1)
	s_and_not1_b32 vcc_lo, exec_lo, s0
	s_cbranch_vccnz .LBB104_1773
; %bb.1772:
	v_lshlrev_b32_e32 v4, 16, v3
	s_delay_alu instid0(VALU_DEP_1)
	v_cvt_f16_f32_e32 v4, v4
	global_store_b16 v[0:1], v4, off
.LBB104_1773:
	s_mov_b32 s0, 0
.LBB104_1774:
	s_delay_alu instid0(SALU_CYCLE_1)
	s_and_not1_b32 vcc_lo, exec_lo, s0
	s_cbranch_vccnz .LBB104_1790
; %bb.1775:
	v_cmp_gt_i16_e32 vcc_lo, 2, v5
	s_mov_b32 s0, -1
	s_cbranch_vccnz .LBB104_1785
; %bb.1776:
	v_cmp_gt_i16_e32 vcc_lo, 3, v5
	s_cbranch_vccnz .LBB104_1782
; %bb.1777:
	v_cmp_lt_i16_e32 vcc_lo, 3, v5
	s_cbranch_vccz .LBB104_1779
; %bb.1778:
	v_lshlrev_b32_e32 v4, 16, v3
	s_mov_b32 s0, 0
	s_delay_alu instid0(VALU_DEP_1) | instskip(NEXT) | instid1(VALU_DEP_1)
	v_trunc_f32_e32 v4, v4
	v_mul_f32_e64 v6, 0x2f800000, |v4|
	s_delay_alu instid0(VALU_DEP_1) | instskip(NEXT) | instid1(VALU_DEP_1)
	v_floor_f32_e32 v6, v6
	v_fma_f32 v9, 0xcf800000, v6, |v4|
	v_ashrrev_i32_e32 v4, 31, v4
	v_cvt_u32_f32_e32 v6, v6
	s_delay_alu instid0(VALU_DEP_3) | instskip(NEXT) | instid1(VALU_DEP_2)
	v_cvt_u32_f32_e32 v9, v9
	v_xor_b32_e32 v6, v6, v4
	s_delay_alu instid0(VALU_DEP_2) | instskip(NEXT) | instid1(VALU_DEP_1)
	v_xor_b32_e32 v9, v9, v4
	v_sub_co_u32 v9, vcc_lo, v9, v4
	s_delay_alu instid0(VALU_DEP_3)
	v_sub_co_ci_u32_e32 v10, vcc_lo, v6, v4, vcc_lo
	global_store_b64 v[0:1], v[9:10], off
.LBB104_1779:
	s_and_not1_b32 vcc_lo, exec_lo, s0
	s_cbranch_vccnz .LBB104_1781
; %bb.1780:
	v_lshlrev_b32_e32 v4, 16, v3
	s_delay_alu instid0(VALU_DEP_1)
	v_cvt_i32_f32_e32 v4, v4
	global_store_b32 v[0:1], v4, off
.LBB104_1781:
	s_mov_b32 s0, 0
.LBB104_1782:
	s_delay_alu instid0(SALU_CYCLE_1)
	s_and_not1_b32 vcc_lo, exec_lo, s0
	s_cbranch_vccnz .LBB104_1784
; %bb.1783:
	v_lshlrev_b32_e32 v4, 16, v3
	s_delay_alu instid0(VALU_DEP_1)
	v_cvt_i32_f32_e32 v4, v4
	global_store_b16 v[0:1], v4, off
.LBB104_1784:
	s_mov_b32 s0, 0
.LBB104_1785:
	s_delay_alu instid0(SALU_CYCLE_1)
	s_and_not1_b32 vcc_lo, exec_lo, s0
	s_cbranch_vccnz .LBB104_1790
; %bb.1786:
	v_cmp_lt_i16_e32 vcc_lo, 0, v5
	v_lshlrev_b32_e32 v3, 16, v3
	s_mov_b32 s0, -1
	s_cbranch_vccz .LBB104_1788
; %bb.1787:
	s_delay_alu instid0(VALU_DEP_1)
	v_cvt_i32_f32_e32 v4, v3
	s_mov_b32 s0, 0
	global_store_b8 v[0:1], v4, off
.LBB104_1788:
	s_and_not1_b32 vcc_lo, exec_lo, s0
	s_cbranch_vccnz .LBB104_1790
; %bb.1789:
	v_trunc_f32_e32 v3, v3
	s_delay_alu instid0(VALU_DEP_1) | instskip(NEXT) | instid1(VALU_DEP_1)
	v_mul_f32_e64 v4, 0x2f800000, |v3|
	v_floor_f32_e32 v4, v4
	s_delay_alu instid0(VALU_DEP_1) | instskip(SKIP_1) | instid1(VALU_DEP_2)
	v_fma_f32 v4, 0xcf800000, v4, |v3|
	v_ashrrev_i32_e32 v3, 31, v3
	v_cvt_u32_f32_e32 v4, v4
	s_delay_alu instid0(VALU_DEP_1) | instskip(NEXT) | instid1(VALU_DEP_1)
	v_xor_b32_e32 v4, v4, v3
	v_sub_nc_u32_e32 v3, v4, v3
	global_store_b8 v[0:1], v3, off
.LBB104_1790:
	s_mov_b32 s6, -1
.LBB104_1791:
	s_delay_alu instid0(SALU_CYCLE_1)
	s_and_not1_b32 vcc_lo, exec_lo, s6
	s_cbranch_vccnz .LBB104_1986
; %bb.1792:
	v_lshlrev_b32_e32 v0, 16, v7
	s_mov_b32 s6, 0
	s_delay_alu instid0(VALU_DEP_1) | instskip(NEXT) | instid1(VALU_DEP_1)
	v_dual_mul_f32 v1, 0x3fb8aa3b, v0 :: v_dual_add_nc_u32 v2, s2, v2
	v_rndne_f32_e32 v3, v1
	v_fma_f32 v4, 0x3fb8aa3b, v0, -v1
	s_delay_alu instid0(VALU_DEP_1) | instskip(SKIP_1) | instid1(VALU_DEP_2)
	v_dual_sub_f32 v1, v1, v3 :: v_dual_fmamk_f32 v4, v0, 0x32a5705f, v4
	v_cvt_i32_f32_e32 v3, v3
	v_add_f32_e32 v1, v1, v4
	v_cmp_ngt_f32_e32 vcc_lo, 0xc2ce8ed0, v0
	s_delay_alu instid0(VALU_DEP_2) | instskip(SKIP_2) | instid1(VALU_DEP_1)
	v_exp_f32_e32 v1, v1
	s_waitcnt_depctr 0xfff
	v_ldexp_f32 v1, v1, v3
	v_cndmask_b32_e32 v1, 0, v1, vcc_lo
	v_cmp_nlt_f32_e32 vcc_lo, 0x42b17218, v0
	s_delay_alu instid0(VALU_DEP_2) | instskip(SKIP_2) | instid1(VALU_DEP_3)
	v_cndmask_b32_e32 v3, 0x7f800000, v1, vcc_lo
	v_ashrrev_i32_e32 v1, 31, v2
	v_cmp_gt_i16_e32 vcc_lo, 11, v5
	v_bfe_u32 v0, v3, 16, 1
	s_and_b32 vcc_lo, exec_lo, vcc_lo
	s_delay_alu instid0(VALU_DEP_1) | instskip(NEXT) | instid1(VALU_DEP_1)
	v_add3_u32 v0, v3, v0, 0x7fff
	v_lshrrev_b32_e32 v4, 16, v0
	v_add_co_u32 v0, s0, s4, v2
	s_delay_alu instid0(VALU_DEP_1) | instskip(SKIP_1) | instid1(VALU_DEP_1)
	v_add_co_ci_u32_e64 v1, s0, s5, v1, s0
	v_cmp_o_f32_e64 s0, v3, v3
	v_cndmask_b32_e64 v3, 0x7fc0, v4, s0
	s_mov_b32 s0, -1
	s_cbranch_vccnz .LBB104_1870
; %bb.1793:
	v_cmp_lt_i16_e32 vcc_lo, 25, v5
	s_mov_b32 s7, -1
	s_mov_b32 s3, 0
	s_mov_b32 s0, 0
	s_cbranch_vccz .LBB104_1826
; %bb.1794:
	v_cmp_lt_i16_e32 vcc_lo, 28, v5
	s_cbranch_vccz .LBB104_1809
; %bb.1795:
	v_cmp_lt_i16_e32 vcc_lo, 43, v5
	;; [unrolled: 3-line block ×3, first 2 shown]
	s_cbranch_vccz .LBB104_1799
; %bb.1797:
	v_cmp_eq_u16_e32 vcc_lo, 46, v5
	s_mov_b32 s0, -1
	s_mov_b32 s7, 0
	s_cbranch_vccz .LBB104_1799
; %bb.1798:
	v_and_b32_e32 v4, 0xffff, v3
	s_mov_b32 s0, 0
	s_mov_b32 s6, -1
	global_store_b32 v[0:1], v4, off
.LBB104_1799:
	s_and_b32 vcc_lo, exec_lo, s7
	s_cbranch_vccz .LBB104_1804
; %bb.1800:
	v_cmp_eq_u16_e32 vcc_lo, 44, v5
	s_mov_b32 s0, -1
	s_cbranch_vccz .LBB104_1804
; %bb.1801:
	v_and_b32_e32 v4, 0xffff, v3
	v_mov_b32_e32 v6, 0xff
	s_mov_b32 s6, exec_lo
	s_delay_alu instid0(VALU_DEP_2) | instskip(NEXT) | instid1(VALU_DEP_1)
	v_bfe_u32 v7, v4, 7, 8
	v_cmpx_ne_u32_e32 0xff, v7
; %bb.1802:
	v_lshlrev_b32_e32 v6, 16, v4
	v_and_b32_e32 v9, 64, v4
	v_lshrrev_b32_e32 v4, 7, v4
	s_delay_alu instid0(VALU_DEP_3) | instskip(NEXT) | instid1(VALU_DEP_3)
	v_and_or_b32 v6, 0x3f0000, v6, v7
	v_cmp_ne_u32_e32 vcc_lo, 0, v9
	s_delay_alu instid0(VALU_DEP_2) | instskip(NEXT) | instid1(VALU_DEP_1)
	v_cmp_ne_u32_e64 s0, 0, v6
	s_and_b32 s0, vcc_lo, s0
	s_delay_alu instid0(SALU_CYCLE_1) | instskip(NEXT) | instid1(VALU_DEP_1)
	v_cndmask_b32_e64 v6, 0, 1, s0
	v_add_nc_u32_e32 v6, v4, v6
; %bb.1803:
	s_or_b32 exec_lo, exec_lo, s6
	s_mov_b32 s0, 0
	s_mov_b32 s6, -1
	global_store_b8 v[0:1], v6, off
.LBB104_1804:
	s_mov_b32 s7, 0
.LBB104_1805:
	s_delay_alu instid0(SALU_CYCLE_1)
	s_and_b32 vcc_lo, exec_lo, s7
	s_cbranch_vccz .LBB104_1808
; %bb.1806:
	v_cmp_eq_u16_e32 vcc_lo, 29, v5
	s_mov_b32 s0, -1
	s_cbranch_vccz .LBB104_1808
; %bb.1807:
	v_lshlrev_b32_e32 v4, 16, v3
	s_mov_b32 s0, 0
	s_mov_b32 s6, -1
	s_delay_alu instid0(VALU_DEP_1) | instskip(NEXT) | instid1(VALU_DEP_1)
	v_trunc_f32_e32 v4, v4
	v_mul_f32_e32 v6, 0x2f800000, v4
	s_delay_alu instid0(VALU_DEP_1) | instskip(NEXT) | instid1(VALU_DEP_1)
	v_floor_f32_e32 v6, v6
	v_fmamk_f32 v4, v6, 0xcf800000, v4
	v_cvt_u32_f32_e32 v7, v6
	s_delay_alu instid0(VALU_DEP_2)
	v_cvt_u32_f32_e32 v6, v4
	global_store_b64 v[0:1], v[6:7], off
.LBB104_1808:
	s_mov_b32 s7, 0
.LBB104_1809:
	s_delay_alu instid0(SALU_CYCLE_1)
	s_and_b32 vcc_lo, exec_lo, s7
	s_cbranch_vccz .LBB104_1825
; %bb.1810:
	v_cmp_gt_i16_e32 vcc_lo, 27, v5
	s_mov_b32 s6, -1
	s_cbranch_vccnz .LBB104_1816
; %bb.1811:
	v_cmp_lt_i16_e32 vcc_lo, 27, v5
	s_cbranch_vccz .LBB104_1813
; %bb.1812:
	v_lshlrev_b32_e32 v4, 16, v3
	s_mov_b32 s6, 0
	s_delay_alu instid0(VALU_DEP_1)
	v_cvt_u32_f32_e32 v4, v4
	global_store_b32 v[0:1], v4, off
.LBB104_1813:
	s_and_not1_b32 vcc_lo, exec_lo, s6
	s_cbranch_vccnz .LBB104_1815
; %bb.1814:
	v_lshlrev_b32_e32 v4, 16, v3
	s_delay_alu instid0(VALU_DEP_1)
	v_cvt_u32_f32_e32 v4, v4
	global_store_b16 v[0:1], v4, off
.LBB104_1815:
	s_mov_b32 s6, 0
.LBB104_1816:
	s_delay_alu instid0(SALU_CYCLE_1)
	s_and_not1_b32 vcc_lo, exec_lo, s6
	s_cbranch_vccnz .LBB104_1824
; %bb.1817:
	v_lshlrev_b32_e32 v7, 16, v3
	v_mov_b32_e32 v9, 0x80
	s_mov_b32 s6, exec_lo
	s_delay_alu instid0(VALU_DEP_2) | instskip(NEXT) | instid1(VALU_DEP_1)
	v_and_b32_e32 v6, 0x7fffffff, v7
	v_cmpx_gt_u32_e32 0x43800000, v6
	s_cbranch_execz .LBB104_1823
; %bb.1818:
	v_and_b32_e32 v4, 0xffff, v3
	v_cmp_lt_u32_e32 vcc_lo, 0x3bffffff, v6
	s_mov_b32 s7, 0
                                        ; implicit-def: $vgpr6
	s_and_saveexec_b32 s10, vcc_lo
	s_delay_alu instid0(SALU_CYCLE_1)
	s_xor_b32 s10, exec_lo, s10
	s_cbranch_execz .LBB104_2049
; %bb.1819:
	v_bfe_u32 v6, v4, 4, 1
	s_mov_b32 s7, exec_lo
	s_delay_alu instid0(VALU_DEP_1) | instskip(NEXT) | instid1(VALU_DEP_1)
	v_add3_u32 v6, v7, v6, 0x487ffff
                                        ; implicit-def: $vgpr7
	v_lshrrev_b32_e32 v6, 20, v6
	s_or_saveexec_b32 s10, s10
                                        ; implicit-def: $sgpr11
	s_delay_alu instid0(SALU_CYCLE_1)
	s_xor_b32 exec_lo, exec_lo, s10
	s_cbranch_execnz .LBB104_2050
.LBB104_1820:
	s_or_b32 exec_lo, exec_lo, s10
	v_mov_b32_e32 v9, s11
	s_and_saveexec_b32 s10, s7
.LBB104_1821:
	v_lshrrev_b32_e32 v4, 8, v4
	s_delay_alu instid0(VALU_DEP_1)
	v_and_or_b32 v9, 0x80, v4, v6
.LBB104_1822:
	s_or_b32 exec_lo, exec_lo, s10
.LBB104_1823:
	s_delay_alu instid0(SALU_CYCLE_1)
	s_or_b32 exec_lo, exec_lo, s6
	global_store_b8 v[0:1], v9, off
.LBB104_1824:
	s_mov_b32 s6, -1
.LBB104_1825:
	s_mov_b32 s7, 0
.LBB104_1826:
	s_delay_alu instid0(SALU_CYCLE_1)
	s_and_b32 vcc_lo, exec_lo, s7
	s_cbranch_vccz .LBB104_1866
; %bb.1827:
	v_cmp_lt_i16_e32 vcc_lo, 22, v5
	s_mov_b32 s3, -1
	s_cbranch_vccz .LBB104_1859
; %bb.1828:
	v_cmp_gt_i16_e32 vcc_lo, 24, v5
	s_cbranch_vccnz .LBB104_1848
; %bb.1829:
	v_cmp_lt_i16_e32 vcc_lo, 24, v5
	s_cbranch_vccz .LBB104_1837
; %bb.1830:
	v_lshlrev_b32_e32 v7, 16, v3
	v_mov_b32_e32 v9, 0x80
	s_mov_b32 s3, exec_lo
	s_delay_alu instid0(VALU_DEP_2) | instskip(NEXT) | instid1(VALU_DEP_1)
	v_and_b32_e32 v6, 0x7fffffff, v7
	v_cmpx_gt_u32_e32 0x47800000, v6
	s_cbranch_execz .LBB104_1836
; %bb.1831:
	v_and_b32_e32 v4, 0xffff, v3
	v_cmp_lt_u32_e32 vcc_lo, 0x37ffffff, v6
	s_mov_b32 s6, 0
                                        ; implicit-def: $vgpr6
	s_and_saveexec_b32 s7, vcc_lo
	s_delay_alu instid0(SALU_CYCLE_1)
	s_xor_b32 s7, exec_lo, s7
	s_cbranch_execz .LBB104_2055
; %bb.1832:
	v_bfe_u32 v6, v4, 5, 1
	s_mov_b32 s6, exec_lo
	s_delay_alu instid0(VALU_DEP_1) | instskip(NEXT) | instid1(VALU_DEP_1)
	v_add3_u32 v6, v7, v6, 0x88fffff
                                        ; implicit-def: $vgpr7
	v_lshrrev_b32_e32 v6, 21, v6
	s_or_saveexec_b32 s7, s7
                                        ; implicit-def: $sgpr10
	s_delay_alu instid0(SALU_CYCLE_1)
	s_xor_b32 exec_lo, exec_lo, s7
	s_cbranch_execnz .LBB104_2056
.LBB104_1833:
	s_or_b32 exec_lo, exec_lo, s7
	v_mov_b32_e32 v9, s10
	s_and_saveexec_b32 s7, s6
.LBB104_1834:
	v_lshrrev_b32_e32 v4, 8, v4
	s_delay_alu instid0(VALU_DEP_1)
	v_and_or_b32 v9, 0x80, v4, v6
.LBB104_1835:
	s_or_b32 exec_lo, exec_lo, s7
.LBB104_1836:
	s_delay_alu instid0(SALU_CYCLE_1)
	s_or_b32 exec_lo, exec_lo, s3
	s_mov_b32 s3, 0
	global_store_b8 v[0:1], v9, off
.LBB104_1837:
	s_and_b32 vcc_lo, exec_lo, s3
	s_cbranch_vccz .LBB104_1847
; %bb.1838:
	v_lshlrev_b32_e32 v7, 16, v3
	v_and_b32_e32 v4, 0xffff, v3
	s_mov_b32 s3, exec_lo
                                        ; implicit-def: $vgpr6
	s_delay_alu instid0(VALU_DEP_2) | instskip(NEXT) | instid1(VALU_DEP_1)
	v_and_b32_e32 v9, 0x7fffffff, v7
	v_cmpx_gt_u32_e32 0x43f00000, v9
	s_xor_b32 s3, exec_lo, s3
	s_cbranch_execz .LBB104_1844
; %bb.1839:
	s_mov_b32 s6, exec_lo
                                        ; implicit-def: $vgpr6
	v_cmpx_lt_u32_e32 0x3c7fffff, v9
	s_xor_b32 s6, exec_lo, s6
; %bb.1840:
	v_bfe_u32 v6, v4, 4, 1
	s_delay_alu instid0(VALU_DEP_1) | instskip(NEXT) | instid1(VALU_DEP_1)
	v_add3_u32 v6, v7, v6, 0x407ffff
	v_and_b32_e32 v7, 0xff00000, v6
	v_lshrrev_b32_e32 v6, 20, v6
	s_delay_alu instid0(VALU_DEP_2) | instskip(NEXT) | instid1(VALU_DEP_2)
	v_cmp_ne_u32_e32 vcc_lo, 0x7f00000, v7
                                        ; implicit-def: $vgpr7
	v_cndmask_b32_e32 v6, 0x7e, v6, vcc_lo
; %bb.1841:
	s_and_not1_saveexec_b32 s6, s6
; %bb.1842:
	v_add_f32_e64 v6, 0x46800000, |v7|
; %bb.1843:
	s_or_b32 exec_lo, exec_lo, s6
                                        ; implicit-def: $vgpr9
.LBB104_1844:
	s_and_not1_saveexec_b32 s3, s3
; %bb.1845:
	v_mov_b32_e32 v6, 0x7f
	v_cmp_lt_u32_e32 vcc_lo, 0x7f800000, v9
	s_delay_alu instid0(VALU_DEP_2)
	v_cndmask_b32_e32 v6, 0x7e, v6, vcc_lo
; %bb.1846:
	s_or_b32 exec_lo, exec_lo, s3
	v_lshrrev_b32_e32 v4, 8, v4
	s_delay_alu instid0(VALU_DEP_1)
	v_and_or_b32 v4, 0x80, v4, v6
	global_store_b8 v[0:1], v4, off
.LBB104_1847:
	s_mov_b32 s3, 0
.LBB104_1848:
	s_delay_alu instid0(SALU_CYCLE_1)
	s_and_not1_b32 vcc_lo, exec_lo, s3
	s_cbranch_vccnz .LBB104_1858
; %bb.1849:
	v_lshlrev_b32_e32 v7, 16, v3
	v_and_b32_e32 v4, 0xffff, v3
	s_mov_b32 s3, exec_lo
                                        ; implicit-def: $vgpr6
	s_delay_alu instid0(VALU_DEP_2) | instskip(NEXT) | instid1(VALU_DEP_1)
	v_and_b32_e32 v9, 0x7fffffff, v7
	v_cmpx_gt_u32_e32 0x47800000, v9
	s_xor_b32 s3, exec_lo, s3
	s_cbranch_execz .LBB104_1855
; %bb.1850:
	s_mov_b32 s6, exec_lo
                                        ; implicit-def: $vgpr6
	v_cmpx_lt_u32_e32 0x387fffff, v9
	s_xor_b32 s6, exec_lo, s6
; %bb.1851:
	v_bfe_u32 v6, v4, 5, 1
	s_delay_alu instid0(VALU_DEP_1) | instskip(NEXT) | instid1(VALU_DEP_1)
	v_add3_u32 v6, v7, v6, 0x80fffff
                                        ; implicit-def: $vgpr7
	v_lshrrev_b32_e32 v6, 21, v6
; %bb.1852:
	s_and_not1_saveexec_b32 s6, s6
; %bb.1853:
	v_add_f32_e64 v6, 0x43000000, |v7|
; %bb.1854:
	s_or_b32 exec_lo, exec_lo, s6
                                        ; implicit-def: $vgpr9
.LBB104_1855:
	s_and_not1_saveexec_b32 s3, s3
; %bb.1856:
	v_mov_b32_e32 v6, 0x7f
	v_cmp_lt_u32_e32 vcc_lo, 0x7f800000, v9
	s_delay_alu instid0(VALU_DEP_2)
	v_cndmask_b32_e32 v6, 0x7c, v6, vcc_lo
; %bb.1857:
	s_or_b32 exec_lo, exec_lo, s3
	v_lshrrev_b32_e32 v4, 8, v4
	s_delay_alu instid0(VALU_DEP_1)
	v_and_or_b32 v4, 0x80, v4, v6
	global_store_b8 v[0:1], v4, off
.LBB104_1858:
	s_mov_b32 s3, 0
	s_mov_b32 s6, -1
.LBB104_1859:
	s_and_not1_b32 vcc_lo, exec_lo, s3
	s_mov_b32 s3, 0
	s_cbranch_vccnz .LBB104_1866
; %bb.1860:
	v_cmp_lt_i16_e32 vcc_lo, 14, v5
	s_mov_b32 s3, -1
	s_cbranch_vccz .LBB104_1864
; %bb.1861:
	v_cmp_eq_u16_e32 vcc_lo, 15, v5
	s_mov_b32 s0, -1
	s_cbranch_vccz .LBB104_1863
; %bb.1862:
	s_mov_b32 s0, 0
	s_mov_b32 s6, -1
	global_store_b16 v[0:1], v3, off
.LBB104_1863:
	s_mov_b32 s3, 0
.LBB104_1864:
	s_delay_alu instid0(SALU_CYCLE_1)
	s_and_b32 vcc_lo, exec_lo, s3
	s_mov_b32 s3, 0
	s_cbranch_vccz .LBB104_1866
; %bb.1865:
	v_cmp_ne_u16_e64 s0, 11, v5
	s_mov_b32 s3, -1
.LBB104_1866:
	s_delay_alu instid0(VALU_DEP_1)
	s_and_b32 vcc_lo, exec_lo, s0
	s_cbranch_vccnz .LBB104_2053
; %bb.1867:
	s_and_not1_b32 vcc_lo, exec_lo, s3
	s_cbranch_vccnz .LBB104_1869
.LBB104_1868:
	v_and_b32_e32 v4, 0x7fff, v3
	s_mov_b32 s6, -1
	s_delay_alu instid0(VALU_DEP_1)
	v_cmp_ne_u16_e32 vcc_lo, 0, v4
	v_cndmask_b32_e64 v4, 0, 1, vcc_lo
	global_store_b8 v[0:1], v4, off
.LBB104_1869:
	s_mov_b32 s0, 0
.LBB104_1870:
	s_delay_alu instid0(SALU_CYCLE_1)
	s_and_b32 vcc_lo, exec_lo, s0
	s_cbranch_vccz .LBB104_1909
; %bb.1871:
	v_cmp_gt_i16_e32 vcc_lo, 5, v5
	s_mov_b32 s0, -1
	s_cbranch_vccnz .LBB104_1892
; %bb.1872:
	v_cmp_gt_i16_e32 vcc_lo, 8, v5
	s_cbranch_vccnz .LBB104_1882
; %bb.1873:
	v_cmp_gt_i16_e32 vcc_lo, 9, v5
	s_cbranch_vccnz .LBB104_1879
; %bb.1874:
	v_cmp_lt_i16_e32 vcc_lo, 9, v5
	s_cbranch_vccz .LBB104_1876
; %bb.1875:
	v_dual_mov_b32 v11, 0 :: v_dual_lshlrev_b32 v4, 16, v3
	s_mov_b32 s0, 0
	s_delay_alu instid0(VALU_DEP_1) | instskip(NEXT) | instid1(VALU_DEP_2)
	v_cvt_f64_f32_e32 v[9:10], v4
	v_mov_b32_e32 v12, v11
	global_store_b128 v[0:1], v[9:12], off
.LBB104_1876:
	s_and_not1_b32 vcc_lo, exec_lo, s0
	s_cbranch_vccnz .LBB104_1878
; %bb.1877:
	v_dual_mov_b32 v7, 0 :: v_dual_lshlrev_b32 v6, 16, v3
	global_store_b64 v[0:1], v[6:7], off
.LBB104_1878:
	s_mov_b32 s0, 0
.LBB104_1879:
	s_delay_alu instid0(SALU_CYCLE_1)
	s_and_not1_b32 vcc_lo, exec_lo, s0
	s_cbranch_vccnz .LBB104_1881
; %bb.1880:
	v_lshlrev_b32_e32 v4, 16, v3
	s_delay_alu instid0(VALU_DEP_1) | instskip(NEXT) | instid1(VALU_DEP_1)
	v_cvt_f16_f32_e32 v4, v4
	v_and_b32_e32 v4, 0xffff, v4
	global_store_b32 v[0:1], v4, off
.LBB104_1881:
	s_mov_b32 s0, 0
.LBB104_1882:
	s_delay_alu instid0(SALU_CYCLE_1)
	s_and_not1_b32 vcc_lo, exec_lo, s0
	s_cbranch_vccnz .LBB104_1891
; %bb.1883:
	v_cmp_gt_i16_e32 vcc_lo, 6, v5
	s_mov_b32 s0, -1
	s_cbranch_vccnz .LBB104_1889
; %bb.1884:
	v_cmp_lt_i16_e32 vcc_lo, 6, v5
	s_cbranch_vccz .LBB104_1886
; %bb.1885:
	v_lshlrev_b32_e32 v4, 16, v3
	s_mov_b32 s0, 0
	s_delay_alu instid0(VALU_DEP_1)
	v_cvt_f64_f32_e32 v[6:7], v4
	global_store_b64 v[0:1], v[6:7], off
.LBB104_1886:
	s_and_not1_b32 vcc_lo, exec_lo, s0
	s_cbranch_vccnz .LBB104_1888
; %bb.1887:
	v_lshlrev_b32_e32 v4, 16, v3
	global_store_b32 v[0:1], v4, off
.LBB104_1888:
	s_mov_b32 s0, 0
.LBB104_1889:
	s_delay_alu instid0(SALU_CYCLE_1)
	s_and_not1_b32 vcc_lo, exec_lo, s0
	s_cbranch_vccnz .LBB104_1891
; %bb.1890:
	v_lshlrev_b32_e32 v4, 16, v3
	s_delay_alu instid0(VALU_DEP_1)
	v_cvt_f16_f32_e32 v4, v4
	global_store_b16 v[0:1], v4, off
.LBB104_1891:
	s_mov_b32 s0, 0
.LBB104_1892:
	s_delay_alu instid0(SALU_CYCLE_1)
	s_and_not1_b32 vcc_lo, exec_lo, s0
	s_cbranch_vccnz .LBB104_1908
; %bb.1893:
	v_cmp_gt_i16_e32 vcc_lo, 2, v5
	s_mov_b32 s0, -1
	s_cbranch_vccnz .LBB104_1903
; %bb.1894:
	v_cmp_gt_i16_e32 vcc_lo, 3, v5
	s_cbranch_vccnz .LBB104_1900
; %bb.1895:
	v_cmp_lt_i16_e32 vcc_lo, 3, v5
	s_cbranch_vccz .LBB104_1897
; %bb.1896:
	v_lshlrev_b32_e32 v4, 16, v3
	s_mov_b32 s0, 0
	s_delay_alu instid0(VALU_DEP_1) | instskip(NEXT) | instid1(VALU_DEP_1)
	v_trunc_f32_e32 v4, v4
	v_mul_f32_e64 v6, 0x2f800000, |v4|
	s_delay_alu instid0(VALU_DEP_1) | instskip(NEXT) | instid1(VALU_DEP_1)
	v_floor_f32_e32 v6, v6
	v_fma_f32 v7, 0xcf800000, v6, |v4|
	v_ashrrev_i32_e32 v4, 31, v4
	v_cvt_u32_f32_e32 v6, v6
	s_delay_alu instid0(VALU_DEP_3) | instskip(NEXT) | instid1(VALU_DEP_2)
	v_cvt_u32_f32_e32 v7, v7
	v_xor_b32_e32 v9, v6, v4
	s_delay_alu instid0(VALU_DEP_2) | instskip(NEXT) | instid1(VALU_DEP_1)
	v_xor_b32_e32 v7, v7, v4
	v_sub_co_u32 v6, vcc_lo, v7, v4
	s_delay_alu instid0(VALU_DEP_3)
	v_sub_co_ci_u32_e32 v7, vcc_lo, v9, v4, vcc_lo
	global_store_b64 v[0:1], v[6:7], off
.LBB104_1897:
	s_and_not1_b32 vcc_lo, exec_lo, s0
	s_cbranch_vccnz .LBB104_1899
; %bb.1898:
	v_lshlrev_b32_e32 v4, 16, v3
	s_delay_alu instid0(VALU_DEP_1)
	v_cvt_i32_f32_e32 v4, v4
	global_store_b32 v[0:1], v4, off
.LBB104_1899:
	s_mov_b32 s0, 0
.LBB104_1900:
	s_delay_alu instid0(SALU_CYCLE_1)
	s_and_not1_b32 vcc_lo, exec_lo, s0
	s_cbranch_vccnz .LBB104_1902
; %bb.1901:
	v_lshlrev_b32_e32 v4, 16, v3
	s_delay_alu instid0(VALU_DEP_1)
	v_cvt_i32_f32_e32 v4, v4
	global_store_b16 v[0:1], v4, off
.LBB104_1902:
	s_mov_b32 s0, 0
.LBB104_1903:
	s_delay_alu instid0(SALU_CYCLE_1)
	s_and_not1_b32 vcc_lo, exec_lo, s0
	s_cbranch_vccnz .LBB104_1908
; %bb.1904:
	v_cmp_lt_i16_e32 vcc_lo, 0, v5
	v_lshlrev_b32_e32 v3, 16, v3
	s_mov_b32 s0, -1
	s_cbranch_vccz .LBB104_1906
; %bb.1905:
	s_delay_alu instid0(VALU_DEP_1)
	v_cvt_i32_f32_e32 v4, v3
	s_mov_b32 s0, 0
	global_store_b8 v[0:1], v4, off
.LBB104_1906:
	s_and_not1_b32 vcc_lo, exec_lo, s0
	s_cbranch_vccnz .LBB104_1908
; %bb.1907:
	v_trunc_f32_e32 v3, v3
	s_delay_alu instid0(VALU_DEP_1) | instskip(NEXT) | instid1(VALU_DEP_1)
	v_mul_f32_e64 v4, 0x2f800000, |v3|
	v_floor_f32_e32 v4, v4
	s_delay_alu instid0(VALU_DEP_1) | instskip(SKIP_1) | instid1(VALU_DEP_2)
	v_fma_f32 v4, 0xcf800000, v4, |v3|
	v_ashrrev_i32_e32 v3, 31, v3
	v_cvt_u32_f32_e32 v4, v4
	s_delay_alu instid0(VALU_DEP_1) | instskip(NEXT) | instid1(VALU_DEP_1)
	v_xor_b32_e32 v4, v4, v3
	v_sub_nc_u32_e32 v3, v4, v3
	global_store_b8 v[0:1], v3, off
.LBB104_1908:
	s_mov_b32 s6, -1
.LBB104_1909:
	s_delay_alu instid0(SALU_CYCLE_1)
	s_and_not1_b32 vcc_lo, exec_lo, s6
	s_cbranch_vccnz .LBB104_1986
; %bb.1910:
	v_lshlrev_b32_e32 v0, 16, v8
	s_delay_alu instid0(VALU_DEP_1) | instskip(NEXT) | instid1(VALU_DEP_1)
	v_mul_f32_e32 v1, 0x3fb8aa3b, v0
	v_rndne_f32_e32 v3, v1
	v_fma_f32 v4, 0x3fb8aa3b, v0, -v1
	s_delay_alu instid0(VALU_DEP_2) | instskip(SKIP_1) | instid1(VALU_DEP_3)
	v_sub_f32_e32 v1, v1, v3
	v_cmp_ngt_f32_e32 vcc_lo, 0xc2ce8ed0, v0
	v_fmamk_f32 v4, v0, 0x32a5705f, v4
	v_cvt_i32_f32_e32 v3, v3
	s_delay_alu instid0(VALU_DEP_2) | instskip(NEXT) | instid1(VALU_DEP_1)
	v_add_f32_e32 v1, v1, v4
	v_exp_f32_e32 v1, v1
	s_waitcnt_depctr 0xfff
	v_ldexp_f32 v1, v1, v3
	s_delay_alu instid0(VALU_DEP_1) | instskip(SKIP_1) | instid1(VALU_DEP_2)
	v_cndmask_b32_e32 v1, 0, v1, vcc_lo
	v_cmp_nlt_f32_e32 vcc_lo, 0x42b17218, v0
	v_cndmask_b32_e32 v3, 0x7f800000, v1, vcc_lo
	v_add_nc_u32_e32 v1, s2, v2
	v_cmp_gt_i16_e32 vcc_lo, 11, v5
	s_mov_b32 s2, 0
	s_delay_alu instid0(VALU_DEP_3) | instskip(NEXT) | instid1(VALU_DEP_3)
	v_bfe_u32 v0, v3, 16, 1
	v_ashrrev_i32_e32 v2, 31, v1
	s_and_b32 vcc_lo, exec_lo, vcc_lo
	s_delay_alu instid0(VALU_DEP_2) | instskip(NEXT) | instid1(VALU_DEP_1)
	v_add3_u32 v0, v3, v0, 0x7fff
	v_lshrrev_b32_e32 v4, 16, v0
	v_add_co_u32 v0, s0, s4, v1
	s_delay_alu instid0(VALU_DEP_1) | instskip(SKIP_1) | instid1(VALU_DEP_1)
	v_add_co_ci_u32_e64 v1, s0, s5, v2, s0
	v_cmp_o_f32_e64 s0, v3, v3
	v_cndmask_b32_e64 v6, 0x7fc0, v4, s0
	s_mov_b32 s0, -1
	s_cbranch_vccnz .LBB104_1987
; %bb.1911:
	v_cmp_lt_i16_e32 vcc_lo, 25, v5
	s_mov_b32 s3, -1
	s_mov_b32 s0, 0
	s_cbranch_vccz .LBB104_1944
; %bb.1912:
	v_cmp_lt_i16_e32 vcc_lo, 28, v5
	s_cbranch_vccz .LBB104_1928
; %bb.1913:
	v_cmp_lt_i16_e32 vcc_lo, 43, v5
	;; [unrolled: 3-line block ×3, first 2 shown]
	s_cbranch_vccz .LBB104_1918
; %bb.1915:
	v_cmp_eq_u16_e32 vcc_lo, 46, v5
	s_mov_b32 s0, -1
	s_cbranch_vccz .LBB104_1917
; %bb.1916:
	v_and_b32_e32 v2, 0xffff, v6
	s_mov_b32 s0, 0
	global_store_b32 v[0:1], v2, off
.LBB104_1917:
	s_mov_b32 s3, 0
.LBB104_1918:
	s_delay_alu instid0(SALU_CYCLE_1)
	s_and_b32 vcc_lo, exec_lo, s3
	s_cbranch_vccz .LBB104_1923
; %bb.1919:
	v_cmp_eq_u16_e32 vcc_lo, 44, v5
	s_mov_b32 s0, -1
	s_cbranch_vccz .LBB104_1923
; %bb.1920:
	v_and_b32_e32 v2, 0xffff, v6
	v_mov_b32_e32 v3, 0xff
	s_mov_b32 s3, exec_lo
	s_delay_alu instid0(VALU_DEP_2) | instskip(NEXT) | instid1(VALU_DEP_1)
	v_bfe_u32 v4, v2, 7, 8
	v_cmpx_ne_u32_e32 0xff, v4
; %bb.1921:
	v_lshlrev_b32_e32 v3, 16, v2
	v_and_b32_e32 v7, 64, v2
	v_lshrrev_b32_e32 v2, 7, v2
	s_delay_alu instid0(VALU_DEP_3) | instskip(NEXT) | instid1(VALU_DEP_3)
	v_and_or_b32 v3, 0x3f0000, v3, v4
	v_cmp_ne_u32_e32 vcc_lo, 0, v7
	s_delay_alu instid0(VALU_DEP_2) | instskip(NEXT) | instid1(VALU_DEP_1)
	v_cmp_ne_u32_e64 s0, 0, v3
	s_and_b32 s0, vcc_lo, s0
	s_delay_alu instid0(SALU_CYCLE_1) | instskip(NEXT) | instid1(VALU_DEP_1)
	v_cndmask_b32_e64 v3, 0, 1, s0
	v_add_nc_u32_e32 v3, v2, v3
; %bb.1922:
	s_or_b32 exec_lo, exec_lo, s3
	s_mov_b32 s0, 0
	global_store_b8 v[0:1], v3, off
.LBB104_1923:
	s_mov_b32 s3, 0
.LBB104_1924:
	s_delay_alu instid0(SALU_CYCLE_1)
	s_and_b32 vcc_lo, exec_lo, s3
	s_cbranch_vccz .LBB104_1927
; %bb.1925:
	v_cmp_eq_u16_e32 vcc_lo, 29, v5
	s_mov_b32 s0, -1
	s_cbranch_vccz .LBB104_1927
; %bb.1926:
	v_lshlrev_b32_e32 v2, 16, v6
	s_mov_b32 s0, 0
	s_delay_alu instid0(VALU_DEP_1) | instskip(NEXT) | instid1(VALU_DEP_1)
	v_trunc_f32_e32 v2, v2
	v_mul_f32_e32 v3, 0x2f800000, v2
	s_delay_alu instid0(VALU_DEP_1) | instskip(NEXT) | instid1(VALU_DEP_1)
	v_floor_f32_e32 v3, v3
	v_fmamk_f32 v2, v3, 0xcf800000, v2
	v_cvt_u32_f32_e32 v3, v3
	s_delay_alu instid0(VALU_DEP_2)
	v_cvt_u32_f32_e32 v2, v2
	global_store_b64 v[0:1], v[2:3], off
.LBB104_1927:
	s_mov_b32 s3, 0
.LBB104_1928:
	s_delay_alu instid0(SALU_CYCLE_1)
	s_and_b32 vcc_lo, exec_lo, s3
	s_cbranch_vccz .LBB104_1943
; %bb.1929:
	v_cmp_gt_i16_e32 vcc_lo, 27, v5
	s_mov_b32 s3, -1
	s_cbranch_vccnz .LBB104_1935
; %bb.1930:
	v_cmp_lt_i16_e32 vcc_lo, 27, v5
	s_cbranch_vccz .LBB104_1932
; %bb.1931:
	v_lshlrev_b32_e32 v2, 16, v6
	s_mov_b32 s3, 0
	s_delay_alu instid0(VALU_DEP_1)
	v_cvt_u32_f32_e32 v2, v2
	global_store_b32 v[0:1], v2, off
.LBB104_1932:
	s_and_not1_b32 vcc_lo, exec_lo, s3
	s_cbranch_vccnz .LBB104_1934
; %bb.1933:
	v_lshlrev_b32_e32 v2, 16, v6
	s_delay_alu instid0(VALU_DEP_1)
	v_cvt_u32_f32_e32 v2, v2
	global_store_b16 v[0:1], v2, off
.LBB104_1934:
	s_mov_b32 s3, 0
.LBB104_1935:
	s_delay_alu instid0(SALU_CYCLE_1)
	s_and_not1_b32 vcc_lo, exec_lo, s3
	s_cbranch_vccnz .LBB104_1943
; %bb.1936:
	v_dual_mov_b32 v7, 0x80 :: v_dual_lshlrev_b32 v4, 16, v6
	s_mov_b32 s3, exec_lo
	s_delay_alu instid0(VALU_DEP_1) | instskip(NEXT) | instid1(VALU_DEP_1)
	v_and_b32_e32 v3, 0x7fffffff, v4
	v_cmpx_gt_u32_e32 0x43800000, v3
	s_cbranch_execz .LBB104_1942
; %bb.1937:
	v_and_b32_e32 v2, 0xffff, v6
	v_cmp_lt_u32_e32 vcc_lo, 0x3bffffff, v3
	s_mov_b32 s4, 0
                                        ; implicit-def: $vgpr3
	s_and_saveexec_b32 s5, vcc_lo
	s_delay_alu instid0(SALU_CYCLE_1)
	s_xor_b32 s5, exec_lo, s5
	s_cbranch_execz .LBB104_2057
; %bb.1938:
	v_bfe_u32 v3, v2, 4, 1
	s_mov_b32 s4, exec_lo
	s_delay_alu instid0(VALU_DEP_1) | instskip(NEXT) | instid1(VALU_DEP_1)
	v_add3_u32 v3, v4, v3, 0x487ffff
                                        ; implicit-def: $vgpr4
	v_lshrrev_b32_e32 v3, 20, v3
	s_or_saveexec_b32 s5, s5
                                        ; implicit-def: $sgpr6
	s_delay_alu instid0(SALU_CYCLE_1)
	s_xor_b32 exec_lo, exec_lo, s5
	s_cbranch_execnz .LBB104_2058
.LBB104_1939:
	s_or_b32 exec_lo, exec_lo, s5
	v_mov_b32_e32 v7, s6
	s_and_saveexec_b32 s5, s4
.LBB104_1940:
	v_lshrrev_b32_e32 v2, 8, v2
	s_delay_alu instid0(VALU_DEP_1)
	v_and_or_b32 v7, 0x80, v2, v3
.LBB104_1941:
	s_or_b32 exec_lo, exec_lo, s5
.LBB104_1942:
	s_delay_alu instid0(SALU_CYCLE_1)
	s_or_b32 exec_lo, exec_lo, s3
	global_store_b8 v[0:1], v7, off
.LBB104_1943:
	s_mov_b32 s3, 0
.LBB104_1944:
	s_delay_alu instid0(SALU_CYCLE_1)
	s_and_b32 vcc_lo, exec_lo, s3
	s_cbranch_vccz .LBB104_1984
; %bb.1945:
	v_cmp_lt_i16_e32 vcc_lo, 22, v5
	s_mov_b32 s2, -1
	s_cbranch_vccz .LBB104_1977
; %bb.1946:
	v_cmp_gt_i16_e32 vcc_lo, 24, v5
	s_cbranch_vccnz .LBB104_1966
; %bb.1947:
	v_cmp_lt_i16_e32 vcc_lo, 24, v5
	s_cbranch_vccz .LBB104_1955
; %bb.1948:
	v_dual_mov_b32 v7, 0x80 :: v_dual_lshlrev_b32 v4, 16, v6
	s_mov_b32 s2, exec_lo
	s_delay_alu instid0(VALU_DEP_1) | instskip(NEXT) | instid1(VALU_DEP_1)
	v_and_b32_e32 v3, 0x7fffffff, v4
	v_cmpx_gt_u32_e32 0x47800000, v3
	s_cbranch_execz .LBB104_1954
; %bb.1949:
	v_and_b32_e32 v2, 0xffff, v6
	v_cmp_lt_u32_e32 vcc_lo, 0x37ffffff, v3
	s_mov_b32 s3, 0
                                        ; implicit-def: $vgpr3
	s_and_saveexec_b32 s4, vcc_lo
	s_delay_alu instid0(SALU_CYCLE_1)
	s_xor_b32 s4, exec_lo, s4
	s_cbranch_execz .LBB104_2063
; %bb.1950:
	v_bfe_u32 v3, v2, 5, 1
	s_mov_b32 s3, exec_lo
	s_delay_alu instid0(VALU_DEP_1) | instskip(NEXT) | instid1(VALU_DEP_1)
	v_add3_u32 v3, v4, v3, 0x88fffff
                                        ; implicit-def: $vgpr4
	v_lshrrev_b32_e32 v3, 21, v3
	s_or_saveexec_b32 s4, s4
                                        ; implicit-def: $sgpr5
	s_delay_alu instid0(SALU_CYCLE_1)
	s_xor_b32 exec_lo, exec_lo, s4
	s_cbranch_execnz .LBB104_2064
.LBB104_1951:
	s_or_b32 exec_lo, exec_lo, s4
	v_mov_b32_e32 v7, s5
	s_and_saveexec_b32 s4, s3
.LBB104_1952:
	v_lshrrev_b32_e32 v2, 8, v2
	s_delay_alu instid0(VALU_DEP_1)
	v_and_or_b32 v7, 0x80, v2, v3
.LBB104_1953:
	s_or_b32 exec_lo, exec_lo, s4
.LBB104_1954:
	s_delay_alu instid0(SALU_CYCLE_1)
	s_or_b32 exec_lo, exec_lo, s2
	s_mov_b32 s2, 0
	global_store_b8 v[0:1], v7, off
.LBB104_1955:
	s_and_b32 vcc_lo, exec_lo, s2
	s_cbranch_vccz .LBB104_1965
; %bb.1956:
	v_lshlrev_b32_e32 v4, 16, v6
	v_and_b32_e32 v2, 0xffff, v6
	s_mov_b32 s2, exec_lo
                                        ; implicit-def: $vgpr3
	s_delay_alu instid0(VALU_DEP_2) | instskip(NEXT) | instid1(VALU_DEP_1)
	v_and_b32_e32 v7, 0x7fffffff, v4
	v_cmpx_gt_u32_e32 0x43f00000, v7
	s_xor_b32 s2, exec_lo, s2
	s_cbranch_execz .LBB104_1962
; %bb.1957:
	s_mov_b32 s3, exec_lo
                                        ; implicit-def: $vgpr3
	v_cmpx_lt_u32_e32 0x3c7fffff, v7
	s_xor_b32 s3, exec_lo, s3
; %bb.1958:
	v_bfe_u32 v3, v2, 4, 1
	s_delay_alu instid0(VALU_DEP_1) | instskip(NEXT) | instid1(VALU_DEP_1)
	v_add3_u32 v3, v4, v3, 0x407ffff
	v_and_b32_e32 v4, 0xff00000, v3
	v_lshrrev_b32_e32 v3, 20, v3
	s_delay_alu instid0(VALU_DEP_2) | instskip(NEXT) | instid1(VALU_DEP_2)
	v_cmp_ne_u32_e32 vcc_lo, 0x7f00000, v4
                                        ; implicit-def: $vgpr4
	v_cndmask_b32_e32 v3, 0x7e, v3, vcc_lo
; %bb.1959:
	s_and_not1_saveexec_b32 s3, s3
; %bb.1960:
	v_add_f32_e64 v3, 0x46800000, |v4|
; %bb.1961:
	s_or_b32 exec_lo, exec_lo, s3
                                        ; implicit-def: $vgpr7
.LBB104_1962:
	s_and_not1_saveexec_b32 s2, s2
; %bb.1963:
	v_mov_b32_e32 v3, 0x7f
	v_cmp_lt_u32_e32 vcc_lo, 0x7f800000, v7
	s_delay_alu instid0(VALU_DEP_2)
	v_cndmask_b32_e32 v3, 0x7e, v3, vcc_lo
; %bb.1964:
	s_or_b32 exec_lo, exec_lo, s2
	v_lshrrev_b32_e32 v2, 8, v2
	s_delay_alu instid0(VALU_DEP_1)
	v_and_or_b32 v2, 0x80, v2, v3
	global_store_b8 v[0:1], v2, off
.LBB104_1965:
	s_mov_b32 s2, 0
.LBB104_1966:
	s_delay_alu instid0(SALU_CYCLE_1)
	s_and_not1_b32 vcc_lo, exec_lo, s2
	s_cbranch_vccnz .LBB104_1976
; %bb.1967:
	v_lshlrev_b32_e32 v4, 16, v6
	v_and_b32_e32 v2, 0xffff, v6
	s_mov_b32 s2, exec_lo
                                        ; implicit-def: $vgpr3
	s_delay_alu instid0(VALU_DEP_2) | instskip(NEXT) | instid1(VALU_DEP_1)
	v_and_b32_e32 v7, 0x7fffffff, v4
	v_cmpx_gt_u32_e32 0x47800000, v7
	s_xor_b32 s2, exec_lo, s2
	s_cbranch_execz .LBB104_1973
; %bb.1968:
	s_mov_b32 s3, exec_lo
                                        ; implicit-def: $vgpr3
	v_cmpx_lt_u32_e32 0x387fffff, v7
	s_xor_b32 s3, exec_lo, s3
; %bb.1969:
	v_bfe_u32 v3, v2, 5, 1
	s_delay_alu instid0(VALU_DEP_1) | instskip(NEXT) | instid1(VALU_DEP_1)
	v_add3_u32 v3, v4, v3, 0x80fffff
                                        ; implicit-def: $vgpr4
	v_lshrrev_b32_e32 v3, 21, v3
; %bb.1970:
	s_and_not1_saveexec_b32 s3, s3
; %bb.1971:
	v_add_f32_e64 v3, 0x43000000, |v4|
; %bb.1972:
	s_or_b32 exec_lo, exec_lo, s3
                                        ; implicit-def: $vgpr7
.LBB104_1973:
	s_and_not1_saveexec_b32 s2, s2
; %bb.1974:
	v_mov_b32_e32 v3, 0x7f
	v_cmp_lt_u32_e32 vcc_lo, 0x7f800000, v7
	s_delay_alu instid0(VALU_DEP_2)
	v_cndmask_b32_e32 v3, 0x7c, v3, vcc_lo
; %bb.1975:
	s_or_b32 exec_lo, exec_lo, s2
	v_lshrrev_b32_e32 v2, 8, v2
	s_delay_alu instid0(VALU_DEP_1)
	v_and_or_b32 v2, 0x80, v2, v3
	global_store_b8 v[0:1], v2, off
.LBB104_1976:
	s_mov_b32 s2, 0
.LBB104_1977:
	s_delay_alu instid0(SALU_CYCLE_1)
	s_and_not1_b32 vcc_lo, exec_lo, s2
	s_mov_b32 s2, 0
	s_cbranch_vccnz .LBB104_1984
; %bb.1978:
	v_cmp_lt_i16_e32 vcc_lo, 14, v5
	s_mov_b32 s2, -1
	s_cbranch_vccz .LBB104_1982
; %bb.1979:
	v_cmp_eq_u16_e32 vcc_lo, 15, v5
	s_mov_b32 s0, -1
	s_cbranch_vccz .LBB104_1981
; %bb.1980:
	s_mov_b32 s0, 0
	global_store_b16 v[0:1], v6, off
.LBB104_1981:
	s_mov_b32 s2, 0
.LBB104_1982:
	s_delay_alu instid0(SALU_CYCLE_1)
	s_and_b32 vcc_lo, exec_lo, s2
	s_mov_b32 s2, 0
	s_cbranch_vccz .LBB104_1984
; %bb.1983:
	v_cmp_ne_u16_e64 s0, 11, v5
	s_mov_b32 s2, -1
.LBB104_1984:
	s_delay_alu instid0(VALU_DEP_1)
	s_and_b32 vcc_lo, exec_lo, s0
	s_cbranch_vccnz .LBB104_2061
.LBB104_1985:
	s_mov_b32 s0, 0
	s_branch .LBB104_1987
.LBB104_1986:
	s_mov_b32 s0, 0
	s_mov_b32 s2, 0
                                        ; implicit-def: $vgpr5
                                        ; implicit-def: $vgpr0_vgpr1
                                        ; implicit-def: $vgpr6
.LBB104_1987:
	s_and_not1_b32 s3, s9, exec_lo
	s_and_b32 s4, s1, exec_lo
	s_and_b32 s0, s0, exec_lo
	;; [unrolled: 1-line block ×3, first 2 shown]
	s_or_b32 s9, s3, s4
.LBB104_1988:
	s_or_b32 exec_lo, exec_lo, s8
	s_and_saveexec_b32 s2, s9
	s_cbranch_execz .LBB104_1991
; %bb.1989:
	; divergent unreachable
	s_or_b32 exec_lo, exec_lo, s2
	s_and_saveexec_b32 s2, s1
	s_delay_alu instid0(SALU_CYCLE_1)
	s_xor_b32 s1, exec_lo, s2
	s_cbranch_execnz .LBB104_1992
.LBB104_1990:
	s_or_b32 exec_lo, exec_lo, s1
	s_and_saveexec_b32 s1, s0
	s_cbranch_execnz .LBB104_1993
	s_branch .LBB104_2030
.LBB104_1991:
	s_or_b32 exec_lo, exec_lo, s2
	s_and_saveexec_b32 s2, s1
	s_delay_alu instid0(SALU_CYCLE_1)
	s_xor_b32 s1, exec_lo, s2
	s_cbranch_execz .LBB104_1990
.LBB104_1992:
	s_waitcnt vmcnt(0)
	v_and_b32_e32 v2, 0x7fff, v6
	s_delay_alu instid0(VALU_DEP_1)
	v_cmp_ne_u16_e32 vcc_lo, 0, v2
	v_cndmask_b32_e64 v2, 0, 1, vcc_lo
	global_store_b8 v[0:1], v2, off
	s_or_b32 exec_lo, exec_lo, s1
	s_and_saveexec_b32 s1, s0
	s_cbranch_execz .LBB104_2030
.LBB104_1993:
	s_waitcnt vmcnt(0)
	v_cmp_gt_i16_e32 vcc_lo, 5, v5
	s_mov_b32 s0, -1
	s_cbranch_vccnz .LBB104_2014
; %bb.1994:
	v_cmp_gt_i16_e32 vcc_lo, 8, v5
	s_cbranch_vccnz .LBB104_2004
; %bb.1995:
	v_cmp_gt_i16_e32 vcc_lo, 9, v5
	s_cbranch_vccnz .LBB104_2001
; %bb.1996:
	v_cmp_lt_i16_e32 vcc_lo, 9, v5
	s_cbranch_vccz .LBB104_1998
; %bb.1997:
	v_dual_mov_b32 v9, 0 :: v_dual_lshlrev_b32 v2, 16, v6
	s_mov_b32 s0, 0
	s_delay_alu instid0(VALU_DEP_1) | instskip(NEXT) | instid1(VALU_DEP_2)
	v_cvt_f64_f32_e32 v[7:8], v2
	v_mov_b32_e32 v10, v9
	global_store_b128 v[0:1], v[7:10], off
.LBB104_1998:
	s_and_not1_b32 vcc_lo, exec_lo, s0
	s_cbranch_vccnz .LBB104_2000
; %bb.1999:
	v_dual_mov_b32 v3, 0 :: v_dual_lshlrev_b32 v2, 16, v6
	global_store_b64 v[0:1], v[2:3], off
.LBB104_2000:
	s_mov_b32 s0, 0
.LBB104_2001:
	s_delay_alu instid0(SALU_CYCLE_1)
	s_and_not1_b32 vcc_lo, exec_lo, s0
	s_cbranch_vccnz .LBB104_2003
; %bb.2002:
	v_lshlrev_b32_e32 v2, 16, v6
	s_delay_alu instid0(VALU_DEP_1) | instskip(NEXT) | instid1(VALU_DEP_1)
	v_cvt_f16_f32_e32 v2, v2
	v_and_b32_e32 v2, 0xffff, v2
	global_store_b32 v[0:1], v2, off
.LBB104_2003:
	s_mov_b32 s0, 0
.LBB104_2004:
	s_delay_alu instid0(SALU_CYCLE_1)
	s_and_not1_b32 vcc_lo, exec_lo, s0
	s_cbranch_vccnz .LBB104_2013
; %bb.2005:
	v_cmp_gt_i16_e32 vcc_lo, 6, v5
	s_mov_b32 s0, -1
	s_cbranch_vccnz .LBB104_2011
; %bb.2006:
	v_cmp_lt_i16_e32 vcc_lo, 6, v5
	s_cbranch_vccz .LBB104_2008
; %bb.2007:
	v_lshlrev_b32_e32 v2, 16, v6
	s_mov_b32 s0, 0
	s_delay_alu instid0(VALU_DEP_1)
	v_cvt_f64_f32_e32 v[2:3], v2
	global_store_b64 v[0:1], v[2:3], off
.LBB104_2008:
	s_and_not1_b32 vcc_lo, exec_lo, s0
	s_cbranch_vccnz .LBB104_2010
; %bb.2009:
	v_lshlrev_b32_e32 v2, 16, v6
	global_store_b32 v[0:1], v2, off
.LBB104_2010:
	s_mov_b32 s0, 0
.LBB104_2011:
	s_delay_alu instid0(SALU_CYCLE_1)
	s_and_not1_b32 vcc_lo, exec_lo, s0
	s_cbranch_vccnz .LBB104_2013
; %bb.2012:
	v_lshlrev_b32_e32 v2, 16, v6
	s_delay_alu instid0(VALU_DEP_1)
	v_cvt_f16_f32_e32 v2, v2
	global_store_b16 v[0:1], v2, off
.LBB104_2013:
	s_mov_b32 s0, 0
.LBB104_2014:
	s_delay_alu instid0(SALU_CYCLE_1)
	s_and_not1_b32 vcc_lo, exec_lo, s0
	s_cbranch_vccnz .LBB104_2030
; %bb.2015:
	v_cmp_gt_i16_e32 vcc_lo, 2, v5
	s_mov_b32 s0, -1
	s_cbranch_vccnz .LBB104_2025
; %bb.2016:
	v_cmp_gt_i16_e32 vcc_lo, 3, v5
	s_cbranch_vccnz .LBB104_2022
; %bb.2017:
	v_cmp_lt_i16_e32 vcc_lo, 3, v5
	s_cbranch_vccz .LBB104_2019
; %bb.2018:
	v_lshlrev_b32_e32 v2, 16, v6
	s_mov_b32 s0, 0
	s_delay_alu instid0(VALU_DEP_1) | instskip(NEXT) | instid1(VALU_DEP_1)
	v_trunc_f32_e32 v2, v2
	v_mul_f32_e64 v3, 0x2f800000, |v2|
	v_ashrrev_i32_e32 v7, 31, v2
	s_delay_alu instid0(VALU_DEP_2) | instskip(NEXT) | instid1(VALU_DEP_1)
	v_floor_f32_e32 v3, v3
	v_fma_f32 v4, 0xcf800000, v3, |v2|
	v_cvt_u32_f32_e32 v3, v3
	s_delay_alu instid0(VALU_DEP_2) | instskip(NEXT) | instid1(VALU_DEP_2)
	v_cvt_u32_f32_e32 v2, v4
	v_xor_b32_e32 v3, v3, v7
	s_delay_alu instid0(VALU_DEP_2) | instskip(NEXT) | instid1(VALU_DEP_1)
	v_xor_b32_e32 v2, v2, v7
	v_sub_co_u32 v2, vcc_lo, v2, v7
	s_delay_alu instid0(VALU_DEP_3)
	v_sub_co_ci_u32_e32 v3, vcc_lo, v3, v7, vcc_lo
	global_store_b64 v[0:1], v[2:3], off
.LBB104_2019:
	s_and_not1_b32 vcc_lo, exec_lo, s0
	s_cbranch_vccnz .LBB104_2021
; %bb.2020:
	v_lshlrev_b32_e32 v2, 16, v6
	s_delay_alu instid0(VALU_DEP_1)
	v_cvt_i32_f32_e32 v2, v2
	global_store_b32 v[0:1], v2, off
.LBB104_2021:
	s_mov_b32 s0, 0
.LBB104_2022:
	s_delay_alu instid0(SALU_CYCLE_1)
	s_and_not1_b32 vcc_lo, exec_lo, s0
	s_cbranch_vccnz .LBB104_2024
; %bb.2023:
	v_lshlrev_b32_e32 v2, 16, v6
	s_delay_alu instid0(VALU_DEP_1)
	v_cvt_i32_f32_e32 v2, v2
	global_store_b16 v[0:1], v2, off
.LBB104_2024:
	s_mov_b32 s0, 0
.LBB104_2025:
	s_delay_alu instid0(SALU_CYCLE_1)
	s_and_not1_b32 vcc_lo, exec_lo, s0
	s_cbranch_vccnz .LBB104_2030
; %bb.2026:
	v_cmp_lt_i16_e32 vcc_lo, 0, v5
	v_lshlrev_b32_e32 v2, 16, v6
	s_mov_b32 s0, -1
	s_cbranch_vccz .LBB104_2028
; %bb.2027:
	s_delay_alu instid0(VALU_DEP_1)
	v_cvt_i32_f32_e32 v3, v2
	s_mov_b32 s0, 0
	global_store_b8 v[0:1], v3, off
.LBB104_2028:
	s_and_not1_b32 vcc_lo, exec_lo, s0
	s_cbranch_vccnz .LBB104_2030
; %bb.2029:
	v_trunc_f32_e32 v2, v2
	s_delay_alu instid0(VALU_DEP_1) | instskip(NEXT) | instid1(VALU_DEP_1)
	v_mul_f32_e64 v3, 0x2f800000, |v2|
	v_floor_f32_e32 v3, v3
	s_delay_alu instid0(VALU_DEP_1) | instskip(SKIP_1) | instid1(VALU_DEP_2)
	v_fma_f32 v3, 0xcf800000, v3, |v2|
	v_ashrrev_i32_e32 v2, 31, v2
	v_cvt_u32_f32_e32 v3, v3
	s_delay_alu instid0(VALU_DEP_1) | instskip(NEXT) | instid1(VALU_DEP_1)
	v_xor_b32_e32 v3, v3, v2
	v_sub_nc_u32_e32 v2, v3, v2
	global_store_b8 v[0:1], v2, off
	s_nop 0
	s_sendmsg sendmsg(MSG_DEALLOC_VGPRS)
	s_endpgm
.LBB104_2030:
	s_nop 0
	s_sendmsg sendmsg(MSG_DEALLOC_VGPRS)
	s_endpgm
.LBB104_2031:
	s_cbranch_execnz .LBB104_2035
; %bb.2032:
	s_or_b32 s1, s1, exec_lo
                                        ; implicit-def: $vgpr8
	s_cbranch_execz .LBB104_1504
	s_branch .LBB104_1505
.LBB104_2033:
	s_or_saveexec_b32 s10, s10
                                        ; implicit-def: $sgpr11
	s_delay_alu instid0(SALU_CYCLE_1)
	s_xor_b32 exec_lo, exec_lo, s10
	s_cbranch_execz .LBB104_1584
.LBB104_2034:
	v_add_f32_e64 v9, 0x46000000, |v10|
	s_and_not1_b32 s7, s7, exec_lo
	s_mov_b32 s11, 0
	s_delay_alu instid0(VALU_DEP_1) | instskip(NEXT) | instid1(VALU_DEP_1)
	v_and_b32_e32 v9, 0xff, v9
	v_cmp_ne_u32_e32 vcc_lo, 0, v9
	s_and_b32 s12, vcc_lo, exec_lo
	s_delay_alu instid0(SALU_CYCLE_1)
	s_or_b32 s7, s7, s12
	s_or_b32 exec_lo, exec_lo, s10
	v_mov_b32_e32 v11, s11
	s_and_saveexec_b32 s10, s7
	s_cbranch_execnz .LBB104_1585
	s_branch .LBB104_1586
.LBB104_2035:
	s_trap 2
	s_sendmsg_rtn_b32 s0, sendmsg(MSG_RTN_GET_DOORBELL)
	s_mov_b32 ttmp2, m0
	s_waitcnt lgkmcnt(0)
	s_and_b32 s0, s0, 0x3ff
	s_delay_alu instid0(SALU_CYCLE_1) | instskip(NEXT) | instid1(SALU_CYCLE_1)
	s_bitset1_b32 s0, 10
	s_mov_b32 m0, s0
	s_sendmsg sendmsg(MSG_INTERRUPT)
	s_mov_b32 m0, ttmp2
.LBB104_2036:                           ; =>This Inner Loop Header: Depth=1
	s_sethalt 5
	s_branch .LBB104_2036
.LBB104_2037:
	s_cbranch_execnz .LBB104_2043
; %bb.2038:
	s_or_b32 s1, s1, exec_lo
	s_cbranch_execz .LBB104_1632
	s_branch .LBB104_1633
.LBB104_2039:
	s_or_saveexec_b32 s7, s7
                                        ; implicit-def: $sgpr10
	s_delay_alu instid0(SALU_CYCLE_1)
	s_xor_b32 exec_lo, exec_lo, s7
	s_cbranch_execz .LBB104_1597
.LBB104_2040:
	v_add_f32_e64 v9, 0x42800000, |v10|
	s_and_not1_b32 s6, s6, exec_lo
	s_mov_b32 s10, 0
	s_delay_alu instid0(VALU_DEP_1) | instskip(NEXT) | instid1(VALU_DEP_1)
	v_and_b32_e32 v9, 0xff, v9
	v_cmp_ne_u32_e32 vcc_lo, 0, v9
	s_and_b32 s11, vcc_lo, exec_lo
	s_delay_alu instid0(SALU_CYCLE_1)
	s_or_b32 s6, s6, s11
	s_or_b32 exec_lo, exec_lo, s7
	v_mov_b32_e32 v11, s10
	s_and_saveexec_b32 s7, s6
	s_cbranch_execnz .LBB104_1598
	s_branch .LBB104_1599
.LBB104_2041:
	s_or_saveexec_b32 s10, s10
                                        ; implicit-def: $sgpr11
	s_delay_alu instid0(SALU_CYCLE_1)
	s_xor_b32 exec_lo, exec_lo, s10
	s_cbranch_execz .LBB104_1702
.LBB104_2042:
	v_add_f32_e64 v6, 0x46000000, |v9|
	s_and_not1_b32 s7, s7, exec_lo
	s_mov_b32 s11, 0
	s_delay_alu instid0(VALU_DEP_1) | instskip(NEXT) | instid1(VALU_DEP_1)
	v_and_b32_e32 v6, 0xff, v6
	v_cmp_ne_u32_e32 vcc_lo, 0, v6
	s_and_b32 s12, vcc_lo, exec_lo
	s_delay_alu instid0(SALU_CYCLE_1)
	s_or_b32 s7, s7, s12
	s_or_b32 exec_lo, exec_lo, s10
	v_mov_b32_e32 v10, s11
	s_and_saveexec_b32 s10, s7
	s_cbranch_execnz .LBB104_1703
	s_branch .LBB104_1704
.LBB104_2043:
	s_trap 2
	s_sendmsg_rtn_b32 s0, sendmsg(MSG_RTN_GET_DOORBELL)
	s_mov_b32 ttmp2, m0
	s_waitcnt lgkmcnt(0)
	s_and_b32 s0, s0, 0x3ff
	s_delay_alu instid0(SALU_CYCLE_1) | instskip(NEXT) | instid1(SALU_CYCLE_1)
	s_bitset1_b32 s0, 10
	s_mov_b32 m0, s0
	s_sendmsg sendmsg(MSG_INTERRUPT)
	s_mov_b32 m0, ttmp2
.LBB104_2044:                           ; =>This Inner Loop Header: Depth=1
	s_sethalt 5
	s_branch .LBB104_2044
.LBB104_2045:
	s_cbranch_execnz .LBB104_2051
; %bb.2046:
	s_or_b32 s1, s1, exec_lo
	s_cbranch_execz .LBB104_1750
	s_branch .LBB104_1751
.LBB104_2047:
	s_or_saveexec_b32 s7, s7
                                        ; implicit-def: $sgpr10
	s_delay_alu instid0(SALU_CYCLE_1)
	s_xor_b32 exec_lo, exec_lo, s7
	s_cbranch_execz .LBB104_1715
.LBB104_2048:
	v_add_f32_e64 v6, 0x42800000, |v9|
	s_and_not1_b32 s6, s6, exec_lo
	s_mov_b32 s10, 0
	s_delay_alu instid0(VALU_DEP_1) | instskip(NEXT) | instid1(VALU_DEP_1)
	v_and_b32_e32 v6, 0xff, v6
	v_cmp_ne_u32_e32 vcc_lo, 0, v6
	s_and_b32 s11, vcc_lo, exec_lo
	s_delay_alu instid0(SALU_CYCLE_1)
	s_or_b32 s6, s6, s11
	s_or_b32 exec_lo, exec_lo, s7
	v_mov_b32_e32 v10, s10
	s_and_saveexec_b32 s7, s6
	s_cbranch_execnz .LBB104_1716
	s_branch .LBB104_1717
.LBB104_2049:
	s_or_saveexec_b32 s10, s10
                                        ; implicit-def: $sgpr11
	s_delay_alu instid0(SALU_CYCLE_1)
	s_xor_b32 exec_lo, exec_lo, s10
	s_cbranch_execz .LBB104_1820
.LBB104_2050:
	v_add_f32_e64 v6, 0x46000000, |v7|
	s_and_not1_b32 s7, s7, exec_lo
	s_mov_b32 s11, 0
	s_delay_alu instid0(VALU_DEP_1) | instskip(NEXT) | instid1(VALU_DEP_1)
	v_and_b32_e32 v6, 0xff, v6
	v_cmp_ne_u32_e32 vcc_lo, 0, v6
	s_and_b32 s12, vcc_lo, exec_lo
	s_delay_alu instid0(SALU_CYCLE_1)
	s_or_b32 s7, s7, s12
	s_or_b32 exec_lo, exec_lo, s10
	v_mov_b32_e32 v9, s11
	s_and_saveexec_b32 s10, s7
	s_cbranch_execnz .LBB104_1821
	s_branch .LBB104_1822
.LBB104_2051:
	s_trap 2
	s_sendmsg_rtn_b32 s0, sendmsg(MSG_RTN_GET_DOORBELL)
	s_mov_b32 ttmp2, m0
	s_waitcnt lgkmcnt(0)
	s_and_b32 s0, s0, 0x3ff
	s_delay_alu instid0(SALU_CYCLE_1) | instskip(NEXT) | instid1(SALU_CYCLE_1)
	s_bitset1_b32 s0, 10
	s_mov_b32 m0, s0
	s_sendmsg sendmsg(MSG_INTERRUPT)
	s_mov_b32 m0, ttmp2
.LBB104_2052:                           ; =>This Inner Loop Header: Depth=1
	s_sethalt 5
	s_branch .LBB104_2052
.LBB104_2053:
	s_cbranch_execnz .LBB104_2059
; %bb.2054:
	s_or_b32 s1, s1, exec_lo
	s_cbranch_execz .LBB104_1868
	s_branch .LBB104_1869
.LBB104_2055:
	s_or_saveexec_b32 s7, s7
                                        ; implicit-def: $sgpr10
	s_delay_alu instid0(SALU_CYCLE_1)
	s_xor_b32 exec_lo, exec_lo, s7
	s_cbranch_execz .LBB104_1833
.LBB104_2056:
	v_add_f32_e64 v6, 0x42800000, |v7|
	s_and_not1_b32 s6, s6, exec_lo
	s_mov_b32 s10, 0
	s_delay_alu instid0(VALU_DEP_1) | instskip(NEXT) | instid1(VALU_DEP_1)
	v_and_b32_e32 v6, 0xff, v6
	v_cmp_ne_u32_e32 vcc_lo, 0, v6
	s_and_b32 s11, vcc_lo, exec_lo
	s_delay_alu instid0(SALU_CYCLE_1)
	s_or_b32 s6, s6, s11
	s_or_b32 exec_lo, exec_lo, s7
	v_mov_b32_e32 v9, s10
	s_and_saveexec_b32 s7, s6
	s_cbranch_execnz .LBB104_1834
	s_branch .LBB104_1835
.LBB104_2057:
	s_or_saveexec_b32 s5, s5
                                        ; implicit-def: $sgpr6
	s_delay_alu instid0(SALU_CYCLE_1)
	s_xor_b32 exec_lo, exec_lo, s5
	s_cbranch_execz .LBB104_1939
.LBB104_2058:
	v_add_f32_e64 v3, 0x46000000, |v4|
	s_and_not1_b32 s4, s4, exec_lo
	s_mov_b32 s6, 0
	s_delay_alu instid0(VALU_DEP_1) | instskip(NEXT) | instid1(VALU_DEP_1)
	v_and_b32_e32 v3, 0xff, v3
	v_cmp_ne_u32_e32 vcc_lo, 0, v3
	s_and_b32 s7, vcc_lo, exec_lo
	s_delay_alu instid0(SALU_CYCLE_1)
	s_or_b32 s4, s4, s7
	s_or_b32 exec_lo, exec_lo, s5
	v_mov_b32_e32 v7, s6
	s_and_saveexec_b32 s5, s4
	s_cbranch_execnz .LBB104_1940
	s_branch .LBB104_1941
.LBB104_2059:
	s_trap 2
	s_sendmsg_rtn_b32 s0, sendmsg(MSG_RTN_GET_DOORBELL)
	s_mov_b32 ttmp2, m0
	s_waitcnt lgkmcnt(0)
	s_and_b32 s0, s0, 0x3ff
	s_delay_alu instid0(SALU_CYCLE_1) | instskip(NEXT) | instid1(SALU_CYCLE_1)
	s_bitset1_b32 s0, 10
	s_mov_b32 m0, s0
	s_sendmsg sendmsg(MSG_INTERRUPT)
	s_mov_b32 m0, ttmp2
.LBB104_2060:                           ; =>This Inner Loop Header: Depth=1
	s_sethalt 5
	s_branch .LBB104_2060
.LBB104_2061:
	s_cbranch_execnz .LBB104_2065
; %bb.2062:
	s_mov_b32 s2, 0
	s_or_b32 s1, s1, exec_lo
	s_branch .LBB104_1985
.LBB104_2063:
	s_or_saveexec_b32 s4, s4
                                        ; implicit-def: $sgpr5
	s_delay_alu instid0(SALU_CYCLE_1)
	s_xor_b32 exec_lo, exec_lo, s4
	s_cbranch_execz .LBB104_1951
.LBB104_2064:
	v_add_f32_e64 v3, 0x42800000, |v4|
	s_and_not1_b32 s3, s3, exec_lo
	s_mov_b32 s5, 0
	s_delay_alu instid0(VALU_DEP_1) | instskip(NEXT) | instid1(VALU_DEP_1)
	v_and_b32_e32 v3, 0xff, v3
	v_cmp_ne_u32_e32 vcc_lo, 0, v3
	s_and_b32 s6, vcc_lo, exec_lo
	s_delay_alu instid0(SALU_CYCLE_1)
	s_or_b32 s3, s3, s6
	s_or_b32 exec_lo, exec_lo, s4
	v_mov_b32_e32 v7, s5
	s_and_saveexec_b32 s4, s3
	s_cbranch_execnz .LBB104_1952
	s_branch .LBB104_1953
.LBB104_2065:
	s_trap 2
	s_sendmsg_rtn_b32 s0, sendmsg(MSG_RTN_GET_DOORBELL)
	s_mov_b32 ttmp2, m0
	s_waitcnt lgkmcnt(0)
	s_and_b32 s0, s0, 0x3ff
	s_delay_alu instid0(SALU_CYCLE_1) | instskip(NEXT) | instid1(SALU_CYCLE_1)
	s_bitset1_b32 s0, 10
	s_mov_b32 m0, s0
	s_sendmsg sendmsg(MSG_INTERRUPT)
	s_mov_b32 m0, ttmp2
.LBB104_2066:                           ; =>This Inner Loop Header: Depth=1
	s_sethalt 5
	s_branch .LBB104_2066
	.section	.rodata,"a",@progbits
	.p2align	6, 0x0
	.amdhsa_kernel _ZN2at6native32elementwise_kernel_manual_unrollILi128ELi4EZNS0_15gpu_kernel_implIZZZNS0_15exp_kernel_cudaERNS_18TensorIteratorBaseEENKUlvE0_clEvENKUlvE2_clEvEUlN3c108BFloat16EE_EEvS4_RKT_EUlibE_EEviT1_
		.amdhsa_group_segment_fixed_size 0
		.amdhsa_private_segment_fixed_size 0
		.amdhsa_kernarg_size 40
		.amdhsa_user_sgpr_count 15
		.amdhsa_user_sgpr_dispatch_ptr 0
		.amdhsa_user_sgpr_queue_ptr 0
		.amdhsa_user_sgpr_kernarg_segment_ptr 1
		.amdhsa_user_sgpr_dispatch_id 0
		.amdhsa_user_sgpr_private_segment_size 0
		.amdhsa_wavefront_size32 1
		.amdhsa_uses_dynamic_stack 0
		.amdhsa_enable_private_segment 0
		.amdhsa_system_sgpr_workgroup_id_x 1
		.amdhsa_system_sgpr_workgroup_id_y 0
		.amdhsa_system_sgpr_workgroup_id_z 0
		.amdhsa_system_sgpr_workgroup_info 0
		.amdhsa_system_vgpr_workitem_id 0
		.amdhsa_next_free_vgpr 13
		.amdhsa_next_free_sgpr 24
		.amdhsa_reserve_vcc 1
		.amdhsa_float_round_mode_32 0
		.amdhsa_float_round_mode_16_64 0
		.amdhsa_float_denorm_mode_32 3
		.amdhsa_float_denorm_mode_16_64 3
		.amdhsa_dx10_clamp 1
		.amdhsa_ieee_mode 1
		.amdhsa_fp16_overflow 0
		.amdhsa_workgroup_processor_mode 1
		.amdhsa_memory_ordered 1
		.amdhsa_forward_progress 0
		.amdhsa_shared_vgpr_count 0
		.amdhsa_exception_fp_ieee_invalid_op 0
		.amdhsa_exception_fp_denorm_src 0
		.amdhsa_exception_fp_ieee_div_zero 0
		.amdhsa_exception_fp_ieee_overflow 0
		.amdhsa_exception_fp_ieee_underflow 0
		.amdhsa_exception_fp_ieee_inexact 0
		.amdhsa_exception_int_div_zero 0
	.end_amdhsa_kernel
	.section	.text._ZN2at6native32elementwise_kernel_manual_unrollILi128ELi4EZNS0_15gpu_kernel_implIZZZNS0_15exp_kernel_cudaERNS_18TensorIteratorBaseEENKUlvE0_clEvENKUlvE2_clEvEUlN3c108BFloat16EE_EEvS4_RKT_EUlibE_EEviT1_,"axG",@progbits,_ZN2at6native32elementwise_kernel_manual_unrollILi128ELi4EZNS0_15gpu_kernel_implIZZZNS0_15exp_kernel_cudaERNS_18TensorIteratorBaseEENKUlvE0_clEvENKUlvE2_clEvEUlN3c108BFloat16EE_EEvS4_RKT_EUlibE_EEviT1_,comdat
.Lfunc_end104:
	.size	_ZN2at6native32elementwise_kernel_manual_unrollILi128ELi4EZNS0_15gpu_kernel_implIZZZNS0_15exp_kernel_cudaERNS_18TensorIteratorBaseEENKUlvE0_clEvENKUlvE2_clEvEUlN3c108BFloat16EE_EEvS4_RKT_EUlibE_EEviT1_, .Lfunc_end104-_ZN2at6native32elementwise_kernel_manual_unrollILi128ELi4EZNS0_15gpu_kernel_implIZZZNS0_15exp_kernel_cudaERNS_18TensorIteratorBaseEENKUlvE0_clEvENKUlvE2_clEvEUlN3c108BFloat16EE_EEvS4_RKT_EUlibE_EEviT1_
                                        ; -- End function
	.section	.AMDGPU.csdata,"",@progbits
; Kernel info:
; codeLenInByte = 42904
; NumSgprs: 26
; NumVgprs: 13
; ScratchSize: 0
; MemoryBound: 0
; FloatMode: 240
; IeeeMode: 1
; LDSByteSize: 0 bytes/workgroup (compile time only)
; SGPRBlocks: 3
; VGPRBlocks: 1
; NumSGPRsForWavesPerEU: 26
; NumVGPRsForWavesPerEU: 13
; Occupancy: 16
; WaveLimiterHint : 0
; COMPUTE_PGM_RSRC2:SCRATCH_EN: 0
; COMPUTE_PGM_RSRC2:USER_SGPR: 15
; COMPUTE_PGM_RSRC2:TRAP_HANDLER: 0
; COMPUTE_PGM_RSRC2:TGID_X_EN: 1
; COMPUTE_PGM_RSRC2:TGID_Y_EN: 0
; COMPUTE_PGM_RSRC2:TGID_Z_EN: 0
; COMPUTE_PGM_RSRC2:TIDIG_COMP_CNT: 0
	.section	.text._ZN2at6native32elementwise_kernel_manual_unrollILi128ELi4EZNS0_15gpu_kernel_implIZZZNS0_15exp_kernel_cudaERNS_18TensorIteratorBaseEENKUlvE0_clEvENKUlvE2_clEvEUlN3c108BFloat16EE_EEvS4_RKT_EUlibE0_EEviT1_,"axG",@progbits,_ZN2at6native32elementwise_kernel_manual_unrollILi128ELi4EZNS0_15gpu_kernel_implIZZZNS0_15exp_kernel_cudaERNS_18TensorIteratorBaseEENKUlvE0_clEvENKUlvE2_clEvEUlN3c108BFloat16EE_EEvS4_RKT_EUlibE0_EEviT1_,comdat
	.globl	_ZN2at6native32elementwise_kernel_manual_unrollILi128ELi4EZNS0_15gpu_kernel_implIZZZNS0_15exp_kernel_cudaERNS_18TensorIteratorBaseEENKUlvE0_clEvENKUlvE2_clEvEUlN3c108BFloat16EE_EEvS4_RKT_EUlibE0_EEviT1_ ; -- Begin function _ZN2at6native32elementwise_kernel_manual_unrollILi128ELi4EZNS0_15gpu_kernel_implIZZZNS0_15exp_kernel_cudaERNS_18TensorIteratorBaseEENKUlvE0_clEvENKUlvE2_clEvEUlN3c108BFloat16EE_EEvS4_RKT_EUlibE0_EEviT1_
	.p2align	8
	.type	_ZN2at6native32elementwise_kernel_manual_unrollILi128ELi4EZNS0_15gpu_kernel_implIZZZNS0_15exp_kernel_cudaERNS_18TensorIteratorBaseEENKUlvE0_clEvENKUlvE2_clEvEUlN3c108BFloat16EE_EEvS4_RKT_EUlibE0_EEviT1_,@function
_ZN2at6native32elementwise_kernel_manual_unrollILi128ELi4EZNS0_15gpu_kernel_implIZZZNS0_15exp_kernel_cudaERNS_18TensorIteratorBaseEENKUlvE0_clEvENKUlvE2_clEvEUlN3c108BFloat16EE_EEvS4_RKT_EUlibE0_EEviT1_: ; @_ZN2at6native32elementwise_kernel_manual_unrollILi128ELi4EZNS0_15gpu_kernel_implIZZZNS0_15exp_kernel_cudaERNS_18TensorIteratorBaseEENKUlvE0_clEvENKUlvE2_clEvEUlN3c108BFloat16EE_EEvS4_RKT_EUlibE0_EEviT1_
; %bb.0:
	s_clause 0x1
	s_load_b32 s24, s[0:1], 0x8
	s_load_b32 s30, s[0:1], 0x0
	v_lshl_or_b32 v5, s15, 9, v0
	s_or_b32 s16, s0, 8
	s_mov_b32 s3, -1
	s_mov_b32 s26, 0
	s_mov_b32 s17, s1
	v_or_b32_e32 v8, 0x180, v5
	s_mov_b32 s8, 0
	s_mov_b32 s2, exec_lo
	s_waitcnt lgkmcnt(0)
	s_add_i32 s25, s24, -1
	s_delay_alu instid0(SALU_CYCLE_1)
	s_cmp_gt_u32 s25, 1
	s_cselect_b32 s27, -1, 0
	v_cmpx_le_i32_e64 s30, v8
	s_xor_b32 s28, exec_lo, s2
	s_cbranch_execz .LBB105_1076
; %bb.1:
	v_mov_b32_e32 v0, 0
	s_clause 0x3
	s_load_b128 s[12:15], s[16:17], 0x4
	s_load_b64 s[18:19], s[16:17], 0x14
	s_load_b128 s[8:11], s[16:17], 0xc4
	s_load_b128 s[4:7], s[16:17], 0x148
	s_cmp_lg_u32 s24, 0
	s_mov_b32 s37, 0
	s_cselect_b32 s33, -1, 0
	global_load_u16 v3, v0, s[16:17] offset:345
	s_add_u32 s20, s16, 0xc4
	s_addc_u32 s21, s17, 0
	s_min_u32 s31, s25, 15
	s_cmp_gt_u32 s24, 1
	s_mov_b32 s35, 0
	s_cselect_b32 s29, -1, 0
	s_mov_b32 s34, 0
	s_mov_b32 s36, exec_lo
	s_waitcnt vmcnt(0)
	v_lshrrev_b16 v4, 8, v3
	v_cmpx_gt_i32_e64 s30, v5
	s_cbranch_execz .LBB105_263
; %bb.2:
	s_and_not1_b32 vcc_lo, exec_lo, s27
	s_cbranch_vccnz .LBB105_7
; %bb.3:
	v_dual_mov_b32 v0, 0 :: v_dual_mov_b32 v1, 0
	s_and_not1_b32 vcc_lo, exec_lo, s33
	s_cbranch_vccnz .LBB105_12
; %bb.4:
	v_mov_b32_e32 v0, 0
	s_add_i32 s38, s31, 1
	s_cmp_eq_u32 s25, 2
	s_cbranch_scc1 .LBB105_8
; %bb.5:
	v_dual_mov_b32 v1, 0 :: v_dual_mov_b32 v0, 0
	v_mov_b32_e32 v2, v5
	s_and_b32 s35, s38, 28
	s_mov_b32 s39, 0
	s_mov_b64 s[2:3], s[20:21]
	s_mov_b64 s[22:23], s[16:17]
.LBB105_6:                              ; =>This Inner Loop Header: Depth=1
	s_clause 0x1
	s_load_b256 s[40:47], s[22:23], 0x4
	s_load_b128 s[56:59], s[22:23], 0x24
	s_load_b256 s[48:55], s[2:3], 0x0
	s_add_u32 s22, s22, 48
	s_addc_u32 s23, s23, 0
	s_add_i32 s39, s39, 4
	s_add_u32 s2, s2, 32
	s_addc_u32 s3, s3, 0
	s_cmp_lg_u32 s35, s39
	s_waitcnt lgkmcnt(0)
	v_mul_hi_u32 v6, s41, v2
	s_delay_alu instid0(VALU_DEP_1) | instskip(NEXT) | instid1(VALU_DEP_1)
	v_add_nc_u32_e32 v6, v2, v6
	v_lshrrev_b32_e32 v6, s42, v6
	s_delay_alu instid0(VALU_DEP_1) | instskip(SKIP_1) | instid1(VALU_DEP_2)
	v_mul_hi_u32 v7, s44, v6
	v_mul_lo_u32 v9, v6, s40
	v_add_nc_u32_e32 v7, v6, v7
	s_delay_alu instid0(VALU_DEP_2) | instskip(NEXT) | instid1(VALU_DEP_2)
	v_sub_nc_u32_e32 v2, v2, v9
	v_lshrrev_b32_e32 v7, s45, v7
	s_delay_alu instid0(VALU_DEP_2) | instskip(SKIP_1) | instid1(VALU_DEP_3)
	v_mul_lo_u32 v9, v2, s48
	v_mul_lo_u32 v11, v2, s49
	v_mul_hi_u32 v8, s47, v7
	s_delay_alu instid0(VALU_DEP_1) | instskip(NEXT) | instid1(VALU_DEP_1)
	v_add_nc_u32_e32 v8, v7, v8
	v_lshrrev_b32_e32 v8, s56, v8
	s_delay_alu instid0(VALU_DEP_1) | instskip(SKIP_1) | instid1(VALU_DEP_2)
	v_mul_hi_u32 v10, s58, v8
	v_mul_lo_u32 v12, v8, s46
	v_add_nc_u32_e32 v2, v8, v10
	v_mul_lo_u32 v10, v7, s43
	s_delay_alu instid0(VALU_DEP_3) | instskip(NEXT) | instid1(VALU_DEP_3)
	v_sub_nc_u32_e32 v7, v7, v12
	v_lshrrev_b32_e32 v2, s59, v2
	s_delay_alu instid0(VALU_DEP_2) | instskip(SKIP_2) | instid1(VALU_DEP_4)
	v_mul_lo_u32 v12, v7, s52
	v_mul_lo_u32 v7, v7, s53
	v_sub_nc_u32_e32 v6, v6, v10
	v_mul_lo_u32 v13, v2, s57
	s_delay_alu instid0(VALU_DEP_2) | instskip(SKIP_1) | instid1(VALU_DEP_3)
	v_mul_lo_u32 v10, v6, s50
	v_mul_lo_u32 v6, v6, s51
	v_sub_nc_u32_e32 v8, v8, v13
	s_delay_alu instid0(VALU_DEP_3) | instskip(NEXT) | instid1(VALU_DEP_2)
	v_add3_u32 v0, v9, v0, v10
	v_mul_lo_u32 v13, v8, s54
	v_mul_lo_u32 v8, v8, s55
	v_add3_u32 v1, v11, v1, v6
	s_delay_alu instid0(VALU_DEP_3) | instskip(NEXT) | instid1(VALU_DEP_2)
	v_add3_u32 v0, v12, v0, v13
	v_add3_u32 v1, v7, v1, v8
	s_cbranch_scc1 .LBB105_6
	s_branch .LBB105_9
.LBB105_7:
	s_mov_b32 s34, -1
                                        ; implicit-def: $vgpr0
                                        ; implicit-def: $vgpr1
	s_branch .LBB105_12
.LBB105_8:
	v_dual_mov_b32 v2, v5 :: v_dual_mov_b32 v1, 0
.LBB105_9:
	s_and_b32 s38, s38, 3
	s_delay_alu instid0(SALU_CYCLE_1)
	s_cmp_eq_u32 s38, 0
	s_cbranch_scc1 .LBB105_12
; %bb.10:
	s_lshl_b32 s2, s35, 3
	s_mul_i32 s22, s35, 12
	s_add_u32 s2, s2, s16
	s_addc_u32 s3, s17, 0
	s_add_u32 s2, s2, 0xc4
	s_addc_u32 s3, s3, 0
	;; [unrolled: 2-line block ×3, first 2 shown]
	.p2align	6
.LBB105_11:                             ; =>This Inner Loop Header: Depth=1
	s_clause 0x1
	s_load_b64 s[40:41], s[22:23], 0x4
	s_load_b32 s35, s[22:23], 0xc
	s_load_b64 s[42:43], s[2:3], 0x0
	s_add_u32 s22, s22, 12
	s_addc_u32 s23, s23, 0
	s_add_u32 s2, s2, 8
	s_addc_u32 s3, s3, 0
	s_add_i32 s38, s38, -1
	s_delay_alu instid0(SALU_CYCLE_1) | instskip(SKIP_2) | instid1(VALU_DEP_1)
	s_cmp_lg_u32 s38, 0
	s_waitcnt lgkmcnt(0)
	v_mul_hi_u32 v6, s41, v2
	v_add_nc_u32_e32 v6, v2, v6
	s_delay_alu instid0(VALU_DEP_1) | instskip(NEXT) | instid1(VALU_DEP_1)
	v_lshrrev_b32_e32 v9, s35, v6
	v_mul_lo_u32 v6, v9, s40
	s_delay_alu instid0(VALU_DEP_1) | instskip(NEXT) | instid1(VALU_DEP_1)
	v_sub_nc_u32_e32 v2, v2, v6
	v_mad_u64_u32 v[6:7], null, v2, s42, v[0:1]
	v_mad_u64_u32 v[7:8], null, v2, s43, v[1:2]
	v_mov_b32_e32 v2, v9
	s_delay_alu instid0(VALU_DEP_2)
	v_dual_mov_b32 v0, v6 :: v_dual_mov_b32 v1, v7
	s_cbranch_scc1 .LBB105_11
.LBB105_12:
	s_and_not1_b32 vcc_lo, exec_lo, s34
	s_cbranch_vccnz .LBB105_15
; %bb.13:
	s_waitcnt lgkmcnt(0)
	v_mul_hi_u32 v0, s13, v5
	s_and_not1_b32 vcc_lo, exec_lo, s29
	s_delay_alu instid0(VALU_DEP_1) | instskip(NEXT) | instid1(VALU_DEP_1)
	v_add_nc_u32_e32 v0, v5, v0
	v_lshrrev_b32_e32 v2, s14, v0
	s_delay_alu instid0(VALU_DEP_1) | instskip(NEXT) | instid1(VALU_DEP_1)
	v_mul_lo_u32 v0, v2, s12
	v_sub_nc_u32_e32 v1, v5, v0
	s_delay_alu instid0(VALU_DEP_1)
	v_mul_lo_u32 v0, v1, s8
	v_mul_lo_u32 v1, v1, s9
	s_cbranch_vccnz .LBB105_15
; %bb.14:
	v_mul_hi_u32 v6, s18, v2
	s_delay_alu instid0(VALU_DEP_1) | instskip(NEXT) | instid1(VALU_DEP_1)
	v_add_nc_u32_e32 v6, v2, v6
	v_lshrrev_b32_e32 v6, s19, v6
	s_delay_alu instid0(VALU_DEP_1) | instskip(NEXT) | instid1(VALU_DEP_1)
	v_mul_lo_u32 v6, v6, s15
	v_sub_nc_u32_e32 v2, v2, v6
	s_delay_alu instid0(VALU_DEP_1) | instskip(SKIP_1) | instid1(VALU_DEP_1)
	v_mad_u64_u32 v[6:7], null, v2, s10, v[0:1]
	v_mad_u64_u32 v[7:8], null, v2, s11, v[1:2]
	v_dual_mov_b32 v0, v6 :: v_dual_mov_b32 v1, v7
.LBB105_15:
	v_cmp_gt_i16_e32 vcc_lo, 11, v4
	s_waitcnt lgkmcnt(0)
	s_delay_alu instid0(VALU_DEP_2) | instskip(NEXT) | instid1(VALU_DEP_1)
	v_add_co_u32 v1, s2, s6, v1
	v_add_co_ci_u32_e64 v2, null, s7, 0, s2
	s_mov_b32 s3, 0
	s_cbranch_vccnz .LBB105_22
; %bb.16:
	v_cmp_lt_i16_e32 vcc_lo, 25, v4
	s_cbranch_vccz .LBB105_141
; %bb.17:
	v_cmp_lt_i16_e32 vcc_lo, 28, v4
	s_cbranch_vccz .LBB105_142
	;; [unrolled: 3-line block ×4, first 2 shown]
; %bb.20:
	v_cmp_eq_u16_e32 vcc_lo, 46, v4
	s_mov_b32 s22, 0
	s_cbranch_vccz .LBB105_145
; %bb.21:
	global_load_b32 v6, v[1:2], off
	s_mov_b32 s2, -1
	s_branch .LBB105_147
.LBB105_22:
	s_mov_b32 s2, 0
                                        ; implicit-def: $vgpr6
	s_cbranch_execnz .LBB105_213
.LBB105_23:
	s_and_not1_b32 vcc_lo, exec_lo, s2
	s_cbranch_vccnz .LBB105_260
.LBB105_24:
	s_waitcnt vmcnt(0)
	s_delay_alu instid0(VALU_DEP_1) | instskip(SKIP_3) | instid1(VALU_DEP_2)
	v_lshlrev_b32_e32 v1, 16, v6
	v_add_co_u32 v0, s2, s4, v0
	s_mov_b32 s22, 0
	s_mov_b32 s23, -1
	v_mul_f32_e32 v2, 0x3fb8aa3b, v1
	s_delay_alu instid0(VALU_DEP_1) | instskip(SKIP_1) | instid1(VALU_DEP_1)
	v_rndne_f32_e32 v6, v2
	v_fma_f32 v7, 0x3fb8aa3b, v1, -v2
	v_dual_sub_f32 v2, v2, v6 :: v_dual_fmamk_f32 v7, v1, 0x32a5705f, v7
	v_cvt_i32_f32_e32 v6, v6
	s_delay_alu instid0(VALU_DEP_2) | instskip(SKIP_1) | instid1(VALU_DEP_2)
	v_add_f32_e32 v2, v2, v7
	v_cmp_ngt_f32_e32 vcc_lo, 0xc2ce8ed0, v1
	v_exp_f32_e32 v2, v2
	s_waitcnt_depctr 0xfff
	v_ldexp_f32 v2, v2, v6
	s_delay_alu instid0(VALU_DEP_1) | instskip(SKIP_1) | instid1(VALU_DEP_2)
	v_cndmask_b32_e32 v2, 0, v2, vcc_lo
	v_cmp_nlt_f32_e32 vcc_lo, 0x42b17218, v1
	v_cndmask_b32_e32 v6, 0x7f800000, v2, vcc_lo
	v_and_b32_e32 v2, 0xff, v3
	s_delay_alu instid0(VALU_DEP_2) | instskip(NEXT) | instid1(VALU_DEP_2)
	v_bfe_u32 v1, v6, 16, 1
	v_cmp_gt_i16_e32 vcc_lo, 11, v2
	s_delay_alu instid0(VALU_DEP_2) | instskip(SKIP_1) | instid1(VALU_DEP_1)
	v_add3_u32 v1, v6, v1, 0x7fff
	s_and_b32 vcc_lo, exec_lo, vcc_lo
	v_lshrrev_b32_e32 v7, 16, v1
	v_add_co_ci_u32_e64 v1, null, s5, 0, s2
	v_cmp_o_f32_e64 s2, v6, v6
	s_delay_alu instid0(VALU_DEP_1)
	v_cndmask_b32_e64 v6, 0x7fc0, v7, s2
	s_mov_b32 s2, 0
	s_cbranch_vccnz .LBB105_101
; %bb.25:
	v_cmp_lt_i16_e32 vcc_lo, 25, v2
	s_cbranch_vccz .LBB105_58
; %bb.26:
	v_cmp_lt_i16_e32 vcc_lo, 28, v2
	s_cbranch_vccz .LBB105_41
	;; [unrolled: 3-line block ×4, first 2 shown]
; %bb.29:
	v_cmp_eq_u16_e32 vcc_lo, 46, v2
	s_mov_b32 s23, 0
	s_mov_b32 s22, -1
	s_cbranch_vccz .LBB105_31
; %bb.30:
	v_and_b32_e32 v7, 0xffff, v6
	s_mov_b32 s2, -1
	s_mov_b32 s22, 0
	global_store_b32 v[0:1], v7, off
.LBB105_31:
	s_and_b32 vcc_lo, exec_lo, s23
	s_cbranch_vccz .LBB105_36
; %bb.32:
	v_cmp_eq_u16_e32 vcc_lo, 44, v2
	s_mov_b32 s22, -1
	s_cbranch_vccz .LBB105_36
; %bb.33:
	v_and_b32_e32 v7, 0xffff, v6
	v_mov_b32_e32 v8, 0xff
	s_mov_b32 s22, exec_lo
	s_delay_alu instid0(VALU_DEP_2) | instskip(NEXT) | instid1(VALU_DEP_1)
	v_bfe_u32 v9, v7, 7, 8
	v_cmpx_ne_u32_e32 0xff, v9
; %bb.34:
	v_lshlrev_b32_e32 v8, 16, v7
	v_and_b32_e32 v10, 64, v7
	v_lshrrev_b32_e32 v7, 7, v7
	s_delay_alu instid0(VALU_DEP_3) | instskip(NEXT) | instid1(VALU_DEP_3)
	v_and_or_b32 v8, 0x3f0000, v8, v9
	v_cmp_ne_u32_e32 vcc_lo, 0, v10
	s_delay_alu instid0(VALU_DEP_2) | instskip(NEXT) | instid1(VALU_DEP_1)
	v_cmp_ne_u32_e64 s2, 0, v8
	s_and_b32 s2, vcc_lo, s2
	s_delay_alu instid0(SALU_CYCLE_1) | instskip(NEXT) | instid1(VALU_DEP_1)
	v_cndmask_b32_e64 v8, 0, 1, s2
	v_add_nc_u32_e32 v8, v7, v8
; %bb.35:
	s_or_b32 exec_lo, exec_lo, s22
	s_mov_b32 s2, -1
	s_mov_b32 s22, 0
	global_store_b8 v[0:1], v8, off
.LBB105_36:
	s_mov_b32 s23, 0
.LBB105_37:
	s_delay_alu instid0(SALU_CYCLE_1)
	s_and_b32 vcc_lo, exec_lo, s23
	s_cbranch_vccz .LBB105_40
; %bb.38:
	v_cmp_eq_u16_e32 vcc_lo, 29, v2
	s_mov_b32 s22, -1
	s_cbranch_vccz .LBB105_40
; %bb.39:
	v_lshlrev_b32_e32 v7, 16, v6
	s_mov_b32 s2, -1
	s_mov_b32 s22, 0
	s_delay_alu instid0(VALU_DEP_1) | instskip(NEXT) | instid1(VALU_DEP_1)
	v_trunc_f32_e32 v7, v7
	v_mul_f32_e32 v8, 0x2f800000, v7
	s_delay_alu instid0(VALU_DEP_1) | instskip(NEXT) | instid1(VALU_DEP_1)
	v_floor_f32_e32 v8, v8
	v_fmamk_f32 v7, v8, 0xcf800000, v7
	v_cvt_u32_f32_e32 v8, v8
	s_delay_alu instid0(VALU_DEP_2)
	v_cvt_u32_f32_e32 v7, v7
	global_store_b64 v[0:1], v[7:8], off
.LBB105_40:
	s_mov_b32 s23, 0
.LBB105_41:
	s_delay_alu instid0(SALU_CYCLE_1)
	s_and_b32 vcc_lo, exec_lo, s23
	s_cbranch_vccz .LBB105_57
; %bb.42:
	v_cmp_gt_i16_e32 vcc_lo, 27, v2
	s_mov_b32 s2, -1
	s_cbranch_vccnz .LBB105_48
; %bb.43:
	v_cmp_lt_i16_e32 vcc_lo, 27, v2
	s_cbranch_vccz .LBB105_45
; %bb.44:
	v_lshlrev_b32_e32 v7, 16, v6
	s_mov_b32 s2, 0
	s_delay_alu instid0(VALU_DEP_1)
	v_cvt_u32_f32_e32 v7, v7
	global_store_b32 v[0:1], v7, off
.LBB105_45:
	s_and_not1_b32 vcc_lo, exec_lo, s2
	s_cbranch_vccnz .LBB105_47
; %bb.46:
	v_lshlrev_b32_e32 v7, 16, v6
	s_delay_alu instid0(VALU_DEP_1)
	v_cvt_u32_f32_e32 v7, v7
	global_store_b16 v[0:1], v7, off
.LBB105_47:
	s_mov_b32 s2, 0
.LBB105_48:
	s_delay_alu instid0(SALU_CYCLE_1)
	s_and_not1_b32 vcc_lo, exec_lo, s2
	s_cbranch_vccnz .LBB105_56
; %bb.49:
	v_dual_mov_b32 v10, 0x80 :: v_dual_lshlrev_b32 v9, 16, v6
	s_mov_b32 s2, exec_lo
	s_delay_alu instid0(VALU_DEP_1) | instskip(NEXT) | instid1(VALU_DEP_1)
	v_and_b32_e32 v8, 0x7fffffff, v9
	v_cmpx_gt_u32_e32 0x43800000, v8
	s_cbranch_execz .LBB105_55
; %bb.50:
	v_and_b32_e32 v7, 0xffff, v6
	v_cmp_lt_u32_e32 vcc_lo, 0x3bffffff, v8
	s_mov_b32 s23, 0
                                        ; implicit-def: $vgpr8
	s_and_saveexec_b32 s34, vcc_lo
	s_delay_alu instid0(SALU_CYCLE_1)
	s_xor_b32 s34, exec_lo, s34
	s_cbranch_execz .LBB105_150
; %bb.51:
	v_bfe_u32 v8, v7, 4, 1
	s_mov_b32 s23, exec_lo
	s_delay_alu instid0(VALU_DEP_1) | instskip(NEXT) | instid1(VALU_DEP_1)
	v_add3_u32 v8, v9, v8, 0x487ffff
                                        ; implicit-def: $vgpr9
	v_lshrrev_b32_e32 v8, 20, v8
	s_or_saveexec_b32 s34, s34
                                        ; implicit-def: $sgpr35
	s_delay_alu instid0(SALU_CYCLE_1)
	s_xor_b32 exec_lo, exec_lo, s34
	s_cbranch_execnz .LBB105_151
.LBB105_52:
	s_or_b32 exec_lo, exec_lo, s34
	v_mov_b32_e32 v10, s35
	s_and_saveexec_b32 s34, s23
.LBB105_53:
	v_lshrrev_b32_e32 v7, 8, v7
	s_delay_alu instid0(VALU_DEP_1)
	v_and_or_b32 v10, 0x80, v7, v8
.LBB105_54:
	s_or_b32 exec_lo, exec_lo, s34
.LBB105_55:
	s_delay_alu instid0(SALU_CYCLE_1)
	s_or_b32 exec_lo, exec_lo, s2
	global_store_b8 v[0:1], v10, off
.LBB105_56:
	s_mov_b32 s2, -1
.LBB105_57:
	s_mov_b32 s23, 0
.LBB105_58:
	s_delay_alu instid0(SALU_CYCLE_1)
	s_and_b32 vcc_lo, exec_lo, s23
	s_cbranch_vccz .LBB105_99
; %bb.59:
	v_cmp_lt_i16_e32 vcc_lo, 22, v2
	s_mov_b32 s23, -1
	s_cbranch_vccz .LBB105_91
; %bb.60:
	v_cmp_gt_i16_e32 vcc_lo, 24, v2
	s_mov_b32 s2, -1
	s_cbranch_vccnz .LBB105_80
; %bb.61:
	v_cmp_lt_i16_e32 vcc_lo, 24, v2
	s_cbranch_vccz .LBB105_69
; %bb.62:
	v_dual_mov_b32 v10, 0x80 :: v_dual_lshlrev_b32 v9, 16, v6
	s_mov_b32 s2, exec_lo
	s_delay_alu instid0(VALU_DEP_1) | instskip(NEXT) | instid1(VALU_DEP_1)
	v_and_b32_e32 v8, 0x7fffffff, v9
	v_cmpx_gt_u32_e32 0x47800000, v8
	s_cbranch_execz .LBB105_68
; %bb.63:
	v_and_b32_e32 v7, 0xffff, v6
	v_cmp_lt_u32_e32 vcc_lo, 0x37ffffff, v8
	s_mov_b32 s23, 0
                                        ; implicit-def: $vgpr8
	s_and_saveexec_b32 s34, vcc_lo
	s_delay_alu instid0(SALU_CYCLE_1)
	s_xor_b32 s34, exec_lo, s34
	s_cbranch_execz .LBB105_341
; %bb.64:
	v_bfe_u32 v8, v7, 5, 1
	s_mov_b32 s23, exec_lo
	s_delay_alu instid0(VALU_DEP_1) | instskip(NEXT) | instid1(VALU_DEP_1)
	v_add3_u32 v8, v9, v8, 0x88fffff
                                        ; implicit-def: $vgpr9
	v_lshrrev_b32_e32 v8, 21, v8
	s_or_saveexec_b32 s34, s34
                                        ; implicit-def: $sgpr35
	s_delay_alu instid0(SALU_CYCLE_1)
	s_xor_b32 exec_lo, exec_lo, s34
	s_cbranch_execnz .LBB105_342
.LBB105_65:
	s_or_b32 exec_lo, exec_lo, s34
	v_mov_b32_e32 v10, s35
	s_and_saveexec_b32 s34, s23
.LBB105_66:
	v_lshrrev_b32_e32 v7, 8, v7
	s_delay_alu instid0(VALU_DEP_1)
	v_and_or_b32 v10, 0x80, v7, v8
.LBB105_67:
	s_or_b32 exec_lo, exec_lo, s34
.LBB105_68:
	s_delay_alu instid0(SALU_CYCLE_1)
	s_or_b32 exec_lo, exec_lo, s2
	s_mov_b32 s2, 0
	global_store_b8 v[0:1], v10, off
.LBB105_69:
	s_and_b32 vcc_lo, exec_lo, s2
	s_cbranch_vccz .LBB105_79
; %bb.70:
	v_lshlrev_b32_e32 v9, 16, v6
	v_and_b32_e32 v7, 0xffff, v6
	s_mov_b32 s2, exec_lo
                                        ; implicit-def: $vgpr8
	s_delay_alu instid0(VALU_DEP_2) | instskip(NEXT) | instid1(VALU_DEP_1)
	v_and_b32_e32 v10, 0x7fffffff, v9
	v_cmpx_gt_u32_e32 0x43f00000, v10
	s_xor_b32 s2, exec_lo, s2
	s_cbranch_execz .LBB105_76
; %bb.71:
	s_mov_b32 s23, exec_lo
                                        ; implicit-def: $vgpr8
	v_cmpx_lt_u32_e32 0x3c7fffff, v10
	s_xor_b32 s23, exec_lo, s23
; %bb.72:
	v_bfe_u32 v8, v7, 4, 1
	s_delay_alu instid0(VALU_DEP_1) | instskip(NEXT) | instid1(VALU_DEP_1)
	v_add3_u32 v8, v9, v8, 0x407ffff
	v_and_b32_e32 v9, 0xff00000, v8
	v_lshrrev_b32_e32 v8, 20, v8
	s_delay_alu instid0(VALU_DEP_2) | instskip(NEXT) | instid1(VALU_DEP_2)
	v_cmp_ne_u32_e32 vcc_lo, 0x7f00000, v9
                                        ; implicit-def: $vgpr9
	v_cndmask_b32_e32 v8, 0x7e, v8, vcc_lo
; %bb.73:
	s_and_not1_saveexec_b32 s23, s23
; %bb.74:
	v_add_f32_e64 v8, 0x46800000, |v9|
; %bb.75:
	s_or_b32 exec_lo, exec_lo, s23
                                        ; implicit-def: $vgpr10
.LBB105_76:
	s_and_not1_saveexec_b32 s2, s2
; %bb.77:
	v_mov_b32_e32 v8, 0x7f
	v_cmp_lt_u32_e32 vcc_lo, 0x7f800000, v10
	s_delay_alu instid0(VALU_DEP_2)
	v_cndmask_b32_e32 v8, 0x7e, v8, vcc_lo
; %bb.78:
	s_or_b32 exec_lo, exec_lo, s2
	v_lshrrev_b32_e32 v7, 8, v7
	s_delay_alu instid0(VALU_DEP_1)
	v_and_or_b32 v7, 0x80, v7, v8
	global_store_b8 v[0:1], v7, off
.LBB105_79:
	s_mov_b32 s2, 0
.LBB105_80:
	s_delay_alu instid0(SALU_CYCLE_1)
	s_and_not1_b32 vcc_lo, exec_lo, s2
	s_cbranch_vccnz .LBB105_90
; %bb.81:
	v_lshlrev_b32_e32 v9, 16, v6
	v_and_b32_e32 v7, 0xffff, v6
	s_mov_b32 s2, exec_lo
                                        ; implicit-def: $vgpr8
	s_delay_alu instid0(VALU_DEP_2) | instskip(NEXT) | instid1(VALU_DEP_1)
	v_and_b32_e32 v10, 0x7fffffff, v9
	v_cmpx_gt_u32_e32 0x47800000, v10
	s_xor_b32 s2, exec_lo, s2
	s_cbranch_execz .LBB105_87
; %bb.82:
	s_mov_b32 s23, exec_lo
                                        ; implicit-def: $vgpr8
	v_cmpx_lt_u32_e32 0x387fffff, v10
	s_xor_b32 s23, exec_lo, s23
; %bb.83:
	v_bfe_u32 v8, v7, 5, 1
	s_delay_alu instid0(VALU_DEP_1) | instskip(NEXT) | instid1(VALU_DEP_1)
	v_add3_u32 v8, v9, v8, 0x80fffff
                                        ; implicit-def: $vgpr9
	v_lshrrev_b32_e32 v8, 21, v8
; %bb.84:
	s_and_not1_saveexec_b32 s23, s23
; %bb.85:
	v_add_f32_e64 v8, 0x43000000, |v9|
; %bb.86:
	s_or_b32 exec_lo, exec_lo, s23
                                        ; implicit-def: $vgpr10
.LBB105_87:
	s_and_not1_saveexec_b32 s2, s2
; %bb.88:
	v_mov_b32_e32 v8, 0x7f
	v_cmp_lt_u32_e32 vcc_lo, 0x7f800000, v10
	s_delay_alu instid0(VALU_DEP_2)
	v_cndmask_b32_e32 v8, 0x7c, v8, vcc_lo
; %bb.89:
	s_or_b32 exec_lo, exec_lo, s2
	v_lshrrev_b32_e32 v7, 8, v7
	s_delay_alu instid0(VALU_DEP_1)
	v_and_or_b32 v7, 0x80, v7, v8
	global_store_b8 v[0:1], v7, off
.LBB105_90:
	s_mov_b32 s23, 0
	s_mov_b32 s2, -1
.LBB105_91:
	s_and_not1_b32 vcc_lo, exec_lo, s23
	s_cbranch_vccnz .LBB105_99
; %bb.92:
	v_cmp_lt_i16_e32 vcc_lo, 14, v2
	s_mov_b32 s23, -1
	s_cbranch_vccz .LBB105_96
; %bb.93:
	v_cmp_eq_u16_e32 vcc_lo, 15, v2
	s_mov_b32 s22, -1
	s_cbranch_vccz .LBB105_95
; %bb.94:
	s_mov_b32 s2, -1
	s_mov_b32 s22, 0
	global_store_b16 v[0:1], v6, off
.LBB105_95:
	s_mov_b32 s23, 0
.LBB105_96:
	s_delay_alu instid0(SALU_CYCLE_1)
	s_and_b32 vcc_lo, exec_lo, s23
	s_cbranch_vccz .LBB105_99
; %bb.97:
	v_cmp_eq_u16_e32 vcc_lo, 11, v2
	s_mov_b32 s22, -1
	s_cbranch_vccz .LBB105_99
; %bb.98:
	v_and_b32_e32 v7, 0x7fff, v6
	s_mov_b32 s22, 0
	s_mov_b32 s2, -1
	s_delay_alu instid0(VALU_DEP_1)
	v_cmp_ne_u16_e32 vcc_lo, 0, v7
	v_cndmask_b32_e64 v7, 0, 1, vcc_lo
	global_store_b8 v[0:1], v7, off
.LBB105_99:
.LBB105_100:
	s_and_not1_b32 vcc_lo, exec_lo, s2
	s_cbranch_vccz .LBB105_140
	s_branch .LBB105_261
.LBB105_101:
	s_and_b32 vcc_lo, exec_lo, s23
	s_cbranch_vccz .LBB105_100
; %bb.102:
	v_cmp_gt_i16_e32 vcc_lo, 5, v2
	s_mov_b32 s2, -1
	s_cbranch_vccnz .LBB105_123
; %bb.103:
	v_cmp_gt_i16_e32 vcc_lo, 8, v2
	s_cbranch_vccnz .LBB105_113
; %bb.104:
	v_cmp_gt_i16_e32 vcc_lo, 9, v2
	s_cbranch_vccnz .LBB105_110
; %bb.105:
	v_cmp_lt_i16_e32 vcc_lo, 9, v2
	s_cbranch_vccz .LBB105_107
; %bb.106:
	v_mov_b32_e32 v9, 0
	v_lshlrev_b32_e32 v7, 16, v6
	s_mov_b32 s2, 0
	s_delay_alu instid0(VALU_DEP_2) | instskip(NEXT) | instid1(VALU_DEP_2)
	v_mov_b32_e32 v10, v9
	v_cvt_f64_f32_e32 v[7:8], v7
	global_store_b128 v[0:1], v[7:10], off
.LBB105_107:
	s_and_not1_b32 vcc_lo, exec_lo, s2
	s_cbranch_vccnz .LBB105_109
; %bb.108:
	v_dual_mov_b32 v8, 0 :: v_dual_lshlrev_b32 v7, 16, v6
	global_store_b64 v[0:1], v[7:8], off
.LBB105_109:
	s_mov_b32 s2, 0
.LBB105_110:
	s_delay_alu instid0(SALU_CYCLE_1)
	s_and_not1_b32 vcc_lo, exec_lo, s2
	s_cbranch_vccnz .LBB105_112
; %bb.111:
	v_lshlrev_b32_e32 v7, 16, v6
	s_delay_alu instid0(VALU_DEP_1) | instskip(NEXT) | instid1(VALU_DEP_1)
	v_cvt_f16_f32_e32 v7, v7
	v_and_b32_e32 v7, 0xffff, v7
	global_store_b32 v[0:1], v7, off
.LBB105_112:
	s_mov_b32 s2, 0
.LBB105_113:
	s_delay_alu instid0(SALU_CYCLE_1)
	s_and_not1_b32 vcc_lo, exec_lo, s2
	s_cbranch_vccnz .LBB105_122
; %bb.114:
	v_cmp_gt_i16_e32 vcc_lo, 6, v2
	s_mov_b32 s2, -1
	s_cbranch_vccnz .LBB105_120
; %bb.115:
	v_cmp_lt_i16_e32 vcc_lo, 6, v2
	s_cbranch_vccz .LBB105_117
; %bb.116:
	v_lshlrev_b32_e32 v7, 16, v6
	s_mov_b32 s2, 0
	s_delay_alu instid0(VALU_DEP_1)
	v_cvt_f64_f32_e32 v[7:8], v7
	global_store_b64 v[0:1], v[7:8], off
.LBB105_117:
	s_and_not1_b32 vcc_lo, exec_lo, s2
	s_cbranch_vccnz .LBB105_119
; %bb.118:
	v_lshlrev_b32_e32 v7, 16, v6
	global_store_b32 v[0:1], v7, off
.LBB105_119:
	s_mov_b32 s2, 0
.LBB105_120:
	s_delay_alu instid0(SALU_CYCLE_1)
	s_and_not1_b32 vcc_lo, exec_lo, s2
	s_cbranch_vccnz .LBB105_122
; %bb.121:
	v_lshlrev_b32_e32 v7, 16, v6
	s_delay_alu instid0(VALU_DEP_1)
	v_cvt_f16_f32_e32 v7, v7
	global_store_b16 v[0:1], v7, off
.LBB105_122:
	s_mov_b32 s2, 0
.LBB105_123:
	s_delay_alu instid0(SALU_CYCLE_1)
	s_and_not1_b32 vcc_lo, exec_lo, s2
	s_cbranch_vccnz .LBB105_139
; %bb.124:
	v_cmp_gt_i16_e32 vcc_lo, 2, v2
	s_mov_b32 s2, -1
	s_cbranch_vccnz .LBB105_134
; %bb.125:
	v_cmp_gt_i16_e32 vcc_lo, 3, v2
	s_cbranch_vccnz .LBB105_131
; %bb.126:
	v_cmp_lt_i16_e32 vcc_lo, 3, v2
	s_cbranch_vccz .LBB105_128
; %bb.127:
	v_lshlrev_b32_e32 v7, 16, v6
	s_mov_b32 s2, 0
	s_delay_alu instid0(VALU_DEP_1) | instskip(NEXT) | instid1(VALU_DEP_1)
	v_trunc_f32_e32 v7, v7
	v_mul_f32_e64 v8, 0x2f800000, |v7|
	v_ashrrev_i32_e32 v10, 31, v7
	s_delay_alu instid0(VALU_DEP_2) | instskip(NEXT) | instid1(VALU_DEP_1)
	v_floor_f32_e32 v8, v8
	v_fma_f32 v9, 0xcf800000, v8, |v7|
	v_cvt_u32_f32_e32 v8, v8
	s_delay_alu instid0(VALU_DEP_2) | instskip(NEXT) | instid1(VALU_DEP_2)
	v_cvt_u32_f32_e32 v7, v9
	v_xor_b32_e32 v8, v8, v10
	s_delay_alu instid0(VALU_DEP_2) | instskip(NEXT) | instid1(VALU_DEP_1)
	v_xor_b32_e32 v7, v7, v10
	v_sub_co_u32 v7, vcc_lo, v7, v10
	s_delay_alu instid0(VALU_DEP_3)
	v_sub_co_ci_u32_e32 v8, vcc_lo, v8, v10, vcc_lo
	global_store_b64 v[0:1], v[7:8], off
.LBB105_128:
	s_and_not1_b32 vcc_lo, exec_lo, s2
	s_cbranch_vccnz .LBB105_130
; %bb.129:
	v_lshlrev_b32_e32 v7, 16, v6
	s_delay_alu instid0(VALU_DEP_1)
	v_cvt_i32_f32_e32 v7, v7
	global_store_b32 v[0:1], v7, off
.LBB105_130:
	s_mov_b32 s2, 0
.LBB105_131:
	s_delay_alu instid0(SALU_CYCLE_1)
	s_and_not1_b32 vcc_lo, exec_lo, s2
	s_cbranch_vccnz .LBB105_133
; %bb.132:
	v_lshlrev_b32_e32 v7, 16, v6
	s_delay_alu instid0(VALU_DEP_1)
	v_cvt_i32_f32_e32 v7, v7
	global_store_b16 v[0:1], v7, off
.LBB105_133:
	s_mov_b32 s2, 0
.LBB105_134:
	s_delay_alu instid0(SALU_CYCLE_1)
	s_and_not1_b32 vcc_lo, exec_lo, s2
	s_cbranch_vccnz .LBB105_139
; %bb.135:
	v_cmp_lt_i16_e32 vcc_lo, 0, v2
	v_lshlrev_b32_e32 v2, 16, v6
	s_mov_b32 s2, -1
	s_cbranch_vccz .LBB105_137
; %bb.136:
	s_delay_alu instid0(VALU_DEP_1)
	v_cvt_i32_f32_e32 v6, v2
	s_mov_b32 s2, 0
	global_store_b8 v[0:1], v6, off
.LBB105_137:
	s_and_not1_b32 vcc_lo, exec_lo, s2
	s_cbranch_vccnz .LBB105_139
; %bb.138:
	v_trunc_f32_e32 v2, v2
	s_delay_alu instid0(VALU_DEP_1) | instskip(NEXT) | instid1(VALU_DEP_1)
	v_mul_f32_e64 v6, 0x2f800000, |v2|
	v_floor_f32_e32 v6, v6
	s_delay_alu instid0(VALU_DEP_1) | instskip(SKIP_1) | instid1(VALU_DEP_2)
	v_fma_f32 v6, 0xcf800000, v6, |v2|
	v_ashrrev_i32_e32 v2, 31, v2
	v_cvt_u32_f32_e32 v6, v6
	s_delay_alu instid0(VALU_DEP_1) | instskip(NEXT) | instid1(VALU_DEP_1)
	v_xor_b32_e32 v6, v6, v2
	v_sub_nc_u32_e32 v2, v6, v2
	global_store_b8 v[0:1], v2, off
.LBB105_139:
.LBB105_140:
	v_add_nc_u32_e32 v5, 0x80, v5
	s_mov_b32 s2, -1
	s_branch .LBB105_262
.LBB105_141:
	s_mov_b32 s2, 0
                                        ; implicit-def: $vgpr6
	s_cbranch_execnz .LBB105_178
	s_branch .LBB105_212
.LBB105_142:
	s_mov_b32 s22, -1
	s_mov_b32 s2, 0
                                        ; implicit-def: $vgpr6
	s_branch .LBB105_159
.LBB105_143:
	s_mov_b32 s22, -1
	s_mov_b32 s2, 0
                                        ; implicit-def: $vgpr6
	s_branch .LBB105_154
.LBB105_144:
	s_mov_b32 s22, -1
	s_branch .LBB105_146
.LBB105_145:
	s_mov_b32 s3, -1
.LBB105_146:
	s_mov_b32 s2, 0
                                        ; implicit-def: $vgpr6
.LBB105_147:
	s_and_b32 vcc_lo, exec_lo, s22
	s_cbranch_vccz .LBB105_153
; %bb.148:
	v_cmp_eq_u16_e32 vcc_lo, 44, v4
	s_cbranch_vccz .LBB105_152
; %bb.149:
	global_load_u8 v6, v[1:2], off
	s_mov_b32 s3, 0
	s_mov_b32 s2, -1
	s_waitcnt vmcnt(0)
	v_lshlrev_b32_e32 v7, 23, v6
	v_cmp_ne_u32_e32 vcc_lo, 0xff, v6
	s_delay_alu instid0(VALU_DEP_2) | instskip(SKIP_1) | instid1(VALU_DEP_2)
	v_cndmask_b32_e32 v7, 0x7f800001, v7, vcc_lo
	v_cmp_ne_u32_e32 vcc_lo, 0, v6
	v_cndmask_b32_e32 v6, 0x400000, v7, vcc_lo
	s_delay_alu instid0(VALU_DEP_1) | instskip(SKIP_1) | instid1(VALU_DEP_2)
	v_add_nc_u32_e32 v7, 0x7fff, v6
	v_cmp_o_f32_e32 vcc_lo, v6, v6
	v_lshrrev_b32_e32 v7, 16, v7
	s_delay_alu instid0(VALU_DEP_1)
	v_cndmask_b32_e32 v6, 0x7fc0, v7, vcc_lo
	s_branch .LBB105_153
.LBB105_150:
	s_or_saveexec_b32 s34, s34
                                        ; implicit-def: $sgpr35
	s_delay_alu instid0(SALU_CYCLE_1)
	s_xor_b32 exec_lo, exec_lo, s34
	s_cbranch_execz .LBB105_52
.LBB105_151:
	v_add_f32_e64 v8, 0x46000000, |v9|
	s_and_not1_b32 s23, s23, exec_lo
	s_mov_b32 s35, 0
	s_delay_alu instid0(VALU_DEP_1) | instskip(NEXT) | instid1(VALU_DEP_1)
	v_and_b32_e32 v8, 0xff, v8
	v_cmp_ne_u32_e32 vcc_lo, 0, v8
	s_and_b32 s38, vcc_lo, exec_lo
	s_delay_alu instid0(SALU_CYCLE_1)
	s_or_b32 s23, s23, s38
	s_or_b32 exec_lo, exec_lo, s34
	v_mov_b32_e32 v10, s35
	s_and_saveexec_b32 s34, s23
	s_cbranch_execnz .LBB105_53
	s_branch .LBB105_54
.LBB105_152:
	s_mov_b32 s3, -1
                                        ; implicit-def: $vgpr6
.LBB105_153:
	s_mov_b32 s22, 0
.LBB105_154:
	s_delay_alu instid0(SALU_CYCLE_1)
	s_and_b32 vcc_lo, exec_lo, s22
	s_cbranch_vccz .LBB105_158
; %bb.155:
	v_cmp_eq_u16_e32 vcc_lo, 29, v4
	s_cbranch_vccz .LBB105_157
; %bb.156:
	global_load_b64 v[6:7], v[1:2], off
	s_mov_b32 s2, -1
	s_mov_b32 s3, 0
	s_mov_b32 s22, 0
	s_waitcnt vmcnt(0)
	v_clz_i32_u32_e32 v8, v7
	s_delay_alu instid0(VALU_DEP_1) | instskip(NEXT) | instid1(VALU_DEP_1)
	v_min_u32_e32 v8, 32, v8
	v_lshlrev_b64 v[6:7], v8, v[6:7]
	s_delay_alu instid0(VALU_DEP_1) | instskip(NEXT) | instid1(VALU_DEP_1)
	v_min_u32_e32 v6, 1, v6
	v_or_b32_e32 v6, v7, v6
	v_sub_nc_u32_e32 v7, 32, v8
	s_delay_alu instid0(VALU_DEP_2) | instskip(NEXT) | instid1(VALU_DEP_1)
	v_cvt_f32_u32_e32 v6, v6
	v_ldexp_f32 v6, v6, v7
	s_delay_alu instid0(VALU_DEP_1) | instskip(NEXT) | instid1(VALU_DEP_1)
	v_bfe_u32 v7, v6, 16, 1
	v_add3_u32 v6, v6, v7, 0x7fff
	s_delay_alu instid0(VALU_DEP_1)
	v_lshrrev_b32_e32 v6, 16, v6
	s_branch .LBB105_159
.LBB105_157:
	s_mov_b32 s3, -1
                                        ; implicit-def: $vgpr6
.LBB105_158:
	s_mov_b32 s22, 0
.LBB105_159:
	s_delay_alu instid0(SALU_CYCLE_1)
	s_and_b32 vcc_lo, exec_lo, s22
	s_cbranch_vccz .LBB105_177
; %bb.160:
	v_cmp_gt_i16_e32 vcc_lo, 27, v4
	s_cbranch_vccnz .LBB105_163
; %bb.161:
	v_cmp_lt_i16_e32 vcc_lo, 27, v4
	s_cbranch_vccz .LBB105_164
; %bb.162:
	global_load_b32 v6, v[1:2], off
	s_mov_b32 s2, 0
	s_waitcnt vmcnt(0)
	v_cvt_f32_u32_e32 v6, v6
	s_delay_alu instid0(VALU_DEP_1) | instskip(NEXT) | instid1(VALU_DEP_1)
	v_bfe_u32 v7, v6, 16, 1
	v_add3_u32 v6, v6, v7, 0x7fff
	s_delay_alu instid0(VALU_DEP_1)
	v_lshrrev_b32_e32 v6, 16, v6
	s_branch .LBB105_165
.LBB105_163:
	s_mov_b32 s2, -1
                                        ; implicit-def: $vgpr6
	s_branch .LBB105_168
.LBB105_164:
	s_mov_b32 s2, -1
                                        ; implicit-def: $vgpr6
.LBB105_165:
	s_delay_alu instid0(SALU_CYCLE_1)
	s_and_not1_b32 vcc_lo, exec_lo, s2
	s_cbranch_vccnz .LBB105_167
; %bb.166:
	global_load_u16 v6, v[1:2], off
	s_waitcnt vmcnt(0)
	v_cvt_f32_u32_e32 v6, v6
	s_delay_alu instid0(VALU_DEP_1) | instskip(NEXT) | instid1(VALU_DEP_1)
	v_bfe_u32 v7, v6, 16, 1
	v_add3_u32 v6, v6, v7, 0x7fff
	s_delay_alu instid0(VALU_DEP_1)
	v_lshrrev_b32_e32 v6, 16, v6
.LBB105_167:
	s_mov_b32 s2, 0
.LBB105_168:
	s_delay_alu instid0(SALU_CYCLE_1)
	s_and_not1_b32 vcc_lo, exec_lo, s2
	s_cbranch_vccnz .LBB105_176
; %bb.169:
	global_load_u8 v6, v[1:2], off
	s_mov_b32 s2, 0
	s_mov_b32 s23, exec_lo
                                        ; implicit-def: $sgpr22
	s_waitcnt vmcnt(0)
	v_cmpx_lt_i16_e32 0x7f, v6
	s_xor_b32 s23, exec_lo, s23
	s_cbranch_execz .LBB105_189
; %bb.170:
	s_mov_b32 s2, -1
	s_mov_b32 s34, exec_lo
                                        ; implicit-def: $sgpr22
	v_cmpx_eq_u16_e32 0x80, v6
; %bb.171:
	s_mov_b32 s22, 0x7f800001
	s_xor_b32 s2, exec_lo, -1
; %bb.172:
	s_or_b32 exec_lo, exec_lo, s34
	s_delay_alu instid0(SALU_CYCLE_1)
	s_and_b32 s2, s2, exec_lo
	s_or_saveexec_b32 s23, s23
	v_mov_b32_e32 v7, s22
	s_xor_b32 exec_lo, exec_lo, s23
	s_cbranch_execnz .LBB105_190
.LBB105_173:
	s_or_b32 exec_lo, exec_lo, s23
	s_and_saveexec_b32 s22, s2
	s_cbranch_execz .LBB105_175
.LBB105_174:
	v_and_b32_e32 v7, 0xffff, v6
	v_lshlrev_b32_e32 v6, 24, v6
	s_delay_alu instid0(VALU_DEP_2) | instskip(NEXT) | instid1(VALU_DEP_2)
	v_and_b32_e32 v8, 7, v7
	v_and_b32_e32 v6, 0x80000000, v6
	s_delay_alu instid0(VALU_DEP_2) | instskip(NEXT) | instid1(VALU_DEP_1)
	v_clz_i32_u32_e32 v9, v8
	v_min_u32_e32 v9, 32, v9
	s_delay_alu instid0(VALU_DEP_1) | instskip(SKIP_1) | instid1(VALU_DEP_2)
	v_subrev_nc_u32_e32 v10, 28, v9
	v_sub_nc_u32_e32 v9, 29, v9
	v_lshlrev_b32_e32 v10, v10, v7
	v_bfe_u32 v7, v7, 3, 4
	s_delay_alu instid0(VALU_DEP_2) | instskip(NEXT) | instid1(VALU_DEP_2)
	v_and_b32_e32 v10, 7, v10
	v_cmp_eq_u32_e32 vcc_lo, 0, v7
	s_delay_alu instid0(VALU_DEP_2) | instskip(NEXT) | instid1(VALU_DEP_1)
	v_dual_cndmask_b32 v7, v7, v9 :: v_dual_cndmask_b32 v8, v8, v10
	v_lshl_add_u32 v7, v7, 23, 0x3b800000
	s_delay_alu instid0(VALU_DEP_2) | instskip(NEXT) | instid1(VALU_DEP_1)
	v_lshlrev_b32_e32 v8, 20, v8
	v_or3_b32 v7, v6, v7, v8
.LBB105_175:
	s_or_b32 exec_lo, exec_lo, s22
	s_delay_alu instid0(VALU_DEP_1) | instskip(SKIP_1) | instid1(VALU_DEP_2)
	v_bfe_u32 v6, v7, 16, 1
	v_cmp_o_f32_e32 vcc_lo, v7, v7
	v_add3_u32 v6, v7, v6, 0x7fff
	s_delay_alu instid0(VALU_DEP_1) | instskip(NEXT) | instid1(VALU_DEP_1)
	v_lshrrev_b32_e32 v6, 16, v6
	v_cndmask_b32_e32 v6, 0x7fc0, v6, vcc_lo
.LBB105_176:
	s_mov_b32 s2, -1
.LBB105_177:
	s_branch .LBB105_212
.LBB105_178:
	v_cmp_lt_i16_e32 vcc_lo, 22, v4
	s_cbranch_vccz .LBB105_188
; %bb.179:
	v_cmp_gt_i16_e32 vcc_lo, 24, v4
	s_cbranch_vccnz .LBB105_191
; %bb.180:
	v_cmp_lt_i16_e32 vcc_lo, 24, v4
	s_cbranch_vccz .LBB105_192
; %bb.181:
	global_load_u8 v6, v[1:2], off
	s_mov_b32 s2, 0
	s_mov_b32 s23, exec_lo
                                        ; implicit-def: $sgpr22
	s_waitcnt vmcnt(0)
	v_cmpx_lt_i16_e32 0x7f, v6
	s_xor_b32 s23, exec_lo, s23
	s_cbranch_execz .LBB105_204
; %bb.182:
	s_mov_b32 s2, -1
	s_mov_b32 s34, exec_lo
                                        ; implicit-def: $sgpr22
	v_cmpx_eq_u16_e32 0x80, v6
; %bb.183:
	s_mov_b32 s22, 0x7f800001
	s_xor_b32 s2, exec_lo, -1
; %bb.184:
	s_or_b32 exec_lo, exec_lo, s34
	s_delay_alu instid0(SALU_CYCLE_1)
	s_and_b32 s2, s2, exec_lo
	s_or_saveexec_b32 s23, s23
	v_mov_b32_e32 v7, s22
	s_xor_b32 exec_lo, exec_lo, s23
	s_cbranch_execnz .LBB105_205
.LBB105_185:
	s_or_b32 exec_lo, exec_lo, s23
	s_and_saveexec_b32 s22, s2
	s_cbranch_execz .LBB105_187
.LBB105_186:
	v_and_b32_e32 v7, 0xffff, v6
	v_lshlrev_b32_e32 v6, 24, v6
	s_delay_alu instid0(VALU_DEP_2) | instskip(NEXT) | instid1(VALU_DEP_2)
	v_and_b32_e32 v8, 3, v7
	v_and_b32_e32 v6, 0x80000000, v6
	s_delay_alu instid0(VALU_DEP_2) | instskip(NEXT) | instid1(VALU_DEP_1)
	v_clz_i32_u32_e32 v9, v8
	v_min_u32_e32 v9, 32, v9
	s_delay_alu instid0(VALU_DEP_1) | instskip(SKIP_1) | instid1(VALU_DEP_2)
	v_subrev_nc_u32_e32 v10, 29, v9
	v_sub_nc_u32_e32 v9, 30, v9
	v_lshlrev_b32_e32 v10, v10, v7
	v_bfe_u32 v7, v7, 2, 5
	s_delay_alu instid0(VALU_DEP_2) | instskip(NEXT) | instid1(VALU_DEP_2)
	v_and_b32_e32 v10, 3, v10
	v_cmp_eq_u32_e32 vcc_lo, 0, v7
	s_delay_alu instid0(VALU_DEP_2) | instskip(NEXT) | instid1(VALU_DEP_1)
	v_dual_cndmask_b32 v7, v7, v9 :: v_dual_cndmask_b32 v8, v8, v10
	v_lshl_add_u32 v7, v7, 23, 0x37800000
	s_delay_alu instid0(VALU_DEP_2) | instskip(NEXT) | instid1(VALU_DEP_1)
	v_lshlrev_b32_e32 v8, 21, v8
	v_or3_b32 v7, v6, v7, v8
.LBB105_187:
	s_or_b32 exec_lo, exec_lo, s22
	s_delay_alu instid0(VALU_DEP_1) | instskip(SKIP_2) | instid1(VALU_DEP_2)
	v_bfe_u32 v6, v7, 16, 1
	v_cmp_o_f32_e32 vcc_lo, v7, v7
	s_mov_b32 s2, 0
	v_add3_u32 v6, v7, v6, 0x7fff
	s_delay_alu instid0(VALU_DEP_1) | instskip(NEXT) | instid1(VALU_DEP_1)
	v_lshrrev_b32_e32 v6, 16, v6
	v_cndmask_b32_e32 v6, 0x7fc0, v6, vcc_lo
	s_branch .LBB105_193
.LBB105_188:
	s_mov_b32 s22, -1
                                        ; implicit-def: $vgpr6
	s_branch .LBB105_199
.LBB105_189:
	s_or_saveexec_b32 s23, s23
	v_mov_b32_e32 v7, s22
	s_xor_b32 exec_lo, exec_lo, s23
	s_cbranch_execz .LBB105_173
.LBB105_190:
	v_cmp_ne_u16_e32 vcc_lo, 0, v6
	v_mov_b32_e32 v7, 0
	s_and_not1_b32 s2, s2, exec_lo
	s_and_b32 s22, vcc_lo, exec_lo
	s_delay_alu instid0(SALU_CYCLE_1)
	s_or_b32 s2, s2, s22
	s_or_b32 exec_lo, exec_lo, s23
	s_and_saveexec_b32 s22, s2
	s_cbranch_execnz .LBB105_174
	s_branch .LBB105_175
.LBB105_191:
	s_mov_b32 s2, -1
                                        ; implicit-def: $vgpr6
	s_branch .LBB105_196
.LBB105_192:
	s_mov_b32 s2, -1
                                        ; implicit-def: $vgpr6
.LBB105_193:
	s_delay_alu instid0(SALU_CYCLE_1)
	s_and_b32 vcc_lo, exec_lo, s2
	s_cbranch_vccz .LBB105_195
; %bb.194:
	global_load_u8 v6, v[1:2], off
	s_waitcnt vmcnt(0)
	v_lshlrev_b32_e32 v6, 24, v6
	s_delay_alu instid0(VALU_DEP_1) | instskip(NEXT) | instid1(VALU_DEP_1)
	v_and_b32_e32 v7, 0x7f000000, v6
	v_clz_i32_u32_e32 v8, v7
	v_add_nc_u32_e32 v10, 0x1000000, v7
	v_cmp_ne_u32_e32 vcc_lo, 0, v7
	s_delay_alu instid0(VALU_DEP_3) | instskip(NEXT) | instid1(VALU_DEP_1)
	v_min_u32_e32 v8, 32, v8
	v_sub_nc_u32_e64 v8, v8, 4 clamp
	s_delay_alu instid0(VALU_DEP_1) | instskip(SKIP_1) | instid1(VALU_DEP_2)
	v_lshlrev_b32_e32 v9, v8, v7
	v_lshlrev_b32_e32 v8, 23, v8
	v_lshrrev_b32_e32 v9, 4, v9
	s_delay_alu instid0(VALU_DEP_1) | instskip(SKIP_1) | instid1(VALU_DEP_2)
	v_sub_nc_u32_e32 v8, v9, v8
	v_ashrrev_i32_e32 v9, 8, v10
	v_add_nc_u32_e32 v8, 0x3c000000, v8
	s_delay_alu instid0(VALU_DEP_1) | instskip(NEXT) | instid1(VALU_DEP_1)
	v_and_or_b32 v8, 0x7f800000, v9, v8
	v_cndmask_b32_e32 v7, 0, v8, vcc_lo
	s_delay_alu instid0(VALU_DEP_1) | instskip(SKIP_1) | instid1(VALU_DEP_2)
	v_and_or_b32 v6, 0x80000000, v6, v7
	v_bfe_u32 v7, v7, 16, 1
	v_cmp_o_f32_e32 vcc_lo, v6, v6
	s_delay_alu instid0(VALU_DEP_2) | instskip(NEXT) | instid1(VALU_DEP_1)
	v_add3_u32 v7, v6, v7, 0x7fff
	v_lshrrev_b32_e32 v7, 16, v7
	s_delay_alu instid0(VALU_DEP_1)
	v_cndmask_b32_e32 v6, 0x7fc0, v7, vcc_lo
.LBB105_195:
	s_mov_b32 s2, 0
.LBB105_196:
	s_delay_alu instid0(SALU_CYCLE_1)
	s_and_not1_b32 vcc_lo, exec_lo, s2
	s_cbranch_vccnz .LBB105_198
; %bb.197:
	global_load_u8 v6, v[1:2], off
	s_waitcnt vmcnt(0)
	v_lshlrev_b32_e32 v7, 25, v6
	v_lshlrev_b16 v6, 8, v6
	s_delay_alu instid0(VALU_DEP_2) | instskip(NEXT) | instid1(VALU_DEP_2)
	v_lshrrev_b32_e32 v8, 4, v7
	v_and_or_b32 v9, 0x7f00, v6, 0.5
	v_bfe_i32 v6, v6, 0, 16
	s_delay_alu instid0(VALU_DEP_3) | instskip(NEXT) | instid1(VALU_DEP_1)
	v_or_b32_e32 v8, 0x70000000, v8
	v_dual_add_f32 v9, -0.5, v9 :: v_dual_mul_f32 v8, 0x7800000, v8
	v_cmp_gt_u32_e32 vcc_lo, 0x8000000, v7
	s_delay_alu instid0(VALU_DEP_2) | instskip(NEXT) | instid1(VALU_DEP_1)
	v_cndmask_b32_e32 v7, v8, v9, vcc_lo
	v_and_or_b32 v6, 0x80000000, v6, v7
	v_bfe_u32 v7, v7, 16, 1
	s_delay_alu instid0(VALU_DEP_2) | instskip(NEXT) | instid1(VALU_DEP_2)
	v_cmp_o_f32_e32 vcc_lo, v6, v6
	v_add3_u32 v7, v6, v7, 0x7fff
	s_delay_alu instid0(VALU_DEP_1) | instskip(NEXT) | instid1(VALU_DEP_1)
	v_lshrrev_b32_e32 v7, 16, v7
	v_cndmask_b32_e32 v6, 0x7fc0, v7, vcc_lo
.LBB105_198:
	s_mov_b32 s22, 0
	s_mov_b32 s2, -1
.LBB105_199:
	s_and_not1_b32 vcc_lo, exec_lo, s22
	s_cbranch_vccnz .LBB105_212
; %bb.200:
	v_cmp_lt_i16_e32 vcc_lo, 14, v4
	s_cbranch_vccz .LBB105_203
; %bb.201:
	v_cmp_eq_u16_e32 vcc_lo, 15, v4
	s_cbranch_vccz .LBB105_206
; %bb.202:
	global_load_u16 v6, v[1:2], off
	s_mov_b32 s2, -1
	s_mov_b32 s3, 0
	s_branch .LBB105_207
.LBB105_203:
	s_mov_b32 s22, -1
                                        ; implicit-def: $vgpr6
	s_branch .LBB105_208
.LBB105_204:
	s_or_saveexec_b32 s23, s23
	v_mov_b32_e32 v7, s22
	s_xor_b32 exec_lo, exec_lo, s23
	s_cbranch_execz .LBB105_185
.LBB105_205:
	v_cmp_ne_u16_e32 vcc_lo, 0, v6
	v_mov_b32_e32 v7, 0
	s_and_not1_b32 s2, s2, exec_lo
	s_and_b32 s22, vcc_lo, exec_lo
	s_delay_alu instid0(SALU_CYCLE_1)
	s_or_b32 s2, s2, s22
	s_or_b32 exec_lo, exec_lo, s23
	s_and_saveexec_b32 s22, s2
	s_cbranch_execnz .LBB105_186
	s_branch .LBB105_187
.LBB105_206:
	s_mov_b32 s3, -1
                                        ; implicit-def: $vgpr6
.LBB105_207:
	s_mov_b32 s22, 0
.LBB105_208:
	s_delay_alu instid0(SALU_CYCLE_1)
	s_and_b32 vcc_lo, exec_lo, s22
	s_cbranch_vccz .LBB105_212
; %bb.209:
	v_cmp_eq_u16_e32 vcc_lo, 11, v4
	s_cbranch_vccz .LBB105_211
; %bb.210:
	global_load_u8 v6, v[1:2], off
	s_mov_b32 s3, 0
	s_mov_b32 s2, -1
	s_waitcnt vmcnt(0)
	v_cmp_ne_u16_e32 vcc_lo, 0, v6
	v_cndmask_b32_e64 v6, 0, 1.0, vcc_lo
	s_delay_alu instid0(VALU_DEP_1)
	v_lshrrev_b32_e32 v6, 16, v6
	s_branch .LBB105_212
.LBB105_211:
	s_mov_b32 s3, -1
                                        ; implicit-def: $vgpr6
.LBB105_212:
	s_branch .LBB105_23
.LBB105_213:
	v_cmp_gt_i16_e32 vcc_lo, 5, v4
	s_cbranch_vccnz .LBB105_218
; %bb.214:
	v_cmp_gt_i16_e32 vcc_lo, 8, v4
	s_cbranch_vccnz .LBB105_219
; %bb.215:
	;; [unrolled: 3-line block ×3, first 2 shown]
	v_cmp_lt_i16_e32 vcc_lo, 9, v4
	s_cbranch_vccz .LBB105_221
; %bb.217:
	global_load_b64 v[6:7], v[1:2], off
	s_mov_b32 s2, 0
	s_waitcnt vmcnt(0)
	v_cvt_f32_f64_e32 v6, v[6:7]
	s_delay_alu instid0(VALU_DEP_1) | instskip(SKIP_1) | instid1(VALU_DEP_2)
	v_bfe_u32 v7, v6, 16, 1
	v_cmp_o_f32_e32 vcc_lo, v6, v6
	v_add3_u32 v7, v6, v7, 0x7fff
	s_delay_alu instid0(VALU_DEP_1) | instskip(NEXT) | instid1(VALU_DEP_1)
	v_lshrrev_b32_e32 v7, 16, v7
	v_cndmask_b32_e32 v6, 0x7fc0, v7, vcc_lo
	s_branch .LBB105_222
.LBB105_218:
                                        ; implicit-def: $vgpr6
	s_branch .LBB105_240
.LBB105_219:
	s_mov_b32 s2, -1
                                        ; implicit-def: $vgpr6
	s_branch .LBB105_228
.LBB105_220:
	s_mov_b32 s2, -1
                                        ; implicit-def: $vgpr6
	s_branch .LBB105_225
.LBB105_221:
	s_mov_b32 s2, -1
                                        ; implicit-def: $vgpr6
.LBB105_222:
	s_delay_alu instid0(SALU_CYCLE_1)
	s_and_not1_b32 vcc_lo, exec_lo, s2
	s_cbranch_vccnz .LBB105_224
; %bb.223:
	global_load_b32 v6, v[1:2], off
	s_waitcnt vmcnt(0)
	v_bfe_u32 v7, v6, 16, 1
	v_cmp_o_f32_e32 vcc_lo, v6, v6
	s_delay_alu instid0(VALU_DEP_2) | instskip(NEXT) | instid1(VALU_DEP_1)
	v_add3_u32 v7, v6, v7, 0x7fff
	v_lshrrev_b32_e32 v7, 16, v7
	s_delay_alu instid0(VALU_DEP_1)
	v_cndmask_b32_e32 v6, 0x7fc0, v7, vcc_lo
.LBB105_224:
	s_mov_b32 s2, 0
.LBB105_225:
	s_delay_alu instid0(SALU_CYCLE_1)
	s_and_not1_b32 vcc_lo, exec_lo, s2
	s_cbranch_vccnz .LBB105_227
; %bb.226:
	global_load_b32 v6, v[1:2], off
	s_waitcnt vmcnt(0)
	v_cvt_f32_f16_e32 v7, v6
	v_cmp_o_f16_e32 vcc_lo, v6, v6
	s_delay_alu instid0(VALU_DEP_2) | instskip(NEXT) | instid1(VALU_DEP_1)
	v_bfe_u32 v8, v7, 16, 1
	v_add3_u32 v7, v7, v8, 0x7fff
	s_delay_alu instid0(VALU_DEP_1) | instskip(NEXT) | instid1(VALU_DEP_1)
	v_lshrrev_b32_e32 v7, 16, v7
	v_cndmask_b32_e32 v6, 0x7fc0, v7, vcc_lo
.LBB105_227:
	s_mov_b32 s2, 0
.LBB105_228:
	s_delay_alu instid0(SALU_CYCLE_1)
	s_and_not1_b32 vcc_lo, exec_lo, s2
	s_cbranch_vccnz .LBB105_239
; %bb.229:
	v_cmp_gt_i16_e32 vcc_lo, 6, v4
	s_cbranch_vccnz .LBB105_232
; %bb.230:
	v_cmp_lt_i16_e32 vcc_lo, 6, v4
	s_cbranch_vccz .LBB105_233
; %bb.231:
	global_load_b64 v[6:7], v[1:2], off
	s_mov_b32 s2, 0
	s_waitcnt vmcnt(0)
	v_cvt_f32_f64_e32 v6, v[6:7]
	s_delay_alu instid0(VALU_DEP_1) | instskip(SKIP_1) | instid1(VALU_DEP_2)
	v_bfe_u32 v7, v6, 16, 1
	v_cmp_o_f32_e32 vcc_lo, v6, v6
	v_add3_u32 v7, v6, v7, 0x7fff
	s_delay_alu instid0(VALU_DEP_1) | instskip(NEXT) | instid1(VALU_DEP_1)
	v_lshrrev_b32_e32 v7, 16, v7
	v_cndmask_b32_e32 v6, 0x7fc0, v7, vcc_lo
	s_branch .LBB105_234
.LBB105_232:
	s_mov_b32 s2, -1
                                        ; implicit-def: $vgpr6
	s_branch .LBB105_237
.LBB105_233:
	s_mov_b32 s2, -1
                                        ; implicit-def: $vgpr6
.LBB105_234:
	s_delay_alu instid0(SALU_CYCLE_1)
	s_and_not1_b32 vcc_lo, exec_lo, s2
	s_cbranch_vccnz .LBB105_236
; %bb.235:
	global_load_b32 v6, v[1:2], off
	s_waitcnt vmcnt(0)
	v_bfe_u32 v7, v6, 16, 1
	v_cmp_o_f32_e32 vcc_lo, v6, v6
	s_delay_alu instid0(VALU_DEP_2) | instskip(NEXT) | instid1(VALU_DEP_1)
	v_add3_u32 v7, v6, v7, 0x7fff
	v_lshrrev_b32_e32 v7, 16, v7
	s_delay_alu instid0(VALU_DEP_1)
	v_cndmask_b32_e32 v6, 0x7fc0, v7, vcc_lo
.LBB105_236:
	s_mov_b32 s2, 0
.LBB105_237:
	s_delay_alu instid0(SALU_CYCLE_1)
	s_and_not1_b32 vcc_lo, exec_lo, s2
	s_cbranch_vccnz .LBB105_239
; %bb.238:
	global_load_u16 v6, v[1:2], off
	s_waitcnt vmcnt(0)
	v_cvt_f32_f16_e32 v7, v6
	v_cmp_o_f16_e32 vcc_lo, v6, v6
	s_delay_alu instid0(VALU_DEP_2) | instskip(NEXT) | instid1(VALU_DEP_1)
	v_bfe_u32 v8, v7, 16, 1
	v_add3_u32 v7, v7, v8, 0x7fff
	s_delay_alu instid0(VALU_DEP_1) | instskip(NEXT) | instid1(VALU_DEP_1)
	v_lshrrev_b32_e32 v7, 16, v7
	v_cndmask_b32_e32 v6, 0x7fc0, v7, vcc_lo
.LBB105_239:
	s_cbranch_execnz .LBB105_259
.LBB105_240:
	v_cmp_gt_i16_e32 vcc_lo, 2, v4
	s_cbranch_vccnz .LBB105_244
; %bb.241:
	v_cmp_gt_i16_e32 vcc_lo, 3, v4
	s_cbranch_vccnz .LBB105_245
; %bb.242:
	v_cmp_lt_i16_e32 vcc_lo, 3, v4
	s_cbranch_vccz .LBB105_246
; %bb.243:
	global_load_b64 v[6:7], v[1:2], off
	s_mov_b32 s2, 0
	s_waitcnt vmcnt(0)
	v_xor_b32_e32 v8, v6, v7
	v_cls_i32_e32 v9, v7
	s_delay_alu instid0(VALU_DEP_2) | instskip(NEXT) | instid1(VALU_DEP_2)
	v_ashrrev_i32_e32 v8, 31, v8
	v_add_nc_u32_e32 v9, -1, v9
	s_delay_alu instid0(VALU_DEP_2) | instskip(NEXT) | instid1(VALU_DEP_1)
	v_add_nc_u32_e32 v8, 32, v8
	v_min_u32_e32 v8, v9, v8
	s_delay_alu instid0(VALU_DEP_1) | instskip(NEXT) | instid1(VALU_DEP_1)
	v_lshlrev_b64 v[6:7], v8, v[6:7]
	v_min_u32_e32 v6, 1, v6
	s_delay_alu instid0(VALU_DEP_1) | instskip(SKIP_1) | instid1(VALU_DEP_2)
	v_or_b32_e32 v6, v7, v6
	v_sub_nc_u32_e32 v7, 32, v8
	v_cvt_f32_i32_e32 v6, v6
	s_delay_alu instid0(VALU_DEP_1) | instskip(NEXT) | instid1(VALU_DEP_1)
	v_ldexp_f32 v6, v6, v7
	v_bfe_u32 v7, v6, 16, 1
	s_delay_alu instid0(VALU_DEP_1) | instskip(NEXT) | instid1(VALU_DEP_1)
	v_add3_u32 v6, v6, v7, 0x7fff
	v_lshrrev_b32_e32 v6, 16, v6
	s_branch .LBB105_247
.LBB105_244:
	s_mov_b32 s2, -1
                                        ; implicit-def: $vgpr6
	s_branch .LBB105_253
.LBB105_245:
	s_mov_b32 s2, -1
                                        ; implicit-def: $vgpr6
	s_branch .LBB105_250
.LBB105_246:
	s_mov_b32 s2, -1
                                        ; implicit-def: $vgpr6
.LBB105_247:
	s_delay_alu instid0(SALU_CYCLE_1)
	s_and_not1_b32 vcc_lo, exec_lo, s2
	s_cbranch_vccnz .LBB105_249
; %bb.248:
	global_load_b32 v6, v[1:2], off
	s_waitcnt vmcnt(0)
	v_cvt_f32_i32_e32 v6, v6
	s_delay_alu instid0(VALU_DEP_1) | instskip(NEXT) | instid1(VALU_DEP_1)
	v_bfe_u32 v7, v6, 16, 1
	v_add3_u32 v6, v6, v7, 0x7fff
	s_delay_alu instid0(VALU_DEP_1)
	v_lshrrev_b32_e32 v6, 16, v6
.LBB105_249:
	s_mov_b32 s2, 0
.LBB105_250:
	s_delay_alu instid0(SALU_CYCLE_1)
	s_and_not1_b32 vcc_lo, exec_lo, s2
	s_cbranch_vccnz .LBB105_252
; %bb.251:
	global_load_i16 v6, v[1:2], off
	s_waitcnt vmcnt(0)
	v_cvt_f32_i32_e32 v6, v6
	s_delay_alu instid0(VALU_DEP_1) | instskip(NEXT) | instid1(VALU_DEP_1)
	v_bfe_u32 v7, v6, 16, 1
	v_add3_u32 v6, v6, v7, 0x7fff
	s_delay_alu instid0(VALU_DEP_1)
	v_lshrrev_b32_e32 v6, 16, v6
.LBB105_252:
	s_mov_b32 s2, 0
.LBB105_253:
	s_delay_alu instid0(SALU_CYCLE_1)
	s_and_not1_b32 vcc_lo, exec_lo, s2
	s_cbranch_vccnz .LBB105_259
; %bb.254:
	v_cmp_lt_i16_e32 vcc_lo, 0, v4
	s_mov_b32 s2, 0
	s_cbranch_vccz .LBB105_256
; %bb.255:
	global_load_i8 v6, v[1:2], off
	s_waitcnt vmcnt(0)
	v_cvt_f32_i32_e32 v6, v6
	s_delay_alu instid0(VALU_DEP_1) | instskip(NEXT) | instid1(VALU_DEP_1)
	v_bfe_u32 v7, v6, 16, 1
	v_add3_u32 v6, v6, v7, 0x7fff
	s_delay_alu instid0(VALU_DEP_1)
	v_lshrrev_b32_e32 v6, 16, v6
	s_branch .LBB105_257
.LBB105_256:
	s_mov_b32 s2, -1
                                        ; implicit-def: $vgpr6
.LBB105_257:
	s_delay_alu instid0(SALU_CYCLE_1)
	s_and_not1_b32 vcc_lo, exec_lo, s2
	s_cbranch_vccnz .LBB105_259
; %bb.258:
	global_load_u8 v1, v[1:2], off
	s_waitcnt vmcnt(0)
	v_cvt_f32_ubyte0_e32 v1, v1
	s_delay_alu instid0(VALU_DEP_1) | instskip(NEXT) | instid1(VALU_DEP_1)
	v_bfe_u32 v2, v1, 16, 1
	v_add3_u32 v1, v1, v2, 0x7fff
	s_delay_alu instid0(VALU_DEP_1)
	v_lshrrev_b32_e32 v6, 16, v1
.LBB105_259:
	s_branch .LBB105_24
.LBB105_260:
	s_mov_b32 s22, 0
.LBB105_261:
	s_mov_b32 s2, 0
                                        ; implicit-def: $vgpr5
.LBB105_262:
	s_and_b32 s34, s22, exec_lo
	s_and_b32 s35, s3, exec_lo
	s_or_not1_b32 s3, s2, exec_lo
.LBB105_263:
	s_or_b32 exec_lo, exec_lo, s36
	s_mov_b32 s22, 0
	s_mov_b32 s2, 0
                                        ; implicit-def: $vgpr1_vgpr2
                                        ; implicit-def: $vgpr0
                                        ; implicit-def: $vgpr6
	s_and_saveexec_b32 s36, s3
	s_cbranch_execz .LBB105_906
; %bb.264:
	s_mov_b32 s2, -1
	s_mov_b32 s37, s35
	s_mov_b32 s38, s34
	s_mov_b32 s39, exec_lo
	v_cmpx_gt_i32_e64 s30, v5
	s_cbranch_execz .LBB105_533
; %bb.265:
	s_and_not1_b32 vcc_lo, exec_lo, s27
	s_cbranch_vccnz .LBB105_270
; %bb.266:
	v_dual_mov_b32 v0, 0 :: v_dual_mov_b32 v1, 0
	s_and_not1_b32 vcc_lo, exec_lo, s33
	s_mov_b32 s37, 0
	s_cbranch_vccnz .LBB105_275
; %bb.267:
	v_mov_b32_e32 v0, 0
	s_add_i32 s40, s31, 1
	s_cmp_eq_u32 s25, 2
	s_mov_b32 s38, 0
	s_cbranch_scc1 .LBB105_271
; %bb.268:
	v_dual_mov_b32 v1, 0 :: v_dual_mov_b32 v0, 0
	v_mov_b32_e32 v2, v5
	s_and_b32 s38, s40, 28
	s_mov_b32 s41, 0
	s_mov_b64 s[2:3], s[20:21]
	s_mov_b64 s[22:23], s[16:17]
.LBB105_269:                            ; =>This Inner Loop Header: Depth=1
	s_clause 0x1
	s_load_b256 s[44:51], s[22:23], 0x4
	s_load_b128 s[60:63], s[22:23], 0x24
	s_load_b256 s[52:59], s[2:3], 0x0
	s_add_u32 s22, s22, 48
	s_addc_u32 s23, s23, 0
	s_add_i32 s41, s41, 4
	s_add_u32 s2, s2, 32
	s_addc_u32 s3, s3, 0
	s_cmp_eq_u32 s38, s41
	s_waitcnt vmcnt(0) lgkmcnt(0)
	v_mul_hi_u32 v6, s45, v2
	s_delay_alu instid0(VALU_DEP_1) | instskip(NEXT) | instid1(VALU_DEP_1)
	v_add_nc_u32_e32 v6, v2, v6
	v_lshrrev_b32_e32 v6, s46, v6
	s_delay_alu instid0(VALU_DEP_1) | instskip(SKIP_1) | instid1(VALU_DEP_2)
	v_mul_hi_u32 v7, s48, v6
	v_mul_lo_u32 v9, v6, s44
	v_add_nc_u32_e32 v7, v6, v7
	s_delay_alu instid0(VALU_DEP_2) | instskip(NEXT) | instid1(VALU_DEP_2)
	v_sub_nc_u32_e32 v2, v2, v9
	v_lshrrev_b32_e32 v7, s49, v7
	s_delay_alu instid0(VALU_DEP_2) | instskip(SKIP_1) | instid1(VALU_DEP_3)
	v_mul_lo_u32 v9, v2, s52
	v_mul_lo_u32 v11, v2, s53
	v_mul_hi_u32 v8, s51, v7
	s_delay_alu instid0(VALU_DEP_1) | instskip(NEXT) | instid1(VALU_DEP_1)
	v_add_nc_u32_e32 v8, v7, v8
	v_lshrrev_b32_e32 v8, s60, v8
	s_delay_alu instid0(VALU_DEP_1) | instskip(SKIP_1) | instid1(VALU_DEP_2)
	v_mul_hi_u32 v10, s62, v8
	v_mul_lo_u32 v12, v8, s50
	v_add_nc_u32_e32 v2, v8, v10
	v_mul_lo_u32 v10, v7, s47
	s_delay_alu instid0(VALU_DEP_3) | instskip(NEXT) | instid1(VALU_DEP_3)
	v_sub_nc_u32_e32 v7, v7, v12
	v_lshrrev_b32_e32 v2, s63, v2
	s_delay_alu instid0(VALU_DEP_2) | instskip(SKIP_2) | instid1(VALU_DEP_4)
	v_mul_lo_u32 v12, v7, s56
	v_mul_lo_u32 v7, v7, s57
	v_sub_nc_u32_e32 v6, v6, v10
	v_mul_lo_u32 v13, v2, s61
	s_delay_alu instid0(VALU_DEP_2) | instskip(SKIP_1) | instid1(VALU_DEP_3)
	v_mul_lo_u32 v10, v6, s54
	v_mul_lo_u32 v6, v6, s55
	v_sub_nc_u32_e32 v8, v8, v13
	s_delay_alu instid0(VALU_DEP_3) | instskip(NEXT) | instid1(VALU_DEP_2)
	v_add3_u32 v0, v9, v0, v10
	v_mul_lo_u32 v13, v8, s58
	v_mul_lo_u32 v8, v8, s59
	v_add3_u32 v1, v11, v1, v6
	s_delay_alu instid0(VALU_DEP_3) | instskip(NEXT) | instid1(VALU_DEP_2)
	v_add3_u32 v0, v12, v0, v13
	v_add3_u32 v1, v7, v1, v8
	s_cbranch_scc0 .LBB105_269
	s_branch .LBB105_272
.LBB105_270:
	s_mov_b32 s37, -1
                                        ; implicit-def: $vgpr0
                                        ; implicit-def: $vgpr1
	s_branch .LBB105_275
.LBB105_271:
	v_dual_mov_b32 v2, v5 :: v_dual_mov_b32 v1, 0
.LBB105_272:
	s_and_b32 s40, s40, 3
	s_delay_alu instid0(SALU_CYCLE_1)
	s_cmp_eq_u32 s40, 0
	s_cbranch_scc1 .LBB105_275
; %bb.273:
	s_lshl_b32 s2, s38, 3
	s_mul_i32 s22, s38, 12
	s_add_u32 s2, s2, s16
	s_addc_u32 s3, s17, 0
	s_add_u32 s2, s2, 0xc4
	s_addc_u32 s3, s3, 0
	s_add_u32 s22, s16, s22
	s_addc_u32 s23, s17, 0
	.p2align	6
.LBB105_274:                            ; =>This Inner Loop Header: Depth=1
	s_clause 0x1
	s_load_b64 s[42:43], s[22:23], 0x4
	s_load_b32 s38, s[22:23], 0xc
	s_load_b64 s[44:45], s[2:3], 0x0
	s_add_u32 s22, s22, 12
	s_addc_u32 s23, s23, 0
	s_add_u32 s2, s2, 8
	s_addc_u32 s3, s3, 0
	s_add_i32 s40, s40, -1
	s_delay_alu instid0(SALU_CYCLE_1) | instskip(SKIP_2) | instid1(VALU_DEP_1)
	s_cmp_lg_u32 s40, 0
	s_waitcnt vmcnt(0) lgkmcnt(0)
	v_mul_hi_u32 v6, s43, v2
	v_add_nc_u32_e32 v6, v2, v6
	s_delay_alu instid0(VALU_DEP_1) | instskip(NEXT) | instid1(VALU_DEP_1)
	v_lshrrev_b32_e32 v9, s38, v6
	v_mul_lo_u32 v6, v9, s42
	s_delay_alu instid0(VALU_DEP_1) | instskip(NEXT) | instid1(VALU_DEP_1)
	v_sub_nc_u32_e32 v2, v2, v6
	v_mad_u64_u32 v[6:7], null, v2, s44, v[0:1]
	v_mad_u64_u32 v[7:8], null, v2, s45, v[1:2]
	v_mov_b32_e32 v2, v9
	s_delay_alu instid0(VALU_DEP_2)
	v_dual_mov_b32 v0, v6 :: v_dual_mov_b32 v1, v7
	s_cbranch_scc1 .LBB105_274
.LBB105_275:
	s_and_not1_b32 vcc_lo, exec_lo, s37
	s_cbranch_vccnz .LBB105_278
; %bb.276:
	s_waitcnt lgkmcnt(0)
	v_mul_hi_u32 v0, s13, v5
	s_and_not1_b32 vcc_lo, exec_lo, s29
	s_delay_alu instid0(VALU_DEP_1) | instskip(NEXT) | instid1(VALU_DEP_1)
	v_add_nc_u32_e32 v0, v5, v0
	v_lshrrev_b32_e32 v2, s14, v0
	s_delay_alu instid0(VALU_DEP_1) | instskip(NEXT) | instid1(VALU_DEP_1)
	v_mul_lo_u32 v0, v2, s12
	v_sub_nc_u32_e32 v1, v5, v0
	s_delay_alu instid0(VALU_DEP_1)
	v_mul_lo_u32 v0, v1, s8
	v_mul_lo_u32 v1, v1, s9
	s_cbranch_vccnz .LBB105_278
; %bb.277:
	s_waitcnt vmcnt(0)
	v_mul_hi_u32 v6, s18, v2
	s_delay_alu instid0(VALU_DEP_1) | instskip(NEXT) | instid1(VALU_DEP_1)
	v_add_nc_u32_e32 v6, v2, v6
	v_lshrrev_b32_e32 v6, s19, v6
	s_delay_alu instid0(VALU_DEP_1) | instskip(NEXT) | instid1(VALU_DEP_1)
	v_mul_lo_u32 v6, v6, s15
	v_sub_nc_u32_e32 v2, v2, v6
	s_delay_alu instid0(VALU_DEP_1) | instskip(SKIP_1) | instid1(VALU_DEP_1)
	v_mad_u64_u32 v[6:7], null, v2, s10, v[0:1]
	v_mad_u64_u32 v[7:8], null, v2, s11, v[1:2]
	v_dual_mov_b32 v0, v6 :: v_dual_mov_b32 v1, v7
.LBB105_278:
	v_cmp_gt_i16_e32 vcc_lo, 11, v4
	s_waitcnt lgkmcnt(0)
	s_delay_alu instid0(VALU_DEP_2) | instskip(NEXT) | instid1(VALU_DEP_1)
	v_add_co_u32 v1, s2, s6, v1
	v_add_co_ci_u32_e64 v2, null, s7, 0, s2
	s_mov_b32 s2, 0
	s_cbranch_vccnz .LBB105_285
; %bb.279:
	v_cmp_lt_i16_e32 vcc_lo, 25, v4
	s_cbranch_vccz .LBB105_334
; %bb.280:
	v_cmp_lt_i16_e32 vcc_lo, 28, v4
	s_cbranch_vccz .LBB105_335
; %bb.281:
	v_cmp_lt_i16_e32 vcc_lo, 43, v4
	s_cbranch_vccz .LBB105_337
; %bb.282:
	v_cmp_lt_i16_e32 vcc_lo, 45, v4
	s_cbranch_vccz .LBB105_339
; %bb.283:
	v_cmp_eq_u16_e32 vcc_lo, 46, v4
	s_mov_b32 s22, 0
	s_cbranch_vccz .LBB105_343
; %bb.284:
	global_load_b32 v6, v[1:2], off
	s_mov_b32 s2, -1
	s_mov_b32 s3, 0
	s_branch .LBB105_345
.LBB105_285:
	s_mov_b32 s3, s35
                                        ; implicit-def: $vgpr6
	s_cbranch_execnz .LBB105_482
.LBB105_286:
	s_and_not1_b32 vcc_lo, exec_lo, s2
	s_cbranch_vccnz .LBB105_530
.LBB105_287:
	s_waitcnt vmcnt(0)
	s_delay_alu instid0(VALU_DEP_1) | instskip(SKIP_3) | instid1(VALU_DEP_2)
	v_lshlrev_b32_e32 v1, 16, v6
	v_add_co_u32 v0, s2, s4, v0
	s_mov_b32 s22, 0
	s_mov_b32 s23, -1
	v_mul_f32_e32 v2, 0x3fb8aa3b, v1
	s_delay_alu instid0(VALU_DEP_1) | instskip(SKIP_1) | instid1(VALU_DEP_1)
	v_rndne_f32_e32 v6, v2
	v_fma_f32 v7, 0x3fb8aa3b, v1, -v2
	v_dual_sub_f32 v2, v2, v6 :: v_dual_fmamk_f32 v7, v1, 0x32a5705f, v7
	v_cvt_i32_f32_e32 v6, v6
	s_delay_alu instid0(VALU_DEP_2) | instskip(SKIP_1) | instid1(VALU_DEP_2)
	v_add_f32_e32 v2, v2, v7
	v_cmp_ngt_f32_e32 vcc_lo, 0xc2ce8ed0, v1
	v_exp_f32_e32 v2, v2
	s_waitcnt_depctr 0xfff
	v_ldexp_f32 v2, v2, v6
	v_and_b32_e32 v6, 0xff, v3
	s_delay_alu instid0(VALU_DEP_2) | instskip(SKIP_1) | instid1(VALU_DEP_2)
	v_cndmask_b32_e32 v2, 0, v2, vcc_lo
	v_cmp_nlt_f32_e32 vcc_lo, 0x42b17218, v1
	v_cndmask_b32_e32 v2, 0x7f800000, v2, vcc_lo
	s_delay_alu instid0(VALU_DEP_4) | instskip(NEXT) | instid1(VALU_DEP_2)
	v_cmp_gt_i16_e32 vcc_lo, 11, v6
	v_bfe_u32 v1, v2, 16, 1
	s_and_b32 vcc_lo, exec_lo, vcc_lo
	s_delay_alu instid0(VALU_DEP_1) | instskip(NEXT) | instid1(VALU_DEP_1)
	v_add3_u32 v1, v2, v1, 0x7fff
	v_lshrrev_b32_e32 v7, 16, v1
	v_add_co_ci_u32_e64 v1, null, s5, 0, s2
	v_cmp_o_f32_e64 s2, v2, v2
	s_delay_alu instid0(VALU_DEP_1)
	v_cndmask_b32_e64 v2, 0x7fc0, v7, s2
	s_mov_b32 s2, s34
	s_cbranch_vccnz .LBB105_294
; %bb.288:
	v_cmp_lt_i16_e32 vcc_lo, 25, v6
	s_cbranch_vccz .LBB105_336
; %bb.289:
	v_cmp_lt_i16_e32 vcc_lo, 28, v6
	s_cbranch_vccz .LBB105_338
	;; [unrolled: 3-line block ×4, first 2 shown]
; %bb.292:
	v_cmp_eq_u16_e32 vcc_lo, 46, v6
	s_mov_b32 s23, 0
	s_mov_b32 s2, -1
	s_cbranch_vccz .LBB105_349
; %bb.293:
	v_and_b32_e32 v7, 0xffff, v2
	s_mov_b32 s22, -1
	s_mov_b32 s2, 0
	global_store_b32 v[0:1], v7, off
	s_branch .LBB105_349
.LBB105_294:
	s_and_b32 vcc_lo, exec_lo, s23
	s_cbranch_vccz .LBB105_418
; %bb.295:
	v_cmp_gt_i16_e32 vcc_lo, 5, v6
	s_mov_b32 s22, -1
	s_cbranch_vccnz .LBB105_316
; %bb.296:
	v_cmp_gt_i16_e32 vcc_lo, 8, v6
	s_cbranch_vccnz .LBB105_306
; %bb.297:
	v_cmp_gt_i16_e32 vcc_lo, 9, v6
	s_cbranch_vccnz .LBB105_303
; %bb.298:
	v_cmp_lt_i16_e32 vcc_lo, 9, v6
	s_cbranch_vccz .LBB105_300
; %bb.299:
	v_mov_b32_e32 v9, 0
	v_lshlrev_b32_e32 v7, 16, v2
	s_mov_b32 s22, 0
	s_delay_alu instid0(VALU_DEP_2) | instskip(NEXT) | instid1(VALU_DEP_2)
	v_mov_b32_e32 v10, v9
	v_cvt_f64_f32_e32 v[7:8], v7
	global_store_b128 v[0:1], v[7:10], off
.LBB105_300:
	s_and_not1_b32 vcc_lo, exec_lo, s22
	s_cbranch_vccnz .LBB105_302
; %bb.301:
	v_dual_mov_b32 v8, 0 :: v_dual_lshlrev_b32 v7, 16, v2
	global_store_b64 v[0:1], v[7:8], off
.LBB105_302:
	s_mov_b32 s22, 0
.LBB105_303:
	s_delay_alu instid0(SALU_CYCLE_1)
	s_and_not1_b32 vcc_lo, exec_lo, s22
	s_cbranch_vccnz .LBB105_305
; %bb.304:
	v_lshlrev_b32_e32 v7, 16, v2
	s_delay_alu instid0(VALU_DEP_1) | instskip(NEXT) | instid1(VALU_DEP_1)
	v_cvt_f16_f32_e32 v7, v7
	v_and_b32_e32 v7, 0xffff, v7
	global_store_b32 v[0:1], v7, off
.LBB105_305:
	s_mov_b32 s22, 0
.LBB105_306:
	s_delay_alu instid0(SALU_CYCLE_1)
	s_and_not1_b32 vcc_lo, exec_lo, s22
	s_cbranch_vccnz .LBB105_315
; %bb.307:
	v_cmp_gt_i16_e32 vcc_lo, 6, v6
	s_mov_b32 s22, -1
	s_cbranch_vccnz .LBB105_313
; %bb.308:
	v_cmp_lt_i16_e32 vcc_lo, 6, v6
	s_cbranch_vccz .LBB105_310
; %bb.309:
	v_lshlrev_b32_e32 v7, 16, v2
	s_mov_b32 s22, 0
	s_delay_alu instid0(VALU_DEP_1)
	v_cvt_f64_f32_e32 v[7:8], v7
	global_store_b64 v[0:1], v[7:8], off
.LBB105_310:
	s_and_not1_b32 vcc_lo, exec_lo, s22
	s_cbranch_vccnz .LBB105_312
; %bb.311:
	v_lshlrev_b32_e32 v7, 16, v2
	global_store_b32 v[0:1], v7, off
.LBB105_312:
	s_mov_b32 s22, 0
.LBB105_313:
	s_delay_alu instid0(SALU_CYCLE_1)
	s_and_not1_b32 vcc_lo, exec_lo, s22
	s_cbranch_vccnz .LBB105_315
; %bb.314:
	v_lshlrev_b32_e32 v7, 16, v2
	s_delay_alu instid0(VALU_DEP_1)
	v_cvt_f16_f32_e32 v7, v7
	global_store_b16 v[0:1], v7, off
.LBB105_315:
	s_mov_b32 s22, 0
.LBB105_316:
	s_delay_alu instid0(SALU_CYCLE_1)
	s_and_not1_b32 vcc_lo, exec_lo, s22
	s_cbranch_vccnz .LBB105_332
; %bb.317:
	v_cmp_gt_i16_e32 vcc_lo, 2, v6
	s_mov_b32 s22, -1
	s_cbranch_vccnz .LBB105_327
; %bb.318:
	v_cmp_gt_i16_e32 vcc_lo, 3, v6
	s_cbranch_vccnz .LBB105_324
; %bb.319:
	v_cmp_lt_i16_e32 vcc_lo, 3, v6
	s_cbranch_vccz .LBB105_321
; %bb.320:
	v_lshlrev_b32_e32 v7, 16, v2
	s_mov_b32 s22, 0
	s_delay_alu instid0(VALU_DEP_1) | instskip(NEXT) | instid1(VALU_DEP_1)
	v_trunc_f32_e32 v7, v7
	v_mul_f32_e64 v8, 0x2f800000, |v7|
	v_ashrrev_i32_e32 v10, 31, v7
	s_delay_alu instid0(VALU_DEP_2) | instskip(NEXT) | instid1(VALU_DEP_1)
	v_floor_f32_e32 v8, v8
	v_fma_f32 v9, 0xcf800000, v8, |v7|
	v_cvt_u32_f32_e32 v8, v8
	s_delay_alu instid0(VALU_DEP_2) | instskip(NEXT) | instid1(VALU_DEP_2)
	v_cvt_u32_f32_e32 v7, v9
	v_xor_b32_e32 v8, v8, v10
	s_delay_alu instid0(VALU_DEP_2) | instskip(NEXT) | instid1(VALU_DEP_1)
	v_xor_b32_e32 v7, v7, v10
	v_sub_co_u32 v7, vcc_lo, v7, v10
	s_delay_alu instid0(VALU_DEP_3)
	v_sub_co_ci_u32_e32 v8, vcc_lo, v8, v10, vcc_lo
	global_store_b64 v[0:1], v[7:8], off
.LBB105_321:
	s_and_not1_b32 vcc_lo, exec_lo, s22
	s_cbranch_vccnz .LBB105_323
; %bb.322:
	v_lshlrev_b32_e32 v7, 16, v2
	s_delay_alu instid0(VALU_DEP_1)
	v_cvt_i32_f32_e32 v7, v7
	global_store_b32 v[0:1], v7, off
.LBB105_323:
	s_mov_b32 s22, 0
.LBB105_324:
	s_delay_alu instid0(SALU_CYCLE_1)
	s_and_not1_b32 vcc_lo, exec_lo, s22
	s_cbranch_vccnz .LBB105_326
; %bb.325:
	v_lshlrev_b32_e32 v7, 16, v2
	s_delay_alu instid0(VALU_DEP_1)
	v_cvt_i32_f32_e32 v7, v7
	global_store_b16 v[0:1], v7, off
.LBB105_326:
	s_mov_b32 s22, 0
.LBB105_327:
	s_delay_alu instid0(SALU_CYCLE_1)
	s_and_not1_b32 vcc_lo, exec_lo, s22
	s_cbranch_vccnz .LBB105_332
; %bb.328:
	v_cmp_lt_i16_e32 vcc_lo, 0, v6
	s_mov_b32 s22, -1
	s_cbranch_vccz .LBB105_330
; %bb.329:
	v_lshlrev_b32_e32 v6, 16, v2
	s_mov_b32 s22, 0
	s_delay_alu instid0(VALU_DEP_1)
	v_cvt_i32_f32_e32 v6, v6
	global_store_b8 v[0:1], v6, off
.LBB105_330:
	s_and_not1_b32 vcc_lo, exec_lo, s22
	s_cbranch_vccnz .LBB105_332
; %bb.331:
	v_lshlrev_b32_e32 v2, 16, v2
	s_delay_alu instid0(VALU_DEP_1) | instskip(NEXT) | instid1(VALU_DEP_1)
	v_trunc_f32_e32 v2, v2
	v_mul_f32_e64 v6, 0x2f800000, |v2|
	s_delay_alu instid0(VALU_DEP_1) | instskip(NEXT) | instid1(VALU_DEP_1)
	v_floor_f32_e32 v6, v6
	v_fma_f32 v6, 0xcf800000, v6, |v2|
	v_ashrrev_i32_e32 v2, 31, v2
	s_delay_alu instid0(VALU_DEP_2) | instskip(NEXT) | instid1(VALU_DEP_1)
	v_cvt_u32_f32_e32 v6, v6
	v_xor_b32_e32 v6, v6, v2
	s_delay_alu instid0(VALU_DEP_1)
	v_sub_nc_u32_e32 v2, v6, v2
	global_store_b8 v[0:1], v2, off
.LBB105_332:
	s_branch .LBB105_419
.LBB105_333:
	s_mov_b32 s22, 0
	s_branch .LBB105_531
.LBB105_334:
	s_mov_b32 s22, -1
	s_mov_b32 s3, s35
                                        ; implicit-def: $vgpr6
	s_branch .LBB105_446
.LBB105_335:
	s_mov_b32 s22, -1
	s_mov_b32 s3, s35
                                        ; implicit-def: $vgpr6
	s_branch .LBB105_427
.LBB105_336:
	s_mov_b32 s2, s34
	s_branch .LBB105_376
.LBB105_337:
	s_mov_b32 s22, -1
	s_mov_b32 s3, s35
                                        ; implicit-def: $vgpr6
	s_branch .LBB105_422
.LBB105_338:
	s_mov_b32 s2, s34
	s_branch .LBB105_359
.LBB105_339:
	s_mov_b32 s22, -1
	s_mov_b32 s3, s35
	s_branch .LBB105_344
.LBB105_340:
	s_mov_b32 s2, s34
	s_branch .LBB105_355
.LBB105_341:
	s_or_saveexec_b32 s34, s34
                                        ; implicit-def: $sgpr35
	s_delay_alu instid0(SALU_CYCLE_1)
	s_xor_b32 exec_lo, exec_lo, s34
	s_cbranch_execz .LBB105_65
.LBB105_342:
	v_add_f32_e64 v8, 0x42800000, |v9|
	s_and_not1_b32 s23, s23, exec_lo
	s_mov_b32 s35, 0
	s_delay_alu instid0(VALU_DEP_1) | instskip(NEXT) | instid1(VALU_DEP_1)
	v_and_b32_e32 v8, 0xff, v8
	v_cmp_ne_u32_e32 vcc_lo, 0, v8
	s_and_b32 s38, vcc_lo, exec_lo
	s_delay_alu instid0(SALU_CYCLE_1)
	s_or_b32 s23, s23, s38
	s_or_b32 exec_lo, exec_lo, s34
	v_mov_b32_e32 v10, s35
	s_and_saveexec_b32 s34, s23
	s_cbranch_execnz .LBB105_66
	s_branch .LBB105_67
.LBB105_343:
	s_mov_b32 s3, -1
.LBB105_344:
                                        ; implicit-def: $vgpr6
.LBB105_345:
	s_and_b32 vcc_lo, exec_lo, s22
	s_cbranch_vccz .LBB105_421
; %bb.346:
	v_cmp_eq_u16_e32 vcc_lo, 44, v4
	s_cbranch_vccz .LBB105_420
; %bb.347:
	global_load_u8 v6, v[1:2], off
	s_mov_b32 s3, 0
	s_mov_b32 s2, -1
	s_waitcnt vmcnt(0)
	v_lshlrev_b32_e32 v7, 23, v6
	v_cmp_ne_u32_e32 vcc_lo, 0xff, v6
	s_delay_alu instid0(VALU_DEP_2) | instskip(SKIP_1) | instid1(VALU_DEP_2)
	v_cndmask_b32_e32 v7, 0x7f800001, v7, vcc_lo
	v_cmp_ne_u32_e32 vcc_lo, 0, v6
	v_cndmask_b32_e32 v6, 0x400000, v7, vcc_lo
	s_delay_alu instid0(VALU_DEP_1) | instskip(SKIP_1) | instid1(VALU_DEP_2)
	v_add_nc_u32_e32 v7, 0x7fff, v6
	v_cmp_o_f32_e32 vcc_lo, v6, v6
	v_lshrrev_b32_e32 v7, 16, v7
	s_delay_alu instid0(VALU_DEP_1)
	v_cndmask_b32_e32 v6, 0x7fc0, v7, vcc_lo
	s_branch .LBB105_421
.LBB105_348:
	s_mov_b32 s2, s34
.LBB105_349:
	s_and_b32 vcc_lo, exec_lo, s23
	s_cbranch_vccz .LBB105_354
; %bb.350:
	v_cmp_eq_u16_e32 vcc_lo, 44, v6
	s_mov_b32 s2, -1
	s_cbranch_vccz .LBB105_354
; %bb.351:
	v_and_b32_e32 v7, 0xffff, v2
	v_mov_b32_e32 v8, 0xff
	s_mov_b32 s22, exec_lo
	s_delay_alu instid0(VALU_DEP_2) | instskip(NEXT) | instid1(VALU_DEP_1)
	v_bfe_u32 v9, v7, 7, 8
	v_cmpx_ne_u32_e32 0xff, v9
; %bb.352:
	v_lshlrev_b32_e32 v8, 16, v7
	v_and_b32_e32 v10, 64, v7
	v_lshrrev_b32_e32 v7, 7, v7
	s_delay_alu instid0(VALU_DEP_3) | instskip(NEXT) | instid1(VALU_DEP_3)
	v_and_or_b32 v8, 0x3f0000, v8, v9
	v_cmp_ne_u32_e32 vcc_lo, 0, v10
	s_delay_alu instid0(VALU_DEP_2) | instskip(NEXT) | instid1(VALU_DEP_1)
	v_cmp_ne_u32_e64 s2, 0, v8
	s_and_b32 s2, vcc_lo, s2
	s_delay_alu instid0(SALU_CYCLE_1) | instskip(NEXT) | instid1(VALU_DEP_1)
	v_cndmask_b32_e64 v8, 0, 1, s2
	v_add_nc_u32_e32 v8, v7, v8
; %bb.353:
	s_or_b32 exec_lo, exec_lo, s22
	s_mov_b32 s22, -1
	s_mov_b32 s2, 0
	global_store_b8 v[0:1], v8, off
.LBB105_354:
	s_mov_b32 s23, 0
.LBB105_355:
	s_delay_alu instid0(SALU_CYCLE_1)
	s_and_b32 vcc_lo, exec_lo, s23
	s_cbranch_vccz .LBB105_358
; %bb.356:
	v_cmp_eq_u16_e32 vcc_lo, 29, v6
	s_mov_b32 s2, -1
	s_cbranch_vccz .LBB105_358
; %bb.357:
	v_lshlrev_b32_e32 v7, 16, v2
	s_mov_b32 s22, -1
	s_mov_b32 s2, 0
	s_mov_b32 s23, 0
	s_delay_alu instid0(VALU_DEP_1) | instskip(NEXT) | instid1(VALU_DEP_1)
	v_trunc_f32_e32 v7, v7
	v_mul_f32_e32 v8, 0x2f800000, v7
	s_delay_alu instid0(VALU_DEP_1) | instskip(NEXT) | instid1(VALU_DEP_1)
	v_floor_f32_e32 v8, v8
	v_fmamk_f32 v7, v8, 0xcf800000, v7
	v_cvt_u32_f32_e32 v8, v8
	s_delay_alu instid0(VALU_DEP_2)
	v_cvt_u32_f32_e32 v7, v7
	global_store_b64 v[0:1], v[7:8], off
	s_branch .LBB105_359
.LBB105_358:
	s_mov_b32 s23, 0
.LBB105_359:
	s_delay_alu instid0(SALU_CYCLE_1)
	s_and_b32 vcc_lo, exec_lo, s23
	s_cbranch_vccz .LBB105_375
; %bb.360:
	v_cmp_gt_i16_e32 vcc_lo, 27, v6
	s_mov_b32 s22, -1
	s_cbranch_vccnz .LBB105_366
; %bb.361:
	v_cmp_lt_i16_e32 vcc_lo, 27, v6
	s_cbranch_vccz .LBB105_363
; %bb.362:
	v_lshlrev_b32_e32 v7, 16, v2
	s_mov_b32 s22, 0
	s_delay_alu instid0(VALU_DEP_1)
	v_cvt_u32_f32_e32 v7, v7
	global_store_b32 v[0:1], v7, off
.LBB105_363:
	s_and_not1_b32 vcc_lo, exec_lo, s22
	s_cbranch_vccnz .LBB105_365
; %bb.364:
	v_lshlrev_b32_e32 v7, 16, v2
	s_delay_alu instid0(VALU_DEP_1)
	v_cvt_u32_f32_e32 v7, v7
	global_store_b16 v[0:1], v7, off
.LBB105_365:
	s_mov_b32 s22, 0
.LBB105_366:
	s_delay_alu instid0(SALU_CYCLE_1)
	s_and_not1_b32 vcc_lo, exec_lo, s22
	s_cbranch_vccnz .LBB105_374
; %bb.367:
	v_dual_mov_b32 v10, 0x80 :: v_dual_lshlrev_b32 v9, 16, v2
	s_mov_b32 s22, exec_lo
	s_delay_alu instid0(VALU_DEP_1) | instskip(NEXT) | instid1(VALU_DEP_1)
	v_and_b32_e32 v8, 0x7fffffff, v9
	v_cmpx_gt_u32_e32 0x43800000, v8
	s_cbranch_execz .LBB105_373
; %bb.368:
	v_and_b32_e32 v7, 0xffff, v2
	v_cmp_lt_u32_e32 vcc_lo, 0x3bffffff, v8
	s_mov_b32 s23, 0
                                        ; implicit-def: $vgpr8
	s_and_saveexec_b32 s37, vcc_lo
	s_delay_alu instid0(SALU_CYCLE_1)
	s_xor_b32 s37, exec_lo, s37
	s_cbranch_execz .LBB105_559
; %bb.369:
	v_bfe_u32 v8, v7, 4, 1
	s_mov_b32 s23, exec_lo
	s_delay_alu instid0(VALU_DEP_1) | instskip(NEXT) | instid1(VALU_DEP_1)
	v_add3_u32 v8, v9, v8, 0x487ffff
                                        ; implicit-def: $vgpr9
	v_lshrrev_b32_e32 v8, 20, v8
	s_or_saveexec_b32 s37, s37
                                        ; implicit-def: $sgpr38
	s_delay_alu instid0(SALU_CYCLE_1)
	s_xor_b32 exec_lo, exec_lo, s37
	s_cbranch_execnz .LBB105_560
.LBB105_370:
	s_or_b32 exec_lo, exec_lo, s37
	v_mov_b32_e32 v10, s38
	s_and_saveexec_b32 s37, s23
.LBB105_371:
	v_lshrrev_b32_e32 v7, 8, v7
	s_delay_alu instid0(VALU_DEP_1)
	v_and_or_b32 v10, 0x80, v7, v8
.LBB105_372:
	s_or_b32 exec_lo, exec_lo, s37
.LBB105_373:
	s_delay_alu instid0(SALU_CYCLE_1)
	s_or_b32 exec_lo, exec_lo, s22
	global_store_b8 v[0:1], v10, off
.LBB105_374:
	s_mov_b32 s22, -1
.LBB105_375:
	s_mov_b32 s23, 0
.LBB105_376:
	s_delay_alu instid0(SALU_CYCLE_1)
	s_and_b32 vcc_lo, exec_lo, s23
	s_cbranch_vccz .LBB105_417
; %bb.377:
	v_cmp_lt_i16_e32 vcc_lo, 22, v6
	s_mov_b32 s23, -1
	s_cbranch_vccz .LBB105_409
; %bb.378:
	v_cmp_gt_i16_e32 vcc_lo, 24, v6
	s_mov_b32 s22, -1
	s_cbranch_vccnz .LBB105_398
; %bb.379:
	v_cmp_lt_i16_e32 vcc_lo, 24, v6
	s_cbranch_vccz .LBB105_387
; %bb.380:
	v_dual_mov_b32 v10, 0x80 :: v_dual_lshlrev_b32 v9, 16, v2
	s_mov_b32 s22, exec_lo
	s_delay_alu instid0(VALU_DEP_1) | instskip(NEXT) | instid1(VALU_DEP_1)
	v_and_b32_e32 v8, 0x7fffffff, v9
	v_cmpx_gt_u32_e32 0x47800000, v8
	s_cbranch_execz .LBB105_386
; %bb.381:
	v_and_b32_e32 v7, 0xffff, v2
	v_cmp_lt_u32_e32 vcc_lo, 0x37ffffff, v8
	s_mov_b32 s23, 0
                                        ; implicit-def: $vgpr8
	s_and_saveexec_b32 s37, vcc_lo
	s_delay_alu instid0(SALU_CYCLE_1)
	s_xor_b32 s37, exec_lo, s37
	s_cbranch_execz .LBB105_562
; %bb.382:
	v_bfe_u32 v8, v7, 5, 1
	s_mov_b32 s23, exec_lo
	s_delay_alu instid0(VALU_DEP_1) | instskip(NEXT) | instid1(VALU_DEP_1)
	v_add3_u32 v8, v9, v8, 0x88fffff
                                        ; implicit-def: $vgpr9
	v_lshrrev_b32_e32 v8, 21, v8
	s_or_saveexec_b32 s37, s37
                                        ; implicit-def: $sgpr38
	s_delay_alu instid0(SALU_CYCLE_1)
	s_xor_b32 exec_lo, exec_lo, s37
	s_cbranch_execnz .LBB105_563
.LBB105_383:
	s_or_b32 exec_lo, exec_lo, s37
	v_mov_b32_e32 v10, s38
	s_and_saveexec_b32 s37, s23
.LBB105_384:
	v_lshrrev_b32_e32 v7, 8, v7
	s_delay_alu instid0(VALU_DEP_1)
	v_and_or_b32 v10, 0x80, v7, v8
.LBB105_385:
	s_or_b32 exec_lo, exec_lo, s37
.LBB105_386:
	s_delay_alu instid0(SALU_CYCLE_1)
	s_or_b32 exec_lo, exec_lo, s22
	s_mov_b32 s22, 0
	global_store_b8 v[0:1], v10, off
.LBB105_387:
	s_and_b32 vcc_lo, exec_lo, s22
	s_cbranch_vccz .LBB105_397
; %bb.388:
	v_lshlrev_b32_e32 v9, 16, v2
	v_and_b32_e32 v7, 0xffff, v2
	s_mov_b32 s22, exec_lo
                                        ; implicit-def: $vgpr8
	s_delay_alu instid0(VALU_DEP_2) | instskip(NEXT) | instid1(VALU_DEP_1)
	v_and_b32_e32 v10, 0x7fffffff, v9
	v_cmpx_gt_u32_e32 0x43f00000, v10
	s_xor_b32 s22, exec_lo, s22
	s_cbranch_execz .LBB105_394
; %bb.389:
	s_mov_b32 s23, exec_lo
                                        ; implicit-def: $vgpr8
	v_cmpx_lt_u32_e32 0x3c7fffff, v10
	s_xor_b32 s23, exec_lo, s23
; %bb.390:
	v_bfe_u32 v8, v7, 4, 1
	s_delay_alu instid0(VALU_DEP_1) | instskip(NEXT) | instid1(VALU_DEP_1)
	v_add3_u32 v8, v9, v8, 0x407ffff
	v_and_b32_e32 v9, 0xff00000, v8
	v_lshrrev_b32_e32 v8, 20, v8
	s_delay_alu instid0(VALU_DEP_2) | instskip(NEXT) | instid1(VALU_DEP_2)
	v_cmp_ne_u32_e32 vcc_lo, 0x7f00000, v9
                                        ; implicit-def: $vgpr9
	v_cndmask_b32_e32 v8, 0x7e, v8, vcc_lo
; %bb.391:
	s_and_not1_saveexec_b32 s23, s23
; %bb.392:
	v_add_f32_e64 v8, 0x46800000, |v9|
; %bb.393:
	s_or_b32 exec_lo, exec_lo, s23
                                        ; implicit-def: $vgpr10
.LBB105_394:
	s_and_not1_saveexec_b32 s22, s22
; %bb.395:
	v_mov_b32_e32 v8, 0x7f
	v_cmp_lt_u32_e32 vcc_lo, 0x7f800000, v10
	s_delay_alu instid0(VALU_DEP_2)
	v_cndmask_b32_e32 v8, 0x7e, v8, vcc_lo
; %bb.396:
	s_or_b32 exec_lo, exec_lo, s22
	v_lshrrev_b32_e32 v7, 8, v7
	s_delay_alu instid0(VALU_DEP_1)
	v_and_or_b32 v7, 0x80, v7, v8
	global_store_b8 v[0:1], v7, off
.LBB105_397:
	s_mov_b32 s22, 0
.LBB105_398:
	s_delay_alu instid0(SALU_CYCLE_1)
	s_and_not1_b32 vcc_lo, exec_lo, s22
	s_cbranch_vccnz .LBB105_408
; %bb.399:
	v_lshlrev_b32_e32 v9, 16, v2
	v_and_b32_e32 v7, 0xffff, v2
	s_mov_b32 s22, exec_lo
                                        ; implicit-def: $vgpr8
	s_delay_alu instid0(VALU_DEP_2) | instskip(NEXT) | instid1(VALU_DEP_1)
	v_and_b32_e32 v10, 0x7fffffff, v9
	v_cmpx_gt_u32_e32 0x47800000, v10
	s_xor_b32 s22, exec_lo, s22
	s_cbranch_execz .LBB105_405
; %bb.400:
	s_mov_b32 s23, exec_lo
                                        ; implicit-def: $vgpr8
	v_cmpx_lt_u32_e32 0x387fffff, v10
	s_xor_b32 s23, exec_lo, s23
; %bb.401:
	v_bfe_u32 v8, v7, 5, 1
	s_delay_alu instid0(VALU_DEP_1) | instskip(NEXT) | instid1(VALU_DEP_1)
	v_add3_u32 v8, v9, v8, 0x80fffff
                                        ; implicit-def: $vgpr9
	v_lshrrev_b32_e32 v8, 21, v8
; %bb.402:
	s_and_not1_saveexec_b32 s23, s23
; %bb.403:
	v_add_f32_e64 v8, 0x43000000, |v9|
; %bb.404:
	s_or_b32 exec_lo, exec_lo, s23
                                        ; implicit-def: $vgpr10
.LBB105_405:
	s_and_not1_saveexec_b32 s22, s22
; %bb.406:
	v_mov_b32_e32 v8, 0x7f
	v_cmp_lt_u32_e32 vcc_lo, 0x7f800000, v10
	s_delay_alu instid0(VALU_DEP_2)
	v_cndmask_b32_e32 v8, 0x7c, v8, vcc_lo
; %bb.407:
	s_or_b32 exec_lo, exec_lo, s22
	v_lshrrev_b32_e32 v7, 8, v7
	s_delay_alu instid0(VALU_DEP_1)
	v_and_or_b32 v7, 0x80, v7, v8
	global_store_b8 v[0:1], v7, off
.LBB105_408:
	s_mov_b32 s23, 0
	s_mov_b32 s22, -1
.LBB105_409:
	s_and_not1_b32 vcc_lo, exec_lo, s23
	s_cbranch_vccnz .LBB105_417
; %bb.410:
	v_cmp_lt_i16_e32 vcc_lo, 14, v6
	s_mov_b32 s23, -1
	s_cbranch_vccz .LBB105_414
; %bb.411:
	v_cmp_eq_u16_e32 vcc_lo, 15, v6
	s_mov_b32 s2, -1
	s_cbranch_vccz .LBB105_413
; %bb.412:
	s_mov_b32 s22, -1
	s_mov_b32 s2, 0
	global_store_b16 v[0:1], v2, off
.LBB105_413:
	s_mov_b32 s23, 0
.LBB105_414:
	s_delay_alu instid0(SALU_CYCLE_1)
	s_and_b32 vcc_lo, exec_lo, s23
	s_cbranch_vccz .LBB105_417
; %bb.415:
	v_cmp_eq_u16_e32 vcc_lo, 11, v6
	s_mov_b32 s2, -1
	s_cbranch_vccz .LBB105_417
; %bb.416:
	v_and_b32_e32 v7, 0x7fff, v2
	s_mov_b32 s2, 0
	s_mov_b32 s22, -1
	s_delay_alu instid0(VALU_DEP_1)
	v_cmp_ne_u16_e32 vcc_lo, 0, v7
	v_cndmask_b32_e64 v7, 0, 1, vcc_lo
	global_store_b8 v[0:1], v7, off
.LBB105_417:
.LBB105_418:
	s_and_not1_b32 vcc_lo, exec_lo, s22
	s_cbranch_vccnz .LBB105_333
.LBB105_419:
	v_add_nc_u32_e32 v5, 0x80, v5
	s_mov_b32 s22, -1
	s_branch .LBB105_532
.LBB105_420:
	s_mov_b32 s3, -1
                                        ; implicit-def: $vgpr6
.LBB105_421:
	s_mov_b32 s22, 0
.LBB105_422:
	s_delay_alu instid0(SALU_CYCLE_1)
	s_and_b32 vcc_lo, exec_lo, s22
	s_cbranch_vccz .LBB105_426
; %bb.423:
	v_cmp_eq_u16_e32 vcc_lo, 29, v4
	s_cbranch_vccz .LBB105_425
; %bb.424:
	global_load_b64 v[6:7], v[1:2], off
	s_mov_b32 s2, -1
	s_mov_b32 s3, 0
	s_mov_b32 s22, 0
	s_waitcnt vmcnt(0)
	v_clz_i32_u32_e32 v8, v7
	s_delay_alu instid0(VALU_DEP_1) | instskip(NEXT) | instid1(VALU_DEP_1)
	v_min_u32_e32 v8, 32, v8
	v_lshlrev_b64 v[6:7], v8, v[6:7]
	s_delay_alu instid0(VALU_DEP_1) | instskip(NEXT) | instid1(VALU_DEP_1)
	v_min_u32_e32 v6, 1, v6
	v_or_b32_e32 v6, v7, v6
	v_sub_nc_u32_e32 v7, 32, v8
	s_delay_alu instid0(VALU_DEP_2) | instskip(NEXT) | instid1(VALU_DEP_1)
	v_cvt_f32_u32_e32 v6, v6
	v_ldexp_f32 v6, v6, v7
	s_delay_alu instid0(VALU_DEP_1) | instskip(NEXT) | instid1(VALU_DEP_1)
	v_bfe_u32 v7, v6, 16, 1
	v_add3_u32 v6, v6, v7, 0x7fff
	s_delay_alu instid0(VALU_DEP_1)
	v_lshrrev_b32_e32 v6, 16, v6
	s_branch .LBB105_427
.LBB105_425:
	s_mov_b32 s3, -1
                                        ; implicit-def: $vgpr6
.LBB105_426:
	s_mov_b32 s22, 0
.LBB105_427:
	s_delay_alu instid0(SALU_CYCLE_1)
	s_and_b32 vcc_lo, exec_lo, s22
	s_cbranch_vccz .LBB105_445
; %bb.428:
	v_cmp_gt_i16_e32 vcc_lo, 27, v4
	s_cbranch_vccnz .LBB105_431
; %bb.429:
	v_cmp_lt_i16_e32 vcc_lo, 27, v4
	s_cbranch_vccz .LBB105_432
; %bb.430:
	global_load_b32 v6, v[1:2], off
	s_mov_b32 s2, 0
	s_waitcnt vmcnt(0)
	v_cvt_f32_u32_e32 v6, v6
	s_delay_alu instid0(VALU_DEP_1) | instskip(NEXT) | instid1(VALU_DEP_1)
	v_bfe_u32 v7, v6, 16, 1
	v_add3_u32 v6, v6, v7, 0x7fff
	s_delay_alu instid0(VALU_DEP_1)
	v_lshrrev_b32_e32 v6, 16, v6
	s_branch .LBB105_433
.LBB105_431:
	s_mov_b32 s2, -1
                                        ; implicit-def: $vgpr6
	s_branch .LBB105_436
.LBB105_432:
	s_mov_b32 s2, -1
                                        ; implicit-def: $vgpr6
.LBB105_433:
	s_delay_alu instid0(SALU_CYCLE_1)
	s_and_not1_b32 vcc_lo, exec_lo, s2
	s_cbranch_vccnz .LBB105_435
; %bb.434:
	global_load_u16 v6, v[1:2], off
	s_waitcnt vmcnt(0)
	v_cvt_f32_u32_e32 v6, v6
	s_delay_alu instid0(VALU_DEP_1) | instskip(NEXT) | instid1(VALU_DEP_1)
	v_bfe_u32 v7, v6, 16, 1
	v_add3_u32 v6, v6, v7, 0x7fff
	s_delay_alu instid0(VALU_DEP_1)
	v_lshrrev_b32_e32 v6, 16, v6
.LBB105_435:
	s_mov_b32 s2, 0
.LBB105_436:
	s_delay_alu instid0(SALU_CYCLE_1)
	s_and_not1_b32 vcc_lo, exec_lo, s2
	s_cbranch_vccnz .LBB105_444
; %bb.437:
	global_load_u8 v6, v[1:2], off
	s_mov_b32 s2, 0
	s_mov_b32 s23, exec_lo
                                        ; implicit-def: $sgpr22
	s_waitcnt vmcnt(0)
	v_cmpx_lt_i16_e32 0x7f, v6
	s_xor_b32 s23, exec_lo, s23
	s_cbranch_execz .LBB105_458
; %bb.438:
	s_mov_b32 s2, -1
	s_mov_b32 s37, exec_lo
                                        ; implicit-def: $sgpr22
	v_cmpx_eq_u16_e32 0x80, v6
; %bb.439:
	s_mov_b32 s22, 0x7f800001
	s_xor_b32 s2, exec_lo, -1
; %bb.440:
	s_or_b32 exec_lo, exec_lo, s37
	s_delay_alu instid0(SALU_CYCLE_1)
	s_and_b32 s2, s2, exec_lo
	s_or_saveexec_b32 s23, s23
	v_mov_b32_e32 v7, s22
	s_xor_b32 exec_lo, exec_lo, s23
	s_cbranch_execnz .LBB105_459
.LBB105_441:
	s_or_b32 exec_lo, exec_lo, s23
	s_and_saveexec_b32 s22, s2
	s_cbranch_execz .LBB105_443
.LBB105_442:
	v_and_b32_e32 v7, 0xffff, v6
	v_lshlrev_b32_e32 v6, 24, v6
	s_delay_alu instid0(VALU_DEP_2) | instskip(NEXT) | instid1(VALU_DEP_2)
	v_and_b32_e32 v8, 7, v7
	v_and_b32_e32 v6, 0x80000000, v6
	s_delay_alu instid0(VALU_DEP_2) | instskip(NEXT) | instid1(VALU_DEP_1)
	v_clz_i32_u32_e32 v9, v8
	v_min_u32_e32 v9, 32, v9
	s_delay_alu instid0(VALU_DEP_1) | instskip(SKIP_1) | instid1(VALU_DEP_2)
	v_subrev_nc_u32_e32 v10, 28, v9
	v_sub_nc_u32_e32 v9, 29, v9
	v_lshlrev_b32_e32 v10, v10, v7
	v_bfe_u32 v7, v7, 3, 4
	s_delay_alu instid0(VALU_DEP_2) | instskip(NEXT) | instid1(VALU_DEP_2)
	v_and_b32_e32 v10, 7, v10
	v_cmp_eq_u32_e32 vcc_lo, 0, v7
	s_delay_alu instid0(VALU_DEP_2) | instskip(NEXT) | instid1(VALU_DEP_1)
	v_dual_cndmask_b32 v7, v7, v9 :: v_dual_cndmask_b32 v8, v8, v10
	v_lshl_add_u32 v7, v7, 23, 0x3b800000
	s_delay_alu instid0(VALU_DEP_2) | instskip(NEXT) | instid1(VALU_DEP_1)
	v_lshlrev_b32_e32 v8, 20, v8
	v_or3_b32 v7, v6, v7, v8
.LBB105_443:
	s_or_b32 exec_lo, exec_lo, s22
	s_delay_alu instid0(VALU_DEP_1) | instskip(SKIP_1) | instid1(VALU_DEP_2)
	v_bfe_u32 v6, v7, 16, 1
	v_cmp_o_f32_e32 vcc_lo, v7, v7
	v_add3_u32 v6, v7, v6, 0x7fff
	s_delay_alu instid0(VALU_DEP_1) | instskip(NEXT) | instid1(VALU_DEP_1)
	v_lshrrev_b32_e32 v6, 16, v6
	v_cndmask_b32_e32 v6, 0x7fc0, v6, vcc_lo
.LBB105_444:
	s_mov_b32 s2, -1
.LBB105_445:
	s_mov_b32 s22, 0
.LBB105_446:
	s_delay_alu instid0(SALU_CYCLE_1)
	s_and_b32 vcc_lo, exec_lo, s22
	s_cbranch_vccz .LBB105_481
; %bb.447:
	v_cmp_lt_i16_e32 vcc_lo, 22, v4
	s_cbranch_vccz .LBB105_457
; %bb.448:
	v_cmp_gt_i16_e32 vcc_lo, 24, v4
	s_cbranch_vccnz .LBB105_460
; %bb.449:
	v_cmp_lt_i16_e32 vcc_lo, 24, v4
	s_cbranch_vccz .LBB105_461
; %bb.450:
	global_load_u8 v6, v[1:2], off
	s_mov_b32 s2, 0
	s_mov_b32 s23, exec_lo
                                        ; implicit-def: $sgpr22
	s_waitcnt vmcnt(0)
	v_cmpx_lt_i16_e32 0x7f, v6
	s_xor_b32 s23, exec_lo, s23
	s_cbranch_execz .LBB105_473
; %bb.451:
	s_mov_b32 s2, -1
	s_mov_b32 s37, exec_lo
                                        ; implicit-def: $sgpr22
	v_cmpx_eq_u16_e32 0x80, v6
; %bb.452:
	s_mov_b32 s22, 0x7f800001
	s_xor_b32 s2, exec_lo, -1
; %bb.453:
	s_or_b32 exec_lo, exec_lo, s37
	s_delay_alu instid0(SALU_CYCLE_1)
	s_and_b32 s2, s2, exec_lo
	s_or_saveexec_b32 s23, s23
	v_mov_b32_e32 v7, s22
	s_xor_b32 exec_lo, exec_lo, s23
	s_cbranch_execnz .LBB105_474
.LBB105_454:
	s_or_b32 exec_lo, exec_lo, s23
	s_and_saveexec_b32 s22, s2
	s_cbranch_execz .LBB105_456
.LBB105_455:
	v_and_b32_e32 v7, 0xffff, v6
	v_lshlrev_b32_e32 v6, 24, v6
	s_delay_alu instid0(VALU_DEP_2) | instskip(NEXT) | instid1(VALU_DEP_2)
	v_and_b32_e32 v8, 3, v7
	v_and_b32_e32 v6, 0x80000000, v6
	s_delay_alu instid0(VALU_DEP_2) | instskip(NEXT) | instid1(VALU_DEP_1)
	v_clz_i32_u32_e32 v9, v8
	v_min_u32_e32 v9, 32, v9
	s_delay_alu instid0(VALU_DEP_1) | instskip(SKIP_1) | instid1(VALU_DEP_2)
	v_subrev_nc_u32_e32 v10, 29, v9
	v_sub_nc_u32_e32 v9, 30, v9
	v_lshlrev_b32_e32 v10, v10, v7
	v_bfe_u32 v7, v7, 2, 5
	s_delay_alu instid0(VALU_DEP_2) | instskip(NEXT) | instid1(VALU_DEP_2)
	v_and_b32_e32 v10, 3, v10
	v_cmp_eq_u32_e32 vcc_lo, 0, v7
	s_delay_alu instid0(VALU_DEP_2) | instskip(NEXT) | instid1(VALU_DEP_1)
	v_dual_cndmask_b32 v7, v7, v9 :: v_dual_cndmask_b32 v8, v8, v10
	v_lshl_add_u32 v7, v7, 23, 0x37800000
	s_delay_alu instid0(VALU_DEP_2) | instskip(NEXT) | instid1(VALU_DEP_1)
	v_lshlrev_b32_e32 v8, 21, v8
	v_or3_b32 v7, v6, v7, v8
.LBB105_456:
	s_or_b32 exec_lo, exec_lo, s22
	s_delay_alu instid0(VALU_DEP_1) | instskip(SKIP_2) | instid1(VALU_DEP_2)
	v_bfe_u32 v6, v7, 16, 1
	v_cmp_o_f32_e32 vcc_lo, v7, v7
	s_mov_b32 s2, 0
	v_add3_u32 v6, v7, v6, 0x7fff
	s_delay_alu instid0(VALU_DEP_1) | instskip(NEXT) | instid1(VALU_DEP_1)
	v_lshrrev_b32_e32 v6, 16, v6
	v_cndmask_b32_e32 v6, 0x7fc0, v6, vcc_lo
	s_branch .LBB105_462
.LBB105_457:
	s_mov_b32 s22, -1
                                        ; implicit-def: $vgpr6
	s_branch .LBB105_468
.LBB105_458:
	s_or_saveexec_b32 s23, s23
	v_mov_b32_e32 v7, s22
	s_xor_b32 exec_lo, exec_lo, s23
	s_cbranch_execz .LBB105_441
.LBB105_459:
	v_cmp_ne_u16_e32 vcc_lo, 0, v6
	v_mov_b32_e32 v7, 0
	s_and_not1_b32 s2, s2, exec_lo
	s_and_b32 s22, vcc_lo, exec_lo
	s_delay_alu instid0(SALU_CYCLE_1)
	s_or_b32 s2, s2, s22
	s_or_b32 exec_lo, exec_lo, s23
	s_and_saveexec_b32 s22, s2
	s_cbranch_execnz .LBB105_442
	s_branch .LBB105_443
.LBB105_460:
	s_mov_b32 s2, -1
                                        ; implicit-def: $vgpr6
	s_branch .LBB105_465
.LBB105_461:
	s_mov_b32 s2, -1
                                        ; implicit-def: $vgpr6
.LBB105_462:
	s_delay_alu instid0(SALU_CYCLE_1)
	s_and_b32 vcc_lo, exec_lo, s2
	s_cbranch_vccz .LBB105_464
; %bb.463:
	global_load_u8 v6, v[1:2], off
	s_waitcnt vmcnt(0)
	v_lshlrev_b32_e32 v6, 24, v6
	s_delay_alu instid0(VALU_DEP_1) | instskip(NEXT) | instid1(VALU_DEP_1)
	v_and_b32_e32 v7, 0x7f000000, v6
	v_clz_i32_u32_e32 v8, v7
	v_add_nc_u32_e32 v10, 0x1000000, v7
	v_cmp_ne_u32_e32 vcc_lo, 0, v7
	s_delay_alu instid0(VALU_DEP_3) | instskip(NEXT) | instid1(VALU_DEP_1)
	v_min_u32_e32 v8, 32, v8
	v_sub_nc_u32_e64 v8, v8, 4 clamp
	s_delay_alu instid0(VALU_DEP_1) | instskip(SKIP_1) | instid1(VALU_DEP_2)
	v_lshlrev_b32_e32 v9, v8, v7
	v_lshlrev_b32_e32 v8, 23, v8
	v_lshrrev_b32_e32 v9, 4, v9
	s_delay_alu instid0(VALU_DEP_1) | instskip(SKIP_1) | instid1(VALU_DEP_2)
	v_sub_nc_u32_e32 v8, v9, v8
	v_ashrrev_i32_e32 v9, 8, v10
	v_add_nc_u32_e32 v8, 0x3c000000, v8
	s_delay_alu instid0(VALU_DEP_1) | instskip(NEXT) | instid1(VALU_DEP_1)
	v_and_or_b32 v8, 0x7f800000, v9, v8
	v_cndmask_b32_e32 v7, 0, v8, vcc_lo
	s_delay_alu instid0(VALU_DEP_1) | instskip(SKIP_1) | instid1(VALU_DEP_2)
	v_and_or_b32 v6, 0x80000000, v6, v7
	v_bfe_u32 v7, v7, 16, 1
	v_cmp_o_f32_e32 vcc_lo, v6, v6
	s_delay_alu instid0(VALU_DEP_2) | instskip(NEXT) | instid1(VALU_DEP_1)
	v_add3_u32 v7, v6, v7, 0x7fff
	v_lshrrev_b32_e32 v7, 16, v7
	s_delay_alu instid0(VALU_DEP_1)
	v_cndmask_b32_e32 v6, 0x7fc0, v7, vcc_lo
.LBB105_464:
	s_mov_b32 s2, 0
.LBB105_465:
	s_delay_alu instid0(SALU_CYCLE_1)
	s_and_not1_b32 vcc_lo, exec_lo, s2
	s_cbranch_vccnz .LBB105_467
; %bb.466:
	global_load_u8 v6, v[1:2], off
	s_waitcnt vmcnt(0)
	v_lshlrev_b32_e32 v7, 25, v6
	v_lshlrev_b16 v6, 8, v6
	s_delay_alu instid0(VALU_DEP_2) | instskip(NEXT) | instid1(VALU_DEP_2)
	v_lshrrev_b32_e32 v8, 4, v7
	v_and_or_b32 v9, 0x7f00, v6, 0.5
	v_bfe_i32 v6, v6, 0, 16
	s_delay_alu instid0(VALU_DEP_3) | instskip(NEXT) | instid1(VALU_DEP_1)
	v_or_b32_e32 v8, 0x70000000, v8
	v_dual_add_f32 v9, -0.5, v9 :: v_dual_mul_f32 v8, 0x7800000, v8
	v_cmp_gt_u32_e32 vcc_lo, 0x8000000, v7
	s_delay_alu instid0(VALU_DEP_2) | instskip(NEXT) | instid1(VALU_DEP_1)
	v_cndmask_b32_e32 v7, v8, v9, vcc_lo
	v_and_or_b32 v6, 0x80000000, v6, v7
	v_bfe_u32 v7, v7, 16, 1
	s_delay_alu instid0(VALU_DEP_2) | instskip(NEXT) | instid1(VALU_DEP_2)
	v_cmp_o_f32_e32 vcc_lo, v6, v6
	v_add3_u32 v7, v6, v7, 0x7fff
	s_delay_alu instid0(VALU_DEP_1) | instskip(NEXT) | instid1(VALU_DEP_1)
	v_lshrrev_b32_e32 v7, 16, v7
	v_cndmask_b32_e32 v6, 0x7fc0, v7, vcc_lo
.LBB105_467:
	s_mov_b32 s22, 0
	s_mov_b32 s2, -1
.LBB105_468:
	s_and_not1_b32 vcc_lo, exec_lo, s22
	s_cbranch_vccnz .LBB105_481
; %bb.469:
	v_cmp_lt_i16_e32 vcc_lo, 14, v4
	s_cbranch_vccz .LBB105_472
; %bb.470:
	v_cmp_eq_u16_e32 vcc_lo, 15, v4
	s_cbranch_vccz .LBB105_475
; %bb.471:
	global_load_u16 v6, v[1:2], off
	s_mov_b32 s2, -1
	s_mov_b32 s3, 0
	s_branch .LBB105_476
.LBB105_472:
	s_mov_b32 s22, -1
                                        ; implicit-def: $vgpr6
	s_branch .LBB105_477
.LBB105_473:
	s_or_saveexec_b32 s23, s23
	v_mov_b32_e32 v7, s22
	s_xor_b32 exec_lo, exec_lo, s23
	s_cbranch_execz .LBB105_454
.LBB105_474:
	v_cmp_ne_u16_e32 vcc_lo, 0, v6
	v_mov_b32_e32 v7, 0
	s_and_not1_b32 s2, s2, exec_lo
	s_and_b32 s22, vcc_lo, exec_lo
	s_delay_alu instid0(SALU_CYCLE_1)
	s_or_b32 s2, s2, s22
	s_or_b32 exec_lo, exec_lo, s23
	s_and_saveexec_b32 s22, s2
	s_cbranch_execnz .LBB105_455
	s_branch .LBB105_456
.LBB105_475:
	s_mov_b32 s3, -1
                                        ; implicit-def: $vgpr6
.LBB105_476:
	s_mov_b32 s22, 0
.LBB105_477:
	s_delay_alu instid0(SALU_CYCLE_1)
	s_and_b32 vcc_lo, exec_lo, s22
	s_cbranch_vccz .LBB105_481
; %bb.478:
	v_cmp_eq_u16_e32 vcc_lo, 11, v4
	s_cbranch_vccz .LBB105_480
; %bb.479:
	global_load_u8 v6, v[1:2], off
	s_mov_b32 s3, 0
	s_mov_b32 s2, -1
	s_waitcnt vmcnt(0)
	v_cmp_ne_u16_e32 vcc_lo, 0, v6
	v_cndmask_b32_e64 v6, 0, 1.0, vcc_lo
	s_delay_alu instid0(VALU_DEP_1)
	v_lshrrev_b32_e32 v6, 16, v6
	s_branch .LBB105_481
.LBB105_480:
	s_mov_b32 s3, -1
                                        ; implicit-def: $vgpr6
.LBB105_481:
	s_branch .LBB105_286
.LBB105_482:
	v_cmp_gt_i16_e32 vcc_lo, 5, v4
	s_cbranch_vccnz .LBB105_487
; %bb.483:
	v_cmp_gt_i16_e32 vcc_lo, 8, v4
	s_cbranch_vccnz .LBB105_488
; %bb.484:
	;; [unrolled: 3-line block ×3, first 2 shown]
	v_cmp_lt_i16_e32 vcc_lo, 9, v4
	s_cbranch_vccz .LBB105_490
; %bb.486:
	global_load_b64 v[6:7], v[1:2], off
	s_mov_b32 s2, 0
	s_waitcnt vmcnt(0)
	v_cvt_f32_f64_e32 v6, v[6:7]
	s_delay_alu instid0(VALU_DEP_1) | instskip(SKIP_1) | instid1(VALU_DEP_2)
	v_bfe_u32 v7, v6, 16, 1
	v_cmp_o_f32_e32 vcc_lo, v6, v6
	v_add3_u32 v7, v6, v7, 0x7fff
	s_delay_alu instid0(VALU_DEP_1) | instskip(NEXT) | instid1(VALU_DEP_1)
	v_lshrrev_b32_e32 v7, 16, v7
	v_cndmask_b32_e32 v6, 0x7fc0, v7, vcc_lo
	s_branch .LBB105_491
.LBB105_487:
	s_mov_b32 s2, -1
                                        ; implicit-def: $vgpr6
	s_branch .LBB105_509
.LBB105_488:
	s_mov_b32 s2, -1
                                        ; implicit-def: $vgpr6
	s_branch .LBB105_497
.LBB105_489:
	s_mov_b32 s2, -1
                                        ; implicit-def: $vgpr6
	s_branch .LBB105_494
.LBB105_490:
	s_mov_b32 s2, -1
                                        ; implicit-def: $vgpr6
.LBB105_491:
	s_delay_alu instid0(SALU_CYCLE_1)
	s_and_not1_b32 vcc_lo, exec_lo, s2
	s_cbranch_vccnz .LBB105_493
; %bb.492:
	global_load_b32 v6, v[1:2], off
	s_waitcnt vmcnt(0)
	v_bfe_u32 v7, v6, 16, 1
	v_cmp_o_f32_e32 vcc_lo, v6, v6
	s_delay_alu instid0(VALU_DEP_2) | instskip(NEXT) | instid1(VALU_DEP_1)
	v_add3_u32 v7, v6, v7, 0x7fff
	v_lshrrev_b32_e32 v7, 16, v7
	s_delay_alu instid0(VALU_DEP_1)
	v_cndmask_b32_e32 v6, 0x7fc0, v7, vcc_lo
.LBB105_493:
	s_mov_b32 s2, 0
.LBB105_494:
	s_delay_alu instid0(SALU_CYCLE_1)
	s_and_not1_b32 vcc_lo, exec_lo, s2
	s_cbranch_vccnz .LBB105_496
; %bb.495:
	global_load_b32 v6, v[1:2], off
	s_waitcnt vmcnt(0)
	v_cvt_f32_f16_e32 v7, v6
	v_cmp_o_f16_e32 vcc_lo, v6, v6
	s_delay_alu instid0(VALU_DEP_2) | instskip(NEXT) | instid1(VALU_DEP_1)
	v_bfe_u32 v8, v7, 16, 1
	v_add3_u32 v7, v7, v8, 0x7fff
	s_delay_alu instid0(VALU_DEP_1) | instskip(NEXT) | instid1(VALU_DEP_1)
	v_lshrrev_b32_e32 v7, 16, v7
	v_cndmask_b32_e32 v6, 0x7fc0, v7, vcc_lo
.LBB105_496:
	s_mov_b32 s2, 0
.LBB105_497:
	s_delay_alu instid0(SALU_CYCLE_1)
	s_and_not1_b32 vcc_lo, exec_lo, s2
	s_cbranch_vccnz .LBB105_508
; %bb.498:
	v_cmp_gt_i16_e32 vcc_lo, 6, v4
	s_cbranch_vccnz .LBB105_501
; %bb.499:
	v_cmp_lt_i16_e32 vcc_lo, 6, v4
	s_cbranch_vccz .LBB105_502
; %bb.500:
	global_load_b64 v[6:7], v[1:2], off
	s_mov_b32 s2, 0
	s_waitcnt vmcnt(0)
	v_cvt_f32_f64_e32 v6, v[6:7]
	s_delay_alu instid0(VALU_DEP_1) | instskip(SKIP_1) | instid1(VALU_DEP_2)
	v_bfe_u32 v7, v6, 16, 1
	v_cmp_o_f32_e32 vcc_lo, v6, v6
	v_add3_u32 v7, v6, v7, 0x7fff
	s_delay_alu instid0(VALU_DEP_1) | instskip(NEXT) | instid1(VALU_DEP_1)
	v_lshrrev_b32_e32 v7, 16, v7
	v_cndmask_b32_e32 v6, 0x7fc0, v7, vcc_lo
	s_branch .LBB105_503
.LBB105_501:
	s_mov_b32 s2, -1
                                        ; implicit-def: $vgpr6
	s_branch .LBB105_506
.LBB105_502:
	s_mov_b32 s2, -1
                                        ; implicit-def: $vgpr6
.LBB105_503:
	s_delay_alu instid0(SALU_CYCLE_1)
	s_and_not1_b32 vcc_lo, exec_lo, s2
	s_cbranch_vccnz .LBB105_505
; %bb.504:
	global_load_b32 v6, v[1:2], off
	s_waitcnt vmcnt(0)
	v_bfe_u32 v7, v6, 16, 1
	v_cmp_o_f32_e32 vcc_lo, v6, v6
	s_delay_alu instid0(VALU_DEP_2) | instskip(NEXT) | instid1(VALU_DEP_1)
	v_add3_u32 v7, v6, v7, 0x7fff
	v_lshrrev_b32_e32 v7, 16, v7
	s_delay_alu instid0(VALU_DEP_1)
	v_cndmask_b32_e32 v6, 0x7fc0, v7, vcc_lo
.LBB105_505:
	s_mov_b32 s2, 0
.LBB105_506:
	s_delay_alu instid0(SALU_CYCLE_1)
	s_and_not1_b32 vcc_lo, exec_lo, s2
	s_cbranch_vccnz .LBB105_508
; %bb.507:
	global_load_u16 v6, v[1:2], off
	s_waitcnt vmcnt(0)
	v_cvt_f32_f16_e32 v7, v6
	v_cmp_o_f16_e32 vcc_lo, v6, v6
	s_delay_alu instid0(VALU_DEP_2) | instskip(NEXT) | instid1(VALU_DEP_1)
	v_bfe_u32 v8, v7, 16, 1
	v_add3_u32 v7, v7, v8, 0x7fff
	s_delay_alu instid0(VALU_DEP_1) | instskip(NEXT) | instid1(VALU_DEP_1)
	v_lshrrev_b32_e32 v7, 16, v7
	v_cndmask_b32_e32 v6, 0x7fc0, v7, vcc_lo
.LBB105_508:
	s_mov_b32 s2, 0
.LBB105_509:
	s_delay_alu instid0(SALU_CYCLE_1)
	s_and_not1_b32 vcc_lo, exec_lo, s2
	s_cbranch_vccnz .LBB105_529
; %bb.510:
	v_cmp_gt_i16_e32 vcc_lo, 2, v4
	s_cbranch_vccnz .LBB105_514
; %bb.511:
	v_cmp_gt_i16_e32 vcc_lo, 3, v4
	s_cbranch_vccnz .LBB105_515
; %bb.512:
	v_cmp_lt_i16_e32 vcc_lo, 3, v4
	s_cbranch_vccz .LBB105_516
; %bb.513:
	global_load_b64 v[6:7], v[1:2], off
	s_mov_b32 s2, 0
	s_waitcnt vmcnt(0)
	v_xor_b32_e32 v8, v6, v7
	v_cls_i32_e32 v9, v7
	s_delay_alu instid0(VALU_DEP_2) | instskip(NEXT) | instid1(VALU_DEP_2)
	v_ashrrev_i32_e32 v8, 31, v8
	v_add_nc_u32_e32 v9, -1, v9
	s_delay_alu instid0(VALU_DEP_2) | instskip(NEXT) | instid1(VALU_DEP_1)
	v_add_nc_u32_e32 v8, 32, v8
	v_min_u32_e32 v8, v9, v8
	s_delay_alu instid0(VALU_DEP_1) | instskip(NEXT) | instid1(VALU_DEP_1)
	v_lshlrev_b64 v[6:7], v8, v[6:7]
	v_min_u32_e32 v6, 1, v6
	s_delay_alu instid0(VALU_DEP_1) | instskip(SKIP_1) | instid1(VALU_DEP_2)
	v_or_b32_e32 v6, v7, v6
	v_sub_nc_u32_e32 v7, 32, v8
	v_cvt_f32_i32_e32 v6, v6
	s_delay_alu instid0(VALU_DEP_1) | instskip(NEXT) | instid1(VALU_DEP_1)
	v_ldexp_f32 v6, v6, v7
	v_bfe_u32 v7, v6, 16, 1
	s_delay_alu instid0(VALU_DEP_1) | instskip(NEXT) | instid1(VALU_DEP_1)
	v_add3_u32 v6, v6, v7, 0x7fff
	v_lshrrev_b32_e32 v6, 16, v6
	s_branch .LBB105_517
.LBB105_514:
	s_mov_b32 s2, -1
                                        ; implicit-def: $vgpr6
	s_branch .LBB105_523
.LBB105_515:
	s_mov_b32 s2, -1
                                        ; implicit-def: $vgpr6
	s_branch .LBB105_520
.LBB105_516:
	s_mov_b32 s2, -1
                                        ; implicit-def: $vgpr6
.LBB105_517:
	s_delay_alu instid0(SALU_CYCLE_1)
	s_and_not1_b32 vcc_lo, exec_lo, s2
	s_cbranch_vccnz .LBB105_519
; %bb.518:
	global_load_b32 v6, v[1:2], off
	s_waitcnt vmcnt(0)
	v_cvt_f32_i32_e32 v6, v6
	s_delay_alu instid0(VALU_DEP_1) | instskip(NEXT) | instid1(VALU_DEP_1)
	v_bfe_u32 v7, v6, 16, 1
	v_add3_u32 v6, v6, v7, 0x7fff
	s_delay_alu instid0(VALU_DEP_1)
	v_lshrrev_b32_e32 v6, 16, v6
.LBB105_519:
	s_mov_b32 s2, 0
.LBB105_520:
	s_delay_alu instid0(SALU_CYCLE_1)
	s_and_not1_b32 vcc_lo, exec_lo, s2
	s_cbranch_vccnz .LBB105_522
; %bb.521:
	global_load_i16 v6, v[1:2], off
	s_waitcnt vmcnt(0)
	v_cvt_f32_i32_e32 v6, v6
	s_delay_alu instid0(VALU_DEP_1) | instskip(NEXT) | instid1(VALU_DEP_1)
	v_bfe_u32 v7, v6, 16, 1
	v_add3_u32 v6, v6, v7, 0x7fff
	s_delay_alu instid0(VALU_DEP_1)
	v_lshrrev_b32_e32 v6, 16, v6
.LBB105_522:
	s_mov_b32 s2, 0
.LBB105_523:
	s_delay_alu instid0(SALU_CYCLE_1)
	s_and_not1_b32 vcc_lo, exec_lo, s2
	s_cbranch_vccnz .LBB105_529
; %bb.524:
	v_cmp_lt_i16_e32 vcc_lo, 0, v4
	s_mov_b32 s2, 0
	s_cbranch_vccz .LBB105_526
; %bb.525:
	global_load_i8 v6, v[1:2], off
	s_waitcnt vmcnt(0)
	v_cvt_f32_i32_e32 v6, v6
	s_delay_alu instid0(VALU_DEP_1) | instskip(NEXT) | instid1(VALU_DEP_1)
	v_bfe_u32 v7, v6, 16, 1
	v_add3_u32 v6, v6, v7, 0x7fff
	s_delay_alu instid0(VALU_DEP_1)
	v_lshrrev_b32_e32 v6, 16, v6
	s_branch .LBB105_527
.LBB105_526:
	s_mov_b32 s2, -1
                                        ; implicit-def: $vgpr6
.LBB105_527:
	s_delay_alu instid0(SALU_CYCLE_1)
	s_and_not1_b32 vcc_lo, exec_lo, s2
	s_cbranch_vccnz .LBB105_529
; %bb.528:
	global_load_u8 v1, v[1:2], off
	s_waitcnt vmcnt(0)
	v_cvt_f32_ubyte0_e32 v1, v1
	s_delay_alu instid0(VALU_DEP_1) | instskip(NEXT) | instid1(VALU_DEP_1)
	v_bfe_u32 v2, v1, 16, 1
	v_add3_u32 v1, v1, v2, 0x7fff
	s_delay_alu instid0(VALU_DEP_1)
	v_lshrrev_b32_e32 v6, 16, v1
.LBB105_529:
	s_branch .LBB105_287
.LBB105_530:
	s_mov_b32 s22, 0
	s_mov_b32 s2, s34
.LBB105_531:
                                        ; implicit-def: $vgpr5
.LBB105_532:
	s_and_not1_b32 s23, s34, exec_lo
	s_and_b32 s2, s2, exec_lo
	s_and_not1_b32 s37, s35, exec_lo
	s_and_b32 s3, s3, exec_lo
	s_or_b32 s38, s23, s2
	s_or_b32 s37, s37, s3
	s_or_not1_b32 s2, s22, exec_lo
.LBB105_533:
	s_or_b32 exec_lo, exec_lo, s39
	s_mov_b32 s3, 0
	s_mov_b32 s23, 0
	s_mov_b32 s40, 0
                                        ; implicit-def: $vgpr1_vgpr2
                                        ; implicit-def: $vgpr0
                                        ; implicit-def: $vgpr6
	s_and_saveexec_b32 s39, s2
	s_cbranch_execz .LBB105_905
; %bb.534:
	s_mov_b32 s42, -1
	s_mov_b32 s22, s37
	s_mov_b32 s23, s38
	s_mov_b32 s40, exec_lo
	v_cmpx_gt_i32_e64 s30, v5
	s_cbranch_execz .LBB105_806
; %bb.535:
	s_and_not1_b32 vcc_lo, exec_lo, s27
	s_cbranch_vccnz .LBB105_540
; %bb.536:
	v_dual_mov_b32 v0, 0 :: v_dual_mov_b32 v1, 0
	s_and_not1_b32 vcc_lo, exec_lo, s33
	s_mov_b32 s41, 0
	s_cbranch_vccnz .LBB105_545
; %bb.537:
	v_mov_b32_e32 v0, 0
	s_add_i32 s43, s31, 1
	s_cmp_eq_u32 s25, 2
	s_mov_b32 s42, 0
	s_cbranch_scc1 .LBB105_541
; %bb.538:
	v_dual_mov_b32 v1, 0 :: v_dual_mov_b32 v0, 0
	v_mov_b32_e32 v2, v5
	s_and_b32 s42, s43, 28
	s_mov_b32 s44, 0
	s_mov_b64 s[2:3], s[20:21]
	s_mov_b64 s[22:23], s[16:17]
.LBB105_539:                            ; =>This Inner Loop Header: Depth=1
	s_clause 0x1
	s_load_b256 s[48:55], s[22:23], 0x4
	s_load_b128 s[64:67], s[22:23], 0x24
	s_load_b256 s[56:63], s[2:3], 0x0
	s_add_u32 s22, s22, 48
	s_addc_u32 s23, s23, 0
	s_add_i32 s44, s44, 4
	s_add_u32 s2, s2, 32
	s_addc_u32 s3, s3, 0
	s_cmp_eq_u32 s42, s44
	s_waitcnt vmcnt(0) lgkmcnt(0)
	v_mul_hi_u32 v6, s49, v2
	s_delay_alu instid0(VALU_DEP_1) | instskip(NEXT) | instid1(VALU_DEP_1)
	v_add_nc_u32_e32 v6, v2, v6
	v_lshrrev_b32_e32 v6, s50, v6
	s_delay_alu instid0(VALU_DEP_1) | instskip(SKIP_1) | instid1(VALU_DEP_2)
	v_mul_hi_u32 v7, s52, v6
	v_mul_lo_u32 v9, v6, s48
	v_add_nc_u32_e32 v7, v6, v7
	s_delay_alu instid0(VALU_DEP_2) | instskip(NEXT) | instid1(VALU_DEP_2)
	v_sub_nc_u32_e32 v2, v2, v9
	v_lshrrev_b32_e32 v7, s53, v7
	s_delay_alu instid0(VALU_DEP_2) | instskip(SKIP_1) | instid1(VALU_DEP_3)
	v_mul_lo_u32 v9, v2, s56
	v_mul_lo_u32 v11, v2, s57
	v_mul_hi_u32 v8, s55, v7
	s_delay_alu instid0(VALU_DEP_1) | instskip(NEXT) | instid1(VALU_DEP_1)
	v_add_nc_u32_e32 v8, v7, v8
	v_lshrrev_b32_e32 v8, s64, v8
	s_delay_alu instid0(VALU_DEP_1) | instskip(SKIP_1) | instid1(VALU_DEP_2)
	v_mul_hi_u32 v10, s66, v8
	v_mul_lo_u32 v12, v8, s54
	v_add_nc_u32_e32 v2, v8, v10
	v_mul_lo_u32 v10, v7, s51
	s_delay_alu instid0(VALU_DEP_3) | instskip(NEXT) | instid1(VALU_DEP_3)
	v_sub_nc_u32_e32 v7, v7, v12
	v_lshrrev_b32_e32 v2, s67, v2
	s_delay_alu instid0(VALU_DEP_2) | instskip(SKIP_2) | instid1(VALU_DEP_4)
	v_mul_lo_u32 v12, v7, s60
	v_mul_lo_u32 v7, v7, s61
	v_sub_nc_u32_e32 v6, v6, v10
	v_mul_lo_u32 v13, v2, s65
	s_delay_alu instid0(VALU_DEP_2) | instskip(SKIP_1) | instid1(VALU_DEP_3)
	v_mul_lo_u32 v10, v6, s58
	v_mul_lo_u32 v6, v6, s59
	v_sub_nc_u32_e32 v8, v8, v13
	s_delay_alu instid0(VALU_DEP_3) | instskip(NEXT) | instid1(VALU_DEP_2)
	v_add3_u32 v0, v9, v0, v10
	v_mul_lo_u32 v13, v8, s62
	v_mul_lo_u32 v8, v8, s63
	v_add3_u32 v1, v11, v1, v6
	s_delay_alu instid0(VALU_DEP_3) | instskip(NEXT) | instid1(VALU_DEP_2)
	v_add3_u32 v0, v12, v0, v13
	v_add3_u32 v1, v7, v1, v8
	s_cbranch_scc0 .LBB105_539
	s_branch .LBB105_542
.LBB105_540:
	s_mov_b32 s41, -1
                                        ; implicit-def: $vgpr0
                                        ; implicit-def: $vgpr1
	s_branch .LBB105_545
.LBB105_541:
	v_dual_mov_b32 v2, v5 :: v_dual_mov_b32 v1, 0
.LBB105_542:
	s_and_b32 s43, s43, 3
	s_delay_alu instid0(SALU_CYCLE_1)
	s_cmp_eq_u32 s43, 0
	s_cbranch_scc1 .LBB105_545
; %bb.543:
	s_lshl_b32 s2, s42, 3
	s_mul_i32 s22, s42, 12
	s_add_u32 s2, s2, s16
	s_addc_u32 s3, s17, 0
	s_add_u32 s2, s2, 0xc4
	s_addc_u32 s3, s3, 0
	;; [unrolled: 2-line block ×3, first 2 shown]
	.p2align	6
.LBB105_544:                            ; =>This Inner Loop Header: Depth=1
	s_clause 0x1
	s_load_b64 s[44:45], s[22:23], 0x4
	s_load_b32 s42, s[22:23], 0xc
	s_load_b64 s[46:47], s[2:3], 0x0
	s_add_u32 s22, s22, 12
	s_addc_u32 s23, s23, 0
	s_add_u32 s2, s2, 8
	s_addc_u32 s3, s3, 0
	s_add_i32 s43, s43, -1
	s_delay_alu instid0(SALU_CYCLE_1) | instskip(SKIP_2) | instid1(VALU_DEP_1)
	s_cmp_lg_u32 s43, 0
	s_waitcnt vmcnt(0) lgkmcnt(0)
	v_mul_hi_u32 v6, s45, v2
	v_add_nc_u32_e32 v6, v2, v6
	s_delay_alu instid0(VALU_DEP_1) | instskip(NEXT) | instid1(VALU_DEP_1)
	v_lshrrev_b32_e32 v9, s42, v6
	v_mul_lo_u32 v6, v9, s44
	s_delay_alu instid0(VALU_DEP_1) | instskip(NEXT) | instid1(VALU_DEP_1)
	v_sub_nc_u32_e32 v2, v2, v6
	v_mad_u64_u32 v[6:7], null, v2, s46, v[0:1]
	v_mad_u64_u32 v[7:8], null, v2, s47, v[1:2]
	v_mov_b32_e32 v2, v9
	s_delay_alu instid0(VALU_DEP_2)
	v_dual_mov_b32 v0, v6 :: v_dual_mov_b32 v1, v7
	s_cbranch_scc1 .LBB105_544
.LBB105_545:
	s_and_not1_b32 vcc_lo, exec_lo, s41
	s_cbranch_vccnz .LBB105_548
; %bb.546:
	s_waitcnt lgkmcnt(0)
	v_mul_hi_u32 v0, s13, v5
	s_and_not1_b32 vcc_lo, exec_lo, s29
	s_delay_alu instid0(VALU_DEP_1) | instskip(NEXT) | instid1(VALU_DEP_1)
	v_add_nc_u32_e32 v0, v5, v0
	v_lshrrev_b32_e32 v2, s14, v0
	s_delay_alu instid0(VALU_DEP_1) | instskip(NEXT) | instid1(VALU_DEP_1)
	v_mul_lo_u32 v0, v2, s12
	v_sub_nc_u32_e32 v1, v5, v0
	s_delay_alu instid0(VALU_DEP_1)
	v_mul_lo_u32 v0, v1, s8
	v_mul_lo_u32 v1, v1, s9
	s_cbranch_vccnz .LBB105_548
; %bb.547:
	s_waitcnt vmcnt(0)
	v_mul_hi_u32 v6, s18, v2
	s_delay_alu instid0(VALU_DEP_1) | instskip(NEXT) | instid1(VALU_DEP_1)
	v_add_nc_u32_e32 v6, v2, v6
	v_lshrrev_b32_e32 v6, s19, v6
	s_delay_alu instid0(VALU_DEP_1) | instskip(NEXT) | instid1(VALU_DEP_1)
	v_mul_lo_u32 v6, v6, s15
	v_sub_nc_u32_e32 v2, v2, v6
	s_delay_alu instid0(VALU_DEP_1) | instskip(SKIP_1) | instid1(VALU_DEP_1)
	v_mad_u64_u32 v[6:7], null, v2, s10, v[0:1]
	v_mad_u64_u32 v[7:8], null, v2, s11, v[1:2]
	v_dual_mov_b32 v0, v6 :: v_dual_mov_b32 v1, v7
.LBB105_548:
	v_cmp_gt_i16_e32 vcc_lo, 11, v4
	s_waitcnt lgkmcnt(0)
	s_delay_alu instid0(VALU_DEP_2) | instskip(NEXT) | instid1(VALU_DEP_1)
	v_add_co_u32 v1, s2, s6, v1
	v_add_co_ci_u32_e64 v2, null, s7, 0, s2
	s_mov_b32 s2, 0
	s_cbranch_vccnz .LBB105_555
; %bb.549:
	v_cmp_lt_i16_e32 vcc_lo, 25, v4
	s_cbranch_vccz .LBB105_556
; %bb.550:
	v_cmp_lt_i16_e32 vcc_lo, 28, v4
	s_cbranch_vccz .LBB105_557
	;; [unrolled: 3-line block ×4, first 2 shown]
; %bb.553:
	v_cmp_eq_u16_e32 vcc_lo, 46, v4
	s_mov_b32 s22, 0
	s_cbranch_vccz .LBB105_564
; %bb.554:
	global_load_b32 v6, v[1:2], off
	s_mov_b32 s2, -1
	s_mov_b32 s3, 0
	s_branch .LBB105_566
.LBB105_555:
	s_mov_b32 s22, -1
	s_mov_b32 s3, s37
                                        ; implicit-def: $vgpr6
	s_branch .LBB105_631
.LBB105_556:
	s_mov_b32 s22, -1
	s_mov_b32 s3, s37
                                        ; implicit-def: $vgpr6
	s_branch .LBB105_595
.LBB105_557:
	s_mov_b32 s22, -1
	s_mov_b32 s3, s37
                                        ; implicit-def: $vgpr6
	s_branch .LBB105_576
.LBB105_558:
	s_mov_b32 s22, -1
	s_mov_b32 s3, s37
                                        ; implicit-def: $vgpr6
	s_branch .LBB105_571
.LBB105_559:
	s_or_saveexec_b32 s37, s37
                                        ; implicit-def: $sgpr38
	s_delay_alu instid0(SALU_CYCLE_1)
	s_xor_b32 exec_lo, exec_lo, s37
	s_cbranch_execz .LBB105_370
.LBB105_560:
	v_add_f32_e64 v8, 0x46000000, |v9|
	s_and_not1_b32 s23, s23, exec_lo
	s_mov_b32 s38, 0
	s_delay_alu instid0(VALU_DEP_1) | instskip(NEXT) | instid1(VALU_DEP_1)
	v_and_b32_e32 v8, 0xff, v8
	v_cmp_ne_u32_e32 vcc_lo, 0, v8
	s_and_b32 s40, vcc_lo, exec_lo
	s_delay_alu instid0(SALU_CYCLE_1)
	s_or_b32 s23, s23, s40
	s_or_b32 exec_lo, exec_lo, s37
	v_mov_b32_e32 v10, s38
	s_and_saveexec_b32 s37, s23
	s_cbranch_execnz .LBB105_371
	s_branch .LBB105_372
.LBB105_561:
	s_mov_b32 s22, -1
	s_mov_b32 s3, s37
	s_branch .LBB105_565
.LBB105_562:
	s_or_saveexec_b32 s37, s37
                                        ; implicit-def: $sgpr38
	s_delay_alu instid0(SALU_CYCLE_1)
	s_xor_b32 exec_lo, exec_lo, s37
	s_cbranch_execz .LBB105_383
.LBB105_563:
	v_add_f32_e64 v8, 0x42800000, |v9|
	s_and_not1_b32 s23, s23, exec_lo
	s_mov_b32 s38, 0
	s_delay_alu instid0(VALU_DEP_1) | instskip(NEXT) | instid1(VALU_DEP_1)
	v_and_b32_e32 v8, 0xff, v8
	v_cmp_ne_u32_e32 vcc_lo, 0, v8
	s_and_b32 s40, vcc_lo, exec_lo
	s_delay_alu instid0(SALU_CYCLE_1)
	s_or_b32 s23, s23, s40
	s_or_b32 exec_lo, exec_lo, s37
	v_mov_b32_e32 v10, s38
	s_and_saveexec_b32 s37, s23
	s_cbranch_execnz .LBB105_384
	s_branch .LBB105_385
.LBB105_564:
	s_mov_b32 s3, -1
.LBB105_565:
                                        ; implicit-def: $vgpr6
.LBB105_566:
	s_and_b32 vcc_lo, exec_lo, s22
	s_cbranch_vccz .LBB105_570
; %bb.567:
	v_cmp_eq_u16_e32 vcc_lo, 44, v4
	s_cbranch_vccz .LBB105_569
; %bb.568:
	global_load_u8 v6, v[1:2], off
	s_mov_b32 s3, 0
	s_mov_b32 s2, -1
	s_waitcnt vmcnt(0)
	v_lshlrev_b32_e32 v7, 23, v6
	v_cmp_ne_u32_e32 vcc_lo, 0xff, v6
	s_delay_alu instid0(VALU_DEP_2) | instskip(SKIP_1) | instid1(VALU_DEP_2)
	v_cndmask_b32_e32 v7, 0x7f800001, v7, vcc_lo
	v_cmp_ne_u32_e32 vcc_lo, 0, v6
	v_cndmask_b32_e32 v6, 0x400000, v7, vcc_lo
	s_delay_alu instid0(VALU_DEP_1) | instskip(SKIP_1) | instid1(VALU_DEP_2)
	v_add_nc_u32_e32 v7, 0x7fff, v6
	v_cmp_o_f32_e32 vcc_lo, v6, v6
	v_lshrrev_b32_e32 v7, 16, v7
	s_delay_alu instid0(VALU_DEP_1)
	v_cndmask_b32_e32 v6, 0x7fc0, v7, vcc_lo
	s_branch .LBB105_570
.LBB105_569:
	s_mov_b32 s3, -1
                                        ; implicit-def: $vgpr6
.LBB105_570:
	s_mov_b32 s22, 0
.LBB105_571:
	s_delay_alu instid0(SALU_CYCLE_1)
	s_and_b32 vcc_lo, exec_lo, s22
	s_cbranch_vccz .LBB105_575
; %bb.572:
	v_cmp_eq_u16_e32 vcc_lo, 29, v4
	s_cbranch_vccz .LBB105_574
; %bb.573:
	global_load_b64 v[6:7], v[1:2], off
	s_mov_b32 s2, -1
	s_mov_b32 s3, 0
	s_mov_b32 s22, 0
	s_waitcnt vmcnt(0)
	v_clz_i32_u32_e32 v8, v7
	s_delay_alu instid0(VALU_DEP_1) | instskip(NEXT) | instid1(VALU_DEP_1)
	v_min_u32_e32 v8, 32, v8
	v_lshlrev_b64 v[6:7], v8, v[6:7]
	s_delay_alu instid0(VALU_DEP_1) | instskip(NEXT) | instid1(VALU_DEP_1)
	v_min_u32_e32 v6, 1, v6
	v_or_b32_e32 v6, v7, v6
	v_sub_nc_u32_e32 v7, 32, v8
	s_delay_alu instid0(VALU_DEP_2) | instskip(NEXT) | instid1(VALU_DEP_1)
	v_cvt_f32_u32_e32 v6, v6
	v_ldexp_f32 v6, v6, v7
	s_delay_alu instid0(VALU_DEP_1) | instskip(NEXT) | instid1(VALU_DEP_1)
	v_bfe_u32 v7, v6, 16, 1
	v_add3_u32 v6, v6, v7, 0x7fff
	s_delay_alu instid0(VALU_DEP_1)
	v_lshrrev_b32_e32 v6, 16, v6
	s_branch .LBB105_576
.LBB105_574:
	s_mov_b32 s3, -1
                                        ; implicit-def: $vgpr6
.LBB105_575:
	s_mov_b32 s22, 0
.LBB105_576:
	s_delay_alu instid0(SALU_CYCLE_1)
	s_and_b32 vcc_lo, exec_lo, s22
	s_cbranch_vccz .LBB105_594
; %bb.577:
	v_cmp_gt_i16_e32 vcc_lo, 27, v4
	s_cbranch_vccnz .LBB105_580
; %bb.578:
	v_cmp_lt_i16_e32 vcc_lo, 27, v4
	s_cbranch_vccz .LBB105_581
; %bb.579:
	global_load_b32 v6, v[1:2], off
	s_mov_b32 s2, 0
	s_waitcnt vmcnt(0)
	v_cvt_f32_u32_e32 v6, v6
	s_delay_alu instid0(VALU_DEP_1) | instskip(NEXT) | instid1(VALU_DEP_1)
	v_bfe_u32 v7, v6, 16, 1
	v_add3_u32 v6, v6, v7, 0x7fff
	s_delay_alu instid0(VALU_DEP_1)
	v_lshrrev_b32_e32 v6, 16, v6
	s_branch .LBB105_582
.LBB105_580:
	s_mov_b32 s2, -1
                                        ; implicit-def: $vgpr6
	s_branch .LBB105_585
.LBB105_581:
	s_mov_b32 s2, -1
                                        ; implicit-def: $vgpr6
.LBB105_582:
	s_delay_alu instid0(SALU_CYCLE_1)
	s_and_not1_b32 vcc_lo, exec_lo, s2
	s_cbranch_vccnz .LBB105_584
; %bb.583:
	global_load_u16 v6, v[1:2], off
	s_waitcnt vmcnt(0)
	v_cvt_f32_u32_e32 v6, v6
	s_delay_alu instid0(VALU_DEP_1) | instskip(NEXT) | instid1(VALU_DEP_1)
	v_bfe_u32 v7, v6, 16, 1
	v_add3_u32 v6, v6, v7, 0x7fff
	s_delay_alu instid0(VALU_DEP_1)
	v_lshrrev_b32_e32 v6, 16, v6
.LBB105_584:
	s_mov_b32 s2, 0
.LBB105_585:
	s_delay_alu instid0(SALU_CYCLE_1)
	s_and_not1_b32 vcc_lo, exec_lo, s2
	s_cbranch_vccnz .LBB105_593
; %bb.586:
	global_load_u8 v6, v[1:2], off
	s_mov_b32 s2, 0
	s_mov_b32 s23, exec_lo
                                        ; implicit-def: $sgpr22
	s_waitcnt vmcnt(0)
	v_cmpx_lt_i16_e32 0x7f, v6
	s_xor_b32 s23, exec_lo, s23
	s_cbranch_execz .LBB105_607
; %bb.587:
	s_mov_b32 s2, -1
	s_mov_b32 s41, exec_lo
                                        ; implicit-def: $sgpr22
	v_cmpx_eq_u16_e32 0x80, v6
; %bb.588:
	s_mov_b32 s22, 0x7f800001
	s_xor_b32 s2, exec_lo, -1
; %bb.589:
	s_or_b32 exec_lo, exec_lo, s41
	s_delay_alu instid0(SALU_CYCLE_1)
	s_and_b32 s2, s2, exec_lo
	s_or_saveexec_b32 s23, s23
	v_mov_b32_e32 v7, s22
	s_xor_b32 exec_lo, exec_lo, s23
	s_cbranch_execnz .LBB105_608
.LBB105_590:
	s_or_b32 exec_lo, exec_lo, s23
	s_and_saveexec_b32 s22, s2
	s_cbranch_execz .LBB105_592
.LBB105_591:
	v_and_b32_e32 v7, 0xffff, v6
	v_lshlrev_b32_e32 v6, 24, v6
	s_delay_alu instid0(VALU_DEP_2) | instskip(NEXT) | instid1(VALU_DEP_2)
	v_and_b32_e32 v8, 7, v7
	v_and_b32_e32 v6, 0x80000000, v6
	s_delay_alu instid0(VALU_DEP_2) | instskip(NEXT) | instid1(VALU_DEP_1)
	v_clz_i32_u32_e32 v9, v8
	v_min_u32_e32 v9, 32, v9
	s_delay_alu instid0(VALU_DEP_1) | instskip(SKIP_1) | instid1(VALU_DEP_2)
	v_subrev_nc_u32_e32 v10, 28, v9
	v_sub_nc_u32_e32 v9, 29, v9
	v_lshlrev_b32_e32 v10, v10, v7
	v_bfe_u32 v7, v7, 3, 4
	s_delay_alu instid0(VALU_DEP_2) | instskip(NEXT) | instid1(VALU_DEP_2)
	v_and_b32_e32 v10, 7, v10
	v_cmp_eq_u32_e32 vcc_lo, 0, v7
	s_delay_alu instid0(VALU_DEP_2) | instskip(NEXT) | instid1(VALU_DEP_1)
	v_dual_cndmask_b32 v7, v7, v9 :: v_dual_cndmask_b32 v8, v8, v10
	v_lshl_add_u32 v7, v7, 23, 0x3b800000
	s_delay_alu instid0(VALU_DEP_2) | instskip(NEXT) | instid1(VALU_DEP_1)
	v_lshlrev_b32_e32 v8, 20, v8
	v_or3_b32 v7, v6, v7, v8
.LBB105_592:
	s_or_b32 exec_lo, exec_lo, s22
	s_delay_alu instid0(VALU_DEP_1) | instskip(SKIP_1) | instid1(VALU_DEP_2)
	v_bfe_u32 v6, v7, 16, 1
	v_cmp_o_f32_e32 vcc_lo, v7, v7
	v_add3_u32 v6, v7, v6, 0x7fff
	s_delay_alu instid0(VALU_DEP_1) | instskip(NEXT) | instid1(VALU_DEP_1)
	v_lshrrev_b32_e32 v6, 16, v6
	v_cndmask_b32_e32 v6, 0x7fc0, v6, vcc_lo
.LBB105_593:
	s_mov_b32 s2, -1
.LBB105_594:
	s_mov_b32 s22, 0
.LBB105_595:
	s_delay_alu instid0(SALU_CYCLE_1)
	s_and_b32 vcc_lo, exec_lo, s22
	s_cbranch_vccz .LBB105_630
; %bb.596:
	v_cmp_lt_i16_e32 vcc_lo, 22, v4
	s_cbranch_vccz .LBB105_606
; %bb.597:
	v_cmp_gt_i16_e32 vcc_lo, 24, v4
	s_cbranch_vccnz .LBB105_609
; %bb.598:
	v_cmp_lt_i16_e32 vcc_lo, 24, v4
	s_cbranch_vccz .LBB105_610
; %bb.599:
	global_load_u8 v6, v[1:2], off
	s_mov_b32 s2, 0
	s_mov_b32 s23, exec_lo
                                        ; implicit-def: $sgpr22
	s_waitcnt vmcnt(0)
	v_cmpx_lt_i16_e32 0x7f, v6
	s_xor_b32 s23, exec_lo, s23
	s_cbranch_execz .LBB105_622
; %bb.600:
	s_mov_b32 s2, -1
	s_mov_b32 s41, exec_lo
                                        ; implicit-def: $sgpr22
	v_cmpx_eq_u16_e32 0x80, v6
; %bb.601:
	s_mov_b32 s22, 0x7f800001
	s_xor_b32 s2, exec_lo, -1
; %bb.602:
	s_or_b32 exec_lo, exec_lo, s41
	s_delay_alu instid0(SALU_CYCLE_1)
	s_and_b32 s2, s2, exec_lo
	s_or_saveexec_b32 s23, s23
	v_mov_b32_e32 v7, s22
	s_xor_b32 exec_lo, exec_lo, s23
	s_cbranch_execnz .LBB105_623
.LBB105_603:
	s_or_b32 exec_lo, exec_lo, s23
	s_and_saveexec_b32 s22, s2
	s_cbranch_execz .LBB105_605
.LBB105_604:
	v_and_b32_e32 v7, 0xffff, v6
	v_lshlrev_b32_e32 v6, 24, v6
	s_delay_alu instid0(VALU_DEP_2) | instskip(NEXT) | instid1(VALU_DEP_2)
	v_and_b32_e32 v8, 3, v7
	v_and_b32_e32 v6, 0x80000000, v6
	s_delay_alu instid0(VALU_DEP_2) | instskip(NEXT) | instid1(VALU_DEP_1)
	v_clz_i32_u32_e32 v9, v8
	v_min_u32_e32 v9, 32, v9
	s_delay_alu instid0(VALU_DEP_1) | instskip(SKIP_1) | instid1(VALU_DEP_2)
	v_subrev_nc_u32_e32 v10, 29, v9
	v_sub_nc_u32_e32 v9, 30, v9
	v_lshlrev_b32_e32 v10, v10, v7
	v_bfe_u32 v7, v7, 2, 5
	s_delay_alu instid0(VALU_DEP_2) | instskip(NEXT) | instid1(VALU_DEP_2)
	v_and_b32_e32 v10, 3, v10
	v_cmp_eq_u32_e32 vcc_lo, 0, v7
	s_delay_alu instid0(VALU_DEP_2) | instskip(NEXT) | instid1(VALU_DEP_1)
	v_dual_cndmask_b32 v7, v7, v9 :: v_dual_cndmask_b32 v8, v8, v10
	v_lshl_add_u32 v7, v7, 23, 0x37800000
	s_delay_alu instid0(VALU_DEP_2) | instskip(NEXT) | instid1(VALU_DEP_1)
	v_lshlrev_b32_e32 v8, 21, v8
	v_or3_b32 v7, v6, v7, v8
.LBB105_605:
	s_or_b32 exec_lo, exec_lo, s22
	s_delay_alu instid0(VALU_DEP_1) | instskip(SKIP_2) | instid1(VALU_DEP_2)
	v_bfe_u32 v6, v7, 16, 1
	v_cmp_o_f32_e32 vcc_lo, v7, v7
	s_mov_b32 s2, 0
	v_add3_u32 v6, v7, v6, 0x7fff
	s_delay_alu instid0(VALU_DEP_1) | instskip(NEXT) | instid1(VALU_DEP_1)
	v_lshrrev_b32_e32 v6, 16, v6
	v_cndmask_b32_e32 v6, 0x7fc0, v6, vcc_lo
	s_branch .LBB105_611
.LBB105_606:
	s_mov_b32 s22, -1
                                        ; implicit-def: $vgpr6
	s_branch .LBB105_617
.LBB105_607:
	s_or_saveexec_b32 s23, s23
	v_mov_b32_e32 v7, s22
	s_xor_b32 exec_lo, exec_lo, s23
	s_cbranch_execz .LBB105_590
.LBB105_608:
	v_cmp_ne_u16_e32 vcc_lo, 0, v6
	v_mov_b32_e32 v7, 0
	s_and_not1_b32 s2, s2, exec_lo
	s_and_b32 s22, vcc_lo, exec_lo
	s_delay_alu instid0(SALU_CYCLE_1)
	s_or_b32 s2, s2, s22
	s_or_b32 exec_lo, exec_lo, s23
	s_and_saveexec_b32 s22, s2
	s_cbranch_execnz .LBB105_591
	s_branch .LBB105_592
.LBB105_609:
	s_mov_b32 s2, -1
                                        ; implicit-def: $vgpr6
	s_branch .LBB105_614
.LBB105_610:
	s_mov_b32 s2, -1
                                        ; implicit-def: $vgpr6
.LBB105_611:
	s_delay_alu instid0(SALU_CYCLE_1)
	s_and_b32 vcc_lo, exec_lo, s2
	s_cbranch_vccz .LBB105_613
; %bb.612:
	global_load_u8 v6, v[1:2], off
	s_waitcnt vmcnt(0)
	v_lshlrev_b32_e32 v6, 24, v6
	s_delay_alu instid0(VALU_DEP_1) | instskip(NEXT) | instid1(VALU_DEP_1)
	v_and_b32_e32 v7, 0x7f000000, v6
	v_clz_i32_u32_e32 v8, v7
	v_add_nc_u32_e32 v10, 0x1000000, v7
	v_cmp_ne_u32_e32 vcc_lo, 0, v7
	s_delay_alu instid0(VALU_DEP_3) | instskip(NEXT) | instid1(VALU_DEP_1)
	v_min_u32_e32 v8, 32, v8
	v_sub_nc_u32_e64 v8, v8, 4 clamp
	s_delay_alu instid0(VALU_DEP_1) | instskip(SKIP_1) | instid1(VALU_DEP_2)
	v_lshlrev_b32_e32 v9, v8, v7
	v_lshlrev_b32_e32 v8, 23, v8
	v_lshrrev_b32_e32 v9, 4, v9
	s_delay_alu instid0(VALU_DEP_1) | instskip(SKIP_1) | instid1(VALU_DEP_2)
	v_sub_nc_u32_e32 v8, v9, v8
	v_ashrrev_i32_e32 v9, 8, v10
	v_add_nc_u32_e32 v8, 0x3c000000, v8
	s_delay_alu instid0(VALU_DEP_1) | instskip(NEXT) | instid1(VALU_DEP_1)
	v_and_or_b32 v8, 0x7f800000, v9, v8
	v_cndmask_b32_e32 v7, 0, v8, vcc_lo
	s_delay_alu instid0(VALU_DEP_1) | instskip(SKIP_1) | instid1(VALU_DEP_2)
	v_and_or_b32 v6, 0x80000000, v6, v7
	v_bfe_u32 v7, v7, 16, 1
	v_cmp_o_f32_e32 vcc_lo, v6, v6
	s_delay_alu instid0(VALU_DEP_2) | instskip(NEXT) | instid1(VALU_DEP_1)
	v_add3_u32 v7, v6, v7, 0x7fff
	v_lshrrev_b32_e32 v7, 16, v7
	s_delay_alu instid0(VALU_DEP_1)
	v_cndmask_b32_e32 v6, 0x7fc0, v7, vcc_lo
.LBB105_613:
	s_mov_b32 s2, 0
.LBB105_614:
	s_delay_alu instid0(SALU_CYCLE_1)
	s_and_not1_b32 vcc_lo, exec_lo, s2
	s_cbranch_vccnz .LBB105_616
; %bb.615:
	global_load_u8 v6, v[1:2], off
	s_waitcnt vmcnt(0)
	v_lshlrev_b32_e32 v7, 25, v6
	v_lshlrev_b16 v6, 8, v6
	s_delay_alu instid0(VALU_DEP_2) | instskip(NEXT) | instid1(VALU_DEP_2)
	v_lshrrev_b32_e32 v8, 4, v7
	v_and_or_b32 v9, 0x7f00, v6, 0.5
	v_bfe_i32 v6, v6, 0, 16
	s_delay_alu instid0(VALU_DEP_3) | instskip(NEXT) | instid1(VALU_DEP_1)
	v_or_b32_e32 v8, 0x70000000, v8
	v_dual_add_f32 v9, -0.5, v9 :: v_dual_mul_f32 v8, 0x7800000, v8
	v_cmp_gt_u32_e32 vcc_lo, 0x8000000, v7
	s_delay_alu instid0(VALU_DEP_2) | instskip(NEXT) | instid1(VALU_DEP_1)
	v_cndmask_b32_e32 v7, v8, v9, vcc_lo
	v_and_or_b32 v6, 0x80000000, v6, v7
	v_bfe_u32 v7, v7, 16, 1
	s_delay_alu instid0(VALU_DEP_2) | instskip(NEXT) | instid1(VALU_DEP_2)
	v_cmp_o_f32_e32 vcc_lo, v6, v6
	v_add3_u32 v7, v6, v7, 0x7fff
	s_delay_alu instid0(VALU_DEP_1) | instskip(NEXT) | instid1(VALU_DEP_1)
	v_lshrrev_b32_e32 v7, 16, v7
	v_cndmask_b32_e32 v6, 0x7fc0, v7, vcc_lo
.LBB105_616:
	s_mov_b32 s22, 0
	s_mov_b32 s2, -1
.LBB105_617:
	s_and_not1_b32 vcc_lo, exec_lo, s22
	s_cbranch_vccnz .LBB105_630
; %bb.618:
	v_cmp_lt_i16_e32 vcc_lo, 14, v4
	s_cbranch_vccz .LBB105_621
; %bb.619:
	v_cmp_eq_u16_e32 vcc_lo, 15, v4
	s_cbranch_vccz .LBB105_624
; %bb.620:
	global_load_u16 v6, v[1:2], off
	s_mov_b32 s2, -1
	s_mov_b32 s3, 0
	s_branch .LBB105_625
.LBB105_621:
	s_mov_b32 s22, -1
                                        ; implicit-def: $vgpr6
	s_branch .LBB105_626
.LBB105_622:
	s_or_saveexec_b32 s23, s23
	v_mov_b32_e32 v7, s22
	s_xor_b32 exec_lo, exec_lo, s23
	s_cbranch_execz .LBB105_603
.LBB105_623:
	v_cmp_ne_u16_e32 vcc_lo, 0, v6
	v_mov_b32_e32 v7, 0
	s_and_not1_b32 s2, s2, exec_lo
	s_and_b32 s22, vcc_lo, exec_lo
	s_delay_alu instid0(SALU_CYCLE_1)
	s_or_b32 s2, s2, s22
	s_or_b32 exec_lo, exec_lo, s23
	s_and_saveexec_b32 s22, s2
	s_cbranch_execnz .LBB105_604
	s_branch .LBB105_605
.LBB105_624:
	s_mov_b32 s3, -1
                                        ; implicit-def: $vgpr6
.LBB105_625:
	s_mov_b32 s22, 0
.LBB105_626:
	s_delay_alu instid0(SALU_CYCLE_1)
	s_and_b32 vcc_lo, exec_lo, s22
	s_cbranch_vccz .LBB105_630
; %bb.627:
	v_cmp_eq_u16_e32 vcc_lo, 11, v4
	s_cbranch_vccz .LBB105_629
; %bb.628:
	global_load_u8 v6, v[1:2], off
	s_mov_b32 s3, 0
	s_mov_b32 s2, -1
	s_waitcnt vmcnt(0)
	v_cmp_ne_u16_e32 vcc_lo, 0, v6
	v_cndmask_b32_e64 v6, 0, 1.0, vcc_lo
	s_delay_alu instid0(VALU_DEP_1)
	v_lshrrev_b32_e32 v6, 16, v6
	s_branch .LBB105_630
.LBB105_629:
	s_mov_b32 s3, -1
                                        ; implicit-def: $vgpr6
.LBB105_630:
	s_mov_b32 s22, 0
.LBB105_631:
	s_delay_alu instid0(SALU_CYCLE_1)
	s_and_b32 vcc_lo, exec_lo, s22
	s_cbranch_vccz .LBB105_680
; %bb.632:
	v_cmp_gt_i16_e32 vcc_lo, 5, v4
	s_cbranch_vccnz .LBB105_637
; %bb.633:
	v_cmp_gt_i16_e32 vcc_lo, 8, v4
	s_cbranch_vccnz .LBB105_638
	;; [unrolled: 3-line block ×3, first 2 shown]
; %bb.635:
	v_cmp_lt_i16_e32 vcc_lo, 9, v4
	s_cbranch_vccz .LBB105_640
; %bb.636:
	global_load_b64 v[6:7], v[1:2], off
	s_mov_b32 s2, 0
	s_waitcnt vmcnt(0)
	v_cvt_f32_f64_e32 v6, v[6:7]
	s_delay_alu instid0(VALU_DEP_1) | instskip(SKIP_1) | instid1(VALU_DEP_2)
	v_bfe_u32 v7, v6, 16, 1
	v_cmp_o_f32_e32 vcc_lo, v6, v6
	v_add3_u32 v7, v6, v7, 0x7fff
	s_delay_alu instid0(VALU_DEP_1) | instskip(NEXT) | instid1(VALU_DEP_1)
	v_lshrrev_b32_e32 v7, 16, v7
	v_cndmask_b32_e32 v6, 0x7fc0, v7, vcc_lo
	s_branch .LBB105_641
.LBB105_637:
	s_mov_b32 s2, -1
                                        ; implicit-def: $vgpr6
	s_branch .LBB105_659
.LBB105_638:
	s_mov_b32 s2, -1
                                        ; implicit-def: $vgpr6
	s_branch .LBB105_647
.LBB105_639:
	s_mov_b32 s2, -1
                                        ; implicit-def: $vgpr6
	s_branch .LBB105_644
.LBB105_640:
	s_mov_b32 s2, -1
                                        ; implicit-def: $vgpr6
.LBB105_641:
	s_delay_alu instid0(SALU_CYCLE_1)
	s_and_not1_b32 vcc_lo, exec_lo, s2
	s_cbranch_vccnz .LBB105_643
; %bb.642:
	global_load_b32 v6, v[1:2], off
	s_waitcnt vmcnt(0)
	v_bfe_u32 v7, v6, 16, 1
	v_cmp_o_f32_e32 vcc_lo, v6, v6
	s_delay_alu instid0(VALU_DEP_2) | instskip(NEXT) | instid1(VALU_DEP_1)
	v_add3_u32 v7, v6, v7, 0x7fff
	v_lshrrev_b32_e32 v7, 16, v7
	s_delay_alu instid0(VALU_DEP_1)
	v_cndmask_b32_e32 v6, 0x7fc0, v7, vcc_lo
.LBB105_643:
	s_mov_b32 s2, 0
.LBB105_644:
	s_delay_alu instid0(SALU_CYCLE_1)
	s_and_not1_b32 vcc_lo, exec_lo, s2
	s_cbranch_vccnz .LBB105_646
; %bb.645:
	global_load_b32 v6, v[1:2], off
	s_waitcnt vmcnt(0)
	v_cvt_f32_f16_e32 v7, v6
	v_cmp_o_f16_e32 vcc_lo, v6, v6
	s_delay_alu instid0(VALU_DEP_2) | instskip(NEXT) | instid1(VALU_DEP_1)
	v_bfe_u32 v8, v7, 16, 1
	v_add3_u32 v7, v7, v8, 0x7fff
	s_delay_alu instid0(VALU_DEP_1) | instskip(NEXT) | instid1(VALU_DEP_1)
	v_lshrrev_b32_e32 v7, 16, v7
	v_cndmask_b32_e32 v6, 0x7fc0, v7, vcc_lo
.LBB105_646:
	s_mov_b32 s2, 0
.LBB105_647:
	s_delay_alu instid0(SALU_CYCLE_1)
	s_and_not1_b32 vcc_lo, exec_lo, s2
	s_cbranch_vccnz .LBB105_658
; %bb.648:
	v_cmp_gt_i16_e32 vcc_lo, 6, v4
	s_cbranch_vccnz .LBB105_651
; %bb.649:
	v_cmp_lt_i16_e32 vcc_lo, 6, v4
	s_cbranch_vccz .LBB105_652
; %bb.650:
	global_load_b64 v[6:7], v[1:2], off
	s_mov_b32 s2, 0
	s_waitcnt vmcnt(0)
	v_cvt_f32_f64_e32 v6, v[6:7]
	s_delay_alu instid0(VALU_DEP_1) | instskip(SKIP_1) | instid1(VALU_DEP_2)
	v_bfe_u32 v7, v6, 16, 1
	v_cmp_o_f32_e32 vcc_lo, v6, v6
	v_add3_u32 v7, v6, v7, 0x7fff
	s_delay_alu instid0(VALU_DEP_1) | instskip(NEXT) | instid1(VALU_DEP_1)
	v_lshrrev_b32_e32 v7, 16, v7
	v_cndmask_b32_e32 v6, 0x7fc0, v7, vcc_lo
	s_branch .LBB105_653
.LBB105_651:
	s_mov_b32 s2, -1
                                        ; implicit-def: $vgpr6
	s_branch .LBB105_656
.LBB105_652:
	s_mov_b32 s2, -1
                                        ; implicit-def: $vgpr6
.LBB105_653:
	s_delay_alu instid0(SALU_CYCLE_1)
	s_and_not1_b32 vcc_lo, exec_lo, s2
	s_cbranch_vccnz .LBB105_655
; %bb.654:
	global_load_b32 v6, v[1:2], off
	s_waitcnt vmcnt(0)
	v_bfe_u32 v7, v6, 16, 1
	v_cmp_o_f32_e32 vcc_lo, v6, v6
	s_delay_alu instid0(VALU_DEP_2) | instskip(NEXT) | instid1(VALU_DEP_1)
	v_add3_u32 v7, v6, v7, 0x7fff
	v_lshrrev_b32_e32 v7, 16, v7
	s_delay_alu instid0(VALU_DEP_1)
	v_cndmask_b32_e32 v6, 0x7fc0, v7, vcc_lo
.LBB105_655:
	s_mov_b32 s2, 0
.LBB105_656:
	s_delay_alu instid0(SALU_CYCLE_1)
	s_and_not1_b32 vcc_lo, exec_lo, s2
	s_cbranch_vccnz .LBB105_658
; %bb.657:
	global_load_u16 v6, v[1:2], off
	s_waitcnt vmcnt(0)
	v_cvt_f32_f16_e32 v7, v6
	v_cmp_o_f16_e32 vcc_lo, v6, v6
	s_delay_alu instid0(VALU_DEP_2) | instskip(NEXT) | instid1(VALU_DEP_1)
	v_bfe_u32 v8, v7, 16, 1
	v_add3_u32 v7, v7, v8, 0x7fff
	s_delay_alu instid0(VALU_DEP_1) | instskip(NEXT) | instid1(VALU_DEP_1)
	v_lshrrev_b32_e32 v7, 16, v7
	v_cndmask_b32_e32 v6, 0x7fc0, v7, vcc_lo
.LBB105_658:
	s_mov_b32 s2, 0
.LBB105_659:
	s_delay_alu instid0(SALU_CYCLE_1)
	s_and_not1_b32 vcc_lo, exec_lo, s2
	s_cbranch_vccnz .LBB105_679
; %bb.660:
	v_cmp_gt_i16_e32 vcc_lo, 2, v4
	s_cbranch_vccnz .LBB105_664
; %bb.661:
	v_cmp_gt_i16_e32 vcc_lo, 3, v4
	s_cbranch_vccnz .LBB105_665
; %bb.662:
	v_cmp_lt_i16_e32 vcc_lo, 3, v4
	s_cbranch_vccz .LBB105_666
; %bb.663:
	global_load_b64 v[6:7], v[1:2], off
	s_mov_b32 s2, 0
	s_waitcnt vmcnt(0)
	v_xor_b32_e32 v8, v6, v7
	v_cls_i32_e32 v9, v7
	s_delay_alu instid0(VALU_DEP_2) | instskip(NEXT) | instid1(VALU_DEP_2)
	v_ashrrev_i32_e32 v8, 31, v8
	v_add_nc_u32_e32 v9, -1, v9
	s_delay_alu instid0(VALU_DEP_2) | instskip(NEXT) | instid1(VALU_DEP_1)
	v_add_nc_u32_e32 v8, 32, v8
	v_min_u32_e32 v8, v9, v8
	s_delay_alu instid0(VALU_DEP_1) | instskip(NEXT) | instid1(VALU_DEP_1)
	v_lshlrev_b64 v[6:7], v8, v[6:7]
	v_min_u32_e32 v6, 1, v6
	s_delay_alu instid0(VALU_DEP_1) | instskip(SKIP_1) | instid1(VALU_DEP_2)
	v_or_b32_e32 v6, v7, v6
	v_sub_nc_u32_e32 v7, 32, v8
	v_cvt_f32_i32_e32 v6, v6
	s_delay_alu instid0(VALU_DEP_1) | instskip(NEXT) | instid1(VALU_DEP_1)
	v_ldexp_f32 v6, v6, v7
	v_bfe_u32 v7, v6, 16, 1
	s_delay_alu instid0(VALU_DEP_1) | instskip(NEXT) | instid1(VALU_DEP_1)
	v_add3_u32 v6, v6, v7, 0x7fff
	v_lshrrev_b32_e32 v6, 16, v6
	s_branch .LBB105_667
.LBB105_664:
	s_mov_b32 s2, -1
                                        ; implicit-def: $vgpr6
	s_branch .LBB105_673
.LBB105_665:
	s_mov_b32 s2, -1
                                        ; implicit-def: $vgpr6
	s_branch .LBB105_670
.LBB105_666:
	s_mov_b32 s2, -1
                                        ; implicit-def: $vgpr6
.LBB105_667:
	s_delay_alu instid0(SALU_CYCLE_1)
	s_and_not1_b32 vcc_lo, exec_lo, s2
	s_cbranch_vccnz .LBB105_669
; %bb.668:
	global_load_b32 v6, v[1:2], off
	s_waitcnt vmcnt(0)
	v_cvt_f32_i32_e32 v6, v6
	s_delay_alu instid0(VALU_DEP_1) | instskip(NEXT) | instid1(VALU_DEP_1)
	v_bfe_u32 v7, v6, 16, 1
	v_add3_u32 v6, v6, v7, 0x7fff
	s_delay_alu instid0(VALU_DEP_1)
	v_lshrrev_b32_e32 v6, 16, v6
.LBB105_669:
	s_mov_b32 s2, 0
.LBB105_670:
	s_delay_alu instid0(SALU_CYCLE_1)
	s_and_not1_b32 vcc_lo, exec_lo, s2
	s_cbranch_vccnz .LBB105_672
; %bb.671:
	global_load_i16 v6, v[1:2], off
	s_waitcnt vmcnt(0)
	v_cvt_f32_i32_e32 v6, v6
	s_delay_alu instid0(VALU_DEP_1) | instskip(NEXT) | instid1(VALU_DEP_1)
	v_bfe_u32 v7, v6, 16, 1
	v_add3_u32 v6, v6, v7, 0x7fff
	s_delay_alu instid0(VALU_DEP_1)
	v_lshrrev_b32_e32 v6, 16, v6
.LBB105_672:
	s_mov_b32 s2, 0
.LBB105_673:
	s_delay_alu instid0(SALU_CYCLE_1)
	s_and_not1_b32 vcc_lo, exec_lo, s2
	s_cbranch_vccnz .LBB105_679
; %bb.674:
	v_cmp_lt_i16_e32 vcc_lo, 0, v4
	s_mov_b32 s2, 0
	s_cbranch_vccz .LBB105_676
; %bb.675:
	global_load_i8 v6, v[1:2], off
	s_waitcnt vmcnt(0)
	v_cvt_f32_i32_e32 v6, v6
	s_delay_alu instid0(VALU_DEP_1) | instskip(NEXT) | instid1(VALU_DEP_1)
	v_bfe_u32 v7, v6, 16, 1
	v_add3_u32 v6, v6, v7, 0x7fff
	s_delay_alu instid0(VALU_DEP_1)
	v_lshrrev_b32_e32 v6, 16, v6
	s_branch .LBB105_677
.LBB105_676:
	s_mov_b32 s2, -1
                                        ; implicit-def: $vgpr6
.LBB105_677:
	s_delay_alu instid0(SALU_CYCLE_1)
	s_and_not1_b32 vcc_lo, exec_lo, s2
	s_cbranch_vccnz .LBB105_679
; %bb.678:
	global_load_u8 v1, v[1:2], off
	s_waitcnt vmcnt(0)
	v_cvt_f32_ubyte0_e32 v1, v1
	s_delay_alu instid0(VALU_DEP_1) | instskip(NEXT) | instid1(VALU_DEP_1)
	v_bfe_u32 v2, v1, 16, 1
	v_add3_u32 v1, v1, v2, 0x7fff
	s_delay_alu instid0(VALU_DEP_1)
	v_lshrrev_b32_e32 v6, 16, v1
.LBB105_679:
	s_mov_b32 s2, -1
.LBB105_680:
	s_delay_alu instid0(SALU_CYCLE_1)
	s_and_not1_b32 vcc_lo, exec_lo, s2
	s_cbranch_vccnz .LBB105_688
; %bb.681:
	s_waitcnt vmcnt(0)
	v_lshlrev_b32_e32 v1, 16, v6
	v_add_co_u32 v0, s2, s4, v0
	s_mov_b32 s22, 0
	s_mov_b32 s23, -1
	s_delay_alu instid0(VALU_DEP_2) | instskip(NEXT) | instid1(VALU_DEP_1)
	v_mul_f32_e32 v2, 0x3fb8aa3b, v1
	v_rndne_f32_e32 v6, v2
	v_fma_f32 v7, 0x3fb8aa3b, v1, -v2
	s_delay_alu instid0(VALU_DEP_1) | instskip(SKIP_1) | instid1(VALU_DEP_2)
	v_dual_sub_f32 v2, v2, v6 :: v_dual_fmamk_f32 v7, v1, 0x32a5705f, v7
	v_cvt_i32_f32_e32 v6, v6
	v_add_f32_e32 v2, v2, v7
	v_cmp_ngt_f32_e32 vcc_lo, 0xc2ce8ed0, v1
	s_delay_alu instid0(VALU_DEP_2) | instskip(SKIP_3) | instid1(VALU_DEP_2)
	v_exp_f32_e32 v2, v2
	s_waitcnt_depctr 0xfff
	v_ldexp_f32 v2, v2, v6
	v_and_b32_e32 v6, 0xff, v3
	v_cndmask_b32_e32 v2, 0, v2, vcc_lo
	v_cmp_nlt_f32_e32 vcc_lo, 0x42b17218, v1
	s_delay_alu instid0(VALU_DEP_2) | instskip(NEXT) | instid1(VALU_DEP_4)
	v_cndmask_b32_e32 v2, 0x7f800000, v2, vcc_lo
	v_cmp_gt_i16_e32 vcc_lo, 11, v6
	s_delay_alu instid0(VALU_DEP_2) | instskip(SKIP_1) | instid1(VALU_DEP_1)
	v_bfe_u32 v1, v2, 16, 1
	s_and_b32 vcc_lo, exec_lo, vcc_lo
	v_add3_u32 v1, v2, v1, 0x7fff
	s_delay_alu instid0(VALU_DEP_1) | instskip(SKIP_2) | instid1(VALU_DEP_1)
	v_lshrrev_b32_e32 v7, 16, v1
	v_add_co_ci_u32_e64 v1, null, s5, 0, s2
	v_cmp_o_f32_e64 s2, v2, v2
	v_cndmask_b32_e64 v2, 0x7fc0, v7, s2
	s_mov_b32 s2, s38
	s_cbranch_vccnz .LBB105_689
; %bb.682:
	v_cmp_lt_i16_e32 vcc_lo, 25, v6
	s_cbranch_vccz .LBB105_730
; %bb.683:
	v_cmp_lt_i16_e32 vcc_lo, 28, v6
	s_cbranch_vccz .LBB105_731
	;; [unrolled: 3-line block ×4, first 2 shown]
; %bb.686:
	v_cmp_eq_u16_e32 vcc_lo, 46, v6
	s_mov_b32 s23, 0
	s_mov_b32 s2, -1
	s_cbranch_vccz .LBB105_734
; %bb.687:
	v_and_b32_e32 v7, 0xffff, v2
	s_mov_b32 s22, -1
	s_mov_b32 s2, 0
	global_store_b32 v[0:1], v7, off
	s_branch .LBB105_734
.LBB105_688:
	s_mov_b32 s41, 0
	s_mov_b32 s2, s38
	s_branch .LBB105_729
.LBB105_689:
	s_and_b32 vcc_lo, exec_lo, s23
	s_cbranch_vccz .LBB105_803
; %bb.690:
	v_cmp_gt_i16_e32 vcc_lo, 5, v6
	s_mov_b32 s22, -1
	s_cbranch_vccnz .LBB105_711
; %bb.691:
	v_cmp_gt_i16_e32 vcc_lo, 8, v6
	s_cbranch_vccnz .LBB105_701
; %bb.692:
	v_cmp_gt_i16_e32 vcc_lo, 9, v6
	s_cbranch_vccnz .LBB105_698
; %bb.693:
	v_cmp_lt_i16_e32 vcc_lo, 9, v6
	s_cbranch_vccz .LBB105_695
; %bb.694:
	v_mov_b32_e32 v9, 0
	v_lshlrev_b32_e32 v7, 16, v2
	s_mov_b32 s22, 0
	s_delay_alu instid0(VALU_DEP_2) | instskip(NEXT) | instid1(VALU_DEP_2)
	v_mov_b32_e32 v10, v9
	v_cvt_f64_f32_e32 v[7:8], v7
	global_store_b128 v[0:1], v[7:10], off
.LBB105_695:
	s_and_not1_b32 vcc_lo, exec_lo, s22
	s_cbranch_vccnz .LBB105_697
; %bb.696:
	v_dual_mov_b32 v8, 0 :: v_dual_lshlrev_b32 v7, 16, v2
	global_store_b64 v[0:1], v[7:8], off
.LBB105_697:
	s_mov_b32 s22, 0
.LBB105_698:
	s_delay_alu instid0(SALU_CYCLE_1)
	s_and_not1_b32 vcc_lo, exec_lo, s22
	s_cbranch_vccnz .LBB105_700
; %bb.699:
	v_lshlrev_b32_e32 v7, 16, v2
	s_delay_alu instid0(VALU_DEP_1) | instskip(NEXT) | instid1(VALU_DEP_1)
	v_cvt_f16_f32_e32 v7, v7
	v_and_b32_e32 v7, 0xffff, v7
	global_store_b32 v[0:1], v7, off
.LBB105_700:
	s_mov_b32 s22, 0
.LBB105_701:
	s_delay_alu instid0(SALU_CYCLE_1)
	s_and_not1_b32 vcc_lo, exec_lo, s22
	s_cbranch_vccnz .LBB105_710
; %bb.702:
	v_cmp_gt_i16_e32 vcc_lo, 6, v6
	s_mov_b32 s22, -1
	s_cbranch_vccnz .LBB105_708
; %bb.703:
	v_cmp_lt_i16_e32 vcc_lo, 6, v6
	s_cbranch_vccz .LBB105_705
; %bb.704:
	v_lshlrev_b32_e32 v7, 16, v2
	s_mov_b32 s22, 0
	s_delay_alu instid0(VALU_DEP_1)
	v_cvt_f64_f32_e32 v[7:8], v7
	global_store_b64 v[0:1], v[7:8], off
.LBB105_705:
	s_and_not1_b32 vcc_lo, exec_lo, s22
	s_cbranch_vccnz .LBB105_707
; %bb.706:
	v_lshlrev_b32_e32 v7, 16, v2
	global_store_b32 v[0:1], v7, off
.LBB105_707:
	s_mov_b32 s22, 0
.LBB105_708:
	s_delay_alu instid0(SALU_CYCLE_1)
	s_and_not1_b32 vcc_lo, exec_lo, s22
	s_cbranch_vccnz .LBB105_710
; %bb.709:
	v_lshlrev_b32_e32 v7, 16, v2
	s_delay_alu instid0(VALU_DEP_1)
	v_cvt_f16_f32_e32 v7, v7
	global_store_b16 v[0:1], v7, off
.LBB105_710:
	s_mov_b32 s22, 0
.LBB105_711:
	s_delay_alu instid0(SALU_CYCLE_1)
	s_and_not1_b32 vcc_lo, exec_lo, s22
	s_cbranch_vccnz .LBB105_727
; %bb.712:
	v_cmp_gt_i16_e32 vcc_lo, 2, v6
	s_mov_b32 s22, -1
	s_cbranch_vccnz .LBB105_722
; %bb.713:
	v_cmp_gt_i16_e32 vcc_lo, 3, v6
	s_cbranch_vccnz .LBB105_719
; %bb.714:
	v_cmp_lt_i16_e32 vcc_lo, 3, v6
	s_cbranch_vccz .LBB105_716
; %bb.715:
	v_lshlrev_b32_e32 v7, 16, v2
	s_mov_b32 s22, 0
	s_delay_alu instid0(VALU_DEP_1) | instskip(NEXT) | instid1(VALU_DEP_1)
	v_trunc_f32_e32 v7, v7
	v_mul_f32_e64 v8, 0x2f800000, |v7|
	v_ashrrev_i32_e32 v10, 31, v7
	s_delay_alu instid0(VALU_DEP_2) | instskip(NEXT) | instid1(VALU_DEP_1)
	v_floor_f32_e32 v8, v8
	v_fma_f32 v9, 0xcf800000, v8, |v7|
	v_cvt_u32_f32_e32 v8, v8
	s_delay_alu instid0(VALU_DEP_2) | instskip(NEXT) | instid1(VALU_DEP_2)
	v_cvt_u32_f32_e32 v7, v9
	v_xor_b32_e32 v8, v8, v10
	s_delay_alu instid0(VALU_DEP_2) | instskip(NEXT) | instid1(VALU_DEP_1)
	v_xor_b32_e32 v7, v7, v10
	v_sub_co_u32 v7, vcc_lo, v7, v10
	s_delay_alu instid0(VALU_DEP_3)
	v_sub_co_ci_u32_e32 v8, vcc_lo, v8, v10, vcc_lo
	global_store_b64 v[0:1], v[7:8], off
.LBB105_716:
	s_and_not1_b32 vcc_lo, exec_lo, s22
	s_cbranch_vccnz .LBB105_718
; %bb.717:
	v_lshlrev_b32_e32 v7, 16, v2
	s_delay_alu instid0(VALU_DEP_1)
	v_cvt_i32_f32_e32 v7, v7
	global_store_b32 v[0:1], v7, off
.LBB105_718:
	s_mov_b32 s22, 0
.LBB105_719:
	s_delay_alu instid0(SALU_CYCLE_1)
	s_and_not1_b32 vcc_lo, exec_lo, s22
	s_cbranch_vccnz .LBB105_721
; %bb.720:
	v_lshlrev_b32_e32 v7, 16, v2
	s_delay_alu instid0(VALU_DEP_1)
	v_cvt_i32_f32_e32 v7, v7
	global_store_b16 v[0:1], v7, off
.LBB105_721:
	s_mov_b32 s22, 0
.LBB105_722:
	s_delay_alu instid0(SALU_CYCLE_1)
	s_and_not1_b32 vcc_lo, exec_lo, s22
	s_cbranch_vccnz .LBB105_727
; %bb.723:
	v_cmp_lt_i16_e32 vcc_lo, 0, v6
	s_mov_b32 s22, -1
	s_cbranch_vccz .LBB105_725
; %bb.724:
	v_lshlrev_b32_e32 v6, 16, v2
	s_mov_b32 s22, 0
	s_delay_alu instid0(VALU_DEP_1)
	v_cvt_i32_f32_e32 v6, v6
	global_store_b8 v[0:1], v6, off
.LBB105_725:
	s_and_not1_b32 vcc_lo, exec_lo, s22
	s_cbranch_vccnz .LBB105_727
; %bb.726:
	v_lshlrev_b32_e32 v2, 16, v2
	s_delay_alu instid0(VALU_DEP_1) | instskip(NEXT) | instid1(VALU_DEP_1)
	v_trunc_f32_e32 v2, v2
	v_mul_f32_e64 v6, 0x2f800000, |v2|
	s_delay_alu instid0(VALU_DEP_1) | instskip(NEXT) | instid1(VALU_DEP_1)
	v_floor_f32_e32 v6, v6
	v_fma_f32 v6, 0xcf800000, v6, |v2|
	v_ashrrev_i32_e32 v2, 31, v2
	s_delay_alu instid0(VALU_DEP_2) | instskip(NEXT) | instid1(VALU_DEP_1)
	v_cvt_u32_f32_e32 v6, v6
	v_xor_b32_e32 v6, v6, v2
	s_delay_alu instid0(VALU_DEP_1)
	v_sub_nc_u32_e32 v2, v6, v2
	global_store_b8 v[0:1], v2, off
.LBB105_727:
	s_branch .LBB105_804
.LBB105_728:
	s_mov_b32 s41, 0
.LBB105_729:
                                        ; implicit-def: $vgpr5
	s_branch .LBB105_805
.LBB105_730:
	s_mov_b32 s2, s38
	s_branch .LBB105_761
.LBB105_731:
	s_mov_b32 s2, s38
	s_branch .LBB105_744
.LBB105_732:
	s_mov_b32 s2, s38
	s_branch .LBB105_740
.LBB105_733:
	s_mov_b32 s2, s38
.LBB105_734:
	s_and_b32 vcc_lo, exec_lo, s23
	s_cbranch_vccz .LBB105_739
; %bb.735:
	v_cmp_eq_u16_e32 vcc_lo, 44, v6
	s_mov_b32 s2, -1
	s_cbranch_vccz .LBB105_739
; %bb.736:
	v_and_b32_e32 v7, 0xffff, v2
	v_mov_b32_e32 v8, 0xff
	s_mov_b32 s22, exec_lo
	s_delay_alu instid0(VALU_DEP_2) | instskip(NEXT) | instid1(VALU_DEP_1)
	v_bfe_u32 v9, v7, 7, 8
	v_cmpx_ne_u32_e32 0xff, v9
; %bb.737:
	v_lshlrev_b32_e32 v8, 16, v7
	v_and_b32_e32 v10, 64, v7
	v_lshrrev_b32_e32 v7, 7, v7
	s_delay_alu instid0(VALU_DEP_3) | instskip(NEXT) | instid1(VALU_DEP_3)
	v_and_or_b32 v8, 0x3f0000, v8, v9
	v_cmp_ne_u32_e32 vcc_lo, 0, v10
	s_delay_alu instid0(VALU_DEP_2) | instskip(NEXT) | instid1(VALU_DEP_1)
	v_cmp_ne_u32_e64 s2, 0, v8
	s_and_b32 s2, vcc_lo, s2
	s_delay_alu instid0(SALU_CYCLE_1) | instskip(NEXT) | instid1(VALU_DEP_1)
	v_cndmask_b32_e64 v8, 0, 1, s2
	v_add_nc_u32_e32 v8, v7, v8
; %bb.738:
	s_or_b32 exec_lo, exec_lo, s22
	s_mov_b32 s22, -1
	s_mov_b32 s2, 0
	global_store_b8 v[0:1], v8, off
.LBB105_739:
	s_mov_b32 s23, 0
.LBB105_740:
	s_delay_alu instid0(SALU_CYCLE_1)
	s_and_b32 vcc_lo, exec_lo, s23
	s_cbranch_vccz .LBB105_743
; %bb.741:
	v_cmp_eq_u16_e32 vcc_lo, 29, v6
	s_mov_b32 s2, -1
	s_cbranch_vccz .LBB105_743
; %bb.742:
	v_lshlrev_b32_e32 v7, 16, v2
	s_mov_b32 s22, -1
	s_mov_b32 s2, 0
	s_mov_b32 s23, 0
	s_delay_alu instid0(VALU_DEP_1) | instskip(NEXT) | instid1(VALU_DEP_1)
	v_trunc_f32_e32 v7, v7
	v_mul_f32_e32 v8, 0x2f800000, v7
	s_delay_alu instid0(VALU_DEP_1) | instskip(NEXT) | instid1(VALU_DEP_1)
	v_floor_f32_e32 v8, v8
	v_fmamk_f32 v7, v8, 0xcf800000, v7
	v_cvt_u32_f32_e32 v8, v8
	s_delay_alu instid0(VALU_DEP_2)
	v_cvt_u32_f32_e32 v7, v7
	global_store_b64 v[0:1], v[7:8], off
	s_branch .LBB105_744
.LBB105_743:
	s_mov_b32 s23, 0
.LBB105_744:
	s_delay_alu instid0(SALU_CYCLE_1)
	s_and_b32 vcc_lo, exec_lo, s23
	s_cbranch_vccz .LBB105_760
; %bb.745:
	v_cmp_gt_i16_e32 vcc_lo, 27, v6
	s_mov_b32 s22, -1
	s_cbranch_vccnz .LBB105_751
; %bb.746:
	v_cmp_lt_i16_e32 vcc_lo, 27, v6
	s_cbranch_vccz .LBB105_748
; %bb.747:
	v_lshlrev_b32_e32 v7, 16, v2
	s_mov_b32 s22, 0
	s_delay_alu instid0(VALU_DEP_1)
	v_cvt_u32_f32_e32 v7, v7
	global_store_b32 v[0:1], v7, off
.LBB105_748:
	s_and_not1_b32 vcc_lo, exec_lo, s22
	s_cbranch_vccnz .LBB105_750
; %bb.749:
	v_lshlrev_b32_e32 v7, 16, v2
	s_delay_alu instid0(VALU_DEP_1)
	v_cvt_u32_f32_e32 v7, v7
	global_store_b16 v[0:1], v7, off
.LBB105_750:
	s_mov_b32 s22, 0
.LBB105_751:
	s_delay_alu instid0(SALU_CYCLE_1)
	s_and_not1_b32 vcc_lo, exec_lo, s22
	s_cbranch_vccnz .LBB105_759
; %bb.752:
	v_dual_mov_b32 v10, 0x80 :: v_dual_lshlrev_b32 v9, 16, v2
	s_mov_b32 s22, exec_lo
	s_delay_alu instid0(VALU_DEP_1) | instskip(NEXT) | instid1(VALU_DEP_1)
	v_and_b32_e32 v8, 0x7fffffff, v9
	v_cmpx_gt_u32_e32 0x43800000, v8
	s_cbranch_execz .LBB105_758
; %bb.753:
	v_and_b32_e32 v7, 0xffff, v2
	v_cmp_lt_u32_e32 vcc_lo, 0x3bffffff, v8
	s_mov_b32 s23, 0
                                        ; implicit-def: $vgpr8
	s_and_saveexec_b32 s41, vcc_lo
	s_delay_alu instid0(SALU_CYCLE_1)
	s_xor_b32 s41, exec_lo, s41
	s_cbranch_execz .LBB105_832
; %bb.754:
	v_bfe_u32 v8, v7, 4, 1
	s_mov_b32 s23, exec_lo
	s_delay_alu instid0(VALU_DEP_1) | instskip(NEXT) | instid1(VALU_DEP_1)
	v_add3_u32 v8, v9, v8, 0x487ffff
                                        ; implicit-def: $vgpr9
	v_lshrrev_b32_e32 v8, 20, v8
	s_or_saveexec_b32 s41, s41
                                        ; implicit-def: $sgpr42
	s_delay_alu instid0(SALU_CYCLE_1)
	s_xor_b32 exec_lo, exec_lo, s41
	s_cbranch_execnz .LBB105_833
.LBB105_755:
	s_or_b32 exec_lo, exec_lo, s41
	v_mov_b32_e32 v10, s42
	s_and_saveexec_b32 s41, s23
.LBB105_756:
	v_lshrrev_b32_e32 v7, 8, v7
	s_delay_alu instid0(VALU_DEP_1)
	v_and_or_b32 v10, 0x80, v7, v8
.LBB105_757:
	s_or_b32 exec_lo, exec_lo, s41
.LBB105_758:
	s_delay_alu instid0(SALU_CYCLE_1)
	s_or_b32 exec_lo, exec_lo, s22
	global_store_b8 v[0:1], v10, off
.LBB105_759:
	s_mov_b32 s22, -1
.LBB105_760:
	s_mov_b32 s23, 0
.LBB105_761:
	s_delay_alu instid0(SALU_CYCLE_1)
	s_and_b32 vcc_lo, exec_lo, s23
	s_cbranch_vccz .LBB105_802
; %bb.762:
	v_cmp_lt_i16_e32 vcc_lo, 22, v6
	s_mov_b32 s23, -1
	s_cbranch_vccz .LBB105_794
; %bb.763:
	v_cmp_gt_i16_e32 vcc_lo, 24, v6
	s_mov_b32 s22, -1
	s_cbranch_vccnz .LBB105_783
; %bb.764:
	v_cmp_lt_i16_e32 vcc_lo, 24, v6
	s_cbranch_vccz .LBB105_772
; %bb.765:
	v_dual_mov_b32 v10, 0x80 :: v_dual_lshlrev_b32 v9, 16, v2
	s_mov_b32 s22, exec_lo
	s_delay_alu instid0(VALU_DEP_1) | instskip(NEXT) | instid1(VALU_DEP_1)
	v_and_b32_e32 v8, 0x7fffffff, v9
	v_cmpx_gt_u32_e32 0x47800000, v8
	s_cbranch_execz .LBB105_771
; %bb.766:
	v_and_b32_e32 v7, 0xffff, v2
	v_cmp_lt_u32_e32 vcc_lo, 0x37ffffff, v8
	s_mov_b32 s23, 0
                                        ; implicit-def: $vgpr8
	s_and_saveexec_b32 s41, vcc_lo
	s_delay_alu instid0(SALU_CYCLE_1)
	s_xor_b32 s41, exec_lo, s41
	s_cbranch_execz .LBB105_835
; %bb.767:
	v_bfe_u32 v8, v7, 5, 1
	s_mov_b32 s23, exec_lo
	s_delay_alu instid0(VALU_DEP_1) | instskip(NEXT) | instid1(VALU_DEP_1)
	v_add3_u32 v8, v9, v8, 0x88fffff
                                        ; implicit-def: $vgpr9
	v_lshrrev_b32_e32 v8, 21, v8
	s_or_saveexec_b32 s41, s41
                                        ; implicit-def: $sgpr42
	s_delay_alu instid0(SALU_CYCLE_1)
	s_xor_b32 exec_lo, exec_lo, s41
	s_cbranch_execnz .LBB105_836
.LBB105_768:
	s_or_b32 exec_lo, exec_lo, s41
	v_mov_b32_e32 v10, s42
	s_and_saveexec_b32 s41, s23
.LBB105_769:
	v_lshrrev_b32_e32 v7, 8, v7
	s_delay_alu instid0(VALU_DEP_1)
	v_and_or_b32 v10, 0x80, v7, v8
.LBB105_770:
	s_or_b32 exec_lo, exec_lo, s41
.LBB105_771:
	s_delay_alu instid0(SALU_CYCLE_1)
	s_or_b32 exec_lo, exec_lo, s22
	s_mov_b32 s22, 0
	global_store_b8 v[0:1], v10, off
.LBB105_772:
	s_and_b32 vcc_lo, exec_lo, s22
	s_cbranch_vccz .LBB105_782
; %bb.773:
	v_lshlrev_b32_e32 v9, 16, v2
	v_and_b32_e32 v7, 0xffff, v2
	s_mov_b32 s22, exec_lo
                                        ; implicit-def: $vgpr8
	s_delay_alu instid0(VALU_DEP_2) | instskip(NEXT) | instid1(VALU_DEP_1)
	v_and_b32_e32 v10, 0x7fffffff, v9
	v_cmpx_gt_u32_e32 0x43f00000, v10
	s_xor_b32 s22, exec_lo, s22
	s_cbranch_execz .LBB105_779
; %bb.774:
	s_mov_b32 s23, exec_lo
                                        ; implicit-def: $vgpr8
	v_cmpx_lt_u32_e32 0x3c7fffff, v10
	s_xor_b32 s23, exec_lo, s23
; %bb.775:
	v_bfe_u32 v8, v7, 4, 1
	s_delay_alu instid0(VALU_DEP_1) | instskip(NEXT) | instid1(VALU_DEP_1)
	v_add3_u32 v8, v9, v8, 0x407ffff
	v_and_b32_e32 v9, 0xff00000, v8
	v_lshrrev_b32_e32 v8, 20, v8
	s_delay_alu instid0(VALU_DEP_2) | instskip(NEXT) | instid1(VALU_DEP_2)
	v_cmp_ne_u32_e32 vcc_lo, 0x7f00000, v9
                                        ; implicit-def: $vgpr9
	v_cndmask_b32_e32 v8, 0x7e, v8, vcc_lo
; %bb.776:
	s_and_not1_saveexec_b32 s23, s23
; %bb.777:
	v_add_f32_e64 v8, 0x46800000, |v9|
; %bb.778:
	s_or_b32 exec_lo, exec_lo, s23
                                        ; implicit-def: $vgpr10
.LBB105_779:
	s_and_not1_saveexec_b32 s22, s22
; %bb.780:
	v_mov_b32_e32 v8, 0x7f
	v_cmp_lt_u32_e32 vcc_lo, 0x7f800000, v10
	s_delay_alu instid0(VALU_DEP_2)
	v_cndmask_b32_e32 v8, 0x7e, v8, vcc_lo
; %bb.781:
	s_or_b32 exec_lo, exec_lo, s22
	v_lshrrev_b32_e32 v7, 8, v7
	s_delay_alu instid0(VALU_DEP_1)
	v_and_or_b32 v7, 0x80, v7, v8
	global_store_b8 v[0:1], v7, off
.LBB105_782:
	s_mov_b32 s22, 0
.LBB105_783:
	s_delay_alu instid0(SALU_CYCLE_1)
	s_and_not1_b32 vcc_lo, exec_lo, s22
	s_cbranch_vccnz .LBB105_793
; %bb.784:
	v_lshlrev_b32_e32 v9, 16, v2
	v_and_b32_e32 v7, 0xffff, v2
	s_mov_b32 s22, exec_lo
                                        ; implicit-def: $vgpr8
	s_delay_alu instid0(VALU_DEP_2) | instskip(NEXT) | instid1(VALU_DEP_1)
	v_and_b32_e32 v10, 0x7fffffff, v9
	v_cmpx_gt_u32_e32 0x47800000, v10
	s_xor_b32 s22, exec_lo, s22
	s_cbranch_execz .LBB105_790
; %bb.785:
	s_mov_b32 s23, exec_lo
                                        ; implicit-def: $vgpr8
	v_cmpx_lt_u32_e32 0x387fffff, v10
	s_xor_b32 s23, exec_lo, s23
; %bb.786:
	v_bfe_u32 v8, v7, 5, 1
	s_delay_alu instid0(VALU_DEP_1) | instskip(NEXT) | instid1(VALU_DEP_1)
	v_add3_u32 v8, v9, v8, 0x80fffff
                                        ; implicit-def: $vgpr9
	v_lshrrev_b32_e32 v8, 21, v8
; %bb.787:
	s_and_not1_saveexec_b32 s23, s23
; %bb.788:
	v_add_f32_e64 v8, 0x43000000, |v9|
; %bb.789:
	s_or_b32 exec_lo, exec_lo, s23
                                        ; implicit-def: $vgpr10
.LBB105_790:
	s_and_not1_saveexec_b32 s22, s22
; %bb.791:
	v_mov_b32_e32 v8, 0x7f
	v_cmp_lt_u32_e32 vcc_lo, 0x7f800000, v10
	s_delay_alu instid0(VALU_DEP_2)
	v_cndmask_b32_e32 v8, 0x7c, v8, vcc_lo
; %bb.792:
	s_or_b32 exec_lo, exec_lo, s22
	v_lshrrev_b32_e32 v7, 8, v7
	s_delay_alu instid0(VALU_DEP_1)
	v_and_or_b32 v7, 0x80, v7, v8
	global_store_b8 v[0:1], v7, off
.LBB105_793:
	s_mov_b32 s23, 0
	s_mov_b32 s22, -1
.LBB105_794:
	s_and_not1_b32 vcc_lo, exec_lo, s23
	s_cbranch_vccnz .LBB105_802
; %bb.795:
	v_cmp_lt_i16_e32 vcc_lo, 14, v6
	s_mov_b32 s23, -1
	s_cbranch_vccz .LBB105_799
; %bb.796:
	v_cmp_eq_u16_e32 vcc_lo, 15, v6
	s_mov_b32 s2, -1
	s_cbranch_vccz .LBB105_798
; %bb.797:
	s_mov_b32 s22, -1
	s_mov_b32 s2, 0
	global_store_b16 v[0:1], v2, off
.LBB105_798:
	s_mov_b32 s23, 0
.LBB105_799:
	s_delay_alu instid0(SALU_CYCLE_1)
	s_and_b32 vcc_lo, exec_lo, s23
	s_cbranch_vccz .LBB105_802
; %bb.800:
	v_cmp_eq_u16_e32 vcc_lo, 11, v6
	s_mov_b32 s2, -1
	s_cbranch_vccz .LBB105_802
; %bb.801:
	v_and_b32_e32 v7, 0x7fff, v2
	s_mov_b32 s2, 0
	s_mov_b32 s22, -1
	s_delay_alu instid0(VALU_DEP_1)
	v_cmp_ne_u16_e32 vcc_lo, 0, v7
	v_cndmask_b32_e64 v7, 0, 1, vcc_lo
	global_store_b8 v[0:1], v7, off
.LBB105_802:
.LBB105_803:
	s_and_not1_b32 vcc_lo, exec_lo, s22
	s_cbranch_vccnz .LBB105_728
.LBB105_804:
	v_add_nc_u32_e32 v5, 0x80, v5
	s_mov_b32 s41, -1
.LBB105_805:
	s_and_not1_b32 s22, s38, exec_lo
	s_and_b32 s2, s2, exec_lo
	s_and_not1_b32 s42, s37, exec_lo
	s_and_b32 s3, s3, exec_lo
	s_or_b32 s23, s22, s2
	s_or_b32 s22, s42, s3
	s_or_not1_b32 s42, s41, exec_lo
.LBB105_806:
	s_or_b32 exec_lo, exec_lo, s40
	s_mov_b32 s2, 0
	s_mov_b32 s3, 0
	;; [unrolled: 1-line block ×3, first 2 shown]
                                        ; implicit-def: $vgpr1_vgpr2
                                        ; implicit-def: $vgpr0
                                        ; implicit-def: $vgpr6
	s_and_saveexec_b32 s40, s42
	s_cbranch_execz .LBB105_904
; %bb.807:
	v_cmp_gt_i32_e32 vcc_lo, s30, v5
	s_mov_b32 s43, s22
	s_mov_b32 s42, 0
                                        ; implicit-def: $vgpr1_vgpr2
                                        ; implicit-def: $vgpr0
                                        ; implicit-def: $vgpr6
	s_and_saveexec_b32 s30, vcc_lo
	s_cbranch_execz .LBB105_903
; %bb.808:
	s_and_not1_b32 vcc_lo, exec_lo, s27
	s_cbranch_vccnz .LBB105_813
; %bb.809:
	v_dual_mov_b32 v0, 0 :: v_dual_mov_b32 v1, 0
	s_and_not1_b32 vcc_lo, exec_lo, s33
	s_mov_b32 s33, 0
	s_cbranch_vccnz .LBB105_818
; %bb.810:
	v_mov_b32_e32 v0, 0
	s_add_i32 s41, s31, 1
	s_cmp_eq_u32 s25, 2
	s_mov_b32 s31, 0
	s_cbranch_scc1 .LBB105_814
; %bb.811:
	v_dual_mov_b32 v1, 0 :: v_dual_mov_b32 v0, 0
	v_mov_b32_e32 v2, v5
	s_and_b32 s31, s41, 28
	s_mov_b64 s[2:3], s[16:17]
.LBB105_812:                            ; =>This Inner Loop Header: Depth=1
	s_clause 0x1
	s_load_b256 s[44:51], s[2:3], 0x4
	s_load_b128 s[60:63], s[2:3], 0x24
	s_load_b256 s[52:59], s[20:21], 0x0
	s_add_u32 s2, s2, 48
	s_addc_u32 s3, s3, 0
	s_add_i32 s42, s42, 4
	s_add_u32 s20, s20, 32
	s_addc_u32 s21, s21, 0
	s_cmp_eq_u32 s31, s42
	s_waitcnt vmcnt(0) lgkmcnt(0)
	v_mul_hi_u32 v6, s45, v2
	s_delay_alu instid0(VALU_DEP_1) | instskip(NEXT) | instid1(VALU_DEP_1)
	v_add_nc_u32_e32 v6, v2, v6
	v_lshrrev_b32_e32 v6, s46, v6
	s_delay_alu instid0(VALU_DEP_1) | instskip(SKIP_1) | instid1(VALU_DEP_2)
	v_mul_hi_u32 v7, s48, v6
	v_mul_lo_u32 v9, v6, s44
	v_add_nc_u32_e32 v7, v6, v7
	s_delay_alu instid0(VALU_DEP_2) | instskip(NEXT) | instid1(VALU_DEP_2)
	v_sub_nc_u32_e32 v2, v2, v9
	v_lshrrev_b32_e32 v7, s49, v7
	s_delay_alu instid0(VALU_DEP_2) | instskip(SKIP_1) | instid1(VALU_DEP_3)
	v_mul_lo_u32 v9, v2, s52
	v_mul_lo_u32 v11, v2, s53
	v_mul_hi_u32 v8, s51, v7
	s_delay_alu instid0(VALU_DEP_1) | instskip(NEXT) | instid1(VALU_DEP_1)
	v_add_nc_u32_e32 v8, v7, v8
	v_lshrrev_b32_e32 v8, s60, v8
	s_delay_alu instid0(VALU_DEP_1) | instskip(SKIP_1) | instid1(VALU_DEP_2)
	v_mul_hi_u32 v10, s62, v8
	v_mul_lo_u32 v12, v8, s50
	v_add_nc_u32_e32 v2, v8, v10
	v_mul_lo_u32 v10, v7, s47
	s_delay_alu instid0(VALU_DEP_3) | instskip(NEXT) | instid1(VALU_DEP_3)
	v_sub_nc_u32_e32 v7, v7, v12
	v_lshrrev_b32_e32 v2, s63, v2
	s_delay_alu instid0(VALU_DEP_2) | instskip(SKIP_2) | instid1(VALU_DEP_4)
	v_mul_lo_u32 v12, v7, s56
	v_mul_lo_u32 v7, v7, s57
	v_sub_nc_u32_e32 v6, v6, v10
	v_mul_lo_u32 v13, v2, s61
	s_delay_alu instid0(VALU_DEP_2) | instskip(SKIP_1) | instid1(VALU_DEP_3)
	v_mul_lo_u32 v10, v6, s54
	v_mul_lo_u32 v6, v6, s55
	v_sub_nc_u32_e32 v8, v8, v13
	s_delay_alu instid0(VALU_DEP_3) | instskip(NEXT) | instid1(VALU_DEP_2)
	v_add3_u32 v0, v9, v0, v10
	v_mul_lo_u32 v13, v8, s58
	v_mul_lo_u32 v8, v8, s59
	v_add3_u32 v1, v11, v1, v6
	s_delay_alu instid0(VALU_DEP_3) | instskip(NEXT) | instid1(VALU_DEP_2)
	v_add3_u32 v0, v12, v0, v13
	v_add3_u32 v1, v7, v1, v8
	s_cbranch_scc0 .LBB105_812
	s_branch .LBB105_815
.LBB105_813:
	s_mov_b32 s33, -1
                                        ; implicit-def: $vgpr0
                                        ; implicit-def: $vgpr1
	s_branch .LBB105_818
.LBB105_814:
	v_dual_mov_b32 v2, v5 :: v_dual_mov_b32 v1, 0
.LBB105_815:
	s_and_b32 s41, s41, 3
	s_delay_alu instid0(SALU_CYCLE_1)
	s_cmp_eq_u32 s41, 0
	s_cbranch_scc1 .LBB105_818
; %bb.816:
	s_lshl_b32 s2, s31, 3
	s_mul_i32 s20, s31, 12
	s_add_u32 s2, s2, s16
	s_addc_u32 s3, s17, 0
	s_add_u32 s2, s2, 0xc4
	s_addc_u32 s3, s3, 0
	;; [unrolled: 2-line block ×3, first 2 shown]
.LBB105_817:                            ; =>This Inner Loop Header: Depth=1
	s_clause 0x1
	s_load_b64 s[42:43], s[20:21], 0x4
	s_load_b32 s31, s[20:21], 0xc
	s_load_b64 s[44:45], s[2:3], 0x0
	s_add_u32 s20, s20, 12
	s_addc_u32 s21, s21, 0
	s_add_u32 s2, s2, 8
	s_addc_u32 s3, s3, 0
	s_add_i32 s41, s41, -1
	s_delay_alu instid0(SALU_CYCLE_1) | instskip(SKIP_2) | instid1(VALU_DEP_1)
	s_cmp_lg_u32 s41, 0
	s_waitcnt vmcnt(0) lgkmcnt(0)
	v_mul_hi_u32 v6, s43, v2
	v_add_nc_u32_e32 v6, v2, v6
	s_delay_alu instid0(VALU_DEP_1) | instskip(NEXT) | instid1(VALU_DEP_1)
	v_lshrrev_b32_e32 v9, s31, v6
	v_mul_lo_u32 v6, v9, s42
	s_delay_alu instid0(VALU_DEP_1) | instskip(NEXT) | instid1(VALU_DEP_1)
	v_sub_nc_u32_e32 v2, v2, v6
	v_mad_u64_u32 v[6:7], null, v2, s44, v[0:1]
	v_mad_u64_u32 v[7:8], null, v2, s45, v[1:2]
	v_mov_b32_e32 v2, v9
	s_delay_alu instid0(VALU_DEP_2)
	v_dual_mov_b32 v0, v6 :: v_dual_mov_b32 v1, v7
	s_cbranch_scc1 .LBB105_817
.LBB105_818:
	s_and_not1_b32 vcc_lo, exec_lo, s33
	s_cbranch_vccnz .LBB105_821
; %bb.819:
	s_waitcnt lgkmcnt(0)
	v_mul_hi_u32 v0, s13, v5
	s_and_not1_b32 vcc_lo, exec_lo, s29
	s_delay_alu instid0(VALU_DEP_1) | instskip(NEXT) | instid1(VALU_DEP_1)
	v_add_nc_u32_e32 v0, v5, v0
	v_lshrrev_b32_e32 v2, s14, v0
	s_delay_alu instid0(VALU_DEP_1) | instskip(NEXT) | instid1(VALU_DEP_1)
	v_mul_lo_u32 v0, v2, s12
	v_sub_nc_u32_e32 v1, v5, v0
	s_delay_alu instid0(VALU_DEP_1)
	v_mul_lo_u32 v0, v1, s8
	v_mul_lo_u32 v1, v1, s9
	s_cbranch_vccnz .LBB105_821
; %bb.820:
	v_mul_hi_u32 v5, s18, v2
	s_delay_alu instid0(VALU_DEP_1) | instskip(NEXT) | instid1(VALU_DEP_1)
	v_add_nc_u32_e32 v5, v2, v5
	v_lshrrev_b32_e32 v5, s19, v5
	s_delay_alu instid0(VALU_DEP_1) | instskip(NEXT) | instid1(VALU_DEP_1)
	v_mul_lo_u32 v5, v5, s15
	v_sub_nc_u32_e32 v2, v2, v5
	s_waitcnt vmcnt(0)
	s_delay_alu instid0(VALU_DEP_1) | instskip(SKIP_1) | instid1(VALU_DEP_1)
	v_mad_u64_u32 v[5:6], null, v2, s10, v[0:1]
	v_mad_u64_u32 v[6:7], null, v2, s11, v[1:2]
	v_dual_mov_b32 v0, v5 :: v_dual_mov_b32 v1, v6
.LBB105_821:
	v_cmp_gt_i16_e32 vcc_lo, 11, v4
	s_waitcnt lgkmcnt(0)
	s_delay_alu instid0(VALU_DEP_2) | instskip(NEXT) | instid1(VALU_DEP_1)
	v_add_co_u32 v1, s2, s6, v1
	v_add_co_ci_u32_e64 v2, null, s7, 0, s2
	s_mov_b32 s6, 0
	s_cbranch_vccnz .LBB105_828
; %bb.822:
	v_cmp_lt_i16_e32 vcc_lo, 25, v4
	s_mov_b32 s3, 0
	s_cbranch_vccz .LBB105_829
; %bb.823:
	v_cmp_lt_i16_e32 vcc_lo, 28, v4
	s_cbranch_vccz .LBB105_830
; %bb.824:
	v_cmp_lt_i16_e32 vcc_lo, 43, v4
	;; [unrolled: 3-line block ×3, first 2 shown]
	s_cbranch_vccz .LBB105_834
; %bb.826:
	v_cmp_eq_u16_e32 vcc_lo, 46, v4
	s_mov_b32 s7, 0
	s_cbranch_vccz .LBB105_837
; %bb.827:
	global_load_b32 v6, v[1:2], off
	s_mov_b32 s2, 0
	s_mov_b32 s6, -1
	s_branch .LBB105_839
.LBB105_828:
	s_mov_b32 s7, -1
	s_mov_b32 s3, 0
	s_mov_b32 s2, s22
                                        ; implicit-def: $vgpr6
	s_branch .LBB105_902
.LBB105_829:
	s_mov_b32 s7, -1
	s_mov_b32 s2, s22
                                        ; implicit-def: $vgpr6
	s_branch .LBB105_868
.LBB105_830:
	s_mov_b32 s7, -1
	s_mov_b32 s2, s22
                                        ; implicit-def: $vgpr6
	s_branch .LBB105_849
.LBB105_831:
	s_mov_b32 s7, -1
	s_mov_b32 s2, s22
                                        ; implicit-def: $vgpr6
	s_branch .LBB105_844
.LBB105_832:
	s_or_saveexec_b32 s41, s41
                                        ; implicit-def: $sgpr42
	s_delay_alu instid0(SALU_CYCLE_1)
	s_xor_b32 exec_lo, exec_lo, s41
	s_cbranch_execz .LBB105_755
.LBB105_833:
	v_add_f32_e64 v8, 0x46000000, |v9|
	s_and_not1_b32 s23, s23, exec_lo
	s_mov_b32 s42, 0
	s_delay_alu instid0(VALU_DEP_1) | instskip(NEXT) | instid1(VALU_DEP_1)
	v_and_b32_e32 v8, 0xff, v8
	v_cmp_ne_u32_e32 vcc_lo, 0, v8
	s_and_b32 s43, vcc_lo, exec_lo
	s_delay_alu instid0(SALU_CYCLE_1)
	s_or_b32 s23, s23, s43
	s_or_b32 exec_lo, exec_lo, s41
	v_mov_b32_e32 v10, s42
	s_and_saveexec_b32 s41, s23
	s_cbranch_execnz .LBB105_756
	s_branch .LBB105_757
.LBB105_834:
	s_mov_b32 s7, -1
	s_mov_b32 s2, s22
	s_branch .LBB105_838
.LBB105_835:
	s_or_saveexec_b32 s41, s41
                                        ; implicit-def: $sgpr42
	s_delay_alu instid0(SALU_CYCLE_1)
	s_xor_b32 exec_lo, exec_lo, s41
	s_cbranch_execz .LBB105_768
.LBB105_836:
	v_add_f32_e64 v8, 0x42800000, |v9|
	s_and_not1_b32 s23, s23, exec_lo
	s_mov_b32 s42, 0
	s_delay_alu instid0(VALU_DEP_1) | instskip(NEXT) | instid1(VALU_DEP_1)
	v_and_b32_e32 v8, 0xff, v8
	v_cmp_ne_u32_e32 vcc_lo, 0, v8
	s_and_b32 s43, vcc_lo, exec_lo
	s_delay_alu instid0(SALU_CYCLE_1)
	s_or_b32 s23, s23, s43
	s_or_b32 exec_lo, exec_lo, s41
	v_mov_b32_e32 v10, s42
	s_and_saveexec_b32 s41, s23
	s_cbranch_execnz .LBB105_769
	s_branch .LBB105_770
.LBB105_837:
	s_mov_b32 s2, -1
.LBB105_838:
                                        ; implicit-def: $vgpr6
.LBB105_839:
	s_and_b32 vcc_lo, exec_lo, s7
	s_cbranch_vccz .LBB105_843
; %bb.840:
	v_cmp_eq_u16_e32 vcc_lo, 44, v4
	s_cbranch_vccz .LBB105_842
; %bb.841:
	global_load_u8 v5, v[1:2], off
	s_mov_b32 s2, 0
	s_mov_b32 s6, -1
	s_waitcnt vmcnt(0)
	v_lshlrev_b32_e32 v6, 23, v5
	v_cmp_ne_u32_e32 vcc_lo, 0xff, v5
	s_delay_alu instid0(VALU_DEP_2) | instskip(SKIP_1) | instid1(VALU_DEP_2)
	v_cndmask_b32_e32 v6, 0x7f800001, v6, vcc_lo
	v_cmp_ne_u32_e32 vcc_lo, 0, v5
	v_cndmask_b32_e32 v5, 0x400000, v6, vcc_lo
	s_delay_alu instid0(VALU_DEP_1) | instskip(SKIP_1) | instid1(VALU_DEP_2)
	v_add_nc_u32_e32 v6, 0x7fff, v5
	v_cmp_o_f32_e32 vcc_lo, v5, v5
	v_lshrrev_b32_e32 v6, 16, v6
	s_delay_alu instid0(VALU_DEP_1)
	v_cndmask_b32_e32 v6, 0x7fc0, v6, vcc_lo
	s_branch .LBB105_843
.LBB105_842:
	s_mov_b32 s2, -1
                                        ; implicit-def: $vgpr6
.LBB105_843:
	s_mov_b32 s7, 0
.LBB105_844:
	s_delay_alu instid0(SALU_CYCLE_1)
	s_and_b32 vcc_lo, exec_lo, s7
	s_cbranch_vccz .LBB105_848
; %bb.845:
	v_cmp_eq_u16_e32 vcc_lo, 29, v4
	s_cbranch_vccz .LBB105_847
; %bb.846:
	global_load_b64 v[5:6], v[1:2], off
	s_mov_b32 s2, 0
	s_mov_b32 s6, -1
	s_mov_b32 s7, 0
	s_waitcnt vmcnt(0)
	v_clz_i32_u32_e32 v7, v6
	s_delay_alu instid0(VALU_DEP_1) | instskip(NEXT) | instid1(VALU_DEP_1)
	v_min_u32_e32 v7, 32, v7
	v_lshlrev_b64 v[5:6], v7, v[5:6]
	s_delay_alu instid0(VALU_DEP_1) | instskip(NEXT) | instid1(VALU_DEP_1)
	v_min_u32_e32 v5, 1, v5
	v_or_b32_e32 v5, v6, v5
	v_sub_nc_u32_e32 v6, 32, v7
	s_delay_alu instid0(VALU_DEP_2) | instskip(NEXT) | instid1(VALU_DEP_1)
	v_cvt_f32_u32_e32 v5, v5
	v_ldexp_f32 v5, v5, v6
	s_delay_alu instid0(VALU_DEP_1) | instskip(NEXT) | instid1(VALU_DEP_1)
	v_bfe_u32 v6, v5, 16, 1
	v_add3_u32 v5, v5, v6, 0x7fff
	s_delay_alu instid0(VALU_DEP_1)
	v_lshrrev_b32_e32 v6, 16, v5
	s_branch .LBB105_849
.LBB105_847:
	s_mov_b32 s2, -1
                                        ; implicit-def: $vgpr6
.LBB105_848:
	s_mov_b32 s7, 0
.LBB105_849:
	s_delay_alu instid0(SALU_CYCLE_1)
	s_and_b32 vcc_lo, exec_lo, s7
	s_cbranch_vccz .LBB105_867
; %bb.850:
	v_cmp_gt_i16_e32 vcc_lo, 27, v4
	s_cbranch_vccnz .LBB105_853
; %bb.851:
	v_cmp_lt_i16_e32 vcc_lo, 27, v4
	s_cbranch_vccz .LBB105_854
; %bb.852:
	global_load_b32 v5, v[1:2], off
	s_mov_b32 s6, 0
	s_waitcnt vmcnt(0)
	v_cvt_f32_u32_e32 v5, v5
	s_delay_alu instid0(VALU_DEP_1) | instskip(NEXT) | instid1(VALU_DEP_1)
	v_bfe_u32 v6, v5, 16, 1
	v_add3_u32 v5, v5, v6, 0x7fff
	s_delay_alu instid0(VALU_DEP_1)
	v_lshrrev_b32_e32 v6, 16, v5
	s_branch .LBB105_855
.LBB105_853:
	s_mov_b32 s6, -1
                                        ; implicit-def: $vgpr6
	s_branch .LBB105_858
.LBB105_854:
	s_mov_b32 s6, -1
                                        ; implicit-def: $vgpr6
.LBB105_855:
	s_delay_alu instid0(SALU_CYCLE_1)
	s_and_not1_b32 vcc_lo, exec_lo, s6
	s_cbranch_vccnz .LBB105_857
; %bb.856:
	global_load_u16 v5, v[1:2], off
	s_waitcnt vmcnt(0)
	v_cvt_f32_u32_e32 v5, v5
	s_delay_alu instid0(VALU_DEP_1) | instskip(NEXT) | instid1(VALU_DEP_1)
	v_bfe_u32 v6, v5, 16, 1
	v_add3_u32 v5, v5, v6, 0x7fff
	s_delay_alu instid0(VALU_DEP_1)
	v_lshrrev_b32_e32 v6, 16, v5
.LBB105_857:
	s_mov_b32 s6, 0
.LBB105_858:
	s_delay_alu instid0(SALU_CYCLE_1)
	s_and_not1_b32 vcc_lo, exec_lo, s6
	s_cbranch_vccnz .LBB105_866
; %bb.859:
	global_load_u8 v5, v[1:2], off
	s_mov_b32 s6, 0
	s_mov_b32 s8, exec_lo
                                        ; implicit-def: $sgpr7
	s_waitcnt vmcnt(0)
	v_cmpx_lt_i16_e32 0x7f, v5
	s_xor_b32 s8, exec_lo, s8
	s_cbranch_execz .LBB105_880
; %bb.860:
	s_mov_b32 s6, -1
	s_mov_b32 s9, exec_lo
                                        ; implicit-def: $sgpr7
	v_cmpx_eq_u16_e32 0x80, v5
; %bb.861:
	s_mov_b32 s7, 0x7f800001
	s_xor_b32 s6, exec_lo, -1
; %bb.862:
	s_or_b32 exec_lo, exec_lo, s9
	s_delay_alu instid0(SALU_CYCLE_1)
	s_and_b32 s6, s6, exec_lo
	s_or_saveexec_b32 s8, s8
	v_mov_b32_e32 v6, s7
	s_xor_b32 exec_lo, exec_lo, s8
	s_cbranch_execnz .LBB105_881
.LBB105_863:
	s_or_b32 exec_lo, exec_lo, s8
	s_and_saveexec_b32 s7, s6
	s_cbranch_execz .LBB105_865
.LBB105_864:
	v_and_b32_e32 v6, 0xffff, v5
	v_lshlrev_b32_e32 v5, 24, v5
	s_delay_alu instid0(VALU_DEP_2) | instskip(NEXT) | instid1(VALU_DEP_2)
	v_and_b32_e32 v7, 7, v6
	v_and_b32_e32 v5, 0x80000000, v5
	s_delay_alu instid0(VALU_DEP_2) | instskip(NEXT) | instid1(VALU_DEP_1)
	v_clz_i32_u32_e32 v8, v7
	v_min_u32_e32 v8, 32, v8
	s_delay_alu instid0(VALU_DEP_1) | instskip(SKIP_1) | instid1(VALU_DEP_2)
	v_subrev_nc_u32_e32 v9, 28, v8
	v_sub_nc_u32_e32 v8, 29, v8
	v_lshlrev_b32_e32 v9, v9, v6
	v_bfe_u32 v6, v6, 3, 4
	s_delay_alu instid0(VALU_DEP_2) | instskip(NEXT) | instid1(VALU_DEP_2)
	v_and_b32_e32 v9, 7, v9
	v_cmp_eq_u32_e32 vcc_lo, 0, v6
	s_delay_alu instid0(VALU_DEP_2) | instskip(NEXT) | instid1(VALU_DEP_1)
	v_dual_cndmask_b32 v6, v6, v8 :: v_dual_cndmask_b32 v7, v7, v9
	v_lshl_add_u32 v6, v6, 23, 0x3b800000
	s_delay_alu instid0(VALU_DEP_2) | instskip(NEXT) | instid1(VALU_DEP_1)
	v_lshlrev_b32_e32 v7, 20, v7
	v_or3_b32 v6, v5, v6, v7
.LBB105_865:
	s_or_b32 exec_lo, exec_lo, s7
	s_delay_alu instid0(VALU_DEP_1) | instskip(SKIP_1) | instid1(VALU_DEP_2)
	v_bfe_u32 v5, v6, 16, 1
	v_cmp_o_f32_e32 vcc_lo, v6, v6
	v_add3_u32 v5, v6, v5, 0x7fff
	s_delay_alu instid0(VALU_DEP_1) | instskip(NEXT) | instid1(VALU_DEP_1)
	v_lshrrev_b32_e32 v5, 16, v5
	v_cndmask_b32_e32 v6, 0x7fc0, v5, vcc_lo
.LBB105_866:
	s_mov_b32 s6, -1
.LBB105_867:
	s_mov_b32 s7, 0
.LBB105_868:
	s_delay_alu instid0(SALU_CYCLE_1)
	s_and_b32 vcc_lo, exec_lo, s7
	s_cbranch_vccz .LBB105_901
; %bb.869:
	v_cmp_lt_i16_e32 vcc_lo, 22, v4
	s_cbranch_vccz .LBB105_879
; %bb.870:
	v_cmp_gt_i16_e32 vcc_lo, 24, v4
	s_cbranch_vccnz .LBB105_882
; %bb.871:
	v_cmp_lt_i16_e32 vcc_lo, 24, v4
	s_cbranch_vccz .LBB105_883
; %bb.872:
	global_load_u8 v5, v[1:2], off
	s_mov_b32 s7, exec_lo
                                        ; implicit-def: $sgpr6
	s_waitcnt vmcnt(0)
	v_cmpx_lt_i16_e32 0x7f, v5
	s_xor_b32 s7, exec_lo, s7
	s_cbranch_execz .LBB105_895
; %bb.873:
	s_mov_b32 s3, -1
	s_mov_b32 s8, exec_lo
                                        ; implicit-def: $sgpr6
	v_cmpx_eq_u16_e32 0x80, v5
; %bb.874:
	s_mov_b32 s6, 0x7f800001
	s_xor_b32 s3, exec_lo, -1
; %bb.875:
	s_or_b32 exec_lo, exec_lo, s8
	s_delay_alu instid0(SALU_CYCLE_1)
	s_and_b32 s3, s3, exec_lo
	s_or_saveexec_b32 s7, s7
	v_mov_b32_e32 v6, s6
	s_xor_b32 exec_lo, exec_lo, s7
	s_cbranch_execnz .LBB105_896
.LBB105_876:
	s_or_b32 exec_lo, exec_lo, s7
	s_and_saveexec_b32 s6, s3
	s_cbranch_execz .LBB105_878
.LBB105_877:
	v_and_b32_e32 v6, 0xffff, v5
	v_lshlrev_b32_e32 v5, 24, v5
	s_delay_alu instid0(VALU_DEP_2) | instskip(NEXT) | instid1(VALU_DEP_2)
	v_and_b32_e32 v7, 3, v6
	v_and_b32_e32 v5, 0x80000000, v5
	s_delay_alu instid0(VALU_DEP_2) | instskip(NEXT) | instid1(VALU_DEP_1)
	v_clz_i32_u32_e32 v8, v7
	v_min_u32_e32 v8, 32, v8
	s_delay_alu instid0(VALU_DEP_1) | instskip(SKIP_1) | instid1(VALU_DEP_2)
	v_subrev_nc_u32_e32 v9, 29, v8
	v_sub_nc_u32_e32 v8, 30, v8
	v_lshlrev_b32_e32 v9, v9, v6
	v_bfe_u32 v6, v6, 2, 5
	s_delay_alu instid0(VALU_DEP_2) | instskip(NEXT) | instid1(VALU_DEP_2)
	v_and_b32_e32 v9, 3, v9
	v_cmp_eq_u32_e32 vcc_lo, 0, v6
	s_delay_alu instid0(VALU_DEP_2) | instskip(NEXT) | instid1(VALU_DEP_1)
	v_dual_cndmask_b32 v6, v6, v8 :: v_dual_cndmask_b32 v7, v7, v9
	v_lshl_add_u32 v6, v6, 23, 0x37800000
	s_delay_alu instid0(VALU_DEP_2) | instskip(NEXT) | instid1(VALU_DEP_1)
	v_lshlrev_b32_e32 v7, 21, v7
	v_or3_b32 v6, v5, v6, v7
.LBB105_878:
	s_or_b32 exec_lo, exec_lo, s6
	s_delay_alu instid0(VALU_DEP_1) | instskip(SKIP_2) | instid1(VALU_DEP_2)
	v_bfe_u32 v5, v6, 16, 1
	v_cmp_o_f32_e32 vcc_lo, v6, v6
	s_mov_b32 s3, 0
	v_add3_u32 v5, v6, v5, 0x7fff
	s_delay_alu instid0(VALU_DEP_1) | instskip(NEXT) | instid1(VALU_DEP_1)
	v_lshrrev_b32_e32 v5, 16, v5
	v_cndmask_b32_e32 v6, 0x7fc0, v5, vcc_lo
	s_branch .LBB105_884
.LBB105_879:
	s_mov_b32 s3, -1
                                        ; implicit-def: $vgpr6
	s_branch .LBB105_890
.LBB105_880:
	s_or_saveexec_b32 s8, s8
	v_mov_b32_e32 v6, s7
	s_xor_b32 exec_lo, exec_lo, s8
	s_cbranch_execz .LBB105_863
.LBB105_881:
	v_cmp_ne_u16_e32 vcc_lo, 0, v5
	v_mov_b32_e32 v6, 0
	s_and_not1_b32 s6, s6, exec_lo
	s_and_b32 s7, vcc_lo, exec_lo
	s_delay_alu instid0(SALU_CYCLE_1)
	s_or_b32 s6, s6, s7
	s_or_b32 exec_lo, exec_lo, s8
	s_and_saveexec_b32 s7, s6
	s_cbranch_execnz .LBB105_864
	s_branch .LBB105_865
.LBB105_882:
	s_mov_b32 s3, -1
                                        ; implicit-def: $vgpr6
	s_branch .LBB105_887
.LBB105_883:
	s_mov_b32 s3, -1
                                        ; implicit-def: $vgpr6
.LBB105_884:
	s_delay_alu instid0(SALU_CYCLE_1)
	s_and_b32 vcc_lo, exec_lo, s3
	s_cbranch_vccz .LBB105_886
; %bb.885:
	global_load_u8 v5, v[1:2], off
	s_waitcnt vmcnt(0)
	v_lshlrev_b32_e32 v5, 24, v5
	s_delay_alu instid0(VALU_DEP_1) | instskip(NEXT) | instid1(VALU_DEP_1)
	v_and_b32_e32 v6, 0x7f000000, v5
	v_clz_i32_u32_e32 v7, v6
	v_add_nc_u32_e32 v9, 0x1000000, v6
	v_cmp_ne_u32_e32 vcc_lo, 0, v6
	s_delay_alu instid0(VALU_DEP_3) | instskip(NEXT) | instid1(VALU_DEP_1)
	v_min_u32_e32 v7, 32, v7
	v_sub_nc_u32_e64 v7, v7, 4 clamp
	s_delay_alu instid0(VALU_DEP_1) | instskip(SKIP_1) | instid1(VALU_DEP_2)
	v_lshlrev_b32_e32 v8, v7, v6
	v_lshlrev_b32_e32 v7, 23, v7
	v_lshrrev_b32_e32 v8, 4, v8
	s_delay_alu instid0(VALU_DEP_1) | instskip(SKIP_1) | instid1(VALU_DEP_2)
	v_sub_nc_u32_e32 v7, v8, v7
	v_ashrrev_i32_e32 v8, 8, v9
	v_add_nc_u32_e32 v7, 0x3c000000, v7
	s_delay_alu instid0(VALU_DEP_1) | instskip(NEXT) | instid1(VALU_DEP_1)
	v_and_or_b32 v7, 0x7f800000, v8, v7
	v_cndmask_b32_e32 v6, 0, v7, vcc_lo
	s_delay_alu instid0(VALU_DEP_1) | instskip(SKIP_1) | instid1(VALU_DEP_2)
	v_and_or_b32 v5, 0x80000000, v5, v6
	v_bfe_u32 v6, v6, 16, 1
	v_cmp_o_f32_e32 vcc_lo, v5, v5
	s_delay_alu instid0(VALU_DEP_2) | instskip(NEXT) | instid1(VALU_DEP_1)
	v_add3_u32 v6, v5, v6, 0x7fff
	v_lshrrev_b32_e32 v6, 16, v6
	s_delay_alu instid0(VALU_DEP_1)
	v_cndmask_b32_e32 v6, 0x7fc0, v6, vcc_lo
.LBB105_886:
	s_mov_b32 s3, 0
.LBB105_887:
	s_delay_alu instid0(SALU_CYCLE_1)
	s_and_not1_b32 vcc_lo, exec_lo, s3
	s_cbranch_vccnz .LBB105_889
; %bb.888:
	global_load_u8 v5, v[1:2], off
	s_waitcnt vmcnt(0)
	v_lshlrev_b32_e32 v6, 25, v5
	v_lshlrev_b16 v5, 8, v5
	s_delay_alu instid0(VALU_DEP_2) | instskip(NEXT) | instid1(VALU_DEP_2)
	v_lshrrev_b32_e32 v7, 4, v6
	v_and_or_b32 v8, 0x7f00, v5, 0.5
	v_bfe_i32 v5, v5, 0, 16
	s_delay_alu instid0(VALU_DEP_3) | instskip(NEXT) | instid1(VALU_DEP_1)
	v_or_b32_e32 v7, 0x70000000, v7
	v_dual_add_f32 v8, -0.5, v8 :: v_dual_mul_f32 v7, 0x7800000, v7
	v_cmp_gt_u32_e32 vcc_lo, 0x8000000, v6
	s_delay_alu instid0(VALU_DEP_2) | instskip(NEXT) | instid1(VALU_DEP_1)
	v_cndmask_b32_e32 v6, v7, v8, vcc_lo
	v_and_or_b32 v5, 0x80000000, v5, v6
	v_bfe_u32 v6, v6, 16, 1
	s_delay_alu instid0(VALU_DEP_2) | instskip(NEXT) | instid1(VALU_DEP_2)
	v_cmp_o_f32_e32 vcc_lo, v5, v5
	v_add3_u32 v6, v5, v6, 0x7fff
	s_delay_alu instid0(VALU_DEP_1) | instskip(NEXT) | instid1(VALU_DEP_1)
	v_lshrrev_b32_e32 v6, 16, v6
	v_cndmask_b32_e32 v6, 0x7fc0, v6, vcc_lo
.LBB105_889:
	s_mov_b32 s3, 0
	s_mov_b32 s6, -1
.LBB105_890:
	s_and_not1_b32 vcc_lo, exec_lo, s3
	s_mov_b32 s3, 0
	s_cbranch_vccnz .LBB105_901
; %bb.891:
	v_cmp_lt_i16_e32 vcc_lo, 14, v4
	s_cbranch_vccz .LBB105_894
; %bb.892:
	v_cmp_eq_u16_e32 vcc_lo, 15, v4
	s_cbranch_vccz .LBB105_897
; %bb.893:
	global_load_u16 v6, v[1:2], off
	s_mov_b32 s2, 0
	s_mov_b32 s6, -1
	s_branch .LBB105_899
.LBB105_894:
	s_mov_b32 s3, -1
	s_branch .LBB105_898
.LBB105_895:
	s_or_saveexec_b32 s7, s7
	v_mov_b32_e32 v6, s6
	s_xor_b32 exec_lo, exec_lo, s7
	s_cbranch_execz .LBB105_876
.LBB105_896:
	v_cmp_ne_u16_e32 vcc_lo, 0, v5
	v_mov_b32_e32 v6, 0
	s_and_not1_b32 s3, s3, exec_lo
	s_and_b32 s6, vcc_lo, exec_lo
	s_delay_alu instid0(SALU_CYCLE_1)
	s_or_b32 s3, s3, s6
	s_or_b32 exec_lo, exec_lo, s7
	s_and_saveexec_b32 s6, s3
	s_cbranch_execnz .LBB105_877
	s_branch .LBB105_878
.LBB105_897:
	s_mov_b32 s2, -1
.LBB105_898:
                                        ; implicit-def: $vgpr6
.LBB105_899:
	s_and_b32 vcc_lo, exec_lo, s3
	s_mov_b32 s3, 0
	s_cbranch_vccz .LBB105_901
; %bb.900:
	v_cmp_ne_u16_e32 vcc_lo, 11, v4
	s_and_not1_b32 s2, s2, exec_lo
	s_mov_b32 s3, -1
                                        ; implicit-def: $vgpr6
	s_and_b32 s7, vcc_lo, exec_lo
	s_delay_alu instid0(SALU_CYCLE_1)
	s_or_b32 s2, s2, s7
.LBB105_901:
	s_mov_b32 s7, 0
.LBB105_902:
	s_and_b32 s41, s6, exec_lo
	s_and_b32 s42, s7, exec_lo
	s_and_not1_b32 s6, s22, exec_lo
	s_and_b32 s7, s2, exec_lo
	s_and_b32 s2, s3, exec_lo
	s_or_b32 s43, s6, s7
.LBB105_903:
	s_or_b32 exec_lo, exec_lo, s30
	s_waitcnt lgkmcnt(0)
	s_and_not1_b32 s6, s22, exec_lo
	s_and_b32 s7, s43, exec_lo
	s_and_b32 s41, s41, exec_lo
	;; [unrolled: 1-line block ×4, first 2 shown]
	s_or_b32 s22, s6, s7
.LBB105_904:
	s_or_b32 exec_lo, exec_lo, s40
	s_waitcnt lgkmcnt(0)
	s_and_not1_b32 s6, s38, exec_lo
	s_and_b32 s7, s23, exec_lo
	s_and_b32 s40, s41, exec_lo
	s_or_b32 s38, s6, s7
	s_and_not1_b32 s6, s37, exec_lo
	s_and_b32 s7, s22, exec_lo
	s_and_b32 s23, s3, exec_lo
	;; [unrolled: 1-line block ×3, first 2 shown]
	s_or_b32 s37, s6, s7
.LBB105_905:
	s_or_b32 exec_lo, exec_lo, s39
	s_delay_alu instid0(SALU_CYCLE_1)
	s_and_not1_b32 s2, s34, exec_lo
	s_waitcnt lgkmcnt(0)
	s_and_b32 s6, s38, exec_lo
	s_and_b32 s7, s37, exec_lo
	s_or_b32 s34, s2, s6
	s_and_not1_b32 s6, s35, exec_lo
	s_and_b32 s2, s40, exec_lo
	s_and_b32 s22, s23, exec_lo
	;; [unrolled: 1-line block ×3, first 2 shown]
	s_or_b32 s35, s6, s7
.LBB105_906:
	s_or_b32 exec_lo, exec_lo, s36
	s_mov_b32 s3, 0
	s_waitcnt lgkmcnt(0)
	s_and_saveexec_b32 s6, s35
	s_cbranch_execnz .LBB105_918
; %bb.907:
	s_or_b32 exec_lo, exec_lo, s6
	s_and_saveexec_b32 s6, s37
	s_delay_alu instid0(SALU_CYCLE_1)
	s_xor_b32 s6, exec_lo, s6
	s_cbranch_execz .LBB105_909
.LBB105_908:
	global_load_u8 v5, v[1:2], off
	s_or_b32 s2, s2, exec_lo
	s_waitcnt vmcnt(0)
	v_cmp_ne_u16_e32 vcc_lo, 0, v5
	v_cndmask_b32_e64 v5, 0, 1.0, vcc_lo
	s_delay_alu instid0(VALU_DEP_1)
	v_lshrrev_b32_e32 v6, 16, v5
.LBB105_909:
	s_or_b32 exec_lo, exec_lo, s6
	s_and_saveexec_b32 s6, s22
	s_cbranch_execz .LBB105_957
; %bb.910:
	v_cmp_gt_i16_e32 vcc_lo, 5, v4
	s_cbranch_vccnz .LBB105_915
; %bb.911:
	v_cmp_gt_i16_e32 vcc_lo, 8, v4
	s_cbranch_vccnz .LBB105_916
	;; [unrolled: 3-line block ×3, first 2 shown]
; %bb.913:
	v_cmp_lt_i16_e32 vcc_lo, 9, v4
	s_cbranch_vccz .LBB105_920
; %bb.914:
	global_load_b64 v[5:6], v[1:2], off
	s_mov_b32 s7, 0
	s_waitcnt vmcnt(0)
	v_cvt_f32_f64_e32 v5, v[5:6]
	s_delay_alu instid0(VALU_DEP_1) | instskip(SKIP_1) | instid1(VALU_DEP_2)
	v_bfe_u32 v6, v5, 16, 1
	v_cmp_o_f32_e32 vcc_lo, v5, v5
	v_add3_u32 v6, v5, v6, 0x7fff
	s_delay_alu instid0(VALU_DEP_1) | instskip(NEXT) | instid1(VALU_DEP_1)
	v_lshrrev_b32_e32 v6, 16, v6
	v_cndmask_b32_e32 v6, 0x7fc0, v6, vcc_lo
	s_branch .LBB105_921
.LBB105_915:
                                        ; implicit-def: $vgpr6
	s_branch .LBB105_938
.LBB105_916:
                                        ; implicit-def: $vgpr6
	s_branch .LBB105_927
.LBB105_917:
	s_mov_b32 s7, -1
                                        ; implicit-def: $vgpr6
	s_branch .LBB105_924
.LBB105_918:
	s_cbranch_execnz .LBB105_1188
; %bb.919:
	s_mov_b32 s3, exec_lo
	s_and_not1_b32 s37, s37, exec_lo
                                        ; implicit-def: $vgpr6
	s_or_b32 exec_lo, exec_lo, s6
	s_and_saveexec_b32 s6, s37
	s_delay_alu instid0(SALU_CYCLE_1)
	s_xor_b32 s6, exec_lo, s6
	s_cbranch_execnz .LBB105_908
	s_branch .LBB105_909
.LBB105_920:
	s_mov_b32 s7, -1
                                        ; implicit-def: $vgpr6
.LBB105_921:
	s_delay_alu instid0(SALU_CYCLE_1)
	s_and_not1_b32 vcc_lo, exec_lo, s7
	s_cbranch_vccnz .LBB105_923
; %bb.922:
	global_load_b32 v5, v[1:2], off
	s_waitcnt vmcnt(0)
	v_bfe_u32 v6, v5, 16, 1
	v_cmp_o_f32_e32 vcc_lo, v5, v5
	s_delay_alu instid0(VALU_DEP_2) | instskip(NEXT) | instid1(VALU_DEP_1)
	v_add3_u32 v6, v5, v6, 0x7fff
	v_lshrrev_b32_e32 v6, 16, v6
	s_delay_alu instid0(VALU_DEP_1)
	v_cndmask_b32_e32 v6, 0x7fc0, v6, vcc_lo
.LBB105_923:
	s_mov_b32 s7, 0
.LBB105_924:
	s_delay_alu instid0(SALU_CYCLE_1)
	s_and_not1_b32 vcc_lo, exec_lo, s7
	s_cbranch_vccnz .LBB105_926
; %bb.925:
	global_load_b32 v5, v[1:2], off
	s_waitcnt vmcnt(0)
	v_cvt_f32_f16_e32 v6, v5
	v_cmp_o_f16_e32 vcc_lo, v5, v5
	s_delay_alu instid0(VALU_DEP_2) | instskip(NEXT) | instid1(VALU_DEP_1)
	v_bfe_u32 v7, v6, 16, 1
	v_add3_u32 v6, v6, v7, 0x7fff
	s_delay_alu instid0(VALU_DEP_1) | instskip(NEXT) | instid1(VALU_DEP_1)
	v_lshrrev_b32_e32 v6, 16, v6
	v_cndmask_b32_e32 v6, 0x7fc0, v6, vcc_lo
.LBB105_926:
	s_cbranch_execnz .LBB105_937
.LBB105_927:
	v_cmp_gt_i16_e32 vcc_lo, 6, v4
	s_cbranch_vccnz .LBB105_930
; %bb.928:
	v_cmp_lt_i16_e32 vcc_lo, 6, v4
	s_cbranch_vccz .LBB105_931
; %bb.929:
	global_load_b64 v[5:6], v[1:2], off
	s_mov_b32 s7, 0
	s_waitcnt vmcnt(0)
	v_cvt_f32_f64_e32 v5, v[5:6]
	s_delay_alu instid0(VALU_DEP_1) | instskip(SKIP_1) | instid1(VALU_DEP_2)
	v_bfe_u32 v6, v5, 16, 1
	v_cmp_o_f32_e32 vcc_lo, v5, v5
	v_add3_u32 v6, v5, v6, 0x7fff
	s_delay_alu instid0(VALU_DEP_1) | instskip(NEXT) | instid1(VALU_DEP_1)
	v_lshrrev_b32_e32 v6, 16, v6
	v_cndmask_b32_e32 v6, 0x7fc0, v6, vcc_lo
	s_branch .LBB105_932
.LBB105_930:
	s_mov_b32 s7, -1
                                        ; implicit-def: $vgpr6
	s_branch .LBB105_935
.LBB105_931:
	s_mov_b32 s7, -1
                                        ; implicit-def: $vgpr6
.LBB105_932:
	s_delay_alu instid0(SALU_CYCLE_1)
	s_and_not1_b32 vcc_lo, exec_lo, s7
	s_cbranch_vccnz .LBB105_934
; %bb.933:
	global_load_b32 v5, v[1:2], off
	s_waitcnt vmcnt(0)
	v_bfe_u32 v6, v5, 16, 1
	v_cmp_o_f32_e32 vcc_lo, v5, v5
	s_delay_alu instid0(VALU_DEP_2) | instskip(NEXT) | instid1(VALU_DEP_1)
	v_add3_u32 v6, v5, v6, 0x7fff
	v_lshrrev_b32_e32 v6, 16, v6
	s_delay_alu instid0(VALU_DEP_1)
	v_cndmask_b32_e32 v6, 0x7fc0, v6, vcc_lo
.LBB105_934:
	s_mov_b32 s7, 0
.LBB105_935:
	s_delay_alu instid0(SALU_CYCLE_1)
	s_and_not1_b32 vcc_lo, exec_lo, s7
	s_cbranch_vccnz .LBB105_937
; %bb.936:
	global_load_u16 v5, v[1:2], off
	s_waitcnt vmcnt(0)
	v_cvt_f32_f16_e32 v6, v5
	v_cmp_o_f16_e32 vcc_lo, v5, v5
	s_delay_alu instid0(VALU_DEP_2) | instskip(NEXT) | instid1(VALU_DEP_1)
	v_bfe_u32 v7, v6, 16, 1
	v_add3_u32 v6, v6, v7, 0x7fff
	s_delay_alu instid0(VALU_DEP_1) | instskip(NEXT) | instid1(VALU_DEP_1)
	v_lshrrev_b32_e32 v6, 16, v6
	v_cndmask_b32_e32 v6, 0x7fc0, v6, vcc_lo
.LBB105_937:
	s_cbranch_execnz .LBB105_956
.LBB105_938:
	v_cmp_gt_i16_e32 vcc_lo, 2, v4
	s_cbranch_vccnz .LBB105_942
; %bb.939:
	v_cmp_gt_i16_e32 vcc_lo, 3, v4
	s_cbranch_vccnz .LBB105_943
; %bb.940:
	v_cmp_lt_i16_e32 vcc_lo, 3, v4
	s_cbranch_vccz .LBB105_944
; %bb.941:
	global_load_b64 v[5:6], v[1:2], off
	s_mov_b32 s7, 0
	s_waitcnt vmcnt(0)
	v_xor_b32_e32 v7, v5, v6
	v_cls_i32_e32 v8, v6
	s_delay_alu instid0(VALU_DEP_2) | instskip(NEXT) | instid1(VALU_DEP_2)
	v_ashrrev_i32_e32 v7, 31, v7
	v_add_nc_u32_e32 v8, -1, v8
	s_delay_alu instid0(VALU_DEP_2) | instskip(NEXT) | instid1(VALU_DEP_1)
	v_add_nc_u32_e32 v7, 32, v7
	v_min_u32_e32 v7, v8, v7
	s_delay_alu instid0(VALU_DEP_1) | instskip(NEXT) | instid1(VALU_DEP_1)
	v_lshlrev_b64 v[5:6], v7, v[5:6]
	v_min_u32_e32 v5, 1, v5
	s_delay_alu instid0(VALU_DEP_1) | instskip(SKIP_1) | instid1(VALU_DEP_2)
	v_or_b32_e32 v5, v6, v5
	v_sub_nc_u32_e32 v6, 32, v7
	v_cvt_f32_i32_e32 v5, v5
	s_delay_alu instid0(VALU_DEP_1) | instskip(NEXT) | instid1(VALU_DEP_1)
	v_ldexp_f32 v5, v5, v6
	v_bfe_u32 v6, v5, 16, 1
	s_delay_alu instid0(VALU_DEP_1) | instskip(NEXT) | instid1(VALU_DEP_1)
	v_add3_u32 v5, v5, v6, 0x7fff
	v_lshrrev_b32_e32 v6, 16, v5
	s_branch .LBB105_945
.LBB105_942:
                                        ; implicit-def: $vgpr6
	s_branch .LBB105_951
.LBB105_943:
	s_mov_b32 s7, -1
                                        ; implicit-def: $vgpr6
	s_branch .LBB105_948
.LBB105_944:
	s_mov_b32 s7, -1
                                        ; implicit-def: $vgpr6
.LBB105_945:
	s_delay_alu instid0(SALU_CYCLE_1)
	s_and_not1_b32 vcc_lo, exec_lo, s7
	s_cbranch_vccnz .LBB105_947
; %bb.946:
	global_load_b32 v5, v[1:2], off
	s_waitcnt vmcnt(0)
	v_cvt_f32_i32_e32 v5, v5
	s_delay_alu instid0(VALU_DEP_1) | instskip(NEXT) | instid1(VALU_DEP_1)
	v_bfe_u32 v6, v5, 16, 1
	v_add3_u32 v5, v5, v6, 0x7fff
	s_delay_alu instid0(VALU_DEP_1)
	v_lshrrev_b32_e32 v6, 16, v5
.LBB105_947:
	s_mov_b32 s7, 0
.LBB105_948:
	s_delay_alu instid0(SALU_CYCLE_1)
	s_and_not1_b32 vcc_lo, exec_lo, s7
	s_cbranch_vccnz .LBB105_950
; %bb.949:
	global_load_i16 v5, v[1:2], off
	s_waitcnt vmcnt(0)
	v_cvt_f32_i32_e32 v5, v5
	s_delay_alu instid0(VALU_DEP_1) | instskip(NEXT) | instid1(VALU_DEP_1)
	v_bfe_u32 v6, v5, 16, 1
	v_add3_u32 v5, v5, v6, 0x7fff
	s_delay_alu instid0(VALU_DEP_1)
	v_lshrrev_b32_e32 v6, 16, v5
.LBB105_950:
	s_cbranch_execnz .LBB105_956
.LBB105_951:
	v_cmp_lt_i16_e32 vcc_lo, 0, v4
	s_mov_b32 s7, 0
	s_cbranch_vccz .LBB105_953
; %bb.952:
	global_load_i8 v4, v[1:2], off
	s_waitcnt vmcnt(0)
	v_cvt_f32_i32_e32 v4, v4
	s_delay_alu instid0(VALU_DEP_1) | instskip(NEXT) | instid1(VALU_DEP_1)
	v_bfe_u32 v5, v4, 16, 1
	v_add3_u32 v4, v4, v5, 0x7fff
	s_delay_alu instid0(VALU_DEP_1)
	v_lshrrev_b32_e32 v6, 16, v4
	s_branch .LBB105_954
.LBB105_953:
	s_mov_b32 s7, -1
                                        ; implicit-def: $vgpr6
.LBB105_954:
	s_delay_alu instid0(SALU_CYCLE_1)
	s_and_not1_b32 vcc_lo, exec_lo, s7
	s_cbranch_vccnz .LBB105_956
; %bb.955:
	global_load_u8 v1, v[1:2], off
	s_waitcnt vmcnt(0)
	v_cvt_f32_ubyte0_e32 v1, v1
	s_delay_alu instid0(VALU_DEP_1) | instskip(NEXT) | instid1(VALU_DEP_1)
	v_bfe_u32 v2, v1, 16, 1
	v_add3_u32 v1, v1, v2, 0x7fff
	s_delay_alu instid0(VALU_DEP_1)
	v_lshrrev_b32_e32 v6, 16, v1
.LBB105_956:
	s_or_b32 s2, s2, exec_lo
.LBB105_957:
	s_or_b32 exec_lo, exec_lo, s6
	s_mov_b32 s8, 0
	s_mov_b32 s7, 0
                                        ; implicit-def: $vgpr5
                                        ; implicit-def: $vgpr1_vgpr2
                                        ; implicit-def: $vgpr4
	s_and_saveexec_b32 s6, s2
	s_cbranch_execz .LBB105_1034
; %bb.958:
	s_waitcnt vmcnt(0)
	v_lshlrev_b32_e32 v1, 16, v6
	s_delay_alu instid0(VALU_DEP_1) | instskip(NEXT) | instid1(VALU_DEP_1)
	v_mul_f32_e32 v2, 0x3fb8aa3b, v1
	v_rndne_f32_e32 v4, v2
	v_fma_f32 v5, 0x3fb8aa3b, v1, -v2
	s_delay_alu instid0(VALU_DEP_2) | instskip(SKIP_1) | instid1(VALU_DEP_3)
	v_sub_f32_e32 v2, v2, v4
	v_cmp_ngt_f32_e32 vcc_lo, 0xc2ce8ed0, v1
	v_fmamk_f32 v5, v1, 0x32a5705f, v5
	v_cvt_i32_f32_e32 v4, v4
	s_delay_alu instid0(VALU_DEP_2) | instskip(NEXT) | instid1(VALU_DEP_1)
	v_dual_add_f32 v2, v2, v5 :: v_dual_and_b32 v5, 0xff, v3
	v_exp_f32_e32 v2, v2
	s_waitcnt_depctr 0xfff
	v_ldexp_f32 v2, v2, v4
	s_delay_alu instid0(VALU_DEP_1) | instskip(SKIP_1) | instid1(VALU_DEP_2)
	v_cndmask_b32_e32 v2, 0, v2, vcc_lo
	v_cmp_nlt_f32_e32 vcc_lo, 0x42b17218, v1
	v_cndmask_b32_e32 v4, 0x7f800000, v2, vcc_lo
	v_cmp_gt_i16_e32 vcc_lo, 11, v5
	s_delay_alu instid0(VALU_DEP_2) | instskip(SKIP_1) | instid1(VALU_DEP_1)
	v_bfe_u32 v1, v4, 16, 1
	s_and_b32 vcc_lo, exec_lo, vcc_lo
	v_add3_u32 v1, v4, v1, 0x7fff
	s_delay_alu instid0(VALU_DEP_1) | instskip(SKIP_1) | instid1(VALU_DEP_1)
	v_lshrrev_b32_e32 v3, 16, v1
	v_add_co_u32 v1, s2, s4, v0
	v_add_co_ci_u32_e64 v2, null, s5, 0, s2
	v_cmp_o_f32_e64 s2, v4, v4
	s_mov_b32 s4, -1
	s_delay_alu instid0(VALU_DEP_1)
	v_cndmask_b32_e64 v4, 0x7fc0, v3, s2
	s_mov_b32 s2, s34
	s_cbranch_vccnz .LBB105_1033
; %bb.959:
	v_cmp_lt_i16_e32 vcc_lo, 25, v5
	s_mov_b32 s2, s34
	s_cbranch_vccz .LBB105_992
; %bb.960:
	v_cmp_lt_i16_e32 vcc_lo, 28, v5
	s_mov_b32 s2, s34
	s_cbranch_vccz .LBB105_976
; %bb.961:
	v_cmp_lt_i16_e32 vcc_lo, 43, v5
	s_mov_b32 s2, s34
	s_cbranch_vccz .LBB105_972
; %bb.962:
	v_cmp_lt_i16_e32 vcc_lo, 45, v5
	s_mov_b32 s2, s34
	s_cbranch_vccz .LBB105_966
; %bb.963:
	v_cmp_eq_u16_e32 vcc_lo, 46, v5
	s_mov_b32 s2, -1
	s_cbranch_vccz .LBB105_965
; %bb.964:
	v_and_b32_e32 v0, 0xffff, v4
	s_mov_b32 s2, 0
	global_store_b32 v[1:2], v0, off
.LBB105_965:
	s_mov_b32 s4, 0
.LBB105_966:
	s_delay_alu instid0(SALU_CYCLE_1)
	s_and_b32 vcc_lo, exec_lo, s4
	s_cbranch_vccz .LBB105_971
; %bb.967:
	v_cmp_eq_u16_e32 vcc_lo, 44, v5
	s_mov_b32 s2, -1
	s_cbranch_vccz .LBB105_971
; %bb.968:
	v_and_b32_e32 v0, 0xffff, v4
	v_mov_b32_e32 v3, 0xff
	s_mov_b32 s4, exec_lo
	s_delay_alu instid0(VALU_DEP_2) | instskip(NEXT) | instid1(VALU_DEP_1)
	v_bfe_u32 v6, v0, 7, 8
	v_cmpx_ne_u32_e32 0xff, v6
; %bb.969:
	v_lshlrev_b32_e32 v3, 16, v0
	v_and_b32_e32 v7, 64, v0
	v_lshrrev_b32_e32 v0, 7, v0
	s_delay_alu instid0(VALU_DEP_3) | instskip(NEXT) | instid1(VALU_DEP_3)
	v_and_or_b32 v3, 0x3f0000, v3, v6
	v_cmp_ne_u32_e32 vcc_lo, 0, v7
	s_delay_alu instid0(VALU_DEP_2) | instskip(NEXT) | instid1(VALU_DEP_1)
	v_cmp_ne_u32_e64 s2, 0, v3
	s_and_b32 s2, vcc_lo, s2
	s_delay_alu instid0(SALU_CYCLE_1) | instskip(NEXT) | instid1(VALU_DEP_1)
	v_cndmask_b32_e64 v3, 0, 1, s2
	v_add_nc_u32_e32 v3, v0, v3
; %bb.970:
	s_or_b32 exec_lo, exec_lo, s4
	s_mov_b32 s2, 0
	global_store_b8 v[1:2], v3, off
.LBB105_971:
	s_mov_b32 s4, 0
.LBB105_972:
	s_delay_alu instid0(SALU_CYCLE_1)
	s_and_b32 vcc_lo, exec_lo, s4
	s_cbranch_vccz .LBB105_975
; %bb.973:
	v_cmp_eq_u16_e32 vcc_lo, 29, v5
	s_mov_b32 s2, -1
	s_cbranch_vccz .LBB105_975
; %bb.974:
	v_lshlrev_b32_e32 v0, 16, v4
	s_mov_b32 s2, 0
	s_delay_alu instid0(VALU_DEP_1) | instskip(NEXT) | instid1(VALU_DEP_1)
	v_trunc_f32_e32 v0, v0
	v_mul_f32_e32 v3, 0x2f800000, v0
	s_delay_alu instid0(VALU_DEP_1) | instskip(NEXT) | instid1(VALU_DEP_1)
	v_floor_f32_e32 v3, v3
	v_fmamk_f32 v0, v3, 0xcf800000, v0
	v_cvt_u32_f32_e32 v7, v3
	s_delay_alu instid0(VALU_DEP_2)
	v_cvt_u32_f32_e32 v6, v0
	global_store_b64 v[1:2], v[6:7], off
.LBB105_975:
	s_mov_b32 s4, 0
.LBB105_976:
	s_delay_alu instid0(SALU_CYCLE_1)
	s_and_b32 vcc_lo, exec_lo, s4
	s_cbranch_vccz .LBB105_991
; %bb.977:
	v_cmp_gt_i16_e32 vcc_lo, 27, v5
	s_mov_b32 s4, -1
	s_cbranch_vccnz .LBB105_983
; %bb.978:
	v_cmp_lt_i16_e32 vcc_lo, 27, v5
	s_cbranch_vccz .LBB105_980
; %bb.979:
	v_lshlrev_b32_e32 v0, 16, v4
	s_mov_b32 s4, 0
	s_delay_alu instid0(VALU_DEP_1)
	v_cvt_u32_f32_e32 v0, v0
	global_store_b32 v[1:2], v0, off
.LBB105_980:
	s_and_not1_b32 vcc_lo, exec_lo, s4
	s_cbranch_vccnz .LBB105_982
; %bb.981:
	v_lshlrev_b32_e32 v0, 16, v4
	s_delay_alu instid0(VALU_DEP_1)
	v_cvt_u32_f32_e32 v0, v0
	global_store_b16 v[1:2], v0, off
.LBB105_982:
	s_mov_b32 s4, 0
.LBB105_983:
	s_delay_alu instid0(SALU_CYCLE_1)
	s_and_not1_b32 vcc_lo, exec_lo, s4
	s_cbranch_vccnz .LBB105_991
; %bb.984:
	v_dual_mov_b32 v7, 0x80 :: v_dual_lshlrev_b32 v6, 16, v4
	s_mov_b32 s4, exec_lo
	s_delay_alu instid0(VALU_DEP_1) | instskip(NEXT) | instid1(VALU_DEP_1)
	v_and_b32_e32 v3, 0x7fffffff, v6
	v_cmpx_gt_u32_e32 0x43800000, v3
	s_cbranch_execz .LBB105_990
; %bb.985:
	v_and_b32_e32 v0, 0xffff, v4
	v_cmp_lt_u32_e32 vcc_lo, 0x3bffffff, v3
	s_mov_b32 s5, 0
                                        ; implicit-def: $vgpr3
	s_and_saveexec_b32 s7, vcc_lo
	s_delay_alu instid0(SALU_CYCLE_1)
	s_xor_b32 s7, exec_lo, s7
	s_cbranch_execz .LBB105_1279
; %bb.986:
	v_bfe_u32 v3, v0, 4, 1
	s_mov_b32 s5, exec_lo
	s_delay_alu instid0(VALU_DEP_1) | instskip(NEXT) | instid1(VALU_DEP_1)
	v_add3_u32 v3, v6, v3, 0x487ffff
                                        ; implicit-def: $vgpr6
	v_lshrrev_b32_e32 v3, 20, v3
	s_or_saveexec_b32 s7, s7
                                        ; implicit-def: $sgpr8
	s_delay_alu instid0(SALU_CYCLE_1)
	s_xor_b32 exec_lo, exec_lo, s7
	s_cbranch_execnz .LBB105_1280
.LBB105_987:
	s_or_b32 exec_lo, exec_lo, s7
	v_mov_b32_e32 v7, s8
	s_and_saveexec_b32 s7, s5
.LBB105_988:
	v_lshrrev_b32_e32 v0, 8, v0
	s_delay_alu instid0(VALU_DEP_1)
	v_and_or_b32 v7, 0x80, v0, v3
.LBB105_989:
	s_or_b32 exec_lo, exec_lo, s7
.LBB105_990:
	s_delay_alu instid0(SALU_CYCLE_1)
	s_or_b32 exec_lo, exec_lo, s4
	global_store_b8 v[1:2], v7, off
.LBB105_991:
	s_mov_b32 s4, 0
.LBB105_992:
	s_delay_alu instid0(SALU_CYCLE_1)
	s_and_b32 vcc_lo, exec_lo, s4
	s_mov_b32 s4, 0
	s_cbranch_vccz .LBB105_1032
; %bb.993:
	v_cmp_lt_i16_e32 vcc_lo, 22, v5
	s_mov_b32 s5, -1
	s_cbranch_vccz .LBB105_1025
; %bb.994:
	v_cmp_gt_i16_e32 vcc_lo, 24, v5
	s_cbranch_vccnz .LBB105_1014
; %bb.995:
	v_cmp_lt_i16_e32 vcc_lo, 24, v5
	s_cbranch_vccz .LBB105_1003
; %bb.996:
	v_dual_mov_b32 v7, 0x80 :: v_dual_lshlrev_b32 v6, 16, v4
	s_mov_b32 s5, exec_lo
	s_delay_alu instid0(VALU_DEP_1) | instskip(NEXT) | instid1(VALU_DEP_1)
	v_and_b32_e32 v3, 0x7fffffff, v6
	v_cmpx_gt_u32_e32 0x47800000, v3
	s_cbranch_execz .LBB105_1002
; %bb.997:
	v_and_b32_e32 v0, 0xffff, v4
	v_cmp_lt_u32_e32 vcc_lo, 0x37ffffff, v3
	s_mov_b32 s7, 0
                                        ; implicit-def: $vgpr3
	s_and_saveexec_b32 s8, vcc_lo
	s_delay_alu instid0(SALU_CYCLE_1)
	s_xor_b32 s8, exec_lo, s8
	s_cbranch_execz .LBB105_1323
; %bb.998:
	v_bfe_u32 v3, v0, 5, 1
	s_mov_b32 s7, exec_lo
	s_delay_alu instid0(VALU_DEP_1) | instskip(NEXT) | instid1(VALU_DEP_1)
	v_add3_u32 v3, v6, v3, 0x88fffff
                                        ; implicit-def: $vgpr6
	v_lshrrev_b32_e32 v3, 21, v3
	s_or_saveexec_b32 s8, s8
                                        ; implicit-def: $sgpr9
	s_delay_alu instid0(SALU_CYCLE_1)
	s_xor_b32 exec_lo, exec_lo, s8
	s_cbranch_execnz .LBB105_1324
.LBB105_999:
	s_or_b32 exec_lo, exec_lo, s8
	v_mov_b32_e32 v7, s9
	s_and_saveexec_b32 s8, s7
.LBB105_1000:
	v_lshrrev_b32_e32 v0, 8, v0
	s_delay_alu instid0(VALU_DEP_1)
	v_and_or_b32 v7, 0x80, v0, v3
.LBB105_1001:
	s_or_b32 exec_lo, exec_lo, s8
.LBB105_1002:
	s_delay_alu instid0(SALU_CYCLE_1)
	s_or_b32 exec_lo, exec_lo, s5
	s_mov_b32 s5, 0
	global_store_b8 v[1:2], v7, off
.LBB105_1003:
	s_and_b32 vcc_lo, exec_lo, s5
	s_cbranch_vccz .LBB105_1013
; %bb.1004:
	v_lshlrev_b32_e32 v6, 16, v4
	v_and_b32_e32 v0, 0xffff, v4
	s_mov_b32 s5, exec_lo
                                        ; implicit-def: $vgpr3
	s_delay_alu instid0(VALU_DEP_2) | instskip(NEXT) | instid1(VALU_DEP_1)
	v_and_b32_e32 v7, 0x7fffffff, v6
	v_cmpx_gt_u32_e32 0x43f00000, v7
	s_xor_b32 s5, exec_lo, s5
	s_cbranch_execz .LBB105_1010
; %bb.1005:
	s_mov_b32 s7, exec_lo
                                        ; implicit-def: $vgpr3
	v_cmpx_lt_u32_e32 0x3c7fffff, v7
	s_xor_b32 s7, exec_lo, s7
; %bb.1006:
	v_bfe_u32 v3, v0, 4, 1
	s_delay_alu instid0(VALU_DEP_1) | instskip(NEXT) | instid1(VALU_DEP_1)
	v_add3_u32 v3, v6, v3, 0x407ffff
	v_and_b32_e32 v6, 0xff00000, v3
	v_lshrrev_b32_e32 v3, 20, v3
	s_delay_alu instid0(VALU_DEP_2) | instskip(NEXT) | instid1(VALU_DEP_2)
	v_cmp_ne_u32_e32 vcc_lo, 0x7f00000, v6
                                        ; implicit-def: $vgpr6
	v_cndmask_b32_e32 v3, 0x7e, v3, vcc_lo
; %bb.1007:
	s_and_not1_saveexec_b32 s7, s7
; %bb.1008:
	v_add_f32_e64 v3, 0x46800000, |v6|
; %bb.1009:
	s_or_b32 exec_lo, exec_lo, s7
                                        ; implicit-def: $vgpr7
.LBB105_1010:
	s_and_not1_saveexec_b32 s5, s5
; %bb.1011:
	v_mov_b32_e32 v3, 0x7f
	v_cmp_lt_u32_e32 vcc_lo, 0x7f800000, v7
	s_delay_alu instid0(VALU_DEP_2)
	v_cndmask_b32_e32 v3, 0x7e, v3, vcc_lo
; %bb.1012:
	s_or_b32 exec_lo, exec_lo, s5
	v_lshrrev_b32_e32 v0, 8, v0
	s_delay_alu instid0(VALU_DEP_1)
	v_and_or_b32 v0, 0x80, v0, v3
	global_store_b8 v[1:2], v0, off
.LBB105_1013:
	s_mov_b32 s5, 0
.LBB105_1014:
	s_delay_alu instid0(SALU_CYCLE_1)
	s_and_not1_b32 vcc_lo, exec_lo, s5
	s_cbranch_vccnz .LBB105_1024
; %bb.1015:
	v_lshlrev_b32_e32 v6, 16, v4
	v_and_b32_e32 v0, 0xffff, v4
	s_mov_b32 s5, exec_lo
                                        ; implicit-def: $vgpr3
	s_delay_alu instid0(VALU_DEP_2) | instskip(NEXT) | instid1(VALU_DEP_1)
	v_and_b32_e32 v7, 0x7fffffff, v6
	v_cmpx_gt_u32_e32 0x47800000, v7
	s_xor_b32 s5, exec_lo, s5
	s_cbranch_execz .LBB105_1021
; %bb.1016:
	s_mov_b32 s7, exec_lo
                                        ; implicit-def: $vgpr3
	v_cmpx_lt_u32_e32 0x387fffff, v7
	s_xor_b32 s7, exec_lo, s7
; %bb.1017:
	v_bfe_u32 v3, v0, 5, 1
	s_delay_alu instid0(VALU_DEP_1) | instskip(NEXT) | instid1(VALU_DEP_1)
	v_add3_u32 v3, v6, v3, 0x80fffff
                                        ; implicit-def: $vgpr6
	v_lshrrev_b32_e32 v3, 21, v3
; %bb.1018:
	s_and_not1_saveexec_b32 s7, s7
; %bb.1019:
	v_add_f32_e64 v3, 0x43000000, |v6|
; %bb.1020:
	s_or_b32 exec_lo, exec_lo, s7
                                        ; implicit-def: $vgpr7
.LBB105_1021:
	s_and_not1_saveexec_b32 s5, s5
; %bb.1022:
	v_mov_b32_e32 v3, 0x7f
	v_cmp_lt_u32_e32 vcc_lo, 0x7f800000, v7
	s_delay_alu instid0(VALU_DEP_2)
	v_cndmask_b32_e32 v3, 0x7c, v3, vcc_lo
; %bb.1023:
	s_or_b32 exec_lo, exec_lo, s5
	v_lshrrev_b32_e32 v0, 8, v0
	s_delay_alu instid0(VALU_DEP_1)
	v_and_or_b32 v0, 0x80, v0, v3
	global_store_b8 v[1:2], v0, off
.LBB105_1024:
	s_mov_b32 s5, 0
.LBB105_1025:
	s_delay_alu instid0(SALU_CYCLE_1)
	s_and_not1_b32 vcc_lo, exec_lo, s5
	s_mov_b32 s8, 0
	s_cbranch_vccnz .LBB105_1033
; %bb.1026:
	v_cmp_lt_i16_e32 vcc_lo, 14, v5
	s_mov_b32 s5, -1
	s_cbranch_vccz .LBB105_1030
; %bb.1027:
	v_cmp_eq_u16_e32 vcc_lo, 15, v5
	s_mov_b32 s2, -1
	s_cbranch_vccz .LBB105_1029
; %bb.1028:
	s_mov_b32 s2, 0
	global_store_b16 v[1:2], v4, off
.LBB105_1029:
	s_mov_b32 s5, 0
.LBB105_1030:
	s_delay_alu instid0(SALU_CYCLE_1)
	s_and_b32 vcc_lo, exec_lo, s5
	s_cbranch_vccz .LBB105_1033
; %bb.1031:
	v_cmp_ne_u16_e32 vcc_lo, 11, v5
	s_and_not1_b32 s2, s2, exec_lo
	s_mov_b32 s8, -1
	s_and_b32 s5, vcc_lo, exec_lo
	s_delay_alu instid0(SALU_CYCLE_1)
	s_or_b32 s2, s2, s5
	s_branch .LBB105_1033
.LBB105_1032:
	s_mov_b32 s8, 0
.LBB105_1033:
	s_and_b32 s7, s4, exec_lo
	s_and_not1_b32 s4, s34, exec_lo
	s_and_b32 s2, s2, exec_lo
	s_and_b32 s8, s8, exec_lo
	s_or_b32 s34, s4, s2
.LBB105_1034:
	s_or_b32 exec_lo, exec_lo, s6
	s_and_saveexec_b32 s2, s34
	s_cbranch_execnz .LBB105_1148
; %bb.1035:
	s_or_b32 exec_lo, exec_lo, s2
	s_and_saveexec_b32 s2, s8
	s_delay_alu instid0(SALU_CYCLE_1)
	s_xor_b32 s2, exec_lo, s2
	s_cbranch_execz .LBB105_1037
.LBB105_1036:
	v_and_b32_e32 v0, 0x7fff, v4
	s_delay_alu instid0(VALU_DEP_1)
	v_cmp_ne_u16_e32 vcc_lo, 0, v0
	v_cndmask_b32_e64 v0, 0, 1, vcc_lo
	global_store_b8 v[1:2], v0, off
.LBB105_1037:
	s_or_b32 exec_lo, exec_lo, s2
	s_and_saveexec_b32 s2, s7
	s_delay_alu instid0(SALU_CYCLE_1)
	s_xor_b32 s2, exec_lo, s2
	s_cbranch_execz .LBB105_1075
; %bb.1038:
	v_cmp_gt_i16_e32 vcc_lo, 5, v5
	s_mov_b32 s4, -1
	s_cbranch_vccnz .LBB105_1059
; %bb.1039:
	v_cmp_gt_i16_e32 vcc_lo, 8, v5
	s_cbranch_vccnz .LBB105_1049
; %bb.1040:
	v_cmp_gt_i16_e32 vcc_lo, 9, v5
	s_cbranch_vccnz .LBB105_1046
; %bb.1041:
	v_cmp_lt_i16_e32 vcc_lo, 9, v5
	s_cbranch_vccz .LBB105_1043
; %bb.1042:
	v_mov_b32_e32 v8, 0
	v_lshlrev_b32_e32 v0, 16, v4
	s_mov_b32 s4, 0
	s_delay_alu instid0(VALU_DEP_2) | instskip(SKIP_1) | instid1(VALU_DEP_2)
	v_mov_b32_e32 v9, v8
	s_waitcnt vmcnt(0)
	v_cvt_f64_f32_e32 v[6:7], v0
	global_store_b128 v[1:2], v[6:9], off
.LBB105_1043:
	s_and_not1_b32 vcc_lo, exec_lo, s4
	s_cbranch_vccnz .LBB105_1045
; %bb.1044:
	s_waitcnt vmcnt(0)
	v_dual_mov_b32 v7, 0 :: v_dual_lshlrev_b32 v6, 16, v4
	global_store_b64 v[1:2], v[6:7], off
.LBB105_1045:
	s_mov_b32 s4, 0
.LBB105_1046:
	s_delay_alu instid0(SALU_CYCLE_1)
	s_and_not1_b32 vcc_lo, exec_lo, s4
	s_cbranch_vccnz .LBB105_1048
; %bb.1047:
	v_lshlrev_b32_e32 v0, 16, v4
	s_delay_alu instid0(VALU_DEP_1) | instskip(NEXT) | instid1(VALU_DEP_1)
	v_cvt_f16_f32_e32 v0, v0
	v_and_b32_e32 v0, 0xffff, v0
	global_store_b32 v[1:2], v0, off
.LBB105_1048:
	s_mov_b32 s4, 0
.LBB105_1049:
	s_delay_alu instid0(SALU_CYCLE_1)
	s_and_not1_b32 vcc_lo, exec_lo, s4
	s_cbranch_vccnz .LBB105_1058
; %bb.1050:
	v_cmp_gt_i16_e32 vcc_lo, 6, v5
	s_mov_b32 s4, -1
	s_cbranch_vccnz .LBB105_1056
; %bb.1051:
	v_cmp_lt_i16_e32 vcc_lo, 6, v5
	s_cbranch_vccz .LBB105_1053
; %bb.1052:
	v_lshlrev_b32_e32 v0, 16, v4
	s_mov_b32 s4, 0
	s_waitcnt vmcnt(0)
	s_delay_alu instid0(VALU_DEP_1)
	v_cvt_f64_f32_e32 v[6:7], v0
	global_store_b64 v[1:2], v[6:7], off
.LBB105_1053:
	s_and_not1_b32 vcc_lo, exec_lo, s4
	s_cbranch_vccnz .LBB105_1055
; %bb.1054:
	v_lshlrev_b32_e32 v0, 16, v4
	global_store_b32 v[1:2], v0, off
.LBB105_1055:
	s_mov_b32 s4, 0
.LBB105_1056:
	s_delay_alu instid0(SALU_CYCLE_1)
	s_and_not1_b32 vcc_lo, exec_lo, s4
	s_cbranch_vccnz .LBB105_1058
; %bb.1057:
	v_lshlrev_b32_e32 v0, 16, v4
	s_delay_alu instid0(VALU_DEP_1)
	v_cvt_f16_f32_e32 v0, v0
	global_store_b16 v[1:2], v0, off
.LBB105_1058:
	s_mov_b32 s4, 0
.LBB105_1059:
	s_delay_alu instid0(SALU_CYCLE_1)
	s_and_not1_b32 vcc_lo, exec_lo, s4
	s_cbranch_vccnz .LBB105_1075
; %bb.1060:
	v_cmp_gt_i16_e32 vcc_lo, 2, v5
	s_mov_b32 s4, -1
	s_cbranch_vccnz .LBB105_1070
; %bb.1061:
	v_cmp_gt_i16_e32 vcc_lo, 3, v5
	s_cbranch_vccnz .LBB105_1067
; %bb.1062:
	v_cmp_lt_i16_e32 vcc_lo, 3, v5
	s_cbranch_vccz .LBB105_1064
; %bb.1063:
	v_lshlrev_b32_e32 v0, 16, v4
	s_mov_b32 s4, 0
	s_delay_alu instid0(VALU_DEP_1) | instskip(NEXT) | instid1(VALU_DEP_1)
	v_trunc_f32_e32 v0, v0
	v_mul_f32_e64 v3, 0x2f800000, |v0|
	s_delay_alu instid0(VALU_DEP_1) | instskip(SKIP_1) | instid1(VALU_DEP_1)
	v_floor_f32_e32 v3, v3
	s_waitcnt vmcnt(0)
	v_fma_f32 v6, 0xcf800000, v3, |v0|
	v_ashrrev_i32_e32 v0, 31, v0
	v_cvt_u32_f32_e32 v3, v3
	s_delay_alu instid0(VALU_DEP_3) | instskip(NEXT) | instid1(VALU_DEP_2)
	v_cvt_u32_f32_e32 v6, v6
	v_xor_b32_e32 v3, v3, v0
	s_delay_alu instid0(VALU_DEP_2) | instskip(NEXT) | instid1(VALU_DEP_1)
	v_xor_b32_e32 v6, v6, v0
	v_sub_co_u32 v6, vcc_lo, v6, v0
	s_delay_alu instid0(VALU_DEP_3)
	v_sub_co_ci_u32_e32 v7, vcc_lo, v3, v0, vcc_lo
	global_store_b64 v[1:2], v[6:7], off
.LBB105_1064:
	s_and_not1_b32 vcc_lo, exec_lo, s4
	s_cbranch_vccnz .LBB105_1066
; %bb.1065:
	v_lshlrev_b32_e32 v0, 16, v4
	s_delay_alu instid0(VALU_DEP_1)
	v_cvt_i32_f32_e32 v0, v0
	global_store_b32 v[1:2], v0, off
.LBB105_1066:
	s_mov_b32 s4, 0
.LBB105_1067:
	s_delay_alu instid0(SALU_CYCLE_1)
	s_and_not1_b32 vcc_lo, exec_lo, s4
	s_cbranch_vccnz .LBB105_1069
; %bb.1068:
	v_lshlrev_b32_e32 v0, 16, v4
	s_delay_alu instid0(VALU_DEP_1)
	v_cvt_i32_f32_e32 v0, v0
	global_store_b16 v[1:2], v0, off
.LBB105_1069:
	s_mov_b32 s4, 0
.LBB105_1070:
	s_delay_alu instid0(SALU_CYCLE_1)
	s_and_not1_b32 vcc_lo, exec_lo, s4
	s_cbranch_vccnz .LBB105_1075
; %bb.1071:
	v_cmp_lt_i16_e32 vcc_lo, 0, v5
	s_mov_b32 s4, -1
	s_cbranch_vccz .LBB105_1073
; %bb.1072:
	v_lshlrev_b32_e32 v0, 16, v4
	s_mov_b32 s4, 0
	s_delay_alu instid0(VALU_DEP_1)
	v_cvt_i32_f32_e32 v0, v0
	global_store_b8 v[1:2], v0, off
.LBB105_1073:
	s_and_not1_b32 vcc_lo, exec_lo, s4
	s_cbranch_vccnz .LBB105_1075
; %bb.1074:
	v_lshlrev_b32_e32 v0, 16, v4
	s_delay_alu instid0(VALU_DEP_1) | instskip(NEXT) | instid1(VALU_DEP_1)
	v_trunc_f32_e32 v0, v0
	v_mul_f32_e64 v3, 0x2f800000, |v0|
	s_delay_alu instid0(VALU_DEP_1) | instskip(NEXT) | instid1(VALU_DEP_1)
	v_floor_f32_e32 v3, v3
	v_fma_f32 v3, 0xcf800000, v3, |v0|
	v_ashrrev_i32_e32 v0, 31, v0
	s_delay_alu instid0(VALU_DEP_2) | instskip(NEXT) | instid1(VALU_DEP_1)
	v_cvt_u32_f32_e32 v3, v3
	v_xor_b32_e32 v3, v3, v0
	s_delay_alu instid0(VALU_DEP_1)
	v_sub_nc_u32_e32 v0, v3, v0
	global_store_b8 v[1:2], v0, off
.LBB105_1075:
	s_or_b32 exec_lo, exec_lo, s2
	s_delay_alu instid0(SALU_CYCLE_1)
	s_and_b32 s8, s3, exec_lo
                                        ; implicit-def: $vgpr8
                                        ; implicit-def: $vgpr5
.LBB105_1076:
	s_or_saveexec_b32 s9, s28
	s_mov_b32 s3, 0
                                        ; implicit-def: $vgpr0_vgpr1
                                        ; implicit-def: $vgpr6
                                        ; implicit-def: $vgpr2
	s_xor_b32 exec_lo, exec_lo, s9
	s_cbranch_execz .LBB105_2092
; %bb.1077:
	v_cndmask_b32_e64 v0, 0, 1, s27
	s_and_not1_b32 vcc_lo, exec_lo, s27
	s_cbranch_vccnz .LBB105_1083
; %bb.1078:
	v_mov_b32_e32 v3, 0
	v_mov_b32_e32 v7, 0
	s_cmp_lg_u32 s24, 0
	s_mov_b32 s6, 0
	s_cbranch_scc0 .LBB105_1087
; %bb.1079:
	s_min_u32 s7, s25, 15
	v_mov_b32_e32 v3, 0
	s_add_i32 s7, s7, 1
	s_cmp_eq_u32 s25, 2
	s_mov_b32 s10, 0
	s_cbranch_scc1 .LBB105_1084
; %bb.1080:
	v_mov_b32_e32 v7, 0
	v_mov_b32_e32 v3, 0
	v_mov_b32_e32 v1, v5
	s_add_u32 s2, s16, 0xc4
	s_addc_u32 s3, s17, 0
	s_and_b32 s10, s7, 28
	s_mov_b32 s11, 0
	s_mov_b64 s[4:5], s[16:17]
.LBB105_1081:                           ; =>This Inner Loop Header: Depth=1
	s_clause 0x1
	s_load_b256 s[36:43], s[4:5], 0x4
	s_load_b128 s[12:15], s[4:5], 0x24
	s_load_b256 s[44:51], s[2:3], 0x0
	s_add_u32 s4, s4, 48
	s_addc_u32 s5, s5, 0
	s_add_i32 s11, s11, 4
	s_add_u32 s2, s2, 32
	s_addc_u32 s3, s3, 0
	s_cmp_lg_u32 s10, s11
	s_waitcnt lgkmcnt(0)
	v_mul_hi_u32 v2, s37, v1
	s_delay_alu instid0(VALU_DEP_1) | instskip(NEXT) | instid1(VALU_DEP_1)
	v_add_nc_u32_e32 v2, v1, v2
	v_lshrrev_b32_e32 v2, s38, v2
	s_delay_alu instid0(VALU_DEP_1) | instskip(SKIP_1) | instid1(VALU_DEP_2)
	v_mul_hi_u32 v4, s40, v2
	v_mul_lo_u32 v9, v2, s36
	v_add_nc_u32_e32 v4, v2, v4
	s_delay_alu instid0(VALU_DEP_2) | instskip(NEXT) | instid1(VALU_DEP_2)
	v_sub_nc_u32_e32 v1, v1, v9
	v_lshrrev_b32_e32 v4, s41, v4
	s_delay_alu instid0(VALU_DEP_2) | instskip(SKIP_2) | instid1(VALU_DEP_3)
	v_mul_lo_u32 v9, v1, s44
	v_mul_lo_u32 v11, v1, s45
	s_waitcnt vmcnt(0)
	v_mul_hi_u32 v6, s43, v4
	s_delay_alu instid0(VALU_DEP_1) | instskip(NEXT) | instid1(VALU_DEP_1)
	v_add_nc_u32_e32 v6, v4, v6
	v_lshrrev_b32_e32 v6, s12, v6
	s_delay_alu instid0(VALU_DEP_1) | instskip(SKIP_1) | instid1(VALU_DEP_2)
	v_mul_hi_u32 v10, s14, v6
	v_mul_lo_u32 v12, v6, s42
	v_add_nc_u32_e32 v1, v6, v10
	v_mul_lo_u32 v10, v4, s39
	s_delay_alu instid0(VALU_DEP_3) | instskip(NEXT) | instid1(VALU_DEP_3)
	v_sub_nc_u32_e32 v4, v4, v12
	v_lshrrev_b32_e32 v1, s15, v1
	s_delay_alu instid0(VALU_DEP_2) | instskip(SKIP_2) | instid1(VALU_DEP_4)
	v_mul_lo_u32 v12, v4, s48
	v_mul_lo_u32 v4, v4, s49
	v_sub_nc_u32_e32 v2, v2, v10
	v_mul_lo_u32 v13, v1, s13
	s_delay_alu instid0(VALU_DEP_2) | instskip(SKIP_1) | instid1(VALU_DEP_3)
	v_mul_lo_u32 v10, v2, s46
	v_mul_lo_u32 v2, v2, s47
	v_sub_nc_u32_e32 v6, v6, v13
	s_delay_alu instid0(VALU_DEP_3) | instskip(NEXT) | instid1(VALU_DEP_2)
	v_add3_u32 v3, v9, v3, v10
	v_mul_lo_u32 v13, v6, s50
	v_mul_lo_u32 v6, v6, s51
	v_add3_u32 v2, v11, v7, v2
	s_delay_alu instid0(VALU_DEP_3) | instskip(NEXT) | instid1(VALU_DEP_2)
	v_add3_u32 v3, v12, v3, v13
	v_add3_u32 v7, v4, v2, v6
	s_cbranch_scc1 .LBB105_1081
; %bb.1082:
	s_and_b32 s7, s7, 3
	s_delay_alu instid0(SALU_CYCLE_1)
	s_cmp_eq_u32 s7, 0
	s_cbranch_scc0 .LBB105_1085
	s_branch .LBB105_1087
.LBB105_1083:
	s_mov_b32 s6, -1
                                        ; implicit-def: $vgpr3
                                        ; implicit-def: $vgpr7
	s_branch .LBB105_1087
.LBB105_1084:
	v_mov_b32_e32 v1, v5
	v_mov_b32_e32 v7, 0
	s_and_b32 s7, s7, 3
	s_delay_alu instid0(SALU_CYCLE_1)
	s_cmp_eq_u32 s7, 0
	s_cbranch_scc1 .LBB105_1087
.LBB105_1085:
	s_lshl_b32 s2, s10, 3
	s_mul_i32 s4, s10, 12
	s_add_u32 s2, s2, s16
	s_addc_u32 s3, 0, s17
	s_add_u32 s2, s2, 0xc4
	s_addc_u32 s3, s3, 0
	;; [unrolled: 2-line block ×3, first 2 shown]
	.p2align	6
.LBB105_1086:                           ; =>This Inner Loop Header: Depth=1
	s_clause 0x1
	s_load_b64 s[10:11], s[4:5], 0x4
	s_load_b32 s14, s[4:5], 0xc
	s_load_b64 s[12:13], s[2:3], 0x0
	s_add_u32 s4, s4, 12
	s_addc_u32 s5, s5, 0
	s_add_u32 s2, s2, 8
	s_addc_u32 s3, s3, 0
	s_add_i32 s7, s7, -1
	s_delay_alu instid0(SALU_CYCLE_1) | instskip(SKIP_2) | instid1(VALU_DEP_1)
	s_cmp_lg_u32 s7, 0
	s_waitcnt lgkmcnt(0)
	v_mul_hi_u32 v2, s11, v1
	v_add_nc_u32_e32 v2, v1, v2
	s_delay_alu instid0(VALU_DEP_1) | instskip(NEXT) | instid1(VALU_DEP_1)
	v_lshrrev_b32_e32 v4, s14, v2
	v_mul_lo_u32 v2, v4, s10
	s_delay_alu instid0(VALU_DEP_1) | instskip(NEXT) | instid1(VALU_DEP_1)
	v_sub_nc_u32_e32 v1, v1, v2
	v_mad_u64_u32 v[9:10], null, v1, s12, v[3:4]
	v_mad_u64_u32 v[2:3], null, v1, s13, v[7:8]
	v_mov_b32_e32 v1, v4
	s_delay_alu instid0(VALU_DEP_3) | instskip(NEXT) | instid1(VALU_DEP_3)
	v_mov_b32_e32 v3, v9
	v_mov_b32_e32 v7, v2
	s_cbranch_scc1 .LBB105_1086
.LBB105_1087:
	s_and_not1_b32 vcc_lo, exec_lo, s6
	s_cbranch_vccnz .LBB105_1090
; %bb.1088:
	s_clause 0x1
	s_load_b128 s[4:7], s[16:17], 0x4
	s_load_b64 s[2:3], s[16:17], 0xc4
	s_cmp_lt_u32 s24, 2
	s_waitcnt lgkmcnt(0)
	v_mul_hi_u32 v1, s5, v5
	s_delay_alu instid0(VALU_DEP_1) | instskip(NEXT) | instid1(VALU_DEP_1)
	v_add_nc_u32_e32 v1, v5, v1
	v_lshrrev_b32_e32 v1, s6, v1
	s_delay_alu instid0(VALU_DEP_1) | instskip(NEXT) | instid1(VALU_DEP_1)
	v_mul_lo_u32 v2, v1, s4
	v_sub_nc_u32_e32 v2, v5, v2
	s_delay_alu instid0(VALU_DEP_1)
	v_mul_lo_u32 v3, v2, s2
	v_mul_lo_u32 v7, v2, s3
	s_cbranch_scc1 .LBB105_1090
; %bb.1089:
	s_clause 0x1
	s_load_b128 s[4:7], s[16:17], 0x10
	s_load_b64 s[2:3], s[16:17], 0xcc
	s_waitcnt lgkmcnt(0)
	v_mul_hi_u32 v2, s5, v1
	s_delay_alu instid0(VALU_DEP_1) | instskip(NEXT) | instid1(VALU_DEP_1)
	v_add_nc_u32_e32 v2, v1, v2
	v_lshrrev_b32_e32 v2, s6, v2
	s_delay_alu instid0(VALU_DEP_1) | instskip(NEXT) | instid1(VALU_DEP_1)
	v_mul_lo_u32 v2, v2, s4
	v_sub_nc_u32_e32 v4, v1, v2
	s_delay_alu instid0(VALU_DEP_1) | instskip(SKIP_1) | instid1(VALU_DEP_2)
	v_mad_u64_u32 v[1:2], null, v4, s2, v[3:4]
	v_mad_u64_u32 v[2:3], null, v4, s3, v[7:8]
	v_mov_b32_e32 v3, v1
	s_delay_alu instid0(VALU_DEP_2)
	v_mov_b32_e32 v7, v2
.LBB105_1090:
	v_cmp_ne_u32_e32 vcc_lo, 1, v0
	v_add_nc_u32_e32 v1, 0x80, v5
	s_cbranch_vccnz .LBB105_1096
; %bb.1091:
	v_mov_b32_e32 v2, 0
	s_waitcnt vmcnt(0)
	v_mov_b32_e32 v6, 0
	s_cmp_lg_u32 s24, 0
	s_mov_b32 s6, 0
	s_cbranch_scc0 .LBB105_1100
; %bb.1092:
	s_min_u32 s7, s25, 15
	v_mov_b32_e32 v2, 0
	s_add_i32 s7, s7, 1
	s_cmp_eq_u32 s25, 2
	s_mov_b32 s10, 0
	s_cbranch_scc1 .LBB105_1097
; %bb.1093:
	v_mov_b32_e32 v6, 0
	v_mov_b32_e32 v2, 0
	;; [unrolled: 1-line block ×3, first 2 shown]
	s_add_u32 s2, s16, 0xc4
	s_addc_u32 s3, s17, 0
	s_and_b32 s10, s7, 28
	s_mov_b32 s11, 0
	s_mov_b64 s[4:5], s[16:17]
.LBB105_1094:                           ; =>This Inner Loop Header: Depth=1
	s_clause 0x1
	s_load_b256 s[36:43], s[4:5], 0x4
	s_load_b128 s[12:15], s[4:5], 0x24
	s_load_b256 s[44:51], s[2:3], 0x0
	s_add_u32 s4, s4, 48
	s_addc_u32 s5, s5, 0
	s_add_i32 s11, s11, 4
	s_add_u32 s2, s2, 32
	s_addc_u32 s3, s3, 0
	s_cmp_lg_u32 s10, s11
	s_waitcnt lgkmcnt(0)
	v_mul_hi_u32 v9, s37, v4
	s_delay_alu instid0(VALU_DEP_1) | instskip(NEXT) | instid1(VALU_DEP_1)
	v_add_nc_u32_e32 v9, v4, v9
	v_lshrrev_b32_e32 v9, s38, v9
	s_delay_alu instid0(VALU_DEP_1) | instskip(SKIP_1) | instid1(VALU_DEP_2)
	v_mul_hi_u32 v10, s40, v9
	v_mul_lo_u32 v12, v9, s36
	v_add_nc_u32_e32 v10, v9, v10
	s_delay_alu instid0(VALU_DEP_2) | instskip(NEXT) | instid1(VALU_DEP_2)
	v_sub_nc_u32_e32 v4, v4, v12
	v_lshrrev_b32_e32 v10, s41, v10
	s_delay_alu instid0(VALU_DEP_2) | instskip(SKIP_1) | instid1(VALU_DEP_3)
	v_mul_lo_u32 v12, v4, s44
	v_mul_lo_u32 v14, v4, s45
	v_mul_hi_u32 v11, s43, v10
	s_delay_alu instid0(VALU_DEP_1) | instskip(NEXT) | instid1(VALU_DEP_1)
	v_add_nc_u32_e32 v11, v10, v11
	v_lshrrev_b32_e32 v11, s12, v11
	s_delay_alu instid0(VALU_DEP_1) | instskip(SKIP_1) | instid1(VALU_DEP_2)
	v_mul_hi_u32 v13, s14, v11
	v_mul_lo_u32 v15, v11, s42
	v_add_nc_u32_e32 v4, v11, v13
	v_mul_lo_u32 v13, v10, s39
	s_delay_alu instid0(VALU_DEP_3) | instskip(NEXT) | instid1(VALU_DEP_3)
	v_sub_nc_u32_e32 v10, v10, v15
	v_lshrrev_b32_e32 v4, s15, v4
	s_delay_alu instid0(VALU_DEP_2) | instskip(SKIP_2) | instid1(VALU_DEP_4)
	v_mul_lo_u32 v15, v10, s48
	v_mul_lo_u32 v10, v10, s49
	v_sub_nc_u32_e32 v9, v9, v13
	v_mul_lo_u32 v16, v4, s13
	s_delay_alu instid0(VALU_DEP_2) | instskip(SKIP_1) | instid1(VALU_DEP_3)
	v_mul_lo_u32 v13, v9, s46
	v_mul_lo_u32 v9, v9, s47
	v_sub_nc_u32_e32 v11, v11, v16
	s_delay_alu instid0(VALU_DEP_3) | instskip(NEXT) | instid1(VALU_DEP_2)
	v_add3_u32 v2, v12, v2, v13
	v_mul_lo_u32 v16, v11, s50
	v_mul_lo_u32 v11, v11, s51
	v_add3_u32 v6, v14, v6, v9
	s_delay_alu instid0(VALU_DEP_3) | instskip(NEXT) | instid1(VALU_DEP_2)
	v_add3_u32 v2, v15, v2, v16
	v_add3_u32 v6, v10, v6, v11
	s_cbranch_scc1 .LBB105_1094
; %bb.1095:
	s_and_b32 s7, s7, 3
	s_delay_alu instid0(SALU_CYCLE_1)
	s_cmp_eq_u32 s7, 0
	s_cbranch_scc0 .LBB105_1098
	s_branch .LBB105_1100
.LBB105_1096:
	s_mov_b32 s6, -1
                                        ; implicit-def: $vgpr2
                                        ; implicit-def: $vgpr6
	s_branch .LBB105_1100
.LBB105_1097:
	v_mov_b32_e32 v4, v1
	v_mov_b32_e32 v6, 0
	s_and_b32 s7, s7, 3
	s_delay_alu instid0(SALU_CYCLE_1)
	s_cmp_eq_u32 s7, 0
	s_cbranch_scc1 .LBB105_1100
.LBB105_1098:
	s_lshl_b32 s2, s10, 3
	s_mul_i32 s4, s10, 12
	s_add_u32 s2, s2, s16
	s_addc_u32 s3, 0, s17
	s_add_u32 s2, s2, 0xc4
	s_addc_u32 s3, s3, 0
	;; [unrolled: 2-line block ×3, first 2 shown]
	.p2align	6
.LBB105_1099:                           ; =>This Inner Loop Header: Depth=1
	s_clause 0x1
	s_load_b64 s[10:11], s[4:5], 0x4
	s_load_b32 s14, s[4:5], 0xc
	s_load_b64 s[12:13], s[2:3], 0x0
	s_add_u32 s4, s4, 12
	s_addc_u32 s5, s5, 0
	s_add_u32 s2, s2, 8
	s_addc_u32 s3, s3, 0
	s_add_i32 s7, s7, -1
	s_delay_alu instid0(SALU_CYCLE_1) | instskip(SKIP_2) | instid1(VALU_DEP_1)
	s_cmp_lg_u32 s7, 0
	s_waitcnt lgkmcnt(0)
	v_mul_hi_u32 v9, s11, v4
	v_add_nc_u32_e32 v9, v4, v9
	s_delay_alu instid0(VALU_DEP_1) | instskip(NEXT) | instid1(VALU_DEP_1)
	v_lshrrev_b32_e32 v12, s14, v9
	v_mul_lo_u32 v9, v12, s10
	s_delay_alu instid0(VALU_DEP_1) | instskip(NEXT) | instid1(VALU_DEP_1)
	v_sub_nc_u32_e32 v4, v4, v9
	v_mad_u64_u32 v[9:10], null, v4, s12, v[2:3]
	v_mad_u64_u32 v[10:11], null, v4, s13, v[6:7]
	v_mov_b32_e32 v4, v12
	s_delay_alu instid0(VALU_DEP_3) | instskip(NEXT) | instid1(VALU_DEP_3)
	v_mov_b32_e32 v2, v9
	v_mov_b32_e32 v6, v10
	s_cbranch_scc1 .LBB105_1099
.LBB105_1100:
	s_and_not1_b32 vcc_lo, exec_lo, s6
	s_cbranch_vccnz .LBB105_1103
; %bb.1101:
	s_clause 0x1
	s_load_b128 s[4:7], s[16:17], 0x4
	s_load_b64 s[2:3], s[16:17], 0xc4
	s_cmp_lt_u32 s24, 2
	s_waitcnt lgkmcnt(0)
	v_mul_hi_u32 v2, s5, v1
	s_delay_alu instid0(VALU_DEP_1) | instskip(NEXT) | instid1(VALU_DEP_1)
	v_add_nc_u32_e32 v2, v1, v2
	v_lshrrev_b32_e32 v4, s6, v2
	s_delay_alu instid0(VALU_DEP_1) | instskip(NEXT) | instid1(VALU_DEP_1)
	v_mul_lo_u32 v2, v4, s4
	v_sub_nc_u32_e32 v1, v1, v2
	s_delay_alu instid0(VALU_DEP_1)
	v_mul_lo_u32 v2, v1, s2
	s_waitcnt vmcnt(0)
	v_mul_lo_u32 v6, v1, s3
	s_cbranch_scc1 .LBB105_1103
; %bb.1102:
	s_clause 0x1
	s_load_b128 s[4:7], s[16:17], 0x10
	s_load_b64 s[2:3], s[16:17], 0xcc
	s_waitcnt lgkmcnt(0)
	v_mul_hi_u32 v1, s5, v4
	s_delay_alu instid0(VALU_DEP_1) | instskip(NEXT) | instid1(VALU_DEP_1)
	v_add_nc_u32_e32 v1, v4, v1
	v_lshrrev_b32_e32 v1, s6, v1
	s_delay_alu instid0(VALU_DEP_1) | instskip(NEXT) | instid1(VALU_DEP_1)
	v_mul_lo_u32 v1, v1, s4
	v_sub_nc_u32_e32 v4, v4, v1
	s_delay_alu instid0(VALU_DEP_1) | instskip(SKIP_1) | instid1(VALU_DEP_2)
	v_mad_u64_u32 v[9:10], null, v4, s2, v[2:3]
	v_mad_u64_u32 v[1:2], null, v4, s3, v[6:7]
	v_mov_b32_e32 v2, v9
	s_delay_alu instid0(VALU_DEP_2)
	v_mov_b32_e32 v6, v1
.LBB105_1103:
	v_cmp_ne_u32_e32 vcc_lo, 1, v0
	v_add_nc_u32_e32 v4, 0x100, v5
	s_cbranch_vccnz .LBB105_1109
; %bb.1104:
	v_mov_b32_e32 v1, 0
	v_mov_b32_e32 v5, 0
	s_cmp_lg_u32 s24, 0
	s_mov_b32 s6, 0
	s_cbranch_scc0 .LBB105_1113
; %bb.1105:
	s_min_u32 s7, s25, 15
	v_mov_b32_e32 v1, 0
	s_add_i32 s7, s7, 1
	s_cmp_eq_u32 s25, 2
	s_mov_b32 s10, 0
	s_cbranch_scc1 .LBB105_1110
; %bb.1106:
	v_mov_b32_e32 v5, 0
	v_mov_b32_e32 v1, 0
	;; [unrolled: 1-line block ×3, first 2 shown]
	s_add_u32 s2, s16, 0xc4
	s_addc_u32 s3, s17, 0
	s_and_b32 s10, s7, 28
	s_mov_b32 s11, 0
	s_mov_b64 s[4:5], s[16:17]
.LBB105_1107:                           ; =>This Inner Loop Header: Depth=1
	s_clause 0x1
	s_load_b256 s[36:43], s[4:5], 0x4
	s_load_b128 s[12:15], s[4:5], 0x24
	s_load_b256 s[44:51], s[2:3], 0x0
	s_add_u32 s4, s4, 48
	s_addc_u32 s5, s5, 0
	s_add_i32 s11, s11, 4
	s_add_u32 s2, s2, 32
	s_addc_u32 s3, s3, 0
	s_cmp_lg_u32 s10, s11
	s_waitcnt lgkmcnt(0)
	v_mul_hi_u32 v10, s37, v9
	s_delay_alu instid0(VALU_DEP_1) | instskip(NEXT) | instid1(VALU_DEP_1)
	v_add_nc_u32_e32 v10, v9, v10
	v_lshrrev_b32_e32 v10, s38, v10
	s_delay_alu instid0(VALU_DEP_1) | instskip(SKIP_1) | instid1(VALU_DEP_2)
	v_mul_hi_u32 v11, s40, v10
	v_mul_lo_u32 v13, v10, s36
	v_add_nc_u32_e32 v11, v10, v11
	s_delay_alu instid0(VALU_DEP_2) | instskip(NEXT) | instid1(VALU_DEP_2)
	v_sub_nc_u32_e32 v9, v9, v13
	v_lshrrev_b32_e32 v11, s41, v11
	s_delay_alu instid0(VALU_DEP_2) | instskip(SKIP_1) | instid1(VALU_DEP_3)
	v_mul_lo_u32 v13, v9, s44
	v_mul_lo_u32 v15, v9, s45
	v_mul_hi_u32 v12, s43, v11
	s_delay_alu instid0(VALU_DEP_1) | instskip(NEXT) | instid1(VALU_DEP_1)
	v_add_nc_u32_e32 v12, v11, v12
	v_lshrrev_b32_e32 v12, s12, v12
	s_delay_alu instid0(VALU_DEP_1) | instskip(SKIP_1) | instid1(VALU_DEP_2)
	v_mul_hi_u32 v14, s14, v12
	v_mul_lo_u32 v16, v12, s42
	v_add_nc_u32_e32 v9, v12, v14
	v_mul_lo_u32 v14, v11, s39
	s_delay_alu instid0(VALU_DEP_3) | instskip(NEXT) | instid1(VALU_DEP_3)
	v_sub_nc_u32_e32 v11, v11, v16
	v_lshrrev_b32_e32 v9, s15, v9
	s_delay_alu instid0(VALU_DEP_2) | instskip(SKIP_2) | instid1(VALU_DEP_4)
	v_mul_lo_u32 v16, v11, s48
	v_mul_lo_u32 v11, v11, s49
	v_sub_nc_u32_e32 v10, v10, v14
	v_mul_lo_u32 v17, v9, s13
	s_delay_alu instid0(VALU_DEP_2) | instskip(SKIP_1) | instid1(VALU_DEP_3)
	v_mul_lo_u32 v14, v10, s46
	v_mul_lo_u32 v10, v10, s47
	v_sub_nc_u32_e32 v12, v12, v17
	s_delay_alu instid0(VALU_DEP_3) | instskip(NEXT) | instid1(VALU_DEP_2)
	v_add3_u32 v1, v13, v1, v14
	v_mul_lo_u32 v17, v12, s50
	v_mul_lo_u32 v12, v12, s51
	v_add3_u32 v5, v15, v5, v10
	s_delay_alu instid0(VALU_DEP_3) | instskip(NEXT) | instid1(VALU_DEP_2)
	v_add3_u32 v1, v16, v1, v17
	v_add3_u32 v5, v11, v5, v12
	s_cbranch_scc1 .LBB105_1107
; %bb.1108:
	s_and_b32 s7, s7, 3
	s_delay_alu instid0(SALU_CYCLE_1)
	s_cmp_eq_u32 s7, 0
	s_cbranch_scc0 .LBB105_1111
	s_branch .LBB105_1113
.LBB105_1109:
	s_mov_b32 s6, -1
                                        ; implicit-def: $vgpr1
                                        ; implicit-def: $vgpr5
	s_branch .LBB105_1113
.LBB105_1110:
	v_mov_b32_e32 v9, v4
	v_mov_b32_e32 v5, 0
	s_and_b32 s7, s7, 3
	s_delay_alu instid0(SALU_CYCLE_1)
	s_cmp_eq_u32 s7, 0
	s_cbranch_scc1 .LBB105_1113
.LBB105_1111:
	s_lshl_b32 s2, s10, 3
	s_mul_i32 s4, s10, 12
	s_add_u32 s2, s2, s16
	s_addc_u32 s3, 0, s17
	s_add_u32 s2, s2, 0xc4
	s_addc_u32 s3, s3, 0
	;; [unrolled: 2-line block ×3, first 2 shown]
	.p2align	6
.LBB105_1112:                           ; =>This Inner Loop Header: Depth=1
	s_clause 0x1
	s_load_b64 s[10:11], s[4:5], 0x4
	s_load_b32 s14, s[4:5], 0xc
	s_load_b64 s[12:13], s[2:3], 0x0
	s_add_u32 s4, s4, 12
	s_addc_u32 s5, s5, 0
	s_add_u32 s2, s2, 8
	s_addc_u32 s3, s3, 0
	s_add_i32 s7, s7, -1
	s_delay_alu instid0(SALU_CYCLE_1) | instskip(SKIP_2) | instid1(VALU_DEP_1)
	s_cmp_lg_u32 s7, 0
	s_waitcnt lgkmcnt(0)
	v_mul_hi_u32 v10, s11, v9
	v_add_nc_u32_e32 v10, v9, v10
	s_delay_alu instid0(VALU_DEP_1) | instskip(NEXT) | instid1(VALU_DEP_1)
	v_lshrrev_b32_e32 v13, s14, v10
	v_mul_lo_u32 v10, v13, s10
	s_delay_alu instid0(VALU_DEP_1) | instskip(NEXT) | instid1(VALU_DEP_1)
	v_sub_nc_u32_e32 v9, v9, v10
	v_mad_u64_u32 v[10:11], null, v9, s12, v[1:2]
	s_waitcnt vmcnt(0)
	v_mad_u64_u32 v[11:12], null, v9, s13, v[5:6]
	v_mov_b32_e32 v9, v13
	s_delay_alu instid0(VALU_DEP_3) | instskip(NEXT) | instid1(VALU_DEP_3)
	v_mov_b32_e32 v1, v10
	v_mov_b32_e32 v5, v11
	s_cbranch_scc1 .LBB105_1112
.LBB105_1113:
	s_and_not1_b32 vcc_lo, exec_lo, s6
	s_cbranch_vccnz .LBB105_1116
; %bb.1114:
	s_clause 0x1
	s_load_b128 s[4:7], s[16:17], 0x4
	s_load_b64 s[2:3], s[16:17], 0xc4
	s_cmp_lt_u32 s24, 2
	s_waitcnt lgkmcnt(0)
	v_mul_hi_u32 v1, s5, v4
	s_delay_alu instid0(VALU_DEP_1) | instskip(NEXT) | instid1(VALU_DEP_1)
	v_add_nc_u32_e32 v1, v4, v1
	v_lshrrev_b32_e32 v9, s6, v1
	s_delay_alu instid0(VALU_DEP_1) | instskip(NEXT) | instid1(VALU_DEP_1)
	v_mul_lo_u32 v1, v9, s4
	v_sub_nc_u32_e32 v4, v4, v1
	s_delay_alu instid0(VALU_DEP_1)
	v_mul_lo_u32 v1, v4, s2
	v_mul_lo_u32 v5, v4, s3
	s_cbranch_scc1 .LBB105_1116
; %bb.1115:
	s_clause 0x1
	s_load_b128 s[4:7], s[16:17], 0x10
	s_load_b64 s[2:3], s[16:17], 0xcc
	s_waitcnt lgkmcnt(0)
	v_mul_hi_u32 v4, s5, v9
	s_delay_alu instid0(VALU_DEP_1) | instskip(NEXT) | instid1(VALU_DEP_1)
	v_add_nc_u32_e32 v4, v9, v4
	v_lshrrev_b32_e32 v4, s6, v4
	s_delay_alu instid0(VALU_DEP_1) | instskip(NEXT) | instid1(VALU_DEP_1)
	v_mul_lo_u32 v4, v4, s4
	v_sub_nc_u32_e32 v4, v9, v4
	s_delay_alu instid0(VALU_DEP_1) | instskip(SKIP_2) | instid1(VALU_DEP_2)
	v_mad_u64_u32 v[9:10], null, v4, s2, v[1:2]
	s_waitcnt vmcnt(0)
	v_mad_u64_u32 v[10:11], null, v4, s3, v[5:6]
	v_mov_b32_e32 v1, v9
	s_delay_alu instid0(VALU_DEP_2)
	v_mov_b32_e32 v5, v10
.LBB105_1116:
	v_cmp_ne_u32_e32 vcc_lo, 1, v0
	s_cbranch_vccnz .LBB105_1122
; %bb.1117:
	v_mov_b32_e32 v0, 0
	v_mov_b32_e32 v4, 0
	s_cmp_lg_u32 s24, 0
	s_mov_b32 s6, 0
	s_cbranch_scc0 .LBB105_1126
; %bb.1118:
	s_min_u32 s7, s25, 15
	v_mov_b32_e32 v0, 0
	s_add_i32 s7, s7, 1
	s_cmp_eq_u32 s25, 2
	s_mov_b32 s10, 0
	s_cbranch_scc1 .LBB105_1123
; %bb.1119:
	v_dual_mov_b32 v4, 0 :: v_dual_mov_b32 v9, v8
	v_mov_b32_e32 v0, 0
	s_add_u32 s2, s16, 0xc4
	s_addc_u32 s3, s17, 0
	s_and_b32 s10, s7, 28
	s_mov_b32 s11, 0
	s_mov_b64 s[4:5], s[16:17]
.LBB105_1120:                           ; =>This Inner Loop Header: Depth=1
	s_clause 0x1
	s_load_b256 s[36:43], s[4:5], 0x4
	s_load_b128 s[12:15], s[4:5], 0x24
	s_load_b256 s[44:51], s[2:3], 0x0
	s_add_u32 s4, s4, 48
	s_addc_u32 s5, s5, 0
	s_add_i32 s11, s11, 4
	s_add_u32 s2, s2, 32
	s_addc_u32 s3, s3, 0
	s_cmp_lg_u32 s10, s11
	s_waitcnt lgkmcnt(0)
	v_mul_hi_u32 v10, s37, v9
	s_delay_alu instid0(VALU_DEP_1) | instskip(NEXT) | instid1(VALU_DEP_1)
	v_add_nc_u32_e32 v10, v9, v10
	v_lshrrev_b32_e32 v10, s38, v10
	s_delay_alu instid0(VALU_DEP_1) | instskip(SKIP_1) | instid1(VALU_DEP_2)
	v_mul_hi_u32 v11, s40, v10
	v_mul_lo_u32 v13, v10, s36
	v_add_nc_u32_e32 v11, v10, v11
	s_delay_alu instid0(VALU_DEP_2) | instskip(NEXT) | instid1(VALU_DEP_2)
	v_sub_nc_u32_e32 v9, v9, v13
	v_lshrrev_b32_e32 v11, s41, v11
	s_delay_alu instid0(VALU_DEP_2) | instskip(SKIP_1) | instid1(VALU_DEP_3)
	v_mul_lo_u32 v13, v9, s44
	v_mul_lo_u32 v15, v9, s45
	v_mul_hi_u32 v12, s43, v11
	s_delay_alu instid0(VALU_DEP_1) | instskip(NEXT) | instid1(VALU_DEP_1)
	v_add_nc_u32_e32 v12, v11, v12
	v_lshrrev_b32_e32 v12, s12, v12
	s_delay_alu instid0(VALU_DEP_1) | instskip(SKIP_1) | instid1(VALU_DEP_2)
	v_mul_hi_u32 v14, s14, v12
	v_mul_lo_u32 v16, v12, s42
	v_add_nc_u32_e32 v9, v12, v14
	v_mul_lo_u32 v14, v11, s39
	s_delay_alu instid0(VALU_DEP_3) | instskip(NEXT) | instid1(VALU_DEP_3)
	v_sub_nc_u32_e32 v11, v11, v16
	v_lshrrev_b32_e32 v9, s15, v9
	s_delay_alu instid0(VALU_DEP_2) | instskip(SKIP_2) | instid1(VALU_DEP_4)
	v_mul_lo_u32 v16, v11, s48
	v_mul_lo_u32 v11, v11, s49
	v_sub_nc_u32_e32 v10, v10, v14
	v_mul_lo_u32 v17, v9, s13
	s_delay_alu instid0(VALU_DEP_2) | instskip(SKIP_1) | instid1(VALU_DEP_3)
	v_mul_lo_u32 v14, v10, s46
	v_mul_lo_u32 v10, v10, s47
	v_sub_nc_u32_e32 v12, v12, v17
	s_delay_alu instid0(VALU_DEP_3) | instskip(NEXT) | instid1(VALU_DEP_2)
	v_add3_u32 v0, v13, v0, v14
	v_mul_lo_u32 v17, v12, s50
	v_mul_lo_u32 v12, v12, s51
	v_add3_u32 v4, v15, v4, v10
	s_delay_alu instid0(VALU_DEP_3) | instskip(NEXT) | instid1(VALU_DEP_2)
	v_add3_u32 v0, v16, v0, v17
	v_add3_u32 v4, v11, v4, v12
	s_cbranch_scc1 .LBB105_1120
; %bb.1121:
	s_and_b32 s7, s7, 3
	s_delay_alu instid0(SALU_CYCLE_1)
	s_cmp_eq_u32 s7, 0
	s_cbranch_scc0 .LBB105_1124
	s_branch .LBB105_1126
.LBB105_1122:
	s_mov_b32 s6, -1
                                        ; implicit-def: $vgpr0
                                        ; implicit-def: $vgpr4
	s_branch .LBB105_1126
.LBB105_1123:
	v_dual_mov_b32 v9, v8 :: v_dual_mov_b32 v4, 0
	s_and_b32 s7, s7, 3
	s_delay_alu instid0(SALU_CYCLE_1)
	s_cmp_eq_u32 s7, 0
	s_cbranch_scc1 .LBB105_1126
.LBB105_1124:
	s_lshl_b32 s2, s10, 3
	s_mul_i32 s4, s10, 12
	s_add_u32 s2, s2, s16
	s_addc_u32 s3, 0, s17
	s_add_u32 s2, s2, 0xc4
	s_addc_u32 s3, s3, 0
	;; [unrolled: 2-line block ×3, first 2 shown]
	.p2align	6
.LBB105_1125:                           ; =>This Inner Loop Header: Depth=1
	s_clause 0x1
	s_load_b64 s[10:11], s[4:5], 0x4
	s_load_b32 s14, s[4:5], 0xc
	s_load_b64 s[12:13], s[2:3], 0x0
	s_add_u32 s4, s4, 12
	s_addc_u32 s5, s5, 0
	s_add_u32 s2, s2, 8
	s_addc_u32 s3, s3, 0
	s_add_i32 s7, s7, -1
	s_delay_alu instid0(SALU_CYCLE_1) | instskip(SKIP_2) | instid1(VALU_DEP_1)
	s_cmp_lg_u32 s7, 0
	s_waitcnt lgkmcnt(0)
	v_mul_hi_u32 v10, s11, v9
	v_add_nc_u32_e32 v10, v9, v10
	s_delay_alu instid0(VALU_DEP_1) | instskip(NEXT) | instid1(VALU_DEP_1)
	v_lshrrev_b32_e32 v13, s14, v10
	v_mul_lo_u32 v10, v13, s10
	s_delay_alu instid0(VALU_DEP_1) | instskip(NEXT) | instid1(VALU_DEP_1)
	v_sub_nc_u32_e32 v9, v9, v10
	v_mad_u64_u32 v[10:11], null, v9, s12, v[0:1]
	v_mad_u64_u32 v[11:12], null, v9, s13, v[4:5]
	s_delay_alu instid0(VALU_DEP_2) | instskip(NEXT) | instid1(VALU_DEP_2)
	v_dual_mov_b32 v9, v13 :: v_dual_mov_b32 v0, v10
	v_mov_b32_e32 v4, v11
	s_cbranch_scc1 .LBB105_1125
.LBB105_1126:
	s_and_not1_b32 vcc_lo, exec_lo, s6
	s_cbranch_vccnz .LBB105_1129
; %bb.1127:
	s_clause 0x1
	s_load_b128 s[4:7], s[16:17], 0x4
	s_load_b64 s[2:3], s[16:17], 0xc4
	s_cmp_lt_u32 s24, 2
	s_waitcnt lgkmcnt(0)
	v_mul_hi_u32 v0, s5, v8
	s_delay_alu instid0(VALU_DEP_1) | instskip(NEXT) | instid1(VALU_DEP_1)
	v_add_nc_u32_e32 v0, v8, v0
	v_lshrrev_b32_e32 v9, s6, v0
	s_delay_alu instid0(VALU_DEP_1) | instskip(NEXT) | instid1(VALU_DEP_1)
	v_mul_lo_u32 v0, v9, s4
	v_sub_nc_u32_e32 v4, v8, v0
	s_delay_alu instid0(VALU_DEP_1)
	v_mul_lo_u32 v0, v4, s2
	v_mul_lo_u32 v4, v4, s3
	s_cbranch_scc1 .LBB105_1129
; %bb.1128:
	s_clause 0x1
	s_load_b128 s[4:7], s[16:17], 0x10
	s_load_b64 s[2:3], s[16:17], 0xcc
	s_waitcnt lgkmcnt(0)
	v_mul_hi_u32 v8, s5, v9
	s_delay_alu instid0(VALU_DEP_1) | instskip(NEXT) | instid1(VALU_DEP_1)
	v_add_nc_u32_e32 v8, v9, v8
	v_lshrrev_b32_e32 v8, s6, v8
	s_delay_alu instid0(VALU_DEP_1) | instskip(NEXT) | instid1(VALU_DEP_1)
	v_mul_lo_u32 v8, v8, s4
	v_sub_nc_u32_e32 v11, v9, v8
	s_delay_alu instid0(VALU_DEP_1) | instskip(SKIP_1) | instid1(VALU_DEP_2)
	v_mad_u64_u32 v[8:9], null, v11, s2, v[0:1]
	v_mad_u64_u32 v[9:10], null, v11, s3, v[4:5]
	v_mov_b32_e32 v0, v8
	s_delay_alu instid0(VALU_DEP_2)
	v_mov_b32_e32 v4, v9
.LBB105_1129:
	s_clause 0x1
	s_load_b32 s0, s[0:1], 0x160
	s_load_b128 s[4:7], s[16:17], 0x148
	s_mov_b32 s3, 0
	s_waitcnt lgkmcnt(0)
	s_lshr_b32 s1, s0, 16
	s_delay_alu instid0(SALU_CYCLE_1) | instskip(SKIP_1) | instid1(VALU_DEP_1)
	v_and_b32_e64 v9, 0xff, s1
	v_add_co_u32 v7, s1, s6, v7
	v_add_co_ci_u32_e64 v8, null, s7, 0, s1
	s_delay_alu instid0(VALU_DEP_3)
	v_cmp_gt_i16_e32 vcc_lo, 11, v9
	s_cbranch_vccnz .LBB105_1136
; %bb.1130:
	v_cmp_lt_i16_e32 vcc_lo, 25, v9
	s_mov_b32 s2, 0
	s_cbranch_vccz .LBB105_1142
; %bb.1131:
	v_cmp_lt_i16_e32 vcc_lo, 28, v9
	s_cbranch_vccz .LBB105_1144
; %bb.1132:
	v_cmp_lt_i16_e32 vcc_lo, 43, v9
	;; [unrolled: 3-line block ×3, first 2 shown]
	s_cbranch_vccz .LBB105_1150
; %bb.1134:
	v_cmp_eq_u16_e32 vcc_lo, 46, v9
	s_mov_b32 s10, 0
	s_cbranch_vccz .LBB105_1192
; %bb.1135:
	global_load_b32 v10, v[7:8], off
	s_mov_b32 s1, 0
	s_mov_b32 s3, -1
	s_branch .LBB105_1194
.LBB105_1136:
	s_mov_b32 s1, s8
                                        ; implicit-def: $vgpr10
	s_cbranch_execz .LBB105_1257
; %bb.1137:
	v_cmp_gt_i16_e32 vcc_lo, 5, v9
	s_cbranch_vccnz .LBB105_1143
; %bb.1138:
	v_cmp_gt_i16_e32 vcc_lo, 8, v9
	s_cbranch_vccnz .LBB105_1145
	;; [unrolled: 3-line block ×3, first 2 shown]
; %bb.1140:
	v_cmp_lt_i16_e32 vcc_lo, 9, v9
	s_cbranch_vccz .LBB105_1151
; %bb.1141:
	global_load_b64 v[10:11], v[7:8], off
	s_mov_b32 s2, 0
	s_waitcnt vmcnt(0)
	v_cvt_f32_f64_e32 v10, v[10:11]
	s_delay_alu instid0(VALU_DEP_1) | instskip(SKIP_1) | instid1(VALU_DEP_2)
	v_bfe_u32 v11, v10, 16, 1
	v_cmp_o_f32_e32 vcc_lo, v10, v10
	v_add3_u32 v11, v10, v11, 0x7fff
	s_delay_alu instid0(VALU_DEP_1) | instskip(NEXT) | instid1(VALU_DEP_1)
	v_lshrrev_b32_e32 v11, 16, v11
	v_cndmask_b32_e32 v10, 0x7fc0, v11, vcc_lo
	s_branch .LBB105_1152
.LBB105_1142:
	s_mov_b32 s1, 0
                                        ; implicit-def: $vgpr10
	s_cbranch_execnz .LBB105_1222
	s_branch .LBB105_1253
.LBB105_1143:
                                        ; implicit-def: $vgpr10
	s_branch .LBB105_1169
.LBB105_1144:
	s_mov_b32 s10, -1
	s_mov_b32 s1, 0
                                        ; implicit-def: $vgpr10
	s_branch .LBB105_1203
.LBB105_1145:
                                        ; implicit-def: $vgpr10
	s_branch .LBB105_1158
.LBB105_1146:
	s_mov_b32 s1, 0
                                        ; implicit-def: $vgpr10
	s_cbranch_execnz .LBB105_1199
	s_branch .LBB105_1202
.LBB105_1147:
	s_mov_b32 s2, -1
                                        ; implicit-def: $vgpr10
	s_branch .LBB105_1155
.LBB105_1148:
	s_cbranch_execnz .LBB105_1190
; %bb.1149:
	s_or_b32 s3, s3, exec_lo
	s_and_not1_b32 s8, s8, exec_lo
	s_or_b32 exec_lo, exec_lo, s2
	s_and_saveexec_b32 s2, s8
	s_delay_alu instid0(SALU_CYCLE_1)
	s_xor_b32 s2, exec_lo, s2
	s_cbranch_execnz .LBB105_1036
	s_branch .LBB105_1037
.LBB105_1150:
	s_mov_b32 s10, -1
	s_mov_b32 s1, 0
	s_branch .LBB105_1193
.LBB105_1151:
	s_mov_b32 s2, -1
                                        ; implicit-def: $vgpr10
.LBB105_1152:
	s_delay_alu instid0(SALU_CYCLE_1)
	s_and_not1_b32 vcc_lo, exec_lo, s2
	s_cbranch_vccnz .LBB105_1154
; %bb.1153:
	global_load_b32 v10, v[7:8], off
	s_waitcnt vmcnt(0)
	v_bfe_u32 v11, v10, 16, 1
	v_cmp_o_f32_e32 vcc_lo, v10, v10
	s_delay_alu instid0(VALU_DEP_2) | instskip(NEXT) | instid1(VALU_DEP_1)
	v_add3_u32 v11, v10, v11, 0x7fff
	v_lshrrev_b32_e32 v11, 16, v11
	s_delay_alu instid0(VALU_DEP_1)
	v_cndmask_b32_e32 v10, 0x7fc0, v11, vcc_lo
.LBB105_1154:
	s_mov_b32 s2, 0
.LBB105_1155:
	s_delay_alu instid0(SALU_CYCLE_1)
	s_and_not1_b32 vcc_lo, exec_lo, s2
	s_cbranch_vccnz .LBB105_1157
; %bb.1156:
	global_load_b32 v10, v[7:8], off
	s_waitcnt vmcnt(0)
	v_cvt_f32_f16_e32 v11, v10
	v_cmp_o_f16_e32 vcc_lo, v10, v10
	s_delay_alu instid0(VALU_DEP_2) | instskip(NEXT) | instid1(VALU_DEP_1)
	v_bfe_u32 v12, v11, 16, 1
	v_add3_u32 v11, v11, v12, 0x7fff
	s_delay_alu instid0(VALU_DEP_1) | instskip(NEXT) | instid1(VALU_DEP_1)
	v_lshrrev_b32_e32 v11, 16, v11
	v_cndmask_b32_e32 v10, 0x7fc0, v11, vcc_lo
.LBB105_1157:
	s_cbranch_execnz .LBB105_1168
.LBB105_1158:
	v_cmp_gt_i16_e32 vcc_lo, 6, v9
	s_cbranch_vccnz .LBB105_1161
; %bb.1159:
	v_cmp_lt_i16_e32 vcc_lo, 6, v9
	s_cbranch_vccz .LBB105_1162
; %bb.1160:
	global_load_b64 v[10:11], v[7:8], off
	s_mov_b32 s2, 0
	s_waitcnt vmcnt(0)
	v_cvt_f32_f64_e32 v10, v[10:11]
	s_delay_alu instid0(VALU_DEP_1) | instskip(SKIP_1) | instid1(VALU_DEP_2)
	v_bfe_u32 v11, v10, 16, 1
	v_cmp_o_f32_e32 vcc_lo, v10, v10
	v_add3_u32 v11, v10, v11, 0x7fff
	s_delay_alu instid0(VALU_DEP_1) | instskip(NEXT) | instid1(VALU_DEP_1)
	v_lshrrev_b32_e32 v11, 16, v11
	v_cndmask_b32_e32 v10, 0x7fc0, v11, vcc_lo
	s_branch .LBB105_1163
.LBB105_1161:
	s_mov_b32 s2, -1
                                        ; implicit-def: $vgpr10
	s_branch .LBB105_1166
.LBB105_1162:
	s_mov_b32 s2, -1
                                        ; implicit-def: $vgpr10
.LBB105_1163:
	s_delay_alu instid0(SALU_CYCLE_1)
	s_and_not1_b32 vcc_lo, exec_lo, s2
	s_cbranch_vccnz .LBB105_1165
; %bb.1164:
	global_load_b32 v10, v[7:8], off
	s_waitcnt vmcnt(0)
	v_bfe_u32 v11, v10, 16, 1
	v_cmp_o_f32_e32 vcc_lo, v10, v10
	s_delay_alu instid0(VALU_DEP_2) | instskip(NEXT) | instid1(VALU_DEP_1)
	v_add3_u32 v11, v10, v11, 0x7fff
	v_lshrrev_b32_e32 v11, 16, v11
	s_delay_alu instid0(VALU_DEP_1)
	v_cndmask_b32_e32 v10, 0x7fc0, v11, vcc_lo
.LBB105_1165:
	s_mov_b32 s2, 0
.LBB105_1166:
	s_delay_alu instid0(SALU_CYCLE_1)
	s_and_not1_b32 vcc_lo, exec_lo, s2
	s_cbranch_vccnz .LBB105_1168
; %bb.1167:
	global_load_u16 v10, v[7:8], off
	s_waitcnt vmcnt(0)
	v_cvt_f32_f16_e32 v11, v10
	v_cmp_o_f16_e32 vcc_lo, v10, v10
	s_delay_alu instid0(VALU_DEP_2) | instskip(NEXT) | instid1(VALU_DEP_1)
	v_bfe_u32 v12, v11, 16, 1
	v_add3_u32 v11, v11, v12, 0x7fff
	s_delay_alu instid0(VALU_DEP_1) | instskip(NEXT) | instid1(VALU_DEP_1)
	v_lshrrev_b32_e32 v11, 16, v11
	v_cndmask_b32_e32 v10, 0x7fc0, v11, vcc_lo
.LBB105_1168:
	s_cbranch_execnz .LBB105_1187
.LBB105_1169:
	v_cmp_gt_i16_e32 vcc_lo, 2, v9
	s_cbranch_vccnz .LBB105_1173
; %bb.1170:
	v_cmp_gt_i16_e32 vcc_lo, 3, v9
	s_cbranch_vccnz .LBB105_1174
; %bb.1171:
	v_cmp_lt_i16_e32 vcc_lo, 3, v9
	s_cbranch_vccz .LBB105_1175
; %bb.1172:
	global_load_b64 v[10:11], v[7:8], off
	s_mov_b32 s2, 0
	s_waitcnt vmcnt(0)
	v_xor_b32_e32 v12, v10, v11
	v_cls_i32_e32 v13, v11
	s_delay_alu instid0(VALU_DEP_2) | instskip(NEXT) | instid1(VALU_DEP_2)
	v_ashrrev_i32_e32 v12, 31, v12
	v_add_nc_u32_e32 v13, -1, v13
	s_delay_alu instid0(VALU_DEP_2) | instskip(NEXT) | instid1(VALU_DEP_1)
	v_add_nc_u32_e32 v12, 32, v12
	v_min_u32_e32 v12, v13, v12
	s_delay_alu instid0(VALU_DEP_1) | instskip(NEXT) | instid1(VALU_DEP_1)
	v_lshlrev_b64 v[10:11], v12, v[10:11]
	v_min_u32_e32 v10, 1, v10
	s_delay_alu instid0(VALU_DEP_1) | instskip(SKIP_1) | instid1(VALU_DEP_2)
	v_or_b32_e32 v10, v11, v10
	v_sub_nc_u32_e32 v11, 32, v12
	v_cvt_f32_i32_e32 v10, v10
	s_delay_alu instid0(VALU_DEP_1) | instskip(NEXT) | instid1(VALU_DEP_1)
	v_ldexp_f32 v10, v10, v11
	v_bfe_u32 v11, v10, 16, 1
	s_delay_alu instid0(VALU_DEP_1) | instskip(NEXT) | instid1(VALU_DEP_1)
	v_add3_u32 v10, v10, v11, 0x7fff
	v_lshrrev_b32_e32 v10, 16, v10
	s_branch .LBB105_1176
.LBB105_1173:
                                        ; implicit-def: $vgpr10
	s_branch .LBB105_1182
.LBB105_1174:
	s_mov_b32 s2, -1
                                        ; implicit-def: $vgpr10
	s_branch .LBB105_1179
.LBB105_1175:
	s_mov_b32 s2, -1
                                        ; implicit-def: $vgpr10
.LBB105_1176:
	s_delay_alu instid0(SALU_CYCLE_1)
	s_and_not1_b32 vcc_lo, exec_lo, s2
	s_cbranch_vccnz .LBB105_1178
; %bb.1177:
	global_load_b32 v10, v[7:8], off
	s_waitcnt vmcnt(0)
	v_cvt_f32_i32_e32 v10, v10
	s_delay_alu instid0(VALU_DEP_1) | instskip(NEXT) | instid1(VALU_DEP_1)
	v_bfe_u32 v11, v10, 16, 1
	v_add3_u32 v10, v10, v11, 0x7fff
	s_delay_alu instid0(VALU_DEP_1)
	v_lshrrev_b32_e32 v10, 16, v10
.LBB105_1178:
	s_mov_b32 s2, 0
.LBB105_1179:
	s_delay_alu instid0(SALU_CYCLE_1)
	s_and_not1_b32 vcc_lo, exec_lo, s2
	s_cbranch_vccnz .LBB105_1181
; %bb.1180:
	global_load_i16 v10, v[7:8], off
	s_waitcnt vmcnt(0)
	v_cvt_f32_i32_e32 v10, v10
	s_delay_alu instid0(VALU_DEP_1) | instskip(NEXT) | instid1(VALU_DEP_1)
	v_bfe_u32 v11, v10, 16, 1
	v_add3_u32 v10, v10, v11, 0x7fff
	s_delay_alu instid0(VALU_DEP_1)
	v_lshrrev_b32_e32 v10, 16, v10
.LBB105_1181:
	s_cbranch_execnz .LBB105_1187
.LBB105_1182:
	v_cmp_lt_i16_e32 vcc_lo, 0, v9
	s_mov_b32 s2, 0
	s_cbranch_vccz .LBB105_1184
; %bb.1183:
	global_load_i8 v10, v[7:8], off
	s_waitcnt vmcnt(0)
	v_cvt_f32_i32_e32 v10, v10
	s_delay_alu instid0(VALU_DEP_1) | instskip(NEXT) | instid1(VALU_DEP_1)
	v_bfe_u32 v11, v10, 16, 1
	v_add3_u32 v10, v10, v11, 0x7fff
	s_delay_alu instid0(VALU_DEP_1)
	v_lshrrev_b32_e32 v10, 16, v10
	s_branch .LBB105_1185
.LBB105_1184:
	s_mov_b32 s2, -1
                                        ; implicit-def: $vgpr10
.LBB105_1185:
	s_delay_alu instid0(SALU_CYCLE_1)
	s_and_not1_b32 vcc_lo, exec_lo, s2
	s_cbranch_vccnz .LBB105_1187
; %bb.1186:
	global_load_u8 v7, v[7:8], off
	s_waitcnt vmcnt(0)
	v_cvt_f32_ubyte0_e32 v7, v7
	s_delay_alu instid0(VALU_DEP_1) | instskip(NEXT) | instid1(VALU_DEP_1)
	v_bfe_u32 v8, v7, 16, 1
	v_add3_u32 v7, v7, v8, 0x7fff
	s_delay_alu instid0(VALU_DEP_1)
	v_lshrrev_b32_e32 v10, 16, v7
.LBB105_1187:
	s_branch .LBB105_1258
.LBB105_1188:
	s_trap 2
	s_sendmsg_rtn_b32 s0, sendmsg(MSG_RTN_GET_DOORBELL)
	s_mov_b32 ttmp2, m0
	s_waitcnt lgkmcnt(0)
	s_and_b32 s0, s0, 0x3ff
	s_delay_alu instid0(SALU_CYCLE_1) | instskip(NEXT) | instid1(SALU_CYCLE_1)
	s_bitset1_b32 s0, 10
	s_mov_b32 m0, s0
	s_sendmsg sendmsg(MSG_INTERRUPT)
	s_mov_b32 m0, ttmp2
.LBB105_1189:                           ; =>This Inner Loop Header: Depth=1
	s_sethalt 5
	s_branch .LBB105_1189
.LBB105_1190:
	s_trap 2
	s_sendmsg_rtn_b32 s0, sendmsg(MSG_RTN_GET_DOORBELL)
	s_mov_b32 ttmp2, m0
	s_waitcnt lgkmcnt(0)
	s_and_b32 s0, s0, 0x3ff
	s_delay_alu instid0(SALU_CYCLE_1) | instskip(NEXT) | instid1(SALU_CYCLE_1)
	s_bitset1_b32 s0, 10
	s_mov_b32 m0, s0
	s_sendmsg sendmsg(MSG_INTERRUPT)
	s_mov_b32 m0, ttmp2
.LBB105_1191:                           ; =>This Inner Loop Header: Depth=1
	s_sethalt 5
	s_branch .LBB105_1191
.LBB105_1192:
	s_mov_b32 s1, -1
.LBB105_1193:
                                        ; implicit-def: $vgpr10
.LBB105_1194:
	s_and_b32 vcc_lo, exec_lo, s10
	s_cbranch_vccz .LBB105_1197
; %bb.1195:
	v_cmp_eq_u16_e32 vcc_lo, 44, v9
	s_cbranch_vccz .LBB105_1198
; %bb.1196:
	global_load_u8 v10, v[7:8], off
	s_mov_b32 s1, 0
	s_mov_b32 s3, -1
	s_waitcnt vmcnt(0)
	v_lshlrev_b32_e32 v11, 23, v10
	v_cmp_ne_u32_e32 vcc_lo, 0xff, v10
	s_delay_alu instid0(VALU_DEP_2) | instskip(SKIP_1) | instid1(VALU_DEP_2)
	v_cndmask_b32_e32 v11, 0x7f800001, v11, vcc_lo
	v_cmp_ne_u32_e32 vcc_lo, 0, v10
	v_cndmask_b32_e32 v10, 0x400000, v11, vcc_lo
	s_delay_alu instid0(VALU_DEP_1) | instskip(SKIP_1) | instid1(VALU_DEP_2)
	v_add_nc_u32_e32 v11, 0x7fff, v10
	v_cmp_o_f32_e32 vcc_lo, v10, v10
	v_lshrrev_b32_e32 v11, 16, v11
	s_delay_alu instid0(VALU_DEP_1)
	v_cndmask_b32_e32 v10, 0x7fc0, v11, vcc_lo
.LBB105_1197:
	s_branch .LBB105_1202
.LBB105_1198:
	s_mov_b32 s1, -1
                                        ; implicit-def: $vgpr10
	s_branch .LBB105_1202
.LBB105_1199:
	v_cmp_eq_u16_e32 vcc_lo, 29, v9
	s_cbranch_vccz .LBB105_1201
; %bb.1200:
	global_load_b64 v[10:11], v[7:8], off
	s_mov_b32 s1, 0
	s_mov_b32 s3, -1
	s_mov_b32 s10, 0
	s_waitcnt vmcnt(0)
	v_clz_i32_u32_e32 v12, v11
	s_delay_alu instid0(VALU_DEP_1) | instskip(NEXT) | instid1(VALU_DEP_1)
	v_min_u32_e32 v12, 32, v12
	v_lshlrev_b64 v[10:11], v12, v[10:11]
	s_delay_alu instid0(VALU_DEP_1) | instskip(NEXT) | instid1(VALU_DEP_1)
	v_min_u32_e32 v10, 1, v10
	v_or_b32_e32 v10, v11, v10
	v_sub_nc_u32_e32 v11, 32, v12
	s_delay_alu instid0(VALU_DEP_2) | instskip(NEXT) | instid1(VALU_DEP_1)
	v_cvt_f32_u32_e32 v10, v10
	v_ldexp_f32 v10, v10, v11
	s_delay_alu instid0(VALU_DEP_1) | instskip(NEXT) | instid1(VALU_DEP_1)
	v_bfe_u32 v11, v10, 16, 1
	v_add3_u32 v10, v10, v11, 0x7fff
	s_delay_alu instid0(VALU_DEP_1)
	v_lshrrev_b32_e32 v10, 16, v10
	s_branch .LBB105_1203
.LBB105_1201:
	s_mov_b32 s1, -1
                                        ; implicit-def: $vgpr10
.LBB105_1202:
	s_mov_b32 s10, 0
.LBB105_1203:
	s_delay_alu instid0(SALU_CYCLE_1)
	s_and_b32 vcc_lo, exec_lo, s10
	s_cbranch_vccz .LBB105_1221
; %bb.1204:
	v_cmp_gt_i16_e32 vcc_lo, 27, v9
	s_cbranch_vccnz .LBB105_1207
; %bb.1205:
	v_cmp_lt_i16_e32 vcc_lo, 27, v9
	s_cbranch_vccz .LBB105_1208
; %bb.1206:
	global_load_b32 v10, v[7:8], off
	s_mov_b32 s3, 0
	s_waitcnt vmcnt(0)
	v_cvt_f32_u32_e32 v10, v10
	s_delay_alu instid0(VALU_DEP_1) | instskip(NEXT) | instid1(VALU_DEP_1)
	v_bfe_u32 v11, v10, 16, 1
	v_add3_u32 v10, v10, v11, 0x7fff
	s_delay_alu instid0(VALU_DEP_1)
	v_lshrrev_b32_e32 v10, 16, v10
	s_branch .LBB105_1209
.LBB105_1207:
	s_mov_b32 s3, -1
                                        ; implicit-def: $vgpr10
	s_branch .LBB105_1212
.LBB105_1208:
	s_mov_b32 s3, -1
                                        ; implicit-def: $vgpr10
.LBB105_1209:
	s_delay_alu instid0(SALU_CYCLE_1)
	s_and_not1_b32 vcc_lo, exec_lo, s3
	s_cbranch_vccnz .LBB105_1211
; %bb.1210:
	global_load_u16 v10, v[7:8], off
	s_waitcnt vmcnt(0)
	v_cvt_f32_u32_e32 v10, v10
	s_delay_alu instid0(VALU_DEP_1) | instskip(NEXT) | instid1(VALU_DEP_1)
	v_bfe_u32 v11, v10, 16, 1
	v_add3_u32 v10, v10, v11, 0x7fff
	s_delay_alu instid0(VALU_DEP_1)
	v_lshrrev_b32_e32 v10, 16, v10
.LBB105_1211:
	s_mov_b32 s3, 0
.LBB105_1212:
	s_delay_alu instid0(SALU_CYCLE_1)
	s_and_not1_b32 vcc_lo, exec_lo, s3
	s_cbranch_vccnz .LBB105_1220
; %bb.1213:
	global_load_u8 v10, v[7:8], off
	s_mov_b32 s3, 0
	s_mov_b32 s11, exec_lo
                                        ; implicit-def: $sgpr10
	s_waitcnt vmcnt(0)
	v_cmpx_lt_i16_e32 0x7f, v10
	s_xor_b32 s11, exec_lo, s11
	s_cbranch_execz .LBB105_1233
; %bb.1214:
	s_mov_b32 s3, -1
	s_mov_b32 s12, exec_lo
                                        ; implicit-def: $sgpr10
	v_cmpx_eq_u16_e32 0x80, v10
; %bb.1215:
	s_mov_b32 s10, 0x7f800001
	s_xor_b32 s3, exec_lo, -1
; %bb.1216:
	s_or_b32 exec_lo, exec_lo, s12
	s_delay_alu instid0(SALU_CYCLE_1)
	s_and_b32 s3, s3, exec_lo
	s_or_saveexec_b32 s11, s11
	v_mov_b32_e32 v11, s10
	s_xor_b32 exec_lo, exec_lo, s11
	s_cbranch_execnz .LBB105_1234
.LBB105_1217:
	s_or_b32 exec_lo, exec_lo, s11
	s_and_saveexec_b32 s10, s3
	s_cbranch_execz .LBB105_1219
.LBB105_1218:
	v_and_b32_e32 v11, 0xffff, v10
	v_lshlrev_b32_e32 v10, 24, v10
	s_delay_alu instid0(VALU_DEP_2) | instskip(NEXT) | instid1(VALU_DEP_2)
	v_and_b32_e32 v12, 7, v11
	v_and_b32_e32 v10, 0x80000000, v10
	s_delay_alu instid0(VALU_DEP_2) | instskip(NEXT) | instid1(VALU_DEP_1)
	v_clz_i32_u32_e32 v13, v12
	v_min_u32_e32 v13, 32, v13
	s_delay_alu instid0(VALU_DEP_1) | instskip(SKIP_1) | instid1(VALU_DEP_2)
	v_subrev_nc_u32_e32 v14, 28, v13
	v_sub_nc_u32_e32 v13, 29, v13
	v_lshlrev_b32_e32 v14, v14, v11
	v_bfe_u32 v11, v11, 3, 4
	s_delay_alu instid0(VALU_DEP_2) | instskip(NEXT) | instid1(VALU_DEP_2)
	v_and_b32_e32 v14, 7, v14
	v_cmp_eq_u32_e32 vcc_lo, 0, v11
	s_delay_alu instid0(VALU_DEP_2) | instskip(NEXT) | instid1(VALU_DEP_1)
	v_dual_cndmask_b32 v11, v11, v13 :: v_dual_cndmask_b32 v12, v12, v14
	v_lshl_add_u32 v11, v11, 23, 0x3b800000
	s_delay_alu instid0(VALU_DEP_2) | instskip(NEXT) | instid1(VALU_DEP_1)
	v_lshlrev_b32_e32 v12, 20, v12
	v_or3_b32 v11, v10, v11, v12
.LBB105_1219:
	s_or_b32 exec_lo, exec_lo, s10
	s_delay_alu instid0(VALU_DEP_1) | instskip(SKIP_1) | instid1(VALU_DEP_2)
	v_bfe_u32 v10, v11, 16, 1
	v_cmp_o_f32_e32 vcc_lo, v11, v11
	v_add3_u32 v10, v11, v10, 0x7fff
	s_delay_alu instid0(VALU_DEP_1) | instskip(NEXT) | instid1(VALU_DEP_1)
	v_lshrrev_b32_e32 v10, 16, v10
	v_cndmask_b32_e32 v10, 0x7fc0, v10, vcc_lo
.LBB105_1220:
	s_mov_b32 s3, -1
.LBB105_1221:
	s_branch .LBB105_1253
.LBB105_1222:
	v_cmp_lt_i16_e32 vcc_lo, 22, v9
	s_cbranch_vccz .LBB105_1232
; %bb.1223:
	v_cmp_gt_i16_e32 vcc_lo, 24, v9
	s_cbranch_vccnz .LBB105_1235
; %bb.1224:
	v_cmp_lt_i16_e32 vcc_lo, 24, v9
	s_cbranch_vccz .LBB105_1236
; %bb.1225:
	global_load_u8 v10, v[7:8], off
	s_mov_b32 s10, exec_lo
                                        ; implicit-def: $sgpr3
	s_waitcnt vmcnt(0)
	v_cmpx_lt_i16_e32 0x7f, v10
	s_xor_b32 s10, exec_lo, s10
	s_cbranch_execz .LBB105_1247
; %bb.1226:
	s_mov_b32 s2, -1
	s_mov_b32 s11, exec_lo
                                        ; implicit-def: $sgpr3
	v_cmpx_eq_u16_e32 0x80, v10
; %bb.1227:
	s_mov_b32 s3, 0x7f800001
	s_xor_b32 s2, exec_lo, -1
; %bb.1228:
	s_or_b32 exec_lo, exec_lo, s11
	s_delay_alu instid0(SALU_CYCLE_1)
	s_and_b32 s2, s2, exec_lo
	s_or_saveexec_b32 s10, s10
	v_mov_b32_e32 v11, s3
	s_xor_b32 exec_lo, exec_lo, s10
	s_cbranch_execnz .LBB105_1248
.LBB105_1229:
	s_or_b32 exec_lo, exec_lo, s10
	s_and_saveexec_b32 s3, s2
	s_cbranch_execz .LBB105_1231
.LBB105_1230:
	v_and_b32_e32 v11, 0xffff, v10
	v_lshlrev_b32_e32 v10, 24, v10
	s_delay_alu instid0(VALU_DEP_2) | instskip(NEXT) | instid1(VALU_DEP_2)
	v_and_b32_e32 v12, 3, v11
	v_and_b32_e32 v10, 0x80000000, v10
	s_delay_alu instid0(VALU_DEP_2) | instskip(NEXT) | instid1(VALU_DEP_1)
	v_clz_i32_u32_e32 v13, v12
	v_min_u32_e32 v13, 32, v13
	s_delay_alu instid0(VALU_DEP_1) | instskip(SKIP_1) | instid1(VALU_DEP_2)
	v_subrev_nc_u32_e32 v14, 29, v13
	v_sub_nc_u32_e32 v13, 30, v13
	v_lshlrev_b32_e32 v14, v14, v11
	v_bfe_u32 v11, v11, 2, 5
	s_delay_alu instid0(VALU_DEP_2) | instskip(NEXT) | instid1(VALU_DEP_2)
	v_and_b32_e32 v14, 3, v14
	v_cmp_eq_u32_e32 vcc_lo, 0, v11
	s_delay_alu instid0(VALU_DEP_2) | instskip(NEXT) | instid1(VALU_DEP_1)
	v_dual_cndmask_b32 v11, v11, v13 :: v_dual_cndmask_b32 v12, v12, v14
	v_lshl_add_u32 v11, v11, 23, 0x37800000
	s_delay_alu instid0(VALU_DEP_2) | instskip(NEXT) | instid1(VALU_DEP_1)
	v_lshlrev_b32_e32 v12, 21, v12
	v_or3_b32 v11, v10, v11, v12
.LBB105_1231:
	s_or_b32 exec_lo, exec_lo, s3
	s_delay_alu instid0(VALU_DEP_1) | instskip(SKIP_2) | instid1(VALU_DEP_2)
	v_bfe_u32 v10, v11, 16, 1
	v_cmp_o_f32_e32 vcc_lo, v11, v11
	s_mov_b32 s2, 0
	v_add3_u32 v10, v11, v10, 0x7fff
	s_delay_alu instid0(VALU_DEP_1) | instskip(NEXT) | instid1(VALU_DEP_1)
	v_lshrrev_b32_e32 v10, 16, v10
	v_cndmask_b32_e32 v10, 0x7fc0, v10, vcc_lo
	s_branch .LBB105_1237
.LBB105_1232:
                                        ; implicit-def: $vgpr10
	s_mov_b32 s2, 0
	s_branch .LBB105_1243
.LBB105_1233:
	s_or_saveexec_b32 s11, s11
	v_mov_b32_e32 v11, s10
	s_xor_b32 exec_lo, exec_lo, s11
	s_cbranch_execz .LBB105_1217
.LBB105_1234:
	v_cmp_ne_u16_e32 vcc_lo, 0, v10
	v_mov_b32_e32 v11, 0
	s_and_not1_b32 s3, s3, exec_lo
	s_and_b32 s10, vcc_lo, exec_lo
	s_delay_alu instid0(SALU_CYCLE_1)
	s_or_b32 s3, s3, s10
	s_or_b32 exec_lo, exec_lo, s11
	s_and_saveexec_b32 s10, s3
	s_cbranch_execnz .LBB105_1218
	s_branch .LBB105_1219
.LBB105_1235:
	s_mov_b32 s2, -1
                                        ; implicit-def: $vgpr10
	s_branch .LBB105_1240
.LBB105_1236:
	s_mov_b32 s2, -1
                                        ; implicit-def: $vgpr10
.LBB105_1237:
	s_delay_alu instid0(SALU_CYCLE_1)
	s_and_b32 vcc_lo, exec_lo, s2
	s_cbranch_vccz .LBB105_1239
; %bb.1238:
	global_load_u8 v10, v[7:8], off
	s_waitcnt vmcnt(0)
	v_lshlrev_b32_e32 v10, 24, v10
	s_delay_alu instid0(VALU_DEP_1) | instskip(NEXT) | instid1(VALU_DEP_1)
	v_and_b32_e32 v11, 0x7f000000, v10
	v_clz_i32_u32_e32 v12, v11
	v_add_nc_u32_e32 v14, 0x1000000, v11
	v_cmp_ne_u32_e32 vcc_lo, 0, v11
	s_delay_alu instid0(VALU_DEP_3) | instskip(NEXT) | instid1(VALU_DEP_1)
	v_min_u32_e32 v12, 32, v12
	v_sub_nc_u32_e64 v12, v12, 4 clamp
	s_delay_alu instid0(VALU_DEP_1) | instskip(SKIP_1) | instid1(VALU_DEP_2)
	v_lshlrev_b32_e32 v13, v12, v11
	v_lshlrev_b32_e32 v12, 23, v12
	v_lshrrev_b32_e32 v13, 4, v13
	s_delay_alu instid0(VALU_DEP_1) | instskip(SKIP_1) | instid1(VALU_DEP_2)
	v_sub_nc_u32_e32 v12, v13, v12
	v_ashrrev_i32_e32 v13, 8, v14
	v_add_nc_u32_e32 v12, 0x3c000000, v12
	s_delay_alu instid0(VALU_DEP_1) | instskip(NEXT) | instid1(VALU_DEP_1)
	v_and_or_b32 v12, 0x7f800000, v13, v12
	v_cndmask_b32_e32 v11, 0, v12, vcc_lo
	s_delay_alu instid0(VALU_DEP_1) | instskip(SKIP_1) | instid1(VALU_DEP_2)
	v_and_or_b32 v10, 0x80000000, v10, v11
	v_bfe_u32 v11, v11, 16, 1
	v_cmp_o_f32_e32 vcc_lo, v10, v10
	s_delay_alu instid0(VALU_DEP_2) | instskip(NEXT) | instid1(VALU_DEP_1)
	v_add3_u32 v11, v10, v11, 0x7fff
	v_lshrrev_b32_e32 v11, 16, v11
	s_delay_alu instid0(VALU_DEP_1)
	v_cndmask_b32_e32 v10, 0x7fc0, v11, vcc_lo
.LBB105_1239:
	s_mov_b32 s2, 0
.LBB105_1240:
	s_delay_alu instid0(SALU_CYCLE_1)
	s_and_not1_b32 vcc_lo, exec_lo, s2
	s_cbranch_vccnz .LBB105_1242
; %bb.1241:
	global_load_u8 v10, v[7:8], off
	s_waitcnt vmcnt(0)
	v_lshlrev_b32_e32 v11, 25, v10
	v_lshlrev_b16 v10, 8, v10
	s_delay_alu instid0(VALU_DEP_2) | instskip(NEXT) | instid1(VALU_DEP_2)
	v_lshrrev_b32_e32 v12, 4, v11
	v_and_or_b32 v13, 0x7f00, v10, 0.5
	v_bfe_i32 v10, v10, 0, 16
	s_delay_alu instid0(VALU_DEP_3) | instskip(NEXT) | instid1(VALU_DEP_1)
	v_or_b32_e32 v12, 0x70000000, v12
	v_dual_add_f32 v13, -0.5, v13 :: v_dual_mul_f32 v12, 0x7800000, v12
	v_cmp_gt_u32_e32 vcc_lo, 0x8000000, v11
	s_delay_alu instid0(VALU_DEP_2) | instskip(NEXT) | instid1(VALU_DEP_1)
	v_cndmask_b32_e32 v11, v12, v13, vcc_lo
	v_and_or_b32 v10, 0x80000000, v10, v11
	v_bfe_u32 v11, v11, 16, 1
	s_delay_alu instid0(VALU_DEP_2) | instskip(NEXT) | instid1(VALU_DEP_2)
	v_cmp_o_f32_e32 vcc_lo, v10, v10
	v_add3_u32 v11, v10, v11, 0x7fff
	s_delay_alu instid0(VALU_DEP_1) | instskip(NEXT) | instid1(VALU_DEP_1)
	v_lshrrev_b32_e32 v11, 16, v11
	v_cndmask_b32_e32 v10, 0x7fc0, v11, vcc_lo
.LBB105_1242:
	s_mov_b32 s3, -1
	s_mov_b32 s2, 0
	s_cbranch_execnz .LBB105_1253
.LBB105_1243:
	v_cmp_lt_i16_e32 vcc_lo, 14, v9
	s_cbranch_vccz .LBB105_1246
; %bb.1244:
	v_cmp_eq_u16_e32 vcc_lo, 15, v9
	s_cbranch_vccz .LBB105_1249
; %bb.1245:
	global_load_u16 v10, v[7:8], off
	s_mov_b32 s1, 0
	s_mov_b32 s3, -1
	s_branch .LBB105_1251
.LBB105_1246:
	s_mov_b32 s2, -1
	s_branch .LBB105_1250
.LBB105_1247:
	s_or_saveexec_b32 s10, s10
	v_mov_b32_e32 v11, s3
	s_xor_b32 exec_lo, exec_lo, s10
	s_cbranch_execz .LBB105_1229
.LBB105_1248:
	v_cmp_ne_u16_e32 vcc_lo, 0, v10
	v_mov_b32_e32 v11, 0
	s_and_not1_b32 s2, s2, exec_lo
	s_and_b32 s3, vcc_lo, exec_lo
	s_delay_alu instid0(SALU_CYCLE_1)
	s_or_b32 s2, s2, s3
	s_or_b32 exec_lo, exec_lo, s10
	s_and_saveexec_b32 s3, s2
	s_cbranch_execnz .LBB105_1230
	s_branch .LBB105_1231
.LBB105_1249:
	s_mov_b32 s1, -1
.LBB105_1250:
                                        ; implicit-def: $vgpr10
.LBB105_1251:
	s_and_b32 vcc_lo, exec_lo, s2
	s_mov_b32 s2, 0
	s_cbranch_vccz .LBB105_1253
; %bb.1252:
	v_cmp_ne_u16_e64 s1, 11, v9
	s_mov_b32 s2, -1
                                        ; implicit-def: $vgpr10
.LBB105_1253:
	s_delay_alu instid0(VALU_DEP_1)
	s_and_b32 vcc_lo, exec_lo, s1
	s_mov_b32 s1, s8
	s_cbranch_vccnz .LBB105_1277
; %bb.1254:
	s_and_not1_b32 vcc_lo, exec_lo, s2
	s_cbranch_vccnz .LBB105_1256
.LBB105_1255:
	global_load_u8 v10, v[7:8], off
	s_mov_b32 s3, -1
	s_waitcnt vmcnt(0)
	v_cmp_ne_u16_e32 vcc_lo, 0, v10
	v_cndmask_b32_e64 v10, 0, 1.0, vcc_lo
	s_delay_alu instid0(VALU_DEP_1)
	v_lshrrev_b32_e32 v10, 16, v10
.LBB105_1256:
.LBB105_1257:
	s_and_not1_b32 vcc_lo, exec_lo, s3
	s_cbranch_vccnz .LBB105_2090
.LBB105_1258:
	v_cmp_gt_i16_e32 vcc_lo, 11, v9
	s_waitcnt vmcnt(0)
	v_add_co_u32 v6, s2, s6, v6
	s_delay_alu instid0(VALU_DEP_1)
	v_add_co_ci_u32_e64 v7, null, s7, 0, s2
	s_mov_b32 s10, 0
	s_cbranch_vccnz .LBB105_1265
; %bb.1259:
	v_cmp_lt_i16_e32 vcc_lo, 25, v9
	s_mov_b32 s3, 0
	s_cbranch_vccz .LBB105_1271
; %bb.1260:
	v_cmp_lt_i16_e32 vcc_lo, 28, v9
	s_cbranch_vccz .LBB105_1273
; %bb.1261:
	v_cmp_lt_i16_e32 vcc_lo, 43, v9
	;; [unrolled: 3-line block ×3, first 2 shown]
	s_cbranch_vccz .LBB105_1281
; %bb.1263:
	v_cmp_eq_u16_e32 vcc_lo, 46, v9
	s_mov_b32 s11, 0
	s_cbranch_vccz .LBB105_1325
; %bb.1264:
	global_load_b32 v8, v[6:7], off
	s_mov_b32 s2, 0
	s_mov_b32 s10, -1
	s_branch .LBB105_1327
.LBB105_1265:
                                        ; implicit-def: $vgpr8
	s_cbranch_execz .LBB105_1392
; %bb.1266:
	v_cmp_gt_i16_e32 vcc_lo, 5, v9
	s_cbranch_vccnz .LBB105_1272
; %bb.1267:
	v_cmp_gt_i16_e32 vcc_lo, 8, v9
	s_cbranch_vccnz .LBB105_1274
	;; [unrolled: 3-line block ×3, first 2 shown]
; %bb.1269:
	v_cmp_lt_i16_e32 vcc_lo, 9, v9
	s_cbranch_vccz .LBB105_1282
; %bb.1270:
	global_load_b64 v[11:12], v[6:7], off
	s_mov_b32 s2, 0
	s_waitcnt vmcnt(0)
	v_cvt_f32_f64_e32 v8, v[11:12]
	s_delay_alu instid0(VALU_DEP_1) | instskip(SKIP_1) | instid1(VALU_DEP_2)
	v_bfe_u32 v11, v8, 16, 1
	v_cmp_o_f32_e32 vcc_lo, v8, v8
	v_add3_u32 v11, v8, v11, 0x7fff
	s_delay_alu instid0(VALU_DEP_1) | instskip(NEXT) | instid1(VALU_DEP_1)
	v_lshrrev_b32_e32 v11, 16, v11
	v_cndmask_b32_e32 v8, 0x7fc0, v11, vcc_lo
	s_branch .LBB105_1283
.LBB105_1271:
	s_mov_b32 s2, 0
                                        ; implicit-def: $vgpr8
	s_cbranch_execnz .LBB105_1356
	s_branch .LBB105_1388
.LBB105_1272:
                                        ; implicit-def: $vgpr8
	s_branch .LBB105_1301
.LBB105_1273:
	s_mov_b32 s11, -1
	s_mov_b32 s2, 0
                                        ; implicit-def: $vgpr8
	s_branch .LBB105_1337
.LBB105_1274:
	s_mov_b32 s2, -1
                                        ; implicit-def: $vgpr8
	s_branch .LBB105_1289
.LBB105_1275:
	s_mov_b32 s11, -1
	s_mov_b32 s2, 0
                                        ; implicit-def: $vgpr8
	s_branch .LBB105_1332
.LBB105_1276:
	s_mov_b32 s2, -1
                                        ; implicit-def: $vgpr8
	s_branch .LBB105_1286
.LBB105_1277:
	s_cbranch_execnz .LBB105_1321
; %bb.1278:
	s_or_b32 s1, s8, exec_lo
                                        ; implicit-def: $vgpr10
	s_cbranch_execz .LBB105_1255
	s_branch .LBB105_1256
.LBB105_1279:
	s_or_saveexec_b32 s7, s7
                                        ; implicit-def: $sgpr8
	s_delay_alu instid0(SALU_CYCLE_1)
	s_xor_b32 exec_lo, exec_lo, s7
	s_cbranch_execz .LBB105_987
.LBB105_1280:
	v_add_f32_e64 v3, 0x46000000, |v6|
	s_and_not1_b32 s5, s5, exec_lo
	s_mov_b32 s8, 0
	s_delay_alu instid0(VALU_DEP_1) | instskip(NEXT) | instid1(VALU_DEP_1)
	v_and_b32_e32 v3, 0xff, v3
	v_cmp_ne_u32_e32 vcc_lo, 0, v3
	s_and_b32 s9, vcc_lo, exec_lo
	s_delay_alu instid0(SALU_CYCLE_1)
	s_or_b32 s5, s5, s9
	s_or_b32 exec_lo, exec_lo, s7
	v_mov_b32_e32 v7, s8
	s_and_saveexec_b32 s7, s5
	s_cbranch_execnz .LBB105_988
	s_branch .LBB105_989
.LBB105_1281:
	s_mov_b32 s11, -1
	s_mov_b32 s2, 0
	s_branch .LBB105_1326
.LBB105_1282:
	s_mov_b32 s2, -1
                                        ; implicit-def: $vgpr8
.LBB105_1283:
	s_delay_alu instid0(SALU_CYCLE_1)
	s_and_not1_b32 vcc_lo, exec_lo, s2
	s_cbranch_vccnz .LBB105_1285
; %bb.1284:
	global_load_b32 v8, v[6:7], off
	s_waitcnt vmcnt(0)
	v_bfe_u32 v11, v8, 16, 1
	v_cmp_o_f32_e32 vcc_lo, v8, v8
	s_delay_alu instid0(VALU_DEP_2) | instskip(NEXT) | instid1(VALU_DEP_1)
	v_add3_u32 v11, v8, v11, 0x7fff
	v_lshrrev_b32_e32 v11, 16, v11
	s_delay_alu instid0(VALU_DEP_1)
	v_cndmask_b32_e32 v8, 0x7fc0, v11, vcc_lo
.LBB105_1285:
	s_mov_b32 s2, 0
.LBB105_1286:
	s_delay_alu instid0(SALU_CYCLE_1)
	s_and_not1_b32 vcc_lo, exec_lo, s2
	s_cbranch_vccnz .LBB105_1288
; %bb.1287:
	global_load_b32 v8, v[6:7], off
	s_waitcnt vmcnt(0)
	v_cvt_f32_f16_e32 v11, v8
	v_cmp_o_f16_e32 vcc_lo, v8, v8
	s_delay_alu instid0(VALU_DEP_2) | instskip(NEXT) | instid1(VALU_DEP_1)
	v_bfe_u32 v12, v11, 16, 1
	v_add3_u32 v11, v11, v12, 0x7fff
	s_delay_alu instid0(VALU_DEP_1) | instskip(NEXT) | instid1(VALU_DEP_1)
	v_lshrrev_b32_e32 v11, 16, v11
	v_cndmask_b32_e32 v8, 0x7fc0, v11, vcc_lo
.LBB105_1288:
	s_mov_b32 s2, 0
.LBB105_1289:
	s_delay_alu instid0(SALU_CYCLE_1)
	s_and_not1_b32 vcc_lo, exec_lo, s2
	s_cbranch_vccnz .LBB105_1300
; %bb.1290:
	v_cmp_gt_i16_e32 vcc_lo, 6, v9
	s_cbranch_vccnz .LBB105_1293
; %bb.1291:
	v_cmp_lt_i16_e32 vcc_lo, 6, v9
	s_cbranch_vccz .LBB105_1294
; %bb.1292:
	global_load_b64 v[11:12], v[6:7], off
	s_mov_b32 s2, 0
	s_waitcnt vmcnt(0)
	v_cvt_f32_f64_e32 v8, v[11:12]
	s_delay_alu instid0(VALU_DEP_1) | instskip(SKIP_1) | instid1(VALU_DEP_2)
	v_bfe_u32 v11, v8, 16, 1
	v_cmp_o_f32_e32 vcc_lo, v8, v8
	v_add3_u32 v11, v8, v11, 0x7fff
	s_delay_alu instid0(VALU_DEP_1) | instskip(NEXT) | instid1(VALU_DEP_1)
	v_lshrrev_b32_e32 v11, 16, v11
	v_cndmask_b32_e32 v8, 0x7fc0, v11, vcc_lo
	s_branch .LBB105_1295
.LBB105_1293:
	s_mov_b32 s2, -1
                                        ; implicit-def: $vgpr8
	s_branch .LBB105_1298
.LBB105_1294:
	s_mov_b32 s2, -1
                                        ; implicit-def: $vgpr8
.LBB105_1295:
	s_delay_alu instid0(SALU_CYCLE_1)
	s_and_not1_b32 vcc_lo, exec_lo, s2
	s_cbranch_vccnz .LBB105_1297
; %bb.1296:
	global_load_b32 v8, v[6:7], off
	s_waitcnt vmcnt(0)
	v_bfe_u32 v11, v8, 16, 1
	v_cmp_o_f32_e32 vcc_lo, v8, v8
	s_delay_alu instid0(VALU_DEP_2) | instskip(NEXT) | instid1(VALU_DEP_1)
	v_add3_u32 v11, v8, v11, 0x7fff
	v_lshrrev_b32_e32 v11, 16, v11
	s_delay_alu instid0(VALU_DEP_1)
	v_cndmask_b32_e32 v8, 0x7fc0, v11, vcc_lo
.LBB105_1297:
	s_mov_b32 s2, 0
.LBB105_1298:
	s_delay_alu instid0(SALU_CYCLE_1)
	s_and_not1_b32 vcc_lo, exec_lo, s2
	s_cbranch_vccnz .LBB105_1300
; %bb.1299:
	global_load_u16 v8, v[6:7], off
	s_waitcnt vmcnt(0)
	v_cvt_f32_f16_e32 v11, v8
	v_cmp_o_f16_e32 vcc_lo, v8, v8
	s_delay_alu instid0(VALU_DEP_2) | instskip(NEXT) | instid1(VALU_DEP_1)
	v_bfe_u32 v12, v11, 16, 1
	v_add3_u32 v11, v11, v12, 0x7fff
	s_delay_alu instid0(VALU_DEP_1) | instskip(NEXT) | instid1(VALU_DEP_1)
	v_lshrrev_b32_e32 v11, 16, v11
	v_cndmask_b32_e32 v8, 0x7fc0, v11, vcc_lo
.LBB105_1300:
	s_cbranch_execnz .LBB105_1320
.LBB105_1301:
	v_cmp_gt_i16_e32 vcc_lo, 2, v9
	s_cbranch_vccnz .LBB105_1305
; %bb.1302:
	v_cmp_gt_i16_e32 vcc_lo, 3, v9
	s_cbranch_vccnz .LBB105_1306
; %bb.1303:
	v_cmp_lt_i16_e32 vcc_lo, 3, v9
	s_cbranch_vccz .LBB105_1307
; %bb.1304:
	global_load_b64 v[11:12], v[6:7], off
	s_mov_b32 s2, 0
	s_waitcnt vmcnt(0)
	v_xor_b32_e32 v8, v11, v12
	v_cls_i32_e32 v13, v12
	s_delay_alu instid0(VALU_DEP_2) | instskip(NEXT) | instid1(VALU_DEP_2)
	v_ashrrev_i32_e32 v8, 31, v8
	v_add_nc_u32_e32 v13, -1, v13
	s_delay_alu instid0(VALU_DEP_2) | instskip(NEXT) | instid1(VALU_DEP_1)
	v_add_nc_u32_e32 v8, 32, v8
	v_min_u32_e32 v8, v13, v8
	s_delay_alu instid0(VALU_DEP_1) | instskip(SKIP_1) | instid1(VALU_DEP_2)
	v_lshlrev_b64 v[11:12], v8, v[11:12]
	v_sub_nc_u32_e32 v8, 32, v8
	v_min_u32_e32 v11, 1, v11
	s_delay_alu instid0(VALU_DEP_1) | instskip(NEXT) | instid1(VALU_DEP_1)
	v_or_b32_e32 v11, v12, v11
	v_cvt_f32_i32_e32 v11, v11
	s_delay_alu instid0(VALU_DEP_1) | instskip(NEXT) | instid1(VALU_DEP_1)
	v_ldexp_f32 v8, v11, v8
	v_bfe_u32 v11, v8, 16, 1
	s_delay_alu instid0(VALU_DEP_1) | instskip(NEXT) | instid1(VALU_DEP_1)
	v_add3_u32 v8, v8, v11, 0x7fff
	v_lshrrev_b32_e32 v8, 16, v8
	s_branch .LBB105_1308
.LBB105_1305:
	s_mov_b32 s2, -1
                                        ; implicit-def: $vgpr8
	s_branch .LBB105_1314
.LBB105_1306:
	s_mov_b32 s2, -1
                                        ; implicit-def: $vgpr8
	s_branch .LBB105_1311
.LBB105_1307:
	s_mov_b32 s2, -1
                                        ; implicit-def: $vgpr8
.LBB105_1308:
	s_delay_alu instid0(SALU_CYCLE_1)
	s_and_not1_b32 vcc_lo, exec_lo, s2
	s_cbranch_vccnz .LBB105_1310
; %bb.1309:
	global_load_b32 v8, v[6:7], off
	s_waitcnt vmcnt(0)
	v_cvt_f32_i32_e32 v8, v8
	s_delay_alu instid0(VALU_DEP_1) | instskip(NEXT) | instid1(VALU_DEP_1)
	v_bfe_u32 v11, v8, 16, 1
	v_add3_u32 v8, v8, v11, 0x7fff
	s_delay_alu instid0(VALU_DEP_1)
	v_lshrrev_b32_e32 v8, 16, v8
.LBB105_1310:
	s_mov_b32 s2, 0
.LBB105_1311:
	s_delay_alu instid0(SALU_CYCLE_1)
	s_and_not1_b32 vcc_lo, exec_lo, s2
	s_cbranch_vccnz .LBB105_1313
; %bb.1312:
	global_load_i16 v8, v[6:7], off
	s_waitcnt vmcnt(0)
	v_cvt_f32_i32_e32 v8, v8
	s_delay_alu instid0(VALU_DEP_1) | instskip(NEXT) | instid1(VALU_DEP_1)
	v_bfe_u32 v11, v8, 16, 1
	v_add3_u32 v8, v8, v11, 0x7fff
	s_delay_alu instid0(VALU_DEP_1)
	v_lshrrev_b32_e32 v8, 16, v8
.LBB105_1313:
	s_mov_b32 s2, 0
.LBB105_1314:
	s_delay_alu instid0(SALU_CYCLE_1)
	s_and_not1_b32 vcc_lo, exec_lo, s2
	s_cbranch_vccnz .LBB105_1320
; %bb.1315:
	v_cmp_lt_i16_e32 vcc_lo, 0, v9
	s_mov_b32 s2, 0
	s_cbranch_vccz .LBB105_1317
; %bb.1316:
	global_load_i8 v8, v[6:7], off
	s_waitcnt vmcnt(0)
	v_cvt_f32_i32_e32 v8, v8
	s_delay_alu instid0(VALU_DEP_1) | instskip(NEXT) | instid1(VALU_DEP_1)
	v_bfe_u32 v11, v8, 16, 1
	v_add3_u32 v8, v8, v11, 0x7fff
	s_delay_alu instid0(VALU_DEP_1)
	v_lshrrev_b32_e32 v8, 16, v8
	s_branch .LBB105_1318
.LBB105_1317:
	s_mov_b32 s2, -1
                                        ; implicit-def: $vgpr8
.LBB105_1318:
	s_delay_alu instid0(SALU_CYCLE_1)
	s_and_not1_b32 vcc_lo, exec_lo, s2
	s_cbranch_vccnz .LBB105_1320
; %bb.1319:
	global_load_u8 v6, v[6:7], off
	s_waitcnt vmcnt(0)
	v_cvt_f32_ubyte0_e32 v6, v6
	s_delay_alu instid0(VALU_DEP_1) | instskip(NEXT) | instid1(VALU_DEP_1)
	v_bfe_u32 v7, v6, 16, 1
	v_add3_u32 v6, v6, v7, 0x7fff
	s_delay_alu instid0(VALU_DEP_1)
	v_lshrrev_b32_e32 v8, 16, v6
.LBB105_1320:
	s_branch .LBB105_1393
.LBB105_1321:
	s_trap 2
	s_sendmsg_rtn_b32 s0, sendmsg(MSG_RTN_GET_DOORBELL)
	s_mov_b32 ttmp2, m0
	s_waitcnt lgkmcnt(0)
	s_and_b32 s0, s0, 0x3ff
	s_delay_alu instid0(SALU_CYCLE_1) | instskip(NEXT) | instid1(SALU_CYCLE_1)
	s_bitset1_b32 s0, 10
	s_mov_b32 m0, s0
	s_sendmsg sendmsg(MSG_INTERRUPT)
	s_mov_b32 m0, ttmp2
.LBB105_1322:                           ; =>This Inner Loop Header: Depth=1
	s_sethalt 5
	s_branch .LBB105_1322
.LBB105_1323:
	s_or_saveexec_b32 s8, s8
                                        ; implicit-def: $sgpr9
	s_delay_alu instid0(SALU_CYCLE_1)
	s_xor_b32 exec_lo, exec_lo, s8
	s_cbranch_execz .LBB105_999
.LBB105_1324:
	v_add_f32_e64 v3, 0x42800000, |v6|
	s_and_not1_b32 s7, s7, exec_lo
	s_mov_b32 s9, 0
	s_delay_alu instid0(VALU_DEP_1) | instskip(NEXT) | instid1(VALU_DEP_1)
	v_and_b32_e32 v3, 0xff, v3
	v_cmp_ne_u32_e32 vcc_lo, 0, v3
	s_and_b32 s10, vcc_lo, exec_lo
	s_delay_alu instid0(SALU_CYCLE_1)
	s_or_b32 s7, s7, s10
	s_or_b32 exec_lo, exec_lo, s8
	v_mov_b32_e32 v7, s9
	s_and_saveexec_b32 s8, s7
	s_cbranch_execnz .LBB105_1000
	s_branch .LBB105_1001
.LBB105_1325:
	s_mov_b32 s2, -1
.LBB105_1326:
                                        ; implicit-def: $vgpr8
.LBB105_1327:
	s_and_b32 vcc_lo, exec_lo, s11
	s_cbranch_vccz .LBB105_1331
; %bb.1328:
	v_cmp_eq_u16_e32 vcc_lo, 44, v9
	s_cbranch_vccz .LBB105_1330
; %bb.1329:
	global_load_u8 v8, v[6:7], off
	s_mov_b32 s2, 0
	s_mov_b32 s10, -1
	s_waitcnt vmcnt(0)
	v_lshlrev_b32_e32 v11, 23, v8
	v_cmp_ne_u32_e32 vcc_lo, 0xff, v8
	s_delay_alu instid0(VALU_DEP_2) | instskip(SKIP_1) | instid1(VALU_DEP_2)
	v_cndmask_b32_e32 v11, 0x7f800001, v11, vcc_lo
	v_cmp_ne_u32_e32 vcc_lo, 0, v8
	v_cndmask_b32_e32 v8, 0x400000, v11, vcc_lo
	s_delay_alu instid0(VALU_DEP_1) | instskip(SKIP_1) | instid1(VALU_DEP_2)
	v_add_nc_u32_e32 v11, 0x7fff, v8
	v_cmp_o_f32_e32 vcc_lo, v8, v8
	v_lshrrev_b32_e32 v11, 16, v11
	s_delay_alu instid0(VALU_DEP_1)
	v_cndmask_b32_e32 v8, 0x7fc0, v11, vcc_lo
	s_branch .LBB105_1331
.LBB105_1330:
	s_mov_b32 s2, -1
                                        ; implicit-def: $vgpr8
.LBB105_1331:
	s_mov_b32 s11, 0
.LBB105_1332:
	s_delay_alu instid0(SALU_CYCLE_1)
	s_and_b32 vcc_lo, exec_lo, s11
	s_cbranch_vccz .LBB105_1336
; %bb.1333:
	v_cmp_eq_u16_e32 vcc_lo, 29, v9
	s_cbranch_vccz .LBB105_1335
; %bb.1334:
	global_load_b64 v[11:12], v[6:7], off
	s_mov_b32 s2, 0
	s_mov_b32 s10, -1
	s_mov_b32 s11, 0
	s_waitcnt vmcnt(0)
	v_clz_i32_u32_e32 v8, v12
	s_delay_alu instid0(VALU_DEP_1) | instskip(NEXT) | instid1(VALU_DEP_1)
	v_min_u32_e32 v8, 32, v8
	v_lshlrev_b64 v[11:12], v8, v[11:12]
	v_sub_nc_u32_e32 v8, 32, v8
	s_delay_alu instid0(VALU_DEP_2) | instskip(NEXT) | instid1(VALU_DEP_1)
	v_min_u32_e32 v11, 1, v11
	v_or_b32_e32 v11, v12, v11
	s_delay_alu instid0(VALU_DEP_1) | instskip(NEXT) | instid1(VALU_DEP_1)
	v_cvt_f32_u32_e32 v11, v11
	v_ldexp_f32 v8, v11, v8
	s_delay_alu instid0(VALU_DEP_1) | instskip(NEXT) | instid1(VALU_DEP_1)
	v_bfe_u32 v11, v8, 16, 1
	v_add3_u32 v8, v8, v11, 0x7fff
	s_delay_alu instid0(VALU_DEP_1)
	v_lshrrev_b32_e32 v8, 16, v8
	s_branch .LBB105_1337
.LBB105_1335:
	s_mov_b32 s2, -1
                                        ; implicit-def: $vgpr8
.LBB105_1336:
	s_mov_b32 s11, 0
.LBB105_1337:
	s_delay_alu instid0(SALU_CYCLE_1)
	s_and_b32 vcc_lo, exec_lo, s11
	s_cbranch_vccz .LBB105_1355
; %bb.1338:
	v_cmp_gt_i16_e32 vcc_lo, 27, v9
	s_cbranch_vccnz .LBB105_1341
; %bb.1339:
	v_cmp_lt_i16_e32 vcc_lo, 27, v9
	s_cbranch_vccz .LBB105_1342
; %bb.1340:
	global_load_b32 v8, v[6:7], off
	s_mov_b32 s10, 0
	s_waitcnt vmcnt(0)
	v_cvt_f32_u32_e32 v8, v8
	s_delay_alu instid0(VALU_DEP_1) | instskip(NEXT) | instid1(VALU_DEP_1)
	v_bfe_u32 v11, v8, 16, 1
	v_add3_u32 v8, v8, v11, 0x7fff
	s_delay_alu instid0(VALU_DEP_1)
	v_lshrrev_b32_e32 v8, 16, v8
	s_branch .LBB105_1343
.LBB105_1341:
	s_mov_b32 s10, -1
                                        ; implicit-def: $vgpr8
	s_branch .LBB105_1346
.LBB105_1342:
	s_mov_b32 s10, -1
                                        ; implicit-def: $vgpr8
.LBB105_1343:
	s_delay_alu instid0(SALU_CYCLE_1)
	s_and_not1_b32 vcc_lo, exec_lo, s10
	s_cbranch_vccnz .LBB105_1345
; %bb.1344:
	global_load_u16 v8, v[6:7], off
	s_waitcnt vmcnt(0)
	v_cvt_f32_u32_e32 v8, v8
	s_delay_alu instid0(VALU_DEP_1) | instskip(NEXT) | instid1(VALU_DEP_1)
	v_bfe_u32 v11, v8, 16, 1
	v_add3_u32 v8, v8, v11, 0x7fff
	s_delay_alu instid0(VALU_DEP_1)
	v_lshrrev_b32_e32 v8, 16, v8
.LBB105_1345:
	s_mov_b32 s10, 0
.LBB105_1346:
	s_delay_alu instid0(SALU_CYCLE_1)
	s_and_not1_b32 vcc_lo, exec_lo, s10
	s_cbranch_vccnz .LBB105_1354
; %bb.1347:
	global_load_u8 v8, v[6:7], off
	s_mov_b32 s10, 0
	s_mov_b32 s12, exec_lo
                                        ; implicit-def: $sgpr11
	s_waitcnt vmcnt(0)
	v_cmpx_lt_i16_e32 0x7f, v8
	s_xor_b32 s12, exec_lo, s12
	s_cbranch_execz .LBB105_1367
; %bb.1348:
	s_mov_b32 s10, -1
	s_mov_b32 s13, exec_lo
                                        ; implicit-def: $sgpr11
	v_cmpx_eq_u16_e32 0x80, v8
; %bb.1349:
	s_mov_b32 s11, 0x7f800001
	s_xor_b32 s10, exec_lo, -1
; %bb.1350:
	s_or_b32 exec_lo, exec_lo, s13
	s_delay_alu instid0(SALU_CYCLE_1)
	s_and_b32 s10, s10, exec_lo
	s_or_saveexec_b32 s12, s12
	v_mov_b32_e32 v11, s11
	s_xor_b32 exec_lo, exec_lo, s12
	s_cbranch_execnz .LBB105_1368
.LBB105_1351:
	s_or_b32 exec_lo, exec_lo, s12
	s_and_saveexec_b32 s11, s10
	s_cbranch_execz .LBB105_1353
.LBB105_1352:
	v_and_b32_e32 v11, 0xffff, v8
	v_lshlrev_b32_e32 v8, 24, v8
	s_delay_alu instid0(VALU_DEP_2) | instskip(NEXT) | instid1(VALU_DEP_2)
	v_and_b32_e32 v12, 7, v11
	v_and_b32_e32 v8, 0x80000000, v8
	s_delay_alu instid0(VALU_DEP_2) | instskip(NEXT) | instid1(VALU_DEP_1)
	v_clz_i32_u32_e32 v13, v12
	v_min_u32_e32 v13, 32, v13
	s_delay_alu instid0(VALU_DEP_1) | instskip(SKIP_1) | instid1(VALU_DEP_2)
	v_subrev_nc_u32_e32 v14, 28, v13
	v_sub_nc_u32_e32 v13, 29, v13
	v_lshlrev_b32_e32 v14, v14, v11
	v_bfe_u32 v11, v11, 3, 4
	s_delay_alu instid0(VALU_DEP_2) | instskip(NEXT) | instid1(VALU_DEP_2)
	v_and_b32_e32 v14, 7, v14
	v_cmp_eq_u32_e32 vcc_lo, 0, v11
	s_delay_alu instid0(VALU_DEP_2) | instskip(NEXT) | instid1(VALU_DEP_1)
	v_dual_cndmask_b32 v11, v11, v13 :: v_dual_cndmask_b32 v12, v12, v14
	v_lshl_add_u32 v11, v11, 23, 0x3b800000
	s_delay_alu instid0(VALU_DEP_2) | instskip(NEXT) | instid1(VALU_DEP_1)
	v_lshlrev_b32_e32 v12, 20, v12
	v_or3_b32 v11, v8, v11, v12
.LBB105_1353:
	s_or_b32 exec_lo, exec_lo, s11
	s_delay_alu instid0(VALU_DEP_1) | instskip(SKIP_1) | instid1(VALU_DEP_2)
	v_bfe_u32 v8, v11, 16, 1
	v_cmp_o_f32_e32 vcc_lo, v11, v11
	v_add3_u32 v8, v11, v8, 0x7fff
	s_delay_alu instid0(VALU_DEP_1) | instskip(NEXT) | instid1(VALU_DEP_1)
	v_lshrrev_b32_e32 v8, 16, v8
	v_cndmask_b32_e32 v8, 0x7fc0, v8, vcc_lo
.LBB105_1354:
	s_mov_b32 s10, -1
.LBB105_1355:
	s_branch .LBB105_1388
.LBB105_1356:
	v_cmp_lt_i16_e32 vcc_lo, 22, v9
	s_cbranch_vccz .LBB105_1366
; %bb.1357:
	v_cmp_gt_i16_e32 vcc_lo, 24, v9
	s_cbranch_vccnz .LBB105_1369
; %bb.1358:
	v_cmp_lt_i16_e32 vcc_lo, 24, v9
	s_cbranch_vccz .LBB105_1370
; %bb.1359:
	global_load_u8 v8, v[6:7], off
	s_mov_b32 s11, exec_lo
                                        ; implicit-def: $sgpr10
	s_waitcnt vmcnt(0)
	v_cmpx_lt_i16_e32 0x7f, v8
	s_xor_b32 s11, exec_lo, s11
	s_cbranch_execz .LBB105_1382
; %bb.1360:
	s_mov_b32 s3, -1
	s_mov_b32 s12, exec_lo
                                        ; implicit-def: $sgpr10
	v_cmpx_eq_u16_e32 0x80, v8
; %bb.1361:
	s_mov_b32 s10, 0x7f800001
	s_xor_b32 s3, exec_lo, -1
; %bb.1362:
	s_or_b32 exec_lo, exec_lo, s12
	s_delay_alu instid0(SALU_CYCLE_1)
	s_and_b32 s3, s3, exec_lo
	s_or_saveexec_b32 s11, s11
	v_mov_b32_e32 v11, s10
	s_xor_b32 exec_lo, exec_lo, s11
	s_cbranch_execnz .LBB105_1383
.LBB105_1363:
	s_or_b32 exec_lo, exec_lo, s11
	s_and_saveexec_b32 s10, s3
	s_cbranch_execz .LBB105_1365
.LBB105_1364:
	v_and_b32_e32 v11, 0xffff, v8
	v_lshlrev_b32_e32 v8, 24, v8
	s_delay_alu instid0(VALU_DEP_2) | instskip(NEXT) | instid1(VALU_DEP_2)
	v_and_b32_e32 v12, 3, v11
	v_and_b32_e32 v8, 0x80000000, v8
	s_delay_alu instid0(VALU_DEP_2) | instskip(NEXT) | instid1(VALU_DEP_1)
	v_clz_i32_u32_e32 v13, v12
	v_min_u32_e32 v13, 32, v13
	s_delay_alu instid0(VALU_DEP_1) | instskip(SKIP_1) | instid1(VALU_DEP_2)
	v_subrev_nc_u32_e32 v14, 29, v13
	v_sub_nc_u32_e32 v13, 30, v13
	v_lshlrev_b32_e32 v14, v14, v11
	v_bfe_u32 v11, v11, 2, 5
	s_delay_alu instid0(VALU_DEP_2) | instskip(NEXT) | instid1(VALU_DEP_2)
	v_and_b32_e32 v14, 3, v14
	v_cmp_eq_u32_e32 vcc_lo, 0, v11
	s_delay_alu instid0(VALU_DEP_2) | instskip(NEXT) | instid1(VALU_DEP_1)
	v_dual_cndmask_b32 v11, v11, v13 :: v_dual_cndmask_b32 v12, v12, v14
	v_lshl_add_u32 v11, v11, 23, 0x37800000
	s_delay_alu instid0(VALU_DEP_2) | instskip(NEXT) | instid1(VALU_DEP_1)
	v_lshlrev_b32_e32 v12, 21, v12
	v_or3_b32 v11, v8, v11, v12
.LBB105_1365:
	s_or_b32 exec_lo, exec_lo, s10
	s_delay_alu instid0(VALU_DEP_1) | instskip(SKIP_2) | instid1(VALU_DEP_2)
	v_bfe_u32 v8, v11, 16, 1
	v_cmp_o_f32_e32 vcc_lo, v11, v11
	s_mov_b32 s3, 0
	v_add3_u32 v8, v11, v8, 0x7fff
	s_delay_alu instid0(VALU_DEP_1) | instskip(NEXT) | instid1(VALU_DEP_1)
	v_lshrrev_b32_e32 v8, 16, v8
	v_cndmask_b32_e32 v8, 0x7fc0, v8, vcc_lo
	s_branch .LBB105_1371
.LBB105_1366:
	s_mov_b32 s3, -1
                                        ; implicit-def: $vgpr8
	s_branch .LBB105_1377
.LBB105_1367:
	s_or_saveexec_b32 s12, s12
	v_mov_b32_e32 v11, s11
	s_xor_b32 exec_lo, exec_lo, s12
	s_cbranch_execz .LBB105_1351
.LBB105_1368:
	v_cmp_ne_u16_e32 vcc_lo, 0, v8
	v_mov_b32_e32 v11, 0
	s_and_not1_b32 s10, s10, exec_lo
	s_and_b32 s11, vcc_lo, exec_lo
	s_delay_alu instid0(SALU_CYCLE_1)
	s_or_b32 s10, s10, s11
	s_or_b32 exec_lo, exec_lo, s12
	s_and_saveexec_b32 s11, s10
	s_cbranch_execnz .LBB105_1352
	s_branch .LBB105_1353
.LBB105_1369:
	s_mov_b32 s3, -1
                                        ; implicit-def: $vgpr8
	s_branch .LBB105_1374
.LBB105_1370:
	s_mov_b32 s3, -1
                                        ; implicit-def: $vgpr8
.LBB105_1371:
	s_delay_alu instid0(SALU_CYCLE_1)
	s_and_b32 vcc_lo, exec_lo, s3
	s_cbranch_vccz .LBB105_1373
; %bb.1372:
	global_load_u8 v8, v[6:7], off
	s_waitcnt vmcnt(0)
	v_lshlrev_b32_e32 v8, 24, v8
	s_delay_alu instid0(VALU_DEP_1) | instskip(NEXT) | instid1(VALU_DEP_1)
	v_and_b32_e32 v11, 0x7f000000, v8
	v_clz_i32_u32_e32 v12, v11
	v_cmp_ne_u32_e32 vcc_lo, 0, v11
	v_add_nc_u32_e32 v14, 0x1000000, v11
	s_delay_alu instid0(VALU_DEP_3) | instskip(NEXT) | instid1(VALU_DEP_1)
	v_min_u32_e32 v12, 32, v12
	v_sub_nc_u32_e64 v12, v12, 4 clamp
	s_delay_alu instid0(VALU_DEP_1) | instskip(SKIP_1) | instid1(VALU_DEP_2)
	v_lshlrev_b32_e32 v13, v12, v11
	v_lshlrev_b32_e32 v12, 23, v12
	v_lshrrev_b32_e32 v13, 4, v13
	s_delay_alu instid0(VALU_DEP_1) | instskip(SKIP_1) | instid1(VALU_DEP_2)
	v_sub_nc_u32_e32 v12, v13, v12
	v_ashrrev_i32_e32 v13, 8, v14
	v_add_nc_u32_e32 v12, 0x3c000000, v12
	s_delay_alu instid0(VALU_DEP_1) | instskip(NEXT) | instid1(VALU_DEP_1)
	v_and_or_b32 v12, 0x7f800000, v13, v12
	v_cndmask_b32_e32 v11, 0, v12, vcc_lo
	s_delay_alu instid0(VALU_DEP_1) | instskip(SKIP_1) | instid1(VALU_DEP_2)
	v_and_or_b32 v8, 0x80000000, v8, v11
	v_bfe_u32 v11, v11, 16, 1
	v_cmp_o_f32_e32 vcc_lo, v8, v8
	s_delay_alu instid0(VALU_DEP_2) | instskip(NEXT) | instid1(VALU_DEP_1)
	v_add3_u32 v11, v8, v11, 0x7fff
	v_lshrrev_b32_e32 v11, 16, v11
	s_delay_alu instid0(VALU_DEP_1)
	v_cndmask_b32_e32 v8, 0x7fc0, v11, vcc_lo
.LBB105_1373:
	s_mov_b32 s3, 0
.LBB105_1374:
	s_delay_alu instid0(SALU_CYCLE_1)
	s_and_not1_b32 vcc_lo, exec_lo, s3
	s_cbranch_vccnz .LBB105_1376
; %bb.1375:
	global_load_u8 v8, v[6:7], off
	s_waitcnt vmcnt(0)
	v_lshlrev_b32_e32 v11, 25, v8
	v_lshlrev_b16 v8, 8, v8
	s_delay_alu instid0(VALU_DEP_2) | instskip(NEXT) | instid1(VALU_DEP_2)
	v_lshrrev_b32_e32 v12, 4, v11
	v_and_or_b32 v13, 0x7f00, v8, 0.5
	v_cmp_gt_u32_e32 vcc_lo, 0x8000000, v11
	v_bfe_i32 v8, v8, 0, 16
	s_delay_alu instid0(VALU_DEP_4) | instskip(NEXT) | instid1(VALU_DEP_1)
	v_or_b32_e32 v12, 0x70000000, v12
	v_dual_add_f32 v13, -0.5, v13 :: v_dual_mul_f32 v12, 0x7800000, v12
	s_delay_alu instid0(VALU_DEP_1) | instskip(NEXT) | instid1(VALU_DEP_1)
	v_cndmask_b32_e32 v11, v12, v13, vcc_lo
	v_and_or_b32 v8, 0x80000000, v8, v11
	v_bfe_u32 v11, v11, 16, 1
	s_delay_alu instid0(VALU_DEP_2) | instskip(NEXT) | instid1(VALU_DEP_2)
	v_cmp_o_f32_e32 vcc_lo, v8, v8
	v_add3_u32 v11, v8, v11, 0x7fff
	s_delay_alu instid0(VALU_DEP_1) | instskip(NEXT) | instid1(VALU_DEP_1)
	v_lshrrev_b32_e32 v11, 16, v11
	v_cndmask_b32_e32 v8, 0x7fc0, v11, vcc_lo
.LBB105_1376:
	s_mov_b32 s3, 0
	s_mov_b32 s10, -1
.LBB105_1377:
	s_and_not1_b32 vcc_lo, exec_lo, s3
	s_mov_b32 s3, 0
	s_cbranch_vccnz .LBB105_1388
; %bb.1378:
	v_cmp_lt_i16_e32 vcc_lo, 14, v9
	s_cbranch_vccz .LBB105_1381
; %bb.1379:
	v_cmp_eq_u16_e32 vcc_lo, 15, v9
	s_cbranch_vccz .LBB105_1384
; %bb.1380:
	global_load_u16 v8, v[6:7], off
	s_mov_b32 s2, 0
	s_mov_b32 s10, -1
	s_branch .LBB105_1386
.LBB105_1381:
	s_mov_b32 s3, -1
	s_branch .LBB105_1385
.LBB105_1382:
	s_or_saveexec_b32 s11, s11
	v_mov_b32_e32 v11, s10
	s_xor_b32 exec_lo, exec_lo, s11
	s_cbranch_execz .LBB105_1363
.LBB105_1383:
	v_cmp_ne_u16_e32 vcc_lo, 0, v8
	v_mov_b32_e32 v11, 0
	s_and_not1_b32 s3, s3, exec_lo
	s_and_b32 s10, vcc_lo, exec_lo
	s_delay_alu instid0(SALU_CYCLE_1)
	s_or_b32 s3, s3, s10
	s_or_b32 exec_lo, exec_lo, s11
	s_and_saveexec_b32 s10, s3
	s_cbranch_execnz .LBB105_1364
	s_branch .LBB105_1365
.LBB105_1384:
	s_mov_b32 s2, -1
.LBB105_1385:
                                        ; implicit-def: $vgpr8
.LBB105_1386:
	s_and_b32 vcc_lo, exec_lo, s3
	s_mov_b32 s3, 0
	s_cbranch_vccz .LBB105_1388
; %bb.1387:
	v_cmp_ne_u16_e64 s2, 11, v9
	s_mov_b32 s3, -1
                                        ; implicit-def: $vgpr8
.LBB105_1388:
	s_delay_alu instid0(VALU_DEP_1)
	s_and_b32 vcc_lo, exec_lo, s2
	s_cbranch_vccnz .LBB105_1412
; %bb.1389:
	s_and_not1_b32 vcc_lo, exec_lo, s3
	s_cbranch_vccnz .LBB105_1391
.LBB105_1390:
	global_load_u8 v8, v[6:7], off
	s_mov_b32 s10, -1
	s_waitcnt vmcnt(0)
	v_cmp_ne_u16_e32 vcc_lo, 0, v8
	v_cndmask_b32_e64 v8, 0, 1.0, vcc_lo
	s_delay_alu instid0(VALU_DEP_1)
	v_lshrrev_b32_e32 v8, 16, v8
.LBB105_1391:
.LBB105_1392:
	s_and_not1_b32 vcc_lo, exec_lo, s10
	s_cbranch_vccnz .LBB105_2090
.LBB105_1393:
	v_cmp_gt_i16_e32 vcc_lo, 11, v9
	v_add_co_u32 v5, s2, s6, v5
	s_delay_alu instid0(VALU_DEP_1)
	v_add_co_ci_u32_e64 v6, null, s7, 0, s2
	s_mov_b32 s10, 0
	s_cbranch_vccnz .LBB105_1400
; %bb.1394:
	v_cmp_lt_i16_e32 vcc_lo, 25, v9
	s_mov_b32 s3, 0
	s_cbranch_vccz .LBB105_1406
; %bb.1395:
	v_cmp_lt_i16_e32 vcc_lo, 28, v9
	s_cbranch_vccz .LBB105_1408
; %bb.1396:
	v_cmp_lt_i16_e32 vcc_lo, 43, v9
	;; [unrolled: 3-line block ×3, first 2 shown]
	s_cbranch_vccz .LBB105_1414
; %bb.1398:
	v_cmp_eq_u16_e32 vcc_lo, 46, v9
	s_mov_b32 s11, 0
	s_cbranch_vccz .LBB105_1457
; %bb.1399:
	global_load_b32 v7, v[5:6], off
	s_mov_b32 s2, 0
	s_mov_b32 s10, -1
	s_branch .LBB105_1459
.LBB105_1400:
                                        ; implicit-def: $vgpr7
	s_cbranch_execz .LBB105_1525
; %bb.1401:
	v_cmp_gt_i16_e32 vcc_lo, 5, v9
	s_cbranch_vccnz .LBB105_1407
; %bb.1402:
	v_cmp_gt_i16_e32 vcc_lo, 8, v9
	s_cbranch_vccnz .LBB105_1409
; %bb.1403:
	v_cmp_gt_i16_e32 vcc_lo, 9, v9
	s_cbranch_vccnz .LBB105_1411
; %bb.1404:
	v_cmp_lt_i16_e32 vcc_lo, 9, v9
	s_cbranch_vccz .LBB105_1415
; %bb.1405:
	global_load_b64 v[11:12], v[5:6], off
	s_mov_b32 s2, 0
	s_waitcnt vmcnt(0)
	v_cvt_f32_f64_e32 v7, v[11:12]
	s_delay_alu instid0(VALU_DEP_1) | instskip(SKIP_1) | instid1(VALU_DEP_2)
	v_bfe_u32 v11, v7, 16, 1
	v_cmp_o_f32_e32 vcc_lo, v7, v7
	v_add3_u32 v11, v7, v11, 0x7fff
	s_delay_alu instid0(VALU_DEP_1) | instskip(NEXT) | instid1(VALU_DEP_1)
	v_lshrrev_b32_e32 v11, 16, v11
	v_cndmask_b32_e32 v7, 0x7fc0, v11, vcc_lo
	s_branch .LBB105_1416
.LBB105_1406:
	s_mov_b32 s11, -1
	s_mov_b32 s2, 0
                                        ; implicit-def: $vgpr7
	s_branch .LBB105_1488
.LBB105_1407:
	s_mov_b32 s2, -1
                                        ; implicit-def: $vgpr7
	s_branch .LBB105_1434
.LBB105_1408:
	s_mov_b32 s11, -1
	s_mov_b32 s2, 0
                                        ; implicit-def: $vgpr7
	s_branch .LBB105_1469
.LBB105_1409:
	s_mov_b32 s2, -1
                                        ; implicit-def: $vgpr7
	s_branch .LBB105_1422
.LBB105_1410:
	s_mov_b32 s11, -1
	s_mov_b32 s2, 0
                                        ; implicit-def: $vgpr7
	s_branch .LBB105_1464
.LBB105_1411:
	s_mov_b32 s2, -1
                                        ; implicit-def: $vgpr7
	s_branch .LBB105_1419
.LBB105_1412:
	s_cbranch_execnz .LBB105_1455
; %bb.1413:
	s_or_b32 s1, s1, exec_lo
                                        ; implicit-def: $vgpr8
	s_cbranch_execz .LBB105_1390
	s_branch .LBB105_1391
.LBB105_1414:
	s_mov_b32 s11, -1
	s_mov_b32 s2, 0
	s_branch .LBB105_1458
.LBB105_1415:
	s_mov_b32 s2, -1
                                        ; implicit-def: $vgpr7
.LBB105_1416:
	s_delay_alu instid0(SALU_CYCLE_1)
	s_and_not1_b32 vcc_lo, exec_lo, s2
	s_cbranch_vccnz .LBB105_1418
; %bb.1417:
	global_load_b32 v7, v[5:6], off
	s_waitcnt vmcnt(0)
	v_bfe_u32 v11, v7, 16, 1
	v_cmp_o_f32_e32 vcc_lo, v7, v7
	s_delay_alu instid0(VALU_DEP_2) | instskip(NEXT) | instid1(VALU_DEP_1)
	v_add3_u32 v11, v7, v11, 0x7fff
	v_lshrrev_b32_e32 v11, 16, v11
	s_delay_alu instid0(VALU_DEP_1)
	v_cndmask_b32_e32 v7, 0x7fc0, v11, vcc_lo
.LBB105_1418:
	s_mov_b32 s2, 0
.LBB105_1419:
	s_delay_alu instid0(SALU_CYCLE_1)
	s_and_not1_b32 vcc_lo, exec_lo, s2
	s_cbranch_vccnz .LBB105_1421
; %bb.1420:
	global_load_b32 v7, v[5:6], off
	s_waitcnt vmcnt(0)
	v_cvt_f32_f16_e32 v11, v7
	v_cmp_o_f16_e32 vcc_lo, v7, v7
	s_delay_alu instid0(VALU_DEP_2) | instskip(NEXT) | instid1(VALU_DEP_1)
	v_bfe_u32 v12, v11, 16, 1
	v_add3_u32 v11, v11, v12, 0x7fff
	s_delay_alu instid0(VALU_DEP_1) | instskip(NEXT) | instid1(VALU_DEP_1)
	v_lshrrev_b32_e32 v11, 16, v11
	v_cndmask_b32_e32 v7, 0x7fc0, v11, vcc_lo
.LBB105_1421:
	s_mov_b32 s2, 0
.LBB105_1422:
	s_delay_alu instid0(SALU_CYCLE_1)
	s_and_not1_b32 vcc_lo, exec_lo, s2
	s_cbranch_vccnz .LBB105_1433
; %bb.1423:
	v_cmp_gt_i16_e32 vcc_lo, 6, v9
	s_cbranch_vccnz .LBB105_1426
; %bb.1424:
	v_cmp_lt_i16_e32 vcc_lo, 6, v9
	s_cbranch_vccz .LBB105_1427
; %bb.1425:
	global_load_b64 v[11:12], v[5:6], off
	s_mov_b32 s2, 0
	s_waitcnt vmcnt(0)
	v_cvt_f32_f64_e32 v7, v[11:12]
	s_delay_alu instid0(VALU_DEP_1) | instskip(SKIP_1) | instid1(VALU_DEP_2)
	v_bfe_u32 v11, v7, 16, 1
	v_cmp_o_f32_e32 vcc_lo, v7, v7
	v_add3_u32 v11, v7, v11, 0x7fff
	s_delay_alu instid0(VALU_DEP_1) | instskip(NEXT) | instid1(VALU_DEP_1)
	v_lshrrev_b32_e32 v11, 16, v11
	v_cndmask_b32_e32 v7, 0x7fc0, v11, vcc_lo
	s_branch .LBB105_1428
.LBB105_1426:
	s_mov_b32 s2, -1
                                        ; implicit-def: $vgpr7
	s_branch .LBB105_1431
.LBB105_1427:
	s_mov_b32 s2, -1
                                        ; implicit-def: $vgpr7
.LBB105_1428:
	s_delay_alu instid0(SALU_CYCLE_1)
	s_and_not1_b32 vcc_lo, exec_lo, s2
	s_cbranch_vccnz .LBB105_1430
; %bb.1429:
	global_load_b32 v7, v[5:6], off
	s_waitcnt vmcnt(0)
	v_bfe_u32 v11, v7, 16, 1
	v_cmp_o_f32_e32 vcc_lo, v7, v7
	s_delay_alu instid0(VALU_DEP_2) | instskip(NEXT) | instid1(VALU_DEP_1)
	v_add3_u32 v11, v7, v11, 0x7fff
	v_lshrrev_b32_e32 v11, 16, v11
	s_delay_alu instid0(VALU_DEP_1)
	v_cndmask_b32_e32 v7, 0x7fc0, v11, vcc_lo
.LBB105_1430:
	s_mov_b32 s2, 0
.LBB105_1431:
	s_delay_alu instid0(SALU_CYCLE_1)
	s_and_not1_b32 vcc_lo, exec_lo, s2
	s_cbranch_vccnz .LBB105_1433
; %bb.1432:
	global_load_u16 v7, v[5:6], off
	s_waitcnt vmcnt(0)
	v_cvt_f32_f16_e32 v11, v7
	v_cmp_o_f16_e32 vcc_lo, v7, v7
	s_delay_alu instid0(VALU_DEP_2) | instskip(NEXT) | instid1(VALU_DEP_1)
	v_bfe_u32 v12, v11, 16, 1
	v_add3_u32 v11, v11, v12, 0x7fff
	s_delay_alu instid0(VALU_DEP_1) | instskip(NEXT) | instid1(VALU_DEP_1)
	v_lshrrev_b32_e32 v11, 16, v11
	v_cndmask_b32_e32 v7, 0x7fc0, v11, vcc_lo
.LBB105_1433:
	s_mov_b32 s2, 0
.LBB105_1434:
	s_delay_alu instid0(SALU_CYCLE_1)
	s_and_not1_b32 vcc_lo, exec_lo, s2
	s_cbranch_vccnz .LBB105_1454
; %bb.1435:
	v_cmp_gt_i16_e32 vcc_lo, 2, v9
	s_cbranch_vccnz .LBB105_1439
; %bb.1436:
	v_cmp_gt_i16_e32 vcc_lo, 3, v9
	s_cbranch_vccnz .LBB105_1440
; %bb.1437:
	v_cmp_lt_i16_e32 vcc_lo, 3, v9
	s_cbranch_vccz .LBB105_1441
; %bb.1438:
	global_load_b64 v[11:12], v[5:6], off
	s_mov_b32 s2, 0
	s_waitcnt vmcnt(0)
	v_xor_b32_e32 v7, v11, v12
	v_cls_i32_e32 v13, v12
	s_delay_alu instid0(VALU_DEP_2) | instskip(NEXT) | instid1(VALU_DEP_2)
	v_ashrrev_i32_e32 v7, 31, v7
	v_add_nc_u32_e32 v13, -1, v13
	s_delay_alu instid0(VALU_DEP_2) | instskip(NEXT) | instid1(VALU_DEP_1)
	v_add_nc_u32_e32 v7, 32, v7
	v_min_u32_e32 v7, v13, v7
	s_delay_alu instid0(VALU_DEP_1) | instskip(SKIP_1) | instid1(VALU_DEP_2)
	v_lshlrev_b64 v[11:12], v7, v[11:12]
	v_sub_nc_u32_e32 v7, 32, v7
	v_min_u32_e32 v11, 1, v11
	s_delay_alu instid0(VALU_DEP_1) | instskip(NEXT) | instid1(VALU_DEP_1)
	v_or_b32_e32 v11, v12, v11
	v_cvt_f32_i32_e32 v11, v11
	s_delay_alu instid0(VALU_DEP_1) | instskip(NEXT) | instid1(VALU_DEP_1)
	v_ldexp_f32 v7, v11, v7
	v_bfe_u32 v11, v7, 16, 1
	s_delay_alu instid0(VALU_DEP_1) | instskip(NEXT) | instid1(VALU_DEP_1)
	v_add3_u32 v7, v7, v11, 0x7fff
	v_lshrrev_b32_e32 v7, 16, v7
	s_branch .LBB105_1442
.LBB105_1439:
	s_mov_b32 s2, -1
                                        ; implicit-def: $vgpr7
	s_branch .LBB105_1448
.LBB105_1440:
	s_mov_b32 s2, -1
                                        ; implicit-def: $vgpr7
	s_branch .LBB105_1445
.LBB105_1441:
	s_mov_b32 s2, -1
                                        ; implicit-def: $vgpr7
.LBB105_1442:
	s_delay_alu instid0(SALU_CYCLE_1)
	s_and_not1_b32 vcc_lo, exec_lo, s2
	s_cbranch_vccnz .LBB105_1444
; %bb.1443:
	global_load_b32 v7, v[5:6], off
	s_waitcnt vmcnt(0)
	v_cvt_f32_i32_e32 v7, v7
	s_delay_alu instid0(VALU_DEP_1) | instskip(NEXT) | instid1(VALU_DEP_1)
	v_bfe_u32 v11, v7, 16, 1
	v_add3_u32 v7, v7, v11, 0x7fff
	s_delay_alu instid0(VALU_DEP_1)
	v_lshrrev_b32_e32 v7, 16, v7
.LBB105_1444:
	s_mov_b32 s2, 0
.LBB105_1445:
	s_delay_alu instid0(SALU_CYCLE_1)
	s_and_not1_b32 vcc_lo, exec_lo, s2
	s_cbranch_vccnz .LBB105_1447
; %bb.1446:
	global_load_i16 v7, v[5:6], off
	s_waitcnt vmcnt(0)
	v_cvt_f32_i32_e32 v7, v7
	s_delay_alu instid0(VALU_DEP_1) | instskip(NEXT) | instid1(VALU_DEP_1)
	v_bfe_u32 v11, v7, 16, 1
	v_add3_u32 v7, v7, v11, 0x7fff
	s_delay_alu instid0(VALU_DEP_1)
	v_lshrrev_b32_e32 v7, 16, v7
.LBB105_1447:
	s_mov_b32 s2, 0
.LBB105_1448:
	s_delay_alu instid0(SALU_CYCLE_1)
	s_and_not1_b32 vcc_lo, exec_lo, s2
	s_cbranch_vccnz .LBB105_1454
; %bb.1449:
	v_cmp_lt_i16_e32 vcc_lo, 0, v9
	s_mov_b32 s2, 0
	s_cbranch_vccz .LBB105_1451
; %bb.1450:
	global_load_i8 v7, v[5:6], off
	s_waitcnt vmcnt(0)
	v_cvt_f32_i32_e32 v7, v7
	s_delay_alu instid0(VALU_DEP_1) | instskip(NEXT) | instid1(VALU_DEP_1)
	v_bfe_u32 v11, v7, 16, 1
	v_add3_u32 v7, v7, v11, 0x7fff
	s_delay_alu instid0(VALU_DEP_1)
	v_lshrrev_b32_e32 v7, 16, v7
	s_branch .LBB105_1452
.LBB105_1451:
	s_mov_b32 s2, -1
                                        ; implicit-def: $vgpr7
.LBB105_1452:
	s_delay_alu instid0(SALU_CYCLE_1)
	s_and_not1_b32 vcc_lo, exec_lo, s2
	s_cbranch_vccnz .LBB105_1454
; %bb.1453:
	global_load_u8 v5, v[5:6], off
	s_waitcnt vmcnt(0)
	v_cvt_f32_ubyte0_e32 v5, v5
	s_delay_alu instid0(VALU_DEP_1) | instskip(NEXT) | instid1(VALU_DEP_1)
	v_bfe_u32 v6, v5, 16, 1
	v_add3_u32 v5, v5, v6, 0x7fff
	s_delay_alu instid0(VALU_DEP_1)
	v_lshrrev_b32_e32 v7, 16, v5
.LBB105_1454:
	s_branch .LBB105_1526
.LBB105_1455:
	s_trap 2
	s_sendmsg_rtn_b32 s0, sendmsg(MSG_RTN_GET_DOORBELL)
	s_mov_b32 ttmp2, m0
	s_waitcnt lgkmcnt(0)
	s_and_b32 s0, s0, 0x3ff
	s_delay_alu instid0(SALU_CYCLE_1) | instskip(NEXT) | instid1(SALU_CYCLE_1)
	s_bitset1_b32 s0, 10
	s_mov_b32 m0, s0
	s_sendmsg sendmsg(MSG_INTERRUPT)
	s_mov_b32 m0, ttmp2
.LBB105_1456:                           ; =>This Inner Loop Header: Depth=1
	s_sethalt 5
	s_branch .LBB105_1456
.LBB105_1457:
	s_mov_b32 s2, -1
.LBB105_1458:
                                        ; implicit-def: $vgpr7
.LBB105_1459:
	s_and_b32 vcc_lo, exec_lo, s11
	s_cbranch_vccz .LBB105_1463
; %bb.1460:
	v_cmp_eq_u16_e32 vcc_lo, 44, v9
	s_cbranch_vccz .LBB105_1462
; %bb.1461:
	global_load_u8 v7, v[5:6], off
	s_mov_b32 s2, 0
	s_mov_b32 s10, -1
	s_waitcnt vmcnt(0)
	v_lshlrev_b32_e32 v11, 23, v7
	v_cmp_ne_u32_e32 vcc_lo, 0xff, v7
	s_delay_alu instid0(VALU_DEP_2) | instskip(SKIP_1) | instid1(VALU_DEP_2)
	v_cndmask_b32_e32 v11, 0x7f800001, v11, vcc_lo
	v_cmp_ne_u32_e32 vcc_lo, 0, v7
	v_cndmask_b32_e32 v7, 0x400000, v11, vcc_lo
	s_delay_alu instid0(VALU_DEP_1) | instskip(SKIP_1) | instid1(VALU_DEP_2)
	v_add_nc_u32_e32 v11, 0x7fff, v7
	v_cmp_o_f32_e32 vcc_lo, v7, v7
	v_lshrrev_b32_e32 v11, 16, v11
	s_delay_alu instid0(VALU_DEP_1)
	v_cndmask_b32_e32 v7, 0x7fc0, v11, vcc_lo
	s_branch .LBB105_1463
.LBB105_1462:
	s_mov_b32 s2, -1
                                        ; implicit-def: $vgpr7
.LBB105_1463:
	s_mov_b32 s11, 0
.LBB105_1464:
	s_delay_alu instid0(SALU_CYCLE_1)
	s_and_b32 vcc_lo, exec_lo, s11
	s_cbranch_vccz .LBB105_1468
; %bb.1465:
	v_cmp_eq_u16_e32 vcc_lo, 29, v9
	s_cbranch_vccz .LBB105_1467
; %bb.1466:
	global_load_b64 v[11:12], v[5:6], off
	s_mov_b32 s2, 0
	s_mov_b32 s10, -1
	s_mov_b32 s11, 0
	s_waitcnt vmcnt(0)
	v_clz_i32_u32_e32 v7, v12
	s_delay_alu instid0(VALU_DEP_1) | instskip(NEXT) | instid1(VALU_DEP_1)
	v_min_u32_e32 v7, 32, v7
	v_lshlrev_b64 v[11:12], v7, v[11:12]
	v_sub_nc_u32_e32 v7, 32, v7
	s_delay_alu instid0(VALU_DEP_2) | instskip(NEXT) | instid1(VALU_DEP_1)
	v_min_u32_e32 v11, 1, v11
	v_or_b32_e32 v11, v12, v11
	s_delay_alu instid0(VALU_DEP_1) | instskip(NEXT) | instid1(VALU_DEP_1)
	v_cvt_f32_u32_e32 v11, v11
	v_ldexp_f32 v7, v11, v7
	s_delay_alu instid0(VALU_DEP_1) | instskip(NEXT) | instid1(VALU_DEP_1)
	v_bfe_u32 v11, v7, 16, 1
	v_add3_u32 v7, v7, v11, 0x7fff
	s_delay_alu instid0(VALU_DEP_1)
	v_lshrrev_b32_e32 v7, 16, v7
	s_branch .LBB105_1469
.LBB105_1467:
	s_mov_b32 s2, -1
                                        ; implicit-def: $vgpr7
.LBB105_1468:
	s_mov_b32 s11, 0
.LBB105_1469:
	s_delay_alu instid0(SALU_CYCLE_1)
	s_and_b32 vcc_lo, exec_lo, s11
	s_cbranch_vccz .LBB105_1487
; %bb.1470:
	v_cmp_gt_i16_e32 vcc_lo, 27, v9
	s_cbranch_vccnz .LBB105_1473
; %bb.1471:
	v_cmp_lt_i16_e32 vcc_lo, 27, v9
	s_cbranch_vccz .LBB105_1474
; %bb.1472:
	global_load_b32 v7, v[5:6], off
	s_mov_b32 s10, 0
	s_waitcnt vmcnt(0)
	v_cvt_f32_u32_e32 v7, v7
	s_delay_alu instid0(VALU_DEP_1) | instskip(NEXT) | instid1(VALU_DEP_1)
	v_bfe_u32 v11, v7, 16, 1
	v_add3_u32 v7, v7, v11, 0x7fff
	s_delay_alu instid0(VALU_DEP_1)
	v_lshrrev_b32_e32 v7, 16, v7
	s_branch .LBB105_1475
.LBB105_1473:
	s_mov_b32 s10, -1
                                        ; implicit-def: $vgpr7
	s_branch .LBB105_1478
.LBB105_1474:
	s_mov_b32 s10, -1
                                        ; implicit-def: $vgpr7
.LBB105_1475:
	s_delay_alu instid0(SALU_CYCLE_1)
	s_and_not1_b32 vcc_lo, exec_lo, s10
	s_cbranch_vccnz .LBB105_1477
; %bb.1476:
	global_load_u16 v7, v[5:6], off
	s_waitcnt vmcnt(0)
	v_cvt_f32_u32_e32 v7, v7
	s_delay_alu instid0(VALU_DEP_1) | instskip(NEXT) | instid1(VALU_DEP_1)
	v_bfe_u32 v11, v7, 16, 1
	v_add3_u32 v7, v7, v11, 0x7fff
	s_delay_alu instid0(VALU_DEP_1)
	v_lshrrev_b32_e32 v7, 16, v7
.LBB105_1477:
	s_mov_b32 s10, 0
.LBB105_1478:
	s_delay_alu instid0(SALU_CYCLE_1)
	s_and_not1_b32 vcc_lo, exec_lo, s10
	s_cbranch_vccnz .LBB105_1486
; %bb.1479:
	global_load_u8 v7, v[5:6], off
	s_mov_b32 s10, 0
	s_mov_b32 s12, exec_lo
                                        ; implicit-def: $sgpr11
	s_waitcnt vmcnt(0)
	v_cmpx_lt_i16_e32 0x7f, v7
	s_xor_b32 s12, exec_lo, s12
	s_cbranch_execz .LBB105_1500
; %bb.1480:
	s_mov_b32 s10, -1
	s_mov_b32 s13, exec_lo
                                        ; implicit-def: $sgpr11
	v_cmpx_eq_u16_e32 0x80, v7
; %bb.1481:
	s_mov_b32 s11, 0x7f800001
	s_xor_b32 s10, exec_lo, -1
; %bb.1482:
	s_or_b32 exec_lo, exec_lo, s13
	s_delay_alu instid0(SALU_CYCLE_1)
	s_and_b32 s10, s10, exec_lo
	s_or_saveexec_b32 s12, s12
	v_mov_b32_e32 v11, s11
	s_xor_b32 exec_lo, exec_lo, s12
	s_cbranch_execnz .LBB105_1501
.LBB105_1483:
	s_or_b32 exec_lo, exec_lo, s12
	s_and_saveexec_b32 s11, s10
	s_cbranch_execz .LBB105_1485
.LBB105_1484:
	v_and_b32_e32 v11, 0xffff, v7
	v_lshlrev_b32_e32 v7, 24, v7
	s_delay_alu instid0(VALU_DEP_2) | instskip(NEXT) | instid1(VALU_DEP_2)
	v_and_b32_e32 v12, 7, v11
	v_and_b32_e32 v7, 0x80000000, v7
	s_delay_alu instid0(VALU_DEP_2) | instskip(NEXT) | instid1(VALU_DEP_1)
	v_clz_i32_u32_e32 v13, v12
	v_min_u32_e32 v13, 32, v13
	s_delay_alu instid0(VALU_DEP_1) | instskip(SKIP_1) | instid1(VALU_DEP_2)
	v_subrev_nc_u32_e32 v14, 28, v13
	v_sub_nc_u32_e32 v13, 29, v13
	v_lshlrev_b32_e32 v14, v14, v11
	v_bfe_u32 v11, v11, 3, 4
	s_delay_alu instid0(VALU_DEP_2) | instskip(NEXT) | instid1(VALU_DEP_2)
	v_and_b32_e32 v14, 7, v14
	v_cmp_eq_u32_e32 vcc_lo, 0, v11
	s_delay_alu instid0(VALU_DEP_2) | instskip(NEXT) | instid1(VALU_DEP_1)
	v_dual_cndmask_b32 v11, v11, v13 :: v_dual_cndmask_b32 v12, v12, v14
	v_lshl_add_u32 v11, v11, 23, 0x3b800000
	s_delay_alu instid0(VALU_DEP_2) | instskip(NEXT) | instid1(VALU_DEP_1)
	v_lshlrev_b32_e32 v12, 20, v12
	v_or3_b32 v11, v7, v11, v12
.LBB105_1485:
	s_or_b32 exec_lo, exec_lo, s11
	s_delay_alu instid0(VALU_DEP_1) | instskip(SKIP_1) | instid1(VALU_DEP_2)
	v_bfe_u32 v7, v11, 16, 1
	v_cmp_o_f32_e32 vcc_lo, v11, v11
	v_add3_u32 v7, v11, v7, 0x7fff
	s_delay_alu instid0(VALU_DEP_1) | instskip(NEXT) | instid1(VALU_DEP_1)
	v_lshrrev_b32_e32 v7, 16, v7
	v_cndmask_b32_e32 v7, 0x7fc0, v7, vcc_lo
.LBB105_1486:
	s_mov_b32 s10, -1
.LBB105_1487:
	s_mov_b32 s11, 0
.LBB105_1488:
	s_delay_alu instid0(SALU_CYCLE_1)
	s_and_b32 vcc_lo, exec_lo, s11
	s_cbranch_vccz .LBB105_1521
; %bb.1489:
	v_cmp_lt_i16_e32 vcc_lo, 22, v9
	s_cbranch_vccz .LBB105_1499
; %bb.1490:
	v_cmp_gt_i16_e32 vcc_lo, 24, v9
	s_cbranch_vccnz .LBB105_1502
; %bb.1491:
	v_cmp_lt_i16_e32 vcc_lo, 24, v9
	s_cbranch_vccz .LBB105_1503
; %bb.1492:
	global_load_u8 v7, v[5:6], off
	s_mov_b32 s11, exec_lo
                                        ; implicit-def: $sgpr10
	s_waitcnt vmcnt(0)
	v_cmpx_lt_i16_e32 0x7f, v7
	s_xor_b32 s11, exec_lo, s11
	s_cbranch_execz .LBB105_1515
; %bb.1493:
	s_mov_b32 s3, -1
	s_mov_b32 s12, exec_lo
                                        ; implicit-def: $sgpr10
	v_cmpx_eq_u16_e32 0x80, v7
; %bb.1494:
	s_mov_b32 s10, 0x7f800001
	s_xor_b32 s3, exec_lo, -1
; %bb.1495:
	s_or_b32 exec_lo, exec_lo, s12
	s_delay_alu instid0(SALU_CYCLE_1)
	s_and_b32 s3, s3, exec_lo
	s_or_saveexec_b32 s11, s11
	v_mov_b32_e32 v11, s10
	s_xor_b32 exec_lo, exec_lo, s11
	s_cbranch_execnz .LBB105_1516
.LBB105_1496:
	s_or_b32 exec_lo, exec_lo, s11
	s_and_saveexec_b32 s10, s3
	s_cbranch_execz .LBB105_1498
.LBB105_1497:
	v_and_b32_e32 v11, 0xffff, v7
	v_lshlrev_b32_e32 v7, 24, v7
	s_delay_alu instid0(VALU_DEP_2) | instskip(NEXT) | instid1(VALU_DEP_2)
	v_and_b32_e32 v12, 3, v11
	v_and_b32_e32 v7, 0x80000000, v7
	s_delay_alu instid0(VALU_DEP_2) | instskip(NEXT) | instid1(VALU_DEP_1)
	v_clz_i32_u32_e32 v13, v12
	v_min_u32_e32 v13, 32, v13
	s_delay_alu instid0(VALU_DEP_1) | instskip(SKIP_1) | instid1(VALU_DEP_2)
	v_subrev_nc_u32_e32 v14, 29, v13
	v_sub_nc_u32_e32 v13, 30, v13
	v_lshlrev_b32_e32 v14, v14, v11
	v_bfe_u32 v11, v11, 2, 5
	s_delay_alu instid0(VALU_DEP_2) | instskip(NEXT) | instid1(VALU_DEP_2)
	v_and_b32_e32 v14, 3, v14
	v_cmp_eq_u32_e32 vcc_lo, 0, v11
	s_delay_alu instid0(VALU_DEP_2) | instskip(NEXT) | instid1(VALU_DEP_1)
	v_dual_cndmask_b32 v11, v11, v13 :: v_dual_cndmask_b32 v12, v12, v14
	v_lshl_add_u32 v11, v11, 23, 0x37800000
	s_delay_alu instid0(VALU_DEP_2) | instskip(NEXT) | instid1(VALU_DEP_1)
	v_lshlrev_b32_e32 v12, 21, v12
	v_or3_b32 v11, v7, v11, v12
.LBB105_1498:
	s_or_b32 exec_lo, exec_lo, s10
	s_delay_alu instid0(VALU_DEP_1) | instskip(SKIP_2) | instid1(VALU_DEP_2)
	v_bfe_u32 v7, v11, 16, 1
	v_cmp_o_f32_e32 vcc_lo, v11, v11
	s_mov_b32 s3, 0
	v_add3_u32 v7, v11, v7, 0x7fff
	s_delay_alu instid0(VALU_DEP_1) | instskip(NEXT) | instid1(VALU_DEP_1)
	v_lshrrev_b32_e32 v7, 16, v7
	v_cndmask_b32_e32 v7, 0x7fc0, v7, vcc_lo
	s_branch .LBB105_1504
.LBB105_1499:
	s_mov_b32 s3, -1
                                        ; implicit-def: $vgpr7
	s_branch .LBB105_1510
.LBB105_1500:
	s_or_saveexec_b32 s12, s12
	v_mov_b32_e32 v11, s11
	s_xor_b32 exec_lo, exec_lo, s12
	s_cbranch_execz .LBB105_1483
.LBB105_1501:
	v_cmp_ne_u16_e32 vcc_lo, 0, v7
	v_mov_b32_e32 v11, 0
	s_and_not1_b32 s10, s10, exec_lo
	s_and_b32 s11, vcc_lo, exec_lo
	s_delay_alu instid0(SALU_CYCLE_1)
	s_or_b32 s10, s10, s11
	s_or_b32 exec_lo, exec_lo, s12
	s_and_saveexec_b32 s11, s10
	s_cbranch_execnz .LBB105_1484
	s_branch .LBB105_1485
.LBB105_1502:
	s_mov_b32 s3, -1
                                        ; implicit-def: $vgpr7
	s_branch .LBB105_1507
.LBB105_1503:
	s_mov_b32 s3, -1
                                        ; implicit-def: $vgpr7
.LBB105_1504:
	s_delay_alu instid0(SALU_CYCLE_1)
	s_and_b32 vcc_lo, exec_lo, s3
	s_cbranch_vccz .LBB105_1506
; %bb.1505:
	global_load_u8 v7, v[5:6], off
	s_waitcnt vmcnt(0)
	v_lshlrev_b32_e32 v7, 24, v7
	s_delay_alu instid0(VALU_DEP_1) | instskip(NEXT) | instid1(VALU_DEP_1)
	v_and_b32_e32 v11, 0x7f000000, v7
	v_clz_i32_u32_e32 v12, v11
	v_cmp_ne_u32_e32 vcc_lo, 0, v11
	v_add_nc_u32_e32 v14, 0x1000000, v11
	s_delay_alu instid0(VALU_DEP_3) | instskip(NEXT) | instid1(VALU_DEP_1)
	v_min_u32_e32 v12, 32, v12
	v_sub_nc_u32_e64 v12, v12, 4 clamp
	s_delay_alu instid0(VALU_DEP_1) | instskip(SKIP_1) | instid1(VALU_DEP_2)
	v_lshlrev_b32_e32 v13, v12, v11
	v_lshlrev_b32_e32 v12, 23, v12
	v_lshrrev_b32_e32 v13, 4, v13
	s_delay_alu instid0(VALU_DEP_1) | instskip(SKIP_1) | instid1(VALU_DEP_2)
	v_sub_nc_u32_e32 v12, v13, v12
	v_ashrrev_i32_e32 v13, 8, v14
	v_add_nc_u32_e32 v12, 0x3c000000, v12
	s_delay_alu instid0(VALU_DEP_1) | instskip(NEXT) | instid1(VALU_DEP_1)
	v_and_or_b32 v12, 0x7f800000, v13, v12
	v_cndmask_b32_e32 v11, 0, v12, vcc_lo
	s_delay_alu instid0(VALU_DEP_1) | instskip(SKIP_1) | instid1(VALU_DEP_2)
	v_and_or_b32 v7, 0x80000000, v7, v11
	v_bfe_u32 v11, v11, 16, 1
	v_cmp_o_f32_e32 vcc_lo, v7, v7
	s_delay_alu instid0(VALU_DEP_2) | instskip(NEXT) | instid1(VALU_DEP_1)
	v_add3_u32 v11, v7, v11, 0x7fff
	v_lshrrev_b32_e32 v11, 16, v11
	s_delay_alu instid0(VALU_DEP_1)
	v_cndmask_b32_e32 v7, 0x7fc0, v11, vcc_lo
.LBB105_1506:
	s_mov_b32 s3, 0
.LBB105_1507:
	s_delay_alu instid0(SALU_CYCLE_1)
	s_and_not1_b32 vcc_lo, exec_lo, s3
	s_cbranch_vccnz .LBB105_1509
; %bb.1508:
	global_load_u8 v7, v[5:6], off
	s_waitcnt vmcnt(0)
	v_lshlrev_b32_e32 v11, 25, v7
	v_lshlrev_b16 v7, 8, v7
	s_delay_alu instid0(VALU_DEP_2) | instskip(NEXT) | instid1(VALU_DEP_2)
	v_lshrrev_b32_e32 v12, 4, v11
	v_and_or_b32 v13, 0x7f00, v7, 0.5
	v_bfe_i32 v7, v7, 0, 16
	s_delay_alu instid0(VALU_DEP_3) | instskip(NEXT) | instid1(VALU_DEP_1)
	v_or_b32_e32 v12, 0x70000000, v12
	v_dual_add_f32 v13, -0.5, v13 :: v_dual_mul_f32 v12, 0x7800000, v12
	v_cmp_gt_u32_e32 vcc_lo, 0x8000000, v11
	s_delay_alu instid0(VALU_DEP_2) | instskip(NEXT) | instid1(VALU_DEP_1)
	v_cndmask_b32_e32 v11, v12, v13, vcc_lo
	v_and_or_b32 v7, 0x80000000, v7, v11
	v_bfe_u32 v11, v11, 16, 1
	s_delay_alu instid0(VALU_DEP_2) | instskip(NEXT) | instid1(VALU_DEP_2)
	v_cmp_o_f32_e32 vcc_lo, v7, v7
	v_add3_u32 v11, v7, v11, 0x7fff
	s_delay_alu instid0(VALU_DEP_1) | instskip(NEXT) | instid1(VALU_DEP_1)
	v_lshrrev_b32_e32 v11, 16, v11
	v_cndmask_b32_e32 v7, 0x7fc0, v11, vcc_lo
.LBB105_1509:
	s_mov_b32 s3, 0
	s_mov_b32 s10, -1
.LBB105_1510:
	s_and_not1_b32 vcc_lo, exec_lo, s3
	s_mov_b32 s3, 0
	s_cbranch_vccnz .LBB105_1521
; %bb.1511:
	v_cmp_lt_i16_e32 vcc_lo, 14, v9
	s_cbranch_vccz .LBB105_1514
; %bb.1512:
	v_cmp_eq_u16_e32 vcc_lo, 15, v9
	s_cbranch_vccz .LBB105_1517
; %bb.1513:
	global_load_u16 v7, v[5:6], off
	s_mov_b32 s2, 0
	s_mov_b32 s10, -1
	s_branch .LBB105_1519
.LBB105_1514:
	s_mov_b32 s3, -1
	s_branch .LBB105_1518
.LBB105_1515:
	s_or_saveexec_b32 s11, s11
	v_mov_b32_e32 v11, s10
	s_xor_b32 exec_lo, exec_lo, s11
	s_cbranch_execz .LBB105_1496
.LBB105_1516:
	v_cmp_ne_u16_e32 vcc_lo, 0, v7
	v_mov_b32_e32 v11, 0
	s_and_not1_b32 s3, s3, exec_lo
	s_and_b32 s10, vcc_lo, exec_lo
	s_delay_alu instid0(SALU_CYCLE_1)
	s_or_b32 s3, s3, s10
	s_or_b32 exec_lo, exec_lo, s11
	s_and_saveexec_b32 s10, s3
	s_cbranch_execnz .LBB105_1497
	s_branch .LBB105_1498
.LBB105_1517:
	s_mov_b32 s2, -1
.LBB105_1518:
                                        ; implicit-def: $vgpr7
.LBB105_1519:
	s_and_b32 vcc_lo, exec_lo, s3
	s_mov_b32 s3, 0
	s_cbranch_vccz .LBB105_1521
; %bb.1520:
	v_cmp_ne_u16_e64 s2, 11, v9
	s_mov_b32 s3, -1
                                        ; implicit-def: $vgpr7
.LBB105_1521:
	s_delay_alu instid0(VALU_DEP_1)
	s_and_b32 vcc_lo, exec_lo, s2
	s_cbranch_vccnz .LBB105_1537
; %bb.1522:
	s_and_not1_b32 vcc_lo, exec_lo, s3
	s_cbranch_vccnz .LBB105_1524
.LBB105_1523:
	global_load_u8 v7, v[5:6], off
	s_mov_b32 s10, -1
	s_waitcnt vmcnt(0)
	v_cmp_ne_u16_e32 vcc_lo, 0, v7
	v_cndmask_b32_e64 v7, 0, 1.0, vcc_lo
	s_delay_alu instid0(VALU_DEP_1)
	v_lshrrev_b32_e32 v7, 16, v7
.LBB105_1524:
.LBB105_1525:
	s_and_not1_b32 vcc_lo, exec_lo, s10
	s_cbranch_vccnz .LBB105_2090
.LBB105_1526:
	v_cmp_gt_i16_e32 vcc_lo, 11, v9
	v_add_co_u32 v4, s2, s6, v4
	s_delay_alu instid0(VALU_DEP_1)
	v_add_co_ci_u32_e64 v5, null, s7, 0, s2
	s_mov_b32 s6, 0
	s_cbranch_vccnz .LBB105_1533
; %bb.1527:
	v_cmp_lt_i16_e32 vcc_lo, 25, v9
	s_mov_b32 s3, 0
	s_cbranch_vccz .LBB105_1534
; %bb.1528:
	v_cmp_lt_i16_e32 vcc_lo, 28, v9
	s_cbranch_vccz .LBB105_1535
; %bb.1529:
	v_cmp_lt_i16_e32 vcc_lo, 43, v9
	;; [unrolled: 3-line block ×3, first 2 shown]
	s_cbranch_vccz .LBB105_1539
; %bb.1531:
	v_cmp_eq_u16_e32 vcc_lo, 46, v9
	s_mov_b32 s7, 0
	s_cbranch_vccz .LBB105_1542
; %bb.1532:
	global_load_b32 v11, v[4:5], off
	s_mov_b32 s2, 0
	s_mov_b32 s6, -1
	s_branch .LBB105_1544
.LBB105_1533:
	s_mov_b32 s2, -1
                                        ; implicit-def: $vgpr11
	s_branch .LBB105_1610
.LBB105_1534:
	s_mov_b32 s7, -1
	s_mov_b32 s2, 0
                                        ; implicit-def: $vgpr11
	s_branch .LBB105_1573
.LBB105_1535:
	s_mov_b32 s7, -1
	s_mov_b32 s2, 0
                                        ; implicit-def: $vgpr11
	s_branch .LBB105_1554
.LBB105_1536:
	s_mov_b32 s7, -1
	s_mov_b32 s2, 0
                                        ; implicit-def: $vgpr11
	s_branch .LBB105_1549
.LBB105_1537:
	s_cbranch_execnz .LBB105_1540
; %bb.1538:
	s_or_b32 s1, s1, exec_lo
                                        ; implicit-def: $vgpr7
	s_cbranch_execz .LBB105_1523
	s_branch .LBB105_1524
.LBB105_1539:
	s_mov_b32 s7, -1
	s_mov_b32 s2, 0
	s_branch .LBB105_1543
.LBB105_1540:
	s_trap 2
	s_sendmsg_rtn_b32 s0, sendmsg(MSG_RTN_GET_DOORBELL)
	s_mov_b32 ttmp2, m0
	s_waitcnt lgkmcnt(0)
	s_and_b32 s0, s0, 0x3ff
	s_delay_alu instid0(SALU_CYCLE_1) | instskip(NEXT) | instid1(SALU_CYCLE_1)
	s_bitset1_b32 s0, 10
	s_mov_b32 m0, s0
	s_sendmsg sendmsg(MSG_INTERRUPT)
	s_mov_b32 m0, ttmp2
.LBB105_1541:                           ; =>This Inner Loop Header: Depth=1
	s_sethalt 5
	s_branch .LBB105_1541
.LBB105_1542:
	s_mov_b32 s2, -1
.LBB105_1543:
                                        ; implicit-def: $vgpr11
.LBB105_1544:
	s_and_b32 vcc_lo, exec_lo, s7
	s_cbranch_vccz .LBB105_1548
; %bb.1545:
	v_cmp_eq_u16_e32 vcc_lo, 44, v9
	s_cbranch_vccz .LBB105_1547
; %bb.1546:
	global_load_u8 v6, v[4:5], off
	s_mov_b32 s2, 0
	s_mov_b32 s6, -1
	s_waitcnt vmcnt(0)
	v_lshlrev_b32_e32 v11, 23, v6
	v_cmp_ne_u32_e32 vcc_lo, 0xff, v6
	s_delay_alu instid0(VALU_DEP_2) | instskip(SKIP_1) | instid1(VALU_DEP_2)
	v_cndmask_b32_e32 v11, 0x7f800001, v11, vcc_lo
	v_cmp_ne_u32_e32 vcc_lo, 0, v6
	v_cndmask_b32_e32 v6, 0x400000, v11, vcc_lo
	s_delay_alu instid0(VALU_DEP_1) | instskip(SKIP_1) | instid1(VALU_DEP_2)
	v_add_nc_u32_e32 v11, 0x7fff, v6
	v_cmp_o_f32_e32 vcc_lo, v6, v6
	v_lshrrev_b32_e32 v11, 16, v11
	s_delay_alu instid0(VALU_DEP_1)
	v_cndmask_b32_e32 v11, 0x7fc0, v11, vcc_lo
	s_branch .LBB105_1548
.LBB105_1547:
	s_mov_b32 s2, -1
                                        ; implicit-def: $vgpr11
.LBB105_1548:
	s_mov_b32 s7, 0
.LBB105_1549:
	s_delay_alu instid0(SALU_CYCLE_1)
	s_and_b32 vcc_lo, exec_lo, s7
	s_cbranch_vccz .LBB105_1553
; %bb.1550:
	v_cmp_eq_u16_e32 vcc_lo, 29, v9
	s_cbranch_vccz .LBB105_1552
; %bb.1551:
	global_load_b64 v[11:12], v[4:5], off
	s_mov_b32 s2, 0
	s_mov_b32 s6, -1
	s_mov_b32 s7, 0
	s_waitcnt vmcnt(0)
	v_clz_i32_u32_e32 v6, v12
	s_delay_alu instid0(VALU_DEP_1) | instskip(NEXT) | instid1(VALU_DEP_1)
	v_min_u32_e32 v6, 32, v6
	v_lshlrev_b64 v[11:12], v6, v[11:12]
	v_sub_nc_u32_e32 v6, 32, v6
	s_delay_alu instid0(VALU_DEP_2) | instskip(NEXT) | instid1(VALU_DEP_1)
	v_min_u32_e32 v11, 1, v11
	v_or_b32_e32 v11, v12, v11
	s_delay_alu instid0(VALU_DEP_1) | instskip(NEXT) | instid1(VALU_DEP_1)
	v_cvt_f32_u32_e32 v11, v11
	v_ldexp_f32 v6, v11, v6
	s_delay_alu instid0(VALU_DEP_1) | instskip(NEXT) | instid1(VALU_DEP_1)
	v_bfe_u32 v11, v6, 16, 1
	v_add3_u32 v6, v6, v11, 0x7fff
	s_delay_alu instid0(VALU_DEP_1)
	v_lshrrev_b32_e32 v11, 16, v6
	s_branch .LBB105_1554
.LBB105_1552:
	s_mov_b32 s2, -1
                                        ; implicit-def: $vgpr11
.LBB105_1553:
	s_mov_b32 s7, 0
.LBB105_1554:
	s_delay_alu instid0(SALU_CYCLE_1)
	s_and_b32 vcc_lo, exec_lo, s7
	s_cbranch_vccz .LBB105_1572
; %bb.1555:
	v_cmp_gt_i16_e32 vcc_lo, 27, v9
	s_cbranch_vccnz .LBB105_1558
; %bb.1556:
	v_cmp_lt_i16_e32 vcc_lo, 27, v9
	s_cbranch_vccz .LBB105_1559
; %bb.1557:
	global_load_b32 v6, v[4:5], off
	s_mov_b32 s6, 0
	s_waitcnt vmcnt(0)
	v_cvt_f32_u32_e32 v6, v6
	s_delay_alu instid0(VALU_DEP_1) | instskip(NEXT) | instid1(VALU_DEP_1)
	v_bfe_u32 v11, v6, 16, 1
	v_add3_u32 v6, v6, v11, 0x7fff
	s_delay_alu instid0(VALU_DEP_1)
	v_lshrrev_b32_e32 v11, 16, v6
	s_branch .LBB105_1560
.LBB105_1558:
	s_mov_b32 s6, -1
                                        ; implicit-def: $vgpr11
	s_branch .LBB105_1563
.LBB105_1559:
	s_mov_b32 s6, -1
                                        ; implicit-def: $vgpr11
.LBB105_1560:
	s_delay_alu instid0(SALU_CYCLE_1)
	s_and_not1_b32 vcc_lo, exec_lo, s6
	s_cbranch_vccnz .LBB105_1562
; %bb.1561:
	global_load_u16 v6, v[4:5], off
	s_waitcnt vmcnt(0)
	v_cvt_f32_u32_e32 v6, v6
	s_delay_alu instid0(VALU_DEP_1) | instskip(NEXT) | instid1(VALU_DEP_1)
	v_bfe_u32 v11, v6, 16, 1
	v_add3_u32 v6, v6, v11, 0x7fff
	s_delay_alu instid0(VALU_DEP_1)
	v_lshrrev_b32_e32 v11, 16, v6
.LBB105_1562:
	s_mov_b32 s6, 0
.LBB105_1563:
	s_delay_alu instid0(SALU_CYCLE_1)
	s_and_not1_b32 vcc_lo, exec_lo, s6
	s_cbranch_vccnz .LBB105_1571
; %bb.1564:
	global_load_u8 v6, v[4:5], off
	s_mov_b32 s6, 0
	s_mov_b32 s10, exec_lo
                                        ; implicit-def: $sgpr7
	s_waitcnt vmcnt(0)
	v_cmpx_lt_i16_e32 0x7f, v6
	s_xor_b32 s10, exec_lo, s10
	s_cbranch_execz .LBB105_1585
; %bb.1565:
	s_mov_b32 s6, -1
	s_mov_b32 s11, exec_lo
                                        ; implicit-def: $sgpr7
	v_cmpx_eq_u16_e32 0x80, v6
; %bb.1566:
	s_mov_b32 s7, 0x7f800001
	s_xor_b32 s6, exec_lo, -1
; %bb.1567:
	s_or_b32 exec_lo, exec_lo, s11
	s_delay_alu instid0(SALU_CYCLE_1)
	s_and_b32 s6, s6, exec_lo
	s_or_saveexec_b32 s10, s10
	v_mov_b32_e32 v11, s7
	s_xor_b32 exec_lo, exec_lo, s10
	s_cbranch_execnz .LBB105_1586
.LBB105_1568:
	s_or_b32 exec_lo, exec_lo, s10
	s_and_saveexec_b32 s7, s6
	s_cbranch_execz .LBB105_1570
.LBB105_1569:
	v_and_b32_e32 v11, 0xffff, v6
	v_lshlrev_b32_e32 v6, 24, v6
	s_delay_alu instid0(VALU_DEP_2) | instskip(NEXT) | instid1(VALU_DEP_2)
	v_and_b32_e32 v12, 7, v11
	v_and_b32_e32 v6, 0x80000000, v6
	s_delay_alu instid0(VALU_DEP_2) | instskip(NEXT) | instid1(VALU_DEP_1)
	v_clz_i32_u32_e32 v13, v12
	v_min_u32_e32 v13, 32, v13
	s_delay_alu instid0(VALU_DEP_1) | instskip(SKIP_1) | instid1(VALU_DEP_2)
	v_subrev_nc_u32_e32 v14, 28, v13
	v_sub_nc_u32_e32 v13, 29, v13
	v_lshlrev_b32_e32 v14, v14, v11
	v_bfe_u32 v11, v11, 3, 4
	s_delay_alu instid0(VALU_DEP_2) | instskip(NEXT) | instid1(VALU_DEP_2)
	v_and_b32_e32 v14, 7, v14
	v_cmp_eq_u32_e32 vcc_lo, 0, v11
	s_delay_alu instid0(VALU_DEP_2) | instskip(NEXT) | instid1(VALU_DEP_1)
	v_dual_cndmask_b32 v11, v11, v13 :: v_dual_cndmask_b32 v12, v12, v14
	v_lshl_add_u32 v11, v11, 23, 0x3b800000
	s_delay_alu instid0(VALU_DEP_2) | instskip(NEXT) | instid1(VALU_DEP_1)
	v_lshlrev_b32_e32 v12, 20, v12
	v_or3_b32 v11, v6, v11, v12
.LBB105_1570:
	s_or_b32 exec_lo, exec_lo, s7
	s_delay_alu instid0(VALU_DEP_1) | instskip(SKIP_1) | instid1(VALU_DEP_2)
	v_bfe_u32 v6, v11, 16, 1
	v_cmp_o_f32_e32 vcc_lo, v11, v11
	v_add3_u32 v6, v11, v6, 0x7fff
	s_delay_alu instid0(VALU_DEP_1) | instskip(NEXT) | instid1(VALU_DEP_1)
	v_lshrrev_b32_e32 v6, 16, v6
	v_cndmask_b32_e32 v11, 0x7fc0, v6, vcc_lo
.LBB105_1571:
	s_mov_b32 s6, -1
.LBB105_1572:
	s_mov_b32 s7, 0
.LBB105_1573:
	s_delay_alu instid0(SALU_CYCLE_1)
	s_and_b32 vcc_lo, exec_lo, s7
	s_cbranch_vccz .LBB105_1606
; %bb.1574:
	v_cmp_lt_i16_e32 vcc_lo, 22, v9
	s_cbranch_vccz .LBB105_1584
; %bb.1575:
	v_cmp_gt_i16_e32 vcc_lo, 24, v9
	s_cbranch_vccnz .LBB105_1587
; %bb.1576:
	v_cmp_lt_i16_e32 vcc_lo, 24, v9
	s_cbranch_vccz .LBB105_1588
; %bb.1577:
	global_load_u8 v6, v[4:5], off
	s_mov_b32 s7, exec_lo
                                        ; implicit-def: $sgpr6
	s_waitcnt vmcnt(0)
	v_cmpx_lt_i16_e32 0x7f, v6
	s_xor_b32 s7, exec_lo, s7
	s_cbranch_execz .LBB105_1600
; %bb.1578:
	s_mov_b32 s3, -1
	s_mov_b32 s10, exec_lo
                                        ; implicit-def: $sgpr6
	v_cmpx_eq_u16_e32 0x80, v6
; %bb.1579:
	s_mov_b32 s6, 0x7f800001
	s_xor_b32 s3, exec_lo, -1
; %bb.1580:
	s_or_b32 exec_lo, exec_lo, s10
	s_delay_alu instid0(SALU_CYCLE_1)
	s_and_b32 s3, s3, exec_lo
	s_or_saveexec_b32 s7, s7
	v_mov_b32_e32 v11, s6
	s_xor_b32 exec_lo, exec_lo, s7
	s_cbranch_execnz .LBB105_1601
.LBB105_1581:
	s_or_b32 exec_lo, exec_lo, s7
	s_and_saveexec_b32 s6, s3
	s_cbranch_execz .LBB105_1583
.LBB105_1582:
	v_and_b32_e32 v11, 0xffff, v6
	v_lshlrev_b32_e32 v6, 24, v6
	s_delay_alu instid0(VALU_DEP_2) | instskip(NEXT) | instid1(VALU_DEP_2)
	v_and_b32_e32 v12, 3, v11
	v_and_b32_e32 v6, 0x80000000, v6
	s_delay_alu instid0(VALU_DEP_2) | instskip(NEXT) | instid1(VALU_DEP_1)
	v_clz_i32_u32_e32 v13, v12
	v_min_u32_e32 v13, 32, v13
	s_delay_alu instid0(VALU_DEP_1) | instskip(SKIP_1) | instid1(VALU_DEP_2)
	v_subrev_nc_u32_e32 v14, 29, v13
	v_sub_nc_u32_e32 v13, 30, v13
	v_lshlrev_b32_e32 v14, v14, v11
	v_bfe_u32 v11, v11, 2, 5
	s_delay_alu instid0(VALU_DEP_2) | instskip(NEXT) | instid1(VALU_DEP_2)
	v_and_b32_e32 v14, 3, v14
	v_cmp_eq_u32_e32 vcc_lo, 0, v11
	s_delay_alu instid0(VALU_DEP_2) | instskip(NEXT) | instid1(VALU_DEP_1)
	v_dual_cndmask_b32 v11, v11, v13 :: v_dual_cndmask_b32 v12, v12, v14
	v_lshl_add_u32 v11, v11, 23, 0x37800000
	s_delay_alu instid0(VALU_DEP_2) | instskip(NEXT) | instid1(VALU_DEP_1)
	v_lshlrev_b32_e32 v12, 21, v12
	v_or3_b32 v11, v6, v11, v12
.LBB105_1583:
	s_or_b32 exec_lo, exec_lo, s6
	s_delay_alu instid0(VALU_DEP_1) | instskip(SKIP_2) | instid1(VALU_DEP_2)
	v_bfe_u32 v6, v11, 16, 1
	v_cmp_o_f32_e32 vcc_lo, v11, v11
	s_mov_b32 s3, 0
	v_add3_u32 v6, v11, v6, 0x7fff
	s_delay_alu instid0(VALU_DEP_1) | instskip(NEXT) | instid1(VALU_DEP_1)
	v_lshrrev_b32_e32 v6, 16, v6
	v_cndmask_b32_e32 v11, 0x7fc0, v6, vcc_lo
	s_branch .LBB105_1589
.LBB105_1584:
	s_mov_b32 s3, -1
                                        ; implicit-def: $vgpr11
	s_branch .LBB105_1595
.LBB105_1585:
	s_or_saveexec_b32 s10, s10
	v_mov_b32_e32 v11, s7
	s_xor_b32 exec_lo, exec_lo, s10
	s_cbranch_execz .LBB105_1568
.LBB105_1586:
	v_cmp_ne_u16_e32 vcc_lo, 0, v6
	v_mov_b32_e32 v11, 0
	s_and_not1_b32 s6, s6, exec_lo
	s_and_b32 s7, vcc_lo, exec_lo
	s_delay_alu instid0(SALU_CYCLE_1)
	s_or_b32 s6, s6, s7
	s_or_b32 exec_lo, exec_lo, s10
	s_and_saveexec_b32 s7, s6
	s_cbranch_execnz .LBB105_1569
	s_branch .LBB105_1570
.LBB105_1587:
	s_mov_b32 s3, -1
                                        ; implicit-def: $vgpr11
	s_branch .LBB105_1592
.LBB105_1588:
	s_mov_b32 s3, -1
                                        ; implicit-def: $vgpr11
.LBB105_1589:
	s_delay_alu instid0(SALU_CYCLE_1)
	s_and_b32 vcc_lo, exec_lo, s3
	s_cbranch_vccz .LBB105_1591
; %bb.1590:
	global_load_u8 v6, v[4:5], off
	s_waitcnt vmcnt(0)
	v_lshlrev_b32_e32 v6, 24, v6
	s_delay_alu instid0(VALU_DEP_1) | instskip(NEXT) | instid1(VALU_DEP_1)
	v_and_b32_e32 v11, 0x7f000000, v6
	v_clz_i32_u32_e32 v12, v11
	v_add_nc_u32_e32 v14, 0x1000000, v11
	v_cmp_ne_u32_e32 vcc_lo, 0, v11
	s_delay_alu instid0(VALU_DEP_3) | instskip(NEXT) | instid1(VALU_DEP_1)
	v_min_u32_e32 v12, 32, v12
	v_sub_nc_u32_e64 v12, v12, 4 clamp
	s_delay_alu instid0(VALU_DEP_1) | instskip(SKIP_1) | instid1(VALU_DEP_2)
	v_lshlrev_b32_e32 v13, v12, v11
	v_lshlrev_b32_e32 v12, 23, v12
	v_lshrrev_b32_e32 v13, 4, v13
	s_delay_alu instid0(VALU_DEP_1) | instskip(SKIP_1) | instid1(VALU_DEP_2)
	v_sub_nc_u32_e32 v12, v13, v12
	v_ashrrev_i32_e32 v13, 8, v14
	v_add_nc_u32_e32 v12, 0x3c000000, v12
	s_delay_alu instid0(VALU_DEP_1) | instskip(NEXT) | instid1(VALU_DEP_1)
	v_and_or_b32 v12, 0x7f800000, v13, v12
	v_cndmask_b32_e32 v11, 0, v12, vcc_lo
	s_delay_alu instid0(VALU_DEP_1) | instskip(SKIP_1) | instid1(VALU_DEP_2)
	v_and_or_b32 v6, 0x80000000, v6, v11
	v_bfe_u32 v11, v11, 16, 1
	v_cmp_o_f32_e32 vcc_lo, v6, v6
	s_delay_alu instid0(VALU_DEP_2) | instskip(NEXT) | instid1(VALU_DEP_1)
	v_add3_u32 v11, v6, v11, 0x7fff
	v_lshrrev_b32_e32 v11, 16, v11
	s_delay_alu instid0(VALU_DEP_1)
	v_cndmask_b32_e32 v11, 0x7fc0, v11, vcc_lo
.LBB105_1591:
	s_mov_b32 s3, 0
.LBB105_1592:
	s_delay_alu instid0(SALU_CYCLE_1)
	s_and_not1_b32 vcc_lo, exec_lo, s3
	s_cbranch_vccnz .LBB105_1594
; %bb.1593:
	global_load_u8 v6, v[4:5], off
	s_waitcnt vmcnt(0)
	v_lshlrev_b32_e32 v11, 25, v6
	v_lshlrev_b16 v6, 8, v6
	s_delay_alu instid0(VALU_DEP_2) | instskip(NEXT) | instid1(VALU_DEP_2)
	v_lshrrev_b32_e32 v12, 4, v11
	v_and_or_b32 v13, 0x7f00, v6, 0.5
	v_bfe_i32 v6, v6, 0, 16
	s_delay_alu instid0(VALU_DEP_3) | instskip(NEXT) | instid1(VALU_DEP_1)
	v_or_b32_e32 v12, 0x70000000, v12
	v_dual_add_f32 v13, -0.5, v13 :: v_dual_mul_f32 v12, 0x7800000, v12
	v_cmp_gt_u32_e32 vcc_lo, 0x8000000, v11
	s_delay_alu instid0(VALU_DEP_2) | instskip(NEXT) | instid1(VALU_DEP_1)
	v_cndmask_b32_e32 v11, v12, v13, vcc_lo
	v_and_or_b32 v6, 0x80000000, v6, v11
	v_bfe_u32 v11, v11, 16, 1
	s_delay_alu instid0(VALU_DEP_2) | instskip(NEXT) | instid1(VALU_DEP_2)
	v_cmp_o_f32_e32 vcc_lo, v6, v6
	v_add3_u32 v11, v6, v11, 0x7fff
	s_delay_alu instid0(VALU_DEP_1) | instskip(NEXT) | instid1(VALU_DEP_1)
	v_lshrrev_b32_e32 v11, 16, v11
	v_cndmask_b32_e32 v11, 0x7fc0, v11, vcc_lo
.LBB105_1594:
	s_mov_b32 s3, 0
	s_mov_b32 s6, -1
.LBB105_1595:
	s_and_not1_b32 vcc_lo, exec_lo, s3
	s_mov_b32 s3, 0
	s_cbranch_vccnz .LBB105_1606
; %bb.1596:
	v_cmp_lt_i16_e32 vcc_lo, 14, v9
	s_cbranch_vccz .LBB105_1599
; %bb.1597:
	v_cmp_eq_u16_e32 vcc_lo, 15, v9
	s_cbranch_vccz .LBB105_1602
; %bb.1598:
	global_load_u16 v11, v[4:5], off
	s_mov_b32 s2, 0
	s_mov_b32 s6, -1
	s_branch .LBB105_1604
.LBB105_1599:
	s_mov_b32 s3, -1
	s_branch .LBB105_1603
.LBB105_1600:
	s_or_saveexec_b32 s7, s7
	v_mov_b32_e32 v11, s6
	s_xor_b32 exec_lo, exec_lo, s7
	s_cbranch_execz .LBB105_1581
.LBB105_1601:
	v_cmp_ne_u16_e32 vcc_lo, 0, v6
	v_mov_b32_e32 v11, 0
	s_and_not1_b32 s3, s3, exec_lo
	s_and_b32 s6, vcc_lo, exec_lo
	s_delay_alu instid0(SALU_CYCLE_1)
	s_or_b32 s3, s3, s6
	s_or_b32 exec_lo, exec_lo, s7
	s_and_saveexec_b32 s6, s3
	s_cbranch_execnz .LBB105_1582
	s_branch .LBB105_1583
.LBB105_1602:
	s_mov_b32 s2, -1
.LBB105_1603:
                                        ; implicit-def: $vgpr11
.LBB105_1604:
	s_and_b32 vcc_lo, exec_lo, s3
	s_mov_b32 s3, 0
	s_cbranch_vccz .LBB105_1606
; %bb.1605:
	v_cmp_ne_u16_e64 s2, 11, v9
	s_mov_b32 s3, -1
                                        ; implicit-def: $vgpr11
.LBB105_1606:
	s_delay_alu instid0(VALU_DEP_1)
	s_and_b32 vcc_lo, exec_lo, s2
	s_cbranch_vccnz .LBB105_2135
; %bb.1607:
	s_and_not1_b32 vcc_lo, exec_lo, s3
	s_cbranch_vccnz .LBB105_1609
.LBB105_1608:
	global_load_u8 v6, v[4:5], off
	s_mov_b32 s6, -1
	s_waitcnt vmcnt(0)
	v_cmp_ne_u16_e32 vcc_lo, 0, v6
	v_cndmask_b32_e64 v6, 0, 1.0, vcc_lo
	s_delay_alu instid0(VALU_DEP_1)
	v_lshrrev_b32_e32 v11, 16, v6
.LBB105_1609:
	s_mov_b32 s2, 0
.LBB105_1610:
	s_delay_alu instid0(SALU_CYCLE_1)
	s_and_b32 vcc_lo, exec_lo, s2
	s_cbranch_vccz .LBB105_1659
; %bb.1611:
	v_cmp_gt_i16_e32 vcc_lo, 5, v9
	s_cbranch_vccnz .LBB105_1616
; %bb.1612:
	v_cmp_gt_i16_e32 vcc_lo, 8, v9
	s_cbranch_vccnz .LBB105_1617
	;; [unrolled: 3-line block ×3, first 2 shown]
; %bb.1614:
	v_cmp_lt_i16_e32 vcc_lo, 9, v9
	s_cbranch_vccz .LBB105_1619
; %bb.1615:
	global_load_b64 v[11:12], v[4:5], off
	s_mov_b32 s2, 0
	s_waitcnt vmcnt(0)
	v_cvt_f32_f64_e32 v6, v[11:12]
	s_delay_alu instid0(VALU_DEP_1) | instskip(SKIP_1) | instid1(VALU_DEP_2)
	v_bfe_u32 v11, v6, 16, 1
	v_cmp_o_f32_e32 vcc_lo, v6, v6
	v_add3_u32 v11, v6, v11, 0x7fff
	s_delay_alu instid0(VALU_DEP_1) | instskip(NEXT) | instid1(VALU_DEP_1)
	v_lshrrev_b32_e32 v11, 16, v11
	v_cndmask_b32_e32 v11, 0x7fc0, v11, vcc_lo
	s_branch .LBB105_1620
.LBB105_1616:
	s_mov_b32 s2, -1
                                        ; implicit-def: $vgpr11
	s_branch .LBB105_1638
.LBB105_1617:
	s_mov_b32 s2, -1
                                        ; implicit-def: $vgpr11
	s_branch .LBB105_1626
.LBB105_1618:
	s_mov_b32 s2, -1
                                        ; implicit-def: $vgpr11
	s_branch .LBB105_1623
.LBB105_1619:
	s_mov_b32 s2, -1
                                        ; implicit-def: $vgpr11
.LBB105_1620:
	s_delay_alu instid0(SALU_CYCLE_1)
	s_and_not1_b32 vcc_lo, exec_lo, s2
	s_cbranch_vccnz .LBB105_1622
; %bb.1621:
	global_load_b32 v6, v[4:5], off
	s_waitcnt vmcnt(0)
	v_bfe_u32 v11, v6, 16, 1
	v_cmp_o_f32_e32 vcc_lo, v6, v6
	s_delay_alu instid0(VALU_DEP_2) | instskip(NEXT) | instid1(VALU_DEP_1)
	v_add3_u32 v11, v6, v11, 0x7fff
	v_lshrrev_b32_e32 v11, 16, v11
	s_delay_alu instid0(VALU_DEP_1)
	v_cndmask_b32_e32 v11, 0x7fc0, v11, vcc_lo
.LBB105_1622:
	s_mov_b32 s2, 0
.LBB105_1623:
	s_delay_alu instid0(SALU_CYCLE_1)
	s_and_not1_b32 vcc_lo, exec_lo, s2
	s_cbranch_vccnz .LBB105_1625
; %bb.1624:
	global_load_b32 v6, v[4:5], off
	s_waitcnt vmcnt(0)
	v_cvt_f32_f16_e32 v11, v6
	v_cmp_o_f16_e32 vcc_lo, v6, v6
	s_delay_alu instid0(VALU_DEP_2) | instskip(NEXT) | instid1(VALU_DEP_1)
	v_bfe_u32 v12, v11, 16, 1
	v_add3_u32 v11, v11, v12, 0x7fff
	s_delay_alu instid0(VALU_DEP_1) | instskip(NEXT) | instid1(VALU_DEP_1)
	v_lshrrev_b32_e32 v11, 16, v11
	v_cndmask_b32_e32 v11, 0x7fc0, v11, vcc_lo
.LBB105_1625:
	s_mov_b32 s2, 0
.LBB105_1626:
	s_delay_alu instid0(SALU_CYCLE_1)
	s_and_not1_b32 vcc_lo, exec_lo, s2
	s_cbranch_vccnz .LBB105_1637
; %bb.1627:
	v_cmp_gt_i16_e32 vcc_lo, 6, v9
	s_cbranch_vccnz .LBB105_1630
; %bb.1628:
	v_cmp_lt_i16_e32 vcc_lo, 6, v9
	s_cbranch_vccz .LBB105_1631
; %bb.1629:
	global_load_b64 v[11:12], v[4:5], off
	s_mov_b32 s2, 0
	s_waitcnt vmcnt(0)
	v_cvt_f32_f64_e32 v6, v[11:12]
	s_delay_alu instid0(VALU_DEP_1) | instskip(SKIP_1) | instid1(VALU_DEP_2)
	v_bfe_u32 v11, v6, 16, 1
	v_cmp_o_f32_e32 vcc_lo, v6, v6
	v_add3_u32 v11, v6, v11, 0x7fff
	s_delay_alu instid0(VALU_DEP_1) | instskip(NEXT) | instid1(VALU_DEP_1)
	v_lshrrev_b32_e32 v11, 16, v11
	v_cndmask_b32_e32 v11, 0x7fc0, v11, vcc_lo
	s_branch .LBB105_1632
.LBB105_1630:
	s_mov_b32 s2, -1
                                        ; implicit-def: $vgpr11
	s_branch .LBB105_1635
.LBB105_1631:
	s_mov_b32 s2, -1
                                        ; implicit-def: $vgpr11
.LBB105_1632:
	s_delay_alu instid0(SALU_CYCLE_1)
	s_and_not1_b32 vcc_lo, exec_lo, s2
	s_cbranch_vccnz .LBB105_1634
; %bb.1633:
	global_load_b32 v6, v[4:5], off
	s_waitcnt vmcnt(0)
	v_bfe_u32 v11, v6, 16, 1
	v_cmp_o_f32_e32 vcc_lo, v6, v6
	s_delay_alu instid0(VALU_DEP_2) | instskip(NEXT) | instid1(VALU_DEP_1)
	v_add3_u32 v11, v6, v11, 0x7fff
	v_lshrrev_b32_e32 v11, 16, v11
	s_delay_alu instid0(VALU_DEP_1)
	v_cndmask_b32_e32 v11, 0x7fc0, v11, vcc_lo
.LBB105_1634:
	s_mov_b32 s2, 0
.LBB105_1635:
	s_delay_alu instid0(SALU_CYCLE_1)
	s_and_not1_b32 vcc_lo, exec_lo, s2
	s_cbranch_vccnz .LBB105_1637
; %bb.1636:
	global_load_u16 v6, v[4:5], off
	s_waitcnt vmcnt(0)
	v_cvt_f32_f16_e32 v11, v6
	v_cmp_o_f16_e32 vcc_lo, v6, v6
	s_delay_alu instid0(VALU_DEP_2) | instskip(NEXT) | instid1(VALU_DEP_1)
	v_bfe_u32 v12, v11, 16, 1
	v_add3_u32 v11, v11, v12, 0x7fff
	s_delay_alu instid0(VALU_DEP_1) | instskip(NEXT) | instid1(VALU_DEP_1)
	v_lshrrev_b32_e32 v11, 16, v11
	v_cndmask_b32_e32 v11, 0x7fc0, v11, vcc_lo
.LBB105_1637:
	s_mov_b32 s2, 0
.LBB105_1638:
	s_delay_alu instid0(SALU_CYCLE_1)
	s_and_not1_b32 vcc_lo, exec_lo, s2
	s_cbranch_vccnz .LBB105_1658
; %bb.1639:
	v_cmp_gt_i16_e32 vcc_lo, 2, v9
	s_cbranch_vccnz .LBB105_1643
; %bb.1640:
	v_cmp_gt_i16_e32 vcc_lo, 3, v9
	s_cbranch_vccnz .LBB105_1644
; %bb.1641:
	v_cmp_lt_i16_e32 vcc_lo, 3, v9
	s_cbranch_vccz .LBB105_1645
; %bb.1642:
	global_load_b64 v[11:12], v[4:5], off
	s_mov_b32 s2, 0
	s_waitcnt vmcnt(0)
	v_xor_b32_e32 v6, v11, v12
	v_cls_i32_e32 v13, v12
	s_delay_alu instid0(VALU_DEP_2) | instskip(NEXT) | instid1(VALU_DEP_2)
	v_ashrrev_i32_e32 v6, 31, v6
	v_add_nc_u32_e32 v13, -1, v13
	s_delay_alu instid0(VALU_DEP_2) | instskip(NEXT) | instid1(VALU_DEP_1)
	v_add_nc_u32_e32 v6, 32, v6
	v_min_u32_e32 v6, v13, v6
	s_delay_alu instid0(VALU_DEP_1) | instskip(SKIP_1) | instid1(VALU_DEP_2)
	v_lshlrev_b64 v[11:12], v6, v[11:12]
	v_sub_nc_u32_e32 v6, 32, v6
	v_min_u32_e32 v11, 1, v11
	s_delay_alu instid0(VALU_DEP_1) | instskip(NEXT) | instid1(VALU_DEP_1)
	v_or_b32_e32 v11, v12, v11
	v_cvt_f32_i32_e32 v11, v11
	s_delay_alu instid0(VALU_DEP_1) | instskip(NEXT) | instid1(VALU_DEP_1)
	v_ldexp_f32 v6, v11, v6
	v_bfe_u32 v11, v6, 16, 1
	s_delay_alu instid0(VALU_DEP_1) | instskip(NEXT) | instid1(VALU_DEP_1)
	v_add3_u32 v6, v6, v11, 0x7fff
	v_lshrrev_b32_e32 v11, 16, v6
	s_branch .LBB105_1646
.LBB105_1643:
	s_mov_b32 s2, -1
                                        ; implicit-def: $vgpr11
	s_branch .LBB105_1652
.LBB105_1644:
	s_mov_b32 s2, -1
                                        ; implicit-def: $vgpr11
	s_branch .LBB105_1649
.LBB105_1645:
	s_mov_b32 s2, -1
                                        ; implicit-def: $vgpr11
.LBB105_1646:
	s_delay_alu instid0(SALU_CYCLE_1)
	s_and_not1_b32 vcc_lo, exec_lo, s2
	s_cbranch_vccnz .LBB105_1648
; %bb.1647:
	global_load_b32 v6, v[4:5], off
	s_waitcnt vmcnt(0)
	v_cvt_f32_i32_e32 v6, v6
	s_delay_alu instid0(VALU_DEP_1) | instskip(NEXT) | instid1(VALU_DEP_1)
	v_bfe_u32 v11, v6, 16, 1
	v_add3_u32 v6, v6, v11, 0x7fff
	s_delay_alu instid0(VALU_DEP_1)
	v_lshrrev_b32_e32 v11, 16, v6
.LBB105_1648:
	s_mov_b32 s2, 0
.LBB105_1649:
	s_delay_alu instid0(SALU_CYCLE_1)
	s_and_not1_b32 vcc_lo, exec_lo, s2
	s_cbranch_vccnz .LBB105_1651
; %bb.1650:
	global_load_i16 v6, v[4:5], off
	s_waitcnt vmcnt(0)
	v_cvt_f32_i32_e32 v6, v6
	s_delay_alu instid0(VALU_DEP_1) | instskip(NEXT) | instid1(VALU_DEP_1)
	v_bfe_u32 v11, v6, 16, 1
	v_add3_u32 v6, v6, v11, 0x7fff
	s_delay_alu instid0(VALU_DEP_1)
	v_lshrrev_b32_e32 v11, 16, v6
.LBB105_1651:
	s_mov_b32 s2, 0
.LBB105_1652:
	s_delay_alu instid0(SALU_CYCLE_1)
	s_and_not1_b32 vcc_lo, exec_lo, s2
	s_cbranch_vccnz .LBB105_1658
; %bb.1653:
	v_cmp_lt_i16_e32 vcc_lo, 0, v9
	s_mov_b32 s2, 0
	s_cbranch_vccz .LBB105_1655
; %bb.1654:
	global_load_i8 v6, v[4:5], off
	s_waitcnt vmcnt(0)
	v_cvt_f32_i32_e32 v6, v6
	s_delay_alu instid0(VALU_DEP_1) | instskip(NEXT) | instid1(VALU_DEP_1)
	v_bfe_u32 v9, v6, 16, 1
	v_add3_u32 v6, v6, v9, 0x7fff
	s_delay_alu instid0(VALU_DEP_1)
	v_lshrrev_b32_e32 v11, 16, v6
	s_branch .LBB105_1656
.LBB105_1655:
	s_mov_b32 s2, -1
                                        ; implicit-def: $vgpr11
.LBB105_1656:
	s_delay_alu instid0(SALU_CYCLE_1)
	s_and_not1_b32 vcc_lo, exec_lo, s2
	s_cbranch_vccnz .LBB105_1658
; %bb.1657:
	global_load_u8 v4, v[4:5], off
	s_waitcnt vmcnt(0)
	v_cvt_f32_ubyte0_e32 v4, v4
	s_delay_alu instid0(VALU_DEP_1) | instskip(NEXT) | instid1(VALU_DEP_1)
	v_bfe_u32 v5, v4, 16, 1
	v_add3_u32 v4, v4, v5, 0x7fff
	s_delay_alu instid0(VALU_DEP_1)
	v_lshrrev_b32_e32 v11, 16, v4
.LBB105_1658:
	s_mov_b32 s6, -1
.LBB105_1659:
	s_delay_alu instid0(SALU_CYCLE_1)
	s_and_not1_b32 vcc_lo, exec_lo, s6
	s_cbranch_vccnz .LBB105_2090
; %bb.1660:
	v_lshlrev_b32_e32 v4, 16, v10
	s_lshr_b32 s0, s0, 8
	s_mov_b32 s3, 0
	s_delay_alu instid0(VALU_DEP_1) | instskip(NEXT) | instid1(VALU_DEP_1)
	v_mul_f32_e32 v5, 0x3fb8aa3b, v4
	v_rndne_f32_e32 v6, v5
	v_fma_f32 v9, 0x3fb8aa3b, v4, -v5
	s_delay_alu instid0(VALU_DEP_2) | instskip(NEXT) | instid1(VALU_DEP_2)
	v_sub_f32_e32 v5, v5, v6
	v_fmamk_f32 v9, v4, 0x32a5705f, v9
	v_cvt_i32_f32_e32 v6, v6
	s_delay_alu instid0(VALU_DEP_2) | instskip(SKIP_1) | instid1(VALU_DEP_2)
	v_add_f32_e32 v5, v5, v9
	v_cmp_ngt_f32_e32 vcc_lo, 0xc2ce8ed0, v4
	v_exp_f32_e32 v5, v5
	s_waitcnt_depctr 0xfff
	v_ldexp_f32 v5, v5, v6
	v_and_b32_e64 v6, 0xff, s0
	v_add_co_u32 v3, s0, s4, v3
	s_delay_alu instid0(VALU_DEP_3) | instskip(SKIP_1) | instid1(VALU_DEP_2)
	v_cndmask_b32_e32 v5, 0, v5, vcc_lo
	v_cmp_nlt_f32_e32 vcc_lo, 0x42b17218, v4
	v_cndmask_b32_e32 v5, 0x7f800000, v5, vcc_lo
	v_cmp_gt_i16_e32 vcc_lo, 11, v6
	s_delay_alu instid0(VALU_DEP_2) | instskip(SKIP_1) | instid1(VALU_DEP_1)
	v_bfe_u32 v4, v5, 16, 1
	s_and_b32 vcc_lo, exec_lo, vcc_lo
	v_add3_u32 v4, v5, v4, 0x7fff
	s_delay_alu instid0(VALU_DEP_1) | instskip(SKIP_2) | instid1(VALU_DEP_1)
	v_lshrrev_b32_e32 v9, 16, v4
	v_add_co_ci_u32_e64 v4, null, s5, 0, s0
	v_cmp_o_f32_e64 s0, v5, v5
	v_cndmask_b32_e64 v5, 0x7fc0, v9, s0
	s_mov_b32 s0, -1
	s_cbranch_vccnz .LBB105_1738
; %bb.1661:
	v_cmp_lt_i16_e32 vcc_lo, 25, v6
	s_mov_b32 s6, -1
	s_mov_b32 s2, 0
	s_mov_b32 s0, 0
	s_cbranch_vccz .LBB105_1694
; %bb.1662:
	v_cmp_lt_i16_e32 vcc_lo, 28, v6
	s_cbranch_vccz .LBB105_1677
; %bb.1663:
	v_cmp_lt_i16_e32 vcc_lo, 43, v6
	;; [unrolled: 3-line block ×3, first 2 shown]
	s_cbranch_vccz .LBB105_1667
; %bb.1665:
	v_cmp_eq_u16_e32 vcc_lo, 46, v6
	s_mov_b32 s0, -1
	s_mov_b32 s6, 0
	s_cbranch_vccz .LBB105_1667
; %bb.1666:
	v_and_b32_e32 v9, 0xffff, v5
	s_mov_b32 s0, 0
	s_mov_b32 s3, -1
	global_store_b32 v[3:4], v9, off
.LBB105_1667:
	s_and_b32 vcc_lo, exec_lo, s6
	s_cbranch_vccz .LBB105_1672
; %bb.1668:
	v_cmp_eq_u16_e32 vcc_lo, 44, v6
	s_mov_b32 s0, -1
	s_cbranch_vccz .LBB105_1672
; %bb.1669:
	v_and_b32_e32 v9, 0xffff, v5
	v_mov_b32_e32 v10, 0xff
	s_mov_b32 s3, exec_lo
	s_delay_alu instid0(VALU_DEP_2) | instskip(NEXT) | instid1(VALU_DEP_1)
	v_bfe_u32 v12, v9, 7, 8
	v_cmpx_ne_u32_e32 0xff, v12
; %bb.1670:
	v_lshlrev_b32_e32 v10, 16, v9
	v_and_b32_e32 v13, 64, v9
	v_lshrrev_b32_e32 v9, 7, v9
	s_delay_alu instid0(VALU_DEP_3) | instskip(NEXT) | instid1(VALU_DEP_3)
	v_and_or_b32 v10, 0x3f0000, v10, v12
	v_cmp_ne_u32_e32 vcc_lo, 0, v13
	s_delay_alu instid0(VALU_DEP_2) | instskip(NEXT) | instid1(VALU_DEP_1)
	v_cmp_ne_u32_e64 s0, 0, v10
	s_and_b32 s0, vcc_lo, s0
	s_delay_alu instid0(SALU_CYCLE_1) | instskip(NEXT) | instid1(VALU_DEP_1)
	v_cndmask_b32_e64 v10, 0, 1, s0
	v_add_nc_u32_e32 v10, v9, v10
; %bb.1671:
	s_or_b32 exec_lo, exec_lo, s3
	s_mov_b32 s0, 0
	s_mov_b32 s3, -1
	global_store_b8 v[3:4], v10, off
.LBB105_1672:
	s_mov_b32 s6, 0
.LBB105_1673:
	s_delay_alu instid0(SALU_CYCLE_1)
	s_and_b32 vcc_lo, exec_lo, s6
	s_cbranch_vccz .LBB105_1676
; %bb.1674:
	v_cmp_eq_u16_e32 vcc_lo, 29, v6
	s_mov_b32 s0, -1
	s_cbranch_vccz .LBB105_1676
; %bb.1675:
	v_lshlrev_b32_e32 v9, 16, v5
	s_mov_b32 s0, 0
	s_mov_b32 s3, -1
	s_delay_alu instid0(VALU_DEP_1) | instskip(NEXT) | instid1(VALU_DEP_1)
	v_trunc_f32_e32 v9, v9
	v_mul_f32_e32 v10, 0x2f800000, v9
	s_delay_alu instid0(VALU_DEP_1) | instskip(NEXT) | instid1(VALU_DEP_1)
	v_floor_f32_e32 v10, v10
	v_fmamk_f32 v9, v10, 0xcf800000, v9
	v_cvt_u32_f32_e32 v10, v10
	s_delay_alu instid0(VALU_DEP_2)
	v_cvt_u32_f32_e32 v9, v9
	global_store_b64 v[3:4], v[9:10], off
.LBB105_1676:
	s_mov_b32 s6, 0
.LBB105_1677:
	s_delay_alu instid0(SALU_CYCLE_1)
	s_and_b32 vcc_lo, exec_lo, s6
	s_cbranch_vccz .LBB105_1693
; %bb.1678:
	v_cmp_gt_i16_e32 vcc_lo, 27, v6
	s_mov_b32 s3, -1
	s_cbranch_vccnz .LBB105_1684
; %bb.1679:
	v_cmp_lt_i16_e32 vcc_lo, 27, v6
	s_cbranch_vccz .LBB105_1681
; %bb.1680:
	v_lshlrev_b32_e32 v9, 16, v5
	s_mov_b32 s3, 0
	s_delay_alu instid0(VALU_DEP_1)
	v_cvt_u32_f32_e32 v9, v9
	global_store_b32 v[3:4], v9, off
.LBB105_1681:
	s_and_not1_b32 vcc_lo, exec_lo, s3
	s_cbranch_vccnz .LBB105_1683
; %bb.1682:
	v_lshlrev_b32_e32 v9, 16, v5
	s_delay_alu instid0(VALU_DEP_1)
	v_cvt_u32_f32_e32 v9, v9
	global_store_b16 v[3:4], v9, off
.LBB105_1683:
	s_mov_b32 s3, 0
.LBB105_1684:
	s_delay_alu instid0(SALU_CYCLE_1)
	s_and_not1_b32 vcc_lo, exec_lo, s3
	s_cbranch_vccnz .LBB105_1692
; %bb.1685:
	v_dual_mov_b32 v13, 0x80 :: v_dual_lshlrev_b32 v12, 16, v5
	s_mov_b32 s3, exec_lo
	s_delay_alu instid0(VALU_DEP_1) | instskip(NEXT) | instid1(VALU_DEP_1)
	v_and_b32_e32 v10, 0x7fffffff, v12
	v_cmpx_gt_u32_e32 0x43800000, v10
	s_cbranch_execz .LBB105_1691
; %bb.1686:
	v_and_b32_e32 v9, 0xffff, v5
	v_cmp_lt_u32_e32 vcc_lo, 0x3bffffff, v10
	s_mov_b32 s6, 0
                                        ; implicit-def: $vgpr10
	s_and_saveexec_b32 s7, vcc_lo
	s_delay_alu instid0(SALU_CYCLE_1)
	s_xor_b32 s7, exec_lo, s7
	s_cbranch_execz .LBB105_2137
; %bb.1687:
	v_bfe_u32 v10, v9, 4, 1
	s_mov_b32 s6, exec_lo
	s_delay_alu instid0(VALU_DEP_1) | instskip(NEXT) | instid1(VALU_DEP_1)
	v_add3_u32 v10, v12, v10, 0x487ffff
                                        ; implicit-def: $vgpr12
	v_lshrrev_b32_e32 v10, 20, v10
	s_or_saveexec_b32 s7, s7
                                        ; implicit-def: $sgpr10
	s_delay_alu instid0(SALU_CYCLE_1)
	s_xor_b32 exec_lo, exec_lo, s7
	s_cbranch_execnz .LBB105_2138
.LBB105_1688:
	s_or_b32 exec_lo, exec_lo, s7
	v_mov_b32_e32 v13, s10
	s_and_saveexec_b32 s7, s6
.LBB105_1689:
	v_lshrrev_b32_e32 v9, 8, v9
	s_delay_alu instid0(VALU_DEP_1)
	v_and_or_b32 v13, 0x80, v9, v10
.LBB105_1690:
	s_or_b32 exec_lo, exec_lo, s7
.LBB105_1691:
	s_delay_alu instid0(SALU_CYCLE_1)
	s_or_b32 exec_lo, exec_lo, s3
	global_store_b8 v[3:4], v13, off
.LBB105_1692:
	s_mov_b32 s3, -1
.LBB105_1693:
	s_mov_b32 s6, 0
.LBB105_1694:
	s_delay_alu instid0(SALU_CYCLE_1)
	s_and_b32 vcc_lo, exec_lo, s6
	s_cbranch_vccz .LBB105_1734
; %bb.1695:
	v_cmp_lt_i16_e32 vcc_lo, 22, v6
	s_mov_b32 s2, -1
	s_cbranch_vccz .LBB105_1727
; %bb.1696:
	v_cmp_gt_i16_e32 vcc_lo, 24, v6
	s_cbranch_vccnz .LBB105_1716
; %bb.1697:
	v_cmp_lt_i16_e32 vcc_lo, 24, v6
	s_cbranch_vccz .LBB105_1705
; %bb.1698:
	v_dual_mov_b32 v13, 0x80 :: v_dual_lshlrev_b32 v12, 16, v5
	s_mov_b32 s2, exec_lo
	s_delay_alu instid0(VALU_DEP_1) | instskip(NEXT) | instid1(VALU_DEP_1)
	v_and_b32_e32 v10, 0x7fffffff, v12
	v_cmpx_gt_u32_e32 0x47800000, v10
	s_cbranch_execz .LBB105_1704
; %bb.1699:
	v_and_b32_e32 v9, 0xffff, v5
	v_cmp_lt_u32_e32 vcc_lo, 0x37ffffff, v10
	s_mov_b32 s3, 0
                                        ; implicit-def: $vgpr10
	s_and_saveexec_b32 s6, vcc_lo
	s_delay_alu instid0(SALU_CYCLE_1)
	s_xor_b32 s6, exec_lo, s6
	s_cbranch_execz .LBB105_2143
; %bb.1700:
	v_bfe_u32 v10, v9, 5, 1
	s_mov_b32 s3, exec_lo
	s_delay_alu instid0(VALU_DEP_1) | instskip(NEXT) | instid1(VALU_DEP_1)
	v_add3_u32 v10, v12, v10, 0x88fffff
                                        ; implicit-def: $vgpr12
	v_lshrrev_b32_e32 v10, 21, v10
	s_or_saveexec_b32 s6, s6
                                        ; implicit-def: $sgpr7
	s_delay_alu instid0(SALU_CYCLE_1)
	s_xor_b32 exec_lo, exec_lo, s6
	s_cbranch_execnz .LBB105_2144
.LBB105_1701:
	s_or_b32 exec_lo, exec_lo, s6
	v_mov_b32_e32 v13, s7
	s_and_saveexec_b32 s6, s3
.LBB105_1702:
	v_lshrrev_b32_e32 v9, 8, v9
	s_delay_alu instid0(VALU_DEP_1)
	v_and_or_b32 v13, 0x80, v9, v10
.LBB105_1703:
	s_or_b32 exec_lo, exec_lo, s6
.LBB105_1704:
	s_delay_alu instid0(SALU_CYCLE_1)
	s_or_b32 exec_lo, exec_lo, s2
	s_mov_b32 s2, 0
	global_store_b8 v[3:4], v13, off
.LBB105_1705:
	s_and_b32 vcc_lo, exec_lo, s2
	s_cbranch_vccz .LBB105_1715
; %bb.1706:
	v_lshlrev_b32_e32 v12, 16, v5
	v_and_b32_e32 v9, 0xffff, v5
	s_mov_b32 s2, exec_lo
                                        ; implicit-def: $vgpr10
	s_delay_alu instid0(VALU_DEP_2) | instskip(NEXT) | instid1(VALU_DEP_1)
	v_and_b32_e32 v13, 0x7fffffff, v12
	v_cmpx_gt_u32_e32 0x43f00000, v13
	s_xor_b32 s2, exec_lo, s2
	s_cbranch_execz .LBB105_1712
; %bb.1707:
	s_mov_b32 s3, exec_lo
                                        ; implicit-def: $vgpr10
	v_cmpx_lt_u32_e32 0x3c7fffff, v13
	s_xor_b32 s3, exec_lo, s3
; %bb.1708:
	v_bfe_u32 v10, v9, 4, 1
	s_delay_alu instid0(VALU_DEP_1) | instskip(NEXT) | instid1(VALU_DEP_1)
	v_add3_u32 v10, v12, v10, 0x407ffff
	v_and_b32_e32 v12, 0xff00000, v10
	v_lshrrev_b32_e32 v10, 20, v10
	s_delay_alu instid0(VALU_DEP_2) | instskip(NEXT) | instid1(VALU_DEP_2)
	v_cmp_ne_u32_e32 vcc_lo, 0x7f00000, v12
                                        ; implicit-def: $vgpr12
	v_cndmask_b32_e32 v10, 0x7e, v10, vcc_lo
; %bb.1709:
	s_and_not1_saveexec_b32 s3, s3
; %bb.1710:
	v_add_f32_e64 v10, 0x46800000, |v12|
; %bb.1711:
	s_or_b32 exec_lo, exec_lo, s3
                                        ; implicit-def: $vgpr13
.LBB105_1712:
	s_and_not1_saveexec_b32 s2, s2
; %bb.1713:
	v_mov_b32_e32 v10, 0x7f
	v_cmp_lt_u32_e32 vcc_lo, 0x7f800000, v13
	s_delay_alu instid0(VALU_DEP_2)
	v_cndmask_b32_e32 v10, 0x7e, v10, vcc_lo
; %bb.1714:
	s_or_b32 exec_lo, exec_lo, s2
	v_lshrrev_b32_e32 v9, 8, v9
	s_delay_alu instid0(VALU_DEP_1)
	v_and_or_b32 v9, 0x80, v9, v10
	global_store_b8 v[3:4], v9, off
.LBB105_1715:
	s_mov_b32 s2, 0
.LBB105_1716:
	s_delay_alu instid0(SALU_CYCLE_1)
	s_and_not1_b32 vcc_lo, exec_lo, s2
	s_cbranch_vccnz .LBB105_1726
; %bb.1717:
	v_lshlrev_b32_e32 v12, 16, v5
	v_and_b32_e32 v9, 0xffff, v5
	s_mov_b32 s2, exec_lo
                                        ; implicit-def: $vgpr10
	s_delay_alu instid0(VALU_DEP_2) | instskip(NEXT) | instid1(VALU_DEP_1)
	v_and_b32_e32 v13, 0x7fffffff, v12
	v_cmpx_gt_u32_e32 0x47800000, v13
	s_xor_b32 s2, exec_lo, s2
	s_cbranch_execz .LBB105_1723
; %bb.1718:
	s_mov_b32 s3, exec_lo
                                        ; implicit-def: $vgpr10
	v_cmpx_lt_u32_e32 0x387fffff, v13
	s_xor_b32 s3, exec_lo, s3
; %bb.1719:
	v_bfe_u32 v10, v9, 5, 1
	s_delay_alu instid0(VALU_DEP_1) | instskip(NEXT) | instid1(VALU_DEP_1)
	v_add3_u32 v10, v12, v10, 0x80fffff
                                        ; implicit-def: $vgpr12
	v_lshrrev_b32_e32 v10, 21, v10
; %bb.1720:
	s_and_not1_saveexec_b32 s3, s3
; %bb.1721:
	v_add_f32_e64 v10, 0x43000000, |v12|
; %bb.1722:
	s_or_b32 exec_lo, exec_lo, s3
                                        ; implicit-def: $vgpr13
.LBB105_1723:
	s_and_not1_saveexec_b32 s2, s2
; %bb.1724:
	v_mov_b32_e32 v10, 0x7f
	v_cmp_lt_u32_e32 vcc_lo, 0x7f800000, v13
	s_delay_alu instid0(VALU_DEP_2)
	v_cndmask_b32_e32 v10, 0x7c, v10, vcc_lo
; %bb.1725:
	s_or_b32 exec_lo, exec_lo, s2
	v_lshrrev_b32_e32 v9, 8, v9
	s_delay_alu instid0(VALU_DEP_1)
	v_and_or_b32 v9, 0x80, v9, v10
	global_store_b8 v[3:4], v9, off
.LBB105_1726:
	s_mov_b32 s2, 0
	s_mov_b32 s3, -1
.LBB105_1727:
	s_and_not1_b32 vcc_lo, exec_lo, s2
	s_mov_b32 s2, 0
	s_cbranch_vccnz .LBB105_1734
; %bb.1728:
	v_cmp_lt_i16_e32 vcc_lo, 14, v6
	s_mov_b32 s2, -1
	s_cbranch_vccz .LBB105_1732
; %bb.1729:
	v_cmp_eq_u16_e32 vcc_lo, 15, v6
	s_mov_b32 s0, -1
	s_cbranch_vccz .LBB105_1731
; %bb.1730:
	s_mov_b32 s0, 0
	s_mov_b32 s3, -1
	global_store_b16 v[3:4], v5, off
.LBB105_1731:
	s_mov_b32 s2, 0
.LBB105_1732:
	s_delay_alu instid0(SALU_CYCLE_1)
	s_and_b32 vcc_lo, exec_lo, s2
	s_mov_b32 s2, 0
	s_cbranch_vccz .LBB105_1734
; %bb.1733:
	v_cmp_ne_u16_e64 s0, 11, v6
	s_mov_b32 s2, -1
.LBB105_1734:
	s_delay_alu instid0(VALU_DEP_1)
	s_and_b32 vcc_lo, exec_lo, s0
	s_cbranch_vccnz .LBB105_2141
; %bb.1735:
	s_and_not1_b32 vcc_lo, exec_lo, s2
	s_cbranch_vccnz .LBB105_1737
.LBB105_1736:
	v_and_b32_e32 v9, 0x7fff, v5
	s_mov_b32 s3, -1
	s_delay_alu instid0(VALU_DEP_1)
	v_cmp_ne_u16_e32 vcc_lo, 0, v9
	v_cndmask_b32_e64 v9, 0, 1, vcc_lo
	global_store_b8 v[3:4], v9, off
.LBB105_1737:
	s_mov_b32 s0, 0
.LBB105_1738:
	s_delay_alu instid0(SALU_CYCLE_1)
	s_and_b32 vcc_lo, exec_lo, s0
	s_cbranch_vccz .LBB105_1777
; %bb.1739:
	v_cmp_gt_i16_e32 vcc_lo, 5, v6
	s_mov_b32 s0, -1
	s_cbranch_vccnz .LBB105_1760
; %bb.1740:
	v_cmp_gt_i16_e32 vcc_lo, 8, v6
	s_cbranch_vccnz .LBB105_1750
; %bb.1741:
	v_cmp_gt_i16_e32 vcc_lo, 9, v6
	s_cbranch_vccnz .LBB105_1747
; %bb.1742:
	v_cmp_lt_i16_e32 vcc_lo, 9, v6
	s_cbranch_vccz .LBB105_1744
; %bb.1743:
	v_dual_mov_b32 v14, 0 :: v_dual_lshlrev_b32 v9, 16, v5
	s_mov_b32 s0, 0
	s_delay_alu instid0(VALU_DEP_1) | instskip(NEXT) | instid1(VALU_DEP_2)
	v_cvt_f64_f32_e32 v[12:13], v9
	v_mov_b32_e32 v15, v14
	global_store_b128 v[3:4], v[12:15], off
.LBB105_1744:
	s_and_not1_b32 vcc_lo, exec_lo, s0
	s_cbranch_vccnz .LBB105_1746
; %bb.1745:
	v_dual_mov_b32 v10, 0 :: v_dual_lshlrev_b32 v9, 16, v5
	global_store_b64 v[3:4], v[9:10], off
.LBB105_1746:
	s_mov_b32 s0, 0
.LBB105_1747:
	s_delay_alu instid0(SALU_CYCLE_1)
	s_and_not1_b32 vcc_lo, exec_lo, s0
	s_cbranch_vccnz .LBB105_1749
; %bb.1748:
	v_lshlrev_b32_e32 v9, 16, v5
	s_delay_alu instid0(VALU_DEP_1) | instskip(NEXT) | instid1(VALU_DEP_1)
	v_cvt_f16_f32_e32 v9, v9
	v_and_b32_e32 v9, 0xffff, v9
	global_store_b32 v[3:4], v9, off
.LBB105_1749:
	s_mov_b32 s0, 0
.LBB105_1750:
	s_delay_alu instid0(SALU_CYCLE_1)
	s_and_not1_b32 vcc_lo, exec_lo, s0
	s_cbranch_vccnz .LBB105_1759
; %bb.1751:
	v_cmp_gt_i16_e32 vcc_lo, 6, v6
	s_mov_b32 s0, -1
	s_cbranch_vccnz .LBB105_1757
; %bb.1752:
	v_cmp_lt_i16_e32 vcc_lo, 6, v6
	s_cbranch_vccz .LBB105_1754
; %bb.1753:
	v_lshlrev_b32_e32 v9, 16, v5
	s_mov_b32 s0, 0
	s_delay_alu instid0(VALU_DEP_1)
	v_cvt_f64_f32_e32 v[9:10], v9
	global_store_b64 v[3:4], v[9:10], off
.LBB105_1754:
	s_and_not1_b32 vcc_lo, exec_lo, s0
	s_cbranch_vccnz .LBB105_1756
; %bb.1755:
	v_lshlrev_b32_e32 v9, 16, v5
	global_store_b32 v[3:4], v9, off
.LBB105_1756:
	s_mov_b32 s0, 0
.LBB105_1757:
	s_delay_alu instid0(SALU_CYCLE_1)
	s_and_not1_b32 vcc_lo, exec_lo, s0
	s_cbranch_vccnz .LBB105_1759
; %bb.1758:
	v_lshlrev_b32_e32 v9, 16, v5
	s_delay_alu instid0(VALU_DEP_1)
	v_cvt_f16_f32_e32 v9, v9
	global_store_b16 v[3:4], v9, off
.LBB105_1759:
	s_mov_b32 s0, 0
.LBB105_1760:
	s_delay_alu instid0(SALU_CYCLE_1)
	s_and_not1_b32 vcc_lo, exec_lo, s0
	s_cbranch_vccnz .LBB105_1776
; %bb.1761:
	v_cmp_gt_i16_e32 vcc_lo, 2, v6
	s_mov_b32 s0, -1
	s_cbranch_vccnz .LBB105_1771
; %bb.1762:
	v_cmp_gt_i16_e32 vcc_lo, 3, v6
	s_cbranch_vccnz .LBB105_1768
; %bb.1763:
	v_cmp_lt_i16_e32 vcc_lo, 3, v6
	s_cbranch_vccz .LBB105_1765
; %bb.1764:
	v_lshlrev_b32_e32 v9, 16, v5
	s_mov_b32 s0, 0
	s_delay_alu instid0(VALU_DEP_1) | instskip(NEXT) | instid1(VALU_DEP_1)
	v_trunc_f32_e32 v9, v9
	v_mul_f32_e64 v10, 0x2f800000, |v9|
	v_ashrrev_i32_e32 v13, 31, v9
	s_delay_alu instid0(VALU_DEP_2) | instskip(NEXT) | instid1(VALU_DEP_1)
	v_floor_f32_e32 v10, v10
	v_fma_f32 v12, 0xcf800000, v10, |v9|
	v_cvt_u32_f32_e32 v10, v10
	s_delay_alu instid0(VALU_DEP_2) | instskip(NEXT) | instid1(VALU_DEP_2)
	v_cvt_u32_f32_e32 v9, v12
	v_xor_b32_e32 v10, v10, v13
	s_delay_alu instid0(VALU_DEP_2) | instskip(NEXT) | instid1(VALU_DEP_1)
	v_xor_b32_e32 v9, v9, v13
	v_sub_co_u32 v9, vcc_lo, v9, v13
	s_delay_alu instid0(VALU_DEP_3)
	v_sub_co_ci_u32_e32 v10, vcc_lo, v10, v13, vcc_lo
	global_store_b64 v[3:4], v[9:10], off
.LBB105_1765:
	s_and_not1_b32 vcc_lo, exec_lo, s0
	s_cbranch_vccnz .LBB105_1767
; %bb.1766:
	v_lshlrev_b32_e32 v9, 16, v5
	s_delay_alu instid0(VALU_DEP_1)
	v_cvt_i32_f32_e32 v9, v9
	global_store_b32 v[3:4], v9, off
.LBB105_1767:
	s_mov_b32 s0, 0
.LBB105_1768:
	s_delay_alu instid0(SALU_CYCLE_1)
	s_and_not1_b32 vcc_lo, exec_lo, s0
	s_cbranch_vccnz .LBB105_1770
; %bb.1769:
	v_lshlrev_b32_e32 v9, 16, v5
	s_delay_alu instid0(VALU_DEP_1)
	v_cvt_i32_f32_e32 v9, v9
	global_store_b16 v[3:4], v9, off
.LBB105_1770:
	s_mov_b32 s0, 0
.LBB105_1771:
	s_delay_alu instid0(SALU_CYCLE_1)
	s_and_not1_b32 vcc_lo, exec_lo, s0
	s_cbranch_vccnz .LBB105_1776
; %bb.1772:
	v_cmp_lt_i16_e32 vcc_lo, 0, v6
	s_mov_b32 s0, -1
	s_cbranch_vccz .LBB105_1774
; %bb.1773:
	v_lshlrev_b32_e32 v9, 16, v5
	s_mov_b32 s0, 0
	s_delay_alu instid0(VALU_DEP_1)
	v_cvt_i32_f32_e32 v9, v9
	global_store_b8 v[3:4], v9, off
.LBB105_1774:
	s_and_not1_b32 vcc_lo, exec_lo, s0
	s_cbranch_vccnz .LBB105_1776
; %bb.1775:
	v_lshlrev_b32_e32 v5, 16, v5
	s_delay_alu instid0(VALU_DEP_1) | instskip(NEXT) | instid1(VALU_DEP_1)
	v_trunc_f32_e32 v5, v5
	v_mul_f32_e64 v9, 0x2f800000, |v5|
	s_delay_alu instid0(VALU_DEP_1) | instskip(NEXT) | instid1(VALU_DEP_1)
	v_floor_f32_e32 v9, v9
	v_fma_f32 v9, 0xcf800000, v9, |v5|
	v_ashrrev_i32_e32 v5, 31, v5
	s_delay_alu instid0(VALU_DEP_2) | instskip(NEXT) | instid1(VALU_DEP_1)
	v_cvt_u32_f32_e32 v9, v9
	v_xor_b32_e32 v9, v9, v5
	s_delay_alu instid0(VALU_DEP_1)
	v_sub_nc_u32_e32 v5, v9, v5
	global_store_b8 v[3:4], v5, off
.LBB105_1776:
	s_mov_b32 s3, -1
.LBB105_1777:
	s_delay_alu instid0(SALU_CYCLE_1)
	s_and_not1_b32 vcc_lo, exec_lo, s3
	s_cbranch_vccnz .LBB105_2090
; %bb.1778:
	s_waitcnt vmcnt(0)
	v_lshlrev_b32_e32 v3, 16, v8
	v_add_co_u32 v2, s0, s4, v2
	s_mov_b32 s3, 0
	s_delay_alu instid0(VALU_DEP_2) | instskip(NEXT) | instid1(VALU_DEP_1)
	v_mul_f32_e32 v4, 0x3fb8aa3b, v3
	v_rndne_f32_e32 v5, v4
	v_fma_f32 v8, 0x3fb8aa3b, v3, -v4
	s_delay_alu instid0(VALU_DEP_2) | instskip(NEXT) | instid1(VALU_DEP_2)
	v_sub_f32_e32 v4, v4, v5
	v_fmamk_f32 v8, v3, 0x32a5705f, v8
	v_cvt_i32_f32_e32 v5, v5
	v_cmp_ngt_f32_e32 vcc_lo, 0xc2ce8ed0, v3
	s_delay_alu instid0(VALU_DEP_3) | instskip(NEXT) | instid1(VALU_DEP_1)
	v_add_f32_e32 v4, v4, v8
	v_exp_f32_e32 v4, v4
	s_waitcnt_depctr 0xfff
	v_ldexp_f32 v4, v4, v5
	s_delay_alu instid0(VALU_DEP_1) | instskip(SKIP_1) | instid1(VALU_DEP_2)
	v_cndmask_b32_e32 v4, 0, v4, vcc_lo
	v_cmp_nlt_f32_e32 vcc_lo, 0x42b17218, v3
	v_cndmask_b32_e32 v4, 0x7f800000, v4, vcc_lo
	v_cmp_gt_i16_e32 vcc_lo, 11, v6
	s_delay_alu instid0(VALU_DEP_2) | instskip(SKIP_1) | instid1(VALU_DEP_1)
	v_bfe_u32 v3, v4, 16, 1
	s_and_b32 vcc_lo, exec_lo, vcc_lo
	v_add3_u32 v3, v4, v3, 0x7fff
	s_delay_alu instid0(VALU_DEP_1) | instskip(SKIP_2) | instid1(VALU_DEP_1)
	v_lshrrev_b32_e32 v5, 16, v3
	v_add_co_ci_u32_e64 v3, null, s5, 0, s0
	v_cmp_o_f32_e64 s0, v4, v4
	v_cndmask_b32_e64 v4, 0x7fc0, v5, s0
	s_mov_b32 s0, -1
	s_cbranch_vccnz .LBB105_1856
; %bb.1779:
	v_cmp_lt_i16_e32 vcc_lo, 25, v6
	s_mov_b32 s6, -1
	s_mov_b32 s2, 0
	s_mov_b32 s0, 0
	s_cbranch_vccz .LBB105_1812
; %bb.1780:
	v_cmp_lt_i16_e32 vcc_lo, 28, v6
	s_cbranch_vccz .LBB105_1795
; %bb.1781:
	v_cmp_lt_i16_e32 vcc_lo, 43, v6
	;; [unrolled: 3-line block ×3, first 2 shown]
	s_cbranch_vccz .LBB105_1785
; %bb.1783:
	v_cmp_eq_u16_e32 vcc_lo, 46, v6
	s_mov_b32 s0, -1
	s_mov_b32 s6, 0
	s_cbranch_vccz .LBB105_1785
; %bb.1784:
	v_and_b32_e32 v5, 0xffff, v4
	s_mov_b32 s0, 0
	s_mov_b32 s3, -1
	global_store_b32 v[2:3], v5, off
.LBB105_1785:
	s_and_b32 vcc_lo, exec_lo, s6
	s_cbranch_vccz .LBB105_1790
; %bb.1786:
	v_cmp_eq_u16_e32 vcc_lo, 44, v6
	s_mov_b32 s0, -1
	s_cbranch_vccz .LBB105_1790
; %bb.1787:
	v_and_b32_e32 v5, 0xffff, v4
	v_mov_b32_e32 v8, 0xff
	s_mov_b32 s3, exec_lo
	s_delay_alu instid0(VALU_DEP_2) | instskip(NEXT) | instid1(VALU_DEP_1)
	v_bfe_u32 v9, v5, 7, 8
	v_cmpx_ne_u32_e32 0xff, v9
; %bb.1788:
	v_lshlrev_b32_e32 v8, 16, v5
	v_and_b32_e32 v10, 64, v5
	v_lshrrev_b32_e32 v5, 7, v5
	s_delay_alu instid0(VALU_DEP_3) | instskip(NEXT) | instid1(VALU_DEP_3)
	v_and_or_b32 v8, 0x3f0000, v8, v9
	v_cmp_ne_u32_e32 vcc_lo, 0, v10
	s_delay_alu instid0(VALU_DEP_2) | instskip(NEXT) | instid1(VALU_DEP_1)
	v_cmp_ne_u32_e64 s0, 0, v8
	s_and_b32 s0, vcc_lo, s0
	s_delay_alu instid0(SALU_CYCLE_1) | instskip(NEXT) | instid1(VALU_DEP_1)
	v_cndmask_b32_e64 v8, 0, 1, s0
	v_add_nc_u32_e32 v8, v5, v8
; %bb.1789:
	s_or_b32 exec_lo, exec_lo, s3
	s_mov_b32 s0, 0
	s_mov_b32 s3, -1
	global_store_b8 v[2:3], v8, off
.LBB105_1790:
	s_mov_b32 s6, 0
.LBB105_1791:
	s_delay_alu instid0(SALU_CYCLE_1)
	s_and_b32 vcc_lo, exec_lo, s6
	s_cbranch_vccz .LBB105_1794
; %bb.1792:
	v_cmp_eq_u16_e32 vcc_lo, 29, v6
	s_mov_b32 s0, -1
	s_cbranch_vccz .LBB105_1794
; %bb.1793:
	v_lshlrev_b32_e32 v5, 16, v4
	s_mov_b32 s0, 0
	s_mov_b32 s3, -1
	s_delay_alu instid0(VALU_DEP_1) | instskip(NEXT) | instid1(VALU_DEP_1)
	v_trunc_f32_e32 v5, v5
	v_mul_f32_e32 v8, 0x2f800000, v5
	s_delay_alu instid0(VALU_DEP_1) | instskip(NEXT) | instid1(VALU_DEP_1)
	v_floor_f32_e32 v8, v8
	v_fmamk_f32 v5, v8, 0xcf800000, v5
	v_cvt_u32_f32_e32 v9, v8
	s_delay_alu instid0(VALU_DEP_2)
	v_cvt_u32_f32_e32 v8, v5
	global_store_b64 v[2:3], v[8:9], off
.LBB105_1794:
	s_mov_b32 s6, 0
.LBB105_1795:
	s_delay_alu instid0(SALU_CYCLE_1)
	s_and_b32 vcc_lo, exec_lo, s6
	s_cbranch_vccz .LBB105_1811
; %bb.1796:
	v_cmp_gt_i16_e32 vcc_lo, 27, v6
	s_mov_b32 s3, -1
	s_cbranch_vccnz .LBB105_1802
; %bb.1797:
	v_cmp_lt_i16_e32 vcc_lo, 27, v6
	s_cbranch_vccz .LBB105_1799
; %bb.1798:
	v_lshlrev_b32_e32 v5, 16, v4
	s_mov_b32 s3, 0
	s_delay_alu instid0(VALU_DEP_1)
	v_cvt_u32_f32_e32 v5, v5
	global_store_b32 v[2:3], v5, off
.LBB105_1799:
	s_and_not1_b32 vcc_lo, exec_lo, s3
	s_cbranch_vccnz .LBB105_1801
; %bb.1800:
	v_lshlrev_b32_e32 v5, 16, v4
	s_delay_alu instid0(VALU_DEP_1)
	v_cvt_u32_f32_e32 v5, v5
	global_store_b16 v[2:3], v5, off
.LBB105_1801:
	s_mov_b32 s3, 0
.LBB105_1802:
	s_delay_alu instid0(SALU_CYCLE_1)
	s_and_not1_b32 vcc_lo, exec_lo, s3
	s_cbranch_vccnz .LBB105_1810
; %bb.1803:
	v_dual_mov_b32 v10, 0x80 :: v_dual_lshlrev_b32 v9, 16, v4
	s_mov_b32 s3, exec_lo
	s_delay_alu instid0(VALU_DEP_1) | instskip(NEXT) | instid1(VALU_DEP_1)
	v_and_b32_e32 v8, 0x7fffffff, v9
	v_cmpx_gt_u32_e32 0x43800000, v8
	s_cbranch_execz .LBB105_1809
; %bb.1804:
	v_and_b32_e32 v5, 0xffff, v4
	v_cmp_lt_u32_e32 vcc_lo, 0x3bffffff, v8
	s_mov_b32 s6, 0
                                        ; implicit-def: $vgpr8
	s_and_saveexec_b32 s7, vcc_lo
	s_delay_alu instid0(SALU_CYCLE_1)
	s_xor_b32 s7, exec_lo, s7
	s_cbranch_execz .LBB105_2145
; %bb.1805:
	v_bfe_u32 v8, v5, 4, 1
	s_mov_b32 s6, exec_lo
	s_delay_alu instid0(VALU_DEP_1) | instskip(NEXT) | instid1(VALU_DEP_1)
	v_add3_u32 v8, v9, v8, 0x487ffff
                                        ; implicit-def: $vgpr9
	v_lshrrev_b32_e32 v8, 20, v8
	s_or_saveexec_b32 s7, s7
                                        ; implicit-def: $sgpr10
	s_delay_alu instid0(SALU_CYCLE_1)
	s_xor_b32 exec_lo, exec_lo, s7
	s_cbranch_execnz .LBB105_2146
.LBB105_1806:
	s_or_b32 exec_lo, exec_lo, s7
	v_mov_b32_e32 v10, s10
	s_and_saveexec_b32 s7, s6
.LBB105_1807:
	v_lshrrev_b32_e32 v5, 8, v5
	s_delay_alu instid0(VALU_DEP_1)
	v_and_or_b32 v10, 0x80, v5, v8
.LBB105_1808:
	s_or_b32 exec_lo, exec_lo, s7
.LBB105_1809:
	s_delay_alu instid0(SALU_CYCLE_1)
	s_or_b32 exec_lo, exec_lo, s3
	global_store_b8 v[2:3], v10, off
.LBB105_1810:
	s_mov_b32 s3, -1
.LBB105_1811:
	s_mov_b32 s6, 0
.LBB105_1812:
	s_delay_alu instid0(SALU_CYCLE_1)
	s_and_b32 vcc_lo, exec_lo, s6
	s_cbranch_vccz .LBB105_1852
; %bb.1813:
	v_cmp_lt_i16_e32 vcc_lo, 22, v6
	s_mov_b32 s2, -1
	s_cbranch_vccz .LBB105_1845
; %bb.1814:
	v_cmp_gt_i16_e32 vcc_lo, 24, v6
	s_cbranch_vccnz .LBB105_1834
; %bb.1815:
	v_cmp_lt_i16_e32 vcc_lo, 24, v6
	s_cbranch_vccz .LBB105_1823
; %bb.1816:
	v_dual_mov_b32 v10, 0x80 :: v_dual_lshlrev_b32 v9, 16, v4
	s_mov_b32 s2, exec_lo
	s_delay_alu instid0(VALU_DEP_1) | instskip(NEXT) | instid1(VALU_DEP_1)
	v_and_b32_e32 v8, 0x7fffffff, v9
	v_cmpx_gt_u32_e32 0x47800000, v8
	s_cbranch_execz .LBB105_1822
; %bb.1817:
	v_and_b32_e32 v5, 0xffff, v4
	v_cmp_lt_u32_e32 vcc_lo, 0x37ffffff, v8
	s_mov_b32 s3, 0
                                        ; implicit-def: $vgpr8
	s_and_saveexec_b32 s6, vcc_lo
	s_delay_alu instid0(SALU_CYCLE_1)
	s_xor_b32 s6, exec_lo, s6
	s_cbranch_execz .LBB105_2151
; %bb.1818:
	v_bfe_u32 v8, v5, 5, 1
	s_mov_b32 s3, exec_lo
	s_delay_alu instid0(VALU_DEP_1) | instskip(NEXT) | instid1(VALU_DEP_1)
	v_add3_u32 v8, v9, v8, 0x88fffff
                                        ; implicit-def: $vgpr9
	v_lshrrev_b32_e32 v8, 21, v8
	s_or_saveexec_b32 s6, s6
                                        ; implicit-def: $sgpr7
	s_delay_alu instid0(SALU_CYCLE_1)
	s_xor_b32 exec_lo, exec_lo, s6
	s_cbranch_execnz .LBB105_2152
.LBB105_1819:
	s_or_b32 exec_lo, exec_lo, s6
	v_mov_b32_e32 v10, s7
	s_and_saveexec_b32 s6, s3
.LBB105_1820:
	v_lshrrev_b32_e32 v5, 8, v5
	s_delay_alu instid0(VALU_DEP_1)
	v_and_or_b32 v10, 0x80, v5, v8
.LBB105_1821:
	s_or_b32 exec_lo, exec_lo, s6
.LBB105_1822:
	s_delay_alu instid0(SALU_CYCLE_1)
	s_or_b32 exec_lo, exec_lo, s2
	s_mov_b32 s2, 0
	global_store_b8 v[2:3], v10, off
.LBB105_1823:
	s_and_b32 vcc_lo, exec_lo, s2
	s_cbranch_vccz .LBB105_1833
; %bb.1824:
	v_lshlrev_b32_e32 v9, 16, v4
	v_and_b32_e32 v5, 0xffff, v4
	s_mov_b32 s2, exec_lo
                                        ; implicit-def: $vgpr8
	s_delay_alu instid0(VALU_DEP_2) | instskip(NEXT) | instid1(VALU_DEP_1)
	v_and_b32_e32 v10, 0x7fffffff, v9
	v_cmpx_gt_u32_e32 0x43f00000, v10
	s_xor_b32 s2, exec_lo, s2
	s_cbranch_execz .LBB105_1830
; %bb.1825:
	s_mov_b32 s3, exec_lo
                                        ; implicit-def: $vgpr8
	v_cmpx_lt_u32_e32 0x3c7fffff, v10
	s_xor_b32 s3, exec_lo, s3
; %bb.1826:
	v_bfe_u32 v8, v5, 4, 1
	s_delay_alu instid0(VALU_DEP_1) | instskip(NEXT) | instid1(VALU_DEP_1)
	v_add3_u32 v8, v9, v8, 0x407ffff
	v_and_b32_e32 v9, 0xff00000, v8
	v_lshrrev_b32_e32 v8, 20, v8
	s_delay_alu instid0(VALU_DEP_2) | instskip(NEXT) | instid1(VALU_DEP_2)
	v_cmp_ne_u32_e32 vcc_lo, 0x7f00000, v9
                                        ; implicit-def: $vgpr9
	v_cndmask_b32_e32 v8, 0x7e, v8, vcc_lo
; %bb.1827:
	s_and_not1_saveexec_b32 s3, s3
; %bb.1828:
	v_add_f32_e64 v8, 0x46800000, |v9|
; %bb.1829:
	s_or_b32 exec_lo, exec_lo, s3
                                        ; implicit-def: $vgpr10
.LBB105_1830:
	s_and_not1_saveexec_b32 s2, s2
; %bb.1831:
	v_mov_b32_e32 v8, 0x7f
	v_cmp_lt_u32_e32 vcc_lo, 0x7f800000, v10
	s_delay_alu instid0(VALU_DEP_2)
	v_cndmask_b32_e32 v8, 0x7e, v8, vcc_lo
; %bb.1832:
	s_or_b32 exec_lo, exec_lo, s2
	v_lshrrev_b32_e32 v5, 8, v5
	s_delay_alu instid0(VALU_DEP_1)
	v_and_or_b32 v5, 0x80, v5, v8
	global_store_b8 v[2:3], v5, off
.LBB105_1833:
	s_mov_b32 s2, 0
.LBB105_1834:
	s_delay_alu instid0(SALU_CYCLE_1)
	s_and_not1_b32 vcc_lo, exec_lo, s2
	s_cbranch_vccnz .LBB105_1844
; %bb.1835:
	v_lshlrev_b32_e32 v9, 16, v4
	v_and_b32_e32 v5, 0xffff, v4
	s_mov_b32 s2, exec_lo
                                        ; implicit-def: $vgpr8
	s_delay_alu instid0(VALU_DEP_2) | instskip(NEXT) | instid1(VALU_DEP_1)
	v_and_b32_e32 v10, 0x7fffffff, v9
	v_cmpx_gt_u32_e32 0x47800000, v10
	s_xor_b32 s2, exec_lo, s2
	s_cbranch_execz .LBB105_1841
; %bb.1836:
	s_mov_b32 s3, exec_lo
                                        ; implicit-def: $vgpr8
	v_cmpx_lt_u32_e32 0x387fffff, v10
	s_xor_b32 s3, exec_lo, s3
; %bb.1837:
	v_bfe_u32 v8, v5, 5, 1
	s_delay_alu instid0(VALU_DEP_1) | instskip(NEXT) | instid1(VALU_DEP_1)
	v_add3_u32 v8, v9, v8, 0x80fffff
                                        ; implicit-def: $vgpr9
	v_lshrrev_b32_e32 v8, 21, v8
; %bb.1838:
	s_and_not1_saveexec_b32 s3, s3
; %bb.1839:
	v_add_f32_e64 v8, 0x43000000, |v9|
; %bb.1840:
	s_or_b32 exec_lo, exec_lo, s3
                                        ; implicit-def: $vgpr10
.LBB105_1841:
	s_and_not1_saveexec_b32 s2, s2
; %bb.1842:
	v_mov_b32_e32 v8, 0x7f
	v_cmp_lt_u32_e32 vcc_lo, 0x7f800000, v10
	s_delay_alu instid0(VALU_DEP_2)
	v_cndmask_b32_e32 v8, 0x7c, v8, vcc_lo
; %bb.1843:
	s_or_b32 exec_lo, exec_lo, s2
	v_lshrrev_b32_e32 v5, 8, v5
	s_delay_alu instid0(VALU_DEP_1)
	v_and_or_b32 v5, 0x80, v5, v8
	global_store_b8 v[2:3], v5, off
.LBB105_1844:
	s_mov_b32 s2, 0
	s_mov_b32 s3, -1
.LBB105_1845:
	s_and_not1_b32 vcc_lo, exec_lo, s2
	s_mov_b32 s2, 0
	s_cbranch_vccnz .LBB105_1852
; %bb.1846:
	v_cmp_lt_i16_e32 vcc_lo, 14, v6
	s_mov_b32 s2, -1
	s_cbranch_vccz .LBB105_1850
; %bb.1847:
	v_cmp_eq_u16_e32 vcc_lo, 15, v6
	s_mov_b32 s0, -1
	s_cbranch_vccz .LBB105_1849
; %bb.1848:
	s_mov_b32 s0, 0
	s_mov_b32 s3, -1
	global_store_b16 v[2:3], v4, off
.LBB105_1849:
	s_mov_b32 s2, 0
.LBB105_1850:
	s_delay_alu instid0(SALU_CYCLE_1)
	s_and_b32 vcc_lo, exec_lo, s2
	s_mov_b32 s2, 0
	s_cbranch_vccz .LBB105_1852
; %bb.1851:
	v_cmp_ne_u16_e64 s0, 11, v6
	s_mov_b32 s2, -1
.LBB105_1852:
	s_delay_alu instid0(VALU_DEP_1)
	s_and_b32 vcc_lo, exec_lo, s0
	s_cbranch_vccnz .LBB105_2149
; %bb.1853:
	s_and_not1_b32 vcc_lo, exec_lo, s2
	s_cbranch_vccnz .LBB105_1855
.LBB105_1854:
	v_and_b32_e32 v5, 0x7fff, v4
	s_mov_b32 s3, -1
	s_delay_alu instid0(VALU_DEP_1)
	v_cmp_ne_u16_e32 vcc_lo, 0, v5
	v_cndmask_b32_e64 v5, 0, 1, vcc_lo
	global_store_b8 v[2:3], v5, off
.LBB105_1855:
	s_mov_b32 s0, 0
.LBB105_1856:
	s_delay_alu instid0(SALU_CYCLE_1)
	s_and_b32 vcc_lo, exec_lo, s0
	s_cbranch_vccz .LBB105_1895
; %bb.1857:
	v_cmp_gt_i16_e32 vcc_lo, 5, v6
	s_mov_b32 s0, -1
	s_cbranch_vccnz .LBB105_1878
; %bb.1858:
	v_cmp_gt_i16_e32 vcc_lo, 8, v6
	s_cbranch_vccnz .LBB105_1868
; %bb.1859:
	v_cmp_gt_i16_e32 vcc_lo, 9, v6
	s_cbranch_vccnz .LBB105_1865
; %bb.1860:
	v_cmp_lt_i16_e32 vcc_lo, 9, v6
	s_cbranch_vccz .LBB105_1862
; %bb.1861:
	v_dual_mov_b32 v14, 0 :: v_dual_lshlrev_b32 v5, 16, v4
	s_mov_b32 s0, 0
	s_delay_alu instid0(VALU_DEP_1) | instskip(NEXT) | instid1(VALU_DEP_2)
	v_cvt_f64_f32_e32 v[12:13], v5
	v_mov_b32_e32 v15, v14
	global_store_b128 v[2:3], v[12:15], off
.LBB105_1862:
	s_and_not1_b32 vcc_lo, exec_lo, s0
	s_cbranch_vccnz .LBB105_1864
; %bb.1863:
	v_dual_mov_b32 v9, 0 :: v_dual_lshlrev_b32 v8, 16, v4
	global_store_b64 v[2:3], v[8:9], off
.LBB105_1864:
	s_mov_b32 s0, 0
.LBB105_1865:
	s_delay_alu instid0(SALU_CYCLE_1)
	s_and_not1_b32 vcc_lo, exec_lo, s0
	s_cbranch_vccnz .LBB105_1867
; %bb.1866:
	v_lshlrev_b32_e32 v5, 16, v4
	s_delay_alu instid0(VALU_DEP_1) | instskip(NEXT) | instid1(VALU_DEP_1)
	v_cvt_f16_f32_e32 v5, v5
	v_and_b32_e32 v5, 0xffff, v5
	global_store_b32 v[2:3], v5, off
.LBB105_1867:
	s_mov_b32 s0, 0
.LBB105_1868:
	s_delay_alu instid0(SALU_CYCLE_1)
	s_and_not1_b32 vcc_lo, exec_lo, s0
	s_cbranch_vccnz .LBB105_1877
; %bb.1869:
	v_cmp_gt_i16_e32 vcc_lo, 6, v6
	s_mov_b32 s0, -1
	s_cbranch_vccnz .LBB105_1875
; %bb.1870:
	v_cmp_lt_i16_e32 vcc_lo, 6, v6
	s_cbranch_vccz .LBB105_1872
; %bb.1871:
	v_lshlrev_b32_e32 v5, 16, v4
	s_mov_b32 s0, 0
	s_delay_alu instid0(VALU_DEP_1)
	v_cvt_f64_f32_e32 v[8:9], v5
	global_store_b64 v[2:3], v[8:9], off
.LBB105_1872:
	s_and_not1_b32 vcc_lo, exec_lo, s0
	s_cbranch_vccnz .LBB105_1874
; %bb.1873:
	v_lshlrev_b32_e32 v5, 16, v4
	global_store_b32 v[2:3], v5, off
.LBB105_1874:
	s_mov_b32 s0, 0
.LBB105_1875:
	s_delay_alu instid0(SALU_CYCLE_1)
	s_and_not1_b32 vcc_lo, exec_lo, s0
	s_cbranch_vccnz .LBB105_1877
; %bb.1876:
	v_lshlrev_b32_e32 v5, 16, v4
	s_delay_alu instid0(VALU_DEP_1)
	v_cvt_f16_f32_e32 v5, v5
	global_store_b16 v[2:3], v5, off
.LBB105_1877:
	s_mov_b32 s0, 0
.LBB105_1878:
	s_delay_alu instid0(SALU_CYCLE_1)
	s_and_not1_b32 vcc_lo, exec_lo, s0
	s_cbranch_vccnz .LBB105_1894
; %bb.1879:
	v_cmp_gt_i16_e32 vcc_lo, 2, v6
	s_mov_b32 s0, -1
	s_cbranch_vccnz .LBB105_1889
; %bb.1880:
	v_cmp_gt_i16_e32 vcc_lo, 3, v6
	s_cbranch_vccnz .LBB105_1886
; %bb.1881:
	v_cmp_lt_i16_e32 vcc_lo, 3, v6
	s_cbranch_vccz .LBB105_1883
; %bb.1882:
	v_lshlrev_b32_e32 v5, 16, v4
	s_mov_b32 s0, 0
	s_delay_alu instid0(VALU_DEP_1) | instskip(NEXT) | instid1(VALU_DEP_1)
	v_trunc_f32_e32 v5, v5
	v_mul_f32_e64 v8, 0x2f800000, |v5|
	s_delay_alu instid0(VALU_DEP_1) | instskip(NEXT) | instid1(VALU_DEP_1)
	v_floor_f32_e32 v8, v8
	v_fma_f32 v9, 0xcf800000, v8, |v5|
	v_ashrrev_i32_e32 v5, 31, v5
	v_cvt_u32_f32_e32 v8, v8
	s_delay_alu instid0(VALU_DEP_3) | instskip(NEXT) | instid1(VALU_DEP_2)
	v_cvt_u32_f32_e32 v9, v9
	v_xor_b32_e32 v10, v8, v5
	s_delay_alu instid0(VALU_DEP_2) | instskip(NEXT) | instid1(VALU_DEP_1)
	v_xor_b32_e32 v9, v9, v5
	v_sub_co_u32 v8, vcc_lo, v9, v5
	s_delay_alu instid0(VALU_DEP_3)
	v_sub_co_ci_u32_e32 v9, vcc_lo, v10, v5, vcc_lo
	global_store_b64 v[2:3], v[8:9], off
.LBB105_1883:
	s_and_not1_b32 vcc_lo, exec_lo, s0
	s_cbranch_vccnz .LBB105_1885
; %bb.1884:
	v_lshlrev_b32_e32 v5, 16, v4
	s_delay_alu instid0(VALU_DEP_1)
	v_cvt_i32_f32_e32 v5, v5
	global_store_b32 v[2:3], v5, off
.LBB105_1885:
	s_mov_b32 s0, 0
.LBB105_1886:
	s_delay_alu instid0(SALU_CYCLE_1)
	s_and_not1_b32 vcc_lo, exec_lo, s0
	s_cbranch_vccnz .LBB105_1888
; %bb.1887:
	v_lshlrev_b32_e32 v5, 16, v4
	s_delay_alu instid0(VALU_DEP_1)
	v_cvt_i32_f32_e32 v5, v5
	global_store_b16 v[2:3], v5, off
.LBB105_1888:
	s_mov_b32 s0, 0
.LBB105_1889:
	s_delay_alu instid0(SALU_CYCLE_1)
	s_and_not1_b32 vcc_lo, exec_lo, s0
	s_cbranch_vccnz .LBB105_1894
; %bb.1890:
	v_cmp_lt_i16_e32 vcc_lo, 0, v6
	v_lshlrev_b32_e32 v4, 16, v4
	s_mov_b32 s0, -1
	s_cbranch_vccz .LBB105_1892
; %bb.1891:
	s_delay_alu instid0(VALU_DEP_1)
	v_cvt_i32_f32_e32 v5, v4
	s_mov_b32 s0, 0
	global_store_b8 v[2:3], v5, off
.LBB105_1892:
	s_and_not1_b32 vcc_lo, exec_lo, s0
	s_cbranch_vccnz .LBB105_1894
; %bb.1893:
	v_trunc_f32_e32 v4, v4
	s_delay_alu instid0(VALU_DEP_1) | instskip(NEXT) | instid1(VALU_DEP_1)
	v_mul_f32_e64 v5, 0x2f800000, |v4|
	v_floor_f32_e32 v5, v5
	s_delay_alu instid0(VALU_DEP_1) | instskip(SKIP_1) | instid1(VALU_DEP_2)
	v_fma_f32 v5, 0xcf800000, v5, |v4|
	v_ashrrev_i32_e32 v4, 31, v4
	v_cvt_u32_f32_e32 v5, v5
	s_delay_alu instid0(VALU_DEP_1) | instskip(NEXT) | instid1(VALU_DEP_1)
	v_xor_b32_e32 v5, v5, v4
	v_sub_nc_u32_e32 v4, v5, v4
	global_store_b8 v[2:3], v4, off
.LBB105_1894:
	s_mov_b32 s3, -1
.LBB105_1895:
	s_delay_alu instid0(SALU_CYCLE_1)
	s_and_not1_b32 vcc_lo, exec_lo, s3
	s_cbranch_vccnz .LBB105_2090
; %bb.1896:
	v_lshlrev_b32_e32 v2, 16, v7
	v_add_co_u32 v1, s0, s4, v1
	s_mov_b32 s3, 0
	s_delay_alu instid0(VALU_DEP_2) | instskip(NEXT) | instid1(VALU_DEP_1)
	v_mul_f32_e32 v3, 0x3fb8aa3b, v2
	v_rndne_f32_e32 v4, v3
	v_fma_f32 v5, 0x3fb8aa3b, v2, -v3
	s_delay_alu instid0(VALU_DEP_2) | instskip(NEXT) | instid1(VALU_DEP_2)
	v_sub_f32_e32 v3, v3, v4
	v_fmamk_f32 v5, v2, 0x32a5705f, v5
	v_cvt_i32_f32_e32 v4, v4
	v_cmp_ngt_f32_e32 vcc_lo, 0xc2ce8ed0, v2
	s_delay_alu instid0(VALU_DEP_3) | instskip(NEXT) | instid1(VALU_DEP_1)
	v_add_f32_e32 v3, v3, v5
	v_exp_f32_e32 v3, v3
	s_waitcnt_depctr 0xfff
	v_ldexp_f32 v3, v3, v4
	s_delay_alu instid0(VALU_DEP_1) | instskip(SKIP_1) | instid1(VALU_DEP_2)
	v_cndmask_b32_e32 v3, 0, v3, vcc_lo
	v_cmp_nlt_f32_e32 vcc_lo, 0x42b17218, v2
	v_cndmask_b32_e32 v3, 0x7f800000, v3, vcc_lo
	v_cmp_gt_i16_e32 vcc_lo, 11, v6
	s_delay_alu instid0(VALU_DEP_2) | instskip(SKIP_1) | instid1(VALU_DEP_1)
	v_bfe_u32 v2, v3, 16, 1
	s_and_b32 vcc_lo, exec_lo, vcc_lo
	v_add3_u32 v2, v3, v2, 0x7fff
	s_delay_alu instid0(VALU_DEP_1) | instskip(SKIP_2) | instid1(VALU_DEP_1)
	v_lshrrev_b32_e32 v4, 16, v2
	v_add_co_ci_u32_e64 v2, null, s5, 0, s0
	v_cmp_o_f32_e64 s0, v3, v3
	v_cndmask_b32_e64 v3, 0x7fc0, v4, s0
	s_mov_b32 s0, -1
	s_cbranch_vccnz .LBB105_1974
; %bb.1897:
	v_cmp_lt_i16_e32 vcc_lo, 25, v6
	s_mov_b32 s6, -1
	s_mov_b32 s2, 0
	s_mov_b32 s0, 0
	s_cbranch_vccz .LBB105_1930
; %bb.1898:
	v_cmp_lt_i16_e32 vcc_lo, 28, v6
	s_cbranch_vccz .LBB105_1913
; %bb.1899:
	v_cmp_lt_i16_e32 vcc_lo, 43, v6
	s_cbranch_vccz .LBB105_1909
; %bb.1900:
	v_cmp_lt_i16_e32 vcc_lo, 45, v6
	s_cbranch_vccz .LBB105_1903
; %bb.1901:
	v_cmp_eq_u16_e32 vcc_lo, 46, v6
	s_mov_b32 s0, -1
	s_mov_b32 s6, 0
	s_cbranch_vccz .LBB105_1903
; %bb.1902:
	v_and_b32_e32 v4, 0xffff, v3
	s_mov_b32 s0, 0
	s_mov_b32 s3, -1
	global_store_b32 v[1:2], v4, off
.LBB105_1903:
	s_and_b32 vcc_lo, exec_lo, s6
	s_cbranch_vccz .LBB105_1908
; %bb.1904:
	v_cmp_eq_u16_e32 vcc_lo, 44, v6
	s_mov_b32 s0, -1
	s_cbranch_vccz .LBB105_1908
; %bb.1905:
	v_and_b32_e32 v4, 0xffff, v3
	v_mov_b32_e32 v5, 0xff
	s_mov_b32 s3, exec_lo
	s_delay_alu instid0(VALU_DEP_2) | instskip(NEXT) | instid1(VALU_DEP_1)
	v_bfe_u32 v7, v4, 7, 8
	v_cmpx_ne_u32_e32 0xff, v7
; %bb.1906:
	v_lshlrev_b32_e32 v5, 16, v4
	v_and_b32_e32 v8, 64, v4
	v_lshrrev_b32_e32 v4, 7, v4
	s_delay_alu instid0(VALU_DEP_3) | instskip(NEXT) | instid1(VALU_DEP_3)
	v_and_or_b32 v5, 0x3f0000, v5, v7
	v_cmp_ne_u32_e32 vcc_lo, 0, v8
	s_delay_alu instid0(VALU_DEP_2) | instskip(NEXT) | instid1(VALU_DEP_1)
	v_cmp_ne_u32_e64 s0, 0, v5
	s_and_b32 s0, vcc_lo, s0
	s_delay_alu instid0(SALU_CYCLE_1) | instskip(NEXT) | instid1(VALU_DEP_1)
	v_cndmask_b32_e64 v5, 0, 1, s0
	v_add_nc_u32_e32 v5, v4, v5
; %bb.1907:
	s_or_b32 exec_lo, exec_lo, s3
	s_mov_b32 s0, 0
	s_mov_b32 s3, -1
	global_store_b8 v[1:2], v5, off
.LBB105_1908:
	s_mov_b32 s6, 0
.LBB105_1909:
	s_delay_alu instid0(SALU_CYCLE_1)
	s_and_b32 vcc_lo, exec_lo, s6
	s_cbranch_vccz .LBB105_1912
; %bb.1910:
	v_cmp_eq_u16_e32 vcc_lo, 29, v6
	s_mov_b32 s0, -1
	s_cbranch_vccz .LBB105_1912
; %bb.1911:
	v_lshlrev_b32_e32 v4, 16, v3
	s_mov_b32 s0, 0
	s_mov_b32 s3, -1
	s_delay_alu instid0(VALU_DEP_1) | instskip(NEXT) | instid1(VALU_DEP_1)
	v_trunc_f32_e32 v4, v4
	v_mul_f32_e32 v5, 0x2f800000, v4
	s_delay_alu instid0(VALU_DEP_1) | instskip(NEXT) | instid1(VALU_DEP_1)
	v_floor_f32_e32 v5, v5
	v_fmamk_f32 v4, v5, 0xcf800000, v4
	v_cvt_u32_f32_e32 v5, v5
	s_delay_alu instid0(VALU_DEP_2)
	v_cvt_u32_f32_e32 v4, v4
	global_store_b64 v[1:2], v[4:5], off
.LBB105_1912:
	s_mov_b32 s6, 0
.LBB105_1913:
	s_delay_alu instid0(SALU_CYCLE_1)
	s_and_b32 vcc_lo, exec_lo, s6
	s_cbranch_vccz .LBB105_1929
; %bb.1914:
	v_cmp_gt_i16_e32 vcc_lo, 27, v6
	s_mov_b32 s3, -1
	s_cbranch_vccnz .LBB105_1920
; %bb.1915:
	v_cmp_lt_i16_e32 vcc_lo, 27, v6
	s_cbranch_vccz .LBB105_1917
; %bb.1916:
	v_lshlrev_b32_e32 v4, 16, v3
	s_mov_b32 s3, 0
	s_delay_alu instid0(VALU_DEP_1)
	v_cvt_u32_f32_e32 v4, v4
	global_store_b32 v[1:2], v4, off
.LBB105_1917:
	s_and_not1_b32 vcc_lo, exec_lo, s3
	s_cbranch_vccnz .LBB105_1919
; %bb.1918:
	v_lshlrev_b32_e32 v4, 16, v3
	s_delay_alu instid0(VALU_DEP_1)
	v_cvt_u32_f32_e32 v4, v4
	global_store_b16 v[1:2], v4, off
.LBB105_1919:
	s_mov_b32 s3, 0
.LBB105_1920:
	s_delay_alu instid0(SALU_CYCLE_1)
	s_and_not1_b32 vcc_lo, exec_lo, s3
	s_cbranch_vccnz .LBB105_1928
; %bb.1921:
	v_dual_mov_b32 v8, 0x80 :: v_dual_lshlrev_b32 v7, 16, v3
	s_mov_b32 s3, exec_lo
	s_delay_alu instid0(VALU_DEP_1) | instskip(NEXT) | instid1(VALU_DEP_1)
	v_and_b32_e32 v5, 0x7fffffff, v7
	v_cmpx_gt_u32_e32 0x43800000, v5
	s_cbranch_execz .LBB105_1927
; %bb.1922:
	v_and_b32_e32 v4, 0xffff, v3
	v_cmp_lt_u32_e32 vcc_lo, 0x3bffffff, v5
	s_mov_b32 s6, 0
                                        ; implicit-def: $vgpr5
	s_and_saveexec_b32 s7, vcc_lo
	s_delay_alu instid0(SALU_CYCLE_1)
	s_xor_b32 s7, exec_lo, s7
	s_cbranch_execz .LBB105_2153
; %bb.1923:
	v_bfe_u32 v5, v4, 4, 1
	s_mov_b32 s6, exec_lo
	s_delay_alu instid0(VALU_DEP_1) | instskip(NEXT) | instid1(VALU_DEP_1)
	v_add3_u32 v5, v7, v5, 0x487ffff
                                        ; implicit-def: $vgpr7
	v_lshrrev_b32_e32 v5, 20, v5
	s_or_saveexec_b32 s7, s7
                                        ; implicit-def: $sgpr10
	s_delay_alu instid0(SALU_CYCLE_1)
	s_xor_b32 exec_lo, exec_lo, s7
	s_cbranch_execnz .LBB105_2154
.LBB105_1924:
	s_or_b32 exec_lo, exec_lo, s7
	v_mov_b32_e32 v8, s10
	s_and_saveexec_b32 s7, s6
.LBB105_1925:
	v_lshrrev_b32_e32 v4, 8, v4
	s_delay_alu instid0(VALU_DEP_1)
	v_and_or_b32 v8, 0x80, v4, v5
.LBB105_1926:
	s_or_b32 exec_lo, exec_lo, s7
.LBB105_1927:
	s_delay_alu instid0(SALU_CYCLE_1)
	s_or_b32 exec_lo, exec_lo, s3
	global_store_b8 v[1:2], v8, off
.LBB105_1928:
	s_mov_b32 s3, -1
.LBB105_1929:
	s_mov_b32 s6, 0
.LBB105_1930:
	s_delay_alu instid0(SALU_CYCLE_1)
	s_and_b32 vcc_lo, exec_lo, s6
	s_cbranch_vccz .LBB105_1970
; %bb.1931:
	v_cmp_lt_i16_e32 vcc_lo, 22, v6
	s_mov_b32 s2, -1
	s_cbranch_vccz .LBB105_1963
; %bb.1932:
	v_cmp_gt_i16_e32 vcc_lo, 24, v6
	s_cbranch_vccnz .LBB105_1952
; %bb.1933:
	v_cmp_lt_i16_e32 vcc_lo, 24, v6
	s_cbranch_vccz .LBB105_1941
; %bb.1934:
	v_dual_mov_b32 v8, 0x80 :: v_dual_lshlrev_b32 v7, 16, v3
	s_mov_b32 s2, exec_lo
	s_delay_alu instid0(VALU_DEP_1) | instskip(NEXT) | instid1(VALU_DEP_1)
	v_and_b32_e32 v5, 0x7fffffff, v7
	v_cmpx_gt_u32_e32 0x47800000, v5
	s_cbranch_execz .LBB105_1940
; %bb.1935:
	v_and_b32_e32 v4, 0xffff, v3
	v_cmp_lt_u32_e32 vcc_lo, 0x37ffffff, v5
	s_mov_b32 s3, 0
                                        ; implicit-def: $vgpr5
	s_and_saveexec_b32 s6, vcc_lo
	s_delay_alu instid0(SALU_CYCLE_1)
	s_xor_b32 s6, exec_lo, s6
	s_cbranch_execz .LBB105_2159
; %bb.1936:
	v_bfe_u32 v5, v4, 5, 1
	s_mov_b32 s3, exec_lo
	s_delay_alu instid0(VALU_DEP_1) | instskip(NEXT) | instid1(VALU_DEP_1)
	v_add3_u32 v5, v7, v5, 0x88fffff
                                        ; implicit-def: $vgpr7
	v_lshrrev_b32_e32 v5, 21, v5
	s_or_saveexec_b32 s6, s6
                                        ; implicit-def: $sgpr7
	s_delay_alu instid0(SALU_CYCLE_1)
	s_xor_b32 exec_lo, exec_lo, s6
	s_cbranch_execnz .LBB105_2160
.LBB105_1937:
	s_or_b32 exec_lo, exec_lo, s6
	v_mov_b32_e32 v8, s7
	s_and_saveexec_b32 s6, s3
.LBB105_1938:
	v_lshrrev_b32_e32 v4, 8, v4
	s_delay_alu instid0(VALU_DEP_1)
	v_and_or_b32 v8, 0x80, v4, v5
.LBB105_1939:
	s_or_b32 exec_lo, exec_lo, s6
.LBB105_1940:
	s_delay_alu instid0(SALU_CYCLE_1)
	s_or_b32 exec_lo, exec_lo, s2
	s_mov_b32 s2, 0
	global_store_b8 v[1:2], v8, off
.LBB105_1941:
	s_and_b32 vcc_lo, exec_lo, s2
	s_cbranch_vccz .LBB105_1951
; %bb.1942:
	v_lshlrev_b32_e32 v7, 16, v3
	v_and_b32_e32 v4, 0xffff, v3
	s_mov_b32 s2, exec_lo
                                        ; implicit-def: $vgpr5
	s_delay_alu instid0(VALU_DEP_2) | instskip(NEXT) | instid1(VALU_DEP_1)
	v_and_b32_e32 v8, 0x7fffffff, v7
	v_cmpx_gt_u32_e32 0x43f00000, v8
	s_xor_b32 s2, exec_lo, s2
	s_cbranch_execz .LBB105_1948
; %bb.1943:
	s_mov_b32 s3, exec_lo
                                        ; implicit-def: $vgpr5
	v_cmpx_lt_u32_e32 0x3c7fffff, v8
	s_xor_b32 s3, exec_lo, s3
; %bb.1944:
	v_bfe_u32 v5, v4, 4, 1
	s_delay_alu instid0(VALU_DEP_1) | instskip(NEXT) | instid1(VALU_DEP_1)
	v_add3_u32 v5, v7, v5, 0x407ffff
	v_and_b32_e32 v7, 0xff00000, v5
	v_lshrrev_b32_e32 v5, 20, v5
	s_delay_alu instid0(VALU_DEP_2) | instskip(NEXT) | instid1(VALU_DEP_2)
	v_cmp_ne_u32_e32 vcc_lo, 0x7f00000, v7
                                        ; implicit-def: $vgpr7
	v_cndmask_b32_e32 v5, 0x7e, v5, vcc_lo
; %bb.1945:
	s_and_not1_saveexec_b32 s3, s3
; %bb.1946:
	v_add_f32_e64 v5, 0x46800000, |v7|
; %bb.1947:
	s_or_b32 exec_lo, exec_lo, s3
                                        ; implicit-def: $vgpr8
.LBB105_1948:
	s_and_not1_saveexec_b32 s2, s2
; %bb.1949:
	v_mov_b32_e32 v5, 0x7f
	v_cmp_lt_u32_e32 vcc_lo, 0x7f800000, v8
	s_delay_alu instid0(VALU_DEP_2)
	v_cndmask_b32_e32 v5, 0x7e, v5, vcc_lo
; %bb.1950:
	s_or_b32 exec_lo, exec_lo, s2
	v_lshrrev_b32_e32 v4, 8, v4
	s_delay_alu instid0(VALU_DEP_1)
	v_and_or_b32 v4, 0x80, v4, v5
	global_store_b8 v[1:2], v4, off
.LBB105_1951:
	s_mov_b32 s2, 0
.LBB105_1952:
	s_delay_alu instid0(SALU_CYCLE_1)
	s_and_not1_b32 vcc_lo, exec_lo, s2
	s_cbranch_vccnz .LBB105_1962
; %bb.1953:
	v_lshlrev_b32_e32 v7, 16, v3
	v_and_b32_e32 v4, 0xffff, v3
	s_mov_b32 s2, exec_lo
                                        ; implicit-def: $vgpr5
	s_delay_alu instid0(VALU_DEP_2) | instskip(NEXT) | instid1(VALU_DEP_1)
	v_and_b32_e32 v8, 0x7fffffff, v7
	v_cmpx_gt_u32_e32 0x47800000, v8
	s_xor_b32 s2, exec_lo, s2
	s_cbranch_execz .LBB105_1959
; %bb.1954:
	s_mov_b32 s3, exec_lo
                                        ; implicit-def: $vgpr5
	v_cmpx_lt_u32_e32 0x387fffff, v8
	s_xor_b32 s3, exec_lo, s3
; %bb.1955:
	v_bfe_u32 v5, v4, 5, 1
	s_delay_alu instid0(VALU_DEP_1) | instskip(NEXT) | instid1(VALU_DEP_1)
	v_add3_u32 v5, v7, v5, 0x80fffff
                                        ; implicit-def: $vgpr7
	v_lshrrev_b32_e32 v5, 21, v5
; %bb.1956:
	s_and_not1_saveexec_b32 s3, s3
; %bb.1957:
	v_add_f32_e64 v5, 0x43000000, |v7|
; %bb.1958:
	s_or_b32 exec_lo, exec_lo, s3
                                        ; implicit-def: $vgpr8
.LBB105_1959:
	s_and_not1_saveexec_b32 s2, s2
; %bb.1960:
	v_mov_b32_e32 v5, 0x7f
	v_cmp_lt_u32_e32 vcc_lo, 0x7f800000, v8
	s_delay_alu instid0(VALU_DEP_2)
	v_cndmask_b32_e32 v5, 0x7c, v5, vcc_lo
; %bb.1961:
	s_or_b32 exec_lo, exec_lo, s2
	v_lshrrev_b32_e32 v4, 8, v4
	s_delay_alu instid0(VALU_DEP_1)
	v_and_or_b32 v4, 0x80, v4, v5
	global_store_b8 v[1:2], v4, off
.LBB105_1962:
	s_mov_b32 s2, 0
	s_mov_b32 s3, -1
.LBB105_1963:
	s_and_not1_b32 vcc_lo, exec_lo, s2
	s_mov_b32 s2, 0
	s_cbranch_vccnz .LBB105_1970
; %bb.1964:
	v_cmp_lt_i16_e32 vcc_lo, 14, v6
	s_mov_b32 s2, -1
	s_cbranch_vccz .LBB105_1968
; %bb.1965:
	v_cmp_eq_u16_e32 vcc_lo, 15, v6
	s_mov_b32 s0, -1
	s_cbranch_vccz .LBB105_1967
; %bb.1966:
	s_mov_b32 s0, 0
	s_mov_b32 s3, -1
	global_store_b16 v[1:2], v3, off
.LBB105_1967:
	s_mov_b32 s2, 0
.LBB105_1968:
	s_delay_alu instid0(SALU_CYCLE_1)
	s_and_b32 vcc_lo, exec_lo, s2
	s_mov_b32 s2, 0
	s_cbranch_vccz .LBB105_1970
; %bb.1969:
	v_cmp_ne_u16_e64 s0, 11, v6
	s_mov_b32 s2, -1
.LBB105_1970:
	s_delay_alu instid0(VALU_DEP_1)
	s_and_b32 vcc_lo, exec_lo, s0
	s_cbranch_vccnz .LBB105_2157
; %bb.1971:
	s_and_not1_b32 vcc_lo, exec_lo, s2
	s_cbranch_vccnz .LBB105_1973
.LBB105_1972:
	v_and_b32_e32 v4, 0x7fff, v3
	s_mov_b32 s3, -1
	s_delay_alu instid0(VALU_DEP_1)
	v_cmp_ne_u16_e32 vcc_lo, 0, v4
	v_cndmask_b32_e64 v4, 0, 1, vcc_lo
	global_store_b8 v[1:2], v4, off
.LBB105_1973:
	s_mov_b32 s0, 0
.LBB105_1974:
	s_delay_alu instid0(SALU_CYCLE_1)
	s_and_b32 vcc_lo, exec_lo, s0
	s_cbranch_vccz .LBB105_2013
; %bb.1975:
	v_cmp_gt_i16_e32 vcc_lo, 5, v6
	s_mov_b32 s0, -1
	s_cbranch_vccnz .LBB105_1996
; %bb.1976:
	v_cmp_gt_i16_e32 vcc_lo, 8, v6
	s_cbranch_vccnz .LBB105_1986
; %bb.1977:
	v_cmp_gt_i16_e32 vcc_lo, 9, v6
	s_cbranch_vccnz .LBB105_1983
; %bb.1978:
	v_cmp_lt_i16_e32 vcc_lo, 9, v6
	s_cbranch_vccz .LBB105_1980
; %bb.1979:
	v_dual_mov_b32 v9, 0 :: v_dual_lshlrev_b32 v4, 16, v3
	s_mov_b32 s0, 0
	s_delay_alu instid0(VALU_DEP_1) | instskip(NEXT) | instid1(VALU_DEP_2)
	v_cvt_f64_f32_e32 v[7:8], v4
	v_mov_b32_e32 v10, v9
	global_store_b128 v[1:2], v[7:10], off
.LBB105_1980:
	s_and_not1_b32 vcc_lo, exec_lo, s0
	s_cbranch_vccnz .LBB105_1982
; %bb.1981:
	v_dual_mov_b32 v5, 0 :: v_dual_lshlrev_b32 v4, 16, v3
	global_store_b64 v[1:2], v[4:5], off
.LBB105_1982:
	s_mov_b32 s0, 0
.LBB105_1983:
	s_delay_alu instid0(SALU_CYCLE_1)
	s_and_not1_b32 vcc_lo, exec_lo, s0
	s_cbranch_vccnz .LBB105_1985
; %bb.1984:
	v_lshlrev_b32_e32 v4, 16, v3
	s_delay_alu instid0(VALU_DEP_1) | instskip(NEXT) | instid1(VALU_DEP_1)
	v_cvt_f16_f32_e32 v4, v4
	v_and_b32_e32 v4, 0xffff, v4
	global_store_b32 v[1:2], v4, off
.LBB105_1985:
	s_mov_b32 s0, 0
.LBB105_1986:
	s_delay_alu instid0(SALU_CYCLE_1)
	s_and_not1_b32 vcc_lo, exec_lo, s0
	s_cbranch_vccnz .LBB105_1995
; %bb.1987:
	v_cmp_gt_i16_e32 vcc_lo, 6, v6
	s_mov_b32 s0, -1
	s_cbranch_vccnz .LBB105_1993
; %bb.1988:
	v_cmp_lt_i16_e32 vcc_lo, 6, v6
	s_cbranch_vccz .LBB105_1990
; %bb.1989:
	v_lshlrev_b32_e32 v4, 16, v3
	s_mov_b32 s0, 0
	s_delay_alu instid0(VALU_DEP_1)
	v_cvt_f64_f32_e32 v[4:5], v4
	global_store_b64 v[1:2], v[4:5], off
.LBB105_1990:
	s_and_not1_b32 vcc_lo, exec_lo, s0
	s_cbranch_vccnz .LBB105_1992
; %bb.1991:
	v_lshlrev_b32_e32 v4, 16, v3
	global_store_b32 v[1:2], v4, off
.LBB105_1992:
	s_mov_b32 s0, 0
.LBB105_1993:
	s_delay_alu instid0(SALU_CYCLE_1)
	s_and_not1_b32 vcc_lo, exec_lo, s0
	s_cbranch_vccnz .LBB105_1995
; %bb.1994:
	v_lshlrev_b32_e32 v4, 16, v3
	s_delay_alu instid0(VALU_DEP_1)
	v_cvt_f16_f32_e32 v4, v4
	global_store_b16 v[1:2], v4, off
.LBB105_1995:
	s_mov_b32 s0, 0
.LBB105_1996:
	s_delay_alu instid0(SALU_CYCLE_1)
	s_and_not1_b32 vcc_lo, exec_lo, s0
	s_cbranch_vccnz .LBB105_2012
; %bb.1997:
	v_cmp_gt_i16_e32 vcc_lo, 2, v6
	s_mov_b32 s0, -1
	s_cbranch_vccnz .LBB105_2007
; %bb.1998:
	v_cmp_gt_i16_e32 vcc_lo, 3, v6
	s_cbranch_vccnz .LBB105_2004
; %bb.1999:
	v_cmp_lt_i16_e32 vcc_lo, 3, v6
	s_cbranch_vccz .LBB105_2001
; %bb.2000:
	v_lshlrev_b32_e32 v4, 16, v3
	s_mov_b32 s0, 0
	s_delay_alu instid0(VALU_DEP_1) | instskip(NEXT) | instid1(VALU_DEP_1)
	v_trunc_f32_e32 v4, v4
	v_mul_f32_e64 v5, 0x2f800000, |v4|
	v_ashrrev_i32_e32 v8, 31, v4
	s_delay_alu instid0(VALU_DEP_2) | instskip(NEXT) | instid1(VALU_DEP_1)
	v_floor_f32_e32 v5, v5
	v_fma_f32 v7, 0xcf800000, v5, |v4|
	v_cvt_u32_f32_e32 v5, v5
	s_delay_alu instid0(VALU_DEP_2) | instskip(NEXT) | instid1(VALU_DEP_2)
	v_cvt_u32_f32_e32 v4, v7
	v_xor_b32_e32 v5, v5, v8
	s_delay_alu instid0(VALU_DEP_2) | instskip(NEXT) | instid1(VALU_DEP_1)
	v_xor_b32_e32 v4, v4, v8
	v_sub_co_u32 v4, vcc_lo, v4, v8
	s_delay_alu instid0(VALU_DEP_3)
	v_sub_co_ci_u32_e32 v5, vcc_lo, v5, v8, vcc_lo
	global_store_b64 v[1:2], v[4:5], off
.LBB105_2001:
	s_and_not1_b32 vcc_lo, exec_lo, s0
	s_cbranch_vccnz .LBB105_2003
; %bb.2002:
	v_lshlrev_b32_e32 v4, 16, v3
	s_delay_alu instid0(VALU_DEP_1)
	v_cvt_i32_f32_e32 v4, v4
	global_store_b32 v[1:2], v4, off
.LBB105_2003:
	s_mov_b32 s0, 0
.LBB105_2004:
	s_delay_alu instid0(SALU_CYCLE_1)
	s_and_not1_b32 vcc_lo, exec_lo, s0
	s_cbranch_vccnz .LBB105_2006
; %bb.2005:
	v_lshlrev_b32_e32 v4, 16, v3
	s_delay_alu instid0(VALU_DEP_1)
	v_cvt_i32_f32_e32 v4, v4
	global_store_b16 v[1:2], v4, off
.LBB105_2006:
	s_mov_b32 s0, 0
.LBB105_2007:
	s_delay_alu instid0(SALU_CYCLE_1)
	s_and_not1_b32 vcc_lo, exec_lo, s0
	s_cbranch_vccnz .LBB105_2012
; %bb.2008:
	v_cmp_lt_i16_e32 vcc_lo, 0, v6
	v_lshlrev_b32_e32 v3, 16, v3
	s_mov_b32 s0, -1
	s_cbranch_vccz .LBB105_2010
; %bb.2009:
	s_delay_alu instid0(VALU_DEP_1)
	v_cvt_i32_f32_e32 v4, v3
	s_mov_b32 s0, 0
	global_store_b8 v[1:2], v4, off
.LBB105_2010:
	s_and_not1_b32 vcc_lo, exec_lo, s0
	s_cbranch_vccnz .LBB105_2012
; %bb.2011:
	v_trunc_f32_e32 v3, v3
	s_delay_alu instid0(VALU_DEP_1) | instskip(NEXT) | instid1(VALU_DEP_1)
	v_mul_f32_e64 v4, 0x2f800000, |v3|
	v_floor_f32_e32 v4, v4
	s_delay_alu instid0(VALU_DEP_1) | instskip(SKIP_1) | instid1(VALU_DEP_2)
	v_fma_f32 v4, 0xcf800000, v4, |v3|
	v_ashrrev_i32_e32 v3, 31, v3
	v_cvt_u32_f32_e32 v4, v4
	s_delay_alu instid0(VALU_DEP_1) | instskip(NEXT) | instid1(VALU_DEP_1)
	v_xor_b32_e32 v4, v4, v3
	v_sub_nc_u32_e32 v3, v4, v3
	global_store_b8 v[1:2], v3, off
.LBB105_2012:
	s_mov_b32 s3, -1
.LBB105_2013:
	s_delay_alu instid0(SALU_CYCLE_1)
	s_and_not1_b32 vcc_lo, exec_lo, s3
	s_cbranch_vccnz .LBB105_2090
; %bb.2014:
	v_lshlrev_b32_e32 v1, 16, v11
	v_add_co_u32 v0, s0, s4, v0
	s_mov_b32 s2, 0
	s_delay_alu instid0(VALU_DEP_2) | instskip(NEXT) | instid1(VALU_DEP_1)
	v_mul_f32_e32 v2, 0x3fb8aa3b, v1
	v_rndne_f32_e32 v3, v2
	v_fma_f32 v4, 0x3fb8aa3b, v1, -v2
	s_delay_alu instid0(VALU_DEP_2) | instskip(NEXT) | instid1(VALU_DEP_2)
	v_sub_f32_e32 v2, v2, v3
	v_fmamk_f32 v4, v1, 0x32a5705f, v4
	v_cvt_i32_f32_e32 v3, v3
	s_delay_alu instid0(VALU_DEP_2) | instskip(SKIP_1) | instid1(VALU_DEP_2)
	v_add_f32_e32 v2, v2, v4
	v_cmp_ngt_f32_e32 vcc_lo, 0xc2ce8ed0, v1
	v_exp_f32_e32 v2, v2
	s_waitcnt_depctr 0xfff
	v_ldexp_f32 v2, v2, v3
	s_delay_alu instid0(VALU_DEP_1) | instskip(SKIP_1) | instid1(VALU_DEP_2)
	v_cndmask_b32_e32 v2, 0, v2, vcc_lo
	v_cmp_nlt_f32_e32 vcc_lo, 0x42b17218, v1
	v_cndmask_b32_e32 v2, 0x7f800000, v2, vcc_lo
	v_cmp_gt_i16_e32 vcc_lo, 11, v6
	s_delay_alu instid0(VALU_DEP_2) | instskip(SKIP_1) | instid1(VALU_DEP_1)
	v_bfe_u32 v1, v2, 16, 1
	s_and_b32 vcc_lo, exec_lo, vcc_lo
	v_add3_u32 v1, v2, v1, 0x7fff
	s_delay_alu instid0(VALU_DEP_1) | instskip(SKIP_2) | instid1(VALU_DEP_1)
	v_lshrrev_b32_e32 v3, 16, v1
	v_add_co_ci_u32_e64 v1, null, s5, 0, s0
	v_cmp_o_f32_e64 s0, v2, v2
	v_cndmask_b32_e64 v2, 0x7fc0, v3, s0
	s_mov_b32 s0, -1
	s_cbranch_vccnz .LBB105_2091
; %bb.2015:
	v_cmp_lt_i16_e32 vcc_lo, 25, v6
	s_mov_b32 s3, -1
	s_mov_b32 s0, 0
	s_cbranch_vccz .LBB105_2048
; %bb.2016:
	v_cmp_lt_i16_e32 vcc_lo, 28, v6
	s_cbranch_vccz .LBB105_2032
; %bb.2017:
	v_cmp_lt_i16_e32 vcc_lo, 43, v6
	;; [unrolled: 3-line block ×3, first 2 shown]
	s_cbranch_vccz .LBB105_2022
; %bb.2019:
	v_cmp_eq_u16_e32 vcc_lo, 46, v6
	s_mov_b32 s0, -1
	s_cbranch_vccz .LBB105_2021
; %bb.2020:
	v_and_b32_e32 v3, 0xffff, v2
	s_mov_b32 s0, 0
	global_store_b32 v[0:1], v3, off
.LBB105_2021:
	s_mov_b32 s3, 0
.LBB105_2022:
	s_delay_alu instid0(SALU_CYCLE_1)
	s_and_b32 vcc_lo, exec_lo, s3
	s_cbranch_vccz .LBB105_2027
; %bb.2023:
	v_cmp_eq_u16_e32 vcc_lo, 44, v6
	s_mov_b32 s0, -1
	s_cbranch_vccz .LBB105_2027
; %bb.2024:
	v_and_b32_e32 v3, 0xffff, v2
	v_mov_b32_e32 v4, 0xff
	s_mov_b32 s3, exec_lo
	s_delay_alu instid0(VALU_DEP_2) | instskip(NEXT) | instid1(VALU_DEP_1)
	v_bfe_u32 v5, v3, 7, 8
	v_cmpx_ne_u32_e32 0xff, v5
; %bb.2025:
	v_lshlrev_b32_e32 v4, 16, v3
	v_and_b32_e32 v7, 64, v3
	v_lshrrev_b32_e32 v3, 7, v3
	s_delay_alu instid0(VALU_DEP_3) | instskip(NEXT) | instid1(VALU_DEP_3)
	v_and_or_b32 v4, 0x3f0000, v4, v5
	v_cmp_ne_u32_e32 vcc_lo, 0, v7
	s_delay_alu instid0(VALU_DEP_2) | instskip(NEXT) | instid1(VALU_DEP_1)
	v_cmp_ne_u32_e64 s0, 0, v4
	s_and_b32 s0, vcc_lo, s0
	s_delay_alu instid0(SALU_CYCLE_1) | instskip(NEXT) | instid1(VALU_DEP_1)
	v_cndmask_b32_e64 v4, 0, 1, s0
	v_add_nc_u32_e32 v4, v3, v4
; %bb.2026:
	s_or_b32 exec_lo, exec_lo, s3
	s_mov_b32 s0, 0
	global_store_b8 v[0:1], v4, off
.LBB105_2027:
	s_mov_b32 s3, 0
.LBB105_2028:
	s_delay_alu instid0(SALU_CYCLE_1)
	s_and_b32 vcc_lo, exec_lo, s3
	s_cbranch_vccz .LBB105_2031
; %bb.2029:
	v_cmp_eq_u16_e32 vcc_lo, 29, v6
	s_mov_b32 s0, -1
	s_cbranch_vccz .LBB105_2031
; %bb.2030:
	v_lshlrev_b32_e32 v3, 16, v2
	s_mov_b32 s0, 0
	s_delay_alu instid0(VALU_DEP_1) | instskip(NEXT) | instid1(VALU_DEP_1)
	v_trunc_f32_e32 v3, v3
	v_mul_f32_e32 v4, 0x2f800000, v3
	s_delay_alu instid0(VALU_DEP_1) | instskip(NEXT) | instid1(VALU_DEP_1)
	v_floor_f32_e32 v4, v4
	v_fmamk_f32 v3, v4, 0xcf800000, v3
	v_cvt_u32_f32_e32 v4, v4
	s_delay_alu instid0(VALU_DEP_2)
	v_cvt_u32_f32_e32 v3, v3
	global_store_b64 v[0:1], v[3:4], off
.LBB105_2031:
	s_mov_b32 s3, 0
.LBB105_2032:
	s_delay_alu instid0(SALU_CYCLE_1)
	s_and_b32 vcc_lo, exec_lo, s3
	s_cbranch_vccz .LBB105_2047
; %bb.2033:
	v_cmp_gt_i16_e32 vcc_lo, 27, v6
	s_mov_b32 s3, -1
	s_cbranch_vccnz .LBB105_2039
; %bb.2034:
	v_cmp_lt_i16_e32 vcc_lo, 27, v6
	s_cbranch_vccz .LBB105_2036
; %bb.2035:
	v_lshlrev_b32_e32 v3, 16, v2
	s_mov_b32 s3, 0
	s_delay_alu instid0(VALU_DEP_1)
	v_cvt_u32_f32_e32 v3, v3
	global_store_b32 v[0:1], v3, off
.LBB105_2036:
	s_and_not1_b32 vcc_lo, exec_lo, s3
	s_cbranch_vccnz .LBB105_2038
; %bb.2037:
	v_lshlrev_b32_e32 v3, 16, v2
	s_delay_alu instid0(VALU_DEP_1)
	v_cvt_u32_f32_e32 v3, v3
	global_store_b16 v[0:1], v3, off
.LBB105_2038:
	s_mov_b32 s3, 0
.LBB105_2039:
	s_delay_alu instid0(SALU_CYCLE_1)
	s_and_not1_b32 vcc_lo, exec_lo, s3
	s_cbranch_vccnz .LBB105_2047
; %bb.2040:
	v_lshlrev_b32_e32 v5, 16, v2
	v_mov_b32_e32 v7, 0x80
	s_mov_b32 s3, exec_lo
	s_delay_alu instid0(VALU_DEP_2) | instskip(NEXT) | instid1(VALU_DEP_1)
	v_and_b32_e32 v4, 0x7fffffff, v5
	v_cmpx_gt_u32_e32 0x43800000, v4
	s_cbranch_execz .LBB105_2046
; %bb.2041:
	v_and_b32_e32 v3, 0xffff, v2
	v_cmp_lt_u32_e32 vcc_lo, 0x3bffffff, v4
	s_mov_b32 s4, 0
                                        ; implicit-def: $vgpr4
	s_and_saveexec_b32 s5, vcc_lo
	s_delay_alu instid0(SALU_CYCLE_1)
	s_xor_b32 s5, exec_lo, s5
	s_cbranch_execz .LBB105_2161
; %bb.2042:
	v_bfe_u32 v4, v3, 4, 1
	s_mov_b32 s4, exec_lo
	s_delay_alu instid0(VALU_DEP_1) | instskip(NEXT) | instid1(VALU_DEP_1)
	v_add3_u32 v4, v5, v4, 0x487ffff
                                        ; implicit-def: $vgpr5
	v_lshrrev_b32_e32 v4, 20, v4
	s_or_saveexec_b32 s5, s5
                                        ; implicit-def: $sgpr6
	s_delay_alu instid0(SALU_CYCLE_1)
	s_xor_b32 exec_lo, exec_lo, s5
	s_cbranch_execnz .LBB105_2162
.LBB105_2043:
	s_or_b32 exec_lo, exec_lo, s5
	v_mov_b32_e32 v7, s6
	s_and_saveexec_b32 s5, s4
.LBB105_2044:
	v_lshrrev_b32_e32 v3, 8, v3
	s_delay_alu instid0(VALU_DEP_1)
	v_and_or_b32 v7, 0x80, v3, v4
.LBB105_2045:
	s_or_b32 exec_lo, exec_lo, s5
.LBB105_2046:
	s_delay_alu instid0(SALU_CYCLE_1)
	s_or_b32 exec_lo, exec_lo, s3
	global_store_b8 v[0:1], v7, off
.LBB105_2047:
	s_mov_b32 s3, 0
.LBB105_2048:
	s_delay_alu instid0(SALU_CYCLE_1)
	s_and_b32 vcc_lo, exec_lo, s3
	s_cbranch_vccz .LBB105_2088
; %bb.2049:
	v_cmp_lt_i16_e32 vcc_lo, 22, v6
	s_mov_b32 s2, -1
	s_cbranch_vccz .LBB105_2081
; %bb.2050:
	v_cmp_gt_i16_e32 vcc_lo, 24, v6
	s_cbranch_vccnz .LBB105_2070
; %bb.2051:
	v_cmp_lt_i16_e32 vcc_lo, 24, v6
	s_cbranch_vccz .LBB105_2059
; %bb.2052:
	v_lshlrev_b32_e32 v5, 16, v2
	v_mov_b32_e32 v7, 0x80
	s_mov_b32 s2, exec_lo
	s_delay_alu instid0(VALU_DEP_2) | instskip(NEXT) | instid1(VALU_DEP_1)
	v_and_b32_e32 v4, 0x7fffffff, v5
	v_cmpx_gt_u32_e32 0x47800000, v4
	s_cbranch_execz .LBB105_2058
; %bb.2053:
	v_and_b32_e32 v3, 0xffff, v2
	v_cmp_lt_u32_e32 vcc_lo, 0x37ffffff, v4
	s_mov_b32 s3, 0
                                        ; implicit-def: $vgpr4
	s_and_saveexec_b32 s4, vcc_lo
	s_delay_alu instid0(SALU_CYCLE_1)
	s_xor_b32 s4, exec_lo, s4
	s_cbranch_execz .LBB105_2167
; %bb.2054:
	v_bfe_u32 v4, v3, 5, 1
	s_mov_b32 s3, exec_lo
	s_delay_alu instid0(VALU_DEP_1) | instskip(NEXT) | instid1(VALU_DEP_1)
	v_add3_u32 v4, v5, v4, 0x88fffff
                                        ; implicit-def: $vgpr5
	v_lshrrev_b32_e32 v4, 21, v4
	s_or_saveexec_b32 s4, s4
                                        ; implicit-def: $sgpr5
	s_delay_alu instid0(SALU_CYCLE_1)
	s_xor_b32 exec_lo, exec_lo, s4
	s_cbranch_execnz .LBB105_2168
.LBB105_2055:
	s_or_b32 exec_lo, exec_lo, s4
	v_mov_b32_e32 v7, s5
	s_and_saveexec_b32 s4, s3
.LBB105_2056:
	v_lshrrev_b32_e32 v3, 8, v3
	s_delay_alu instid0(VALU_DEP_1)
	v_and_or_b32 v7, 0x80, v3, v4
.LBB105_2057:
	s_or_b32 exec_lo, exec_lo, s4
.LBB105_2058:
	s_delay_alu instid0(SALU_CYCLE_1)
	s_or_b32 exec_lo, exec_lo, s2
	s_mov_b32 s2, 0
	global_store_b8 v[0:1], v7, off
.LBB105_2059:
	s_and_b32 vcc_lo, exec_lo, s2
	s_cbranch_vccz .LBB105_2069
; %bb.2060:
	v_lshlrev_b32_e32 v5, 16, v2
	v_and_b32_e32 v3, 0xffff, v2
	s_mov_b32 s2, exec_lo
                                        ; implicit-def: $vgpr4
	s_delay_alu instid0(VALU_DEP_2) | instskip(NEXT) | instid1(VALU_DEP_1)
	v_and_b32_e32 v7, 0x7fffffff, v5
	v_cmpx_gt_u32_e32 0x43f00000, v7
	s_xor_b32 s2, exec_lo, s2
	s_cbranch_execz .LBB105_2066
; %bb.2061:
	s_mov_b32 s3, exec_lo
                                        ; implicit-def: $vgpr4
	v_cmpx_lt_u32_e32 0x3c7fffff, v7
	s_xor_b32 s3, exec_lo, s3
; %bb.2062:
	v_bfe_u32 v4, v3, 4, 1
	s_delay_alu instid0(VALU_DEP_1) | instskip(NEXT) | instid1(VALU_DEP_1)
	v_add3_u32 v4, v5, v4, 0x407ffff
	v_and_b32_e32 v5, 0xff00000, v4
	v_lshrrev_b32_e32 v4, 20, v4
	s_delay_alu instid0(VALU_DEP_2) | instskip(NEXT) | instid1(VALU_DEP_2)
	v_cmp_ne_u32_e32 vcc_lo, 0x7f00000, v5
                                        ; implicit-def: $vgpr5
	v_cndmask_b32_e32 v4, 0x7e, v4, vcc_lo
; %bb.2063:
	s_and_not1_saveexec_b32 s3, s3
; %bb.2064:
	v_add_f32_e64 v4, 0x46800000, |v5|
; %bb.2065:
	s_or_b32 exec_lo, exec_lo, s3
                                        ; implicit-def: $vgpr7
.LBB105_2066:
	s_and_not1_saveexec_b32 s2, s2
; %bb.2067:
	v_mov_b32_e32 v4, 0x7f
	v_cmp_lt_u32_e32 vcc_lo, 0x7f800000, v7
	s_delay_alu instid0(VALU_DEP_2)
	v_cndmask_b32_e32 v4, 0x7e, v4, vcc_lo
; %bb.2068:
	s_or_b32 exec_lo, exec_lo, s2
	v_lshrrev_b32_e32 v3, 8, v3
	s_delay_alu instid0(VALU_DEP_1)
	v_and_or_b32 v3, 0x80, v3, v4
	global_store_b8 v[0:1], v3, off
.LBB105_2069:
	s_mov_b32 s2, 0
.LBB105_2070:
	s_delay_alu instid0(SALU_CYCLE_1)
	s_and_not1_b32 vcc_lo, exec_lo, s2
	s_cbranch_vccnz .LBB105_2080
; %bb.2071:
	v_lshlrev_b32_e32 v5, 16, v2
	v_and_b32_e32 v3, 0xffff, v2
	s_mov_b32 s2, exec_lo
                                        ; implicit-def: $vgpr4
	s_delay_alu instid0(VALU_DEP_2) | instskip(NEXT) | instid1(VALU_DEP_1)
	v_and_b32_e32 v7, 0x7fffffff, v5
	v_cmpx_gt_u32_e32 0x47800000, v7
	s_xor_b32 s2, exec_lo, s2
	s_cbranch_execz .LBB105_2077
; %bb.2072:
	s_mov_b32 s3, exec_lo
                                        ; implicit-def: $vgpr4
	v_cmpx_lt_u32_e32 0x387fffff, v7
	s_xor_b32 s3, exec_lo, s3
; %bb.2073:
	v_bfe_u32 v4, v3, 5, 1
	s_delay_alu instid0(VALU_DEP_1) | instskip(NEXT) | instid1(VALU_DEP_1)
	v_add3_u32 v4, v5, v4, 0x80fffff
                                        ; implicit-def: $vgpr5
	v_lshrrev_b32_e32 v4, 21, v4
; %bb.2074:
	s_and_not1_saveexec_b32 s3, s3
; %bb.2075:
	v_add_f32_e64 v4, 0x43000000, |v5|
; %bb.2076:
	s_or_b32 exec_lo, exec_lo, s3
                                        ; implicit-def: $vgpr7
.LBB105_2077:
	s_and_not1_saveexec_b32 s2, s2
; %bb.2078:
	v_mov_b32_e32 v4, 0x7f
	v_cmp_lt_u32_e32 vcc_lo, 0x7f800000, v7
	s_delay_alu instid0(VALU_DEP_2)
	v_cndmask_b32_e32 v4, 0x7c, v4, vcc_lo
; %bb.2079:
	s_or_b32 exec_lo, exec_lo, s2
	v_lshrrev_b32_e32 v3, 8, v3
	s_delay_alu instid0(VALU_DEP_1)
	v_and_or_b32 v3, 0x80, v3, v4
	global_store_b8 v[0:1], v3, off
.LBB105_2080:
	s_mov_b32 s2, 0
.LBB105_2081:
	s_delay_alu instid0(SALU_CYCLE_1)
	s_and_not1_b32 vcc_lo, exec_lo, s2
	s_mov_b32 s2, 0
	s_cbranch_vccnz .LBB105_2088
; %bb.2082:
	v_cmp_lt_i16_e32 vcc_lo, 14, v6
	s_mov_b32 s2, -1
	s_cbranch_vccz .LBB105_2086
; %bb.2083:
	v_cmp_eq_u16_e32 vcc_lo, 15, v6
	s_mov_b32 s0, -1
	s_cbranch_vccz .LBB105_2085
; %bb.2084:
	s_mov_b32 s0, 0
	global_store_b16 v[0:1], v2, off
.LBB105_2085:
	s_mov_b32 s2, 0
.LBB105_2086:
	s_delay_alu instid0(SALU_CYCLE_1)
	s_and_b32 vcc_lo, exec_lo, s2
	s_mov_b32 s2, 0
	s_cbranch_vccz .LBB105_2088
; %bb.2087:
	v_cmp_ne_u16_e64 s0, 11, v6
	s_mov_b32 s2, -1
.LBB105_2088:
	s_delay_alu instid0(VALU_DEP_1)
	s_and_b32 vcc_lo, exec_lo, s0
	s_cbranch_vccnz .LBB105_2165
.LBB105_2089:
	s_mov_b32 s0, 0
	s_branch .LBB105_2091
.LBB105_2090:
	s_mov_b32 s0, 0
	s_mov_b32 s2, 0
                                        ; implicit-def: $vgpr0_vgpr1
                                        ; implicit-def: $vgpr6
                                        ; implicit-def: $vgpr2
.LBB105_2091:
	s_and_b32 s3, s0, exec_lo
	s_and_not1_b32 s0, s8, exec_lo
	s_and_b32 s1, s1, exec_lo
	s_and_b32 s26, s2, exec_lo
	s_or_b32 s8, s0, s1
.LBB105_2092:
	s_or_b32 exec_lo, exec_lo, s9
	s_and_saveexec_b32 s0, s8
	s_cbranch_execz .LBB105_2095
; %bb.2093:
	; divergent unreachable
	s_or_b32 exec_lo, exec_lo, s0
	s_and_saveexec_b32 s0, s26
	s_delay_alu instid0(SALU_CYCLE_1)
	s_xor_b32 s0, exec_lo, s0
	s_cbranch_execnz .LBB105_2096
.LBB105_2094:
	s_or_b32 exec_lo, exec_lo, s0
	s_and_saveexec_b32 s0, s3
	s_cbranch_execnz .LBB105_2097
	s_branch .LBB105_2134
.LBB105_2095:
	s_or_b32 exec_lo, exec_lo, s0
	s_and_saveexec_b32 s0, s26
	s_delay_alu instid0(SALU_CYCLE_1)
	s_xor_b32 s0, exec_lo, s0
	s_cbranch_execz .LBB105_2094
.LBB105_2096:
	v_and_b32_e32 v3, 0x7fff, v2
	s_delay_alu instid0(VALU_DEP_1)
	v_cmp_ne_u16_e32 vcc_lo, 0, v3
	v_cndmask_b32_e64 v3, 0, 1, vcc_lo
	global_store_b8 v[0:1], v3, off
	s_or_b32 exec_lo, exec_lo, s0
	s_and_saveexec_b32 s0, s3
	s_cbranch_execz .LBB105_2134
.LBB105_2097:
	s_waitcnt vmcnt(0)
	v_cmp_gt_i16_e32 vcc_lo, 5, v6
	s_mov_b32 s0, -1
	s_cbranch_vccnz .LBB105_2118
; %bb.2098:
	v_cmp_gt_i16_e32 vcc_lo, 8, v6
	s_cbranch_vccnz .LBB105_2108
; %bb.2099:
	v_cmp_gt_i16_e32 vcc_lo, 9, v6
	s_cbranch_vccnz .LBB105_2105
; %bb.2100:
	v_cmp_lt_i16_e32 vcc_lo, 9, v6
	s_cbranch_vccz .LBB105_2102
; %bb.2101:
	v_mov_b32_e32 v9, 0
	v_lshlrev_b32_e32 v3, 16, v2
	s_mov_b32 s0, 0
	s_delay_alu instid0(VALU_DEP_2) | instskip(NEXT) | instid1(VALU_DEP_2)
	v_mov_b32_e32 v10, v9
	v_cvt_f64_f32_e32 v[7:8], v3
	global_store_b128 v[0:1], v[7:10], off
.LBB105_2102:
	s_and_not1_b32 vcc_lo, exec_lo, s0
	s_cbranch_vccnz .LBB105_2104
; %bb.2103:
	v_dual_mov_b32 v4, 0 :: v_dual_lshlrev_b32 v3, 16, v2
	global_store_b64 v[0:1], v[3:4], off
.LBB105_2104:
	s_mov_b32 s0, 0
.LBB105_2105:
	s_delay_alu instid0(SALU_CYCLE_1)
	s_and_not1_b32 vcc_lo, exec_lo, s0
	s_cbranch_vccnz .LBB105_2107
; %bb.2106:
	v_lshlrev_b32_e32 v3, 16, v2
	s_delay_alu instid0(VALU_DEP_1) | instskip(NEXT) | instid1(VALU_DEP_1)
	v_cvt_f16_f32_e32 v3, v3
	v_and_b32_e32 v3, 0xffff, v3
	global_store_b32 v[0:1], v3, off
.LBB105_2107:
	s_mov_b32 s0, 0
.LBB105_2108:
	s_delay_alu instid0(SALU_CYCLE_1)
	s_and_not1_b32 vcc_lo, exec_lo, s0
	s_cbranch_vccnz .LBB105_2117
; %bb.2109:
	v_cmp_gt_i16_e32 vcc_lo, 6, v6
	s_mov_b32 s0, -1
	s_cbranch_vccnz .LBB105_2115
; %bb.2110:
	v_cmp_lt_i16_e32 vcc_lo, 6, v6
	s_cbranch_vccz .LBB105_2112
; %bb.2111:
	v_lshlrev_b32_e32 v3, 16, v2
	s_mov_b32 s0, 0
	s_delay_alu instid0(VALU_DEP_1)
	v_cvt_f64_f32_e32 v[3:4], v3
	global_store_b64 v[0:1], v[3:4], off
.LBB105_2112:
	s_and_not1_b32 vcc_lo, exec_lo, s0
	s_cbranch_vccnz .LBB105_2114
; %bb.2113:
	v_lshlrev_b32_e32 v3, 16, v2
	global_store_b32 v[0:1], v3, off
.LBB105_2114:
	s_mov_b32 s0, 0
.LBB105_2115:
	s_delay_alu instid0(SALU_CYCLE_1)
	s_and_not1_b32 vcc_lo, exec_lo, s0
	s_cbranch_vccnz .LBB105_2117
; %bb.2116:
	v_lshlrev_b32_e32 v3, 16, v2
	s_delay_alu instid0(VALU_DEP_1)
	v_cvt_f16_f32_e32 v3, v3
	global_store_b16 v[0:1], v3, off
.LBB105_2117:
	s_mov_b32 s0, 0
.LBB105_2118:
	s_delay_alu instid0(SALU_CYCLE_1)
	s_and_not1_b32 vcc_lo, exec_lo, s0
	s_cbranch_vccnz .LBB105_2134
; %bb.2119:
	v_cmp_gt_i16_e32 vcc_lo, 2, v6
	s_mov_b32 s0, -1
	s_cbranch_vccnz .LBB105_2129
; %bb.2120:
	v_cmp_gt_i16_e32 vcc_lo, 3, v6
	s_cbranch_vccnz .LBB105_2126
; %bb.2121:
	v_cmp_lt_i16_e32 vcc_lo, 3, v6
	s_cbranch_vccz .LBB105_2123
; %bb.2122:
	v_lshlrev_b32_e32 v3, 16, v2
	s_mov_b32 s0, 0
	s_delay_alu instid0(VALU_DEP_1) | instskip(NEXT) | instid1(VALU_DEP_1)
	v_trunc_f32_e32 v3, v3
	v_mul_f32_e64 v4, 0x2f800000, |v3|
	v_ashrrev_i32_e32 v7, 31, v3
	s_delay_alu instid0(VALU_DEP_2) | instskip(NEXT) | instid1(VALU_DEP_1)
	v_floor_f32_e32 v4, v4
	v_fma_f32 v5, 0xcf800000, v4, |v3|
	v_cvt_u32_f32_e32 v4, v4
	s_delay_alu instid0(VALU_DEP_2) | instskip(NEXT) | instid1(VALU_DEP_2)
	v_cvt_u32_f32_e32 v3, v5
	v_xor_b32_e32 v4, v4, v7
	s_delay_alu instid0(VALU_DEP_2) | instskip(NEXT) | instid1(VALU_DEP_1)
	v_xor_b32_e32 v3, v3, v7
	v_sub_co_u32 v3, vcc_lo, v3, v7
	s_delay_alu instid0(VALU_DEP_3)
	v_sub_co_ci_u32_e32 v4, vcc_lo, v4, v7, vcc_lo
	global_store_b64 v[0:1], v[3:4], off
.LBB105_2123:
	s_and_not1_b32 vcc_lo, exec_lo, s0
	s_cbranch_vccnz .LBB105_2125
; %bb.2124:
	v_lshlrev_b32_e32 v3, 16, v2
	s_delay_alu instid0(VALU_DEP_1)
	v_cvt_i32_f32_e32 v3, v3
	global_store_b32 v[0:1], v3, off
.LBB105_2125:
	s_mov_b32 s0, 0
.LBB105_2126:
	s_delay_alu instid0(SALU_CYCLE_1)
	s_and_not1_b32 vcc_lo, exec_lo, s0
	s_cbranch_vccnz .LBB105_2128
; %bb.2127:
	v_lshlrev_b32_e32 v3, 16, v2
	s_delay_alu instid0(VALU_DEP_1)
	v_cvt_i32_f32_e32 v3, v3
	global_store_b16 v[0:1], v3, off
.LBB105_2128:
	s_mov_b32 s0, 0
.LBB105_2129:
	s_delay_alu instid0(SALU_CYCLE_1)
	s_and_not1_b32 vcc_lo, exec_lo, s0
	s_cbranch_vccnz .LBB105_2134
; %bb.2130:
	v_cmp_lt_i16_e32 vcc_lo, 0, v6
	v_lshlrev_b32_e32 v2, 16, v2
	s_mov_b32 s0, -1
	s_cbranch_vccz .LBB105_2132
; %bb.2131:
	s_delay_alu instid0(VALU_DEP_1)
	v_cvt_i32_f32_e32 v3, v2
	s_mov_b32 s0, 0
	global_store_b8 v[0:1], v3, off
.LBB105_2132:
	s_and_not1_b32 vcc_lo, exec_lo, s0
	s_cbranch_vccnz .LBB105_2134
; %bb.2133:
	v_trunc_f32_e32 v2, v2
	s_delay_alu instid0(VALU_DEP_1) | instskip(NEXT) | instid1(VALU_DEP_1)
	v_mul_f32_e64 v3, 0x2f800000, |v2|
	v_floor_f32_e32 v3, v3
	s_delay_alu instid0(VALU_DEP_1) | instskip(SKIP_1) | instid1(VALU_DEP_2)
	v_fma_f32 v3, 0xcf800000, v3, |v2|
	v_ashrrev_i32_e32 v2, 31, v2
	v_cvt_u32_f32_e32 v3, v3
	s_delay_alu instid0(VALU_DEP_1) | instskip(NEXT) | instid1(VALU_DEP_1)
	v_xor_b32_e32 v3, v3, v2
	v_sub_nc_u32_e32 v2, v3, v2
	global_store_b8 v[0:1], v2, off
	s_nop 0
	s_sendmsg sendmsg(MSG_DEALLOC_VGPRS)
	s_endpgm
.LBB105_2134:
	s_nop 0
	s_sendmsg sendmsg(MSG_DEALLOC_VGPRS)
	s_endpgm
.LBB105_2135:
	s_cbranch_execnz .LBB105_2139
; %bb.2136:
	s_or_b32 s1, s1, exec_lo
                                        ; implicit-def: $vgpr11
	s_cbranch_execz .LBB105_1608
	s_branch .LBB105_1609
.LBB105_2137:
	s_or_saveexec_b32 s7, s7
                                        ; implicit-def: $sgpr10
	s_delay_alu instid0(SALU_CYCLE_1)
	s_xor_b32 exec_lo, exec_lo, s7
	s_cbranch_execz .LBB105_1688
.LBB105_2138:
	v_add_f32_e64 v10, 0x46000000, |v12|
	s_and_not1_b32 s6, s6, exec_lo
	s_mov_b32 s10, 0
	s_delay_alu instid0(VALU_DEP_1) | instskip(NEXT) | instid1(VALU_DEP_1)
	v_and_b32_e32 v10, 0xff, v10
	v_cmp_ne_u32_e32 vcc_lo, 0, v10
	s_and_b32 s11, vcc_lo, exec_lo
	s_delay_alu instid0(SALU_CYCLE_1)
	s_or_b32 s6, s6, s11
	s_or_b32 exec_lo, exec_lo, s7
	v_mov_b32_e32 v13, s10
	s_and_saveexec_b32 s7, s6
	s_cbranch_execnz .LBB105_1689
	s_branch .LBB105_1690
.LBB105_2139:
	s_trap 2
	s_sendmsg_rtn_b32 s0, sendmsg(MSG_RTN_GET_DOORBELL)
	s_mov_b32 ttmp2, m0
	s_waitcnt lgkmcnt(0)
	s_and_b32 s0, s0, 0x3ff
	s_delay_alu instid0(SALU_CYCLE_1) | instskip(NEXT) | instid1(SALU_CYCLE_1)
	s_bitset1_b32 s0, 10
	s_mov_b32 m0, s0
	s_sendmsg sendmsg(MSG_INTERRUPT)
	s_mov_b32 m0, ttmp2
.LBB105_2140:                           ; =>This Inner Loop Header: Depth=1
	s_sethalt 5
	s_branch .LBB105_2140
.LBB105_2141:
	s_cbranch_execnz .LBB105_2147
; %bb.2142:
	s_or_b32 s1, s1, exec_lo
	s_cbranch_execz .LBB105_1736
	s_branch .LBB105_1737
.LBB105_2143:
	s_or_saveexec_b32 s6, s6
                                        ; implicit-def: $sgpr7
	s_delay_alu instid0(SALU_CYCLE_1)
	s_xor_b32 exec_lo, exec_lo, s6
	s_cbranch_execz .LBB105_1701
.LBB105_2144:
	v_add_f32_e64 v10, 0x42800000, |v12|
	s_and_not1_b32 s3, s3, exec_lo
	s_mov_b32 s7, 0
	s_delay_alu instid0(VALU_DEP_1) | instskip(NEXT) | instid1(VALU_DEP_1)
	v_and_b32_e32 v10, 0xff, v10
	v_cmp_ne_u32_e32 vcc_lo, 0, v10
	s_and_b32 s10, vcc_lo, exec_lo
	s_delay_alu instid0(SALU_CYCLE_1)
	s_or_b32 s3, s3, s10
	s_or_b32 exec_lo, exec_lo, s6
	v_mov_b32_e32 v13, s7
	s_and_saveexec_b32 s6, s3
	s_cbranch_execnz .LBB105_1702
	s_branch .LBB105_1703
.LBB105_2145:
	s_or_saveexec_b32 s7, s7
                                        ; implicit-def: $sgpr10
	s_delay_alu instid0(SALU_CYCLE_1)
	s_xor_b32 exec_lo, exec_lo, s7
	s_cbranch_execz .LBB105_1806
.LBB105_2146:
	v_add_f32_e64 v8, 0x46000000, |v9|
	s_and_not1_b32 s6, s6, exec_lo
	s_mov_b32 s10, 0
	s_delay_alu instid0(VALU_DEP_1) | instskip(NEXT) | instid1(VALU_DEP_1)
	v_and_b32_e32 v8, 0xff, v8
	v_cmp_ne_u32_e32 vcc_lo, 0, v8
	s_and_b32 s11, vcc_lo, exec_lo
	s_delay_alu instid0(SALU_CYCLE_1)
	s_or_b32 s6, s6, s11
	s_or_b32 exec_lo, exec_lo, s7
	v_mov_b32_e32 v10, s10
	s_and_saveexec_b32 s7, s6
	s_cbranch_execnz .LBB105_1807
	s_branch .LBB105_1808
.LBB105_2147:
	s_trap 2
	s_sendmsg_rtn_b32 s0, sendmsg(MSG_RTN_GET_DOORBELL)
	s_mov_b32 ttmp2, m0
	s_waitcnt lgkmcnt(0)
	s_and_b32 s0, s0, 0x3ff
	s_delay_alu instid0(SALU_CYCLE_1) | instskip(NEXT) | instid1(SALU_CYCLE_1)
	s_bitset1_b32 s0, 10
	s_mov_b32 m0, s0
	s_sendmsg sendmsg(MSG_INTERRUPT)
	s_mov_b32 m0, ttmp2
.LBB105_2148:                           ; =>This Inner Loop Header: Depth=1
	s_sethalt 5
	s_branch .LBB105_2148
.LBB105_2149:
	s_cbranch_execnz .LBB105_2155
; %bb.2150:
	s_or_b32 s1, s1, exec_lo
	s_cbranch_execz .LBB105_1854
	s_branch .LBB105_1855
.LBB105_2151:
	s_or_saveexec_b32 s6, s6
                                        ; implicit-def: $sgpr7
	s_delay_alu instid0(SALU_CYCLE_1)
	s_xor_b32 exec_lo, exec_lo, s6
	s_cbranch_execz .LBB105_1819
.LBB105_2152:
	v_add_f32_e64 v8, 0x42800000, |v9|
	s_and_not1_b32 s3, s3, exec_lo
	s_mov_b32 s7, 0
	s_delay_alu instid0(VALU_DEP_1) | instskip(NEXT) | instid1(VALU_DEP_1)
	v_and_b32_e32 v8, 0xff, v8
	v_cmp_ne_u32_e32 vcc_lo, 0, v8
	s_and_b32 s10, vcc_lo, exec_lo
	s_delay_alu instid0(SALU_CYCLE_1)
	s_or_b32 s3, s3, s10
	s_or_b32 exec_lo, exec_lo, s6
	v_mov_b32_e32 v10, s7
	s_and_saveexec_b32 s6, s3
	s_cbranch_execnz .LBB105_1820
	s_branch .LBB105_1821
.LBB105_2153:
	s_or_saveexec_b32 s7, s7
                                        ; implicit-def: $sgpr10
	s_delay_alu instid0(SALU_CYCLE_1)
	s_xor_b32 exec_lo, exec_lo, s7
	s_cbranch_execz .LBB105_1924
.LBB105_2154:
	v_add_f32_e64 v5, 0x46000000, |v7|
	s_and_not1_b32 s6, s6, exec_lo
	s_mov_b32 s10, 0
	s_delay_alu instid0(VALU_DEP_1) | instskip(NEXT) | instid1(VALU_DEP_1)
	v_and_b32_e32 v5, 0xff, v5
	v_cmp_ne_u32_e32 vcc_lo, 0, v5
	s_and_b32 s11, vcc_lo, exec_lo
	s_delay_alu instid0(SALU_CYCLE_1)
	s_or_b32 s6, s6, s11
	s_or_b32 exec_lo, exec_lo, s7
	v_mov_b32_e32 v8, s10
	s_and_saveexec_b32 s7, s6
	s_cbranch_execnz .LBB105_1925
	s_branch .LBB105_1926
.LBB105_2155:
	s_trap 2
	s_sendmsg_rtn_b32 s0, sendmsg(MSG_RTN_GET_DOORBELL)
	s_mov_b32 ttmp2, m0
	s_waitcnt lgkmcnt(0)
	s_and_b32 s0, s0, 0x3ff
	s_delay_alu instid0(SALU_CYCLE_1) | instskip(NEXT) | instid1(SALU_CYCLE_1)
	s_bitset1_b32 s0, 10
	s_mov_b32 m0, s0
	s_sendmsg sendmsg(MSG_INTERRUPT)
	s_mov_b32 m0, ttmp2
.LBB105_2156:                           ; =>This Inner Loop Header: Depth=1
	s_sethalt 5
	s_branch .LBB105_2156
.LBB105_2157:
	s_cbranch_execnz .LBB105_2163
; %bb.2158:
	s_or_b32 s1, s1, exec_lo
	s_cbranch_execz .LBB105_1972
	s_branch .LBB105_1973
.LBB105_2159:
	s_or_saveexec_b32 s6, s6
                                        ; implicit-def: $sgpr7
	s_delay_alu instid0(SALU_CYCLE_1)
	s_xor_b32 exec_lo, exec_lo, s6
	s_cbranch_execz .LBB105_1937
.LBB105_2160:
	v_add_f32_e64 v5, 0x42800000, |v7|
	s_and_not1_b32 s3, s3, exec_lo
	s_mov_b32 s7, 0
	s_delay_alu instid0(VALU_DEP_1) | instskip(NEXT) | instid1(VALU_DEP_1)
	v_and_b32_e32 v5, 0xff, v5
	v_cmp_ne_u32_e32 vcc_lo, 0, v5
	s_and_b32 s10, vcc_lo, exec_lo
	s_delay_alu instid0(SALU_CYCLE_1)
	s_or_b32 s3, s3, s10
	s_or_b32 exec_lo, exec_lo, s6
	v_mov_b32_e32 v8, s7
	s_and_saveexec_b32 s6, s3
	s_cbranch_execnz .LBB105_1938
	s_branch .LBB105_1939
.LBB105_2161:
	s_or_saveexec_b32 s5, s5
                                        ; implicit-def: $sgpr6
	s_delay_alu instid0(SALU_CYCLE_1)
	s_xor_b32 exec_lo, exec_lo, s5
	s_cbranch_execz .LBB105_2043
.LBB105_2162:
	v_add_f32_e64 v4, 0x46000000, |v5|
	s_and_not1_b32 s4, s4, exec_lo
	s_mov_b32 s6, 0
	s_delay_alu instid0(VALU_DEP_1) | instskip(NEXT) | instid1(VALU_DEP_1)
	v_and_b32_e32 v4, 0xff, v4
	v_cmp_ne_u32_e32 vcc_lo, 0, v4
	s_and_b32 s7, vcc_lo, exec_lo
	s_delay_alu instid0(SALU_CYCLE_1)
	s_or_b32 s4, s4, s7
	s_or_b32 exec_lo, exec_lo, s5
	v_mov_b32_e32 v7, s6
	s_and_saveexec_b32 s5, s4
	s_cbranch_execnz .LBB105_2044
	s_branch .LBB105_2045
.LBB105_2163:
	s_trap 2
	s_sendmsg_rtn_b32 s0, sendmsg(MSG_RTN_GET_DOORBELL)
	s_mov_b32 ttmp2, m0
	s_waitcnt lgkmcnt(0)
	s_and_b32 s0, s0, 0x3ff
	s_delay_alu instid0(SALU_CYCLE_1) | instskip(NEXT) | instid1(SALU_CYCLE_1)
	s_bitset1_b32 s0, 10
	s_mov_b32 m0, s0
	s_sendmsg sendmsg(MSG_INTERRUPT)
	s_mov_b32 m0, ttmp2
.LBB105_2164:                           ; =>This Inner Loop Header: Depth=1
	s_sethalt 5
	s_branch .LBB105_2164
.LBB105_2165:
	s_cbranch_execnz .LBB105_2169
; %bb.2166:
	s_mov_b32 s2, 0
	s_or_b32 s1, s1, exec_lo
	s_branch .LBB105_2089
.LBB105_2167:
	s_or_saveexec_b32 s4, s4
                                        ; implicit-def: $sgpr5
	s_delay_alu instid0(SALU_CYCLE_1)
	s_xor_b32 exec_lo, exec_lo, s4
	s_cbranch_execz .LBB105_2055
.LBB105_2168:
	v_add_f32_e64 v4, 0x42800000, |v5|
	s_and_not1_b32 s3, s3, exec_lo
	s_mov_b32 s5, 0
	s_delay_alu instid0(VALU_DEP_1) | instskip(NEXT) | instid1(VALU_DEP_1)
	v_and_b32_e32 v4, 0xff, v4
	v_cmp_ne_u32_e32 vcc_lo, 0, v4
	s_and_b32 s6, vcc_lo, exec_lo
	s_delay_alu instid0(SALU_CYCLE_1)
	s_or_b32 s3, s3, s6
	s_or_b32 exec_lo, exec_lo, s4
	v_mov_b32_e32 v7, s5
	s_and_saveexec_b32 s4, s3
	s_cbranch_execnz .LBB105_2056
	s_branch .LBB105_2057
.LBB105_2169:
	s_trap 2
	s_sendmsg_rtn_b32 s0, sendmsg(MSG_RTN_GET_DOORBELL)
	s_mov_b32 ttmp2, m0
	s_waitcnt lgkmcnt(0)
	s_and_b32 s0, s0, 0x3ff
	s_delay_alu instid0(SALU_CYCLE_1) | instskip(NEXT) | instid1(SALU_CYCLE_1)
	s_bitset1_b32 s0, 10
	s_mov_b32 m0, s0
	s_sendmsg sendmsg(MSG_INTERRUPT)
	s_mov_b32 m0, ttmp2
.LBB105_2170:                           ; =>This Inner Loop Header: Depth=1
	s_sethalt 5
	s_branch .LBB105_2170
	.section	.rodata,"a",@progbits
	.p2align	6, 0x0
	.amdhsa_kernel _ZN2at6native32elementwise_kernel_manual_unrollILi128ELi4EZNS0_15gpu_kernel_implIZZZNS0_15exp_kernel_cudaERNS_18TensorIteratorBaseEENKUlvE0_clEvENKUlvE2_clEvEUlN3c108BFloat16EE_EEvS4_RKT_EUlibE0_EEviT1_
		.amdhsa_group_segment_fixed_size 0
		.amdhsa_private_segment_fixed_size 0
		.amdhsa_kernarg_size 360
		.amdhsa_user_sgpr_count 15
		.amdhsa_user_sgpr_dispatch_ptr 0
		.amdhsa_user_sgpr_queue_ptr 0
		.amdhsa_user_sgpr_kernarg_segment_ptr 1
		.amdhsa_user_sgpr_dispatch_id 0
		.amdhsa_user_sgpr_private_segment_size 0
		.amdhsa_wavefront_size32 1
		.amdhsa_uses_dynamic_stack 0
		.amdhsa_enable_private_segment 0
		.amdhsa_system_sgpr_workgroup_id_x 1
		.amdhsa_system_sgpr_workgroup_id_y 0
		.amdhsa_system_sgpr_workgroup_id_z 0
		.amdhsa_system_sgpr_workgroup_info 0
		.amdhsa_system_vgpr_workitem_id 0
		.amdhsa_next_free_vgpr 18
		.amdhsa_next_free_sgpr 68
		.amdhsa_reserve_vcc 1
		.amdhsa_float_round_mode_32 0
		.amdhsa_float_round_mode_16_64 0
		.amdhsa_float_denorm_mode_32 3
		.amdhsa_float_denorm_mode_16_64 3
		.amdhsa_dx10_clamp 1
		.amdhsa_ieee_mode 1
		.amdhsa_fp16_overflow 0
		.amdhsa_workgroup_processor_mode 1
		.amdhsa_memory_ordered 1
		.amdhsa_forward_progress 0
		.amdhsa_shared_vgpr_count 0
		.amdhsa_exception_fp_ieee_invalid_op 0
		.amdhsa_exception_fp_denorm_src 0
		.amdhsa_exception_fp_ieee_div_zero 0
		.amdhsa_exception_fp_ieee_overflow 0
		.amdhsa_exception_fp_ieee_underflow 0
		.amdhsa_exception_fp_ieee_inexact 0
		.amdhsa_exception_int_div_zero 0
	.end_amdhsa_kernel
	.section	.text._ZN2at6native32elementwise_kernel_manual_unrollILi128ELi4EZNS0_15gpu_kernel_implIZZZNS0_15exp_kernel_cudaERNS_18TensorIteratorBaseEENKUlvE0_clEvENKUlvE2_clEvEUlN3c108BFloat16EE_EEvS4_RKT_EUlibE0_EEviT1_,"axG",@progbits,_ZN2at6native32elementwise_kernel_manual_unrollILi128ELi4EZNS0_15gpu_kernel_implIZZZNS0_15exp_kernel_cudaERNS_18TensorIteratorBaseEENKUlvE0_clEvENKUlvE2_clEvEUlN3c108BFloat16EE_EEvS4_RKT_EUlibE0_EEviT1_,comdat
.Lfunc_end105:
	.size	_ZN2at6native32elementwise_kernel_manual_unrollILi128ELi4EZNS0_15gpu_kernel_implIZZZNS0_15exp_kernel_cudaERNS_18TensorIteratorBaseEENKUlvE0_clEvENKUlvE2_clEvEUlN3c108BFloat16EE_EEvS4_RKT_EUlibE0_EEviT1_, .Lfunc_end105-_ZN2at6native32elementwise_kernel_manual_unrollILi128ELi4EZNS0_15gpu_kernel_implIZZZNS0_15exp_kernel_cudaERNS_18TensorIteratorBaseEENKUlvE0_clEvENKUlvE2_clEvEUlN3c108BFloat16EE_EEvS4_RKT_EUlibE0_EEviT1_
                                        ; -- End function
	.section	.AMDGPU.csdata,"",@progbits
; Kernel info:
; codeLenInByte = 48976
; NumSgprs: 70
; NumVgprs: 18
; ScratchSize: 0
; MemoryBound: 0
; FloatMode: 240
; IeeeMode: 1
; LDSByteSize: 0 bytes/workgroup (compile time only)
; SGPRBlocks: 8
; VGPRBlocks: 2
; NumSGPRsForWavesPerEU: 70
; NumVGPRsForWavesPerEU: 18
; Occupancy: 16
; WaveLimiterHint : 1
; COMPUTE_PGM_RSRC2:SCRATCH_EN: 0
; COMPUTE_PGM_RSRC2:USER_SGPR: 15
; COMPUTE_PGM_RSRC2:TRAP_HANDLER: 0
; COMPUTE_PGM_RSRC2:TGID_X_EN: 1
; COMPUTE_PGM_RSRC2:TGID_Y_EN: 0
; COMPUTE_PGM_RSRC2:TGID_Z_EN: 0
; COMPUTE_PGM_RSRC2:TIDIG_COMP_CNT: 0
	.section	.text._ZN2at6native29vectorized_elementwise_kernelILi16EZZZNS0_17expm1_kernel_cudaERNS_18TensorIteratorBaseEENKUlvE_clEvENKUlvE_clEvEUldE_St5arrayIPcLm2EEEEviT0_T1_,"axG",@progbits,_ZN2at6native29vectorized_elementwise_kernelILi16EZZZNS0_17expm1_kernel_cudaERNS_18TensorIteratorBaseEENKUlvE_clEvENKUlvE_clEvEUldE_St5arrayIPcLm2EEEEviT0_T1_,comdat
	.globl	_ZN2at6native29vectorized_elementwise_kernelILi16EZZZNS0_17expm1_kernel_cudaERNS_18TensorIteratorBaseEENKUlvE_clEvENKUlvE_clEvEUldE_St5arrayIPcLm2EEEEviT0_T1_ ; -- Begin function _ZN2at6native29vectorized_elementwise_kernelILi16EZZZNS0_17expm1_kernel_cudaERNS_18TensorIteratorBaseEENKUlvE_clEvENKUlvE_clEvEUldE_St5arrayIPcLm2EEEEviT0_T1_
	.p2align	8
	.type	_ZN2at6native29vectorized_elementwise_kernelILi16EZZZNS0_17expm1_kernel_cudaERNS_18TensorIteratorBaseEENKUlvE_clEvENKUlvE_clEvEUldE_St5arrayIPcLm2EEEEviT0_T1_,@function
_ZN2at6native29vectorized_elementwise_kernelILi16EZZZNS0_17expm1_kernel_cudaERNS_18TensorIteratorBaseEENKUlvE_clEvENKUlvE_clEvEUldE_St5arrayIPcLm2EEEEviT0_T1_: ; @_ZN2at6native29vectorized_elementwise_kernelILi16EZZZNS0_17expm1_kernel_cudaERNS_18TensorIteratorBaseEENKUlvE_clEvENKUlvE_clEvEUldE_St5arrayIPcLm2EEEEviT0_T1_
; %bb.0:
	s_clause 0x1
	s_load_b32 s2, s[0:1], 0x0
	s_load_b128 s[16:19], s[0:1], 0x8
	s_lshl_b32 s12, s15, 10
	s_mov_b32 s0, -1
	s_waitcnt lgkmcnt(0)
	s_sub_i32 s11, s2, s12
	s_delay_alu instid0(SALU_CYCLE_1)
	s_cmpk_gt_i32 s11, 0x3ff
	s_cbranch_scc0 .LBB106_2
; %bb.1:
	s_ashr_i32 s13, s12, 31
	v_lshlrev_b32_e32 v41, 5, v0
	s_lshl_b64 s[14:15], s[12:13], 3
	s_mov_b32 s4, 0xfefa39ef
	s_add_u32 s0, s18, s14
	s_addc_u32 s1, s19, s15
	s_mov_b32 s5, 0xbfe62e42
	s_clause 0x1
	global_load_b128 v[1:4], v41, s[0:1]
	global_load_b128 v[5:8], v41, s[0:1] offset:16
	s_mov_b32 s0, 0x652b82fe
	s_mov_b32 s1, 0x3ff71547
	;; [unrolled: 1-line block ×6, first 2 shown]
	s_waitcnt vmcnt(1)
	v_mul_f64 v[11:12], v[3:4], s[0:1]
	s_waitcnt vmcnt(0)
	v_mul_f64 v[13:14], v[5:6], s[0:1]
	v_mul_f64 v[15:16], v[7:8], s[0:1]
	;; [unrolled: 1-line block ×3, first 2 shown]
	s_mov_b32 s0, 0x3b39803f
	s_mov_b32 s1, 0xbc7abc9e
	v_cmp_nlt_f64_e64 s7, s[20:21], v[5:6]
	v_cmp_nlt_f64_e64 s9, s[20:21], v[7:8]
	v_cmp_ngt_f64_e64 s6, 0xc0428000, v[3:4]
	v_cmp_ngt_f64_e64 s8, 0xc0428000, v[5:6]
	;; [unrolled: 1-line block ×3, first 2 shown]
	v_rndne_f64_e32 v[11:12], v[11:12]
	v_rndne_f64_e32 v[13:14], v[13:14]
	v_rndne_f64_e32 v[15:16], v[15:16]
	v_rndne_f64_e32 v[9:10], v[9:10]
	s_delay_alu instid0(VALU_DEP_4) | instskip(NEXT) | instid1(VALU_DEP_4)
	v_fma_f64 v[19:20], v[11:12], s[4:5], v[3:4]
	v_fma_f64 v[21:22], v[13:14], s[4:5], v[5:6]
	s_delay_alu instid0(VALU_DEP_4) | instskip(NEXT) | instid1(VALU_DEP_4)
	v_fma_f64 v[23:24], v[15:16], s[4:5], v[7:8]
	v_fma_f64 v[17:18], v[9:10], s[4:5], v[1:2]
	v_cvt_i32_f64_e32 v34, v[11:12]
	v_cvt_i32_f64_e32 v35, v[13:14]
	;; [unrolled: 1-line block ×4, first 2 shown]
	v_cmp_eq_f64_e32 vcc_lo, 0x40900000, v[9:10]
	v_cmp_nlt_f64_e64 s5, s[20:21], v[3:4]
	v_cmp_ngt_f64_e64 s4, 0xc0428000, v[1:2]
	v_fma_f64 v[19:20], v[11:12], s[0:1], v[19:20]
	v_fma_f64 v[21:22], v[13:14], s[0:1], v[21:22]
	;; [unrolled: 1-line block ×4, first 2 shown]
	s_mov_b32 s0, 0x2a1b768b
	s_mov_b32 s1, 0x3e5af4eb
	v_cndmask_b32_e64 v9, v33, 0x3ff, vcc_lo
	s_delay_alu instid0(VALU_DEP_1)
	v_ldexp_f64 v[9:10], 1.0, v9
	v_fma_f64 v[27:28], v[19:20], s[2:3], s[0:1]
	v_fma_f64 v[29:30], v[21:22], s[2:3], s[0:1]
	;; [unrolled: 1-line block ×4, first 2 shown]
	s_mov_b32 s0, 0xe0ac05b
	s_mov_b32 s1, 0x3e927e50
	v_cmp_eq_f64_e64 s2, 0x40900000, v[15:16]
	v_cmp_nlt_f64_e64 s3, s[20:21], v[1:2]
	v_fma_f64 v[27:28], v[19:20], v[27:28], s[0:1]
	v_fma_f64 v[29:30], v[21:22], v[29:30], s[0:1]
	;; [unrolled: 1-line block ×4, first 2 shown]
	s_mov_b32 s0, 0x1b889c29
	s_mov_b32 s1, 0x3ec71de0
	v_cndmask_b32_e64 v15, v36, 0x3ff, s2
	s_delay_alu instid0(VALU_DEP_1)
	v_ldexp_f64 v[15:16], 1.0, v15
	v_fma_f64 v[27:28], v[19:20], v[27:28], s[0:1]
	v_fma_f64 v[29:30], v[21:22], v[29:30], s[0:1]
	;; [unrolled: 1-line block ×4, first 2 shown]
	s_mov_b32 s0, 0x197bcfd8
	s_mov_b32 s1, 0x3efa01a0
	v_add_f64 v[39:40], v[15:16], -1.0
	v_fma_f64 v[27:28], v[19:20], v[27:28], s[0:1]
	v_fma_f64 v[29:30], v[21:22], v[29:30], s[0:1]
	;; [unrolled: 1-line block ×4, first 2 shown]
	s_mov_b32 s0, 0x1ac1a723
	s_mov_b32 s1, 0x3f2a01a0
	s_delay_alu instid0(VALU_DEP_4) | instid1(SALU_CYCLE_1)
	v_fma_f64 v[27:28], v[19:20], v[27:28], s[0:1]
	s_delay_alu instid0(VALU_DEP_4) | instskip(NEXT) | instid1(VALU_DEP_4)
	v_fma_f64 v[29:30], v[21:22], v[29:30], s[0:1]
	v_fma_f64 v[31:32], v[23:24], v[31:32], s[0:1]
	s_delay_alu instid0(VALU_DEP_4)
	v_fma_f64 v[25:26], v[17:18], v[25:26], s[0:1]
	s_mov_b32 s0, 0x16c18931
	s_mov_b32 s1, 0x3f56c16c
	s_delay_alu instid0(VALU_DEP_4) | instid1(SALU_CYCLE_1)
	v_fma_f64 v[27:28], v[19:20], v[27:28], s[0:1]
	s_delay_alu instid0(VALU_DEP_4) | instskip(NEXT) | instid1(VALU_DEP_4)
	v_fma_f64 v[29:30], v[21:22], v[29:30], s[0:1]
	v_fma_f64 v[31:32], v[23:24], v[31:32], s[0:1]
	s_delay_alu instid0(VALU_DEP_4)
	v_fma_f64 v[25:26], v[17:18], v[25:26], s[0:1]
	;; [unrolled: 9-line block ×5, first 2 shown]
	v_cmp_eq_f64_e64 s0, 0x40900000, v[11:12]
	v_cmp_eq_f64_e64 s1, 0x40900000, v[13:14]
	v_fma_f64 v[27:28], v[19:20], v[27:28], 0.5
	v_fma_f64 v[29:30], v[21:22], v[29:30], 0.5
	;; [unrolled: 1-line block ×4, first 2 shown]
	v_cndmask_b32_e64 v11, v34, 0x3ff, s0
	v_cndmask_b32_e64 v13, v35, 0x3ff, s1
	v_add_f64 v[33:34], v[9:10], -1.0
	s_delay_alu instid0(VALU_DEP_3) | instskip(NEXT) | instid1(VALU_DEP_3)
	v_ldexp_f64 v[11:12], 1.0, v11
	v_ldexp_f64 v[13:14], 1.0, v13
	v_mul_f64 v[27:28], v[19:20], v[27:28]
	v_mul_f64 v[29:30], v[21:22], v[29:30]
	v_mul_f64 v[31:32], v[23:24], v[31:32]
	v_mul_f64 v[25:26], v[17:18], v[25:26]
	v_add_f64 v[35:36], v[11:12], -1.0
	v_add_f64 v[37:38], v[13:14], -1.0
	v_fma_f64 v[19:20], v[19:20], v[27:28], v[19:20]
	v_fma_f64 v[21:22], v[21:22], v[29:30], v[21:22]
	;; [unrolled: 1-line block ×4, first 2 shown]
	s_delay_alu instid0(VALU_DEP_4) | instskip(NEXT) | instid1(VALU_DEP_4)
	v_fma_f64 v[11:12], v[11:12], v[19:20], v[35:36]
	v_fma_f64 v[13:14], v[13:14], v[21:22], v[37:38]
	s_delay_alu instid0(VALU_DEP_4) | instskip(NEXT) | instid1(VALU_DEP_4)
	v_fma_f64 v[15:16], v[15:16], v[23:24], v[39:40]
	v_fma_f64 v[9:10], v[9:10], v[17:18], v[33:34]
	s_delay_alu instid0(VALU_DEP_4) | instskip(NEXT) | instid1(VALU_DEP_4)
	v_add_f64 v[19:20], v[11:12], v[11:12]
	v_add_f64 v[21:22], v[13:14], v[13:14]
	s_delay_alu instid0(VALU_DEP_4) | instskip(NEXT) | instid1(VALU_DEP_4)
	v_add_f64 v[23:24], v[15:16], v[15:16]
	v_add_f64 v[17:18], v[9:10], v[9:10]
	s_delay_alu instid0(VALU_DEP_4) | instskip(NEXT) | instid1(VALU_DEP_4)
	v_cndmask_b32_e64 v12, v12, v20, s0
	v_cndmask_b32_e64 v14, v14, v22, s1
	s_delay_alu instid0(VALU_DEP_4) | instskip(NEXT) | instid1(VALU_DEP_4)
	v_cndmask_b32_e64 v16, v16, v24, s2
	v_dual_cndmask_b32 v10, v10, v18 :: v_dual_cndmask_b32 v7, v9, v17
	s_delay_alu instid0(VALU_DEP_4) | instskip(NEXT) | instid1(VALU_DEP_4)
	v_cndmask_b32_e64 v1, 0x7ff00000, v12, s5
	v_cndmask_b32_e64 v3, 0x7ff00000, v14, s7
	;; [unrolled: 1-line block ×3, first 2 shown]
	s_and_b32 vcc_lo, s4, s3
	v_cndmask_b32_e64 v5, 0x7ff00000, v16, s9
	v_cndmask_b32_e64 v11, v13, v21, s1
	;; [unrolled: 1-line block ×4, first 2 shown]
	v_cndmask_b32_e32 v1, 0, v7, vcc_lo
	s_and_b32 vcc_lo, s6, s5
	v_cndmask_b32_e64 v12, v15, v23, s2
	v_cndmask_b32_e64 v6, 0xbff00000, v3, s8
	v_cndmask_b32_e32 v3, 0, v9, vcc_lo
	s_and_b32 vcc_lo, s8, s7
	v_cndmask_b32_e64 v8, 0xbff00000, v5, s10
	v_cndmask_b32_e32 v5, 0, v11, vcc_lo
	s_and_b32 vcc_lo, s10, s9
	v_cndmask_b32_e64 v2, 0xbff00000, v10, s4
	v_cndmask_b32_e32 v7, 0, v12, vcc_lo
	s_add_u32 s2, s16, s14
	s_addc_u32 s3, s17, s15
	s_mov_b32 s0, 0
	s_clause 0x1
	global_store_b128 v41, v[1:4], s[2:3]
	global_store_b128 v41, v[5:8], s[2:3] offset:16
.LBB106_2:
	s_and_not1_b32 vcc_lo, exec_lo, s0
	s_cbranch_vccnz .LBB106_20
; %bb.3:
	v_dual_mov_b32 v14, 0 :: v_dual_mov_b32 v1, v0
	v_mov_b32_e32 v15, 0
	v_cmp_gt_i32_e32 vcc_lo, s11, v0
	v_or_b32_e32 v9, s12, v0
	v_or_b32_e32 v18, 0x100, v0
	s_delay_alu instid0(VALU_DEP_4)
	v_dual_mov_b32 v17, v15 :: v_dual_mov_b32 v16, v14
	s_and_saveexec_b32 s1, vcc_lo
	s_cbranch_execz .LBB106_5
; %bb.4:
	v_mov_b32_e32 v10, 0
	s_delay_alu instid0(VALU_DEP_1) | instskip(NEXT) | instid1(VALU_DEP_1)
	v_lshlrev_b64 v[1:2], 3, v[9:10]
	v_add_co_u32 v1, s0, s18, v1
	s_delay_alu instid0(VALU_DEP_1)
	v_add_co_ci_u32_e64 v2, s0, s19, v2, s0
	global_load_b64 v[16:17], v[1:2], off
	v_or_b32_e32 v1, 0x100, v0
.LBB106_5:
	s_or_b32 exec_lo, exec_lo, s1
	s_delay_alu instid0(SALU_CYCLE_1) | instskip(NEXT) | instid1(VALU_DEP_1)
	s_mov_b32 s1, exec_lo
	v_cmpx_gt_i32_e64 s11, v1
	s_cbranch_execz .LBB106_7
; %bb.6:
	v_dual_mov_b32 v3, 0 :: v_dual_add_nc_u32 v2, s12, v1
	v_add_nc_u32_e32 v1, 0x100, v1
	s_delay_alu instid0(VALU_DEP_2) | instskip(NEXT) | instid1(VALU_DEP_1)
	v_lshlrev_b64 v[2:3], 3, v[2:3]
	v_add_co_u32 v2, s0, s18, v2
	s_delay_alu instid0(VALU_DEP_1)
	v_add_co_ci_u32_e64 v3, s0, s19, v3, s0
	global_load_b64 v[14:15], v[2:3], off
.LBB106_7:
	s_or_b32 exec_lo, exec_lo, s1
	v_mov_b32_e32 v10, 0
	v_mov_b32_e32 v11, 0
	s_mov_b32 s1, exec_lo
	s_delay_alu instid0(VALU_DEP_1)
	v_dual_mov_b32 v13, v11 :: v_dual_mov_b32 v12, v10
	v_cmpx_gt_i32_e64 s11, v1
	s_cbranch_execnz .LBB106_21
; %bb.8:
	s_or_b32 exec_lo, exec_lo, s1
	s_delay_alu instid0(SALU_CYCLE_1)
	s_mov_b32 s1, exec_lo
	v_cmpx_gt_i32_e64 s11, v1
	s_cbranch_execnz .LBB106_22
.LBB106_9:
	s_or_b32 exec_lo, exec_lo, s1
                                        ; implicit-def: $vgpr1_vgpr2_vgpr3_vgpr4_vgpr5_vgpr6_vgpr7_vgpr8
	s_and_saveexec_b32 s3, vcc_lo
	s_cbranch_execnz .LBB106_23
.LBB106_10:
	s_or_b32 exec_lo, exec_lo, s3
	s_delay_alu instid0(SALU_CYCLE_1)
	s_mov_b32 s3, exec_lo
	v_cmpx_gt_i32_e64 s11, v18
	s_cbranch_execz .LBB106_12
.LBB106_11:
	s_mov_b32 s0, 0x652b82fe
	s_mov_b32 s1, 0x3ff71547
	;; [unrolled: 1-line block ×3, first 2 shown]
	s_waitcnt vmcnt(0)
	v_mul_f64 v[3:4], v[14:15], s[0:1]
	s_mov_b32 s4, 0xfefa39ef
	s_mov_b32 s0, 0x3b39803f
	s_mov_b32 s1, 0xbc7abc9e
	s_mov_b32 s6, 0xa9d67f34
	s_mov_b32 s7, 0x3e21f32e
	v_cmp_ngt_f64_e64 s2, 0xc0428000, v[14:15]
	s_delay_alu instid0(VALU_DEP_2) | instskip(NEXT) | instid1(VALU_DEP_1)
	v_rndne_f64_e32 v[3:4], v[3:4]
	v_fma_f64 v[16:17], v[3:4], s[4:5], v[14:15]
	v_cvt_i32_f64_e32 v21, v[3:4]
	s_mov_b32 s5, 0x40862e42
	s_delay_alu instid0(VALU_DEP_2)
	v_fma_f64 v[16:17], v[3:4], s[0:1], v[16:17]
	s_mov_b32 s0, 0x2a1b768b
	s_mov_b32 s1, 0x3e5af4eb
	s_delay_alu instid0(VALU_DEP_1) | instid1(SALU_CYCLE_1)
	v_fma_f64 v[19:20], v[16:17], s[6:7], s[0:1]
	s_mov_b32 s0, 0xe0ac05b
	s_mov_b32 s1, 0x3e927e50
	s_delay_alu instid0(VALU_DEP_1) | instid1(SALU_CYCLE_1)
	;; [unrolled: 4-line block ×9, first 2 shown]
	v_fma_f64 v[19:20], v[16:17], v[19:20], s[0:1]
	v_cmp_eq_f64_e64 s0, 0x40900000, v[3:4]
	v_cmp_nlt_f64_e64 s1, s[4:5], v[14:15]
	s_delay_alu instid0(VALU_DEP_3) | instskip(NEXT) | instid1(VALU_DEP_3)
	v_fma_f64 v[19:20], v[16:17], v[19:20], 0.5
	v_cndmask_b32_e64 v3, v21, 0x3ff, s0
	s_delay_alu instid0(VALU_DEP_1) | instskip(NEXT) | instid1(VALU_DEP_3)
	v_ldexp_f64 v[3:4], 1.0, v3
	v_mul_f64 v[19:20], v[16:17], v[19:20]
	s_delay_alu instid0(VALU_DEP_2) | instskip(NEXT) | instid1(VALU_DEP_2)
	v_add_f64 v[21:22], v[3:4], -1.0
	v_fma_f64 v[16:17], v[16:17], v[19:20], v[16:17]
	s_delay_alu instid0(VALU_DEP_1) | instskip(NEXT) | instid1(VALU_DEP_1)
	v_fma_f64 v[3:4], v[3:4], v[16:17], v[21:22]
	v_add_f64 v[16:17], v[3:4], v[3:4]
	s_delay_alu instid0(VALU_DEP_1) | instskip(NEXT) | instid1(VALU_DEP_2)
	v_cndmask_b32_e64 v4, v4, v17, s0
	v_cndmask_b32_e64 v3, v3, v16, s0
	s_and_b32 s0, s2, s1
	s_delay_alu instid0(VALU_DEP_2) | instskip(NEXT) | instid1(VALU_DEP_2)
	v_cndmask_b32_e64 v4, 0x7ff00000, v4, s1
	v_cndmask_b32_e64 v3, 0, v3, s0
	s_delay_alu instid0(VALU_DEP_2)
	v_cndmask_b32_e64 v4, 0xbff00000, v4, s2
.LBB106_12:
	s_or_b32 exec_lo, exec_lo, s3
	s_waitcnt vmcnt(0)
	v_or_b32_e32 v14, 0x200, v0
	s_mov_b32 s3, exec_lo
	s_delay_alu instid0(VALU_DEP_1)
	v_cmpx_gt_i32_e64 s11, v14
	s_cbranch_execz .LBB106_14
; %bb.13:
	s_mov_b32 s0, 0x652b82fe
	s_mov_b32 s1, 0x3ff71547
	;; [unrolled: 1-line block ×3, first 2 shown]
	v_mul_f64 v[5:6], v[12:13], s[0:1]
	s_mov_b32 s4, 0xfefa39ef
	s_mov_b32 s0, 0x3b39803f
	;; [unrolled: 1-line block ×5, first 2 shown]
	v_cmp_ngt_f64_e64 s2, 0xc0428000, v[12:13]
	s_delay_alu instid0(VALU_DEP_2) | instskip(NEXT) | instid1(VALU_DEP_1)
	v_rndne_f64_e32 v[5:6], v[5:6]
	v_fma_f64 v[14:15], v[5:6], s[4:5], v[12:13]
	v_cvt_i32_f64_e32 v19, v[5:6]
	s_mov_b32 s5, 0x40862e42
	s_delay_alu instid0(VALU_DEP_2)
	v_fma_f64 v[14:15], v[5:6], s[0:1], v[14:15]
	s_mov_b32 s0, 0x2a1b768b
	s_mov_b32 s1, 0x3e5af4eb
	s_delay_alu instid0(VALU_DEP_1) | instid1(SALU_CYCLE_1)
	v_fma_f64 v[16:17], v[14:15], s[6:7], s[0:1]
	s_mov_b32 s0, 0xe0ac05b
	s_mov_b32 s1, 0x3e927e50
	s_delay_alu instid0(VALU_DEP_1) | instid1(SALU_CYCLE_1)
	v_fma_f64 v[16:17], v[14:15], v[16:17], s[0:1]
	s_mov_b32 s0, 0x1b889c29
	s_mov_b32 s1, 0x3ec71de0
	s_delay_alu instid0(VALU_DEP_1) | instid1(SALU_CYCLE_1)
	v_fma_f64 v[16:17], v[14:15], v[16:17], s[0:1]
	s_mov_b32 s0, 0x197bcfd8
	s_mov_b32 s1, 0x3efa01a0
	s_delay_alu instid0(VALU_DEP_1) | instid1(SALU_CYCLE_1)
	v_fma_f64 v[16:17], v[14:15], v[16:17], s[0:1]
	s_mov_b32 s0, 0x1ac1a723
	s_mov_b32 s1, 0x3f2a01a0
	s_delay_alu instid0(VALU_DEP_1) | instid1(SALU_CYCLE_1)
	v_fma_f64 v[16:17], v[14:15], v[16:17], s[0:1]
	s_mov_b32 s0, 0x16c18931
	s_mov_b32 s1, 0x3f56c16c
	s_delay_alu instid0(VALU_DEP_1) | instid1(SALU_CYCLE_1)
	v_fma_f64 v[16:17], v[14:15], v[16:17], s[0:1]
	s_mov_b32 s0, 0x11110056
	s_mov_b32 s1, 0x3f811111
	s_delay_alu instid0(VALU_DEP_1) | instid1(SALU_CYCLE_1)
	v_fma_f64 v[16:17], v[14:15], v[16:17], s[0:1]
	s_mov_b32 s0, 0x55555552
	s_mov_b32 s1, 0x3fa55555
	s_delay_alu instid0(VALU_DEP_1) | instid1(SALU_CYCLE_1)
	v_fma_f64 v[16:17], v[14:15], v[16:17], s[0:1]
	s_mov_b32 s0, 0x55555557
	s_mov_b32 s1, 0x3fc55555
	s_delay_alu instid0(VALU_DEP_1) | instid1(SALU_CYCLE_1)
	v_fma_f64 v[16:17], v[14:15], v[16:17], s[0:1]
	v_cmp_eq_f64_e64 s0, 0x40900000, v[5:6]
	v_cmp_nlt_f64_e64 s1, s[4:5], v[12:13]
	s_delay_alu instid0(VALU_DEP_3) | instskip(NEXT) | instid1(VALU_DEP_3)
	v_fma_f64 v[16:17], v[14:15], v[16:17], 0.5
	v_cndmask_b32_e64 v5, v19, 0x3ff, s0
	s_delay_alu instid0(VALU_DEP_1) | instskip(NEXT) | instid1(VALU_DEP_3)
	v_ldexp_f64 v[5:6], 1.0, v5
	v_mul_f64 v[16:17], v[14:15], v[16:17]
	s_delay_alu instid0(VALU_DEP_2) | instskip(NEXT) | instid1(VALU_DEP_2)
	v_add_f64 v[19:20], v[5:6], -1.0
	v_fma_f64 v[14:15], v[14:15], v[16:17], v[14:15]
	s_delay_alu instid0(VALU_DEP_1) | instskip(NEXT) | instid1(VALU_DEP_1)
	v_fma_f64 v[5:6], v[5:6], v[14:15], v[19:20]
	v_add_f64 v[14:15], v[5:6], v[5:6]
	s_delay_alu instid0(VALU_DEP_1) | instskip(NEXT) | instid1(VALU_DEP_2)
	v_cndmask_b32_e64 v6, v6, v15, s0
	v_cndmask_b32_e64 v5, v5, v14, s0
	s_and_b32 s0, s2, s1
	s_delay_alu instid0(VALU_DEP_2) | instskip(NEXT) | instid1(VALU_DEP_2)
	v_cndmask_b32_e64 v6, 0x7ff00000, v6, s1
	v_cndmask_b32_e64 v5, 0, v5, s0
	s_delay_alu instid0(VALU_DEP_2)
	v_cndmask_b32_e64 v6, 0xbff00000, v6, s2
.LBB106_14:
	s_or_b32 exec_lo, exec_lo, s3
	v_or_b32_e32 v12, 0x300, v0
	s_mov_b32 s3, exec_lo
	s_delay_alu instid0(VALU_DEP_1)
	v_cmpx_gt_i32_e64 s11, v12
	s_cbranch_execnz .LBB106_24
; %bb.15:
	s_or_b32 exec_lo, exec_lo, s3
	s_and_saveexec_b32 s0, vcc_lo
	s_delay_alu instid0(SALU_CYCLE_1)
	s_xor_b32 s0, exec_lo, s0
	s_cbranch_execnz .LBB106_25
.LBB106_16:
	s_or_b32 exec_lo, exec_lo, s0
	s_delay_alu instid0(SALU_CYCLE_1)
	s_mov_b32 s0, exec_lo
	v_cmpx_gt_i32_e64 s11, v0
	s_cbranch_execnz .LBB106_26
.LBB106_17:
	s_or_b32 exec_lo, exec_lo, s0
	s_delay_alu instid0(SALU_CYCLE_1)
	s_mov_b32 s0, exec_lo
	v_cmpx_gt_i32_e64 s11, v0
	s_cbranch_execnz .LBB106_27
.LBB106_18:
	s_or_b32 exec_lo, exec_lo, s0
	s_delay_alu instid0(SALU_CYCLE_1)
	s_mov_b32 s0, exec_lo
	v_cmpx_gt_i32_e64 s11, v0
	s_cbranch_execz .LBB106_20
.LBB106_19:
	v_dual_mov_b32 v1, 0 :: v_dual_add_nc_u32 v0, s12, v0
	s_delay_alu instid0(VALU_DEP_1) | instskip(NEXT) | instid1(VALU_DEP_1)
	v_lshlrev_b64 v[0:1], 3, v[0:1]
	v_add_co_u32 v0, vcc_lo, s16, v0
	s_delay_alu instid0(VALU_DEP_2)
	v_add_co_ci_u32_e32 v1, vcc_lo, s17, v1, vcc_lo
	global_store_b64 v[0:1], v[7:8], off
.LBB106_20:
	s_nop 0
	s_sendmsg sendmsg(MSG_DEALLOC_VGPRS)
	s_endpgm
.LBB106_21:
	v_dual_mov_b32 v3, 0 :: v_dual_add_nc_u32 v2, s12, v1
	v_add_nc_u32_e32 v1, 0x100, v1
	s_delay_alu instid0(VALU_DEP_2) | instskip(NEXT) | instid1(VALU_DEP_1)
	v_lshlrev_b64 v[2:3], 3, v[2:3]
	v_add_co_u32 v2, s0, s18, v2
	s_delay_alu instid0(VALU_DEP_1) | instskip(SKIP_2) | instid1(SALU_CYCLE_1)
	v_add_co_ci_u32_e64 v3, s0, s19, v3, s0
	global_load_b64 v[12:13], v[2:3], off
	s_or_b32 exec_lo, exec_lo, s1
	s_mov_b32 s1, exec_lo
	v_cmpx_gt_i32_e64 s11, v1
	s_cbranch_execz .LBB106_9
.LBB106_22:
	v_dual_mov_b32 v2, 0 :: v_dual_add_nc_u32 v1, s12, v1
	s_delay_alu instid0(VALU_DEP_1) | instskip(NEXT) | instid1(VALU_DEP_1)
	v_lshlrev_b64 v[1:2], 3, v[1:2]
	v_add_co_u32 v1, s0, s18, v1
	s_delay_alu instid0(VALU_DEP_1)
	v_add_co_ci_u32_e64 v2, s0, s19, v2, s0
	global_load_b64 v[10:11], v[1:2], off
	s_or_b32 exec_lo, exec_lo, s1
                                        ; implicit-def: $vgpr1_vgpr2_vgpr3_vgpr4_vgpr5_vgpr6_vgpr7_vgpr8
	s_and_saveexec_b32 s3, vcc_lo
	s_cbranch_execz .LBB106_10
.LBB106_23:
	s_mov_b32 s0, 0x652b82fe
	s_mov_b32 s1, 0x3ff71547
	;; [unrolled: 1-line block ×3, first 2 shown]
	s_waitcnt vmcnt(0)
	v_mul_f64 v[1:2], v[16:17], s[0:1]
	s_mov_b32 s4, 0xfefa39ef
	s_mov_b32 s0, 0x3b39803f
	;; [unrolled: 1-line block ×5, first 2 shown]
	v_cmp_ngt_f64_e64 s2, 0xc0428000, v[16:17]
	s_delay_alu instid0(VALU_DEP_2) | instskip(NEXT) | instid1(VALU_DEP_1)
	v_rndne_f64_e32 v[1:2], v[1:2]
	v_fma_f64 v[3:4], v[1:2], s[4:5], v[16:17]
	v_cvt_i32_f64_e32 v7, v[1:2]
	s_mov_b32 s5, 0x40862e42
	s_delay_alu instid0(VALU_DEP_2)
	v_fma_f64 v[3:4], v[1:2], s[0:1], v[3:4]
	s_mov_b32 s0, 0x2a1b768b
	s_mov_b32 s1, 0x3e5af4eb
	s_delay_alu instid0(VALU_DEP_1) | instid1(SALU_CYCLE_1)
	v_fma_f64 v[5:6], v[3:4], s[6:7], s[0:1]
	s_mov_b32 s0, 0xe0ac05b
	s_mov_b32 s1, 0x3e927e50
	s_delay_alu instid0(VALU_DEP_1) | instid1(SALU_CYCLE_1)
	;; [unrolled: 4-line block ×9, first 2 shown]
	v_fma_f64 v[5:6], v[3:4], v[5:6], s[0:1]
	v_cmp_eq_f64_e64 s0, 0x40900000, v[1:2]
	v_cmp_nlt_f64_e64 s1, s[4:5], v[16:17]
	s_delay_alu instid0(VALU_DEP_3) | instskip(NEXT) | instid1(VALU_DEP_3)
	v_fma_f64 v[5:6], v[3:4], v[5:6], 0.5
	v_cndmask_b32_e64 v1, v7, 0x3ff, s0
	s_delay_alu instid0(VALU_DEP_1) | instskip(NEXT) | instid1(VALU_DEP_3)
	v_ldexp_f64 v[1:2], 1.0, v1
	v_mul_f64 v[5:6], v[3:4], v[5:6]
	s_delay_alu instid0(VALU_DEP_2) | instskip(NEXT) | instid1(VALU_DEP_2)
	v_add_f64 v[7:8], v[1:2], -1.0
	v_fma_f64 v[3:4], v[3:4], v[5:6], v[3:4]
	s_delay_alu instid0(VALU_DEP_1) | instskip(NEXT) | instid1(VALU_DEP_1)
	v_fma_f64 v[1:2], v[1:2], v[3:4], v[7:8]
	v_add_f64 v[3:4], v[1:2], v[1:2]
	s_delay_alu instid0(VALU_DEP_1) | instskip(NEXT) | instid1(VALU_DEP_2)
	v_cndmask_b32_e64 v2, v2, v4, s0
	v_cndmask_b32_e64 v1, v1, v3, s0
	s_and_b32 s0, s2, s1
	s_delay_alu instid0(VALU_DEP_2) | instskip(NEXT) | instid1(VALU_DEP_2)
	v_cndmask_b32_e64 v2, 0x7ff00000, v2, s1
	v_cndmask_b32_e64 v1, 0, v1, s0
	s_delay_alu instid0(VALU_DEP_2) | instskip(SKIP_1) | instid1(SALU_CYCLE_1)
	v_cndmask_b32_e64 v2, 0xbff00000, v2, s2
	s_or_b32 exec_lo, exec_lo, s3
	s_mov_b32 s3, exec_lo
	v_cmpx_gt_i32_e64 s11, v18
	s_cbranch_execnz .LBB106_11
	s_branch .LBB106_12
.LBB106_24:
	s_mov_b32 s0, 0x652b82fe
	s_mov_b32 s1, 0x3ff71547
	;; [unrolled: 1-line block ×3, first 2 shown]
	v_mul_f64 v[7:8], v[10:11], s[0:1]
	s_mov_b32 s4, 0xfefa39ef
	s_mov_b32 s0, 0x3b39803f
	;; [unrolled: 1-line block ×5, first 2 shown]
	v_cmp_ngt_f64_e64 s2, 0xc0428000, v[10:11]
	s_delay_alu instid0(VALU_DEP_2) | instskip(NEXT) | instid1(VALU_DEP_1)
	v_rndne_f64_e32 v[7:8], v[7:8]
	v_fma_f64 v[12:13], v[7:8], s[4:5], v[10:11]
	v_cvt_i32_f64_e32 v16, v[7:8]
	s_mov_b32 s5, 0x40862e42
	s_delay_alu instid0(VALU_DEP_2)
	v_fma_f64 v[12:13], v[7:8], s[0:1], v[12:13]
	s_mov_b32 s0, 0x2a1b768b
	s_mov_b32 s1, 0x3e5af4eb
	s_delay_alu instid0(VALU_DEP_1) | instid1(SALU_CYCLE_1)
	v_fma_f64 v[14:15], v[12:13], s[6:7], s[0:1]
	s_mov_b32 s0, 0xe0ac05b
	s_mov_b32 s1, 0x3e927e50
	s_delay_alu instid0(VALU_DEP_1) | instid1(SALU_CYCLE_1)
	;; [unrolled: 4-line block ×9, first 2 shown]
	v_fma_f64 v[14:15], v[12:13], v[14:15], s[0:1]
	v_cmp_eq_f64_e64 s0, 0x40900000, v[7:8]
	v_cmp_nlt_f64_e64 s1, s[4:5], v[10:11]
	s_delay_alu instid0(VALU_DEP_3) | instskip(NEXT) | instid1(VALU_DEP_3)
	v_fma_f64 v[14:15], v[12:13], v[14:15], 0.5
	v_cndmask_b32_e64 v7, v16, 0x3ff, s0
	s_delay_alu instid0(VALU_DEP_1) | instskip(NEXT) | instid1(VALU_DEP_3)
	v_ldexp_f64 v[7:8], 1.0, v7
	v_mul_f64 v[14:15], v[12:13], v[14:15]
	s_delay_alu instid0(VALU_DEP_2) | instskip(NEXT) | instid1(VALU_DEP_2)
	v_add_f64 v[16:17], v[7:8], -1.0
	v_fma_f64 v[12:13], v[12:13], v[14:15], v[12:13]
	s_delay_alu instid0(VALU_DEP_1) | instskip(NEXT) | instid1(VALU_DEP_1)
	v_fma_f64 v[7:8], v[7:8], v[12:13], v[16:17]
	v_add_f64 v[12:13], v[7:8], v[7:8]
	s_delay_alu instid0(VALU_DEP_1) | instskip(NEXT) | instid1(VALU_DEP_2)
	v_cndmask_b32_e64 v8, v8, v13, s0
	v_cndmask_b32_e64 v7, v7, v12, s0
	s_and_b32 s0, s2, s1
	s_delay_alu instid0(VALU_DEP_2) | instskip(NEXT) | instid1(VALU_DEP_2)
	v_cndmask_b32_e64 v8, 0x7ff00000, v8, s1
	v_cndmask_b32_e64 v7, 0, v7, s0
	s_delay_alu instid0(VALU_DEP_2) | instskip(SKIP_2) | instid1(SALU_CYCLE_1)
	v_cndmask_b32_e64 v8, 0xbff00000, v8, s2
	s_or_b32 exec_lo, exec_lo, s3
	s_and_saveexec_b32 s0, vcc_lo
	s_xor_b32 s0, exec_lo, s0
	s_cbranch_execz .LBB106_16
.LBB106_25:
	v_mov_b32_e32 v10, 0
	v_mov_b32_e32 v0, v18
	s_delay_alu instid0(VALU_DEP_2) | instskip(NEXT) | instid1(VALU_DEP_1)
	v_lshlrev_b64 v[9:10], 3, v[9:10]
	v_add_co_u32 v9, vcc_lo, s16, v9
	s_delay_alu instid0(VALU_DEP_2) | instskip(SKIP_2) | instid1(SALU_CYCLE_1)
	v_add_co_ci_u32_e32 v10, vcc_lo, s17, v10, vcc_lo
	global_store_b64 v[9:10], v[1:2], off
	s_or_b32 exec_lo, exec_lo, s0
	s_mov_b32 s0, exec_lo
	v_cmpx_gt_i32_e64 s11, v0
	s_cbranch_execz .LBB106_17
.LBB106_26:
	v_dual_mov_b32 v2, 0 :: v_dual_add_nc_u32 v1, s12, v0
	v_add_nc_u32_e32 v0, 0x100, v0
	s_delay_alu instid0(VALU_DEP_2) | instskip(NEXT) | instid1(VALU_DEP_1)
	v_lshlrev_b64 v[1:2], 3, v[1:2]
	v_add_co_u32 v1, vcc_lo, s16, v1
	s_delay_alu instid0(VALU_DEP_2) | instskip(SKIP_2) | instid1(SALU_CYCLE_1)
	v_add_co_ci_u32_e32 v2, vcc_lo, s17, v2, vcc_lo
	global_store_b64 v[1:2], v[3:4], off
	s_or_b32 exec_lo, exec_lo, s0
	s_mov_b32 s0, exec_lo
	v_cmpx_gt_i32_e64 s11, v0
	s_cbranch_execz .LBB106_18
.LBB106_27:
	v_dual_mov_b32 v2, 0 :: v_dual_add_nc_u32 v1, s12, v0
	v_add_nc_u32_e32 v0, 0x100, v0
	s_delay_alu instid0(VALU_DEP_2) | instskip(NEXT) | instid1(VALU_DEP_1)
	v_lshlrev_b64 v[1:2], 3, v[1:2]
	v_add_co_u32 v1, vcc_lo, s16, v1
	s_delay_alu instid0(VALU_DEP_2) | instskip(SKIP_2) | instid1(SALU_CYCLE_1)
	v_add_co_ci_u32_e32 v2, vcc_lo, s17, v2, vcc_lo
	global_store_b64 v[1:2], v[5:6], off
	s_or_b32 exec_lo, exec_lo, s0
	s_mov_b32 s0, exec_lo
	v_cmpx_gt_i32_e64 s11, v0
	s_cbranch_execnz .LBB106_19
	s_branch .LBB106_20
	.section	.rodata,"a",@progbits
	.p2align	6, 0x0
	.amdhsa_kernel _ZN2at6native29vectorized_elementwise_kernelILi16EZZZNS0_17expm1_kernel_cudaERNS_18TensorIteratorBaseEENKUlvE_clEvENKUlvE_clEvEUldE_St5arrayIPcLm2EEEEviT0_T1_
		.amdhsa_group_segment_fixed_size 0
		.amdhsa_private_segment_fixed_size 0
		.amdhsa_kernarg_size 24
		.amdhsa_user_sgpr_count 15
		.amdhsa_user_sgpr_dispatch_ptr 0
		.amdhsa_user_sgpr_queue_ptr 0
		.amdhsa_user_sgpr_kernarg_segment_ptr 1
		.amdhsa_user_sgpr_dispatch_id 0
		.amdhsa_user_sgpr_private_segment_size 0
		.amdhsa_wavefront_size32 1
		.amdhsa_uses_dynamic_stack 0
		.amdhsa_enable_private_segment 0
		.amdhsa_system_sgpr_workgroup_id_x 1
		.amdhsa_system_sgpr_workgroup_id_y 0
		.amdhsa_system_sgpr_workgroup_id_z 0
		.amdhsa_system_sgpr_workgroup_info 0
		.amdhsa_system_vgpr_workitem_id 0
		.amdhsa_next_free_vgpr 42
		.amdhsa_next_free_sgpr 22
		.amdhsa_reserve_vcc 1
		.amdhsa_float_round_mode_32 0
		.amdhsa_float_round_mode_16_64 0
		.amdhsa_float_denorm_mode_32 3
		.amdhsa_float_denorm_mode_16_64 3
		.amdhsa_dx10_clamp 1
		.amdhsa_ieee_mode 1
		.amdhsa_fp16_overflow 0
		.amdhsa_workgroup_processor_mode 1
		.amdhsa_memory_ordered 1
		.amdhsa_forward_progress 0
		.amdhsa_shared_vgpr_count 0
		.amdhsa_exception_fp_ieee_invalid_op 0
		.amdhsa_exception_fp_denorm_src 0
		.amdhsa_exception_fp_ieee_div_zero 0
		.amdhsa_exception_fp_ieee_overflow 0
		.amdhsa_exception_fp_ieee_underflow 0
		.amdhsa_exception_fp_ieee_inexact 0
		.amdhsa_exception_int_div_zero 0
	.end_amdhsa_kernel
	.section	.text._ZN2at6native29vectorized_elementwise_kernelILi16EZZZNS0_17expm1_kernel_cudaERNS_18TensorIteratorBaseEENKUlvE_clEvENKUlvE_clEvEUldE_St5arrayIPcLm2EEEEviT0_T1_,"axG",@progbits,_ZN2at6native29vectorized_elementwise_kernelILi16EZZZNS0_17expm1_kernel_cudaERNS_18TensorIteratorBaseEENKUlvE_clEvENKUlvE_clEvEUldE_St5arrayIPcLm2EEEEviT0_T1_,comdat
.Lfunc_end106:
	.size	_ZN2at6native29vectorized_elementwise_kernelILi16EZZZNS0_17expm1_kernel_cudaERNS_18TensorIteratorBaseEENKUlvE_clEvENKUlvE_clEvEUldE_St5arrayIPcLm2EEEEviT0_T1_, .Lfunc_end106-_ZN2at6native29vectorized_elementwise_kernelILi16EZZZNS0_17expm1_kernel_cudaERNS_18TensorIteratorBaseEENKUlvE_clEvENKUlvE_clEvEUldE_St5arrayIPcLm2EEEEviT0_T1_
                                        ; -- End function
	.section	.AMDGPU.csdata,"",@progbits
; Kernel info:
; codeLenInByte = 4528
; NumSgprs: 24
; NumVgprs: 42
; ScratchSize: 0
; MemoryBound: 0
; FloatMode: 240
; IeeeMode: 1
; LDSByteSize: 0 bytes/workgroup (compile time only)
; SGPRBlocks: 2
; VGPRBlocks: 5
; NumSGPRsForWavesPerEU: 24
; NumVGPRsForWavesPerEU: 42
; Occupancy: 16
; WaveLimiterHint : 0
; COMPUTE_PGM_RSRC2:SCRATCH_EN: 0
; COMPUTE_PGM_RSRC2:USER_SGPR: 15
; COMPUTE_PGM_RSRC2:TRAP_HANDLER: 0
; COMPUTE_PGM_RSRC2:TGID_X_EN: 1
; COMPUTE_PGM_RSRC2:TGID_Y_EN: 0
; COMPUTE_PGM_RSRC2:TGID_Z_EN: 0
; COMPUTE_PGM_RSRC2:TIDIG_COMP_CNT: 0
	.section	.text._ZN2at6native29vectorized_elementwise_kernelILi8EZZZNS0_17expm1_kernel_cudaERNS_18TensorIteratorBaseEENKUlvE_clEvENKUlvE_clEvEUldE_St5arrayIPcLm2EEEEviT0_T1_,"axG",@progbits,_ZN2at6native29vectorized_elementwise_kernelILi8EZZZNS0_17expm1_kernel_cudaERNS_18TensorIteratorBaseEENKUlvE_clEvENKUlvE_clEvEUldE_St5arrayIPcLm2EEEEviT0_T1_,comdat
	.globl	_ZN2at6native29vectorized_elementwise_kernelILi8EZZZNS0_17expm1_kernel_cudaERNS_18TensorIteratorBaseEENKUlvE_clEvENKUlvE_clEvEUldE_St5arrayIPcLm2EEEEviT0_T1_ ; -- Begin function _ZN2at6native29vectorized_elementwise_kernelILi8EZZZNS0_17expm1_kernel_cudaERNS_18TensorIteratorBaseEENKUlvE_clEvENKUlvE_clEvEUldE_St5arrayIPcLm2EEEEviT0_T1_
	.p2align	8
	.type	_ZN2at6native29vectorized_elementwise_kernelILi8EZZZNS0_17expm1_kernel_cudaERNS_18TensorIteratorBaseEENKUlvE_clEvENKUlvE_clEvEUldE_St5arrayIPcLm2EEEEviT0_T1_,@function
_ZN2at6native29vectorized_elementwise_kernelILi8EZZZNS0_17expm1_kernel_cudaERNS_18TensorIteratorBaseEENKUlvE_clEvENKUlvE_clEvEUldE_St5arrayIPcLm2EEEEviT0_T1_: ; @_ZN2at6native29vectorized_elementwise_kernelILi8EZZZNS0_17expm1_kernel_cudaERNS_18TensorIteratorBaseEENKUlvE_clEvENKUlvE_clEvEUldE_St5arrayIPcLm2EEEEviT0_T1_
; %bb.0:
	s_clause 0x1
	s_load_b32 s2, s[0:1], 0x0
	s_load_b128 s[16:19], s[0:1], 0x8
	s_lshl_b32 s12, s15, 10
	s_mov_b32 s0, -1
	s_waitcnt lgkmcnt(0)
	s_sub_i32 s11, s2, s12
	s_delay_alu instid0(SALU_CYCLE_1)
	s_cmpk_gt_i32 s11, 0x3ff
	s_cbranch_scc0 .LBB107_2
; %bb.1:
	s_ashr_i32 s13, s12, 31
	v_lshlrev_b32_e32 v41, 5, v0
	s_lshl_b64 s[14:15], s[12:13], 3
	s_mov_b32 s4, 0xfefa39ef
	s_add_u32 s0, s18, s14
	s_addc_u32 s1, s19, s15
	s_mov_b32 s5, 0xbfe62e42
	s_clause 0x1
	global_load_b128 v[1:4], v41, s[0:1]
	global_load_b128 v[5:8], v41, s[0:1] offset:16
	s_mov_b32 s0, 0x652b82fe
	s_mov_b32 s1, 0x3ff71547
	;; [unrolled: 1-line block ×6, first 2 shown]
	s_waitcnt vmcnt(1)
	v_mul_f64 v[11:12], v[3:4], s[0:1]
	s_waitcnt vmcnt(0)
	v_mul_f64 v[13:14], v[5:6], s[0:1]
	v_mul_f64 v[15:16], v[7:8], s[0:1]
	;; [unrolled: 1-line block ×3, first 2 shown]
	s_mov_b32 s0, 0x3b39803f
	s_mov_b32 s1, 0xbc7abc9e
	v_cmp_nlt_f64_e64 s7, s[20:21], v[5:6]
	v_cmp_nlt_f64_e64 s9, s[20:21], v[7:8]
	v_cmp_ngt_f64_e64 s6, 0xc0428000, v[3:4]
	v_cmp_ngt_f64_e64 s8, 0xc0428000, v[5:6]
	;; [unrolled: 1-line block ×3, first 2 shown]
	v_rndne_f64_e32 v[11:12], v[11:12]
	v_rndne_f64_e32 v[13:14], v[13:14]
	;; [unrolled: 1-line block ×4, first 2 shown]
	s_delay_alu instid0(VALU_DEP_4) | instskip(NEXT) | instid1(VALU_DEP_4)
	v_fma_f64 v[19:20], v[11:12], s[4:5], v[3:4]
	v_fma_f64 v[21:22], v[13:14], s[4:5], v[5:6]
	s_delay_alu instid0(VALU_DEP_4) | instskip(NEXT) | instid1(VALU_DEP_4)
	v_fma_f64 v[23:24], v[15:16], s[4:5], v[7:8]
	v_fma_f64 v[17:18], v[9:10], s[4:5], v[1:2]
	v_cvt_i32_f64_e32 v34, v[11:12]
	v_cvt_i32_f64_e32 v35, v[13:14]
	v_cvt_i32_f64_e32 v36, v[15:16]
	v_cvt_i32_f64_e32 v33, v[9:10]
	v_cmp_eq_f64_e32 vcc_lo, 0x40900000, v[9:10]
	v_cmp_nlt_f64_e64 s5, s[20:21], v[3:4]
	v_cmp_ngt_f64_e64 s4, 0xc0428000, v[1:2]
	v_fma_f64 v[19:20], v[11:12], s[0:1], v[19:20]
	v_fma_f64 v[21:22], v[13:14], s[0:1], v[21:22]
	;; [unrolled: 1-line block ×4, first 2 shown]
	s_mov_b32 s0, 0x2a1b768b
	s_mov_b32 s1, 0x3e5af4eb
	v_cndmask_b32_e64 v9, v33, 0x3ff, vcc_lo
	s_delay_alu instid0(VALU_DEP_1)
	v_ldexp_f64 v[9:10], 1.0, v9
	v_fma_f64 v[27:28], v[19:20], s[2:3], s[0:1]
	v_fma_f64 v[29:30], v[21:22], s[2:3], s[0:1]
	;; [unrolled: 1-line block ×4, first 2 shown]
	s_mov_b32 s0, 0xe0ac05b
	s_mov_b32 s1, 0x3e927e50
	v_cmp_eq_f64_e64 s2, 0x40900000, v[15:16]
	v_cmp_nlt_f64_e64 s3, s[20:21], v[1:2]
	v_fma_f64 v[27:28], v[19:20], v[27:28], s[0:1]
	v_fma_f64 v[29:30], v[21:22], v[29:30], s[0:1]
	;; [unrolled: 1-line block ×4, first 2 shown]
	s_mov_b32 s0, 0x1b889c29
	s_mov_b32 s1, 0x3ec71de0
	v_cndmask_b32_e64 v15, v36, 0x3ff, s2
	s_delay_alu instid0(VALU_DEP_1)
	v_ldexp_f64 v[15:16], 1.0, v15
	v_fma_f64 v[27:28], v[19:20], v[27:28], s[0:1]
	v_fma_f64 v[29:30], v[21:22], v[29:30], s[0:1]
	;; [unrolled: 1-line block ×4, first 2 shown]
	s_mov_b32 s0, 0x197bcfd8
	s_mov_b32 s1, 0x3efa01a0
	v_add_f64 v[39:40], v[15:16], -1.0
	v_fma_f64 v[27:28], v[19:20], v[27:28], s[0:1]
	v_fma_f64 v[29:30], v[21:22], v[29:30], s[0:1]
	;; [unrolled: 1-line block ×4, first 2 shown]
	s_mov_b32 s0, 0x1ac1a723
	s_mov_b32 s1, 0x3f2a01a0
	s_delay_alu instid0(VALU_DEP_4) | instid1(SALU_CYCLE_1)
	v_fma_f64 v[27:28], v[19:20], v[27:28], s[0:1]
	s_delay_alu instid0(VALU_DEP_4) | instskip(NEXT) | instid1(VALU_DEP_4)
	v_fma_f64 v[29:30], v[21:22], v[29:30], s[0:1]
	v_fma_f64 v[31:32], v[23:24], v[31:32], s[0:1]
	s_delay_alu instid0(VALU_DEP_4)
	v_fma_f64 v[25:26], v[17:18], v[25:26], s[0:1]
	s_mov_b32 s0, 0x16c18931
	s_mov_b32 s1, 0x3f56c16c
	s_delay_alu instid0(VALU_DEP_4) | instid1(SALU_CYCLE_1)
	v_fma_f64 v[27:28], v[19:20], v[27:28], s[0:1]
	s_delay_alu instid0(VALU_DEP_4) | instskip(NEXT) | instid1(VALU_DEP_4)
	v_fma_f64 v[29:30], v[21:22], v[29:30], s[0:1]
	v_fma_f64 v[31:32], v[23:24], v[31:32], s[0:1]
	s_delay_alu instid0(VALU_DEP_4)
	v_fma_f64 v[25:26], v[17:18], v[25:26], s[0:1]
	;; [unrolled: 9-line block ×5, first 2 shown]
	v_cmp_eq_f64_e64 s0, 0x40900000, v[11:12]
	v_cmp_eq_f64_e64 s1, 0x40900000, v[13:14]
	v_fma_f64 v[27:28], v[19:20], v[27:28], 0.5
	v_fma_f64 v[29:30], v[21:22], v[29:30], 0.5
	v_fma_f64 v[31:32], v[23:24], v[31:32], 0.5
	v_fma_f64 v[25:26], v[17:18], v[25:26], 0.5
	v_cndmask_b32_e64 v11, v34, 0x3ff, s0
	v_cndmask_b32_e64 v13, v35, 0x3ff, s1
	v_add_f64 v[33:34], v[9:10], -1.0
	s_delay_alu instid0(VALU_DEP_3) | instskip(NEXT) | instid1(VALU_DEP_3)
	v_ldexp_f64 v[11:12], 1.0, v11
	v_ldexp_f64 v[13:14], 1.0, v13
	v_mul_f64 v[27:28], v[19:20], v[27:28]
	v_mul_f64 v[29:30], v[21:22], v[29:30]
	;; [unrolled: 1-line block ×4, first 2 shown]
	v_add_f64 v[35:36], v[11:12], -1.0
	v_add_f64 v[37:38], v[13:14], -1.0
	v_fma_f64 v[19:20], v[19:20], v[27:28], v[19:20]
	v_fma_f64 v[21:22], v[21:22], v[29:30], v[21:22]
	;; [unrolled: 1-line block ×4, first 2 shown]
	s_delay_alu instid0(VALU_DEP_4) | instskip(NEXT) | instid1(VALU_DEP_4)
	v_fma_f64 v[11:12], v[11:12], v[19:20], v[35:36]
	v_fma_f64 v[13:14], v[13:14], v[21:22], v[37:38]
	s_delay_alu instid0(VALU_DEP_4) | instskip(NEXT) | instid1(VALU_DEP_4)
	v_fma_f64 v[15:16], v[15:16], v[23:24], v[39:40]
	v_fma_f64 v[9:10], v[9:10], v[17:18], v[33:34]
	s_delay_alu instid0(VALU_DEP_4) | instskip(NEXT) | instid1(VALU_DEP_4)
	v_add_f64 v[19:20], v[11:12], v[11:12]
	v_add_f64 v[21:22], v[13:14], v[13:14]
	s_delay_alu instid0(VALU_DEP_4) | instskip(NEXT) | instid1(VALU_DEP_4)
	v_add_f64 v[23:24], v[15:16], v[15:16]
	v_add_f64 v[17:18], v[9:10], v[9:10]
	s_delay_alu instid0(VALU_DEP_4) | instskip(NEXT) | instid1(VALU_DEP_4)
	v_cndmask_b32_e64 v12, v12, v20, s0
	v_cndmask_b32_e64 v14, v14, v22, s1
	s_delay_alu instid0(VALU_DEP_4) | instskip(NEXT) | instid1(VALU_DEP_4)
	v_cndmask_b32_e64 v16, v16, v24, s2
	v_dual_cndmask_b32 v10, v10, v18 :: v_dual_cndmask_b32 v7, v9, v17
	s_delay_alu instid0(VALU_DEP_4) | instskip(NEXT) | instid1(VALU_DEP_4)
	v_cndmask_b32_e64 v1, 0x7ff00000, v12, s5
	v_cndmask_b32_e64 v3, 0x7ff00000, v14, s7
	;; [unrolled: 1-line block ×3, first 2 shown]
	s_and_b32 vcc_lo, s4, s3
	v_cndmask_b32_e64 v5, 0x7ff00000, v16, s9
	v_cndmask_b32_e64 v11, v13, v21, s1
	;; [unrolled: 1-line block ×4, first 2 shown]
	v_cndmask_b32_e32 v1, 0, v7, vcc_lo
	s_and_b32 vcc_lo, s6, s5
	v_cndmask_b32_e64 v12, v15, v23, s2
	v_cndmask_b32_e64 v6, 0xbff00000, v3, s8
	v_cndmask_b32_e32 v3, 0, v9, vcc_lo
	s_and_b32 vcc_lo, s8, s7
	v_cndmask_b32_e64 v8, 0xbff00000, v5, s10
	v_cndmask_b32_e32 v5, 0, v11, vcc_lo
	s_and_b32 vcc_lo, s10, s9
	v_cndmask_b32_e64 v2, 0xbff00000, v10, s4
	v_cndmask_b32_e32 v7, 0, v12, vcc_lo
	s_add_u32 s2, s16, s14
	s_addc_u32 s3, s17, s15
	s_mov_b32 s0, 0
	s_clause 0x1
	global_store_b128 v41, v[1:4], s[2:3]
	global_store_b128 v41, v[5:8], s[2:3] offset:16
.LBB107_2:
	s_and_not1_b32 vcc_lo, exec_lo, s0
	s_cbranch_vccnz .LBB107_20
; %bb.3:
	v_dual_mov_b32 v14, 0 :: v_dual_mov_b32 v1, v0
	v_mov_b32_e32 v15, 0
	v_cmp_gt_i32_e32 vcc_lo, s11, v0
	v_or_b32_e32 v9, s12, v0
	v_or_b32_e32 v18, 0x100, v0
	s_delay_alu instid0(VALU_DEP_4)
	v_dual_mov_b32 v17, v15 :: v_dual_mov_b32 v16, v14
	s_and_saveexec_b32 s1, vcc_lo
	s_cbranch_execz .LBB107_5
; %bb.4:
	v_mov_b32_e32 v10, 0
	s_delay_alu instid0(VALU_DEP_1) | instskip(NEXT) | instid1(VALU_DEP_1)
	v_lshlrev_b64 v[1:2], 3, v[9:10]
	v_add_co_u32 v1, s0, s18, v1
	s_delay_alu instid0(VALU_DEP_1)
	v_add_co_ci_u32_e64 v2, s0, s19, v2, s0
	global_load_b64 v[16:17], v[1:2], off
	v_or_b32_e32 v1, 0x100, v0
.LBB107_5:
	s_or_b32 exec_lo, exec_lo, s1
	s_delay_alu instid0(SALU_CYCLE_1) | instskip(NEXT) | instid1(VALU_DEP_1)
	s_mov_b32 s1, exec_lo
	v_cmpx_gt_i32_e64 s11, v1
	s_cbranch_execz .LBB107_7
; %bb.6:
	v_dual_mov_b32 v3, 0 :: v_dual_add_nc_u32 v2, s12, v1
	v_add_nc_u32_e32 v1, 0x100, v1
	s_delay_alu instid0(VALU_DEP_2) | instskip(NEXT) | instid1(VALU_DEP_1)
	v_lshlrev_b64 v[2:3], 3, v[2:3]
	v_add_co_u32 v2, s0, s18, v2
	s_delay_alu instid0(VALU_DEP_1)
	v_add_co_ci_u32_e64 v3, s0, s19, v3, s0
	global_load_b64 v[14:15], v[2:3], off
.LBB107_7:
	s_or_b32 exec_lo, exec_lo, s1
	v_mov_b32_e32 v10, 0
	v_mov_b32_e32 v11, 0
	s_mov_b32 s1, exec_lo
	s_delay_alu instid0(VALU_DEP_1)
	v_dual_mov_b32 v13, v11 :: v_dual_mov_b32 v12, v10
	v_cmpx_gt_i32_e64 s11, v1
	s_cbranch_execnz .LBB107_21
; %bb.8:
	s_or_b32 exec_lo, exec_lo, s1
	s_delay_alu instid0(SALU_CYCLE_1)
	s_mov_b32 s1, exec_lo
	v_cmpx_gt_i32_e64 s11, v1
	s_cbranch_execnz .LBB107_22
.LBB107_9:
	s_or_b32 exec_lo, exec_lo, s1
                                        ; implicit-def: $vgpr1_vgpr2_vgpr3_vgpr4_vgpr5_vgpr6_vgpr7_vgpr8
	s_and_saveexec_b32 s3, vcc_lo
	s_cbranch_execnz .LBB107_23
.LBB107_10:
	s_or_b32 exec_lo, exec_lo, s3
	s_delay_alu instid0(SALU_CYCLE_1)
	s_mov_b32 s3, exec_lo
	v_cmpx_gt_i32_e64 s11, v18
	s_cbranch_execz .LBB107_12
.LBB107_11:
	s_mov_b32 s0, 0x652b82fe
	s_mov_b32 s1, 0x3ff71547
	;; [unrolled: 1-line block ×3, first 2 shown]
	s_waitcnt vmcnt(0)
	v_mul_f64 v[3:4], v[14:15], s[0:1]
	s_mov_b32 s4, 0xfefa39ef
	s_mov_b32 s0, 0x3b39803f
	;; [unrolled: 1-line block ×5, first 2 shown]
	v_cmp_ngt_f64_e64 s2, 0xc0428000, v[14:15]
	s_delay_alu instid0(VALU_DEP_2) | instskip(NEXT) | instid1(VALU_DEP_1)
	v_rndne_f64_e32 v[3:4], v[3:4]
	v_fma_f64 v[16:17], v[3:4], s[4:5], v[14:15]
	v_cvt_i32_f64_e32 v21, v[3:4]
	s_mov_b32 s5, 0x40862e42
	s_delay_alu instid0(VALU_DEP_2)
	v_fma_f64 v[16:17], v[3:4], s[0:1], v[16:17]
	s_mov_b32 s0, 0x2a1b768b
	s_mov_b32 s1, 0x3e5af4eb
	s_delay_alu instid0(VALU_DEP_1) | instid1(SALU_CYCLE_1)
	v_fma_f64 v[19:20], v[16:17], s[6:7], s[0:1]
	s_mov_b32 s0, 0xe0ac05b
	s_mov_b32 s1, 0x3e927e50
	s_delay_alu instid0(VALU_DEP_1) | instid1(SALU_CYCLE_1)
	;; [unrolled: 4-line block ×9, first 2 shown]
	v_fma_f64 v[19:20], v[16:17], v[19:20], s[0:1]
	v_cmp_eq_f64_e64 s0, 0x40900000, v[3:4]
	v_cmp_nlt_f64_e64 s1, s[4:5], v[14:15]
	s_delay_alu instid0(VALU_DEP_3) | instskip(NEXT) | instid1(VALU_DEP_3)
	v_fma_f64 v[19:20], v[16:17], v[19:20], 0.5
	v_cndmask_b32_e64 v3, v21, 0x3ff, s0
	s_delay_alu instid0(VALU_DEP_1) | instskip(NEXT) | instid1(VALU_DEP_3)
	v_ldexp_f64 v[3:4], 1.0, v3
	v_mul_f64 v[19:20], v[16:17], v[19:20]
	s_delay_alu instid0(VALU_DEP_2) | instskip(NEXT) | instid1(VALU_DEP_2)
	v_add_f64 v[21:22], v[3:4], -1.0
	v_fma_f64 v[16:17], v[16:17], v[19:20], v[16:17]
	s_delay_alu instid0(VALU_DEP_1) | instskip(NEXT) | instid1(VALU_DEP_1)
	v_fma_f64 v[3:4], v[3:4], v[16:17], v[21:22]
	v_add_f64 v[16:17], v[3:4], v[3:4]
	s_delay_alu instid0(VALU_DEP_1) | instskip(NEXT) | instid1(VALU_DEP_2)
	v_cndmask_b32_e64 v4, v4, v17, s0
	v_cndmask_b32_e64 v3, v3, v16, s0
	s_and_b32 s0, s2, s1
	s_delay_alu instid0(VALU_DEP_2) | instskip(NEXT) | instid1(VALU_DEP_2)
	v_cndmask_b32_e64 v4, 0x7ff00000, v4, s1
	v_cndmask_b32_e64 v3, 0, v3, s0
	s_delay_alu instid0(VALU_DEP_2)
	v_cndmask_b32_e64 v4, 0xbff00000, v4, s2
.LBB107_12:
	s_or_b32 exec_lo, exec_lo, s3
	s_waitcnt vmcnt(0)
	v_or_b32_e32 v14, 0x200, v0
	s_mov_b32 s3, exec_lo
	s_delay_alu instid0(VALU_DEP_1)
	v_cmpx_gt_i32_e64 s11, v14
	s_cbranch_execz .LBB107_14
; %bb.13:
	s_mov_b32 s0, 0x652b82fe
	s_mov_b32 s1, 0x3ff71547
	;; [unrolled: 1-line block ×3, first 2 shown]
	v_mul_f64 v[5:6], v[12:13], s[0:1]
	s_mov_b32 s4, 0xfefa39ef
	s_mov_b32 s0, 0x3b39803f
	;; [unrolled: 1-line block ×5, first 2 shown]
	v_cmp_ngt_f64_e64 s2, 0xc0428000, v[12:13]
	s_delay_alu instid0(VALU_DEP_2) | instskip(NEXT) | instid1(VALU_DEP_1)
	v_rndne_f64_e32 v[5:6], v[5:6]
	v_fma_f64 v[14:15], v[5:6], s[4:5], v[12:13]
	v_cvt_i32_f64_e32 v19, v[5:6]
	s_mov_b32 s5, 0x40862e42
	s_delay_alu instid0(VALU_DEP_2)
	v_fma_f64 v[14:15], v[5:6], s[0:1], v[14:15]
	s_mov_b32 s0, 0x2a1b768b
	s_mov_b32 s1, 0x3e5af4eb
	s_delay_alu instid0(VALU_DEP_1) | instid1(SALU_CYCLE_1)
	v_fma_f64 v[16:17], v[14:15], s[6:7], s[0:1]
	s_mov_b32 s0, 0xe0ac05b
	s_mov_b32 s1, 0x3e927e50
	s_delay_alu instid0(VALU_DEP_1) | instid1(SALU_CYCLE_1)
	;; [unrolled: 4-line block ×9, first 2 shown]
	v_fma_f64 v[16:17], v[14:15], v[16:17], s[0:1]
	v_cmp_eq_f64_e64 s0, 0x40900000, v[5:6]
	v_cmp_nlt_f64_e64 s1, s[4:5], v[12:13]
	s_delay_alu instid0(VALU_DEP_3) | instskip(NEXT) | instid1(VALU_DEP_3)
	v_fma_f64 v[16:17], v[14:15], v[16:17], 0.5
	v_cndmask_b32_e64 v5, v19, 0x3ff, s0
	s_delay_alu instid0(VALU_DEP_1) | instskip(NEXT) | instid1(VALU_DEP_3)
	v_ldexp_f64 v[5:6], 1.0, v5
	v_mul_f64 v[16:17], v[14:15], v[16:17]
	s_delay_alu instid0(VALU_DEP_2) | instskip(NEXT) | instid1(VALU_DEP_2)
	v_add_f64 v[19:20], v[5:6], -1.0
	v_fma_f64 v[14:15], v[14:15], v[16:17], v[14:15]
	s_delay_alu instid0(VALU_DEP_1) | instskip(NEXT) | instid1(VALU_DEP_1)
	v_fma_f64 v[5:6], v[5:6], v[14:15], v[19:20]
	v_add_f64 v[14:15], v[5:6], v[5:6]
	s_delay_alu instid0(VALU_DEP_1) | instskip(NEXT) | instid1(VALU_DEP_2)
	v_cndmask_b32_e64 v6, v6, v15, s0
	v_cndmask_b32_e64 v5, v5, v14, s0
	s_and_b32 s0, s2, s1
	s_delay_alu instid0(VALU_DEP_2) | instskip(NEXT) | instid1(VALU_DEP_2)
	v_cndmask_b32_e64 v6, 0x7ff00000, v6, s1
	v_cndmask_b32_e64 v5, 0, v5, s0
	s_delay_alu instid0(VALU_DEP_2)
	v_cndmask_b32_e64 v6, 0xbff00000, v6, s2
.LBB107_14:
	s_or_b32 exec_lo, exec_lo, s3
	v_or_b32_e32 v12, 0x300, v0
	s_mov_b32 s3, exec_lo
	s_delay_alu instid0(VALU_DEP_1)
	v_cmpx_gt_i32_e64 s11, v12
	s_cbranch_execnz .LBB107_24
; %bb.15:
	s_or_b32 exec_lo, exec_lo, s3
	s_and_saveexec_b32 s0, vcc_lo
	s_delay_alu instid0(SALU_CYCLE_1)
	s_xor_b32 s0, exec_lo, s0
	s_cbranch_execnz .LBB107_25
.LBB107_16:
	s_or_b32 exec_lo, exec_lo, s0
	s_delay_alu instid0(SALU_CYCLE_1)
	s_mov_b32 s0, exec_lo
	v_cmpx_gt_i32_e64 s11, v0
	s_cbranch_execnz .LBB107_26
.LBB107_17:
	s_or_b32 exec_lo, exec_lo, s0
	s_delay_alu instid0(SALU_CYCLE_1)
	s_mov_b32 s0, exec_lo
	v_cmpx_gt_i32_e64 s11, v0
	s_cbranch_execnz .LBB107_27
.LBB107_18:
	s_or_b32 exec_lo, exec_lo, s0
	s_delay_alu instid0(SALU_CYCLE_1)
	s_mov_b32 s0, exec_lo
	v_cmpx_gt_i32_e64 s11, v0
	s_cbranch_execz .LBB107_20
.LBB107_19:
	v_dual_mov_b32 v1, 0 :: v_dual_add_nc_u32 v0, s12, v0
	s_delay_alu instid0(VALU_DEP_1) | instskip(NEXT) | instid1(VALU_DEP_1)
	v_lshlrev_b64 v[0:1], 3, v[0:1]
	v_add_co_u32 v0, vcc_lo, s16, v0
	s_delay_alu instid0(VALU_DEP_2)
	v_add_co_ci_u32_e32 v1, vcc_lo, s17, v1, vcc_lo
	global_store_b64 v[0:1], v[7:8], off
.LBB107_20:
	s_nop 0
	s_sendmsg sendmsg(MSG_DEALLOC_VGPRS)
	s_endpgm
.LBB107_21:
	v_dual_mov_b32 v3, 0 :: v_dual_add_nc_u32 v2, s12, v1
	v_add_nc_u32_e32 v1, 0x100, v1
	s_delay_alu instid0(VALU_DEP_2) | instskip(NEXT) | instid1(VALU_DEP_1)
	v_lshlrev_b64 v[2:3], 3, v[2:3]
	v_add_co_u32 v2, s0, s18, v2
	s_delay_alu instid0(VALU_DEP_1) | instskip(SKIP_2) | instid1(SALU_CYCLE_1)
	v_add_co_ci_u32_e64 v3, s0, s19, v3, s0
	global_load_b64 v[12:13], v[2:3], off
	s_or_b32 exec_lo, exec_lo, s1
	s_mov_b32 s1, exec_lo
	v_cmpx_gt_i32_e64 s11, v1
	s_cbranch_execz .LBB107_9
.LBB107_22:
	v_dual_mov_b32 v2, 0 :: v_dual_add_nc_u32 v1, s12, v1
	s_delay_alu instid0(VALU_DEP_1) | instskip(NEXT) | instid1(VALU_DEP_1)
	v_lshlrev_b64 v[1:2], 3, v[1:2]
	v_add_co_u32 v1, s0, s18, v1
	s_delay_alu instid0(VALU_DEP_1)
	v_add_co_ci_u32_e64 v2, s0, s19, v2, s0
	global_load_b64 v[10:11], v[1:2], off
	s_or_b32 exec_lo, exec_lo, s1
                                        ; implicit-def: $vgpr1_vgpr2_vgpr3_vgpr4_vgpr5_vgpr6_vgpr7_vgpr8
	s_and_saveexec_b32 s3, vcc_lo
	s_cbranch_execz .LBB107_10
.LBB107_23:
	s_mov_b32 s0, 0x652b82fe
	s_mov_b32 s1, 0x3ff71547
	;; [unrolled: 1-line block ×3, first 2 shown]
	s_waitcnt vmcnt(0)
	v_mul_f64 v[1:2], v[16:17], s[0:1]
	s_mov_b32 s4, 0xfefa39ef
	s_mov_b32 s0, 0x3b39803f
	;; [unrolled: 1-line block ×5, first 2 shown]
	v_cmp_ngt_f64_e64 s2, 0xc0428000, v[16:17]
	s_delay_alu instid0(VALU_DEP_2) | instskip(NEXT) | instid1(VALU_DEP_1)
	v_rndne_f64_e32 v[1:2], v[1:2]
	v_fma_f64 v[3:4], v[1:2], s[4:5], v[16:17]
	v_cvt_i32_f64_e32 v7, v[1:2]
	s_mov_b32 s5, 0x40862e42
	s_delay_alu instid0(VALU_DEP_2)
	v_fma_f64 v[3:4], v[1:2], s[0:1], v[3:4]
	s_mov_b32 s0, 0x2a1b768b
	s_mov_b32 s1, 0x3e5af4eb
	s_delay_alu instid0(VALU_DEP_1) | instid1(SALU_CYCLE_1)
	v_fma_f64 v[5:6], v[3:4], s[6:7], s[0:1]
	s_mov_b32 s0, 0xe0ac05b
	s_mov_b32 s1, 0x3e927e50
	s_delay_alu instid0(VALU_DEP_1) | instid1(SALU_CYCLE_1)
	;; [unrolled: 4-line block ×9, first 2 shown]
	v_fma_f64 v[5:6], v[3:4], v[5:6], s[0:1]
	v_cmp_eq_f64_e64 s0, 0x40900000, v[1:2]
	v_cmp_nlt_f64_e64 s1, s[4:5], v[16:17]
	s_delay_alu instid0(VALU_DEP_3) | instskip(NEXT) | instid1(VALU_DEP_3)
	v_fma_f64 v[5:6], v[3:4], v[5:6], 0.5
	v_cndmask_b32_e64 v1, v7, 0x3ff, s0
	s_delay_alu instid0(VALU_DEP_1) | instskip(NEXT) | instid1(VALU_DEP_3)
	v_ldexp_f64 v[1:2], 1.0, v1
	v_mul_f64 v[5:6], v[3:4], v[5:6]
	s_delay_alu instid0(VALU_DEP_2) | instskip(NEXT) | instid1(VALU_DEP_2)
	v_add_f64 v[7:8], v[1:2], -1.0
	v_fma_f64 v[3:4], v[3:4], v[5:6], v[3:4]
	s_delay_alu instid0(VALU_DEP_1) | instskip(NEXT) | instid1(VALU_DEP_1)
	v_fma_f64 v[1:2], v[1:2], v[3:4], v[7:8]
	v_add_f64 v[3:4], v[1:2], v[1:2]
	s_delay_alu instid0(VALU_DEP_1) | instskip(NEXT) | instid1(VALU_DEP_2)
	v_cndmask_b32_e64 v2, v2, v4, s0
	v_cndmask_b32_e64 v1, v1, v3, s0
	s_and_b32 s0, s2, s1
	s_delay_alu instid0(VALU_DEP_2) | instskip(NEXT) | instid1(VALU_DEP_2)
	v_cndmask_b32_e64 v2, 0x7ff00000, v2, s1
	v_cndmask_b32_e64 v1, 0, v1, s0
	s_delay_alu instid0(VALU_DEP_2) | instskip(SKIP_1) | instid1(SALU_CYCLE_1)
	v_cndmask_b32_e64 v2, 0xbff00000, v2, s2
	s_or_b32 exec_lo, exec_lo, s3
	s_mov_b32 s3, exec_lo
	v_cmpx_gt_i32_e64 s11, v18
	s_cbranch_execnz .LBB107_11
	s_branch .LBB107_12
.LBB107_24:
	s_mov_b32 s0, 0x652b82fe
	s_mov_b32 s1, 0x3ff71547
	;; [unrolled: 1-line block ×3, first 2 shown]
	v_mul_f64 v[7:8], v[10:11], s[0:1]
	s_mov_b32 s4, 0xfefa39ef
	s_mov_b32 s0, 0x3b39803f
	;; [unrolled: 1-line block ×5, first 2 shown]
	v_cmp_ngt_f64_e64 s2, 0xc0428000, v[10:11]
	s_delay_alu instid0(VALU_DEP_2) | instskip(NEXT) | instid1(VALU_DEP_1)
	v_rndne_f64_e32 v[7:8], v[7:8]
	v_fma_f64 v[12:13], v[7:8], s[4:5], v[10:11]
	v_cvt_i32_f64_e32 v16, v[7:8]
	s_mov_b32 s5, 0x40862e42
	s_delay_alu instid0(VALU_DEP_2)
	v_fma_f64 v[12:13], v[7:8], s[0:1], v[12:13]
	s_mov_b32 s0, 0x2a1b768b
	s_mov_b32 s1, 0x3e5af4eb
	s_delay_alu instid0(VALU_DEP_1) | instid1(SALU_CYCLE_1)
	v_fma_f64 v[14:15], v[12:13], s[6:7], s[0:1]
	s_mov_b32 s0, 0xe0ac05b
	s_mov_b32 s1, 0x3e927e50
	s_delay_alu instid0(VALU_DEP_1) | instid1(SALU_CYCLE_1)
	;; [unrolled: 4-line block ×9, first 2 shown]
	v_fma_f64 v[14:15], v[12:13], v[14:15], s[0:1]
	v_cmp_eq_f64_e64 s0, 0x40900000, v[7:8]
	v_cmp_nlt_f64_e64 s1, s[4:5], v[10:11]
	s_delay_alu instid0(VALU_DEP_3) | instskip(NEXT) | instid1(VALU_DEP_3)
	v_fma_f64 v[14:15], v[12:13], v[14:15], 0.5
	v_cndmask_b32_e64 v7, v16, 0x3ff, s0
	s_delay_alu instid0(VALU_DEP_1) | instskip(NEXT) | instid1(VALU_DEP_3)
	v_ldexp_f64 v[7:8], 1.0, v7
	v_mul_f64 v[14:15], v[12:13], v[14:15]
	s_delay_alu instid0(VALU_DEP_2) | instskip(NEXT) | instid1(VALU_DEP_2)
	v_add_f64 v[16:17], v[7:8], -1.0
	v_fma_f64 v[12:13], v[12:13], v[14:15], v[12:13]
	s_delay_alu instid0(VALU_DEP_1) | instskip(NEXT) | instid1(VALU_DEP_1)
	v_fma_f64 v[7:8], v[7:8], v[12:13], v[16:17]
	v_add_f64 v[12:13], v[7:8], v[7:8]
	s_delay_alu instid0(VALU_DEP_1) | instskip(NEXT) | instid1(VALU_DEP_2)
	v_cndmask_b32_e64 v8, v8, v13, s0
	v_cndmask_b32_e64 v7, v7, v12, s0
	s_and_b32 s0, s2, s1
	s_delay_alu instid0(VALU_DEP_2) | instskip(NEXT) | instid1(VALU_DEP_2)
	v_cndmask_b32_e64 v8, 0x7ff00000, v8, s1
	v_cndmask_b32_e64 v7, 0, v7, s0
	s_delay_alu instid0(VALU_DEP_2) | instskip(SKIP_2) | instid1(SALU_CYCLE_1)
	v_cndmask_b32_e64 v8, 0xbff00000, v8, s2
	s_or_b32 exec_lo, exec_lo, s3
	s_and_saveexec_b32 s0, vcc_lo
	s_xor_b32 s0, exec_lo, s0
	s_cbranch_execz .LBB107_16
.LBB107_25:
	v_mov_b32_e32 v10, 0
	v_mov_b32_e32 v0, v18
	s_delay_alu instid0(VALU_DEP_2) | instskip(NEXT) | instid1(VALU_DEP_1)
	v_lshlrev_b64 v[9:10], 3, v[9:10]
	v_add_co_u32 v9, vcc_lo, s16, v9
	s_delay_alu instid0(VALU_DEP_2) | instskip(SKIP_2) | instid1(SALU_CYCLE_1)
	v_add_co_ci_u32_e32 v10, vcc_lo, s17, v10, vcc_lo
	global_store_b64 v[9:10], v[1:2], off
	s_or_b32 exec_lo, exec_lo, s0
	s_mov_b32 s0, exec_lo
	v_cmpx_gt_i32_e64 s11, v0
	s_cbranch_execz .LBB107_17
.LBB107_26:
	v_dual_mov_b32 v2, 0 :: v_dual_add_nc_u32 v1, s12, v0
	v_add_nc_u32_e32 v0, 0x100, v0
	s_delay_alu instid0(VALU_DEP_2) | instskip(NEXT) | instid1(VALU_DEP_1)
	v_lshlrev_b64 v[1:2], 3, v[1:2]
	v_add_co_u32 v1, vcc_lo, s16, v1
	s_delay_alu instid0(VALU_DEP_2) | instskip(SKIP_2) | instid1(SALU_CYCLE_1)
	v_add_co_ci_u32_e32 v2, vcc_lo, s17, v2, vcc_lo
	global_store_b64 v[1:2], v[3:4], off
	s_or_b32 exec_lo, exec_lo, s0
	s_mov_b32 s0, exec_lo
	v_cmpx_gt_i32_e64 s11, v0
	s_cbranch_execz .LBB107_18
.LBB107_27:
	v_dual_mov_b32 v2, 0 :: v_dual_add_nc_u32 v1, s12, v0
	v_add_nc_u32_e32 v0, 0x100, v0
	s_delay_alu instid0(VALU_DEP_2) | instskip(NEXT) | instid1(VALU_DEP_1)
	v_lshlrev_b64 v[1:2], 3, v[1:2]
	v_add_co_u32 v1, vcc_lo, s16, v1
	s_delay_alu instid0(VALU_DEP_2) | instskip(SKIP_2) | instid1(SALU_CYCLE_1)
	v_add_co_ci_u32_e32 v2, vcc_lo, s17, v2, vcc_lo
	global_store_b64 v[1:2], v[5:6], off
	s_or_b32 exec_lo, exec_lo, s0
	s_mov_b32 s0, exec_lo
	v_cmpx_gt_i32_e64 s11, v0
	s_cbranch_execnz .LBB107_19
	s_branch .LBB107_20
	.section	.rodata,"a",@progbits
	.p2align	6, 0x0
	.amdhsa_kernel _ZN2at6native29vectorized_elementwise_kernelILi8EZZZNS0_17expm1_kernel_cudaERNS_18TensorIteratorBaseEENKUlvE_clEvENKUlvE_clEvEUldE_St5arrayIPcLm2EEEEviT0_T1_
		.amdhsa_group_segment_fixed_size 0
		.amdhsa_private_segment_fixed_size 0
		.amdhsa_kernarg_size 24
		.amdhsa_user_sgpr_count 15
		.amdhsa_user_sgpr_dispatch_ptr 0
		.amdhsa_user_sgpr_queue_ptr 0
		.amdhsa_user_sgpr_kernarg_segment_ptr 1
		.amdhsa_user_sgpr_dispatch_id 0
		.amdhsa_user_sgpr_private_segment_size 0
		.amdhsa_wavefront_size32 1
		.amdhsa_uses_dynamic_stack 0
		.amdhsa_enable_private_segment 0
		.amdhsa_system_sgpr_workgroup_id_x 1
		.amdhsa_system_sgpr_workgroup_id_y 0
		.amdhsa_system_sgpr_workgroup_id_z 0
		.amdhsa_system_sgpr_workgroup_info 0
		.amdhsa_system_vgpr_workitem_id 0
		.amdhsa_next_free_vgpr 42
		.amdhsa_next_free_sgpr 22
		.amdhsa_reserve_vcc 1
		.amdhsa_float_round_mode_32 0
		.amdhsa_float_round_mode_16_64 0
		.amdhsa_float_denorm_mode_32 3
		.amdhsa_float_denorm_mode_16_64 3
		.amdhsa_dx10_clamp 1
		.amdhsa_ieee_mode 1
		.amdhsa_fp16_overflow 0
		.amdhsa_workgroup_processor_mode 1
		.amdhsa_memory_ordered 1
		.amdhsa_forward_progress 0
		.amdhsa_shared_vgpr_count 0
		.amdhsa_exception_fp_ieee_invalid_op 0
		.amdhsa_exception_fp_denorm_src 0
		.amdhsa_exception_fp_ieee_div_zero 0
		.amdhsa_exception_fp_ieee_overflow 0
		.amdhsa_exception_fp_ieee_underflow 0
		.amdhsa_exception_fp_ieee_inexact 0
		.amdhsa_exception_int_div_zero 0
	.end_amdhsa_kernel
	.section	.text._ZN2at6native29vectorized_elementwise_kernelILi8EZZZNS0_17expm1_kernel_cudaERNS_18TensorIteratorBaseEENKUlvE_clEvENKUlvE_clEvEUldE_St5arrayIPcLm2EEEEviT0_T1_,"axG",@progbits,_ZN2at6native29vectorized_elementwise_kernelILi8EZZZNS0_17expm1_kernel_cudaERNS_18TensorIteratorBaseEENKUlvE_clEvENKUlvE_clEvEUldE_St5arrayIPcLm2EEEEviT0_T1_,comdat
.Lfunc_end107:
	.size	_ZN2at6native29vectorized_elementwise_kernelILi8EZZZNS0_17expm1_kernel_cudaERNS_18TensorIteratorBaseEENKUlvE_clEvENKUlvE_clEvEUldE_St5arrayIPcLm2EEEEviT0_T1_, .Lfunc_end107-_ZN2at6native29vectorized_elementwise_kernelILi8EZZZNS0_17expm1_kernel_cudaERNS_18TensorIteratorBaseEENKUlvE_clEvENKUlvE_clEvEUldE_St5arrayIPcLm2EEEEviT0_T1_
                                        ; -- End function
	.section	.AMDGPU.csdata,"",@progbits
; Kernel info:
; codeLenInByte = 4528
; NumSgprs: 24
; NumVgprs: 42
; ScratchSize: 0
; MemoryBound: 0
; FloatMode: 240
; IeeeMode: 1
; LDSByteSize: 0 bytes/workgroup (compile time only)
; SGPRBlocks: 2
; VGPRBlocks: 5
; NumSGPRsForWavesPerEU: 24
; NumVGPRsForWavesPerEU: 42
; Occupancy: 16
; WaveLimiterHint : 0
; COMPUTE_PGM_RSRC2:SCRATCH_EN: 0
; COMPUTE_PGM_RSRC2:USER_SGPR: 15
; COMPUTE_PGM_RSRC2:TRAP_HANDLER: 0
; COMPUTE_PGM_RSRC2:TGID_X_EN: 1
; COMPUTE_PGM_RSRC2:TGID_Y_EN: 0
; COMPUTE_PGM_RSRC2:TGID_Z_EN: 0
; COMPUTE_PGM_RSRC2:TIDIG_COMP_CNT: 0
	.section	.text._ZN2at6native29vectorized_elementwise_kernelILi4EZZZNS0_17expm1_kernel_cudaERNS_18TensorIteratorBaseEENKUlvE_clEvENKUlvE_clEvEUldE_St5arrayIPcLm2EEEEviT0_T1_,"axG",@progbits,_ZN2at6native29vectorized_elementwise_kernelILi4EZZZNS0_17expm1_kernel_cudaERNS_18TensorIteratorBaseEENKUlvE_clEvENKUlvE_clEvEUldE_St5arrayIPcLm2EEEEviT0_T1_,comdat
	.globl	_ZN2at6native29vectorized_elementwise_kernelILi4EZZZNS0_17expm1_kernel_cudaERNS_18TensorIteratorBaseEENKUlvE_clEvENKUlvE_clEvEUldE_St5arrayIPcLm2EEEEviT0_T1_ ; -- Begin function _ZN2at6native29vectorized_elementwise_kernelILi4EZZZNS0_17expm1_kernel_cudaERNS_18TensorIteratorBaseEENKUlvE_clEvENKUlvE_clEvEUldE_St5arrayIPcLm2EEEEviT0_T1_
	.p2align	8
	.type	_ZN2at6native29vectorized_elementwise_kernelILi4EZZZNS0_17expm1_kernel_cudaERNS_18TensorIteratorBaseEENKUlvE_clEvENKUlvE_clEvEUldE_St5arrayIPcLm2EEEEviT0_T1_,@function
_ZN2at6native29vectorized_elementwise_kernelILi4EZZZNS0_17expm1_kernel_cudaERNS_18TensorIteratorBaseEENKUlvE_clEvENKUlvE_clEvEUldE_St5arrayIPcLm2EEEEviT0_T1_: ; @_ZN2at6native29vectorized_elementwise_kernelILi4EZZZNS0_17expm1_kernel_cudaERNS_18TensorIteratorBaseEENKUlvE_clEvENKUlvE_clEvEUldE_St5arrayIPcLm2EEEEviT0_T1_
; %bb.0:
	s_clause 0x1
	s_load_b32 s2, s[0:1], 0x0
	s_load_b128 s[16:19], s[0:1], 0x8
	s_lshl_b32 s12, s15, 10
	s_mov_b32 s0, -1
	s_waitcnt lgkmcnt(0)
	s_sub_i32 s11, s2, s12
	s_delay_alu instid0(SALU_CYCLE_1)
	s_cmpk_gt_i32 s11, 0x3ff
	s_cbranch_scc0 .LBB108_2
; %bb.1:
	s_ashr_i32 s13, s12, 31
	v_lshlrev_b32_e32 v41, 5, v0
	s_lshl_b64 s[14:15], s[12:13], 3
	s_mov_b32 s4, 0xfefa39ef
	s_add_u32 s0, s18, s14
	s_addc_u32 s1, s19, s15
	s_mov_b32 s5, 0xbfe62e42
	s_clause 0x1
	global_load_b128 v[1:4], v41, s[0:1]
	global_load_b128 v[5:8], v41, s[0:1] offset:16
	s_mov_b32 s0, 0x652b82fe
	s_mov_b32 s1, 0x3ff71547
	;; [unrolled: 1-line block ×6, first 2 shown]
	s_waitcnt vmcnt(1)
	v_mul_f64 v[11:12], v[3:4], s[0:1]
	s_waitcnt vmcnt(0)
	v_mul_f64 v[13:14], v[5:6], s[0:1]
	v_mul_f64 v[15:16], v[7:8], s[0:1]
	;; [unrolled: 1-line block ×3, first 2 shown]
	s_mov_b32 s0, 0x3b39803f
	s_mov_b32 s1, 0xbc7abc9e
	v_cmp_nlt_f64_e64 s7, s[20:21], v[5:6]
	v_cmp_nlt_f64_e64 s9, s[20:21], v[7:8]
	v_cmp_ngt_f64_e64 s6, 0xc0428000, v[3:4]
	v_cmp_ngt_f64_e64 s8, 0xc0428000, v[5:6]
	;; [unrolled: 1-line block ×3, first 2 shown]
	v_rndne_f64_e32 v[11:12], v[11:12]
	v_rndne_f64_e32 v[13:14], v[13:14]
	;; [unrolled: 1-line block ×4, first 2 shown]
	s_delay_alu instid0(VALU_DEP_4) | instskip(NEXT) | instid1(VALU_DEP_4)
	v_fma_f64 v[19:20], v[11:12], s[4:5], v[3:4]
	v_fma_f64 v[21:22], v[13:14], s[4:5], v[5:6]
	s_delay_alu instid0(VALU_DEP_4) | instskip(NEXT) | instid1(VALU_DEP_4)
	v_fma_f64 v[23:24], v[15:16], s[4:5], v[7:8]
	v_fma_f64 v[17:18], v[9:10], s[4:5], v[1:2]
	v_cvt_i32_f64_e32 v34, v[11:12]
	v_cvt_i32_f64_e32 v35, v[13:14]
	;; [unrolled: 1-line block ×4, first 2 shown]
	v_cmp_eq_f64_e32 vcc_lo, 0x40900000, v[9:10]
	v_cmp_nlt_f64_e64 s5, s[20:21], v[3:4]
	v_cmp_ngt_f64_e64 s4, 0xc0428000, v[1:2]
	v_fma_f64 v[19:20], v[11:12], s[0:1], v[19:20]
	v_fma_f64 v[21:22], v[13:14], s[0:1], v[21:22]
	;; [unrolled: 1-line block ×4, first 2 shown]
	s_mov_b32 s0, 0x2a1b768b
	s_mov_b32 s1, 0x3e5af4eb
	v_cndmask_b32_e64 v9, v33, 0x3ff, vcc_lo
	s_delay_alu instid0(VALU_DEP_1)
	v_ldexp_f64 v[9:10], 1.0, v9
	v_fma_f64 v[27:28], v[19:20], s[2:3], s[0:1]
	v_fma_f64 v[29:30], v[21:22], s[2:3], s[0:1]
	;; [unrolled: 1-line block ×4, first 2 shown]
	s_mov_b32 s0, 0xe0ac05b
	s_mov_b32 s1, 0x3e927e50
	v_cmp_eq_f64_e64 s2, 0x40900000, v[15:16]
	v_cmp_nlt_f64_e64 s3, s[20:21], v[1:2]
	v_fma_f64 v[27:28], v[19:20], v[27:28], s[0:1]
	v_fma_f64 v[29:30], v[21:22], v[29:30], s[0:1]
	;; [unrolled: 1-line block ×4, first 2 shown]
	s_mov_b32 s0, 0x1b889c29
	s_mov_b32 s1, 0x3ec71de0
	v_cndmask_b32_e64 v15, v36, 0x3ff, s2
	s_delay_alu instid0(VALU_DEP_1)
	v_ldexp_f64 v[15:16], 1.0, v15
	v_fma_f64 v[27:28], v[19:20], v[27:28], s[0:1]
	v_fma_f64 v[29:30], v[21:22], v[29:30], s[0:1]
	;; [unrolled: 1-line block ×4, first 2 shown]
	s_mov_b32 s0, 0x197bcfd8
	s_mov_b32 s1, 0x3efa01a0
	v_add_f64 v[39:40], v[15:16], -1.0
	v_fma_f64 v[27:28], v[19:20], v[27:28], s[0:1]
	v_fma_f64 v[29:30], v[21:22], v[29:30], s[0:1]
	;; [unrolled: 1-line block ×4, first 2 shown]
	s_mov_b32 s0, 0x1ac1a723
	s_mov_b32 s1, 0x3f2a01a0
	s_delay_alu instid0(VALU_DEP_4) | instid1(SALU_CYCLE_1)
	v_fma_f64 v[27:28], v[19:20], v[27:28], s[0:1]
	s_delay_alu instid0(VALU_DEP_4) | instskip(NEXT) | instid1(VALU_DEP_4)
	v_fma_f64 v[29:30], v[21:22], v[29:30], s[0:1]
	v_fma_f64 v[31:32], v[23:24], v[31:32], s[0:1]
	s_delay_alu instid0(VALU_DEP_4)
	v_fma_f64 v[25:26], v[17:18], v[25:26], s[0:1]
	s_mov_b32 s0, 0x16c18931
	s_mov_b32 s1, 0x3f56c16c
	s_delay_alu instid0(VALU_DEP_4) | instid1(SALU_CYCLE_1)
	v_fma_f64 v[27:28], v[19:20], v[27:28], s[0:1]
	s_delay_alu instid0(VALU_DEP_4) | instskip(NEXT) | instid1(VALU_DEP_4)
	v_fma_f64 v[29:30], v[21:22], v[29:30], s[0:1]
	v_fma_f64 v[31:32], v[23:24], v[31:32], s[0:1]
	s_delay_alu instid0(VALU_DEP_4)
	v_fma_f64 v[25:26], v[17:18], v[25:26], s[0:1]
	;; [unrolled: 9-line block ×5, first 2 shown]
	v_cmp_eq_f64_e64 s0, 0x40900000, v[11:12]
	v_cmp_eq_f64_e64 s1, 0x40900000, v[13:14]
	v_fma_f64 v[27:28], v[19:20], v[27:28], 0.5
	v_fma_f64 v[29:30], v[21:22], v[29:30], 0.5
	;; [unrolled: 1-line block ×4, first 2 shown]
	v_cndmask_b32_e64 v11, v34, 0x3ff, s0
	v_cndmask_b32_e64 v13, v35, 0x3ff, s1
	v_add_f64 v[33:34], v[9:10], -1.0
	s_delay_alu instid0(VALU_DEP_3) | instskip(NEXT) | instid1(VALU_DEP_3)
	v_ldexp_f64 v[11:12], 1.0, v11
	v_ldexp_f64 v[13:14], 1.0, v13
	v_mul_f64 v[27:28], v[19:20], v[27:28]
	v_mul_f64 v[29:30], v[21:22], v[29:30]
	;; [unrolled: 1-line block ×4, first 2 shown]
	v_add_f64 v[35:36], v[11:12], -1.0
	v_add_f64 v[37:38], v[13:14], -1.0
	v_fma_f64 v[19:20], v[19:20], v[27:28], v[19:20]
	v_fma_f64 v[21:22], v[21:22], v[29:30], v[21:22]
	;; [unrolled: 1-line block ×4, first 2 shown]
	s_delay_alu instid0(VALU_DEP_4) | instskip(NEXT) | instid1(VALU_DEP_4)
	v_fma_f64 v[11:12], v[11:12], v[19:20], v[35:36]
	v_fma_f64 v[13:14], v[13:14], v[21:22], v[37:38]
	s_delay_alu instid0(VALU_DEP_4) | instskip(NEXT) | instid1(VALU_DEP_4)
	v_fma_f64 v[15:16], v[15:16], v[23:24], v[39:40]
	v_fma_f64 v[9:10], v[9:10], v[17:18], v[33:34]
	s_delay_alu instid0(VALU_DEP_4) | instskip(NEXT) | instid1(VALU_DEP_4)
	v_add_f64 v[19:20], v[11:12], v[11:12]
	v_add_f64 v[21:22], v[13:14], v[13:14]
	s_delay_alu instid0(VALU_DEP_4) | instskip(NEXT) | instid1(VALU_DEP_4)
	v_add_f64 v[23:24], v[15:16], v[15:16]
	v_add_f64 v[17:18], v[9:10], v[9:10]
	s_delay_alu instid0(VALU_DEP_4) | instskip(NEXT) | instid1(VALU_DEP_4)
	v_cndmask_b32_e64 v12, v12, v20, s0
	v_cndmask_b32_e64 v14, v14, v22, s1
	s_delay_alu instid0(VALU_DEP_4) | instskip(NEXT) | instid1(VALU_DEP_4)
	v_cndmask_b32_e64 v16, v16, v24, s2
	v_dual_cndmask_b32 v10, v10, v18 :: v_dual_cndmask_b32 v7, v9, v17
	s_delay_alu instid0(VALU_DEP_4) | instskip(NEXT) | instid1(VALU_DEP_4)
	v_cndmask_b32_e64 v1, 0x7ff00000, v12, s5
	v_cndmask_b32_e64 v3, 0x7ff00000, v14, s7
	v_cndmask_b32_e64 v9, v11, v19, s0
	s_and_b32 vcc_lo, s4, s3
	v_cndmask_b32_e64 v5, 0x7ff00000, v16, s9
	v_cndmask_b32_e64 v11, v13, v21, s1
	;; [unrolled: 1-line block ×4, first 2 shown]
	v_cndmask_b32_e32 v1, 0, v7, vcc_lo
	s_and_b32 vcc_lo, s6, s5
	v_cndmask_b32_e64 v12, v15, v23, s2
	v_cndmask_b32_e64 v6, 0xbff00000, v3, s8
	v_cndmask_b32_e32 v3, 0, v9, vcc_lo
	s_and_b32 vcc_lo, s8, s7
	v_cndmask_b32_e64 v8, 0xbff00000, v5, s10
	v_cndmask_b32_e32 v5, 0, v11, vcc_lo
	s_and_b32 vcc_lo, s10, s9
	v_cndmask_b32_e64 v2, 0xbff00000, v10, s4
	v_cndmask_b32_e32 v7, 0, v12, vcc_lo
	s_add_u32 s2, s16, s14
	s_addc_u32 s3, s17, s15
	s_mov_b32 s0, 0
	s_clause 0x1
	global_store_b128 v41, v[1:4], s[2:3]
	global_store_b128 v41, v[5:8], s[2:3] offset:16
.LBB108_2:
	s_and_not1_b32 vcc_lo, exec_lo, s0
	s_cbranch_vccnz .LBB108_20
; %bb.3:
	v_dual_mov_b32 v14, 0 :: v_dual_mov_b32 v1, v0
	v_mov_b32_e32 v15, 0
	v_cmp_gt_i32_e32 vcc_lo, s11, v0
	v_or_b32_e32 v9, s12, v0
	v_or_b32_e32 v18, 0x100, v0
	s_delay_alu instid0(VALU_DEP_4)
	v_dual_mov_b32 v17, v15 :: v_dual_mov_b32 v16, v14
	s_and_saveexec_b32 s1, vcc_lo
	s_cbranch_execz .LBB108_5
; %bb.4:
	v_mov_b32_e32 v10, 0
	s_delay_alu instid0(VALU_DEP_1) | instskip(NEXT) | instid1(VALU_DEP_1)
	v_lshlrev_b64 v[1:2], 3, v[9:10]
	v_add_co_u32 v1, s0, s18, v1
	s_delay_alu instid0(VALU_DEP_1)
	v_add_co_ci_u32_e64 v2, s0, s19, v2, s0
	global_load_b64 v[16:17], v[1:2], off
	v_or_b32_e32 v1, 0x100, v0
.LBB108_5:
	s_or_b32 exec_lo, exec_lo, s1
	s_delay_alu instid0(SALU_CYCLE_1) | instskip(NEXT) | instid1(VALU_DEP_1)
	s_mov_b32 s1, exec_lo
	v_cmpx_gt_i32_e64 s11, v1
	s_cbranch_execz .LBB108_7
; %bb.6:
	v_dual_mov_b32 v3, 0 :: v_dual_add_nc_u32 v2, s12, v1
	v_add_nc_u32_e32 v1, 0x100, v1
	s_delay_alu instid0(VALU_DEP_2) | instskip(NEXT) | instid1(VALU_DEP_1)
	v_lshlrev_b64 v[2:3], 3, v[2:3]
	v_add_co_u32 v2, s0, s18, v2
	s_delay_alu instid0(VALU_DEP_1)
	v_add_co_ci_u32_e64 v3, s0, s19, v3, s0
	global_load_b64 v[14:15], v[2:3], off
.LBB108_7:
	s_or_b32 exec_lo, exec_lo, s1
	v_mov_b32_e32 v10, 0
	v_mov_b32_e32 v11, 0
	s_mov_b32 s1, exec_lo
	s_delay_alu instid0(VALU_DEP_1)
	v_dual_mov_b32 v13, v11 :: v_dual_mov_b32 v12, v10
	v_cmpx_gt_i32_e64 s11, v1
	s_cbranch_execnz .LBB108_21
; %bb.8:
	s_or_b32 exec_lo, exec_lo, s1
	s_delay_alu instid0(SALU_CYCLE_1)
	s_mov_b32 s1, exec_lo
	v_cmpx_gt_i32_e64 s11, v1
	s_cbranch_execnz .LBB108_22
.LBB108_9:
	s_or_b32 exec_lo, exec_lo, s1
                                        ; implicit-def: $vgpr1_vgpr2_vgpr3_vgpr4_vgpr5_vgpr6_vgpr7_vgpr8
	s_and_saveexec_b32 s3, vcc_lo
	s_cbranch_execnz .LBB108_23
.LBB108_10:
	s_or_b32 exec_lo, exec_lo, s3
	s_delay_alu instid0(SALU_CYCLE_1)
	s_mov_b32 s3, exec_lo
	v_cmpx_gt_i32_e64 s11, v18
	s_cbranch_execz .LBB108_12
.LBB108_11:
	s_mov_b32 s0, 0x652b82fe
	s_mov_b32 s1, 0x3ff71547
	;; [unrolled: 1-line block ×3, first 2 shown]
	s_waitcnt vmcnt(0)
	v_mul_f64 v[3:4], v[14:15], s[0:1]
	s_mov_b32 s4, 0xfefa39ef
	s_mov_b32 s0, 0x3b39803f
	;; [unrolled: 1-line block ×5, first 2 shown]
	v_cmp_ngt_f64_e64 s2, 0xc0428000, v[14:15]
	s_delay_alu instid0(VALU_DEP_2) | instskip(NEXT) | instid1(VALU_DEP_1)
	v_rndne_f64_e32 v[3:4], v[3:4]
	v_fma_f64 v[16:17], v[3:4], s[4:5], v[14:15]
	v_cvt_i32_f64_e32 v21, v[3:4]
	s_mov_b32 s5, 0x40862e42
	s_delay_alu instid0(VALU_DEP_2)
	v_fma_f64 v[16:17], v[3:4], s[0:1], v[16:17]
	s_mov_b32 s0, 0x2a1b768b
	s_mov_b32 s1, 0x3e5af4eb
	s_delay_alu instid0(VALU_DEP_1) | instid1(SALU_CYCLE_1)
	v_fma_f64 v[19:20], v[16:17], s[6:7], s[0:1]
	s_mov_b32 s0, 0xe0ac05b
	s_mov_b32 s1, 0x3e927e50
	s_delay_alu instid0(VALU_DEP_1) | instid1(SALU_CYCLE_1)
	;; [unrolled: 4-line block ×9, first 2 shown]
	v_fma_f64 v[19:20], v[16:17], v[19:20], s[0:1]
	v_cmp_eq_f64_e64 s0, 0x40900000, v[3:4]
	v_cmp_nlt_f64_e64 s1, s[4:5], v[14:15]
	s_delay_alu instid0(VALU_DEP_3) | instskip(NEXT) | instid1(VALU_DEP_3)
	v_fma_f64 v[19:20], v[16:17], v[19:20], 0.5
	v_cndmask_b32_e64 v3, v21, 0x3ff, s0
	s_delay_alu instid0(VALU_DEP_1) | instskip(NEXT) | instid1(VALU_DEP_3)
	v_ldexp_f64 v[3:4], 1.0, v3
	v_mul_f64 v[19:20], v[16:17], v[19:20]
	s_delay_alu instid0(VALU_DEP_2) | instskip(NEXT) | instid1(VALU_DEP_2)
	v_add_f64 v[21:22], v[3:4], -1.0
	v_fma_f64 v[16:17], v[16:17], v[19:20], v[16:17]
	s_delay_alu instid0(VALU_DEP_1) | instskip(NEXT) | instid1(VALU_DEP_1)
	v_fma_f64 v[3:4], v[3:4], v[16:17], v[21:22]
	v_add_f64 v[16:17], v[3:4], v[3:4]
	s_delay_alu instid0(VALU_DEP_1) | instskip(NEXT) | instid1(VALU_DEP_2)
	v_cndmask_b32_e64 v4, v4, v17, s0
	v_cndmask_b32_e64 v3, v3, v16, s0
	s_and_b32 s0, s2, s1
	s_delay_alu instid0(VALU_DEP_2) | instskip(NEXT) | instid1(VALU_DEP_2)
	v_cndmask_b32_e64 v4, 0x7ff00000, v4, s1
	v_cndmask_b32_e64 v3, 0, v3, s0
	s_delay_alu instid0(VALU_DEP_2)
	v_cndmask_b32_e64 v4, 0xbff00000, v4, s2
.LBB108_12:
	s_or_b32 exec_lo, exec_lo, s3
	s_waitcnt vmcnt(0)
	v_or_b32_e32 v14, 0x200, v0
	s_mov_b32 s3, exec_lo
	s_delay_alu instid0(VALU_DEP_1)
	v_cmpx_gt_i32_e64 s11, v14
	s_cbranch_execz .LBB108_14
; %bb.13:
	s_mov_b32 s0, 0x652b82fe
	s_mov_b32 s1, 0x3ff71547
	;; [unrolled: 1-line block ×3, first 2 shown]
	v_mul_f64 v[5:6], v[12:13], s[0:1]
	s_mov_b32 s4, 0xfefa39ef
	s_mov_b32 s0, 0x3b39803f
	;; [unrolled: 1-line block ×5, first 2 shown]
	v_cmp_ngt_f64_e64 s2, 0xc0428000, v[12:13]
	s_delay_alu instid0(VALU_DEP_2) | instskip(NEXT) | instid1(VALU_DEP_1)
	v_rndne_f64_e32 v[5:6], v[5:6]
	v_fma_f64 v[14:15], v[5:6], s[4:5], v[12:13]
	v_cvt_i32_f64_e32 v19, v[5:6]
	s_mov_b32 s5, 0x40862e42
	s_delay_alu instid0(VALU_DEP_2)
	v_fma_f64 v[14:15], v[5:6], s[0:1], v[14:15]
	s_mov_b32 s0, 0x2a1b768b
	s_mov_b32 s1, 0x3e5af4eb
	s_delay_alu instid0(VALU_DEP_1) | instid1(SALU_CYCLE_1)
	v_fma_f64 v[16:17], v[14:15], s[6:7], s[0:1]
	s_mov_b32 s0, 0xe0ac05b
	s_mov_b32 s1, 0x3e927e50
	s_delay_alu instid0(VALU_DEP_1) | instid1(SALU_CYCLE_1)
	;; [unrolled: 4-line block ×9, first 2 shown]
	v_fma_f64 v[16:17], v[14:15], v[16:17], s[0:1]
	v_cmp_eq_f64_e64 s0, 0x40900000, v[5:6]
	v_cmp_nlt_f64_e64 s1, s[4:5], v[12:13]
	s_delay_alu instid0(VALU_DEP_3) | instskip(NEXT) | instid1(VALU_DEP_3)
	v_fma_f64 v[16:17], v[14:15], v[16:17], 0.5
	v_cndmask_b32_e64 v5, v19, 0x3ff, s0
	s_delay_alu instid0(VALU_DEP_1) | instskip(NEXT) | instid1(VALU_DEP_3)
	v_ldexp_f64 v[5:6], 1.0, v5
	v_mul_f64 v[16:17], v[14:15], v[16:17]
	s_delay_alu instid0(VALU_DEP_2) | instskip(NEXT) | instid1(VALU_DEP_2)
	v_add_f64 v[19:20], v[5:6], -1.0
	v_fma_f64 v[14:15], v[14:15], v[16:17], v[14:15]
	s_delay_alu instid0(VALU_DEP_1) | instskip(NEXT) | instid1(VALU_DEP_1)
	v_fma_f64 v[5:6], v[5:6], v[14:15], v[19:20]
	v_add_f64 v[14:15], v[5:6], v[5:6]
	s_delay_alu instid0(VALU_DEP_1) | instskip(NEXT) | instid1(VALU_DEP_2)
	v_cndmask_b32_e64 v6, v6, v15, s0
	v_cndmask_b32_e64 v5, v5, v14, s0
	s_and_b32 s0, s2, s1
	s_delay_alu instid0(VALU_DEP_2) | instskip(NEXT) | instid1(VALU_DEP_2)
	v_cndmask_b32_e64 v6, 0x7ff00000, v6, s1
	v_cndmask_b32_e64 v5, 0, v5, s0
	s_delay_alu instid0(VALU_DEP_2)
	v_cndmask_b32_e64 v6, 0xbff00000, v6, s2
.LBB108_14:
	s_or_b32 exec_lo, exec_lo, s3
	v_or_b32_e32 v12, 0x300, v0
	s_mov_b32 s3, exec_lo
	s_delay_alu instid0(VALU_DEP_1)
	v_cmpx_gt_i32_e64 s11, v12
	s_cbranch_execnz .LBB108_24
; %bb.15:
	s_or_b32 exec_lo, exec_lo, s3
	s_and_saveexec_b32 s0, vcc_lo
	s_delay_alu instid0(SALU_CYCLE_1)
	s_xor_b32 s0, exec_lo, s0
	s_cbranch_execnz .LBB108_25
.LBB108_16:
	s_or_b32 exec_lo, exec_lo, s0
	s_delay_alu instid0(SALU_CYCLE_1)
	s_mov_b32 s0, exec_lo
	v_cmpx_gt_i32_e64 s11, v0
	s_cbranch_execnz .LBB108_26
.LBB108_17:
	s_or_b32 exec_lo, exec_lo, s0
	s_delay_alu instid0(SALU_CYCLE_1)
	s_mov_b32 s0, exec_lo
	v_cmpx_gt_i32_e64 s11, v0
	s_cbranch_execnz .LBB108_27
.LBB108_18:
	s_or_b32 exec_lo, exec_lo, s0
	s_delay_alu instid0(SALU_CYCLE_1)
	s_mov_b32 s0, exec_lo
	v_cmpx_gt_i32_e64 s11, v0
	s_cbranch_execz .LBB108_20
.LBB108_19:
	v_dual_mov_b32 v1, 0 :: v_dual_add_nc_u32 v0, s12, v0
	s_delay_alu instid0(VALU_DEP_1) | instskip(NEXT) | instid1(VALU_DEP_1)
	v_lshlrev_b64 v[0:1], 3, v[0:1]
	v_add_co_u32 v0, vcc_lo, s16, v0
	s_delay_alu instid0(VALU_DEP_2)
	v_add_co_ci_u32_e32 v1, vcc_lo, s17, v1, vcc_lo
	global_store_b64 v[0:1], v[7:8], off
.LBB108_20:
	s_nop 0
	s_sendmsg sendmsg(MSG_DEALLOC_VGPRS)
	s_endpgm
.LBB108_21:
	v_dual_mov_b32 v3, 0 :: v_dual_add_nc_u32 v2, s12, v1
	v_add_nc_u32_e32 v1, 0x100, v1
	s_delay_alu instid0(VALU_DEP_2) | instskip(NEXT) | instid1(VALU_DEP_1)
	v_lshlrev_b64 v[2:3], 3, v[2:3]
	v_add_co_u32 v2, s0, s18, v2
	s_delay_alu instid0(VALU_DEP_1) | instskip(SKIP_2) | instid1(SALU_CYCLE_1)
	v_add_co_ci_u32_e64 v3, s0, s19, v3, s0
	global_load_b64 v[12:13], v[2:3], off
	s_or_b32 exec_lo, exec_lo, s1
	s_mov_b32 s1, exec_lo
	v_cmpx_gt_i32_e64 s11, v1
	s_cbranch_execz .LBB108_9
.LBB108_22:
	v_dual_mov_b32 v2, 0 :: v_dual_add_nc_u32 v1, s12, v1
	s_delay_alu instid0(VALU_DEP_1) | instskip(NEXT) | instid1(VALU_DEP_1)
	v_lshlrev_b64 v[1:2], 3, v[1:2]
	v_add_co_u32 v1, s0, s18, v1
	s_delay_alu instid0(VALU_DEP_1)
	v_add_co_ci_u32_e64 v2, s0, s19, v2, s0
	global_load_b64 v[10:11], v[1:2], off
	s_or_b32 exec_lo, exec_lo, s1
                                        ; implicit-def: $vgpr1_vgpr2_vgpr3_vgpr4_vgpr5_vgpr6_vgpr7_vgpr8
	s_and_saveexec_b32 s3, vcc_lo
	s_cbranch_execz .LBB108_10
.LBB108_23:
	s_mov_b32 s0, 0x652b82fe
	s_mov_b32 s1, 0x3ff71547
	;; [unrolled: 1-line block ×3, first 2 shown]
	s_waitcnt vmcnt(0)
	v_mul_f64 v[1:2], v[16:17], s[0:1]
	s_mov_b32 s4, 0xfefa39ef
	s_mov_b32 s0, 0x3b39803f
	;; [unrolled: 1-line block ×5, first 2 shown]
	v_cmp_ngt_f64_e64 s2, 0xc0428000, v[16:17]
	s_delay_alu instid0(VALU_DEP_2) | instskip(NEXT) | instid1(VALU_DEP_1)
	v_rndne_f64_e32 v[1:2], v[1:2]
	v_fma_f64 v[3:4], v[1:2], s[4:5], v[16:17]
	v_cvt_i32_f64_e32 v7, v[1:2]
	s_mov_b32 s5, 0x40862e42
	s_delay_alu instid0(VALU_DEP_2)
	v_fma_f64 v[3:4], v[1:2], s[0:1], v[3:4]
	s_mov_b32 s0, 0x2a1b768b
	s_mov_b32 s1, 0x3e5af4eb
	s_delay_alu instid0(VALU_DEP_1) | instid1(SALU_CYCLE_1)
	v_fma_f64 v[5:6], v[3:4], s[6:7], s[0:1]
	s_mov_b32 s0, 0xe0ac05b
	s_mov_b32 s1, 0x3e927e50
	s_delay_alu instid0(VALU_DEP_1) | instid1(SALU_CYCLE_1)
	;; [unrolled: 4-line block ×9, first 2 shown]
	v_fma_f64 v[5:6], v[3:4], v[5:6], s[0:1]
	v_cmp_eq_f64_e64 s0, 0x40900000, v[1:2]
	v_cmp_nlt_f64_e64 s1, s[4:5], v[16:17]
	s_delay_alu instid0(VALU_DEP_3) | instskip(NEXT) | instid1(VALU_DEP_3)
	v_fma_f64 v[5:6], v[3:4], v[5:6], 0.5
	v_cndmask_b32_e64 v1, v7, 0x3ff, s0
	s_delay_alu instid0(VALU_DEP_1) | instskip(NEXT) | instid1(VALU_DEP_3)
	v_ldexp_f64 v[1:2], 1.0, v1
	v_mul_f64 v[5:6], v[3:4], v[5:6]
	s_delay_alu instid0(VALU_DEP_2) | instskip(NEXT) | instid1(VALU_DEP_2)
	v_add_f64 v[7:8], v[1:2], -1.0
	v_fma_f64 v[3:4], v[3:4], v[5:6], v[3:4]
	s_delay_alu instid0(VALU_DEP_1) | instskip(NEXT) | instid1(VALU_DEP_1)
	v_fma_f64 v[1:2], v[1:2], v[3:4], v[7:8]
	v_add_f64 v[3:4], v[1:2], v[1:2]
	s_delay_alu instid0(VALU_DEP_1) | instskip(NEXT) | instid1(VALU_DEP_2)
	v_cndmask_b32_e64 v2, v2, v4, s0
	v_cndmask_b32_e64 v1, v1, v3, s0
	s_and_b32 s0, s2, s1
	s_delay_alu instid0(VALU_DEP_2) | instskip(NEXT) | instid1(VALU_DEP_2)
	v_cndmask_b32_e64 v2, 0x7ff00000, v2, s1
	v_cndmask_b32_e64 v1, 0, v1, s0
	s_delay_alu instid0(VALU_DEP_2) | instskip(SKIP_1) | instid1(SALU_CYCLE_1)
	v_cndmask_b32_e64 v2, 0xbff00000, v2, s2
	s_or_b32 exec_lo, exec_lo, s3
	s_mov_b32 s3, exec_lo
	v_cmpx_gt_i32_e64 s11, v18
	s_cbranch_execnz .LBB108_11
	s_branch .LBB108_12
.LBB108_24:
	s_mov_b32 s0, 0x652b82fe
	s_mov_b32 s1, 0x3ff71547
	;; [unrolled: 1-line block ×3, first 2 shown]
	v_mul_f64 v[7:8], v[10:11], s[0:1]
	s_mov_b32 s4, 0xfefa39ef
	s_mov_b32 s0, 0x3b39803f
	;; [unrolled: 1-line block ×5, first 2 shown]
	v_cmp_ngt_f64_e64 s2, 0xc0428000, v[10:11]
	s_delay_alu instid0(VALU_DEP_2) | instskip(NEXT) | instid1(VALU_DEP_1)
	v_rndne_f64_e32 v[7:8], v[7:8]
	v_fma_f64 v[12:13], v[7:8], s[4:5], v[10:11]
	v_cvt_i32_f64_e32 v16, v[7:8]
	s_mov_b32 s5, 0x40862e42
	s_delay_alu instid0(VALU_DEP_2)
	v_fma_f64 v[12:13], v[7:8], s[0:1], v[12:13]
	s_mov_b32 s0, 0x2a1b768b
	s_mov_b32 s1, 0x3e5af4eb
	s_delay_alu instid0(VALU_DEP_1) | instid1(SALU_CYCLE_1)
	v_fma_f64 v[14:15], v[12:13], s[6:7], s[0:1]
	s_mov_b32 s0, 0xe0ac05b
	s_mov_b32 s1, 0x3e927e50
	s_delay_alu instid0(VALU_DEP_1) | instid1(SALU_CYCLE_1)
	v_fma_f64 v[14:15], v[12:13], v[14:15], s[0:1]
	s_mov_b32 s0, 0x1b889c29
	s_mov_b32 s1, 0x3ec71de0
	s_delay_alu instid0(VALU_DEP_1) | instid1(SALU_CYCLE_1)
	v_fma_f64 v[14:15], v[12:13], v[14:15], s[0:1]
	s_mov_b32 s0, 0x197bcfd8
	s_mov_b32 s1, 0x3efa01a0
	s_delay_alu instid0(VALU_DEP_1) | instid1(SALU_CYCLE_1)
	v_fma_f64 v[14:15], v[12:13], v[14:15], s[0:1]
	s_mov_b32 s0, 0x1ac1a723
	s_mov_b32 s1, 0x3f2a01a0
	s_delay_alu instid0(VALU_DEP_1) | instid1(SALU_CYCLE_1)
	v_fma_f64 v[14:15], v[12:13], v[14:15], s[0:1]
	s_mov_b32 s0, 0x16c18931
	s_mov_b32 s1, 0x3f56c16c
	s_delay_alu instid0(VALU_DEP_1) | instid1(SALU_CYCLE_1)
	v_fma_f64 v[14:15], v[12:13], v[14:15], s[0:1]
	s_mov_b32 s0, 0x11110056
	s_mov_b32 s1, 0x3f811111
	s_delay_alu instid0(VALU_DEP_1) | instid1(SALU_CYCLE_1)
	v_fma_f64 v[14:15], v[12:13], v[14:15], s[0:1]
	s_mov_b32 s0, 0x55555552
	s_mov_b32 s1, 0x3fa55555
	s_delay_alu instid0(VALU_DEP_1) | instid1(SALU_CYCLE_1)
	v_fma_f64 v[14:15], v[12:13], v[14:15], s[0:1]
	s_mov_b32 s0, 0x55555557
	s_mov_b32 s1, 0x3fc55555
	s_delay_alu instid0(VALU_DEP_1) | instid1(SALU_CYCLE_1)
	v_fma_f64 v[14:15], v[12:13], v[14:15], s[0:1]
	v_cmp_eq_f64_e64 s0, 0x40900000, v[7:8]
	v_cmp_nlt_f64_e64 s1, s[4:5], v[10:11]
	s_delay_alu instid0(VALU_DEP_3) | instskip(NEXT) | instid1(VALU_DEP_3)
	v_fma_f64 v[14:15], v[12:13], v[14:15], 0.5
	v_cndmask_b32_e64 v7, v16, 0x3ff, s0
	s_delay_alu instid0(VALU_DEP_1) | instskip(NEXT) | instid1(VALU_DEP_3)
	v_ldexp_f64 v[7:8], 1.0, v7
	v_mul_f64 v[14:15], v[12:13], v[14:15]
	s_delay_alu instid0(VALU_DEP_2) | instskip(NEXT) | instid1(VALU_DEP_2)
	v_add_f64 v[16:17], v[7:8], -1.0
	v_fma_f64 v[12:13], v[12:13], v[14:15], v[12:13]
	s_delay_alu instid0(VALU_DEP_1) | instskip(NEXT) | instid1(VALU_DEP_1)
	v_fma_f64 v[7:8], v[7:8], v[12:13], v[16:17]
	v_add_f64 v[12:13], v[7:8], v[7:8]
	s_delay_alu instid0(VALU_DEP_1) | instskip(NEXT) | instid1(VALU_DEP_2)
	v_cndmask_b32_e64 v8, v8, v13, s0
	v_cndmask_b32_e64 v7, v7, v12, s0
	s_and_b32 s0, s2, s1
	s_delay_alu instid0(VALU_DEP_2) | instskip(NEXT) | instid1(VALU_DEP_2)
	v_cndmask_b32_e64 v8, 0x7ff00000, v8, s1
	v_cndmask_b32_e64 v7, 0, v7, s0
	s_delay_alu instid0(VALU_DEP_2) | instskip(SKIP_2) | instid1(SALU_CYCLE_1)
	v_cndmask_b32_e64 v8, 0xbff00000, v8, s2
	s_or_b32 exec_lo, exec_lo, s3
	s_and_saveexec_b32 s0, vcc_lo
	s_xor_b32 s0, exec_lo, s0
	s_cbranch_execz .LBB108_16
.LBB108_25:
	v_mov_b32_e32 v10, 0
	v_mov_b32_e32 v0, v18
	s_delay_alu instid0(VALU_DEP_2) | instskip(NEXT) | instid1(VALU_DEP_1)
	v_lshlrev_b64 v[9:10], 3, v[9:10]
	v_add_co_u32 v9, vcc_lo, s16, v9
	s_delay_alu instid0(VALU_DEP_2) | instskip(SKIP_2) | instid1(SALU_CYCLE_1)
	v_add_co_ci_u32_e32 v10, vcc_lo, s17, v10, vcc_lo
	global_store_b64 v[9:10], v[1:2], off
	s_or_b32 exec_lo, exec_lo, s0
	s_mov_b32 s0, exec_lo
	v_cmpx_gt_i32_e64 s11, v0
	s_cbranch_execz .LBB108_17
.LBB108_26:
	v_dual_mov_b32 v2, 0 :: v_dual_add_nc_u32 v1, s12, v0
	v_add_nc_u32_e32 v0, 0x100, v0
	s_delay_alu instid0(VALU_DEP_2) | instskip(NEXT) | instid1(VALU_DEP_1)
	v_lshlrev_b64 v[1:2], 3, v[1:2]
	v_add_co_u32 v1, vcc_lo, s16, v1
	s_delay_alu instid0(VALU_DEP_2) | instskip(SKIP_2) | instid1(SALU_CYCLE_1)
	v_add_co_ci_u32_e32 v2, vcc_lo, s17, v2, vcc_lo
	global_store_b64 v[1:2], v[3:4], off
	s_or_b32 exec_lo, exec_lo, s0
	s_mov_b32 s0, exec_lo
	v_cmpx_gt_i32_e64 s11, v0
	s_cbranch_execz .LBB108_18
.LBB108_27:
	v_dual_mov_b32 v2, 0 :: v_dual_add_nc_u32 v1, s12, v0
	v_add_nc_u32_e32 v0, 0x100, v0
	s_delay_alu instid0(VALU_DEP_2) | instskip(NEXT) | instid1(VALU_DEP_1)
	v_lshlrev_b64 v[1:2], 3, v[1:2]
	v_add_co_u32 v1, vcc_lo, s16, v1
	s_delay_alu instid0(VALU_DEP_2) | instskip(SKIP_2) | instid1(SALU_CYCLE_1)
	v_add_co_ci_u32_e32 v2, vcc_lo, s17, v2, vcc_lo
	global_store_b64 v[1:2], v[5:6], off
	s_or_b32 exec_lo, exec_lo, s0
	s_mov_b32 s0, exec_lo
	v_cmpx_gt_i32_e64 s11, v0
	s_cbranch_execnz .LBB108_19
	s_branch .LBB108_20
	.section	.rodata,"a",@progbits
	.p2align	6, 0x0
	.amdhsa_kernel _ZN2at6native29vectorized_elementwise_kernelILi4EZZZNS0_17expm1_kernel_cudaERNS_18TensorIteratorBaseEENKUlvE_clEvENKUlvE_clEvEUldE_St5arrayIPcLm2EEEEviT0_T1_
		.amdhsa_group_segment_fixed_size 0
		.amdhsa_private_segment_fixed_size 0
		.amdhsa_kernarg_size 24
		.amdhsa_user_sgpr_count 15
		.amdhsa_user_sgpr_dispatch_ptr 0
		.amdhsa_user_sgpr_queue_ptr 0
		.amdhsa_user_sgpr_kernarg_segment_ptr 1
		.amdhsa_user_sgpr_dispatch_id 0
		.amdhsa_user_sgpr_private_segment_size 0
		.amdhsa_wavefront_size32 1
		.amdhsa_uses_dynamic_stack 0
		.amdhsa_enable_private_segment 0
		.amdhsa_system_sgpr_workgroup_id_x 1
		.amdhsa_system_sgpr_workgroup_id_y 0
		.amdhsa_system_sgpr_workgroup_id_z 0
		.amdhsa_system_sgpr_workgroup_info 0
		.amdhsa_system_vgpr_workitem_id 0
		.amdhsa_next_free_vgpr 42
		.amdhsa_next_free_sgpr 22
		.amdhsa_reserve_vcc 1
		.amdhsa_float_round_mode_32 0
		.amdhsa_float_round_mode_16_64 0
		.amdhsa_float_denorm_mode_32 3
		.amdhsa_float_denorm_mode_16_64 3
		.amdhsa_dx10_clamp 1
		.amdhsa_ieee_mode 1
		.amdhsa_fp16_overflow 0
		.amdhsa_workgroup_processor_mode 1
		.amdhsa_memory_ordered 1
		.amdhsa_forward_progress 0
		.amdhsa_shared_vgpr_count 0
		.amdhsa_exception_fp_ieee_invalid_op 0
		.amdhsa_exception_fp_denorm_src 0
		.amdhsa_exception_fp_ieee_div_zero 0
		.amdhsa_exception_fp_ieee_overflow 0
		.amdhsa_exception_fp_ieee_underflow 0
		.amdhsa_exception_fp_ieee_inexact 0
		.amdhsa_exception_int_div_zero 0
	.end_amdhsa_kernel
	.section	.text._ZN2at6native29vectorized_elementwise_kernelILi4EZZZNS0_17expm1_kernel_cudaERNS_18TensorIteratorBaseEENKUlvE_clEvENKUlvE_clEvEUldE_St5arrayIPcLm2EEEEviT0_T1_,"axG",@progbits,_ZN2at6native29vectorized_elementwise_kernelILi4EZZZNS0_17expm1_kernel_cudaERNS_18TensorIteratorBaseEENKUlvE_clEvENKUlvE_clEvEUldE_St5arrayIPcLm2EEEEviT0_T1_,comdat
.Lfunc_end108:
	.size	_ZN2at6native29vectorized_elementwise_kernelILi4EZZZNS0_17expm1_kernel_cudaERNS_18TensorIteratorBaseEENKUlvE_clEvENKUlvE_clEvEUldE_St5arrayIPcLm2EEEEviT0_T1_, .Lfunc_end108-_ZN2at6native29vectorized_elementwise_kernelILi4EZZZNS0_17expm1_kernel_cudaERNS_18TensorIteratorBaseEENKUlvE_clEvENKUlvE_clEvEUldE_St5arrayIPcLm2EEEEviT0_T1_
                                        ; -- End function
	.section	.AMDGPU.csdata,"",@progbits
; Kernel info:
; codeLenInByte = 4528
; NumSgprs: 24
; NumVgprs: 42
; ScratchSize: 0
; MemoryBound: 0
; FloatMode: 240
; IeeeMode: 1
; LDSByteSize: 0 bytes/workgroup (compile time only)
; SGPRBlocks: 2
; VGPRBlocks: 5
; NumSGPRsForWavesPerEU: 24
; NumVGPRsForWavesPerEU: 42
; Occupancy: 16
; WaveLimiterHint : 0
; COMPUTE_PGM_RSRC2:SCRATCH_EN: 0
; COMPUTE_PGM_RSRC2:USER_SGPR: 15
; COMPUTE_PGM_RSRC2:TRAP_HANDLER: 0
; COMPUTE_PGM_RSRC2:TGID_X_EN: 1
; COMPUTE_PGM_RSRC2:TGID_Y_EN: 0
; COMPUTE_PGM_RSRC2:TGID_Z_EN: 0
; COMPUTE_PGM_RSRC2:TIDIG_COMP_CNT: 0
	.section	.text._ZN2at6native29vectorized_elementwise_kernelILi2EZZZNS0_17expm1_kernel_cudaERNS_18TensorIteratorBaseEENKUlvE_clEvENKUlvE_clEvEUldE_St5arrayIPcLm2EEEEviT0_T1_,"axG",@progbits,_ZN2at6native29vectorized_elementwise_kernelILi2EZZZNS0_17expm1_kernel_cudaERNS_18TensorIteratorBaseEENKUlvE_clEvENKUlvE_clEvEUldE_St5arrayIPcLm2EEEEviT0_T1_,comdat
	.globl	_ZN2at6native29vectorized_elementwise_kernelILi2EZZZNS0_17expm1_kernel_cudaERNS_18TensorIteratorBaseEENKUlvE_clEvENKUlvE_clEvEUldE_St5arrayIPcLm2EEEEviT0_T1_ ; -- Begin function _ZN2at6native29vectorized_elementwise_kernelILi2EZZZNS0_17expm1_kernel_cudaERNS_18TensorIteratorBaseEENKUlvE_clEvENKUlvE_clEvEUldE_St5arrayIPcLm2EEEEviT0_T1_
	.p2align	8
	.type	_ZN2at6native29vectorized_elementwise_kernelILi2EZZZNS0_17expm1_kernel_cudaERNS_18TensorIteratorBaseEENKUlvE_clEvENKUlvE_clEvEUldE_St5arrayIPcLm2EEEEviT0_T1_,@function
_ZN2at6native29vectorized_elementwise_kernelILi2EZZZNS0_17expm1_kernel_cudaERNS_18TensorIteratorBaseEENKUlvE_clEvENKUlvE_clEvEUldE_St5arrayIPcLm2EEEEviT0_T1_: ; @_ZN2at6native29vectorized_elementwise_kernelILi2EZZZNS0_17expm1_kernel_cudaERNS_18TensorIteratorBaseEENKUlvE_clEvENKUlvE_clEvEUldE_St5arrayIPcLm2EEEEviT0_T1_
; %bb.0:
	s_clause 0x1
	s_load_b32 s2, s[0:1], 0x0
	s_load_b128 s[16:19], s[0:1], 0x8
	s_lshl_b32 s12, s15, 10
	s_mov_b32 s0, -1
	s_waitcnt lgkmcnt(0)
	s_sub_i32 s11, s2, s12
	s_delay_alu instid0(SALU_CYCLE_1)
	s_cmpk_gt_i32 s11, 0x3ff
	s_cbranch_scc0 .LBB109_2
; %bb.1:
	s_ashr_i32 s13, s12, 31
	v_lshlrev_b32_e32 v35, 4, v0
	s_lshl_b64 s[14:15], s[12:13], 3
	s_mov_b32 s4, 0xfefa39ef
	s_add_u32 s0, s18, s14
	s_addc_u32 s1, s19, s15
	v_add_co_u32 v5, s2, s0, v35
	s_delay_alu instid0(VALU_DEP_1)
	v_add_co_ci_u32_e64 v6, null, s1, 0, s2
	global_load_b128 v[1:4], v35, s[0:1]
	v_add_co_u32 v5, vcc_lo, 0x1000, v5
	v_add_co_ci_u32_e32 v6, vcc_lo, 0, v6, vcc_lo
	s_mov_b32 s5, 0xbfe62e42
	s_mov_b32 s2, 0xa9d67f34
	;; [unrolled: 1-line block ×3, first 2 shown]
	global_load_b128 v[5:8], v[5:6], off
	s_mov_b32 s0, 0x652b82fe
	s_mov_b32 s1, 0x3ff71547
	;; [unrolled: 1-line block ×4, first 2 shown]
	s_waitcnt vmcnt(1)
	v_mul_f64 v[9:10], v[1:2], s[0:1]
	v_mul_f64 v[11:12], v[3:4], s[0:1]
	v_cmp_ngt_f64_e64 s6, 0xc0428000, v[3:4]
	s_waitcnt vmcnt(0)
	v_mul_f64 v[13:14], v[5:6], s[0:1]
	v_mul_f64 v[15:16], v[7:8], s[0:1]
	s_mov_b32 s0, 0x3b39803f
	s_mov_b32 s1, 0xbc7abc9e
	v_cmp_nlt_f64_e64 s7, s[20:21], v[5:6]
	v_cmp_nlt_f64_e64 s9, s[20:21], v[7:8]
	v_cmp_ngt_f64_e64 s8, 0xc0428000, v[5:6]
	v_cmp_ngt_f64_e64 s10, 0xc0428000, v[7:8]
	v_rndne_f64_e32 v[9:10], v[9:10]
	v_rndne_f64_e32 v[11:12], v[11:12]
	;; [unrolled: 1-line block ×4, first 2 shown]
	s_delay_alu instid0(VALU_DEP_4) | instskip(NEXT) | instid1(VALU_DEP_4)
	v_fma_f64 v[17:18], v[9:10], s[4:5], v[1:2]
	v_fma_f64 v[19:20], v[11:12], s[4:5], v[3:4]
	v_cvt_i32_f64_e32 v33, v[9:10]
	v_cvt_i32_f64_e32 v34, v[11:12]
	v_cmp_eq_f64_e32 vcc_lo, 0x40900000, v[9:10]
	v_fma_f64 v[21:22], v[13:14], s[4:5], v[5:6]
	v_fma_f64 v[23:24], v[15:16], s[4:5], v[7:8]
	v_cvt_i32_f64_e32 v36, v[13:14]
	v_cvt_i32_f64_e32 v37, v[15:16]
	v_cmp_ngt_f64_e64 s4, 0xc0428000, v[1:2]
	v_cmp_nlt_f64_e64 s5, s[20:21], v[3:4]
	v_fma_f64 v[17:18], v[9:10], s[0:1], v[17:18]
	v_fma_f64 v[19:20], v[11:12], s[0:1], v[19:20]
	v_cndmask_b32_e64 v9, v33, 0x3ff, vcc_lo
	v_fma_f64 v[21:22], v[13:14], s[0:1], v[21:22]
	v_fma_f64 v[23:24], v[15:16], s[0:1], v[23:24]
	s_mov_b32 s0, 0x2a1b768b
	s_mov_b32 s1, 0x3e5af4eb
	v_ldexp_f64 v[9:10], 1.0, v9
	v_fma_f64 v[25:26], v[17:18], s[2:3], s[0:1]
	v_fma_f64 v[27:28], v[19:20], s[2:3], s[0:1]
	;; [unrolled: 1-line block ×4, first 2 shown]
	s_mov_b32 s0, 0xe0ac05b
	s_mov_b32 s1, 0x3e927e50
	v_cmp_eq_f64_e64 s2, 0x40900000, v[15:16]
	v_cmp_nlt_f64_e64 s3, s[20:21], v[1:2]
	v_fma_f64 v[25:26], v[17:18], v[25:26], s[0:1]
	v_fma_f64 v[27:28], v[19:20], v[27:28], s[0:1]
	;; [unrolled: 1-line block ×4, first 2 shown]
	s_mov_b32 s0, 0x1b889c29
	s_mov_b32 s1, 0x3ec71de0
	s_delay_alu instid0(VALU_DEP_4) | instid1(SALU_CYCLE_1)
	v_fma_f64 v[25:26], v[17:18], v[25:26], s[0:1]
	s_delay_alu instid0(VALU_DEP_4) | instskip(NEXT) | instid1(VALU_DEP_4)
	v_fma_f64 v[27:28], v[19:20], v[27:28], s[0:1]
	v_fma_f64 v[29:30], v[21:22], v[29:30], s[0:1]
	s_delay_alu instid0(VALU_DEP_4)
	v_fma_f64 v[31:32], v[23:24], v[31:32], s[0:1]
	s_mov_b32 s0, 0x197bcfd8
	s_mov_b32 s1, 0x3efa01a0
	s_delay_alu instid0(VALU_DEP_4) | instid1(SALU_CYCLE_1)
	v_fma_f64 v[25:26], v[17:18], v[25:26], s[0:1]
	s_delay_alu instid0(VALU_DEP_4) | instskip(NEXT) | instid1(VALU_DEP_4)
	v_fma_f64 v[27:28], v[19:20], v[27:28], s[0:1]
	v_fma_f64 v[29:30], v[21:22], v[29:30], s[0:1]
	s_delay_alu instid0(VALU_DEP_4)
	v_fma_f64 v[31:32], v[23:24], v[31:32], s[0:1]
	;; [unrolled: 9-line block ×7, first 2 shown]
	v_cmp_eq_f64_e64 s0, 0x40900000, v[11:12]
	v_cmp_eq_f64_e64 s1, 0x40900000, v[13:14]
	v_fma_f64 v[25:26], v[17:18], v[25:26], 0.5
	v_fma_f64 v[27:28], v[19:20], v[27:28], 0.5
	;; [unrolled: 1-line block ×4, first 2 shown]
	v_cndmask_b32_e64 v33, v34, 0x3ff, s0
	v_cndmask_b32_e64 v34, v36, 0x3ff, s1
	s_delay_alu instid0(VALU_DEP_2) | instskip(SKIP_1) | instid1(VALU_DEP_3)
	v_ldexp_f64 v[13:14], 1.0, v33
	v_cndmask_b32_e64 v33, v37, 0x3ff, s2
	v_ldexp_f64 v[15:16], 1.0, v34
	v_mul_f64 v[11:12], v[17:18], v[25:26]
	v_mul_f64 v[25:26], v[19:20], v[27:28]
	v_mul_f64 v[27:28], v[21:22], v[29:30]
	v_ldexp_f64 v[29:30], 1.0, v33
	v_mul_f64 v[31:32], v[23:24], v[31:32]
	v_add_f64 v[33:34], v[9:10], -1.0
	v_fma_f64 v[11:12], v[17:18], v[11:12], v[17:18]
	v_add_f64 v[17:18], v[13:14], -1.0
	v_fma_f64 v[19:20], v[19:20], v[25:26], v[19:20]
	;; [unrolled: 2-line block ×4, first 2 shown]
	v_fma_f64 v[9:10], v[9:10], v[11:12], v[33:34]
	v_fma_f64 v[11:12], v[13:14], v[19:20], v[17:18]
	;; [unrolled: 1-line block ×3, first 2 shown]
	s_delay_alu instid0(VALU_DEP_4) | instskip(NEXT) | instid1(VALU_DEP_4)
	v_fma_f64 v[15:16], v[29:30], v[23:24], v[27:28]
	v_add_f64 v[17:18], v[9:10], v[9:10]
	s_delay_alu instid0(VALU_DEP_4) | instskip(NEXT) | instid1(VALU_DEP_4)
	v_add_f64 v[19:20], v[11:12], v[11:12]
	v_add_f64 v[21:22], v[13:14], v[13:14]
	s_delay_alu instid0(VALU_DEP_4) | instskip(NEXT) | instid1(VALU_DEP_4)
	v_add_f64 v[23:24], v[15:16], v[15:16]
	v_dual_cndmask_b32 v10, v10, v18 :: v_dual_cndmask_b32 v5, v9, v17
	s_delay_alu instid0(VALU_DEP_4) | instskip(SKIP_2) | instid1(VALU_DEP_3)
	v_cndmask_b32_e64 v7, v11, v19, s0
	s_and_b32 vcc_lo, s4, s3
	v_cndmask_b32_e64 v12, v12, v20, s0
	v_cndmask_b32_e64 v10, 0x7ff00000, v10, s3
	;; [unrolled: 1-line block ×6, first 2 shown]
	s_delay_alu instid0(VALU_DEP_4) | instskip(NEXT) | instid1(VALU_DEP_3)
	v_cndmask_b32_e64 v1, 0x7ff00000, v1, s7
	v_cndmask_b32_e64 v3, 0x7ff00000, v2, s9
	;; [unrolled: 1-line block ×4, first 2 shown]
	s_delay_alu instid0(VALU_DEP_4)
	v_cndmask_b32_e64 v6, 0xbff00000, v1, s8
	v_cndmask_b32_e32 v1, 0, v5, vcc_lo
	s_and_b32 vcc_lo, s6, s5
	v_cndmask_b32_e64 v8, 0xbff00000, v3, s10
	v_cndmask_b32_e32 v3, 0, v7, vcc_lo
	s_and_b32 vcc_lo, s8, s7
	;; [unrolled: 3-line block ×3, first 2 shown]
	s_add_u32 s2, s16, s14
	s_addc_u32 s3, s17, s15
	v_add_co_u32 v9, s0, s2, v35
	s_delay_alu instid0(VALU_DEP_1) | instskip(SKIP_1) | instid1(VALU_DEP_3)
	v_add_co_ci_u32_e64 v11, null, s3, 0, s0
	v_cndmask_b32_e32 v7, 0, v10, vcc_lo
	v_add_co_u32 v9, vcc_lo, 0x1000, v9
	s_delay_alu instid0(VALU_DEP_3)
	v_add_co_ci_u32_e32 v10, vcc_lo, 0, v11, vcc_lo
	s_mov_b32 s0, 0
	s_clause 0x1
	global_store_b128 v35, v[1:4], s[2:3]
	global_store_b128 v[9:10], v[5:8], off
.LBB109_2:
	s_and_not1_b32 vcc_lo, exec_lo, s0
	s_cbranch_vccnz .LBB109_20
; %bb.3:
	v_dual_mov_b32 v14, 0 :: v_dual_mov_b32 v1, v0
	v_mov_b32_e32 v15, 0
	v_cmp_gt_i32_e32 vcc_lo, s11, v0
	v_or_b32_e32 v9, s12, v0
	v_or_b32_e32 v18, 0x100, v0
	s_delay_alu instid0(VALU_DEP_4)
	v_dual_mov_b32 v17, v15 :: v_dual_mov_b32 v16, v14
	s_and_saveexec_b32 s1, vcc_lo
	s_cbranch_execz .LBB109_5
; %bb.4:
	v_mov_b32_e32 v10, 0
	s_delay_alu instid0(VALU_DEP_1) | instskip(NEXT) | instid1(VALU_DEP_1)
	v_lshlrev_b64 v[1:2], 3, v[9:10]
	v_add_co_u32 v1, s0, s18, v1
	s_delay_alu instid0(VALU_DEP_1)
	v_add_co_ci_u32_e64 v2, s0, s19, v2, s0
	global_load_b64 v[16:17], v[1:2], off
	v_or_b32_e32 v1, 0x100, v0
.LBB109_5:
	s_or_b32 exec_lo, exec_lo, s1
	s_delay_alu instid0(SALU_CYCLE_1) | instskip(NEXT) | instid1(VALU_DEP_1)
	s_mov_b32 s1, exec_lo
	v_cmpx_gt_i32_e64 s11, v1
	s_cbranch_execz .LBB109_7
; %bb.6:
	v_dual_mov_b32 v3, 0 :: v_dual_add_nc_u32 v2, s12, v1
	v_add_nc_u32_e32 v1, 0x100, v1
	s_delay_alu instid0(VALU_DEP_2) | instskip(NEXT) | instid1(VALU_DEP_1)
	v_lshlrev_b64 v[2:3], 3, v[2:3]
	v_add_co_u32 v2, s0, s18, v2
	s_delay_alu instid0(VALU_DEP_1)
	v_add_co_ci_u32_e64 v3, s0, s19, v3, s0
	global_load_b64 v[14:15], v[2:3], off
.LBB109_7:
	s_or_b32 exec_lo, exec_lo, s1
	v_mov_b32_e32 v10, 0
	v_mov_b32_e32 v11, 0
	s_mov_b32 s1, exec_lo
	s_delay_alu instid0(VALU_DEP_1)
	v_dual_mov_b32 v13, v11 :: v_dual_mov_b32 v12, v10
	v_cmpx_gt_i32_e64 s11, v1
	s_cbranch_execnz .LBB109_21
; %bb.8:
	s_or_b32 exec_lo, exec_lo, s1
	s_delay_alu instid0(SALU_CYCLE_1)
	s_mov_b32 s1, exec_lo
	v_cmpx_gt_i32_e64 s11, v1
	s_cbranch_execnz .LBB109_22
.LBB109_9:
	s_or_b32 exec_lo, exec_lo, s1
                                        ; implicit-def: $vgpr1_vgpr2_vgpr3_vgpr4_vgpr5_vgpr6_vgpr7_vgpr8
	s_and_saveexec_b32 s3, vcc_lo
	s_cbranch_execnz .LBB109_23
.LBB109_10:
	s_or_b32 exec_lo, exec_lo, s3
	s_delay_alu instid0(SALU_CYCLE_1)
	s_mov_b32 s3, exec_lo
	v_cmpx_gt_i32_e64 s11, v18
	s_cbranch_execz .LBB109_12
.LBB109_11:
	s_mov_b32 s0, 0x652b82fe
	s_mov_b32 s1, 0x3ff71547
	;; [unrolled: 1-line block ×3, first 2 shown]
	s_waitcnt vmcnt(0)
	v_mul_f64 v[3:4], v[14:15], s[0:1]
	s_mov_b32 s4, 0xfefa39ef
	s_mov_b32 s0, 0x3b39803f
	;; [unrolled: 1-line block ×5, first 2 shown]
	v_cmp_ngt_f64_e64 s2, 0xc0428000, v[14:15]
	s_delay_alu instid0(VALU_DEP_2) | instskip(NEXT) | instid1(VALU_DEP_1)
	v_rndne_f64_e32 v[3:4], v[3:4]
	v_fma_f64 v[16:17], v[3:4], s[4:5], v[14:15]
	v_cvt_i32_f64_e32 v21, v[3:4]
	s_mov_b32 s5, 0x40862e42
	s_delay_alu instid0(VALU_DEP_2)
	v_fma_f64 v[16:17], v[3:4], s[0:1], v[16:17]
	s_mov_b32 s0, 0x2a1b768b
	s_mov_b32 s1, 0x3e5af4eb
	s_delay_alu instid0(VALU_DEP_1) | instid1(SALU_CYCLE_1)
	v_fma_f64 v[19:20], v[16:17], s[6:7], s[0:1]
	s_mov_b32 s0, 0xe0ac05b
	s_mov_b32 s1, 0x3e927e50
	s_delay_alu instid0(VALU_DEP_1) | instid1(SALU_CYCLE_1)
	;; [unrolled: 4-line block ×9, first 2 shown]
	v_fma_f64 v[19:20], v[16:17], v[19:20], s[0:1]
	v_cmp_eq_f64_e64 s0, 0x40900000, v[3:4]
	v_cmp_nlt_f64_e64 s1, s[4:5], v[14:15]
	s_delay_alu instid0(VALU_DEP_3) | instskip(NEXT) | instid1(VALU_DEP_3)
	v_fma_f64 v[19:20], v[16:17], v[19:20], 0.5
	v_cndmask_b32_e64 v3, v21, 0x3ff, s0
	s_delay_alu instid0(VALU_DEP_1) | instskip(NEXT) | instid1(VALU_DEP_3)
	v_ldexp_f64 v[3:4], 1.0, v3
	v_mul_f64 v[19:20], v[16:17], v[19:20]
	s_delay_alu instid0(VALU_DEP_2) | instskip(NEXT) | instid1(VALU_DEP_2)
	v_add_f64 v[21:22], v[3:4], -1.0
	v_fma_f64 v[16:17], v[16:17], v[19:20], v[16:17]
	s_delay_alu instid0(VALU_DEP_1) | instskip(NEXT) | instid1(VALU_DEP_1)
	v_fma_f64 v[3:4], v[3:4], v[16:17], v[21:22]
	v_add_f64 v[16:17], v[3:4], v[3:4]
	s_delay_alu instid0(VALU_DEP_1) | instskip(NEXT) | instid1(VALU_DEP_2)
	v_cndmask_b32_e64 v4, v4, v17, s0
	v_cndmask_b32_e64 v3, v3, v16, s0
	s_and_b32 s0, s2, s1
	s_delay_alu instid0(VALU_DEP_2) | instskip(NEXT) | instid1(VALU_DEP_2)
	v_cndmask_b32_e64 v4, 0x7ff00000, v4, s1
	v_cndmask_b32_e64 v3, 0, v3, s0
	s_delay_alu instid0(VALU_DEP_2)
	v_cndmask_b32_e64 v4, 0xbff00000, v4, s2
.LBB109_12:
	s_or_b32 exec_lo, exec_lo, s3
	s_waitcnt vmcnt(0)
	v_or_b32_e32 v14, 0x200, v0
	s_mov_b32 s3, exec_lo
	s_delay_alu instid0(VALU_DEP_1)
	v_cmpx_gt_i32_e64 s11, v14
	s_cbranch_execz .LBB109_14
; %bb.13:
	s_mov_b32 s0, 0x652b82fe
	s_mov_b32 s1, 0x3ff71547
	;; [unrolled: 1-line block ×3, first 2 shown]
	v_mul_f64 v[5:6], v[12:13], s[0:1]
	s_mov_b32 s4, 0xfefa39ef
	s_mov_b32 s0, 0x3b39803f
	;; [unrolled: 1-line block ×5, first 2 shown]
	v_cmp_ngt_f64_e64 s2, 0xc0428000, v[12:13]
	s_delay_alu instid0(VALU_DEP_2) | instskip(NEXT) | instid1(VALU_DEP_1)
	v_rndne_f64_e32 v[5:6], v[5:6]
	v_fma_f64 v[14:15], v[5:6], s[4:5], v[12:13]
	v_cvt_i32_f64_e32 v19, v[5:6]
	s_mov_b32 s5, 0x40862e42
	s_delay_alu instid0(VALU_DEP_2)
	v_fma_f64 v[14:15], v[5:6], s[0:1], v[14:15]
	s_mov_b32 s0, 0x2a1b768b
	s_mov_b32 s1, 0x3e5af4eb
	s_delay_alu instid0(VALU_DEP_1) | instid1(SALU_CYCLE_1)
	v_fma_f64 v[16:17], v[14:15], s[6:7], s[0:1]
	s_mov_b32 s0, 0xe0ac05b
	s_mov_b32 s1, 0x3e927e50
	s_delay_alu instid0(VALU_DEP_1) | instid1(SALU_CYCLE_1)
	;; [unrolled: 4-line block ×9, first 2 shown]
	v_fma_f64 v[16:17], v[14:15], v[16:17], s[0:1]
	v_cmp_eq_f64_e64 s0, 0x40900000, v[5:6]
	v_cmp_nlt_f64_e64 s1, s[4:5], v[12:13]
	s_delay_alu instid0(VALU_DEP_3) | instskip(NEXT) | instid1(VALU_DEP_3)
	v_fma_f64 v[16:17], v[14:15], v[16:17], 0.5
	v_cndmask_b32_e64 v5, v19, 0x3ff, s0
	s_delay_alu instid0(VALU_DEP_1) | instskip(NEXT) | instid1(VALU_DEP_3)
	v_ldexp_f64 v[5:6], 1.0, v5
	v_mul_f64 v[16:17], v[14:15], v[16:17]
	s_delay_alu instid0(VALU_DEP_2) | instskip(NEXT) | instid1(VALU_DEP_2)
	v_add_f64 v[19:20], v[5:6], -1.0
	v_fma_f64 v[14:15], v[14:15], v[16:17], v[14:15]
	s_delay_alu instid0(VALU_DEP_1) | instskip(NEXT) | instid1(VALU_DEP_1)
	v_fma_f64 v[5:6], v[5:6], v[14:15], v[19:20]
	v_add_f64 v[14:15], v[5:6], v[5:6]
	s_delay_alu instid0(VALU_DEP_1) | instskip(NEXT) | instid1(VALU_DEP_2)
	v_cndmask_b32_e64 v6, v6, v15, s0
	v_cndmask_b32_e64 v5, v5, v14, s0
	s_and_b32 s0, s2, s1
	s_delay_alu instid0(VALU_DEP_2) | instskip(NEXT) | instid1(VALU_DEP_2)
	v_cndmask_b32_e64 v6, 0x7ff00000, v6, s1
	v_cndmask_b32_e64 v5, 0, v5, s0
	s_delay_alu instid0(VALU_DEP_2)
	v_cndmask_b32_e64 v6, 0xbff00000, v6, s2
.LBB109_14:
	s_or_b32 exec_lo, exec_lo, s3
	v_or_b32_e32 v12, 0x300, v0
	s_mov_b32 s3, exec_lo
	s_delay_alu instid0(VALU_DEP_1)
	v_cmpx_gt_i32_e64 s11, v12
	s_cbranch_execnz .LBB109_24
; %bb.15:
	s_or_b32 exec_lo, exec_lo, s3
	s_and_saveexec_b32 s0, vcc_lo
	s_delay_alu instid0(SALU_CYCLE_1)
	s_xor_b32 s0, exec_lo, s0
	s_cbranch_execnz .LBB109_25
.LBB109_16:
	s_or_b32 exec_lo, exec_lo, s0
	s_delay_alu instid0(SALU_CYCLE_1)
	s_mov_b32 s0, exec_lo
	v_cmpx_gt_i32_e64 s11, v0
	s_cbranch_execnz .LBB109_26
.LBB109_17:
	s_or_b32 exec_lo, exec_lo, s0
	s_delay_alu instid0(SALU_CYCLE_1)
	s_mov_b32 s0, exec_lo
	v_cmpx_gt_i32_e64 s11, v0
	s_cbranch_execnz .LBB109_27
.LBB109_18:
	s_or_b32 exec_lo, exec_lo, s0
	s_delay_alu instid0(SALU_CYCLE_1)
	s_mov_b32 s0, exec_lo
	v_cmpx_gt_i32_e64 s11, v0
	s_cbranch_execz .LBB109_20
.LBB109_19:
	v_dual_mov_b32 v1, 0 :: v_dual_add_nc_u32 v0, s12, v0
	s_delay_alu instid0(VALU_DEP_1) | instskip(NEXT) | instid1(VALU_DEP_1)
	v_lshlrev_b64 v[0:1], 3, v[0:1]
	v_add_co_u32 v0, vcc_lo, s16, v0
	s_delay_alu instid0(VALU_DEP_2)
	v_add_co_ci_u32_e32 v1, vcc_lo, s17, v1, vcc_lo
	global_store_b64 v[0:1], v[7:8], off
.LBB109_20:
	s_nop 0
	s_sendmsg sendmsg(MSG_DEALLOC_VGPRS)
	s_endpgm
.LBB109_21:
	v_dual_mov_b32 v3, 0 :: v_dual_add_nc_u32 v2, s12, v1
	v_add_nc_u32_e32 v1, 0x100, v1
	s_delay_alu instid0(VALU_DEP_2) | instskip(NEXT) | instid1(VALU_DEP_1)
	v_lshlrev_b64 v[2:3], 3, v[2:3]
	v_add_co_u32 v2, s0, s18, v2
	s_delay_alu instid0(VALU_DEP_1) | instskip(SKIP_2) | instid1(SALU_CYCLE_1)
	v_add_co_ci_u32_e64 v3, s0, s19, v3, s0
	global_load_b64 v[12:13], v[2:3], off
	s_or_b32 exec_lo, exec_lo, s1
	s_mov_b32 s1, exec_lo
	v_cmpx_gt_i32_e64 s11, v1
	s_cbranch_execz .LBB109_9
.LBB109_22:
	v_dual_mov_b32 v2, 0 :: v_dual_add_nc_u32 v1, s12, v1
	s_delay_alu instid0(VALU_DEP_1) | instskip(NEXT) | instid1(VALU_DEP_1)
	v_lshlrev_b64 v[1:2], 3, v[1:2]
	v_add_co_u32 v1, s0, s18, v1
	s_delay_alu instid0(VALU_DEP_1)
	v_add_co_ci_u32_e64 v2, s0, s19, v2, s0
	global_load_b64 v[10:11], v[1:2], off
	s_or_b32 exec_lo, exec_lo, s1
                                        ; implicit-def: $vgpr1_vgpr2_vgpr3_vgpr4_vgpr5_vgpr6_vgpr7_vgpr8
	s_and_saveexec_b32 s3, vcc_lo
	s_cbranch_execz .LBB109_10
.LBB109_23:
	s_mov_b32 s0, 0x652b82fe
	s_mov_b32 s1, 0x3ff71547
	;; [unrolled: 1-line block ×3, first 2 shown]
	s_waitcnt vmcnt(0)
	v_mul_f64 v[1:2], v[16:17], s[0:1]
	s_mov_b32 s4, 0xfefa39ef
	s_mov_b32 s0, 0x3b39803f
	;; [unrolled: 1-line block ×5, first 2 shown]
	v_cmp_ngt_f64_e64 s2, 0xc0428000, v[16:17]
	s_delay_alu instid0(VALU_DEP_2) | instskip(NEXT) | instid1(VALU_DEP_1)
	v_rndne_f64_e32 v[1:2], v[1:2]
	v_fma_f64 v[3:4], v[1:2], s[4:5], v[16:17]
	v_cvt_i32_f64_e32 v7, v[1:2]
	s_mov_b32 s5, 0x40862e42
	s_delay_alu instid0(VALU_DEP_2)
	v_fma_f64 v[3:4], v[1:2], s[0:1], v[3:4]
	s_mov_b32 s0, 0x2a1b768b
	s_mov_b32 s1, 0x3e5af4eb
	s_delay_alu instid0(VALU_DEP_1) | instid1(SALU_CYCLE_1)
	v_fma_f64 v[5:6], v[3:4], s[6:7], s[0:1]
	s_mov_b32 s0, 0xe0ac05b
	s_mov_b32 s1, 0x3e927e50
	s_delay_alu instid0(VALU_DEP_1) | instid1(SALU_CYCLE_1)
	v_fma_f64 v[5:6], v[3:4], v[5:6], s[0:1]
	s_mov_b32 s0, 0x1b889c29
	s_mov_b32 s1, 0x3ec71de0
	s_delay_alu instid0(VALU_DEP_1) | instid1(SALU_CYCLE_1)
	v_fma_f64 v[5:6], v[3:4], v[5:6], s[0:1]
	s_mov_b32 s0, 0x197bcfd8
	s_mov_b32 s1, 0x3efa01a0
	s_delay_alu instid0(VALU_DEP_1) | instid1(SALU_CYCLE_1)
	v_fma_f64 v[5:6], v[3:4], v[5:6], s[0:1]
	s_mov_b32 s0, 0x1ac1a723
	s_mov_b32 s1, 0x3f2a01a0
	s_delay_alu instid0(VALU_DEP_1) | instid1(SALU_CYCLE_1)
	v_fma_f64 v[5:6], v[3:4], v[5:6], s[0:1]
	s_mov_b32 s0, 0x16c18931
	s_mov_b32 s1, 0x3f56c16c
	s_delay_alu instid0(VALU_DEP_1) | instid1(SALU_CYCLE_1)
	v_fma_f64 v[5:6], v[3:4], v[5:6], s[0:1]
	s_mov_b32 s0, 0x11110056
	s_mov_b32 s1, 0x3f811111
	s_delay_alu instid0(VALU_DEP_1) | instid1(SALU_CYCLE_1)
	v_fma_f64 v[5:6], v[3:4], v[5:6], s[0:1]
	s_mov_b32 s0, 0x55555552
	s_mov_b32 s1, 0x3fa55555
	s_delay_alu instid0(VALU_DEP_1) | instid1(SALU_CYCLE_1)
	v_fma_f64 v[5:6], v[3:4], v[5:6], s[0:1]
	s_mov_b32 s0, 0x55555557
	s_mov_b32 s1, 0x3fc55555
	s_delay_alu instid0(VALU_DEP_1) | instid1(SALU_CYCLE_1)
	v_fma_f64 v[5:6], v[3:4], v[5:6], s[0:1]
	v_cmp_eq_f64_e64 s0, 0x40900000, v[1:2]
	v_cmp_nlt_f64_e64 s1, s[4:5], v[16:17]
	s_delay_alu instid0(VALU_DEP_3) | instskip(NEXT) | instid1(VALU_DEP_3)
	v_fma_f64 v[5:6], v[3:4], v[5:6], 0.5
	v_cndmask_b32_e64 v1, v7, 0x3ff, s0
	s_delay_alu instid0(VALU_DEP_1) | instskip(NEXT) | instid1(VALU_DEP_3)
	v_ldexp_f64 v[1:2], 1.0, v1
	v_mul_f64 v[5:6], v[3:4], v[5:6]
	s_delay_alu instid0(VALU_DEP_2) | instskip(NEXT) | instid1(VALU_DEP_2)
	v_add_f64 v[7:8], v[1:2], -1.0
	v_fma_f64 v[3:4], v[3:4], v[5:6], v[3:4]
	s_delay_alu instid0(VALU_DEP_1) | instskip(NEXT) | instid1(VALU_DEP_1)
	v_fma_f64 v[1:2], v[1:2], v[3:4], v[7:8]
	v_add_f64 v[3:4], v[1:2], v[1:2]
	s_delay_alu instid0(VALU_DEP_1) | instskip(NEXT) | instid1(VALU_DEP_2)
	v_cndmask_b32_e64 v2, v2, v4, s0
	v_cndmask_b32_e64 v1, v1, v3, s0
	s_and_b32 s0, s2, s1
	s_delay_alu instid0(VALU_DEP_2) | instskip(NEXT) | instid1(VALU_DEP_2)
	v_cndmask_b32_e64 v2, 0x7ff00000, v2, s1
	v_cndmask_b32_e64 v1, 0, v1, s0
	s_delay_alu instid0(VALU_DEP_2) | instskip(SKIP_1) | instid1(SALU_CYCLE_1)
	v_cndmask_b32_e64 v2, 0xbff00000, v2, s2
	s_or_b32 exec_lo, exec_lo, s3
	s_mov_b32 s3, exec_lo
	v_cmpx_gt_i32_e64 s11, v18
	s_cbranch_execnz .LBB109_11
	s_branch .LBB109_12
.LBB109_24:
	s_mov_b32 s0, 0x652b82fe
	s_mov_b32 s1, 0x3ff71547
	;; [unrolled: 1-line block ×3, first 2 shown]
	v_mul_f64 v[7:8], v[10:11], s[0:1]
	s_mov_b32 s4, 0xfefa39ef
	s_mov_b32 s0, 0x3b39803f
	;; [unrolled: 1-line block ×5, first 2 shown]
	v_cmp_ngt_f64_e64 s2, 0xc0428000, v[10:11]
	s_delay_alu instid0(VALU_DEP_2) | instskip(NEXT) | instid1(VALU_DEP_1)
	v_rndne_f64_e32 v[7:8], v[7:8]
	v_fma_f64 v[12:13], v[7:8], s[4:5], v[10:11]
	v_cvt_i32_f64_e32 v16, v[7:8]
	s_mov_b32 s5, 0x40862e42
	s_delay_alu instid0(VALU_DEP_2)
	v_fma_f64 v[12:13], v[7:8], s[0:1], v[12:13]
	s_mov_b32 s0, 0x2a1b768b
	s_mov_b32 s1, 0x3e5af4eb
	s_delay_alu instid0(VALU_DEP_1) | instid1(SALU_CYCLE_1)
	v_fma_f64 v[14:15], v[12:13], s[6:7], s[0:1]
	s_mov_b32 s0, 0xe0ac05b
	s_mov_b32 s1, 0x3e927e50
	s_delay_alu instid0(VALU_DEP_1) | instid1(SALU_CYCLE_1)
	;; [unrolled: 4-line block ×9, first 2 shown]
	v_fma_f64 v[14:15], v[12:13], v[14:15], s[0:1]
	v_cmp_eq_f64_e64 s0, 0x40900000, v[7:8]
	v_cmp_nlt_f64_e64 s1, s[4:5], v[10:11]
	s_delay_alu instid0(VALU_DEP_3) | instskip(NEXT) | instid1(VALU_DEP_3)
	v_fma_f64 v[14:15], v[12:13], v[14:15], 0.5
	v_cndmask_b32_e64 v7, v16, 0x3ff, s0
	s_delay_alu instid0(VALU_DEP_1) | instskip(NEXT) | instid1(VALU_DEP_3)
	v_ldexp_f64 v[7:8], 1.0, v7
	v_mul_f64 v[14:15], v[12:13], v[14:15]
	s_delay_alu instid0(VALU_DEP_2) | instskip(NEXT) | instid1(VALU_DEP_2)
	v_add_f64 v[16:17], v[7:8], -1.0
	v_fma_f64 v[12:13], v[12:13], v[14:15], v[12:13]
	s_delay_alu instid0(VALU_DEP_1) | instskip(NEXT) | instid1(VALU_DEP_1)
	v_fma_f64 v[7:8], v[7:8], v[12:13], v[16:17]
	v_add_f64 v[12:13], v[7:8], v[7:8]
	s_delay_alu instid0(VALU_DEP_1) | instskip(NEXT) | instid1(VALU_DEP_2)
	v_cndmask_b32_e64 v8, v8, v13, s0
	v_cndmask_b32_e64 v7, v7, v12, s0
	s_and_b32 s0, s2, s1
	s_delay_alu instid0(VALU_DEP_2) | instskip(NEXT) | instid1(VALU_DEP_2)
	v_cndmask_b32_e64 v8, 0x7ff00000, v8, s1
	v_cndmask_b32_e64 v7, 0, v7, s0
	s_delay_alu instid0(VALU_DEP_2) | instskip(SKIP_2) | instid1(SALU_CYCLE_1)
	v_cndmask_b32_e64 v8, 0xbff00000, v8, s2
	s_or_b32 exec_lo, exec_lo, s3
	s_and_saveexec_b32 s0, vcc_lo
	s_xor_b32 s0, exec_lo, s0
	s_cbranch_execz .LBB109_16
.LBB109_25:
	v_mov_b32_e32 v10, 0
	v_mov_b32_e32 v0, v18
	s_delay_alu instid0(VALU_DEP_2) | instskip(NEXT) | instid1(VALU_DEP_1)
	v_lshlrev_b64 v[9:10], 3, v[9:10]
	v_add_co_u32 v9, vcc_lo, s16, v9
	s_delay_alu instid0(VALU_DEP_2) | instskip(SKIP_2) | instid1(SALU_CYCLE_1)
	v_add_co_ci_u32_e32 v10, vcc_lo, s17, v10, vcc_lo
	global_store_b64 v[9:10], v[1:2], off
	s_or_b32 exec_lo, exec_lo, s0
	s_mov_b32 s0, exec_lo
	v_cmpx_gt_i32_e64 s11, v0
	s_cbranch_execz .LBB109_17
.LBB109_26:
	v_dual_mov_b32 v2, 0 :: v_dual_add_nc_u32 v1, s12, v0
	v_add_nc_u32_e32 v0, 0x100, v0
	s_delay_alu instid0(VALU_DEP_2) | instskip(NEXT) | instid1(VALU_DEP_1)
	v_lshlrev_b64 v[1:2], 3, v[1:2]
	v_add_co_u32 v1, vcc_lo, s16, v1
	s_delay_alu instid0(VALU_DEP_2) | instskip(SKIP_2) | instid1(SALU_CYCLE_1)
	v_add_co_ci_u32_e32 v2, vcc_lo, s17, v2, vcc_lo
	global_store_b64 v[1:2], v[3:4], off
	s_or_b32 exec_lo, exec_lo, s0
	s_mov_b32 s0, exec_lo
	v_cmpx_gt_i32_e64 s11, v0
	s_cbranch_execz .LBB109_18
.LBB109_27:
	v_dual_mov_b32 v2, 0 :: v_dual_add_nc_u32 v1, s12, v0
	v_add_nc_u32_e32 v0, 0x100, v0
	s_delay_alu instid0(VALU_DEP_2) | instskip(NEXT) | instid1(VALU_DEP_1)
	v_lshlrev_b64 v[1:2], 3, v[1:2]
	v_add_co_u32 v1, vcc_lo, s16, v1
	s_delay_alu instid0(VALU_DEP_2) | instskip(SKIP_2) | instid1(SALU_CYCLE_1)
	v_add_co_ci_u32_e32 v2, vcc_lo, s17, v2, vcc_lo
	global_store_b64 v[1:2], v[5:6], off
	s_or_b32 exec_lo, exec_lo, s0
	s_mov_b32 s0, exec_lo
	v_cmpx_gt_i32_e64 s11, v0
	s_cbranch_execnz .LBB109_19
	s_branch .LBB109_20
	.section	.rodata,"a",@progbits
	.p2align	6, 0x0
	.amdhsa_kernel _ZN2at6native29vectorized_elementwise_kernelILi2EZZZNS0_17expm1_kernel_cudaERNS_18TensorIteratorBaseEENKUlvE_clEvENKUlvE_clEvEUldE_St5arrayIPcLm2EEEEviT0_T1_
		.amdhsa_group_segment_fixed_size 0
		.amdhsa_private_segment_fixed_size 0
		.amdhsa_kernarg_size 24
		.amdhsa_user_sgpr_count 15
		.amdhsa_user_sgpr_dispatch_ptr 0
		.amdhsa_user_sgpr_queue_ptr 0
		.amdhsa_user_sgpr_kernarg_segment_ptr 1
		.amdhsa_user_sgpr_dispatch_id 0
		.amdhsa_user_sgpr_private_segment_size 0
		.amdhsa_wavefront_size32 1
		.amdhsa_uses_dynamic_stack 0
		.amdhsa_enable_private_segment 0
		.amdhsa_system_sgpr_workgroup_id_x 1
		.amdhsa_system_sgpr_workgroup_id_y 0
		.amdhsa_system_sgpr_workgroup_id_z 0
		.amdhsa_system_sgpr_workgroup_info 0
		.amdhsa_system_vgpr_workitem_id 0
		.amdhsa_next_free_vgpr 38
		.amdhsa_next_free_sgpr 22
		.amdhsa_reserve_vcc 1
		.amdhsa_float_round_mode_32 0
		.amdhsa_float_round_mode_16_64 0
		.amdhsa_float_denorm_mode_32 3
		.amdhsa_float_denorm_mode_16_64 3
		.amdhsa_dx10_clamp 1
		.amdhsa_ieee_mode 1
		.amdhsa_fp16_overflow 0
		.amdhsa_workgroup_processor_mode 1
		.amdhsa_memory_ordered 1
		.amdhsa_forward_progress 0
		.amdhsa_shared_vgpr_count 0
		.amdhsa_exception_fp_ieee_invalid_op 0
		.amdhsa_exception_fp_denorm_src 0
		.amdhsa_exception_fp_ieee_div_zero 0
		.amdhsa_exception_fp_ieee_overflow 0
		.amdhsa_exception_fp_ieee_underflow 0
		.amdhsa_exception_fp_ieee_inexact 0
		.amdhsa_exception_int_div_zero 0
	.end_amdhsa_kernel
	.section	.text._ZN2at6native29vectorized_elementwise_kernelILi2EZZZNS0_17expm1_kernel_cudaERNS_18TensorIteratorBaseEENKUlvE_clEvENKUlvE_clEvEUldE_St5arrayIPcLm2EEEEviT0_T1_,"axG",@progbits,_ZN2at6native29vectorized_elementwise_kernelILi2EZZZNS0_17expm1_kernel_cudaERNS_18TensorIteratorBaseEENKUlvE_clEvENKUlvE_clEvEUldE_St5arrayIPcLm2EEEEviT0_T1_,comdat
.Lfunc_end109:
	.size	_ZN2at6native29vectorized_elementwise_kernelILi2EZZZNS0_17expm1_kernel_cudaERNS_18TensorIteratorBaseEENKUlvE_clEvENKUlvE_clEvEUldE_St5arrayIPcLm2EEEEviT0_T1_, .Lfunc_end109-_ZN2at6native29vectorized_elementwise_kernelILi2EZZZNS0_17expm1_kernel_cudaERNS_18TensorIteratorBaseEENKUlvE_clEvENKUlvE_clEvEUldE_St5arrayIPcLm2EEEEviT0_T1_
                                        ; -- End function
	.section	.AMDGPU.csdata,"",@progbits
; Kernel info:
; codeLenInByte = 4608
; NumSgprs: 24
; NumVgprs: 38
; ScratchSize: 0
; MemoryBound: 0
; FloatMode: 240
; IeeeMode: 1
; LDSByteSize: 0 bytes/workgroup (compile time only)
; SGPRBlocks: 2
; VGPRBlocks: 4
; NumSGPRsForWavesPerEU: 24
; NumVGPRsForWavesPerEU: 38
; Occupancy: 16
; WaveLimiterHint : 1
; COMPUTE_PGM_RSRC2:SCRATCH_EN: 0
; COMPUTE_PGM_RSRC2:USER_SGPR: 15
; COMPUTE_PGM_RSRC2:TRAP_HANDLER: 0
; COMPUTE_PGM_RSRC2:TGID_X_EN: 1
; COMPUTE_PGM_RSRC2:TGID_Y_EN: 0
; COMPUTE_PGM_RSRC2:TGID_Z_EN: 0
; COMPUTE_PGM_RSRC2:TIDIG_COMP_CNT: 0
	.section	.text._ZN2at6native27unrolled_elementwise_kernelIZZZNS0_17expm1_kernel_cudaERNS_18TensorIteratorBaseEENKUlvE_clEvENKUlvE_clEvEUldE_St5arrayIPcLm2EELi4E23TrivialOffsetCalculatorILi1EjESB_NS0_6memory15LoadWithoutCastENSC_16StoreWithoutCastEEEviT_T0_T2_T3_T4_T5_,"axG",@progbits,_ZN2at6native27unrolled_elementwise_kernelIZZZNS0_17expm1_kernel_cudaERNS_18TensorIteratorBaseEENKUlvE_clEvENKUlvE_clEvEUldE_St5arrayIPcLm2EELi4E23TrivialOffsetCalculatorILi1EjESB_NS0_6memory15LoadWithoutCastENSC_16StoreWithoutCastEEEviT_T0_T2_T3_T4_T5_,comdat
	.globl	_ZN2at6native27unrolled_elementwise_kernelIZZZNS0_17expm1_kernel_cudaERNS_18TensorIteratorBaseEENKUlvE_clEvENKUlvE_clEvEUldE_St5arrayIPcLm2EELi4E23TrivialOffsetCalculatorILi1EjESB_NS0_6memory15LoadWithoutCastENSC_16StoreWithoutCastEEEviT_T0_T2_T3_T4_T5_ ; -- Begin function _ZN2at6native27unrolled_elementwise_kernelIZZZNS0_17expm1_kernel_cudaERNS_18TensorIteratorBaseEENKUlvE_clEvENKUlvE_clEvEUldE_St5arrayIPcLm2EELi4E23TrivialOffsetCalculatorILi1EjESB_NS0_6memory15LoadWithoutCastENSC_16StoreWithoutCastEEEviT_T0_T2_T3_T4_T5_
	.p2align	8
	.type	_ZN2at6native27unrolled_elementwise_kernelIZZZNS0_17expm1_kernel_cudaERNS_18TensorIteratorBaseEENKUlvE_clEvENKUlvE_clEvEUldE_St5arrayIPcLm2EELi4E23TrivialOffsetCalculatorILi1EjESB_NS0_6memory15LoadWithoutCastENSC_16StoreWithoutCastEEEviT_T0_T2_T3_T4_T5_,@function
_ZN2at6native27unrolled_elementwise_kernelIZZZNS0_17expm1_kernel_cudaERNS_18TensorIteratorBaseEENKUlvE_clEvENKUlvE_clEvEUldE_St5arrayIPcLm2EELi4E23TrivialOffsetCalculatorILi1EjESB_NS0_6memory15LoadWithoutCastENSC_16StoreWithoutCastEEEviT_T0_T2_T3_T4_T5_: ; @_ZN2at6native27unrolled_elementwise_kernelIZZZNS0_17expm1_kernel_cudaERNS_18TensorIteratorBaseEENKUlvE_clEvENKUlvE_clEvEUldE_St5arrayIPcLm2EELi4E23TrivialOffsetCalculatorILi1EjESB_NS0_6memory15LoadWithoutCastENSC_16StoreWithoutCastEEEviT_T0_T2_T3_T4_T5_
; %bb.0:
	s_clause 0x1
	s_load_b32 s2, s[0:1], 0x0
	s_load_b128 s[4:7], s[0:1], 0x8
	v_dual_mov_b32 v14, 0 :: v_dual_mov_b32 v1, v0
	v_mov_b32_e32 v15, 0
	s_lshl_b32 s3, s15, 10
	v_or_b32_e32 v18, 0x100, v0
	v_or_b32_e32 v9, s3, v0
	s_delay_alu instid0(VALU_DEP_3) | instskip(SKIP_2) | instid1(SALU_CYCLE_1)
	v_dual_mov_b32 v17, v15 :: v_dual_mov_b32 v16, v14
	s_waitcnt lgkmcnt(0)
	s_sub_i32 s8, s2, s3
	v_cmp_gt_i32_e32 vcc_lo, s8, v0
	s_and_saveexec_b32 s1, vcc_lo
	s_cbranch_execz .LBB110_2
; %bb.1:
	v_mov_b32_e32 v10, 0
	s_delay_alu instid0(VALU_DEP_1) | instskip(NEXT) | instid1(VALU_DEP_1)
	v_lshlrev_b64 v[1:2], 3, v[9:10]
	v_add_co_u32 v1, s0, s6, v1
	s_delay_alu instid0(VALU_DEP_1)
	v_add_co_ci_u32_e64 v2, s0, s7, v2, s0
	global_load_b64 v[16:17], v[1:2], off
	v_or_b32_e32 v1, 0x100, v0
.LBB110_2:
	s_or_b32 exec_lo, exec_lo, s1
	s_delay_alu instid0(SALU_CYCLE_1) | instskip(NEXT) | instid1(VALU_DEP_1)
	s_mov_b32 s1, exec_lo
	v_cmpx_gt_i32_e64 s8, v1
	s_cbranch_execz .LBB110_4
; %bb.3:
	v_dual_mov_b32 v3, 0 :: v_dual_add_nc_u32 v2, s3, v1
	v_add_nc_u32_e32 v1, 0x100, v1
	s_delay_alu instid0(VALU_DEP_2) | instskip(NEXT) | instid1(VALU_DEP_1)
	v_lshlrev_b64 v[2:3], 3, v[2:3]
	v_add_co_u32 v2, s0, s6, v2
	s_delay_alu instid0(VALU_DEP_1)
	v_add_co_ci_u32_e64 v3, s0, s7, v3, s0
	global_load_b64 v[14:15], v[2:3], off
.LBB110_4:
	s_or_b32 exec_lo, exec_lo, s1
	v_mov_b32_e32 v10, 0
	v_mov_b32_e32 v11, 0
	s_mov_b32 s1, exec_lo
	s_delay_alu instid0(VALU_DEP_1)
	v_dual_mov_b32 v13, v11 :: v_dual_mov_b32 v12, v10
	v_cmpx_gt_i32_e64 s8, v1
	s_cbranch_execnz .LBB110_17
; %bb.5:
	s_or_b32 exec_lo, exec_lo, s1
	s_delay_alu instid0(SALU_CYCLE_1)
	s_mov_b32 s1, exec_lo
	v_cmpx_gt_i32_e64 s8, v1
	s_cbranch_execnz .LBB110_18
.LBB110_6:
	s_or_b32 exec_lo, exec_lo, s1
                                        ; implicit-def: $vgpr1_vgpr2_vgpr3_vgpr4_vgpr5_vgpr6_vgpr7_vgpr8
	s_and_saveexec_b32 s6, vcc_lo
	s_cbranch_execnz .LBB110_19
.LBB110_7:
	s_or_b32 exec_lo, exec_lo, s6
	s_delay_alu instid0(SALU_CYCLE_1)
	s_mov_b32 s6, exec_lo
	v_cmpx_gt_i32_e64 s8, v18
	s_cbranch_execz .LBB110_9
.LBB110_8:
	s_mov_b32 s0, 0x652b82fe
	s_mov_b32 s1, 0x3ff71547
	;; [unrolled: 1-line block ×3, first 2 shown]
	s_waitcnt vmcnt(0)
	v_mul_f64 v[3:4], v[14:15], s[0:1]
	s_mov_b32 s10, 0xfefa39ef
	s_mov_b32 s0, 0x3b39803f
	;; [unrolled: 1-line block ×5, first 2 shown]
	v_cmp_ngt_f64_e64 s2, 0xc0428000, v[14:15]
	s_delay_alu instid0(VALU_DEP_2) | instskip(NEXT) | instid1(VALU_DEP_1)
	v_rndne_f64_e32 v[3:4], v[3:4]
	v_fma_f64 v[16:17], v[3:4], s[10:11], v[14:15]
	v_cvt_i32_f64_e32 v21, v[3:4]
	s_mov_b32 s11, 0x40862e42
	s_delay_alu instid0(VALU_DEP_2)
	v_fma_f64 v[16:17], v[3:4], s[0:1], v[16:17]
	s_mov_b32 s0, 0x2a1b768b
	s_mov_b32 s1, 0x3e5af4eb
	s_delay_alu instid0(VALU_DEP_1) | instid1(SALU_CYCLE_1)
	v_fma_f64 v[19:20], v[16:17], s[12:13], s[0:1]
	s_mov_b32 s0, 0xe0ac05b
	s_mov_b32 s1, 0x3e927e50
	s_delay_alu instid0(VALU_DEP_1) | instid1(SALU_CYCLE_1)
	;; [unrolled: 4-line block ×9, first 2 shown]
	v_fma_f64 v[19:20], v[16:17], v[19:20], s[0:1]
	v_cmp_eq_f64_e64 s0, 0x40900000, v[3:4]
	v_cmp_nlt_f64_e64 s1, s[10:11], v[14:15]
	s_delay_alu instid0(VALU_DEP_3) | instskip(NEXT) | instid1(VALU_DEP_3)
	v_fma_f64 v[19:20], v[16:17], v[19:20], 0.5
	v_cndmask_b32_e64 v3, v21, 0x3ff, s0
	s_delay_alu instid0(VALU_DEP_1) | instskip(NEXT) | instid1(VALU_DEP_3)
	v_ldexp_f64 v[3:4], 1.0, v3
	v_mul_f64 v[19:20], v[16:17], v[19:20]
	s_delay_alu instid0(VALU_DEP_2) | instskip(NEXT) | instid1(VALU_DEP_2)
	v_add_f64 v[21:22], v[3:4], -1.0
	v_fma_f64 v[16:17], v[16:17], v[19:20], v[16:17]
	s_delay_alu instid0(VALU_DEP_1) | instskip(NEXT) | instid1(VALU_DEP_1)
	v_fma_f64 v[3:4], v[3:4], v[16:17], v[21:22]
	v_add_f64 v[16:17], v[3:4], v[3:4]
	s_delay_alu instid0(VALU_DEP_1) | instskip(NEXT) | instid1(VALU_DEP_2)
	v_cndmask_b32_e64 v4, v4, v17, s0
	v_cndmask_b32_e64 v3, v3, v16, s0
	s_and_b32 s0, s2, s1
	s_delay_alu instid0(VALU_DEP_2) | instskip(NEXT) | instid1(VALU_DEP_2)
	v_cndmask_b32_e64 v4, 0x7ff00000, v4, s1
	v_cndmask_b32_e64 v3, 0, v3, s0
	s_delay_alu instid0(VALU_DEP_2)
	v_cndmask_b32_e64 v4, 0xbff00000, v4, s2
.LBB110_9:
	s_or_b32 exec_lo, exec_lo, s6
	s_waitcnt vmcnt(0)
	v_or_b32_e32 v14, 0x200, v0
	s_mov_b32 s6, exec_lo
	s_delay_alu instid0(VALU_DEP_1)
	v_cmpx_gt_i32_e64 s8, v14
	s_cbranch_execz .LBB110_11
; %bb.10:
	s_mov_b32 s0, 0x652b82fe
	s_mov_b32 s1, 0x3ff71547
	;; [unrolled: 1-line block ×3, first 2 shown]
	v_mul_f64 v[5:6], v[12:13], s[0:1]
	s_mov_b32 s10, 0xfefa39ef
	s_mov_b32 s0, 0x3b39803f
	;; [unrolled: 1-line block ×5, first 2 shown]
	v_cmp_ngt_f64_e64 s2, 0xc0428000, v[12:13]
	s_delay_alu instid0(VALU_DEP_2) | instskip(NEXT) | instid1(VALU_DEP_1)
	v_rndne_f64_e32 v[5:6], v[5:6]
	v_fma_f64 v[14:15], v[5:6], s[10:11], v[12:13]
	v_cvt_i32_f64_e32 v19, v[5:6]
	s_mov_b32 s11, 0x40862e42
	s_delay_alu instid0(VALU_DEP_2)
	v_fma_f64 v[14:15], v[5:6], s[0:1], v[14:15]
	s_mov_b32 s0, 0x2a1b768b
	s_mov_b32 s1, 0x3e5af4eb
	s_delay_alu instid0(VALU_DEP_1) | instid1(SALU_CYCLE_1)
	v_fma_f64 v[16:17], v[14:15], s[12:13], s[0:1]
	s_mov_b32 s0, 0xe0ac05b
	s_mov_b32 s1, 0x3e927e50
	s_delay_alu instid0(VALU_DEP_1) | instid1(SALU_CYCLE_1)
	;; [unrolled: 4-line block ×9, first 2 shown]
	v_fma_f64 v[16:17], v[14:15], v[16:17], s[0:1]
	v_cmp_eq_f64_e64 s0, 0x40900000, v[5:6]
	v_cmp_nlt_f64_e64 s1, s[10:11], v[12:13]
	s_delay_alu instid0(VALU_DEP_3) | instskip(NEXT) | instid1(VALU_DEP_3)
	v_fma_f64 v[16:17], v[14:15], v[16:17], 0.5
	v_cndmask_b32_e64 v5, v19, 0x3ff, s0
	s_delay_alu instid0(VALU_DEP_1) | instskip(NEXT) | instid1(VALU_DEP_3)
	v_ldexp_f64 v[5:6], 1.0, v5
	v_mul_f64 v[16:17], v[14:15], v[16:17]
	s_delay_alu instid0(VALU_DEP_2) | instskip(NEXT) | instid1(VALU_DEP_2)
	v_add_f64 v[19:20], v[5:6], -1.0
	v_fma_f64 v[14:15], v[14:15], v[16:17], v[14:15]
	s_delay_alu instid0(VALU_DEP_1) | instskip(NEXT) | instid1(VALU_DEP_1)
	v_fma_f64 v[5:6], v[5:6], v[14:15], v[19:20]
	v_add_f64 v[14:15], v[5:6], v[5:6]
	s_delay_alu instid0(VALU_DEP_1) | instskip(NEXT) | instid1(VALU_DEP_2)
	v_cndmask_b32_e64 v6, v6, v15, s0
	v_cndmask_b32_e64 v5, v5, v14, s0
	s_and_b32 s0, s2, s1
	s_delay_alu instid0(VALU_DEP_2) | instskip(NEXT) | instid1(VALU_DEP_2)
	v_cndmask_b32_e64 v6, 0x7ff00000, v6, s1
	v_cndmask_b32_e64 v5, 0, v5, s0
	s_delay_alu instid0(VALU_DEP_2)
	v_cndmask_b32_e64 v6, 0xbff00000, v6, s2
.LBB110_11:
	s_or_b32 exec_lo, exec_lo, s6
	v_or_b32_e32 v12, 0x300, v0
	s_mov_b32 s6, exec_lo
	s_delay_alu instid0(VALU_DEP_1)
	v_cmpx_gt_i32_e64 s8, v12
	s_cbranch_execnz .LBB110_20
; %bb.12:
	s_or_b32 exec_lo, exec_lo, s6
	s_and_saveexec_b32 s0, vcc_lo
	s_delay_alu instid0(SALU_CYCLE_1)
	s_xor_b32 s0, exec_lo, s0
	s_cbranch_execnz .LBB110_21
.LBB110_13:
	s_or_b32 exec_lo, exec_lo, s0
	s_delay_alu instid0(SALU_CYCLE_1)
	s_mov_b32 s0, exec_lo
	v_cmpx_gt_i32_e64 s8, v0
	s_cbranch_execnz .LBB110_22
.LBB110_14:
	s_or_b32 exec_lo, exec_lo, s0
	s_delay_alu instid0(SALU_CYCLE_1)
	s_mov_b32 s0, exec_lo
	v_cmpx_gt_i32_e64 s8, v0
	s_cbranch_execnz .LBB110_23
.LBB110_15:
	s_or_b32 exec_lo, exec_lo, s0
	s_delay_alu instid0(SALU_CYCLE_1)
	s_mov_b32 s0, exec_lo
	v_cmpx_gt_i32_e64 s8, v0
	s_cbranch_execnz .LBB110_24
.LBB110_16:
	s_nop 0
	s_sendmsg sendmsg(MSG_DEALLOC_VGPRS)
	s_endpgm
.LBB110_17:
	v_dual_mov_b32 v3, 0 :: v_dual_add_nc_u32 v2, s3, v1
	v_add_nc_u32_e32 v1, 0x100, v1
	s_delay_alu instid0(VALU_DEP_2) | instskip(NEXT) | instid1(VALU_DEP_1)
	v_lshlrev_b64 v[2:3], 3, v[2:3]
	v_add_co_u32 v2, s0, s6, v2
	s_delay_alu instid0(VALU_DEP_1) | instskip(SKIP_2) | instid1(SALU_CYCLE_1)
	v_add_co_ci_u32_e64 v3, s0, s7, v3, s0
	global_load_b64 v[12:13], v[2:3], off
	s_or_b32 exec_lo, exec_lo, s1
	s_mov_b32 s1, exec_lo
	v_cmpx_gt_i32_e64 s8, v1
	s_cbranch_execz .LBB110_6
.LBB110_18:
	v_dual_mov_b32 v2, 0 :: v_dual_add_nc_u32 v1, s3, v1
	s_delay_alu instid0(VALU_DEP_1) | instskip(NEXT) | instid1(VALU_DEP_1)
	v_lshlrev_b64 v[1:2], 3, v[1:2]
	v_add_co_u32 v1, s0, s6, v1
	s_delay_alu instid0(VALU_DEP_1)
	v_add_co_ci_u32_e64 v2, s0, s7, v2, s0
	global_load_b64 v[10:11], v[1:2], off
	s_or_b32 exec_lo, exec_lo, s1
                                        ; implicit-def: $vgpr1_vgpr2_vgpr3_vgpr4_vgpr5_vgpr6_vgpr7_vgpr8
	s_and_saveexec_b32 s6, vcc_lo
	s_cbranch_execz .LBB110_7
.LBB110_19:
	s_mov_b32 s0, 0x652b82fe
	s_mov_b32 s1, 0x3ff71547
	;; [unrolled: 1-line block ×3, first 2 shown]
	s_waitcnt vmcnt(0)
	v_mul_f64 v[1:2], v[16:17], s[0:1]
	s_mov_b32 s10, 0xfefa39ef
	s_mov_b32 s0, 0x3b39803f
	;; [unrolled: 1-line block ×5, first 2 shown]
	v_cmp_ngt_f64_e64 s2, 0xc0428000, v[16:17]
	s_delay_alu instid0(VALU_DEP_2) | instskip(NEXT) | instid1(VALU_DEP_1)
	v_rndne_f64_e32 v[1:2], v[1:2]
	v_fma_f64 v[3:4], v[1:2], s[10:11], v[16:17]
	v_cvt_i32_f64_e32 v7, v[1:2]
	s_mov_b32 s11, 0x40862e42
	s_delay_alu instid0(VALU_DEP_2)
	v_fma_f64 v[3:4], v[1:2], s[0:1], v[3:4]
	s_mov_b32 s0, 0x2a1b768b
	s_mov_b32 s1, 0x3e5af4eb
	s_delay_alu instid0(VALU_DEP_1) | instid1(SALU_CYCLE_1)
	v_fma_f64 v[5:6], v[3:4], s[12:13], s[0:1]
	s_mov_b32 s0, 0xe0ac05b
	s_mov_b32 s1, 0x3e927e50
	s_delay_alu instid0(VALU_DEP_1) | instid1(SALU_CYCLE_1)
	;; [unrolled: 4-line block ×9, first 2 shown]
	v_fma_f64 v[5:6], v[3:4], v[5:6], s[0:1]
	v_cmp_eq_f64_e64 s0, 0x40900000, v[1:2]
	v_cmp_nlt_f64_e64 s1, s[10:11], v[16:17]
	s_delay_alu instid0(VALU_DEP_3) | instskip(NEXT) | instid1(VALU_DEP_3)
	v_fma_f64 v[5:6], v[3:4], v[5:6], 0.5
	v_cndmask_b32_e64 v1, v7, 0x3ff, s0
	s_delay_alu instid0(VALU_DEP_1) | instskip(NEXT) | instid1(VALU_DEP_3)
	v_ldexp_f64 v[1:2], 1.0, v1
	v_mul_f64 v[5:6], v[3:4], v[5:6]
	s_delay_alu instid0(VALU_DEP_2) | instskip(NEXT) | instid1(VALU_DEP_2)
	v_add_f64 v[7:8], v[1:2], -1.0
	v_fma_f64 v[3:4], v[3:4], v[5:6], v[3:4]
	s_delay_alu instid0(VALU_DEP_1) | instskip(NEXT) | instid1(VALU_DEP_1)
	v_fma_f64 v[1:2], v[1:2], v[3:4], v[7:8]
	v_add_f64 v[3:4], v[1:2], v[1:2]
	s_delay_alu instid0(VALU_DEP_1) | instskip(NEXT) | instid1(VALU_DEP_2)
	v_cndmask_b32_e64 v2, v2, v4, s0
	v_cndmask_b32_e64 v1, v1, v3, s0
	s_and_b32 s0, s2, s1
	s_delay_alu instid0(VALU_DEP_2) | instskip(NEXT) | instid1(VALU_DEP_2)
	v_cndmask_b32_e64 v2, 0x7ff00000, v2, s1
	v_cndmask_b32_e64 v1, 0, v1, s0
	s_delay_alu instid0(VALU_DEP_2) | instskip(SKIP_1) | instid1(SALU_CYCLE_1)
	v_cndmask_b32_e64 v2, 0xbff00000, v2, s2
	s_or_b32 exec_lo, exec_lo, s6
	s_mov_b32 s6, exec_lo
	v_cmpx_gt_i32_e64 s8, v18
	s_cbranch_execnz .LBB110_8
	s_branch .LBB110_9
.LBB110_20:
	s_mov_b32 s0, 0x652b82fe
	s_mov_b32 s1, 0x3ff71547
	;; [unrolled: 1-line block ×3, first 2 shown]
	v_mul_f64 v[7:8], v[10:11], s[0:1]
	s_mov_b32 s10, 0xfefa39ef
	s_mov_b32 s0, 0x3b39803f
	;; [unrolled: 1-line block ×5, first 2 shown]
	v_cmp_ngt_f64_e64 s2, 0xc0428000, v[10:11]
	s_delay_alu instid0(VALU_DEP_2) | instskip(NEXT) | instid1(VALU_DEP_1)
	v_rndne_f64_e32 v[7:8], v[7:8]
	v_fma_f64 v[12:13], v[7:8], s[10:11], v[10:11]
	v_cvt_i32_f64_e32 v16, v[7:8]
	s_mov_b32 s11, 0x40862e42
	s_delay_alu instid0(VALU_DEP_2)
	v_fma_f64 v[12:13], v[7:8], s[0:1], v[12:13]
	s_mov_b32 s0, 0x2a1b768b
	s_mov_b32 s1, 0x3e5af4eb
	s_delay_alu instid0(VALU_DEP_1) | instid1(SALU_CYCLE_1)
	v_fma_f64 v[14:15], v[12:13], s[12:13], s[0:1]
	s_mov_b32 s0, 0xe0ac05b
	s_mov_b32 s1, 0x3e927e50
	s_delay_alu instid0(VALU_DEP_1) | instid1(SALU_CYCLE_1)
	;; [unrolled: 4-line block ×9, first 2 shown]
	v_fma_f64 v[14:15], v[12:13], v[14:15], s[0:1]
	v_cmp_eq_f64_e64 s0, 0x40900000, v[7:8]
	v_cmp_nlt_f64_e64 s1, s[10:11], v[10:11]
	s_delay_alu instid0(VALU_DEP_3) | instskip(NEXT) | instid1(VALU_DEP_3)
	v_fma_f64 v[14:15], v[12:13], v[14:15], 0.5
	v_cndmask_b32_e64 v7, v16, 0x3ff, s0
	s_delay_alu instid0(VALU_DEP_1) | instskip(NEXT) | instid1(VALU_DEP_3)
	v_ldexp_f64 v[7:8], 1.0, v7
	v_mul_f64 v[14:15], v[12:13], v[14:15]
	s_delay_alu instid0(VALU_DEP_2) | instskip(NEXT) | instid1(VALU_DEP_2)
	v_add_f64 v[16:17], v[7:8], -1.0
	v_fma_f64 v[12:13], v[12:13], v[14:15], v[12:13]
	s_delay_alu instid0(VALU_DEP_1) | instskip(NEXT) | instid1(VALU_DEP_1)
	v_fma_f64 v[7:8], v[7:8], v[12:13], v[16:17]
	v_add_f64 v[12:13], v[7:8], v[7:8]
	s_delay_alu instid0(VALU_DEP_1) | instskip(NEXT) | instid1(VALU_DEP_2)
	v_cndmask_b32_e64 v8, v8, v13, s0
	v_cndmask_b32_e64 v7, v7, v12, s0
	s_and_b32 s0, s2, s1
	s_delay_alu instid0(VALU_DEP_2) | instskip(NEXT) | instid1(VALU_DEP_2)
	v_cndmask_b32_e64 v8, 0x7ff00000, v8, s1
	v_cndmask_b32_e64 v7, 0, v7, s0
	s_delay_alu instid0(VALU_DEP_2) | instskip(SKIP_2) | instid1(SALU_CYCLE_1)
	v_cndmask_b32_e64 v8, 0xbff00000, v8, s2
	s_or_b32 exec_lo, exec_lo, s6
	s_and_saveexec_b32 s0, vcc_lo
	s_xor_b32 s0, exec_lo, s0
	s_cbranch_execz .LBB110_13
.LBB110_21:
	v_mov_b32_e32 v10, 0
	v_mov_b32_e32 v0, v18
	s_delay_alu instid0(VALU_DEP_2) | instskip(NEXT) | instid1(VALU_DEP_1)
	v_lshlrev_b64 v[9:10], 3, v[9:10]
	v_add_co_u32 v9, vcc_lo, s4, v9
	s_delay_alu instid0(VALU_DEP_2) | instskip(SKIP_2) | instid1(SALU_CYCLE_1)
	v_add_co_ci_u32_e32 v10, vcc_lo, s5, v10, vcc_lo
	global_store_b64 v[9:10], v[1:2], off
	s_or_b32 exec_lo, exec_lo, s0
	s_mov_b32 s0, exec_lo
	v_cmpx_gt_i32_e64 s8, v0
	s_cbranch_execz .LBB110_14
.LBB110_22:
	v_dual_mov_b32 v2, 0 :: v_dual_add_nc_u32 v1, s3, v0
	v_add_nc_u32_e32 v0, 0x100, v0
	s_delay_alu instid0(VALU_DEP_2) | instskip(NEXT) | instid1(VALU_DEP_1)
	v_lshlrev_b64 v[1:2], 3, v[1:2]
	v_add_co_u32 v1, vcc_lo, s4, v1
	s_delay_alu instid0(VALU_DEP_2) | instskip(SKIP_2) | instid1(SALU_CYCLE_1)
	v_add_co_ci_u32_e32 v2, vcc_lo, s5, v2, vcc_lo
	global_store_b64 v[1:2], v[3:4], off
	s_or_b32 exec_lo, exec_lo, s0
	s_mov_b32 s0, exec_lo
	v_cmpx_gt_i32_e64 s8, v0
	s_cbranch_execz .LBB110_15
.LBB110_23:
	v_dual_mov_b32 v2, 0 :: v_dual_add_nc_u32 v1, s3, v0
	v_add_nc_u32_e32 v0, 0x100, v0
	s_delay_alu instid0(VALU_DEP_2) | instskip(NEXT) | instid1(VALU_DEP_1)
	v_lshlrev_b64 v[1:2], 3, v[1:2]
	v_add_co_u32 v1, vcc_lo, s4, v1
	s_delay_alu instid0(VALU_DEP_2) | instskip(SKIP_2) | instid1(SALU_CYCLE_1)
	v_add_co_ci_u32_e32 v2, vcc_lo, s5, v2, vcc_lo
	global_store_b64 v[1:2], v[5:6], off
	s_or_b32 exec_lo, exec_lo, s0
	s_mov_b32 s0, exec_lo
	v_cmpx_gt_i32_e64 s8, v0
	s_cbranch_execz .LBB110_16
.LBB110_24:
	v_dual_mov_b32 v1, 0 :: v_dual_add_nc_u32 v0, s3, v0
	s_delay_alu instid0(VALU_DEP_1) | instskip(NEXT) | instid1(VALU_DEP_1)
	v_lshlrev_b64 v[0:1], 3, v[0:1]
	v_add_co_u32 v0, vcc_lo, s4, v0
	s_delay_alu instid0(VALU_DEP_2)
	v_add_co_ci_u32_e32 v1, vcc_lo, s5, v1, vcc_lo
	global_store_b64 v[0:1], v[7:8], off
	s_nop 0
	s_sendmsg sendmsg(MSG_DEALLOC_VGPRS)
	s_endpgm
	.section	.rodata,"a",@progbits
	.p2align	6, 0x0
	.amdhsa_kernel _ZN2at6native27unrolled_elementwise_kernelIZZZNS0_17expm1_kernel_cudaERNS_18TensorIteratorBaseEENKUlvE_clEvENKUlvE_clEvEUldE_St5arrayIPcLm2EELi4E23TrivialOffsetCalculatorILi1EjESB_NS0_6memory15LoadWithoutCastENSC_16StoreWithoutCastEEEviT_T0_T2_T3_T4_T5_
		.amdhsa_group_segment_fixed_size 0
		.amdhsa_private_segment_fixed_size 0
		.amdhsa_kernarg_size 28
		.amdhsa_user_sgpr_count 15
		.amdhsa_user_sgpr_dispatch_ptr 0
		.amdhsa_user_sgpr_queue_ptr 0
		.amdhsa_user_sgpr_kernarg_segment_ptr 1
		.amdhsa_user_sgpr_dispatch_id 0
		.amdhsa_user_sgpr_private_segment_size 0
		.amdhsa_wavefront_size32 1
		.amdhsa_uses_dynamic_stack 0
		.amdhsa_enable_private_segment 0
		.amdhsa_system_sgpr_workgroup_id_x 1
		.amdhsa_system_sgpr_workgroup_id_y 0
		.amdhsa_system_sgpr_workgroup_id_z 0
		.amdhsa_system_sgpr_workgroup_info 0
		.amdhsa_system_vgpr_workitem_id 0
		.amdhsa_next_free_vgpr 23
		.amdhsa_next_free_sgpr 16
		.amdhsa_reserve_vcc 1
		.amdhsa_float_round_mode_32 0
		.amdhsa_float_round_mode_16_64 0
		.amdhsa_float_denorm_mode_32 3
		.amdhsa_float_denorm_mode_16_64 3
		.amdhsa_dx10_clamp 1
		.amdhsa_ieee_mode 1
		.amdhsa_fp16_overflow 0
		.amdhsa_workgroup_processor_mode 1
		.amdhsa_memory_ordered 1
		.amdhsa_forward_progress 0
		.amdhsa_shared_vgpr_count 0
		.amdhsa_exception_fp_ieee_invalid_op 0
		.amdhsa_exception_fp_denorm_src 0
		.amdhsa_exception_fp_ieee_div_zero 0
		.amdhsa_exception_fp_ieee_overflow 0
		.amdhsa_exception_fp_ieee_underflow 0
		.amdhsa_exception_fp_ieee_inexact 0
		.amdhsa_exception_int_div_zero 0
	.end_amdhsa_kernel
	.section	.text._ZN2at6native27unrolled_elementwise_kernelIZZZNS0_17expm1_kernel_cudaERNS_18TensorIteratorBaseEENKUlvE_clEvENKUlvE_clEvEUldE_St5arrayIPcLm2EELi4E23TrivialOffsetCalculatorILi1EjESB_NS0_6memory15LoadWithoutCastENSC_16StoreWithoutCastEEEviT_T0_T2_T3_T4_T5_,"axG",@progbits,_ZN2at6native27unrolled_elementwise_kernelIZZZNS0_17expm1_kernel_cudaERNS_18TensorIteratorBaseEENKUlvE_clEvENKUlvE_clEvEUldE_St5arrayIPcLm2EELi4E23TrivialOffsetCalculatorILi1EjESB_NS0_6memory15LoadWithoutCastENSC_16StoreWithoutCastEEEviT_T0_T2_T3_T4_T5_,comdat
.Lfunc_end110:
	.size	_ZN2at6native27unrolled_elementwise_kernelIZZZNS0_17expm1_kernel_cudaERNS_18TensorIteratorBaseEENKUlvE_clEvENKUlvE_clEvEUldE_St5arrayIPcLm2EELi4E23TrivialOffsetCalculatorILi1EjESB_NS0_6memory15LoadWithoutCastENSC_16StoreWithoutCastEEEviT_T0_T2_T3_T4_T5_, .Lfunc_end110-_ZN2at6native27unrolled_elementwise_kernelIZZZNS0_17expm1_kernel_cudaERNS_18TensorIteratorBaseEENKUlvE_clEvENKUlvE_clEvEUldE_St5arrayIPcLm2EELi4E23TrivialOffsetCalculatorILi1EjESB_NS0_6memory15LoadWithoutCastENSC_16StoreWithoutCastEEEviT_T0_T2_T3_T4_T5_
                                        ; -- End function
	.section	.AMDGPU.csdata,"",@progbits
; Kernel info:
; codeLenInByte = 3108
; NumSgprs: 18
; NumVgprs: 23
; ScratchSize: 0
; MemoryBound: 0
; FloatMode: 240
; IeeeMode: 1
; LDSByteSize: 0 bytes/workgroup (compile time only)
; SGPRBlocks: 2
; VGPRBlocks: 2
; NumSGPRsForWavesPerEU: 18
; NumVGPRsForWavesPerEU: 23
; Occupancy: 16
; WaveLimiterHint : 0
; COMPUTE_PGM_RSRC2:SCRATCH_EN: 0
; COMPUTE_PGM_RSRC2:USER_SGPR: 15
; COMPUTE_PGM_RSRC2:TRAP_HANDLER: 0
; COMPUTE_PGM_RSRC2:TGID_X_EN: 1
; COMPUTE_PGM_RSRC2:TGID_Y_EN: 0
; COMPUTE_PGM_RSRC2:TGID_Z_EN: 0
; COMPUTE_PGM_RSRC2:TIDIG_COMP_CNT: 0
	.section	.text._ZN2at6native32elementwise_kernel_manual_unrollILi128ELi4EZNS0_22gpu_kernel_impl_nocastIZZZNS0_17expm1_kernel_cudaERNS_18TensorIteratorBaseEENKUlvE_clEvENKUlvE_clEvEUldE_EEvS4_RKT_EUlibE_EEviT1_,"axG",@progbits,_ZN2at6native32elementwise_kernel_manual_unrollILi128ELi4EZNS0_22gpu_kernel_impl_nocastIZZZNS0_17expm1_kernel_cudaERNS_18TensorIteratorBaseEENKUlvE_clEvENKUlvE_clEvEUldE_EEvS4_RKT_EUlibE_EEviT1_,comdat
	.globl	_ZN2at6native32elementwise_kernel_manual_unrollILi128ELi4EZNS0_22gpu_kernel_impl_nocastIZZZNS0_17expm1_kernel_cudaERNS_18TensorIteratorBaseEENKUlvE_clEvENKUlvE_clEvEUldE_EEvS4_RKT_EUlibE_EEviT1_ ; -- Begin function _ZN2at6native32elementwise_kernel_manual_unrollILi128ELi4EZNS0_22gpu_kernel_impl_nocastIZZZNS0_17expm1_kernel_cudaERNS_18TensorIteratorBaseEENKUlvE_clEvENKUlvE_clEvEUldE_EEvS4_RKT_EUlibE_EEviT1_
	.p2align	8
	.type	_ZN2at6native32elementwise_kernel_manual_unrollILi128ELi4EZNS0_22gpu_kernel_impl_nocastIZZZNS0_17expm1_kernel_cudaERNS_18TensorIteratorBaseEENKUlvE_clEvENKUlvE_clEvEUldE_EEvS4_RKT_EUlibE_EEviT1_,@function
_ZN2at6native32elementwise_kernel_manual_unrollILi128ELi4EZNS0_22gpu_kernel_impl_nocastIZZZNS0_17expm1_kernel_cudaERNS_18TensorIteratorBaseEENKUlvE_clEvENKUlvE_clEvEUldE_EEvS4_RKT_EUlibE_EEviT1_: ; @_ZN2at6native32elementwise_kernel_manual_unrollILi128ELi4EZNS0_22gpu_kernel_impl_nocastIZZZNS0_17expm1_kernel_cudaERNS_18TensorIteratorBaseEENKUlvE_clEvENKUlvE_clEvEUldE_EEvS4_RKT_EUlibE_EEviT1_
; %bb.0:
	s_clause 0x1
	s_load_b32 s22, s[0:1], 0x8
	s_load_b32 s27, s[0:1], 0x0
	v_lshl_or_b32 v4, s15, 9, v0
	s_or_b32 s0, s0, 8
	s_mov_b32 s2, exec_lo
	s_delay_alu instid0(VALU_DEP_1) | instskip(SKIP_2) | instid1(SALU_CYCLE_1)
	v_or_b32_e32 v8, 0x180, v4
	s_waitcnt lgkmcnt(0)
	s_add_i32 s23, s22, -1
	s_cmp_gt_u32 s23, 1
	s_cselect_b32 s24, -1, 0
	v_cmpx_le_i32_e64 s27, v8
	s_xor_b32 s25, exec_lo, s2
	s_cbranch_execz .LBB111_7
; %bb.1:
	s_clause 0x3
	s_load_b128 s[12:15], s[0:1], 0x4
	s_load_b64 s[16:17], s[0:1], 0x14
	s_load_b128 s[8:11], s[0:1], 0xc4
	s_load_b128 s[4:7], s[0:1], 0x148
	s_cmp_lg_u32 s22, 0
	s_mov_b32 s30, exec_lo
	s_cselect_b32 s29, -1, 0
	s_add_u32 s18, s0, 0xc4
	s_addc_u32 s19, s1, 0
	s_min_u32 s28, s23, 15
	s_cmp_gt_u32 s22, 1
	s_cselect_b32 s26, -1, 0
	v_cmpx_gt_i32_e64 s27, v4
	s_cbranch_execz .LBB111_14
; %bb.2:
	s_and_not1_b32 vcc_lo, exec_lo, s24
	s_cbranch_vccnz .LBB111_21
; %bb.3:
	v_dual_mov_b32 v0, 0 :: v_dual_mov_b32 v1, 0
	s_and_not1_b32 vcc_lo, exec_lo, s29
	s_mov_b32 s31, 0
	s_cbranch_vccnz .LBB111_73
; %bb.4:
	v_mov_b32_e32 v0, 0
	s_add_i32 s34, s28, 1
	s_cmp_eq_u32 s23, 2
	s_mov_b32 s33, 0
	s_cbranch_scc1 .LBB111_69
; %bb.5:
	v_dual_mov_b32 v1, 0 :: v_dual_mov_b32 v0, 0
	v_mov_b32_e32 v2, v4
	s_and_b32 s33, s34, 28
	s_mov_b32 s35, 0
	s_mov_b64 s[2:3], s[18:19]
	s_mov_b64 s[20:21], s[0:1]
.LBB111_6:                              ; =>This Inner Loop Header: Depth=1
	s_clause 0x1
	s_load_b256 s[36:43], s[20:21], 0x4
	s_load_b128 s[52:55], s[20:21], 0x24
	s_load_b256 s[44:51], s[2:3], 0x0
	s_add_u32 s20, s20, 48
	s_addc_u32 s21, s21, 0
	s_add_i32 s35, s35, 4
	s_add_u32 s2, s2, 32
	s_addc_u32 s3, s3, 0
	s_cmp_lg_u32 s33, s35
	s_waitcnt lgkmcnt(0)
	v_mul_hi_u32 v3, s37, v2
	s_delay_alu instid0(VALU_DEP_1) | instskip(NEXT) | instid1(VALU_DEP_1)
	v_add_nc_u32_e32 v3, v2, v3
	v_lshrrev_b32_e32 v3, s38, v3
	s_delay_alu instid0(VALU_DEP_1) | instskip(SKIP_1) | instid1(VALU_DEP_2)
	v_mul_hi_u32 v5, s40, v3
	v_mul_lo_u32 v7, v3, s36
	v_add_nc_u32_e32 v5, v3, v5
	s_delay_alu instid0(VALU_DEP_2) | instskip(NEXT) | instid1(VALU_DEP_2)
	v_sub_nc_u32_e32 v2, v2, v7
	v_lshrrev_b32_e32 v5, s41, v5
	s_delay_alu instid0(VALU_DEP_2) | instskip(SKIP_1) | instid1(VALU_DEP_3)
	v_mul_lo_u32 v7, v2, s44
	v_mul_lo_u32 v9, v2, s45
	v_mul_hi_u32 v6, s43, v5
	s_delay_alu instid0(VALU_DEP_1) | instskip(NEXT) | instid1(VALU_DEP_1)
	v_add_nc_u32_e32 v6, v5, v6
	v_lshrrev_b32_e32 v6, s52, v6
	s_delay_alu instid0(VALU_DEP_1) | instskip(SKIP_1) | instid1(VALU_DEP_2)
	v_mul_hi_u32 v8, s54, v6
	v_mul_lo_u32 v10, v6, s42
	v_add_nc_u32_e32 v2, v6, v8
	v_mul_lo_u32 v8, v5, s39
	s_delay_alu instid0(VALU_DEP_3) | instskip(NEXT) | instid1(VALU_DEP_3)
	v_sub_nc_u32_e32 v5, v5, v10
	v_lshrrev_b32_e32 v2, s55, v2
	s_delay_alu instid0(VALU_DEP_2) | instskip(SKIP_2) | instid1(VALU_DEP_4)
	v_mul_lo_u32 v10, v5, s48
	v_mul_lo_u32 v5, v5, s49
	v_sub_nc_u32_e32 v3, v3, v8
	v_mul_lo_u32 v11, v2, s53
	s_delay_alu instid0(VALU_DEP_2) | instskip(SKIP_1) | instid1(VALU_DEP_3)
	v_mul_lo_u32 v8, v3, s46
	v_mul_lo_u32 v3, v3, s47
	v_sub_nc_u32_e32 v6, v6, v11
	s_delay_alu instid0(VALU_DEP_3) | instskip(NEXT) | instid1(VALU_DEP_2)
	v_add3_u32 v0, v7, v0, v8
	v_mul_lo_u32 v11, v6, s50
	v_mul_lo_u32 v6, v6, s51
	v_add3_u32 v1, v9, v1, v3
	s_delay_alu instid0(VALU_DEP_3) | instskip(NEXT) | instid1(VALU_DEP_2)
	v_add3_u32 v0, v10, v0, v11
	v_add3_u32 v1, v5, v1, v6
	s_cbranch_scc1 .LBB111_6
	s_branch .LBB111_70
.LBB111_7:
	s_and_not1_saveexec_b32 s2, s25
	s_cbranch_execz .LBB111_94
.LBB111_8:
	v_cndmask_b32_e64 v6, 0, 1, s24
	s_and_not1_b32 vcc_lo, exec_lo, s24
	s_cbranch_vccnz .LBB111_20
; %bb.9:
	v_mov_b32_e32 v0, 0
	v_mov_b32_e32 v2, 0
	s_cmp_lg_u32 s22, 0
	s_waitcnt lgkmcnt(0)
	s_mov_b32 s6, 0
	s_cbranch_scc0 .LBB111_26
; %bb.10:
	s_min_u32 s7, s23, 15
	v_mov_b32_e32 v0, 0
	s_add_i32 s7, s7, 1
	s_cmp_eq_u32 s23, 2
	s_mov_b32 s8, 0
	s_cbranch_scc1 .LBB111_23
; %bb.11:
	v_dual_mov_b32 v2, 0 :: v_dual_mov_b32 v1, v4
	v_mov_b32_e32 v0, 0
	s_add_u32 s2, s0, 0xc4
	s_addc_u32 s3, s1, 0
	s_and_b32 s8, s7, 28
	s_mov_b32 s9, 0
	s_mov_b64 s[4:5], s[0:1]
.LBB111_12:                             ; =>This Inner Loop Header: Depth=1
	s_clause 0x1
	s_load_b256 s[12:19], s[4:5], 0x4
	s_load_b128 s[36:39], s[4:5], 0x24
	s_load_b256 s[24:31], s[2:3], 0x0
	s_add_u32 s4, s4, 48
	s_addc_u32 s5, s5, 0
	s_add_i32 s9, s9, 4
	s_add_u32 s2, s2, 32
	s_addc_u32 s3, s3, 0
	s_cmp_lg_u32 s8, s9
	s_waitcnt lgkmcnt(0)
	v_mul_hi_u32 v3, s13, v1
	s_delay_alu instid0(VALU_DEP_1) | instskip(NEXT) | instid1(VALU_DEP_1)
	v_add_nc_u32_e32 v3, v1, v3
	v_lshrrev_b32_e32 v3, s14, v3
	s_delay_alu instid0(VALU_DEP_1) | instskip(SKIP_1) | instid1(VALU_DEP_2)
	v_mul_hi_u32 v5, s16, v3
	v_mul_lo_u32 v9, v3, s12
	v_add_nc_u32_e32 v5, v3, v5
	s_delay_alu instid0(VALU_DEP_2) | instskip(NEXT) | instid1(VALU_DEP_2)
	v_sub_nc_u32_e32 v1, v1, v9
	v_lshrrev_b32_e32 v5, s17, v5
	s_delay_alu instid0(VALU_DEP_2) | instskip(SKIP_1) | instid1(VALU_DEP_3)
	v_mul_lo_u32 v9, v1, s24
	v_mul_lo_u32 v11, v1, s25
	v_mul_hi_u32 v7, s19, v5
	s_delay_alu instid0(VALU_DEP_1) | instskip(NEXT) | instid1(VALU_DEP_1)
	v_add_nc_u32_e32 v7, v5, v7
	v_lshrrev_b32_e32 v7, s36, v7
	s_delay_alu instid0(VALU_DEP_1) | instskip(SKIP_1) | instid1(VALU_DEP_2)
	v_mul_hi_u32 v10, s38, v7
	v_mul_lo_u32 v12, v7, s18
	v_add_nc_u32_e32 v1, v7, v10
	v_mul_lo_u32 v10, v5, s15
	s_delay_alu instid0(VALU_DEP_3) | instskip(NEXT) | instid1(VALU_DEP_3)
	v_sub_nc_u32_e32 v5, v5, v12
	v_lshrrev_b32_e32 v1, s39, v1
	s_delay_alu instid0(VALU_DEP_2) | instskip(SKIP_2) | instid1(VALU_DEP_4)
	v_mul_lo_u32 v12, v5, s28
	v_mul_lo_u32 v5, v5, s29
	v_sub_nc_u32_e32 v3, v3, v10
	v_mul_lo_u32 v13, v1, s37
	s_delay_alu instid0(VALU_DEP_2) | instskip(SKIP_1) | instid1(VALU_DEP_3)
	v_mul_lo_u32 v10, v3, s26
	v_mul_lo_u32 v3, v3, s27
	v_sub_nc_u32_e32 v7, v7, v13
	s_delay_alu instid0(VALU_DEP_3) | instskip(NEXT) | instid1(VALU_DEP_2)
	v_add3_u32 v0, v9, v0, v10
	v_mul_lo_u32 v13, v7, s30
	v_mul_lo_u32 v7, v7, s31
	v_add3_u32 v2, v11, v2, v3
	s_delay_alu instid0(VALU_DEP_3) | instskip(NEXT) | instid1(VALU_DEP_2)
	v_add3_u32 v0, v12, v0, v13
	v_add3_u32 v2, v5, v2, v7
	s_cbranch_scc1 .LBB111_12
; %bb.13:
	s_and_b32 s7, s7, 3
	s_delay_alu instid0(SALU_CYCLE_1)
	s_cmp_eq_u32 s7, 0
	s_cbranch_scc0 .LBB111_24
	s_branch .LBB111_26
.LBB111_14:
	s_or_b32 exec_lo, exec_lo, s30
	s_delay_alu instid0(SALU_CYCLE_1)
	s_mov_b32 s30, exec_lo
	v_cmpx_gt_i32_e64 s27, v4
	s_cbranch_execz .LBB111_77
.LBB111_15:
	s_and_not1_b32 vcc_lo, exec_lo, s24
	s_cbranch_vccnz .LBB111_22
; %bb.16:
	v_dual_mov_b32 v0, 0 :: v_dual_mov_b32 v1, 0
	s_and_not1_b32 vcc_lo, exec_lo, s29
	s_mov_b32 s31, 0
	s_cbranch_vccnz .LBB111_88
; %bb.17:
	v_mov_b32_e32 v0, 0
	s_add_i32 s34, s28, 1
	s_cmp_eq_u32 s23, 2
	s_mov_b32 s33, 0
	s_cbranch_scc1 .LBB111_84
; %bb.18:
	v_dual_mov_b32 v1, 0 :: v_dual_mov_b32 v0, 0
	v_mov_b32_e32 v2, v4
	s_and_b32 s33, s34, 28
	s_mov_b32 s35, 0
	s_mov_b64 s[2:3], s[18:19]
	s_mov_b64 s[20:21], s[0:1]
.LBB111_19:                             ; =>This Inner Loop Header: Depth=1
	s_clause 0x1
	s_load_b256 s[36:43], s[20:21], 0x4
	s_load_b128 s[52:55], s[20:21], 0x24
	s_load_b256 s[44:51], s[2:3], 0x0
	s_add_u32 s20, s20, 48
	s_addc_u32 s21, s21, 0
	s_add_i32 s35, s35, 4
	s_add_u32 s2, s2, 32
	s_addc_u32 s3, s3, 0
	s_cmp_eq_u32 s33, s35
	s_waitcnt lgkmcnt(0)
	v_mul_hi_u32 v3, s37, v2
	s_delay_alu instid0(VALU_DEP_1) | instskip(NEXT) | instid1(VALU_DEP_1)
	v_add_nc_u32_e32 v3, v2, v3
	v_lshrrev_b32_e32 v3, s38, v3
	s_delay_alu instid0(VALU_DEP_1) | instskip(SKIP_1) | instid1(VALU_DEP_2)
	v_mul_hi_u32 v5, s40, v3
	v_mul_lo_u32 v7, v3, s36
	v_add_nc_u32_e32 v5, v3, v5
	s_delay_alu instid0(VALU_DEP_2) | instskip(NEXT) | instid1(VALU_DEP_2)
	v_sub_nc_u32_e32 v2, v2, v7
	v_lshrrev_b32_e32 v5, s41, v5
	s_delay_alu instid0(VALU_DEP_2) | instskip(SKIP_1) | instid1(VALU_DEP_3)
	v_mul_lo_u32 v7, v2, s44
	v_mul_lo_u32 v9, v2, s45
	v_mul_hi_u32 v6, s43, v5
	s_delay_alu instid0(VALU_DEP_1) | instskip(NEXT) | instid1(VALU_DEP_1)
	v_add_nc_u32_e32 v6, v5, v6
	v_lshrrev_b32_e32 v6, s52, v6
	s_delay_alu instid0(VALU_DEP_1) | instskip(SKIP_1) | instid1(VALU_DEP_2)
	v_mul_hi_u32 v8, s54, v6
	v_mul_lo_u32 v10, v6, s42
	v_add_nc_u32_e32 v2, v6, v8
	v_mul_lo_u32 v8, v5, s39
	s_delay_alu instid0(VALU_DEP_3) | instskip(NEXT) | instid1(VALU_DEP_3)
	v_sub_nc_u32_e32 v5, v5, v10
	v_lshrrev_b32_e32 v2, s55, v2
	s_delay_alu instid0(VALU_DEP_2) | instskip(SKIP_2) | instid1(VALU_DEP_4)
	v_mul_lo_u32 v10, v5, s48
	v_mul_lo_u32 v5, v5, s49
	v_sub_nc_u32_e32 v3, v3, v8
	v_mul_lo_u32 v11, v2, s53
	s_delay_alu instid0(VALU_DEP_2) | instskip(SKIP_1) | instid1(VALU_DEP_3)
	v_mul_lo_u32 v8, v3, s46
	v_mul_lo_u32 v3, v3, s47
	v_sub_nc_u32_e32 v6, v6, v11
	s_delay_alu instid0(VALU_DEP_3) | instskip(NEXT) | instid1(VALU_DEP_2)
	v_add3_u32 v0, v7, v0, v8
	v_mul_lo_u32 v11, v6, s50
	v_mul_lo_u32 v6, v6, s51
	v_add3_u32 v1, v9, v1, v3
	s_delay_alu instid0(VALU_DEP_3) | instskip(NEXT) | instid1(VALU_DEP_2)
	v_add3_u32 v0, v10, v0, v11
	v_add3_u32 v1, v5, v1, v6
	s_cbranch_scc0 .LBB111_19
	s_branch .LBB111_85
.LBB111_20:
	s_waitcnt lgkmcnt(0)
	s_mov_b32 s6, -1
                                        ; implicit-def: $vgpr0
                                        ; implicit-def: $vgpr2
	s_branch .LBB111_26
.LBB111_21:
	s_mov_b32 s31, -1
                                        ; implicit-def: $vgpr0
                                        ; implicit-def: $vgpr1
	s_branch .LBB111_73
.LBB111_22:
	s_mov_b32 s31, -1
                                        ; implicit-def: $vgpr0
                                        ; implicit-def: $vgpr1
	s_branch .LBB111_88
.LBB111_23:
	v_dual_mov_b32 v1, v4 :: v_dual_mov_b32 v2, 0
	s_and_b32 s7, s7, 3
	s_delay_alu instid0(SALU_CYCLE_1)
	s_cmp_eq_u32 s7, 0
	s_cbranch_scc1 .LBB111_26
.LBB111_24:
	s_lshl_b32 s2, s8, 3
	s_mul_i32 s4, s8, 12
	s_add_u32 s2, s2, s0
	s_addc_u32 s3, 0, s1
	s_add_u32 s2, s2, 0xc4
	s_addc_u32 s3, s3, 0
	;; [unrolled: 2-line block ×3, first 2 shown]
	.p2align	6
.LBB111_25:                             ; =>This Inner Loop Header: Depth=1
	s_clause 0x1
	s_load_b64 s[8:9], s[4:5], 0x4
	s_load_b32 s12, s[4:5], 0xc
	s_load_b64 s[10:11], s[2:3], 0x0
	s_add_u32 s4, s4, 12
	s_addc_u32 s5, s5, 0
	s_add_u32 s2, s2, 8
	s_addc_u32 s3, s3, 0
	s_add_i32 s7, s7, -1
	s_delay_alu instid0(SALU_CYCLE_1) | instskip(SKIP_2) | instid1(VALU_DEP_1)
	s_cmp_lg_u32 s7, 0
	s_waitcnt lgkmcnt(0)
	v_mul_hi_u32 v3, s9, v1
	v_add_nc_u32_e32 v3, v1, v3
	s_delay_alu instid0(VALU_DEP_1) | instskip(NEXT) | instid1(VALU_DEP_1)
	v_lshrrev_b32_e32 v3, s12, v3
	v_mul_lo_u32 v5, v3, s8
	s_delay_alu instid0(VALU_DEP_1) | instskip(NEXT) | instid1(VALU_DEP_1)
	v_sub_nc_u32_e32 v1, v1, v5
	v_mad_u64_u32 v[9:10], null, v1, s10, v[0:1]
	v_mad_u64_u32 v[10:11], null, v1, s11, v[2:3]
	s_delay_alu instid0(VALU_DEP_2) | instskip(NEXT) | instid1(VALU_DEP_2)
	v_dual_mov_b32 v1, v3 :: v_dual_mov_b32 v0, v9
	v_mov_b32_e32 v2, v10
	s_cbranch_scc1 .LBB111_25
.LBB111_26:
	s_and_not1_b32 vcc_lo, exec_lo, s6
	s_cbranch_vccnz .LBB111_29
; %bb.27:
	s_clause 0x1
	s_load_b128 s[4:7], s[0:1], 0x4
	s_load_b64 s[2:3], s[0:1], 0xc4
	s_cmp_lt_u32 s22, 2
	s_waitcnt lgkmcnt(0)
	v_mul_hi_u32 v0, s5, v4
	s_delay_alu instid0(VALU_DEP_1) | instskip(NEXT) | instid1(VALU_DEP_1)
	v_add_nc_u32_e32 v0, v4, v0
	v_lshrrev_b32_e32 v1, s6, v0
	s_delay_alu instid0(VALU_DEP_1) | instskip(NEXT) | instid1(VALU_DEP_1)
	v_mul_lo_u32 v0, v1, s4
	v_sub_nc_u32_e32 v2, v4, v0
	s_delay_alu instid0(VALU_DEP_1)
	v_mul_lo_u32 v0, v2, s2
	v_mul_lo_u32 v2, v2, s3
	s_cbranch_scc1 .LBB111_29
; %bb.28:
	s_clause 0x1
	s_load_b128 s[4:7], s[0:1], 0x10
	s_load_b64 s[2:3], s[0:1], 0xcc
	s_waitcnt lgkmcnt(0)
	v_mul_hi_u32 v3, s5, v1
	s_delay_alu instid0(VALU_DEP_1) | instskip(NEXT) | instid1(VALU_DEP_1)
	v_add_nc_u32_e32 v3, v1, v3
	v_lshrrev_b32_e32 v3, s6, v3
	s_delay_alu instid0(VALU_DEP_1) | instskip(NEXT) | instid1(VALU_DEP_1)
	v_mul_lo_u32 v3, v3, s4
	v_sub_nc_u32_e32 v1, v1, v3
	s_delay_alu instid0(VALU_DEP_1) | instskip(SKIP_1) | instid1(VALU_DEP_2)
	v_mad_u64_u32 v[9:10], null, v1, s2, v[0:1]
	v_mad_u64_u32 v[10:11], null, v1, s3, v[2:3]
	v_mov_b32_e32 v0, v9
	s_delay_alu instid0(VALU_DEP_2)
	v_mov_b32_e32 v2, v10
.LBB111_29:
	v_cmp_ne_u32_e32 vcc_lo, 1, v6
	v_add_nc_u32_e32 v5, 0x80, v4
	s_cbranch_vccnz .LBB111_35
; %bb.30:
	v_mov_b32_e32 v1, 0
	v_mov_b32_e32 v3, 0
	s_cmp_lg_u32 s22, 0
	s_mov_b32 s6, 0
	s_cbranch_scc0 .LBB111_39
; %bb.31:
	s_min_u32 s7, s23, 15
	v_mov_b32_e32 v1, 0
	s_add_i32 s7, s7, 1
	s_cmp_eq_u32 s23, 2
	s_mov_b32 s8, 0
	s_cbranch_scc1 .LBB111_36
; %bb.32:
	v_mov_b32_e32 v3, 0
	v_mov_b32_e32 v1, 0
	;; [unrolled: 1-line block ×3, first 2 shown]
	s_add_u32 s2, s0, 0xc4
	s_addc_u32 s3, s1, 0
	s_and_b32 s8, s7, 28
	s_mov_b32 s9, 0
	s_mov_b64 s[4:5], s[0:1]
.LBB111_33:                             ; =>This Inner Loop Header: Depth=1
	s_clause 0x1
	s_load_b256 s[12:19], s[4:5], 0x4
	s_load_b128 s[36:39], s[4:5], 0x24
	s_load_b256 s[24:31], s[2:3], 0x0
	s_add_u32 s4, s4, 48
	s_addc_u32 s5, s5, 0
	s_add_i32 s9, s9, 4
	s_add_u32 s2, s2, 32
	s_addc_u32 s3, s3, 0
	s_cmp_lg_u32 s8, s9
	s_waitcnt lgkmcnt(0)
	v_mul_hi_u32 v9, s13, v7
	s_delay_alu instid0(VALU_DEP_1) | instskip(NEXT) | instid1(VALU_DEP_1)
	v_add_nc_u32_e32 v9, v7, v9
	v_lshrrev_b32_e32 v9, s14, v9
	s_delay_alu instid0(VALU_DEP_1) | instskip(SKIP_1) | instid1(VALU_DEP_2)
	v_mul_hi_u32 v10, s16, v9
	v_mul_lo_u32 v12, v9, s12
	v_add_nc_u32_e32 v10, v9, v10
	s_delay_alu instid0(VALU_DEP_2) | instskip(NEXT) | instid1(VALU_DEP_2)
	v_sub_nc_u32_e32 v7, v7, v12
	v_lshrrev_b32_e32 v10, s17, v10
	s_delay_alu instid0(VALU_DEP_2) | instskip(SKIP_1) | instid1(VALU_DEP_3)
	v_mul_lo_u32 v12, v7, s24
	v_mul_lo_u32 v14, v7, s25
	v_mul_hi_u32 v11, s19, v10
	s_delay_alu instid0(VALU_DEP_1) | instskip(NEXT) | instid1(VALU_DEP_1)
	v_add_nc_u32_e32 v11, v10, v11
	v_lshrrev_b32_e32 v11, s36, v11
	s_delay_alu instid0(VALU_DEP_1) | instskip(SKIP_1) | instid1(VALU_DEP_2)
	v_mul_hi_u32 v13, s38, v11
	v_mul_lo_u32 v15, v11, s18
	v_add_nc_u32_e32 v7, v11, v13
	v_mul_lo_u32 v13, v10, s15
	s_delay_alu instid0(VALU_DEP_3) | instskip(NEXT) | instid1(VALU_DEP_3)
	v_sub_nc_u32_e32 v10, v10, v15
	v_lshrrev_b32_e32 v7, s39, v7
	s_delay_alu instid0(VALU_DEP_2) | instskip(SKIP_2) | instid1(VALU_DEP_4)
	v_mul_lo_u32 v15, v10, s28
	v_mul_lo_u32 v10, v10, s29
	v_sub_nc_u32_e32 v9, v9, v13
	v_mul_lo_u32 v16, v7, s37
	s_delay_alu instid0(VALU_DEP_2) | instskip(SKIP_1) | instid1(VALU_DEP_3)
	v_mul_lo_u32 v13, v9, s26
	v_mul_lo_u32 v9, v9, s27
	v_sub_nc_u32_e32 v11, v11, v16
	s_delay_alu instid0(VALU_DEP_3) | instskip(NEXT) | instid1(VALU_DEP_2)
	v_add3_u32 v1, v12, v1, v13
	v_mul_lo_u32 v16, v11, s30
	v_mul_lo_u32 v11, v11, s31
	v_add3_u32 v3, v14, v3, v9
	s_delay_alu instid0(VALU_DEP_3) | instskip(NEXT) | instid1(VALU_DEP_2)
	v_add3_u32 v1, v15, v1, v16
	v_add3_u32 v3, v10, v3, v11
	s_cbranch_scc1 .LBB111_33
; %bb.34:
	s_and_b32 s7, s7, 3
	s_delay_alu instid0(SALU_CYCLE_1)
	s_cmp_eq_u32 s7, 0
	s_cbranch_scc0 .LBB111_37
	s_branch .LBB111_39
.LBB111_35:
	s_mov_b32 s6, -1
                                        ; implicit-def: $vgpr1
                                        ; implicit-def: $vgpr3
	s_branch .LBB111_39
.LBB111_36:
	v_mov_b32_e32 v7, v5
	v_mov_b32_e32 v3, 0
	s_and_b32 s7, s7, 3
	s_delay_alu instid0(SALU_CYCLE_1)
	s_cmp_eq_u32 s7, 0
	s_cbranch_scc1 .LBB111_39
.LBB111_37:
	s_lshl_b32 s2, s8, 3
	s_mul_i32 s4, s8, 12
	s_add_u32 s2, s2, s0
	s_addc_u32 s3, 0, s1
	s_add_u32 s2, s2, 0xc4
	s_addc_u32 s3, s3, 0
	s_add_u32 s4, s0, s4
	s_addc_u32 s5, 0, s1
	.p2align	6
.LBB111_38:                             ; =>This Inner Loop Header: Depth=1
	s_clause 0x1
	s_load_b64 s[8:9], s[4:5], 0x4
	s_load_b32 s12, s[4:5], 0xc
	s_load_b64 s[10:11], s[2:3], 0x0
	s_add_u32 s4, s4, 12
	s_addc_u32 s5, s5, 0
	s_add_u32 s2, s2, 8
	s_addc_u32 s3, s3, 0
	s_add_i32 s7, s7, -1
	s_delay_alu instid0(SALU_CYCLE_1) | instskip(SKIP_2) | instid1(VALU_DEP_1)
	s_cmp_lg_u32 s7, 0
	s_waitcnt lgkmcnt(0)
	v_mul_hi_u32 v9, s9, v7
	v_add_nc_u32_e32 v9, v7, v9
	s_delay_alu instid0(VALU_DEP_1) | instskip(NEXT) | instid1(VALU_DEP_1)
	v_lshrrev_b32_e32 v12, s12, v9
	v_mul_lo_u32 v9, v12, s8
	s_delay_alu instid0(VALU_DEP_1) | instskip(NEXT) | instid1(VALU_DEP_1)
	v_sub_nc_u32_e32 v7, v7, v9
	v_mad_u64_u32 v[9:10], null, v7, s10, v[1:2]
	v_mad_u64_u32 v[10:11], null, v7, s11, v[3:4]
	v_mov_b32_e32 v7, v12
	s_delay_alu instid0(VALU_DEP_3) | instskip(NEXT) | instid1(VALU_DEP_3)
	v_mov_b32_e32 v1, v9
	v_mov_b32_e32 v3, v10
	s_cbranch_scc1 .LBB111_38
.LBB111_39:
	s_and_not1_b32 vcc_lo, exec_lo, s6
	s_cbranch_vccnz .LBB111_42
; %bb.40:
	s_clause 0x1
	s_load_b128 s[4:7], s[0:1], 0x4
	s_load_b64 s[2:3], s[0:1], 0xc4
	s_cmp_lt_u32 s22, 2
	s_waitcnt lgkmcnt(0)
	v_mul_hi_u32 v1, s5, v5
	s_delay_alu instid0(VALU_DEP_1) | instskip(NEXT) | instid1(VALU_DEP_1)
	v_add_nc_u32_e32 v1, v5, v1
	v_lshrrev_b32_e32 v7, s6, v1
	s_delay_alu instid0(VALU_DEP_1) | instskip(NEXT) | instid1(VALU_DEP_1)
	v_mul_lo_u32 v1, v7, s4
	v_sub_nc_u32_e32 v3, v5, v1
	s_delay_alu instid0(VALU_DEP_1)
	v_mul_lo_u32 v1, v3, s2
	v_mul_lo_u32 v3, v3, s3
	s_cbranch_scc1 .LBB111_42
; %bb.41:
	s_clause 0x1
	s_load_b128 s[4:7], s[0:1], 0x10
	s_load_b64 s[2:3], s[0:1], 0xcc
	s_waitcnt lgkmcnt(0)
	v_mul_hi_u32 v5, s5, v7
	s_delay_alu instid0(VALU_DEP_1) | instskip(NEXT) | instid1(VALU_DEP_1)
	v_add_nc_u32_e32 v5, v7, v5
	v_lshrrev_b32_e32 v5, s6, v5
	s_delay_alu instid0(VALU_DEP_1) | instskip(NEXT) | instid1(VALU_DEP_1)
	v_mul_lo_u32 v5, v5, s4
	v_sub_nc_u32_e32 v5, v7, v5
	s_delay_alu instid0(VALU_DEP_1) | instskip(SKIP_1) | instid1(VALU_DEP_2)
	v_mad_u64_u32 v[9:10], null, v5, s2, v[1:2]
	v_mad_u64_u32 v[10:11], null, v5, s3, v[3:4]
	v_mov_b32_e32 v1, v9
	s_delay_alu instid0(VALU_DEP_2)
	v_mov_b32_e32 v3, v10
.LBB111_42:
	v_cmp_ne_u32_e32 vcc_lo, 1, v6
	v_add_nc_u32_e32 v7, 0x100, v4
	s_cbranch_vccnz .LBB111_48
; %bb.43:
	v_dual_mov_b32 v4, 0 :: v_dual_mov_b32 v5, 0
	s_cmp_lg_u32 s22, 0
	s_mov_b32 s6, 0
	s_cbranch_scc0 .LBB111_52
; %bb.44:
	s_min_u32 s7, s23, 15
	v_mov_b32_e32 v4, 0
	s_add_i32 s7, s7, 1
	s_cmp_eq_u32 s23, 2
	s_mov_b32 s8, 0
	s_cbranch_scc1 .LBB111_49
; %bb.45:
	v_dual_mov_b32 v5, 0 :: v_dual_mov_b32 v4, 0
	v_mov_b32_e32 v9, v7
	s_add_u32 s2, s0, 0xc4
	s_addc_u32 s3, s1, 0
	s_and_b32 s8, s7, 28
	s_mov_b32 s9, 0
	s_mov_b64 s[4:5], s[0:1]
.LBB111_46:                             ; =>This Inner Loop Header: Depth=1
	s_clause 0x1
	s_load_b256 s[12:19], s[4:5], 0x4
	s_load_b128 s[36:39], s[4:5], 0x24
	s_load_b256 s[24:31], s[2:3], 0x0
	s_add_u32 s4, s4, 48
	s_addc_u32 s5, s5, 0
	s_add_i32 s9, s9, 4
	s_add_u32 s2, s2, 32
	s_addc_u32 s3, s3, 0
	s_cmp_lg_u32 s8, s9
	s_waitcnt lgkmcnt(0)
	v_mul_hi_u32 v10, s13, v9
	s_delay_alu instid0(VALU_DEP_1) | instskip(NEXT) | instid1(VALU_DEP_1)
	v_add_nc_u32_e32 v10, v9, v10
	v_lshrrev_b32_e32 v10, s14, v10
	s_delay_alu instid0(VALU_DEP_1) | instskip(SKIP_1) | instid1(VALU_DEP_2)
	v_mul_hi_u32 v11, s16, v10
	v_mul_lo_u32 v13, v10, s12
	v_add_nc_u32_e32 v11, v10, v11
	s_delay_alu instid0(VALU_DEP_2) | instskip(NEXT) | instid1(VALU_DEP_2)
	v_sub_nc_u32_e32 v9, v9, v13
	v_lshrrev_b32_e32 v11, s17, v11
	s_delay_alu instid0(VALU_DEP_2) | instskip(SKIP_1) | instid1(VALU_DEP_3)
	v_mul_lo_u32 v13, v9, s24
	v_mul_lo_u32 v15, v9, s25
	v_mul_hi_u32 v12, s19, v11
	s_delay_alu instid0(VALU_DEP_1) | instskip(NEXT) | instid1(VALU_DEP_1)
	v_add_nc_u32_e32 v12, v11, v12
	v_lshrrev_b32_e32 v12, s36, v12
	s_delay_alu instid0(VALU_DEP_1) | instskip(SKIP_1) | instid1(VALU_DEP_2)
	v_mul_hi_u32 v14, s38, v12
	v_mul_lo_u32 v16, v12, s18
	v_add_nc_u32_e32 v9, v12, v14
	v_mul_lo_u32 v14, v11, s15
	s_delay_alu instid0(VALU_DEP_3) | instskip(NEXT) | instid1(VALU_DEP_3)
	v_sub_nc_u32_e32 v11, v11, v16
	v_lshrrev_b32_e32 v9, s39, v9
	s_delay_alu instid0(VALU_DEP_2) | instskip(SKIP_2) | instid1(VALU_DEP_4)
	v_mul_lo_u32 v16, v11, s28
	v_mul_lo_u32 v11, v11, s29
	v_sub_nc_u32_e32 v10, v10, v14
	v_mul_lo_u32 v17, v9, s37
	s_delay_alu instid0(VALU_DEP_2) | instskip(SKIP_1) | instid1(VALU_DEP_3)
	v_mul_lo_u32 v14, v10, s26
	v_mul_lo_u32 v10, v10, s27
	v_sub_nc_u32_e32 v12, v12, v17
	s_delay_alu instid0(VALU_DEP_3) | instskip(NEXT) | instid1(VALU_DEP_2)
	v_add3_u32 v4, v13, v4, v14
	v_mul_lo_u32 v17, v12, s30
	v_mul_lo_u32 v12, v12, s31
	v_add3_u32 v5, v15, v5, v10
	s_delay_alu instid0(VALU_DEP_3) | instskip(NEXT) | instid1(VALU_DEP_2)
	v_add3_u32 v4, v16, v4, v17
	v_add3_u32 v5, v11, v5, v12
	s_cbranch_scc1 .LBB111_46
; %bb.47:
	s_and_b32 s7, s7, 3
	s_delay_alu instid0(SALU_CYCLE_1)
	s_cmp_eq_u32 s7, 0
	s_cbranch_scc0 .LBB111_50
	s_branch .LBB111_52
.LBB111_48:
	s_mov_b32 s6, -1
                                        ; implicit-def: $vgpr4
                                        ; implicit-def: $vgpr5
	s_branch .LBB111_52
.LBB111_49:
	v_mov_b32_e32 v9, v7
	v_mov_b32_e32 v5, 0
	s_and_b32 s7, s7, 3
	s_delay_alu instid0(SALU_CYCLE_1)
	s_cmp_eq_u32 s7, 0
	s_cbranch_scc1 .LBB111_52
.LBB111_50:
	s_lshl_b32 s2, s8, 3
	s_mul_i32 s4, s8, 12
	s_add_u32 s2, s2, s0
	s_addc_u32 s3, 0, s1
	s_add_u32 s2, s2, 0xc4
	s_addc_u32 s3, s3, 0
	;; [unrolled: 2-line block ×3, first 2 shown]
	.p2align	6
.LBB111_51:                             ; =>This Inner Loop Header: Depth=1
	s_clause 0x1
	s_load_b64 s[8:9], s[4:5], 0x4
	s_load_b32 s12, s[4:5], 0xc
	s_load_b64 s[10:11], s[2:3], 0x0
	s_add_u32 s4, s4, 12
	s_addc_u32 s5, s5, 0
	s_add_u32 s2, s2, 8
	s_addc_u32 s3, s3, 0
	s_add_i32 s7, s7, -1
	s_delay_alu instid0(SALU_CYCLE_1) | instskip(SKIP_2) | instid1(VALU_DEP_1)
	s_cmp_lg_u32 s7, 0
	s_waitcnt lgkmcnt(0)
	v_mul_hi_u32 v10, s9, v9
	v_add_nc_u32_e32 v10, v9, v10
	s_delay_alu instid0(VALU_DEP_1) | instskip(NEXT) | instid1(VALU_DEP_1)
	v_lshrrev_b32_e32 v13, s12, v10
	v_mul_lo_u32 v10, v13, s8
	s_delay_alu instid0(VALU_DEP_1) | instskip(NEXT) | instid1(VALU_DEP_1)
	v_sub_nc_u32_e32 v9, v9, v10
	v_mad_u64_u32 v[10:11], null, v9, s10, v[4:5]
	v_mad_u64_u32 v[11:12], null, v9, s11, v[5:6]
	s_delay_alu instid0(VALU_DEP_2) | instskip(NEXT) | instid1(VALU_DEP_2)
	v_dual_mov_b32 v9, v13 :: v_dual_mov_b32 v4, v10
	v_mov_b32_e32 v5, v11
	s_cbranch_scc1 .LBB111_51
.LBB111_52:
	s_and_not1_b32 vcc_lo, exec_lo, s6
	s_cbranch_vccnz .LBB111_55
; %bb.53:
	s_clause 0x1
	s_load_b128 s[4:7], s[0:1], 0x4
	s_load_b64 s[2:3], s[0:1], 0xc4
	s_cmp_lt_u32 s22, 2
	s_waitcnt lgkmcnt(0)
	v_mul_hi_u32 v4, s5, v7
	s_delay_alu instid0(VALU_DEP_1) | instskip(NEXT) | instid1(VALU_DEP_1)
	v_add_nc_u32_e32 v4, v7, v4
	v_lshrrev_b32_e32 v9, s6, v4
	s_delay_alu instid0(VALU_DEP_1) | instskip(NEXT) | instid1(VALU_DEP_1)
	v_mul_lo_u32 v4, v9, s4
	v_sub_nc_u32_e32 v5, v7, v4
	s_delay_alu instid0(VALU_DEP_1)
	v_mul_lo_u32 v4, v5, s2
	v_mul_lo_u32 v5, v5, s3
	s_cbranch_scc1 .LBB111_55
; %bb.54:
	s_clause 0x1
	s_load_b128 s[4:7], s[0:1], 0x10
	s_load_b64 s[2:3], s[0:1], 0xcc
	s_waitcnt lgkmcnt(0)
	v_mul_hi_u32 v7, s5, v9
	s_delay_alu instid0(VALU_DEP_1) | instskip(NEXT) | instid1(VALU_DEP_1)
	v_add_nc_u32_e32 v7, v9, v7
	v_lshrrev_b32_e32 v7, s6, v7
	s_delay_alu instid0(VALU_DEP_1) | instskip(NEXT) | instid1(VALU_DEP_1)
	v_mul_lo_u32 v7, v7, s4
	v_sub_nc_u32_e32 v7, v9, v7
	s_delay_alu instid0(VALU_DEP_1) | instskip(SKIP_1) | instid1(VALU_DEP_1)
	v_mad_u64_u32 v[9:10], null, v7, s2, v[4:5]
	v_mad_u64_u32 v[10:11], null, v7, s3, v[5:6]
	v_dual_mov_b32 v4, v9 :: v_dual_mov_b32 v5, v10
.LBB111_55:
	v_cmp_ne_u32_e32 vcc_lo, 1, v6
	s_cbranch_vccnz .LBB111_61
; %bb.56:
	v_dual_mov_b32 v6, 0 :: v_dual_mov_b32 v7, 0
	s_cmp_lg_u32 s22, 0
	s_mov_b32 s6, 0
	s_cbranch_scc0 .LBB111_65
; %bb.57:
	s_min_u32 s7, s23, 15
	v_mov_b32_e32 v6, 0
	s_add_i32 s7, s7, 1
	s_cmp_eq_u32 s23, 2
	s_mov_b32 s8, 0
	s_cbranch_scc1 .LBB111_62
; %bb.58:
	v_dual_mov_b32 v7, 0 :: v_dual_mov_b32 v6, 0
	v_mov_b32_e32 v9, v8
	s_add_u32 s2, s0, 0xc4
	s_addc_u32 s3, s1, 0
	s_and_b32 s8, s7, 28
	s_mov_b32 s9, 0
	s_mov_b64 s[4:5], s[0:1]
.LBB111_59:                             ; =>This Inner Loop Header: Depth=1
	s_clause 0x1
	s_load_b256 s[12:19], s[4:5], 0x4
	s_load_b128 s[36:39], s[4:5], 0x24
	s_load_b256 s[24:31], s[2:3], 0x0
	s_add_u32 s4, s4, 48
	s_addc_u32 s5, s5, 0
	s_add_i32 s9, s9, 4
	s_add_u32 s2, s2, 32
	s_addc_u32 s3, s3, 0
	s_cmp_lg_u32 s8, s9
	s_waitcnt lgkmcnt(0)
	v_mul_hi_u32 v10, s13, v9
	s_delay_alu instid0(VALU_DEP_1) | instskip(NEXT) | instid1(VALU_DEP_1)
	v_add_nc_u32_e32 v10, v9, v10
	v_lshrrev_b32_e32 v10, s14, v10
	s_delay_alu instid0(VALU_DEP_1) | instskip(SKIP_1) | instid1(VALU_DEP_2)
	v_mul_hi_u32 v11, s16, v10
	v_mul_lo_u32 v13, v10, s12
	v_add_nc_u32_e32 v11, v10, v11
	s_delay_alu instid0(VALU_DEP_2) | instskip(NEXT) | instid1(VALU_DEP_2)
	v_sub_nc_u32_e32 v9, v9, v13
	v_lshrrev_b32_e32 v11, s17, v11
	s_delay_alu instid0(VALU_DEP_2) | instskip(SKIP_1) | instid1(VALU_DEP_3)
	v_mul_lo_u32 v13, v9, s24
	v_mul_lo_u32 v15, v9, s25
	v_mul_hi_u32 v12, s19, v11
	s_delay_alu instid0(VALU_DEP_1) | instskip(NEXT) | instid1(VALU_DEP_1)
	v_add_nc_u32_e32 v12, v11, v12
	v_lshrrev_b32_e32 v12, s36, v12
	s_delay_alu instid0(VALU_DEP_1) | instskip(SKIP_1) | instid1(VALU_DEP_2)
	v_mul_hi_u32 v14, s38, v12
	v_mul_lo_u32 v16, v12, s18
	v_add_nc_u32_e32 v9, v12, v14
	v_mul_lo_u32 v14, v11, s15
	s_delay_alu instid0(VALU_DEP_3) | instskip(NEXT) | instid1(VALU_DEP_3)
	v_sub_nc_u32_e32 v11, v11, v16
	v_lshrrev_b32_e32 v9, s39, v9
	s_delay_alu instid0(VALU_DEP_2) | instskip(SKIP_2) | instid1(VALU_DEP_4)
	v_mul_lo_u32 v16, v11, s28
	v_mul_lo_u32 v11, v11, s29
	v_sub_nc_u32_e32 v10, v10, v14
	v_mul_lo_u32 v17, v9, s37
	s_delay_alu instid0(VALU_DEP_2) | instskip(SKIP_1) | instid1(VALU_DEP_3)
	v_mul_lo_u32 v14, v10, s26
	v_mul_lo_u32 v10, v10, s27
	v_sub_nc_u32_e32 v12, v12, v17
	s_delay_alu instid0(VALU_DEP_3) | instskip(NEXT) | instid1(VALU_DEP_2)
	v_add3_u32 v6, v13, v6, v14
	v_mul_lo_u32 v17, v12, s30
	v_mul_lo_u32 v12, v12, s31
	v_add3_u32 v7, v15, v7, v10
	s_delay_alu instid0(VALU_DEP_3) | instskip(NEXT) | instid1(VALU_DEP_2)
	v_add3_u32 v6, v16, v6, v17
	v_add3_u32 v7, v11, v7, v12
	s_cbranch_scc1 .LBB111_59
; %bb.60:
	s_and_b32 s7, s7, 3
	s_delay_alu instid0(SALU_CYCLE_1)
	s_cmp_eq_u32 s7, 0
	s_cbranch_scc0 .LBB111_63
	s_branch .LBB111_65
.LBB111_61:
	s_mov_b32 s6, -1
                                        ; implicit-def: $vgpr6
                                        ; implicit-def: $vgpr7
	s_branch .LBB111_65
.LBB111_62:
	v_mov_b32_e32 v9, v8
	v_mov_b32_e32 v7, 0
	s_and_b32 s7, s7, 3
	s_delay_alu instid0(SALU_CYCLE_1)
	s_cmp_eq_u32 s7, 0
	s_cbranch_scc1 .LBB111_65
.LBB111_63:
	s_lshl_b32 s2, s8, 3
	s_mul_i32 s4, s8, 12
	s_add_u32 s2, s2, s0
	s_addc_u32 s3, 0, s1
	s_add_u32 s2, s2, 0xc4
	s_addc_u32 s3, s3, 0
	;; [unrolled: 2-line block ×3, first 2 shown]
	.p2align	6
.LBB111_64:                             ; =>This Inner Loop Header: Depth=1
	s_clause 0x1
	s_load_b64 s[8:9], s[4:5], 0x4
	s_load_b32 s12, s[4:5], 0xc
	s_load_b64 s[10:11], s[2:3], 0x0
	s_add_u32 s4, s4, 12
	s_addc_u32 s5, s5, 0
	s_add_u32 s2, s2, 8
	s_addc_u32 s3, s3, 0
	s_add_i32 s7, s7, -1
	s_delay_alu instid0(SALU_CYCLE_1) | instskip(SKIP_2) | instid1(VALU_DEP_1)
	s_cmp_lg_u32 s7, 0
	s_waitcnt lgkmcnt(0)
	v_mul_hi_u32 v10, s9, v9
	v_add_nc_u32_e32 v10, v9, v10
	s_delay_alu instid0(VALU_DEP_1) | instskip(NEXT) | instid1(VALU_DEP_1)
	v_lshrrev_b32_e32 v13, s12, v10
	v_mul_lo_u32 v10, v13, s8
	s_delay_alu instid0(VALU_DEP_1) | instskip(NEXT) | instid1(VALU_DEP_1)
	v_sub_nc_u32_e32 v9, v9, v10
	v_mad_u64_u32 v[10:11], null, v9, s10, v[6:7]
	v_mad_u64_u32 v[11:12], null, v9, s11, v[7:8]
	s_delay_alu instid0(VALU_DEP_2) | instskip(NEXT) | instid1(VALU_DEP_2)
	v_dual_mov_b32 v9, v13 :: v_dual_mov_b32 v6, v10
	v_mov_b32_e32 v7, v11
	s_cbranch_scc1 .LBB111_64
.LBB111_65:
	s_and_not1_b32 vcc_lo, exec_lo, s6
	s_cbranch_vccnz .LBB111_68
; %bb.66:
	s_clause 0x1
	s_load_b128 s[4:7], s[0:1], 0x4
	s_load_b64 s[2:3], s[0:1], 0xc4
	s_cmp_lt_u32 s22, 2
	s_waitcnt lgkmcnt(0)
	v_mul_hi_u32 v6, s5, v8
	s_delay_alu instid0(VALU_DEP_1) | instskip(NEXT) | instid1(VALU_DEP_1)
	v_add_nc_u32_e32 v6, v8, v6
	v_lshrrev_b32_e32 v9, s6, v6
	s_delay_alu instid0(VALU_DEP_1) | instskip(NEXT) | instid1(VALU_DEP_1)
	v_mul_lo_u32 v6, v9, s4
	v_sub_nc_u32_e32 v7, v8, v6
	s_delay_alu instid0(VALU_DEP_1)
	v_mul_lo_u32 v6, v7, s2
	v_mul_lo_u32 v7, v7, s3
	s_cbranch_scc1 .LBB111_68
; %bb.67:
	s_clause 0x1
	s_load_b128 s[4:7], s[0:1], 0x10
	s_load_b64 s[2:3], s[0:1], 0xcc
	s_waitcnt lgkmcnt(0)
	v_mul_hi_u32 v8, s5, v9
	s_delay_alu instid0(VALU_DEP_1) | instskip(NEXT) | instid1(VALU_DEP_1)
	v_add_nc_u32_e32 v8, v9, v8
	v_lshrrev_b32_e32 v8, s6, v8
	s_delay_alu instid0(VALU_DEP_1) | instskip(NEXT) | instid1(VALU_DEP_1)
	v_mul_lo_u32 v8, v8, s4
	v_sub_nc_u32_e32 v11, v9, v8
	s_delay_alu instid0(VALU_DEP_1) | instskip(NEXT) | instid1(VALU_DEP_1)
	v_mad_u64_u32 v[8:9], null, v11, s2, v[6:7]
	v_mad_u64_u32 v[9:10], null, v11, s3, v[7:8]
	s_delay_alu instid0(VALU_DEP_1)
	v_dual_mov_b32 v6, v8 :: v_dual_mov_b32 v7, v9
.LBB111_68:
	s_load_b128 s[12:15], s[0:1], 0x148
	s_mov_b32 s0, 0x652b82fe
	s_mov_b32 s1, 0x3ff71547
	;; [unrolled: 1-line block ×8, first 2 shown]
	s_waitcnt lgkmcnt(0)
	s_clause 0x3
	global_load_b64 v[8:9], v2, s[14:15]
	global_load_b64 v[2:3], v3, s[14:15]
	;; [unrolled: 1-line block ×4, first 2 shown]
	s_waitcnt vmcnt(3)
	v_mul_f64 v[14:15], v[8:9], s[0:1]
	s_waitcnt vmcnt(2)
	v_mul_f64 v[16:17], v[2:3], s[0:1]
	s_waitcnt vmcnt(1)
	v_mul_f64 v[18:19], v[10:11], s[0:1]
	s_waitcnt vmcnt(0)
	v_mul_f64 v[20:21], v[12:13], s[0:1]
	s_mov_b32 s0, 0x3b39803f
	s_mov_b32 s1, 0xbc7abc9e
	v_cmp_nlt_f64_e64 s7, s[10:11], v[10:11]
	v_cmp_nlt_f64_e64 s9, s[10:11], v[12:13]
	v_cmp_ngt_f64_e64 s6, 0xc0428000, v[2:3]
	v_cmp_ngt_f64_e64 s8, 0xc0428000, v[10:11]
	v_rndne_f64_e32 v[14:15], v[14:15]
	v_rndne_f64_e32 v[16:17], v[16:17]
	;; [unrolled: 1-line block ×4, first 2 shown]
	s_delay_alu instid0(VALU_DEP_4) | instskip(NEXT) | instid1(VALU_DEP_4)
	v_fma_f64 v[22:23], v[14:15], s[4:5], v[8:9]
	v_fma_f64 v[24:25], v[16:17], s[4:5], v[2:3]
	s_delay_alu instid0(VALU_DEP_4) | instskip(NEXT) | instid1(VALU_DEP_4)
	v_fma_f64 v[26:27], v[18:19], s[4:5], v[10:11]
	v_fma_f64 v[28:29], v[20:21], s[4:5], v[12:13]
	v_cvt_i32_f64_e32 v5, v[14:15]
	v_cvt_i32_f64_e32 v38, v[18:19]
	v_cmp_eq_f64_e32 vcc_lo, 0x40900000, v[14:15]
	v_cvt_i32_f64_e32 v7, v[16:17]
	v_cvt_i32_f64_e32 v39, v[20:21]
	v_cmp_nlt_f64_e64 s5, s[10:11], v[2:3]
	v_cmp_ngt_f64_e64 s4, 0xc0428000, v[8:9]
	v_fma_f64 v[22:23], v[14:15], s[0:1], v[22:23]
	v_fma_f64 v[24:25], v[16:17], s[0:1], v[24:25]
	;; [unrolled: 1-line block ×4, first 2 shown]
	s_mov_b32 s0, 0x2a1b768b
	s_mov_b32 s1, 0x3e5af4eb
	v_cndmask_b32_e64 v5, v5, 0x3ff, vcc_lo
	s_delay_alu instid0(VALU_DEP_1)
	v_ldexp_f64 v[14:15], 1.0, v5
	v_fma_f64 v[30:31], v[22:23], s[2:3], s[0:1]
	v_fma_f64 v[32:33], v[24:25], s[2:3], s[0:1]
	;; [unrolled: 1-line block ×4, first 2 shown]
	s_mov_b32 s0, 0xe0ac05b
	s_mov_b32 s1, 0x3e927e50
	v_cmp_eq_f64_e64 s2, 0x40900000, v[20:21]
	v_cmp_nlt_f64_e64 s3, s[10:11], v[8:9]
	v_cmp_ngt_f64_e64 s10, 0xc0428000, v[12:13]
	v_fma_f64 v[30:31], v[22:23], v[30:31], s[0:1]
	v_fma_f64 v[32:33], v[24:25], v[32:33], s[0:1]
	;; [unrolled: 1-line block ×4, first 2 shown]
	s_mov_b32 s0, 0x1b889c29
	s_mov_b32 s1, 0x3ec71de0
	v_cndmask_b32_e64 v20, v39, 0x3ff, s2
	s_delay_alu instid0(VALU_DEP_1)
	v_ldexp_f64 v[20:21], 1.0, v20
	v_fma_f64 v[30:31], v[22:23], v[30:31], s[0:1]
	v_fma_f64 v[32:33], v[24:25], v[32:33], s[0:1]
	;; [unrolled: 1-line block ×4, first 2 shown]
	s_mov_b32 s0, 0x197bcfd8
	s_mov_b32 s1, 0x3efa01a0
	v_add_f64 v[44:45], v[20:21], -1.0
	v_fma_f64 v[30:31], v[22:23], v[30:31], s[0:1]
	v_fma_f64 v[32:33], v[24:25], v[32:33], s[0:1]
	;; [unrolled: 1-line block ×4, first 2 shown]
	s_mov_b32 s0, 0x1ac1a723
	s_mov_b32 s1, 0x3f2a01a0
	s_delay_alu instid0(VALU_DEP_4) | instid1(SALU_CYCLE_1)
	v_fma_f64 v[30:31], v[22:23], v[30:31], s[0:1]
	s_delay_alu instid0(VALU_DEP_4) | instskip(NEXT) | instid1(VALU_DEP_4)
	v_fma_f64 v[32:33], v[24:25], v[32:33], s[0:1]
	v_fma_f64 v[34:35], v[26:27], v[34:35], s[0:1]
	s_delay_alu instid0(VALU_DEP_4)
	v_fma_f64 v[36:37], v[28:29], v[36:37], s[0:1]
	s_mov_b32 s0, 0x16c18931
	s_mov_b32 s1, 0x3f56c16c
	s_delay_alu instid0(VALU_DEP_4) | instid1(SALU_CYCLE_1)
	v_fma_f64 v[30:31], v[22:23], v[30:31], s[0:1]
	s_delay_alu instid0(VALU_DEP_4) | instskip(NEXT) | instid1(VALU_DEP_4)
	v_fma_f64 v[32:33], v[24:25], v[32:33], s[0:1]
	v_fma_f64 v[34:35], v[26:27], v[34:35], s[0:1]
	s_delay_alu instid0(VALU_DEP_4)
	v_fma_f64 v[36:37], v[28:29], v[36:37], s[0:1]
	;; [unrolled: 9-line block ×5, first 2 shown]
	v_cmp_eq_f64_e64 s1, 0x40900000, v[18:19]
	v_cmp_eq_f64_e64 s0, 0x40900000, v[16:17]
	v_fma_f64 v[30:31], v[22:23], v[30:31], 0.5
	v_fma_f64 v[32:33], v[24:25], v[32:33], 0.5
	;; [unrolled: 1-line block ×4, first 2 shown]
	v_cndmask_b32_e64 v18, v38, 0x3ff, s1
	v_cndmask_b32_e64 v7, v7, 0x3ff, s0
	v_add_f64 v[38:39], v[14:15], -1.0
	s_delay_alu instid0(VALU_DEP_3) | instskip(NEXT) | instid1(VALU_DEP_3)
	v_ldexp_f64 v[18:19], 1.0, v18
	v_ldexp_f64 v[16:17], 1.0, v7
	v_mul_f64 v[30:31], v[22:23], v[30:31]
	v_mul_f64 v[32:33], v[24:25], v[32:33]
	;; [unrolled: 1-line block ×4, first 2 shown]
	v_add_f64 v[42:43], v[18:19], -1.0
	v_add_f64 v[40:41], v[16:17], -1.0
	v_fma_f64 v[22:23], v[22:23], v[30:31], v[22:23]
	v_fma_f64 v[24:25], v[24:25], v[32:33], v[24:25]
	;; [unrolled: 1-line block ×4, first 2 shown]
	s_delay_alu instid0(VALU_DEP_4) | instskip(NEXT) | instid1(VALU_DEP_4)
	v_fma_f64 v[14:15], v[14:15], v[22:23], v[38:39]
	v_fma_f64 v[16:17], v[16:17], v[24:25], v[40:41]
	s_delay_alu instid0(VALU_DEP_4) | instskip(NEXT) | instid1(VALU_DEP_4)
	v_fma_f64 v[18:19], v[18:19], v[26:27], v[42:43]
	v_fma_f64 v[20:21], v[20:21], v[28:29], v[44:45]
	s_delay_alu instid0(VALU_DEP_4) | instskip(NEXT) | instid1(VALU_DEP_4)
	v_add_f64 v[22:23], v[14:15], v[14:15]
	v_add_f64 v[24:25], v[16:17], v[16:17]
	s_delay_alu instid0(VALU_DEP_4) | instskip(NEXT) | instid1(VALU_DEP_4)
	v_add_f64 v[26:27], v[18:19], v[18:19]
	v_add_f64 v[28:29], v[20:21], v[20:21]
	s_delay_alu instid0(VALU_DEP_4) | instskip(NEXT) | instid1(VALU_DEP_4)
	v_cndmask_b32_e32 v5, v15, v23, vcc_lo
	v_cndmask_b32_e64 v7, v17, v25, s0
	s_delay_alu instid0(VALU_DEP_4) | instskip(NEXT) | instid1(VALU_DEP_4)
	v_cndmask_b32_e64 v15, v19, v27, s1
	v_cndmask_b32_e64 v17, v21, v29, s2
	v_cndmask_b32_e32 v11, v14, v22, vcc_lo
	v_cndmask_b32_e64 v13, v16, v24, s0
	v_cndmask_b32_e64 v7, 0x7ff00000, v7, s5
	;; [unrolled: 1-line block ×4, first 2 shown]
	s_and_b32 vcc_lo, s4, s3
	v_cndmask_b32_e64 v9, 0x7ff00000, v17, s9
	v_cndmask_b32_e64 v14, v18, v26, s1
	;; [unrolled: 1-line block ×3, first 2 shown]
	v_cndmask_b32_e32 v2, 0, v11, vcc_lo
	s_and_b32 vcc_lo, s6, s5
	v_cndmask_b32_e64 v15, v20, v28, s2
	v_cndmask_b32_e64 v8, 0xbff00000, v7, s6
	v_cndmask_b32_e32 v7, 0, v13, vcc_lo
	s_and_b32 vcc_lo, s8, s7
	v_cndmask_b32_e64 v3, 0xbff00000, v5, s4
	v_cndmask_b32_e64 v12, 0xbff00000, v9, s10
	v_cndmask_b32_e32 v9, 0, v14, vcc_lo
	s_and_b32 vcc_lo, s10, s9
	v_cndmask_b32_e32 v11, 0, v15, vcc_lo
	s_clause 0x3
	global_store_b64 v0, v[2:3], s[12:13]
	global_store_b64 v1, v[7:8], s[12:13]
	global_store_b64 v4, v[9:10], s[12:13]
	global_store_b64 v6, v[11:12], s[12:13]
	s_nop 0
	s_sendmsg sendmsg(MSG_DEALLOC_VGPRS)
	s_endpgm
.LBB111_69:
	v_dual_mov_b32 v2, v4 :: v_dual_mov_b32 v1, 0
.LBB111_70:
	s_and_b32 s34, s34, 3
	s_delay_alu instid0(SALU_CYCLE_1)
	s_cmp_eq_u32 s34, 0
	s_cbranch_scc1 .LBB111_73
; %bb.71:
	s_lshl_b32 s2, s33, 3
	s_mul_i32 s20, s33, 12
	s_add_u32 s2, s2, s0
	s_addc_u32 s3, s1, 0
	s_add_u32 s2, s2, 0xc4
	s_addc_u32 s3, s3, 0
	;; [unrolled: 2-line block ×3, first 2 shown]
	.p2align	6
.LBB111_72:                             ; =>This Inner Loop Header: Depth=1
	s_clause 0x1
	s_load_b64 s[36:37], s[20:21], 0x4
	s_load_b32 s33, s[20:21], 0xc
	s_load_b64 s[38:39], s[2:3], 0x0
	s_add_u32 s20, s20, 12
	s_addc_u32 s21, s21, 0
	s_add_u32 s2, s2, 8
	s_addc_u32 s3, s3, 0
	s_add_i32 s34, s34, -1
	s_delay_alu instid0(SALU_CYCLE_1) | instskip(SKIP_2) | instid1(VALU_DEP_1)
	s_cmp_lg_u32 s34, 0
	s_waitcnt lgkmcnt(0)
	v_mul_hi_u32 v3, s37, v2
	v_add_nc_u32_e32 v3, v2, v3
	s_delay_alu instid0(VALU_DEP_1) | instskip(NEXT) | instid1(VALU_DEP_1)
	v_lshrrev_b32_e32 v3, s33, v3
	v_mul_lo_u32 v5, v3, s36
	s_delay_alu instid0(VALU_DEP_1) | instskip(NEXT) | instid1(VALU_DEP_1)
	v_sub_nc_u32_e32 v2, v2, v5
	v_mad_u64_u32 v[5:6], null, v2, s38, v[0:1]
	v_mad_u64_u32 v[6:7], null, v2, s39, v[1:2]
	v_mov_b32_e32 v2, v3
	s_delay_alu instid0(VALU_DEP_2)
	v_dual_mov_b32 v0, v5 :: v_dual_mov_b32 v1, v6
	s_cbranch_scc1 .LBB111_72
.LBB111_73:
	s_and_not1_b32 vcc_lo, exec_lo, s31
	s_cbranch_vccnz .LBB111_76
; %bb.74:
	s_waitcnt lgkmcnt(0)
	v_mul_hi_u32 v0, s13, v4
	s_and_not1_b32 vcc_lo, exec_lo, s26
	s_delay_alu instid0(VALU_DEP_1) | instskip(NEXT) | instid1(VALU_DEP_1)
	v_add_nc_u32_e32 v0, v4, v0
	v_lshrrev_b32_e32 v2, s14, v0
	s_delay_alu instid0(VALU_DEP_1) | instskip(NEXT) | instid1(VALU_DEP_1)
	v_mul_lo_u32 v0, v2, s12
	v_sub_nc_u32_e32 v1, v4, v0
	s_delay_alu instid0(VALU_DEP_1)
	v_mul_lo_u32 v0, v1, s8
	v_mul_lo_u32 v1, v1, s9
	s_cbranch_vccnz .LBB111_76
; %bb.75:
	v_mul_hi_u32 v3, s16, v2
	s_delay_alu instid0(VALU_DEP_1) | instskip(NEXT) | instid1(VALU_DEP_1)
	v_add_nc_u32_e32 v3, v2, v3
	v_lshrrev_b32_e32 v3, s17, v3
	s_delay_alu instid0(VALU_DEP_1) | instskip(NEXT) | instid1(VALU_DEP_1)
	v_mul_lo_u32 v3, v3, s15
	v_sub_nc_u32_e32 v7, v2, v3
	s_delay_alu instid0(VALU_DEP_1) | instskip(NEXT) | instid1(VALU_DEP_1)
	v_mad_u64_u32 v[2:3], null, v7, s10, v[0:1]
	v_mad_u64_u32 v[5:6], null, v7, s11, v[1:2]
	s_delay_alu instid0(VALU_DEP_1)
	v_dual_mov_b32 v0, v2 :: v_dual_mov_b32 v1, v5
.LBB111_76:
	s_waitcnt lgkmcnt(0)
	global_load_b64 v[1:2], v1, s[6:7]
	s_mov_b32 s2, 0x652b82fe
	s_mov_b32 s3, 0x3ff71547
	;; [unrolled: 1-line block ×6, first 2 shown]
	v_add_nc_u32_e32 v4, 0x80, v4
	s_waitcnt vmcnt(0)
	v_mul_f64 v[5:6], v[1:2], s[2:3]
	s_mov_b32 s3, 0xbfe62e42
	s_mov_b32 s2, 0xfefa39ef
	s_delay_alu instid0(VALU_DEP_1) | instskip(NEXT) | instid1(VALU_DEP_1)
	v_rndne_f64_e32 v[5:6], v[5:6]
	v_fma_f64 v[7:8], v[5:6], s[2:3], v[1:2]
	v_cvt_i32_f64_e32 v3, v[5:6]
	v_cmp_eq_f64_e32 vcc_lo, 0x40900000, v[5:6]
	s_mov_b32 s3, 0x40862e42
	s_delay_alu instid0(SALU_CYCLE_1)
	v_cmp_nlt_f64_e64 s2, s[2:3], v[1:2]
	v_cmp_ngt_f64_e64 s3, 0xc0428000, v[1:2]
	v_fma_f64 v[7:8], v[5:6], s[20:21], v[7:8]
	s_mov_b32 s20, 0x2a1b768b
	s_mov_b32 s21, 0x3e5af4eb
	v_cndmask_b32_e64 v3, v3, 0x3ff, vcc_lo
	s_delay_alu instid0(VALU_DEP_1) | instskip(NEXT) | instid1(VALU_DEP_3)
	v_ldexp_f64 v[5:6], 1.0, v3
	v_fma_f64 v[9:10], v[7:8], s[34:35], s[20:21]
	s_mov_b32 s20, 0xe0ac05b
	s_mov_b32 s21, 0x3e927e50
	s_delay_alu instid0(VALU_DEP_2) | instskip(NEXT) | instid1(VALU_DEP_2)
	v_add_f64 v[11:12], v[5:6], -1.0
	v_fma_f64 v[9:10], v[7:8], v[9:10], s[20:21]
	s_mov_b32 s20, 0x1b889c29
	s_mov_b32 s21, 0x3ec71de0
	s_delay_alu instid0(VALU_DEP_1) | instid1(SALU_CYCLE_1)
	v_fma_f64 v[9:10], v[7:8], v[9:10], s[20:21]
	s_mov_b32 s20, 0x197bcfd8
	s_mov_b32 s21, 0x3efa01a0
	s_delay_alu instid0(VALU_DEP_1) | instid1(SALU_CYCLE_1)
	;; [unrolled: 4-line block ×7, first 2 shown]
	v_fma_f64 v[9:10], v[7:8], v[9:10], s[20:21]
	s_delay_alu instid0(VALU_DEP_1) | instskip(NEXT) | instid1(VALU_DEP_1)
	v_fma_f64 v[9:10], v[7:8], v[9:10], 0.5
	v_mul_f64 v[9:10], v[7:8], v[9:10]
	s_delay_alu instid0(VALU_DEP_1) | instskip(NEXT) | instid1(VALU_DEP_1)
	v_fma_f64 v[7:8], v[7:8], v[9:10], v[7:8]
	v_fma_f64 v[5:6], v[5:6], v[7:8], v[11:12]
	s_delay_alu instid0(VALU_DEP_1) | instskip(NEXT) | instid1(VALU_DEP_1)
	v_add_f64 v[7:8], v[5:6], v[5:6]
	v_cndmask_b32_e32 v3, v6, v8, vcc_lo
	s_delay_alu instid0(VALU_DEP_2) | instskip(SKIP_1) | instid1(VALU_DEP_2)
	v_cndmask_b32_e32 v1, v5, v7, vcc_lo
	s_and_b32 vcc_lo, s3, s2
	v_cndmask_b32_e64 v3, 0x7ff00000, v3, s2
	s_delay_alu instid0(VALU_DEP_2) | instskip(NEXT) | instid1(VALU_DEP_2)
	v_cndmask_b32_e32 v1, 0, v1, vcc_lo
	v_cndmask_b32_e64 v2, 0xbff00000, v3, s3
	global_store_b64 v0, v[1:2], s[4:5]
	s_or_b32 exec_lo, exec_lo, s30
	s_delay_alu instid0(SALU_CYCLE_1)
	s_mov_b32 s30, exec_lo
	v_cmpx_gt_i32_e64 s27, v4
	s_cbranch_execnz .LBB111_15
.LBB111_77:
	s_or_b32 exec_lo, exec_lo, s30
	s_delay_alu instid0(SALU_CYCLE_1)
	s_mov_b32 s30, exec_lo
	v_cmpx_gt_i32_e64 s27, v4
	s_cbranch_execz .LBB111_92
.LBB111_78:
	s_and_not1_b32 vcc_lo, exec_lo, s24
	s_cbranch_vccnz .LBB111_83
; %bb.79:
	v_dual_mov_b32 v0, 0 :: v_dual_mov_b32 v1, 0
	s_and_not1_b32 vcc_lo, exec_lo, s29
	s_mov_b32 s31, 0
	s_cbranch_vccnz .LBB111_99
; %bb.80:
	v_mov_b32_e32 v0, 0
	s_add_i32 s34, s28, 1
	s_cmp_eq_u32 s23, 2
	s_mov_b32 s33, 0
	s_cbranch_scc1 .LBB111_95
; %bb.81:
	v_dual_mov_b32 v1, 0 :: v_dual_mov_b32 v0, 0
	v_mov_b32_e32 v2, v4
	s_and_b32 s33, s34, 28
	s_mov_b32 s35, 0
	s_mov_b64 s[2:3], s[18:19]
	s_mov_b64 s[20:21], s[0:1]
.LBB111_82:                             ; =>This Inner Loop Header: Depth=1
	s_clause 0x1
	s_load_b256 s[36:43], s[20:21], 0x4
	s_load_b128 s[52:55], s[20:21], 0x24
	s_load_b256 s[44:51], s[2:3], 0x0
	s_add_u32 s20, s20, 48
	s_addc_u32 s21, s21, 0
	s_add_i32 s35, s35, 4
	s_add_u32 s2, s2, 32
	s_addc_u32 s3, s3, 0
	s_cmp_eq_u32 s33, s35
	s_waitcnt lgkmcnt(0)
	v_mul_hi_u32 v3, s37, v2
	s_delay_alu instid0(VALU_DEP_1) | instskip(NEXT) | instid1(VALU_DEP_1)
	v_add_nc_u32_e32 v3, v2, v3
	v_lshrrev_b32_e32 v3, s38, v3
	s_delay_alu instid0(VALU_DEP_1) | instskip(SKIP_1) | instid1(VALU_DEP_2)
	v_mul_hi_u32 v5, s40, v3
	v_mul_lo_u32 v7, v3, s36
	v_add_nc_u32_e32 v5, v3, v5
	s_delay_alu instid0(VALU_DEP_2) | instskip(NEXT) | instid1(VALU_DEP_2)
	v_sub_nc_u32_e32 v2, v2, v7
	v_lshrrev_b32_e32 v5, s41, v5
	s_delay_alu instid0(VALU_DEP_2) | instskip(SKIP_1) | instid1(VALU_DEP_3)
	v_mul_lo_u32 v7, v2, s44
	v_mul_lo_u32 v9, v2, s45
	v_mul_hi_u32 v6, s43, v5
	s_delay_alu instid0(VALU_DEP_1) | instskip(NEXT) | instid1(VALU_DEP_1)
	v_add_nc_u32_e32 v6, v5, v6
	v_lshrrev_b32_e32 v6, s52, v6
	s_delay_alu instid0(VALU_DEP_1) | instskip(SKIP_1) | instid1(VALU_DEP_2)
	v_mul_hi_u32 v8, s54, v6
	v_mul_lo_u32 v10, v6, s42
	v_add_nc_u32_e32 v2, v6, v8
	v_mul_lo_u32 v8, v5, s39
	s_delay_alu instid0(VALU_DEP_3) | instskip(NEXT) | instid1(VALU_DEP_3)
	v_sub_nc_u32_e32 v5, v5, v10
	v_lshrrev_b32_e32 v2, s55, v2
	s_delay_alu instid0(VALU_DEP_2) | instskip(SKIP_2) | instid1(VALU_DEP_4)
	v_mul_lo_u32 v10, v5, s48
	v_mul_lo_u32 v5, v5, s49
	v_sub_nc_u32_e32 v3, v3, v8
	v_mul_lo_u32 v11, v2, s53
	s_delay_alu instid0(VALU_DEP_2) | instskip(SKIP_1) | instid1(VALU_DEP_3)
	v_mul_lo_u32 v8, v3, s46
	v_mul_lo_u32 v3, v3, s47
	v_sub_nc_u32_e32 v6, v6, v11
	s_delay_alu instid0(VALU_DEP_3) | instskip(NEXT) | instid1(VALU_DEP_2)
	v_add3_u32 v0, v7, v0, v8
	v_mul_lo_u32 v11, v6, s50
	v_mul_lo_u32 v6, v6, s51
	v_add3_u32 v1, v9, v1, v3
	s_delay_alu instid0(VALU_DEP_3) | instskip(NEXT) | instid1(VALU_DEP_2)
	v_add3_u32 v0, v10, v0, v11
	v_add3_u32 v1, v5, v1, v6
	s_cbranch_scc0 .LBB111_82
	s_branch .LBB111_96
.LBB111_83:
	s_mov_b32 s31, -1
                                        ; implicit-def: $vgpr0
                                        ; implicit-def: $vgpr1
	s_branch .LBB111_99
.LBB111_84:
	v_dual_mov_b32 v2, v4 :: v_dual_mov_b32 v1, 0
.LBB111_85:
	s_and_b32 s34, s34, 3
	s_delay_alu instid0(SALU_CYCLE_1)
	s_cmp_eq_u32 s34, 0
	s_cbranch_scc1 .LBB111_88
; %bb.86:
	s_lshl_b32 s2, s33, 3
	s_mul_i32 s20, s33, 12
	s_add_u32 s2, s2, s0
	s_addc_u32 s3, s1, 0
	s_add_u32 s2, s2, 0xc4
	s_addc_u32 s3, s3, 0
	;; [unrolled: 2-line block ×3, first 2 shown]
	.p2align	6
.LBB111_87:                             ; =>This Inner Loop Header: Depth=1
	s_clause 0x1
	s_load_b64 s[36:37], s[20:21], 0x4
	s_load_b32 s33, s[20:21], 0xc
	s_load_b64 s[38:39], s[2:3], 0x0
	s_add_u32 s20, s20, 12
	s_addc_u32 s21, s21, 0
	s_add_u32 s2, s2, 8
	s_addc_u32 s3, s3, 0
	s_add_i32 s34, s34, -1
	s_delay_alu instid0(SALU_CYCLE_1) | instskip(SKIP_2) | instid1(VALU_DEP_1)
	s_cmp_lg_u32 s34, 0
	s_waitcnt lgkmcnt(0)
	v_mul_hi_u32 v3, s37, v2
	v_add_nc_u32_e32 v3, v2, v3
	s_delay_alu instid0(VALU_DEP_1) | instskip(NEXT) | instid1(VALU_DEP_1)
	v_lshrrev_b32_e32 v3, s33, v3
	v_mul_lo_u32 v5, v3, s36
	s_delay_alu instid0(VALU_DEP_1) | instskip(NEXT) | instid1(VALU_DEP_1)
	v_sub_nc_u32_e32 v2, v2, v5
	v_mad_u64_u32 v[5:6], null, v2, s38, v[0:1]
	v_mad_u64_u32 v[6:7], null, v2, s39, v[1:2]
	v_mov_b32_e32 v2, v3
	s_delay_alu instid0(VALU_DEP_2)
	v_dual_mov_b32 v0, v5 :: v_dual_mov_b32 v1, v6
	s_cbranch_scc1 .LBB111_87
.LBB111_88:
	s_and_not1_b32 vcc_lo, exec_lo, s31
	s_cbranch_vccnz .LBB111_91
; %bb.89:
	s_waitcnt lgkmcnt(0)
	v_mul_hi_u32 v0, s13, v4
	s_and_not1_b32 vcc_lo, exec_lo, s26
	s_delay_alu instid0(VALU_DEP_1) | instskip(NEXT) | instid1(VALU_DEP_1)
	v_add_nc_u32_e32 v0, v4, v0
	v_lshrrev_b32_e32 v2, s14, v0
	s_delay_alu instid0(VALU_DEP_1) | instskip(NEXT) | instid1(VALU_DEP_1)
	v_mul_lo_u32 v0, v2, s12
	v_sub_nc_u32_e32 v1, v4, v0
	s_delay_alu instid0(VALU_DEP_1)
	v_mul_lo_u32 v0, v1, s8
	v_mul_lo_u32 v1, v1, s9
	s_cbranch_vccnz .LBB111_91
; %bb.90:
	v_mul_hi_u32 v3, s16, v2
	s_delay_alu instid0(VALU_DEP_1) | instskip(NEXT) | instid1(VALU_DEP_1)
	v_add_nc_u32_e32 v3, v2, v3
	v_lshrrev_b32_e32 v3, s17, v3
	s_delay_alu instid0(VALU_DEP_1) | instskip(NEXT) | instid1(VALU_DEP_1)
	v_mul_lo_u32 v3, v3, s15
	v_sub_nc_u32_e32 v7, v2, v3
	s_delay_alu instid0(VALU_DEP_1) | instskip(NEXT) | instid1(VALU_DEP_1)
	v_mad_u64_u32 v[2:3], null, v7, s10, v[0:1]
	v_mad_u64_u32 v[5:6], null, v7, s11, v[1:2]
	s_delay_alu instid0(VALU_DEP_1)
	v_dual_mov_b32 v0, v2 :: v_dual_mov_b32 v1, v5
.LBB111_91:
	s_waitcnt lgkmcnt(0)
	global_load_b64 v[1:2], v1, s[6:7]
	s_mov_b32 s2, 0x652b82fe
	s_mov_b32 s3, 0x3ff71547
	;; [unrolled: 1-line block ×6, first 2 shown]
	v_add_nc_u32_e32 v4, 0x80, v4
	s_waitcnt vmcnt(0)
	v_mul_f64 v[5:6], v[1:2], s[2:3]
	s_mov_b32 s3, 0xbfe62e42
	s_mov_b32 s2, 0xfefa39ef
	s_delay_alu instid0(VALU_DEP_1) | instskip(NEXT) | instid1(VALU_DEP_1)
	v_rndne_f64_e32 v[5:6], v[5:6]
	v_fma_f64 v[7:8], v[5:6], s[2:3], v[1:2]
	v_cvt_i32_f64_e32 v3, v[5:6]
	v_cmp_eq_f64_e32 vcc_lo, 0x40900000, v[5:6]
	s_mov_b32 s3, 0x40862e42
	s_delay_alu instid0(SALU_CYCLE_1)
	v_cmp_nlt_f64_e64 s2, s[2:3], v[1:2]
	v_cmp_ngt_f64_e64 s3, 0xc0428000, v[1:2]
	v_fma_f64 v[7:8], v[5:6], s[20:21], v[7:8]
	s_mov_b32 s20, 0x2a1b768b
	s_mov_b32 s21, 0x3e5af4eb
	v_cndmask_b32_e64 v3, v3, 0x3ff, vcc_lo
	s_delay_alu instid0(VALU_DEP_1) | instskip(NEXT) | instid1(VALU_DEP_3)
	v_ldexp_f64 v[5:6], 1.0, v3
	v_fma_f64 v[9:10], v[7:8], s[34:35], s[20:21]
	s_mov_b32 s20, 0xe0ac05b
	s_mov_b32 s21, 0x3e927e50
	s_delay_alu instid0(VALU_DEP_2) | instskip(NEXT) | instid1(VALU_DEP_2)
	v_add_f64 v[11:12], v[5:6], -1.0
	v_fma_f64 v[9:10], v[7:8], v[9:10], s[20:21]
	s_mov_b32 s20, 0x1b889c29
	s_mov_b32 s21, 0x3ec71de0
	s_delay_alu instid0(VALU_DEP_1) | instid1(SALU_CYCLE_1)
	v_fma_f64 v[9:10], v[7:8], v[9:10], s[20:21]
	s_mov_b32 s20, 0x197bcfd8
	s_mov_b32 s21, 0x3efa01a0
	s_delay_alu instid0(VALU_DEP_1) | instid1(SALU_CYCLE_1)
	;; [unrolled: 4-line block ×7, first 2 shown]
	v_fma_f64 v[9:10], v[7:8], v[9:10], s[20:21]
	s_delay_alu instid0(VALU_DEP_1) | instskip(NEXT) | instid1(VALU_DEP_1)
	v_fma_f64 v[9:10], v[7:8], v[9:10], 0.5
	v_mul_f64 v[9:10], v[7:8], v[9:10]
	s_delay_alu instid0(VALU_DEP_1) | instskip(NEXT) | instid1(VALU_DEP_1)
	v_fma_f64 v[7:8], v[7:8], v[9:10], v[7:8]
	v_fma_f64 v[5:6], v[5:6], v[7:8], v[11:12]
	s_delay_alu instid0(VALU_DEP_1) | instskip(NEXT) | instid1(VALU_DEP_1)
	v_add_f64 v[7:8], v[5:6], v[5:6]
	v_cndmask_b32_e32 v3, v6, v8, vcc_lo
	s_delay_alu instid0(VALU_DEP_2) | instskip(SKIP_1) | instid1(VALU_DEP_2)
	v_cndmask_b32_e32 v1, v5, v7, vcc_lo
	s_and_b32 vcc_lo, s3, s2
	v_cndmask_b32_e64 v3, 0x7ff00000, v3, s2
	s_delay_alu instid0(VALU_DEP_2) | instskip(NEXT) | instid1(VALU_DEP_2)
	v_cndmask_b32_e32 v1, 0, v1, vcc_lo
	v_cndmask_b32_e64 v2, 0xbff00000, v3, s3
	global_store_b64 v0, v[1:2], s[4:5]
	s_or_b32 exec_lo, exec_lo, s30
	s_delay_alu instid0(SALU_CYCLE_1)
	s_mov_b32 s30, exec_lo
	v_cmpx_gt_i32_e64 s27, v4
	s_cbranch_execnz .LBB111_78
.LBB111_92:
	s_or_b32 exec_lo, exec_lo, s30
	s_delay_alu instid0(SALU_CYCLE_1)
	s_mov_b32 s20, exec_lo
	v_cmpx_gt_i32_e64 s27, v4
	s_cbranch_execnz .LBB111_103
.LBB111_93:
	s_or_b32 exec_lo, exec_lo, s20
                                        ; implicit-def: $vgpr8
                                        ; implicit-def: $vgpr4
	s_and_not1_saveexec_b32 s2, s25
	s_cbranch_execnz .LBB111_8
.LBB111_94:
	s_nop 0
	s_sendmsg sendmsg(MSG_DEALLOC_VGPRS)
	s_endpgm
.LBB111_95:
	v_dual_mov_b32 v2, v4 :: v_dual_mov_b32 v1, 0
.LBB111_96:
	s_and_b32 s34, s34, 3
	s_delay_alu instid0(SALU_CYCLE_1)
	s_cmp_eq_u32 s34, 0
	s_cbranch_scc1 .LBB111_99
; %bb.97:
	s_lshl_b32 s2, s33, 3
	s_mul_i32 s20, s33, 12
	s_add_u32 s2, s2, s0
	s_addc_u32 s3, s1, 0
	s_add_u32 s2, s2, 0xc4
	s_addc_u32 s3, s3, 0
	;; [unrolled: 2-line block ×3, first 2 shown]
	.p2align	6
.LBB111_98:                             ; =>This Inner Loop Header: Depth=1
	s_clause 0x1
	s_load_b64 s[36:37], s[20:21], 0x4
	s_load_b32 s33, s[20:21], 0xc
	s_load_b64 s[38:39], s[2:3], 0x0
	s_add_u32 s20, s20, 12
	s_addc_u32 s21, s21, 0
	s_add_u32 s2, s2, 8
	s_addc_u32 s3, s3, 0
	s_add_i32 s34, s34, -1
	s_delay_alu instid0(SALU_CYCLE_1) | instskip(SKIP_2) | instid1(VALU_DEP_1)
	s_cmp_lg_u32 s34, 0
	s_waitcnt lgkmcnt(0)
	v_mul_hi_u32 v3, s37, v2
	v_add_nc_u32_e32 v3, v2, v3
	s_delay_alu instid0(VALU_DEP_1) | instskip(NEXT) | instid1(VALU_DEP_1)
	v_lshrrev_b32_e32 v3, s33, v3
	v_mul_lo_u32 v5, v3, s36
	s_delay_alu instid0(VALU_DEP_1) | instskip(NEXT) | instid1(VALU_DEP_1)
	v_sub_nc_u32_e32 v2, v2, v5
	v_mad_u64_u32 v[5:6], null, v2, s38, v[0:1]
	v_mad_u64_u32 v[6:7], null, v2, s39, v[1:2]
	v_mov_b32_e32 v2, v3
	s_delay_alu instid0(VALU_DEP_2)
	v_dual_mov_b32 v0, v5 :: v_dual_mov_b32 v1, v6
	s_cbranch_scc1 .LBB111_98
.LBB111_99:
	s_and_not1_b32 vcc_lo, exec_lo, s31
	s_cbranch_vccnz .LBB111_102
; %bb.100:
	s_waitcnt lgkmcnt(0)
	v_mul_hi_u32 v0, s13, v4
	s_and_not1_b32 vcc_lo, exec_lo, s26
	s_delay_alu instid0(VALU_DEP_1) | instskip(NEXT) | instid1(VALU_DEP_1)
	v_add_nc_u32_e32 v0, v4, v0
	v_lshrrev_b32_e32 v2, s14, v0
	s_delay_alu instid0(VALU_DEP_1) | instskip(NEXT) | instid1(VALU_DEP_1)
	v_mul_lo_u32 v0, v2, s12
	v_sub_nc_u32_e32 v1, v4, v0
	s_delay_alu instid0(VALU_DEP_1)
	v_mul_lo_u32 v0, v1, s8
	v_mul_lo_u32 v1, v1, s9
	s_cbranch_vccnz .LBB111_102
; %bb.101:
	v_mul_hi_u32 v3, s16, v2
	s_delay_alu instid0(VALU_DEP_1) | instskip(NEXT) | instid1(VALU_DEP_1)
	v_add_nc_u32_e32 v3, v2, v3
	v_lshrrev_b32_e32 v3, s17, v3
	s_delay_alu instid0(VALU_DEP_1) | instskip(NEXT) | instid1(VALU_DEP_1)
	v_mul_lo_u32 v3, v3, s15
	v_sub_nc_u32_e32 v7, v2, v3
	s_delay_alu instid0(VALU_DEP_1) | instskip(NEXT) | instid1(VALU_DEP_1)
	v_mad_u64_u32 v[2:3], null, v7, s10, v[0:1]
	v_mad_u64_u32 v[5:6], null, v7, s11, v[1:2]
	s_delay_alu instid0(VALU_DEP_1)
	v_dual_mov_b32 v0, v2 :: v_dual_mov_b32 v1, v5
.LBB111_102:
	s_waitcnt lgkmcnt(0)
	global_load_b64 v[1:2], v1, s[6:7]
	s_mov_b32 s2, 0x652b82fe
	s_mov_b32 s3, 0x3ff71547
	;; [unrolled: 1-line block ×6, first 2 shown]
	v_add_nc_u32_e32 v4, 0x80, v4
	s_waitcnt vmcnt(0)
	v_mul_f64 v[5:6], v[1:2], s[2:3]
	s_mov_b32 s3, 0xbfe62e42
	s_mov_b32 s2, 0xfefa39ef
	s_delay_alu instid0(VALU_DEP_1) | instskip(NEXT) | instid1(VALU_DEP_1)
	v_rndne_f64_e32 v[5:6], v[5:6]
	v_fma_f64 v[7:8], v[5:6], s[2:3], v[1:2]
	v_cvt_i32_f64_e32 v3, v[5:6]
	v_cmp_eq_f64_e32 vcc_lo, 0x40900000, v[5:6]
	s_mov_b32 s3, 0x40862e42
	s_delay_alu instid0(SALU_CYCLE_1)
	v_cmp_nlt_f64_e64 s2, s[2:3], v[1:2]
	v_cmp_ngt_f64_e64 s3, 0xc0428000, v[1:2]
	v_fma_f64 v[7:8], v[5:6], s[20:21], v[7:8]
	s_mov_b32 s20, 0x2a1b768b
	s_mov_b32 s21, 0x3e5af4eb
	v_cndmask_b32_e64 v3, v3, 0x3ff, vcc_lo
	s_delay_alu instid0(VALU_DEP_1) | instskip(NEXT) | instid1(VALU_DEP_3)
	v_ldexp_f64 v[5:6], 1.0, v3
	v_fma_f64 v[9:10], v[7:8], s[34:35], s[20:21]
	s_mov_b32 s20, 0xe0ac05b
	s_mov_b32 s21, 0x3e927e50
	s_delay_alu instid0(VALU_DEP_2) | instskip(NEXT) | instid1(VALU_DEP_2)
	v_add_f64 v[11:12], v[5:6], -1.0
	v_fma_f64 v[9:10], v[7:8], v[9:10], s[20:21]
	s_mov_b32 s20, 0x1b889c29
	s_mov_b32 s21, 0x3ec71de0
	s_delay_alu instid0(VALU_DEP_1) | instid1(SALU_CYCLE_1)
	v_fma_f64 v[9:10], v[7:8], v[9:10], s[20:21]
	s_mov_b32 s20, 0x197bcfd8
	s_mov_b32 s21, 0x3efa01a0
	s_delay_alu instid0(VALU_DEP_1) | instid1(SALU_CYCLE_1)
	;; [unrolled: 4-line block ×7, first 2 shown]
	v_fma_f64 v[9:10], v[7:8], v[9:10], s[20:21]
	s_delay_alu instid0(VALU_DEP_1) | instskip(NEXT) | instid1(VALU_DEP_1)
	v_fma_f64 v[9:10], v[7:8], v[9:10], 0.5
	v_mul_f64 v[9:10], v[7:8], v[9:10]
	s_delay_alu instid0(VALU_DEP_1) | instskip(NEXT) | instid1(VALU_DEP_1)
	v_fma_f64 v[7:8], v[7:8], v[9:10], v[7:8]
	v_fma_f64 v[5:6], v[5:6], v[7:8], v[11:12]
	s_delay_alu instid0(VALU_DEP_1) | instskip(NEXT) | instid1(VALU_DEP_1)
	v_add_f64 v[7:8], v[5:6], v[5:6]
	v_cndmask_b32_e32 v3, v6, v8, vcc_lo
	s_delay_alu instid0(VALU_DEP_2) | instskip(SKIP_1) | instid1(VALU_DEP_2)
	v_cndmask_b32_e32 v1, v5, v7, vcc_lo
	s_and_b32 vcc_lo, s3, s2
	v_cndmask_b32_e64 v3, 0x7ff00000, v3, s2
	s_delay_alu instid0(VALU_DEP_2) | instskip(NEXT) | instid1(VALU_DEP_2)
	v_cndmask_b32_e32 v1, 0, v1, vcc_lo
	v_cndmask_b32_e64 v2, 0xbff00000, v3, s3
	global_store_b64 v0, v[1:2], s[4:5]
	s_or_b32 exec_lo, exec_lo, s30
	s_delay_alu instid0(SALU_CYCLE_1)
	s_mov_b32 s20, exec_lo
	v_cmpx_gt_i32_e64 s27, v4
	s_cbranch_execz .LBB111_93
.LBB111_103:
	s_and_not1_b32 vcc_lo, exec_lo, s24
	s_cbranch_vccnz .LBB111_108
; %bb.104:
	v_dual_mov_b32 v0, 0 :: v_dual_mov_b32 v1, 0
	s_and_not1_b32 vcc_lo, exec_lo, s29
	s_mov_b32 s21, 0
	s_cbranch_vccnz .LBB111_113
; %bb.105:
	v_mov_b32_e32 v0, 0
	s_add_i32 s28, s28, 1
	s_cmp_eq_u32 s23, 2
	s_mov_b32 s27, 0
	s_cbranch_scc1 .LBB111_109
; %bb.106:
	v_dual_mov_b32 v1, 0 :: v_dual_mov_b32 v0, 0
	v_mov_b32_e32 v2, v4
	s_and_b32 s27, s28, 28
	s_mov_b32 s29, 0
	s_mov_b64 s[2:3], s[0:1]
.LBB111_107:                            ; =>This Inner Loop Header: Depth=1
	s_clause 0x1
	s_load_b256 s[36:43], s[2:3], 0x4
	s_load_b128 s[52:55], s[2:3], 0x24
	s_load_b256 s[44:51], s[18:19], 0x0
	s_add_u32 s2, s2, 48
	s_addc_u32 s3, s3, 0
	s_add_i32 s29, s29, 4
	s_add_u32 s18, s18, 32
	s_addc_u32 s19, s19, 0
	s_cmp_eq_u32 s27, s29
	s_waitcnt lgkmcnt(0)
	v_mul_hi_u32 v3, s37, v2
	s_delay_alu instid0(VALU_DEP_1) | instskip(NEXT) | instid1(VALU_DEP_1)
	v_add_nc_u32_e32 v3, v2, v3
	v_lshrrev_b32_e32 v3, s38, v3
	s_delay_alu instid0(VALU_DEP_1) | instskip(SKIP_1) | instid1(VALU_DEP_2)
	v_mul_hi_u32 v5, s40, v3
	v_mul_lo_u32 v7, v3, s36
	v_add_nc_u32_e32 v5, v3, v5
	s_delay_alu instid0(VALU_DEP_2) | instskip(NEXT) | instid1(VALU_DEP_2)
	v_sub_nc_u32_e32 v2, v2, v7
	v_lshrrev_b32_e32 v5, s41, v5
	s_delay_alu instid0(VALU_DEP_2) | instskip(SKIP_1) | instid1(VALU_DEP_3)
	v_mul_lo_u32 v7, v2, s44
	v_mul_lo_u32 v9, v2, s45
	v_mul_hi_u32 v6, s43, v5
	s_delay_alu instid0(VALU_DEP_1) | instskip(NEXT) | instid1(VALU_DEP_1)
	v_add_nc_u32_e32 v6, v5, v6
	v_lshrrev_b32_e32 v6, s52, v6
	s_delay_alu instid0(VALU_DEP_1) | instskip(SKIP_1) | instid1(VALU_DEP_2)
	v_mul_hi_u32 v8, s54, v6
	v_mul_lo_u32 v10, v6, s42
	v_add_nc_u32_e32 v2, v6, v8
	v_mul_lo_u32 v8, v5, s39
	s_delay_alu instid0(VALU_DEP_3) | instskip(NEXT) | instid1(VALU_DEP_3)
	v_sub_nc_u32_e32 v5, v5, v10
	v_lshrrev_b32_e32 v2, s55, v2
	s_delay_alu instid0(VALU_DEP_2) | instskip(SKIP_2) | instid1(VALU_DEP_4)
	v_mul_lo_u32 v10, v5, s48
	v_mul_lo_u32 v5, v5, s49
	v_sub_nc_u32_e32 v3, v3, v8
	v_mul_lo_u32 v11, v2, s53
	s_delay_alu instid0(VALU_DEP_2) | instskip(SKIP_1) | instid1(VALU_DEP_3)
	v_mul_lo_u32 v8, v3, s46
	v_mul_lo_u32 v3, v3, s47
	v_sub_nc_u32_e32 v6, v6, v11
	s_delay_alu instid0(VALU_DEP_3) | instskip(NEXT) | instid1(VALU_DEP_2)
	v_add3_u32 v0, v7, v0, v8
	v_mul_lo_u32 v11, v6, s50
	v_mul_lo_u32 v6, v6, s51
	v_add3_u32 v1, v9, v1, v3
	s_delay_alu instid0(VALU_DEP_3) | instskip(NEXT) | instid1(VALU_DEP_2)
	v_add3_u32 v0, v10, v0, v11
	v_add3_u32 v1, v5, v1, v6
	s_cbranch_scc0 .LBB111_107
	s_branch .LBB111_110
.LBB111_108:
	s_mov_b32 s21, -1
                                        ; implicit-def: $vgpr0
                                        ; implicit-def: $vgpr1
	s_branch .LBB111_113
.LBB111_109:
	v_dual_mov_b32 v2, v4 :: v_dual_mov_b32 v1, 0
.LBB111_110:
	s_and_b32 s28, s28, 3
	s_delay_alu instid0(SALU_CYCLE_1)
	s_cmp_eq_u32 s28, 0
	s_cbranch_scc1 .LBB111_113
; %bb.111:
	s_lshl_b32 s2, s27, 3
	s_mul_i32 s18, s27, 12
	s_add_u32 s2, s2, s0
	s_addc_u32 s3, s1, 0
	s_add_u32 s2, s2, 0xc4
	s_addc_u32 s3, s3, 0
	;; [unrolled: 2-line block ×3, first 2 shown]
	.p2align	6
.LBB111_112:                            ; =>This Inner Loop Header: Depth=1
	s_clause 0x1
	s_load_b64 s[30:31], s[18:19], 0x4
	s_load_b32 s27, s[18:19], 0xc
	s_load_b64 s[34:35], s[2:3], 0x0
	s_add_u32 s18, s18, 12
	s_addc_u32 s19, s19, 0
	s_add_u32 s2, s2, 8
	s_addc_u32 s3, s3, 0
	s_add_i32 s28, s28, -1
	s_delay_alu instid0(SALU_CYCLE_1) | instskip(SKIP_2) | instid1(VALU_DEP_1)
	s_cmp_lg_u32 s28, 0
	s_waitcnt lgkmcnt(0)
	v_mul_hi_u32 v3, s31, v2
	v_add_nc_u32_e32 v3, v2, v3
	s_delay_alu instid0(VALU_DEP_1) | instskip(NEXT) | instid1(VALU_DEP_1)
	v_lshrrev_b32_e32 v3, s27, v3
	v_mul_lo_u32 v5, v3, s30
	s_delay_alu instid0(VALU_DEP_1) | instskip(NEXT) | instid1(VALU_DEP_1)
	v_sub_nc_u32_e32 v2, v2, v5
	v_mad_u64_u32 v[5:6], null, v2, s34, v[0:1]
	v_mad_u64_u32 v[6:7], null, v2, s35, v[1:2]
	v_mov_b32_e32 v2, v3
	s_delay_alu instid0(VALU_DEP_2)
	v_dual_mov_b32 v0, v5 :: v_dual_mov_b32 v1, v6
	s_cbranch_scc1 .LBB111_112
.LBB111_113:
	s_and_not1_b32 vcc_lo, exec_lo, s21
	s_cbranch_vccnz .LBB111_116
; %bb.114:
	s_waitcnt lgkmcnt(0)
	v_mul_hi_u32 v0, s13, v4
	s_and_not1_b32 vcc_lo, exec_lo, s26
	s_delay_alu instid0(VALU_DEP_1) | instskip(NEXT) | instid1(VALU_DEP_1)
	v_add_nc_u32_e32 v0, v4, v0
	v_lshrrev_b32_e32 v2, s14, v0
	s_delay_alu instid0(VALU_DEP_1) | instskip(NEXT) | instid1(VALU_DEP_1)
	v_mul_lo_u32 v0, v2, s12
	v_sub_nc_u32_e32 v1, v4, v0
	s_delay_alu instid0(VALU_DEP_1)
	v_mul_lo_u32 v0, v1, s8
	v_mul_lo_u32 v1, v1, s9
	s_cbranch_vccnz .LBB111_116
; %bb.115:
	v_mul_hi_u32 v3, s16, v2
	s_delay_alu instid0(VALU_DEP_1) | instskip(NEXT) | instid1(VALU_DEP_1)
	v_add_nc_u32_e32 v3, v2, v3
	v_lshrrev_b32_e32 v3, s17, v3
	s_delay_alu instid0(VALU_DEP_1) | instskip(NEXT) | instid1(VALU_DEP_1)
	v_mul_lo_u32 v3, v3, s15
	v_sub_nc_u32_e32 v5, v2, v3
	s_delay_alu instid0(VALU_DEP_1) | instskip(NEXT) | instid1(VALU_DEP_1)
	v_mad_u64_u32 v[2:3], null, v5, s10, v[0:1]
	v_mad_u64_u32 v[3:4], null, v5, s11, v[1:2]
	s_delay_alu instid0(VALU_DEP_1)
	v_dual_mov_b32 v0, v2 :: v_dual_mov_b32 v1, v3
.LBB111_116:
	s_waitcnt lgkmcnt(0)
	global_load_b64 v[1:2], v1, s[6:7]
	s_mov_b32 s2, 0x652b82fe
	s_mov_b32 s3, 0x3ff71547
	;; [unrolled: 1-line block ×6, first 2 shown]
	s_waitcnt vmcnt(0)
	v_mul_f64 v[3:4], v[1:2], s[2:3]
	s_mov_b32 s3, 0xbfe62e42
	s_mov_b32 s2, 0xfefa39ef
	s_delay_alu instid0(VALU_DEP_1) | instskip(NEXT) | instid1(VALU_DEP_1)
	v_rndne_f64_e32 v[3:4], v[3:4]
	v_fma_f64 v[5:6], v[3:4], s[2:3], v[1:2]
	v_cvt_i32_f64_e32 v9, v[3:4]
	v_cmp_eq_f64_e32 vcc_lo, 0x40900000, v[3:4]
	s_mov_b32 s3, 0x40862e42
	s_delay_alu instid0(SALU_CYCLE_1)
	v_cmp_nlt_f64_e64 s2, s[2:3], v[1:2]
	v_cmp_ngt_f64_e64 s3, 0xc0428000, v[1:2]
	v_fma_f64 v[5:6], v[3:4], s[6:7], v[5:6]
	s_mov_b32 s6, 0x2a1b768b
	s_mov_b32 s7, 0x3e5af4eb
	v_cndmask_b32_e64 v3, v9, 0x3ff, vcc_lo
	s_delay_alu instid0(VALU_DEP_1) | instskip(NEXT) | instid1(VALU_DEP_3)
	v_ldexp_f64 v[3:4], 1.0, v3
	v_fma_f64 v[7:8], v[5:6], s[8:9], s[6:7]
	s_mov_b32 s6, 0xe0ac05b
	s_mov_b32 s7, 0x3e927e50
	s_delay_alu instid0(VALU_DEP_2) | instskip(NEXT) | instid1(VALU_DEP_2)
	v_add_f64 v[9:10], v[3:4], -1.0
	v_fma_f64 v[7:8], v[5:6], v[7:8], s[6:7]
	s_mov_b32 s6, 0x1b889c29
	s_mov_b32 s7, 0x3ec71de0
	s_delay_alu instid0(VALU_DEP_1) | instid1(SALU_CYCLE_1)
	v_fma_f64 v[7:8], v[5:6], v[7:8], s[6:7]
	s_mov_b32 s6, 0x197bcfd8
	s_mov_b32 s7, 0x3efa01a0
	s_delay_alu instid0(VALU_DEP_1) | instid1(SALU_CYCLE_1)
	;; [unrolled: 4-line block ×7, first 2 shown]
	v_fma_f64 v[7:8], v[5:6], v[7:8], s[6:7]
	s_delay_alu instid0(VALU_DEP_1) | instskip(NEXT) | instid1(VALU_DEP_1)
	v_fma_f64 v[7:8], v[5:6], v[7:8], 0.5
	v_mul_f64 v[7:8], v[5:6], v[7:8]
	s_delay_alu instid0(VALU_DEP_1) | instskip(NEXT) | instid1(VALU_DEP_1)
	v_fma_f64 v[5:6], v[5:6], v[7:8], v[5:6]
	v_fma_f64 v[3:4], v[3:4], v[5:6], v[9:10]
	s_delay_alu instid0(VALU_DEP_1) | instskip(NEXT) | instid1(VALU_DEP_1)
	v_add_f64 v[5:6], v[3:4], v[3:4]
	v_dual_cndmask_b32 v4, v4, v6 :: v_dual_cndmask_b32 v1, v3, v5
	s_and_b32 vcc_lo, s3, s2
	s_delay_alu instid0(VALU_DEP_1) | instskip(NEXT) | instid1(VALU_DEP_2)
	v_cndmask_b32_e64 v4, 0x7ff00000, v4, s2
	v_cndmask_b32_e32 v1, 0, v1, vcc_lo
	s_delay_alu instid0(VALU_DEP_2)
	v_cndmask_b32_e64 v2, 0xbff00000, v4, s3
	global_store_b64 v0, v[1:2], s[4:5]
	s_or_b32 exec_lo, exec_lo, s20
                                        ; implicit-def: $vgpr8
                                        ; implicit-def: $vgpr4
	s_and_not1_saveexec_b32 s2, s25
	s_cbranch_execz .LBB111_94
	s_branch .LBB111_8
	.section	.rodata,"a",@progbits
	.p2align	6, 0x0
	.amdhsa_kernel _ZN2at6native32elementwise_kernel_manual_unrollILi128ELi4EZNS0_22gpu_kernel_impl_nocastIZZZNS0_17expm1_kernel_cudaERNS_18TensorIteratorBaseEENKUlvE_clEvENKUlvE_clEvEUldE_EEvS4_RKT_EUlibE_EEviT1_
		.amdhsa_group_segment_fixed_size 0
		.amdhsa_private_segment_fixed_size 0
		.amdhsa_kernarg_size 360
		.amdhsa_user_sgpr_count 15
		.amdhsa_user_sgpr_dispatch_ptr 0
		.amdhsa_user_sgpr_queue_ptr 0
		.amdhsa_user_sgpr_kernarg_segment_ptr 1
		.amdhsa_user_sgpr_dispatch_id 0
		.amdhsa_user_sgpr_private_segment_size 0
		.amdhsa_wavefront_size32 1
		.amdhsa_uses_dynamic_stack 0
		.amdhsa_enable_private_segment 0
		.amdhsa_system_sgpr_workgroup_id_x 1
		.amdhsa_system_sgpr_workgroup_id_y 0
		.amdhsa_system_sgpr_workgroup_id_z 0
		.amdhsa_system_sgpr_workgroup_info 0
		.amdhsa_system_vgpr_workitem_id 0
		.amdhsa_next_free_vgpr 46
		.amdhsa_next_free_sgpr 56
		.amdhsa_reserve_vcc 1
		.amdhsa_float_round_mode_32 0
		.amdhsa_float_round_mode_16_64 0
		.amdhsa_float_denorm_mode_32 3
		.amdhsa_float_denorm_mode_16_64 3
		.amdhsa_dx10_clamp 1
		.amdhsa_ieee_mode 1
		.amdhsa_fp16_overflow 0
		.amdhsa_workgroup_processor_mode 1
		.amdhsa_memory_ordered 1
		.amdhsa_forward_progress 0
		.amdhsa_shared_vgpr_count 0
		.amdhsa_exception_fp_ieee_invalid_op 0
		.amdhsa_exception_fp_denorm_src 0
		.amdhsa_exception_fp_ieee_div_zero 0
		.amdhsa_exception_fp_ieee_overflow 0
		.amdhsa_exception_fp_ieee_underflow 0
		.amdhsa_exception_fp_ieee_inexact 0
		.amdhsa_exception_int_div_zero 0
	.end_amdhsa_kernel
	.section	.text._ZN2at6native32elementwise_kernel_manual_unrollILi128ELi4EZNS0_22gpu_kernel_impl_nocastIZZZNS0_17expm1_kernel_cudaERNS_18TensorIteratorBaseEENKUlvE_clEvENKUlvE_clEvEUldE_EEvS4_RKT_EUlibE_EEviT1_,"axG",@progbits,_ZN2at6native32elementwise_kernel_manual_unrollILi128ELi4EZNS0_22gpu_kernel_impl_nocastIZZZNS0_17expm1_kernel_cudaERNS_18TensorIteratorBaseEENKUlvE_clEvENKUlvE_clEvEUldE_EEvS4_RKT_EUlibE_EEviT1_,comdat
.Lfunc_end111:
	.size	_ZN2at6native32elementwise_kernel_manual_unrollILi128ELi4EZNS0_22gpu_kernel_impl_nocastIZZZNS0_17expm1_kernel_cudaERNS_18TensorIteratorBaseEENKUlvE_clEvENKUlvE_clEvEUldE_EEvS4_RKT_EUlibE_EEviT1_, .Lfunc_end111-_ZN2at6native32elementwise_kernel_manual_unrollILi128ELi4EZNS0_22gpu_kernel_impl_nocastIZZZNS0_17expm1_kernel_cudaERNS_18TensorIteratorBaseEENKUlvE_clEvENKUlvE_clEvEUldE_EEvS4_RKT_EUlibE_EEviT1_
                                        ; -- End function
	.section	.AMDGPU.csdata,"",@progbits
; Kernel info:
; codeLenInByte = 10188
; NumSgprs: 58
; NumVgprs: 46
; ScratchSize: 0
; MemoryBound: 0
; FloatMode: 240
; IeeeMode: 1
; LDSByteSize: 0 bytes/workgroup (compile time only)
; SGPRBlocks: 7
; VGPRBlocks: 5
; NumSGPRsForWavesPerEU: 58
; NumVGPRsForWavesPerEU: 46
; Occupancy: 16
; WaveLimiterHint : 1
; COMPUTE_PGM_RSRC2:SCRATCH_EN: 0
; COMPUTE_PGM_RSRC2:USER_SGPR: 15
; COMPUTE_PGM_RSRC2:TRAP_HANDLER: 0
; COMPUTE_PGM_RSRC2:TGID_X_EN: 1
; COMPUTE_PGM_RSRC2:TGID_Y_EN: 0
; COMPUTE_PGM_RSRC2:TGID_Z_EN: 0
; COMPUTE_PGM_RSRC2:TIDIG_COMP_CNT: 0
	.section	.text._ZN2at6native32elementwise_kernel_manual_unrollILi128ELi4EZNS0_15gpu_kernel_implIZZZNS0_17expm1_kernel_cudaERNS_18TensorIteratorBaseEENKUlvE_clEvENKUlvE_clEvEUldE_EEvS4_RKT_EUlibE_EEviT1_,"axG",@progbits,_ZN2at6native32elementwise_kernel_manual_unrollILi128ELi4EZNS0_15gpu_kernel_implIZZZNS0_17expm1_kernel_cudaERNS_18TensorIteratorBaseEENKUlvE_clEvENKUlvE_clEvEUldE_EEvS4_RKT_EUlibE_EEviT1_,comdat
	.globl	_ZN2at6native32elementwise_kernel_manual_unrollILi128ELi4EZNS0_15gpu_kernel_implIZZZNS0_17expm1_kernel_cudaERNS_18TensorIteratorBaseEENKUlvE_clEvENKUlvE_clEvEUldE_EEvS4_RKT_EUlibE_EEviT1_ ; -- Begin function _ZN2at6native32elementwise_kernel_manual_unrollILi128ELi4EZNS0_15gpu_kernel_implIZZZNS0_17expm1_kernel_cudaERNS_18TensorIteratorBaseEENKUlvE_clEvENKUlvE_clEvEUldE_EEvS4_RKT_EUlibE_EEviT1_
	.p2align	8
	.type	_ZN2at6native32elementwise_kernel_manual_unrollILi128ELi4EZNS0_15gpu_kernel_implIZZZNS0_17expm1_kernel_cudaERNS_18TensorIteratorBaseEENKUlvE_clEvENKUlvE_clEvEUldE_EEvS4_RKT_EUlibE_EEviT1_,@function
_ZN2at6native32elementwise_kernel_manual_unrollILi128ELi4EZNS0_15gpu_kernel_implIZZZNS0_17expm1_kernel_cudaERNS_18TensorIteratorBaseEENKUlvE_clEvENKUlvE_clEvEUldE_EEvS4_RKT_EUlibE_EEviT1_: ; @_ZN2at6native32elementwise_kernel_manual_unrollILi128ELi4EZNS0_15gpu_kernel_implIZZZNS0_17expm1_kernel_cudaERNS_18TensorIteratorBaseEENKUlvE_clEvENKUlvE_clEvEUldE_EEvS4_RKT_EUlibE_EEviT1_
; %bb.0:
	v_mov_b32_e32 v1, 0
	s_clause 0x2
	s_load_b32 s12, s[0:1], 0x0
	s_load_b64 s[8:9], s[0:1], 0x18
	s_load_b128 s[4:7], s[0:1], 0x8
	v_lshl_or_b32 v11, s15, 9, v0
	s_mov_b32 s3, 0
	s_mov_b32 s11, 0
	global_load_u16 v10, v1, s[0:1] offset:33
	s_mov_b32 s0, exec_lo
	v_or_b32_e32 v0, 0x180, v11
	s_waitcnt vmcnt(0)
	v_lshrrev_b16 v12, 8, v10
	s_waitcnt lgkmcnt(0)
	s_delay_alu instid0(VALU_DEP_2)
	v_cmpx_le_i32_e64 s12, v0
	s_xor_b32 s10, exec_lo, s0
	s_cbranch_execz .LBB112_1027
; %bb.1:
	s_mov_b32 s1, -1
	s_mov_b32 s15, 0
	s_mov_b32 s13, 0
	s_mov_b32 s14, exec_lo
	v_cmpx_gt_i32_e64 s12, v11
	s_cbranch_execz .LBB112_251
; %bb.2:
	v_mul_lo_u32 v0, v11, s9
	v_cmp_gt_i16_e32 vcc_lo, 11, v12
	s_delay_alu instid0(VALU_DEP_2) | instskip(SKIP_1) | instid1(VALU_DEP_1)
	v_ashrrev_i32_e32 v1, 31, v0
	v_add_co_u32 v0, s0, s6, v0
	v_add_co_ci_u32_e64 v1, s0, s7, v1, s0
	s_cbranch_vccnz .LBB112_9
; %bb.3:
	v_cmp_lt_i16_e32 vcc_lo, 25, v12
	s_cbranch_vccz .LBB112_57
; %bb.4:
	v_cmp_lt_i16_e32 vcc_lo, 28, v12
	s_cbranch_vccz .LBB112_58
	;; [unrolled: 3-line block ×4, first 2 shown]
; %bb.7:
	v_cmp_eq_u16_e32 vcc_lo, 46, v12
	s_mov_b32 s1, 0
	s_cbranch_vccz .LBB112_63
; %bb.8:
	global_load_b32 v2, v[0:1], off
	s_mov_b32 s0, -1
	s_waitcnt vmcnt(0)
	v_lshlrev_b32_e32 v2, 16, v2
	s_delay_alu instid0(VALU_DEP_1)
	v_cvt_f64_f32_e32 v[2:3], v2
	s_branch .LBB112_65
.LBB112_9:
	s_mov_b32 s0, 0
                                        ; implicit-def: $vgpr2_vgpr3
	s_and_b32 vcc_lo, exec_lo, s1
	s_cbranch_vccnz .LBB112_201
.LBB112_10:
	s_and_not1_b32 vcc_lo, exec_lo, s0
	s_cbranch_vccnz .LBB112_248
.LBB112_11:
	s_mov_b32 s0, 0x652b82fe
	s_mov_b32 s1, 0x3ff71547
	;; [unrolled: 1-line block ×3, first 2 shown]
	s_waitcnt vmcnt(0)
	s_delay_alu instid0(VALU_DEP_1)
	v_mul_f64 v[0:1], v[2:3], s[0:1]
	s_mov_b32 s1, 0xbfe62e42
	s_mov_b32 s0, 0xfefa39ef
	;; [unrolled: 1-line block ×6, first 2 shown]
	s_delay_alu instid0(VALU_DEP_1) | instskip(NEXT) | instid1(VALU_DEP_1)
	v_rndne_f64_e32 v[0:1], v[0:1]
	v_fma_f64 v[4:5], v[0:1], s[0:1], v[2:3]
	v_cvt_i32_f64_e32 v8, v[0:1]
	v_cmp_eq_f64_e32 vcc_lo, 0x40900000, v[0:1]
	s_mov_b32 s1, 0x40862e42
	s_delay_alu instid0(SALU_CYCLE_1) | instskip(SKIP_2) | instid1(VALU_DEP_1)
	v_cmp_nlt_f64_e64 s0, s[0:1], v[2:3]
	v_cmp_ngt_f64_e64 s1, 0xc0428000, v[2:3]
	v_mul_lo_u32 v2, v11, s8
	v_ashrrev_i32_e32 v3, 31, v2
	v_fma_f64 v[4:5], v[0:1], s[16:17], v[4:5]
	s_mov_b32 s16, 0x2a1b768b
	s_mov_b32 s17, 0x3e5af4eb
	v_cndmask_b32_e64 v0, v8, 0x3ff, vcc_lo
	s_delay_alu instid0(VALU_DEP_1) | instskip(NEXT) | instid1(VALU_DEP_3)
	v_ldexp_f64 v[0:1], 1.0, v0
	v_fma_f64 v[6:7], v[4:5], s[18:19], s[16:17]
	s_mov_b32 s16, 0xe0ac05b
	s_mov_b32 s17, 0x3e927e50
	s_delay_alu instid0(VALU_DEP_2) | instskip(NEXT) | instid1(VALU_DEP_2)
	v_add_f64 v[8:9], v[0:1], -1.0
	v_fma_f64 v[6:7], v[4:5], v[6:7], s[16:17]
	s_mov_b32 s16, 0x1b889c29
	s_mov_b32 s17, 0x3ec71de0
	s_delay_alu instid0(VALU_DEP_1) | instid1(SALU_CYCLE_1)
	v_fma_f64 v[6:7], v[4:5], v[6:7], s[16:17]
	s_mov_b32 s16, 0x197bcfd8
	s_mov_b32 s17, 0x3efa01a0
	s_delay_alu instid0(VALU_DEP_1) | instid1(SALU_CYCLE_1)
	;; [unrolled: 4-line block ×7, first 2 shown]
	v_fma_f64 v[6:7], v[4:5], v[6:7], s[16:17]
	s_mov_b32 s16, -1
	s_delay_alu instid0(VALU_DEP_1) | instskip(NEXT) | instid1(VALU_DEP_1)
	v_fma_f64 v[6:7], v[4:5], v[6:7], 0.5
	v_mul_f64 v[6:7], v[4:5], v[6:7]
	s_delay_alu instid0(VALU_DEP_1) | instskip(SKIP_1) | instid1(VALU_DEP_1)
	v_fma_f64 v[4:5], v[4:5], v[6:7], v[4:5]
	v_and_b32_e32 v6, 0xff, v10
	v_cmp_gt_i16_e64 s2, 11, v6
	s_delay_alu instid0(VALU_DEP_3) | instskip(NEXT) | instid1(VALU_DEP_1)
	v_fma_f64 v[0:1], v[0:1], v[4:5], v[8:9]
	v_add_f64 v[4:5], v[0:1], v[0:1]
	s_delay_alu instid0(VALU_DEP_1) | instskip(SKIP_2) | instid1(VALU_DEP_3)
	v_dual_cndmask_b32 v1, v1, v5 :: v_dual_cndmask_b32 v0, v0, v4
	v_add_co_u32 v4, vcc_lo, s4, v2
	v_add_co_ci_u32_e32 v5, vcc_lo, s5, v3, vcc_lo
	v_cndmask_b32_e64 v1, 0x7ff00000, v1, s0
	s_and_b32 vcc_lo, s1, s0
	s_mov_b32 s0, 0
	v_cndmask_b32_e32 v0, 0, v0, vcc_lo
	s_and_b32 vcc_lo, exec_lo, s2
	v_cndmask_b32_e64 v1, 0xbff00000, v1, s1
	s_cbranch_vccnz .LBB112_18
; %bb.12:
	v_cmp_lt_i16_e32 vcc_lo, 25, v6
	s_cbranch_vccz .LBB112_59
; %bb.13:
	v_cmp_lt_i16_e32 vcc_lo, 28, v6
	s_cbranch_vccz .LBB112_61
	;; [unrolled: 3-line block ×4, first 2 shown]
; %bb.16:
	v_cmp_eq_u16_e32 vcc_lo, 46, v6
	s_mov_b32 s1, 0
	s_mov_b32 s11, -1
	s_cbranch_vccz .LBB112_69
; %bb.17:
	v_cvt_f32_f64_e32 v2, v[0:1]
	s_mov_b32 s0, -1
	s_mov_b32 s11, 0
	s_delay_alu instid0(VALU_DEP_1) | instskip(SKIP_1) | instid1(VALU_DEP_2)
	v_bfe_u32 v3, v2, 16, 1
	v_cmp_o_f32_e32 vcc_lo, v2, v2
	v_add3_u32 v3, v2, v3, 0x7fff
	s_delay_alu instid0(VALU_DEP_1) | instskip(NEXT) | instid1(VALU_DEP_1)
	v_lshrrev_b32_e32 v3, 16, v3
	v_cndmask_b32_e32 v2, 0x7fc0, v3, vcc_lo
	global_store_b32 v[4:5], v2, off
	s_branch .LBB112_69
.LBB112_18:
	s_and_b32 vcc_lo, exec_lo, s16
	s_cbranch_vccz .LBB112_138
; %bb.19:
	v_cmp_gt_i16_e32 vcc_lo, 5, v6
	s_mov_b32 s0, -1
	s_cbranch_vccnz .LBB112_40
; %bb.20:
	v_cmp_gt_i16_e32 vcc_lo, 8, v6
	s_cbranch_vccnz .LBB112_30
; %bb.21:
	v_cmp_gt_i16_e32 vcc_lo, 9, v6
	s_cbranch_vccnz .LBB112_27
; %bb.22:
	v_cmp_lt_i16_e32 vcc_lo, 9, v6
	s_cbranch_vccz .LBB112_24
; %bb.23:
	v_mov_b32_e32 v2, 0
	s_mov_b32 s0, 0
	s_delay_alu instid0(VALU_DEP_1)
	v_mov_b32_e32 v3, v2
	global_store_b128 v[4:5], v[0:3], off
.LBB112_24:
	s_and_not1_b32 vcc_lo, exec_lo, s0
	s_cbranch_vccnz .LBB112_26
; %bb.25:
	v_cvt_f32_f64_e32 v2, v[0:1]
	v_mov_b32_e32 v3, 0
	global_store_b64 v[4:5], v[2:3], off
.LBB112_26:
	s_mov_b32 s0, 0
.LBB112_27:
	s_delay_alu instid0(SALU_CYCLE_1)
	s_and_not1_b32 vcc_lo, exec_lo, s0
	s_cbranch_vccnz .LBB112_29
; %bb.28:
	v_cvt_f32_f64_e32 v2, v[0:1]
	s_delay_alu instid0(VALU_DEP_1) | instskip(NEXT) | instid1(VALU_DEP_1)
	v_cvt_f16_f32_e32 v2, v2
	v_and_b32_e32 v2, 0xffff, v2
	global_store_b32 v[4:5], v2, off
.LBB112_29:
	s_mov_b32 s0, 0
.LBB112_30:
	s_delay_alu instid0(SALU_CYCLE_1)
	s_and_not1_b32 vcc_lo, exec_lo, s0
	s_cbranch_vccnz .LBB112_39
; %bb.31:
	v_cmp_gt_i16_e32 vcc_lo, 6, v6
	s_mov_b32 s0, -1
	s_cbranch_vccnz .LBB112_37
; %bb.32:
	v_cmp_lt_i16_e32 vcc_lo, 6, v6
	s_cbranch_vccz .LBB112_34
; %bb.33:
	s_mov_b32 s0, 0
	global_store_b64 v[4:5], v[0:1], off
.LBB112_34:
	s_and_not1_b32 vcc_lo, exec_lo, s0
	s_cbranch_vccnz .LBB112_36
; %bb.35:
	v_cvt_f32_f64_e32 v2, v[0:1]
	global_store_b32 v[4:5], v2, off
.LBB112_36:
	s_mov_b32 s0, 0
.LBB112_37:
	s_delay_alu instid0(SALU_CYCLE_1)
	s_and_not1_b32 vcc_lo, exec_lo, s0
	s_cbranch_vccnz .LBB112_39
; %bb.38:
	v_cvt_f32_f64_e32 v2, v[0:1]
	s_delay_alu instid0(VALU_DEP_1)
	v_cvt_f16_f32_e32 v2, v2
	global_store_b16 v[4:5], v2, off
.LBB112_39:
	s_mov_b32 s0, 0
.LBB112_40:
	s_delay_alu instid0(SALU_CYCLE_1)
	s_and_not1_b32 vcc_lo, exec_lo, s0
	s_cbranch_vccnz .LBB112_56
; %bb.41:
	v_cmp_gt_i16_e32 vcc_lo, 2, v6
	s_mov_b32 s0, -1
	s_cbranch_vccnz .LBB112_51
; %bb.42:
	v_cmp_gt_i16_e32 vcc_lo, 3, v6
	s_cbranch_vccnz .LBB112_48
; %bb.43:
	v_cmp_lt_i16_e32 vcc_lo, 3, v6
	s_cbranch_vccz .LBB112_45
; %bb.44:
	v_trunc_f64_e32 v[2:3], v[0:1]
	s_mov_b32 s0, 0
	s_delay_alu instid0(VALU_DEP_1) | instskip(NEXT) | instid1(VALU_DEP_1)
	v_ldexp_f64 v[7:8], v[2:3], 0xffffffe0
	v_floor_f64_e32 v[7:8], v[7:8]
	s_delay_alu instid0(VALU_DEP_1) | instskip(SKIP_1) | instid1(VALU_DEP_2)
	v_fma_f64 v[2:3], 0xc1f00000, v[7:8], v[2:3]
	v_cvt_i32_f64_e32 v8, v[7:8]
	v_cvt_u32_f64_e32 v7, v[2:3]
	global_store_b64 v[4:5], v[7:8], off
.LBB112_45:
	s_and_not1_b32 vcc_lo, exec_lo, s0
	s_cbranch_vccnz .LBB112_47
; %bb.46:
	v_cvt_i32_f64_e32 v2, v[0:1]
	global_store_b32 v[4:5], v2, off
.LBB112_47:
	s_mov_b32 s0, 0
.LBB112_48:
	s_delay_alu instid0(SALU_CYCLE_1)
	s_and_not1_b32 vcc_lo, exec_lo, s0
	s_cbranch_vccnz .LBB112_50
; %bb.49:
	v_cvt_i32_f64_e32 v2, v[0:1]
	global_store_b16 v[4:5], v2, off
.LBB112_50:
	s_mov_b32 s0, 0
.LBB112_51:
	s_delay_alu instid0(SALU_CYCLE_1)
	s_and_not1_b32 vcc_lo, exec_lo, s0
	s_cbranch_vccnz .LBB112_56
; %bb.52:
	v_cmp_lt_i16_e32 vcc_lo, 0, v6
	s_mov_b32 s0, -1
	s_cbranch_vccz .LBB112_54
; %bb.53:
	v_cvt_i32_f64_e32 v2, v[0:1]
	s_mov_b32 s0, 0
	global_store_b8 v[4:5], v2, off
.LBB112_54:
	s_and_not1_b32 vcc_lo, exec_lo, s0
	s_cbranch_vccnz .LBB112_56
; %bb.55:
	v_trunc_f64_e32 v[0:1], v[0:1]
	s_delay_alu instid0(VALU_DEP_1) | instskip(NEXT) | instid1(VALU_DEP_1)
	v_ldexp_f64 v[2:3], v[0:1], 0xffffffe0
	v_floor_f64_e32 v[2:3], v[2:3]
	s_delay_alu instid0(VALU_DEP_1) | instskip(NEXT) | instid1(VALU_DEP_1)
	v_fma_f64 v[0:1], 0xc1f00000, v[2:3], v[0:1]
	v_cvt_u32_f64_e32 v0, v[0:1]
	global_store_b8 v[4:5], v0, off
.LBB112_56:
	s_branch .LBB112_139
.LBB112_57:
	s_mov_b32 s0, 0
                                        ; implicit-def: $vgpr2_vgpr3
	s_and_b32 vcc_lo, exec_lo, s1
	s_cbranch_vccnz .LBB112_168
	s_branch .LBB112_200
.LBB112_58:
	s_mov_b32 s0, 0
                                        ; implicit-def: $vgpr2_vgpr3
	s_branch .LBB112_147
.LBB112_59:
	s_mov_b32 s1, -1
	s_branch .LBB112_96
.LBB112_60:
	s_mov_b32 s0, 0
                                        ; implicit-def: $vgpr2_vgpr3
	s_branch .LBB112_142
.LBB112_61:
	s_mov_b32 s1, -1
	s_branch .LBB112_79
.LBB112_62:
	s_mov_b32 s1, -1
	s_branch .LBB112_75
.LBB112_63:
	s_mov_b32 s13, -1
.LBB112_64:
	s_mov_b32 s0, 0
                                        ; implicit-def: $vgpr2_vgpr3
.LBB112_65:
	s_and_b32 vcc_lo, exec_lo, s1
	s_cbranch_vccz .LBB112_141
; %bb.66:
	v_cmp_eq_u16_e32 vcc_lo, 44, v12
	s_cbranch_vccz .LBB112_140
; %bb.67:
	global_load_u8 v4, v[0:1], off
	s_mov_b32 s13, 0
	s_mov_b32 s0, -1
	s_waitcnt vmcnt(0)
	v_cmp_ne_u32_e32 vcc_lo, 0xff, v4
	v_lshlrev_b32_e32 v2, 23, v4
	s_delay_alu instid0(VALU_DEP_1) | instskip(NEXT) | instid1(VALU_DEP_1)
	v_cvt_f64_f32_e32 v[2:3], v2
	v_cndmask_b32_e32 v3, 0x7ff80000, v3, vcc_lo
	s_delay_alu instid0(VALU_DEP_2) | instskip(SKIP_1) | instid1(VALU_DEP_3)
	v_cndmask_b32_e32 v2, 0x20000000, v2, vcc_lo
	v_cmp_ne_u32_e32 vcc_lo, 0, v4
	v_cndmask_b32_e32 v3, 0x38000000, v3, vcc_lo
	s_delay_alu instid0(VALU_DEP_3)
	v_cndmask_b32_e32 v2, 0, v2, vcc_lo
	s_branch .LBB112_141
.LBB112_68:
	s_mov_b32 s1, -1
.LBB112_69:
	s_delay_alu instid0(SALU_CYCLE_1)
	s_and_b32 vcc_lo, exec_lo, s1
	s_cbranch_vccz .LBB112_74
; %bb.70:
	v_cmp_eq_u16_e32 vcc_lo, 44, v6
	s_mov_b32 s11, -1
	s_cbranch_vccz .LBB112_74
; %bb.71:
	v_cvt_f32_f64_e32 v2, v[0:1]
	v_mov_b32_e32 v3, 0xff
	s_mov_b32 s1, exec_lo
	s_delay_alu instid0(VALU_DEP_2) | instskip(NEXT) | instid1(VALU_DEP_1)
	v_bfe_u32 v7, v2, 23, 8
	v_cmpx_ne_u32_e32 0xff, v7
; %bb.72:
	v_and_b32_e32 v3, 0x400000, v2
	v_and_or_b32 v7, 0x3fffff, v2, v7
	v_lshrrev_b32_e32 v2, 23, v2
	s_delay_alu instid0(VALU_DEP_3) | instskip(NEXT) | instid1(VALU_DEP_3)
	v_cmp_ne_u32_e32 vcc_lo, 0, v3
	v_cmp_ne_u32_e64 s0, 0, v7
	s_delay_alu instid0(VALU_DEP_1) | instskip(NEXT) | instid1(SALU_CYCLE_1)
	s_and_b32 s0, vcc_lo, s0
	v_cndmask_b32_e64 v3, 0, 1, s0
	s_delay_alu instid0(VALU_DEP_1)
	v_add_nc_u32_e32 v3, v2, v3
; %bb.73:
	s_or_b32 exec_lo, exec_lo, s1
	s_mov_b32 s0, -1
	s_mov_b32 s11, 0
	global_store_b8 v[4:5], v3, off
.LBB112_74:
	s_mov_b32 s1, 0
.LBB112_75:
	s_delay_alu instid0(SALU_CYCLE_1)
	s_and_b32 vcc_lo, exec_lo, s1
	s_cbranch_vccz .LBB112_78
; %bb.76:
	v_cmp_eq_u16_e32 vcc_lo, 29, v6
	s_mov_b32 s11, -1
	s_cbranch_vccz .LBB112_78
; %bb.77:
	v_trunc_f64_e32 v[2:3], v[0:1]
	s_mov_b32 s0, -1
	s_mov_b32 s11, 0
	s_mov_b32 s1, 0
	s_delay_alu instid0(VALU_DEP_1) | instskip(NEXT) | instid1(VALU_DEP_1)
	v_ldexp_f64 v[7:8], v[2:3], 0xffffffe0
	v_floor_f64_e32 v[7:8], v[7:8]
	s_delay_alu instid0(VALU_DEP_1) | instskip(SKIP_1) | instid1(VALU_DEP_2)
	v_fma_f64 v[2:3], 0xc1f00000, v[7:8], v[2:3]
	v_cvt_u32_f64_e32 v8, v[7:8]
	v_cvt_u32_f64_e32 v7, v[2:3]
	global_store_b64 v[4:5], v[7:8], off
	s_branch .LBB112_79
.LBB112_78:
	s_mov_b32 s1, 0
.LBB112_79:
	s_delay_alu instid0(SALU_CYCLE_1)
	s_and_b32 vcc_lo, exec_lo, s1
	s_cbranch_vccz .LBB112_95
; %bb.80:
	v_cmp_gt_i16_e32 vcc_lo, 27, v6
	s_mov_b32 s0, -1
	s_cbranch_vccnz .LBB112_86
; %bb.81:
	v_cmp_lt_i16_e32 vcc_lo, 27, v6
	s_cbranch_vccz .LBB112_83
; %bb.82:
	v_cvt_u32_f64_e32 v2, v[0:1]
	s_mov_b32 s0, 0
	global_store_b32 v[4:5], v2, off
.LBB112_83:
	s_and_not1_b32 vcc_lo, exec_lo, s0
	s_cbranch_vccnz .LBB112_85
; %bb.84:
	v_cvt_u32_f64_e32 v2, v[0:1]
	global_store_b16 v[4:5], v2, off
.LBB112_85:
	s_mov_b32 s0, 0
.LBB112_86:
	s_delay_alu instid0(SALU_CYCLE_1)
	s_and_not1_b32 vcc_lo, exec_lo, s0
	s_cbranch_vccnz .LBB112_94
; %bb.87:
	v_cvt_f32_f64_e32 v2, v[0:1]
	v_mov_b32_e32 v7, 0x80
	s_mov_b32 s0, exec_lo
	s_delay_alu instid0(VALU_DEP_2) | instskip(NEXT) | instid1(VALU_DEP_1)
	v_and_b32_e32 v3, 0x7fffffff, v2
	v_cmpx_gt_u32_e32 0x43800000, v3
	s_cbranch_execz .LBB112_93
; %bb.88:
	v_cmp_lt_u32_e32 vcc_lo, 0x3bffffff, v3
	s_mov_b32 s1, 0
                                        ; implicit-def: $vgpr3
	s_and_saveexec_b32 s2, vcc_lo
	s_delay_alu instid0(SALU_CYCLE_1)
	s_xor_b32 s2, exec_lo, s2
	s_cbranch_execz .LBB112_314
; %bb.89:
	v_bfe_u32 v3, v2, 20, 1
	s_mov_b32 s1, exec_lo
	s_delay_alu instid0(VALU_DEP_1) | instskip(NEXT) | instid1(VALU_DEP_1)
	v_add3_u32 v3, v2, v3, 0x487ffff
	v_lshrrev_b32_e32 v3, 20, v3
	s_or_saveexec_b32 s2, s2
                                        ; implicit-def: $sgpr16
	s_delay_alu instid0(SALU_CYCLE_1)
	s_xor_b32 exec_lo, exec_lo, s2
	s_cbranch_execnz .LBB112_315
.LBB112_90:
	s_or_b32 exec_lo, exec_lo, s2
	v_mov_b32_e32 v7, s16
	s_and_saveexec_b32 s2, s1
.LBB112_91:
	v_lshrrev_b32_e32 v2, 24, v2
	s_delay_alu instid0(VALU_DEP_1)
	v_and_or_b32 v7, 0x80, v2, v3
.LBB112_92:
	s_or_b32 exec_lo, exec_lo, s2
.LBB112_93:
	s_delay_alu instid0(SALU_CYCLE_1)
	s_or_b32 exec_lo, exec_lo, s0
	global_store_b8 v[4:5], v7, off
.LBB112_94:
	s_mov_b32 s0, -1
.LBB112_95:
	s_mov_b32 s1, 0
.LBB112_96:
	s_delay_alu instid0(SALU_CYCLE_1)
	s_and_b32 vcc_lo, exec_lo, s1
	s_cbranch_vccz .LBB112_137
; %bb.97:
	v_cmp_lt_i16_e32 vcc_lo, 22, v6
	s_mov_b32 s1, -1
	s_cbranch_vccz .LBB112_129
; %bb.98:
	v_cmp_gt_i16_e32 vcc_lo, 24, v6
	s_mov_b32 s0, -1
	s_cbranch_vccnz .LBB112_118
; %bb.99:
	v_cmp_lt_i16_e32 vcc_lo, 24, v6
	s_cbranch_vccz .LBB112_107
; %bb.100:
	v_cvt_f32_f64_e32 v2, v[0:1]
	v_mov_b32_e32 v7, 0x80
	s_mov_b32 s0, exec_lo
	s_delay_alu instid0(VALU_DEP_2) | instskip(NEXT) | instid1(VALU_DEP_1)
	v_and_b32_e32 v3, 0x7fffffff, v2
	v_cmpx_gt_u32_e32 0x47800000, v3
	s_cbranch_execz .LBB112_106
; %bb.101:
	v_cmp_lt_u32_e32 vcc_lo, 0x37ffffff, v3
	s_mov_b32 s1, 0
                                        ; implicit-def: $vgpr3
	s_and_saveexec_b32 s2, vcc_lo
	s_delay_alu instid0(SALU_CYCLE_1)
	s_xor_b32 s2, exec_lo, s2
	s_cbranch_execz .LBB112_318
; %bb.102:
	v_bfe_u32 v3, v2, 21, 1
	s_mov_b32 s1, exec_lo
	s_delay_alu instid0(VALU_DEP_1) | instskip(NEXT) | instid1(VALU_DEP_1)
	v_add3_u32 v3, v2, v3, 0x88fffff
	v_lshrrev_b32_e32 v3, 21, v3
	s_or_saveexec_b32 s2, s2
                                        ; implicit-def: $sgpr16
	s_delay_alu instid0(SALU_CYCLE_1)
	s_xor_b32 exec_lo, exec_lo, s2
	s_cbranch_execnz .LBB112_319
.LBB112_103:
	s_or_b32 exec_lo, exec_lo, s2
	v_mov_b32_e32 v7, s16
	s_and_saveexec_b32 s2, s1
.LBB112_104:
	v_lshrrev_b32_e32 v2, 24, v2
	s_delay_alu instid0(VALU_DEP_1)
	v_and_or_b32 v7, 0x80, v2, v3
.LBB112_105:
	s_or_b32 exec_lo, exec_lo, s2
.LBB112_106:
	s_delay_alu instid0(SALU_CYCLE_1)
	s_or_b32 exec_lo, exec_lo, s0
	s_mov_b32 s0, 0
	global_store_b8 v[4:5], v7, off
.LBB112_107:
	s_and_b32 vcc_lo, exec_lo, s0
	s_cbranch_vccz .LBB112_117
; %bb.108:
	v_cvt_f32_f64_e32 v2, v[0:1]
	s_mov_b32 s0, exec_lo
                                        ; implicit-def: $vgpr3
	s_delay_alu instid0(VALU_DEP_1) | instskip(NEXT) | instid1(VALU_DEP_1)
	v_and_b32_e32 v7, 0x7fffffff, v2
	v_cmpx_gt_u32_e32 0x43f00000, v7
	s_xor_b32 s0, exec_lo, s0
	s_cbranch_execz .LBB112_114
; %bb.109:
	s_mov_b32 s1, exec_lo
                                        ; implicit-def: $vgpr3
	v_cmpx_lt_u32_e32 0x3c7fffff, v7
	s_xor_b32 s1, exec_lo, s1
; %bb.110:
	v_bfe_u32 v3, v2, 20, 1
	s_delay_alu instid0(VALU_DEP_1) | instskip(NEXT) | instid1(VALU_DEP_1)
	v_add3_u32 v3, v2, v3, 0x407ffff
	v_and_b32_e32 v7, 0xff00000, v3
	v_lshrrev_b32_e32 v3, 20, v3
	s_delay_alu instid0(VALU_DEP_2) | instskip(NEXT) | instid1(VALU_DEP_2)
	v_cmp_ne_u32_e32 vcc_lo, 0x7f00000, v7
	v_cndmask_b32_e32 v3, 0x7e, v3, vcc_lo
; %bb.111:
	s_and_not1_saveexec_b32 s1, s1
; %bb.112:
	v_add_f32_e64 v3, 0x46800000, |v2|
; %bb.113:
	s_or_b32 exec_lo, exec_lo, s1
                                        ; implicit-def: $vgpr7
.LBB112_114:
	s_and_not1_saveexec_b32 s0, s0
; %bb.115:
	v_mov_b32_e32 v3, 0x7f
	v_cmp_lt_u32_e32 vcc_lo, 0x7f800000, v7
	s_delay_alu instid0(VALU_DEP_2)
	v_cndmask_b32_e32 v3, 0x7e, v3, vcc_lo
; %bb.116:
	s_or_b32 exec_lo, exec_lo, s0
	v_lshrrev_b32_e32 v2, 24, v2
	s_delay_alu instid0(VALU_DEP_1)
	v_and_or_b32 v2, 0x80, v2, v3
	global_store_b8 v[4:5], v2, off
.LBB112_117:
	s_mov_b32 s0, 0
.LBB112_118:
	s_delay_alu instid0(SALU_CYCLE_1)
	s_and_not1_b32 vcc_lo, exec_lo, s0
	s_cbranch_vccnz .LBB112_128
; %bb.119:
	v_cvt_f32_f64_e32 v2, v[0:1]
	s_mov_b32 s0, exec_lo
                                        ; implicit-def: $vgpr3
	s_delay_alu instid0(VALU_DEP_1) | instskip(NEXT) | instid1(VALU_DEP_1)
	v_and_b32_e32 v7, 0x7fffffff, v2
	v_cmpx_gt_u32_e32 0x47800000, v7
	s_xor_b32 s0, exec_lo, s0
	s_cbranch_execz .LBB112_125
; %bb.120:
	s_mov_b32 s1, exec_lo
                                        ; implicit-def: $vgpr3
	v_cmpx_lt_u32_e32 0x387fffff, v7
	s_xor_b32 s1, exec_lo, s1
; %bb.121:
	v_bfe_u32 v3, v2, 21, 1
	s_delay_alu instid0(VALU_DEP_1) | instskip(NEXT) | instid1(VALU_DEP_1)
	v_add3_u32 v3, v2, v3, 0x80fffff
	v_lshrrev_b32_e32 v3, 21, v3
; %bb.122:
	s_and_not1_saveexec_b32 s1, s1
; %bb.123:
	v_add_f32_e64 v3, 0x43000000, |v2|
; %bb.124:
	s_or_b32 exec_lo, exec_lo, s1
                                        ; implicit-def: $vgpr7
.LBB112_125:
	s_and_not1_saveexec_b32 s0, s0
; %bb.126:
	v_mov_b32_e32 v3, 0x7f
	v_cmp_lt_u32_e32 vcc_lo, 0x7f800000, v7
	s_delay_alu instid0(VALU_DEP_2)
	v_cndmask_b32_e32 v3, 0x7c, v3, vcc_lo
; %bb.127:
	s_or_b32 exec_lo, exec_lo, s0
	v_lshrrev_b32_e32 v2, 24, v2
	s_delay_alu instid0(VALU_DEP_1)
	v_and_or_b32 v2, 0x80, v2, v3
	global_store_b8 v[4:5], v2, off
.LBB112_128:
	s_mov_b32 s1, 0
	s_mov_b32 s0, -1
.LBB112_129:
	s_and_not1_b32 vcc_lo, exec_lo, s1
	s_cbranch_vccnz .LBB112_137
; %bb.130:
	v_cmp_lt_i16_e32 vcc_lo, 14, v6
	s_mov_b32 s1, -1
	s_cbranch_vccz .LBB112_134
; %bb.131:
	v_cmp_eq_u16_e32 vcc_lo, 15, v6
	s_mov_b32 s11, -1
	s_cbranch_vccz .LBB112_133
; %bb.132:
	v_cvt_f32_f64_e32 v2, v[0:1]
	s_mov_b32 s0, -1
	s_mov_b32 s11, 0
	s_delay_alu instid0(VALU_DEP_1) | instskip(SKIP_1) | instid1(VALU_DEP_2)
	v_bfe_u32 v3, v2, 16, 1
	v_cmp_o_f32_e32 vcc_lo, v2, v2
	v_add3_u32 v3, v2, v3, 0x7fff
	s_delay_alu instid0(VALU_DEP_1) | instskip(NEXT) | instid1(VALU_DEP_1)
	v_lshrrev_b32_e32 v3, 16, v3
	v_cndmask_b32_e32 v2, 0x7fc0, v3, vcc_lo
	global_store_b16 v[4:5], v2, off
.LBB112_133:
	s_mov_b32 s1, 0
.LBB112_134:
	s_delay_alu instid0(SALU_CYCLE_1)
	s_and_b32 vcc_lo, exec_lo, s1
	s_cbranch_vccz .LBB112_137
; %bb.135:
	v_cmp_eq_u16_e32 vcc_lo, 11, v6
	s_mov_b32 s11, -1
	s_cbranch_vccz .LBB112_137
; %bb.136:
	v_cmp_neq_f64_e32 vcc_lo, 0, v[0:1]
	s_mov_b32 s0, -1
	s_mov_b32 s11, 0
	v_cndmask_b32_e64 v2, 0, 1, vcc_lo
	global_store_b8 v[4:5], v2, off
.LBB112_137:
.LBB112_138:
	s_and_not1_b32 vcc_lo, exec_lo, s0
	s_cbranch_vccnz .LBB112_249
.LBB112_139:
	v_add_nc_u32_e32 v11, 0x80, v11
	s_mov_b32 s0, -1
	s_branch .LBB112_250
.LBB112_140:
	s_mov_b32 s13, -1
                                        ; implicit-def: $vgpr2_vgpr3
.LBB112_141:
	s_mov_b32 s1, 0
.LBB112_142:
	s_delay_alu instid0(SALU_CYCLE_1)
	s_and_b32 vcc_lo, exec_lo, s1
	s_cbranch_vccz .LBB112_146
; %bb.143:
	v_cmp_eq_u16_e32 vcc_lo, 29, v12
	s_cbranch_vccz .LBB112_145
; %bb.144:
	global_load_b64 v[2:3], v[0:1], off
	s_mov_b32 s0, -1
	s_mov_b32 s13, 0
	s_mov_b32 s1, 0
	s_waitcnt vmcnt(0)
	v_cvt_f64_u32_e32 v[3:4], v3
	v_cvt_f64_u32_e32 v[5:6], v2
	s_delay_alu instid0(VALU_DEP_2) | instskip(NEXT) | instid1(VALU_DEP_1)
	v_ldexp_f64 v[3:4], v[3:4], 32
	v_add_f64 v[2:3], v[3:4], v[5:6]
	s_branch .LBB112_147
.LBB112_145:
	s_mov_b32 s13, -1
                                        ; implicit-def: $vgpr2_vgpr3
.LBB112_146:
	s_mov_b32 s1, 0
.LBB112_147:
	s_delay_alu instid0(SALU_CYCLE_1)
	s_and_b32 vcc_lo, exec_lo, s1
	s_cbranch_vccz .LBB112_167
; %bb.148:
	v_cmp_gt_i16_e32 vcc_lo, 27, v12
	s_cbranch_vccnz .LBB112_151
; %bb.149:
	v_cmp_lt_i16_e32 vcc_lo, 27, v12
	s_cbranch_vccz .LBB112_152
; %bb.150:
	global_load_b32 v2, v[0:1], off
	s_mov_b32 s0, 0
	s_waitcnt vmcnt(0)
	v_cvt_f64_u32_e32 v[2:3], v2
	s_branch .LBB112_153
.LBB112_151:
	s_mov_b32 s0, -1
                                        ; implicit-def: $vgpr2_vgpr3
	s_branch .LBB112_156
.LBB112_152:
	s_mov_b32 s0, -1
                                        ; implicit-def: $vgpr2_vgpr3
.LBB112_153:
	s_delay_alu instid0(SALU_CYCLE_1)
	s_and_not1_b32 vcc_lo, exec_lo, s0
	s_cbranch_vccnz .LBB112_155
; %bb.154:
	global_load_u16 v2, v[0:1], off
	s_waitcnt vmcnt(0)
	v_cvt_f64_u32_e32 v[2:3], v2
.LBB112_155:
	s_mov_b32 s0, 0
.LBB112_156:
	s_delay_alu instid0(SALU_CYCLE_1)
	s_and_not1_b32 vcc_lo, exec_lo, s0
	s_cbranch_vccnz .LBB112_166
; %bb.157:
	global_load_u8 v4, v[0:1], off
	s_mov_b32 s2, 0
	s_mov_b32 s11, exec_lo
                                        ; implicit-def: $sgpr0_sgpr1
	s_waitcnt vmcnt(0)
	v_cmpx_lt_i16_e32 0x7f, v4
	s_xor_b32 s11, exec_lo, s11
	s_cbranch_execz .LBB112_161
; %bb.158:
	s_mov_b32 s16, -1
	s_mov_b32 s2, exec_lo
                                        ; implicit-def: $sgpr0_sgpr1
	v_cmpx_eq_u16_e32 0x80, v4
; %bb.159:
	s_mov_b32 s1, 0x7ff80000
	s_brev_b32 s0, 4
	s_xor_b32 s16, exec_lo, -1
; %bb.160:
	s_or_b32 exec_lo, exec_lo, s2
	s_delay_alu instid0(SALU_CYCLE_1)
	s_and_b32 s2, s16, exec_lo
.LBB112_161:
	s_or_saveexec_b32 s11, s11
	v_dual_mov_b32 v3, s1 :: v_dual_mov_b32 v2, s0
	s_xor_b32 exec_lo, exec_lo, s11
; %bb.162:
	v_cmp_ne_u16_e32 vcc_lo, 0, v4
	v_mov_b32_e32 v2, 0
	v_mov_b32_e32 v3, 0
	s_and_not1_b32 s0, s2, exec_lo
	s_and_b32 s1, vcc_lo, exec_lo
	s_delay_alu instid0(SALU_CYCLE_1)
	s_or_b32 s2, s0, s1
; %bb.163:
	s_or_b32 exec_lo, exec_lo, s11
	s_and_saveexec_b32 s0, s2
	s_cbranch_execz .LBB112_165
; %bb.164:
	v_and_b32_e32 v2, 0xffff, v4
	v_lshlrev_b32_e32 v4, 24, v4
	s_delay_alu instid0(VALU_DEP_2) | instskip(NEXT) | instid1(VALU_DEP_2)
	v_and_b32_e32 v3, 7, v2
	v_and_b32_e32 v4, 0x80000000, v4
	s_delay_alu instid0(VALU_DEP_2) | instskip(NEXT) | instid1(VALU_DEP_1)
	v_clz_i32_u32_e32 v5, v3
	v_min_u32_e32 v5, 32, v5
	s_delay_alu instid0(VALU_DEP_1) | instskip(SKIP_1) | instid1(VALU_DEP_2)
	v_subrev_nc_u32_e32 v6, 28, v5
	v_sub_nc_u32_e32 v5, 29, v5
	v_lshlrev_b32_e32 v6, v6, v2
	v_bfe_u32 v2, v2, 3, 4
	s_delay_alu instid0(VALU_DEP_2) | instskip(NEXT) | instid1(VALU_DEP_2)
	v_and_b32_e32 v6, 7, v6
	v_cmp_eq_u32_e32 vcc_lo, 0, v2
	s_delay_alu instid0(VALU_DEP_2) | instskip(NEXT) | instid1(VALU_DEP_1)
	v_dual_cndmask_b32 v2, v2, v5 :: v_dual_cndmask_b32 v3, v3, v6
	v_lshl_add_u32 v2, v2, 23, 0x3b800000
	s_delay_alu instid0(VALU_DEP_2) | instskip(NEXT) | instid1(VALU_DEP_1)
	v_lshlrev_b32_e32 v3, 20, v3
	v_or3_b32 v2, v4, v2, v3
	s_delay_alu instid0(VALU_DEP_1)
	v_cvt_f64_f32_e32 v[2:3], v2
.LBB112_165:
	s_or_b32 exec_lo, exec_lo, s0
.LBB112_166:
	s_mov_b32 s0, -1
.LBB112_167:
	s_branch .LBB112_200
.LBB112_168:
	v_cmp_lt_i16_e32 vcc_lo, 22, v12
	s_cbranch_vccz .LBB112_180
; %bb.169:
	v_cmp_gt_i16_e32 vcc_lo, 24, v12
	s_cbranch_vccnz .LBB112_181
; %bb.170:
	v_cmp_lt_i16_e32 vcc_lo, 24, v12
	s_cbranch_vccz .LBB112_182
; %bb.171:
	global_load_u8 v4, v[0:1], off
	s_mov_b32 s2, 0
	s_mov_b32 s11, exec_lo
                                        ; implicit-def: $sgpr0_sgpr1
	s_waitcnt vmcnt(0)
	v_cmpx_lt_i16_e32 0x7f, v4
	s_xor_b32 s11, exec_lo, s11
	s_cbranch_execz .LBB112_175
; %bb.172:
	s_mov_b32 s16, -1
	s_mov_b32 s2, exec_lo
                                        ; implicit-def: $sgpr0_sgpr1
	v_cmpx_eq_u16_e32 0x80, v4
; %bb.173:
	s_mov_b32 s1, 0x7ff80000
	s_brev_b32 s0, 4
	s_xor_b32 s16, exec_lo, -1
; %bb.174:
	s_or_b32 exec_lo, exec_lo, s2
	s_delay_alu instid0(SALU_CYCLE_1)
	s_and_b32 s2, s16, exec_lo
.LBB112_175:
	s_or_saveexec_b32 s11, s11
	v_dual_mov_b32 v3, s1 :: v_dual_mov_b32 v2, s0
	s_xor_b32 exec_lo, exec_lo, s11
; %bb.176:
	v_cmp_ne_u16_e32 vcc_lo, 0, v4
	v_mov_b32_e32 v2, 0
	v_mov_b32_e32 v3, 0
	s_and_not1_b32 s0, s2, exec_lo
	s_and_b32 s1, vcc_lo, exec_lo
	s_delay_alu instid0(SALU_CYCLE_1)
	s_or_b32 s2, s0, s1
; %bb.177:
	s_or_b32 exec_lo, exec_lo, s11
	s_and_saveexec_b32 s0, s2
	s_cbranch_execz .LBB112_179
; %bb.178:
	v_and_b32_e32 v2, 0xffff, v4
	v_lshlrev_b32_e32 v4, 24, v4
	s_delay_alu instid0(VALU_DEP_2) | instskip(NEXT) | instid1(VALU_DEP_2)
	v_and_b32_e32 v3, 3, v2
	v_and_b32_e32 v4, 0x80000000, v4
	s_delay_alu instid0(VALU_DEP_2) | instskip(NEXT) | instid1(VALU_DEP_1)
	v_clz_i32_u32_e32 v5, v3
	v_min_u32_e32 v5, 32, v5
	s_delay_alu instid0(VALU_DEP_1) | instskip(SKIP_1) | instid1(VALU_DEP_2)
	v_subrev_nc_u32_e32 v6, 29, v5
	v_sub_nc_u32_e32 v5, 30, v5
	v_lshlrev_b32_e32 v6, v6, v2
	v_bfe_u32 v2, v2, 2, 5
	s_delay_alu instid0(VALU_DEP_2) | instskip(NEXT) | instid1(VALU_DEP_2)
	v_and_b32_e32 v6, 3, v6
	v_cmp_eq_u32_e32 vcc_lo, 0, v2
	s_delay_alu instid0(VALU_DEP_2) | instskip(NEXT) | instid1(VALU_DEP_1)
	v_dual_cndmask_b32 v2, v2, v5 :: v_dual_cndmask_b32 v3, v3, v6
	v_lshl_add_u32 v2, v2, 23, 0x37800000
	s_delay_alu instid0(VALU_DEP_2) | instskip(NEXT) | instid1(VALU_DEP_1)
	v_lshlrev_b32_e32 v3, 21, v3
	v_or3_b32 v2, v4, v2, v3
	s_delay_alu instid0(VALU_DEP_1)
	v_cvt_f64_f32_e32 v[2:3], v2
.LBB112_179:
	s_or_b32 exec_lo, exec_lo, s0
	s_mov_b32 s0, 0
	s_branch .LBB112_183
.LBB112_180:
	s_mov_b32 s1, -1
                                        ; implicit-def: $vgpr2_vgpr3
	s_branch .LBB112_189
.LBB112_181:
	s_mov_b32 s0, -1
                                        ; implicit-def: $vgpr2_vgpr3
	s_branch .LBB112_186
.LBB112_182:
	s_mov_b32 s0, -1
                                        ; implicit-def: $vgpr2_vgpr3
.LBB112_183:
	s_delay_alu instid0(SALU_CYCLE_1)
	s_and_b32 vcc_lo, exec_lo, s0
	s_cbranch_vccz .LBB112_185
; %bb.184:
	global_load_u8 v2, v[0:1], off
	s_waitcnt vmcnt(0)
	v_lshlrev_b32_e32 v2, 24, v2
	s_delay_alu instid0(VALU_DEP_1) | instskip(NEXT) | instid1(VALU_DEP_1)
	v_and_b32_e32 v3, 0x7f000000, v2
	v_clz_i32_u32_e32 v4, v3
	v_add_nc_u32_e32 v6, 0x1000000, v3
	v_cmp_ne_u32_e32 vcc_lo, 0, v3
	s_delay_alu instid0(VALU_DEP_3) | instskip(NEXT) | instid1(VALU_DEP_1)
	v_min_u32_e32 v4, 32, v4
	v_sub_nc_u32_e64 v4, v4, 4 clamp
	s_delay_alu instid0(VALU_DEP_1) | instskip(SKIP_1) | instid1(VALU_DEP_2)
	v_lshlrev_b32_e32 v5, v4, v3
	v_lshlrev_b32_e32 v4, 23, v4
	v_lshrrev_b32_e32 v5, 4, v5
	s_delay_alu instid0(VALU_DEP_1) | instskip(SKIP_1) | instid1(VALU_DEP_2)
	v_sub_nc_u32_e32 v4, v5, v4
	v_ashrrev_i32_e32 v5, 8, v6
	v_add_nc_u32_e32 v4, 0x3c000000, v4
	s_delay_alu instid0(VALU_DEP_1) | instskip(NEXT) | instid1(VALU_DEP_1)
	v_and_or_b32 v4, 0x7f800000, v5, v4
	v_cndmask_b32_e32 v3, 0, v4, vcc_lo
	s_delay_alu instid0(VALU_DEP_1) | instskip(NEXT) | instid1(VALU_DEP_1)
	v_and_or_b32 v2, 0x80000000, v2, v3
	v_cvt_f64_f32_e32 v[2:3], v2
.LBB112_185:
	s_mov_b32 s0, 0
.LBB112_186:
	s_delay_alu instid0(SALU_CYCLE_1)
	s_and_not1_b32 vcc_lo, exec_lo, s0
	s_cbranch_vccnz .LBB112_188
; %bb.187:
	global_load_u8 v2, v[0:1], off
	s_waitcnt vmcnt(0)
	v_lshlrev_b32_e32 v3, 25, v2
	v_lshlrev_b16 v2, 8, v2
	s_delay_alu instid0(VALU_DEP_2) | instskip(NEXT) | instid1(VALU_DEP_2)
	v_lshrrev_b32_e32 v4, 4, v3
	v_and_or_b32 v5, 0x7f00, v2, 0.5
	v_bfe_i32 v2, v2, 0, 16
	s_delay_alu instid0(VALU_DEP_3) | instskip(NEXT) | instid1(VALU_DEP_1)
	v_or_b32_e32 v4, 0x70000000, v4
	v_dual_add_f32 v5, -0.5, v5 :: v_dual_mul_f32 v4, 0x7800000, v4
	v_cmp_gt_u32_e32 vcc_lo, 0x8000000, v3
	s_delay_alu instid0(VALU_DEP_2) | instskip(NEXT) | instid1(VALU_DEP_1)
	v_cndmask_b32_e32 v3, v4, v5, vcc_lo
	v_and_or_b32 v2, 0x80000000, v2, v3
	s_delay_alu instid0(VALU_DEP_1)
	v_cvt_f64_f32_e32 v[2:3], v2
.LBB112_188:
	s_mov_b32 s1, 0
	s_mov_b32 s0, -1
.LBB112_189:
	s_and_not1_b32 vcc_lo, exec_lo, s1
	s_cbranch_vccnz .LBB112_200
; %bb.190:
	v_cmp_lt_i16_e32 vcc_lo, 14, v12
	s_cbranch_vccz .LBB112_193
; %bb.191:
	v_cmp_eq_u16_e32 vcc_lo, 15, v12
	s_cbranch_vccz .LBB112_194
; %bb.192:
	global_load_u16 v2, v[0:1], off
	s_mov_b32 s0, -1
	s_mov_b32 s13, 0
	s_waitcnt vmcnt(0)
	v_lshlrev_b32_e32 v2, 16, v2
	s_delay_alu instid0(VALU_DEP_1)
	v_cvt_f64_f32_e32 v[2:3], v2
	s_branch .LBB112_195
.LBB112_193:
	s_mov_b32 s1, -1
                                        ; implicit-def: $vgpr2_vgpr3
	s_branch .LBB112_196
.LBB112_194:
	s_mov_b32 s13, -1
                                        ; implicit-def: $vgpr2_vgpr3
.LBB112_195:
	s_mov_b32 s1, 0
.LBB112_196:
	s_delay_alu instid0(SALU_CYCLE_1)
	s_and_b32 vcc_lo, exec_lo, s1
	s_cbranch_vccz .LBB112_200
; %bb.197:
	v_cmp_eq_u16_e32 vcc_lo, 11, v12
	s_cbranch_vccz .LBB112_199
; %bb.198:
	global_load_u8 v2, v[0:1], off
	s_mov_b32 s13, 0
	s_mov_b32 s0, -1
	s_waitcnt vmcnt(0)
	v_cmp_ne_u16_e32 vcc_lo, 0, v2
	v_mov_b32_e32 v2, 0
	v_cndmask_b32_e64 v3, 0, 0x3ff00000, vcc_lo
	s_branch .LBB112_200
.LBB112_199:
	s_mov_b32 s13, -1
                                        ; implicit-def: $vgpr2_vgpr3
.LBB112_200:
	s_branch .LBB112_10
.LBB112_201:
	v_cmp_gt_i16_e32 vcc_lo, 5, v12
	s_cbranch_vccnz .LBB112_206
; %bb.202:
	v_cmp_gt_i16_e32 vcc_lo, 8, v12
	s_cbranch_vccnz .LBB112_207
; %bb.203:
	;; [unrolled: 3-line block ×3, first 2 shown]
	v_cmp_lt_i16_e32 vcc_lo, 9, v12
	s_cbranch_vccz .LBB112_209
; %bb.205:
	global_load_b64 v[2:3], v[0:1], off
	s_mov_b32 s0, 0
	s_branch .LBB112_210
.LBB112_206:
                                        ; implicit-def: $vgpr2_vgpr3
	s_branch .LBB112_228
.LBB112_207:
	s_mov_b32 s0, -1
                                        ; implicit-def: $vgpr2_vgpr3
	s_branch .LBB112_216
.LBB112_208:
	s_mov_b32 s0, -1
                                        ; implicit-def: $vgpr2_vgpr3
	s_branch .LBB112_213
.LBB112_209:
	s_mov_b32 s0, -1
                                        ; implicit-def: $vgpr2_vgpr3
.LBB112_210:
	s_delay_alu instid0(SALU_CYCLE_1)
	s_and_not1_b32 vcc_lo, exec_lo, s0
	s_cbranch_vccnz .LBB112_212
; %bb.211:
	global_load_b32 v2, v[0:1], off
	s_waitcnt vmcnt(0)
	v_cvt_f64_f32_e32 v[2:3], v2
.LBB112_212:
	s_mov_b32 s0, 0
.LBB112_213:
	s_delay_alu instid0(SALU_CYCLE_1)
	s_and_not1_b32 vcc_lo, exec_lo, s0
	s_cbranch_vccnz .LBB112_215
; %bb.214:
	global_load_b32 v2, v[0:1], off
	s_waitcnt vmcnt(0)
	v_cvt_f32_f16_e32 v2, v2
	s_delay_alu instid0(VALU_DEP_1)
	v_cvt_f64_f32_e32 v[2:3], v2
.LBB112_215:
	s_mov_b32 s0, 0
.LBB112_216:
	s_delay_alu instid0(SALU_CYCLE_1)
	s_and_not1_b32 vcc_lo, exec_lo, s0
	s_cbranch_vccnz .LBB112_227
; %bb.217:
	v_cmp_gt_i16_e32 vcc_lo, 6, v12
	s_cbranch_vccnz .LBB112_220
; %bb.218:
	v_cmp_lt_i16_e32 vcc_lo, 6, v12
	s_cbranch_vccz .LBB112_221
; %bb.219:
	global_load_b64 v[2:3], v[0:1], off
	s_mov_b32 s0, 0
	s_branch .LBB112_222
.LBB112_220:
	s_mov_b32 s0, -1
                                        ; implicit-def: $vgpr2_vgpr3
	s_branch .LBB112_225
.LBB112_221:
	s_mov_b32 s0, -1
                                        ; implicit-def: $vgpr2_vgpr3
.LBB112_222:
	s_delay_alu instid0(SALU_CYCLE_1)
	s_and_not1_b32 vcc_lo, exec_lo, s0
	s_cbranch_vccnz .LBB112_224
; %bb.223:
	global_load_b32 v2, v[0:1], off
	s_waitcnt vmcnt(0)
	v_cvt_f64_f32_e32 v[2:3], v2
.LBB112_224:
	s_mov_b32 s0, 0
.LBB112_225:
	s_delay_alu instid0(SALU_CYCLE_1)
	s_and_not1_b32 vcc_lo, exec_lo, s0
	s_cbranch_vccnz .LBB112_227
; %bb.226:
	global_load_u16 v2, v[0:1], off
	s_waitcnt vmcnt(0)
	v_cvt_f32_f16_e32 v2, v2
	s_delay_alu instid0(VALU_DEP_1)
	v_cvt_f64_f32_e32 v[2:3], v2
.LBB112_227:
	s_cbranch_execnz .LBB112_247
.LBB112_228:
	v_cmp_gt_i16_e32 vcc_lo, 2, v12
	s_cbranch_vccnz .LBB112_232
; %bb.229:
	v_cmp_gt_i16_e32 vcc_lo, 3, v12
	s_cbranch_vccnz .LBB112_233
; %bb.230:
	v_cmp_lt_i16_e32 vcc_lo, 3, v12
	s_cbranch_vccz .LBB112_234
; %bb.231:
	global_load_b64 v[2:3], v[0:1], off
	s_mov_b32 s0, 0
	s_waitcnt vmcnt(0)
	v_cvt_f64_i32_e32 v[3:4], v3
	v_cvt_f64_u32_e32 v[5:6], v2
	s_delay_alu instid0(VALU_DEP_2) | instskip(NEXT) | instid1(VALU_DEP_1)
	v_ldexp_f64 v[3:4], v[3:4], 32
	v_add_f64 v[2:3], v[3:4], v[5:6]
	s_branch .LBB112_235
.LBB112_232:
	s_mov_b32 s0, -1
                                        ; implicit-def: $vgpr2_vgpr3
	s_branch .LBB112_241
.LBB112_233:
	s_mov_b32 s0, -1
                                        ; implicit-def: $vgpr2_vgpr3
	s_branch .LBB112_238
.LBB112_234:
	s_mov_b32 s0, -1
                                        ; implicit-def: $vgpr2_vgpr3
.LBB112_235:
	s_delay_alu instid0(SALU_CYCLE_1)
	s_and_not1_b32 vcc_lo, exec_lo, s0
	s_cbranch_vccnz .LBB112_237
; %bb.236:
	global_load_b32 v2, v[0:1], off
	s_waitcnt vmcnt(0)
	v_cvt_f64_i32_e32 v[2:3], v2
.LBB112_237:
	s_mov_b32 s0, 0
.LBB112_238:
	s_delay_alu instid0(SALU_CYCLE_1)
	s_and_not1_b32 vcc_lo, exec_lo, s0
	s_cbranch_vccnz .LBB112_240
; %bb.239:
	global_load_i16 v2, v[0:1], off
	s_waitcnt vmcnt(0)
	v_cvt_f64_i32_e32 v[2:3], v2
.LBB112_240:
	s_mov_b32 s0, 0
.LBB112_241:
	s_delay_alu instid0(SALU_CYCLE_1)
	s_and_not1_b32 vcc_lo, exec_lo, s0
	s_cbranch_vccnz .LBB112_247
; %bb.242:
	v_cmp_lt_i16_e32 vcc_lo, 0, v12
	s_mov_b32 s0, 0
	s_cbranch_vccz .LBB112_244
; %bb.243:
	global_load_i8 v2, v[0:1], off
	s_waitcnt vmcnt(0)
	v_cvt_f64_i32_e32 v[2:3], v2
	s_branch .LBB112_245
.LBB112_244:
	s_mov_b32 s0, -1
                                        ; implicit-def: $vgpr2_vgpr3
.LBB112_245:
	s_delay_alu instid0(SALU_CYCLE_1)
	s_and_not1_b32 vcc_lo, exec_lo, s0
	s_cbranch_vccnz .LBB112_247
; %bb.246:
	global_load_u8 v0, v[0:1], off
	s_waitcnt vmcnt(0)
	v_cvt_f64_u32_e32 v[2:3], v0
.LBB112_247:
	s_branch .LBB112_11
.LBB112_248:
	s_mov_b32 s11, 0
.LBB112_249:
	s_mov_b32 s0, 0
                                        ; implicit-def: $vgpr11
.LBB112_250:
	s_and_b32 s11, s11, exec_lo
	s_and_b32 s13, s13, exec_lo
	s_or_not1_b32 s1, s0, exec_lo
.LBB112_251:
	s_or_b32 exec_lo, exec_lo, s14
	s_mov_b32 s2, 0
	s_mov_b32 s0, 0
                                        ; implicit-def: $vgpr0_vgpr1
                                        ; implicit-def: $vgpr2_vgpr3
	s_and_saveexec_b32 s14, s1
	s_cbranch_execz .LBB112_857
; %bb.252:
	s_mov_b32 s2, -1
	s_mov_b32 s15, s13
	s_mov_b32 s16, s11
	s_mov_b32 s17, exec_lo
	v_cmpx_gt_i32_e64 s12, v11
	s_cbranch_execz .LBB112_510
; %bb.253:
	v_mul_lo_u32 v0, v11, s9
	v_cmp_gt_i16_e32 vcc_lo, 11, v12
	s_delay_alu instid0(VALU_DEP_2) | instskip(SKIP_1) | instid1(VALU_DEP_1)
	v_ashrrev_i32_e32 v1, 31, v0
	v_add_co_u32 v0, s0, s6, v0
	v_add_co_ci_u32_e64 v1, s0, s7, v1, s0
	s_cbranch_vccnz .LBB112_260
; %bb.254:
	v_cmp_lt_i16_e32 vcc_lo, 25, v12
	s_cbranch_vccz .LBB112_309
; %bb.255:
	v_cmp_lt_i16_e32 vcc_lo, 28, v12
	s_cbranch_vccz .LBB112_310
	;; [unrolled: 3-line block ×4, first 2 shown]
; %bb.258:
	v_cmp_eq_u16_e32 vcc_lo, 46, v12
	s_mov_b32 s1, 0
	s_cbranch_vccz .LBB112_320
; %bb.259:
	global_load_b32 v2, v[0:1], off
	s_mov_b32 s0, -1
	s_mov_b32 s15, 0
	s_waitcnt vmcnt(0)
	v_lshlrev_b32_e32 v2, 16, v2
	s_delay_alu instid0(VALU_DEP_1)
	v_cvt_f64_f32_e32 v[2:3], v2
	s_branch .LBB112_322
.LBB112_260:
	s_mov_b32 s0, 0
	s_mov_b32 s15, s13
                                        ; implicit-def: $vgpr2_vgpr3
	s_cbranch_execnz .LBB112_459
.LBB112_261:
	s_and_not1_b32 vcc_lo, exec_lo, s0
	s_cbranch_vccnz .LBB112_507
.LBB112_262:
	s_mov_b32 s0, 0x652b82fe
	s_mov_b32 s1, 0x3ff71547
	;; [unrolled: 1-line block ×3, first 2 shown]
	s_waitcnt vmcnt(0)
	s_delay_alu instid0(VALU_DEP_1)
	v_mul_f64 v[0:1], v[2:3], s[0:1]
	s_mov_b32 s1, 0xbfe62e42
	s_mov_b32 s0, 0xfefa39ef
	;; [unrolled: 1-line block ×6, first 2 shown]
	s_delay_alu instid0(VALU_DEP_1) | instskip(NEXT) | instid1(VALU_DEP_1)
	v_rndne_f64_e32 v[0:1], v[0:1]
	v_fma_f64 v[4:5], v[0:1], s[0:1], v[2:3]
	v_cvt_i32_f64_e32 v8, v[0:1]
	v_cmp_eq_f64_e32 vcc_lo, 0x40900000, v[0:1]
	s_mov_b32 s1, 0x40862e42
	s_delay_alu instid0(SALU_CYCLE_1) | instskip(SKIP_2) | instid1(VALU_DEP_1)
	v_cmp_nlt_f64_e64 s0, s[0:1], v[2:3]
	v_cmp_ngt_f64_e64 s1, 0xc0428000, v[2:3]
	v_mul_lo_u32 v2, v11, s8
	v_ashrrev_i32_e32 v3, 31, v2
	v_fma_f64 v[4:5], v[0:1], s[18:19], v[4:5]
	s_mov_b32 s18, 0x2a1b768b
	s_mov_b32 s19, 0x3e5af4eb
	v_cndmask_b32_e64 v0, v8, 0x3ff, vcc_lo
	s_delay_alu instid0(VALU_DEP_1) | instskip(NEXT) | instid1(VALU_DEP_3)
	v_ldexp_f64 v[0:1], 1.0, v0
	v_fma_f64 v[6:7], v[4:5], s[20:21], s[18:19]
	s_mov_b32 s18, 0xe0ac05b
	s_mov_b32 s19, 0x3e927e50
	s_delay_alu instid0(VALU_DEP_2) | instskip(NEXT) | instid1(VALU_DEP_2)
	v_add_f64 v[8:9], v[0:1], -1.0
	v_fma_f64 v[6:7], v[4:5], v[6:7], s[18:19]
	s_mov_b32 s18, 0x1b889c29
	s_mov_b32 s19, 0x3ec71de0
	s_delay_alu instid0(VALU_DEP_1) | instid1(SALU_CYCLE_1)
	v_fma_f64 v[6:7], v[4:5], v[6:7], s[18:19]
	s_mov_b32 s18, 0x197bcfd8
	s_mov_b32 s19, 0x3efa01a0
	s_delay_alu instid0(VALU_DEP_1) | instid1(SALU_CYCLE_1)
	;; [unrolled: 4-line block ×7, first 2 shown]
	v_fma_f64 v[6:7], v[4:5], v[6:7], s[18:19]
	s_mov_b32 s18, -1
	s_delay_alu instid0(VALU_DEP_1) | instskip(NEXT) | instid1(VALU_DEP_1)
	v_fma_f64 v[6:7], v[4:5], v[6:7], 0.5
	v_mul_f64 v[6:7], v[4:5], v[6:7]
	s_delay_alu instid0(VALU_DEP_1) | instskip(SKIP_1) | instid1(VALU_DEP_1)
	v_fma_f64 v[4:5], v[4:5], v[6:7], v[4:5]
	v_and_b32_e32 v6, 0xff, v10
	v_cmp_gt_i16_e64 s2, 11, v6
	s_delay_alu instid0(VALU_DEP_3) | instskip(NEXT) | instid1(VALU_DEP_1)
	v_fma_f64 v[0:1], v[0:1], v[4:5], v[8:9]
	v_add_f64 v[4:5], v[0:1], v[0:1]
	s_delay_alu instid0(VALU_DEP_1) | instskip(SKIP_2) | instid1(VALU_DEP_3)
	v_dual_cndmask_b32 v1, v1, v5 :: v_dual_cndmask_b32 v0, v0, v4
	v_add_co_u32 v4, vcc_lo, s4, v2
	v_add_co_ci_u32_e32 v5, vcc_lo, s5, v3, vcc_lo
	v_cndmask_b32_e64 v1, 0x7ff00000, v1, s0
	s_and_b32 vcc_lo, s1, s0
	s_mov_b32 s0, s11
	v_cndmask_b32_e32 v0, 0, v0, vcc_lo
	s_and_b32 vcc_lo, exec_lo, s2
	v_cndmask_b32_e64 v1, 0xbff00000, v1, s1
	s_cbranch_vccnz .LBB112_269
; %bb.263:
	v_cmp_lt_i16_e32 vcc_lo, 25, v6
	s_cbranch_vccz .LBB112_311
; %bb.264:
	v_cmp_lt_i16_e32 vcc_lo, 28, v6
	s_cbranch_vccz .LBB112_313
	;; [unrolled: 3-line block ×4, first 2 shown]
; %bb.267:
	v_cmp_eq_u16_e32 vcc_lo, 46, v6
	s_mov_b32 s1, 0
	s_mov_b32 s0, -1
	s_cbranch_vccz .LBB112_326
; %bb.268:
	v_cvt_f32_f64_e32 v2, v[0:1]
	s_mov_b32 s16, -1
	s_mov_b32 s0, 0
	s_delay_alu instid0(VALU_DEP_1) | instskip(SKIP_1) | instid1(VALU_DEP_2)
	v_bfe_u32 v3, v2, 16, 1
	v_cmp_o_f32_e32 vcc_lo, v2, v2
	v_add3_u32 v3, v2, v3, 0x7fff
	s_delay_alu instid0(VALU_DEP_1) | instskip(NEXT) | instid1(VALU_DEP_1)
	v_lshrrev_b32_e32 v3, 16, v3
	v_cndmask_b32_e32 v2, 0x7fc0, v3, vcc_lo
	global_store_b32 v[4:5], v2, off
	s_branch .LBB112_326
.LBB112_269:
	s_and_b32 vcc_lo, exec_lo, s18
	s_cbranch_vccz .LBB112_395
; %bb.270:
	v_cmp_gt_i16_e32 vcc_lo, 5, v6
	s_mov_b32 s1, -1
	s_cbranch_vccnz .LBB112_291
; %bb.271:
	v_cmp_gt_i16_e32 vcc_lo, 8, v6
	s_cbranch_vccnz .LBB112_281
; %bb.272:
	v_cmp_gt_i16_e32 vcc_lo, 9, v6
	s_cbranch_vccnz .LBB112_278
; %bb.273:
	v_cmp_lt_i16_e32 vcc_lo, 9, v6
	s_cbranch_vccz .LBB112_275
; %bb.274:
	v_mov_b32_e32 v2, 0
	s_mov_b32 s1, 0
	s_delay_alu instid0(VALU_DEP_1)
	v_mov_b32_e32 v3, v2
	global_store_b128 v[4:5], v[0:3], off
.LBB112_275:
	s_and_not1_b32 vcc_lo, exec_lo, s1
	s_cbranch_vccnz .LBB112_277
; %bb.276:
	v_cvt_f32_f64_e32 v2, v[0:1]
	v_mov_b32_e32 v3, 0
	global_store_b64 v[4:5], v[2:3], off
.LBB112_277:
	s_mov_b32 s1, 0
.LBB112_278:
	s_delay_alu instid0(SALU_CYCLE_1)
	s_and_not1_b32 vcc_lo, exec_lo, s1
	s_cbranch_vccnz .LBB112_280
; %bb.279:
	v_cvt_f32_f64_e32 v2, v[0:1]
	s_delay_alu instid0(VALU_DEP_1) | instskip(NEXT) | instid1(VALU_DEP_1)
	v_cvt_f16_f32_e32 v2, v2
	v_and_b32_e32 v2, 0xffff, v2
	global_store_b32 v[4:5], v2, off
.LBB112_280:
	s_mov_b32 s1, 0
.LBB112_281:
	s_delay_alu instid0(SALU_CYCLE_1)
	s_and_not1_b32 vcc_lo, exec_lo, s1
	s_cbranch_vccnz .LBB112_290
; %bb.282:
	v_cmp_gt_i16_e32 vcc_lo, 6, v6
	s_mov_b32 s1, -1
	s_cbranch_vccnz .LBB112_288
; %bb.283:
	v_cmp_lt_i16_e32 vcc_lo, 6, v6
	s_cbranch_vccz .LBB112_285
; %bb.284:
	s_mov_b32 s1, 0
	global_store_b64 v[4:5], v[0:1], off
.LBB112_285:
	s_and_not1_b32 vcc_lo, exec_lo, s1
	s_cbranch_vccnz .LBB112_287
; %bb.286:
	v_cvt_f32_f64_e32 v2, v[0:1]
	global_store_b32 v[4:5], v2, off
.LBB112_287:
	s_mov_b32 s1, 0
.LBB112_288:
	s_delay_alu instid0(SALU_CYCLE_1)
	s_and_not1_b32 vcc_lo, exec_lo, s1
	s_cbranch_vccnz .LBB112_290
; %bb.289:
	v_cvt_f32_f64_e32 v2, v[0:1]
	s_delay_alu instid0(VALU_DEP_1)
	v_cvt_f16_f32_e32 v2, v2
	global_store_b16 v[4:5], v2, off
.LBB112_290:
	s_mov_b32 s1, 0
.LBB112_291:
	s_delay_alu instid0(SALU_CYCLE_1)
	s_and_not1_b32 vcc_lo, exec_lo, s1
	s_cbranch_vccnz .LBB112_307
; %bb.292:
	v_cmp_gt_i16_e32 vcc_lo, 2, v6
	s_mov_b32 s1, -1
	s_cbranch_vccnz .LBB112_302
; %bb.293:
	v_cmp_gt_i16_e32 vcc_lo, 3, v6
	s_cbranch_vccnz .LBB112_299
; %bb.294:
	v_cmp_lt_i16_e32 vcc_lo, 3, v6
	s_cbranch_vccz .LBB112_296
; %bb.295:
	v_trunc_f64_e32 v[2:3], v[0:1]
	s_mov_b32 s1, 0
	s_delay_alu instid0(VALU_DEP_1) | instskip(NEXT) | instid1(VALU_DEP_1)
	v_ldexp_f64 v[7:8], v[2:3], 0xffffffe0
	v_floor_f64_e32 v[7:8], v[7:8]
	s_delay_alu instid0(VALU_DEP_1) | instskip(SKIP_1) | instid1(VALU_DEP_2)
	v_fma_f64 v[2:3], 0xc1f00000, v[7:8], v[2:3]
	v_cvt_i32_f64_e32 v8, v[7:8]
	v_cvt_u32_f64_e32 v7, v[2:3]
	global_store_b64 v[4:5], v[7:8], off
.LBB112_296:
	s_and_not1_b32 vcc_lo, exec_lo, s1
	s_cbranch_vccnz .LBB112_298
; %bb.297:
	v_cvt_i32_f64_e32 v2, v[0:1]
	global_store_b32 v[4:5], v2, off
.LBB112_298:
	s_mov_b32 s1, 0
.LBB112_299:
	s_delay_alu instid0(SALU_CYCLE_1)
	s_and_not1_b32 vcc_lo, exec_lo, s1
	s_cbranch_vccnz .LBB112_301
; %bb.300:
	v_cvt_i32_f64_e32 v2, v[0:1]
	global_store_b16 v[4:5], v2, off
.LBB112_301:
	s_mov_b32 s1, 0
.LBB112_302:
	s_delay_alu instid0(SALU_CYCLE_1)
	s_and_not1_b32 vcc_lo, exec_lo, s1
	s_cbranch_vccnz .LBB112_307
; %bb.303:
	v_cmp_lt_i16_e32 vcc_lo, 0, v6
	s_mov_b32 s1, -1
	s_cbranch_vccz .LBB112_305
; %bb.304:
	v_cvt_i32_f64_e32 v2, v[0:1]
	s_mov_b32 s1, 0
	global_store_b8 v[4:5], v2, off
.LBB112_305:
	s_and_not1_b32 vcc_lo, exec_lo, s1
	s_cbranch_vccnz .LBB112_307
; %bb.306:
	v_trunc_f64_e32 v[0:1], v[0:1]
	s_delay_alu instid0(VALU_DEP_1) | instskip(NEXT) | instid1(VALU_DEP_1)
	v_ldexp_f64 v[2:3], v[0:1], 0xffffffe0
	v_floor_f64_e32 v[2:3], v[2:3]
	s_delay_alu instid0(VALU_DEP_1) | instskip(NEXT) | instid1(VALU_DEP_1)
	v_fma_f64 v[0:1], 0xc1f00000, v[2:3], v[0:1]
	v_cvt_u32_f64_e32 v0, v[0:1]
	global_store_b8 v[4:5], v0, off
.LBB112_307:
	s_branch .LBB112_396
.LBB112_308:
	s_mov_b32 s1, 0
	s_branch .LBB112_508
.LBB112_309:
	s_mov_b32 s1, -1
	s_mov_b32 s0, 0
	s_mov_b32 s15, s13
                                        ; implicit-def: $vgpr2_vgpr3
	s_branch .LBB112_425
.LBB112_310:
	s_mov_b32 s1, -1
	s_mov_b32 s0, 0
	s_mov_b32 s15, s13
                                        ; implicit-def: $vgpr2_vgpr3
	s_branch .LBB112_404
.LBB112_311:
	s_mov_b32 s1, -1
	s_mov_b32 s0, s11
	s_branch .LBB112_353
.LBB112_312:
	s_mov_b32 s1, -1
	s_mov_b32 s0, 0
	s_mov_b32 s15, s13
                                        ; implicit-def: $vgpr2_vgpr3
	s_branch .LBB112_399
.LBB112_313:
	s_mov_b32 s1, -1
	s_mov_b32 s0, s11
	s_branch .LBB112_336
.LBB112_314:
	s_or_saveexec_b32 s2, s2
                                        ; implicit-def: $sgpr16
	s_delay_alu instid0(SALU_CYCLE_1)
	s_xor_b32 exec_lo, exec_lo, s2
	s_cbranch_execz .LBB112_90
.LBB112_315:
	v_add_f32_e64 v3, 0x46000000, |v2|
	s_and_not1_b32 s1, s1, exec_lo
	s_mov_b32 s16, 0
	s_delay_alu instid0(VALU_DEP_1) | instskip(NEXT) | instid1(VALU_DEP_1)
	v_and_b32_e32 v3, 0xff, v3
	v_cmp_ne_u32_e32 vcc_lo, 0, v3
	s_and_b32 s17, vcc_lo, exec_lo
	s_delay_alu instid0(SALU_CYCLE_1)
	s_or_b32 s1, s1, s17
	s_or_b32 exec_lo, exec_lo, s2
	v_mov_b32_e32 v7, s16
	s_and_saveexec_b32 s2, s1
	s_cbranch_execnz .LBB112_91
	s_branch .LBB112_92
.LBB112_316:
	s_mov_b32 s1, -1
	s_mov_b32 s0, 0
	s_mov_b32 s15, s13
	s_branch .LBB112_321
.LBB112_317:
	s_mov_b32 s1, -1
	s_mov_b32 s0, s11
	s_branch .LBB112_332
.LBB112_318:
	s_or_saveexec_b32 s2, s2
                                        ; implicit-def: $sgpr16
	s_delay_alu instid0(SALU_CYCLE_1)
	s_xor_b32 exec_lo, exec_lo, s2
	s_cbranch_execz .LBB112_103
.LBB112_319:
	v_add_f32_e64 v3, 0x42800000, |v2|
	s_and_not1_b32 s1, s1, exec_lo
	s_mov_b32 s16, 0
	s_delay_alu instid0(VALU_DEP_1) | instskip(NEXT) | instid1(VALU_DEP_1)
	v_and_b32_e32 v3, 0xff, v3
	v_cmp_ne_u32_e32 vcc_lo, 0, v3
	s_and_b32 s17, vcc_lo, exec_lo
	s_delay_alu instid0(SALU_CYCLE_1)
	s_or_b32 s1, s1, s17
	s_or_b32 exec_lo, exec_lo, s2
	v_mov_b32_e32 v7, s16
	s_and_saveexec_b32 s2, s1
	s_cbranch_execnz .LBB112_104
	s_branch .LBB112_105
.LBB112_320:
	s_mov_b32 s15, -1
	s_mov_b32 s0, 0
.LBB112_321:
                                        ; implicit-def: $vgpr2_vgpr3
.LBB112_322:
	s_and_b32 vcc_lo, exec_lo, s1
	s_cbranch_vccz .LBB112_398
; %bb.323:
	v_cmp_eq_u16_e32 vcc_lo, 44, v12
	s_cbranch_vccz .LBB112_397
; %bb.324:
	global_load_u8 v4, v[0:1], off
	s_mov_b32 s15, 0
	s_mov_b32 s0, -1
	s_waitcnt vmcnt(0)
	v_cmp_ne_u32_e32 vcc_lo, 0xff, v4
	v_lshlrev_b32_e32 v2, 23, v4
	s_delay_alu instid0(VALU_DEP_1) | instskip(NEXT) | instid1(VALU_DEP_1)
	v_cvt_f64_f32_e32 v[2:3], v2
	v_cndmask_b32_e32 v3, 0x7ff80000, v3, vcc_lo
	s_delay_alu instid0(VALU_DEP_2) | instskip(SKIP_1) | instid1(VALU_DEP_3)
	v_cndmask_b32_e32 v2, 0x20000000, v2, vcc_lo
	v_cmp_ne_u32_e32 vcc_lo, 0, v4
	v_cndmask_b32_e32 v3, 0x38000000, v3, vcc_lo
	s_delay_alu instid0(VALU_DEP_3)
	v_cndmask_b32_e32 v2, 0, v2, vcc_lo
	s_branch .LBB112_398
.LBB112_325:
	s_mov_b32 s1, -1
	s_mov_b32 s0, s11
.LBB112_326:
	s_and_b32 vcc_lo, exec_lo, s1
	s_cbranch_vccz .LBB112_331
; %bb.327:
	v_cmp_eq_u16_e32 vcc_lo, 44, v6
	s_mov_b32 s0, -1
	s_cbranch_vccz .LBB112_331
; %bb.328:
	v_cvt_f32_f64_e32 v2, v[0:1]
	v_mov_b32_e32 v3, 0xff
	s_mov_b32 s1, exec_lo
	s_delay_alu instid0(VALU_DEP_2) | instskip(NEXT) | instid1(VALU_DEP_1)
	v_bfe_u32 v7, v2, 23, 8
	v_cmpx_ne_u32_e32 0xff, v7
; %bb.329:
	v_and_b32_e32 v3, 0x400000, v2
	v_and_or_b32 v7, 0x3fffff, v2, v7
	v_lshrrev_b32_e32 v2, 23, v2
	s_delay_alu instid0(VALU_DEP_3) | instskip(NEXT) | instid1(VALU_DEP_3)
	v_cmp_ne_u32_e32 vcc_lo, 0, v3
	v_cmp_ne_u32_e64 s0, 0, v7
	s_delay_alu instid0(VALU_DEP_1) | instskip(NEXT) | instid1(SALU_CYCLE_1)
	s_and_b32 s0, vcc_lo, s0
	v_cndmask_b32_e64 v3, 0, 1, s0
	s_delay_alu instid0(VALU_DEP_1)
	v_add_nc_u32_e32 v3, v2, v3
; %bb.330:
	s_or_b32 exec_lo, exec_lo, s1
	s_mov_b32 s16, -1
	s_mov_b32 s0, 0
	global_store_b8 v[4:5], v3, off
.LBB112_331:
	s_mov_b32 s1, 0
.LBB112_332:
	s_delay_alu instid0(SALU_CYCLE_1)
	s_and_b32 vcc_lo, exec_lo, s1
	s_cbranch_vccz .LBB112_335
; %bb.333:
	v_cmp_eq_u16_e32 vcc_lo, 29, v6
	s_mov_b32 s0, -1
	s_cbranch_vccz .LBB112_335
; %bb.334:
	v_trunc_f64_e32 v[2:3], v[0:1]
	s_mov_b32 s16, -1
	s_mov_b32 s0, 0
	s_mov_b32 s1, 0
	s_delay_alu instid0(VALU_DEP_1) | instskip(NEXT) | instid1(VALU_DEP_1)
	v_ldexp_f64 v[7:8], v[2:3], 0xffffffe0
	v_floor_f64_e32 v[7:8], v[7:8]
	s_delay_alu instid0(VALU_DEP_1) | instskip(SKIP_1) | instid1(VALU_DEP_2)
	v_fma_f64 v[2:3], 0xc1f00000, v[7:8], v[2:3]
	v_cvt_u32_f64_e32 v8, v[7:8]
	v_cvt_u32_f64_e32 v7, v[2:3]
	global_store_b64 v[4:5], v[7:8], off
	s_branch .LBB112_336
.LBB112_335:
	s_mov_b32 s1, 0
.LBB112_336:
	s_delay_alu instid0(SALU_CYCLE_1)
	s_and_b32 vcc_lo, exec_lo, s1
	s_cbranch_vccz .LBB112_352
; %bb.337:
	v_cmp_gt_i16_e32 vcc_lo, 27, v6
	s_mov_b32 s1, -1
	s_cbranch_vccnz .LBB112_343
; %bb.338:
	v_cmp_lt_i16_e32 vcc_lo, 27, v6
	s_cbranch_vccz .LBB112_340
; %bb.339:
	v_cvt_u32_f64_e32 v2, v[0:1]
	s_mov_b32 s1, 0
	global_store_b32 v[4:5], v2, off
.LBB112_340:
	s_and_not1_b32 vcc_lo, exec_lo, s1
	s_cbranch_vccnz .LBB112_342
; %bb.341:
	v_cvt_u32_f64_e32 v2, v[0:1]
	global_store_b16 v[4:5], v2, off
.LBB112_342:
	s_mov_b32 s1, 0
.LBB112_343:
	s_delay_alu instid0(SALU_CYCLE_1)
	s_and_not1_b32 vcc_lo, exec_lo, s1
	s_cbranch_vccnz .LBB112_351
; %bb.344:
	v_cvt_f32_f64_e32 v2, v[0:1]
	v_mov_b32_e32 v7, 0x80
	s_mov_b32 s1, exec_lo
	s_delay_alu instid0(VALU_DEP_2) | instskip(NEXT) | instid1(VALU_DEP_1)
	v_and_b32_e32 v3, 0x7fffffff, v2
	v_cmpx_gt_u32_e32 0x43800000, v3
	s_cbranch_execz .LBB112_350
; %bb.345:
	v_cmp_lt_u32_e32 vcc_lo, 0x3bffffff, v3
	s_mov_b32 s2, 0
                                        ; implicit-def: $vgpr3
	s_and_saveexec_b32 s16, vcc_lo
	s_delay_alu instid0(SALU_CYCLE_1)
	s_xor_b32 s16, exec_lo, s16
	s_cbranch_execz .LBB112_523
; %bb.346:
	v_bfe_u32 v3, v2, 20, 1
	s_mov_b32 s2, exec_lo
	s_delay_alu instid0(VALU_DEP_1) | instskip(NEXT) | instid1(VALU_DEP_1)
	v_add3_u32 v3, v2, v3, 0x487ffff
	v_lshrrev_b32_e32 v3, 20, v3
	s_or_saveexec_b32 s16, s16
                                        ; implicit-def: $sgpr18
	s_delay_alu instid0(SALU_CYCLE_1)
	s_xor_b32 exec_lo, exec_lo, s16
	s_cbranch_execnz .LBB112_524
.LBB112_347:
	s_or_b32 exec_lo, exec_lo, s16
	v_mov_b32_e32 v7, s18
	s_and_saveexec_b32 s16, s2
.LBB112_348:
	v_lshrrev_b32_e32 v2, 24, v2
	s_delay_alu instid0(VALU_DEP_1)
	v_and_or_b32 v7, 0x80, v2, v3
.LBB112_349:
	s_or_b32 exec_lo, exec_lo, s16
.LBB112_350:
	s_delay_alu instid0(SALU_CYCLE_1)
	s_or_b32 exec_lo, exec_lo, s1
	global_store_b8 v[4:5], v7, off
.LBB112_351:
	s_mov_b32 s16, -1
.LBB112_352:
	s_mov_b32 s1, 0
.LBB112_353:
	s_delay_alu instid0(SALU_CYCLE_1)
	s_and_b32 vcc_lo, exec_lo, s1
	s_cbranch_vccz .LBB112_394
; %bb.354:
	v_cmp_lt_i16_e32 vcc_lo, 22, v6
	s_mov_b32 s1, -1
	s_cbranch_vccz .LBB112_386
; %bb.355:
	v_cmp_gt_i16_e32 vcc_lo, 24, v6
	s_cbranch_vccnz .LBB112_375
; %bb.356:
	v_cmp_lt_i16_e32 vcc_lo, 24, v6
	s_cbranch_vccz .LBB112_364
; %bb.357:
	v_cvt_f32_f64_e32 v2, v[0:1]
	v_mov_b32_e32 v7, 0x80
	s_mov_b32 s1, exec_lo
	s_delay_alu instid0(VALU_DEP_2) | instskip(NEXT) | instid1(VALU_DEP_1)
	v_and_b32_e32 v3, 0x7fffffff, v2
	v_cmpx_gt_u32_e32 0x47800000, v3
	s_cbranch_execz .LBB112_363
; %bb.358:
	v_cmp_lt_u32_e32 vcc_lo, 0x37ffffff, v3
	s_mov_b32 s2, 0
                                        ; implicit-def: $vgpr3
	s_and_saveexec_b32 s16, vcc_lo
	s_delay_alu instid0(SALU_CYCLE_1)
	s_xor_b32 s16, exec_lo, s16
	s_cbranch_execz .LBB112_526
; %bb.359:
	v_bfe_u32 v3, v2, 21, 1
	s_mov_b32 s2, exec_lo
	s_delay_alu instid0(VALU_DEP_1) | instskip(NEXT) | instid1(VALU_DEP_1)
	v_add3_u32 v3, v2, v3, 0x88fffff
	v_lshrrev_b32_e32 v3, 21, v3
	s_or_saveexec_b32 s16, s16
                                        ; implicit-def: $sgpr18
	s_delay_alu instid0(SALU_CYCLE_1)
	s_xor_b32 exec_lo, exec_lo, s16
	s_cbranch_execnz .LBB112_527
.LBB112_360:
	s_or_b32 exec_lo, exec_lo, s16
	v_mov_b32_e32 v7, s18
	s_and_saveexec_b32 s16, s2
.LBB112_361:
	v_lshrrev_b32_e32 v2, 24, v2
	s_delay_alu instid0(VALU_DEP_1)
	v_and_or_b32 v7, 0x80, v2, v3
.LBB112_362:
	s_or_b32 exec_lo, exec_lo, s16
.LBB112_363:
	s_delay_alu instid0(SALU_CYCLE_1)
	s_or_b32 exec_lo, exec_lo, s1
	s_mov_b32 s1, 0
	global_store_b8 v[4:5], v7, off
.LBB112_364:
	s_and_b32 vcc_lo, exec_lo, s1
	s_cbranch_vccz .LBB112_374
; %bb.365:
	v_cvt_f32_f64_e32 v2, v[0:1]
	s_mov_b32 s1, exec_lo
                                        ; implicit-def: $vgpr3
	s_delay_alu instid0(VALU_DEP_1) | instskip(NEXT) | instid1(VALU_DEP_1)
	v_and_b32_e32 v7, 0x7fffffff, v2
	v_cmpx_gt_u32_e32 0x43f00000, v7
	s_xor_b32 s1, exec_lo, s1
	s_cbranch_execz .LBB112_371
; %bb.366:
	s_mov_b32 s2, exec_lo
                                        ; implicit-def: $vgpr3
	v_cmpx_lt_u32_e32 0x3c7fffff, v7
	s_xor_b32 s2, exec_lo, s2
; %bb.367:
	v_bfe_u32 v3, v2, 20, 1
	s_delay_alu instid0(VALU_DEP_1) | instskip(NEXT) | instid1(VALU_DEP_1)
	v_add3_u32 v3, v2, v3, 0x407ffff
	v_and_b32_e32 v7, 0xff00000, v3
	v_lshrrev_b32_e32 v3, 20, v3
	s_delay_alu instid0(VALU_DEP_2) | instskip(NEXT) | instid1(VALU_DEP_2)
	v_cmp_ne_u32_e32 vcc_lo, 0x7f00000, v7
	v_cndmask_b32_e32 v3, 0x7e, v3, vcc_lo
; %bb.368:
	s_and_not1_saveexec_b32 s2, s2
; %bb.369:
	v_add_f32_e64 v3, 0x46800000, |v2|
; %bb.370:
	s_or_b32 exec_lo, exec_lo, s2
                                        ; implicit-def: $vgpr7
.LBB112_371:
	s_and_not1_saveexec_b32 s1, s1
; %bb.372:
	v_mov_b32_e32 v3, 0x7f
	v_cmp_lt_u32_e32 vcc_lo, 0x7f800000, v7
	s_delay_alu instid0(VALU_DEP_2)
	v_cndmask_b32_e32 v3, 0x7e, v3, vcc_lo
; %bb.373:
	s_or_b32 exec_lo, exec_lo, s1
	v_lshrrev_b32_e32 v2, 24, v2
	s_delay_alu instid0(VALU_DEP_1)
	v_and_or_b32 v2, 0x80, v2, v3
	global_store_b8 v[4:5], v2, off
.LBB112_374:
	s_mov_b32 s1, 0
.LBB112_375:
	s_delay_alu instid0(SALU_CYCLE_1)
	s_and_not1_b32 vcc_lo, exec_lo, s1
	s_cbranch_vccnz .LBB112_385
; %bb.376:
	v_cvt_f32_f64_e32 v2, v[0:1]
	s_mov_b32 s1, exec_lo
                                        ; implicit-def: $vgpr3
	s_delay_alu instid0(VALU_DEP_1) | instskip(NEXT) | instid1(VALU_DEP_1)
	v_and_b32_e32 v7, 0x7fffffff, v2
	v_cmpx_gt_u32_e32 0x47800000, v7
	s_xor_b32 s1, exec_lo, s1
	s_cbranch_execz .LBB112_382
; %bb.377:
	s_mov_b32 s2, exec_lo
                                        ; implicit-def: $vgpr3
	v_cmpx_lt_u32_e32 0x387fffff, v7
	s_xor_b32 s2, exec_lo, s2
; %bb.378:
	v_bfe_u32 v3, v2, 21, 1
	s_delay_alu instid0(VALU_DEP_1) | instskip(NEXT) | instid1(VALU_DEP_1)
	v_add3_u32 v3, v2, v3, 0x80fffff
	v_lshrrev_b32_e32 v3, 21, v3
; %bb.379:
	s_and_not1_saveexec_b32 s2, s2
; %bb.380:
	v_add_f32_e64 v3, 0x43000000, |v2|
; %bb.381:
	s_or_b32 exec_lo, exec_lo, s2
                                        ; implicit-def: $vgpr7
.LBB112_382:
	s_and_not1_saveexec_b32 s1, s1
; %bb.383:
	v_mov_b32_e32 v3, 0x7f
	v_cmp_lt_u32_e32 vcc_lo, 0x7f800000, v7
	s_delay_alu instid0(VALU_DEP_2)
	v_cndmask_b32_e32 v3, 0x7c, v3, vcc_lo
; %bb.384:
	s_or_b32 exec_lo, exec_lo, s1
	v_lshrrev_b32_e32 v2, 24, v2
	s_delay_alu instid0(VALU_DEP_1)
	v_and_or_b32 v2, 0x80, v2, v3
	global_store_b8 v[4:5], v2, off
.LBB112_385:
	s_mov_b32 s1, 0
	s_mov_b32 s16, -1
.LBB112_386:
	s_and_not1_b32 vcc_lo, exec_lo, s1
	s_cbranch_vccnz .LBB112_394
; %bb.387:
	v_cmp_lt_i16_e32 vcc_lo, 14, v6
	s_mov_b32 s1, -1
	s_cbranch_vccz .LBB112_391
; %bb.388:
	v_cmp_eq_u16_e32 vcc_lo, 15, v6
	s_mov_b32 s0, -1
	s_cbranch_vccz .LBB112_390
; %bb.389:
	v_cvt_f32_f64_e32 v2, v[0:1]
	s_mov_b32 s16, -1
	s_mov_b32 s0, 0
	s_delay_alu instid0(VALU_DEP_1) | instskip(SKIP_1) | instid1(VALU_DEP_2)
	v_bfe_u32 v3, v2, 16, 1
	v_cmp_o_f32_e32 vcc_lo, v2, v2
	v_add3_u32 v3, v2, v3, 0x7fff
	s_delay_alu instid0(VALU_DEP_1) | instskip(NEXT) | instid1(VALU_DEP_1)
	v_lshrrev_b32_e32 v3, 16, v3
	v_cndmask_b32_e32 v2, 0x7fc0, v3, vcc_lo
	global_store_b16 v[4:5], v2, off
.LBB112_390:
	s_mov_b32 s1, 0
.LBB112_391:
	s_delay_alu instid0(SALU_CYCLE_1)
	s_and_b32 vcc_lo, exec_lo, s1
	s_cbranch_vccz .LBB112_394
; %bb.392:
	v_cmp_eq_u16_e32 vcc_lo, 11, v6
	s_mov_b32 s0, -1
	s_cbranch_vccz .LBB112_394
; %bb.393:
	v_cmp_neq_f64_e32 vcc_lo, 0, v[0:1]
	s_mov_b32 s16, -1
	s_mov_b32 s0, 0
	v_cndmask_b32_e64 v2, 0, 1, vcc_lo
	global_store_b8 v[4:5], v2, off
.LBB112_394:
.LBB112_395:
	s_and_not1_b32 vcc_lo, exec_lo, s16
	s_cbranch_vccnz .LBB112_308
.LBB112_396:
	v_add_nc_u32_e32 v11, 0x80, v11
	s_mov_b32 s1, -1
	s_branch .LBB112_509
.LBB112_397:
	s_mov_b32 s15, -1
                                        ; implicit-def: $vgpr2_vgpr3
.LBB112_398:
	s_mov_b32 s1, 0
.LBB112_399:
	s_delay_alu instid0(SALU_CYCLE_1)
	s_and_b32 vcc_lo, exec_lo, s1
	s_cbranch_vccz .LBB112_403
; %bb.400:
	v_cmp_eq_u16_e32 vcc_lo, 29, v12
	s_cbranch_vccz .LBB112_402
; %bb.401:
	global_load_b64 v[2:3], v[0:1], off
	s_mov_b32 s0, -1
	s_mov_b32 s15, 0
	s_mov_b32 s1, 0
	s_waitcnt vmcnt(0)
	v_cvt_f64_u32_e32 v[3:4], v3
	v_cvt_f64_u32_e32 v[5:6], v2
	s_delay_alu instid0(VALU_DEP_2) | instskip(NEXT) | instid1(VALU_DEP_1)
	v_ldexp_f64 v[3:4], v[3:4], 32
	v_add_f64 v[2:3], v[3:4], v[5:6]
	s_branch .LBB112_404
.LBB112_402:
	s_mov_b32 s15, -1
                                        ; implicit-def: $vgpr2_vgpr3
.LBB112_403:
	s_mov_b32 s1, 0
.LBB112_404:
	s_delay_alu instid0(SALU_CYCLE_1)
	s_and_b32 vcc_lo, exec_lo, s1
	s_cbranch_vccz .LBB112_424
; %bb.405:
	v_cmp_gt_i16_e32 vcc_lo, 27, v12
	s_cbranch_vccnz .LBB112_408
; %bb.406:
	v_cmp_lt_i16_e32 vcc_lo, 27, v12
	s_cbranch_vccz .LBB112_409
; %bb.407:
	global_load_b32 v2, v[0:1], off
	s_mov_b32 s0, 0
	s_waitcnt vmcnt(0)
	v_cvt_f64_u32_e32 v[2:3], v2
	s_branch .LBB112_410
.LBB112_408:
	s_mov_b32 s0, -1
                                        ; implicit-def: $vgpr2_vgpr3
	s_branch .LBB112_413
.LBB112_409:
	s_mov_b32 s0, -1
                                        ; implicit-def: $vgpr2_vgpr3
.LBB112_410:
	s_delay_alu instid0(SALU_CYCLE_1)
	s_and_not1_b32 vcc_lo, exec_lo, s0
	s_cbranch_vccnz .LBB112_412
; %bb.411:
	global_load_u16 v2, v[0:1], off
	s_waitcnt vmcnt(0)
	v_cvt_f64_u32_e32 v[2:3], v2
.LBB112_412:
	s_mov_b32 s0, 0
.LBB112_413:
	s_delay_alu instid0(SALU_CYCLE_1)
	s_and_not1_b32 vcc_lo, exec_lo, s0
	s_cbranch_vccnz .LBB112_423
; %bb.414:
	global_load_u8 v4, v[0:1], off
	s_mov_b32 s2, 0
	s_mov_b32 s16, exec_lo
                                        ; implicit-def: $sgpr0_sgpr1
	s_waitcnt vmcnt(0)
	v_cmpx_lt_i16_e32 0x7f, v4
	s_xor_b32 s16, exec_lo, s16
	s_cbranch_execz .LBB112_418
; %bb.415:
	s_mov_b32 s18, -1
	s_mov_b32 s2, exec_lo
                                        ; implicit-def: $sgpr0_sgpr1
	v_cmpx_eq_u16_e32 0x80, v4
; %bb.416:
	s_mov_b32 s1, 0x7ff80000
	s_brev_b32 s0, 4
	s_xor_b32 s18, exec_lo, -1
; %bb.417:
	s_or_b32 exec_lo, exec_lo, s2
	s_delay_alu instid0(SALU_CYCLE_1)
	s_and_b32 s2, s18, exec_lo
.LBB112_418:
	s_or_saveexec_b32 s16, s16
	v_dual_mov_b32 v3, s1 :: v_dual_mov_b32 v2, s0
	s_xor_b32 exec_lo, exec_lo, s16
; %bb.419:
	v_cmp_ne_u16_e32 vcc_lo, 0, v4
	v_mov_b32_e32 v2, 0
	v_mov_b32_e32 v3, 0
	s_and_not1_b32 s0, s2, exec_lo
	s_and_b32 s1, vcc_lo, exec_lo
	s_delay_alu instid0(SALU_CYCLE_1)
	s_or_b32 s2, s0, s1
; %bb.420:
	s_or_b32 exec_lo, exec_lo, s16
	s_and_saveexec_b32 s0, s2
	s_cbranch_execz .LBB112_422
; %bb.421:
	v_and_b32_e32 v2, 0xffff, v4
	v_lshlrev_b32_e32 v4, 24, v4
	s_delay_alu instid0(VALU_DEP_2) | instskip(NEXT) | instid1(VALU_DEP_2)
	v_and_b32_e32 v3, 7, v2
	v_and_b32_e32 v4, 0x80000000, v4
	s_delay_alu instid0(VALU_DEP_2) | instskip(NEXT) | instid1(VALU_DEP_1)
	v_clz_i32_u32_e32 v5, v3
	v_min_u32_e32 v5, 32, v5
	s_delay_alu instid0(VALU_DEP_1) | instskip(SKIP_1) | instid1(VALU_DEP_2)
	v_subrev_nc_u32_e32 v6, 28, v5
	v_sub_nc_u32_e32 v5, 29, v5
	v_lshlrev_b32_e32 v6, v6, v2
	v_bfe_u32 v2, v2, 3, 4
	s_delay_alu instid0(VALU_DEP_2) | instskip(NEXT) | instid1(VALU_DEP_2)
	v_and_b32_e32 v6, 7, v6
	v_cmp_eq_u32_e32 vcc_lo, 0, v2
	s_delay_alu instid0(VALU_DEP_2) | instskip(NEXT) | instid1(VALU_DEP_1)
	v_dual_cndmask_b32 v2, v2, v5 :: v_dual_cndmask_b32 v3, v3, v6
	v_lshl_add_u32 v2, v2, 23, 0x3b800000
	s_delay_alu instid0(VALU_DEP_2) | instskip(NEXT) | instid1(VALU_DEP_1)
	v_lshlrev_b32_e32 v3, 20, v3
	v_or3_b32 v2, v4, v2, v3
	s_delay_alu instid0(VALU_DEP_1)
	v_cvt_f64_f32_e32 v[2:3], v2
.LBB112_422:
	s_or_b32 exec_lo, exec_lo, s0
.LBB112_423:
	s_mov_b32 s0, -1
.LBB112_424:
	s_mov_b32 s1, 0
.LBB112_425:
	s_delay_alu instid0(SALU_CYCLE_1)
	s_and_b32 vcc_lo, exec_lo, s1
	s_cbranch_vccz .LBB112_458
; %bb.426:
	v_cmp_lt_i16_e32 vcc_lo, 22, v12
	s_cbranch_vccz .LBB112_438
; %bb.427:
	v_cmp_gt_i16_e32 vcc_lo, 24, v12
	s_cbranch_vccnz .LBB112_439
; %bb.428:
	v_cmp_lt_i16_e32 vcc_lo, 24, v12
	s_cbranch_vccz .LBB112_440
; %bb.429:
	global_load_u8 v4, v[0:1], off
	s_mov_b32 s2, 0
	s_mov_b32 s16, exec_lo
                                        ; implicit-def: $sgpr0_sgpr1
	s_waitcnt vmcnt(0)
	v_cmpx_lt_i16_e32 0x7f, v4
	s_xor_b32 s16, exec_lo, s16
	s_cbranch_execz .LBB112_433
; %bb.430:
	s_mov_b32 s18, -1
	s_mov_b32 s2, exec_lo
                                        ; implicit-def: $sgpr0_sgpr1
	v_cmpx_eq_u16_e32 0x80, v4
; %bb.431:
	s_mov_b32 s1, 0x7ff80000
	s_brev_b32 s0, 4
	s_xor_b32 s18, exec_lo, -1
; %bb.432:
	s_or_b32 exec_lo, exec_lo, s2
	s_delay_alu instid0(SALU_CYCLE_1)
	s_and_b32 s2, s18, exec_lo
.LBB112_433:
	s_or_saveexec_b32 s16, s16
	v_dual_mov_b32 v3, s1 :: v_dual_mov_b32 v2, s0
	s_xor_b32 exec_lo, exec_lo, s16
; %bb.434:
	v_cmp_ne_u16_e32 vcc_lo, 0, v4
	v_mov_b32_e32 v2, 0
	v_mov_b32_e32 v3, 0
	s_and_not1_b32 s0, s2, exec_lo
	s_and_b32 s1, vcc_lo, exec_lo
	s_delay_alu instid0(SALU_CYCLE_1)
	s_or_b32 s2, s0, s1
; %bb.435:
	s_or_b32 exec_lo, exec_lo, s16
	s_and_saveexec_b32 s0, s2
	s_cbranch_execz .LBB112_437
; %bb.436:
	v_and_b32_e32 v2, 0xffff, v4
	v_lshlrev_b32_e32 v4, 24, v4
	s_delay_alu instid0(VALU_DEP_2) | instskip(NEXT) | instid1(VALU_DEP_2)
	v_and_b32_e32 v3, 3, v2
	v_and_b32_e32 v4, 0x80000000, v4
	s_delay_alu instid0(VALU_DEP_2) | instskip(NEXT) | instid1(VALU_DEP_1)
	v_clz_i32_u32_e32 v5, v3
	v_min_u32_e32 v5, 32, v5
	s_delay_alu instid0(VALU_DEP_1) | instskip(SKIP_1) | instid1(VALU_DEP_2)
	v_subrev_nc_u32_e32 v6, 29, v5
	v_sub_nc_u32_e32 v5, 30, v5
	v_lshlrev_b32_e32 v6, v6, v2
	v_bfe_u32 v2, v2, 2, 5
	s_delay_alu instid0(VALU_DEP_2) | instskip(NEXT) | instid1(VALU_DEP_2)
	v_and_b32_e32 v6, 3, v6
	v_cmp_eq_u32_e32 vcc_lo, 0, v2
	s_delay_alu instid0(VALU_DEP_2) | instskip(NEXT) | instid1(VALU_DEP_1)
	v_dual_cndmask_b32 v2, v2, v5 :: v_dual_cndmask_b32 v3, v3, v6
	v_lshl_add_u32 v2, v2, 23, 0x37800000
	s_delay_alu instid0(VALU_DEP_2) | instskip(NEXT) | instid1(VALU_DEP_1)
	v_lshlrev_b32_e32 v3, 21, v3
	v_or3_b32 v2, v4, v2, v3
	s_delay_alu instid0(VALU_DEP_1)
	v_cvt_f64_f32_e32 v[2:3], v2
.LBB112_437:
	s_or_b32 exec_lo, exec_lo, s0
	s_mov_b32 s0, 0
	s_branch .LBB112_441
.LBB112_438:
	s_mov_b32 s1, -1
                                        ; implicit-def: $vgpr2_vgpr3
	s_branch .LBB112_447
.LBB112_439:
	s_mov_b32 s0, -1
                                        ; implicit-def: $vgpr2_vgpr3
	s_branch .LBB112_444
.LBB112_440:
	s_mov_b32 s0, -1
                                        ; implicit-def: $vgpr2_vgpr3
.LBB112_441:
	s_delay_alu instid0(SALU_CYCLE_1)
	s_and_b32 vcc_lo, exec_lo, s0
	s_cbranch_vccz .LBB112_443
; %bb.442:
	global_load_u8 v2, v[0:1], off
	s_waitcnt vmcnt(0)
	v_lshlrev_b32_e32 v2, 24, v2
	s_delay_alu instid0(VALU_DEP_1) | instskip(NEXT) | instid1(VALU_DEP_1)
	v_and_b32_e32 v3, 0x7f000000, v2
	v_clz_i32_u32_e32 v4, v3
	v_add_nc_u32_e32 v6, 0x1000000, v3
	v_cmp_ne_u32_e32 vcc_lo, 0, v3
	s_delay_alu instid0(VALU_DEP_3) | instskip(NEXT) | instid1(VALU_DEP_1)
	v_min_u32_e32 v4, 32, v4
	v_sub_nc_u32_e64 v4, v4, 4 clamp
	s_delay_alu instid0(VALU_DEP_1) | instskip(SKIP_1) | instid1(VALU_DEP_2)
	v_lshlrev_b32_e32 v5, v4, v3
	v_lshlrev_b32_e32 v4, 23, v4
	v_lshrrev_b32_e32 v5, 4, v5
	s_delay_alu instid0(VALU_DEP_1) | instskip(SKIP_1) | instid1(VALU_DEP_2)
	v_sub_nc_u32_e32 v4, v5, v4
	v_ashrrev_i32_e32 v5, 8, v6
	v_add_nc_u32_e32 v4, 0x3c000000, v4
	s_delay_alu instid0(VALU_DEP_1) | instskip(NEXT) | instid1(VALU_DEP_1)
	v_and_or_b32 v4, 0x7f800000, v5, v4
	v_cndmask_b32_e32 v3, 0, v4, vcc_lo
	s_delay_alu instid0(VALU_DEP_1) | instskip(NEXT) | instid1(VALU_DEP_1)
	v_and_or_b32 v2, 0x80000000, v2, v3
	v_cvt_f64_f32_e32 v[2:3], v2
.LBB112_443:
	s_mov_b32 s0, 0
.LBB112_444:
	s_delay_alu instid0(SALU_CYCLE_1)
	s_and_not1_b32 vcc_lo, exec_lo, s0
	s_cbranch_vccnz .LBB112_446
; %bb.445:
	global_load_u8 v2, v[0:1], off
	s_waitcnt vmcnt(0)
	v_lshlrev_b32_e32 v3, 25, v2
	v_lshlrev_b16 v2, 8, v2
	s_delay_alu instid0(VALU_DEP_2) | instskip(NEXT) | instid1(VALU_DEP_2)
	v_lshrrev_b32_e32 v4, 4, v3
	v_and_or_b32 v5, 0x7f00, v2, 0.5
	v_bfe_i32 v2, v2, 0, 16
	s_delay_alu instid0(VALU_DEP_3) | instskip(NEXT) | instid1(VALU_DEP_1)
	v_or_b32_e32 v4, 0x70000000, v4
	v_dual_add_f32 v5, -0.5, v5 :: v_dual_mul_f32 v4, 0x7800000, v4
	v_cmp_gt_u32_e32 vcc_lo, 0x8000000, v3
	s_delay_alu instid0(VALU_DEP_2) | instskip(NEXT) | instid1(VALU_DEP_1)
	v_cndmask_b32_e32 v3, v4, v5, vcc_lo
	v_and_or_b32 v2, 0x80000000, v2, v3
	s_delay_alu instid0(VALU_DEP_1)
	v_cvt_f64_f32_e32 v[2:3], v2
.LBB112_446:
	s_mov_b32 s1, 0
	s_mov_b32 s0, -1
.LBB112_447:
	s_and_not1_b32 vcc_lo, exec_lo, s1
	s_cbranch_vccnz .LBB112_458
; %bb.448:
	v_cmp_lt_i16_e32 vcc_lo, 14, v12
	s_cbranch_vccz .LBB112_451
; %bb.449:
	v_cmp_eq_u16_e32 vcc_lo, 15, v12
	s_cbranch_vccz .LBB112_452
; %bb.450:
	global_load_u16 v2, v[0:1], off
	s_mov_b32 s0, -1
	s_mov_b32 s15, 0
	s_waitcnt vmcnt(0)
	v_lshlrev_b32_e32 v2, 16, v2
	s_delay_alu instid0(VALU_DEP_1)
	v_cvt_f64_f32_e32 v[2:3], v2
	s_branch .LBB112_453
.LBB112_451:
	s_mov_b32 s1, -1
                                        ; implicit-def: $vgpr2_vgpr3
	s_branch .LBB112_454
.LBB112_452:
	s_mov_b32 s15, -1
                                        ; implicit-def: $vgpr2_vgpr3
.LBB112_453:
	s_mov_b32 s1, 0
.LBB112_454:
	s_delay_alu instid0(SALU_CYCLE_1)
	s_and_b32 vcc_lo, exec_lo, s1
	s_cbranch_vccz .LBB112_458
; %bb.455:
	v_cmp_eq_u16_e32 vcc_lo, 11, v12
	s_cbranch_vccz .LBB112_457
; %bb.456:
	global_load_u8 v2, v[0:1], off
	s_mov_b32 s15, 0
	s_mov_b32 s0, -1
	s_waitcnt vmcnt(0)
	v_cmp_ne_u16_e32 vcc_lo, 0, v2
	v_mov_b32_e32 v2, 0
	v_cndmask_b32_e64 v3, 0, 0x3ff00000, vcc_lo
	s_branch .LBB112_458
.LBB112_457:
	s_mov_b32 s15, -1
                                        ; implicit-def: $vgpr2_vgpr3
.LBB112_458:
	s_branch .LBB112_261
.LBB112_459:
	v_cmp_gt_i16_e32 vcc_lo, 5, v12
	s_cbranch_vccnz .LBB112_464
; %bb.460:
	v_cmp_gt_i16_e32 vcc_lo, 8, v12
	s_cbranch_vccnz .LBB112_465
; %bb.461:
	;; [unrolled: 3-line block ×3, first 2 shown]
	v_cmp_lt_i16_e32 vcc_lo, 9, v12
	s_cbranch_vccz .LBB112_467
; %bb.463:
	global_load_b64 v[2:3], v[0:1], off
	s_mov_b32 s0, 0
	s_branch .LBB112_468
.LBB112_464:
	s_mov_b32 s0, -1
                                        ; implicit-def: $vgpr2_vgpr3
	s_branch .LBB112_486
.LBB112_465:
	s_mov_b32 s0, -1
                                        ; implicit-def: $vgpr2_vgpr3
	s_branch .LBB112_474
.LBB112_466:
	s_mov_b32 s0, -1
                                        ; implicit-def: $vgpr2_vgpr3
	s_branch .LBB112_471
.LBB112_467:
	s_mov_b32 s0, -1
                                        ; implicit-def: $vgpr2_vgpr3
.LBB112_468:
	s_delay_alu instid0(SALU_CYCLE_1)
	s_and_not1_b32 vcc_lo, exec_lo, s0
	s_cbranch_vccnz .LBB112_470
; %bb.469:
	global_load_b32 v2, v[0:1], off
	s_waitcnt vmcnt(0)
	v_cvt_f64_f32_e32 v[2:3], v2
.LBB112_470:
	s_mov_b32 s0, 0
.LBB112_471:
	s_delay_alu instid0(SALU_CYCLE_1)
	s_and_not1_b32 vcc_lo, exec_lo, s0
	s_cbranch_vccnz .LBB112_473
; %bb.472:
	global_load_b32 v2, v[0:1], off
	s_waitcnt vmcnt(0)
	v_cvt_f32_f16_e32 v2, v2
	s_delay_alu instid0(VALU_DEP_1)
	v_cvt_f64_f32_e32 v[2:3], v2
.LBB112_473:
	s_mov_b32 s0, 0
.LBB112_474:
	s_delay_alu instid0(SALU_CYCLE_1)
	s_and_not1_b32 vcc_lo, exec_lo, s0
	s_cbranch_vccnz .LBB112_485
; %bb.475:
	v_cmp_gt_i16_e32 vcc_lo, 6, v12
	s_cbranch_vccnz .LBB112_478
; %bb.476:
	v_cmp_lt_i16_e32 vcc_lo, 6, v12
	s_cbranch_vccz .LBB112_479
; %bb.477:
	global_load_b64 v[2:3], v[0:1], off
	s_mov_b32 s0, 0
	s_branch .LBB112_480
.LBB112_478:
	s_mov_b32 s0, -1
                                        ; implicit-def: $vgpr2_vgpr3
	s_branch .LBB112_483
.LBB112_479:
	s_mov_b32 s0, -1
                                        ; implicit-def: $vgpr2_vgpr3
.LBB112_480:
	s_delay_alu instid0(SALU_CYCLE_1)
	s_and_not1_b32 vcc_lo, exec_lo, s0
	s_cbranch_vccnz .LBB112_482
; %bb.481:
	global_load_b32 v2, v[0:1], off
	s_waitcnt vmcnt(0)
	v_cvt_f64_f32_e32 v[2:3], v2
.LBB112_482:
	s_mov_b32 s0, 0
.LBB112_483:
	s_delay_alu instid0(SALU_CYCLE_1)
	s_and_not1_b32 vcc_lo, exec_lo, s0
	s_cbranch_vccnz .LBB112_485
; %bb.484:
	global_load_u16 v2, v[0:1], off
	s_waitcnt vmcnt(0)
	v_cvt_f32_f16_e32 v2, v2
	s_delay_alu instid0(VALU_DEP_1)
	v_cvt_f64_f32_e32 v[2:3], v2
.LBB112_485:
	s_mov_b32 s0, 0
.LBB112_486:
	s_delay_alu instid0(SALU_CYCLE_1)
	s_and_not1_b32 vcc_lo, exec_lo, s0
	s_cbranch_vccnz .LBB112_506
; %bb.487:
	v_cmp_gt_i16_e32 vcc_lo, 2, v12
	s_cbranch_vccnz .LBB112_491
; %bb.488:
	v_cmp_gt_i16_e32 vcc_lo, 3, v12
	s_cbranch_vccnz .LBB112_492
; %bb.489:
	v_cmp_lt_i16_e32 vcc_lo, 3, v12
	s_cbranch_vccz .LBB112_493
; %bb.490:
	global_load_b64 v[2:3], v[0:1], off
	s_mov_b32 s0, 0
	s_waitcnt vmcnt(0)
	v_cvt_f64_i32_e32 v[3:4], v3
	v_cvt_f64_u32_e32 v[5:6], v2
	s_delay_alu instid0(VALU_DEP_2) | instskip(NEXT) | instid1(VALU_DEP_1)
	v_ldexp_f64 v[3:4], v[3:4], 32
	v_add_f64 v[2:3], v[3:4], v[5:6]
	s_branch .LBB112_494
.LBB112_491:
	s_mov_b32 s0, -1
                                        ; implicit-def: $vgpr2_vgpr3
	s_branch .LBB112_500
.LBB112_492:
	s_mov_b32 s0, -1
                                        ; implicit-def: $vgpr2_vgpr3
	s_branch .LBB112_497
.LBB112_493:
	s_mov_b32 s0, -1
                                        ; implicit-def: $vgpr2_vgpr3
.LBB112_494:
	s_delay_alu instid0(SALU_CYCLE_1)
	s_and_not1_b32 vcc_lo, exec_lo, s0
	s_cbranch_vccnz .LBB112_496
; %bb.495:
	global_load_b32 v2, v[0:1], off
	s_waitcnt vmcnt(0)
	v_cvt_f64_i32_e32 v[2:3], v2
.LBB112_496:
	s_mov_b32 s0, 0
.LBB112_497:
	s_delay_alu instid0(SALU_CYCLE_1)
	s_and_not1_b32 vcc_lo, exec_lo, s0
	s_cbranch_vccnz .LBB112_499
; %bb.498:
	global_load_i16 v2, v[0:1], off
	s_waitcnt vmcnt(0)
	v_cvt_f64_i32_e32 v[2:3], v2
.LBB112_499:
	s_mov_b32 s0, 0
.LBB112_500:
	s_delay_alu instid0(SALU_CYCLE_1)
	s_and_not1_b32 vcc_lo, exec_lo, s0
	s_cbranch_vccnz .LBB112_506
; %bb.501:
	v_cmp_lt_i16_e32 vcc_lo, 0, v12
	s_mov_b32 s0, 0
	s_cbranch_vccz .LBB112_503
; %bb.502:
	global_load_i8 v2, v[0:1], off
	s_waitcnt vmcnt(0)
	v_cvt_f64_i32_e32 v[2:3], v2
	s_branch .LBB112_504
.LBB112_503:
	s_mov_b32 s0, -1
                                        ; implicit-def: $vgpr2_vgpr3
.LBB112_504:
	s_delay_alu instid0(SALU_CYCLE_1)
	s_and_not1_b32 vcc_lo, exec_lo, s0
	s_cbranch_vccnz .LBB112_506
; %bb.505:
	global_load_u8 v0, v[0:1], off
	s_waitcnt vmcnt(0)
	v_cvt_f64_u32_e32 v[2:3], v0
.LBB112_506:
	s_branch .LBB112_262
.LBB112_507:
	s_mov_b32 s1, 0
	s_mov_b32 s0, s11
.LBB112_508:
                                        ; implicit-def: $vgpr11
.LBB112_509:
	s_and_not1_b32 s2, s11, exec_lo
	s_and_b32 s0, s0, exec_lo
	s_and_not1_b32 s18, s13, exec_lo
	s_and_b32 s15, s15, exec_lo
	s_or_b32 s16, s2, s0
	s_or_b32 s15, s18, s15
	s_or_not1_b32 s2, s1, exec_lo
.LBB112_510:
	s_or_b32 exec_lo, exec_lo, s17
	s_mov_b32 s1, 0
	s_mov_b32 s18, 0
	;; [unrolled: 1-line block ×3, first 2 shown]
                                        ; implicit-def: $vgpr0_vgpr1
                                        ; implicit-def: $vgpr2_vgpr3
	s_and_saveexec_b32 s17, s2
	s_cbranch_execz .LBB112_856
; %bb.511:
	s_mov_b32 s0, -1
	s_mov_b32 s2, s15
	s_mov_b32 s19, s16
	s_mov_b32 s18, exec_lo
	v_cmpx_gt_i32_e64 s12, v11
	s_cbranch_execz .LBB112_770
; %bb.512:
	v_mul_lo_u32 v0, v11, s9
	v_cmp_gt_i16_e32 vcc_lo, 11, v12
	s_delay_alu instid0(VALU_DEP_2) | instskip(SKIP_1) | instid1(VALU_DEP_1)
	v_ashrrev_i32_e32 v1, 31, v0
	v_add_co_u32 v0, s0, s6, v0
	v_add_co_ci_u32_e64 v1, s0, s7, v1, s0
	s_cbranch_vccnz .LBB112_519
; %bb.513:
	v_cmp_lt_i16_e32 vcc_lo, 25, v12
	s_cbranch_vccz .LBB112_520
; %bb.514:
	v_cmp_lt_i16_e32 vcc_lo, 28, v12
	s_cbranch_vccz .LBB112_521
; %bb.515:
	v_cmp_lt_i16_e32 vcc_lo, 43, v12
	s_cbranch_vccz .LBB112_522
; %bb.516:
	v_cmp_lt_i16_e32 vcc_lo, 45, v12
	s_cbranch_vccz .LBB112_525
; %bb.517:
	v_cmp_eq_u16_e32 vcc_lo, 46, v12
	s_cbranch_vccz .LBB112_528
; %bb.518:
	global_load_b32 v2, v[0:1], off
	s_mov_b32 s0, -1
	s_mov_b32 s19, 0
	s_waitcnt vmcnt(0)
	v_lshlrev_b32_e32 v2, 16, v2
	s_delay_alu instid0(VALU_DEP_1)
	v_cvt_f64_f32_e32 v[2:3], v2
	s_branch .LBB112_530
.LBB112_519:
	s_mov_b32 s1, -1
	s_mov_b32 s0, 0
	s_mov_b32 s19, s15
                                        ; implicit-def: $vgpr2_vgpr3
	s_branch .LBB112_595
.LBB112_520:
	s_mov_b32 s1, -1
	s_mov_b32 s0, 0
	s_mov_b32 s19, s15
                                        ; implicit-def: $vgpr2_vgpr3
	s_branch .LBB112_561
.LBB112_521:
	s_mov_b32 s1, -1
	s_mov_b32 s0, 0
	s_mov_b32 s19, s15
                                        ; implicit-def: $vgpr2_vgpr3
	s_branch .LBB112_540
.LBB112_522:
	s_mov_b32 s1, -1
	s_mov_b32 s0, 0
	s_mov_b32 s19, s15
                                        ; implicit-def: $vgpr2_vgpr3
	s_branch .LBB112_535
.LBB112_523:
	s_or_saveexec_b32 s16, s16
                                        ; implicit-def: $sgpr18
	s_delay_alu instid0(SALU_CYCLE_1)
	s_xor_b32 exec_lo, exec_lo, s16
	s_cbranch_execz .LBB112_347
.LBB112_524:
	v_add_f32_e64 v3, 0x46000000, |v2|
	s_and_not1_b32 s2, s2, exec_lo
	s_mov_b32 s18, 0
	s_delay_alu instid0(VALU_DEP_1) | instskip(NEXT) | instid1(VALU_DEP_1)
	v_and_b32_e32 v3, 0xff, v3
	v_cmp_ne_u32_e32 vcc_lo, 0, v3
	s_and_b32 s19, vcc_lo, exec_lo
	s_delay_alu instid0(SALU_CYCLE_1)
	s_or_b32 s2, s2, s19
	s_or_b32 exec_lo, exec_lo, s16
	v_mov_b32_e32 v7, s18
	s_and_saveexec_b32 s16, s2
	s_cbranch_execnz .LBB112_348
	s_branch .LBB112_349
.LBB112_525:
	s_mov_b32 s1, -1
	s_mov_b32 s0, 0
	s_mov_b32 s19, s15
	s_branch .LBB112_529
.LBB112_526:
	s_or_saveexec_b32 s16, s16
                                        ; implicit-def: $sgpr18
	s_delay_alu instid0(SALU_CYCLE_1)
	s_xor_b32 exec_lo, exec_lo, s16
	s_cbranch_execz .LBB112_360
.LBB112_527:
	v_add_f32_e64 v3, 0x42800000, |v2|
	s_and_not1_b32 s2, s2, exec_lo
	s_mov_b32 s18, 0
	s_delay_alu instid0(VALU_DEP_1) | instskip(NEXT) | instid1(VALU_DEP_1)
	v_and_b32_e32 v3, 0xff, v3
	v_cmp_ne_u32_e32 vcc_lo, 0, v3
	s_and_b32 s19, vcc_lo, exec_lo
	s_delay_alu instid0(SALU_CYCLE_1)
	s_or_b32 s2, s2, s19
	s_or_b32 exec_lo, exec_lo, s16
	v_mov_b32_e32 v7, s18
	s_and_saveexec_b32 s16, s2
	s_cbranch_execnz .LBB112_361
	s_branch .LBB112_362
.LBB112_528:
	s_mov_b32 s19, -1
	s_mov_b32 s0, 0
.LBB112_529:
                                        ; implicit-def: $vgpr2_vgpr3
.LBB112_530:
	s_and_b32 vcc_lo, exec_lo, s1
	s_cbranch_vccz .LBB112_534
; %bb.531:
	v_cmp_eq_u16_e32 vcc_lo, 44, v12
	s_cbranch_vccz .LBB112_533
; %bb.532:
	global_load_u8 v4, v[0:1], off
	s_mov_b32 s19, 0
	s_mov_b32 s0, -1
	s_waitcnt vmcnt(0)
	v_cmp_ne_u32_e32 vcc_lo, 0xff, v4
	v_lshlrev_b32_e32 v2, 23, v4
	s_delay_alu instid0(VALU_DEP_1) | instskip(NEXT) | instid1(VALU_DEP_1)
	v_cvt_f64_f32_e32 v[2:3], v2
	v_cndmask_b32_e32 v3, 0x7ff80000, v3, vcc_lo
	s_delay_alu instid0(VALU_DEP_2) | instskip(SKIP_1) | instid1(VALU_DEP_3)
	v_cndmask_b32_e32 v2, 0x20000000, v2, vcc_lo
	v_cmp_ne_u32_e32 vcc_lo, 0, v4
	v_cndmask_b32_e32 v3, 0x38000000, v3, vcc_lo
	s_delay_alu instid0(VALU_DEP_3)
	v_cndmask_b32_e32 v2, 0, v2, vcc_lo
	s_branch .LBB112_534
.LBB112_533:
	s_mov_b32 s19, -1
                                        ; implicit-def: $vgpr2_vgpr3
.LBB112_534:
	s_mov_b32 s1, 0
.LBB112_535:
	s_delay_alu instid0(SALU_CYCLE_1)
	s_and_b32 vcc_lo, exec_lo, s1
	s_cbranch_vccz .LBB112_539
; %bb.536:
	v_cmp_eq_u16_e32 vcc_lo, 29, v12
	s_cbranch_vccz .LBB112_538
; %bb.537:
	global_load_b64 v[2:3], v[0:1], off
	s_mov_b32 s0, -1
	s_mov_b32 s19, 0
	s_mov_b32 s1, 0
	s_waitcnt vmcnt(0)
	v_cvt_f64_u32_e32 v[3:4], v3
	v_cvt_f64_u32_e32 v[5:6], v2
	s_delay_alu instid0(VALU_DEP_2) | instskip(NEXT) | instid1(VALU_DEP_1)
	v_ldexp_f64 v[3:4], v[3:4], 32
	v_add_f64 v[2:3], v[3:4], v[5:6]
	s_branch .LBB112_540
.LBB112_538:
	s_mov_b32 s19, -1
                                        ; implicit-def: $vgpr2_vgpr3
.LBB112_539:
	s_mov_b32 s1, 0
.LBB112_540:
	s_delay_alu instid0(SALU_CYCLE_1)
	s_and_b32 vcc_lo, exec_lo, s1
	s_cbranch_vccz .LBB112_560
; %bb.541:
	v_cmp_gt_i16_e32 vcc_lo, 27, v12
	s_cbranch_vccnz .LBB112_544
; %bb.542:
	v_cmp_lt_i16_e32 vcc_lo, 27, v12
	s_cbranch_vccz .LBB112_545
; %bb.543:
	global_load_b32 v2, v[0:1], off
	s_mov_b32 s0, 0
	s_waitcnt vmcnt(0)
	v_cvt_f64_u32_e32 v[2:3], v2
	s_branch .LBB112_546
.LBB112_544:
	s_mov_b32 s0, -1
                                        ; implicit-def: $vgpr2_vgpr3
	s_branch .LBB112_549
.LBB112_545:
	s_mov_b32 s0, -1
                                        ; implicit-def: $vgpr2_vgpr3
.LBB112_546:
	s_delay_alu instid0(SALU_CYCLE_1)
	s_and_not1_b32 vcc_lo, exec_lo, s0
	s_cbranch_vccnz .LBB112_548
; %bb.547:
	global_load_u16 v2, v[0:1], off
	s_waitcnt vmcnt(0)
	v_cvt_f64_u32_e32 v[2:3], v2
.LBB112_548:
	s_mov_b32 s0, 0
.LBB112_549:
	s_delay_alu instid0(SALU_CYCLE_1)
	s_and_not1_b32 vcc_lo, exec_lo, s0
	s_cbranch_vccnz .LBB112_559
; %bb.550:
	global_load_u8 v4, v[0:1], off
	s_mov_b32 s2, 0
	s_mov_b32 s20, exec_lo
                                        ; implicit-def: $sgpr0_sgpr1
	s_waitcnt vmcnt(0)
	v_cmpx_lt_i16_e32 0x7f, v4
	s_xor_b32 s20, exec_lo, s20
	s_cbranch_execz .LBB112_554
; %bb.551:
	s_mov_b32 s21, -1
	s_mov_b32 s2, exec_lo
                                        ; implicit-def: $sgpr0_sgpr1
	v_cmpx_eq_u16_e32 0x80, v4
; %bb.552:
	s_mov_b32 s1, 0x7ff80000
	s_brev_b32 s0, 4
	s_xor_b32 s21, exec_lo, -1
; %bb.553:
	s_or_b32 exec_lo, exec_lo, s2
	s_delay_alu instid0(SALU_CYCLE_1)
	s_and_b32 s2, s21, exec_lo
.LBB112_554:
	s_or_saveexec_b32 s20, s20
	v_dual_mov_b32 v3, s1 :: v_dual_mov_b32 v2, s0
	s_xor_b32 exec_lo, exec_lo, s20
; %bb.555:
	v_cmp_ne_u16_e32 vcc_lo, 0, v4
	v_mov_b32_e32 v2, 0
	v_mov_b32_e32 v3, 0
	s_and_not1_b32 s0, s2, exec_lo
	s_and_b32 s1, vcc_lo, exec_lo
	s_delay_alu instid0(SALU_CYCLE_1)
	s_or_b32 s2, s0, s1
; %bb.556:
	s_or_b32 exec_lo, exec_lo, s20
	s_and_saveexec_b32 s0, s2
	s_cbranch_execz .LBB112_558
; %bb.557:
	v_and_b32_e32 v2, 0xffff, v4
	v_lshlrev_b32_e32 v4, 24, v4
	s_delay_alu instid0(VALU_DEP_2) | instskip(NEXT) | instid1(VALU_DEP_2)
	v_and_b32_e32 v3, 7, v2
	v_and_b32_e32 v4, 0x80000000, v4
	s_delay_alu instid0(VALU_DEP_2) | instskip(NEXT) | instid1(VALU_DEP_1)
	v_clz_i32_u32_e32 v5, v3
	v_min_u32_e32 v5, 32, v5
	s_delay_alu instid0(VALU_DEP_1) | instskip(SKIP_1) | instid1(VALU_DEP_2)
	v_subrev_nc_u32_e32 v6, 28, v5
	v_sub_nc_u32_e32 v5, 29, v5
	v_lshlrev_b32_e32 v6, v6, v2
	v_bfe_u32 v2, v2, 3, 4
	s_delay_alu instid0(VALU_DEP_2) | instskip(NEXT) | instid1(VALU_DEP_2)
	v_and_b32_e32 v6, 7, v6
	v_cmp_eq_u32_e32 vcc_lo, 0, v2
	s_delay_alu instid0(VALU_DEP_2) | instskip(NEXT) | instid1(VALU_DEP_1)
	v_dual_cndmask_b32 v2, v2, v5 :: v_dual_cndmask_b32 v3, v3, v6
	v_lshl_add_u32 v2, v2, 23, 0x3b800000
	s_delay_alu instid0(VALU_DEP_2) | instskip(NEXT) | instid1(VALU_DEP_1)
	v_lshlrev_b32_e32 v3, 20, v3
	v_or3_b32 v2, v4, v2, v3
	s_delay_alu instid0(VALU_DEP_1)
	v_cvt_f64_f32_e32 v[2:3], v2
.LBB112_558:
	s_or_b32 exec_lo, exec_lo, s0
.LBB112_559:
	s_mov_b32 s0, -1
.LBB112_560:
	s_mov_b32 s1, 0
.LBB112_561:
	s_delay_alu instid0(SALU_CYCLE_1)
	s_and_b32 vcc_lo, exec_lo, s1
	s_cbranch_vccz .LBB112_594
; %bb.562:
	v_cmp_lt_i16_e32 vcc_lo, 22, v12
	s_cbranch_vccz .LBB112_574
; %bb.563:
	v_cmp_gt_i16_e32 vcc_lo, 24, v12
	s_cbranch_vccnz .LBB112_575
; %bb.564:
	v_cmp_lt_i16_e32 vcc_lo, 24, v12
	s_cbranch_vccz .LBB112_576
; %bb.565:
	global_load_u8 v4, v[0:1], off
	s_mov_b32 s2, 0
	s_mov_b32 s20, exec_lo
                                        ; implicit-def: $sgpr0_sgpr1
	s_waitcnt vmcnt(0)
	v_cmpx_lt_i16_e32 0x7f, v4
	s_xor_b32 s20, exec_lo, s20
	s_cbranch_execz .LBB112_569
; %bb.566:
	s_mov_b32 s21, -1
	s_mov_b32 s2, exec_lo
                                        ; implicit-def: $sgpr0_sgpr1
	v_cmpx_eq_u16_e32 0x80, v4
; %bb.567:
	s_mov_b32 s1, 0x7ff80000
	s_brev_b32 s0, 4
	s_xor_b32 s21, exec_lo, -1
; %bb.568:
	s_or_b32 exec_lo, exec_lo, s2
	s_delay_alu instid0(SALU_CYCLE_1)
	s_and_b32 s2, s21, exec_lo
.LBB112_569:
	s_or_saveexec_b32 s20, s20
	v_dual_mov_b32 v3, s1 :: v_dual_mov_b32 v2, s0
	s_xor_b32 exec_lo, exec_lo, s20
; %bb.570:
	v_cmp_ne_u16_e32 vcc_lo, 0, v4
	v_mov_b32_e32 v2, 0
	v_mov_b32_e32 v3, 0
	s_and_not1_b32 s0, s2, exec_lo
	s_and_b32 s1, vcc_lo, exec_lo
	s_delay_alu instid0(SALU_CYCLE_1)
	s_or_b32 s2, s0, s1
; %bb.571:
	s_or_b32 exec_lo, exec_lo, s20
	s_and_saveexec_b32 s0, s2
	s_cbranch_execz .LBB112_573
; %bb.572:
	v_and_b32_e32 v2, 0xffff, v4
	v_lshlrev_b32_e32 v4, 24, v4
	s_delay_alu instid0(VALU_DEP_2) | instskip(NEXT) | instid1(VALU_DEP_2)
	v_and_b32_e32 v3, 3, v2
	v_and_b32_e32 v4, 0x80000000, v4
	s_delay_alu instid0(VALU_DEP_2) | instskip(NEXT) | instid1(VALU_DEP_1)
	v_clz_i32_u32_e32 v5, v3
	v_min_u32_e32 v5, 32, v5
	s_delay_alu instid0(VALU_DEP_1) | instskip(SKIP_1) | instid1(VALU_DEP_2)
	v_subrev_nc_u32_e32 v6, 29, v5
	v_sub_nc_u32_e32 v5, 30, v5
	v_lshlrev_b32_e32 v6, v6, v2
	v_bfe_u32 v2, v2, 2, 5
	s_delay_alu instid0(VALU_DEP_2) | instskip(NEXT) | instid1(VALU_DEP_2)
	v_and_b32_e32 v6, 3, v6
	v_cmp_eq_u32_e32 vcc_lo, 0, v2
	s_delay_alu instid0(VALU_DEP_2) | instskip(NEXT) | instid1(VALU_DEP_1)
	v_dual_cndmask_b32 v2, v2, v5 :: v_dual_cndmask_b32 v3, v3, v6
	v_lshl_add_u32 v2, v2, 23, 0x37800000
	s_delay_alu instid0(VALU_DEP_2) | instskip(NEXT) | instid1(VALU_DEP_1)
	v_lshlrev_b32_e32 v3, 21, v3
	v_or3_b32 v2, v4, v2, v3
	s_delay_alu instid0(VALU_DEP_1)
	v_cvt_f64_f32_e32 v[2:3], v2
.LBB112_573:
	s_or_b32 exec_lo, exec_lo, s0
	s_mov_b32 s0, 0
	s_branch .LBB112_577
.LBB112_574:
	s_mov_b32 s1, -1
                                        ; implicit-def: $vgpr2_vgpr3
	s_branch .LBB112_583
.LBB112_575:
	s_mov_b32 s0, -1
                                        ; implicit-def: $vgpr2_vgpr3
	s_branch .LBB112_580
.LBB112_576:
	s_mov_b32 s0, -1
                                        ; implicit-def: $vgpr2_vgpr3
.LBB112_577:
	s_delay_alu instid0(SALU_CYCLE_1)
	s_and_b32 vcc_lo, exec_lo, s0
	s_cbranch_vccz .LBB112_579
; %bb.578:
	global_load_u8 v2, v[0:1], off
	s_waitcnt vmcnt(0)
	v_lshlrev_b32_e32 v2, 24, v2
	s_delay_alu instid0(VALU_DEP_1) | instskip(NEXT) | instid1(VALU_DEP_1)
	v_and_b32_e32 v3, 0x7f000000, v2
	v_clz_i32_u32_e32 v4, v3
	v_add_nc_u32_e32 v6, 0x1000000, v3
	v_cmp_ne_u32_e32 vcc_lo, 0, v3
	s_delay_alu instid0(VALU_DEP_3) | instskip(NEXT) | instid1(VALU_DEP_1)
	v_min_u32_e32 v4, 32, v4
	v_sub_nc_u32_e64 v4, v4, 4 clamp
	s_delay_alu instid0(VALU_DEP_1) | instskip(SKIP_1) | instid1(VALU_DEP_2)
	v_lshlrev_b32_e32 v5, v4, v3
	v_lshlrev_b32_e32 v4, 23, v4
	v_lshrrev_b32_e32 v5, 4, v5
	s_delay_alu instid0(VALU_DEP_1) | instskip(SKIP_1) | instid1(VALU_DEP_2)
	v_sub_nc_u32_e32 v4, v5, v4
	v_ashrrev_i32_e32 v5, 8, v6
	v_add_nc_u32_e32 v4, 0x3c000000, v4
	s_delay_alu instid0(VALU_DEP_1) | instskip(NEXT) | instid1(VALU_DEP_1)
	v_and_or_b32 v4, 0x7f800000, v5, v4
	v_cndmask_b32_e32 v3, 0, v4, vcc_lo
	s_delay_alu instid0(VALU_DEP_1) | instskip(NEXT) | instid1(VALU_DEP_1)
	v_and_or_b32 v2, 0x80000000, v2, v3
	v_cvt_f64_f32_e32 v[2:3], v2
.LBB112_579:
	s_mov_b32 s0, 0
.LBB112_580:
	s_delay_alu instid0(SALU_CYCLE_1)
	s_and_not1_b32 vcc_lo, exec_lo, s0
	s_cbranch_vccnz .LBB112_582
; %bb.581:
	global_load_u8 v2, v[0:1], off
	s_waitcnt vmcnt(0)
	v_lshlrev_b32_e32 v3, 25, v2
	v_lshlrev_b16 v2, 8, v2
	s_delay_alu instid0(VALU_DEP_2) | instskip(NEXT) | instid1(VALU_DEP_2)
	v_lshrrev_b32_e32 v4, 4, v3
	v_and_or_b32 v5, 0x7f00, v2, 0.5
	v_bfe_i32 v2, v2, 0, 16
	s_delay_alu instid0(VALU_DEP_3) | instskip(NEXT) | instid1(VALU_DEP_1)
	v_or_b32_e32 v4, 0x70000000, v4
	v_dual_add_f32 v5, -0.5, v5 :: v_dual_mul_f32 v4, 0x7800000, v4
	v_cmp_gt_u32_e32 vcc_lo, 0x8000000, v3
	s_delay_alu instid0(VALU_DEP_2) | instskip(NEXT) | instid1(VALU_DEP_1)
	v_cndmask_b32_e32 v3, v4, v5, vcc_lo
	v_and_or_b32 v2, 0x80000000, v2, v3
	s_delay_alu instid0(VALU_DEP_1)
	v_cvt_f64_f32_e32 v[2:3], v2
.LBB112_582:
	s_mov_b32 s1, 0
	s_mov_b32 s0, -1
.LBB112_583:
	s_and_not1_b32 vcc_lo, exec_lo, s1
	s_cbranch_vccnz .LBB112_594
; %bb.584:
	v_cmp_lt_i16_e32 vcc_lo, 14, v12
	s_cbranch_vccz .LBB112_587
; %bb.585:
	v_cmp_eq_u16_e32 vcc_lo, 15, v12
	s_cbranch_vccz .LBB112_588
; %bb.586:
	global_load_u16 v2, v[0:1], off
	s_mov_b32 s0, -1
	s_mov_b32 s19, 0
	s_waitcnt vmcnt(0)
	v_lshlrev_b32_e32 v2, 16, v2
	s_delay_alu instid0(VALU_DEP_1)
	v_cvt_f64_f32_e32 v[2:3], v2
	s_branch .LBB112_589
.LBB112_587:
	s_mov_b32 s1, -1
                                        ; implicit-def: $vgpr2_vgpr3
	s_branch .LBB112_590
.LBB112_588:
	s_mov_b32 s19, -1
                                        ; implicit-def: $vgpr2_vgpr3
.LBB112_589:
	s_mov_b32 s1, 0
.LBB112_590:
	s_delay_alu instid0(SALU_CYCLE_1)
	s_and_b32 vcc_lo, exec_lo, s1
	s_cbranch_vccz .LBB112_594
; %bb.591:
	v_cmp_eq_u16_e32 vcc_lo, 11, v12
	s_cbranch_vccz .LBB112_593
; %bb.592:
	global_load_u8 v2, v[0:1], off
	s_mov_b32 s19, 0
	s_mov_b32 s0, -1
	s_waitcnt vmcnt(0)
	v_cmp_ne_u16_e32 vcc_lo, 0, v2
	v_mov_b32_e32 v2, 0
	v_cndmask_b32_e64 v3, 0, 0x3ff00000, vcc_lo
	s_branch .LBB112_594
.LBB112_593:
	s_mov_b32 s19, -1
                                        ; implicit-def: $vgpr2_vgpr3
.LBB112_594:
	s_mov_b32 s1, 0
.LBB112_595:
	s_delay_alu instid0(SALU_CYCLE_1)
	s_and_b32 vcc_lo, exec_lo, s1
	s_cbranch_vccz .LBB112_644
; %bb.596:
	v_cmp_gt_i16_e32 vcc_lo, 5, v12
	s_cbranch_vccnz .LBB112_601
; %bb.597:
	v_cmp_gt_i16_e32 vcc_lo, 8, v12
	s_cbranch_vccnz .LBB112_602
	;; [unrolled: 3-line block ×3, first 2 shown]
; %bb.599:
	v_cmp_lt_i16_e32 vcc_lo, 9, v12
	s_cbranch_vccz .LBB112_604
; %bb.600:
	global_load_b64 v[2:3], v[0:1], off
	s_mov_b32 s0, 0
	s_branch .LBB112_605
.LBB112_601:
	s_mov_b32 s0, -1
                                        ; implicit-def: $vgpr2_vgpr3
	s_branch .LBB112_623
.LBB112_602:
	s_mov_b32 s0, -1
                                        ; implicit-def: $vgpr2_vgpr3
	s_branch .LBB112_611
.LBB112_603:
	s_mov_b32 s0, -1
                                        ; implicit-def: $vgpr2_vgpr3
	s_branch .LBB112_608
.LBB112_604:
	s_mov_b32 s0, -1
                                        ; implicit-def: $vgpr2_vgpr3
.LBB112_605:
	s_delay_alu instid0(SALU_CYCLE_1)
	s_and_not1_b32 vcc_lo, exec_lo, s0
	s_cbranch_vccnz .LBB112_607
; %bb.606:
	global_load_b32 v2, v[0:1], off
	s_waitcnt vmcnt(0)
	v_cvt_f64_f32_e32 v[2:3], v2
.LBB112_607:
	s_mov_b32 s0, 0
.LBB112_608:
	s_delay_alu instid0(SALU_CYCLE_1)
	s_and_not1_b32 vcc_lo, exec_lo, s0
	s_cbranch_vccnz .LBB112_610
; %bb.609:
	global_load_b32 v2, v[0:1], off
	s_waitcnt vmcnt(0)
	v_cvt_f32_f16_e32 v2, v2
	s_delay_alu instid0(VALU_DEP_1)
	v_cvt_f64_f32_e32 v[2:3], v2
.LBB112_610:
	s_mov_b32 s0, 0
.LBB112_611:
	s_delay_alu instid0(SALU_CYCLE_1)
	s_and_not1_b32 vcc_lo, exec_lo, s0
	s_cbranch_vccnz .LBB112_622
; %bb.612:
	v_cmp_gt_i16_e32 vcc_lo, 6, v12
	s_cbranch_vccnz .LBB112_615
; %bb.613:
	v_cmp_lt_i16_e32 vcc_lo, 6, v12
	s_cbranch_vccz .LBB112_616
; %bb.614:
	global_load_b64 v[2:3], v[0:1], off
	s_mov_b32 s0, 0
	s_branch .LBB112_617
.LBB112_615:
	s_mov_b32 s0, -1
                                        ; implicit-def: $vgpr2_vgpr3
	s_branch .LBB112_620
.LBB112_616:
	s_mov_b32 s0, -1
                                        ; implicit-def: $vgpr2_vgpr3
.LBB112_617:
	s_delay_alu instid0(SALU_CYCLE_1)
	s_and_not1_b32 vcc_lo, exec_lo, s0
	s_cbranch_vccnz .LBB112_619
; %bb.618:
	global_load_b32 v2, v[0:1], off
	s_waitcnt vmcnt(0)
	v_cvt_f64_f32_e32 v[2:3], v2
.LBB112_619:
	s_mov_b32 s0, 0
.LBB112_620:
	s_delay_alu instid0(SALU_CYCLE_1)
	s_and_not1_b32 vcc_lo, exec_lo, s0
	s_cbranch_vccnz .LBB112_622
; %bb.621:
	global_load_u16 v2, v[0:1], off
	s_waitcnt vmcnt(0)
	v_cvt_f32_f16_e32 v2, v2
	s_delay_alu instid0(VALU_DEP_1)
	v_cvt_f64_f32_e32 v[2:3], v2
.LBB112_622:
	s_mov_b32 s0, 0
.LBB112_623:
	s_delay_alu instid0(SALU_CYCLE_1)
	s_and_not1_b32 vcc_lo, exec_lo, s0
	s_cbranch_vccnz .LBB112_643
; %bb.624:
	v_cmp_gt_i16_e32 vcc_lo, 2, v12
	s_cbranch_vccnz .LBB112_628
; %bb.625:
	v_cmp_gt_i16_e32 vcc_lo, 3, v12
	s_cbranch_vccnz .LBB112_629
; %bb.626:
	v_cmp_lt_i16_e32 vcc_lo, 3, v12
	s_cbranch_vccz .LBB112_630
; %bb.627:
	global_load_b64 v[2:3], v[0:1], off
	s_mov_b32 s0, 0
	s_waitcnt vmcnt(0)
	v_cvt_f64_i32_e32 v[3:4], v3
	v_cvt_f64_u32_e32 v[5:6], v2
	s_delay_alu instid0(VALU_DEP_2) | instskip(NEXT) | instid1(VALU_DEP_1)
	v_ldexp_f64 v[3:4], v[3:4], 32
	v_add_f64 v[2:3], v[3:4], v[5:6]
	s_branch .LBB112_631
.LBB112_628:
	s_mov_b32 s0, -1
                                        ; implicit-def: $vgpr2_vgpr3
	s_branch .LBB112_637
.LBB112_629:
	s_mov_b32 s0, -1
                                        ; implicit-def: $vgpr2_vgpr3
	s_branch .LBB112_634
.LBB112_630:
	s_mov_b32 s0, -1
                                        ; implicit-def: $vgpr2_vgpr3
.LBB112_631:
	s_delay_alu instid0(SALU_CYCLE_1)
	s_and_not1_b32 vcc_lo, exec_lo, s0
	s_cbranch_vccnz .LBB112_633
; %bb.632:
	global_load_b32 v2, v[0:1], off
	s_waitcnt vmcnt(0)
	v_cvt_f64_i32_e32 v[2:3], v2
.LBB112_633:
	s_mov_b32 s0, 0
.LBB112_634:
	s_delay_alu instid0(SALU_CYCLE_1)
	s_and_not1_b32 vcc_lo, exec_lo, s0
	s_cbranch_vccnz .LBB112_636
; %bb.635:
	global_load_i16 v2, v[0:1], off
	s_waitcnt vmcnt(0)
	v_cvt_f64_i32_e32 v[2:3], v2
.LBB112_636:
	s_mov_b32 s0, 0
.LBB112_637:
	s_delay_alu instid0(SALU_CYCLE_1)
	s_and_not1_b32 vcc_lo, exec_lo, s0
	s_cbranch_vccnz .LBB112_643
; %bb.638:
	v_cmp_lt_i16_e32 vcc_lo, 0, v12
	s_mov_b32 s0, 0
	s_cbranch_vccz .LBB112_640
; %bb.639:
	global_load_i8 v2, v[0:1], off
	s_waitcnt vmcnt(0)
	v_cvt_f64_i32_e32 v[2:3], v2
	s_branch .LBB112_641
.LBB112_640:
	s_mov_b32 s0, -1
                                        ; implicit-def: $vgpr2_vgpr3
.LBB112_641:
	s_delay_alu instid0(SALU_CYCLE_1)
	s_and_not1_b32 vcc_lo, exec_lo, s0
	s_cbranch_vccnz .LBB112_643
; %bb.642:
	global_load_u8 v0, v[0:1], off
	s_waitcnt vmcnt(0)
	v_cvt_f64_u32_e32 v[2:3], v0
.LBB112_643:
	s_mov_b32 s0, -1
.LBB112_644:
	s_delay_alu instid0(SALU_CYCLE_1)
	s_and_not1_b32 vcc_lo, exec_lo, s0
	s_cbranch_vccnz .LBB112_652
; %bb.645:
	s_mov_b32 s0, 0x652b82fe
	s_mov_b32 s1, 0x3ff71547
	;; [unrolled: 1-line block ×3, first 2 shown]
	s_waitcnt vmcnt(0)
	s_delay_alu instid0(VALU_DEP_1)
	v_mul_f64 v[0:1], v[2:3], s[0:1]
	s_mov_b32 s1, 0xbfe62e42
	s_mov_b32 s0, 0xfefa39ef
	;; [unrolled: 1-line block ×5, first 2 shown]
	s_delay_alu instid0(VALU_DEP_1) | instskip(NEXT) | instid1(VALU_DEP_1)
	v_rndne_f64_e32 v[0:1], v[0:1]
	v_fma_f64 v[4:5], v[0:1], s[0:1], v[2:3]
	v_cvt_i32_f64_e32 v8, v[0:1]
	v_cmp_eq_f64_e32 vcc_lo, 0x40900000, v[0:1]
	s_mov_b32 s1, 0x40862e42
	s_delay_alu instid0(SALU_CYCLE_1) | instskip(SKIP_2) | instid1(VALU_DEP_1)
	v_cmp_nlt_f64_e64 s0, s[0:1], v[2:3]
	v_cmp_ngt_f64_e64 s1, 0xc0428000, v[2:3]
	v_mul_lo_u32 v2, v11, s8
	v_ashrrev_i32_e32 v3, 31, v2
	v_fma_f64 v[4:5], v[0:1], s[20:21], v[4:5]
	s_mov_b32 s20, 0x2a1b768b
	s_mov_b32 s21, 0x3e5af4eb
	v_cndmask_b32_e64 v0, v8, 0x3ff, vcc_lo
	s_delay_alu instid0(VALU_DEP_1) | instskip(NEXT) | instid1(VALU_DEP_3)
	v_ldexp_f64 v[0:1], 1.0, v0
	v_fma_f64 v[6:7], v[4:5], s[22:23], s[20:21]
	s_mov_b32 s20, 0xe0ac05b
	s_mov_b32 s21, 0x3e927e50
	s_delay_alu instid0(VALU_DEP_2) | instskip(NEXT) | instid1(VALU_DEP_2)
	v_add_f64 v[8:9], v[0:1], -1.0
	v_fma_f64 v[6:7], v[4:5], v[6:7], s[20:21]
	s_mov_b32 s20, 0x1b889c29
	s_mov_b32 s21, 0x3ec71de0
	s_delay_alu instid0(VALU_DEP_1) | instid1(SALU_CYCLE_1)
	v_fma_f64 v[6:7], v[4:5], v[6:7], s[20:21]
	s_mov_b32 s20, 0x197bcfd8
	s_mov_b32 s21, 0x3efa01a0
	s_delay_alu instid0(VALU_DEP_1) | instid1(SALU_CYCLE_1)
	;; [unrolled: 4-line block ×7, first 2 shown]
	v_fma_f64 v[6:7], v[4:5], v[6:7], s[20:21]
	s_mov_b32 s20, 0
	s_mov_b32 s21, -1
	s_delay_alu instid0(VALU_DEP_1) | instskip(NEXT) | instid1(VALU_DEP_1)
	v_fma_f64 v[6:7], v[4:5], v[6:7], 0.5
	v_mul_f64 v[6:7], v[4:5], v[6:7]
	s_delay_alu instid0(VALU_DEP_1) | instskip(SKIP_1) | instid1(VALU_DEP_1)
	v_fma_f64 v[4:5], v[4:5], v[6:7], v[4:5]
	v_and_b32_e32 v6, 0xff, v10
	v_cmp_gt_i16_e64 s2, 11, v6
	s_delay_alu instid0(VALU_DEP_3) | instskip(NEXT) | instid1(VALU_DEP_1)
	v_fma_f64 v[0:1], v[0:1], v[4:5], v[8:9]
	v_add_f64 v[4:5], v[0:1], v[0:1]
	s_delay_alu instid0(VALU_DEP_1) | instskip(SKIP_2) | instid1(VALU_DEP_3)
	v_dual_cndmask_b32 v1, v1, v5 :: v_dual_cndmask_b32 v0, v0, v4
	v_add_co_u32 v4, vcc_lo, s4, v2
	v_add_co_ci_u32_e32 v5, vcc_lo, s5, v3, vcc_lo
	v_cndmask_b32_e64 v1, 0x7ff00000, v1, s0
	s_and_b32 vcc_lo, s1, s0
	s_mov_b32 s0, s16
	v_cndmask_b32_e32 v0, 0, v0, vcc_lo
	s_and_b32 vcc_lo, exec_lo, s2
	v_cndmask_b32_e64 v1, 0xbff00000, v1, s1
	s_cbranch_vccnz .LBB112_653
; %bb.646:
	v_cmp_lt_i16_e32 vcc_lo, 25, v6
	s_cbranch_vccz .LBB112_694
; %bb.647:
	v_cmp_lt_i16_e32 vcc_lo, 28, v6
	s_cbranch_vccz .LBB112_695
	;; [unrolled: 3-line block ×4, first 2 shown]
; %bb.650:
	v_cmp_eq_u16_e32 vcc_lo, 46, v6
	s_mov_b32 s1, 0
	s_mov_b32 s0, -1
	s_cbranch_vccz .LBB112_698
; %bb.651:
	v_cvt_f32_f64_e32 v2, v[0:1]
	s_mov_b32 s20, -1
	s_mov_b32 s0, 0
	s_delay_alu instid0(VALU_DEP_1) | instskip(SKIP_1) | instid1(VALU_DEP_2)
	v_bfe_u32 v3, v2, 16, 1
	v_cmp_o_f32_e32 vcc_lo, v2, v2
	v_add3_u32 v3, v2, v3, 0x7fff
	s_delay_alu instid0(VALU_DEP_1) | instskip(NEXT) | instid1(VALU_DEP_1)
	v_lshrrev_b32_e32 v3, 16, v3
	v_cndmask_b32_e32 v2, 0x7fc0, v3, vcc_lo
	global_store_b32 v[4:5], v2, off
	s_branch .LBB112_698
.LBB112_652:
	s_mov_b32 s1, 0
	s_mov_b32 s0, s16
	s_branch .LBB112_693
.LBB112_653:
	s_and_b32 vcc_lo, exec_lo, s21
	s_cbranch_vccz .LBB112_767
; %bb.654:
	v_cmp_gt_i16_e32 vcc_lo, 5, v6
	s_mov_b32 s1, -1
	s_cbranch_vccnz .LBB112_675
; %bb.655:
	v_cmp_gt_i16_e32 vcc_lo, 8, v6
	s_cbranch_vccnz .LBB112_665
; %bb.656:
	v_cmp_gt_i16_e32 vcc_lo, 9, v6
	s_cbranch_vccnz .LBB112_662
; %bb.657:
	v_cmp_lt_i16_e32 vcc_lo, 9, v6
	s_cbranch_vccz .LBB112_659
; %bb.658:
	v_mov_b32_e32 v2, 0
	s_mov_b32 s1, 0
	s_delay_alu instid0(VALU_DEP_1)
	v_mov_b32_e32 v3, v2
	global_store_b128 v[4:5], v[0:3], off
.LBB112_659:
	s_and_not1_b32 vcc_lo, exec_lo, s1
	s_cbranch_vccnz .LBB112_661
; %bb.660:
	v_cvt_f32_f64_e32 v2, v[0:1]
	v_mov_b32_e32 v3, 0
	global_store_b64 v[4:5], v[2:3], off
.LBB112_661:
	s_mov_b32 s1, 0
.LBB112_662:
	s_delay_alu instid0(SALU_CYCLE_1)
	s_and_not1_b32 vcc_lo, exec_lo, s1
	s_cbranch_vccnz .LBB112_664
; %bb.663:
	v_cvt_f32_f64_e32 v2, v[0:1]
	s_delay_alu instid0(VALU_DEP_1) | instskip(NEXT) | instid1(VALU_DEP_1)
	v_cvt_f16_f32_e32 v2, v2
	v_and_b32_e32 v2, 0xffff, v2
	global_store_b32 v[4:5], v2, off
.LBB112_664:
	s_mov_b32 s1, 0
.LBB112_665:
	s_delay_alu instid0(SALU_CYCLE_1)
	s_and_not1_b32 vcc_lo, exec_lo, s1
	s_cbranch_vccnz .LBB112_674
; %bb.666:
	v_cmp_gt_i16_e32 vcc_lo, 6, v6
	s_mov_b32 s1, -1
	s_cbranch_vccnz .LBB112_672
; %bb.667:
	v_cmp_lt_i16_e32 vcc_lo, 6, v6
	s_cbranch_vccz .LBB112_669
; %bb.668:
	s_mov_b32 s1, 0
	global_store_b64 v[4:5], v[0:1], off
.LBB112_669:
	s_and_not1_b32 vcc_lo, exec_lo, s1
	s_cbranch_vccnz .LBB112_671
; %bb.670:
	v_cvt_f32_f64_e32 v2, v[0:1]
	global_store_b32 v[4:5], v2, off
.LBB112_671:
	s_mov_b32 s1, 0
.LBB112_672:
	s_delay_alu instid0(SALU_CYCLE_1)
	s_and_not1_b32 vcc_lo, exec_lo, s1
	s_cbranch_vccnz .LBB112_674
; %bb.673:
	v_cvt_f32_f64_e32 v2, v[0:1]
	s_delay_alu instid0(VALU_DEP_1)
	v_cvt_f16_f32_e32 v2, v2
	global_store_b16 v[4:5], v2, off
.LBB112_674:
	s_mov_b32 s1, 0
.LBB112_675:
	s_delay_alu instid0(SALU_CYCLE_1)
	s_and_not1_b32 vcc_lo, exec_lo, s1
	s_cbranch_vccnz .LBB112_691
; %bb.676:
	v_cmp_gt_i16_e32 vcc_lo, 2, v6
	s_mov_b32 s1, -1
	s_cbranch_vccnz .LBB112_686
; %bb.677:
	v_cmp_gt_i16_e32 vcc_lo, 3, v6
	s_cbranch_vccnz .LBB112_683
; %bb.678:
	v_cmp_lt_i16_e32 vcc_lo, 3, v6
	s_cbranch_vccz .LBB112_680
; %bb.679:
	v_trunc_f64_e32 v[2:3], v[0:1]
	s_mov_b32 s1, 0
	s_delay_alu instid0(VALU_DEP_1) | instskip(NEXT) | instid1(VALU_DEP_1)
	v_ldexp_f64 v[7:8], v[2:3], 0xffffffe0
	v_floor_f64_e32 v[7:8], v[7:8]
	s_delay_alu instid0(VALU_DEP_1) | instskip(SKIP_1) | instid1(VALU_DEP_2)
	v_fma_f64 v[2:3], 0xc1f00000, v[7:8], v[2:3]
	v_cvt_i32_f64_e32 v8, v[7:8]
	v_cvt_u32_f64_e32 v7, v[2:3]
	global_store_b64 v[4:5], v[7:8], off
.LBB112_680:
	s_and_not1_b32 vcc_lo, exec_lo, s1
	s_cbranch_vccnz .LBB112_682
; %bb.681:
	v_cvt_i32_f64_e32 v2, v[0:1]
	global_store_b32 v[4:5], v2, off
.LBB112_682:
	s_mov_b32 s1, 0
.LBB112_683:
	s_delay_alu instid0(SALU_CYCLE_1)
	s_and_not1_b32 vcc_lo, exec_lo, s1
	s_cbranch_vccnz .LBB112_685
; %bb.684:
	v_cvt_i32_f64_e32 v2, v[0:1]
	global_store_b16 v[4:5], v2, off
.LBB112_685:
	s_mov_b32 s1, 0
.LBB112_686:
	s_delay_alu instid0(SALU_CYCLE_1)
	s_and_not1_b32 vcc_lo, exec_lo, s1
	s_cbranch_vccnz .LBB112_691
; %bb.687:
	v_cmp_lt_i16_e32 vcc_lo, 0, v6
	s_mov_b32 s1, -1
	s_cbranch_vccz .LBB112_689
; %bb.688:
	v_cvt_i32_f64_e32 v2, v[0:1]
	s_mov_b32 s1, 0
	global_store_b8 v[4:5], v2, off
.LBB112_689:
	s_and_not1_b32 vcc_lo, exec_lo, s1
	s_cbranch_vccnz .LBB112_691
; %bb.690:
	v_trunc_f64_e32 v[0:1], v[0:1]
	s_delay_alu instid0(VALU_DEP_1) | instskip(NEXT) | instid1(VALU_DEP_1)
	v_ldexp_f64 v[2:3], v[0:1], 0xffffffe0
	v_floor_f64_e32 v[2:3], v[2:3]
	s_delay_alu instid0(VALU_DEP_1) | instskip(NEXT) | instid1(VALU_DEP_1)
	v_fma_f64 v[0:1], 0xc1f00000, v[2:3], v[0:1]
	v_cvt_u32_f64_e32 v0, v[0:1]
	global_store_b8 v[4:5], v0, off
.LBB112_691:
	s_branch .LBB112_768
.LBB112_692:
	s_mov_b32 s1, 0
.LBB112_693:
                                        ; implicit-def: $vgpr11
	s_branch .LBB112_769
.LBB112_694:
	s_mov_b32 s1, -1
	s_mov_b32 s0, s16
	s_branch .LBB112_725
.LBB112_695:
	s_mov_b32 s1, -1
	s_mov_b32 s0, s16
	s_branch .LBB112_708
.LBB112_696:
	s_mov_b32 s1, -1
	s_mov_b32 s0, s16
	s_branch .LBB112_704
.LBB112_697:
	s_mov_b32 s1, -1
	s_mov_b32 s0, s16
.LBB112_698:
	s_and_b32 vcc_lo, exec_lo, s1
	s_cbranch_vccz .LBB112_703
; %bb.699:
	v_cmp_eq_u16_e32 vcc_lo, 44, v6
	s_mov_b32 s0, -1
	s_cbranch_vccz .LBB112_703
; %bb.700:
	v_cvt_f32_f64_e32 v2, v[0:1]
	v_mov_b32_e32 v3, 0xff
	s_mov_b32 s1, exec_lo
	s_delay_alu instid0(VALU_DEP_2) | instskip(NEXT) | instid1(VALU_DEP_1)
	v_bfe_u32 v7, v2, 23, 8
	v_cmpx_ne_u32_e32 0xff, v7
; %bb.701:
	v_and_b32_e32 v3, 0x400000, v2
	v_and_or_b32 v7, 0x3fffff, v2, v7
	v_lshrrev_b32_e32 v2, 23, v2
	s_delay_alu instid0(VALU_DEP_3) | instskip(NEXT) | instid1(VALU_DEP_3)
	v_cmp_ne_u32_e32 vcc_lo, 0, v3
	v_cmp_ne_u32_e64 s0, 0, v7
	s_delay_alu instid0(VALU_DEP_1) | instskip(NEXT) | instid1(SALU_CYCLE_1)
	s_and_b32 s0, vcc_lo, s0
	v_cndmask_b32_e64 v3, 0, 1, s0
	s_delay_alu instid0(VALU_DEP_1)
	v_add_nc_u32_e32 v3, v2, v3
; %bb.702:
	s_or_b32 exec_lo, exec_lo, s1
	s_mov_b32 s20, -1
	s_mov_b32 s0, 0
	global_store_b8 v[4:5], v3, off
.LBB112_703:
	s_mov_b32 s1, 0
.LBB112_704:
	s_delay_alu instid0(SALU_CYCLE_1)
	s_and_b32 vcc_lo, exec_lo, s1
	s_cbranch_vccz .LBB112_707
; %bb.705:
	v_cmp_eq_u16_e32 vcc_lo, 29, v6
	s_mov_b32 s0, -1
	s_cbranch_vccz .LBB112_707
; %bb.706:
	v_trunc_f64_e32 v[2:3], v[0:1]
	s_mov_b32 s20, -1
	s_mov_b32 s0, 0
	s_mov_b32 s1, 0
	s_delay_alu instid0(VALU_DEP_1) | instskip(NEXT) | instid1(VALU_DEP_1)
	v_ldexp_f64 v[7:8], v[2:3], 0xffffffe0
	v_floor_f64_e32 v[7:8], v[7:8]
	s_delay_alu instid0(VALU_DEP_1) | instskip(SKIP_1) | instid1(VALU_DEP_2)
	v_fma_f64 v[2:3], 0xc1f00000, v[7:8], v[2:3]
	v_cvt_u32_f64_e32 v8, v[7:8]
	v_cvt_u32_f64_e32 v7, v[2:3]
	global_store_b64 v[4:5], v[7:8], off
	s_branch .LBB112_708
.LBB112_707:
	s_mov_b32 s1, 0
.LBB112_708:
	s_delay_alu instid0(SALU_CYCLE_1)
	s_and_b32 vcc_lo, exec_lo, s1
	s_cbranch_vccz .LBB112_724
; %bb.709:
	v_cmp_gt_i16_e32 vcc_lo, 27, v6
	s_mov_b32 s1, -1
	s_cbranch_vccnz .LBB112_715
; %bb.710:
	v_cmp_lt_i16_e32 vcc_lo, 27, v6
	s_cbranch_vccz .LBB112_712
; %bb.711:
	v_cvt_u32_f64_e32 v2, v[0:1]
	s_mov_b32 s1, 0
	global_store_b32 v[4:5], v2, off
.LBB112_712:
	s_and_not1_b32 vcc_lo, exec_lo, s1
	s_cbranch_vccnz .LBB112_714
; %bb.713:
	v_cvt_u32_f64_e32 v2, v[0:1]
	global_store_b16 v[4:5], v2, off
.LBB112_714:
	s_mov_b32 s1, 0
.LBB112_715:
	s_delay_alu instid0(SALU_CYCLE_1)
	s_and_not1_b32 vcc_lo, exec_lo, s1
	s_cbranch_vccnz .LBB112_723
; %bb.716:
	v_cvt_f32_f64_e32 v2, v[0:1]
	v_mov_b32_e32 v7, 0x80
	s_mov_b32 s1, exec_lo
	s_delay_alu instid0(VALU_DEP_2) | instskip(NEXT) | instid1(VALU_DEP_1)
	v_and_b32_e32 v3, 0x7fffffff, v2
	v_cmpx_gt_u32_e32 0x43800000, v3
	s_cbranch_execz .LBB112_722
; %bb.717:
	v_cmp_lt_u32_e32 vcc_lo, 0x3bffffff, v3
	s_mov_b32 s2, 0
                                        ; implicit-def: $vgpr3
	s_and_saveexec_b32 s20, vcc_lo
	s_delay_alu instid0(SALU_CYCLE_1)
	s_xor_b32 s20, exec_lo, s20
	s_cbranch_execz .LBB112_783
; %bb.718:
	v_bfe_u32 v3, v2, 20, 1
	s_mov_b32 s2, exec_lo
	s_delay_alu instid0(VALU_DEP_1) | instskip(NEXT) | instid1(VALU_DEP_1)
	v_add3_u32 v3, v2, v3, 0x487ffff
	v_lshrrev_b32_e32 v3, 20, v3
	s_or_saveexec_b32 s20, s20
                                        ; implicit-def: $sgpr21
	s_delay_alu instid0(SALU_CYCLE_1)
	s_xor_b32 exec_lo, exec_lo, s20
	s_cbranch_execnz .LBB112_784
.LBB112_719:
	s_or_b32 exec_lo, exec_lo, s20
	v_mov_b32_e32 v7, s21
	s_and_saveexec_b32 s20, s2
.LBB112_720:
	v_lshrrev_b32_e32 v2, 24, v2
	s_delay_alu instid0(VALU_DEP_1)
	v_and_or_b32 v7, 0x80, v2, v3
.LBB112_721:
	s_or_b32 exec_lo, exec_lo, s20
.LBB112_722:
	s_delay_alu instid0(SALU_CYCLE_1)
	s_or_b32 exec_lo, exec_lo, s1
	global_store_b8 v[4:5], v7, off
.LBB112_723:
	s_mov_b32 s20, -1
.LBB112_724:
	s_mov_b32 s1, 0
.LBB112_725:
	s_delay_alu instid0(SALU_CYCLE_1)
	s_and_b32 vcc_lo, exec_lo, s1
	s_cbranch_vccz .LBB112_766
; %bb.726:
	v_cmp_lt_i16_e32 vcc_lo, 22, v6
	s_mov_b32 s1, -1
	s_cbranch_vccz .LBB112_758
; %bb.727:
	v_cmp_gt_i16_e32 vcc_lo, 24, v6
	s_cbranch_vccnz .LBB112_747
; %bb.728:
	v_cmp_lt_i16_e32 vcc_lo, 24, v6
	s_cbranch_vccz .LBB112_736
; %bb.729:
	v_cvt_f32_f64_e32 v2, v[0:1]
	v_mov_b32_e32 v7, 0x80
	s_mov_b32 s1, exec_lo
	s_delay_alu instid0(VALU_DEP_2) | instskip(NEXT) | instid1(VALU_DEP_1)
	v_and_b32_e32 v3, 0x7fffffff, v2
	v_cmpx_gt_u32_e32 0x47800000, v3
	s_cbranch_execz .LBB112_735
; %bb.730:
	v_cmp_lt_u32_e32 vcc_lo, 0x37ffffff, v3
	s_mov_b32 s2, 0
                                        ; implicit-def: $vgpr3
	s_and_saveexec_b32 s20, vcc_lo
	s_delay_alu instid0(SALU_CYCLE_1)
	s_xor_b32 s20, exec_lo, s20
	s_cbranch_execz .LBB112_786
; %bb.731:
	v_bfe_u32 v3, v2, 21, 1
	s_mov_b32 s2, exec_lo
	s_delay_alu instid0(VALU_DEP_1) | instskip(NEXT) | instid1(VALU_DEP_1)
	v_add3_u32 v3, v2, v3, 0x88fffff
	v_lshrrev_b32_e32 v3, 21, v3
	s_or_saveexec_b32 s20, s20
                                        ; implicit-def: $sgpr21
	s_delay_alu instid0(SALU_CYCLE_1)
	s_xor_b32 exec_lo, exec_lo, s20
	s_cbranch_execnz .LBB112_787
.LBB112_732:
	s_or_b32 exec_lo, exec_lo, s20
	v_mov_b32_e32 v7, s21
	s_and_saveexec_b32 s20, s2
.LBB112_733:
	v_lshrrev_b32_e32 v2, 24, v2
	s_delay_alu instid0(VALU_DEP_1)
	v_and_or_b32 v7, 0x80, v2, v3
.LBB112_734:
	s_or_b32 exec_lo, exec_lo, s20
.LBB112_735:
	s_delay_alu instid0(SALU_CYCLE_1)
	s_or_b32 exec_lo, exec_lo, s1
	s_mov_b32 s1, 0
	global_store_b8 v[4:5], v7, off
.LBB112_736:
	s_and_b32 vcc_lo, exec_lo, s1
	s_cbranch_vccz .LBB112_746
; %bb.737:
	v_cvt_f32_f64_e32 v2, v[0:1]
	s_mov_b32 s1, exec_lo
                                        ; implicit-def: $vgpr3
	s_delay_alu instid0(VALU_DEP_1) | instskip(NEXT) | instid1(VALU_DEP_1)
	v_and_b32_e32 v7, 0x7fffffff, v2
	v_cmpx_gt_u32_e32 0x43f00000, v7
	s_xor_b32 s1, exec_lo, s1
	s_cbranch_execz .LBB112_743
; %bb.738:
	s_mov_b32 s2, exec_lo
                                        ; implicit-def: $vgpr3
	v_cmpx_lt_u32_e32 0x3c7fffff, v7
	s_xor_b32 s2, exec_lo, s2
; %bb.739:
	v_bfe_u32 v3, v2, 20, 1
	s_delay_alu instid0(VALU_DEP_1) | instskip(NEXT) | instid1(VALU_DEP_1)
	v_add3_u32 v3, v2, v3, 0x407ffff
	v_and_b32_e32 v7, 0xff00000, v3
	v_lshrrev_b32_e32 v3, 20, v3
	s_delay_alu instid0(VALU_DEP_2) | instskip(NEXT) | instid1(VALU_DEP_2)
	v_cmp_ne_u32_e32 vcc_lo, 0x7f00000, v7
	v_cndmask_b32_e32 v3, 0x7e, v3, vcc_lo
; %bb.740:
	s_and_not1_saveexec_b32 s2, s2
; %bb.741:
	v_add_f32_e64 v3, 0x46800000, |v2|
; %bb.742:
	s_or_b32 exec_lo, exec_lo, s2
                                        ; implicit-def: $vgpr7
.LBB112_743:
	s_and_not1_saveexec_b32 s1, s1
; %bb.744:
	v_mov_b32_e32 v3, 0x7f
	v_cmp_lt_u32_e32 vcc_lo, 0x7f800000, v7
	s_delay_alu instid0(VALU_DEP_2)
	v_cndmask_b32_e32 v3, 0x7e, v3, vcc_lo
; %bb.745:
	s_or_b32 exec_lo, exec_lo, s1
	v_lshrrev_b32_e32 v2, 24, v2
	s_delay_alu instid0(VALU_DEP_1)
	v_and_or_b32 v2, 0x80, v2, v3
	global_store_b8 v[4:5], v2, off
.LBB112_746:
	s_mov_b32 s1, 0
.LBB112_747:
	s_delay_alu instid0(SALU_CYCLE_1)
	s_and_not1_b32 vcc_lo, exec_lo, s1
	s_cbranch_vccnz .LBB112_757
; %bb.748:
	v_cvt_f32_f64_e32 v2, v[0:1]
	s_mov_b32 s1, exec_lo
                                        ; implicit-def: $vgpr3
	s_delay_alu instid0(VALU_DEP_1) | instskip(NEXT) | instid1(VALU_DEP_1)
	v_and_b32_e32 v7, 0x7fffffff, v2
	v_cmpx_gt_u32_e32 0x47800000, v7
	s_xor_b32 s1, exec_lo, s1
	s_cbranch_execz .LBB112_754
; %bb.749:
	s_mov_b32 s2, exec_lo
                                        ; implicit-def: $vgpr3
	v_cmpx_lt_u32_e32 0x387fffff, v7
	s_xor_b32 s2, exec_lo, s2
; %bb.750:
	v_bfe_u32 v3, v2, 21, 1
	s_delay_alu instid0(VALU_DEP_1) | instskip(NEXT) | instid1(VALU_DEP_1)
	v_add3_u32 v3, v2, v3, 0x80fffff
	v_lshrrev_b32_e32 v3, 21, v3
; %bb.751:
	s_and_not1_saveexec_b32 s2, s2
; %bb.752:
	v_add_f32_e64 v3, 0x43000000, |v2|
; %bb.753:
	s_or_b32 exec_lo, exec_lo, s2
                                        ; implicit-def: $vgpr7
.LBB112_754:
	s_and_not1_saveexec_b32 s1, s1
; %bb.755:
	v_mov_b32_e32 v3, 0x7f
	v_cmp_lt_u32_e32 vcc_lo, 0x7f800000, v7
	s_delay_alu instid0(VALU_DEP_2)
	v_cndmask_b32_e32 v3, 0x7c, v3, vcc_lo
; %bb.756:
	s_or_b32 exec_lo, exec_lo, s1
	v_lshrrev_b32_e32 v2, 24, v2
	s_delay_alu instid0(VALU_DEP_1)
	v_and_or_b32 v2, 0x80, v2, v3
	global_store_b8 v[4:5], v2, off
.LBB112_757:
	s_mov_b32 s1, 0
	s_mov_b32 s20, -1
.LBB112_758:
	s_and_not1_b32 vcc_lo, exec_lo, s1
	s_cbranch_vccnz .LBB112_766
; %bb.759:
	v_cmp_lt_i16_e32 vcc_lo, 14, v6
	s_mov_b32 s1, -1
	s_cbranch_vccz .LBB112_763
; %bb.760:
	v_cmp_eq_u16_e32 vcc_lo, 15, v6
	s_mov_b32 s0, -1
	s_cbranch_vccz .LBB112_762
; %bb.761:
	v_cvt_f32_f64_e32 v2, v[0:1]
	s_mov_b32 s20, -1
	s_mov_b32 s0, 0
	s_delay_alu instid0(VALU_DEP_1) | instskip(SKIP_1) | instid1(VALU_DEP_2)
	v_bfe_u32 v3, v2, 16, 1
	v_cmp_o_f32_e32 vcc_lo, v2, v2
	v_add3_u32 v3, v2, v3, 0x7fff
	s_delay_alu instid0(VALU_DEP_1) | instskip(NEXT) | instid1(VALU_DEP_1)
	v_lshrrev_b32_e32 v3, 16, v3
	v_cndmask_b32_e32 v2, 0x7fc0, v3, vcc_lo
	global_store_b16 v[4:5], v2, off
.LBB112_762:
	s_mov_b32 s1, 0
.LBB112_763:
	s_delay_alu instid0(SALU_CYCLE_1)
	s_and_b32 vcc_lo, exec_lo, s1
	s_cbranch_vccz .LBB112_766
; %bb.764:
	v_cmp_eq_u16_e32 vcc_lo, 11, v6
	s_mov_b32 s0, -1
	s_cbranch_vccz .LBB112_766
; %bb.765:
	v_cmp_neq_f64_e32 vcc_lo, 0, v[0:1]
	s_mov_b32 s20, -1
	s_mov_b32 s0, 0
	v_cndmask_b32_e64 v2, 0, 1, vcc_lo
	global_store_b8 v[4:5], v2, off
.LBB112_766:
.LBB112_767:
	s_and_not1_b32 vcc_lo, exec_lo, s20
	s_cbranch_vccnz .LBB112_692
.LBB112_768:
	v_add_nc_u32_e32 v11, 0x80, v11
	s_mov_b32 s1, -1
.LBB112_769:
	s_and_not1_b32 s2, s16, exec_lo
	s_and_b32 s0, s0, exec_lo
	s_and_not1_b32 s20, s15, exec_lo
	s_and_b32 s21, s19, exec_lo
	s_or_b32 s19, s2, s0
	s_or_b32 s2, s20, s21
	s_or_not1_b32 s0, s1, exec_lo
.LBB112_770:
	s_or_b32 exec_lo, exec_lo, s18
	s_mov_b32 s1, 0
	s_mov_b32 s20, 0
	;; [unrolled: 1-line block ×3, first 2 shown]
                                        ; implicit-def: $vgpr0_vgpr1
                                        ; implicit-def: $vgpr2_vgpr3
	s_and_saveexec_b32 s18, s0
	s_cbranch_execz .LBB112_855
; %bb.771:
	v_cmp_gt_i32_e32 vcc_lo, s12, v11
	s_mov_b32 s0, 0
	s_mov_b32 s22, s2
	;; [unrolled: 1-line block ×3, first 2 shown]
                                        ; implicit-def: $vgpr0_vgpr1
                                        ; implicit-def: $vgpr2_vgpr3
	s_and_saveexec_b32 s12, vcc_lo
	s_cbranch_execz .LBB112_854
; %bb.772:
	v_mul_lo_u32 v0, v11, s9
	v_cmp_gt_i16_e32 vcc_lo, 11, v12
	s_delay_alu instid0(VALU_DEP_2) | instskip(SKIP_1) | instid1(VALU_DEP_1)
	v_ashrrev_i32_e32 v1, 31, v0
	v_add_co_u32 v0, s0, s6, v0
	v_add_co_ci_u32_e64 v1, s0, s7, v1, s0
	s_cbranch_vccnz .LBB112_779
; %bb.773:
	v_cmp_lt_i16_e32 vcc_lo, 25, v12
	s_cbranch_vccz .LBB112_780
; %bb.774:
	v_cmp_lt_i16_e32 vcc_lo, 28, v12
	s_cbranch_vccz .LBB112_781
	;; [unrolled: 3-line block ×4, first 2 shown]
; %bb.777:
	v_cmp_eq_u16_e32 vcc_lo, 46, v12
	s_cbranch_vccz .LBB112_788
; %bb.778:
	global_load_b32 v2, v[0:1], off
	s_mov_b32 s0, -1
	s_waitcnt vmcnt(0)
	v_lshlrev_b32_e32 v2, 16, v2
	s_delay_alu instid0(VALU_DEP_1)
	v_cvt_f64_f32_e32 v[2:3], v2
	s_branch .LBB112_790
.LBB112_779:
	s_mov_b32 s1, -1
	s_mov_b32 s0, 0
	s_mov_b32 s20, s2
                                        ; implicit-def: $vgpr2_vgpr3
	s_branch .LBB112_853
.LBB112_780:
	s_mov_b32 s1, -1
	s_mov_b32 s0, 0
	s_mov_b32 s20, s2
                                        ; implicit-def: $vgpr2_vgpr3
	s_branch .LBB112_821
.LBB112_781:
	s_mov_b32 s1, -1
	s_mov_b32 s0, 0
	s_mov_b32 s20, s2
                                        ; implicit-def: $vgpr2_vgpr3
	s_branch .LBB112_800
.LBB112_782:
	s_mov_b32 s1, -1
	s_mov_b32 s0, 0
	s_mov_b32 s20, s2
                                        ; implicit-def: $vgpr2_vgpr3
	s_branch .LBB112_795
.LBB112_783:
	s_or_saveexec_b32 s20, s20
                                        ; implicit-def: $sgpr21
	s_delay_alu instid0(SALU_CYCLE_1)
	s_xor_b32 exec_lo, exec_lo, s20
	s_cbranch_execz .LBB112_719
.LBB112_784:
	v_add_f32_e64 v3, 0x46000000, |v2|
	s_and_not1_b32 s2, s2, exec_lo
	s_mov_b32 s21, 0
	s_delay_alu instid0(VALU_DEP_1) | instskip(NEXT) | instid1(VALU_DEP_1)
	v_and_b32_e32 v3, 0xff, v3
	v_cmp_ne_u32_e32 vcc_lo, 0, v3
	s_and_b32 s22, vcc_lo, exec_lo
	s_delay_alu instid0(SALU_CYCLE_1)
	s_or_b32 s2, s2, s22
	s_or_b32 exec_lo, exec_lo, s20
	v_mov_b32_e32 v7, s21
	s_and_saveexec_b32 s20, s2
	s_cbranch_execnz .LBB112_720
	s_branch .LBB112_721
.LBB112_785:
	s_mov_b32 s1, -1
	s_mov_b32 s0, 0
	s_mov_b32 s20, s2
	s_branch .LBB112_789
.LBB112_786:
	s_or_saveexec_b32 s20, s20
                                        ; implicit-def: $sgpr21
	s_delay_alu instid0(SALU_CYCLE_1)
	s_xor_b32 exec_lo, exec_lo, s20
	s_cbranch_execz .LBB112_732
.LBB112_787:
	v_add_f32_e64 v3, 0x42800000, |v2|
	s_and_not1_b32 s2, s2, exec_lo
	s_mov_b32 s21, 0
	s_delay_alu instid0(VALU_DEP_1) | instskip(NEXT) | instid1(VALU_DEP_1)
	v_and_b32_e32 v3, 0xff, v3
	v_cmp_ne_u32_e32 vcc_lo, 0, v3
	s_and_b32 s22, vcc_lo, exec_lo
	s_delay_alu instid0(SALU_CYCLE_1)
	s_or_b32 s2, s2, s22
	s_or_b32 exec_lo, exec_lo, s20
	v_mov_b32_e32 v7, s21
	s_and_saveexec_b32 s20, s2
	s_cbranch_execnz .LBB112_733
	s_branch .LBB112_734
.LBB112_788:
	s_mov_b32 s20, -1
	s_mov_b32 s0, 0
.LBB112_789:
                                        ; implicit-def: $vgpr2_vgpr3
.LBB112_790:
	s_and_b32 vcc_lo, exec_lo, s1
	s_cbranch_vccz .LBB112_794
; %bb.791:
	v_cmp_eq_u16_e32 vcc_lo, 44, v12
	s_cbranch_vccz .LBB112_793
; %bb.792:
	global_load_u8 v4, v[0:1], off
	s_mov_b32 s20, 0
	s_mov_b32 s0, -1
	s_waitcnt vmcnt(0)
	v_cmp_ne_u32_e32 vcc_lo, 0xff, v4
	v_lshlrev_b32_e32 v2, 23, v4
	s_delay_alu instid0(VALU_DEP_1) | instskip(NEXT) | instid1(VALU_DEP_1)
	v_cvt_f64_f32_e32 v[2:3], v2
	v_cndmask_b32_e32 v3, 0x7ff80000, v3, vcc_lo
	s_delay_alu instid0(VALU_DEP_2) | instskip(SKIP_1) | instid1(VALU_DEP_3)
	v_cndmask_b32_e32 v2, 0x20000000, v2, vcc_lo
	v_cmp_ne_u32_e32 vcc_lo, 0, v4
	v_cndmask_b32_e32 v3, 0x38000000, v3, vcc_lo
	s_delay_alu instid0(VALU_DEP_3)
	v_cndmask_b32_e32 v2, 0, v2, vcc_lo
	s_branch .LBB112_794
.LBB112_793:
	s_mov_b32 s20, -1
                                        ; implicit-def: $vgpr2_vgpr3
.LBB112_794:
	s_mov_b32 s1, 0
.LBB112_795:
	s_delay_alu instid0(SALU_CYCLE_1)
	s_and_b32 vcc_lo, exec_lo, s1
	s_cbranch_vccz .LBB112_799
; %bb.796:
	v_cmp_eq_u16_e32 vcc_lo, 29, v12
	s_cbranch_vccz .LBB112_798
; %bb.797:
	global_load_b64 v[2:3], v[0:1], off
	s_mov_b32 s20, 0
	s_mov_b32 s0, -1
	s_mov_b32 s1, 0
	s_waitcnt vmcnt(0)
	v_cvt_f64_u32_e32 v[3:4], v3
	v_cvt_f64_u32_e32 v[5:6], v2
	s_delay_alu instid0(VALU_DEP_2) | instskip(NEXT) | instid1(VALU_DEP_1)
	v_ldexp_f64 v[3:4], v[3:4], 32
	v_add_f64 v[2:3], v[3:4], v[5:6]
	s_branch .LBB112_800
.LBB112_798:
	s_mov_b32 s20, -1
                                        ; implicit-def: $vgpr2_vgpr3
.LBB112_799:
	s_mov_b32 s1, 0
.LBB112_800:
	s_delay_alu instid0(SALU_CYCLE_1)
	s_and_b32 vcc_lo, exec_lo, s1
	s_cbranch_vccz .LBB112_820
; %bb.801:
	v_cmp_gt_i16_e32 vcc_lo, 27, v12
	s_cbranch_vccnz .LBB112_804
; %bb.802:
	v_cmp_lt_i16_e32 vcc_lo, 27, v12
	s_cbranch_vccz .LBB112_805
; %bb.803:
	global_load_b32 v2, v[0:1], off
	s_mov_b32 s0, 0
	s_waitcnt vmcnt(0)
	v_cvt_f64_u32_e32 v[2:3], v2
	s_branch .LBB112_806
.LBB112_804:
	s_mov_b32 s0, -1
                                        ; implicit-def: $vgpr2_vgpr3
	s_branch .LBB112_809
.LBB112_805:
	s_mov_b32 s0, -1
                                        ; implicit-def: $vgpr2_vgpr3
.LBB112_806:
	s_delay_alu instid0(SALU_CYCLE_1)
	s_and_not1_b32 vcc_lo, exec_lo, s0
	s_cbranch_vccnz .LBB112_808
; %bb.807:
	global_load_u16 v2, v[0:1], off
	s_waitcnt vmcnt(0)
	v_cvt_f64_u32_e32 v[2:3], v2
.LBB112_808:
	s_mov_b32 s0, 0
.LBB112_809:
	s_delay_alu instid0(SALU_CYCLE_1)
	s_and_not1_b32 vcc_lo, exec_lo, s0
	s_cbranch_vccnz .LBB112_819
; %bb.810:
	global_load_u8 v4, v[0:1], off
	s_mov_b32 s22, 0
	s_mov_b32 s23, exec_lo
                                        ; implicit-def: $sgpr0_sgpr1
	s_waitcnt vmcnt(0)
	v_cmpx_lt_i16_e32 0x7f, v4
	s_xor_b32 s23, exec_lo, s23
	s_cbranch_execz .LBB112_814
; %bb.811:
	s_mov_b32 s24, -1
	s_mov_b32 s22, exec_lo
                                        ; implicit-def: $sgpr0_sgpr1
	v_cmpx_eq_u16_e32 0x80, v4
; %bb.812:
	s_mov_b32 s1, 0x7ff80000
	s_brev_b32 s0, 4
	s_xor_b32 s24, exec_lo, -1
; %bb.813:
	s_or_b32 exec_lo, exec_lo, s22
	s_delay_alu instid0(SALU_CYCLE_1)
	s_and_b32 s22, s24, exec_lo
.LBB112_814:
	s_or_saveexec_b32 s23, s23
	v_dual_mov_b32 v3, s1 :: v_dual_mov_b32 v2, s0
	s_xor_b32 exec_lo, exec_lo, s23
; %bb.815:
	v_cmp_ne_u16_e32 vcc_lo, 0, v4
	v_mov_b32_e32 v2, 0
	v_mov_b32_e32 v3, 0
	s_and_not1_b32 s0, s22, exec_lo
	s_and_b32 s1, vcc_lo, exec_lo
	s_delay_alu instid0(SALU_CYCLE_1)
	s_or_b32 s22, s0, s1
; %bb.816:
	s_or_b32 exec_lo, exec_lo, s23
	s_and_saveexec_b32 s0, s22
	s_cbranch_execz .LBB112_818
; %bb.817:
	v_and_b32_e32 v2, 0xffff, v4
	v_lshlrev_b32_e32 v4, 24, v4
	s_delay_alu instid0(VALU_DEP_2) | instskip(NEXT) | instid1(VALU_DEP_2)
	v_and_b32_e32 v3, 7, v2
	v_and_b32_e32 v4, 0x80000000, v4
	s_delay_alu instid0(VALU_DEP_2) | instskip(NEXT) | instid1(VALU_DEP_1)
	v_clz_i32_u32_e32 v5, v3
	v_min_u32_e32 v5, 32, v5
	s_delay_alu instid0(VALU_DEP_1) | instskip(SKIP_1) | instid1(VALU_DEP_2)
	v_subrev_nc_u32_e32 v6, 28, v5
	v_sub_nc_u32_e32 v5, 29, v5
	v_lshlrev_b32_e32 v6, v6, v2
	v_bfe_u32 v2, v2, 3, 4
	s_delay_alu instid0(VALU_DEP_2) | instskip(NEXT) | instid1(VALU_DEP_2)
	v_and_b32_e32 v6, 7, v6
	v_cmp_eq_u32_e32 vcc_lo, 0, v2
	s_delay_alu instid0(VALU_DEP_2) | instskip(NEXT) | instid1(VALU_DEP_1)
	v_dual_cndmask_b32 v2, v2, v5 :: v_dual_cndmask_b32 v3, v3, v6
	v_lshl_add_u32 v2, v2, 23, 0x3b800000
	s_delay_alu instid0(VALU_DEP_2) | instskip(NEXT) | instid1(VALU_DEP_1)
	v_lshlrev_b32_e32 v3, 20, v3
	v_or3_b32 v2, v4, v2, v3
	s_delay_alu instid0(VALU_DEP_1)
	v_cvt_f64_f32_e32 v[2:3], v2
.LBB112_818:
	s_or_b32 exec_lo, exec_lo, s0
.LBB112_819:
	s_mov_b32 s0, -1
.LBB112_820:
	s_mov_b32 s1, 0
.LBB112_821:
	s_delay_alu instid0(SALU_CYCLE_1)
	s_and_b32 vcc_lo, exec_lo, s1
	s_cbranch_vccz .LBB112_852
; %bb.822:
	v_cmp_lt_i16_e32 vcc_lo, 22, v12
	s_cbranch_vccz .LBB112_834
; %bb.823:
	v_cmp_gt_i16_e32 vcc_lo, 24, v12
	s_cbranch_vccnz .LBB112_835
; %bb.824:
	v_cmp_lt_i16_e32 vcc_lo, 24, v12
	s_cbranch_vccz .LBB112_836
; %bb.825:
	global_load_u8 v4, v[0:1], off
	s_mov_b32 s22, exec_lo
                                        ; implicit-def: $sgpr0_sgpr1
	s_waitcnt vmcnt(0)
	v_cmpx_lt_i16_e32 0x7f, v4
	s_xor_b32 s22, exec_lo, s22
	s_cbranch_execz .LBB112_829
; %bb.826:
	s_mov_b32 s23, -1
	s_mov_b32 s21, exec_lo
                                        ; implicit-def: $sgpr0_sgpr1
	v_cmpx_eq_u16_e32 0x80, v4
; %bb.827:
	s_mov_b32 s1, 0x7ff80000
	s_brev_b32 s0, 4
	s_xor_b32 s23, exec_lo, -1
; %bb.828:
	s_or_b32 exec_lo, exec_lo, s21
	s_delay_alu instid0(SALU_CYCLE_1)
	s_and_b32 s21, s23, exec_lo
.LBB112_829:
	s_or_saveexec_b32 s22, s22
	v_dual_mov_b32 v3, s1 :: v_dual_mov_b32 v2, s0
	s_xor_b32 exec_lo, exec_lo, s22
; %bb.830:
	v_cmp_ne_u16_e32 vcc_lo, 0, v4
	v_mov_b32_e32 v2, 0
	v_mov_b32_e32 v3, 0
	s_and_not1_b32 s0, s21, exec_lo
	s_and_b32 s1, vcc_lo, exec_lo
	s_delay_alu instid0(SALU_CYCLE_1)
	s_or_b32 s21, s0, s1
; %bb.831:
	s_or_b32 exec_lo, exec_lo, s22
	s_and_saveexec_b32 s0, s21
	s_cbranch_execz .LBB112_833
; %bb.832:
	v_and_b32_e32 v2, 0xffff, v4
	v_lshlrev_b32_e32 v4, 24, v4
	s_delay_alu instid0(VALU_DEP_2) | instskip(NEXT) | instid1(VALU_DEP_2)
	v_and_b32_e32 v3, 3, v2
	v_and_b32_e32 v4, 0x80000000, v4
	s_delay_alu instid0(VALU_DEP_2) | instskip(NEXT) | instid1(VALU_DEP_1)
	v_clz_i32_u32_e32 v5, v3
	v_min_u32_e32 v5, 32, v5
	s_delay_alu instid0(VALU_DEP_1) | instskip(SKIP_1) | instid1(VALU_DEP_2)
	v_subrev_nc_u32_e32 v6, 29, v5
	v_sub_nc_u32_e32 v5, 30, v5
	v_lshlrev_b32_e32 v6, v6, v2
	v_bfe_u32 v2, v2, 2, 5
	s_delay_alu instid0(VALU_DEP_2) | instskip(NEXT) | instid1(VALU_DEP_2)
	v_and_b32_e32 v6, 3, v6
	v_cmp_eq_u32_e32 vcc_lo, 0, v2
	s_delay_alu instid0(VALU_DEP_2) | instskip(NEXT) | instid1(VALU_DEP_1)
	v_dual_cndmask_b32 v2, v2, v5 :: v_dual_cndmask_b32 v3, v3, v6
	v_lshl_add_u32 v2, v2, 23, 0x37800000
	s_delay_alu instid0(VALU_DEP_2) | instskip(NEXT) | instid1(VALU_DEP_1)
	v_lshlrev_b32_e32 v3, 21, v3
	v_or3_b32 v2, v4, v2, v3
	s_delay_alu instid0(VALU_DEP_1)
	v_cvt_f64_f32_e32 v[2:3], v2
.LBB112_833:
	s_or_b32 exec_lo, exec_lo, s0
	s_mov_b32 s0, 0
	s_branch .LBB112_837
.LBB112_834:
	s_mov_b32 s1, -1
                                        ; implicit-def: $vgpr2_vgpr3
	s_branch .LBB112_843
.LBB112_835:
	s_mov_b32 s0, -1
                                        ; implicit-def: $vgpr2_vgpr3
	s_branch .LBB112_840
.LBB112_836:
	s_mov_b32 s0, -1
                                        ; implicit-def: $vgpr2_vgpr3
.LBB112_837:
	s_delay_alu instid0(SALU_CYCLE_1)
	s_and_b32 vcc_lo, exec_lo, s0
	s_cbranch_vccz .LBB112_839
; %bb.838:
	global_load_u8 v2, v[0:1], off
	s_waitcnt vmcnt(0)
	v_lshlrev_b32_e32 v2, 24, v2
	s_delay_alu instid0(VALU_DEP_1) | instskip(NEXT) | instid1(VALU_DEP_1)
	v_and_b32_e32 v3, 0x7f000000, v2
	v_clz_i32_u32_e32 v4, v3
	v_add_nc_u32_e32 v6, 0x1000000, v3
	v_cmp_ne_u32_e32 vcc_lo, 0, v3
	s_delay_alu instid0(VALU_DEP_3) | instskip(NEXT) | instid1(VALU_DEP_1)
	v_min_u32_e32 v4, 32, v4
	v_sub_nc_u32_e64 v4, v4, 4 clamp
	s_delay_alu instid0(VALU_DEP_1) | instskip(SKIP_1) | instid1(VALU_DEP_2)
	v_lshlrev_b32_e32 v5, v4, v3
	v_lshlrev_b32_e32 v4, 23, v4
	v_lshrrev_b32_e32 v5, 4, v5
	s_delay_alu instid0(VALU_DEP_1) | instskip(SKIP_1) | instid1(VALU_DEP_2)
	v_sub_nc_u32_e32 v4, v5, v4
	v_ashrrev_i32_e32 v5, 8, v6
	v_add_nc_u32_e32 v4, 0x3c000000, v4
	s_delay_alu instid0(VALU_DEP_1) | instskip(NEXT) | instid1(VALU_DEP_1)
	v_and_or_b32 v4, 0x7f800000, v5, v4
	v_cndmask_b32_e32 v3, 0, v4, vcc_lo
	s_delay_alu instid0(VALU_DEP_1) | instskip(NEXT) | instid1(VALU_DEP_1)
	v_and_or_b32 v2, 0x80000000, v2, v3
	v_cvt_f64_f32_e32 v[2:3], v2
.LBB112_839:
	s_mov_b32 s0, 0
.LBB112_840:
	s_delay_alu instid0(SALU_CYCLE_1)
	s_and_not1_b32 vcc_lo, exec_lo, s0
	s_cbranch_vccnz .LBB112_842
; %bb.841:
	global_load_u8 v2, v[0:1], off
	s_waitcnt vmcnt(0)
	v_lshlrev_b32_e32 v3, 25, v2
	v_lshlrev_b16 v2, 8, v2
	s_delay_alu instid0(VALU_DEP_2) | instskip(NEXT) | instid1(VALU_DEP_2)
	v_lshrrev_b32_e32 v4, 4, v3
	v_and_or_b32 v5, 0x7f00, v2, 0.5
	v_bfe_i32 v2, v2, 0, 16
	s_delay_alu instid0(VALU_DEP_3) | instskip(NEXT) | instid1(VALU_DEP_1)
	v_or_b32_e32 v4, 0x70000000, v4
	v_dual_add_f32 v5, -0.5, v5 :: v_dual_mul_f32 v4, 0x7800000, v4
	v_cmp_gt_u32_e32 vcc_lo, 0x8000000, v3
	s_delay_alu instid0(VALU_DEP_2) | instskip(NEXT) | instid1(VALU_DEP_1)
	v_cndmask_b32_e32 v3, v4, v5, vcc_lo
	v_and_or_b32 v2, 0x80000000, v2, v3
	s_delay_alu instid0(VALU_DEP_1)
	v_cvt_f64_f32_e32 v[2:3], v2
.LBB112_842:
	s_mov_b32 s1, 0
	s_mov_b32 s0, -1
.LBB112_843:
	s_and_not1_b32 vcc_lo, exec_lo, s1
	s_mov_b32 s21, 0
	s_cbranch_vccnz .LBB112_852
; %bb.844:
	v_cmp_lt_i16_e32 vcc_lo, 14, v12
	s_cbranch_vccz .LBB112_847
; %bb.845:
	v_cmp_eq_u16_e32 vcc_lo, 15, v12
	s_cbranch_vccz .LBB112_848
; %bb.846:
	global_load_u16 v2, v[0:1], off
	s_mov_b32 s20, 0
	s_mov_b32 s0, -1
	s_waitcnt vmcnt(0)
	v_lshlrev_b32_e32 v2, 16, v2
	s_delay_alu instid0(VALU_DEP_1)
	v_cvt_f64_f32_e32 v[2:3], v2
	s_branch .LBB112_849
.LBB112_847:
	s_mov_b32 s1, -1
                                        ; implicit-def: $vgpr2_vgpr3
	s_branch .LBB112_850
.LBB112_848:
	s_mov_b32 s20, -1
                                        ; implicit-def: $vgpr2_vgpr3
.LBB112_849:
	s_mov_b32 s1, 0
.LBB112_850:
	s_delay_alu instid0(SALU_CYCLE_1)
	s_and_b32 vcc_lo, exec_lo, s1
	s_cbranch_vccz .LBB112_852
; %bb.851:
	v_cmp_ne_u16_e32 vcc_lo, 11, v12
	s_and_not1_b32 s1, s20, exec_lo
	s_mov_b32 s21, -1
                                        ; implicit-def: $vgpr2_vgpr3
	s_and_b32 s20, vcc_lo, exec_lo
	s_delay_alu instid0(SALU_CYCLE_1)
	s_or_b32 s20, s1, s20
.LBB112_852:
	s_mov_b32 s1, 0
.LBB112_853:
	s_and_not1_b32 s22, s2, exec_lo
	s_and_b32 s20, s20, exec_lo
	s_and_b32 s23, s0, exec_lo
	s_and_b32 s1, s1, exec_lo
	s_and_b32 s0, s21, exec_lo
	s_or_b32 s22, s22, s20
.LBB112_854:
	s_or_b32 exec_lo, exec_lo, s12
	s_delay_alu instid0(SALU_CYCLE_1)
	s_and_not1_b32 s2, s2, exec_lo
	s_and_b32 s12, s22, exec_lo
	s_and_b32 s21, s23, exec_lo
	;; [unrolled: 1-line block ×4, first 2 shown]
	s_or_b32 s2, s2, s12
.LBB112_855:
	s_or_b32 exec_lo, exec_lo, s18
	s_delay_alu instid0(SALU_CYCLE_1)
	s_and_not1_b32 s0, s16, exec_lo
	s_and_b32 s12, s19, exec_lo
	s_and_b32 s2, s2, exec_lo
	s_or_b32 s16, s0, s12
	s_and_not1_b32 s12, s15, exec_lo
	s_and_b32 s0, s21, exec_lo
	s_and_b32 s18, s20, exec_lo
	;; [unrolled: 1-line block ×3, first 2 shown]
	s_or_b32 s15, s12, s2
.LBB112_856:
	s_or_b32 exec_lo, exec_lo, s17
	s_delay_alu instid0(SALU_CYCLE_1)
	s_and_not1_b32 s2, s11, exec_lo
	s_and_b32 s11, s16, exec_lo
	s_and_not1_b32 s12, s13, exec_lo
	s_and_b32 s13, s15, exec_lo
	s_or_b32 s11, s2, s11
	s_and_b32 s0, s0, exec_lo
	s_and_b32 s2, s18, exec_lo
	;; [unrolled: 1-line block ×3, first 2 shown]
	s_or_b32 s13, s12, s13
.LBB112_857:
	s_or_b32 exec_lo, exec_lo, s14
	s_mov_b32 s12, 0
	s_and_saveexec_b32 s1, s13
	s_cbranch_execnz .LBB112_869
; %bb.858:
	s_or_b32 exec_lo, exec_lo, s1
	s_and_saveexec_b32 s1, s15
	s_delay_alu instid0(SALU_CYCLE_1)
	s_xor_b32 s1, exec_lo, s1
	s_cbranch_execz .LBB112_860
.LBB112_859:
	global_load_u8 v2, v[0:1], off
	s_or_b32 s0, s0, exec_lo
	s_waitcnt vmcnt(0)
	v_cmp_ne_u16_e32 vcc_lo, 0, v2
	v_mov_b32_e32 v2, 0
	v_cndmask_b32_e64 v3, 0, 0x3ff00000, vcc_lo
.LBB112_860:
	s_or_b32 exec_lo, exec_lo, s1
	s_and_saveexec_b32 s1, s2
	s_cbranch_execz .LBB112_908
; %bb.861:
	v_cmp_gt_i16_e32 vcc_lo, 5, v12
	s_cbranch_vccnz .LBB112_866
; %bb.862:
	v_cmp_gt_i16_e32 vcc_lo, 8, v12
	s_cbranch_vccnz .LBB112_867
; %bb.863:
	v_cmp_gt_i16_e32 vcc_lo, 9, v12
	s_cbranch_vccnz .LBB112_868
; %bb.864:
	v_cmp_lt_i16_e32 vcc_lo, 9, v12
	s_cbranch_vccz .LBB112_871
; %bb.865:
	global_load_b64 v[2:3], v[0:1], off
	s_mov_b32 s2, 0
	s_branch .LBB112_872
.LBB112_866:
                                        ; implicit-def: $vgpr2_vgpr3
	s_branch .LBB112_889
.LBB112_867:
                                        ; implicit-def: $vgpr2_vgpr3
	s_branch .LBB112_878
.LBB112_868:
	s_mov_b32 s2, -1
                                        ; implicit-def: $vgpr2_vgpr3
	s_branch .LBB112_875
.LBB112_869:
	s_cbranch_execnz .LBB112_1087
; %bb.870:
	s_mov_b32 s12, exec_lo
	s_and_not1_b32 s15, s15, exec_lo
                                        ; implicit-def: $vgpr2_vgpr3
	s_or_b32 exec_lo, exec_lo, s1
	s_and_saveexec_b32 s1, s15
	s_delay_alu instid0(SALU_CYCLE_1)
	s_xor_b32 s1, exec_lo, s1
	s_cbranch_execnz .LBB112_859
	s_branch .LBB112_860
.LBB112_871:
	s_mov_b32 s2, -1
                                        ; implicit-def: $vgpr2_vgpr3
.LBB112_872:
	s_delay_alu instid0(SALU_CYCLE_1)
	s_and_not1_b32 vcc_lo, exec_lo, s2
	s_cbranch_vccnz .LBB112_874
; %bb.873:
	global_load_b32 v2, v[0:1], off
	s_waitcnt vmcnt(0)
	v_cvt_f64_f32_e32 v[2:3], v2
.LBB112_874:
	s_mov_b32 s2, 0
.LBB112_875:
	s_delay_alu instid0(SALU_CYCLE_1)
	s_and_not1_b32 vcc_lo, exec_lo, s2
	s_cbranch_vccnz .LBB112_877
; %bb.876:
	global_load_b32 v2, v[0:1], off
	s_waitcnt vmcnt(0)
	v_cvt_f32_f16_e32 v2, v2
	s_delay_alu instid0(VALU_DEP_1)
	v_cvt_f64_f32_e32 v[2:3], v2
.LBB112_877:
	s_cbranch_execnz .LBB112_888
.LBB112_878:
	v_cmp_gt_i16_e32 vcc_lo, 6, v12
	s_cbranch_vccnz .LBB112_881
; %bb.879:
	v_cmp_lt_i16_e32 vcc_lo, 6, v12
	s_cbranch_vccz .LBB112_882
; %bb.880:
	global_load_b64 v[2:3], v[0:1], off
	s_mov_b32 s2, 0
	s_branch .LBB112_883
.LBB112_881:
	s_mov_b32 s2, -1
                                        ; implicit-def: $vgpr2_vgpr3
	s_branch .LBB112_886
.LBB112_882:
	s_mov_b32 s2, -1
                                        ; implicit-def: $vgpr2_vgpr3
.LBB112_883:
	s_delay_alu instid0(SALU_CYCLE_1)
	s_and_not1_b32 vcc_lo, exec_lo, s2
	s_cbranch_vccnz .LBB112_885
; %bb.884:
	global_load_b32 v2, v[0:1], off
	s_waitcnt vmcnt(0)
	v_cvt_f64_f32_e32 v[2:3], v2
.LBB112_885:
	s_mov_b32 s2, 0
.LBB112_886:
	s_delay_alu instid0(SALU_CYCLE_1)
	s_and_not1_b32 vcc_lo, exec_lo, s2
	s_cbranch_vccnz .LBB112_888
; %bb.887:
	global_load_u16 v2, v[0:1], off
	s_waitcnt vmcnt(0)
	v_cvt_f32_f16_e32 v2, v2
	s_delay_alu instid0(VALU_DEP_1)
	v_cvt_f64_f32_e32 v[2:3], v2
.LBB112_888:
	s_cbranch_execnz .LBB112_907
.LBB112_889:
	v_cmp_gt_i16_e32 vcc_lo, 2, v12
	s_cbranch_vccnz .LBB112_893
; %bb.890:
	v_cmp_gt_i16_e32 vcc_lo, 3, v12
	s_cbranch_vccnz .LBB112_894
; %bb.891:
	v_cmp_lt_i16_e32 vcc_lo, 3, v12
	s_cbranch_vccz .LBB112_895
; %bb.892:
	global_load_b64 v[2:3], v[0:1], off
	s_mov_b32 s2, 0
	s_waitcnt vmcnt(0)
	v_cvt_f64_i32_e32 v[3:4], v3
	v_cvt_f64_u32_e32 v[5:6], v2
	s_delay_alu instid0(VALU_DEP_2) | instskip(NEXT) | instid1(VALU_DEP_1)
	v_ldexp_f64 v[3:4], v[3:4], 32
	v_add_f64 v[2:3], v[3:4], v[5:6]
	s_branch .LBB112_896
.LBB112_893:
                                        ; implicit-def: $vgpr2_vgpr3
	s_branch .LBB112_902
.LBB112_894:
	s_mov_b32 s2, -1
                                        ; implicit-def: $vgpr2_vgpr3
	s_branch .LBB112_899
.LBB112_895:
	s_mov_b32 s2, -1
                                        ; implicit-def: $vgpr2_vgpr3
.LBB112_896:
	s_delay_alu instid0(SALU_CYCLE_1)
	s_and_not1_b32 vcc_lo, exec_lo, s2
	s_cbranch_vccnz .LBB112_898
; %bb.897:
	global_load_b32 v2, v[0:1], off
	s_waitcnt vmcnt(0)
	v_cvt_f64_i32_e32 v[2:3], v2
.LBB112_898:
	s_mov_b32 s2, 0
.LBB112_899:
	s_delay_alu instid0(SALU_CYCLE_1)
	s_and_not1_b32 vcc_lo, exec_lo, s2
	s_cbranch_vccnz .LBB112_901
; %bb.900:
	global_load_i16 v2, v[0:1], off
	s_waitcnt vmcnt(0)
	v_cvt_f64_i32_e32 v[2:3], v2
.LBB112_901:
	s_cbranch_execnz .LBB112_907
.LBB112_902:
	v_cmp_lt_i16_e32 vcc_lo, 0, v12
	s_mov_b32 s2, 0
	s_cbranch_vccz .LBB112_904
; %bb.903:
	global_load_i8 v2, v[0:1], off
	s_waitcnt vmcnt(0)
	v_cvt_f64_i32_e32 v[2:3], v2
	s_branch .LBB112_905
.LBB112_904:
	s_mov_b32 s2, -1
                                        ; implicit-def: $vgpr2_vgpr3
.LBB112_905:
	s_delay_alu instid0(SALU_CYCLE_1)
	s_and_not1_b32 vcc_lo, exec_lo, s2
	s_cbranch_vccnz .LBB112_907
; %bb.906:
	global_load_u8 v0, v[0:1], off
	s_waitcnt vmcnt(0)
	v_cvt_f64_u32_e32 v[2:3], v0
.LBB112_907:
	s_or_b32 s0, s0, exec_lo
.LBB112_908:
	s_or_b32 exec_lo, exec_lo, s1
	s_mov_b32 s2, 0
	s_mov_b32 s1, 0
                                        ; implicit-def: $vgpr6
                                        ; implicit-def: $vgpr4_vgpr5
                                        ; implicit-def: $vgpr0_vgpr1
	s_and_saveexec_b32 s13, s0
	s_cbranch_execz .LBB112_985
; %bb.909:
	s_mov_b32 s0, 0x652b82fe
	s_mov_b32 s1, 0x3ff71547
	;; [unrolled: 1-line block ×3, first 2 shown]
	s_waitcnt vmcnt(0)
	s_delay_alu instid0(VALU_DEP_1)
	v_mul_f64 v[0:1], v[2:3], s[0:1]
	s_mov_b32 s1, 0xbfe62e42
	s_mov_b32 s0, 0xfefa39ef
	;; [unrolled: 1-line block ×5, first 2 shown]
	s_delay_alu instid0(VALU_DEP_1) | instskip(NEXT) | instid1(VALU_DEP_1)
	v_rndne_f64_e32 v[0:1], v[0:1]
	v_fma_f64 v[4:5], v[0:1], s[0:1], v[2:3]
	v_cvt_i32_f64_e32 v8, v[0:1]
	v_cmp_eq_f64_e32 vcc_lo, 0x40900000, v[0:1]
	s_mov_b32 s1, 0x40862e42
	s_delay_alu instid0(SALU_CYCLE_1) | instskip(SKIP_2) | instid1(VALU_DEP_1)
	v_cmp_nlt_f64_e64 s0, s[0:1], v[2:3]
	v_cmp_ngt_f64_e64 s1, 0xc0428000, v[2:3]
	v_mul_lo_u32 v2, v11, s8
	v_ashrrev_i32_e32 v3, 31, v2
	v_fma_f64 v[4:5], v[0:1], s[14:15], v[4:5]
	s_mov_b32 s14, 0x2a1b768b
	s_mov_b32 s15, 0x3e5af4eb
	v_cndmask_b32_e64 v0, v8, 0x3ff, vcc_lo
	s_delay_alu instid0(VALU_DEP_1) | instskip(NEXT) | instid1(VALU_DEP_3)
	v_ldexp_f64 v[0:1], 1.0, v0
	v_fma_f64 v[6:7], v[4:5], s[16:17], s[14:15]
	s_mov_b32 s14, 0xe0ac05b
	s_mov_b32 s15, 0x3e927e50
	s_delay_alu instid0(VALU_DEP_2) | instskip(NEXT) | instid1(VALU_DEP_2)
	v_add_f64 v[8:9], v[0:1], -1.0
	v_fma_f64 v[6:7], v[4:5], v[6:7], s[14:15]
	s_mov_b32 s14, 0x1b889c29
	s_mov_b32 s15, 0x3ec71de0
	s_delay_alu instid0(VALU_DEP_1) | instid1(SALU_CYCLE_1)
	v_fma_f64 v[6:7], v[4:5], v[6:7], s[14:15]
	s_mov_b32 s14, 0x197bcfd8
	s_mov_b32 s15, 0x3efa01a0
	s_delay_alu instid0(VALU_DEP_1) | instid1(SALU_CYCLE_1)
	v_fma_f64 v[6:7], v[4:5], v[6:7], s[14:15]
	s_mov_b32 s14, 0x1ac1a723
	s_mov_b32 s15, 0x3f2a01a0
	s_delay_alu instid0(VALU_DEP_1) | instid1(SALU_CYCLE_1)
	v_fma_f64 v[6:7], v[4:5], v[6:7], s[14:15]
	s_mov_b32 s14, 0x16c18931
	s_mov_b32 s15, 0x3f56c16c
	s_delay_alu instid0(VALU_DEP_1) | instid1(SALU_CYCLE_1)
	v_fma_f64 v[6:7], v[4:5], v[6:7], s[14:15]
	s_mov_b32 s14, 0x11110056
	s_mov_b32 s15, 0x3f811111
	s_delay_alu instid0(VALU_DEP_1) | instid1(SALU_CYCLE_1)
	v_fma_f64 v[6:7], v[4:5], v[6:7], s[14:15]
	s_mov_b32 s14, 0x55555552
	s_mov_b32 s15, 0x3fa55555
	s_delay_alu instid0(VALU_DEP_1) | instid1(SALU_CYCLE_1)
	v_fma_f64 v[6:7], v[4:5], v[6:7], s[14:15]
	s_mov_b32 s14, 0x55555557
	s_mov_b32 s15, 0x3fc55555
	s_delay_alu instid0(VALU_DEP_1) | instid1(SALU_CYCLE_1)
	v_fma_f64 v[6:7], v[4:5], v[6:7], s[14:15]
	s_mov_b32 s15, 0
	s_mov_b32 s14, -1
	s_delay_alu instid0(VALU_DEP_1) | instskip(NEXT) | instid1(VALU_DEP_1)
	v_fma_f64 v[6:7], v[4:5], v[6:7], 0.5
	v_mul_f64 v[6:7], v[4:5], v[6:7]
	s_delay_alu instid0(VALU_DEP_1) | instskip(SKIP_1) | instid1(VALU_DEP_1)
	v_fma_f64 v[4:5], v[4:5], v[6:7], v[4:5]
	v_and_b32_e32 v6, 0xff, v10
	v_cmp_gt_i16_e64 s2, 11, v6
	s_delay_alu instid0(VALU_DEP_3) | instskip(NEXT) | instid1(VALU_DEP_1)
	v_fma_f64 v[0:1], v[0:1], v[4:5], v[8:9]
	v_add_f64 v[4:5], v[0:1], v[0:1]
	s_delay_alu instid0(VALU_DEP_1) | instskip(SKIP_2) | instid1(VALU_DEP_3)
	v_dual_cndmask_b32 v1, v1, v5 :: v_dual_cndmask_b32 v0, v0, v4
	v_add_co_u32 v4, vcc_lo, s4, v2
	v_add_co_ci_u32_e32 v5, vcc_lo, s5, v3, vcc_lo
	v_cndmask_b32_e64 v1, 0x7ff00000, v1, s0
	s_and_b32 vcc_lo, s1, s0
	s_mov_b32 s0, s11
	v_cndmask_b32_e32 v0, 0, v0, vcc_lo
	s_and_b32 vcc_lo, exec_lo, s2
	v_cndmask_b32_e64 v1, 0xbff00000, v1, s1
	s_cbranch_vccnz .LBB112_984
; %bb.910:
	v_cmp_lt_i16_e32 vcc_lo, 25, v6
	s_mov_b32 s1, -1
	s_mov_b32 s0, s11
	s_cbranch_vccz .LBB112_943
; %bb.911:
	v_cmp_lt_i16_e32 vcc_lo, 28, v6
	s_mov_b32 s0, s11
	s_cbranch_vccz .LBB112_927
; %bb.912:
	v_cmp_lt_i16_e32 vcc_lo, 43, v6
	;; [unrolled: 4-line block ×3, first 2 shown]
	s_mov_b32 s0, s11
	s_cbranch_vccz .LBB112_917
; %bb.914:
	v_cmp_eq_u16_e32 vcc_lo, 46, v6
	s_mov_b32 s0, -1
	s_cbranch_vccz .LBB112_916
; %bb.915:
	v_cvt_f32_f64_e32 v2, v[0:1]
	s_mov_b32 s0, 0
	s_delay_alu instid0(VALU_DEP_1) | instskip(SKIP_1) | instid1(VALU_DEP_2)
	v_bfe_u32 v3, v2, 16, 1
	v_cmp_o_f32_e32 vcc_lo, v2, v2
	v_add3_u32 v3, v2, v3, 0x7fff
	s_delay_alu instid0(VALU_DEP_1) | instskip(NEXT) | instid1(VALU_DEP_1)
	v_lshrrev_b32_e32 v3, 16, v3
	v_cndmask_b32_e32 v2, 0x7fc0, v3, vcc_lo
	global_store_b32 v[4:5], v2, off
.LBB112_916:
	s_mov_b32 s1, 0
.LBB112_917:
	s_delay_alu instid0(SALU_CYCLE_1)
	s_and_b32 vcc_lo, exec_lo, s1
	s_cbranch_vccz .LBB112_922
; %bb.918:
	v_cmp_eq_u16_e32 vcc_lo, 44, v6
	s_mov_b32 s0, -1
	s_cbranch_vccz .LBB112_922
; %bb.919:
	v_cvt_f32_f64_e32 v2, v[0:1]
	v_mov_b32_e32 v3, 0xff
	s_mov_b32 s1, exec_lo
	s_delay_alu instid0(VALU_DEP_2) | instskip(NEXT) | instid1(VALU_DEP_1)
	v_bfe_u32 v7, v2, 23, 8
	v_cmpx_ne_u32_e32 0xff, v7
; %bb.920:
	v_and_b32_e32 v3, 0x400000, v2
	v_and_or_b32 v7, 0x3fffff, v2, v7
	v_lshrrev_b32_e32 v2, 23, v2
	s_delay_alu instid0(VALU_DEP_3) | instskip(NEXT) | instid1(VALU_DEP_3)
	v_cmp_ne_u32_e32 vcc_lo, 0, v3
	v_cmp_ne_u32_e64 s0, 0, v7
	s_delay_alu instid0(VALU_DEP_1) | instskip(NEXT) | instid1(SALU_CYCLE_1)
	s_and_b32 s0, vcc_lo, s0
	v_cndmask_b32_e64 v3, 0, 1, s0
	s_delay_alu instid0(VALU_DEP_1)
	v_add_nc_u32_e32 v3, v2, v3
; %bb.921:
	s_or_b32 exec_lo, exec_lo, s1
	s_mov_b32 s0, 0
	global_store_b8 v[4:5], v3, off
.LBB112_922:
	s_mov_b32 s1, 0
.LBB112_923:
	s_delay_alu instid0(SALU_CYCLE_1)
	s_and_b32 vcc_lo, exec_lo, s1
	s_cbranch_vccz .LBB112_926
; %bb.924:
	v_cmp_eq_u16_e32 vcc_lo, 29, v6
	s_mov_b32 s0, -1
	s_cbranch_vccz .LBB112_926
; %bb.925:
	v_trunc_f64_e32 v[2:3], v[0:1]
	s_mov_b32 s0, 0
	s_delay_alu instid0(VALU_DEP_1) | instskip(NEXT) | instid1(VALU_DEP_1)
	v_ldexp_f64 v[7:8], v[2:3], 0xffffffe0
	v_floor_f64_e32 v[7:8], v[7:8]
	s_delay_alu instid0(VALU_DEP_1) | instskip(SKIP_1) | instid1(VALU_DEP_2)
	v_fma_f64 v[2:3], 0xc1f00000, v[7:8], v[2:3]
	v_cvt_u32_f64_e32 v8, v[7:8]
	v_cvt_u32_f64_e32 v7, v[2:3]
	global_store_b64 v[4:5], v[7:8], off
.LBB112_926:
	s_mov_b32 s1, 0
.LBB112_927:
	s_delay_alu instid0(SALU_CYCLE_1)
	s_and_b32 vcc_lo, exec_lo, s1
	s_cbranch_vccz .LBB112_942
; %bb.928:
	v_cmp_gt_i16_e32 vcc_lo, 27, v6
	s_mov_b32 s1, -1
	s_cbranch_vccnz .LBB112_934
; %bb.929:
	v_cvt_u32_f64_e32 v2, v[0:1]
	v_cmp_lt_i16_e32 vcc_lo, 27, v6
	s_cbranch_vccz .LBB112_931
; %bb.930:
	s_mov_b32 s1, 0
	global_store_b32 v[4:5], v2, off
.LBB112_931:
	s_and_not1_b32 vcc_lo, exec_lo, s1
	s_cbranch_vccnz .LBB112_933
; %bb.932:
	global_store_b16 v[4:5], v2, off
.LBB112_933:
	s_mov_b32 s1, 0
.LBB112_934:
	s_delay_alu instid0(SALU_CYCLE_1)
	s_and_not1_b32 vcc_lo, exec_lo, s1
	s_cbranch_vccnz .LBB112_942
; %bb.935:
	v_cvt_f32_f64_e32 v2, v[0:1]
	v_mov_b32_e32 v7, 0x80
	s_mov_b32 s1, exec_lo
	s_delay_alu instid0(VALU_DEP_2) | instskip(NEXT) | instid1(VALU_DEP_1)
	v_and_b32_e32 v3, 0x7fffffff, v2
	v_cmpx_gt_u32_e32 0x43800000, v3
	s_cbranch_execz .LBB112_941
; %bb.936:
	v_cmp_lt_u32_e32 vcc_lo, 0x3bffffff, v3
	s_mov_b32 s2, 0
                                        ; implicit-def: $vgpr3
	s_and_saveexec_b32 s14, vcc_lo
	s_delay_alu instid0(SALU_CYCLE_1)
	s_xor_b32 s14, exec_lo, s14
	s_cbranch_execz .LBB112_1178
; %bb.937:
	v_bfe_u32 v3, v2, 20, 1
	s_mov_b32 s2, exec_lo
	s_delay_alu instid0(VALU_DEP_1) | instskip(NEXT) | instid1(VALU_DEP_1)
	v_add3_u32 v3, v2, v3, 0x487ffff
	v_lshrrev_b32_e32 v3, 20, v3
	s_or_saveexec_b32 s14, s14
                                        ; implicit-def: $sgpr15
	s_delay_alu instid0(SALU_CYCLE_1)
	s_xor_b32 exec_lo, exec_lo, s14
	s_cbranch_execnz .LBB112_1179
.LBB112_938:
	s_or_b32 exec_lo, exec_lo, s14
	v_mov_b32_e32 v7, s15
	s_and_saveexec_b32 s14, s2
.LBB112_939:
	v_lshrrev_b32_e32 v2, 24, v2
	s_delay_alu instid0(VALU_DEP_1)
	v_and_or_b32 v7, 0x80, v2, v3
.LBB112_940:
	s_or_b32 exec_lo, exec_lo, s14
.LBB112_941:
	s_delay_alu instid0(SALU_CYCLE_1)
	s_or_b32 exec_lo, exec_lo, s1
	global_store_b8 v[4:5], v7, off
.LBB112_942:
	s_mov_b32 s1, 0
.LBB112_943:
	s_delay_alu instid0(SALU_CYCLE_1)
	s_and_b32 vcc_lo, exec_lo, s1
	s_mov_b32 s14, 0
	s_cbranch_vccz .LBB112_983
; %bb.944:
	v_cmp_lt_i16_e32 vcc_lo, 22, v6
	s_mov_b32 s1, -1
	s_cbranch_vccz .LBB112_976
; %bb.945:
	v_cmp_gt_i16_e32 vcc_lo, 24, v6
	s_cbranch_vccnz .LBB112_965
; %bb.946:
	v_cmp_lt_i16_e32 vcc_lo, 24, v6
	s_cbranch_vccz .LBB112_954
; %bb.947:
	v_cvt_f32_f64_e32 v2, v[0:1]
	v_mov_b32_e32 v7, 0x80
	s_mov_b32 s1, exec_lo
	s_delay_alu instid0(VALU_DEP_2) | instskip(NEXT) | instid1(VALU_DEP_1)
	v_and_b32_e32 v3, 0x7fffffff, v2
	v_cmpx_gt_u32_e32 0x47800000, v3
	s_cbranch_execz .LBB112_953
; %bb.948:
	v_cmp_lt_u32_e32 vcc_lo, 0x37ffffff, v3
	s_mov_b32 s2, 0
                                        ; implicit-def: $vgpr3
	s_and_saveexec_b32 s15, vcc_lo
	s_delay_alu instid0(SALU_CYCLE_1)
	s_xor_b32 s15, exec_lo, s15
	s_cbranch_execz .LBB112_1222
; %bb.949:
	v_bfe_u32 v3, v2, 21, 1
	s_mov_b32 s2, exec_lo
	s_delay_alu instid0(VALU_DEP_1) | instskip(NEXT) | instid1(VALU_DEP_1)
	v_add3_u32 v3, v2, v3, 0x88fffff
	v_lshrrev_b32_e32 v3, 21, v3
	s_or_saveexec_b32 s15, s15
                                        ; implicit-def: $sgpr16
	s_delay_alu instid0(SALU_CYCLE_1)
	s_xor_b32 exec_lo, exec_lo, s15
	s_cbranch_execnz .LBB112_1223
.LBB112_950:
	s_or_b32 exec_lo, exec_lo, s15
	v_mov_b32_e32 v7, s16
	s_and_saveexec_b32 s15, s2
.LBB112_951:
	v_lshrrev_b32_e32 v2, 24, v2
	s_delay_alu instid0(VALU_DEP_1)
	v_and_or_b32 v7, 0x80, v2, v3
.LBB112_952:
	s_or_b32 exec_lo, exec_lo, s15
.LBB112_953:
	s_delay_alu instid0(SALU_CYCLE_1)
	s_or_b32 exec_lo, exec_lo, s1
	s_mov_b32 s1, 0
	global_store_b8 v[4:5], v7, off
.LBB112_954:
	s_and_b32 vcc_lo, exec_lo, s1
	s_cbranch_vccz .LBB112_964
; %bb.955:
	v_cvt_f32_f64_e32 v2, v[0:1]
	s_mov_b32 s1, exec_lo
                                        ; implicit-def: $vgpr3
	s_delay_alu instid0(VALU_DEP_1) | instskip(NEXT) | instid1(VALU_DEP_1)
	v_and_b32_e32 v7, 0x7fffffff, v2
	v_cmpx_gt_u32_e32 0x43f00000, v7
	s_xor_b32 s1, exec_lo, s1
	s_cbranch_execz .LBB112_961
; %bb.956:
	s_mov_b32 s2, exec_lo
                                        ; implicit-def: $vgpr3
	v_cmpx_lt_u32_e32 0x3c7fffff, v7
	s_xor_b32 s2, exec_lo, s2
; %bb.957:
	v_bfe_u32 v3, v2, 20, 1
	s_delay_alu instid0(VALU_DEP_1) | instskip(NEXT) | instid1(VALU_DEP_1)
	v_add3_u32 v3, v2, v3, 0x407ffff
	v_and_b32_e32 v7, 0xff00000, v3
	v_lshrrev_b32_e32 v3, 20, v3
	s_delay_alu instid0(VALU_DEP_2) | instskip(NEXT) | instid1(VALU_DEP_2)
	v_cmp_ne_u32_e32 vcc_lo, 0x7f00000, v7
	v_cndmask_b32_e32 v3, 0x7e, v3, vcc_lo
; %bb.958:
	s_and_not1_saveexec_b32 s2, s2
; %bb.959:
	v_add_f32_e64 v3, 0x46800000, |v2|
; %bb.960:
	s_or_b32 exec_lo, exec_lo, s2
                                        ; implicit-def: $vgpr7
.LBB112_961:
	s_and_not1_saveexec_b32 s1, s1
; %bb.962:
	v_mov_b32_e32 v3, 0x7f
	v_cmp_lt_u32_e32 vcc_lo, 0x7f800000, v7
	s_delay_alu instid0(VALU_DEP_2)
	v_cndmask_b32_e32 v3, 0x7e, v3, vcc_lo
; %bb.963:
	s_or_b32 exec_lo, exec_lo, s1
	v_lshrrev_b32_e32 v2, 24, v2
	s_delay_alu instid0(VALU_DEP_1)
	v_and_or_b32 v2, 0x80, v2, v3
	global_store_b8 v[4:5], v2, off
.LBB112_964:
	s_mov_b32 s1, 0
.LBB112_965:
	s_delay_alu instid0(SALU_CYCLE_1)
	s_and_not1_b32 vcc_lo, exec_lo, s1
	s_cbranch_vccnz .LBB112_975
; %bb.966:
	v_cvt_f32_f64_e32 v2, v[0:1]
	s_mov_b32 s1, exec_lo
                                        ; implicit-def: $vgpr3
	s_delay_alu instid0(VALU_DEP_1) | instskip(NEXT) | instid1(VALU_DEP_1)
	v_and_b32_e32 v7, 0x7fffffff, v2
	v_cmpx_gt_u32_e32 0x47800000, v7
	s_xor_b32 s1, exec_lo, s1
	s_cbranch_execz .LBB112_972
; %bb.967:
	s_mov_b32 s2, exec_lo
                                        ; implicit-def: $vgpr3
	v_cmpx_lt_u32_e32 0x387fffff, v7
	s_xor_b32 s2, exec_lo, s2
; %bb.968:
	v_bfe_u32 v3, v2, 21, 1
	s_delay_alu instid0(VALU_DEP_1) | instskip(NEXT) | instid1(VALU_DEP_1)
	v_add3_u32 v3, v2, v3, 0x80fffff
	v_lshrrev_b32_e32 v3, 21, v3
; %bb.969:
	s_and_not1_saveexec_b32 s2, s2
; %bb.970:
	v_add_f32_e64 v3, 0x43000000, |v2|
; %bb.971:
	s_or_b32 exec_lo, exec_lo, s2
                                        ; implicit-def: $vgpr7
.LBB112_972:
	s_and_not1_saveexec_b32 s1, s1
; %bb.973:
	v_mov_b32_e32 v3, 0x7f
	v_cmp_lt_u32_e32 vcc_lo, 0x7f800000, v7
	s_delay_alu instid0(VALU_DEP_2)
	v_cndmask_b32_e32 v3, 0x7c, v3, vcc_lo
; %bb.974:
	s_or_b32 exec_lo, exec_lo, s1
	v_lshrrev_b32_e32 v2, 24, v2
	s_delay_alu instid0(VALU_DEP_1)
	v_and_or_b32 v2, 0x80, v2, v3
	global_store_b8 v[4:5], v2, off
.LBB112_975:
	s_mov_b32 s1, 0
.LBB112_976:
	s_delay_alu instid0(SALU_CYCLE_1)
	s_and_not1_b32 vcc_lo, exec_lo, s1
	s_mov_b32 s15, 0
	s_cbranch_vccnz .LBB112_984
; %bb.977:
	v_cmp_lt_i16_e32 vcc_lo, 14, v6
	s_mov_b32 s1, -1
	s_cbranch_vccz .LBB112_981
; %bb.978:
	v_cmp_eq_u16_e32 vcc_lo, 15, v6
	s_mov_b32 s0, -1
	s_cbranch_vccz .LBB112_980
; %bb.979:
	v_cvt_f32_f64_e32 v2, v[0:1]
	s_mov_b32 s0, 0
	s_delay_alu instid0(VALU_DEP_1) | instskip(SKIP_1) | instid1(VALU_DEP_2)
	v_bfe_u32 v3, v2, 16, 1
	v_cmp_o_f32_e32 vcc_lo, v2, v2
	v_add3_u32 v3, v2, v3, 0x7fff
	s_delay_alu instid0(VALU_DEP_1) | instskip(NEXT) | instid1(VALU_DEP_1)
	v_lshrrev_b32_e32 v3, 16, v3
	v_cndmask_b32_e32 v2, 0x7fc0, v3, vcc_lo
	global_store_b16 v[4:5], v2, off
.LBB112_980:
	s_mov_b32 s1, 0
.LBB112_981:
	s_delay_alu instid0(SALU_CYCLE_1)
	s_and_b32 vcc_lo, exec_lo, s1
	s_cbranch_vccz .LBB112_984
; %bb.982:
	v_cmp_ne_u16_e32 vcc_lo, 11, v6
	s_and_not1_b32 s0, s0, exec_lo
	s_mov_b32 s15, -1
	s_and_b32 s1, vcc_lo, exec_lo
	s_delay_alu instid0(SALU_CYCLE_1)
	s_or_b32 s0, s0, s1
	s_branch .LBB112_984
.LBB112_983:
	s_mov_b32 s15, 0
.LBB112_984:
	s_and_not1_b32 s11, s11, exec_lo
	s_and_b32 s0, s0, exec_lo
	s_and_b32 s1, s14, exec_lo
	;; [unrolled: 1-line block ×3, first 2 shown]
	s_or_b32 s11, s11, s0
.LBB112_985:
	s_or_b32 exec_lo, exec_lo, s13
	s_and_saveexec_b32 s0, s11
	s_cbranch_execnz .LBB112_1047
; %bb.986:
	s_or_b32 exec_lo, exec_lo, s0
	s_and_saveexec_b32 s0, s2
	s_delay_alu instid0(SALU_CYCLE_1)
	s_xor_b32 s0, exec_lo, s0
	s_cbranch_execz .LBB112_988
.LBB112_987:
	v_cmp_neq_f64_e32 vcc_lo, 0, v[0:1]
	s_waitcnt vmcnt(0)
	v_cndmask_b32_e64 v2, 0, 1, vcc_lo
	global_store_b8 v[4:5], v2, off
.LBB112_988:
	s_or_b32 exec_lo, exec_lo, s0
	s_and_saveexec_b32 s0, s1
	s_delay_alu instid0(SALU_CYCLE_1)
	s_xor_b32 s0, exec_lo, s0
	s_cbranch_execz .LBB112_1026
; %bb.989:
	v_cmp_gt_i16_e32 vcc_lo, 5, v6
	s_mov_b32 s1, -1
	s_cbranch_vccnz .LBB112_1010
; %bb.990:
	v_cmp_gt_i16_e32 vcc_lo, 8, v6
	s_cbranch_vccnz .LBB112_1000
; %bb.991:
	v_cmp_gt_i16_e32 vcc_lo, 9, v6
	s_cbranch_vccnz .LBB112_997
; %bb.992:
	v_cmp_lt_i16_e32 vcc_lo, 9, v6
	s_cbranch_vccz .LBB112_994
; %bb.993:
	s_waitcnt vmcnt(0)
	v_mov_b32_e32 v2, 0
	s_mov_b32 s1, 0
	s_delay_alu instid0(VALU_DEP_1)
	v_mov_b32_e32 v3, v2
	global_store_b128 v[4:5], v[0:3], off
.LBB112_994:
	s_and_not1_b32 vcc_lo, exec_lo, s1
	s_cbranch_vccnz .LBB112_996
; %bb.995:
	s_waitcnt vmcnt(0)
	v_cvt_f32_f64_e32 v2, v[0:1]
	v_mov_b32_e32 v3, 0
	global_store_b64 v[4:5], v[2:3], off
.LBB112_996:
	s_mov_b32 s1, 0
.LBB112_997:
	s_delay_alu instid0(SALU_CYCLE_1)
	s_and_not1_b32 vcc_lo, exec_lo, s1
	s_cbranch_vccnz .LBB112_999
; %bb.998:
	s_waitcnt vmcnt(0)
	v_cvt_f32_f64_e32 v2, v[0:1]
	s_delay_alu instid0(VALU_DEP_1) | instskip(NEXT) | instid1(VALU_DEP_1)
	v_cvt_f16_f32_e32 v2, v2
	v_and_b32_e32 v2, 0xffff, v2
	global_store_b32 v[4:5], v2, off
.LBB112_999:
	s_mov_b32 s1, 0
.LBB112_1000:
	s_delay_alu instid0(SALU_CYCLE_1)
	s_and_not1_b32 vcc_lo, exec_lo, s1
	s_cbranch_vccnz .LBB112_1009
; %bb.1001:
	v_cmp_gt_i16_e32 vcc_lo, 6, v6
	s_mov_b32 s1, -1
	s_cbranch_vccnz .LBB112_1007
; %bb.1002:
	v_cmp_lt_i16_e32 vcc_lo, 6, v6
	s_cbranch_vccz .LBB112_1004
; %bb.1003:
	s_mov_b32 s1, 0
	global_store_b64 v[4:5], v[0:1], off
.LBB112_1004:
	s_and_not1_b32 vcc_lo, exec_lo, s1
	s_cbranch_vccnz .LBB112_1006
; %bb.1005:
	s_waitcnt vmcnt(0)
	v_cvt_f32_f64_e32 v2, v[0:1]
	global_store_b32 v[4:5], v2, off
.LBB112_1006:
	s_mov_b32 s1, 0
.LBB112_1007:
	s_delay_alu instid0(SALU_CYCLE_1)
	s_and_not1_b32 vcc_lo, exec_lo, s1
	s_cbranch_vccnz .LBB112_1009
; %bb.1008:
	s_waitcnt vmcnt(0)
	v_cvt_f32_f64_e32 v2, v[0:1]
	s_delay_alu instid0(VALU_DEP_1)
	v_cvt_f16_f32_e32 v2, v2
	global_store_b16 v[4:5], v2, off
.LBB112_1009:
	s_mov_b32 s1, 0
.LBB112_1010:
	s_delay_alu instid0(SALU_CYCLE_1)
	s_and_not1_b32 vcc_lo, exec_lo, s1
	s_cbranch_vccnz .LBB112_1026
; %bb.1011:
	v_cmp_gt_i16_e32 vcc_lo, 2, v6
	s_mov_b32 s1, -1
	s_cbranch_vccnz .LBB112_1021
; %bb.1012:
	v_cmp_gt_i16_e32 vcc_lo, 3, v6
	s_cbranch_vccnz .LBB112_1018
; %bb.1013:
	v_cmp_lt_i16_e32 vcc_lo, 3, v6
	s_cbranch_vccz .LBB112_1015
; %bb.1014:
	s_waitcnt vmcnt(0)
	v_trunc_f64_e32 v[2:3], v[0:1]
	s_mov_b32 s1, 0
	s_delay_alu instid0(VALU_DEP_1) | instskip(NEXT) | instid1(VALU_DEP_1)
	v_ldexp_f64 v[7:8], v[2:3], 0xffffffe0
	v_floor_f64_e32 v[7:8], v[7:8]
	s_delay_alu instid0(VALU_DEP_1) | instskip(SKIP_1) | instid1(VALU_DEP_2)
	v_fma_f64 v[2:3], 0xc1f00000, v[7:8], v[2:3]
	v_cvt_i32_f64_e32 v8, v[7:8]
	v_cvt_u32_f64_e32 v7, v[2:3]
	global_store_b64 v[4:5], v[7:8], off
.LBB112_1015:
	s_and_not1_b32 vcc_lo, exec_lo, s1
	s_cbranch_vccnz .LBB112_1017
; %bb.1016:
	s_waitcnt vmcnt(0)
	v_cvt_i32_f64_e32 v2, v[0:1]
	global_store_b32 v[4:5], v2, off
.LBB112_1017:
	s_mov_b32 s1, 0
.LBB112_1018:
	s_delay_alu instid0(SALU_CYCLE_1)
	s_and_not1_b32 vcc_lo, exec_lo, s1
	s_cbranch_vccnz .LBB112_1020
; %bb.1019:
	s_waitcnt vmcnt(0)
	v_cvt_i32_f64_e32 v2, v[0:1]
	global_store_b16 v[4:5], v2, off
.LBB112_1020:
	s_mov_b32 s1, 0
.LBB112_1021:
	s_delay_alu instid0(SALU_CYCLE_1)
	s_and_not1_b32 vcc_lo, exec_lo, s1
	s_cbranch_vccnz .LBB112_1026
; %bb.1022:
	v_cmp_lt_i16_e32 vcc_lo, 0, v6
	s_mov_b32 s1, -1
	s_cbranch_vccz .LBB112_1024
; %bb.1023:
	s_waitcnt vmcnt(0)
	v_cvt_i32_f64_e32 v2, v[0:1]
	s_mov_b32 s1, 0
	global_store_b8 v[4:5], v2, off
.LBB112_1024:
	s_and_not1_b32 vcc_lo, exec_lo, s1
	s_cbranch_vccnz .LBB112_1026
; %bb.1025:
	v_trunc_f64_e32 v[0:1], v[0:1]
	s_waitcnt vmcnt(0)
	s_delay_alu instid0(VALU_DEP_1) | instskip(NEXT) | instid1(VALU_DEP_1)
	v_ldexp_f64 v[2:3], v[0:1], 0xffffffe0
	v_floor_f64_e32 v[2:3], v[2:3]
	s_delay_alu instid0(VALU_DEP_1) | instskip(NEXT) | instid1(VALU_DEP_1)
	v_fma_f64 v[0:1], 0xc1f00000, v[2:3], v[0:1]
	v_cvt_u32_f64_e32 v0, v[0:1]
	global_store_b8 v[4:5], v0, off
.LBB112_1026:
	s_or_b32 exec_lo, exec_lo, s0
	s_delay_alu instid0(SALU_CYCLE_1)
	s_and_b32 s11, s12, exec_lo
                                        ; implicit-def: $vgpr11
                                        ; implicit-def: $vgpr12
                                        ; implicit-def: $vgpr10
.LBB112_1027:
	s_or_saveexec_b32 s10, s10
	s_mov_b32 s0, 0
                                        ; implicit-def: $vgpr13
                                        ; implicit-def: $vgpr4_vgpr5
                                        ; implicit-def: $vgpr0_vgpr1
	s_xor_b32 exec_lo, exec_lo, s10
	s_cbranch_execz .LBB112_1991
; %bb.1028:
	v_mul_lo_u32 v4, s9, v11
	v_cmp_gt_i16_e32 vcc_lo, 11, v12
	s_and_b32 vcc_lo, exec_lo, vcc_lo
	s_delay_alu instid0(VALU_DEP_2) | instskip(SKIP_2) | instid1(VALU_DEP_1)
	v_ashrrev_i32_e32 v0, 31, v4
	s_waitcnt vmcnt(0)
	v_add_co_u32 v2, s0, s6, v4
	v_add_co_ci_u32_e64 v3, s0, s7, v0, s0
	s_cbranch_vccnz .LBB112_1035
; %bb.1029:
	v_cmp_lt_i16_e32 vcc_lo, 25, v12
	s_mov_b32 s12, 0
	s_cbranch_vccz .LBB112_1041
; %bb.1030:
	v_cmp_lt_i16_e32 vcc_lo, 28, v12
	s_cbranch_vccz .LBB112_1043
; %bb.1031:
	v_cmp_lt_i16_e32 vcc_lo, 43, v12
	;; [unrolled: 3-line block ×3, first 2 shown]
	s_cbranch_vccz .LBB112_1049
; %bb.1033:
	v_cmp_eq_u16_e32 vcc_lo, 46, v12
	s_mov_b32 s1, 0
	s_cbranch_vccz .LBB112_1091
; %bb.1034:
	global_load_b32 v0, v[2:3], off
	s_mov_b32 s2, 0
	s_mov_b32 s0, -1
	s_waitcnt vmcnt(0)
	v_lshlrev_b32_e32 v0, 16, v0
	s_delay_alu instid0(VALU_DEP_1)
	v_cvt_f64_f32_e32 v[0:1], v0
	s_branch .LBB112_1093
.LBB112_1035:
	s_mov_b32 s0, 0
	s_mov_b32 s3, s11
                                        ; implicit-def: $vgpr0_vgpr1
	s_cbranch_execz .LBB112_1156
; %bb.1036:
	v_cmp_gt_i16_e32 vcc_lo, 5, v12
	s_cbranch_vccnz .LBB112_1042
; %bb.1037:
	v_cmp_gt_i16_e32 vcc_lo, 8, v12
	s_cbranch_vccnz .LBB112_1044
	;; [unrolled: 3-line block ×3, first 2 shown]
; %bb.1039:
	v_cmp_lt_i16_e32 vcc_lo, 9, v12
	s_cbranch_vccz .LBB112_1050
; %bb.1040:
	global_load_b64 v[0:1], v[2:3], off
	s_mov_b32 s0, 0
	s_branch .LBB112_1051
.LBB112_1041:
	s_mov_b32 s0, 0
	s_mov_b32 s2, 0
                                        ; implicit-def: $vgpr0_vgpr1
	s_cbranch_execnz .LBB112_1123
	s_branch .LBB112_1152
.LBB112_1042:
                                        ; implicit-def: $vgpr0_vgpr1
	s_branch .LBB112_1068
.LBB112_1043:
	s_mov_b32 s1, -1
	s_mov_b32 s0, 0
	s_mov_b32 s2, 0
                                        ; implicit-def: $vgpr0_vgpr1
	s_branch .LBB112_1102
.LBB112_1044:
                                        ; implicit-def: $vgpr0_vgpr1
	s_branch .LBB112_1057
.LBB112_1045:
	s_mov_b32 s0, 0
	s_mov_b32 s2, 0
                                        ; implicit-def: $vgpr0_vgpr1
	s_cbranch_execnz .LBB112_1098
	s_branch .LBB112_1101
.LBB112_1046:
	s_mov_b32 s0, -1
                                        ; implicit-def: $vgpr0_vgpr1
	s_branch .LBB112_1054
.LBB112_1047:
	s_cbranch_execnz .LBB112_1089
; %bb.1048:
	s_or_b32 s12, s12, exec_lo
	s_and_not1_b32 s2, s2, exec_lo
	s_or_b32 exec_lo, exec_lo, s0
	s_and_saveexec_b32 s0, s2
	s_delay_alu instid0(SALU_CYCLE_1)
	s_xor_b32 s0, exec_lo, s0
	s_cbranch_execnz .LBB112_987
	s_branch .LBB112_988
.LBB112_1049:
	s_mov_b32 s1, -1
	s_mov_b32 s0, 0
	s_mov_b32 s2, 0
	s_branch .LBB112_1092
.LBB112_1050:
	s_mov_b32 s0, -1
                                        ; implicit-def: $vgpr0_vgpr1
.LBB112_1051:
	s_delay_alu instid0(SALU_CYCLE_1)
	s_and_not1_b32 vcc_lo, exec_lo, s0
	s_cbranch_vccnz .LBB112_1053
; %bb.1052:
	global_load_b32 v0, v[2:3], off
	s_waitcnt vmcnt(0)
	v_cvt_f64_f32_e32 v[0:1], v0
.LBB112_1053:
	s_mov_b32 s0, 0
.LBB112_1054:
	s_delay_alu instid0(SALU_CYCLE_1)
	s_and_not1_b32 vcc_lo, exec_lo, s0
	s_cbranch_vccnz .LBB112_1056
; %bb.1055:
	global_load_b32 v0, v[2:3], off
	s_waitcnt vmcnt(0)
	v_cvt_f32_f16_e32 v0, v0
	s_delay_alu instid0(VALU_DEP_1)
	v_cvt_f64_f32_e32 v[0:1], v0
.LBB112_1056:
	s_cbranch_execnz .LBB112_1067
.LBB112_1057:
	v_cmp_gt_i16_e32 vcc_lo, 6, v12
	s_cbranch_vccnz .LBB112_1060
; %bb.1058:
	v_cmp_lt_i16_e32 vcc_lo, 6, v12
	s_cbranch_vccz .LBB112_1061
; %bb.1059:
	global_load_b64 v[0:1], v[2:3], off
	s_mov_b32 s0, 0
	s_branch .LBB112_1062
.LBB112_1060:
	s_mov_b32 s0, -1
                                        ; implicit-def: $vgpr0_vgpr1
	s_branch .LBB112_1065
.LBB112_1061:
	s_mov_b32 s0, -1
                                        ; implicit-def: $vgpr0_vgpr1
.LBB112_1062:
	s_delay_alu instid0(SALU_CYCLE_1)
	s_and_not1_b32 vcc_lo, exec_lo, s0
	s_cbranch_vccnz .LBB112_1064
; %bb.1063:
	global_load_b32 v0, v[2:3], off
	s_waitcnt vmcnt(0)
	v_cvt_f64_f32_e32 v[0:1], v0
.LBB112_1064:
	s_mov_b32 s0, 0
.LBB112_1065:
	s_delay_alu instid0(SALU_CYCLE_1)
	s_and_not1_b32 vcc_lo, exec_lo, s0
	s_cbranch_vccnz .LBB112_1067
; %bb.1066:
	global_load_u16 v0, v[2:3], off
	s_waitcnt vmcnt(0)
	v_cvt_f32_f16_e32 v0, v0
	s_delay_alu instid0(VALU_DEP_1)
	v_cvt_f64_f32_e32 v[0:1], v0
.LBB112_1067:
	s_cbranch_execnz .LBB112_1086
.LBB112_1068:
	v_cmp_gt_i16_e32 vcc_lo, 2, v12
	s_cbranch_vccnz .LBB112_1072
; %bb.1069:
	v_cmp_gt_i16_e32 vcc_lo, 3, v12
	s_cbranch_vccnz .LBB112_1073
; %bb.1070:
	v_cmp_lt_i16_e32 vcc_lo, 3, v12
	s_cbranch_vccz .LBB112_1074
; %bb.1071:
	global_load_b64 v[0:1], v[2:3], off
	s_mov_b32 s0, 0
	s_waitcnt vmcnt(0)
	v_cvt_f64_i32_e32 v[5:6], v1
	v_cvt_f64_u32_e32 v[0:1], v0
	s_delay_alu instid0(VALU_DEP_2) | instskip(NEXT) | instid1(VALU_DEP_1)
	v_ldexp_f64 v[5:6], v[5:6], 32
	v_add_f64 v[0:1], v[5:6], v[0:1]
	s_branch .LBB112_1075
.LBB112_1072:
                                        ; implicit-def: $vgpr0_vgpr1
	s_branch .LBB112_1081
.LBB112_1073:
	s_mov_b32 s0, -1
                                        ; implicit-def: $vgpr0_vgpr1
	s_branch .LBB112_1078
.LBB112_1074:
	s_mov_b32 s0, -1
                                        ; implicit-def: $vgpr0_vgpr1
.LBB112_1075:
	s_delay_alu instid0(SALU_CYCLE_1)
	s_and_not1_b32 vcc_lo, exec_lo, s0
	s_cbranch_vccnz .LBB112_1077
; %bb.1076:
	global_load_b32 v0, v[2:3], off
	s_waitcnt vmcnt(0)
	v_cvt_f64_i32_e32 v[0:1], v0
.LBB112_1077:
	s_mov_b32 s0, 0
.LBB112_1078:
	s_delay_alu instid0(SALU_CYCLE_1)
	s_and_not1_b32 vcc_lo, exec_lo, s0
	s_cbranch_vccnz .LBB112_1080
; %bb.1079:
	global_load_i16 v0, v[2:3], off
	s_waitcnt vmcnt(0)
	v_cvt_f64_i32_e32 v[0:1], v0
.LBB112_1080:
	s_cbranch_execnz .LBB112_1086
.LBB112_1081:
	v_cmp_lt_i16_e32 vcc_lo, 0, v12
	s_mov_b32 s0, 0
	s_cbranch_vccz .LBB112_1083
; %bb.1082:
	global_load_i8 v0, v[2:3], off
	s_waitcnt vmcnt(0)
	v_cvt_f64_i32_e32 v[0:1], v0
	s_branch .LBB112_1084
.LBB112_1083:
	s_mov_b32 s0, -1
                                        ; implicit-def: $vgpr0_vgpr1
.LBB112_1084:
	s_delay_alu instid0(SALU_CYCLE_1)
	s_and_not1_b32 vcc_lo, exec_lo, s0
	s_cbranch_vccnz .LBB112_1086
; %bb.1085:
	global_load_u8 v0, v[2:3], off
	s_waitcnt vmcnt(0)
	v_cvt_f64_u32_e32 v[0:1], v0
.LBB112_1086:
                                        ; implicit-def: $vgpr2_vgpr3
	s_branch .LBB112_1157
.LBB112_1087:
	s_trap 2
	s_sendmsg_rtn_b32 s0, sendmsg(MSG_RTN_GET_DOORBELL)
	s_mov_b32 ttmp2, m0
	s_waitcnt lgkmcnt(0)
	s_and_b32 s0, s0, 0x3ff
	s_delay_alu instid0(SALU_CYCLE_1) | instskip(NEXT) | instid1(SALU_CYCLE_1)
	s_bitset1_b32 s0, 10
	s_mov_b32 m0, s0
	s_sendmsg sendmsg(MSG_INTERRUPT)
	s_mov_b32 m0, ttmp2
.LBB112_1088:                           ; =>This Inner Loop Header: Depth=1
	s_sethalt 5
	s_branch .LBB112_1088
.LBB112_1089:
	s_trap 2
	s_sendmsg_rtn_b32 s0, sendmsg(MSG_RTN_GET_DOORBELL)
	s_mov_b32 ttmp2, m0
	s_waitcnt lgkmcnt(0)
	s_and_b32 s0, s0, 0x3ff
	s_delay_alu instid0(SALU_CYCLE_1) | instskip(NEXT) | instid1(SALU_CYCLE_1)
	s_bitset1_b32 s0, 10
	s_mov_b32 m0, s0
	s_sendmsg sendmsg(MSG_INTERRUPT)
	s_mov_b32 m0, ttmp2
.LBB112_1090:                           ; =>This Inner Loop Header: Depth=1
	s_sethalt 5
	s_branch .LBB112_1090
.LBB112_1091:
	s_mov_b32 s2, -1
	s_mov_b32 s0, 0
.LBB112_1092:
                                        ; implicit-def: $vgpr0_vgpr1
.LBB112_1093:
	s_and_b32 vcc_lo, exec_lo, s1
	s_cbranch_vccz .LBB112_1096
; %bb.1094:
	v_cmp_eq_u16_e32 vcc_lo, 44, v12
	s_cbranch_vccz .LBB112_1097
; %bb.1095:
	global_load_u8 v5, v[2:3], off
	s_mov_b32 s2, 0
	s_mov_b32 s0, -1
	s_waitcnt vmcnt(0)
	v_lshlrev_b32_e32 v0, 23, v5
	v_cmp_ne_u32_e32 vcc_lo, 0xff, v5
	s_delay_alu instid0(VALU_DEP_2) | instskip(NEXT) | instid1(VALU_DEP_1)
	v_cvt_f64_f32_e32 v[0:1], v0
	v_cndmask_b32_e32 v0, 0x20000000, v0, vcc_lo
	s_delay_alu instid0(VALU_DEP_2) | instskip(SKIP_1) | instid1(VALU_DEP_2)
	v_cndmask_b32_e32 v1, 0x7ff80000, v1, vcc_lo
	v_cmp_ne_u32_e32 vcc_lo, 0, v5
	v_cndmask_b32_e32 v1, 0x38000000, v1, vcc_lo
	s_delay_alu instid0(VALU_DEP_4)
	v_cndmask_b32_e32 v0, 0, v0, vcc_lo
.LBB112_1096:
	s_branch .LBB112_1101
.LBB112_1097:
	s_mov_b32 s2, -1
                                        ; implicit-def: $vgpr0_vgpr1
	s_branch .LBB112_1101
.LBB112_1098:
	v_cmp_eq_u16_e32 vcc_lo, 29, v12
	s_cbranch_vccz .LBB112_1100
; %bb.1099:
	global_load_b64 v[0:1], v[2:3], off
	s_mov_b32 s2, 0
	s_mov_b32 s0, -1
	s_mov_b32 s1, 0
	s_waitcnt vmcnt(0)
	v_cvt_f64_u32_e32 v[5:6], v1
	v_cvt_f64_u32_e32 v[0:1], v0
	s_delay_alu instid0(VALU_DEP_2) | instskip(NEXT) | instid1(VALU_DEP_1)
	v_ldexp_f64 v[5:6], v[5:6], 32
	v_add_f64 v[0:1], v[5:6], v[0:1]
	s_branch .LBB112_1102
.LBB112_1100:
	s_mov_b32 s2, -1
                                        ; implicit-def: $vgpr0_vgpr1
.LBB112_1101:
	s_mov_b32 s1, 0
.LBB112_1102:
	s_delay_alu instid0(SALU_CYCLE_1)
	s_and_b32 vcc_lo, exec_lo, s1
	s_cbranch_vccz .LBB112_1122
; %bb.1103:
	v_cmp_gt_i16_e32 vcc_lo, 27, v12
	s_cbranch_vccnz .LBB112_1106
; %bb.1104:
	v_cmp_lt_i16_e32 vcc_lo, 27, v12
	s_cbranch_vccz .LBB112_1107
; %bb.1105:
	global_load_b32 v0, v[2:3], off
	s_mov_b32 s0, 0
	s_waitcnt vmcnt(0)
	v_cvt_f64_u32_e32 v[0:1], v0
	s_branch .LBB112_1108
.LBB112_1106:
	s_mov_b32 s0, -1
                                        ; implicit-def: $vgpr0_vgpr1
	s_branch .LBB112_1111
.LBB112_1107:
	s_mov_b32 s0, -1
                                        ; implicit-def: $vgpr0_vgpr1
.LBB112_1108:
	s_delay_alu instid0(SALU_CYCLE_1)
	s_and_not1_b32 vcc_lo, exec_lo, s0
	s_cbranch_vccnz .LBB112_1110
; %bb.1109:
	global_load_u16 v0, v[2:3], off
	s_waitcnt vmcnt(0)
	v_cvt_f64_u32_e32 v[0:1], v0
.LBB112_1110:
	s_mov_b32 s0, 0
.LBB112_1111:
	s_delay_alu instid0(SALU_CYCLE_1)
	s_and_not1_b32 vcc_lo, exec_lo, s0
	s_cbranch_vccnz .LBB112_1121
; %bb.1112:
	global_load_u8 v5, v[2:3], off
	s_mov_b32 s13, exec_lo
                                        ; implicit-def: $sgpr0_sgpr1
	s_waitcnt vmcnt(0)
	v_cmpx_lt_i16_e32 0x7f, v5
	s_xor_b32 s13, exec_lo, s13
	s_cbranch_execz .LBB112_1116
; %bb.1113:
	s_mov_b32 s14, -1
	s_mov_b32 s3, exec_lo
                                        ; implicit-def: $sgpr0_sgpr1
	v_cmpx_eq_u16_e32 0x80, v5
; %bb.1114:
	s_mov_b32 s1, 0x7ff80000
	s_brev_b32 s0, 4
	s_xor_b32 s14, exec_lo, -1
; %bb.1115:
	s_or_b32 exec_lo, exec_lo, s3
	s_delay_alu instid0(SALU_CYCLE_1)
	s_and_b32 s3, s14, exec_lo
.LBB112_1116:
	s_or_saveexec_b32 s13, s13
	v_dual_mov_b32 v0, s0 :: v_dual_mov_b32 v1, s1
	s_xor_b32 exec_lo, exec_lo, s13
; %bb.1117:
	v_cmp_ne_u16_e32 vcc_lo, 0, v5
	v_mov_b32_e32 v0, 0
	v_mov_b32_e32 v1, 0
	s_and_not1_b32 s0, s3, exec_lo
	s_and_b32 s1, vcc_lo, exec_lo
	s_delay_alu instid0(SALU_CYCLE_1)
	s_or_b32 s3, s0, s1
; %bb.1118:
	s_or_b32 exec_lo, exec_lo, s13
	s_and_saveexec_b32 s0, s3
	s_cbranch_execz .LBB112_1120
; %bb.1119:
	v_and_b32_e32 v0, 0xffff, v5
	v_lshlrev_b32_e32 v5, 24, v5
	s_delay_alu instid0(VALU_DEP_2) | instskip(NEXT) | instid1(VALU_DEP_2)
	v_and_b32_e32 v1, 7, v0
	v_and_b32_e32 v5, 0x80000000, v5
	s_delay_alu instid0(VALU_DEP_2) | instskip(NEXT) | instid1(VALU_DEP_1)
	v_clz_i32_u32_e32 v6, v1
	v_min_u32_e32 v6, 32, v6
	s_delay_alu instid0(VALU_DEP_1) | instskip(SKIP_1) | instid1(VALU_DEP_2)
	v_subrev_nc_u32_e32 v7, 28, v6
	v_sub_nc_u32_e32 v6, 29, v6
	v_lshlrev_b32_e32 v7, v7, v0
	v_bfe_u32 v0, v0, 3, 4
	s_delay_alu instid0(VALU_DEP_2) | instskip(NEXT) | instid1(VALU_DEP_2)
	v_and_b32_e32 v7, 7, v7
	v_cmp_eq_u32_e32 vcc_lo, 0, v0
	s_delay_alu instid0(VALU_DEP_2) | instskip(NEXT) | instid1(VALU_DEP_1)
	v_dual_cndmask_b32 v0, v0, v6 :: v_dual_cndmask_b32 v1, v1, v7
	v_lshl_add_u32 v0, v0, 23, 0x3b800000
	s_delay_alu instid0(VALU_DEP_2) | instskip(NEXT) | instid1(VALU_DEP_1)
	v_lshlrev_b32_e32 v1, 20, v1
	v_or3_b32 v0, v5, v0, v1
	s_delay_alu instid0(VALU_DEP_1)
	v_cvt_f64_f32_e32 v[0:1], v0
.LBB112_1120:
	s_or_b32 exec_lo, exec_lo, s0
.LBB112_1121:
	s_mov_b32 s0, -1
.LBB112_1122:
	s_branch .LBB112_1152
.LBB112_1123:
	v_cmp_lt_i16_e32 vcc_lo, 22, v12
	s_cbranch_vccz .LBB112_1135
; %bb.1124:
	v_cmp_gt_i16_e32 vcc_lo, 24, v12
	s_cbranch_vccnz .LBB112_1136
; %bb.1125:
	v_cmp_lt_i16_e32 vcc_lo, 24, v12
	s_cbranch_vccz .LBB112_1137
; %bb.1126:
	global_load_u8 v5, v[2:3], off
	s_mov_b32 s3, 0
	s_mov_b32 s12, exec_lo
                                        ; implicit-def: $sgpr0_sgpr1
	s_waitcnt vmcnt(0)
	v_cmpx_lt_i16_e32 0x7f, v5
	s_xor_b32 s12, exec_lo, s12
	s_cbranch_execz .LBB112_1130
; %bb.1127:
	s_mov_b32 s13, -1
	s_mov_b32 s3, exec_lo
                                        ; implicit-def: $sgpr0_sgpr1
	v_cmpx_eq_u16_e32 0x80, v5
; %bb.1128:
	s_mov_b32 s1, 0x7ff80000
	s_brev_b32 s0, 4
	s_xor_b32 s13, exec_lo, -1
; %bb.1129:
	s_or_b32 exec_lo, exec_lo, s3
	s_delay_alu instid0(SALU_CYCLE_1)
	s_and_b32 s3, s13, exec_lo
.LBB112_1130:
	s_or_saveexec_b32 s12, s12
	v_dual_mov_b32 v0, s0 :: v_dual_mov_b32 v1, s1
	s_xor_b32 exec_lo, exec_lo, s12
; %bb.1131:
	v_cmp_ne_u16_e32 vcc_lo, 0, v5
	v_mov_b32_e32 v0, 0
	v_mov_b32_e32 v1, 0
	s_and_not1_b32 s0, s3, exec_lo
	s_and_b32 s1, vcc_lo, exec_lo
	s_delay_alu instid0(SALU_CYCLE_1)
	s_or_b32 s3, s0, s1
; %bb.1132:
	s_or_b32 exec_lo, exec_lo, s12
	s_and_saveexec_b32 s0, s3
	s_cbranch_execz .LBB112_1134
; %bb.1133:
	v_and_b32_e32 v0, 0xffff, v5
	v_lshlrev_b32_e32 v5, 24, v5
	s_delay_alu instid0(VALU_DEP_2) | instskip(NEXT) | instid1(VALU_DEP_2)
	v_and_b32_e32 v1, 3, v0
	v_and_b32_e32 v5, 0x80000000, v5
	s_delay_alu instid0(VALU_DEP_2) | instskip(NEXT) | instid1(VALU_DEP_1)
	v_clz_i32_u32_e32 v6, v1
	v_min_u32_e32 v6, 32, v6
	s_delay_alu instid0(VALU_DEP_1) | instskip(SKIP_1) | instid1(VALU_DEP_2)
	v_subrev_nc_u32_e32 v7, 29, v6
	v_sub_nc_u32_e32 v6, 30, v6
	v_lshlrev_b32_e32 v7, v7, v0
	v_bfe_u32 v0, v0, 2, 5
	s_delay_alu instid0(VALU_DEP_2) | instskip(NEXT) | instid1(VALU_DEP_2)
	v_and_b32_e32 v7, 3, v7
	v_cmp_eq_u32_e32 vcc_lo, 0, v0
	s_delay_alu instid0(VALU_DEP_2) | instskip(NEXT) | instid1(VALU_DEP_1)
	v_dual_cndmask_b32 v0, v0, v6 :: v_dual_cndmask_b32 v1, v1, v7
	v_lshl_add_u32 v0, v0, 23, 0x37800000
	s_delay_alu instid0(VALU_DEP_2) | instskip(NEXT) | instid1(VALU_DEP_1)
	v_lshlrev_b32_e32 v1, 21, v1
	v_or3_b32 v0, v5, v0, v1
	s_delay_alu instid0(VALU_DEP_1)
	v_cvt_f64_f32_e32 v[0:1], v0
.LBB112_1134:
	s_or_b32 exec_lo, exec_lo, s0
	s_mov_b32 s0, 0
	s_branch .LBB112_1138
.LBB112_1135:
                                        ; implicit-def: $vgpr0_vgpr1
	s_mov_b32 s12, 0
	s_branch .LBB112_1144
.LBB112_1136:
	s_mov_b32 s0, -1
                                        ; implicit-def: $vgpr0_vgpr1
	s_branch .LBB112_1141
.LBB112_1137:
	s_mov_b32 s0, -1
                                        ; implicit-def: $vgpr0_vgpr1
.LBB112_1138:
	s_delay_alu instid0(SALU_CYCLE_1)
	s_and_b32 vcc_lo, exec_lo, s0
	s_cbranch_vccz .LBB112_1140
; %bb.1139:
	global_load_u8 v0, v[2:3], off
	s_waitcnt vmcnt(0)
	v_lshlrev_b32_e32 v0, 24, v0
	s_delay_alu instid0(VALU_DEP_1) | instskip(NEXT) | instid1(VALU_DEP_1)
	v_and_b32_e32 v1, 0x7f000000, v0
	v_clz_i32_u32_e32 v5, v1
	v_add_nc_u32_e32 v7, 0x1000000, v1
	v_cmp_ne_u32_e32 vcc_lo, 0, v1
	s_delay_alu instid0(VALU_DEP_3) | instskip(NEXT) | instid1(VALU_DEP_1)
	v_min_u32_e32 v5, 32, v5
	v_sub_nc_u32_e64 v5, v5, 4 clamp
	s_delay_alu instid0(VALU_DEP_1) | instskip(SKIP_1) | instid1(VALU_DEP_2)
	v_lshlrev_b32_e32 v6, v5, v1
	v_lshlrev_b32_e32 v5, 23, v5
	v_lshrrev_b32_e32 v6, 4, v6
	s_delay_alu instid0(VALU_DEP_1) | instskip(SKIP_1) | instid1(VALU_DEP_2)
	v_sub_nc_u32_e32 v5, v6, v5
	v_ashrrev_i32_e32 v6, 8, v7
	v_add_nc_u32_e32 v5, 0x3c000000, v5
	s_delay_alu instid0(VALU_DEP_1) | instskip(NEXT) | instid1(VALU_DEP_1)
	v_and_or_b32 v5, 0x7f800000, v6, v5
	v_cndmask_b32_e32 v1, 0, v5, vcc_lo
	s_delay_alu instid0(VALU_DEP_1) | instskip(NEXT) | instid1(VALU_DEP_1)
	v_and_or_b32 v0, 0x80000000, v0, v1
	v_cvt_f64_f32_e32 v[0:1], v0
.LBB112_1140:
	s_mov_b32 s0, 0
.LBB112_1141:
	s_delay_alu instid0(SALU_CYCLE_1)
	s_and_not1_b32 vcc_lo, exec_lo, s0
	s_cbranch_vccnz .LBB112_1143
; %bb.1142:
	global_load_u8 v0, v[2:3], off
	s_waitcnt vmcnt(0)
	v_lshlrev_b32_e32 v1, 25, v0
	v_lshlrev_b16 v0, 8, v0
	s_delay_alu instid0(VALU_DEP_1) | instskip(SKIP_1) | instid1(VALU_DEP_2)
	v_and_or_b32 v6, 0x7f00, v0, 0.5
	v_bfe_i32 v0, v0, 0, 16
	v_add_f32_e32 v6, -0.5, v6
	v_lshrrev_b32_e32 v5, 4, v1
	v_cmp_gt_u32_e32 vcc_lo, 0x8000000, v1
	s_delay_alu instid0(VALU_DEP_2) | instskip(NEXT) | instid1(VALU_DEP_1)
	v_or_b32_e32 v5, 0x70000000, v5
	v_mul_f32_e32 v5, 0x7800000, v5
	s_delay_alu instid0(VALU_DEP_1) | instskip(NEXT) | instid1(VALU_DEP_1)
	v_cndmask_b32_e32 v1, v5, v6, vcc_lo
	v_and_or_b32 v0, 0x80000000, v0, v1
	s_delay_alu instid0(VALU_DEP_1)
	v_cvt_f64_f32_e32 v[0:1], v0
.LBB112_1143:
	s_mov_b32 s0, -1
	s_mov_b32 s12, 0
	s_cbranch_execnz .LBB112_1152
.LBB112_1144:
	v_cmp_lt_i16_e32 vcc_lo, 14, v12
	s_cbranch_vccz .LBB112_1147
; %bb.1145:
	v_cmp_eq_u16_e32 vcc_lo, 15, v12
	s_cbranch_vccz .LBB112_1148
; %bb.1146:
	global_load_u16 v0, v[2:3], off
	s_mov_b32 s2, 0
	s_mov_b32 s0, -1
	s_waitcnt vmcnt(0)
	v_lshlrev_b32_e32 v0, 16, v0
	s_delay_alu instid0(VALU_DEP_1)
	v_cvt_f64_f32_e32 v[0:1], v0
	s_branch .LBB112_1149
.LBB112_1147:
	s_mov_b32 s1, -1
                                        ; implicit-def: $vgpr0_vgpr1
	s_branch .LBB112_1150
.LBB112_1148:
	s_mov_b32 s2, -1
                                        ; implicit-def: $vgpr0_vgpr1
.LBB112_1149:
	s_mov_b32 s1, 0
.LBB112_1150:
	s_delay_alu instid0(SALU_CYCLE_1)
	s_and_b32 vcc_lo, exec_lo, s1
	s_cbranch_vccz .LBB112_1152
; %bb.1151:
	v_cmp_ne_u16_e64 s2, 11, v12
	s_mov_b32 s12, -1
                                        ; implicit-def: $vgpr0_vgpr1
.LBB112_1152:
	s_delay_alu instid0(VALU_DEP_1)
	s_and_b32 vcc_lo, exec_lo, s2
	s_mov_b32 s3, s11
	s_cbranch_vccnz .LBB112_1176
; %bb.1153:
	s_and_not1_b32 vcc_lo, exec_lo, s12
	s_cbranch_vccnz .LBB112_1155
.LBB112_1154:
	global_load_u8 v0, v[2:3], off
	s_mov_b32 s0, -1
	s_waitcnt vmcnt(0)
	v_cmp_ne_u16_e32 vcc_lo, 0, v0
	v_mov_b32_e32 v0, 0
	v_cndmask_b32_e64 v1, 0, 0x3ff00000, vcc_lo
.LBB112_1155:
.LBB112_1156:
	s_and_not1_b32 vcc_lo, exec_lo, s0
                                        ; implicit-def: $vgpr2_vgpr3
	s_cbranch_vccnz .LBB112_1989
.LBB112_1157:
	s_lshl_b32 s2, s9, 7
	v_cmp_gt_i16_e32 vcc_lo, 11, v12
	v_add_nc_u32_e32 v4, s2, v4
	s_delay_alu instid0(VALU_DEP_1) | instskip(SKIP_1) | instid1(VALU_DEP_1)
	v_ashrrev_i32_e32 v3, 31, v4
	v_add_co_u32 v2, s0, s6, v4
	v_add_co_ci_u32_e64 v3, s0, s7, v3, s0
	s_cbranch_vccnz .LBB112_1164
; %bb.1158:
	v_cmp_lt_i16_e32 vcc_lo, 25, v12
	s_mov_b32 s12, 0
	s_cbranch_vccz .LBB112_1170
; %bb.1159:
	v_cmp_lt_i16_e32 vcc_lo, 28, v12
	s_cbranch_vccz .LBB112_1172
; %bb.1160:
	v_cmp_lt_i16_e32 vcc_lo, 43, v12
	;; [unrolled: 3-line block ×3, first 2 shown]
	s_cbranch_vccz .LBB112_1180
; %bb.1162:
	v_cmp_eq_u16_e32 vcc_lo, 46, v12
	s_mov_b32 s1, 0
	s_cbranch_vccz .LBB112_1224
; %bb.1163:
	global_load_b32 v5, v[2:3], off
	s_mov_b32 s9, 0
	s_mov_b32 s0, -1
	s_waitcnt vmcnt(0)
	v_lshlrev_b32_e32 v5, 16, v5
	s_delay_alu instid0(VALU_DEP_1)
	v_cvt_f64_f32_e32 v[8:9], v5
	s_branch .LBB112_1226
.LBB112_1164:
	s_mov_b32 s0, 0
                                        ; implicit-def: $vgpr8_vgpr9
	s_cbranch_execz .LBB112_1291
; %bb.1165:
	v_cmp_gt_i16_e32 vcc_lo, 5, v12
	s_cbranch_vccnz .LBB112_1171
; %bb.1166:
	v_cmp_gt_i16_e32 vcc_lo, 8, v12
	s_cbranch_vccnz .LBB112_1173
	;; [unrolled: 3-line block ×3, first 2 shown]
; %bb.1168:
	v_cmp_lt_i16_e32 vcc_lo, 9, v12
	s_cbranch_vccz .LBB112_1181
; %bb.1169:
	global_load_b64 v[8:9], v[2:3], off
	s_mov_b32 s0, 0
	s_branch .LBB112_1182
.LBB112_1170:
	s_mov_b32 s0, 0
	s_mov_b32 s9, 0
                                        ; implicit-def: $vgpr8_vgpr9
	s_cbranch_execnz .LBB112_1257
	s_branch .LBB112_1287
.LBB112_1171:
                                        ; implicit-def: $vgpr8_vgpr9
	s_branch .LBB112_1200
.LBB112_1172:
	s_mov_b32 s1, -1
	s_mov_b32 s0, 0
	s_mov_b32 s9, 0
                                        ; implicit-def: $vgpr8_vgpr9
	s_branch .LBB112_1236
.LBB112_1173:
	s_mov_b32 s0, -1
                                        ; implicit-def: $vgpr8_vgpr9
	s_branch .LBB112_1188
.LBB112_1174:
	s_mov_b32 s1, -1
	s_mov_b32 s0, 0
	s_mov_b32 s9, 0
                                        ; implicit-def: $vgpr8_vgpr9
	s_branch .LBB112_1231
.LBB112_1175:
	s_mov_b32 s0, -1
                                        ; implicit-def: $vgpr8_vgpr9
	s_branch .LBB112_1185
.LBB112_1176:
	s_cbranch_execnz .LBB112_1220
; %bb.1177:
	s_or_b32 s3, s11, exec_lo
                                        ; implicit-def: $vgpr0_vgpr1
	s_cbranch_execz .LBB112_1154
	s_branch .LBB112_1155
.LBB112_1178:
	s_or_saveexec_b32 s14, s14
                                        ; implicit-def: $sgpr15
	s_delay_alu instid0(SALU_CYCLE_1)
	s_xor_b32 exec_lo, exec_lo, s14
	s_cbranch_execz .LBB112_938
.LBB112_1179:
	v_add_f32_e64 v3, 0x46000000, |v2|
	s_and_not1_b32 s2, s2, exec_lo
	s_mov_b32 s15, 0
	s_delay_alu instid0(VALU_DEP_1) | instskip(NEXT) | instid1(VALU_DEP_1)
	v_and_b32_e32 v3, 0xff, v3
	v_cmp_ne_u32_e32 vcc_lo, 0, v3
	s_and_b32 s16, vcc_lo, exec_lo
	s_delay_alu instid0(SALU_CYCLE_1)
	s_or_b32 s2, s2, s16
	s_or_b32 exec_lo, exec_lo, s14
	v_mov_b32_e32 v7, s15
	s_and_saveexec_b32 s14, s2
	s_cbranch_execnz .LBB112_939
	s_branch .LBB112_940
.LBB112_1180:
	s_mov_b32 s1, -1
	s_mov_b32 s0, 0
	s_mov_b32 s9, 0
	s_branch .LBB112_1225
.LBB112_1181:
	s_mov_b32 s0, -1
                                        ; implicit-def: $vgpr8_vgpr9
.LBB112_1182:
	s_delay_alu instid0(SALU_CYCLE_1)
	s_and_not1_b32 vcc_lo, exec_lo, s0
	s_cbranch_vccnz .LBB112_1184
; %bb.1183:
	global_load_b32 v5, v[2:3], off
	s_waitcnt vmcnt(0)
	v_cvt_f64_f32_e32 v[8:9], v5
.LBB112_1184:
	s_mov_b32 s0, 0
.LBB112_1185:
	s_delay_alu instid0(SALU_CYCLE_1)
	s_and_not1_b32 vcc_lo, exec_lo, s0
	s_cbranch_vccnz .LBB112_1187
; %bb.1186:
	global_load_b32 v5, v[2:3], off
	s_waitcnt vmcnt(0)
	v_cvt_f32_f16_e32 v5, v5
	s_delay_alu instid0(VALU_DEP_1)
	v_cvt_f64_f32_e32 v[8:9], v5
.LBB112_1187:
	s_mov_b32 s0, 0
.LBB112_1188:
	s_delay_alu instid0(SALU_CYCLE_1)
	s_and_not1_b32 vcc_lo, exec_lo, s0
	s_cbranch_vccnz .LBB112_1199
; %bb.1189:
	v_cmp_gt_i16_e32 vcc_lo, 6, v12
	s_cbranch_vccnz .LBB112_1192
; %bb.1190:
	v_cmp_lt_i16_e32 vcc_lo, 6, v12
	s_cbranch_vccz .LBB112_1193
; %bb.1191:
	global_load_b64 v[8:9], v[2:3], off
	s_mov_b32 s0, 0
	s_branch .LBB112_1194
.LBB112_1192:
	s_mov_b32 s0, -1
                                        ; implicit-def: $vgpr8_vgpr9
	s_branch .LBB112_1197
.LBB112_1193:
	s_mov_b32 s0, -1
                                        ; implicit-def: $vgpr8_vgpr9
.LBB112_1194:
	s_delay_alu instid0(SALU_CYCLE_1)
	s_and_not1_b32 vcc_lo, exec_lo, s0
	s_cbranch_vccnz .LBB112_1196
; %bb.1195:
	global_load_b32 v5, v[2:3], off
	s_waitcnt vmcnt(0)
	v_cvt_f64_f32_e32 v[8:9], v5
.LBB112_1196:
	s_mov_b32 s0, 0
.LBB112_1197:
	s_delay_alu instid0(SALU_CYCLE_1)
	s_and_not1_b32 vcc_lo, exec_lo, s0
	s_cbranch_vccnz .LBB112_1199
; %bb.1198:
	global_load_u16 v5, v[2:3], off
	s_waitcnt vmcnt(0)
	v_cvt_f32_f16_e32 v5, v5
	s_delay_alu instid0(VALU_DEP_1)
	v_cvt_f64_f32_e32 v[8:9], v5
.LBB112_1199:
	s_cbranch_execnz .LBB112_1219
.LBB112_1200:
	v_cmp_gt_i16_e32 vcc_lo, 2, v12
	s_cbranch_vccnz .LBB112_1204
; %bb.1201:
	v_cmp_gt_i16_e32 vcc_lo, 3, v12
	s_cbranch_vccnz .LBB112_1205
; %bb.1202:
	v_cmp_lt_i16_e32 vcc_lo, 3, v12
	s_cbranch_vccz .LBB112_1206
; %bb.1203:
	global_load_b64 v[5:6], v[2:3], off
	s_mov_b32 s0, 0
	s_waitcnt vmcnt(0)
	v_cvt_f64_i32_e32 v[6:7], v6
	v_cvt_f64_u32_e32 v[8:9], v5
	s_delay_alu instid0(VALU_DEP_2) | instskip(NEXT) | instid1(VALU_DEP_1)
	v_ldexp_f64 v[6:7], v[6:7], 32
	v_add_f64 v[8:9], v[6:7], v[8:9]
	s_branch .LBB112_1207
.LBB112_1204:
	s_mov_b32 s0, -1
                                        ; implicit-def: $vgpr8_vgpr9
	s_branch .LBB112_1213
.LBB112_1205:
	s_mov_b32 s0, -1
                                        ; implicit-def: $vgpr8_vgpr9
	s_branch .LBB112_1210
.LBB112_1206:
	s_mov_b32 s0, -1
                                        ; implicit-def: $vgpr8_vgpr9
.LBB112_1207:
	s_delay_alu instid0(SALU_CYCLE_1)
	s_and_not1_b32 vcc_lo, exec_lo, s0
	s_cbranch_vccnz .LBB112_1209
; %bb.1208:
	global_load_b32 v5, v[2:3], off
	s_waitcnt vmcnt(0)
	v_cvt_f64_i32_e32 v[8:9], v5
.LBB112_1209:
	s_mov_b32 s0, 0
.LBB112_1210:
	s_delay_alu instid0(SALU_CYCLE_1)
	s_and_not1_b32 vcc_lo, exec_lo, s0
	s_cbranch_vccnz .LBB112_1212
; %bb.1211:
	global_load_i16 v5, v[2:3], off
	s_waitcnt vmcnt(0)
	v_cvt_f64_i32_e32 v[8:9], v5
.LBB112_1212:
	s_mov_b32 s0, 0
.LBB112_1213:
	s_delay_alu instid0(SALU_CYCLE_1)
	s_and_not1_b32 vcc_lo, exec_lo, s0
	s_cbranch_vccnz .LBB112_1219
; %bb.1214:
	v_cmp_lt_i16_e32 vcc_lo, 0, v12
	s_mov_b32 s0, 0
	s_cbranch_vccz .LBB112_1216
; %bb.1215:
	global_load_i8 v5, v[2:3], off
	s_waitcnt vmcnt(0)
	v_cvt_f64_i32_e32 v[8:9], v5
	s_branch .LBB112_1217
.LBB112_1216:
	s_mov_b32 s0, -1
                                        ; implicit-def: $vgpr8_vgpr9
.LBB112_1217:
	s_delay_alu instid0(SALU_CYCLE_1)
	s_and_not1_b32 vcc_lo, exec_lo, s0
	s_cbranch_vccnz .LBB112_1219
; %bb.1218:
	global_load_u8 v2, v[2:3], off
	s_waitcnt vmcnt(0)
	v_cvt_f64_u32_e32 v[8:9], v2
.LBB112_1219:
	s_branch .LBB112_1292
.LBB112_1220:
	s_trap 2
	s_sendmsg_rtn_b32 s0, sendmsg(MSG_RTN_GET_DOORBELL)
	s_mov_b32 ttmp2, m0
	s_waitcnt lgkmcnt(0)
	s_and_b32 s0, s0, 0x3ff
	s_delay_alu instid0(SALU_CYCLE_1) | instskip(NEXT) | instid1(SALU_CYCLE_1)
	s_bitset1_b32 s0, 10
	s_mov_b32 m0, s0
	s_sendmsg sendmsg(MSG_INTERRUPT)
	s_mov_b32 m0, ttmp2
.LBB112_1221:                           ; =>This Inner Loop Header: Depth=1
	s_sethalt 5
	s_branch .LBB112_1221
.LBB112_1222:
	s_or_saveexec_b32 s15, s15
                                        ; implicit-def: $sgpr16
	s_delay_alu instid0(SALU_CYCLE_1)
	s_xor_b32 exec_lo, exec_lo, s15
	s_cbranch_execz .LBB112_950
.LBB112_1223:
	v_add_f32_e64 v3, 0x42800000, |v2|
	s_and_not1_b32 s2, s2, exec_lo
	s_mov_b32 s16, 0
	s_delay_alu instid0(VALU_DEP_1) | instskip(NEXT) | instid1(VALU_DEP_1)
	v_and_b32_e32 v3, 0xff, v3
	v_cmp_ne_u32_e32 vcc_lo, 0, v3
	s_and_b32 s17, vcc_lo, exec_lo
	s_delay_alu instid0(SALU_CYCLE_1)
	s_or_b32 s2, s2, s17
	s_or_b32 exec_lo, exec_lo, s15
	v_mov_b32_e32 v7, s16
	s_and_saveexec_b32 s15, s2
	s_cbranch_execnz .LBB112_951
	s_branch .LBB112_952
.LBB112_1224:
	s_mov_b32 s9, -1
	s_mov_b32 s0, 0
.LBB112_1225:
                                        ; implicit-def: $vgpr8_vgpr9
.LBB112_1226:
	s_and_b32 vcc_lo, exec_lo, s1
	s_cbranch_vccz .LBB112_1230
; %bb.1227:
	v_cmp_eq_u16_e32 vcc_lo, 44, v12
	s_cbranch_vccz .LBB112_1229
; %bb.1228:
	global_load_u8 v7, v[2:3], off
	s_mov_b32 s9, 0
	s_mov_b32 s0, -1
	s_waitcnt vmcnt(0)
	v_cmp_ne_u32_e32 vcc_lo, 0xff, v7
	v_lshlrev_b32_e32 v5, 23, v7
	s_delay_alu instid0(VALU_DEP_1) | instskip(NEXT) | instid1(VALU_DEP_1)
	v_cvt_f64_f32_e32 v[5:6], v5
	v_cndmask_b32_e32 v6, 0x7ff80000, v6, vcc_lo
	s_delay_alu instid0(VALU_DEP_2) | instskip(SKIP_1) | instid1(VALU_DEP_3)
	v_cndmask_b32_e32 v5, 0x20000000, v5, vcc_lo
	v_cmp_ne_u32_e32 vcc_lo, 0, v7
	v_cndmask_b32_e32 v9, 0x38000000, v6, vcc_lo
	s_delay_alu instid0(VALU_DEP_3)
	v_cndmask_b32_e32 v8, 0, v5, vcc_lo
	s_branch .LBB112_1230
.LBB112_1229:
	s_mov_b32 s9, -1
                                        ; implicit-def: $vgpr8_vgpr9
.LBB112_1230:
	s_mov_b32 s1, 0
.LBB112_1231:
	s_delay_alu instid0(SALU_CYCLE_1)
	s_and_b32 vcc_lo, exec_lo, s1
	s_cbranch_vccz .LBB112_1235
; %bb.1232:
	v_cmp_eq_u16_e32 vcc_lo, 29, v12
	s_cbranch_vccz .LBB112_1234
; %bb.1233:
	global_load_b64 v[5:6], v[2:3], off
	s_mov_b32 s9, 0
	s_mov_b32 s0, -1
	s_mov_b32 s1, 0
	s_waitcnt vmcnt(0)
	v_cvt_f64_u32_e32 v[6:7], v6
	v_cvt_f64_u32_e32 v[8:9], v5
	s_delay_alu instid0(VALU_DEP_2) | instskip(NEXT) | instid1(VALU_DEP_1)
	v_ldexp_f64 v[6:7], v[6:7], 32
	v_add_f64 v[8:9], v[6:7], v[8:9]
	s_branch .LBB112_1236
.LBB112_1234:
	s_mov_b32 s9, -1
                                        ; implicit-def: $vgpr8_vgpr9
.LBB112_1235:
	s_mov_b32 s1, 0
.LBB112_1236:
	s_delay_alu instid0(SALU_CYCLE_1)
	s_and_b32 vcc_lo, exec_lo, s1
	s_cbranch_vccz .LBB112_1256
; %bb.1237:
	v_cmp_gt_i16_e32 vcc_lo, 27, v12
	s_cbranch_vccnz .LBB112_1240
; %bb.1238:
	v_cmp_lt_i16_e32 vcc_lo, 27, v12
	s_cbranch_vccz .LBB112_1241
; %bb.1239:
	global_load_b32 v5, v[2:3], off
	s_mov_b32 s0, 0
	s_waitcnt vmcnt(0)
	v_cvt_f64_u32_e32 v[8:9], v5
	s_branch .LBB112_1242
.LBB112_1240:
	s_mov_b32 s0, -1
                                        ; implicit-def: $vgpr8_vgpr9
	s_branch .LBB112_1245
.LBB112_1241:
	s_mov_b32 s0, -1
                                        ; implicit-def: $vgpr8_vgpr9
.LBB112_1242:
	s_delay_alu instid0(SALU_CYCLE_1)
	s_and_not1_b32 vcc_lo, exec_lo, s0
	s_cbranch_vccnz .LBB112_1244
; %bb.1243:
	global_load_u16 v5, v[2:3], off
	s_waitcnt vmcnt(0)
	v_cvt_f64_u32_e32 v[8:9], v5
.LBB112_1244:
	s_mov_b32 s0, 0
.LBB112_1245:
	s_delay_alu instid0(SALU_CYCLE_1)
	s_and_not1_b32 vcc_lo, exec_lo, s0
	s_cbranch_vccnz .LBB112_1255
; %bb.1246:
	global_load_u8 v5, v[2:3], off
	s_mov_b32 s13, 0
	s_mov_b32 s14, exec_lo
                                        ; implicit-def: $sgpr0_sgpr1
	s_waitcnt vmcnt(0)
	v_cmpx_lt_i16_e32 0x7f, v5
	s_xor_b32 s14, exec_lo, s14
	s_cbranch_execz .LBB112_1250
; %bb.1247:
	s_mov_b32 s15, -1
	s_mov_b32 s13, exec_lo
                                        ; implicit-def: $sgpr0_sgpr1
	v_cmpx_eq_u16_e32 0x80, v5
; %bb.1248:
	s_mov_b32 s1, 0x7ff80000
	s_brev_b32 s0, 4
	s_xor_b32 s15, exec_lo, -1
; %bb.1249:
	s_or_b32 exec_lo, exec_lo, s13
	s_delay_alu instid0(SALU_CYCLE_1)
	s_and_b32 s13, s15, exec_lo
.LBB112_1250:
	s_or_saveexec_b32 s14, s14
	v_dual_mov_b32 v9, s1 :: v_dual_mov_b32 v8, s0
	s_xor_b32 exec_lo, exec_lo, s14
; %bb.1251:
	v_cmp_ne_u16_e32 vcc_lo, 0, v5
	v_mov_b32_e32 v8, 0
	v_mov_b32_e32 v9, 0
	s_and_not1_b32 s0, s13, exec_lo
	s_and_b32 s1, vcc_lo, exec_lo
	s_delay_alu instid0(SALU_CYCLE_1)
	s_or_b32 s13, s0, s1
; %bb.1252:
	s_or_b32 exec_lo, exec_lo, s14
	s_and_saveexec_b32 s0, s13
	s_cbranch_execz .LBB112_1254
; %bb.1253:
	v_and_b32_e32 v6, 0xffff, v5
	v_lshlrev_b32_e32 v5, 24, v5
	s_delay_alu instid0(VALU_DEP_2) | instskip(NEXT) | instid1(VALU_DEP_2)
	v_and_b32_e32 v7, 7, v6
	v_and_b32_e32 v5, 0x80000000, v5
	s_delay_alu instid0(VALU_DEP_2) | instskip(NEXT) | instid1(VALU_DEP_1)
	v_clz_i32_u32_e32 v8, v7
	v_min_u32_e32 v8, 32, v8
	s_delay_alu instid0(VALU_DEP_1) | instskip(SKIP_1) | instid1(VALU_DEP_2)
	v_subrev_nc_u32_e32 v9, 28, v8
	v_sub_nc_u32_e32 v8, 29, v8
	v_lshlrev_b32_e32 v9, v9, v6
	v_bfe_u32 v6, v6, 3, 4
	s_delay_alu instid0(VALU_DEP_2) | instskip(NEXT) | instid1(VALU_DEP_2)
	v_and_b32_e32 v9, 7, v9
	v_cmp_eq_u32_e32 vcc_lo, 0, v6
	s_delay_alu instid0(VALU_DEP_2) | instskip(NEXT) | instid1(VALU_DEP_1)
	v_dual_cndmask_b32 v6, v6, v8 :: v_dual_cndmask_b32 v7, v7, v9
	v_lshl_add_u32 v6, v6, 23, 0x3b800000
	s_delay_alu instid0(VALU_DEP_2) | instskip(NEXT) | instid1(VALU_DEP_1)
	v_lshlrev_b32_e32 v7, 20, v7
	v_or3_b32 v5, v5, v6, v7
	s_delay_alu instid0(VALU_DEP_1)
	v_cvt_f64_f32_e32 v[8:9], v5
.LBB112_1254:
	s_or_b32 exec_lo, exec_lo, s0
.LBB112_1255:
	s_mov_b32 s0, -1
.LBB112_1256:
	s_branch .LBB112_1287
.LBB112_1257:
	v_cmp_lt_i16_e32 vcc_lo, 22, v12
	s_cbranch_vccz .LBB112_1269
; %bb.1258:
	v_cmp_gt_i16_e32 vcc_lo, 24, v12
	s_cbranch_vccnz .LBB112_1270
; %bb.1259:
	v_cmp_lt_i16_e32 vcc_lo, 24, v12
	s_cbranch_vccz .LBB112_1271
; %bb.1260:
	global_load_u8 v5, v[2:3], off
	s_mov_b32 s13, exec_lo
                                        ; implicit-def: $sgpr0_sgpr1
	s_waitcnt vmcnt(0)
	v_cmpx_lt_i16_e32 0x7f, v5
	s_xor_b32 s13, exec_lo, s13
	s_cbranch_execz .LBB112_1264
; %bb.1261:
	s_mov_b32 s14, -1
	s_mov_b32 s12, exec_lo
                                        ; implicit-def: $sgpr0_sgpr1
	v_cmpx_eq_u16_e32 0x80, v5
; %bb.1262:
	s_mov_b32 s1, 0x7ff80000
	s_brev_b32 s0, 4
	s_xor_b32 s14, exec_lo, -1
; %bb.1263:
	s_or_b32 exec_lo, exec_lo, s12
	s_delay_alu instid0(SALU_CYCLE_1)
	s_and_b32 s12, s14, exec_lo
.LBB112_1264:
	s_or_saveexec_b32 s13, s13
	v_dual_mov_b32 v9, s1 :: v_dual_mov_b32 v8, s0
	s_xor_b32 exec_lo, exec_lo, s13
; %bb.1265:
	v_cmp_ne_u16_e32 vcc_lo, 0, v5
	v_mov_b32_e32 v8, 0
	v_mov_b32_e32 v9, 0
	s_and_not1_b32 s0, s12, exec_lo
	s_and_b32 s1, vcc_lo, exec_lo
	s_delay_alu instid0(SALU_CYCLE_1)
	s_or_b32 s12, s0, s1
; %bb.1266:
	s_or_b32 exec_lo, exec_lo, s13
	s_and_saveexec_b32 s0, s12
	s_cbranch_execz .LBB112_1268
; %bb.1267:
	v_and_b32_e32 v6, 0xffff, v5
	v_lshlrev_b32_e32 v5, 24, v5
	s_delay_alu instid0(VALU_DEP_2) | instskip(NEXT) | instid1(VALU_DEP_2)
	v_and_b32_e32 v7, 3, v6
	v_and_b32_e32 v5, 0x80000000, v5
	s_delay_alu instid0(VALU_DEP_2) | instskip(NEXT) | instid1(VALU_DEP_1)
	v_clz_i32_u32_e32 v8, v7
	v_min_u32_e32 v8, 32, v8
	s_delay_alu instid0(VALU_DEP_1) | instskip(SKIP_1) | instid1(VALU_DEP_2)
	v_subrev_nc_u32_e32 v9, 29, v8
	v_sub_nc_u32_e32 v8, 30, v8
	v_lshlrev_b32_e32 v9, v9, v6
	v_bfe_u32 v6, v6, 2, 5
	s_delay_alu instid0(VALU_DEP_2) | instskip(NEXT) | instid1(VALU_DEP_2)
	v_and_b32_e32 v9, 3, v9
	v_cmp_eq_u32_e32 vcc_lo, 0, v6
	s_delay_alu instid0(VALU_DEP_2) | instskip(NEXT) | instid1(VALU_DEP_1)
	v_dual_cndmask_b32 v6, v6, v8 :: v_dual_cndmask_b32 v7, v7, v9
	v_lshl_add_u32 v6, v6, 23, 0x37800000
	s_delay_alu instid0(VALU_DEP_2) | instskip(NEXT) | instid1(VALU_DEP_1)
	v_lshlrev_b32_e32 v7, 21, v7
	v_or3_b32 v5, v5, v6, v7
	s_delay_alu instid0(VALU_DEP_1)
	v_cvt_f64_f32_e32 v[8:9], v5
.LBB112_1268:
	s_or_b32 exec_lo, exec_lo, s0
	s_mov_b32 s0, 0
	s_branch .LBB112_1272
.LBB112_1269:
	s_mov_b32 s1, -1
                                        ; implicit-def: $vgpr8_vgpr9
	s_branch .LBB112_1278
.LBB112_1270:
	s_mov_b32 s0, -1
                                        ; implicit-def: $vgpr8_vgpr9
	s_branch .LBB112_1275
.LBB112_1271:
	s_mov_b32 s0, -1
                                        ; implicit-def: $vgpr8_vgpr9
.LBB112_1272:
	s_delay_alu instid0(SALU_CYCLE_1)
	s_and_b32 vcc_lo, exec_lo, s0
	s_cbranch_vccz .LBB112_1274
; %bb.1273:
	global_load_u8 v5, v[2:3], off
	s_waitcnt vmcnt(0)
	v_lshlrev_b32_e32 v5, 24, v5
	s_delay_alu instid0(VALU_DEP_1) | instskip(NEXT) | instid1(VALU_DEP_1)
	v_and_b32_e32 v6, 0x7f000000, v5
	v_clz_i32_u32_e32 v7, v6
	v_add_nc_u32_e32 v9, 0x1000000, v6
	v_cmp_ne_u32_e32 vcc_lo, 0, v6
	s_delay_alu instid0(VALU_DEP_3) | instskip(NEXT) | instid1(VALU_DEP_1)
	v_min_u32_e32 v7, 32, v7
	v_sub_nc_u32_e64 v7, v7, 4 clamp
	s_delay_alu instid0(VALU_DEP_1) | instskip(SKIP_1) | instid1(VALU_DEP_2)
	v_lshlrev_b32_e32 v8, v7, v6
	v_lshlrev_b32_e32 v7, 23, v7
	v_lshrrev_b32_e32 v8, 4, v8
	s_delay_alu instid0(VALU_DEP_1) | instskip(SKIP_1) | instid1(VALU_DEP_2)
	v_sub_nc_u32_e32 v7, v8, v7
	v_ashrrev_i32_e32 v8, 8, v9
	v_add_nc_u32_e32 v7, 0x3c000000, v7
	s_delay_alu instid0(VALU_DEP_1) | instskip(NEXT) | instid1(VALU_DEP_1)
	v_and_or_b32 v7, 0x7f800000, v8, v7
	v_cndmask_b32_e32 v6, 0, v7, vcc_lo
	s_delay_alu instid0(VALU_DEP_1) | instskip(NEXT) | instid1(VALU_DEP_1)
	v_and_or_b32 v5, 0x80000000, v5, v6
	v_cvt_f64_f32_e32 v[8:9], v5
.LBB112_1274:
	s_mov_b32 s0, 0
.LBB112_1275:
	s_delay_alu instid0(SALU_CYCLE_1)
	s_and_not1_b32 vcc_lo, exec_lo, s0
	s_cbranch_vccnz .LBB112_1277
; %bb.1276:
	global_load_u8 v5, v[2:3], off
	s_waitcnt vmcnt(0)
	v_lshlrev_b32_e32 v6, 25, v5
	v_lshlrev_b16 v5, 8, v5
	s_delay_alu instid0(VALU_DEP_2) | instskip(NEXT) | instid1(VALU_DEP_2)
	v_lshrrev_b32_e32 v7, 4, v6
	v_and_or_b32 v8, 0x7f00, v5, 0.5
	v_bfe_i32 v5, v5, 0, 16
	s_delay_alu instid0(VALU_DEP_3) | instskip(NEXT) | instid1(VALU_DEP_1)
	v_or_b32_e32 v7, 0x70000000, v7
	v_dual_add_f32 v8, -0.5, v8 :: v_dual_mul_f32 v7, 0x7800000, v7
	v_cmp_gt_u32_e32 vcc_lo, 0x8000000, v6
	s_delay_alu instid0(VALU_DEP_2) | instskip(NEXT) | instid1(VALU_DEP_1)
	v_cndmask_b32_e32 v6, v7, v8, vcc_lo
	v_and_or_b32 v5, 0x80000000, v5, v6
	s_delay_alu instid0(VALU_DEP_1)
	v_cvt_f64_f32_e32 v[8:9], v5
.LBB112_1277:
	s_mov_b32 s1, 0
	s_mov_b32 s0, -1
.LBB112_1278:
	s_and_not1_b32 vcc_lo, exec_lo, s1
	s_mov_b32 s12, 0
	s_cbranch_vccnz .LBB112_1287
; %bb.1279:
	v_cmp_lt_i16_e32 vcc_lo, 14, v12
	s_cbranch_vccz .LBB112_1282
; %bb.1280:
	v_cmp_eq_u16_e32 vcc_lo, 15, v12
	s_cbranch_vccz .LBB112_1283
; %bb.1281:
	global_load_u16 v5, v[2:3], off
	s_mov_b32 s9, 0
	s_mov_b32 s0, -1
	s_waitcnt vmcnt(0)
	v_lshlrev_b32_e32 v5, 16, v5
	s_delay_alu instid0(VALU_DEP_1)
	v_cvt_f64_f32_e32 v[8:9], v5
	s_branch .LBB112_1284
.LBB112_1282:
	s_mov_b32 s1, -1
                                        ; implicit-def: $vgpr8_vgpr9
	s_branch .LBB112_1285
.LBB112_1283:
	s_mov_b32 s9, -1
                                        ; implicit-def: $vgpr8_vgpr9
.LBB112_1284:
	s_mov_b32 s1, 0
.LBB112_1285:
	s_delay_alu instid0(SALU_CYCLE_1)
	s_and_b32 vcc_lo, exec_lo, s1
	s_cbranch_vccz .LBB112_1287
; %bb.1286:
	v_cmp_ne_u16_e64 s9, 11, v12
	s_mov_b32 s12, -1
                                        ; implicit-def: $vgpr8_vgpr9
.LBB112_1287:
	s_delay_alu instid0(VALU_DEP_1)
	s_and_b32 vcc_lo, exec_lo, s9
	s_cbranch_vccnz .LBB112_1311
; %bb.1288:
	s_and_not1_b32 vcc_lo, exec_lo, s12
	s_cbranch_vccnz .LBB112_1290
.LBB112_1289:
	global_load_u8 v5, v[2:3], off
	v_mov_b32_e32 v8, 0
	s_mov_b32 s0, -1
	s_waitcnt vmcnt(0)
	v_cmp_ne_u16_e32 vcc_lo, 0, v5
	v_cndmask_b32_e64 v9, 0, 0x3ff00000, vcc_lo
.LBB112_1290:
.LBB112_1291:
	s_and_not1_b32 vcc_lo, exec_lo, s0
	s_cbranch_vccnz .LBB112_1989
.LBB112_1292:
	v_add_nc_u32_e32 v4, s2, v4
	v_cmp_gt_i16_e32 vcc_lo, 11, v12
	s_delay_alu instid0(VALU_DEP_2) | instskip(SKIP_1) | instid1(VALU_DEP_1)
	v_ashrrev_i32_e32 v3, 31, v4
	v_add_co_u32 v2, s0, s6, v4
	v_add_co_ci_u32_e64 v3, s0, s7, v3, s0
	s_cbranch_vccnz .LBB112_1299
; %bb.1293:
	v_cmp_lt_i16_e32 vcc_lo, 25, v12
	s_mov_b32 s12, 0
	s_cbranch_vccz .LBB112_1305
; %bb.1294:
	v_cmp_lt_i16_e32 vcc_lo, 28, v12
	s_cbranch_vccz .LBB112_1307
; %bb.1295:
	v_cmp_lt_i16_e32 vcc_lo, 43, v12
	;; [unrolled: 3-line block ×3, first 2 shown]
	s_cbranch_vccz .LBB112_1313
; %bb.1297:
	v_cmp_eq_u16_e32 vcc_lo, 46, v12
	s_mov_b32 s1, 0
	s_cbranch_vccz .LBB112_1356
; %bb.1298:
	global_load_b32 v5, v[2:3], off
	s_mov_b32 s9, 0
	s_mov_b32 s0, -1
	s_waitcnt vmcnt(0)
	v_lshlrev_b32_e32 v5, 16, v5
	s_delay_alu instid0(VALU_DEP_1)
	v_cvt_f64_f32_e32 v[6:7], v5
	s_branch .LBB112_1358
.LBB112_1299:
	s_mov_b32 s0, 0
                                        ; implicit-def: $vgpr6_vgpr7
	s_cbranch_execz .LBB112_1424
; %bb.1300:
	v_cmp_gt_i16_e32 vcc_lo, 5, v12
	s_cbranch_vccnz .LBB112_1306
; %bb.1301:
	v_cmp_gt_i16_e32 vcc_lo, 8, v12
	s_cbranch_vccnz .LBB112_1308
	;; [unrolled: 3-line block ×3, first 2 shown]
; %bb.1303:
	v_cmp_lt_i16_e32 vcc_lo, 9, v12
	s_cbranch_vccz .LBB112_1314
; %bb.1304:
	global_load_b64 v[6:7], v[2:3], off
	s_mov_b32 s0, 0
	s_branch .LBB112_1315
.LBB112_1305:
	s_mov_b32 s1, -1
	s_mov_b32 s0, 0
	s_mov_b32 s9, 0
                                        ; implicit-def: $vgpr6_vgpr7
	s_branch .LBB112_1389
.LBB112_1306:
	s_mov_b32 s0, -1
                                        ; implicit-def: $vgpr6_vgpr7
	s_branch .LBB112_1333
.LBB112_1307:
	s_mov_b32 s1, -1
	s_mov_b32 s0, 0
	s_mov_b32 s9, 0
                                        ; implicit-def: $vgpr6_vgpr7
	s_branch .LBB112_1368
.LBB112_1308:
	s_mov_b32 s0, -1
                                        ; implicit-def: $vgpr6_vgpr7
	s_branch .LBB112_1321
.LBB112_1309:
	s_mov_b32 s1, -1
	s_mov_b32 s0, 0
	s_mov_b32 s9, 0
                                        ; implicit-def: $vgpr6_vgpr7
	s_branch .LBB112_1363
.LBB112_1310:
	s_mov_b32 s0, -1
                                        ; implicit-def: $vgpr6_vgpr7
	s_branch .LBB112_1318
.LBB112_1311:
	s_cbranch_execnz .LBB112_1354
; %bb.1312:
	s_or_b32 s3, s3, exec_lo
                                        ; implicit-def: $vgpr8_vgpr9
	s_cbranch_execz .LBB112_1289
	s_branch .LBB112_1290
.LBB112_1313:
	s_mov_b32 s1, -1
	s_mov_b32 s0, 0
	s_mov_b32 s9, 0
	s_branch .LBB112_1357
.LBB112_1314:
	s_mov_b32 s0, -1
                                        ; implicit-def: $vgpr6_vgpr7
.LBB112_1315:
	s_delay_alu instid0(SALU_CYCLE_1)
	s_and_not1_b32 vcc_lo, exec_lo, s0
	s_cbranch_vccnz .LBB112_1317
; %bb.1316:
	global_load_b32 v5, v[2:3], off
	s_waitcnt vmcnt(0)
	v_cvt_f64_f32_e32 v[6:7], v5
.LBB112_1317:
	s_mov_b32 s0, 0
.LBB112_1318:
	s_delay_alu instid0(SALU_CYCLE_1)
	s_and_not1_b32 vcc_lo, exec_lo, s0
	s_cbranch_vccnz .LBB112_1320
; %bb.1319:
	global_load_b32 v5, v[2:3], off
	s_waitcnt vmcnt(0)
	v_cvt_f32_f16_e32 v5, v5
	s_delay_alu instid0(VALU_DEP_1)
	v_cvt_f64_f32_e32 v[6:7], v5
.LBB112_1320:
	s_mov_b32 s0, 0
.LBB112_1321:
	s_delay_alu instid0(SALU_CYCLE_1)
	s_and_not1_b32 vcc_lo, exec_lo, s0
	s_cbranch_vccnz .LBB112_1332
; %bb.1322:
	v_cmp_gt_i16_e32 vcc_lo, 6, v12
	s_cbranch_vccnz .LBB112_1325
; %bb.1323:
	v_cmp_lt_i16_e32 vcc_lo, 6, v12
	s_cbranch_vccz .LBB112_1326
; %bb.1324:
	global_load_b64 v[6:7], v[2:3], off
	s_mov_b32 s0, 0
	s_branch .LBB112_1327
.LBB112_1325:
	s_mov_b32 s0, -1
                                        ; implicit-def: $vgpr6_vgpr7
	s_branch .LBB112_1330
.LBB112_1326:
	s_mov_b32 s0, -1
                                        ; implicit-def: $vgpr6_vgpr7
.LBB112_1327:
	s_delay_alu instid0(SALU_CYCLE_1)
	s_and_not1_b32 vcc_lo, exec_lo, s0
	s_cbranch_vccnz .LBB112_1329
; %bb.1328:
	global_load_b32 v5, v[2:3], off
	s_waitcnt vmcnt(0)
	v_cvt_f64_f32_e32 v[6:7], v5
.LBB112_1329:
	s_mov_b32 s0, 0
.LBB112_1330:
	s_delay_alu instid0(SALU_CYCLE_1)
	s_and_not1_b32 vcc_lo, exec_lo, s0
	s_cbranch_vccnz .LBB112_1332
; %bb.1331:
	global_load_u16 v5, v[2:3], off
	s_waitcnt vmcnt(0)
	v_cvt_f32_f16_e32 v5, v5
	s_delay_alu instid0(VALU_DEP_1)
	v_cvt_f64_f32_e32 v[6:7], v5
.LBB112_1332:
	s_mov_b32 s0, 0
.LBB112_1333:
	s_delay_alu instid0(SALU_CYCLE_1)
	s_and_not1_b32 vcc_lo, exec_lo, s0
	s_cbranch_vccnz .LBB112_1353
; %bb.1334:
	v_cmp_gt_i16_e32 vcc_lo, 2, v12
	s_cbranch_vccnz .LBB112_1338
; %bb.1335:
	v_cmp_gt_i16_e32 vcc_lo, 3, v12
	s_cbranch_vccnz .LBB112_1339
; %bb.1336:
	v_cmp_lt_i16_e32 vcc_lo, 3, v12
	s_cbranch_vccz .LBB112_1340
; %bb.1337:
	global_load_b64 v[5:6], v[2:3], off
	s_mov_b32 s0, 0
	s_waitcnt vmcnt(0)
	v_cvt_f64_i32_e32 v[6:7], v6
	v_cvt_f64_u32_e32 v[13:14], v5
	s_delay_alu instid0(VALU_DEP_2) | instskip(NEXT) | instid1(VALU_DEP_1)
	v_ldexp_f64 v[6:7], v[6:7], 32
	v_add_f64 v[6:7], v[6:7], v[13:14]
	s_branch .LBB112_1341
.LBB112_1338:
	s_mov_b32 s0, -1
                                        ; implicit-def: $vgpr6_vgpr7
	s_branch .LBB112_1347
.LBB112_1339:
	s_mov_b32 s0, -1
                                        ; implicit-def: $vgpr6_vgpr7
	s_branch .LBB112_1344
.LBB112_1340:
	s_mov_b32 s0, -1
                                        ; implicit-def: $vgpr6_vgpr7
.LBB112_1341:
	s_delay_alu instid0(SALU_CYCLE_1)
	s_and_not1_b32 vcc_lo, exec_lo, s0
	s_cbranch_vccnz .LBB112_1343
; %bb.1342:
	global_load_b32 v5, v[2:3], off
	s_waitcnt vmcnt(0)
	v_cvt_f64_i32_e32 v[6:7], v5
.LBB112_1343:
	s_mov_b32 s0, 0
.LBB112_1344:
	s_delay_alu instid0(SALU_CYCLE_1)
	s_and_not1_b32 vcc_lo, exec_lo, s0
	s_cbranch_vccnz .LBB112_1346
; %bb.1345:
	global_load_i16 v5, v[2:3], off
	s_waitcnt vmcnt(0)
	v_cvt_f64_i32_e32 v[6:7], v5
.LBB112_1346:
	s_mov_b32 s0, 0
.LBB112_1347:
	s_delay_alu instid0(SALU_CYCLE_1)
	s_and_not1_b32 vcc_lo, exec_lo, s0
	s_cbranch_vccnz .LBB112_1353
; %bb.1348:
	v_cmp_lt_i16_e32 vcc_lo, 0, v12
	s_mov_b32 s0, 0
	s_cbranch_vccz .LBB112_1350
; %bb.1349:
	global_load_i8 v5, v[2:3], off
	s_waitcnt vmcnt(0)
	v_cvt_f64_i32_e32 v[6:7], v5
	s_branch .LBB112_1351
.LBB112_1350:
	s_mov_b32 s0, -1
                                        ; implicit-def: $vgpr6_vgpr7
.LBB112_1351:
	s_delay_alu instid0(SALU_CYCLE_1)
	s_and_not1_b32 vcc_lo, exec_lo, s0
	s_cbranch_vccnz .LBB112_1353
; %bb.1352:
	global_load_u8 v2, v[2:3], off
	s_waitcnt vmcnt(0)
	v_cvt_f64_u32_e32 v[6:7], v2
.LBB112_1353:
	s_branch .LBB112_1425
.LBB112_1354:
	s_trap 2
	s_sendmsg_rtn_b32 s0, sendmsg(MSG_RTN_GET_DOORBELL)
	s_mov_b32 ttmp2, m0
	s_waitcnt lgkmcnt(0)
	s_and_b32 s0, s0, 0x3ff
	s_delay_alu instid0(SALU_CYCLE_1) | instskip(NEXT) | instid1(SALU_CYCLE_1)
	s_bitset1_b32 s0, 10
	s_mov_b32 m0, s0
	s_sendmsg sendmsg(MSG_INTERRUPT)
	s_mov_b32 m0, ttmp2
.LBB112_1355:                           ; =>This Inner Loop Header: Depth=1
	s_sethalt 5
	s_branch .LBB112_1355
.LBB112_1356:
	s_mov_b32 s9, -1
	s_mov_b32 s0, 0
.LBB112_1357:
                                        ; implicit-def: $vgpr6_vgpr7
.LBB112_1358:
	s_and_b32 vcc_lo, exec_lo, s1
	s_cbranch_vccz .LBB112_1362
; %bb.1359:
	v_cmp_eq_u16_e32 vcc_lo, 44, v12
	s_cbranch_vccz .LBB112_1361
; %bb.1360:
	global_load_u8 v7, v[2:3], off
	s_mov_b32 s9, 0
	s_mov_b32 s0, -1
	s_waitcnt vmcnt(0)
	v_cmp_ne_u32_e32 vcc_lo, 0xff, v7
	v_lshlrev_b32_e32 v5, 23, v7
	s_delay_alu instid0(VALU_DEP_1) | instskip(NEXT) | instid1(VALU_DEP_1)
	v_cvt_f64_f32_e32 v[5:6], v5
	v_cndmask_b32_e32 v6, 0x7ff80000, v6, vcc_lo
	s_delay_alu instid0(VALU_DEP_2) | instskip(SKIP_1) | instid1(VALU_DEP_3)
	v_cndmask_b32_e32 v5, 0x20000000, v5, vcc_lo
	v_cmp_ne_u32_e32 vcc_lo, 0, v7
	v_cndmask_b32_e32 v7, 0x38000000, v6, vcc_lo
	s_delay_alu instid0(VALU_DEP_3)
	v_cndmask_b32_e32 v6, 0, v5, vcc_lo
	s_branch .LBB112_1362
.LBB112_1361:
	s_mov_b32 s9, -1
                                        ; implicit-def: $vgpr6_vgpr7
.LBB112_1362:
	s_mov_b32 s1, 0
.LBB112_1363:
	s_delay_alu instid0(SALU_CYCLE_1)
	s_and_b32 vcc_lo, exec_lo, s1
	s_cbranch_vccz .LBB112_1367
; %bb.1364:
	v_cmp_eq_u16_e32 vcc_lo, 29, v12
	s_cbranch_vccz .LBB112_1366
; %bb.1365:
	global_load_b64 v[5:6], v[2:3], off
	s_mov_b32 s9, 0
	s_mov_b32 s0, -1
	s_mov_b32 s1, 0
	s_waitcnt vmcnt(0)
	v_cvt_f64_u32_e32 v[6:7], v6
	v_cvt_f64_u32_e32 v[13:14], v5
	s_delay_alu instid0(VALU_DEP_2) | instskip(NEXT) | instid1(VALU_DEP_1)
	v_ldexp_f64 v[6:7], v[6:7], 32
	v_add_f64 v[6:7], v[6:7], v[13:14]
	s_branch .LBB112_1368
.LBB112_1366:
	s_mov_b32 s9, -1
                                        ; implicit-def: $vgpr6_vgpr7
.LBB112_1367:
	s_mov_b32 s1, 0
.LBB112_1368:
	s_delay_alu instid0(SALU_CYCLE_1)
	s_and_b32 vcc_lo, exec_lo, s1
	s_cbranch_vccz .LBB112_1388
; %bb.1369:
	v_cmp_gt_i16_e32 vcc_lo, 27, v12
	s_cbranch_vccnz .LBB112_1372
; %bb.1370:
	v_cmp_lt_i16_e32 vcc_lo, 27, v12
	s_cbranch_vccz .LBB112_1373
; %bb.1371:
	global_load_b32 v5, v[2:3], off
	s_mov_b32 s0, 0
	s_waitcnt vmcnt(0)
	v_cvt_f64_u32_e32 v[6:7], v5
	s_branch .LBB112_1374
.LBB112_1372:
	s_mov_b32 s0, -1
                                        ; implicit-def: $vgpr6_vgpr7
	s_branch .LBB112_1377
.LBB112_1373:
	s_mov_b32 s0, -1
                                        ; implicit-def: $vgpr6_vgpr7
.LBB112_1374:
	s_delay_alu instid0(SALU_CYCLE_1)
	s_and_not1_b32 vcc_lo, exec_lo, s0
	s_cbranch_vccnz .LBB112_1376
; %bb.1375:
	global_load_u16 v5, v[2:3], off
	s_waitcnt vmcnt(0)
	v_cvt_f64_u32_e32 v[6:7], v5
.LBB112_1376:
	s_mov_b32 s0, 0
.LBB112_1377:
	s_delay_alu instid0(SALU_CYCLE_1)
	s_and_not1_b32 vcc_lo, exec_lo, s0
	s_cbranch_vccnz .LBB112_1387
; %bb.1378:
	global_load_u8 v5, v[2:3], off
	s_mov_b32 s13, 0
	s_mov_b32 s14, exec_lo
                                        ; implicit-def: $sgpr0_sgpr1
	s_waitcnt vmcnt(0)
	v_cmpx_lt_i16_e32 0x7f, v5
	s_xor_b32 s14, exec_lo, s14
	s_cbranch_execz .LBB112_1382
; %bb.1379:
	s_mov_b32 s15, -1
	s_mov_b32 s13, exec_lo
                                        ; implicit-def: $sgpr0_sgpr1
	v_cmpx_eq_u16_e32 0x80, v5
; %bb.1380:
	s_mov_b32 s1, 0x7ff80000
	s_brev_b32 s0, 4
	s_xor_b32 s15, exec_lo, -1
; %bb.1381:
	s_or_b32 exec_lo, exec_lo, s13
	s_delay_alu instid0(SALU_CYCLE_1)
	s_and_b32 s13, s15, exec_lo
.LBB112_1382:
	s_or_saveexec_b32 s14, s14
	v_dual_mov_b32 v7, s1 :: v_dual_mov_b32 v6, s0
	s_xor_b32 exec_lo, exec_lo, s14
; %bb.1383:
	v_cmp_ne_u16_e32 vcc_lo, 0, v5
	v_mov_b32_e32 v6, 0
	v_mov_b32_e32 v7, 0
	s_and_not1_b32 s0, s13, exec_lo
	s_and_b32 s1, vcc_lo, exec_lo
	s_delay_alu instid0(SALU_CYCLE_1)
	s_or_b32 s13, s0, s1
; %bb.1384:
	s_or_b32 exec_lo, exec_lo, s14
	s_and_saveexec_b32 s0, s13
	s_cbranch_execz .LBB112_1386
; %bb.1385:
	v_and_b32_e32 v6, 0xffff, v5
	v_lshlrev_b32_e32 v5, 24, v5
	s_delay_alu instid0(VALU_DEP_2) | instskip(NEXT) | instid1(VALU_DEP_2)
	v_and_b32_e32 v7, 7, v6
	v_and_b32_e32 v5, 0x80000000, v5
	s_delay_alu instid0(VALU_DEP_2) | instskip(NEXT) | instid1(VALU_DEP_1)
	v_clz_i32_u32_e32 v13, v7
	v_min_u32_e32 v13, 32, v13
	s_delay_alu instid0(VALU_DEP_1) | instskip(SKIP_1) | instid1(VALU_DEP_2)
	v_subrev_nc_u32_e32 v14, 28, v13
	v_sub_nc_u32_e32 v13, 29, v13
	v_lshlrev_b32_e32 v14, v14, v6
	v_bfe_u32 v6, v6, 3, 4
	s_delay_alu instid0(VALU_DEP_2) | instskip(NEXT) | instid1(VALU_DEP_2)
	v_and_b32_e32 v14, 7, v14
	v_cmp_eq_u32_e32 vcc_lo, 0, v6
	s_delay_alu instid0(VALU_DEP_2) | instskip(NEXT) | instid1(VALU_DEP_1)
	v_dual_cndmask_b32 v6, v6, v13 :: v_dual_cndmask_b32 v7, v7, v14
	v_lshl_add_u32 v6, v6, 23, 0x3b800000
	s_delay_alu instid0(VALU_DEP_2) | instskip(NEXT) | instid1(VALU_DEP_1)
	v_lshlrev_b32_e32 v7, 20, v7
	v_or3_b32 v5, v5, v6, v7
	s_delay_alu instid0(VALU_DEP_1)
	v_cvt_f64_f32_e32 v[6:7], v5
.LBB112_1386:
	s_or_b32 exec_lo, exec_lo, s0
.LBB112_1387:
	s_mov_b32 s0, -1
.LBB112_1388:
	s_mov_b32 s1, 0
.LBB112_1389:
	s_delay_alu instid0(SALU_CYCLE_1)
	s_and_b32 vcc_lo, exec_lo, s1
	s_cbranch_vccz .LBB112_1420
; %bb.1390:
	v_cmp_lt_i16_e32 vcc_lo, 22, v12
	s_cbranch_vccz .LBB112_1402
; %bb.1391:
	v_cmp_gt_i16_e32 vcc_lo, 24, v12
	s_cbranch_vccnz .LBB112_1403
; %bb.1392:
	v_cmp_lt_i16_e32 vcc_lo, 24, v12
	s_cbranch_vccz .LBB112_1404
; %bb.1393:
	global_load_u8 v5, v[2:3], off
	s_mov_b32 s13, exec_lo
                                        ; implicit-def: $sgpr0_sgpr1
	s_waitcnt vmcnt(0)
	v_cmpx_lt_i16_e32 0x7f, v5
	s_xor_b32 s13, exec_lo, s13
	s_cbranch_execz .LBB112_1397
; %bb.1394:
	s_mov_b32 s14, -1
	s_mov_b32 s12, exec_lo
                                        ; implicit-def: $sgpr0_sgpr1
	v_cmpx_eq_u16_e32 0x80, v5
; %bb.1395:
	s_mov_b32 s1, 0x7ff80000
	s_brev_b32 s0, 4
	s_xor_b32 s14, exec_lo, -1
; %bb.1396:
	s_or_b32 exec_lo, exec_lo, s12
	s_delay_alu instid0(SALU_CYCLE_1)
	s_and_b32 s12, s14, exec_lo
.LBB112_1397:
	s_or_saveexec_b32 s13, s13
	v_dual_mov_b32 v7, s1 :: v_dual_mov_b32 v6, s0
	s_xor_b32 exec_lo, exec_lo, s13
; %bb.1398:
	v_cmp_ne_u16_e32 vcc_lo, 0, v5
	v_mov_b32_e32 v6, 0
	v_mov_b32_e32 v7, 0
	s_and_not1_b32 s0, s12, exec_lo
	s_and_b32 s1, vcc_lo, exec_lo
	s_delay_alu instid0(SALU_CYCLE_1)
	s_or_b32 s12, s0, s1
; %bb.1399:
	s_or_b32 exec_lo, exec_lo, s13
	s_and_saveexec_b32 s0, s12
	s_cbranch_execz .LBB112_1401
; %bb.1400:
	v_and_b32_e32 v6, 0xffff, v5
	v_lshlrev_b32_e32 v5, 24, v5
	s_delay_alu instid0(VALU_DEP_2) | instskip(NEXT) | instid1(VALU_DEP_2)
	v_and_b32_e32 v7, 3, v6
	v_and_b32_e32 v5, 0x80000000, v5
	s_delay_alu instid0(VALU_DEP_2) | instskip(NEXT) | instid1(VALU_DEP_1)
	v_clz_i32_u32_e32 v13, v7
	v_min_u32_e32 v13, 32, v13
	s_delay_alu instid0(VALU_DEP_1) | instskip(SKIP_1) | instid1(VALU_DEP_2)
	v_subrev_nc_u32_e32 v14, 29, v13
	v_sub_nc_u32_e32 v13, 30, v13
	v_lshlrev_b32_e32 v14, v14, v6
	v_bfe_u32 v6, v6, 2, 5
	s_delay_alu instid0(VALU_DEP_2) | instskip(NEXT) | instid1(VALU_DEP_2)
	v_and_b32_e32 v14, 3, v14
	v_cmp_eq_u32_e32 vcc_lo, 0, v6
	s_delay_alu instid0(VALU_DEP_2) | instskip(NEXT) | instid1(VALU_DEP_1)
	v_dual_cndmask_b32 v6, v6, v13 :: v_dual_cndmask_b32 v7, v7, v14
	v_lshl_add_u32 v6, v6, 23, 0x37800000
	s_delay_alu instid0(VALU_DEP_2) | instskip(NEXT) | instid1(VALU_DEP_1)
	v_lshlrev_b32_e32 v7, 21, v7
	v_or3_b32 v5, v5, v6, v7
	s_delay_alu instid0(VALU_DEP_1)
	v_cvt_f64_f32_e32 v[6:7], v5
.LBB112_1401:
	s_or_b32 exec_lo, exec_lo, s0
	s_mov_b32 s0, 0
	s_branch .LBB112_1405
.LBB112_1402:
	s_mov_b32 s1, -1
                                        ; implicit-def: $vgpr6_vgpr7
	s_branch .LBB112_1411
.LBB112_1403:
	s_mov_b32 s0, -1
                                        ; implicit-def: $vgpr6_vgpr7
	s_branch .LBB112_1408
.LBB112_1404:
	s_mov_b32 s0, -1
                                        ; implicit-def: $vgpr6_vgpr7
.LBB112_1405:
	s_delay_alu instid0(SALU_CYCLE_1)
	s_and_b32 vcc_lo, exec_lo, s0
	s_cbranch_vccz .LBB112_1407
; %bb.1406:
	global_load_u8 v5, v[2:3], off
	s_waitcnt vmcnt(0)
	v_lshlrev_b32_e32 v5, 24, v5
	s_delay_alu instid0(VALU_DEP_1) | instskip(NEXT) | instid1(VALU_DEP_1)
	v_and_b32_e32 v6, 0x7f000000, v5
	v_clz_i32_u32_e32 v7, v6
	v_add_nc_u32_e32 v14, 0x1000000, v6
	v_cmp_ne_u32_e32 vcc_lo, 0, v6
	s_delay_alu instid0(VALU_DEP_3) | instskip(NEXT) | instid1(VALU_DEP_1)
	v_min_u32_e32 v7, 32, v7
	v_sub_nc_u32_e64 v7, v7, 4 clamp
	s_delay_alu instid0(VALU_DEP_1) | instskip(SKIP_1) | instid1(VALU_DEP_2)
	v_lshlrev_b32_e32 v13, v7, v6
	v_lshlrev_b32_e32 v7, 23, v7
	v_lshrrev_b32_e32 v13, 4, v13
	s_delay_alu instid0(VALU_DEP_1) | instskip(SKIP_1) | instid1(VALU_DEP_2)
	v_sub_nc_u32_e32 v7, v13, v7
	v_ashrrev_i32_e32 v13, 8, v14
	v_add_nc_u32_e32 v7, 0x3c000000, v7
	s_delay_alu instid0(VALU_DEP_1) | instskip(NEXT) | instid1(VALU_DEP_1)
	v_and_or_b32 v7, 0x7f800000, v13, v7
	v_cndmask_b32_e32 v6, 0, v7, vcc_lo
	s_delay_alu instid0(VALU_DEP_1) | instskip(NEXT) | instid1(VALU_DEP_1)
	v_and_or_b32 v5, 0x80000000, v5, v6
	v_cvt_f64_f32_e32 v[6:7], v5
.LBB112_1407:
	s_mov_b32 s0, 0
.LBB112_1408:
	s_delay_alu instid0(SALU_CYCLE_1)
	s_and_not1_b32 vcc_lo, exec_lo, s0
	s_cbranch_vccnz .LBB112_1410
; %bb.1409:
	global_load_u8 v5, v[2:3], off
	s_waitcnt vmcnt(0)
	v_lshlrev_b32_e32 v6, 25, v5
	v_lshlrev_b16 v5, 8, v5
	s_delay_alu instid0(VALU_DEP_2) | instskip(NEXT) | instid1(VALU_DEP_2)
	v_lshrrev_b32_e32 v7, 4, v6
	v_and_or_b32 v13, 0x7f00, v5, 0.5
	v_bfe_i32 v5, v5, 0, 16
	s_delay_alu instid0(VALU_DEP_3) | instskip(NEXT) | instid1(VALU_DEP_3)
	v_or_b32_e32 v7, 0x70000000, v7
	v_add_f32_e32 v13, -0.5, v13
	s_delay_alu instid0(VALU_DEP_2) | instskip(SKIP_1) | instid1(VALU_DEP_2)
	v_mul_f32_e32 v7, 0x7800000, v7
	v_cmp_gt_u32_e32 vcc_lo, 0x8000000, v6
	v_cndmask_b32_e32 v6, v7, v13, vcc_lo
	s_delay_alu instid0(VALU_DEP_1) | instskip(NEXT) | instid1(VALU_DEP_1)
	v_and_or_b32 v5, 0x80000000, v5, v6
	v_cvt_f64_f32_e32 v[6:7], v5
.LBB112_1410:
	s_mov_b32 s1, 0
	s_mov_b32 s0, -1
.LBB112_1411:
	s_and_not1_b32 vcc_lo, exec_lo, s1
	s_mov_b32 s12, 0
	s_cbranch_vccnz .LBB112_1420
; %bb.1412:
	v_cmp_lt_i16_e32 vcc_lo, 14, v12
	s_cbranch_vccz .LBB112_1415
; %bb.1413:
	v_cmp_eq_u16_e32 vcc_lo, 15, v12
	s_cbranch_vccz .LBB112_1416
; %bb.1414:
	global_load_u16 v5, v[2:3], off
	s_mov_b32 s9, 0
	s_mov_b32 s0, -1
	s_waitcnt vmcnt(0)
	v_lshlrev_b32_e32 v5, 16, v5
	s_delay_alu instid0(VALU_DEP_1)
	v_cvt_f64_f32_e32 v[6:7], v5
	s_branch .LBB112_1417
.LBB112_1415:
	s_mov_b32 s1, -1
                                        ; implicit-def: $vgpr6_vgpr7
	s_branch .LBB112_1418
.LBB112_1416:
	s_mov_b32 s9, -1
                                        ; implicit-def: $vgpr6_vgpr7
.LBB112_1417:
	s_mov_b32 s1, 0
.LBB112_1418:
	s_delay_alu instid0(SALU_CYCLE_1)
	s_and_b32 vcc_lo, exec_lo, s1
	s_cbranch_vccz .LBB112_1420
; %bb.1419:
	v_cmp_ne_u16_e64 s9, 11, v12
	s_mov_b32 s12, -1
                                        ; implicit-def: $vgpr6_vgpr7
.LBB112_1420:
	s_delay_alu instid0(VALU_DEP_1)
	s_and_b32 vcc_lo, exec_lo, s9
	s_cbranch_vccnz .LBB112_1436
; %bb.1421:
	s_and_not1_b32 vcc_lo, exec_lo, s12
	s_cbranch_vccnz .LBB112_1423
.LBB112_1422:
	global_load_u8 v5, v[2:3], off
	v_mov_b32_e32 v6, 0
	s_mov_b32 s0, -1
	s_waitcnt vmcnt(0)
	v_cmp_ne_u16_e32 vcc_lo, 0, v5
	v_cndmask_b32_e64 v7, 0, 0x3ff00000, vcc_lo
.LBB112_1423:
.LBB112_1424:
	s_and_not1_b32 vcc_lo, exec_lo, s0
	s_cbranch_vccnz .LBB112_1989
.LBB112_1425:
	v_add_nc_u32_e32 v2, s2, v4
	v_cmp_gt_i16_e32 vcc_lo, 11, v12
	s_delay_alu instid0(VALU_DEP_2) | instskip(SKIP_1) | instid1(VALU_DEP_1)
	v_ashrrev_i32_e32 v3, 31, v2
	v_add_co_u32 v2, s0, s6, v2
	v_add_co_ci_u32_e64 v3, s0, s7, v3, s0
	s_cbranch_vccnz .LBB112_1432
; %bb.1426:
	v_cmp_lt_i16_e32 vcc_lo, 25, v12
	s_mov_b32 s6, 0
	s_cbranch_vccz .LBB112_1433
; %bb.1427:
	v_cmp_lt_i16_e32 vcc_lo, 28, v12
	s_cbranch_vccz .LBB112_1434
; %bb.1428:
	v_cmp_lt_i16_e32 vcc_lo, 43, v12
	;; [unrolled: 3-line block ×3, first 2 shown]
	s_cbranch_vccz .LBB112_1438
; %bb.1430:
	v_cmp_eq_u16_e32 vcc_lo, 46, v12
	s_mov_b32 s1, 0
	s_cbranch_vccz .LBB112_1441
; %bb.1431:
	global_load_b32 v4, v[2:3], off
	s_mov_b32 s2, 0
	s_mov_b32 s0, -1
	s_waitcnt vmcnt(0)
	v_lshlrev_b32_e32 v4, 16, v4
	s_delay_alu instid0(VALU_DEP_1)
	v_cvt_f64_f32_e32 v[4:5], v4
	s_branch .LBB112_1443
.LBB112_1432:
	s_mov_b32 s1, -1
	s_mov_b32 s0, 0
                                        ; implicit-def: $vgpr4_vgpr5
	s_branch .LBB112_1509
.LBB112_1433:
	s_mov_b32 s1, -1
	s_mov_b32 s0, 0
	s_mov_b32 s2, 0
                                        ; implicit-def: $vgpr4_vgpr5
	s_branch .LBB112_1474
.LBB112_1434:
	s_mov_b32 s1, -1
	s_mov_b32 s0, 0
	s_mov_b32 s2, 0
                                        ; implicit-def: $vgpr4_vgpr5
	s_branch .LBB112_1453
.LBB112_1435:
	s_mov_b32 s1, -1
	s_mov_b32 s0, 0
	s_mov_b32 s2, 0
                                        ; implicit-def: $vgpr4_vgpr5
	s_branch .LBB112_1448
.LBB112_1436:
	s_cbranch_execnz .LBB112_1439
; %bb.1437:
	s_or_b32 s3, s3, exec_lo
                                        ; implicit-def: $vgpr6_vgpr7
	s_cbranch_execz .LBB112_1422
	s_branch .LBB112_1423
.LBB112_1438:
	s_mov_b32 s1, -1
	s_mov_b32 s0, 0
	s_mov_b32 s2, 0
	s_branch .LBB112_1442
.LBB112_1439:
	s_trap 2
	s_sendmsg_rtn_b32 s0, sendmsg(MSG_RTN_GET_DOORBELL)
	s_mov_b32 ttmp2, m0
	s_waitcnt lgkmcnt(0)
	s_and_b32 s0, s0, 0x3ff
	s_delay_alu instid0(SALU_CYCLE_1) | instskip(NEXT) | instid1(SALU_CYCLE_1)
	s_bitset1_b32 s0, 10
	s_mov_b32 m0, s0
	s_sendmsg sendmsg(MSG_INTERRUPT)
	s_mov_b32 m0, ttmp2
.LBB112_1440:                           ; =>This Inner Loop Header: Depth=1
	s_sethalt 5
	s_branch .LBB112_1440
.LBB112_1441:
	s_mov_b32 s2, -1
	s_mov_b32 s0, 0
.LBB112_1442:
                                        ; implicit-def: $vgpr4_vgpr5
.LBB112_1443:
	s_and_b32 vcc_lo, exec_lo, s1
	s_cbranch_vccz .LBB112_1447
; %bb.1444:
	v_cmp_eq_u16_e32 vcc_lo, 44, v12
	s_cbranch_vccz .LBB112_1446
; %bb.1445:
	global_load_u8 v13, v[2:3], off
	s_mov_b32 s2, 0
	s_mov_b32 s0, -1
	s_waitcnt vmcnt(0)
	v_lshlrev_b32_e32 v4, 23, v13
	v_cmp_ne_u32_e32 vcc_lo, 0xff, v13
	s_delay_alu instid0(VALU_DEP_2) | instskip(NEXT) | instid1(VALU_DEP_1)
	v_cvt_f64_f32_e32 v[4:5], v4
	v_cndmask_b32_e32 v4, 0x20000000, v4, vcc_lo
	s_delay_alu instid0(VALU_DEP_2) | instskip(SKIP_1) | instid1(VALU_DEP_2)
	v_cndmask_b32_e32 v5, 0x7ff80000, v5, vcc_lo
	v_cmp_ne_u32_e32 vcc_lo, 0, v13
	v_cndmask_b32_e32 v5, 0x38000000, v5, vcc_lo
	s_delay_alu instid0(VALU_DEP_4)
	v_cndmask_b32_e32 v4, 0, v4, vcc_lo
	s_branch .LBB112_1447
.LBB112_1446:
	s_mov_b32 s2, -1
                                        ; implicit-def: $vgpr4_vgpr5
.LBB112_1447:
	s_mov_b32 s1, 0
.LBB112_1448:
	s_delay_alu instid0(SALU_CYCLE_1)
	s_and_b32 vcc_lo, exec_lo, s1
	s_cbranch_vccz .LBB112_1452
; %bb.1449:
	v_cmp_eq_u16_e32 vcc_lo, 29, v12
	s_cbranch_vccz .LBB112_1451
; %bb.1450:
	global_load_b64 v[4:5], v[2:3], off
	s_mov_b32 s2, 0
	s_mov_b32 s0, -1
	s_mov_b32 s1, 0
	s_waitcnt vmcnt(0)
	v_cvt_f64_u32_e32 v[13:14], v5
	v_cvt_f64_u32_e32 v[4:5], v4
	s_delay_alu instid0(VALU_DEP_2) | instskip(NEXT) | instid1(VALU_DEP_1)
	v_ldexp_f64 v[13:14], v[13:14], 32
	v_add_f64 v[4:5], v[13:14], v[4:5]
	s_branch .LBB112_1453
.LBB112_1451:
	s_mov_b32 s2, -1
                                        ; implicit-def: $vgpr4_vgpr5
.LBB112_1452:
	s_mov_b32 s1, 0
.LBB112_1453:
	s_delay_alu instid0(SALU_CYCLE_1)
	s_and_b32 vcc_lo, exec_lo, s1
	s_cbranch_vccz .LBB112_1473
; %bb.1454:
	v_cmp_gt_i16_e32 vcc_lo, 27, v12
	s_cbranch_vccnz .LBB112_1457
; %bb.1455:
	v_cmp_lt_i16_e32 vcc_lo, 27, v12
	s_cbranch_vccz .LBB112_1458
; %bb.1456:
	global_load_b32 v4, v[2:3], off
	s_mov_b32 s0, 0
	s_waitcnt vmcnt(0)
	v_cvt_f64_u32_e32 v[4:5], v4
	s_branch .LBB112_1459
.LBB112_1457:
	s_mov_b32 s0, -1
                                        ; implicit-def: $vgpr4_vgpr5
	s_branch .LBB112_1462
.LBB112_1458:
	s_mov_b32 s0, -1
                                        ; implicit-def: $vgpr4_vgpr5
.LBB112_1459:
	s_delay_alu instid0(SALU_CYCLE_1)
	s_and_not1_b32 vcc_lo, exec_lo, s0
	s_cbranch_vccnz .LBB112_1461
; %bb.1460:
	global_load_u16 v4, v[2:3], off
	s_waitcnt vmcnt(0)
	v_cvt_f64_u32_e32 v[4:5], v4
.LBB112_1461:
	s_mov_b32 s0, 0
.LBB112_1462:
	s_delay_alu instid0(SALU_CYCLE_1)
	s_and_not1_b32 vcc_lo, exec_lo, s0
	s_cbranch_vccnz .LBB112_1472
; %bb.1463:
	global_load_u8 v13, v[2:3], off
	s_mov_b32 s7, 0
	s_mov_b32 s9, exec_lo
                                        ; implicit-def: $sgpr0_sgpr1
	s_waitcnt vmcnt(0)
	v_cmpx_lt_i16_e32 0x7f, v13
	s_xor_b32 s9, exec_lo, s9
	s_cbranch_execz .LBB112_1467
; %bb.1464:
	s_mov_b32 s12, -1
	s_mov_b32 s7, exec_lo
                                        ; implicit-def: $sgpr0_sgpr1
	v_cmpx_eq_u16_e32 0x80, v13
; %bb.1465:
	s_mov_b32 s1, 0x7ff80000
	s_brev_b32 s0, 4
	s_xor_b32 s12, exec_lo, -1
; %bb.1466:
	s_or_b32 exec_lo, exec_lo, s7
	s_delay_alu instid0(SALU_CYCLE_1)
	s_and_b32 s7, s12, exec_lo
.LBB112_1467:
	s_or_saveexec_b32 s9, s9
	v_dual_mov_b32 v5, s1 :: v_dual_mov_b32 v4, s0
	s_xor_b32 exec_lo, exec_lo, s9
; %bb.1468:
	v_cmp_ne_u16_e32 vcc_lo, 0, v13
	v_mov_b32_e32 v4, 0
	v_mov_b32_e32 v5, 0
	s_and_not1_b32 s0, s7, exec_lo
	s_and_b32 s1, vcc_lo, exec_lo
	s_delay_alu instid0(SALU_CYCLE_1)
	s_or_b32 s7, s0, s1
; %bb.1469:
	s_or_b32 exec_lo, exec_lo, s9
	s_and_saveexec_b32 s0, s7
	s_cbranch_execz .LBB112_1471
; %bb.1470:
	v_and_b32_e32 v4, 0xffff, v13
	v_lshlrev_b32_e32 v13, 24, v13
	s_delay_alu instid0(VALU_DEP_2) | instskip(NEXT) | instid1(VALU_DEP_2)
	v_and_b32_e32 v5, 7, v4
	v_and_b32_e32 v13, 0x80000000, v13
	s_delay_alu instid0(VALU_DEP_2) | instskip(NEXT) | instid1(VALU_DEP_1)
	v_clz_i32_u32_e32 v14, v5
	v_min_u32_e32 v14, 32, v14
	s_delay_alu instid0(VALU_DEP_1) | instskip(SKIP_1) | instid1(VALU_DEP_2)
	v_subrev_nc_u32_e32 v15, 28, v14
	v_sub_nc_u32_e32 v14, 29, v14
	v_lshlrev_b32_e32 v15, v15, v4
	v_bfe_u32 v4, v4, 3, 4
	s_delay_alu instid0(VALU_DEP_2) | instskip(NEXT) | instid1(VALU_DEP_2)
	v_and_b32_e32 v15, 7, v15
	v_cmp_eq_u32_e32 vcc_lo, 0, v4
	s_delay_alu instid0(VALU_DEP_2) | instskip(NEXT) | instid1(VALU_DEP_1)
	v_dual_cndmask_b32 v4, v4, v14 :: v_dual_cndmask_b32 v5, v5, v15
	v_lshl_add_u32 v4, v4, 23, 0x3b800000
	s_delay_alu instid0(VALU_DEP_2) | instskip(NEXT) | instid1(VALU_DEP_1)
	v_lshlrev_b32_e32 v5, 20, v5
	v_or3_b32 v4, v13, v4, v5
	s_delay_alu instid0(VALU_DEP_1)
	v_cvt_f64_f32_e32 v[4:5], v4
.LBB112_1471:
	s_or_b32 exec_lo, exec_lo, s0
.LBB112_1472:
	s_mov_b32 s0, -1
.LBB112_1473:
	s_mov_b32 s1, 0
.LBB112_1474:
	s_delay_alu instid0(SALU_CYCLE_1)
	s_and_b32 vcc_lo, exec_lo, s1
	s_cbranch_vccz .LBB112_1505
; %bb.1475:
	v_cmp_lt_i16_e32 vcc_lo, 22, v12
	s_cbranch_vccz .LBB112_1487
; %bb.1476:
	v_cmp_gt_i16_e32 vcc_lo, 24, v12
	s_cbranch_vccnz .LBB112_1488
; %bb.1477:
	v_cmp_lt_i16_e32 vcc_lo, 24, v12
	s_cbranch_vccz .LBB112_1489
; %bb.1478:
	global_load_u8 v13, v[2:3], off
	s_mov_b32 s7, exec_lo
                                        ; implicit-def: $sgpr0_sgpr1
	s_waitcnt vmcnt(0)
	v_cmpx_lt_i16_e32 0x7f, v13
	s_xor_b32 s7, exec_lo, s7
	s_cbranch_execz .LBB112_1482
; %bb.1479:
	s_mov_b32 s9, -1
	s_mov_b32 s6, exec_lo
                                        ; implicit-def: $sgpr0_sgpr1
	v_cmpx_eq_u16_e32 0x80, v13
; %bb.1480:
	s_mov_b32 s1, 0x7ff80000
	s_brev_b32 s0, 4
	s_xor_b32 s9, exec_lo, -1
; %bb.1481:
	s_or_b32 exec_lo, exec_lo, s6
	s_delay_alu instid0(SALU_CYCLE_1)
	s_and_b32 s6, s9, exec_lo
.LBB112_1482:
	s_or_saveexec_b32 s7, s7
	v_dual_mov_b32 v5, s1 :: v_dual_mov_b32 v4, s0
	s_xor_b32 exec_lo, exec_lo, s7
; %bb.1483:
	v_cmp_ne_u16_e32 vcc_lo, 0, v13
	v_mov_b32_e32 v4, 0
	v_mov_b32_e32 v5, 0
	s_and_not1_b32 s0, s6, exec_lo
	s_and_b32 s1, vcc_lo, exec_lo
	s_delay_alu instid0(SALU_CYCLE_1)
	s_or_b32 s6, s0, s1
; %bb.1484:
	s_or_b32 exec_lo, exec_lo, s7
	s_and_saveexec_b32 s0, s6
	s_cbranch_execz .LBB112_1486
; %bb.1485:
	v_and_b32_e32 v4, 0xffff, v13
	v_lshlrev_b32_e32 v13, 24, v13
	s_delay_alu instid0(VALU_DEP_2) | instskip(NEXT) | instid1(VALU_DEP_2)
	v_and_b32_e32 v5, 3, v4
	v_and_b32_e32 v13, 0x80000000, v13
	s_delay_alu instid0(VALU_DEP_2) | instskip(NEXT) | instid1(VALU_DEP_1)
	v_clz_i32_u32_e32 v14, v5
	v_min_u32_e32 v14, 32, v14
	s_delay_alu instid0(VALU_DEP_1) | instskip(SKIP_1) | instid1(VALU_DEP_2)
	v_subrev_nc_u32_e32 v15, 29, v14
	v_sub_nc_u32_e32 v14, 30, v14
	v_lshlrev_b32_e32 v15, v15, v4
	v_bfe_u32 v4, v4, 2, 5
	s_delay_alu instid0(VALU_DEP_2) | instskip(NEXT) | instid1(VALU_DEP_2)
	v_and_b32_e32 v15, 3, v15
	v_cmp_eq_u32_e32 vcc_lo, 0, v4
	s_delay_alu instid0(VALU_DEP_2) | instskip(NEXT) | instid1(VALU_DEP_1)
	v_dual_cndmask_b32 v4, v4, v14 :: v_dual_cndmask_b32 v5, v5, v15
	v_lshl_add_u32 v4, v4, 23, 0x37800000
	s_delay_alu instid0(VALU_DEP_2) | instskip(NEXT) | instid1(VALU_DEP_1)
	v_lshlrev_b32_e32 v5, 21, v5
	v_or3_b32 v4, v13, v4, v5
	s_delay_alu instid0(VALU_DEP_1)
	v_cvt_f64_f32_e32 v[4:5], v4
.LBB112_1486:
	s_or_b32 exec_lo, exec_lo, s0
	s_mov_b32 s0, 0
	s_branch .LBB112_1490
.LBB112_1487:
	s_mov_b32 s1, -1
                                        ; implicit-def: $vgpr4_vgpr5
	s_branch .LBB112_1496
.LBB112_1488:
	s_mov_b32 s0, -1
                                        ; implicit-def: $vgpr4_vgpr5
	s_branch .LBB112_1493
.LBB112_1489:
	s_mov_b32 s0, -1
                                        ; implicit-def: $vgpr4_vgpr5
.LBB112_1490:
	s_delay_alu instid0(SALU_CYCLE_1)
	s_and_b32 vcc_lo, exec_lo, s0
	s_cbranch_vccz .LBB112_1492
; %bb.1491:
	global_load_u8 v4, v[2:3], off
	s_waitcnt vmcnt(0)
	v_lshlrev_b32_e32 v4, 24, v4
	s_delay_alu instid0(VALU_DEP_1) | instskip(NEXT) | instid1(VALU_DEP_1)
	v_and_b32_e32 v5, 0x7f000000, v4
	v_clz_i32_u32_e32 v13, v5
	v_add_nc_u32_e32 v15, 0x1000000, v5
	v_cmp_ne_u32_e32 vcc_lo, 0, v5
	s_delay_alu instid0(VALU_DEP_3) | instskip(NEXT) | instid1(VALU_DEP_1)
	v_min_u32_e32 v13, 32, v13
	v_sub_nc_u32_e64 v13, v13, 4 clamp
	s_delay_alu instid0(VALU_DEP_1) | instskip(SKIP_1) | instid1(VALU_DEP_2)
	v_lshlrev_b32_e32 v14, v13, v5
	v_lshlrev_b32_e32 v13, 23, v13
	v_lshrrev_b32_e32 v14, 4, v14
	s_delay_alu instid0(VALU_DEP_1) | instskip(SKIP_1) | instid1(VALU_DEP_2)
	v_sub_nc_u32_e32 v13, v14, v13
	v_ashrrev_i32_e32 v14, 8, v15
	v_add_nc_u32_e32 v13, 0x3c000000, v13
	s_delay_alu instid0(VALU_DEP_1) | instskip(NEXT) | instid1(VALU_DEP_1)
	v_and_or_b32 v13, 0x7f800000, v14, v13
	v_cndmask_b32_e32 v5, 0, v13, vcc_lo
	s_delay_alu instid0(VALU_DEP_1) | instskip(NEXT) | instid1(VALU_DEP_1)
	v_and_or_b32 v4, 0x80000000, v4, v5
	v_cvt_f64_f32_e32 v[4:5], v4
.LBB112_1492:
	s_mov_b32 s0, 0
.LBB112_1493:
	s_delay_alu instid0(SALU_CYCLE_1)
	s_and_not1_b32 vcc_lo, exec_lo, s0
	s_cbranch_vccnz .LBB112_1495
; %bb.1494:
	global_load_u8 v4, v[2:3], off
	s_waitcnt vmcnt(0)
	v_lshlrev_b32_e32 v5, 25, v4
	v_lshlrev_b16 v4, 8, v4
	s_delay_alu instid0(VALU_DEP_1) | instskip(SKIP_1) | instid1(VALU_DEP_2)
	v_and_or_b32 v14, 0x7f00, v4, 0.5
	v_bfe_i32 v4, v4, 0, 16
	v_add_f32_e32 v14, -0.5, v14
	v_lshrrev_b32_e32 v13, 4, v5
	v_cmp_gt_u32_e32 vcc_lo, 0x8000000, v5
	s_delay_alu instid0(VALU_DEP_2) | instskip(NEXT) | instid1(VALU_DEP_1)
	v_or_b32_e32 v13, 0x70000000, v13
	v_mul_f32_e32 v13, 0x7800000, v13
	s_delay_alu instid0(VALU_DEP_1) | instskip(NEXT) | instid1(VALU_DEP_1)
	v_cndmask_b32_e32 v5, v13, v14, vcc_lo
	v_and_or_b32 v4, 0x80000000, v4, v5
	s_delay_alu instid0(VALU_DEP_1)
	v_cvt_f64_f32_e32 v[4:5], v4
.LBB112_1495:
	s_mov_b32 s1, 0
	s_mov_b32 s0, -1
.LBB112_1496:
	s_and_not1_b32 vcc_lo, exec_lo, s1
	s_mov_b32 s6, 0
	s_cbranch_vccnz .LBB112_1505
; %bb.1497:
	v_cmp_lt_i16_e32 vcc_lo, 14, v12
	s_cbranch_vccz .LBB112_1500
; %bb.1498:
	v_cmp_eq_u16_e32 vcc_lo, 15, v12
	s_cbranch_vccz .LBB112_1501
; %bb.1499:
	global_load_u16 v4, v[2:3], off
	s_mov_b32 s2, 0
	s_mov_b32 s0, -1
	s_waitcnt vmcnt(0)
	v_lshlrev_b32_e32 v4, 16, v4
	s_delay_alu instid0(VALU_DEP_1)
	v_cvt_f64_f32_e32 v[4:5], v4
	s_branch .LBB112_1502
.LBB112_1500:
	s_mov_b32 s1, -1
                                        ; implicit-def: $vgpr4_vgpr5
	s_branch .LBB112_1503
.LBB112_1501:
	s_mov_b32 s2, -1
                                        ; implicit-def: $vgpr4_vgpr5
.LBB112_1502:
	s_mov_b32 s1, 0
.LBB112_1503:
	s_delay_alu instid0(SALU_CYCLE_1)
	s_and_b32 vcc_lo, exec_lo, s1
	s_cbranch_vccz .LBB112_1505
; %bb.1504:
	v_cmp_ne_u16_e64 s2, 11, v12
	s_mov_b32 s6, -1
                                        ; implicit-def: $vgpr4_vgpr5
.LBB112_1505:
	s_delay_alu instid0(VALU_DEP_1)
	s_and_b32 vcc_lo, exec_lo, s2
	s_cbranch_vccnz .LBB112_2034
; %bb.1506:
	s_and_not1_b32 vcc_lo, exec_lo, s6
	s_cbranch_vccnz .LBB112_1508
.LBB112_1507:
	global_load_u8 v4, v[2:3], off
	s_mov_b32 s0, -1
	s_waitcnt vmcnt(0)
	v_cmp_ne_u16_e32 vcc_lo, 0, v4
	v_mov_b32_e32 v4, 0
	v_cndmask_b32_e64 v5, 0, 0x3ff00000, vcc_lo
.LBB112_1508:
	s_mov_b32 s1, 0
.LBB112_1509:
	s_delay_alu instid0(SALU_CYCLE_1)
	s_and_b32 vcc_lo, exec_lo, s1
	s_cbranch_vccz .LBB112_1558
; %bb.1510:
	v_cmp_gt_i16_e32 vcc_lo, 5, v12
	s_cbranch_vccnz .LBB112_1515
; %bb.1511:
	v_cmp_gt_i16_e32 vcc_lo, 8, v12
	s_cbranch_vccnz .LBB112_1516
	;; [unrolled: 3-line block ×3, first 2 shown]
; %bb.1513:
	v_cmp_lt_i16_e32 vcc_lo, 9, v12
	s_cbranch_vccz .LBB112_1518
; %bb.1514:
	global_load_b64 v[4:5], v[2:3], off
	s_mov_b32 s0, 0
	s_branch .LBB112_1519
.LBB112_1515:
	s_mov_b32 s0, -1
                                        ; implicit-def: $vgpr4_vgpr5
	s_branch .LBB112_1537
.LBB112_1516:
	s_mov_b32 s0, -1
                                        ; implicit-def: $vgpr4_vgpr5
	s_branch .LBB112_1525
.LBB112_1517:
	s_mov_b32 s0, -1
                                        ; implicit-def: $vgpr4_vgpr5
	s_branch .LBB112_1522
.LBB112_1518:
	s_mov_b32 s0, -1
                                        ; implicit-def: $vgpr4_vgpr5
.LBB112_1519:
	s_delay_alu instid0(SALU_CYCLE_1)
	s_and_not1_b32 vcc_lo, exec_lo, s0
	s_cbranch_vccnz .LBB112_1521
; %bb.1520:
	global_load_b32 v4, v[2:3], off
	s_waitcnt vmcnt(0)
	v_cvt_f64_f32_e32 v[4:5], v4
.LBB112_1521:
	s_mov_b32 s0, 0
.LBB112_1522:
	s_delay_alu instid0(SALU_CYCLE_1)
	s_and_not1_b32 vcc_lo, exec_lo, s0
	s_cbranch_vccnz .LBB112_1524
; %bb.1523:
	global_load_b32 v4, v[2:3], off
	s_waitcnt vmcnt(0)
	v_cvt_f32_f16_e32 v4, v4
	s_delay_alu instid0(VALU_DEP_1)
	v_cvt_f64_f32_e32 v[4:5], v4
.LBB112_1524:
	s_mov_b32 s0, 0
.LBB112_1525:
	s_delay_alu instid0(SALU_CYCLE_1)
	s_and_not1_b32 vcc_lo, exec_lo, s0
	s_cbranch_vccnz .LBB112_1536
; %bb.1526:
	v_cmp_gt_i16_e32 vcc_lo, 6, v12
	s_cbranch_vccnz .LBB112_1529
; %bb.1527:
	v_cmp_lt_i16_e32 vcc_lo, 6, v12
	s_cbranch_vccz .LBB112_1530
; %bb.1528:
	global_load_b64 v[4:5], v[2:3], off
	s_mov_b32 s0, 0
	s_branch .LBB112_1531
.LBB112_1529:
	s_mov_b32 s0, -1
                                        ; implicit-def: $vgpr4_vgpr5
	s_branch .LBB112_1534
.LBB112_1530:
	s_mov_b32 s0, -1
                                        ; implicit-def: $vgpr4_vgpr5
.LBB112_1531:
	s_delay_alu instid0(SALU_CYCLE_1)
	s_and_not1_b32 vcc_lo, exec_lo, s0
	s_cbranch_vccnz .LBB112_1533
; %bb.1532:
	global_load_b32 v4, v[2:3], off
	s_waitcnt vmcnt(0)
	v_cvt_f64_f32_e32 v[4:5], v4
.LBB112_1533:
	s_mov_b32 s0, 0
.LBB112_1534:
	s_delay_alu instid0(SALU_CYCLE_1)
	s_and_not1_b32 vcc_lo, exec_lo, s0
	s_cbranch_vccnz .LBB112_1536
; %bb.1535:
	global_load_u16 v4, v[2:3], off
	s_waitcnt vmcnt(0)
	v_cvt_f32_f16_e32 v4, v4
	s_delay_alu instid0(VALU_DEP_1)
	v_cvt_f64_f32_e32 v[4:5], v4
.LBB112_1536:
	s_mov_b32 s0, 0
.LBB112_1537:
	s_delay_alu instid0(SALU_CYCLE_1)
	s_and_not1_b32 vcc_lo, exec_lo, s0
	s_cbranch_vccnz .LBB112_1557
; %bb.1538:
	v_cmp_gt_i16_e32 vcc_lo, 2, v12
	s_cbranch_vccnz .LBB112_1542
; %bb.1539:
	v_cmp_gt_i16_e32 vcc_lo, 3, v12
	s_cbranch_vccnz .LBB112_1543
; %bb.1540:
	v_cmp_lt_i16_e32 vcc_lo, 3, v12
	s_cbranch_vccz .LBB112_1544
; %bb.1541:
	global_load_b64 v[4:5], v[2:3], off
	s_mov_b32 s0, 0
	s_waitcnt vmcnt(0)
	v_cvt_f64_i32_e32 v[13:14], v5
	v_cvt_f64_u32_e32 v[4:5], v4
	s_delay_alu instid0(VALU_DEP_2) | instskip(NEXT) | instid1(VALU_DEP_1)
	v_ldexp_f64 v[13:14], v[13:14], 32
	v_add_f64 v[4:5], v[13:14], v[4:5]
	s_branch .LBB112_1545
.LBB112_1542:
	s_mov_b32 s0, -1
                                        ; implicit-def: $vgpr4_vgpr5
	s_branch .LBB112_1551
.LBB112_1543:
	s_mov_b32 s0, -1
                                        ; implicit-def: $vgpr4_vgpr5
	s_branch .LBB112_1548
.LBB112_1544:
	s_mov_b32 s0, -1
                                        ; implicit-def: $vgpr4_vgpr5
.LBB112_1545:
	s_delay_alu instid0(SALU_CYCLE_1)
	s_and_not1_b32 vcc_lo, exec_lo, s0
	s_cbranch_vccnz .LBB112_1547
; %bb.1546:
	global_load_b32 v4, v[2:3], off
	s_waitcnt vmcnt(0)
	v_cvt_f64_i32_e32 v[4:5], v4
.LBB112_1547:
	s_mov_b32 s0, 0
.LBB112_1548:
	s_delay_alu instid0(SALU_CYCLE_1)
	s_and_not1_b32 vcc_lo, exec_lo, s0
	s_cbranch_vccnz .LBB112_1550
; %bb.1549:
	global_load_i16 v4, v[2:3], off
	s_waitcnt vmcnt(0)
	v_cvt_f64_i32_e32 v[4:5], v4
.LBB112_1550:
	s_mov_b32 s0, 0
.LBB112_1551:
	s_delay_alu instid0(SALU_CYCLE_1)
	s_and_not1_b32 vcc_lo, exec_lo, s0
	s_cbranch_vccnz .LBB112_1557
; %bb.1552:
	v_cmp_lt_i16_e32 vcc_lo, 0, v12
	s_mov_b32 s0, 0
	s_cbranch_vccz .LBB112_1554
; %bb.1553:
	global_load_i8 v4, v[2:3], off
	s_waitcnt vmcnt(0)
	v_cvt_f64_i32_e32 v[4:5], v4
	s_branch .LBB112_1555
.LBB112_1554:
	s_mov_b32 s0, -1
                                        ; implicit-def: $vgpr4_vgpr5
.LBB112_1555:
	s_delay_alu instid0(SALU_CYCLE_1)
	s_and_not1_b32 vcc_lo, exec_lo, s0
	s_cbranch_vccnz .LBB112_1557
; %bb.1556:
	global_load_u8 v2, v[2:3], off
	s_waitcnt vmcnt(0)
	v_cvt_f64_u32_e32 v[4:5], v2
.LBB112_1557:
	s_mov_b32 s0, -1
.LBB112_1558:
	s_delay_alu instid0(SALU_CYCLE_1)
	s_and_not1_b32 vcc_lo, exec_lo, s0
	s_cbranch_vccnz .LBB112_1989
; %bb.1559:
	s_mov_b32 s0, 0x652b82fe
	s_mov_b32 s1, 0x3ff71547
	s_mov_b32 s6, 0x3b39803f
	s_waitcnt vmcnt(0)
	v_mul_f64 v[2:3], v[0:1], s[0:1]
	s_mov_b32 s1, 0xbfe62e42
	s_mov_b32 s0, 0xfefa39ef
	;; [unrolled: 1-line block ×5, first 2 shown]
	s_delay_alu instid0(VALU_DEP_1) | instskip(NEXT) | instid1(VALU_DEP_1)
	v_rndne_f64_e32 v[2:3], v[2:3]
	v_fma_f64 v[12:13], v[2:3], s[0:1], v[0:1]
	v_cvt_i32_f64_e32 v16, v[2:3]
	v_cmp_eq_f64_e32 vcc_lo, 0x40900000, v[2:3]
	s_mov_b32 s1, 0x40862e42
	s_delay_alu instid0(SALU_CYCLE_1)
	v_cmp_nlt_f64_e64 s0, s[0:1], v[0:1]
	v_cmp_ngt_f64_e64 s1, 0xc0428000, v[0:1]
	v_fma_f64 v[12:13], v[2:3], s[6:7], v[12:13]
	s_mov_b32 s6, 0x2a1b768b
	s_mov_b32 s7, 0x3e5af4eb
	v_cndmask_b32_e64 v2, v16, 0x3ff, vcc_lo
	s_delay_alu instid0(VALU_DEP_1) | instskip(NEXT) | instid1(VALU_DEP_3)
	v_ldexp_f64 v[2:3], 1.0, v2
	v_fma_f64 v[14:15], v[12:13], s[12:13], s[6:7]
	s_mov_b32 s6, 0xe0ac05b
	s_mov_b32 s7, 0x3e927e50
	s_delay_alu instid0(VALU_DEP_2) | instskip(NEXT) | instid1(VALU_DEP_2)
	v_add_f64 v[16:17], v[2:3], -1.0
	v_fma_f64 v[14:15], v[12:13], v[14:15], s[6:7]
	s_mov_b32 s6, 0x1b889c29
	s_mov_b32 s7, 0x3ec71de0
	s_delay_alu instid0(VALU_DEP_1) | instid1(SALU_CYCLE_1)
	v_fma_f64 v[14:15], v[12:13], v[14:15], s[6:7]
	s_mov_b32 s6, 0x197bcfd8
	s_mov_b32 s7, 0x3efa01a0
	s_delay_alu instid0(VALU_DEP_1) | instid1(SALU_CYCLE_1)
	;; [unrolled: 4-line block ×7, first 2 shown]
	v_fma_f64 v[14:15], v[12:13], v[14:15], s[6:7]
	s_mov_b32 s6, 0
	s_delay_alu instid0(VALU_DEP_1) | instskip(NEXT) | instid1(VALU_DEP_1)
	v_fma_f64 v[14:15], v[12:13], v[14:15], 0.5
	v_mul_f64 v[14:15], v[12:13], v[14:15]
	s_delay_alu instid0(VALU_DEP_1) | instskip(NEXT) | instid1(VALU_DEP_1)
	v_fma_f64 v[12:13], v[12:13], v[14:15], v[12:13]
	v_fma_f64 v[2:3], v[2:3], v[12:13], v[16:17]
	v_mul_lo_u32 v12, s8, v11
	v_and_b32_e32 v13, 0xff, v10
	s_delay_alu instid0(VALU_DEP_1) | instskip(NEXT) | instid1(VALU_DEP_3)
	v_cmp_gt_i16_e64 s2, 11, v13
	v_ashrrev_i32_e32 v0, 31, v12
	v_add_f64 v[14:15], v[2:3], v[2:3]
	s_delay_alu instid0(VALU_DEP_1) | instskip(SKIP_1) | instid1(VALU_DEP_4)
	v_dual_cndmask_b32 v3, v3, v15 :: v_dual_cndmask_b32 v2, v2, v14
	v_add_co_u32 v10, vcc_lo, s4, v12
	v_add_co_ci_u32_e32 v11, vcc_lo, s5, v0, vcc_lo
	s_delay_alu instid0(VALU_DEP_3)
	v_cndmask_b32_e64 v3, 0x7ff00000, v3, s0
	s_and_b32 vcc_lo, s1, s0
	s_mov_b32 s0, -1
	v_cndmask_b32_e32 v0, 0, v2, vcc_lo
	s_and_b32 vcc_lo, exec_lo, s2
	v_cndmask_b32_e64 v1, 0xbff00000, v3, s1
	s_cbranch_vccnz .LBB112_1637
; %bb.1560:
	v_cmp_lt_i16_e32 vcc_lo, 25, v13
	s_mov_b32 s2, -1
	s_mov_b32 s1, 0
	s_mov_b32 s0, 0
	s_cbranch_vccz .LBB112_1593
; %bb.1561:
	v_cmp_lt_i16_e32 vcc_lo, 28, v13
	s_cbranch_vccz .LBB112_1576
; %bb.1562:
	v_cmp_lt_i16_e32 vcc_lo, 43, v13
	;; [unrolled: 3-line block ×3, first 2 shown]
	s_cbranch_vccz .LBB112_1566
; %bb.1564:
	v_cmp_eq_u16_e32 vcc_lo, 46, v13
	s_mov_b32 s0, -1
	s_mov_b32 s2, 0
	s_cbranch_vccz .LBB112_1566
; %bb.1565:
	v_cvt_f32_f64_e32 v2, v[0:1]
	s_mov_b32 s0, 0
	s_mov_b32 s6, -1
	s_delay_alu instid0(VALU_DEP_1) | instskip(SKIP_1) | instid1(VALU_DEP_2)
	v_bfe_u32 v3, v2, 16, 1
	v_cmp_o_f32_e32 vcc_lo, v2, v2
	v_add3_u32 v3, v2, v3, 0x7fff
	s_delay_alu instid0(VALU_DEP_1) | instskip(NEXT) | instid1(VALU_DEP_1)
	v_lshrrev_b32_e32 v3, 16, v3
	v_cndmask_b32_e32 v2, 0x7fc0, v3, vcc_lo
	global_store_b32 v[10:11], v2, off
.LBB112_1566:
	s_and_b32 vcc_lo, exec_lo, s2
	s_cbranch_vccz .LBB112_1571
; %bb.1567:
	v_cmp_eq_u16_e32 vcc_lo, 44, v13
	s_mov_b32 s0, -1
	s_cbranch_vccz .LBB112_1571
; %bb.1568:
	v_cvt_f32_f64_e32 v2, v[0:1]
	v_mov_b32_e32 v3, 0xff
	s_mov_b32 s2, exec_lo
	s_delay_alu instid0(VALU_DEP_2) | instskip(NEXT) | instid1(VALU_DEP_1)
	v_bfe_u32 v14, v2, 23, 8
	v_cmpx_ne_u32_e32 0xff, v14
; %bb.1569:
	v_and_b32_e32 v3, 0x400000, v2
	v_and_or_b32 v14, 0x3fffff, v2, v14
	v_lshrrev_b32_e32 v2, 23, v2
	s_delay_alu instid0(VALU_DEP_3) | instskip(NEXT) | instid1(VALU_DEP_3)
	v_cmp_ne_u32_e32 vcc_lo, 0, v3
	v_cmp_ne_u32_e64 s0, 0, v14
	s_delay_alu instid0(VALU_DEP_1) | instskip(NEXT) | instid1(SALU_CYCLE_1)
	s_and_b32 s0, vcc_lo, s0
	v_cndmask_b32_e64 v3, 0, 1, s0
	s_delay_alu instid0(VALU_DEP_1)
	v_add_nc_u32_e32 v3, v2, v3
; %bb.1570:
	s_or_b32 exec_lo, exec_lo, s2
	s_mov_b32 s0, 0
	s_mov_b32 s6, -1
	global_store_b8 v[10:11], v3, off
.LBB112_1571:
	s_mov_b32 s2, 0
.LBB112_1572:
	s_delay_alu instid0(SALU_CYCLE_1)
	s_and_b32 vcc_lo, exec_lo, s2
	s_cbranch_vccz .LBB112_1575
; %bb.1573:
	v_cmp_eq_u16_e32 vcc_lo, 29, v13
	s_mov_b32 s0, -1
	s_cbranch_vccz .LBB112_1575
; %bb.1574:
	v_trunc_f64_e32 v[2:3], v[0:1]
	s_mov_b32 s0, 0
	s_mov_b32 s6, -1
	s_delay_alu instid0(VALU_DEP_1) | instskip(NEXT) | instid1(VALU_DEP_1)
	v_ldexp_f64 v[14:15], v[2:3], 0xffffffe0
	v_floor_f64_e32 v[14:15], v[14:15]
	s_delay_alu instid0(VALU_DEP_1) | instskip(SKIP_1) | instid1(VALU_DEP_2)
	v_fma_f64 v[2:3], 0xc1f00000, v[14:15], v[2:3]
	v_cvt_u32_f64_e32 v15, v[14:15]
	v_cvt_u32_f64_e32 v14, v[2:3]
	global_store_b64 v[10:11], v[14:15], off
.LBB112_1575:
	s_mov_b32 s2, 0
.LBB112_1576:
	s_delay_alu instid0(SALU_CYCLE_1)
	s_and_b32 vcc_lo, exec_lo, s2
	s_cbranch_vccz .LBB112_1592
; %bb.1577:
	v_cmp_gt_i16_e32 vcc_lo, 27, v13
	s_mov_b32 s2, -1
	s_cbranch_vccnz .LBB112_1583
; %bb.1578:
	v_cvt_u32_f64_e32 v2, v[0:1]
	v_cmp_lt_i16_e32 vcc_lo, 27, v13
	s_cbranch_vccz .LBB112_1580
; %bb.1579:
	s_mov_b32 s2, 0
	global_store_b32 v[10:11], v2, off
.LBB112_1580:
	s_and_not1_b32 vcc_lo, exec_lo, s2
	s_cbranch_vccnz .LBB112_1582
; %bb.1581:
	global_store_b16 v[10:11], v2, off
.LBB112_1582:
	s_mov_b32 s2, 0
.LBB112_1583:
	s_delay_alu instid0(SALU_CYCLE_1)
	s_and_not1_b32 vcc_lo, exec_lo, s2
	s_cbranch_vccnz .LBB112_1591
; %bb.1584:
	v_cvt_f32_f64_e32 v2, v[0:1]
	v_mov_b32_e32 v14, 0x80
	s_mov_b32 s2, exec_lo
	s_delay_alu instid0(VALU_DEP_2) | instskip(NEXT) | instid1(VALU_DEP_1)
	v_and_b32_e32 v3, 0x7fffffff, v2
	v_cmpx_gt_u32_e32 0x43800000, v3
	s_cbranch_execz .LBB112_1590
; %bb.1585:
	v_cmp_lt_u32_e32 vcc_lo, 0x3bffffff, v3
	s_mov_b32 s6, 0
                                        ; implicit-def: $vgpr3
	s_and_saveexec_b32 s7, vcc_lo
	s_delay_alu instid0(SALU_CYCLE_1)
	s_xor_b32 s7, exec_lo, s7
	s_cbranch_execz .LBB112_2036
; %bb.1586:
	v_bfe_u32 v3, v2, 20, 1
	s_mov_b32 s6, exec_lo
	s_delay_alu instid0(VALU_DEP_1) | instskip(NEXT) | instid1(VALU_DEP_1)
	v_add3_u32 v3, v2, v3, 0x487ffff
	v_lshrrev_b32_e32 v3, 20, v3
	s_or_saveexec_b32 s7, s7
                                        ; implicit-def: $sgpr9
	s_delay_alu instid0(SALU_CYCLE_1)
	s_xor_b32 exec_lo, exec_lo, s7
	s_cbranch_execnz .LBB112_2037
.LBB112_1587:
	s_or_b32 exec_lo, exec_lo, s7
	v_mov_b32_e32 v14, s9
	s_and_saveexec_b32 s7, s6
.LBB112_1588:
	v_lshrrev_b32_e32 v2, 24, v2
	s_delay_alu instid0(VALU_DEP_1)
	v_and_or_b32 v14, 0x80, v2, v3
.LBB112_1589:
	s_or_b32 exec_lo, exec_lo, s7
.LBB112_1590:
	s_delay_alu instid0(SALU_CYCLE_1)
	s_or_b32 exec_lo, exec_lo, s2
	global_store_b8 v[10:11], v14, off
.LBB112_1591:
	s_mov_b32 s6, -1
.LBB112_1592:
	s_mov_b32 s2, 0
.LBB112_1593:
	s_delay_alu instid0(SALU_CYCLE_1)
	s_and_b32 vcc_lo, exec_lo, s2
	s_cbranch_vccz .LBB112_1633
; %bb.1594:
	v_cmp_lt_i16_e32 vcc_lo, 22, v13
	s_mov_b32 s1, -1
	s_cbranch_vccz .LBB112_1626
; %bb.1595:
	v_cmp_gt_i16_e32 vcc_lo, 24, v13
	s_cbranch_vccnz .LBB112_1615
; %bb.1596:
	v_cmp_lt_i16_e32 vcc_lo, 24, v13
	s_cbranch_vccz .LBB112_1604
; %bb.1597:
	v_cvt_f32_f64_e32 v2, v[0:1]
	v_mov_b32_e32 v14, 0x80
	s_mov_b32 s1, exec_lo
	s_delay_alu instid0(VALU_DEP_2) | instskip(NEXT) | instid1(VALU_DEP_1)
	v_and_b32_e32 v3, 0x7fffffff, v2
	v_cmpx_gt_u32_e32 0x47800000, v3
	s_cbranch_execz .LBB112_1603
; %bb.1598:
	v_cmp_lt_u32_e32 vcc_lo, 0x37ffffff, v3
	s_mov_b32 s2, 0
                                        ; implicit-def: $vgpr3
	s_and_saveexec_b32 s6, vcc_lo
	s_delay_alu instid0(SALU_CYCLE_1)
	s_xor_b32 s6, exec_lo, s6
	s_cbranch_execz .LBB112_2042
; %bb.1599:
	v_bfe_u32 v3, v2, 21, 1
	s_mov_b32 s2, exec_lo
	s_delay_alu instid0(VALU_DEP_1) | instskip(NEXT) | instid1(VALU_DEP_1)
	v_add3_u32 v3, v2, v3, 0x88fffff
	v_lshrrev_b32_e32 v3, 21, v3
	s_or_saveexec_b32 s6, s6
                                        ; implicit-def: $sgpr7
	s_delay_alu instid0(SALU_CYCLE_1)
	s_xor_b32 exec_lo, exec_lo, s6
	s_cbranch_execnz .LBB112_2043
.LBB112_1600:
	s_or_b32 exec_lo, exec_lo, s6
	v_mov_b32_e32 v14, s7
	s_and_saveexec_b32 s6, s2
.LBB112_1601:
	v_lshrrev_b32_e32 v2, 24, v2
	s_delay_alu instid0(VALU_DEP_1)
	v_and_or_b32 v14, 0x80, v2, v3
.LBB112_1602:
	s_or_b32 exec_lo, exec_lo, s6
.LBB112_1603:
	s_delay_alu instid0(SALU_CYCLE_1)
	s_or_b32 exec_lo, exec_lo, s1
	s_mov_b32 s1, 0
	global_store_b8 v[10:11], v14, off
.LBB112_1604:
	s_and_b32 vcc_lo, exec_lo, s1
	s_cbranch_vccz .LBB112_1614
; %bb.1605:
	v_cvt_f32_f64_e32 v2, v[0:1]
	s_mov_b32 s1, exec_lo
                                        ; implicit-def: $vgpr3
	s_delay_alu instid0(VALU_DEP_1) | instskip(NEXT) | instid1(VALU_DEP_1)
	v_and_b32_e32 v14, 0x7fffffff, v2
	v_cmpx_gt_u32_e32 0x43f00000, v14
	s_xor_b32 s1, exec_lo, s1
	s_cbranch_execz .LBB112_1611
; %bb.1606:
	s_mov_b32 s2, exec_lo
                                        ; implicit-def: $vgpr3
	v_cmpx_lt_u32_e32 0x3c7fffff, v14
	s_xor_b32 s2, exec_lo, s2
; %bb.1607:
	v_bfe_u32 v3, v2, 20, 1
	s_delay_alu instid0(VALU_DEP_1) | instskip(NEXT) | instid1(VALU_DEP_1)
	v_add3_u32 v3, v2, v3, 0x407ffff
	v_and_b32_e32 v14, 0xff00000, v3
	v_lshrrev_b32_e32 v3, 20, v3
	s_delay_alu instid0(VALU_DEP_2) | instskip(NEXT) | instid1(VALU_DEP_2)
	v_cmp_ne_u32_e32 vcc_lo, 0x7f00000, v14
	v_cndmask_b32_e32 v3, 0x7e, v3, vcc_lo
; %bb.1608:
	s_and_not1_saveexec_b32 s2, s2
; %bb.1609:
	v_add_f32_e64 v3, 0x46800000, |v2|
; %bb.1610:
	s_or_b32 exec_lo, exec_lo, s2
                                        ; implicit-def: $vgpr14
.LBB112_1611:
	s_and_not1_saveexec_b32 s1, s1
; %bb.1612:
	v_mov_b32_e32 v3, 0x7f
	v_cmp_lt_u32_e32 vcc_lo, 0x7f800000, v14
	s_delay_alu instid0(VALU_DEP_2)
	v_cndmask_b32_e32 v3, 0x7e, v3, vcc_lo
; %bb.1613:
	s_or_b32 exec_lo, exec_lo, s1
	v_lshrrev_b32_e32 v2, 24, v2
	s_delay_alu instid0(VALU_DEP_1)
	v_and_or_b32 v2, 0x80, v2, v3
	global_store_b8 v[10:11], v2, off
.LBB112_1614:
	s_mov_b32 s1, 0
.LBB112_1615:
	s_delay_alu instid0(SALU_CYCLE_1)
	s_and_not1_b32 vcc_lo, exec_lo, s1
	s_cbranch_vccnz .LBB112_1625
; %bb.1616:
	v_cvt_f32_f64_e32 v2, v[0:1]
	s_mov_b32 s1, exec_lo
                                        ; implicit-def: $vgpr3
	s_delay_alu instid0(VALU_DEP_1) | instskip(NEXT) | instid1(VALU_DEP_1)
	v_and_b32_e32 v14, 0x7fffffff, v2
	v_cmpx_gt_u32_e32 0x47800000, v14
	s_xor_b32 s1, exec_lo, s1
	s_cbranch_execz .LBB112_1622
; %bb.1617:
	s_mov_b32 s2, exec_lo
                                        ; implicit-def: $vgpr3
	v_cmpx_lt_u32_e32 0x387fffff, v14
	s_xor_b32 s2, exec_lo, s2
; %bb.1618:
	v_bfe_u32 v3, v2, 21, 1
	s_delay_alu instid0(VALU_DEP_1) | instskip(NEXT) | instid1(VALU_DEP_1)
	v_add3_u32 v3, v2, v3, 0x80fffff
	v_lshrrev_b32_e32 v3, 21, v3
; %bb.1619:
	s_and_not1_saveexec_b32 s2, s2
; %bb.1620:
	v_add_f32_e64 v3, 0x43000000, |v2|
; %bb.1621:
	s_or_b32 exec_lo, exec_lo, s2
                                        ; implicit-def: $vgpr14
.LBB112_1622:
	s_and_not1_saveexec_b32 s1, s1
; %bb.1623:
	v_mov_b32_e32 v3, 0x7f
	v_cmp_lt_u32_e32 vcc_lo, 0x7f800000, v14
	s_delay_alu instid0(VALU_DEP_2)
	v_cndmask_b32_e32 v3, 0x7c, v3, vcc_lo
; %bb.1624:
	s_or_b32 exec_lo, exec_lo, s1
	v_lshrrev_b32_e32 v2, 24, v2
	s_delay_alu instid0(VALU_DEP_1)
	v_and_or_b32 v2, 0x80, v2, v3
	global_store_b8 v[10:11], v2, off
.LBB112_1625:
	s_mov_b32 s1, 0
	s_mov_b32 s6, -1
.LBB112_1626:
	s_and_not1_b32 vcc_lo, exec_lo, s1
	s_mov_b32 s1, 0
	s_cbranch_vccnz .LBB112_1633
; %bb.1627:
	v_cmp_lt_i16_e32 vcc_lo, 14, v13
	s_mov_b32 s1, -1
	s_cbranch_vccz .LBB112_1631
; %bb.1628:
	v_cmp_eq_u16_e32 vcc_lo, 15, v13
	s_mov_b32 s0, -1
	s_cbranch_vccz .LBB112_1630
; %bb.1629:
	v_cvt_f32_f64_e32 v2, v[0:1]
	s_mov_b32 s0, 0
	s_mov_b32 s6, -1
	s_delay_alu instid0(VALU_DEP_1) | instskip(SKIP_1) | instid1(VALU_DEP_2)
	v_bfe_u32 v3, v2, 16, 1
	v_cmp_o_f32_e32 vcc_lo, v2, v2
	v_add3_u32 v3, v2, v3, 0x7fff
	s_delay_alu instid0(VALU_DEP_1) | instskip(NEXT) | instid1(VALU_DEP_1)
	v_lshrrev_b32_e32 v3, 16, v3
	v_cndmask_b32_e32 v2, 0x7fc0, v3, vcc_lo
	global_store_b16 v[10:11], v2, off
.LBB112_1630:
	s_mov_b32 s1, 0
.LBB112_1631:
	s_delay_alu instid0(SALU_CYCLE_1)
	s_and_b32 vcc_lo, exec_lo, s1
	s_mov_b32 s1, 0
	s_cbranch_vccz .LBB112_1633
; %bb.1632:
	v_cmp_ne_u16_e64 s0, 11, v13
	s_mov_b32 s1, -1
.LBB112_1633:
	s_delay_alu instid0(VALU_DEP_1)
	s_and_b32 vcc_lo, exec_lo, s0
	s_cbranch_vccnz .LBB112_2040
; %bb.1634:
	s_and_not1_b32 vcc_lo, exec_lo, s1
	s_cbranch_vccnz .LBB112_1636
.LBB112_1635:
	v_cmp_neq_f64_e32 vcc_lo, 0, v[0:1]
	s_mov_b32 s6, -1
	v_cndmask_b32_e64 v2, 0, 1, vcc_lo
	global_store_b8 v[10:11], v2, off
.LBB112_1636:
	s_mov_b32 s0, 0
.LBB112_1637:
	s_delay_alu instid0(SALU_CYCLE_1)
	s_and_b32 vcc_lo, exec_lo, s0
	s_cbranch_vccz .LBB112_1676
; %bb.1638:
	v_cmp_gt_i16_e32 vcc_lo, 5, v13
	s_mov_b32 s0, -1
	s_cbranch_vccnz .LBB112_1659
; %bb.1639:
	v_cmp_gt_i16_e32 vcc_lo, 8, v13
	s_cbranch_vccnz .LBB112_1649
; %bb.1640:
	v_cmp_gt_i16_e32 vcc_lo, 9, v13
	s_cbranch_vccnz .LBB112_1646
; %bb.1641:
	v_cmp_lt_i16_e32 vcc_lo, 9, v13
	s_cbranch_vccz .LBB112_1643
; %bb.1642:
	v_mov_b32_e32 v2, 0
	s_mov_b32 s0, 0
	s_delay_alu instid0(VALU_DEP_1)
	v_mov_b32_e32 v3, v2
	global_store_b128 v[10:11], v[0:3], off
.LBB112_1643:
	s_and_not1_b32 vcc_lo, exec_lo, s0
	s_cbranch_vccnz .LBB112_1645
; %bb.1644:
	v_cvt_f32_f64_e32 v2, v[0:1]
	v_mov_b32_e32 v3, 0
	global_store_b64 v[10:11], v[2:3], off
.LBB112_1645:
	s_mov_b32 s0, 0
.LBB112_1646:
	s_delay_alu instid0(SALU_CYCLE_1)
	s_and_not1_b32 vcc_lo, exec_lo, s0
	s_cbranch_vccnz .LBB112_1648
; %bb.1647:
	v_cvt_f32_f64_e32 v2, v[0:1]
	s_delay_alu instid0(VALU_DEP_1) | instskip(NEXT) | instid1(VALU_DEP_1)
	v_cvt_f16_f32_e32 v2, v2
	v_and_b32_e32 v2, 0xffff, v2
	global_store_b32 v[10:11], v2, off
.LBB112_1648:
	s_mov_b32 s0, 0
.LBB112_1649:
	s_delay_alu instid0(SALU_CYCLE_1)
	s_and_not1_b32 vcc_lo, exec_lo, s0
	s_cbranch_vccnz .LBB112_1658
; %bb.1650:
	v_cmp_gt_i16_e32 vcc_lo, 6, v13
	s_mov_b32 s0, -1
	s_cbranch_vccnz .LBB112_1656
; %bb.1651:
	v_cmp_lt_i16_e32 vcc_lo, 6, v13
	s_cbranch_vccz .LBB112_1653
; %bb.1652:
	s_mov_b32 s0, 0
	global_store_b64 v[10:11], v[0:1], off
.LBB112_1653:
	s_and_not1_b32 vcc_lo, exec_lo, s0
	s_cbranch_vccnz .LBB112_1655
; %bb.1654:
	v_cvt_f32_f64_e32 v2, v[0:1]
	global_store_b32 v[10:11], v2, off
.LBB112_1655:
	s_mov_b32 s0, 0
.LBB112_1656:
	s_delay_alu instid0(SALU_CYCLE_1)
	s_and_not1_b32 vcc_lo, exec_lo, s0
	s_cbranch_vccnz .LBB112_1658
; %bb.1657:
	v_cvt_f32_f64_e32 v2, v[0:1]
	s_delay_alu instid0(VALU_DEP_1)
	v_cvt_f16_f32_e32 v2, v2
	global_store_b16 v[10:11], v2, off
.LBB112_1658:
	s_mov_b32 s0, 0
.LBB112_1659:
	s_delay_alu instid0(SALU_CYCLE_1)
	s_and_not1_b32 vcc_lo, exec_lo, s0
	s_cbranch_vccnz .LBB112_1675
; %bb.1660:
	v_cmp_gt_i16_e32 vcc_lo, 2, v13
	s_mov_b32 s0, -1
	s_cbranch_vccnz .LBB112_1670
; %bb.1661:
	v_cmp_gt_i16_e32 vcc_lo, 3, v13
	s_cbranch_vccnz .LBB112_1667
; %bb.1662:
	v_cmp_lt_i16_e32 vcc_lo, 3, v13
	s_cbranch_vccz .LBB112_1664
; %bb.1663:
	v_trunc_f64_e32 v[2:3], v[0:1]
	s_mov_b32 s0, 0
	s_delay_alu instid0(VALU_DEP_1) | instskip(NEXT) | instid1(VALU_DEP_1)
	v_ldexp_f64 v[14:15], v[2:3], 0xffffffe0
	v_floor_f64_e32 v[14:15], v[14:15]
	s_delay_alu instid0(VALU_DEP_1) | instskip(SKIP_1) | instid1(VALU_DEP_2)
	v_fma_f64 v[2:3], 0xc1f00000, v[14:15], v[2:3]
	v_cvt_i32_f64_e32 v15, v[14:15]
	v_cvt_u32_f64_e32 v14, v[2:3]
	global_store_b64 v[10:11], v[14:15], off
.LBB112_1664:
	s_and_not1_b32 vcc_lo, exec_lo, s0
	s_cbranch_vccnz .LBB112_1666
; %bb.1665:
	v_cvt_i32_f64_e32 v2, v[0:1]
	global_store_b32 v[10:11], v2, off
.LBB112_1666:
	s_mov_b32 s0, 0
.LBB112_1667:
	s_delay_alu instid0(SALU_CYCLE_1)
	s_and_not1_b32 vcc_lo, exec_lo, s0
	s_cbranch_vccnz .LBB112_1669
; %bb.1668:
	v_cvt_i32_f64_e32 v2, v[0:1]
	global_store_b16 v[10:11], v2, off
.LBB112_1669:
	s_mov_b32 s0, 0
.LBB112_1670:
	s_delay_alu instid0(SALU_CYCLE_1)
	s_and_not1_b32 vcc_lo, exec_lo, s0
	s_cbranch_vccnz .LBB112_1675
; %bb.1671:
	v_cmp_lt_i16_e32 vcc_lo, 0, v13
	s_mov_b32 s0, -1
	s_cbranch_vccz .LBB112_1673
; %bb.1672:
	v_cvt_i32_f64_e32 v2, v[0:1]
	s_mov_b32 s0, 0
	global_store_b8 v[10:11], v2, off
.LBB112_1673:
	s_and_not1_b32 vcc_lo, exec_lo, s0
	s_cbranch_vccnz .LBB112_1675
; %bb.1674:
	v_trunc_f64_e32 v[0:1], v[0:1]
	s_delay_alu instid0(VALU_DEP_1) | instskip(NEXT) | instid1(VALU_DEP_1)
	v_ldexp_f64 v[2:3], v[0:1], 0xffffffe0
	v_floor_f64_e32 v[2:3], v[2:3]
	s_delay_alu instid0(VALU_DEP_1) | instskip(NEXT) | instid1(VALU_DEP_1)
	v_fma_f64 v[0:1], 0xc1f00000, v[2:3], v[0:1]
	v_cvt_u32_f64_e32 v0, v[0:1]
	global_store_b8 v[10:11], v0, off
.LBB112_1675:
	s_mov_b32 s6, -1
.LBB112_1676:
	s_delay_alu instid0(SALU_CYCLE_1)
	s_and_not1_b32 vcc_lo, exec_lo, s6
	s_cbranch_vccnz .LBB112_1989
; %bb.1677:
	s_mov_b32 s0, 0x652b82fe
	s_mov_b32 s1, 0x3ff71547
	;; [unrolled: 1-line block ×3, first 2 shown]
	v_mul_f64 v[0:1], v[8:9], s[0:1]
	s_mov_b32 s1, 0xbfe62e42
	s_mov_b32 s0, 0xfefa39ef
	;; [unrolled: 1-line block ×5, first 2 shown]
	v_cmp_gt_i16_e64 s2, 11, v13
	s_delay_alu instid0(VALU_DEP_2) | instskip(NEXT) | instid1(VALU_DEP_1)
	v_rndne_f64_e32 v[0:1], v[0:1]
	v_fma_f64 v[2:3], v[0:1], s[0:1], v[8:9]
	v_cvt_i32_f64_e32 v14, v[0:1]
	v_cmp_eq_f64_e32 vcc_lo, 0x40900000, v[0:1]
	s_mov_b32 s1, 0x40862e42
	s_delay_alu instid0(SALU_CYCLE_1)
	v_cmp_nlt_f64_e64 s0, s[0:1], v[8:9]
	v_cmp_ngt_f64_e64 s1, 0xc0428000, v[8:9]
	v_fma_f64 v[2:3], v[0:1], s[6:7], v[2:3]
	s_mov_b32 s6, 0x2a1b768b
	s_mov_b32 s7, 0x3e5af4eb
	v_cndmask_b32_e64 v0, v14, 0x3ff, vcc_lo
	s_delay_alu instid0(VALU_DEP_1) | instskip(NEXT) | instid1(VALU_DEP_3)
	v_ldexp_f64 v[0:1], 1.0, v0
	v_fma_f64 v[10:11], v[2:3], s[12:13], s[6:7]
	s_mov_b32 s6, 0xe0ac05b
	s_mov_b32 s7, 0x3e927e50
	s_delay_alu instid0(VALU_DEP_2) | instskip(NEXT) | instid1(VALU_DEP_2)
	v_add_f64 v[14:15], v[0:1], -1.0
	v_fma_f64 v[10:11], v[2:3], v[10:11], s[6:7]
	s_mov_b32 s6, 0x1b889c29
	s_mov_b32 s7, 0x3ec71de0
	s_delay_alu instid0(VALU_DEP_1) | instid1(SALU_CYCLE_1)
	v_fma_f64 v[10:11], v[2:3], v[10:11], s[6:7]
	s_mov_b32 s6, 0x197bcfd8
	s_mov_b32 s7, 0x3efa01a0
	s_delay_alu instid0(VALU_DEP_1) | instid1(SALU_CYCLE_1)
	;; [unrolled: 4-line block ×7, first 2 shown]
	v_fma_f64 v[10:11], v[2:3], v[10:11], s[6:7]
	s_lshl_b32 s6, s8, 7
	s_mov_b32 s7, 0
	s_delay_alu instid0(VALU_DEP_1) | instskip(NEXT) | instid1(VALU_DEP_1)
	v_fma_f64 v[10:11], v[2:3], v[10:11], 0.5
	v_mul_f64 v[10:11], v[2:3], v[10:11]
	s_delay_alu instid0(VALU_DEP_1) | instskip(SKIP_1) | instid1(VALU_DEP_2)
	v_fma_f64 v[2:3], v[2:3], v[10:11], v[2:3]
	v_add_nc_u32_e32 v10, s6, v12
	v_fma_f64 v[0:1], v[0:1], v[2:3], v[14:15]
	s_delay_alu instid0(VALU_DEP_1) | instskip(NEXT) | instid1(VALU_DEP_1)
	v_add_f64 v[2:3], v[0:1], v[0:1]
	v_dual_cndmask_b32 v1, v1, v3 :: v_dual_cndmask_b32 v0, v0, v2
	s_delay_alu instid0(VALU_DEP_4) | instskip(SKIP_1) | instid1(VALU_DEP_3)
	v_ashrrev_i32_e32 v3, 31, v10
	v_add_co_u32 v8, vcc_lo, s4, v10
	v_cndmask_b32_e64 v1, 0x7ff00000, v1, s0
	s_delay_alu instid0(VALU_DEP_3) | instskip(SKIP_1) | instid1(VALU_DEP_2)
	v_add_co_ci_u32_e32 v9, vcc_lo, s5, v3, vcc_lo
	s_and_b32 vcc_lo, s1, s0
	v_cndmask_b32_e64 v1, 0xbff00000, v1, s1
	s_mov_b32 s0, -1
	v_cndmask_b32_e32 v0, 0, v0, vcc_lo
	s_and_b32 vcc_lo, exec_lo, s2
	s_cbranch_vccnz .LBB112_1755
; %bb.1678:
	v_cmp_lt_i16_e32 vcc_lo, 25, v13
	s_mov_b32 s2, -1
	s_mov_b32 s1, 0
	s_mov_b32 s0, 0
	s_cbranch_vccz .LBB112_1711
; %bb.1679:
	v_cmp_lt_i16_e32 vcc_lo, 28, v13
	s_cbranch_vccz .LBB112_1694
; %bb.1680:
	v_cmp_lt_i16_e32 vcc_lo, 43, v13
	;; [unrolled: 3-line block ×3, first 2 shown]
	s_cbranch_vccz .LBB112_1684
; %bb.1682:
	v_cmp_eq_u16_e32 vcc_lo, 46, v13
	s_mov_b32 s0, -1
	s_mov_b32 s2, 0
	s_cbranch_vccz .LBB112_1684
; %bb.1683:
	v_cvt_f32_f64_e32 v2, v[0:1]
	s_mov_b32 s0, 0
	s_mov_b32 s7, -1
	s_delay_alu instid0(VALU_DEP_1) | instskip(SKIP_1) | instid1(VALU_DEP_2)
	v_bfe_u32 v3, v2, 16, 1
	v_cmp_o_f32_e32 vcc_lo, v2, v2
	v_add3_u32 v3, v2, v3, 0x7fff
	s_delay_alu instid0(VALU_DEP_1) | instskip(NEXT) | instid1(VALU_DEP_1)
	v_lshrrev_b32_e32 v3, 16, v3
	v_cndmask_b32_e32 v2, 0x7fc0, v3, vcc_lo
	global_store_b32 v[8:9], v2, off
.LBB112_1684:
	s_and_b32 vcc_lo, exec_lo, s2
	s_cbranch_vccz .LBB112_1689
; %bb.1685:
	v_cmp_eq_u16_e32 vcc_lo, 44, v13
	s_mov_b32 s0, -1
	s_cbranch_vccz .LBB112_1689
; %bb.1686:
	v_cvt_f32_f64_e32 v2, v[0:1]
	v_mov_b32_e32 v3, 0xff
	s_mov_b32 s2, exec_lo
	s_delay_alu instid0(VALU_DEP_2) | instskip(NEXT) | instid1(VALU_DEP_1)
	v_bfe_u32 v11, v2, 23, 8
	v_cmpx_ne_u32_e32 0xff, v11
; %bb.1687:
	v_and_b32_e32 v3, 0x400000, v2
	v_and_or_b32 v11, 0x3fffff, v2, v11
	v_lshrrev_b32_e32 v2, 23, v2
	s_delay_alu instid0(VALU_DEP_3) | instskip(NEXT) | instid1(VALU_DEP_3)
	v_cmp_ne_u32_e32 vcc_lo, 0, v3
	v_cmp_ne_u32_e64 s0, 0, v11
	s_delay_alu instid0(VALU_DEP_1) | instskip(NEXT) | instid1(SALU_CYCLE_1)
	s_and_b32 s0, vcc_lo, s0
	v_cndmask_b32_e64 v3, 0, 1, s0
	s_delay_alu instid0(VALU_DEP_1)
	v_add_nc_u32_e32 v3, v2, v3
; %bb.1688:
	s_or_b32 exec_lo, exec_lo, s2
	s_mov_b32 s0, 0
	s_mov_b32 s7, -1
	global_store_b8 v[8:9], v3, off
.LBB112_1689:
	s_mov_b32 s2, 0
.LBB112_1690:
	s_delay_alu instid0(SALU_CYCLE_1)
	s_and_b32 vcc_lo, exec_lo, s2
	s_cbranch_vccz .LBB112_1693
; %bb.1691:
	v_cmp_eq_u16_e32 vcc_lo, 29, v13
	s_mov_b32 s0, -1
	s_cbranch_vccz .LBB112_1693
; %bb.1692:
	v_trunc_f64_e32 v[2:3], v[0:1]
	s_mov_b32 s0, 0
	s_mov_b32 s7, -1
	s_delay_alu instid0(VALU_DEP_1) | instskip(NEXT) | instid1(VALU_DEP_1)
	v_ldexp_f64 v[11:12], v[2:3], 0xffffffe0
	v_floor_f64_e32 v[11:12], v[11:12]
	s_delay_alu instid0(VALU_DEP_1) | instskip(SKIP_1) | instid1(VALU_DEP_2)
	v_fma_f64 v[2:3], 0xc1f00000, v[11:12], v[2:3]
	v_cvt_u32_f64_e32 v12, v[11:12]
	v_cvt_u32_f64_e32 v11, v[2:3]
	global_store_b64 v[8:9], v[11:12], off
.LBB112_1693:
	s_mov_b32 s2, 0
.LBB112_1694:
	s_delay_alu instid0(SALU_CYCLE_1)
	s_and_b32 vcc_lo, exec_lo, s2
	s_cbranch_vccz .LBB112_1710
; %bb.1695:
	v_cmp_gt_i16_e32 vcc_lo, 27, v13
	s_mov_b32 s2, -1
	s_cbranch_vccnz .LBB112_1701
; %bb.1696:
	v_cvt_u32_f64_e32 v2, v[0:1]
	v_cmp_lt_i16_e32 vcc_lo, 27, v13
	s_cbranch_vccz .LBB112_1698
; %bb.1697:
	s_mov_b32 s2, 0
	global_store_b32 v[8:9], v2, off
.LBB112_1698:
	s_and_not1_b32 vcc_lo, exec_lo, s2
	s_cbranch_vccnz .LBB112_1700
; %bb.1699:
	global_store_b16 v[8:9], v2, off
.LBB112_1700:
	s_mov_b32 s2, 0
.LBB112_1701:
	s_delay_alu instid0(SALU_CYCLE_1)
	s_and_not1_b32 vcc_lo, exec_lo, s2
	s_cbranch_vccnz .LBB112_1709
; %bb.1702:
	v_cvt_f32_f64_e32 v2, v[0:1]
	v_mov_b32_e32 v11, 0x80
	s_mov_b32 s2, exec_lo
	s_delay_alu instid0(VALU_DEP_2) | instskip(NEXT) | instid1(VALU_DEP_1)
	v_and_b32_e32 v3, 0x7fffffff, v2
	v_cmpx_gt_u32_e32 0x43800000, v3
	s_cbranch_execz .LBB112_1708
; %bb.1703:
	v_cmp_lt_u32_e32 vcc_lo, 0x3bffffff, v3
	s_mov_b32 s7, 0
                                        ; implicit-def: $vgpr3
	s_and_saveexec_b32 s8, vcc_lo
	s_delay_alu instid0(SALU_CYCLE_1)
	s_xor_b32 s8, exec_lo, s8
	s_cbranch_execz .LBB112_2044
; %bb.1704:
	v_bfe_u32 v3, v2, 20, 1
	s_mov_b32 s7, exec_lo
	s_delay_alu instid0(VALU_DEP_1) | instskip(NEXT) | instid1(VALU_DEP_1)
	v_add3_u32 v3, v2, v3, 0x487ffff
	v_lshrrev_b32_e32 v3, 20, v3
	s_or_saveexec_b32 s8, s8
                                        ; implicit-def: $sgpr9
	s_delay_alu instid0(SALU_CYCLE_1)
	s_xor_b32 exec_lo, exec_lo, s8
	s_cbranch_execnz .LBB112_2045
.LBB112_1705:
	s_or_b32 exec_lo, exec_lo, s8
	v_mov_b32_e32 v11, s9
	s_and_saveexec_b32 s8, s7
.LBB112_1706:
	v_lshrrev_b32_e32 v2, 24, v2
	s_delay_alu instid0(VALU_DEP_1)
	v_and_or_b32 v11, 0x80, v2, v3
.LBB112_1707:
	s_or_b32 exec_lo, exec_lo, s8
.LBB112_1708:
	s_delay_alu instid0(SALU_CYCLE_1)
	s_or_b32 exec_lo, exec_lo, s2
	global_store_b8 v[8:9], v11, off
.LBB112_1709:
	s_mov_b32 s7, -1
.LBB112_1710:
	s_mov_b32 s2, 0
.LBB112_1711:
	s_delay_alu instid0(SALU_CYCLE_1)
	s_and_b32 vcc_lo, exec_lo, s2
	s_cbranch_vccz .LBB112_1751
; %bb.1712:
	v_cmp_lt_i16_e32 vcc_lo, 22, v13
	s_mov_b32 s1, -1
	s_cbranch_vccz .LBB112_1744
; %bb.1713:
	v_cmp_gt_i16_e32 vcc_lo, 24, v13
	s_cbranch_vccnz .LBB112_1733
; %bb.1714:
	v_cmp_lt_i16_e32 vcc_lo, 24, v13
	s_cbranch_vccz .LBB112_1722
; %bb.1715:
	v_cvt_f32_f64_e32 v2, v[0:1]
	v_mov_b32_e32 v11, 0x80
	s_mov_b32 s1, exec_lo
	s_delay_alu instid0(VALU_DEP_2) | instskip(NEXT) | instid1(VALU_DEP_1)
	v_and_b32_e32 v3, 0x7fffffff, v2
	v_cmpx_gt_u32_e32 0x47800000, v3
	s_cbranch_execz .LBB112_1721
; %bb.1716:
	v_cmp_lt_u32_e32 vcc_lo, 0x37ffffff, v3
	s_mov_b32 s2, 0
                                        ; implicit-def: $vgpr3
	s_and_saveexec_b32 s7, vcc_lo
	s_delay_alu instid0(SALU_CYCLE_1)
	s_xor_b32 s7, exec_lo, s7
	s_cbranch_execz .LBB112_2050
; %bb.1717:
	v_bfe_u32 v3, v2, 21, 1
	s_mov_b32 s2, exec_lo
	s_delay_alu instid0(VALU_DEP_1) | instskip(NEXT) | instid1(VALU_DEP_1)
	v_add3_u32 v3, v2, v3, 0x88fffff
	v_lshrrev_b32_e32 v3, 21, v3
	s_or_saveexec_b32 s7, s7
                                        ; implicit-def: $sgpr8
	s_delay_alu instid0(SALU_CYCLE_1)
	s_xor_b32 exec_lo, exec_lo, s7
	s_cbranch_execnz .LBB112_2051
.LBB112_1718:
	s_or_b32 exec_lo, exec_lo, s7
	v_mov_b32_e32 v11, s8
	s_and_saveexec_b32 s7, s2
.LBB112_1719:
	v_lshrrev_b32_e32 v2, 24, v2
	s_delay_alu instid0(VALU_DEP_1)
	v_and_or_b32 v11, 0x80, v2, v3
.LBB112_1720:
	s_or_b32 exec_lo, exec_lo, s7
.LBB112_1721:
	s_delay_alu instid0(SALU_CYCLE_1)
	s_or_b32 exec_lo, exec_lo, s1
	s_mov_b32 s1, 0
	global_store_b8 v[8:9], v11, off
.LBB112_1722:
	s_and_b32 vcc_lo, exec_lo, s1
	s_cbranch_vccz .LBB112_1732
; %bb.1723:
	v_cvt_f32_f64_e32 v2, v[0:1]
	s_mov_b32 s1, exec_lo
                                        ; implicit-def: $vgpr3
	s_delay_alu instid0(VALU_DEP_1) | instskip(NEXT) | instid1(VALU_DEP_1)
	v_and_b32_e32 v11, 0x7fffffff, v2
	v_cmpx_gt_u32_e32 0x43f00000, v11
	s_xor_b32 s1, exec_lo, s1
	s_cbranch_execz .LBB112_1729
; %bb.1724:
	s_mov_b32 s2, exec_lo
                                        ; implicit-def: $vgpr3
	v_cmpx_lt_u32_e32 0x3c7fffff, v11
	s_xor_b32 s2, exec_lo, s2
; %bb.1725:
	v_bfe_u32 v3, v2, 20, 1
	s_delay_alu instid0(VALU_DEP_1) | instskip(NEXT) | instid1(VALU_DEP_1)
	v_add3_u32 v3, v2, v3, 0x407ffff
	v_and_b32_e32 v11, 0xff00000, v3
	v_lshrrev_b32_e32 v3, 20, v3
	s_delay_alu instid0(VALU_DEP_2) | instskip(NEXT) | instid1(VALU_DEP_2)
	v_cmp_ne_u32_e32 vcc_lo, 0x7f00000, v11
	v_cndmask_b32_e32 v3, 0x7e, v3, vcc_lo
; %bb.1726:
	s_and_not1_saveexec_b32 s2, s2
; %bb.1727:
	v_add_f32_e64 v3, 0x46800000, |v2|
; %bb.1728:
	s_or_b32 exec_lo, exec_lo, s2
                                        ; implicit-def: $vgpr11
.LBB112_1729:
	s_and_not1_saveexec_b32 s1, s1
; %bb.1730:
	v_mov_b32_e32 v3, 0x7f
	v_cmp_lt_u32_e32 vcc_lo, 0x7f800000, v11
	s_delay_alu instid0(VALU_DEP_2)
	v_cndmask_b32_e32 v3, 0x7e, v3, vcc_lo
; %bb.1731:
	s_or_b32 exec_lo, exec_lo, s1
	v_lshrrev_b32_e32 v2, 24, v2
	s_delay_alu instid0(VALU_DEP_1)
	v_and_or_b32 v2, 0x80, v2, v3
	global_store_b8 v[8:9], v2, off
.LBB112_1732:
	s_mov_b32 s1, 0
.LBB112_1733:
	s_delay_alu instid0(SALU_CYCLE_1)
	s_and_not1_b32 vcc_lo, exec_lo, s1
	s_cbranch_vccnz .LBB112_1743
; %bb.1734:
	v_cvt_f32_f64_e32 v2, v[0:1]
	s_mov_b32 s1, exec_lo
                                        ; implicit-def: $vgpr3
	s_delay_alu instid0(VALU_DEP_1) | instskip(NEXT) | instid1(VALU_DEP_1)
	v_and_b32_e32 v11, 0x7fffffff, v2
	v_cmpx_gt_u32_e32 0x47800000, v11
	s_xor_b32 s1, exec_lo, s1
	s_cbranch_execz .LBB112_1740
; %bb.1735:
	s_mov_b32 s2, exec_lo
                                        ; implicit-def: $vgpr3
	v_cmpx_lt_u32_e32 0x387fffff, v11
	s_xor_b32 s2, exec_lo, s2
; %bb.1736:
	v_bfe_u32 v3, v2, 21, 1
	s_delay_alu instid0(VALU_DEP_1) | instskip(NEXT) | instid1(VALU_DEP_1)
	v_add3_u32 v3, v2, v3, 0x80fffff
	v_lshrrev_b32_e32 v3, 21, v3
; %bb.1737:
	s_and_not1_saveexec_b32 s2, s2
; %bb.1738:
	v_add_f32_e64 v3, 0x43000000, |v2|
; %bb.1739:
	s_or_b32 exec_lo, exec_lo, s2
                                        ; implicit-def: $vgpr11
.LBB112_1740:
	s_and_not1_saveexec_b32 s1, s1
; %bb.1741:
	v_mov_b32_e32 v3, 0x7f
	v_cmp_lt_u32_e32 vcc_lo, 0x7f800000, v11
	s_delay_alu instid0(VALU_DEP_2)
	v_cndmask_b32_e32 v3, 0x7c, v3, vcc_lo
; %bb.1742:
	s_or_b32 exec_lo, exec_lo, s1
	v_lshrrev_b32_e32 v2, 24, v2
	s_delay_alu instid0(VALU_DEP_1)
	v_and_or_b32 v2, 0x80, v2, v3
	global_store_b8 v[8:9], v2, off
.LBB112_1743:
	s_mov_b32 s1, 0
	s_mov_b32 s7, -1
.LBB112_1744:
	s_and_not1_b32 vcc_lo, exec_lo, s1
	s_mov_b32 s1, 0
	s_cbranch_vccnz .LBB112_1751
; %bb.1745:
	v_cmp_lt_i16_e32 vcc_lo, 14, v13
	s_mov_b32 s1, -1
	s_cbranch_vccz .LBB112_1749
; %bb.1746:
	v_cmp_eq_u16_e32 vcc_lo, 15, v13
	s_mov_b32 s0, -1
	s_cbranch_vccz .LBB112_1748
; %bb.1747:
	v_cvt_f32_f64_e32 v2, v[0:1]
	s_mov_b32 s0, 0
	s_mov_b32 s7, -1
	s_delay_alu instid0(VALU_DEP_1) | instskip(SKIP_1) | instid1(VALU_DEP_2)
	v_bfe_u32 v3, v2, 16, 1
	v_cmp_o_f32_e32 vcc_lo, v2, v2
	v_add3_u32 v3, v2, v3, 0x7fff
	s_delay_alu instid0(VALU_DEP_1) | instskip(NEXT) | instid1(VALU_DEP_1)
	v_lshrrev_b32_e32 v3, 16, v3
	v_cndmask_b32_e32 v2, 0x7fc0, v3, vcc_lo
	global_store_b16 v[8:9], v2, off
.LBB112_1748:
	s_mov_b32 s1, 0
.LBB112_1749:
	s_delay_alu instid0(SALU_CYCLE_1)
	s_and_b32 vcc_lo, exec_lo, s1
	s_mov_b32 s1, 0
	s_cbranch_vccz .LBB112_1751
; %bb.1750:
	v_cmp_ne_u16_e64 s0, 11, v13
	s_mov_b32 s1, -1
.LBB112_1751:
	s_delay_alu instid0(VALU_DEP_1)
	s_and_b32 vcc_lo, exec_lo, s0
	s_cbranch_vccnz .LBB112_2048
; %bb.1752:
	s_and_not1_b32 vcc_lo, exec_lo, s1
	s_cbranch_vccnz .LBB112_1754
.LBB112_1753:
	v_cmp_neq_f64_e32 vcc_lo, 0, v[0:1]
	s_mov_b32 s7, -1
	v_cndmask_b32_e64 v2, 0, 1, vcc_lo
	global_store_b8 v[8:9], v2, off
.LBB112_1754:
	s_mov_b32 s0, 0
.LBB112_1755:
	s_delay_alu instid0(SALU_CYCLE_1)
	s_and_b32 vcc_lo, exec_lo, s0
	s_cbranch_vccz .LBB112_1794
; %bb.1756:
	v_cmp_gt_i16_e32 vcc_lo, 5, v13
	s_mov_b32 s0, -1
	s_cbranch_vccnz .LBB112_1777
; %bb.1757:
	v_cmp_gt_i16_e32 vcc_lo, 8, v13
	s_cbranch_vccnz .LBB112_1767
; %bb.1758:
	v_cmp_gt_i16_e32 vcc_lo, 9, v13
	s_cbranch_vccnz .LBB112_1764
; %bb.1759:
	v_cmp_lt_i16_e32 vcc_lo, 9, v13
	s_cbranch_vccz .LBB112_1761
; %bb.1760:
	v_mov_b32_e32 v2, 0
	s_mov_b32 s0, 0
	s_delay_alu instid0(VALU_DEP_1)
	v_mov_b32_e32 v3, v2
	global_store_b128 v[8:9], v[0:3], off
.LBB112_1761:
	s_and_not1_b32 vcc_lo, exec_lo, s0
	s_cbranch_vccnz .LBB112_1763
; %bb.1762:
	v_cvt_f32_f64_e32 v2, v[0:1]
	v_mov_b32_e32 v3, 0
	global_store_b64 v[8:9], v[2:3], off
.LBB112_1763:
	s_mov_b32 s0, 0
.LBB112_1764:
	s_delay_alu instid0(SALU_CYCLE_1)
	s_and_not1_b32 vcc_lo, exec_lo, s0
	s_cbranch_vccnz .LBB112_1766
; %bb.1765:
	v_cvt_f32_f64_e32 v2, v[0:1]
	s_delay_alu instid0(VALU_DEP_1) | instskip(NEXT) | instid1(VALU_DEP_1)
	v_cvt_f16_f32_e32 v2, v2
	v_and_b32_e32 v2, 0xffff, v2
	global_store_b32 v[8:9], v2, off
.LBB112_1766:
	s_mov_b32 s0, 0
.LBB112_1767:
	s_delay_alu instid0(SALU_CYCLE_1)
	s_and_not1_b32 vcc_lo, exec_lo, s0
	s_cbranch_vccnz .LBB112_1776
; %bb.1768:
	v_cmp_gt_i16_e32 vcc_lo, 6, v13
	s_mov_b32 s0, -1
	s_cbranch_vccnz .LBB112_1774
; %bb.1769:
	v_cmp_lt_i16_e32 vcc_lo, 6, v13
	s_cbranch_vccz .LBB112_1771
; %bb.1770:
	s_mov_b32 s0, 0
	global_store_b64 v[8:9], v[0:1], off
.LBB112_1771:
	s_and_not1_b32 vcc_lo, exec_lo, s0
	s_cbranch_vccnz .LBB112_1773
; %bb.1772:
	v_cvt_f32_f64_e32 v2, v[0:1]
	global_store_b32 v[8:9], v2, off
.LBB112_1773:
	s_mov_b32 s0, 0
.LBB112_1774:
	s_delay_alu instid0(SALU_CYCLE_1)
	s_and_not1_b32 vcc_lo, exec_lo, s0
	s_cbranch_vccnz .LBB112_1776
; %bb.1775:
	v_cvt_f32_f64_e32 v2, v[0:1]
	s_delay_alu instid0(VALU_DEP_1)
	v_cvt_f16_f32_e32 v2, v2
	global_store_b16 v[8:9], v2, off
.LBB112_1776:
	s_mov_b32 s0, 0
.LBB112_1777:
	s_delay_alu instid0(SALU_CYCLE_1)
	s_and_not1_b32 vcc_lo, exec_lo, s0
	s_cbranch_vccnz .LBB112_1793
; %bb.1778:
	v_cmp_gt_i16_e32 vcc_lo, 2, v13
	s_mov_b32 s0, -1
	s_cbranch_vccnz .LBB112_1788
; %bb.1779:
	v_cmp_gt_i16_e32 vcc_lo, 3, v13
	s_cbranch_vccnz .LBB112_1785
; %bb.1780:
	v_cmp_lt_i16_e32 vcc_lo, 3, v13
	s_cbranch_vccz .LBB112_1782
; %bb.1781:
	v_trunc_f64_e32 v[2:3], v[0:1]
	s_mov_b32 s0, 0
	s_delay_alu instid0(VALU_DEP_1) | instskip(NEXT) | instid1(VALU_DEP_1)
	v_ldexp_f64 v[11:12], v[2:3], 0xffffffe0
	v_floor_f64_e32 v[11:12], v[11:12]
	s_delay_alu instid0(VALU_DEP_1) | instskip(SKIP_1) | instid1(VALU_DEP_2)
	v_fma_f64 v[2:3], 0xc1f00000, v[11:12], v[2:3]
	v_cvt_i32_f64_e32 v12, v[11:12]
	v_cvt_u32_f64_e32 v11, v[2:3]
	global_store_b64 v[8:9], v[11:12], off
.LBB112_1782:
	s_and_not1_b32 vcc_lo, exec_lo, s0
	s_cbranch_vccnz .LBB112_1784
; %bb.1783:
	v_cvt_i32_f64_e32 v2, v[0:1]
	global_store_b32 v[8:9], v2, off
.LBB112_1784:
	s_mov_b32 s0, 0
.LBB112_1785:
	s_delay_alu instid0(SALU_CYCLE_1)
	s_and_not1_b32 vcc_lo, exec_lo, s0
	s_cbranch_vccnz .LBB112_1787
; %bb.1786:
	v_cvt_i32_f64_e32 v2, v[0:1]
	global_store_b16 v[8:9], v2, off
.LBB112_1787:
	s_mov_b32 s0, 0
.LBB112_1788:
	s_delay_alu instid0(SALU_CYCLE_1)
	s_and_not1_b32 vcc_lo, exec_lo, s0
	s_cbranch_vccnz .LBB112_1793
; %bb.1789:
	v_cmp_lt_i16_e32 vcc_lo, 0, v13
	s_mov_b32 s0, -1
	s_cbranch_vccz .LBB112_1791
; %bb.1790:
	v_cvt_i32_f64_e32 v2, v[0:1]
	s_mov_b32 s0, 0
	global_store_b8 v[8:9], v2, off
.LBB112_1791:
	s_and_not1_b32 vcc_lo, exec_lo, s0
	s_cbranch_vccnz .LBB112_1793
; %bb.1792:
	v_trunc_f64_e32 v[0:1], v[0:1]
	s_delay_alu instid0(VALU_DEP_1) | instskip(NEXT) | instid1(VALU_DEP_1)
	v_ldexp_f64 v[2:3], v[0:1], 0xffffffe0
	v_floor_f64_e32 v[2:3], v[2:3]
	s_delay_alu instid0(VALU_DEP_1) | instskip(NEXT) | instid1(VALU_DEP_1)
	v_fma_f64 v[0:1], 0xc1f00000, v[2:3], v[0:1]
	v_cvt_u32_f64_e32 v0, v[0:1]
	global_store_b8 v[8:9], v0, off
.LBB112_1793:
	s_mov_b32 s7, -1
.LBB112_1794:
	s_delay_alu instid0(SALU_CYCLE_1)
	s_and_not1_b32 vcc_lo, exec_lo, s7
	s_cbranch_vccnz .LBB112_1989
; %bb.1795:
	s_mov_b32 s0, 0x652b82fe
	s_mov_b32 s1, 0x3ff71547
	;; [unrolled: 1-line block ×3, first 2 shown]
	v_mul_f64 v[0:1], v[6:7], s[0:1]
	s_mov_b32 s1, 0xbfe62e42
	s_mov_b32 s0, 0xfefa39ef
	;; [unrolled: 1-line block ×5, first 2 shown]
	v_cmp_gt_i16_e64 s2, 11, v13
	s_mov_b32 s7, 0
	s_delay_alu instid0(VALU_DEP_2) | instskip(NEXT) | instid1(VALU_DEP_1)
	v_rndne_f64_e32 v[0:1], v[0:1]
	v_fma_f64 v[2:3], v[0:1], s[0:1], v[6:7]
	v_cvt_i32_f64_e32 v11, v[0:1]
	v_cmp_eq_f64_e32 vcc_lo, 0x40900000, v[0:1]
	s_mov_b32 s1, 0x40862e42
	s_delay_alu instid0(SALU_CYCLE_1)
	v_cmp_nlt_f64_e64 s0, s[0:1], v[6:7]
	v_cmp_ngt_f64_e64 s1, 0xc0428000, v[6:7]
	v_fma_f64 v[2:3], v[0:1], s[8:9], v[2:3]
	s_mov_b32 s8, 0x2a1b768b
	s_mov_b32 s9, 0x3e5af4eb
	v_cndmask_b32_e64 v0, v11, 0x3ff, vcc_lo
	s_delay_alu instid0(VALU_DEP_1) | instskip(NEXT) | instid1(VALU_DEP_3)
	v_ldexp_f64 v[0:1], 1.0, v0
	v_fma_f64 v[8:9], v[2:3], s[12:13], s[8:9]
	s_mov_b32 s8, 0xe0ac05b
	s_mov_b32 s9, 0x3e927e50
	s_delay_alu instid0(VALU_DEP_2) | instskip(NEXT) | instid1(VALU_DEP_2)
	v_add_f64 v[11:12], v[0:1], -1.0
	v_fma_f64 v[8:9], v[2:3], v[8:9], s[8:9]
	s_mov_b32 s8, 0x1b889c29
	s_mov_b32 s9, 0x3ec71de0
	s_delay_alu instid0(VALU_DEP_1) | instid1(SALU_CYCLE_1)
	v_fma_f64 v[8:9], v[2:3], v[8:9], s[8:9]
	s_mov_b32 s8, 0x197bcfd8
	s_mov_b32 s9, 0x3efa01a0
	s_delay_alu instid0(VALU_DEP_1) | instid1(SALU_CYCLE_1)
	;; [unrolled: 4-line block ×7, first 2 shown]
	v_fma_f64 v[8:9], v[2:3], v[8:9], s[8:9]
	s_delay_alu instid0(VALU_DEP_1) | instskip(NEXT) | instid1(VALU_DEP_1)
	v_fma_f64 v[8:9], v[2:3], v[8:9], 0.5
	v_mul_f64 v[8:9], v[2:3], v[8:9]
	s_delay_alu instid0(VALU_DEP_1) | instskip(SKIP_1) | instid1(VALU_DEP_2)
	v_fma_f64 v[2:3], v[2:3], v[8:9], v[2:3]
	v_add_nc_u32_e32 v8, s6, v10
	v_fma_f64 v[0:1], v[0:1], v[2:3], v[11:12]
	s_delay_alu instid0(VALU_DEP_1) | instskip(NEXT) | instid1(VALU_DEP_1)
	v_add_f64 v[2:3], v[0:1], v[0:1]
	v_dual_cndmask_b32 v1, v1, v3 :: v_dual_cndmask_b32 v0, v0, v2
	s_delay_alu instid0(VALU_DEP_4) | instskip(SKIP_1) | instid1(VALU_DEP_3)
	v_ashrrev_i32_e32 v3, 31, v8
	v_add_co_u32 v6, vcc_lo, s4, v8
	v_cndmask_b32_e64 v1, 0x7ff00000, v1, s0
	s_delay_alu instid0(VALU_DEP_3) | instskip(SKIP_1) | instid1(VALU_DEP_2)
	v_add_co_ci_u32_e32 v7, vcc_lo, s5, v3, vcc_lo
	s_and_b32 vcc_lo, s1, s0
	v_cndmask_b32_e64 v1, 0xbff00000, v1, s1
	s_mov_b32 s0, -1
	v_cndmask_b32_e32 v0, 0, v0, vcc_lo
	s_and_b32 vcc_lo, exec_lo, s2
	s_cbranch_vccnz .LBB112_1873
; %bb.1796:
	v_cmp_lt_i16_e32 vcc_lo, 25, v13
	s_mov_b32 s2, -1
	s_mov_b32 s1, 0
	s_mov_b32 s0, 0
	s_cbranch_vccz .LBB112_1829
; %bb.1797:
	v_cmp_lt_i16_e32 vcc_lo, 28, v13
	s_cbranch_vccz .LBB112_1812
; %bb.1798:
	v_cmp_lt_i16_e32 vcc_lo, 43, v13
	;; [unrolled: 3-line block ×3, first 2 shown]
	s_cbranch_vccz .LBB112_1802
; %bb.1800:
	v_cmp_eq_u16_e32 vcc_lo, 46, v13
	s_mov_b32 s0, -1
	s_mov_b32 s2, 0
	s_cbranch_vccz .LBB112_1802
; %bb.1801:
	v_cvt_f32_f64_e32 v2, v[0:1]
	s_mov_b32 s0, 0
	s_mov_b32 s7, -1
	s_delay_alu instid0(VALU_DEP_1) | instskip(SKIP_1) | instid1(VALU_DEP_2)
	v_bfe_u32 v3, v2, 16, 1
	v_cmp_o_f32_e32 vcc_lo, v2, v2
	v_add3_u32 v3, v2, v3, 0x7fff
	s_delay_alu instid0(VALU_DEP_1) | instskip(NEXT) | instid1(VALU_DEP_1)
	v_lshrrev_b32_e32 v3, 16, v3
	v_cndmask_b32_e32 v2, 0x7fc0, v3, vcc_lo
	global_store_b32 v[6:7], v2, off
.LBB112_1802:
	s_and_b32 vcc_lo, exec_lo, s2
	s_cbranch_vccz .LBB112_1807
; %bb.1803:
	v_cmp_eq_u16_e32 vcc_lo, 44, v13
	s_mov_b32 s0, -1
	s_cbranch_vccz .LBB112_1807
; %bb.1804:
	v_cvt_f32_f64_e32 v2, v[0:1]
	v_mov_b32_e32 v3, 0xff
	s_mov_b32 s2, exec_lo
	s_delay_alu instid0(VALU_DEP_2) | instskip(NEXT) | instid1(VALU_DEP_1)
	v_bfe_u32 v9, v2, 23, 8
	v_cmpx_ne_u32_e32 0xff, v9
; %bb.1805:
	v_and_b32_e32 v3, 0x400000, v2
	v_and_or_b32 v9, 0x3fffff, v2, v9
	v_lshrrev_b32_e32 v2, 23, v2
	s_delay_alu instid0(VALU_DEP_3) | instskip(NEXT) | instid1(VALU_DEP_3)
	v_cmp_ne_u32_e32 vcc_lo, 0, v3
	v_cmp_ne_u32_e64 s0, 0, v9
	s_delay_alu instid0(VALU_DEP_1) | instskip(NEXT) | instid1(SALU_CYCLE_1)
	s_and_b32 s0, vcc_lo, s0
	v_cndmask_b32_e64 v3, 0, 1, s0
	s_delay_alu instid0(VALU_DEP_1)
	v_add_nc_u32_e32 v3, v2, v3
; %bb.1806:
	s_or_b32 exec_lo, exec_lo, s2
	s_mov_b32 s0, 0
	s_mov_b32 s7, -1
	global_store_b8 v[6:7], v3, off
.LBB112_1807:
	s_mov_b32 s2, 0
.LBB112_1808:
	s_delay_alu instid0(SALU_CYCLE_1)
	s_and_b32 vcc_lo, exec_lo, s2
	s_cbranch_vccz .LBB112_1811
; %bb.1809:
	v_cmp_eq_u16_e32 vcc_lo, 29, v13
	s_mov_b32 s0, -1
	s_cbranch_vccz .LBB112_1811
; %bb.1810:
	v_trunc_f64_e32 v[2:3], v[0:1]
	s_mov_b32 s0, 0
	s_mov_b32 s7, -1
	s_delay_alu instid0(VALU_DEP_1) | instskip(NEXT) | instid1(VALU_DEP_1)
	v_ldexp_f64 v[9:10], v[2:3], 0xffffffe0
	v_floor_f64_e32 v[9:10], v[9:10]
	s_delay_alu instid0(VALU_DEP_1) | instskip(SKIP_1) | instid1(VALU_DEP_2)
	v_fma_f64 v[2:3], 0xc1f00000, v[9:10], v[2:3]
	v_cvt_u32_f64_e32 v10, v[9:10]
	v_cvt_u32_f64_e32 v9, v[2:3]
	global_store_b64 v[6:7], v[9:10], off
.LBB112_1811:
	s_mov_b32 s2, 0
.LBB112_1812:
	s_delay_alu instid0(SALU_CYCLE_1)
	s_and_b32 vcc_lo, exec_lo, s2
	s_cbranch_vccz .LBB112_1828
; %bb.1813:
	v_cmp_gt_i16_e32 vcc_lo, 27, v13
	s_mov_b32 s2, -1
	s_cbranch_vccnz .LBB112_1819
; %bb.1814:
	v_cvt_u32_f64_e32 v2, v[0:1]
	v_cmp_lt_i16_e32 vcc_lo, 27, v13
	s_cbranch_vccz .LBB112_1816
; %bb.1815:
	s_mov_b32 s2, 0
	global_store_b32 v[6:7], v2, off
.LBB112_1816:
	s_and_not1_b32 vcc_lo, exec_lo, s2
	s_cbranch_vccnz .LBB112_1818
; %bb.1817:
	global_store_b16 v[6:7], v2, off
.LBB112_1818:
	s_mov_b32 s2, 0
.LBB112_1819:
	s_delay_alu instid0(SALU_CYCLE_1)
	s_and_not1_b32 vcc_lo, exec_lo, s2
	s_cbranch_vccnz .LBB112_1827
; %bb.1820:
	v_cvt_f32_f64_e32 v2, v[0:1]
	v_mov_b32_e32 v9, 0x80
	s_mov_b32 s2, exec_lo
	s_delay_alu instid0(VALU_DEP_2) | instskip(NEXT) | instid1(VALU_DEP_1)
	v_and_b32_e32 v3, 0x7fffffff, v2
	v_cmpx_gt_u32_e32 0x43800000, v3
	s_cbranch_execz .LBB112_1826
; %bb.1821:
	v_cmp_lt_u32_e32 vcc_lo, 0x3bffffff, v3
	s_mov_b32 s7, 0
                                        ; implicit-def: $vgpr3
	s_and_saveexec_b32 s8, vcc_lo
	s_delay_alu instid0(SALU_CYCLE_1)
	s_xor_b32 s8, exec_lo, s8
	s_cbranch_execz .LBB112_2052
; %bb.1822:
	v_bfe_u32 v3, v2, 20, 1
	s_mov_b32 s7, exec_lo
	s_delay_alu instid0(VALU_DEP_1) | instskip(NEXT) | instid1(VALU_DEP_1)
	v_add3_u32 v3, v2, v3, 0x487ffff
	v_lshrrev_b32_e32 v3, 20, v3
	s_or_saveexec_b32 s8, s8
                                        ; implicit-def: $sgpr9
	s_delay_alu instid0(SALU_CYCLE_1)
	s_xor_b32 exec_lo, exec_lo, s8
	s_cbranch_execnz .LBB112_2053
.LBB112_1823:
	s_or_b32 exec_lo, exec_lo, s8
	v_mov_b32_e32 v9, s9
	s_and_saveexec_b32 s8, s7
.LBB112_1824:
	v_lshrrev_b32_e32 v2, 24, v2
	s_delay_alu instid0(VALU_DEP_1)
	v_and_or_b32 v9, 0x80, v2, v3
.LBB112_1825:
	s_or_b32 exec_lo, exec_lo, s8
.LBB112_1826:
	s_delay_alu instid0(SALU_CYCLE_1)
	s_or_b32 exec_lo, exec_lo, s2
	global_store_b8 v[6:7], v9, off
.LBB112_1827:
	s_mov_b32 s7, -1
.LBB112_1828:
	s_mov_b32 s2, 0
.LBB112_1829:
	s_delay_alu instid0(SALU_CYCLE_1)
	s_and_b32 vcc_lo, exec_lo, s2
	s_cbranch_vccz .LBB112_1869
; %bb.1830:
	v_cmp_lt_i16_e32 vcc_lo, 22, v13
	s_mov_b32 s1, -1
	s_cbranch_vccz .LBB112_1862
; %bb.1831:
	v_cmp_gt_i16_e32 vcc_lo, 24, v13
	s_cbranch_vccnz .LBB112_1851
; %bb.1832:
	v_cmp_lt_i16_e32 vcc_lo, 24, v13
	s_cbranch_vccz .LBB112_1840
; %bb.1833:
	v_cvt_f32_f64_e32 v2, v[0:1]
	v_mov_b32_e32 v9, 0x80
	s_mov_b32 s1, exec_lo
	s_delay_alu instid0(VALU_DEP_2) | instskip(NEXT) | instid1(VALU_DEP_1)
	v_and_b32_e32 v3, 0x7fffffff, v2
	v_cmpx_gt_u32_e32 0x47800000, v3
	s_cbranch_execz .LBB112_1839
; %bb.1834:
	v_cmp_lt_u32_e32 vcc_lo, 0x37ffffff, v3
	s_mov_b32 s2, 0
                                        ; implicit-def: $vgpr3
	s_and_saveexec_b32 s7, vcc_lo
	s_delay_alu instid0(SALU_CYCLE_1)
	s_xor_b32 s7, exec_lo, s7
	s_cbranch_execz .LBB112_2058
; %bb.1835:
	v_bfe_u32 v3, v2, 21, 1
	s_mov_b32 s2, exec_lo
	s_delay_alu instid0(VALU_DEP_1) | instskip(NEXT) | instid1(VALU_DEP_1)
	v_add3_u32 v3, v2, v3, 0x88fffff
	v_lshrrev_b32_e32 v3, 21, v3
	s_or_saveexec_b32 s7, s7
                                        ; implicit-def: $sgpr8
	s_delay_alu instid0(SALU_CYCLE_1)
	s_xor_b32 exec_lo, exec_lo, s7
	s_cbranch_execnz .LBB112_2059
.LBB112_1836:
	s_or_b32 exec_lo, exec_lo, s7
	v_mov_b32_e32 v9, s8
	s_and_saveexec_b32 s7, s2
.LBB112_1837:
	v_lshrrev_b32_e32 v2, 24, v2
	s_delay_alu instid0(VALU_DEP_1)
	v_and_or_b32 v9, 0x80, v2, v3
.LBB112_1838:
	s_or_b32 exec_lo, exec_lo, s7
.LBB112_1839:
	s_delay_alu instid0(SALU_CYCLE_1)
	s_or_b32 exec_lo, exec_lo, s1
	s_mov_b32 s1, 0
	global_store_b8 v[6:7], v9, off
.LBB112_1840:
	s_and_b32 vcc_lo, exec_lo, s1
	s_cbranch_vccz .LBB112_1850
; %bb.1841:
	v_cvt_f32_f64_e32 v2, v[0:1]
	s_mov_b32 s1, exec_lo
                                        ; implicit-def: $vgpr3
	s_delay_alu instid0(VALU_DEP_1) | instskip(NEXT) | instid1(VALU_DEP_1)
	v_and_b32_e32 v9, 0x7fffffff, v2
	v_cmpx_gt_u32_e32 0x43f00000, v9
	s_xor_b32 s1, exec_lo, s1
	s_cbranch_execz .LBB112_1847
; %bb.1842:
	s_mov_b32 s2, exec_lo
                                        ; implicit-def: $vgpr3
	v_cmpx_lt_u32_e32 0x3c7fffff, v9
	s_xor_b32 s2, exec_lo, s2
; %bb.1843:
	v_bfe_u32 v3, v2, 20, 1
	s_delay_alu instid0(VALU_DEP_1) | instskip(NEXT) | instid1(VALU_DEP_1)
	v_add3_u32 v3, v2, v3, 0x407ffff
	v_and_b32_e32 v9, 0xff00000, v3
	v_lshrrev_b32_e32 v3, 20, v3
	s_delay_alu instid0(VALU_DEP_2) | instskip(NEXT) | instid1(VALU_DEP_2)
	v_cmp_ne_u32_e32 vcc_lo, 0x7f00000, v9
	v_cndmask_b32_e32 v3, 0x7e, v3, vcc_lo
; %bb.1844:
	s_and_not1_saveexec_b32 s2, s2
; %bb.1845:
	v_add_f32_e64 v3, 0x46800000, |v2|
; %bb.1846:
	s_or_b32 exec_lo, exec_lo, s2
                                        ; implicit-def: $vgpr9
.LBB112_1847:
	s_and_not1_saveexec_b32 s1, s1
; %bb.1848:
	v_mov_b32_e32 v3, 0x7f
	v_cmp_lt_u32_e32 vcc_lo, 0x7f800000, v9
	s_delay_alu instid0(VALU_DEP_2)
	v_cndmask_b32_e32 v3, 0x7e, v3, vcc_lo
; %bb.1849:
	s_or_b32 exec_lo, exec_lo, s1
	v_lshrrev_b32_e32 v2, 24, v2
	s_delay_alu instid0(VALU_DEP_1)
	v_and_or_b32 v2, 0x80, v2, v3
	global_store_b8 v[6:7], v2, off
.LBB112_1850:
	s_mov_b32 s1, 0
.LBB112_1851:
	s_delay_alu instid0(SALU_CYCLE_1)
	s_and_not1_b32 vcc_lo, exec_lo, s1
	s_cbranch_vccnz .LBB112_1861
; %bb.1852:
	v_cvt_f32_f64_e32 v2, v[0:1]
	s_mov_b32 s1, exec_lo
                                        ; implicit-def: $vgpr3
	s_delay_alu instid0(VALU_DEP_1) | instskip(NEXT) | instid1(VALU_DEP_1)
	v_and_b32_e32 v9, 0x7fffffff, v2
	v_cmpx_gt_u32_e32 0x47800000, v9
	s_xor_b32 s1, exec_lo, s1
	s_cbranch_execz .LBB112_1858
; %bb.1853:
	s_mov_b32 s2, exec_lo
                                        ; implicit-def: $vgpr3
	v_cmpx_lt_u32_e32 0x387fffff, v9
	s_xor_b32 s2, exec_lo, s2
; %bb.1854:
	v_bfe_u32 v3, v2, 21, 1
	s_delay_alu instid0(VALU_DEP_1) | instskip(NEXT) | instid1(VALU_DEP_1)
	v_add3_u32 v3, v2, v3, 0x80fffff
	v_lshrrev_b32_e32 v3, 21, v3
; %bb.1855:
	s_and_not1_saveexec_b32 s2, s2
; %bb.1856:
	v_add_f32_e64 v3, 0x43000000, |v2|
; %bb.1857:
	s_or_b32 exec_lo, exec_lo, s2
                                        ; implicit-def: $vgpr9
.LBB112_1858:
	s_and_not1_saveexec_b32 s1, s1
; %bb.1859:
	v_mov_b32_e32 v3, 0x7f
	v_cmp_lt_u32_e32 vcc_lo, 0x7f800000, v9
	s_delay_alu instid0(VALU_DEP_2)
	v_cndmask_b32_e32 v3, 0x7c, v3, vcc_lo
; %bb.1860:
	s_or_b32 exec_lo, exec_lo, s1
	v_lshrrev_b32_e32 v2, 24, v2
	s_delay_alu instid0(VALU_DEP_1)
	v_and_or_b32 v2, 0x80, v2, v3
	global_store_b8 v[6:7], v2, off
.LBB112_1861:
	s_mov_b32 s1, 0
	s_mov_b32 s7, -1
.LBB112_1862:
	s_and_not1_b32 vcc_lo, exec_lo, s1
	s_mov_b32 s1, 0
	s_cbranch_vccnz .LBB112_1869
; %bb.1863:
	v_cmp_lt_i16_e32 vcc_lo, 14, v13
	s_mov_b32 s1, -1
	s_cbranch_vccz .LBB112_1867
; %bb.1864:
	v_cmp_eq_u16_e32 vcc_lo, 15, v13
	s_mov_b32 s0, -1
	s_cbranch_vccz .LBB112_1866
; %bb.1865:
	v_cvt_f32_f64_e32 v2, v[0:1]
	s_mov_b32 s0, 0
	s_mov_b32 s7, -1
	s_delay_alu instid0(VALU_DEP_1) | instskip(SKIP_1) | instid1(VALU_DEP_2)
	v_bfe_u32 v3, v2, 16, 1
	v_cmp_o_f32_e32 vcc_lo, v2, v2
	v_add3_u32 v3, v2, v3, 0x7fff
	s_delay_alu instid0(VALU_DEP_1) | instskip(NEXT) | instid1(VALU_DEP_1)
	v_lshrrev_b32_e32 v3, 16, v3
	v_cndmask_b32_e32 v2, 0x7fc0, v3, vcc_lo
	global_store_b16 v[6:7], v2, off
.LBB112_1866:
	s_mov_b32 s1, 0
.LBB112_1867:
	s_delay_alu instid0(SALU_CYCLE_1)
	s_and_b32 vcc_lo, exec_lo, s1
	s_mov_b32 s1, 0
	s_cbranch_vccz .LBB112_1869
; %bb.1868:
	v_cmp_ne_u16_e64 s0, 11, v13
	s_mov_b32 s1, -1
.LBB112_1869:
	s_delay_alu instid0(VALU_DEP_1)
	s_and_b32 vcc_lo, exec_lo, s0
	s_cbranch_vccnz .LBB112_2056
; %bb.1870:
	s_and_not1_b32 vcc_lo, exec_lo, s1
	s_cbranch_vccnz .LBB112_1872
.LBB112_1871:
	v_cmp_neq_f64_e32 vcc_lo, 0, v[0:1]
	s_mov_b32 s7, -1
	v_cndmask_b32_e64 v2, 0, 1, vcc_lo
	global_store_b8 v[6:7], v2, off
.LBB112_1872:
	s_mov_b32 s0, 0
.LBB112_1873:
	s_delay_alu instid0(SALU_CYCLE_1)
	s_and_b32 vcc_lo, exec_lo, s0
	s_cbranch_vccz .LBB112_1912
; %bb.1874:
	v_cmp_gt_i16_e32 vcc_lo, 5, v13
	s_mov_b32 s0, -1
	s_cbranch_vccnz .LBB112_1895
; %bb.1875:
	v_cmp_gt_i16_e32 vcc_lo, 8, v13
	s_cbranch_vccnz .LBB112_1885
; %bb.1876:
	v_cmp_gt_i16_e32 vcc_lo, 9, v13
	s_cbranch_vccnz .LBB112_1882
; %bb.1877:
	v_cmp_lt_i16_e32 vcc_lo, 9, v13
	s_cbranch_vccz .LBB112_1879
; %bb.1878:
	v_mov_b32_e32 v2, 0
	s_mov_b32 s0, 0
	s_delay_alu instid0(VALU_DEP_1)
	v_mov_b32_e32 v3, v2
	global_store_b128 v[6:7], v[0:3], off
.LBB112_1879:
	s_and_not1_b32 vcc_lo, exec_lo, s0
	s_cbranch_vccnz .LBB112_1881
; %bb.1880:
	v_cvt_f32_f64_e32 v2, v[0:1]
	v_mov_b32_e32 v3, 0
	global_store_b64 v[6:7], v[2:3], off
.LBB112_1881:
	s_mov_b32 s0, 0
.LBB112_1882:
	s_delay_alu instid0(SALU_CYCLE_1)
	s_and_not1_b32 vcc_lo, exec_lo, s0
	s_cbranch_vccnz .LBB112_1884
; %bb.1883:
	v_cvt_f32_f64_e32 v2, v[0:1]
	s_delay_alu instid0(VALU_DEP_1) | instskip(NEXT) | instid1(VALU_DEP_1)
	v_cvt_f16_f32_e32 v2, v2
	v_and_b32_e32 v2, 0xffff, v2
	global_store_b32 v[6:7], v2, off
.LBB112_1884:
	s_mov_b32 s0, 0
.LBB112_1885:
	s_delay_alu instid0(SALU_CYCLE_1)
	s_and_not1_b32 vcc_lo, exec_lo, s0
	s_cbranch_vccnz .LBB112_1894
; %bb.1886:
	v_cmp_gt_i16_e32 vcc_lo, 6, v13
	s_mov_b32 s0, -1
	s_cbranch_vccnz .LBB112_1892
; %bb.1887:
	v_cmp_lt_i16_e32 vcc_lo, 6, v13
	s_cbranch_vccz .LBB112_1889
; %bb.1888:
	s_mov_b32 s0, 0
	global_store_b64 v[6:7], v[0:1], off
.LBB112_1889:
	s_and_not1_b32 vcc_lo, exec_lo, s0
	s_cbranch_vccnz .LBB112_1891
; %bb.1890:
	v_cvt_f32_f64_e32 v2, v[0:1]
	global_store_b32 v[6:7], v2, off
.LBB112_1891:
	s_mov_b32 s0, 0
.LBB112_1892:
	s_delay_alu instid0(SALU_CYCLE_1)
	s_and_not1_b32 vcc_lo, exec_lo, s0
	s_cbranch_vccnz .LBB112_1894
; %bb.1893:
	v_cvt_f32_f64_e32 v2, v[0:1]
	s_delay_alu instid0(VALU_DEP_1)
	v_cvt_f16_f32_e32 v2, v2
	global_store_b16 v[6:7], v2, off
.LBB112_1894:
	s_mov_b32 s0, 0
.LBB112_1895:
	s_delay_alu instid0(SALU_CYCLE_1)
	s_and_not1_b32 vcc_lo, exec_lo, s0
	s_cbranch_vccnz .LBB112_1911
; %bb.1896:
	v_cmp_gt_i16_e32 vcc_lo, 2, v13
	s_mov_b32 s0, -1
	s_cbranch_vccnz .LBB112_1906
; %bb.1897:
	v_cmp_gt_i16_e32 vcc_lo, 3, v13
	s_cbranch_vccnz .LBB112_1903
; %bb.1898:
	v_cmp_lt_i16_e32 vcc_lo, 3, v13
	s_cbranch_vccz .LBB112_1900
; %bb.1899:
	v_trunc_f64_e32 v[2:3], v[0:1]
	s_mov_b32 s0, 0
	s_delay_alu instid0(VALU_DEP_1) | instskip(NEXT) | instid1(VALU_DEP_1)
	v_ldexp_f64 v[9:10], v[2:3], 0xffffffe0
	v_floor_f64_e32 v[9:10], v[9:10]
	s_delay_alu instid0(VALU_DEP_1) | instskip(SKIP_1) | instid1(VALU_DEP_2)
	v_fma_f64 v[2:3], 0xc1f00000, v[9:10], v[2:3]
	v_cvt_i32_f64_e32 v10, v[9:10]
	v_cvt_u32_f64_e32 v9, v[2:3]
	global_store_b64 v[6:7], v[9:10], off
.LBB112_1900:
	s_and_not1_b32 vcc_lo, exec_lo, s0
	s_cbranch_vccnz .LBB112_1902
; %bb.1901:
	v_cvt_i32_f64_e32 v2, v[0:1]
	global_store_b32 v[6:7], v2, off
.LBB112_1902:
	s_mov_b32 s0, 0
.LBB112_1903:
	s_delay_alu instid0(SALU_CYCLE_1)
	s_and_not1_b32 vcc_lo, exec_lo, s0
	s_cbranch_vccnz .LBB112_1905
; %bb.1904:
	v_cvt_i32_f64_e32 v2, v[0:1]
	global_store_b16 v[6:7], v2, off
.LBB112_1905:
	s_mov_b32 s0, 0
.LBB112_1906:
	s_delay_alu instid0(SALU_CYCLE_1)
	s_and_not1_b32 vcc_lo, exec_lo, s0
	s_cbranch_vccnz .LBB112_1911
; %bb.1907:
	v_cmp_lt_i16_e32 vcc_lo, 0, v13
	s_mov_b32 s0, -1
	s_cbranch_vccz .LBB112_1909
; %bb.1908:
	v_cvt_i32_f64_e32 v2, v[0:1]
	s_mov_b32 s0, 0
	global_store_b8 v[6:7], v2, off
.LBB112_1909:
	s_and_not1_b32 vcc_lo, exec_lo, s0
	s_cbranch_vccnz .LBB112_1911
; %bb.1910:
	v_trunc_f64_e32 v[0:1], v[0:1]
	s_delay_alu instid0(VALU_DEP_1) | instskip(NEXT) | instid1(VALU_DEP_1)
	v_ldexp_f64 v[2:3], v[0:1], 0xffffffe0
	v_floor_f64_e32 v[2:3], v[2:3]
	s_delay_alu instid0(VALU_DEP_1) | instskip(NEXT) | instid1(VALU_DEP_1)
	v_fma_f64 v[0:1], 0xc1f00000, v[2:3], v[0:1]
	v_cvt_u32_f64_e32 v0, v[0:1]
	global_store_b8 v[6:7], v0, off
.LBB112_1911:
	s_mov_b32 s7, -1
.LBB112_1912:
	s_delay_alu instid0(SALU_CYCLE_1)
	s_and_not1_b32 vcc_lo, exec_lo, s7
	s_cbranch_vccnz .LBB112_1989
; %bb.1913:
	s_mov_b32 s0, 0x652b82fe
	s_mov_b32 s1, 0x3ff71547
	s_mov_b32 s8, 0x3b39803f
	v_mul_f64 v[0:1], v[4:5], s[0:1]
	s_mov_b32 s1, 0xbfe62e42
	s_mov_b32 s0, 0xfefa39ef
	s_mov_b32 s9, 0xbc7abc9e
	s_mov_b32 s12, 0xa9d67f34
	s_mov_b32 s13, 0x3e21f32e
	v_cmp_gt_i16_e64 s2, 11, v13
	s_delay_alu instid0(VALU_DEP_2) | instskip(NEXT) | instid1(VALU_DEP_1)
	v_rndne_f64_e32 v[0:1], v[0:1]
	v_fma_f64 v[2:3], v[0:1], s[0:1], v[4:5]
	v_cvt_i32_f64_e32 v9, v[0:1]
	v_cmp_eq_f64_e32 vcc_lo, 0x40900000, v[0:1]
	s_mov_b32 s1, 0x40862e42
	s_delay_alu instid0(SALU_CYCLE_1)
	v_cmp_nlt_f64_e64 s0, s[0:1], v[4:5]
	v_cmp_ngt_f64_e64 s1, 0xc0428000, v[4:5]
	v_fma_f64 v[2:3], v[0:1], s[8:9], v[2:3]
	s_mov_b32 s8, 0x2a1b768b
	s_mov_b32 s9, 0x3e5af4eb
	v_cndmask_b32_e64 v0, v9, 0x3ff, vcc_lo
	s_delay_alu instid0(VALU_DEP_1) | instskip(NEXT) | instid1(VALU_DEP_3)
	v_ldexp_f64 v[0:1], 1.0, v0
	v_fma_f64 v[6:7], v[2:3], s[12:13], s[8:9]
	s_mov_b32 s8, 0xe0ac05b
	s_mov_b32 s9, 0x3e927e50
	s_delay_alu instid0(VALU_DEP_2) | instskip(NEXT) | instid1(VALU_DEP_2)
	v_add_f64 v[9:10], v[0:1], -1.0
	v_fma_f64 v[6:7], v[2:3], v[6:7], s[8:9]
	s_mov_b32 s8, 0x1b889c29
	s_mov_b32 s9, 0x3ec71de0
	s_delay_alu instid0(VALU_DEP_1) | instid1(SALU_CYCLE_1)
	v_fma_f64 v[6:7], v[2:3], v[6:7], s[8:9]
	s_mov_b32 s8, 0x197bcfd8
	s_mov_b32 s9, 0x3efa01a0
	s_delay_alu instid0(VALU_DEP_1) | instid1(SALU_CYCLE_1)
	;; [unrolled: 4-line block ×7, first 2 shown]
	v_fma_f64 v[6:7], v[2:3], v[6:7], s[8:9]
	s_delay_alu instid0(VALU_DEP_1) | instskip(NEXT) | instid1(VALU_DEP_1)
	v_fma_f64 v[6:7], v[2:3], v[6:7], 0.5
	v_mul_f64 v[6:7], v[2:3], v[6:7]
	s_delay_alu instid0(VALU_DEP_1) | instskip(NEXT) | instid1(VALU_DEP_1)
	v_fma_f64 v[2:3], v[2:3], v[6:7], v[2:3]
	v_fma_f64 v[0:1], v[0:1], v[2:3], v[9:10]
	s_delay_alu instid0(VALU_DEP_1) | instskip(NEXT) | instid1(VALU_DEP_1)
	v_add_f64 v[2:3], v[0:1], v[0:1]
	v_dual_cndmask_b32 v1, v1, v3 :: v_dual_cndmask_b32 v0, v0, v2
	v_add_nc_u32_e32 v3, s6, v8
	s_mov_b32 s6, 0
	s_delay_alu instid0(VALU_DEP_2) | instskip(NEXT) | instid1(VALU_DEP_2)
	v_cndmask_b32_e64 v1, 0x7ff00000, v1, s0
	v_ashrrev_i32_e32 v5, 31, v3
	v_add_co_u32 v4, vcc_lo, s4, v3
	s_delay_alu instid0(VALU_DEP_3) | instskip(NEXT) | instid1(VALU_DEP_3)
	v_cndmask_b32_e64 v1, 0xbff00000, v1, s1
	v_add_co_ci_u32_e32 v5, vcc_lo, s5, v5, vcc_lo
	s_and_b32 vcc_lo, s1, s0
	s_mov_b32 s0, -1
	v_cndmask_b32_e32 v0, 0, v0, vcc_lo
	s_and_b32 vcc_lo, exec_lo, s2
	s_cbranch_vccnz .LBB112_1990
; %bb.1914:
	v_cmp_lt_i16_e32 vcc_lo, 25, v13
	s_mov_b32 s1, -1
	s_mov_b32 s0, 0
	s_cbranch_vccz .LBB112_1947
; %bb.1915:
	v_cmp_lt_i16_e32 vcc_lo, 28, v13
	s_cbranch_vccz .LBB112_1931
; %bb.1916:
	v_cmp_lt_i16_e32 vcc_lo, 43, v13
	;; [unrolled: 3-line block ×3, first 2 shown]
	s_cbranch_vccz .LBB112_1921
; %bb.1918:
	v_cmp_eq_u16_e32 vcc_lo, 46, v13
	s_mov_b32 s0, -1
	s_cbranch_vccz .LBB112_1920
; %bb.1919:
	v_cvt_f32_f64_e32 v2, v[0:1]
	s_mov_b32 s0, 0
	s_delay_alu instid0(VALU_DEP_1) | instskip(SKIP_1) | instid1(VALU_DEP_2)
	v_bfe_u32 v3, v2, 16, 1
	v_cmp_o_f32_e32 vcc_lo, v2, v2
	v_add3_u32 v3, v2, v3, 0x7fff
	s_delay_alu instid0(VALU_DEP_1) | instskip(NEXT) | instid1(VALU_DEP_1)
	v_lshrrev_b32_e32 v3, 16, v3
	v_cndmask_b32_e32 v2, 0x7fc0, v3, vcc_lo
	global_store_b32 v[4:5], v2, off
.LBB112_1920:
	s_mov_b32 s1, 0
.LBB112_1921:
	s_delay_alu instid0(SALU_CYCLE_1)
	s_and_b32 vcc_lo, exec_lo, s1
	s_cbranch_vccz .LBB112_1926
; %bb.1922:
	v_cmp_eq_u16_e32 vcc_lo, 44, v13
	s_mov_b32 s0, -1
	s_cbranch_vccz .LBB112_1926
; %bb.1923:
	v_cvt_f32_f64_e32 v2, v[0:1]
	v_mov_b32_e32 v3, 0xff
	s_mov_b32 s1, exec_lo
	s_delay_alu instid0(VALU_DEP_2) | instskip(NEXT) | instid1(VALU_DEP_1)
	v_bfe_u32 v6, v2, 23, 8
	v_cmpx_ne_u32_e32 0xff, v6
; %bb.1924:
	v_and_b32_e32 v3, 0x400000, v2
	v_and_or_b32 v6, 0x3fffff, v2, v6
	v_lshrrev_b32_e32 v2, 23, v2
	s_delay_alu instid0(VALU_DEP_3) | instskip(NEXT) | instid1(VALU_DEP_3)
	v_cmp_ne_u32_e32 vcc_lo, 0, v3
	v_cmp_ne_u32_e64 s0, 0, v6
	s_delay_alu instid0(VALU_DEP_1) | instskip(NEXT) | instid1(SALU_CYCLE_1)
	s_and_b32 s0, vcc_lo, s0
	v_cndmask_b32_e64 v3, 0, 1, s0
	s_delay_alu instid0(VALU_DEP_1)
	v_add_nc_u32_e32 v3, v2, v3
; %bb.1925:
	s_or_b32 exec_lo, exec_lo, s1
	s_mov_b32 s0, 0
	global_store_b8 v[4:5], v3, off
.LBB112_1926:
	s_mov_b32 s1, 0
.LBB112_1927:
	s_delay_alu instid0(SALU_CYCLE_1)
	s_and_b32 vcc_lo, exec_lo, s1
	s_cbranch_vccz .LBB112_1930
; %bb.1928:
	v_cmp_eq_u16_e32 vcc_lo, 29, v13
	s_mov_b32 s0, -1
	s_cbranch_vccz .LBB112_1930
; %bb.1929:
	v_trunc_f64_e32 v[2:3], v[0:1]
	s_mov_b32 s0, 0
	s_delay_alu instid0(VALU_DEP_1) | instskip(NEXT) | instid1(VALU_DEP_1)
	v_ldexp_f64 v[6:7], v[2:3], 0xffffffe0
	v_floor_f64_e32 v[6:7], v[6:7]
	s_delay_alu instid0(VALU_DEP_1) | instskip(SKIP_1) | instid1(VALU_DEP_2)
	v_fma_f64 v[2:3], 0xc1f00000, v[6:7], v[2:3]
	v_cvt_u32_f64_e32 v7, v[6:7]
	v_cvt_u32_f64_e32 v6, v[2:3]
	global_store_b64 v[4:5], v[6:7], off
.LBB112_1930:
	s_mov_b32 s1, 0
.LBB112_1931:
	s_delay_alu instid0(SALU_CYCLE_1)
	s_and_b32 vcc_lo, exec_lo, s1
	s_cbranch_vccz .LBB112_1946
; %bb.1932:
	v_cmp_gt_i16_e32 vcc_lo, 27, v13
	s_mov_b32 s1, -1
	s_cbranch_vccnz .LBB112_1938
; %bb.1933:
	v_cvt_u32_f64_e32 v2, v[0:1]
	v_cmp_lt_i16_e32 vcc_lo, 27, v13
	s_cbranch_vccz .LBB112_1935
; %bb.1934:
	s_mov_b32 s1, 0
	global_store_b32 v[4:5], v2, off
.LBB112_1935:
	s_and_not1_b32 vcc_lo, exec_lo, s1
	s_cbranch_vccnz .LBB112_1937
; %bb.1936:
	global_store_b16 v[4:5], v2, off
.LBB112_1937:
	s_mov_b32 s1, 0
.LBB112_1938:
	s_delay_alu instid0(SALU_CYCLE_1)
	s_and_not1_b32 vcc_lo, exec_lo, s1
	s_cbranch_vccnz .LBB112_1946
; %bb.1939:
	v_cvt_f32_f64_e32 v2, v[0:1]
	v_mov_b32_e32 v6, 0x80
	s_mov_b32 s1, exec_lo
	s_delay_alu instid0(VALU_DEP_2) | instskip(NEXT) | instid1(VALU_DEP_1)
	v_and_b32_e32 v3, 0x7fffffff, v2
	v_cmpx_gt_u32_e32 0x43800000, v3
	s_cbranch_execz .LBB112_1945
; %bb.1940:
	v_cmp_lt_u32_e32 vcc_lo, 0x3bffffff, v3
	s_mov_b32 s2, 0
                                        ; implicit-def: $vgpr3
	s_and_saveexec_b32 s4, vcc_lo
	s_delay_alu instid0(SALU_CYCLE_1)
	s_xor_b32 s4, exec_lo, s4
	s_cbranch_execz .LBB112_2060
; %bb.1941:
	v_bfe_u32 v3, v2, 20, 1
	s_mov_b32 s2, exec_lo
	s_delay_alu instid0(VALU_DEP_1) | instskip(NEXT) | instid1(VALU_DEP_1)
	v_add3_u32 v3, v2, v3, 0x487ffff
	v_lshrrev_b32_e32 v3, 20, v3
	s_or_saveexec_b32 s4, s4
                                        ; implicit-def: $sgpr5
	s_delay_alu instid0(SALU_CYCLE_1)
	s_xor_b32 exec_lo, exec_lo, s4
	s_cbranch_execnz .LBB112_2061
.LBB112_1942:
	s_or_b32 exec_lo, exec_lo, s4
	v_mov_b32_e32 v6, s5
	s_and_saveexec_b32 s4, s2
.LBB112_1943:
	v_lshrrev_b32_e32 v2, 24, v2
	s_delay_alu instid0(VALU_DEP_1)
	v_and_or_b32 v6, 0x80, v2, v3
.LBB112_1944:
	s_or_b32 exec_lo, exec_lo, s4
.LBB112_1945:
	s_delay_alu instid0(SALU_CYCLE_1)
	s_or_b32 exec_lo, exec_lo, s1
	global_store_b8 v[4:5], v6, off
.LBB112_1946:
	s_mov_b32 s1, 0
.LBB112_1947:
	s_delay_alu instid0(SALU_CYCLE_1)
	s_and_b32 vcc_lo, exec_lo, s1
	s_cbranch_vccz .LBB112_1987
; %bb.1948:
	v_cmp_lt_i16_e32 vcc_lo, 22, v13
	s_mov_b32 s1, -1
	s_cbranch_vccz .LBB112_1980
; %bb.1949:
	v_cmp_gt_i16_e32 vcc_lo, 24, v13
	s_cbranch_vccnz .LBB112_1969
; %bb.1950:
	v_cmp_lt_i16_e32 vcc_lo, 24, v13
	s_cbranch_vccz .LBB112_1958
; %bb.1951:
	v_cvt_f32_f64_e32 v2, v[0:1]
	v_mov_b32_e32 v6, 0x80
	s_mov_b32 s1, exec_lo
	s_delay_alu instid0(VALU_DEP_2) | instskip(NEXT) | instid1(VALU_DEP_1)
	v_and_b32_e32 v3, 0x7fffffff, v2
	v_cmpx_gt_u32_e32 0x47800000, v3
	s_cbranch_execz .LBB112_1957
; %bb.1952:
	v_cmp_lt_u32_e32 vcc_lo, 0x37ffffff, v3
	s_mov_b32 s2, 0
                                        ; implicit-def: $vgpr3
	s_and_saveexec_b32 s4, vcc_lo
	s_delay_alu instid0(SALU_CYCLE_1)
	s_xor_b32 s4, exec_lo, s4
	s_cbranch_execz .LBB112_2066
; %bb.1953:
	v_bfe_u32 v3, v2, 21, 1
	s_mov_b32 s2, exec_lo
	s_delay_alu instid0(VALU_DEP_1) | instskip(NEXT) | instid1(VALU_DEP_1)
	v_add3_u32 v3, v2, v3, 0x88fffff
	v_lshrrev_b32_e32 v3, 21, v3
	s_or_saveexec_b32 s4, s4
                                        ; implicit-def: $sgpr5
	s_delay_alu instid0(SALU_CYCLE_1)
	s_xor_b32 exec_lo, exec_lo, s4
	s_cbranch_execnz .LBB112_2067
.LBB112_1954:
	s_or_b32 exec_lo, exec_lo, s4
	v_mov_b32_e32 v6, s5
	s_and_saveexec_b32 s4, s2
.LBB112_1955:
	v_lshrrev_b32_e32 v2, 24, v2
	s_delay_alu instid0(VALU_DEP_1)
	v_and_or_b32 v6, 0x80, v2, v3
.LBB112_1956:
	s_or_b32 exec_lo, exec_lo, s4
.LBB112_1957:
	s_delay_alu instid0(SALU_CYCLE_1)
	s_or_b32 exec_lo, exec_lo, s1
	s_mov_b32 s1, 0
	global_store_b8 v[4:5], v6, off
.LBB112_1958:
	s_and_b32 vcc_lo, exec_lo, s1
	s_cbranch_vccz .LBB112_1968
; %bb.1959:
	v_cvt_f32_f64_e32 v2, v[0:1]
	s_mov_b32 s1, exec_lo
                                        ; implicit-def: $vgpr3
	s_delay_alu instid0(VALU_DEP_1) | instskip(NEXT) | instid1(VALU_DEP_1)
	v_and_b32_e32 v6, 0x7fffffff, v2
	v_cmpx_gt_u32_e32 0x43f00000, v6
	s_xor_b32 s1, exec_lo, s1
	s_cbranch_execz .LBB112_1965
; %bb.1960:
	s_mov_b32 s2, exec_lo
                                        ; implicit-def: $vgpr3
	v_cmpx_lt_u32_e32 0x3c7fffff, v6
	s_xor_b32 s2, exec_lo, s2
; %bb.1961:
	v_bfe_u32 v3, v2, 20, 1
	s_delay_alu instid0(VALU_DEP_1) | instskip(NEXT) | instid1(VALU_DEP_1)
	v_add3_u32 v3, v2, v3, 0x407ffff
	v_and_b32_e32 v6, 0xff00000, v3
	v_lshrrev_b32_e32 v3, 20, v3
	s_delay_alu instid0(VALU_DEP_2) | instskip(NEXT) | instid1(VALU_DEP_2)
	v_cmp_ne_u32_e32 vcc_lo, 0x7f00000, v6
	v_cndmask_b32_e32 v3, 0x7e, v3, vcc_lo
; %bb.1962:
	s_and_not1_saveexec_b32 s2, s2
; %bb.1963:
	v_add_f32_e64 v3, 0x46800000, |v2|
; %bb.1964:
	s_or_b32 exec_lo, exec_lo, s2
                                        ; implicit-def: $vgpr6
.LBB112_1965:
	s_and_not1_saveexec_b32 s1, s1
; %bb.1966:
	v_mov_b32_e32 v3, 0x7f
	v_cmp_lt_u32_e32 vcc_lo, 0x7f800000, v6
	s_delay_alu instid0(VALU_DEP_2)
	v_cndmask_b32_e32 v3, 0x7e, v3, vcc_lo
; %bb.1967:
	s_or_b32 exec_lo, exec_lo, s1
	v_lshrrev_b32_e32 v2, 24, v2
	s_delay_alu instid0(VALU_DEP_1)
	v_and_or_b32 v2, 0x80, v2, v3
	global_store_b8 v[4:5], v2, off
.LBB112_1968:
	s_mov_b32 s1, 0
.LBB112_1969:
	s_delay_alu instid0(SALU_CYCLE_1)
	s_and_not1_b32 vcc_lo, exec_lo, s1
	s_cbranch_vccnz .LBB112_1979
; %bb.1970:
	v_cvt_f32_f64_e32 v2, v[0:1]
	s_mov_b32 s1, exec_lo
                                        ; implicit-def: $vgpr3
	s_delay_alu instid0(VALU_DEP_1) | instskip(NEXT) | instid1(VALU_DEP_1)
	v_and_b32_e32 v6, 0x7fffffff, v2
	v_cmpx_gt_u32_e32 0x47800000, v6
	s_xor_b32 s1, exec_lo, s1
	s_cbranch_execz .LBB112_1976
; %bb.1971:
	s_mov_b32 s2, exec_lo
                                        ; implicit-def: $vgpr3
	v_cmpx_lt_u32_e32 0x387fffff, v6
	s_xor_b32 s2, exec_lo, s2
; %bb.1972:
	v_bfe_u32 v3, v2, 21, 1
	s_delay_alu instid0(VALU_DEP_1) | instskip(NEXT) | instid1(VALU_DEP_1)
	v_add3_u32 v3, v2, v3, 0x80fffff
	v_lshrrev_b32_e32 v3, 21, v3
; %bb.1973:
	s_and_not1_saveexec_b32 s2, s2
; %bb.1974:
	v_add_f32_e64 v3, 0x43000000, |v2|
; %bb.1975:
	s_or_b32 exec_lo, exec_lo, s2
                                        ; implicit-def: $vgpr6
.LBB112_1976:
	s_and_not1_saveexec_b32 s1, s1
; %bb.1977:
	v_mov_b32_e32 v3, 0x7f
	v_cmp_lt_u32_e32 vcc_lo, 0x7f800000, v6
	s_delay_alu instid0(VALU_DEP_2)
	v_cndmask_b32_e32 v3, 0x7c, v3, vcc_lo
; %bb.1978:
	s_or_b32 exec_lo, exec_lo, s1
	v_lshrrev_b32_e32 v2, 24, v2
	s_delay_alu instid0(VALU_DEP_1)
	v_and_or_b32 v2, 0x80, v2, v3
	global_store_b8 v[4:5], v2, off
.LBB112_1979:
	s_mov_b32 s1, 0
.LBB112_1980:
	s_delay_alu instid0(SALU_CYCLE_1)
	s_and_not1_b32 vcc_lo, exec_lo, s1
	s_mov_b32 s6, 0
	s_cbranch_vccnz .LBB112_1987
; %bb.1981:
	v_cmp_lt_i16_e32 vcc_lo, 14, v13
	s_mov_b32 s1, -1
	s_cbranch_vccz .LBB112_1985
; %bb.1982:
	v_cmp_eq_u16_e32 vcc_lo, 15, v13
	s_mov_b32 s0, -1
	s_cbranch_vccz .LBB112_1984
; %bb.1983:
	v_cvt_f32_f64_e32 v2, v[0:1]
	s_mov_b32 s0, 0
	s_delay_alu instid0(VALU_DEP_1) | instskip(SKIP_1) | instid1(VALU_DEP_2)
	v_bfe_u32 v3, v2, 16, 1
	v_cmp_o_f32_e32 vcc_lo, v2, v2
	v_add3_u32 v3, v2, v3, 0x7fff
	s_delay_alu instid0(VALU_DEP_1) | instskip(NEXT) | instid1(VALU_DEP_1)
	v_lshrrev_b32_e32 v3, 16, v3
	v_cndmask_b32_e32 v2, 0x7fc0, v3, vcc_lo
	global_store_b16 v[4:5], v2, off
.LBB112_1984:
	s_mov_b32 s1, 0
.LBB112_1985:
	s_delay_alu instid0(SALU_CYCLE_1)
	s_and_b32 vcc_lo, exec_lo, s1
	s_cbranch_vccz .LBB112_1987
; %bb.1986:
	v_cmp_ne_u16_e64 s0, 11, v13
	s_mov_b32 s6, -1
.LBB112_1987:
	s_delay_alu instid0(VALU_DEP_1)
	s_and_b32 vcc_lo, exec_lo, s0
	s_cbranch_vccnz .LBB112_2064
.LBB112_1988:
	s_mov_b32 s0, 0
	s_branch .LBB112_1990
.LBB112_1989:
	s_mov_b32 s0, 0
	s_mov_b32 s6, 0
                                        ; implicit-def: $vgpr13
                                        ; implicit-def: $vgpr4_vgpr5
                                        ; implicit-def: $vgpr0_vgpr1
.LBB112_1990:
	s_and_not1_b32 s1, s11, exec_lo
	s_and_b32 s2, s3, exec_lo
	s_and_b32 s0, s0, exec_lo
	;; [unrolled: 1-line block ×3, first 2 shown]
	s_or_b32 s11, s1, s2
.LBB112_1991:
	s_or_b32 exec_lo, exec_lo, s10
	s_and_saveexec_b32 s1, s11
	s_cbranch_execz .LBB112_1994
; %bb.1992:
	; divergent unreachable
	s_or_b32 exec_lo, exec_lo, s1
	s_and_saveexec_b32 s1, s3
	s_delay_alu instid0(SALU_CYCLE_1)
	s_xor_b32 s1, exec_lo, s1
	s_cbranch_execnz .LBB112_1995
.LBB112_1993:
	s_or_b32 exec_lo, exec_lo, s1
	s_and_saveexec_b32 s1, s0
	s_cbranch_execnz .LBB112_1996
	s_branch .LBB112_2033
.LBB112_1994:
	s_or_b32 exec_lo, exec_lo, s1
	s_and_saveexec_b32 s1, s3
	s_delay_alu instid0(SALU_CYCLE_1)
	s_xor_b32 s1, exec_lo, s1
	s_cbranch_execz .LBB112_1993
.LBB112_1995:
	s_waitcnt vmcnt(0)
	s_delay_alu instid0(VALU_DEP_1)
	v_cmp_neq_f64_e32 vcc_lo, 0, v[0:1]
	v_cndmask_b32_e64 v2, 0, 1, vcc_lo
	global_store_b8 v[4:5], v2, off
	s_or_b32 exec_lo, exec_lo, s1
	s_and_saveexec_b32 s1, s0
	s_cbranch_execz .LBB112_2033
.LBB112_1996:
	v_cmp_gt_i16_e32 vcc_lo, 5, v13
	s_mov_b32 s0, -1
	s_cbranch_vccnz .LBB112_2017
; %bb.1997:
	v_cmp_gt_i16_e32 vcc_lo, 8, v13
	s_cbranch_vccnz .LBB112_2007
; %bb.1998:
	v_cmp_gt_i16_e32 vcc_lo, 9, v13
	s_cbranch_vccnz .LBB112_2004
; %bb.1999:
	v_cmp_lt_i16_e32 vcc_lo, 9, v13
	s_cbranch_vccz .LBB112_2001
; %bb.2000:
	s_waitcnt vmcnt(0)
	v_mov_b32_e32 v2, 0
	s_mov_b32 s0, 0
	s_delay_alu instid0(VALU_DEP_1)
	v_mov_b32_e32 v3, v2
	global_store_b128 v[4:5], v[0:3], off
.LBB112_2001:
	s_and_not1_b32 vcc_lo, exec_lo, s0
	s_cbranch_vccnz .LBB112_2003
; %bb.2002:
	s_waitcnt vmcnt(0)
	v_cvt_f32_f64_e32 v2, v[0:1]
	v_mov_b32_e32 v3, 0
	global_store_b64 v[4:5], v[2:3], off
.LBB112_2003:
	s_mov_b32 s0, 0
.LBB112_2004:
	s_delay_alu instid0(SALU_CYCLE_1)
	s_and_not1_b32 vcc_lo, exec_lo, s0
	s_cbranch_vccnz .LBB112_2006
; %bb.2005:
	s_waitcnt vmcnt(0)
	v_cvt_f32_f64_e32 v2, v[0:1]
	s_delay_alu instid0(VALU_DEP_1) | instskip(NEXT) | instid1(VALU_DEP_1)
	v_cvt_f16_f32_e32 v2, v2
	v_and_b32_e32 v2, 0xffff, v2
	global_store_b32 v[4:5], v2, off
.LBB112_2006:
	s_mov_b32 s0, 0
.LBB112_2007:
	s_delay_alu instid0(SALU_CYCLE_1)
	s_and_not1_b32 vcc_lo, exec_lo, s0
	s_cbranch_vccnz .LBB112_2016
; %bb.2008:
	v_cmp_gt_i16_e32 vcc_lo, 6, v13
	s_mov_b32 s0, -1
	s_cbranch_vccnz .LBB112_2014
; %bb.2009:
	v_cmp_lt_i16_e32 vcc_lo, 6, v13
	s_cbranch_vccz .LBB112_2011
; %bb.2010:
	s_mov_b32 s0, 0
	s_waitcnt vmcnt(0)
	global_store_b64 v[4:5], v[0:1], off
.LBB112_2011:
	s_and_not1_b32 vcc_lo, exec_lo, s0
	s_cbranch_vccnz .LBB112_2013
; %bb.2012:
	s_waitcnt vmcnt(0)
	v_cvt_f32_f64_e32 v2, v[0:1]
	global_store_b32 v[4:5], v2, off
.LBB112_2013:
	s_mov_b32 s0, 0
.LBB112_2014:
	s_delay_alu instid0(SALU_CYCLE_1)
	s_and_not1_b32 vcc_lo, exec_lo, s0
	s_cbranch_vccnz .LBB112_2016
; %bb.2015:
	s_waitcnt vmcnt(0)
	v_cvt_f32_f64_e32 v2, v[0:1]
	s_delay_alu instid0(VALU_DEP_1)
	v_cvt_f16_f32_e32 v2, v2
	global_store_b16 v[4:5], v2, off
.LBB112_2016:
	s_mov_b32 s0, 0
.LBB112_2017:
	s_delay_alu instid0(SALU_CYCLE_1)
	s_and_not1_b32 vcc_lo, exec_lo, s0
	s_cbranch_vccnz .LBB112_2033
; %bb.2018:
	v_cmp_gt_i16_e32 vcc_lo, 2, v13
	s_mov_b32 s0, -1
	s_cbranch_vccnz .LBB112_2028
; %bb.2019:
	v_cmp_gt_i16_e32 vcc_lo, 3, v13
	s_cbranch_vccnz .LBB112_2025
; %bb.2020:
	v_cmp_lt_i16_e32 vcc_lo, 3, v13
	s_cbranch_vccz .LBB112_2022
; %bb.2021:
	s_waitcnt vmcnt(0)
	v_trunc_f64_e32 v[2:3], v[0:1]
	s_mov_b32 s0, 0
	s_delay_alu instid0(VALU_DEP_1) | instskip(NEXT) | instid1(VALU_DEP_1)
	v_ldexp_f64 v[6:7], v[2:3], 0xffffffe0
	v_floor_f64_e32 v[6:7], v[6:7]
	s_delay_alu instid0(VALU_DEP_1) | instskip(SKIP_1) | instid1(VALU_DEP_2)
	v_fma_f64 v[2:3], 0xc1f00000, v[6:7], v[2:3]
	v_cvt_i32_f64_e32 v7, v[6:7]
	v_cvt_u32_f64_e32 v6, v[2:3]
	global_store_b64 v[4:5], v[6:7], off
.LBB112_2022:
	s_and_not1_b32 vcc_lo, exec_lo, s0
	s_cbranch_vccnz .LBB112_2024
; %bb.2023:
	s_waitcnt vmcnt(0)
	v_cvt_i32_f64_e32 v2, v[0:1]
	global_store_b32 v[4:5], v2, off
.LBB112_2024:
	s_mov_b32 s0, 0
.LBB112_2025:
	s_delay_alu instid0(SALU_CYCLE_1)
	s_and_not1_b32 vcc_lo, exec_lo, s0
	s_cbranch_vccnz .LBB112_2027
; %bb.2026:
	s_waitcnt vmcnt(0)
	v_cvt_i32_f64_e32 v2, v[0:1]
	global_store_b16 v[4:5], v2, off
.LBB112_2027:
	s_mov_b32 s0, 0
.LBB112_2028:
	s_delay_alu instid0(SALU_CYCLE_1)
	s_and_not1_b32 vcc_lo, exec_lo, s0
	s_cbranch_vccnz .LBB112_2033
; %bb.2029:
	v_cmp_lt_i16_e32 vcc_lo, 0, v13
	s_mov_b32 s0, -1
	s_cbranch_vccz .LBB112_2031
; %bb.2030:
	s_waitcnt vmcnt(0)
	v_cvt_i32_f64_e32 v2, v[0:1]
	s_mov_b32 s0, 0
	global_store_b8 v[4:5], v2, off
.LBB112_2031:
	s_and_not1_b32 vcc_lo, exec_lo, s0
	s_cbranch_vccnz .LBB112_2033
; %bb.2032:
	s_waitcnt vmcnt(0)
	v_trunc_f64_e32 v[0:1], v[0:1]
	s_delay_alu instid0(VALU_DEP_1) | instskip(NEXT) | instid1(VALU_DEP_1)
	v_ldexp_f64 v[2:3], v[0:1], 0xffffffe0
	v_floor_f64_e32 v[2:3], v[2:3]
	s_delay_alu instid0(VALU_DEP_1) | instskip(NEXT) | instid1(VALU_DEP_1)
	v_fma_f64 v[0:1], 0xc1f00000, v[2:3], v[0:1]
	v_cvt_u32_f64_e32 v0, v[0:1]
	global_store_b8 v[4:5], v0, off
	s_nop 0
	s_sendmsg sendmsg(MSG_DEALLOC_VGPRS)
	s_endpgm
.LBB112_2033:
	s_nop 0
	s_sendmsg sendmsg(MSG_DEALLOC_VGPRS)
	s_endpgm
.LBB112_2034:
	s_cbranch_execnz .LBB112_2038
; %bb.2035:
	s_or_b32 s3, s3, exec_lo
                                        ; implicit-def: $vgpr4_vgpr5
	s_cbranch_execz .LBB112_1507
	s_branch .LBB112_1508
.LBB112_2036:
	s_or_saveexec_b32 s7, s7
                                        ; implicit-def: $sgpr9
	s_delay_alu instid0(SALU_CYCLE_1)
	s_xor_b32 exec_lo, exec_lo, s7
	s_cbranch_execz .LBB112_1587
.LBB112_2037:
	v_add_f32_e64 v3, 0x46000000, |v2|
	s_and_not1_b32 s6, s6, exec_lo
	s_mov_b32 s9, 0
	s_delay_alu instid0(VALU_DEP_1) | instskip(NEXT) | instid1(VALU_DEP_1)
	v_and_b32_e32 v3, 0xff, v3
	v_cmp_ne_u32_e32 vcc_lo, 0, v3
	s_and_b32 s12, vcc_lo, exec_lo
	s_delay_alu instid0(SALU_CYCLE_1)
	s_or_b32 s6, s6, s12
	s_or_b32 exec_lo, exec_lo, s7
	v_mov_b32_e32 v14, s9
	s_and_saveexec_b32 s7, s6
	s_cbranch_execnz .LBB112_1588
	s_branch .LBB112_1589
.LBB112_2038:
	s_trap 2
	s_sendmsg_rtn_b32 s0, sendmsg(MSG_RTN_GET_DOORBELL)
	s_mov_b32 ttmp2, m0
	s_waitcnt lgkmcnt(0)
	s_and_b32 s0, s0, 0x3ff
	s_delay_alu instid0(SALU_CYCLE_1) | instskip(NEXT) | instid1(SALU_CYCLE_1)
	s_bitset1_b32 s0, 10
	s_mov_b32 m0, s0
	s_sendmsg sendmsg(MSG_INTERRUPT)
	s_mov_b32 m0, ttmp2
.LBB112_2039:                           ; =>This Inner Loop Header: Depth=1
	s_sethalt 5
	s_branch .LBB112_2039
.LBB112_2040:
	s_cbranch_execnz .LBB112_2046
; %bb.2041:
	s_or_b32 s3, s3, exec_lo
	s_cbranch_execz .LBB112_1635
	s_branch .LBB112_1636
.LBB112_2042:
	s_or_saveexec_b32 s6, s6
                                        ; implicit-def: $sgpr7
	s_delay_alu instid0(SALU_CYCLE_1)
	s_xor_b32 exec_lo, exec_lo, s6
	s_cbranch_execz .LBB112_1600
.LBB112_2043:
	v_add_f32_e64 v3, 0x42800000, |v2|
	s_and_not1_b32 s2, s2, exec_lo
	s_mov_b32 s7, 0
	s_delay_alu instid0(VALU_DEP_1) | instskip(NEXT) | instid1(VALU_DEP_1)
	v_and_b32_e32 v3, 0xff, v3
	v_cmp_ne_u32_e32 vcc_lo, 0, v3
	s_and_b32 s9, vcc_lo, exec_lo
	s_delay_alu instid0(SALU_CYCLE_1)
	s_or_b32 s2, s2, s9
	s_or_b32 exec_lo, exec_lo, s6
	v_mov_b32_e32 v14, s7
	s_and_saveexec_b32 s6, s2
	s_cbranch_execnz .LBB112_1601
	s_branch .LBB112_1602
.LBB112_2044:
	s_or_saveexec_b32 s8, s8
                                        ; implicit-def: $sgpr9
	s_delay_alu instid0(SALU_CYCLE_1)
	s_xor_b32 exec_lo, exec_lo, s8
	s_cbranch_execz .LBB112_1705
.LBB112_2045:
	v_add_f32_e64 v3, 0x46000000, |v2|
	s_and_not1_b32 s7, s7, exec_lo
	s_mov_b32 s9, 0
	s_delay_alu instid0(VALU_DEP_1) | instskip(NEXT) | instid1(VALU_DEP_1)
	v_and_b32_e32 v3, 0xff, v3
	v_cmp_ne_u32_e32 vcc_lo, 0, v3
	s_and_b32 s12, vcc_lo, exec_lo
	s_delay_alu instid0(SALU_CYCLE_1)
	s_or_b32 s7, s7, s12
	s_or_b32 exec_lo, exec_lo, s8
	v_mov_b32_e32 v11, s9
	s_and_saveexec_b32 s8, s7
	s_cbranch_execnz .LBB112_1706
	s_branch .LBB112_1707
.LBB112_2046:
	s_trap 2
	s_sendmsg_rtn_b32 s0, sendmsg(MSG_RTN_GET_DOORBELL)
	s_mov_b32 ttmp2, m0
	s_waitcnt lgkmcnt(0)
	s_and_b32 s0, s0, 0x3ff
	s_delay_alu instid0(SALU_CYCLE_1) | instskip(NEXT) | instid1(SALU_CYCLE_1)
	s_bitset1_b32 s0, 10
	s_mov_b32 m0, s0
	s_sendmsg sendmsg(MSG_INTERRUPT)
	s_mov_b32 m0, ttmp2
.LBB112_2047:                           ; =>This Inner Loop Header: Depth=1
	s_sethalt 5
	s_branch .LBB112_2047
.LBB112_2048:
	s_cbranch_execnz .LBB112_2054
; %bb.2049:
	s_or_b32 s3, s3, exec_lo
	s_cbranch_execz .LBB112_1753
	s_branch .LBB112_1754
.LBB112_2050:
	s_or_saveexec_b32 s7, s7
                                        ; implicit-def: $sgpr8
	s_delay_alu instid0(SALU_CYCLE_1)
	s_xor_b32 exec_lo, exec_lo, s7
	s_cbranch_execz .LBB112_1718
.LBB112_2051:
	v_add_f32_e64 v3, 0x42800000, |v2|
	s_and_not1_b32 s2, s2, exec_lo
	s_mov_b32 s8, 0
	s_delay_alu instid0(VALU_DEP_1) | instskip(NEXT) | instid1(VALU_DEP_1)
	v_and_b32_e32 v3, 0xff, v3
	v_cmp_ne_u32_e32 vcc_lo, 0, v3
	s_and_b32 s9, vcc_lo, exec_lo
	s_delay_alu instid0(SALU_CYCLE_1)
	s_or_b32 s2, s2, s9
	s_or_b32 exec_lo, exec_lo, s7
	v_mov_b32_e32 v11, s8
	s_and_saveexec_b32 s7, s2
	s_cbranch_execnz .LBB112_1719
	s_branch .LBB112_1720
.LBB112_2052:
	s_or_saveexec_b32 s8, s8
                                        ; implicit-def: $sgpr9
	s_delay_alu instid0(SALU_CYCLE_1)
	s_xor_b32 exec_lo, exec_lo, s8
	s_cbranch_execz .LBB112_1823
.LBB112_2053:
	v_add_f32_e64 v3, 0x46000000, |v2|
	s_and_not1_b32 s7, s7, exec_lo
	s_mov_b32 s9, 0
	s_delay_alu instid0(VALU_DEP_1) | instskip(NEXT) | instid1(VALU_DEP_1)
	v_and_b32_e32 v3, 0xff, v3
	v_cmp_ne_u32_e32 vcc_lo, 0, v3
	s_and_b32 s12, vcc_lo, exec_lo
	s_delay_alu instid0(SALU_CYCLE_1)
	s_or_b32 s7, s7, s12
	s_or_b32 exec_lo, exec_lo, s8
	v_mov_b32_e32 v9, s9
	s_and_saveexec_b32 s8, s7
	s_cbranch_execnz .LBB112_1824
	s_branch .LBB112_1825
.LBB112_2054:
	s_trap 2
	s_sendmsg_rtn_b32 s0, sendmsg(MSG_RTN_GET_DOORBELL)
	s_mov_b32 ttmp2, m0
	s_waitcnt lgkmcnt(0)
	s_and_b32 s0, s0, 0x3ff
	s_delay_alu instid0(SALU_CYCLE_1) | instskip(NEXT) | instid1(SALU_CYCLE_1)
	s_bitset1_b32 s0, 10
	s_mov_b32 m0, s0
	s_sendmsg sendmsg(MSG_INTERRUPT)
	s_mov_b32 m0, ttmp2
.LBB112_2055:                           ; =>This Inner Loop Header: Depth=1
	s_sethalt 5
	s_branch .LBB112_2055
.LBB112_2056:
	s_cbranch_execnz .LBB112_2062
; %bb.2057:
	s_or_b32 s3, s3, exec_lo
	s_cbranch_execz .LBB112_1871
	s_branch .LBB112_1872
.LBB112_2058:
	s_or_saveexec_b32 s7, s7
                                        ; implicit-def: $sgpr8
	s_delay_alu instid0(SALU_CYCLE_1)
	s_xor_b32 exec_lo, exec_lo, s7
	s_cbranch_execz .LBB112_1836
.LBB112_2059:
	v_add_f32_e64 v3, 0x42800000, |v2|
	s_and_not1_b32 s2, s2, exec_lo
	s_mov_b32 s8, 0
	s_delay_alu instid0(VALU_DEP_1) | instskip(NEXT) | instid1(VALU_DEP_1)
	v_and_b32_e32 v3, 0xff, v3
	v_cmp_ne_u32_e32 vcc_lo, 0, v3
	s_and_b32 s9, vcc_lo, exec_lo
	s_delay_alu instid0(SALU_CYCLE_1)
	s_or_b32 s2, s2, s9
	s_or_b32 exec_lo, exec_lo, s7
	v_mov_b32_e32 v9, s8
	s_and_saveexec_b32 s7, s2
	s_cbranch_execnz .LBB112_1837
	s_branch .LBB112_1838
.LBB112_2060:
	s_or_saveexec_b32 s4, s4
                                        ; implicit-def: $sgpr5
	s_delay_alu instid0(SALU_CYCLE_1)
	s_xor_b32 exec_lo, exec_lo, s4
	s_cbranch_execz .LBB112_1942
.LBB112_2061:
	v_add_f32_e64 v3, 0x46000000, |v2|
	s_and_not1_b32 s2, s2, exec_lo
	s_mov_b32 s5, 0
	s_delay_alu instid0(VALU_DEP_1) | instskip(NEXT) | instid1(VALU_DEP_1)
	v_and_b32_e32 v3, 0xff, v3
	v_cmp_ne_u32_e32 vcc_lo, 0, v3
	s_and_b32 s7, vcc_lo, exec_lo
	s_delay_alu instid0(SALU_CYCLE_1)
	s_or_b32 s2, s2, s7
	s_or_b32 exec_lo, exec_lo, s4
	v_mov_b32_e32 v6, s5
	s_and_saveexec_b32 s4, s2
	s_cbranch_execnz .LBB112_1943
	s_branch .LBB112_1944
.LBB112_2062:
	s_trap 2
	s_sendmsg_rtn_b32 s0, sendmsg(MSG_RTN_GET_DOORBELL)
	s_mov_b32 ttmp2, m0
	s_waitcnt lgkmcnt(0)
	s_and_b32 s0, s0, 0x3ff
	s_delay_alu instid0(SALU_CYCLE_1) | instskip(NEXT) | instid1(SALU_CYCLE_1)
	s_bitset1_b32 s0, 10
	s_mov_b32 m0, s0
	s_sendmsg sendmsg(MSG_INTERRUPT)
	s_mov_b32 m0, ttmp2
.LBB112_2063:                           ; =>This Inner Loop Header: Depth=1
	s_sethalt 5
	s_branch .LBB112_2063
.LBB112_2064:
	s_cbranch_execnz .LBB112_2068
; %bb.2065:
	s_mov_b32 s6, 0
	s_or_b32 s3, s3, exec_lo
	s_branch .LBB112_1988
.LBB112_2066:
	s_or_saveexec_b32 s4, s4
                                        ; implicit-def: $sgpr5
	s_delay_alu instid0(SALU_CYCLE_1)
	s_xor_b32 exec_lo, exec_lo, s4
	s_cbranch_execz .LBB112_1954
.LBB112_2067:
	v_add_f32_e64 v3, 0x42800000, |v2|
	s_and_not1_b32 s2, s2, exec_lo
	s_mov_b32 s5, 0
	s_delay_alu instid0(VALU_DEP_1) | instskip(NEXT) | instid1(VALU_DEP_1)
	v_and_b32_e32 v3, 0xff, v3
	v_cmp_ne_u32_e32 vcc_lo, 0, v3
	s_and_b32 s6, vcc_lo, exec_lo
	s_delay_alu instid0(SALU_CYCLE_1)
	s_or_b32 s2, s2, s6
	s_or_b32 exec_lo, exec_lo, s4
	v_mov_b32_e32 v6, s5
	s_and_saveexec_b32 s4, s2
	s_cbranch_execnz .LBB112_1955
	s_branch .LBB112_1956
.LBB112_2068:
	s_trap 2
	s_sendmsg_rtn_b32 s0, sendmsg(MSG_RTN_GET_DOORBELL)
	s_mov_b32 ttmp2, m0
	s_waitcnt lgkmcnt(0)
	s_and_b32 s0, s0, 0x3ff
	s_delay_alu instid0(SALU_CYCLE_1) | instskip(NEXT) | instid1(SALU_CYCLE_1)
	s_bitset1_b32 s0, 10
	s_mov_b32 m0, s0
	s_sendmsg sendmsg(MSG_INTERRUPT)
	s_mov_b32 m0, ttmp2
.LBB112_2069:                           ; =>This Inner Loop Header: Depth=1
	s_sethalt 5
	s_branch .LBB112_2069
	.section	.rodata,"a",@progbits
	.p2align	6, 0x0
	.amdhsa_kernel _ZN2at6native32elementwise_kernel_manual_unrollILi128ELi4EZNS0_15gpu_kernel_implIZZZNS0_17expm1_kernel_cudaERNS_18TensorIteratorBaseEENKUlvE_clEvENKUlvE_clEvEUldE_EEvS4_RKT_EUlibE_EEviT1_
		.amdhsa_group_segment_fixed_size 0
		.amdhsa_private_segment_fixed_size 0
		.amdhsa_kernarg_size 40
		.amdhsa_user_sgpr_count 15
		.amdhsa_user_sgpr_dispatch_ptr 0
		.amdhsa_user_sgpr_queue_ptr 0
		.amdhsa_user_sgpr_kernarg_segment_ptr 1
		.amdhsa_user_sgpr_dispatch_id 0
		.amdhsa_user_sgpr_private_segment_size 0
		.amdhsa_wavefront_size32 1
		.amdhsa_uses_dynamic_stack 0
		.amdhsa_enable_private_segment 0
		.amdhsa_system_sgpr_workgroup_id_x 1
		.amdhsa_system_sgpr_workgroup_id_y 0
		.amdhsa_system_sgpr_workgroup_id_z 0
		.amdhsa_system_sgpr_workgroup_info 0
		.amdhsa_system_vgpr_workitem_id 0
		.amdhsa_next_free_vgpr 18
		.amdhsa_next_free_sgpr 25
		.amdhsa_reserve_vcc 1
		.amdhsa_float_round_mode_32 0
		.amdhsa_float_round_mode_16_64 0
		.amdhsa_float_denorm_mode_32 3
		.amdhsa_float_denorm_mode_16_64 3
		.amdhsa_dx10_clamp 1
		.amdhsa_ieee_mode 1
		.amdhsa_fp16_overflow 0
		.amdhsa_workgroup_processor_mode 1
		.amdhsa_memory_ordered 1
		.amdhsa_forward_progress 0
		.amdhsa_shared_vgpr_count 0
		.amdhsa_exception_fp_ieee_invalid_op 0
		.amdhsa_exception_fp_denorm_src 0
		.amdhsa_exception_fp_ieee_div_zero 0
		.amdhsa_exception_fp_ieee_overflow 0
		.amdhsa_exception_fp_ieee_underflow 0
		.amdhsa_exception_fp_ieee_inexact 0
		.amdhsa_exception_int_div_zero 0
	.end_amdhsa_kernel
	.section	.text._ZN2at6native32elementwise_kernel_manual_unrollILi128ELi4EZNS0_15gpu_kernel_implIZZZNS0_17expm1_kernel_cudaERNS_18TensorIteratorBaseEENKUlvE_clEvENKUlvE_clEvEUldE_EEvS4_RKT_EUlibE_EEviT1_,"axG",@progbits,_ZN2at6native32elementwise_kernel_manual_unrollILi128ELi4EZNS0_15gpu_kernel_implIZZZNS0_17expm1_kernel_cudaERNS_18TensorIteratorBaseEENKUlvE_clEvENKUlvE_clEvEUldE_EEvS4_RKT_EUlibE_EEviT1_,comdat
.Lfunc_end112:
	.size	_ZN2at6native32elementwise_kernel_manual_unrollILi128ELi4EZNS0_15gpu_kernel_implIZZZNS0_17expm1_kernel_cudaERNS_18TensorIteratorBaseEENKUlvE_clEvENKUlvE_clEvEUldE_EEvS4_RKT_EUlibE_EEviT1_, .Lfunc_end112-_ZN2at6native32elementwise_kernel_manual_unrollILi128ELi4EZNS0_15gpu_kernel_implIZZZNS0_17expm1_kernel_cudaERNS_18TensorIteratorBaseEENKUlvE_clEvENKUlvE_clEvEUldE_EEvS4_RKT_EUlibE_EEviT1_
                                        ; -- End function
	.section	.AMDGPU.csdata,"",@progbits
; Kernel info:
; codeLenInByte = 39268
; NumSgprs: 27
; NumVgprs: 18
; ScratchSize: 0
; MemoryBound: 1
; FloatMode: 240
; IeeeMode: 1
; LDSByteSize: 0 bytes/workgroup (compile time only)
; SGPRBlocks: 3
; VGPRBlocks: 2
; NumSGPRsForWavesPerEU: 27
; NumVGPRsForWavesPerEU: 18
; Occupancy: 16
; WaveLimiterHint : 0
; COMPUTE_PGM_RSRC2:SCRATCH_EN: 0
; COMPUTE_PGM_RSRC2:USER_SGPR: 15
; COMPUTE_PGM_RSRC2:TRAP_HANDLER: 0
; COMPUTE_PGM_RSRC2:TGID_X_EN: 1
; COMPUTE_PGM_RSRC2:TGID_Y_EN: 0
; COMPUTE_PGM_RSRC2:TGID_Z_EN: 0
; COMPUTE_PGM_RSRC2:TIDIG_COMP_CNT: 0
	.section	.text._ZN2at6native32elementwise_kernel_manual_unrollILi128ELi4EZNS0_15gpu_kernel_implIZZZNS0_17expm1_kernel_cudaERNS_18TensorIteratorBaseEENKUlvE_clEvENKUlvE_clEvEUldE_EEvS4_RKT_EUlibE0_EEviT1_,"axG",@progbits,_ZN2at6native32elementwise_kernel_manual_unrollILi128ELi4EZNS0_15gpu_kernel_implIZZZNS0_17expm1_kernel_cudaERNS_18TensorIteratorBaseEENKUlvE_clEvENKUlvE_clEvEUldE_EEvS4_RKT_EUlibE0_EEviT1_,comdat
	.globl	_ZN2at6native32elementwise_kernel_manual_unrollILi128ELi4EZNS0_15gpu_kernel_implIZZZNS0_17expm1_kernel_cudaERNS_18TensorIteratorBaseEENKUlvE_clEvENKUlvE_clEvEUldE_EEvS4_RKT_EUlibE0_EEviT1_ ; -- Begin function _ZN2at6native32elementwise_kernel_manual_unrollILi128ELi4EZNS0_15gpu_kernel_implIZZZNS0_17expm1_kernel_cudaERNS_18TensorIteratorBaseEENKUlvE_clEvENKUlvE_clEvEUldE_EEvS4_RKT_EUlibE0_EEviT1_
	.p2align	8
	.type	_ZN2at6native32elementwise_kernel_manual_unrollILi128ELi4EZNS0_15gpu_kernel_implIZZZNS0_17expm1_kernel_cudaERNS_18TensorIteratorBaseEENKUlvE_clEvENKUlvE_clEvEUldE_EEvS4_RKT_EUlibE0_EEviT1_,@function
_ZN2at6native32elementwise_kernel_manual_unrollILi128ELi4EZNS0_15gpu_kernel_implIZZZNS0_17expm1_kernel_cudaERNS_18TensorIteratorBaseEENKUlvE_clEvENKUlvE_clEvEUldE_EEvS4_RKT_EUlibE0_EEviT1_: ; @_ZN2at6native32elementwise_kernel_manual_unrollILi128ELi4EZNS0_15gpu_kernel_implIZZZNS0_17expm1_kernel_cudaERNS_18TensorIteratorBaseEENKUlvE_clEvENKUlvE_clEvEUldE_EEvS4_RKT_EUlibE0_EEviT1_
; %bb.0:
	s_clause 0x1
	s_load_b32 s24, s[0:1], 0x8
	s_load_b32 s30, s[0:1], 0x0
	v_lshl_or_b32 v10, s15, 9, v0
	s_or_b32 s16, s0, 8
	s_mov_b32 s3, -1
	s_mov_b32 s26, 0
	s_mov_b32 s17, s1
	v_or_b32_e32 v2, 0x180, v10
	s_mov_b32 s8, 0
	s_mov_b32 s2, exec_lo
	s_waitcnt lgkmcnt(0)
	s_add_i32 s25, s24, -1
	s_delay_alu instid0(SALU_CYCLE_1)
	s_cmp_gt_u32 s25, 1
	s_cselect_b32 s27, -1, 0
	v_cmpx_le_i32_e64 s30, v2
	s_xor_b32 s28, exec_lo, s2
	s_cbranch_execz .LBB113_1080
; %bb.1:
	v_mov_b32_e32 v0, 0
	s_clause 0x3
	s_load_b128 s[12:15], s[16:17], 0x4
	s_load_b64 s[18:19], s[16:17], 0x14
	s_load_b128 s[8:11], s[16:17], 0xc4
	s_load_b128 s[4:7], s[16:17], 0x148
	s_cmp_lg_u32 s24, 0
	s_mov_b32 s37, 0
	s_cselect_b32 s33, -1, 0
	global_load_u16 v8, v0, s[16:17] offset:345
	s_add_u32 s20, s16, 0xc4
	s_addc_u32 s21, s17, 0
	s_min_u32 s31, s25, 15
	s_cmp_gt_u32 s24, 1
	s_mov_b32 s35, 0
	s_cselect_b32 s29, -1, 0
	s_mov_b32 s34, 0
	s_mov_b32 s36, exec_lo
	s_waitcnt vmcnt(0)
	v_lshrrev_b16 v9, 8, v8
	v_cmpx_gt_i32_e64 s30, v10
	s_cbranch_execz .LBB113_265
; %bb.2:
	s_and_not1_b32 vcc_lo, exec_lo, s27
	s_cbranch_vccnz .LBB113_7
; %bb.3:
	v_dual_mov_b32 v0, 0 :: v_dual_mov_b32 v1, 0
	s_and_not1_b32 vcc_lo, exec_lo, s33
	s_cbranch_vccnz .LBB113_12
; %bb.4:
	v_mov_b32_e32 v0, 0
	s_add_i32 s38, s31, 1
	s_cmp_eq_u32 s25, 2
	s_cbranch_scc1 .LBB113_8
; %bb.5:
	v_dual_mov_b32 v1, 0 :: v_dual_mov_b32 v0, 0
	v_mov_b32_e32 v2, v10
	s_and_b32 s35, s38, 28
	s_mov_b32 s39, 0
	s_mov_b64 s[2:3], s[20:21]
	s_mov_b64 s[22:23], s[16:17]
.LBB113_6:                              ; =>This Inner Loop Header: Depth=1
	s_clause 0x1
	s_load_b256 s[40:47], s[22:23], 0x4
	s_load_b128 s[56:59], s[22:23], 0x24
	s_load_b256 s[48:55], s[2:3], 0x0
	s_add_u32 s22, s22, 48
	s_addc_u32 s23, s23, 0
	s_add_i32 s39, s39, 4
	s_add_u32 s2, s2, 32
	s_addc_u32 s3, s3, 0
	s_cmp_lg_u32 s35, s39
	s_waitcnt lgkmcnt(0)
	v_mul_hi_u32 v3, s41, v2
	s_delay_alu instid0(VALU_DEP_1) | instskip(NEXT) | instid1(VALU_DEP_1)
	v_add_nc_u32_e32 v3, v2, v3
	v_lshrrev_b32_e32 v3, s42, v3
	s_delay_alu instid0(VALU_DEP_1) | instskip(SKIP_1) | instid1(VALU_DEP_2)
	v_mul_hi_u32 v4, s44, v3
	v_mul_lo_u32 v6, v3, s40
	v_add_nc_u32_e32 v4, v3, v4
	s_delay_alu instid0(VALU_DEP_2) | instskip(NEXT) | instid1(VALU_DEP_2)
	v_sub_nc_u32_e32 v2, v2, v6
	v_lshrrev_b32_e32 v4, s45, v4
	s_delay_alu instid0(VALU_DEP_2) | instskip(SKIP_1) | instid1(VALU_DEP_3)
	v_mul_lo_u32 v6, v2, s48
	v_mul_lo_u32 v11, v2, s49
	v_mul_hi_u32 v5, s47, v4
	s_delay_alu instid0(VALU_DEP_1) | instskip(NEXT) | instid1(VALU_DEP_1)
	v_add_nc_u32_e32 v5, v4, v5
	v_lshrrev_b32_e32 v5, s56, v5
	s_delay_alu instid0(VALU_DEP_1) | instskip(SKIP_1) | instid1(VALU_DEP_2)
	v_mul_hi_u32 v7, s58, v5
	v_mul_lo_u32 v12, v5, s46
	v_add_nc_u32_e32 v2, v5, v7
	v_mul_lo_u32 v7, v4, s43
	s_delay_alu instid0(VALU_DEP_3) | instskip(NEXT) | instid1(VALU_DEP_3)
	v_sub_nc_u32_e32 v4, v4, v12
	v_lshrrev_b32_e32 v2, s59, v2
	s_delay_alu instid0(VALU_DEP_2) | instskip(SKIP_2) | instid1(VALU_DEP_4)
	v_mul_lo_u32 v12, v4, s52
	v_mul_lo_u32 v4, v4, s53
	v_sub_nc_u32_e32 v3, v3, v7
	v_mul_lo_u32 v13, v2, s57
	s_delay_alu instid0(VALU_DEP_2) | instskip(SKIP_1) | instid1(VALU_DEP_3)
	v_mul_lo_u32 v7, v3, s50
	v_mul_lo_u32 v3, v3, s51
	v_sub_nc_u32_e32 v5, v5, v13
	s_delay_alu instid0(VALU_DEP_3) | instskip(NEXT) | instid1(VALU_DEP_2)
	v_add3_u32 v0, v6, v0, v7
	v_mul_lo_u32 v13, v5, s54
	v_mul_lo_u32 v5, v5, s55
	v_add3_u32 v1, v11, v1, v3
	s_delay_alu instid0(VALU_DEP_3) | instskip(NEXT) | instid1(VALU_DEP_2)
	v_add3_u32 v0, v12, v0, v13
	v_add3_u32 v1, v4, v1, v5
	s_cbranch_scc1 .LBB113_6
	s_branch .LBB113_9
.LBB113_7:
	s_mov_b32 s34, -1
                                        ; implicit-def: $vgpr0
                                        ; implicit-def: $vgpr1
	s_branch .LBB113_12
.LBB113_8:
	v_dual_mov_b32 v2, v10 :: v_dual_mov_b32 v1, 0
.LBB113_9:
	s_and_b32 s38, s38, 3
	s_delay_alu instid0(SALU_CYCLE_1)
	s_cmp_eq_u32 s38, 0
	s_cbranch_scc1 .LBB113_12
; %bb.10:
	s_lshl_b32 s2, s35, 3
	s_mul_i32 s22, s35, 12
	s_add_u32 s2, s2, s16
	s_addc_u32 s3, s17, 0
	s_add_u32 s2, s2, 0xc4
	s_addc_u32 s3, s3, 0
	s_add_u32 s22, s16, s22
	s_addc_u32 s23, s17, 0
	.p2align	6
.LBB113_11:                             ; =>This Inner Loop Header: Depth=1
	s_clause 0x1
	s_load_b64 s[40:41], s[22:23], 0x4
	s_load_b32 s35, s[22:23], 0xc
	s_load_b64 s[42:43], s[2:3], 0x0
	s_add_u32 s22, s22, 12
	s_addc_u32 s23, s23, 0
	s_add_u32 s2, s2, 8
	s_addc_u32 s3, s3, 0
	s_add_i32 s38, s38, -1
	s_delay_alu instid0(SALU_CYCLE_1) | instskip(SKIP_2) | instid1(VALU_DEP_1)
	s_cmp_lg_u32 s38, 0
	s_waitcnt lgkmcnt(0)
	v_mul_hi_u32 v3, s41, v2
	v_add_nc_u32_e32 v3, v2, v3
	s_delay_alu instid0(VALU_DEP_1) | instskip(NEXT) | instid1(VALU_DEP_1)
	v_lshrrev_b32_e32 v6, s35, v3
	v_mul_lo_u32 v3, v6, s40
	s_delay_alu instid0(VALU_DEP_1) | instskip(NEXT) | instid1(VALU_DEP_1)
	v_sub_nc_u32_e32 v2, v2, v3
	v_mad_u64_u32 v[3:4], null, v2, s42, v[0:1]
	v_mad_u64_u32 v[4:5], null, v2, s43, v[1:2]
	v_mov_b32_e32 v2, v6
	s_delay_alu instid0(VALU_DEP_2)
	v_dual_mov_b32 v0, v3 :: v_dual_mov_b32 v1, v4
	s_cbranch_scc1 .LBB113_11
.LBB113_12:
	s_and_not1_b32 vcc_lo, exec_lo, s34
	s_cbranch_vccnz .LBB113_15
; %bb.13:
	s_waitcnt lgkmcnt(0)
	v_mul_hi_u32 v0, s13, v10
	s_and_not1_b32 vcc_lo, exec_lo, s29
	s_delay_alu instid0(VALU_DEP_1) | instskip(NEXT) | instid1(VALU_DEP_1)
	v_add_nc_u32_e32 v0, v10, v0
	v_lshrrev_b32_e32 v2, s14, v0
	s_delay_alu instid0(VALU_DEP_1) | instskip(NEXT) | instid1(VALU_DEP_1)
	v_mul_lo_u32 v0, v2, s12
	v_sub_nc_u32_e32 v1, v10, v0
	s_delay_alu instid0(VALU_DEP_1)
	v_mul_lo_u32 v0, v1, s8
	v_mul_lo_u32 v1, v1, s9
	s_cbranch_vccnz .LBB113_15
; %bb.14:
	v_mul_hi_u32 v3, s18, v2
	s_delay_alu instid0(VALU_DEP_1) | instskip(NEXT) | instid1(VALU_DEP_1)
	v_add_nc_u32_e32 v3, v2, v3
	v_lshrrev_b32_e32 v3, s19, v3
	s_delay_alu instid0(VALU_DEP_1) | instskip(NEXT) | instid1(VALU_DEP_1)
	v_mul_lo_u32 v3, v3, s15
	v_sub_nc_u32_e32 v5, v2, v3
	s_delay_alu instid0(VALU_DEP_1) | instskip(NEXT) | instid1(VALU_DEP_1)
	v_mad_u64_u32 v[2:3], null, v5, s10, v[0:1]
	v_mad_u64_u32 v[3:4], null, v5, s11, v[1:2]
	s_delay_alu instid0(VALU_DEP_1)
	v_dual_mov_b32 v0, v2 :: v_dual_mov_b32 v1, v3
.LBB113_15:
	v_cmp_gt_i16_e32 vcc_lo, 11, v9
	s_waitcnt lgkmcnt(0)
	s_delay_alu instid0(VALU_DEP_2) | instskip(NEXT) | instid1(VALU_DEP_1)
	v_add_co_u32 v1, s2, s6, v1
	v_add_co_ci_u32_e64 v2, null, s7, 0, s2
	s_mov_b32 s22, 0
	s_cbranch_vccnz .LBB113_22
; %bb.16:
	v_cmp_lt_i16_e32 vcc_lo, 25, v9
	s_cbranch_vccz .LBB113_70
; %bb.17:
	v_cmp_lt_i16_e32 vcc_lo, 28, v9
	s_cbranch_vccz .LBB113_71
; %bb.18:
	v_cmp_lt_i16_e32 vcc_lo, 43, v9
	s_cbranch_vccz .LBB113_73
; %bb.19:
	v_cmp_lt_i16_e32 vcc_lo, 45, v9
	s_cbranch_vccz .LBB113_75
; %bb.20:
	v_cmp_eq_u16_e32 vcc_lo, 46, v9
	s_mov_b32 s3, 0
	s_cbranch_vccz .LBB113_77
; %bb.21:
	global_load_b32 v3, v[1:2], off
	s_mov_b32 s2, -1
	s_waitcnt vmcnt(0)
	v_lshlrev_b32_e32 v3, 16, v3
	s_delay_alu instid0(VALU_DEP_1)
	v_cvt_f64_f32_e32 v[3:4], v3
	s_branch .LBB113_79
.LBB113_22:
	s_mov_b32 s2, 0
                                        ; implicit-def: $vgpr3_vgpr4
	s_cbranch_execnz .LBB113_215
.LBB113_23:
	s_and_not1_b32 vcc_lo, exec_lo, s2
	s_cbranch_vccnz .LBB113_262
.LBB113_24:
	s_mov_b32 s2, 0x652b82fe
	s_mov_b32 s3, 0x3ff71547
	s_mov_b32 s34, 0x3b39803f
	s_waitcnt vmcnt(0)
	s_delay_alu instid0(VALU_DEP_1)
	v_mul_f64 v[1:2], v[3:4], s[2:3]
	s_mov_b32 s3, 0xbfe62e42
	s_mov_b32 s2, 0xfefa39ef
	;; [unrolled: 1-line block ×6, first 2 shown]
	s_delay_alu instid0(VALU_DEP_1) | instskip(NEXT) | instid1(VALU_DEP_1)
	v_rndne_f64_e32 v[1:2], v[1:2]
	v_fma_f64 v[5:6], v[1:2], s[2:3], v[3:4]
	v_cvt_i32_f64_e32 v7, v[1:2]
	v_cmp_eq_f64_e32 vcc_lo, 0x40900000, v[1:2]
	s_mov_b32 s3, 0x40862e42
	s_delay_alu instid0(SALU_CYCLE_1)
	v_cmp_nlt_f64_e64 s2, s[2:3], v[3:4]
	v_cmp_ngt_f64_e64 s3, 0xc0428000, v[3:4]
	v_fma_f64 v[5:6], v[1:2], s[34:35], v[5:6]
	s_mov_b32 s34, 0x2a1b768b
	s_mov_b32 s35, 0x3e5af4eb
	v_cndmask_b32_e64 v1, v7, 0x3ff, vcc_lo
	s_delay_alu instid0(VALU_DEP_1) | instskip(NEXT) | instid1(VALU_DEP_3)
	v_ldexp_f64 v[1:2], 1.0, v1
	v_fma_f64 v[11:12], v[5:6], s[38:39], s[34:35]
	s_mov_b32 s34, 0xe0ac05b
	s_mov_b32 s35, 0x3e927e50
	s_delay_alu instid0(VALU_DEP_2) | instskip(NEXT) | instid1(VALU_DEP_2)
	v_add_f64 v[13:14], v[1:2], -1.0
	v_fma_f64 v[11:12], v[5:6], v[11:12], s[34:35]
	s_mov_b32 s34, 0x1b889c29
	s_mov_b32 s35, 0x3ec71de0
	s_delay_alu instid0(VALU_DEP_1) | instid1(SALU_CYCLE_1)
	v_fma_f64 v[11:12], v[5:6], v[11:12], s[34:35]
	s_mov_b32 s34, 0x197bcfd8
	s_mov_b32 s35, 0x3efa01a0
	s_delay_alu instid0(VALU_DEP_1) | instid1(SALU_CYCLE_1)
	;; [unrolled: 4-line block ×7, first 2 shown]
	v_fma_f64 v[11:12], v[5:6], v[11:12], s[34:35]
	v_add_co_u32 v4, s34, s4, v0
	s_delay_alu instid0(VALU_DEP_2) | instskip(NEXT) | instid1(VALU_DEP_1)
	v_fma_f64 v[11:12], v[5:6], v[11:12], 0.5
	v_mul_f64 v[11:12], v[5:6], v[11:12]
	s_delay_alu instid0(VALU_DEP_1) | instskip(NEXT) | instid1(VALU_DEP_1)
	v_fma_f64 v[5:6], v[5:6], v[11:12], v[5:6]
	v_fma_f64 v[1:2], v[1:2], v[5:6], v[13:14]
	v_and_b32_e32 v6, 0xff, v8
	v_add_co_ci_u32_e64 v5, null, s5, 0, s34
	s_mov_b32 s34, -1
	s_delay_alu instid0(VALU_DEP_3) | instskip(NEXT) | instid1(VALU_DEP_1)
	v_add_f64 v[11:12], v[1:2], v[1:2]
	v_cndmask_b32_e32 v2, v2, v12, vcc_lo
	s_delay_alu instid0(VALU_DEP_2) | instskip(SKIP_1) | instid1(VALU_DEP_3)
	v_cndmask_b32_e32 v0, v1, v11, vcc_lo
	v_cmp_gt_i16_e32 vcc_lo, 11, v6
	v_cndmask_b32_e64 v2, 0x7ff00000, v2, s2
	s_and_b32 s2, s3, s2
	s_delay_alu instid0(VALU_DEP_3) | instid1(SALU_CYCLE_1)
	v_cndmask_b32_e64 v0, 0, v0, s2
	s_mov_b32 s2, 0
	s_delay_alu instid0(VALU_DEP_2)
	v_cndmask_b32_e64 v1, 0xbff00000, v2, s3
	s_cbranch_vccnz .LBB113_31
; %bb.25:
	v_cmp_lt_i16_e32 vcc_lo, 25, v6
	s_cbranch_vccz .LBB113_72
; %bb.26:
	v_cmp_lt_i16_e32 vcc_lo, 28, v6
	s_cbranch_vccz .LBB113_74
	;; [unrolled: 3-line block ×4, first 2 shown]
; %bb.29:
	v_cmp_eq_u16_e32 vcc_lo, 46, v6
	s_mov_b32 s3, 0
	s_mov_b32 s23, -1
	s_cbranch_vccz .LBB113_83
; %bb.30:
	v_cvt_f32_f64_e32 v2, v[0:1]
	s_mov_b32 s2, -1
	s_mov_b32 s23, 0
	s_delay_alu instid0(VALU_DEP_1) | instskip(SKIP_1) | instid1(VALU_DEP_2)
	v_bfe_u32 v3, v2, 16, 1
	v_cmp_o_f32_e32 vcc_lo, v2, v2
	v_add3_u32 v3, v2, v3, 0x7fff
	s_delay_alu instid0(VALU_DEP_1) | instskip(NEXT) | instid1(VALU_DEP_1)
	v_lshrrev_b32_e32 v3, 16, v3
	v_cndmask_b32_e32 v2, 0x7fc0, v3, vcc_lo
	global_store_b32 v[4:5], v2, off
	s_branch .LBB113_83
.LBB113_31:
	s_and_b32 vcc_lo, exec_lo, s34
	s_cbranch_vccz .LBB113_152
; %bb.32:
	v_cmp_gt_i16_e32 vcc_lo, 5, v6
	s_mov_b32 s2, -1
	s_cbranch_vccnz .LBB113_53
; %bb.33:
	v_cmp_gt_i16_e32 vcc_lo, 8, v6
	s_cbranch_vccnz .LBB113_43
; %bb.34:
	v_cmp_gt_i16_e32 vcc_lo, 9, v6
	s_cbranch_vccnz .LBB113_40
; %bb.35:
	v_cmp_lt_i16_e32 vcc_lo, 9, v6
	s_cbranch_vccz .LBB113_37
; %bb.36:
	v_mov_b32_e32 v2, 0
	s_mov_b32 s2, 0
	s_delay_alu instid0(VALU_DEP_1)
	v_mov_b32_e32 v3, v2
	global_store_b128 v[4:5], v[0:3], off
.LBB113_37:
	s_and_not1_b32 vcc_lo, exec_lo, s2
	s_cbranch_vccnz .LBB113_39
; %bb.38:
	v_cvt_f32_f64_e32 v2, v[0:1]
	v_mov_b32_e32 v3, 0
	global_store_b64 v[4:5], v[2:3], off
.LBB113_39:
	s_mov_b32 s2, 0
.LBB113_40:
	s_delay_alu instid0(SALU_CYCLE_1)
	s_and_not1_b32 vcc_lo, exec_lo, s2
	s_cbranch_vccnz .LBB113_42
; %bb.41:
	v_cvt_f32_f64_e32 v2, v[0:1]
	s_delay_alu instid0(VALU_DEP_1) | instskip(NEXT) | instid1(VALU_DEP_1)
	v_cvt_f16_f32_e32 v2, v2
	v_and_b32_e32 v2, 0xffff, v2
	global_store_b32 v[4:5], v2, off
.LBB113_42:
	s_mov_b32 s2, 0
.LBB113_43:
	s_delay_alu instid0(SALU_CYCLE_1)
	s_and_not1_b32 vcc_lo, exec_lo, s2
	s_cbranch_vccnz .LBB113_52
; %bb.44:
	v_cmp_gt_i16_e32 vcc_lo, 6, v6
	s_mov_b32 s2, -1
	s_cbranch_vccnz .LBB113_50
; %bb.45:
	v_cmp_lt_i16_e32 vcc_lo, 6, v6
	s_cbranch_vccz .LBB113_47
; %bb.46:
	s_mov_b32 s2, 0
	global_store_b64 v[4:5], v[0:1], off
.LBB113_47:
	s_and_not1_b32 vcc_lo, exec_lo, s2
	s_cbranch_vccnz .LBB113_49
; %bb.48:
	v_cvt_f32_f64_e32 v2, v[0:1]
	global_store_b32 v[4:5], v2, off
.LBB113_49:
	s_mov_b32 s2, 0
.LBB113_50:
	s_delay_alu instid0(SALU_CYCLE_1)
	s_and_not1_b32 vcc_lo, exec_lo, s2
	s_cbranch_vccnz .LBB113_52
; %bb.51:
	v_cvt_f32_f64_e32 v2, v[0:1]
	s_delay_alu instid0(VALU_DEP_1)
	v_cvt_f16_f32_e32 v2, v2
	global_store_b16 v[4:5], v2, off
.LBB113_52:
	s_mov_b32 s2, 0
.LBB113_53:
	s_delay_alu instid0(SALU_CYCLE_1)
	s_and_not1_b32 vcc_lo, exec_lo, s2
	s_cbranch_vccnz .LBB113_69
; %bb.54:
	v_cmp_gt_i16_e32 vcc_lo, 2, v6
	s_mov_b32 s2, -1
	s_cbranch_vccnz .LBB113_64
; %bb.55:
	v_cmp_gt_i16_e32 vcc_lo, 3, v6
	s_cbranch_vccnz .LBB113_61
; %bb.56:
	v_cmp_lt_i16_e32 vcc_lo, 3, v6
	s_cbranch_vccz .LBB113_58
; %bb.57:
	v_trunc_f64_e32 v[2:3], v[0:1]
	s_mov_b32 s2, 0
	s_delay_alu instid0(VALU_DEP_1) | instskip(NEXT) | instid1(VALU_DEP_1)
	v_ldexp_f64 v[11:12], v[2:3], 0xffffffe0
	v_floor_f64_e32 v[11:12], v[11:12]
	s_delay_alu instid0(VALU_DEP_1) | instskip(SKIP_1) | instid1(VALU_DEP_2)
	v_fma_f64 v[2:3], 0xc1f00000, v[11:12], v[2:3]
	v_cvt_i32_f64_e32 v12, v[11:12]
	v_cvt_u32_f64_e32 v11, v[2:3]
	global_store_b64 v[4:5], v[11:12], off
.LBB113_58:
	s_and_not1_b32 vcc_lo, exec_lo, s2
	s_cbranch_vccnz .LBB113_60
; %bb.59:
	v_cvt_i32_f64_e32 v2, v[0:1]
	global_store_b32 v[4:5], v2, off
.LBB113_60:
	s_mov_b32 s2, 0
.LBB113_61:
	s_delay_alu instid0(SALU_CYCLE_1)
	s_and_not1_b32 vcc_lo, exec_lo, s2
	s_cbranch_vccnz .LBB113_63
; %bb.62:
	v_cvt_i32_f64_e32 v2, v[0:1]
	global_store_b16 v[4:5], v2, off
.LBB113_63:
	s_mov_b32 s2, 0
.LBB113_64:
	s_delay_alu instid0(SALU_CYCLE_1)
	s_and_not1_b32 vcc_lo, exec_lo, s2
	s_cbranch_vccnz .LBB113_69
; %bb.65:
	v_cmp_lt_i16_e32 vcc_lo, 0, v6
	s_mov_b32 s2, -1
	s_cbranch_vccz .LBB113_67
; %bb.66:
	v_cvt_i32_f64_e32 v2, v[0:1]
	s_mov_b32 s2, 0
	global_store_b8 v[4:5], v2, off
.LBB113_67:
	s_and_not1_b32 vcc_lo, exec_lo, s2
	s_cbranch_vccnz .LBB113_69
; %bb.68:
	v_trunc_f64_e32 v[0:1], v[0:1]
	s_delay_alu instid0(VALU_DEP_1) | instskip(NEXT) | instid1(VALU_DEP_1)
	v_ldexp_f64 v[2:3], v[0:1], 0xffffffe0
	v_floor_f64_e32 v[2:3], v[2:3]
	s_delay_alu instid0(VALU_DEP_1) | instskip(NEXT) | instid1(VALU_DEP_1)
	v_fma_f64 v[0:1], 0xc1f00000, v[2:3], v[0:1]
	v_cvt_u32_f64_e32 v0, v[0:1]
	global_store_b8 v[4:5], v0, off
.LBB113_69:
	s_branch .LBB113_153
.LBB113_70:
	s_mov_b32 s2, 0
                                        ; implicit-def: $vgpr3_vgpr4
	s_cbranch_execnz .LBB113_182
	s_branch .LBB113_214
.LBB113_71:
	s_mov_b32 s3, -1
	s_mov_b32 s2, 0
                                        ; implicit-def: $vgpr3_vgpr4
	s_branch .LBB113_161
.LBB113_72:
	s_mov_b32 s3, -1
	s_branch .LBB113_110
.LBB113_73:
	s_mov_b32 s3, -1
	s_mov_b32 s2, 0
                                        ; implicit-def: $vgpr3_vgpr4
	s_branch .LBB113_156
.LBB113_74:
	s_mov_b32 s3, -1
	s_branch .LBB113_93
.LBB113_75:
	s_mov_b32 s3, -1
	s_branch .LBB113_78
.LBB113_76:
	s_mov_b32 s3, -1
	s_branch .LBB113_89
.LBB113_77:
	s_mov_b32 s22, -1
.LBB113_78:
	s_mov_b32 s2, 0
                                        ; implicit-def: $vgpr3_vgpr4
.LBB113_79:
	s_and_b32 vcc_lo, exec_lo, s3
	s_cbranch_vccz .LBB113_155
; %bb.80:
	v_cmp_eq_u16_e32 vcc_lo, 44, v9
	s_cbranch_vccz .LBB113_154
; %bb.81:
	global_load_u8 v5, v[1:2], off
	s_mov_b32 s22, 0
	s_mov_b32 s2, -1
	s_waitcnt vmcnt(0)
	v_cmp_ne_u32_e32 vcc_lo, 0xff, v5
	v_lshlrev_b32_e32 v3, 23, v5
	s_delay_alu instid0(VALU_DEP_1) | instskip(NEXT) | instid1(VALU_DEP_1)
	v_cvt_f64_f32_e32 v[3:4], v3
	v_cndmask_b32_e32 v4, 0x7ff80000, v4, vcc_lo
	s_delay_alu instid0(VALU_DEP_2) | instskip(SKIP_1) | instid1(VALU_DEP_3)
	v_cndmask_b32_e32 v3, 0x20000000, v3, vcc_lo
	v_cmp_ne_u32_e32 vcc_lo, 0, v5
	v_cndmask_b32_e32 v4, 0x38000000, v4, vcc_lo
	s_delay_alu instid0(VALU_DEP_3)
	v_cndmask_b32_e32 v3, 0, v3, vcc_lo
	s_branch .LBB113_155
.LBB113_82:
	s_mov_b32 s3, -1
.LBB113_83:
	s_delay_alu instid0(SALU_CYCLE_1)
	s_and_b32 vcc_lo, exec_lo, s3
	s_cbranch_vccz .LBB113_88
; %bb.84:
	v_cmp_eq_u16_e32 vcc_lo, 44, v6
	s_mov_b32 s23, -1
	s_cbranch_vccz .LBB113_88
; %bb.85:
	v_cvt_f32_f64_e32 v2, v[0:1]
	v_mov_b32_e32 v3, 0xff
	s_mov_b32 s3, exec_lo
	s_delay_alu instid0(VALU_DEP_2) | instskip(NEXT) | instid1(VALU_DEP_1)
	v_bfe_u32 v7, v2, 23, 8
	v_cmpx_ne_u32_e32 0xff, v7
; %bb.86:
	v_and_b32_e32 v3, 0x400000, v2
	v_and_or_b32 v7, 0x3fffff, v2, v7
	v_lshrrev_b32_e32 v2, 23, v2
	s_delay_alu instid0(VALU_DEP_3) | instskip(NEXT) | instid1(VALU_DEP_3)
	v_cmp_ne_u32_e32 vcc_lo, 0, v3
	v_cmp_ne_u32_e64 s2, 0, v7
	s_delay_alu instid0(VALU_DEP_1) | instskip(NEXT) | instid1(SALU_CYCLE_1)
	s_and_b32 s2, vcc_lo, s2
	v_cndmask_b32_e64 v3, 0, 1, s2
	s_delay_alu instid0(VALU_DEP_1)
	v_add_nc_u32_e32 v3, v2, v3
; %bb.87:
	s_or_b32 exec_lo, exec_lo, s3
	s_mov_b32 s2, -1
	s_mov_b32 s23, 0
	global_store_b8 v[4:5], v3, off
.LBB113_88:
	s_mov_b32 s3, 0
.LBB113_89:
	s_delay_alu instid0(SALU_CYCLE_1)
	s_and_b32 vcc_lo, exec_lo, s3
	s_cbranch_vccz .LBB113_92
; %bb.90:
	v_cmp_eq_u16_e32 vcc_lo, 29, v6
	s_mov_b32 s23, -1
	s_cbranch_vccz .LBB113_92
; %bb.91:
	v_trunc_f64_e32 v[2:3], v[0:1]
	s_mov_b32 s2, -1
	s_mov_b32 s23, 0
	s_mov_b32 s3, 0
	s_delay_alu instid0(VALU_DEP_1) | instskip(NEXT) | instid1(VALU_DEP_1)
	v_ldexp_f64 v[11:12], v[2:3], 0xffffffe0
	v_floor_f64_e32 v[11:12], v[11:12]
	s_delay_alu instid0(VALU_DEP_1) | instskip(SKIP_1) | instid1(VALU_DEP_2)
	v_fma_f64 v[2:3], 0xc1f00000, v[11:12], v[2:3]
	v_cvt_u32_f64_e32 v12, v[11:12]
	v_cvt_u32_f64_e32 v11, v[2:3]
	global_store_b64 v[4:5], v[11:12], off
	s_branch .LBB113_93
.LBB113_92:
	s_mov_b32 s3, 0
.LBB113_93:
	s_delay_alu instid0(SALU_CYCLE_1)
	s_and_b32 vcc_lo, exec_lo, s3
	s_cbranch_vccz .LBB113_109
; %bb.94:
	v_cmp_gt_i16_e32 vcc_lo, 27, v6
	s_mov_b32 s2, -1
	s_cbranch_vccnz .LBB113_100
; %bb.95:
	v_cmp_lt_i16_e32 vcc_lo, 27, v6
	s_cbranch_vccz .LBB113_97
; %bb.96:
	v_cvt_u32_f64_e32 v2, v[0:1]
	s_mov_b32 s2, 0
	global_store_b32 v[4:5], v2, off
.LBB113_97:
	s_and_not1_b32 vcc_lo, exec_lo, s2
	s_cbranch_vccnz .LBB113_99
; %bb.98:
	v_cvt_u32_f64_e32 v2, v[0:1]
	global_store_b16 v[4:5], v2, off
.LBB113_99:
	s_mov_b32 s2, 0
.LBB113_100:
	s_delay_alu instid0(SALU_CYCLE_1)
	s_and_not1_b32 vcc_lo, exec_lo, s2
	s_cbranch_vccnz .LBB113_108
; %bb.101:
	v_cvt_f32_f64_e32 v2, v[0:1]
	v_mov_b32_e32 v7, 0x80
	s_mov_b32 s2, exec_lo
	s_delay_alu instid0(VALU_DEP_2) | instskip(NEXT) | instid1(VALU_DEP_1)
	v_and_b32_e32 v3, 0x7fffffff, v2
	v_cmpx_gt_u32_e32 0x43800000, v3
	s_cbranch_execz .LBB113_107
; %bb.102:
	v_cmp_lt_u32_e32 vcc_lo, 0x3bffffff, v3
	s_mov_b32 s3, 0
                                        ; implicit-def: $vgpr3
	s_and_saveexec_b32 s34, vcc_lo
	s_delay_alu instid0(SALU_CYCLE_1)
	s_xor_b32 s34, exec_lo, s34
	s_cbranch_execz .LBB113_341
; %bb.103:
	v_bfe_u32 v3, v2, 20, 1
	s_mov_b32 s3, exec_lo
	s_delay_alu instid0(VALU_DEP_1) | instskip(NEXT) | instid1(VALU_DEP_1)
	v_add3_u32 v3, v2, v3, 0x487ffff
	v_lshrrev_b32_e32 v3, 20, v3
	s_or_saveexec_b32 s34, s34
                                        ; implicit-def: $sgpr35
	s_delay_alu instid0(SALU_CYCLE_1)
	s_xor_b32 exec_lo, exec_lo, s34
	s_cbranch_execnz .LBB113_342
.LBB113_104:
	s_or_b32 exec_lo, exec_lo, s34
	v_mov_b32_e32 v7, s35
	s_and_saveexec_b32 s34, s3
.LBB113_105:
	v_lshrrev_b32_e32 v2, 24, v2
	s_delay_alu instid0(VALU_DEP_1)
	v_and_or_b32 v7, 0x80, v2, v3
.LBB113_106:
	s_or_b32 exec_lo, exec_lo, s34
.LBB113_107:
	s_delay_alu instid0(SALU_CYCLE_1)
	s_or_b32 exec_lo, exec_lo, s2
	global_store_b8 v[4:5], v7, off
.LBB113_108:
	s_mov_b32 s2, -1
.LBB113_109:
	s_mov_b32 s3, 0
.LBB113_110:
	s_delay_alu instid0(SALU_CYCLE_1)
	s_and_b32 vcc_lo, exec_lo, s3
	s_cbranch_vccz .LBB113_151
; %bb.111:
	v_cmp_lt_i16_e32 vcc_lo, 22, v6
	s_mov_b32 s3, -1
	s_cbranch_vccz .LBB113_143
; %bb.112:
	v_cmp_gt_i16_e32 vcc_lo, 24, v6
	s_mov_b32 s2, -1
	s_cbranch_vccnz .LBB113_132
; %bb.113:
	v_cmp_lt_i16_e32 vcc_lo, 24, v6
	s_cbranch_vccz .LBB113_121
; %bb.114:
	v_cvt_f32_f64_e32 v2, v[0:1]
	v_mov_b32_e32 v7, 0x80
	s_mov_b32 s2, exec_lo
	s_delay_alu instid0(VALU_DEP_2) | instskip(NEXT) | instid1(VALU_DEP_1)
	v_and_b32_e32 v3, 0x7fffffff, v2
	v_cmpx_gt_u32_e32 0x47800000, v3
	s_cbranch_execz .LBB113_120
; %bb.115:
	v_cmp_lt_u32_e32 vcc_lo, 0x37ffffff, v3
	s_mov_b32 s3, 0
                                        ; implicit-def: $vgpr3
	s_and_saveexec_b32 s34, vcc_lo
	s_delay_alu instid0(SALU_CYCLE_1)
	s_xor_b32 s34, exec_lo, s34
	s_cbranch_execz .LBB113_345
; %bb.116:
	v_bfe_u32 v3, v2, 21, 1
	s_mov_b32 s3, exec_lo
	s_delay_alu instid0(VALU_DEP_1) | instskip(NEXT) | instid1(VALU_DEP_1)
	v_add3_u32 v3, v2, v3, 0x88fffff
	v_lshrrev_b32_e32 v3, 21, v3
	s_or_saveexec_b32 s34, s34
                                        ; implicit-def: $sgpr35
	s_delay_alu instid0(SALU_CYCLE_1)
	s_xor_b32 exec_lo, exec_lo, s34
	s_cbranch_execnz .LBB113_346
.LBB113_117:
	s_or_b32 exec_lo, exec_lo, s34
	v_mov_b32_e32 v7, s35
	s_and_saveexec_b32 s34, s3
.LBB113_118:
	v_lshrrev_b32_e32 v2, 24, v2
	s_delay_alu instid0(VALU_DEP_1)
	v_and_or_b32 v7, 0x80, v2, v3
.LBB113_119:
	s_or_b32 exec_lo, exec_lo, s34
.LBB113_120:
	s_delay_alu instid0(SALU_CYCLE_1)
	s_or_b32 exec_lo, exec_lo, s2
	s_mov_b32 s2, 0
	global_store_b8 v[4:5], v7, off
.LBB113_121:
	s_and_b32 vcc_lo, exec_lo, s2
	s_cbranch_vccz .LBB113_131
; %bb.122:
	v_cvt_f32_f64_e32 v2, v[0:1]
	s_mov_b32 s2, exec_lo
                                        ; implicit-def: $vgpr3
	s_delay_alu instid0(VALU_DEP_1) | instskip(NEXT) | instid1(VALU_DEP_1)
	v_and_b32_e32 v7, 0x7fffffff, v2
	v_cmpx_gt_u32_e32 0x43f00000, v7
	s_xor_b32 s2, exec_lo, s2
	s_cbranch_execz .LBB113_128
; %bb.123:
	s_mov_b32 s3, exec_lo
                                        ; implicit-def: $vgpr3
	v_cmpx_lt_u32_e32 0x3c7fffff, v7
	s_xor_b32 s3, exec_lo, s3
; %bb.124:
	v_bfe_u32 v3, v2, 20, 1
	s_delay_alu instid0(VALU_DEP_1) | instskip(NEXT) | instid1(VALU_DEP_1)
	v_add3_u32 v3, v2, v3, 0x407ffff
	v_and_b32_e32 v7, 0xff00000, v3
	v_lshrrev_b32_e32 v3, 20, v3
	s_delay_alu instid0(VALU_DEP_2) | instskip(NEXT) | instid1(VALU_DEP_2)
	v_cmp_ne_u32_e32 vcc_lo, 0x7f00000, v7
	v_cndmask_b32_e32 v3, 0x7e, v3, vcc_lo
; %bb.125:
	s_and_not1_saveexec_b32 s3, s3
; %bb.126:
	v_add_f32_e64 v3, 0x46800000, |v2|
; %bb.127:
	s_or_b32 exec_lo, exec_lo, s3
                                        ; implicit-def: $vgpr7
.LBB113_128:
	s_and_not1_saveexec_b32 s2, s2
; %bb.129:
	v_mov_b32_e32 v3, 0x7f
	v_cmp_lt_u32_e32 vcc_lo, 0x7f800000, v7
	s_delay_alu instid0(VALU_DEP_2)
	v_cndmask_b32_e32 v3, 0x7e, v3, vcc_lo
; %bb.130:
	s_or_b32 exec_lo, exec_lo, s2
	v_lshrrev_b32_e32 v2, 24, v2
	s_delay_alu instid0(VALU_DEP_1)
	v_and_or_b32 v2, 0x80, v2, v3
	global_store_b8 v[4:5], v2, off
.LBB113_131:
	s_mov_b32 s2, 0
.LBB113_132:
	s_delay_alu instid0(SALU_CYCLE_1)
	s_and_not1_b32 vcc_lo, exec_lo, s2
	s_cbranch_vccnz .LBB113_142
; %bb.133:
	v_cvt_f32_f64_e32 v2, v[0:1]
	s_mov_b32 s2, exec_lo
                                        ; implicit-def: $vgpr3
	s_delay_alu instid0(VALU_DEP_1) | instskip(NEXT) | instid1(VALU_DEP_1)
	v_and_b32_e32 v7, 0x7fffffff, v2
	v_cmpx_gt_u32_e32 0x47800000, v7
	s_xor_b32 s2, exec_lo, s2
	s_cbranch_execz .LBB113_139
; %bb.134:
	s_mov_b32 s3, exec_lo
                                        ; implicit-def: $vgpr3
	v_cmpx_lt_u32_e32 0x387fffff, v7
	s_xor_b32 s3, exec_lo, s3
; %bb.135:
	v_bfe_u32 v3, v2, 21, 1
	s_delay_alu instid0(VALU_DEP_1) | instskip(NEXT) | instid1(VALU_DEP_1)
	v_add3_u32 v3, v2, v3, 0x80fffff
	v_lshrrev_b32_e32 v3, 21, v3
; %bb.136:
	s_and_not1_saveexec_b32 s3, s3
; %bb.137:
	v_add_f32_e64 v3, 0x43000000, |v2|
; %bb.138:
	s_or_b32 exec_lo, exec_lo, s3
                                        ; implicit-def: $vgpr7
.LBB113_139:
	s_and_not1_saveexec_b32 s2, s2
; %bb.140:
	v_mov_b32_e32 v3, 0x7f
	v_cmp_lt_u32_e32 vcc_lo, 0x7f800000, v7
	s_delay_alu instid0(VALU_DEP_2)
	v_cndmask_b32_e32 v3, 0x7c, v3, vcc_lo
; %bb.141:
	s_or_b32 exec_lo, exec_lo, s2
	v_lshrrev_b32_e32 v2, 24, v2
	s_delay_alu instid0(VALU_DEP_1)
	v_and_or_b32 v2, 0x80, v2, v3
	global_store_b8 v[4:5], v2, off
.LBB113_142:
	s_mov_b32 s3, 0
	s_mov_b32 s2, -1
.LBB113_143:
	s_and_not1_b32 vcc_lo, exec_lo, s3
	s_cbranch_vccnz .LBB113_151
; %bb.144:
	v_cmp_lt_i16_e32 vcc_lo, 14, v6
	s_mov_b32 s3, -1
	s_cbranch_vccz .LBB113_148
; %bb.145:
	v_cmp_eq_u16_e32 vcc_lo, 15, v6
	s_mov_b32 s23, -1
	s_cbranch_vccz .LBB113_147
; %bb.146:
	v_cvt_f32_f64_e32 v2, v[0:1]
	s_mov_b32 s2, -1
	s_mov_b32 s23, 0
	s_delay_alu instid0(VALU_DEP_1) | instskip(SKIP_1) | instid1(VALU_DEP_2)
	v_bfe_u32 v3, v2, 16, 1
	v_cmp_o_f32_e32 vcc_lo, v2, v2
	v_add3_u32 v3, v2, v3, 0x7fff
	s_delay_alu instid0(VALU_DEP_1) | instskip(NEXT) | instid1(VALU_DEP_1)
	v_lshrrev_b32_e32 v3, 16, v3
	v_cndmask_b32_e32 v2, 0x7fc0, v3, vcc_lo
	global_store_b16 v[4:5], v2, off
.LBB113_147:
	s_mov_b32 s3, 0
.LBB113_148:
	s_delay_alu instid0(SALU_CYCLE_1)
	s_and_b32 vcc_lo, exec_lo, s3
	s_cbranch_vccz .LBB113_151
; %bb.149:
	v_cmp_eq_u16_e32 vcc_lo, 11, v6
	s_mov_b32 s23, -1
	s_cbranch_vccz .LBB113_151
; %bb.150:
	v_cmp_neq_f64_e32 vcc_lo, 0, v[0:1]
	s_mov_b32 s2, -1
	s_mov_b32 s23, 0
	v_cndmask_b32_e64 v2, 0, 1, vcc_lo
	global_store_b8 v[4:5], v2, off
.LBB113_151:
.LBB113_152:
	s_and_not1_b32 vcc_lo, exec_lo, s2
	s_cbranch_vccnz .LBB113_263
.LBB113_153:
	v_add_nc_u32_e32 v10, 0x80, v10
	s_mov_b32 s2, -1
	s_branch .LBB113_264
.LBB113_154:
	s_mov_b32 s22, -1
                                        ; implicit-def: $vgpr3_vgpr4
.LBB113_155:
	s_mov_b32 s3, 0
.LBB113_156:
	s_delay_alu instid0(SALU_CYCLE_1)
	s_and_b32 vcc_lo, exec_lo, s3
	s_cbranch_vccz .LBB113_160
; %bb.157:
	v_cmp_eq_u16_e32 vcc_lo, 29, v9
	s_cbranch_vccz .LBB113_159
; %bb.158:
	global_load_b64 v[3:4], v[1:2], off
	s_mov_b32 s2, -1
	s_mov_b32 s22, 0
	s_mov_b32 s3, 0
	s_waitcnt vmcnt(0)
	v_cvt_f64_u32_e32 v[4:5], v4
	v_cvt_f64_u32_e32 v[6:7], v3
	s_delay_alu instid0(VALU_DEP_2) | instskip(NEXT) | instid1(VALU_DEP_1)
	v_ldexp_f64 v[4:5], v[4:5], 32
	v_add_f64 v[3:4], v[4:5], v[6:7]
	s_branch .LBB113_161
.LBB113_159:
	s_mov_b32 s22, -1
                                        ; implicit-def: $vgpr3_vgpr4
.LBB113_160:
	s_mov_b32 s3, 0
.LBB113_161:
	s_delay_alu instid0(SALU_CYCLE_1)
	s_and_b32 vcc_lo, exec_lo, s3
	s_cbranch_vccz .LBB113_181
; %bb.162:
	v_cmp_gt_i16_e32 vcc_lo, 27, v9
	s_cbranch_vccnz .LBB113_165
; %bb.163:
	v_cmp_lt_i16_e32 vcc_lo, 27, v9
	s_cbranch_vccz .LBB113_166
; %bb.164:
	global_load_b32 v3, v[1:2], off
	s_mov_b32 s2, 0
	s_waitcnt vmcnt(0)
	v_cvt_f64_u32_e32 v[3:4], v3
	s_branch .LBB113_167
.LBB113_165:
	s_mov_b32 s2, -1
                                        ; implicit-def: $vgpr3_vgpr4
	s_branch .LBB113_170
.LBB113_166:
	s_mov_b32 s2, -1
                                        ; implicit-def: $vgpr3_vgpr4
.LBB113_167:
	s_delay_alu instid0(SALU_CYCLE_1)
	s_and_not1_b32 vcc_lo, exec_lo, s2
	s_cbranch_vccnz .LBB113_169
; %bb.168:
	global_load_u16 v3, v[1:2], off
	s_waitcnt vmcnt(0)
	v_cvt_f64_u32_e32 v[3:4], v3
.LBB113_169:
	s_mov_b32 s2, 0
.LBB113_170:
	s_delay_alu instid0(SALU_CYCLE_1)
	s_and_not1_b32 vcc_lo, exec_lo, s2
	s_cbranch_vccnz .LBB113_180
; %bb.171:
	global_load_u8 v5, v[1:2], off
	s_mov_b32 s23, 0
	s_mov_b32 s34, exec_lo
                                        ; implicit-def: $sgpr2_sgpr3
	s_waitcnt vmcnt(0)
	v_cmpx_lt_i16_e32 0x7f, v5
	s_xor_b32 s34, exec_lo, s34
	s_cbranch_execz .LBB113_175
; %bb.172:
	s_mov_b32 s35, -1
	s_mov_b32 s23, exec_lo
                                        ; implicit-def: $sgpr2_sgpr3
	v_cmpx_eq_u16_e32 0x80, v5
; %bb.173:
	s_mov_b32 s3, 0x7ff80000
	s_brev_b32 s2, 4
	s_xor_b32 s35, exec_lo, -1
; %bb.174:
	s_or_b32 exec_lo, exec_lo, s23
	s_delay_alu instid0(SALU_CYCLE_1)
	s_and_b32 s23, s35, exec_lo
.LBB113_175:
	s_or_saveexec_b32 s34, s34
	v_dual_mov_b32 v4, s3 :: v_dual_mov_b32 v3, s2
	s_xor_b32 exec_lo, exec_lo, s34
; %bb.176:
	v_cmp_ne_u16_e32 vcc_lo, 0, v5
	v_mov_b32_e32 v3, 0
	v_mov_b32_e32 v4, 0
	s_and_not1_b32 s2, s23, exec_lo
	s_and_b32 s3, vcc_lo, exec_lo
	s_delay_alu instid0(SALU_CYCLE_1)
	s_or_b32 s23, s2, s3
; %bb.177:
	s_or_b32 exec_lo, exec_lo, s34
	s_and_saveexec_b32 s2, s23
	s_cbranch_execz .LBB113_179
; %bb.178:
	v_and_b32_e32 v3, 0xffff, v5
	v_lshlrev_b32_e32 v5, 24, v5
	s_delay_alu instid0(VALU_DEP_2) | instskip(NEXT) | instid1(VALU_DEP_2)
	v_and_b32_e32 v4, 7, v3
	v_and_b32_e32 v5, 0x80000000, v5
	s_delay_alu instid0(VALU_DEP_2) | instskip(NEXT) | instid1(VALU_DEP_1)
	v_clz_i32_u32_e32 v6, v4
	v_min_u32_e32 v6, 32, v6
	s_delay_alu instid0(VALU_DEP_1) | instskip(SKIP_1) | instid1(VALU_DEP_2)
	v_subrev_nc_u32_e32 v7, 28, v6
	v_sub_nc_u32_e32 v6, 29, v6
	v_lshlrev_b32_e32 v7, v7, v3
	v_bfe_u32 v3, v3, 3, 4
	s_delay_alu instid0(VALU_DEP_2) | instskip(NEXT) | instid1(VALU_DEP_2)
	v_and_b32_e32 v7, 7, v7
	v_cmp_eq_u32_e32 vcc_lo, 0, v3
	s_delay_alu instid0(VALU_DEP_2) | instskip(NEXT) | instid1(VALU_DEP_1)
	v_dual_cndmask_b32 v3, v3, v6 :: v_dual_cndmask_b32 v4, v4, v7
	v_lshl_add_u32 v3, v3, 23, 0x3b800000
	s_delay_alu instid0(VALU_DEP_2) | instskip(NEXT) | instid1(VALU_DEP_1)
	v_lshlrev_b32_e32 v4, 20, v4
	v_or3_b32 v3, v5, v3, v4
	s_delay_alu instid0(VALU_DEP_1)
	v_cvt_f64_f32_e32 v[3:4], v3
.LBB113_179:
	s_or_b32 exec_lo, exec_lo, s2
.LBB113_180:
	s_mov_b32 s2, -1
.LBB113_181:
	s_branch .LBB113_214
.LBB113_182:
	v_cmp_lt_i16_e32 vcc_lo, 22, v9
	s_cbranch_vccz .LBB113_194
; %bb.183:
	v_cmp_gt_i16_e32 vcc_lo, 24, v9
	s_cbranch_vccnz .LBB113_195
; %bb.184:
	v_cmp_lt_i16_e32 vcc_lo, 24, v9
	s_cbranch_vccz .LBB113_196
; %bb.185:
	global_load_u8 v5, v[1:2], off
	s_mov_b32 s23, 0
	s_mov_b32 s34, exec_lo
                                        ; implicit-def: $sgpr2_sgpr3
	s_waitcnt vmcnt(0)
	v_cmpx_lt_i16_e32 0x7f, v5
	s_xor_b32 s34, exec_lo, s34
	s_cbranch_execz .LBB113_189
; %bb.186:
	s_mov_b32 s35, -1
	s_mov_b32 s23, exec_lo
                                        ; implicit-def: $sgpr2_sgpr3
	v_cmpx_eq_u16_e32 0x80, v5
; %bb.187:
	s_mov_b32 s3, 0x7ff80000
	s_brev_b32 s2, 4
	s_xor_b32 s35, exec_lo, -1
; %bb.188:
	s_or_b32 exec_lo, exec_lo, s23
	s_delay_alu instid0(SALU_CYCLE_1)
	s_and_b32 s23, s35, exec_lo
.LBB113_189:
	s_or_saveexec_b32 s34, s34
	v_dual_mov_b32 v4, s3 :: v_dual_mov_b32 v3, s2
	s_xor_b32 exec_lo, exec_lo, s34
; %bb.190:
	v_cmp_ne_u16_e32 vcc_lo, 0, v5
	v_mov_b32_e32 v3, 0
	v_mov_b32_e32 v4, 0
	s_and_not1_b32 s2, s23, exec_lo
	s_and_b32 s3, vcc_lo, exec_lo
	s_delay_alu instid0(SALU_CYCLE_1)
	s_or_b32 s23, s2, s3
; %bb.191:
	s_or_b32 exec_lo, exec_lo, s34
	s_and_saveexec_b32 s2, s23
	s_cbranch_execz .LBB113_193
; %bb.192:
	v_and_b32_e32 v3, 0xffff, v5
	v_lshlrev_b32_e32 v5, 24, v5
	s_delay_alu instid0(VALU_DEP_2) | instskip(NEXT) | instid1(VALU_DEP_2)
	v_and_b32_e32 v4, 3, v3
	v_and_b32_e32 v5, 0x80000000, v5
	s_delay_alu instid0(VALU_DEP_2) | instskip(NEXT) | instid1(VALU_DEP_1)
	v_clz_i32_u32_e32 v6, v4
	v_min_u32_e32 v6, 32, v6
	s_delay_alu instid0(VALU_DEP_1) | instskip(SKIP_1) | instid1(VALU_DEP_2)
	v_subrev_nc_u32_e32 v7, 29, v6
	v_sub_nc_u32_e32 v6, 30, v6
	v_lshlrev_b32_e32 v7, v7, v3
	v_bfe_u32 v3, v3, 2, 5
	s_delay_alu instid0(VALU_DEP_2) | instskip(NEXT) | instid1(VALU_DEP_2)
	v_and_b32_e32 v7, 3, v7
	v_cmp_eq_u32_e32 vcc_lo, 0, v3
	s_delay_alu instid0(VALU_DEP_2) | instskip(NEXT) | instid1(VALU_DEP_1)
	v_dual_cndmask_b32 v3, v3, v6 :: v_dual_cndmask_b32 v4, v4, v7
	v_lshl_add_u32 v3, v3, 23, 0x37800000
	s_delay_alu instid0(VALU_DEP_2) | instskip(NEXT) | instid1(VALU_DEP_1)
	v_lshlrev_b32_e32 v4, 21, v4
	v_or3_b32 v3, v5, v3, v4
	s_delay_alu instid0(VALU_DEP_1)
	v_cvt_f64_f32_e32 v[3:4], v3
.LBB113_193:
	s_or_b32 exec_lo, exec_lo, s2
	s_mov_b32 s2, 0
	s_branch .LBB113_197
.LBB113_194:
	s_mov_b32 s3, -1
                                        ; implicit-def: $vgpr3_vgpr4
	s_branch .LBB113_203
.LBB113_195:
	s_mov_b32 s2, -1
                                        ; implicit-def: $vgpr3_vgpr4
	s_branch .LBB113_200
.LBB113_196:
	s_mov_b32 s2, -1
                                        ; implicit-def: $vgpr3_vgpr4
.LBB113_197:
	s_delay_alu instid0(SALU_CYCLE_1)
	s_and_b32 vcc_lo, exec_lo, s2
	s_cbranch_vccz .LBB113_199
; %bb.198:
	global_load_u8 v3, v[1:2], off
	s_waitcnt vmcnt(0)
	v_lshlrev_b32_e32 v3, 24, v3
	s_delay_alu instid0(VALU_DEP_1) | instskip(NEXT) | instid1(VALU_DEP_1)
	v_and_b32_e32 v4, 0x7f000000, v3
	v_clz_i32_u32_e32 v5, v4
	v_add_nc_u32_e32 v7, 0x1000000, v4
	v_cmp_ne_u32_e32 vcc_lo, 0, v4
	s_delay_alu instid0(VALU_DEP_3) | instskip(NEXT) | instid1(VALU_DEP_1)
	v_min_u32_e32 v5, 32, v5
	v_sub_nc_u32_e64 v5, v5, 4 clamp
	s_delay_alu instid0(VALU_DEP_1) | instskip(SKIP_1) | instid1(VALU_DEP_2)
	v_lshlrev_b32_e32 v6, v5, v4
	v_lshlrev_b32_e32 v5, 23, v5
	v_lshrrev_b32_e32 v6, 4, v6
	s_delay_alu instid0(VALU_DEP_1) | instskip(SKIP_1) | instid1(VALU_DEP_2)
	v_sub_nc_u32_e32 v5, v6, v5
	v_ashrrev_i32_e32 v6, 8, v7
	v_add_nc_u32_e32 v5, 0x3c000000, v5
	s_delay_alu instid0(VALU_DEP_1) | instskip(NEXT) | instid1(VALU_DEP_1)
	v_and_or_b32 v5, 0x7f800000, v6, v5
	v_cndmask_b32_e32 v4, 0, v5, vcc_lo
	s_delay_alu instid0(VALU_DEP_1) | instskip(NEXT) | instid1(VALU_DEP_1)
	v_and_or_b32 v3, 0x80000000, v3, v4
	v_cvt_f64_f32_e32 v[3:4], v3
.LBB113_199:
	s_mov_b32 s2, 0
.LBB113_200:
	s_delay_alu instid0(SALU_CYCLE_1)
	s_and_not1_b32 vcc_lo, exec_lo, s2
	s_cbranch_vccnz .LBB113_202
; %bb.201:
	global_load_u8 v3, v[1:2], off
	s_waitcnt vmcnt(0)
	v_lshlrev_b32_e32 v4, 25, v3
	v_lshlrev_b16 v3, 8, v3
	s_delay_alu instid0(VALU_DEP_2) | instskip(NEXT) | instid1(VALU_DEP_2)
	v_lshrrev_b32_e32 v5, 4, v4
	v_and_or_b32 v6, 0x7f00, v3, 0.5
	v_bfe_i32 v3, v3, 0, 16
	s_delay_alu instid0(VALU_DEP_3) | instskip(NEXT) | instid1(VALU_DEP_1)
	v_or_b32_e32 v5, 0x70000000, v5
	v_dual_add_f32 v6, -0.5, v6 :: v_dual_mul_f32 v5, 0x7800000, v5
	v_cmp_gt_u32_e32 vcc_lo, 0x8000000, v4
	s_delay_alu instid0(VALU_DEP_2) | instskip(NEXT) | instid1(VALU_DEP_1)
	v_cndmask_b32_e32 v4, v5, v6, vcc_lo
	v_and_or_b32 v3, 0x80000000, v3, v4
	s_delay_alu instid0(VALU_DEP_1)
	v_cvt_f64_f32_e32 v[3:4], v3
.LBB113_202:
	s_mov_b32 s3, 0
	s_mov_b32 s2, -1
.LBB113_203:
	s_and_not1_b32 vcc_lo, exec_lo, s3
	s_cbranch_vccnz .LBB113_214
; %bb.204:
	v_cmp_lt_i16_e32 vcc_lo, 14, v9
	s_cbranch_vccz .LBB113_207
; %bb.205:
	v_cmp_eq_u16_e32 vcc_lo, 15, v9
	s_cbranch_vccz .LBB113_208
; %bb.206:
	global_load_u16 v3, v[1:2], off
	s_mov_b32 s2, -1
	s_mov_b32 s22, 0
	s_waitcnt vmcnt(0)
	v_lshlrev_b32_e32 v3, 16, v3
	s_delay_alu instid0(VALU_DEP_1)
	v_cvt_f64_f32_e32 v[3:4], v3
	s_branch .LBB113_209
.LBB113_207:
	s_mov_b32 s3, -1
                                        ; implicit-def: $vgpr3_vgpr4
	s_branch .LBB113_210
.LBB113_208:
	s_mov_b32 s22, -1
                                        ; implicit-def: $vgpr3_vgpr4
.LBB113_209:
	s_mov_b32 s3, 0
.LBB113_210:
	s_delay_alu instid0(SALU_CYCLE_1)
	s_and_b32 vcc_lo, exec_lo, s3
	s_cbranch_vccz .LBB113_214
; %bb.211:
	v_cmp_eq_u16_e32 vcc_lo, 11, v9
	s_cbranch_vccz .LBB113_213
; %bb.212:
	global_load_u8 v3, v[1:2], off
	s_mov_b32 s22, 0
	s_mov_b32 s2, -1
	s_waitcnt vmcnt(0)
	v_cmp_ne_u16_e32 vcc_lo, 0, v3
	v_mov_b32_e32 v3, 0
	v_cndmask_b32_e64 v4, 0, 0x3ff00000, vcc_lo
	s_branch .LBB113_214
.LBB113_213:
	s_mov_b32 s22, -1
                                        ; implicit-def: $vgpr3_vgpr4
.LBB113_214:
	s_branch .LBB113_23
.LBB113_215:
	v_cmp_gt_i16_e32 vcc_lo, 5, v9
	s_cbranch_vccnz .LBB113_220
; %bb.216:
	v_cmp_gt_i16_e32 vcc_lo, 8, v9
	s_cbranch_vccnz .LBB113_221
; %bb.217:
	;; [unrolled: 3-line block ×3, first 2 shown]
	v_cmp_lt_i16_e32 vcc_lo, 9, v9
	s_cbranch_vccz .LBB113_223
; %bb.219:
	global_load_b64 v[3:4], v[1:2], off
	s_mov_b32 s2, 0
	s_branch .LBB113_224
.LBB113_220:
                                        ; implicit-def: $vgpr3_vgpr4
	s_branch .LBB113_242
.LBB113_221:
	s_mov_b32 s2, -1
                                        ; implicit-def: $vgpr3_vgpr4
	s_branch .LBB113_230
.LBB113_222:
	s_mov_b32 s2, -1
                                        ; implicit-def: $vgpr3_vgpr4
	s_branch .LBB113_227
.LBB113_223:
	s_mov_b32 s2, -1
                                        ; implicit-def: $vgpr3_vgpr4
.LBB113_224:
	s_delay_alu instid0(SALU_CYCLE_1)
	s_and_not1_b32 vcc_lo, exec_lo, s2
	s_cbranch_vccnz .LBB113_226
; %bb.225:
	global_load_b32 v3, v[1:2], off
	s_waitcnt vmcnt(0)
	v_cvt_f64_f32_e32 v[3:4], v3
.LBB113_226:
	s_mov_b32 s2, 0
.LBB113_227:
	s_delay_alu instid0(SALU_CYCLE_1)
	s_and_not1_b32 vcc_lo, exec_lo, s2
	s_cbranch_vccnz .LBB113_229
; %bb.228:
	global_load_b32 v3, v[1:2], off
	s_waitcnt vmcnt(0)
	v_cvt_f32_f16_e32 v3, v3
	s_delay_alu instid0(VALU_DEP_1)
	v_cvt_f64_f32_e32 v[3:4], v3
.LBB113_229:
	s_mov_b32 s2, 0
.LBB113_230:
	s_delay_alu instid0(SALU_CYCLE_1)
	s_and_not1_b32 vcc_lo, exec_lo, s2
	s_cbranch_vccnz .LBB113_241
; %bb.231:
	v_cmp_gt_i16_e32 vcc_lo, 6, v9
	s_cbranch_vccnz .LBB113_234
; %bb.232:
	v_cmp_lt_i16_e32 vcc_lo, 6, v9
	s_cbranch_vccz .LBB113_235
; %bb.233:
	global_load_b64 v[3:4], v[1:2], off
	s_mov_b32 s2, 0
	s_branch .LBB113_236
.LBB113_234:
	s_mov_b32 s2, -1
                                        ; implicit-def: $vgpr3_vgpr4
	s_branch .LBB113_239
.LBB113_235:
	s_mov_b32 s2, -1
                                        ; implicit-def: $vgpr3_vgpr4
.LBB113_236:
	s_delay_alu instid0(SALU_CYCLE_1)
	s_and_not1_b32 vcc_lo, exec_lo, s2
	s_cbranch_vccnz .LBB113_238
; %bb.237:
	global_load_b32 v3, v[1:2], off
	s_waitcnt vmcnt(0)
	v_cvt_f64_f32_e32 v[3:4], v3
.LBB113_238:
	s_mov_b32 s2, 0
.LBB113_239:
	s_delay_alu instid0(SALU_CYCLE_1)
	s_and_not1_b32 vcc_lo, exec_lo, s2
	s_cbranch_vccnz .LBB113_241
; %bb.240:
	global_load_u16 v3, v[1:2], off
	s_waitcnt vmcnt(0)
	v_cvt_f32_f16_e32 v3, v3
	s_delay_alu instid0(VALU_DEP_1)
	v_cvt_f64_f32_e32 v[3:4], v3
.LBB113_241:
	s_cbranch_execnz .LBB113_261
.LBB113_242:
	v_cmp_gt_i16_e32 vcc_lo, 2, v9
	s_cbranch_vccnz .LBB113_246
; %bb.243:
	v_cmp_gt_i16_e32 vcc_lo, 3, v9
	s_cbranch_vccnz .LBB113_247
; %bb.244:
	v_cmp_lt_i16_e32 vcc_lo, 3, v9
	s_cbranch_vccz .LBB113_248
; %bb.245:
	global_load_b64 v[3:4], v[1:2], off
	s_mov_b32 s2, 0
	s_waitcnt vmcnt(0)
	v_cvt_f64_i32_e32 v[4:5], v4
	v_cvt_f64_u32_e32 v[6:7], v3
	s_delay_alu instid0(VALU_DEP_2) | instskip(NEXT) | instid1(VALU_DEP_1)
	v_ldexp_f64 v[4:5], v[4:5], 32
	v_add_f64 v[3:4], v[4:5], v[6:7]
	s_branch .LBB113_249
.LBB113_246:
	s_mov_b32 s2, -1
                                        ; implicit-def: $vgpr3_vgpr4
	s_branch .LBB113_255
.LBB113_247:
	s_mov_b32 s2, -1
                                        ; implicit-def: $vgpr3_vgpr4
	s_branch .LBB113_252
.LBB113_248:
	s_mov_b32 s2, -1
                                        ; implicit-def: $vgpr3_vgpr4
.LBB113_249:
	s_delay_alu instid0(SALU_CYCLE_1)
	s_and_not1_b32 vcc_lo, exec_lo, s2
	s_cbranch_vccnz .LBB113_251
; %bb.250:
	global_load_b32 v3, v[1:2], off
	s_waitcnt vmcnt(0)
	v_cvt_f64_i32_e32 v[3:4], v3
.LBB113_251:
	s_mov_b32 s2, 0
.LBB113_252:
	s_delay_alu instid0(SALU_CYCLE_1)
	s_and_not1_b32 vcc_lo, exec_lo, s2
	s_cbranch_vccnz .LBB113_254
; %bb.253:
	global_load_i16 v3, v[1:2], off
	s_waitcnt vmcnt(0)
	v_cvt_f64_i32_e32 v[3:4], v3
.LBB113_254:
	s_mov_b32 s2, 0
.LBB113_255:
	s_delay_alu instid0(SALU_CYCLE_1)
	s_and_not1_b32 vcc_lo, exec_lo, s2
	s_cbranch_vccnz .LBB113_261
; %bb.256:
	v_cmp_lt_i16_e32 vcc_lo, 0, v9
	s_mov_b32 s2, 0
	s_cbranch_vccz .LBB113_258
; %bb.257:
	global_load_i8 v3, v[1:2], off
	s_waitcnt vmcnt(0)
	v_cvt_f64_i32_e32 v[3:4], v3
	s_branch .LBB113_259
.LBB113_258:
	s_mov_b32 s2, -1
                                        ; implicit-def: $vgpr3_vgpr4
.LBB113_259:
	s_delay_alu instid0(SALU_CYCLE_1)
	s_and_not1_b32 vcc_lo, exec_lo, s2
	s_cbranch_vccnz .LBB113_261
; %bb.260:
	global_load_u8 v1, v[1:2], off
	s_waitcnt vmcnt(0)
	v_cvt_f64_u32_e32 v[3:4], v1
.LBB113_261:
	s_branch .LBB113_24
.LBB113_262:
	s_mov_b32 s23, 0
.LBB113_263:
	s_mov_b32 s2, 0
                                        ; implicit-def: $vgpr10
.LBB113_264:
	s_and_b32 s34, s23, exec_lo
	s_and_b32 s35, s22, exec_lo
	s_or_not1_b32 s3, s2, exec_lo
.LBB113_265:
	s_or_b32 exec_lo, exec_lo, s36
	s_mov_b32 s22, 0
	s_mov_b32 s2, 0
                                        ; implicit-def: $vgpr0_vgpr1
                                        ; implicit-def: $vgpr2
                                        ; implicit-def: $vgpr6_vgpr7
	s_and_saveexec_b32 s36, s3
	s_cbranch_execz .LBB113_910
; %bb.266:
	s_mov_b32 s2, -1
	s_mov_b32 s37, s35
	s_mov_b32 s38, s34
	s_mov_b32 s39, exec_lo
	v_cmpx_gt_i32_e64 s30, v10
	s_cbranch_execz .LBB113_537
; %bb.267:
	s_and_not1_b32 vcc_lo, exec_lo, s27
	s_cbranch_vccnz .LBB113_272
; %bb.268:
	v_dual_mov_b32 v0, 0 :: v_dual_mov_b32 v1, 0
	s_and_not1_b32 vcc_lo, exec_lo, s33
	s_mov_b32 s37, 0
	s_cbranch_vccnz .LBB113_277
; %bb.269:
	v_mov_b32_e32 v0, 0
	s_add_i32 s40, s31, 1
	s_cmp_eq_u32 s25, 2
	s_mov_b32 s38, 0
	s_cbranch_scc1 .LBB113_273
; %bb.270:
	v_dual_mov_b32 v1, 0 :: v_dual_mov_b32 v0, 0
	v_mov_b32_e32 v2, v10
	s_and_b32 s38, s40, 28
	s_mov_b32 s41, 0
	s_mov_b64 s[2:3], s[20:21]
	s_mov_b64 s[22:23], s[16:17]
.LBB113_271:                            ; =>This Inner Loop Header: Depth=1
	s_clause 0x1
	s_load_b256 s[44:51], s[22:23], 0x4
	s_load_b128 s[60:63], s[22:23], 0x24
	s_load_b256 s[52:59], s[2:3], 0x0
	s_add_u32 s22, s22, 48
	s_addc_u32 s23, s23, 0
	s_add_i32 s41, s41, 4
	s_add_u32 s2, s2, 32
	s_addc_u32 s3, s3, 0
	s_cmp_eq_u32 s38, s41
	s_waitcnt vmcnt(0) lgkmcnt(0)
	v_mul_hi_u32 v3, s45, v2
	s_delay_alu instid0(VALU_DEP_1) | instskip(NEXT) | instid1(VALU_DEP_1)
	v_add_nc_u32_e32 v3, v2, v3
	v_lshrrev_b32_e32 v3, s46, v3
	s_delay_alu instid0(VALU_DEP_1) | instskip(SKIP_1) | instid1(VALU_DEP_2)
	v_mul_hi_u32 v4, s48, v3
	v_mul_lo_u32 v6, v3, s44
	v_add_nc_u32_e32 v4, v3, v4
	s_delay_alu instid0(VALU_DEP_2) | instskip(NEXT) | instid1(VALU_DEP_2)
	v_sub_nc_u32_e32 v2, v2, v6
	v_lshrrev_b32_e32 v4, s49, v4
	s_delay_alu instid0(VALU_DEP_2) | instskip(SKIP_1) | instid1(VALU_DEP_3)
	v_mul_lo_u32 v6, v2, s52
	v_mul_lo_u32 v11, v2, s53
	v_mul_hi_u32 v5, s51, v4
	s_delay_alu instid0(VALU_DEP_1) | instskip(NEXT) | instid1(VALU_DEP_1)
	v_add_nc_u32_e32 v5, v4, v5
	v_lshrrev_b32_e32 v5, s60, v5
	s_delay_alu instid0(VALU_DEP_1) | instskip(SKIP_1) | instid1(VALU_DEP_2)
	v_mul_hi_u32 v7, s62, v5
	v_mul_lo_u32 v12, v5, s50
	v_add_nc_u32_e32 v2, v5, v7
	v_mul_lo_u32 v7, v4, s47
	s_delay_alu instid0(VALU_DEP_3) | instskip(NEXT) | instid1(VALU_DEP_3)
	v_sub_nc_u32_e32 v4, v4, v12
	v_lshrrev_b32_e32 v2, s63, v2
	s_delay_alu instid0(VALU_DEP_2) | instskip(SKIP_2) | instid1(VALU_DEP_4)
	v_mul_lo_u32 v12, v4, s56
	v_mul_lo_u32 v4, v4, s57
	v_sub_nc_u32_e32 v3, v3, v7
	v_mul_lo_u32 v13, v2, s61
	s_delay_alu instid0(VALU_DEP_2) | instskip(SKIP_1) | instid1(VALU_DEP_3)
	v_mul_lo_u32 v7, v3, s54
	v_mul_lo_u32 v3, v3, s55
	v_sub_nc_u32_e32 v5, v5, v13
	s_delay_alu instid0(VALU_DEP_3) | instskip(NEXT) | instid1(VALU_DEP_2)
	v_add3_u32 v0, v6, v0, v7
	v_mul_lo_u32 v13, v5, s58
	v_mul_lo_u32 v5, v5, s59
	v_add3_u32 v1, v11, v1, v3
	s_delay_alu instid0(VALU_DEP_3) | instskip(NEXT) | instid1(VALU_DEP_2)
	v_add3_u32 v0, v12, v0, v13
	v_add3_u32 v1, v4, v1, v5
	s_cbranch_scc0 .LBB113_271
	s_branch .LBB113_274
.LBB113_272:
	s_mov_b32 s37, -1
                                        ; implicit-def: $vgpr0
                                        ; implicit-def: $vgpr1
	s_branch .LBB113_277
.LBB113_273:
	v_dual_mov_b32 v2, v10 :: v_dual_mov_b32 v1, 0
.LBB113_274:
	s_and_b32 s40, s40, 3
	s_delay_alu instid0(SALU_CYCLE_1)
	s_cmp_eq_u32 s40, 0
	s_cbranch_scc1 .LBB113_277
; %bb.275:
	s_lshl_b32 s2, s38, 3
	s_mul_i32 s22, s38, 12
	s_add_u32 s2, s2, s16
	s_addc_u32 s3, s17, 0
	s_add_u32 s2, s2, 0xc4
	s_addc_u32 s3, s3, 0
	;; [unrolled: 2-line block ×3, first 2 shown]
	.p2align	6
.LBB113_276:                            ; =>This Inner Loop Header: Depth=1
	s_clause 0x1
	s_load_b64 s[42:43], s[22:23], 0x4
	s_load_b32 s38, s[22:23], 0xc
	s_load_b64 s[44:45], s[2:3], 0x0
	s_add_u32 s22, s22, 12
	s_addc_u32 s23, s23, 0
	s_add_u32 s2, s2, 8
	s_addc_u32 s3, s3, 0
	s_add_i32 s40, s40, -1
	s_delay_alu instid0(SALU_CYCLE_1) | instskip(SKIP_2) | instid1(VALU_DEP_1)
	s_cmp_lg_u32 s40, 0
	s_waitcnt vmcnt(0) lgkmcnt(0)
	v_mul_hi_u32 v3, s43, v2
	v_add_nc_u32_e32 v3, v2, v3
	s_delay_alu instid0(VALU_DEP_1) | instskip(NEXT) | instid1(VALU_DEP_1)
	v_lshrrev_b32_e32 v6, s38, v3
	v_mul_lo_u32 v3, v6, s42
	s_delay_alu instid0(VALU_DEP_1) | instskip(NEXT) | instid1(VALU_DEP_1)
	v_sub_nc_u32_e32 v2, v2, v3
	v_mad_u64_u32 v[3:4], null, v2, s44, v[0:1]
	v_mad_u64_u32 v[4:5], null, v2, s45, v[1:2]
	v_mov_b32_e32 v2, v6
	s_delay_alu instid0(VALU_DEP_2)
	v_dual_mov_b32 v0, v3 :: v_dual_mov_b32 v1, v4
	s_cbranch_scc1 .LBB113_276
.LBB113_277:
	s_and_not1_b32 vcc_lo, exec_lo, s37
	s_cbranch_vccnz .LBB113_280
; %bb.278:
	s_waitcnt lgkmcnt(0)
	v_mul_hi_u32 v0, s13, v10
	s_and_not1_b32 vcc_lo, exec_lo, s29
	s_delay_alu instid0(VALU_DEP_1) | instskip(NEXT) | instid1(VALU_DEP_1)
	v_add_nc_u32_e32 v0, v10, v0
	v_lshrrev_b32_e32 v2, s14, v0
	s_delay_alu instid0(VALU_DEP_1) | instskip(NEXT) | instid1(VALU_DEP_1)
	v_mul_lo_u32 v0, v2, s12
	v_sub_nc_u32_e32 v1, v10, v0
	s_delay_alu instid0(VALU_DEP_1)
	v_mul_lo_u32 v0, v1, s8
	v_mul_lo_u32 v1, v1, s9
	s_cbranch_vccnz .LBB113_280
; %bb.279:
	s_waitcnt vmcnt(0)
	v_mul_hi_u32 v3, s18, v2
	s_delay_alu instid0(VALU_DEP_1) | instskip(NEXT) | instid1(VALU_DEP_1)
	v_add_nc_u32_e32 v3, v2, v3
	v_lshrrev_b32_e32 v3, s19, v3
	s_delay_alu instid0(VALU_DEP_1) | instskip(NEXT) | instid1(VALU_DEP_1)
	v_mul_lo_u32 v3, v3, s15
	v_sub_nc_u32_e32 v5, v2, v3
	s_delay_alu instid0(VALU_DEP_1) | instskip(NEXT) | instid1(VALU_DEP_1)
	v_mad_u64_u32 v[2:3], null, v5, s10, v[0:1]
	v_mad_u64_u32 v[3:4], null, v5, s11, v[1:2]
	s_delay_alu instid0(VALU_DEP_1)
	v_dual_mov_b32 v0, v2 :: v_dual_mov_b32 v1, v3
.LBB113_280:
	v_cmp_gt_i16_e32 vcc_lo, 11, v9
	s_waitcnt lgkmcnt(0)
	s_delay_alu instid0(VALU_DEP_2) | instskip(NEXT) | instid1(VALU_DEP_1)
	v_add_co_u32 v1, s2, s6, v1
	v_add_co_ci_u32_e64 v2, null, s7, 0, s2
	s_mov_b32 s2, 0
	s_cbranch_vccnz .LBB113_287
; %bb.281:
	v_cmp_lt_i16_e32 vcc_lo, 25, v9
	s_cbranch_vccz .LBB113_336
; %bb.282:
	v_cmp_lt_i16_e32 vcc_lo, 28, v9
	s_cbranch_vccz .LBB113_337
	;; [unrolled: 3-line block ×4, first 2 shown]
; %bb.285:
	v_cmp_eq_u16_e32 vcc_lo, 46, v9
	s_mov_b32 s3, 0
	s_cbranch_vccz .LBB113_347
; %bb.286:
	global_load_b32 v3, v[1:2], off
	s_mov_b32 s2, -1
	s_mov_b32 s22, 0
	s_waitcnt vmcnt(0)
	v_lshlrev_b32_e32 v3, 16, v3
	s_delay_alu instid0(VALU_DEP_1)
	v_cvt_f64_f32_e32 v[3:4], v3
	s_branch .LBB113_349
.LBB113_287:
	s_mov_b32 s22, s35
                                        ; implicit-def: $vgpr3_vgpr4
	s_cbranch_execnz .LBB113_486
.LBB113_288:
	s_and_not1_b32 vcc_lo, exec_lo, s2
	s_cbranch_vccnz .LBB113_534
.LBB113_289:
	s_mov_b32 s2, 0x652b82fe
	s_mov_b32 s3, 0x3ff71547
	;; [unrolled: 1-line block ×3, first 2 shown]
	s_waitcnt vmcnt(0)
	s_delay_alu instid0(VALU_DEP_1)
	v_mul_f64 v[1:2], v[3:4], s[2:3]
	s_mov_b32 s3, 0xbfe62e42
	s_mov_b32 s2, 0xfefa39ef
	;; [unrolled: 1-line block ×6, first 2 shown]
	s_delay_alu instid0(VALU_DEP_1) | instskip(NEXT) | instid1(VALU_DEP_1)
	v_rndne_f64_e32 v[1:2], v[1:2]
	v_fma_f64 v[5:6], v[1:2], s[2:3], v[3:4]
	v_cvt_i32_f64_e32 v7, v[1:2]
	v_cmp_eq_f64_e32 vcc_lo, 0x40900000, v[1:2]
	s_mov_b32 s3, 0x40862e42
	s_delay_alu instid0(SALU_CYCLE_1)
	v_cmp_nlt_f64_e64 s2, s[2:3], v[3:4]
	v_cmp_ngt_f64_e64 s3, 0xc0428000, v[3:4]
	v_add_co_u32 v4, s37, s4, v0
	v_fma_f64 v[5:6], v[1:2], s[40:41], v[5:6]
	s_mov_b32 s40, 0x2a1b768b
	s_mov_b32 s41, 0x3e5af4eb
	v_cndmask_b32_e64 v1, v7, 0x3ff, vcc_lo
	s_delay_alu instid0(VALU_DEP_1) | instskip(NEXT) | instid1(VALU_DEP_3)
	v_ldexp_f64 v[1:2], 1.0, v1
	v_fma_f64 v[11:12], v[5:6], s[42:43], s[40:41]
	s_mov_b32 s40, 0xe0ac05b
	s_mov_b32 s41, 0x3e927e50
	s_delay_alu instid0(VALU_DEP_2) | instskip(NEXT) | instid1(VALU_DEP_2)
	v_add_f64 v[13:14], v[1:2], -1.0
	v_fma_f64 v[11:12], v[5:6], v[11:12], s[40:41]
	s_mov_b32 s40, 0x1b889c29
	s_mov_b32 s41, 0x3ec71de0
	s_delay_alu instid0(VALU_DEP_1) | instid1(SALU_CYCLE_1)
	v_fma_f64 v[11:12], v[5:6], v[11:12], s[40:41]
	s_mov_b32 s40, 0x197bcfd8
	s_mov_b32 s41, 0x3efa01a0
	s_delay_alu instid0(VALU_DEP_1) | instid1(SALU_CYCLE_1)
	;; [unrolled: 4-line block ×7, first 2 shown]
	v_fma_f64 v[11:12], v[5:6], v[11:12], s[40:41]
	s_delay_alu instid0(VALU_DEP_1) | instskip(NEXT) | instid1(VALU_DEP_1)
	v_fma_f64 v[11:12], v[5:6], v[11:12], 0.5
	v_mul_f64 v[11:12], v[5:6], v[11:12]
	s_delay_alu instid0(VALU_DEP_1) | instskip(NEXT) | instid1(VALU_DEP_1)
	v_fma_f64 v[5:6], v[5:6], v[11:12], v[5:6]
	v_fma_f64 v[1:2], v[1:2], v[5:6], v[13:14]
	v_and_b32_e32 v6, 0xff, v8
	v_add_co_ci_u32_e64 v5, null, s5, 0, s37
	s_mov_b32 s37, -1
	s_delay_alu instid0(VALU_DEP_3) | instskip(NEXT) | instid1(VALU_DEP_1)
	v_add_f64 v[11:12], v[1:2], v[1:2]
	v_cndmask_b32_e32 v2, v2, v12, vcc_lo
	s_delay_alu instid0(VALU_DEP_2) | instskip(SKIP_1) | instid1(VALU_DEP_3)
	v_cndmask_b32_e32 v0, v1, v11, vcc_lo
	v_cmp_gt_i16_e32 vcc_lo, 11, v6
	v_cndmask_b32_e64 v2, 0x7ff00000, v2, s2
	s_and_b32 s2, s3, s2
	s_delay_alu instid0(VALU_DEP_3) | instid1(SALU_CYCLE_1)
	v_cndmask_b32_e64 v0, 0, v0, s2
	s_mov_b32 s2, s34
	s_delay_alu instid0(VALU_DEP_2)
	v_cndmask_b32_e64 v1, 0xbff00000, v2, s3
	s_cbranch_vccnz .LBB113_296
; %bb.290:
	v_cmp_lt_i16_e32 vcc_lo, 25, v6
	s_cbranch_vccz .LBB113_338
; %bb.291:
	v_cmp_lt_i16_e32 vcc_lo, 28, v6
	s_cbranch_vccz .LBB113_340
	;; [unrolled: 3-line block ×4, first 2 shown]
; %bb.294:
	v_cmp_eq_u16_e32 vcc_lo, 46, v6
	s_mov_b32 s3, 0
	s_mov_b32 s2, -1
	s_cbranch_vccz .LBB113_353
; %bb.295:
	v_cvt_f32_f64_e32 v2, v[0:1]
	s_mov_b32 s23, -1
	s_mov_b32 s2, 0
	s_delay_alu instid0(VALU_DEP_1) | instskip(SKIP_1) | instid1(VALU_DEP_2)
	v_bfe_u32 v3, v2, 16, 1
	v_cmp_o_f32_e32 vcc_lo, v2, v2
	v_add3_u32 v3, v2, v3, 0x7fff
	s_delay_alu instid0(VALU_DEP_1) | instskip(NEXT) | instid1(VALU_DEP_1)
	v_lshrrev_b32_e32 v3, 16, v3
	v_cndmask_b32_e32 v2, 0x7fc0, v3, vcc_lo
	global_store_b32 v[4:5], v2, off
	s_branch .LBB113_353
.LBB113_296:
	s_and_b32 vcc_lo, exec_lo, s37
	s_cbranch_vccz .LBB113_422
; %bb.297:
	v_cmp_gt_i16_e32 vcc_lo, 5, v6
	s_mov_b32 s3, -1
	s_cbranch_vccnz .LBB113_318
; %bb.298:
	v_cmp_gt_i16_e32 vcc_lo, 8, v6
	s_cbranch_vccnz .LBB113_308
; %bb.299:
	v_cmp_gt_i16_e32 vcc_lo, 9, v6
	s_cbranch_vccnz .LBB113_305
; %bb.300:
	v_cmp_lt_i16_e32 vcc_lo, 9, v6
	s_cbranch_vccz .LBB113_302
; %bb.301:
	v_mov_b32_e32 v2, 0
	s_mov_b32 s3, 0
	s_delay_alu instid0(VALU_DEP_1)
	v_mov_b32_e32 v3, v2
	global_store_b128 v[4:5], v[0:3], off
.LBB113_302:
	s_and_not1_b32 vcc_lo, exec_lo, s3
	s_cbranch_vccnz .LBB113_304
; %bb.303:
	v_cvt_f32_f64_e32 v2, v[0:1]
	v_mov_b32_e32 v3, 0
	global_store_b64 v[4:5], v[2:3], off
.LBB113_304:
	s_mov_b32 s3, 0
.LBB113_305:
	s_delay_alu instid0(SALU_CYCLE_1)
	s_and_not1_b32 vcc_lo, exec_lo, s3
	s_cbranch_vccnz .LBB113_307
; %bb.306:
	v_cvt_f32_f64_e32 v2, v[0:1]
	s_delay_alu instid0(VALU_DEP_1) | instskip(NEXT) | instid1(VALU_DEP_1)
	v_cvt_f16_f32_e32 v2, v2
	v_and_b32_e32 v2, 0xffff, v2
	global_store_b32 v[4:5], v2, off
.LBB113_307:
	s_mov_b32 s3, 0
.LBB113_308:
	s_delay_alu instid0(SALU_CYCLE_1)
	s_and_not1_b32 vcc_lo, exec_lo, s3
	s_cbranch_vccnz .LBB113_317
; %bb.309:
	v_cmp_gt_i16_e32 vcc_lo, 6, v6
	s_mov_b32 s3, -1
	s_cbranch_vccnz .LBB113_315
; %bb.310:
	v_cmp_lt_i16_e32 vcc_lo, 6, v6
	s_cbranch_vccz .LBB113_312
; %bb.311:
	s_mov_b32 s3, 0
	global_store_b64 v[4:5], v[0:1], off
.LBB113_312:
	s_and_not1_b32 vcc_lo, exec_lo, s3
	s_cbranch_vccnz .LBB113_314
; %bb.313:
	v_cvt_f32_f64_e32 v2, v[0:1]
	global_store_b32 v[4:5], v2, off
.LBB113_314:
	s_mov_b32 s3, 0
.LBB113_315:
	s_delay_alu instid0(SALU_CYCLE_1)
	s_and_not1_b32 vcc_lo, exec_lo, s3
	s_cbranch_vccnz .LBB113_317
; %bb.316:
	v_cvt_f32_f64_e32 v2, v[0:1]
	s_delay_alu instid0(VALU_DEP_1)
	v_cvt_f16_f32_e32 v2, v2
	global_store_b16 v[4:5], v2, off
.LBB113_317:
	s_mov_b32 s3, 0
.LBB113_318:
	s_delay_alu instid0(SALU_CYCLE_1)
	s_and_not1_b32 vcc_lo, exec_lo, s3
	s_cbranch_vccnz .LBB113_334
; %bb.319:
	v_cmp_gt_i16_e32 vcc_lo, 2, v6
	s_mov_b32 s3, -1
	s_cbranch_vccnz .LBB113_329
; %bb.320:
	v_cmp_gt_i16_e32 vcc_lo, 3, v6
	s_cbranch_vccnz .LBB113_326
; %bb.321:
	v_cmp_lt_i16_e32 vcc_lo, 3, v6
	s_cbranch_vccz .LBB113_323
; %bb.322:
	v_trunc_f64_e32 v[2:3], v[0:1]
	s_mov_b32 s3, 0
	s_delay_alu instid0(VALU_DEP_1) | instskip(NEXT) | instid1(VALU_DEP_1)
	v_ldexp_f64 v[11:12], v[2:3], 0xffffffe0
	v_floor_f64_e32 v[11:12], v[11:12]
	s_delay_alu instid0(VALU_DEP_1) | instskip(SKIP_1) | instid1(VALU_DEP_2)
	v_fma_f64 v[2:3], 0xc1f00000, v[11:12], v[2:3]
	v_cvt_i32_f64_e32 v12, v[11:12]
	v_cvt_u32_f64_e32 v11, v[2:3]
	global_store_b64 v[4:5], v[11:12], off
.LBB113_323:
	s_and_not1_b32 vcc_lo, exec_lo, s3
	s_cbranch_vccnz .LBB113_325
; %bb.324:
	v_cvt_i32_f64_e32 v2, v[0:1]
	global_store_b32 v[4:5], v2, off
.LBB113_325:
	s_mov_b32 s3, 0
.LBB113_326:
	s_delay_alu instid0(SALU_CYCLE_1)
	s_and_not1_b32 vcc_lo, exec_lo, s3
	s_cbranch_vccnz .LBB113_328
; %bb.327:
	v_cvt_i32_f64_e32 v2, v[0:1]
	global_store_b16 v[4:5], v2, off
.LBB113_328:
	s_mov_b32 s3, 0
.LBB113_329:
	s_delay_alu instid0(SALU_CYCLE_1)
	s_and_not1_b32 vcc_lo, exec_lo, s3
	s_cbranch_vccnz .LBB113_334
; %bb.330:
	v_cmp_lt_i16_e32 vcc_lo, 0, v6
	s_mov_b32 s3, -1
	s_cbranch_vccz .LBB113_332
; %bb.331:
	v_cvt_i32_f64_e32 v2, v[0:1]
	s_mov_b32 s3, 0
	global_store_b8 v[4:5], v2, off
.LBB113_332:
	s_and_not1_b32 vcc_lo, exec_lo, s3
	s_cbranch_vccnz .LBB113_334
; %bb.333:
	v_trunc_f64_e32 v[0:1], v[0:1]
	s_delay_alu instid0(VALU_DEP_1) | instskip(NEXT) | instid1(VALU_DEP_1)
	v_ldexp_f64 v[2:3], v[0:1], 0xffffffe0
	v_floor_f64_e32 v[2:3], v[2:3]
	s_delay_alu instid0(VALU_DEP_1) | instskip(NEXT) | instid1(VALU_DEP_1)
	v_fma_f64 v[0:1], 0xc1f00000, v[2:3], v[0:1]
	v_cvt_u32_f64_e32 v0, v[0:1]
	global_store_b8 v[4:5], v0, off
.LBB113_334:
	s_branch .LBB113_423
.LBB113_335:
	s_mov_b32 s3, 0
	s_branch .LBB113_535
.LBB113_336:
	s_mov_b32 s3, -1
	s_mov_b32 s22, s35
                                        ; implicit-def: $vgpr3_vgpr4
	s_branch .LBB113_452
.LBB113_337:
	s_mov_b32 s3, -1
	s_mov_b32 s22, s35
                                        ; implicit-def: $vgpr3_vgpr4
	s_branch .LBB113_431
.LBB113_338:
	s_mov_b32 s3, -1
	s_mov_b32 s2, s34
	s_branch .LBB113_380
.LBB113_339:
	s_mov_b32 s3, -1
	s_mov_b32 s22, s35
                                        ; implicit-def: $vgpr3_vgpr4
	s_branch .LBB113_426
.LBB113_340:
	s_mov_b32 s3, -1
	s_mov_b32 s2, s34
	s_branch .LBB113_363
.LBB113_341:
	s_or_saveexec_b32 s34, s34
                                        ; implicit-def: $sgpr35
	s_delay_alu instid0(SALU_CYCLE_1)
	s_xor_b32 exec_lo, exec_lo, s34
	s_cbranch_execz .LBB113_104
.LBB113_342:
	v_add_f32_e64 v3, 0x46000000, |v2|
	s_and_not1_b32 s3, s3, exec_lo
	s_mov_b32 s35, 0
	s_delay_alu instid0(VALU_DEP_1) | instskip(NEXT) | instid1(VALU_DEP_1)
	v_and_b32_e32 v3, 0xff, v3
	v_cmp_ne_u32_e32 vcc_lo, 0, v3
	s_and_b32 s38, vcc_lo, exec_lo
	s_delay_alu instid0(SALU_CYCLE_1)
	s_or_b32 s3, s3, s38
	s_or_b32 exec_lo, exec_lo, s34
	v_mov_b32_e32 v7, s35
	s_and_saveexec_b32 s34, s3
	s_cbranch_execnz .LBB113_105
	s_branch .LBB113_106
.LBB113_343:
	s_mov_b32 s3, -1
	s_mov_b32 s22, s35
	s_branch .LBB113_348
.LBB113_344:
	s_mov_b32 s3, -1
	s_mov_b32 s2, s34
	s_branch .LBB113_359
.LBB113_345:
	s_or_saveexec_b32 s34, s34
                                        ; implicit-def: $sgpr35
	s_delay_alu instid0(SALU_CYCLE_1)
	s_xor_b32 exec_lo, exec_lo, s34
	s_cbranch_execz .LBB113_117
.LBB113_346:
	v_add_f32_e64 v3, 0x42800000, |v2|
	s_and_not1_b32 s3, s3, exec_lo
	s_mov_b32 s35, 0
	s_delay_alu instid0(VALU_DEP_1) | instskip(NEXT) | instid1(VALU_DEP_1)
	v_and_b32_e32 v3, 0xff, v3
	v_cmp_ne_u32_e32 vcc_lo, 0, v3
	s_and_b32 s38, vcc_lo, exec_lo
	s_delay_alu instid0(SALU_CYCLE_1)
	s_or_b32 s3, s3, s38
	s_or_b32 exec_lo, exec_lo, s34
	v_mov_b32_e32 v7, s35
	s_and_saveexec_b32 s34, s3
	s_cbranch_execnz .LBB113_118
	s_branch .LBB113_119
.LBB113_347:
	s_mov_b32 s22, -1
.LBB113_348:
                                        ; implicit-def: $vgpr3_vgpr4
.LBB113_349:
	s_and_b32 vcc_lo, exec_lo, s3
	s_cbranch_vccz .LBB113_425
; %bb.350:
	v_cmp_eq_u16_e32 vcc_lo, 44, v9
	s_cbranch_vccz .LBB113_424
; %bb.351:
	global_load_u8 v5, v[1:2], off
	s_mov_b32 s22, 0
	s_mov_b32 s2, -1
	s_waitcnt vmcnt(0)
	v_cmp_ne_u32_e32 vcc_lo, 0xff, v5
	v_lshlrev_b32_e32 v3, 23, v5
	s_delay_alu instid0(VALU_DEP_1) | instskip(NEXT) | instid1(VALU_DEP_1)
	v_cvt_f64_f32_e32 v[3:4], v3
	v_cndmask_b32_e32 v4, 0x7ff80000, v4, vcc_lo
	s_delay_alu instid0(VALU_DEP_2) | instskip(SKIP_1) | instid1(VALU_DEP_3)
	v_cndmask_b32_e32 v3, 0x20000000, v3, vcc_lo
	v_cmp_ne_u32_e32 vcc_lo, 0, v5
	v_cndmask_b32_e32 v4, 0x38000000, v4, vcc_lo
	s_delay_alu instid0(VALU_DEP_3)
	v_cndmask_b32_e32 v3, 0, v3, vcc_lo
	s_branch .LBB113_425
.LBB113_352:
	s_mov_b32 s3, -1
	s_mov_b32 s2, s34
.LBB113_353:
	s_and_b32 vcc_lo, exec_lo, s3
	s_cbranch_vccz .LBB113_358
; %bb.354:
	v_cmp_eq_u16_e32 vcc_lo, 44, v6
	s_mov_b32 s2, -1
	s_cbranch_vccz .LBB113_358
; %bb.355:
	v_cvt_f32_f64_e32 v2, v[0:1]
	v_mov_b32_e32 v3, 0xff
	s_mov_b32 s3, exec_lo
	s_delay_alu instid0(VALU_DEP_2) | instskip(NEXT) | instid1(VALU_DEP_1)
	v_bfe_u32 v7, v2, 23, 8
	v_cmpx_ne_u32_e32 0xff, v7
; %bb.356:
	v_and_b32_e32 v3, 0x400000, v2
	v_and_or_b32 v7, 0x3fffff, v2, v7
	v_lshrrev_b32_e32 v2, 23, v2
	s_delay_alu instid0(VALU_DEP_3) | instskip(NEXT) | instid1(VALU_DEP_3)
	v_cmp_ne_u32_e32 vcc_lo, 0, v3
	v_cmp_ne_u32_e64 s2, 0, v7
	s_delay_alu instid0(VALU_DEP_1) | instskip(NEXT) | instid1(SALU_CYCLE_1)
	s_and_b32 s2, vcc_lo, s2
	v_cndmask_b32_e64 v3, 0, 1, s2
	s_delay_alu instid0(VALU_DEP_1)
	v_add_nc_u32_e32 v3, v2, v3
; %bb.357:
	s_or_b32 exec_lo, exec_lo, s3
	s_mov_b32 s23, -1
	s_mov_b32 s2, 0
	global_store_b8 v[4:5], v3, off
.LBB113_358:
	s_mov_b32 s3, 0
.LBB113_359:
	s_delay_alu instid0(SALU_CYCLE_1)
	s_and_b32 vcc_lo, exec_lo, s3
	s_cbranch_vccz .LBB113_362
; %bb.360:
	v_cmp_eq_u16_e32 vcc_lo, 29, v6
	s_mov_b32 s2, -1
	s_cbranch_vccz .LBB113_362
; %bb.361:
	v_trunc_f64_e32 v[2:3], v[0:1]
	s_mov_b32 s23, -1
	s_mov_b32 s2, 0
	s_mov_b32 s3, 0
	s_delay_alu instid0(VALU_DEP_1) | instskip(NEXT) | instid1(VALU_DEP_1)
	v_ldexp_f64 v[11:12], v[2:3], 0xffffffe0
	v_floor_f64_e32 v[11:12], v[11:12]
	s_delay_alu instid0(VALU_DEP_1) | instskip(SKIP_1) | instid1(VALU_DEP_2)
	v_fma_f64 v[2:3], 0xc1f00000, v[11:12], v[2:3]
	v_cvt_u32_f64_e32 v12, v[11:12]
	v_cvt_u32_f64_e32 v11, v[2:3]
	global_store_b64 v[4:5], v[11:12], off
	s_branch .LBB113_363
.LBB113_362:
	s_mov_b32 s3, 0
.LBB113_363:
	s_delay_alu instid0(SALU_CYCLE_1)
	s_and_b32 vcc_lo, exec_lo, s3
	s_cbranch_vccz .LBB113_379
; %bb.364:
	v_cmp_gt_i16_e32 vcc_lo, 27, v6
	s_mov_b32 s3, -1
	s_cbranch_vccnz .LBB113_370
; %bb.365:
	v_cmp_lt_i16_e32 vcc_lo, 27, v6
	s_cbranch_vccz .LBB113_367
; %bb.366:
	v_cvt_u32_f64_e32 v2, v[0:1]
	s_mov_b32 s3, 0
	global_store_b32 v[4:5], v2, off
.LBB113_367:
	s_and_not1_b32 vcc_lo, exec_lo, s3
	s_cbranch_vccnz .LBB113_369
; %bb.368:
	v_cvt_u32_f64_e32 v2, v[0:1]
	global_store_b16 v[4:5], v2, off
.LBB113_369:
	s_mov_b32 s3, 0
.LBB113_370:
	s_delay_alu instid0(SALU_CYCLE_1)
	s_and_not1_b32 vcc_lo, exec_lo, s3
	s_cbranch_vccnz .LBB113_378
; %bb.371:
	v_cvt_f32_f64_e32 v2, v[0:1]
	v_mov_b32_e32 v7, 0x80
	s_mov_b32 s3, exec_lo
	s_delay_alu instid0(VALU_DEP_2) | instskip(NEXT) | instid1(VALU_DEP_1)
	v_and_b32_e32 v3, 0x7fffffff, v2
	v_cmpx_gt_u32_e32 0x43800000, v3
	s_cbranch_execz .LBB113_377
; %bb.372:
	v_cmp_lt_u32_e32 vcc_lo, 0x3bffffff, v3
	s_mov_b32 s23, 0
                                        ; implicit-def: $vgpr3
	s_and_saveexec_b32 s37, vcc_lo
	s_delay_alu instid0(SALU_CYCLE_1)
	s_xor_b32 s37, exec_lo, s37
	s_cbranch_execz .LBB113_563
; %bb.373:
	v_bfe_u32 v3, v2, 20, 1
	s_mov_b32 s23, exec_lo
	s_delay_alu instid0(VALU_DEP_1) | instskip(NEXT) | instid1(VALU_DEP_1)
	v_add3_u32 v3, v2, v3, 0x487ffff
	v_lshrrev_b32_e32 v3, 20, v3
	s_or_saveexec_b32 s37, s37
                                        ; implicit-def: $sgpr38
	s_delay_alu instid0(SALU_CYCLE_1)
	s_xor_b32 exec_lo, exec_lo, s37
	s_cbranch_execnz .LBB113_564
.LBB113_374:
	s_or_b32 exec_lo, exec_lo, s37
	v_mov_b32_e32 v7, s38
	s_and_saveexec_b32 s37, s23
.LBB113_375:
	v_lshrrev_b32_e32 v2, 24, v2
	s_delay_alu instid0(VALU_DEP_1)
	v_and_or_b32 v7, 0x80, v2, v3
.LBB113_376:
	s_or_b32 exec_lo, exec_lo, s37
.LBB113_377:
	s_delay_alu instid0(SALU_CYCLE_1)
	s_or_b32 exec_lo, exec_lo, s3
	global_store_b8 v[4:5], v7, off
.LBB113_378:
	s_mov_b32 s23, -1
.LBB113_379:
	s_mov_b32 s3, 0
.LBB113_380:
	s_delay_alu instid0(SALU_CYCLE_1)
	s_and_b32 vcc_lo, exec_lo, s3
	s_cbranch_vccz .LBB113_421
; %bb.381:
	v_cmp_lt_i16_e32 vcc_lo, 22, v6
	s_mov_b32 s3, -1
	s_cbranch_vccz .LBB113_413
; %bb.382:
	v_cmp_gt_i16_e32 vcc_lo, 24, v6
	s_cbranch_vccnz .LBB113_402
; %bb.383:
	v_cmp_lt_i16_e32 vcc_lo, 24, v6
	s_cbranch_vccz .LBB113_391
; %bb.384:
	v_cvt_f32_f64_e32 v2, v[0:1]
	v_mov_b32_e32 v7, 0x80
	s_mov_b32 s3, exec_lo
	s_delay_alu instid0(VALU_DEP_2) | instskip(NEXT) | instid1(VALU_DEP_1)
	v_and_b32_e32 v3, 0x7fffffff, v2
	v_cmpx_gt_u32_e32 0x47800000, v3
	s_cbranch_execz .LBB113_390
; %bb.385:
	v_cmp_lt_u32_e32 vcc_lo, 0x37ffffff, v3
	s_mov_b32 s23, 0
                                        ; implicit-def: $vgpr3
	s_and_saveexec_b32 s37, vcc_lo
	s_delay_alu instid0(SALU_CYCLE_1)
	s_xor_b32 s37, exec_lo, s37
	s_cbranch_execz .LBB113_566
; %bb.386:
	v_bfe_u32 v3, v2, 21, 1
	s_mov_b32 s23, exec_lo
	s_delay_alu instid0(VALU_DEP_1) | instskip(NEXT) | instid1(VALU_DEP_1)
	v_add3_u32 v3, v2, v3, 0x88fffff
	v_lshrrev_b32_e32 v3, 21, v3
	s_or_saveexec_b32 s37, s37
                                        ; implicit-def: $sgpr38
	s_delay_alu instid0(SALU_CYCLE_1)
	s_xor_b32 exec_lo, exec_lo, s37
	s_cbranch_execnz .LBB113_567
.LBB113_387:
	s_or_b32 exec_lo, exec_lo, s37
	v_mov_b32_e32 v7, s38
	s_and_saveexec_b32 s37, s23
.LBB113_388:
	v_lshrrev_b32_e32 v2, 24, v2
	s_delay_alu instid0(VALU_DEP_1)
	v_and_or_b32 v7, 0x80, v2, v3
.LBB113_389:
	s_or_b32 exec_lo, exec_lo, s37
.LBB113_390:
	s_delay_alu instid0(SALU_CYCLE_1)
	s_or_b32 exec_lo, exec_lo, s3
	s_mov_b32 s3, 0
	global_store_b8 v[4:5], v7, off
.LBB113_391:
	s_and_b32 vcc_lo, exec_lo, s3
	s_cbranch_vccz .LBB113_401
; %bb.392:
	v_cvt_f32_f64_e32 v2, v[0:1]
	s_mov_b32 s3, exec_lo
                                        ; implicit-def: $vgpr3
	s_delay_alu instid0(VALU_DEP_1) | instskip(NEXT) | instid1(VALU_DEP_1)
	v_and_b32_e32 v7, 0x7fffffff, v2
	v_cmpx_gt_u32_e32 0x43f00000, v7
	s_xor_b32 s3, exec_lo, s3
	s_cbranch_execz .LBB113_398
; %bb.393:
	s_mov_b32 s23, exec_lo
                                        ; implicit-def: $vgpr3
	v_cmpx_lt_u32_e32 0x3c7fffff, v7
	s_xor_b32 s23, exec_lo, s23
; %bb.394:
	v_bfe_u32 v3, v2, 20, 1
	s_delay_alu instid0(VALU_DEP_1) | instskip(NEXT) | instid1(VALU_DEP_1)
	v_add3_u32 v3, v2, v3, 0x407ffff
	v_and_b32_e32 v7, 0xff00000, v3
	v_lshrrev_b32_e32 v3, 20, v3
	s_delay_alu instid0(VALU_DEP_2) | instskip(NEXT) | instid1(VALU_DEP_2)
	v_cmp_ne_u32_e32 vcc_lo, 0x7f00000, v7
	v_cndmask_b32_e32 v3, 0x7e, v3, vcc_lo
; %bb.395:
	s_and_not1_saveexec_b32 s23, s23
; %bb.396:
	v_add_f32_e64 v3, 0x46800000, |v2|
; %bb.397:
	s_or_b32 exec_lo, exec_lo, s23
                                        ; implicit-def: $vgpr7
.LBB113_398:
	s_and_not1_saveexec_b32 s3, s3
; %bb.399:
	v_mov_b32_e32 v3, 0x7f
	v_cmp_lt_u32_e32 vcc_lo, 0x7f800000, v7
	s_delay_alu instid0(VALU_DEP_2)
	v_cndmask_b32_e32 v3, 0x7e, v3, vcc_lo
; %bb.400:
	s_or_b32 exec_lo, exec_lo, s3
	v_lshrrev_b32_e32 v2, 24, v2
	s_delay_alu instid0(VALU_DEP_1)
	v_and_or_b32 v2, 0x80, v2, v3
	global_store_b8 v[4:5], v2, off
.LBB113_401:
	s_mov_b32 s3, 0
.LBB113_402:
	s_delay_alu instid0(SALU_CYCLE_1)
	s_and_not1_b32 vcc_lo, exec_lo, s3
	s_cbranch_vccnz .LBB113_412
; %bb.403:
	v_cvt_f32_f64_e32 v2, v[0:1]
	s_mov_b32 s3, exec_lo
                                        ; implicit-def: $vgpr3
	s_delay_alu instid0(VALU_DEP_1) | instskip(NEXT) | instid1(VALU_DEP_1)
	v_and_b32_e32 v7, 0x7fffffff, v2
	v_cmpx_gt_u32_e32 0x47800000, v7
	s_xor_b32 s3, exec_lo, s3
	s_cbranch_execz .LBB113_409
; %bb.404:
	s_mov_b32 s23, exec_lo
                                        ; implicit-def: $vgpr3
	v_cmpx_lt_u32_e32 0x387fffff, v7
	s_xor_b32 s23, exec_lo, s23
; %bb.405:
	v_bfe_u32 v3, v2, 21, 1
	s_delay_alu instid0(VALU_DEP_1) | instskip(NEXT) | instid1(VALU_DEP_1)
	v_add3_u32 v3, v2, v3, 0x80fffff
	v_lshrrev_b32_e32 v3, 21, v3
; %bb.406:
	s_and_not1_saveexec_b32 s23, s23
; %bb.407:
	v_add_f32_e64 v3, 0x43000000, |v2|
; %bb.408:
	s_or_b32 exec_lo, exec_lo, s23
                                        ; implicit-def: $vgpr7
.LBB113_409:
	s_and_not1_saveexec_b32 s3, s3
; %bb.410:
	v_mov_b32_e32 v3, 0x7f
	v_cmp_lt_u32_e32 vcc_lo, 0x7f800000, v7
	s_delay_alu instid0(VALU_DEP_2)
	v_cndmask_b32_e32 v3, 0x7c, v3, vcc_lo
; %bb.411:
	s_or_b32 exec_lo, exec_lo, s3
	v_lshrrev_b32_e32 v2, 24, v2
	s_delay_alu instid0(VALU_DEP_1)
	v_and_or_b32 v2, 0x80, v2, v3
	global_store_b8 v[4:5], v2, off
.LBB113_412:
	s_mov_b32 s3, 0
	s_mov_b32 s23, -1
.LBB113_413:
	s_and_not1_b32 vcc_lo, exec_lo, s3
	s_cbranch_vccnz .LBB113_421
; %bb.414:
	v_cmp_lt_i16_e32 vcc_lo, 14, v6
	s_mov_b32 s3, -1
	s_cbranch_vccz .LBB113_418
; %bb.415:
	v_cmp_eq_u16_e32 vcc_lo, 15, v6
	s_mov_b32 s2, -1
	s_cbranch_vccz .LBB113_417
; %bb.416:
	v_cvt_f32_f64_e32 v2, v[0:1]
	s_mov_b32 s23, -1
	s_mov_b32 s2, 0
	s_delay_alu instid0(VALU_DEP_1) | instskip(SKIP_1) | instid1(VALU_DEP_2)
	v_bfe_u32 v3, v2, 16, 1
	v_cmp_o_f32_e32 vcc_lo, v2, v2
	v_add3_u32 v3, v2, v3, 0x7fff
	s_delay_alu instid0(VALU_DEP_1) | instskip(NEXT) | instid1(VALU_DEP_1)
	v_lshrrev_b32_e32 v3, 16, v3
	v_cndmask_b32_e32 v2, 0x7fc0, v3, vcc_lo
	global_store_b16 v[4:5], v2, off
.LBB113_417:
	s_mov_b32 s3, 0
.LBB113_418:
	s_delay_alu instid0(SALU_CYCLE_1)
	s_and_b32 vcc_lo, exec_lo, s3
	s_cbranch_vccz .LBB113_421
; %bb.419:
	v_cmp_eq_u16_e32 vcc_lo, 11, v6
	s_mov_b32 s2, -1
	s_cbranch_vccz .LBB113_421
; %bb.420:
	v_cmp_neq_f64_e32 vcc_lo, 0, v[0:1]
	s_mov_b32 s23, -1
	s_mov_b32 s2, 0
	v_cndmask_b32_e64 v2, 0, 1, vcc_lo
	global_store_b8 v[4:5], v2, off
.LBB113_421:
.LBB113_422:
	s_and_not1_b32 vcc_lo, exec_lo, s23
	s_cbranch_vccnz .LBB113_335
.LBB113_423:
	v_add_nc_u32_e32 v10, 0x80, v10
	s_mov_b32 s3, -1
	s_branch .LBB113_536
.LBB113_424:
	s_mov_b32 s22, -1
                                        ; implicit-def: $vgpr3_vgpr4
.LBB113_425:
	s_mov_b32 s3, 0
.LBB113_426:
	s_delay_alu instid0(SALU_CYCLE_1)
	s_and_b32 vcc_lo, exec_lo, s3
	s_cbranch_vccz .LBB113_430
; %bb.427:
	v_cmp_eq_u16_e32 vcc_lo, 29, v9
	s_cbranch_vccz .LBB113_429
; %bb.428:
	global_load_b64 v[3:4], v[1:2], off
	s_mov_b32 s2, -1
	s_mov_b32 s22, 0
	s_mov_b32 s3, 0
	s_waitcnt vmcnt(0)
	v_cvt_f64_u32_e32 v[4:5], v4
	v_cvt_f64_u32_e32 v[6:7], v3
	s_delay_alu instid0(VALU_DEP_2) | instskip(NEXT) | instid1(VALU_DEP_1)
	v_ldexp_f64 v[4:5], v[4:5], 32
	v_add_f64 v[3:4], v[4:5], v[6:7]
	s_branch .LBB113_431
.LBB113_429:
	s_mov_b32 s22, -1
                                        ; implicit-def: $vgpr3_vgpr4
.LBB113_430:
	s_mov_b32 s3, 0
.LBB113_431:
	s_delay_alu instid0(SALU_CYCLE_1)
	s_and_b32 vcc_lo, exec_lo, s3
	s_cbranch_vccz .LBB113_451
; %bb.432:
	v_cmp_gt_i16_e32 vcc_lo, 27, v9
	s_cbranch_vccnz .LBB113_435
; %bb.433:
	v_cmp_lt_i16_e32 vcc_lo, 27, v9
	s_cbranch_vccz .LBB113_436
; %bb.434:
	global_load_b32 v3, v[1:2], off
	s_mov_b32 s2, 0
	s_waitcnt vmcnt(0)
	v_cvt_f64_u32_e32 v[3:4], v3
	s_branch .LBB113_437
.LBB113_435:
	s_mov_b32 s2, -1
                                        ; implicit-def: $vgpr3_vgpr4
	s_branch .LBB113_440
.LBB113_436:
	s_mov_b32 s2, -1
                                        ; implicit-def: $vgpr3_vgpr4
.LBB113_437:
	s_delay_alu instid0(SALU_CYCLE_1)
	s_and_not1_b32 vcc_lo, exec_lo, s2
	s_cbranch_vccnz .LBB113_439
; %bb.438:
	global_load_u16 v3, v[1:2], off
	s_waitcnt vmcnt(0)
	v_cvt_f64_u32_e32 v[3:4], v3
.LBB113_439:
	s_mov_b32 s2, 0
.LBB113_440:
	s_delay_alu instid0(SALU_CYCLE_1)
	s_and_not1_b32 vcc_lo, exec_lo, s2
	s_cbranch_vccnz .LBB113_450
; %bb.441:
	global_load_u8 v5, v[1:2], off
	s_mov_b32 s23, 0
	s_mov_b32 s37, exec_lo
                                        ; implicit-def: $sgpr2_sgpr3
	s_waitcnt vmcnt(0)
	v_cmpx_lt_i16_e32 0x7f, v5
	s_xor_b32 s37, exec_lo, s37
	s_cbranch_execz .LBB113_445
; %bb.442:
	s_mov_b32 s38, -1
	s_mov_b32 s23, exec_lo
                                        ; implicit-def: $sgpr2_sgpr3
	v_cmpx_eq_u16_e32 0x80, v5
; %bb.443:
	s_mov_b32 s3, 0x7ff80000
	s_brev_b32 s2, 4
	s_xor_b32 s38, exec_lo, -1
; %bb.444:
	s_or_b32 exec_lo, exec_lo, s23
	s_delay_alu instid0(SALU_CYCLE_1)
	s_and_b32 s23, s38, exec_lo
.LBB113_445:
	s_or_saveexec_b32 s37, s37
	v_dual_mov_b32 v4, s3 :: v_dual_mov_b32 v3, s2
	s_xor_b32 exec_lo, exec_lo, s37
; %bb.446:
	v_cmp_ne_u16_e32 vcc_lo, 0, v5
	v_mov_b32_e32 v3, 0
	v_mov_b32_e32 v4, 0
	s_and_not1_b32 s2, s23, exec_lo
	s_and_b32 s3, vcc_lo, exec_lo
	s_delay_alu instid0(SALU_CYCLE_1)
	s_or_b32 s23, s2, s3
; %bb.447:
	s_or_b32 exec_lo, exec_lo, s37
	s_and_saveexec_b32 s2, s23
	s_cbranch_execz .LBB113_449
; %bb.448:
	v_and_b32_e32 v3, 0xffff, v5
	v_lshlrev_b32_e32 v5, 24, v5
	s_delay_alu instid0(VALU_DEP_2) | instskip(NEXT) | instid1(VALU_DEP_2)
	v_and_b32_e32 v4, 7, v3
	v_and_b32_e32 v5, 0x80000000, v5
	s_delay_alu instid0(VALU_DEP_2) | instskip(NEXT) | instid1(VALU_DEP_1)
	v_clz_i32_u32_e32 v6, v4
	v_min_u32_e32 v6, 32, v6
	s_delay_alu instid0(VALU_DEP_1) | instskip(SKIP_1) | instid1(VALU_DEP_2)
	v_subrev_nc_u32_e32 v7, 28, v6
	v_sub_nc_u32_e32 v6, 29, v6
	v_lshlrev_b32_e32 v7, v7, v3
	v_bfe_u32 v3, v3, 3, 4
	s_delay_alu instid0(VALU_DEP_2) | instskip(NEXT) | instid1(VALU_DEP_2)
	v_and_b32_e32 v7, 7, v7
	v_cmp_eq_u32_e32 vcc_lo, 0, v3
	s_delay_alu instid0(VALU_DEP_2) | instskip(NEXT) | instid1(VALU_DEP_1)
	v_dual_cndmask_b32 v3, v3, v6 :: v_dual_cndmask_b32 v4, v4, v7
	v_lshl_add_u32 v3, v3, 23, 0x3b800000
	s_delay_alu instid0(VALU_DEP_2) | instskip(NEXT) | instid1(VALU_DEP_1)
	v_lshlrev_b32_e32 v4, 20, v4
	v_or3_b32 v3, v5, v3, v4
	s_delay_alu instid0(VALU_DEP_1)
	v_cvt_f64_f32_e32 v[3:4], v3
.LBB113_449:
	s_or_b32 exec_lo, exec_lo, s2
.LBB113_450:
	s_mov_b32 s2, -1
.LBB113_451:
	s_mov_b32 s3, 0
.LBB113_452:
	s_delay_alu instid0(SALU_CYCLE_1)
	s_and_b32 vcc_lo, exec_lo, s3
	s_cbranch_vccz .LBB113_485
; %bb.453:
	v_cmp_lt_i16_e32 vcc_lo, 22, v9
	s_cbranch_vccz .LBB113_465
; %bb.454:
	v_cmp_gt_i16_e32 vcc_lo, 24, v9
	s_cbranch_vccnz .LBB113_466
; %bb.455:
	v_cmp_lt_i16_e32 vcc_lo, 24, v9
	s_cbranch_vccz .LBB113_467
; %bb.456:
	global_load_u8 v5, v[1:2], off
	s_mov_b32 s23, 0
	s_mov_b32 s37, exec_lo
                                        ; implicit-def: $sgpr2_sgpr3
	s_waitcnt vmcnt(0)
	v_cmpx_lt_i16_e32 0x7f, v5
	s_xor_b32 s37, exec_lo, s37
	s_cbranch_execz .LBB113_460
; %bb.457:
	s_mov_b32 s38, -1
	s_mov_b32 s23, exec_lo
                                        ; implicit-def: $sgpr2_sgpr3
	v_cmpx_eq_u16_e32 0x80, v5
; %bb.458:
	s_mov_b32 s3, 0x7ff80000
	s_brev_b32 s2, 4
	s_xor_b32 s38, exec_lo, -1
; %bb.459:
	s_or_b32 exec_lo, exec_lo, s23
	s_delay_alu instid0(SALU_CYCLE_1)
	s_and_b32 s23, s38, exec_lo
.LBB113_460:
	s_or_saveexec_b32 s37, s37
	v_dual_mov_b32 v4, s3 :: v_dual_mov_b32 v3, s2
	s_xor_b32 exec_lo, exec_lo, s37
; %bb.461:
	v_cmp_ne_u16_e32 vcc_lo, 0, v5
	v_mov_b32_e32 v3, 0
	v_mov_b32_e32 v4, 0
	s_and_not1_b32 s2, s23, exec_lo
	s_and_b32 s3, vcc_lo, exec_lo
	s_delay_alu instid0(SALU_CYCLE_1)
	s_or_b32 s23, s2, s3
; %bb.462:
	s_or_b32 exec_lo, exec_lo, s37
	s_and_saveexec_b32 s2, s23
	s_cbranch_execz .LBB113_464
; %bb.463:
	v_and_b32_e32 v3, 0xffff, v5
	v_lshlrev_b32_e32 v5, 24, v5
	s_delay_alu instid0(VALU_DEP_2) | instskip(NEXT) | instid1(VALU_DEP_2)
	v_and_b32_e32 v4, 3, v3
	v_and_b32_e32 v5, 0x80000000, v5
	s_delay_alu instid0(VALU_DEP_2) | instskip(NEXT) | instid1(VALU_DEP_1)
	v_clz_i32_u32_e32 v6, v4
	v_min_u32_e32 v6, 32, v6
	s_delay_alu instid0(VALU_DEP_1) | instskip(SKIP_1) | instid1(VALU_DEP_2)
	v_subrev_nc_u32_e32 v7, 29, v6
	v_sub_nc_u32_e32 v6, 30, v6
	v_lshlrev_b32_e32 v7, v7, v3
	v_bfe_u32 v3, v3, 2, 5
	s_delay_alu instid0(VALU_DEP_2) | instskip(NEXT) | instid1(VALU_DEP_2)
	v_and_b32_e32 v7, 3, v7
	v_cmp_eq_u32_e32 vcc_lo, 0, v3
	s_delay_alu instid0(VALU_DEP_2) | instskip(NEXT) | instid1(VALU_DEP_1)
	v_dual_cndmask_b32 v3, v3, v6 :: v_dual_cndmask_b32 v4, v4, v7
	v_lshl_add_u32 v3, v3, 23, 0x37800000
	s_delay_alu instid0(VALU_DEP_2) | instskip(NEXT) | instid1(VALU_DEP_1)
	v_lshlrev_b32_e32 v4, 21, v4
	v_or3_b32 v3, v5, v3, v4
	s_delay_alu instid0(VALU_DEP_1)
	v_cvt_f64_f32_e32 v[3:4], v3
.LBB113_464:
	s_or_b32 exec_lo, exec_lo, s2
	s_mov_b32 s2, 0
	s_branch .LBB113_468
.LBB113_465:
	s_mov_b32 s3, -1
                                        ; implicit-def: $vgpr3_vgpr4
	s_branch .LBB113_474
.LBB113_466:
	s_mov_b32 s2, -1
                                        ; implicit-def: $vgpr3_vgpr4
	s_branch .LBB113_471
.LBB113_467:
	s_mov_b32 s2, -1
                                        ; implicit-def: $vgpr3_vgpr4
.LBB113_468:
	s_delay_alu instid0(SALU_CYCLE_1)
	s_and_b32 vcc_lo, exec_lo, s2
	s_cbranch_vccz .LBB113_470
; %bb.469:
	global_load_u8 v3, v[1:2], off
	s_waitcnt vmcnt(0)
	v_lshlrev_b32_e32 v3, 24, v3
	s_delay_alu instid0(VALU_DEP_1) | instskip(NEXT) | instid1(VALU_DEP_1)
	v_and_b32_e32 v4, 0x7f000000, v3
	v_clz_i32_u32_e32 v5, v4
	v_add_nc_u32_e32 v7, 0x1000000, v4
	v_cmp_ne_u32_e32 vcc_lo, 0, v4
	s_delay_alu instid0(VALU_DEP_3) | instskip(NEXT) | instid1(VALU_DEP_1)
	v_min_u32_e32 v5, 32, v5
	v_sub_nc_u32_e64 v5, v5, 4 clamp
	s_delay_alu instid0(VALU_DEP_1) | instskip(SKIP_1) | instid1(VALU_DEP_2)
	v_lshlrev_b32_e32 v6, v5, v4
	v_lshlrev_b32_e32 v5, 23, v5
	v_lshrrev_b32_e32 v6, 4, v6
	s_delay_alu instid0(VALU_DEP_1) | instskip(SKIP_1) | instid1(VALU_DEP_2)
	v_sub_nc_u32_e32 v5, v6, v5
	v_ashrrev_i32_e32 v6, 8, v7
	v_add_nc_u32_e32 v5, 0x3c000000, v5
	s_delay_alu instid0(VALU_DEP_1) | instskip(NEXT) | instid1(VALU_DEP_1)
	v_and_or_b32 v5, 0x7f800000, v6, v5
	v_cndmask_b32_e32 v4, 0, v5, vcc_lo
	s_delay_alu instid0(VALU_DEP_1) | instskip(NEXT) | instid1(VALU_DEP_1)
	v_and_or_b32 v3, 0x80000000, v3, v4
	v_cvt_f64_f32_e32 v[3:4], v3
.LBB113_470:
	s_mov_b32 s2, 0
.LBB113_471:
	s_delay_alu instid0(SALU_CYCLE_1)
	s_and_not1_b32 vcc_lo, exec_lo, s2
	s_cbranch_vccnz .LBB113_473
; %bb.472:
	global_load_u8 v3, v[1:2], off
	s_waitcnt vmcnt(0)
	v_lshlrev_b32_e32 v4, 25, v3
	v_lshlrev_b16 v3, 8, v3
	s_delay_alu instid0(VALU_DEP_2) | instskip(NEXT) | instid1(VALU_DEP_2)
	v_lshrrev_b32_e32 v5, 4, v4
	v_and_or_b32 v6, 0x7f00, v3, 0.5
	v_bfe_i32 v3, v3, 0, 16
	s_delay_alu instid0(VALU_DEP_3) | instskip(NEXT) | instid1(VALU_DEP_1)
	v_or_b32_e32 v5, 0x70000000, v5
	v_dual_add_f32 v6, -0.5, v6 :: v_dual_mul_f32 v5, 0x7800000, v5
	v_cmp_gt_u32_e32 vcc_lo, 0x8000000, v4
	s_delay_alu instid0(VALU_DEP_2) | instskip(NEXT) | instid1(VALU_DEP_1)
	v_cndmask_b32_e32 v4, v5, v6, vcc_lo
	v_and_or_b32 v3, 0x80000000, v3, v4
	s_delay_alu instid0(VALU_DEP_1)
	v_cvt_f64_f32_e32 v[3:4], v3
.LBB113_473:
	s_mov_b32 s3, 0
	s_mov_b32 s2, -1
.LBB113_474:
	s_and_not1_b32 vcc_lo, exec_lo, s3
	s_cbranch_vccnz .LBB113_485
; %bb.475:
	v_cmp_lt_i16_e32 vcc_lo, 14, v9
	s_cbranch_vccz .LBB113_478
; %bb.476:
	v_cmp_eq_u16_e32 vcc_lo, 15, v9
	s_cbranch_vccz .LBB113_479
; %bb.477:
	global_load_u16 v3, v[1:2], off
	s_mov_b32 s2, -1
	s_mov_b32 s22, 0
	s_waitcnt vmcnt(0)
	v_lshlrev_b32_e32 v3, 16, v3
	s_delay_alu instid0(VALU_DEP_1)
	v_cvt_f64_f32_e32 v[3:4], v3
	s_branch .LBB113_480
.LBB113_478:
	s_mov_b32 s3, -1
                                        ; implicit-def: $vgpr3_vgpr4
	s_branch .LBB113_481
.LBB113_479:
	s_mov_b32 s22, -1
                                        ; implicit-def: $vgpr3_vgpr4
.LBB113_480:
	s_mov_b32 s3, 0
.LBB113_481:
	s_delay_alu instid0(SALU_CYCLE_1)
	s_and_b32 vcc_lo, exec_lo, s3
	s_cbranch_vccz .LBB113_485
; %bb.482:
	v_cmp_eq_u16_e32 vcc_lo, 11, v9
	s_cbranch_vccz .LBB113_484
; %bb.483:
	global_load_u8 v3, v[1:2], off
	s_mov_b32 s22, 0
	s_mov_b32 s2, -1
	s_waitcnt vmcnt(0)
	v_cmp_ne_u16_e32 vcc_lo, 0, v3
	v_mov_b32_e32 v3, 0
	v_cndmask_b32_e64 v4, 0, 0x3ff00000, vcc_lo
	s_branch .LBB113_485
.LBB113_484:
	s_mov_b32 s22, -1
                                        ; implicit-def: $vgpr3_vgpr4
.LBB113_485:
	s_branch .LBB113_288
.LBB113_486:
	v_cmp_gt_i16_e32 vcc_lo, 5, v9
	s_cbranch_vccnz .LBB113_491
; %bb.487:
	v_cmp_gt_i16_e32 vcc_lo, 8, v9
	s_cbranch_vccnz .LBB113_492
; %bb.488:
	;; [unrolled: 3-line block ×3, first 2 shown]
	v_cmp_lt_i16_e32 vcc_lo, 9, v9
	s_cbranch_vccz .LBB113_494
; %bb.490:
	global_load_b64 v[3:4], v[1:2], off
	s_mov_b32 s2, 0
	s_branch .LBB113_495
.LBB113_491:
	s_mov_b32 s2, -1
                                        ; implicit-def: $vgpr3_vgpr4
	s_branch .LBB113_513
.LBB113_492:
	s_mov_b32 s2, -1
                                        ; implicit-def: $vgpr3_vgpr4
	s_branch .LBB113_501
.LBB113_493:
	s_mov_b32 s2, -1
                                        ; implicit-def: $vgpr3_vgpr4
	s_branch .LBB113_498
.LBB113_494:
	s_mov_b32 s2, -1
                                        ; implicit-def: $vgpr3_vgpr4
.LBB113_495:
	s_delay_alu instid0(SALU_CYCLE_1)
	s_and_not1_b32 vcc_lo, exec_lo, s2
	s_cbranch_vccnz .LBB113_497
; %bb.496:
	global_load_b32 v3, v[1:2], off
	s_waitcnt vmcnt(0)
	v_cvt_f64_f32_e32 v[3:4], v3
.LBB113_497:
	s_mov_b32 s2, 0
.LBB113_498:
	s_delay_alu instid0(SALU_CYCLE_1)
	s_and_not1_b32 vcc_lo, exec_lo, s2
	s_cbranch_vccnz .LBB113_500
; %bb.499:
	global_load_b32 v3, v[1:2], off
	s_waitcnt vmcnt(0)
	v_cvt_f32_f16_e32 v3, v3
	s_delay_alu instid0(VALU_DEP_1)
	v_cvt_f64_f32_e32 v[3:4], v3
.LBB113_500:
	s_mov_b32 s2, 0
.LBB113_501:
	s_delay_alu instid0(SALU_CYCLE_1)
	s_and_not1_b32 vcc_lo, exec_lo, s2
	s_cbranch_vccnz .LBB113_512
; %bb.502:
	v_cmp_gt_i16_e32 vcc_lo, 6, v9
	s_cbranch_vccnz .LBB113_505
; %bb.503:
	v_cmp_lt_i16_e32 vcc_lo, 6, v9
	s_cbranch_vccz .LBB113_506
; %bb.504:
	global_load_b64 v[3:4], v[1:2], off
	s_mov_b32 s2, 0
	s_branch .LBB113_507
.LBB113_505:
	s_mov_b32 s2, -1
                                        ; implicit-def: $vgpr3_vgpr4
	s_branch .LBB113_510
.LBB113_506:
	s_mov_b32 s2, -1
                                        ; implicit-def: $vgpr3_vgpr4
.LBB113_507:
	s_delay_alu instid0(SALU_CYCLE_1)
	s_and_not1_b32 vcc_lo, exec_lo, s2
	s_cbranch_vccnz .LBB113_509
; %bb.508:
	global_load_b32 v3, v[1:2], off
	s_waitcnt vmcnt(0)
	v_cvt_f64_f32_e32 v[3:4], v3
.LBB113_509:
	s_mov_b32 s2, 0
.LBB113_510:
	s_delay_alu instid0(SALU_CYCLE_1)
	s_and_not1_b32 vcc_lo, exec_lo, s2
	s_cbranch_vccnz .LBB113_512
; %bb.511:
	global_load_u16 v3, v[1:2], off
	s_waitcnt vmcnt(0)
	v_cvt_f32_f16_e32 v3, v3
	s_delay_alu instid0(VALU_DEP_1)
	v_cvt_f64_f32_e32 v[3:4], v3
.LBB113_512:
	s_mov_b32 s2, 0
.LBB113_513:
	s_delay_alu instid0(SALU_CYCLE_1)
	s_and_not1_b32 vcc_lo, exec_lo, s2
	s_cbranch_vccnz .LBB113_533
; %bb.514:
	v_cmp_gt_i16_e32 vcc_lo, 2, v9
	s_cbranch_vccnz .LBB113_518
; %bb.515:
	v_cmp_gt_i16_e32 vcc_lo, 3, v9
	s_cbranch_vccnz .LBB113_519
; %bb.516:
	v_cmp_lt_i16_e32 vcc_lo, 3, v9
	s_cbranch_vccz .LBB113_520
; %bb.517:
	global_load_b64 v[3:4], v[1:2], off
	s_mov_b32 s2, 0
	s_waitcnt vmcnt(0)
	v_cvt_f64_i32_e32 v[4:5], v4
	v_cvt_f64_u32_e32 v[6:7], v3
	s_delay_alu instid0(VALU_DEP_2) | instskip(NEXT) | instid1(VALU_DEP_1)
	v_ldexp_f64 v[4:5], v[4:5], 32
	v_add_f64 v[3:4], v[4:5], v[6:7]
	s_branch .LBB113_521
.LBB113_518:
	s_mov_b32 s2, -1
                                        ; implicit-def: $vgpr3_vgpr4
	s_branch .LBB113_527
.LBB113_519:
	s_mov_b32 s2, -1
                                        ; implicit-def: $vgpr3_vgpr4
	s_branch .LBB113_524
.LBB113_520:
	s_mov_b32 s2, -1
                                        ; implicit-def: $vgpr3_vgpr4
.LBB113_521:
	s_delay_alu instid0(SALU_CYCLE_1)
	s_and_not1_b32 vcc_lo, exec_lo, s2
	s_cbranch_vccnz .LBB113_523
; %bb.522:
	global_load_b32 v3, v[1:2], off
	s_waitcnt vmcnt(0)
	v_cvt_f64_i32_e32 v[3:4], v3
.LBB113_523:
	s_mov_b32 s2, 0
.LBB113_524:
	s_delay_alu instid0(SALU_CYCLE_1)
	s_and_not1_b32 vcc_lo, exec_lo, s2
	s_cbranch_vccnz .LBB113_526
; %bb.525:
	global_load_i16 v3, v[1:2], off
	s_waitcnt vmcnt(0)
	v_cvt_f64_i32_e32 v[3:4], v3
.LBB113_526:
	s_mov_b32 s2, 0
.LBB113_527:
	s_delay_alu instid0(SALU_CYCLE_1)
	s_and_not1_b32 vcc_lo, exec_lo, s2
	s_cbranch_vccnz .LBB113_533
; %bb.528:
	v_cmp_lt_i16_e32 vcc_lo, 0, v9
	s_mov_b32 s2, 0
	s_cbranch_vccz .LBB113_530
; %bb.529:
	global_load_i8 v3, v[1:2], off
	s_waitcnt vmcnt(0)
	v_cvt_f64_i32_e32 v[3:4], v3
	s_branch .LBB113_531
.LBB113_530:
	s_mov_b32 s2, -1
                                        ; implicit-def: $vgpr3_vgpr4
.LBB113_531:
	s_delay_alu instid0(SALU_CYCLE_1)
	s_and_not1_b32 vcc_lo, exec_lo, s2
	s_cbranch_vccnz .LBB113_533
; %bb.532:
	global_load_u8 v1, v[1:2], off
	s_waitcnt vmcnt(0)
	v_cvt_f64_u32_e32 v[3:4], v1
.LBB113_533:
	s_branch .LBB113_289
.LBB113_534:
	s_mov_b32 s3, 0
	s_mov_b32 s2, s34
.LBB113_535:
                                        ; implicit-def: $vgpr10
.LBB113_536:
	s_and_not1_b32 s23, s34, exec_lo
	s_and_b32 s2, s2, exec_lo
	s_and_not1_b32 s37, s35, exec_lo
	s_and_b32 s22, s22, exec_lo
	s_or_b32 s38, s23, s2
	s_or_b32 s37, s37, s22
	s_or_not1_b32 s2, s3, exec_lo
.LBB113_537:
	s_or_b32 exec_lo, exec_lo, s39
	s_mov_b32 s3, 0
	s_mov_b32 s23, 0
	;; [unrolled: 1-line block ×3, first 2 shown]
                                        ; implicit-def: $vgpr0_vgpr1
                                        ; implicit-def: $vgpr2
                                        ; implicit-def: $vgpr6_vgpr7
	s_and_saveexec_b32 s39, s2
	s_cbranch_execz .LBB113_909
; %bb.538:
	s_mov_b32 s42, -1
	s_mov_b32 s22, s37
	s_mov_b32 s23, s38
	s_mov_b32 s40, exec_lo
	v_cmpx_gt_i32_e64 s30, v10
	s_cbranch_execz .LBB113_810
; %bb.539:
	s_and_not1_b32 vcc_lo, exec_lo, s27
	s_cbranch_vccnz .LBB113_544
; %bb.540:
	v_dual_mov_b32 v0, 0 :: v_dual_mov_b32 v1, 0
	s_and_not1_b32 vcc_lo, exec_lo, s33
	s_mov_b32 s41, 0
	s_cbranch_vccnz .LBB113_549
; %bb.541:
	v_mov_b32_e32 v0, 0
	s_add_i32 s43, s31, 1
	s_cmp_eq_u32 s25, 2
	s_mov_b32 s42, 0
	s_cbranch_scc1 .LBB113_545
; %bb.542:
	v_dual_mov_b32 v1, 0 :: v_dual_mov_b32 v0, 0
	v_mov_b32_e32 v2, v10
	s_and_b32 s42, s43, 28
	s_mov_b32 s44, 0
	s_mov_b64 s[2:3], s[20:21]
	s_mov_b64 s[22:23], s[16:17]
.LBB113_543:                            ; =>This Inner Loop Header: Depth=1
	s_clause 0x1
	s_load_b256 s[48:55], s[22:23], 0x4
	s_load_b128 s[64:67], s[22:23], 0x24
	s_load_b256 s[56:63], s[2:3], 0x0
	s_add_u32 s22, s22, 48
	s_addc_u32 s23, s23, 0
	s_add_i32 s44, s44, 4
	s_add_u32 s2, s2, 32
	s_addc_u32 s3, s3, 0
	s_cmp_eq_u32 s42, s44
	s_waitcnt vmcnt(0) lgkmcnt(0)
	v_mul_hi_u32 v3, s49, v2
	s_delay_alu instid0(VALU_DEP_1) | instskip(NEXT) | instid1(VALU_DEP_1)
	v_add_nc_u32_e32 v3, v2, v3
	v_lshrrev_b32_e32 v3, s50, v3
	s_delay_alu instid0(VALU_DEP_1) | instskip(SKIP_1) | instid1(VALU_DEP_2)
	v_mul_hi_u32 v4, s52, v3
	v_mul_lo_u32 v6, v3, s48
	v_add_nc_u32_e32 v4, v3, v4
	s_delay_alu instid0(VALU_DEP_2) | instskip(NEXT) | instid1(VALU_DEP_2)
	v_sub_nc_u32_e32 v2, v2, v6
	v_lshrrev_b32_e32 v4, s53, v4
	s_delay_alu instid0(VALU_DEP_2) | instskip(SKIP_1) | instid1(VALU_DEP_3)
	v_mul_lo_u32 v6, v2, s56
	v_mul_lo_u32 v11, v2, s57
	v_mul_hi_u32 v5, s55, v4
	s_delay_alu instid0(VALU_DEP_1) | instskip(NEXT) | instid1(VALU_DEP_1)
	v_add_nc_u32_e32 v5, v4, v5
	v_lshrrev_b32_e32 v5, s64, v5
	s_delay_alu instid0(VALU_DEP_1) | instskip(SKIP_1) | instid1(VALU_DEP_2)
	v_mul_hi_u32 v7, s66, v5
	v_mul_lo_u32 v12, v5, s54
	v_add_nc_u32_e32 v2, v5, v7
	v_mul_lo_u32 v7, v4, s51
	s_delay_alu instid0(VALU_DEP_3) | instskip(NEXT) | instid1(VALU_DEP_3)
	v_sub_nc_u32_e32 v4, v4, v12
	v_lshrrev_b32_e32 v2, s67, v2
	s_delay_alu instid0(VALU_DEP_2) | instskip(SKIP_2) | instid1(VALU_DEP_4)
	v_mul_lo_u32 v12, v4, s60
	v_mul_lo_u32 v4, v4, s61
	v_sub_nc_u32_e32 v3, v3, v7
	v_mul_lo_u32 v13, v2, s65
	s_delay_alu instid0(VALU_DEP_2) | instskip(SKIP_1) | instid1(VALU_DEP_3)
	v_mul_lo_u32 v7, v3, s58
	v_mul_lo_u32 v3, v3, s59
	v_sub_nc_u32_e32 v5, v5, v13
	s_delay_alu instid0(VALU_DEP_3) | instskip(NEXT) | instid1(VALU_DEP_2)
	v_add3_u32 v0, v6, v0, v7
	v_mul_lo_u32 v13, v5, s62
	v_mul_lo_u32 v5, v5, s63
	v_add3_u32 v1, v11, v1, v3
	s_delay_alu instid0(VALU_DEP_3) | instskip(NEXT) | instid1(VALU_DEP_2)
	v_add3_u32 v0, v12, v0, v13
	v_add3_u32 v1, v4, v1, v5
	s_cbranch_scc0 .LBB113_543
	s_branch .LBB113_546
.LBB113_544:
	s_mov_b32 s41, -1
                                        ; implicit-def: $vgpr0
                                        ; implicit-def: $vgpr1
	s_branch .LBB113_549
.LBB113_545:
	v_dual_mov_b32 v2, v10 :: v_dual_mov_b32 v1, 0
.LBB113_546:
	s_and_b32 s43, s43, 3
	s_delay_alu instid0(SALU_CYCLE_1)
	s_cmp_eq_u32 s43, 0
	s_cbranch_scc1 .LBB113_549
; %bb.547:
	s_lshl_b32 s2, s42, 3
	s_mul_i32 s22, s42, 12
	s_add_u32 s2, s2, s16
	s_addc_u32 s3, s17, 0
	s_add_u32 s2, s2, 0xc4
	s_addc_u32 s3, s3, 0
	;; [unrolled: 2-line block ×3, first 2 shown]
	.p2align	6
.LBB113_548:                            ; =>This Inner Loop Header: Depth=1
	s_clause 0x1
	s_load_b64 s[44:45], s[22:23], 0x4
	s_load_b32 s42, s[22:23], 0xc
	s_load_b64 s[46:47], s[2:3], 0x0
	s_add_u32 s22, s22, 12
	s_addc_u32 s23, s23, 0
	s_add_u32 s2, s2, 8
	s_addc_u32 s3, s3, 0
	s_add_i32 s43, s43, -1
	s_delay_alu instid0(SALU_CYCLE_1) | instskip(SKIP_2) | instid1(VALU_DEP_1)
	s_cmp_lg_u32 s43, 0
	s_waitcnt vmcnt(0) lgkmcnt(0)
	v_mul_hi_u32 v3, s45, v2
	v_add_nc_u32_e32 v3, v2, v3
	s_delay_alu instid0(VALU_DEP_1) | instskip(NEXT) | instid1(VALU_DEP_1)
	v_lshrrev_b32_e32 v6, s42, v3
	v_mul_lo_u32 v3, v6, s44
	s_delay_alu instid0(VALU_DEP_1) | instskip(NEXT) | instid1(VALU_DEP_1)
	v_sub_nc_u32_e32 v2, v2, v3
	v_mad_u64_u32 v[3:4], null, v2, s46, v[0:1]
	v_mad_u64_u32 v[4:5], null, v2, s47, v[1:2]
	v_mov_b32_e32 v2, v6
	s_delay_alu instid0(VALU_DEP_2)
	v_dual_mov_b32 v0, v3 :: v_dual_mov_b32 v1, v4
	s_cbranch_scc1 .LBB113_548
.LBB113_549:
	s_and_not1_b32 vcc_lo, exec_lo, s41
	s_cbranch_vccnz .LBB113_552
; %bb.550:
	s_waitcnt lgkmcnt(0)
	v_mul_hi_u32 v0, s13, v10
	s_and_not1_b32 vcc_lo, exec_lo, s29
	s_delay_alu instid0(VALU_DEP_1) | instskip(NEXT) | instid1(VALU_DEP_1)
	v_add_nc_u32_e32 v0, v10, v0
	v_lshrrev_b32_e32 v2, s14, v0
	s_delay_alu instid0(VALU_DEP_1) | instskip(NEXT) | instid1(VALU_DEP_1)
	v_mul_lo_u32 v0, v2, s12
	v_sub_nc_u32_e32 v1, v10, v0
	s_delay_alu instid0(VALU_DEP_1)
	v_mul_lo_u32 v0, v1, s8
	v_mul_lo_u32 v1, v1, s9
	s_cbranch_vccnz .LBB113_552
; %bb.551:
	s_waitcnt vmcnt(0)
	v_mul_hi_u32 v3, s18, v2
	s_delay_alu instid0(VALU_DEP_1) | instskip(NEXT) | instid1(VALU_DEP_1)
	v_add_nc_u32_e32 v3, v2, v3
	v_lshrrev_b32_e32 v3, s19, v3
	s_delay_alu instid0(VALU_DEP_1) | instskip(NEXT) | instid1(VALU_DEP_1)
	v_mul_lo_u32 v3, v3, s15
	v_sub_nc_u32_e32 v5, v2, v3
	s_delay_alu instid0(VALU_DEP_1) | instskip(NEXT) | instid1(VALU_DEP_1)
	v_mad_u64_u32 v[2:3], null, v5, s10, v[0:1]
	v_mad_u64_u32 v[3:4], null, v5, s11, v[1:2]
	s_delay_alu instid0(VALU_DEP_1)
	v_dual_mov_b32 v0, v2 :: v_dual_mov_b32 v1, v3
.LBB113_552:
	v_cmp_gt_i16_e32 vcc_lo, 11, v9
	s_waitcnt lgkmcnt(0)
	s_delay_alu instid0(VALU_DEP_2) | instskip(NEXT) | instid1(VALU_DEP_1)
	v_add_co_u32 v1, s2, s6, v1
	v_add_co_ci_u32_e64 v2, null, s7, 0, s2
	s_mov_b32 s2, 0
	s_cbranch_vccnz .LBB113_559
; %bb.553:
	v_cmp_lt_i16_e32 vcc_lo, 25, v9
	s_cbranch_vccz .LBB113_560
; %bb.554:
	v_cmp_lt_i16_e32 vcc_lo, 28, v9
	s_cbranch_vccz .LBB113_561
	;; [unrolled: 3-line block ×4, first 2 shown]
; %bb.557:
	v_cmp_eq_u16_e32 vcc_lo, 46, v9
	s_mov_b32 s3, 0
	s_cbranch_vccz .LBB113_568
; %bb.558:
	global_load_b32 v3, v[1:2], off
	s_mov_b32 s2, -1
	s_mov_b32 s22, 0
	s_waitcnt vmcnt(0)
	v_lshlrev_b32_e32 v3, 16, v3
	s_delay_alu instid0(VALU_DEP_1)
	v_cvt_f64_f32_e32 v[3:4], v3
	s_branch .LBB113_570
.LBB113_559:
	s_mov_b32 s3, -1
	s_mov_b32 s22, s37
                                        ; implicit-def: $vgpr3_vgpr4
	s_branch .LBB113_635
.LBB113_560:
	s_mov_b32 s3, -1
	s_mov_b32 s22, s37
                                        ; implicit-def: $vgpr3_vgpr4
	s_branch .LBB113_601
.LBB113_561:
	s_mov_b32 s3, -1
	s_mov_b32 s22, s37
                                        ; implicit-def: $vgpr3_vgpr4
	s_branch .LBB113_580
.LBB113_562:
	s_mov_b32 s3, -1
	s_mov_b32 s22, s37
                                        ; implicit-def: $vgpr3_vgpr4
	s_branch .LBB113_575
.LBB113_563:
	s_or_saveexec_b32 s37, s37
                                        ; implicit-def: $sgpr38
	s_delay_alu instid0(SALU_CYCLE_1)
	s_xor_b32 exec_lo, exec_lo, s37
	s_cbranch_execz .LBB113_374
.LBB113_564:
	v_add_f32_e64 v3, 0x46000000, |v2|
	s_and_not1_b32 s23, s23, exec_lo
	s_mov_b32 s38, 0
	s_delay_alu instid0(VALU_DEP_1) | instskip(NEXT) | instid1(VALU_DEP_1)
	v_and_b32_e32 v3, 0xff, v3
	v_cmp_ne_u32_e32 vcc_lo, 0, v3
	s_and_b32 s40, vcc_lo, exec_lo
	s_delay_alu instid0(SALU_CYCLE_1)
	s_or_b32 s23, s23, s40
	s_or_b32 exec_lo, exec_lo, s37
	v_mov_b32_e32 v7, s38
	s_and_saveexec_b32 s37, s23
	s_cbranch_execnz .LBB113_375
	s_branch .LBB113_376
.LBB113_565:
	s_mov_b32 s3, -1
	s_mov_b32 s22, s37
	s_branch .LBB113_569
.LBB113_566:
	s_or_saveexec_b32 s37, s37
                                        ; implicit-def: $sgpr38
	s_delay_alu instid0(SALU_CYCLE_1)
	s_xor_b32 exec_lo, exec_lo, s37
	s_cbranch_execz .LBB113_387
.LBB113_567:
	v_add_f32_e64 v3, 0x42800000, |v2|
	s_and_not1_b32 s23, s23, exec_lo
	s_mov_b32 s38, 0
	s_delay_alu instid0(VALU_DEP_1) | instskip(NEXT) | instid1(VALU_DEP_1)
	v_and_b32_e32 v3, 0xff, v3
	v_cmp_ne_u32_e32 vcc_lo, 0, v3
	s_and_b32 s40, vcc_lo, exec_lo
	s_delay_alu instid0(SALU_CYCLE_1)
	s_or_b32 s23, s23, s40
	s_or_b32 exec_lo, exec_lo, s37
	v_mov_b32_e32 v7, s38
	s_and_saveexec_b32 s37, s23
	s_cbranch_execnz .LBB113_388
	s_branch .LBB113_389
.LBB113_568:
	s_mov_b32 s22, -1
.LBB113_569:
                                        ; implicit-def: $vgpr3_vgpr4
.LBB113_570:
	s_and_b32 vcc_lo, exec_lo, s3
	s_cbranch_vccz .LBB113_574
; %bb.571:
	v_cmp_eq_u16_e32 vcc_lo, 44, v9
	s_cbranch_vccz .LBB113_573
; %bb.572:
	global_load_u8 v5, v[1:2], off
	s_mov_b32 s22, 0
	s_mov_b32 s2, -1
	s_waitcnt vmcnt(0)
	v_cmp_ne_u32_e32 vcc_lo, 0xff, v5
	v_lshlrev_b32_e32 v3, 23, v5
	s_delay_alu instid0(VALU_DEP_1) | instskip(NEXT) | instid1(VALU_DEP_1)
	v_cvt_f64_f32_e32 v[3:4], v3
	v_cndmask_b32_e32 v4, 0x7ff80000, v4, vcc_lo
	s_delay_alu instid0(VALU_DEP_2) | instskip(SKIP_1) | instid1(VALU_DEP_3)
	v_cndmask_b32_e32 v3, 0x20000000, v3, vcc_lo
	v_cmp_ne_u32_e32 vcc_lo, 0, v5
	v_cndmask_b32_e32 v4, 0x38000000, v4, vcc_lo
	s_delay_alu instid0(VALU_DEP_3)
	v_cndmask_b32_e32 v3, 0, v3, vcc_lo
	s_branch .LBB113_574
.LBB113_573:
	s_mov_b32 s22, -1
                                        ; implicit-def: $vgpr3_vgpr4
.LBB113_574:
	s_mov_b32 s3, 0
.LBB113_575:
	s_delay_alu instid0(SALU_CYCLE_1)
	s_and_b32 vcc_lo, exec_lo, s3
	s_cbranch_vccz .LBB113_579
; %bb.576:
	v_cmp_eq_u16_e32 vcc_lo, 29, v9
	s_cbranch_vccz .LBB113_578
; %bb.577:
	global_load_b64 v[3:4], v[1:2], off
	s_mov_b32 s2, -1
	s_mov_b32 s22, 0
	s_mov_b32 s3, 0
	s_waitcnt vmcnt(0)
	v_cvt_f64_u32_e32 v[4:5], v4
	v_cvt_f64_u32_e32 v[6:7], v3
	s_delay_alu instid0(VALU_DEP_2) | instskip(NEXT) | instid1(VALU_DEP_1)
	v_ldexp_f64 v[4:5], v[4:5], 32
	v_add_f64 v[3:4], v[4:5], v[6:7]
	s_branch .LBB113_580
.LBB113_578:
	s_mov_b32 s22, -1
                                        ; implicit-def: $vgpr3_vgpr4
.LBB113_579:
	s_mov_b32 s3, 0
.LBB113_580:
	s_delay_alu instid0(SALU_CYCLE_1)
	s_and_b32 vcc_lo, exec_lo, s3
	s_cbranch_vccz .LBB113_600
; %bb.581:
	v_cmp_gt_i16_e32 vcc_lo, 27, v9
	s_cbranch_vccnz .LBB113_584
; %bb.582:
	v_cmp_lt_i16_e32 vcc_lo, 27, v9
	s_cbranch_vccz .LBB113_585
; %bb.583:
	global_load_b32 v3, v[1:2], off
	s_mov_b32 s2, 0
	s_waitcnt vmcnt(0)
	v_cvt_f64_u32_e32 v[3:4], v3
	s_branch .LBB113_586
.LBB113_584:
	s_mov_b32 s2, -1
                                        ; implicit-def: $vgpr3_vgpr4
	s_branch .LBB113_589
.LBB113_585:
	s_mov_b32 s2, -1
                                        ; implicit-def: $vgpr3_vgpr4
.LBB113_586:
	s_delay_alu instid0(SALU_CYCLE_1)
	s_and_not1_b32 vcc_lo, exec_lo, s2
	s_cbranch_vccnz .LBB113_588
; %bb.587:
	global_load_u16 v3, v[1:2], off
	s_waitcnt vmcnt(0)
	v_cvt_f64_u32_e32 v[3:4], v3
.LBB113_588:
	s_mov_b32 s2, 0
.LBB113_589:
	s_delay_alu instid0(SALU_CYCLE_1)
	s_and_not1_b32 vcc_lo, exec_lo, s2
	s_cbranch_vccnz .LBB113_599
; %bb.590:
	global_load_u8 v5, v[1:2], off
	s_mov_b32 s23, 0
	s_mov_b32 s41, exec_lo
                                        ; implicit-def: $sgpr2_sgpr3
	s_waitcnt vmcnt(0)
	v_cmpx_lt_i16_e32 0x7f, v5
	s_xor_b32 s41, exec_lo, s41
	s_cbranch_execz .LBB113_594
; %bb.591:
	s_mov_b32 s42, -1
	s_mov_b32 s23, exec_lo
                                        ; implicit-def: $sgpr2_sgpr3
	v_cmpx_eq_u16_e32 0x80, v5
; %bb.592:
	s_mov_b32 s3, 0x7ff80000
	s_brev_b32 s2, 4
	s_xor_b32 s42, exec_lo, -1
; %bb.593:
	s_or_b32 exec_lo, exec_lo, s23
	s_delay_alu instid0(SALU_CYCLE_1)
	s_and_b32 s23, s42, exec_lo
.LBB113_594:
	s_or_saveexec_b32 s41, s41
	v_dual_mov_b32 v4, s3 :: v_dual_mov_b32 v3, s2
	s_xor_b32 exec_lo, exec_lo, s41
; %bb.595:
	v_cmp_ne_u16_e32 vcc_lo, 0, v5
	v_mov_b32_e32 v3, 0
	v_mov_b32_e32 v4, 0
	s_and_not1_b32 s2, s23, exec_lo
	s_and_b32 s3, vcc_lo, exec_lo
	s_delay_alu instid0(SALU_CYCLE_1)
	s_or_b32 s23, s2, s3
; %bb.596:
	s_or_b32 exec_lo, exec_lo, s41
	s_and_saveexec_b32 s2, s23
	s_cbranch_execz .LBB113_598
; %bb.597:
	v_and_b32_e32 v3, 0xffff, v5
	v_lshlrev_b32_e32 v5, 24, v5
	s_delay_alu instid0(VALU_DEP_2) | instskip(NEXT) | instid1(VALU_DEP_2)
	v_and_b32_e32 v4, 7, v3
	v_and_b32_e32 v5, 0x80000000, v5
	s_delay_alu instid0(VALU_DEP_2) | instskip(NEXT) | instid1(VALU_DEP_1)
	v_clz_i32_u32_e32 v6, v4
	v_min_u32_e32 v6, 32, v6
	s_delay_alu instid0(VALU_DEP_1) | instskip(SKIP_1) | instid1(VALU_DEP_2)
	v_subrev_nc_u32_e32 v7, 28, v6
	v_sub_nc_u32_e32 v6, 29, v6
	v_lshlrev_b32_e32 v7, v7, v3
	v_bfe_u32 v3, v3, 3, 4
	s_delay_alu instid0(VALU_DEP_2) | instskip(NEXT) | instid1(VALU_DEP_2)
	v_and_b32_e32 v7, 7, v7
	v_cmp_eq_u32_e32 vcc_lo, 0, v3
	s_delay_alu instid0(VALU_DEP_2) | instskip(NEXT) | instid1(VALU_DEP_1)
	v_dual_cndmask_b32 v3, v3, v6 :: v_dual_cndmask_b32 v4, v4, v7
	v_lshl_add_u32 v3, v3, 23, 0x3b800000
	s_delay_alu instid0(VALU_DEP_2) | instskip(NEXT) | instid1(VALU_DEP_1)
	v_lshlrev_b32_e32 v4, 20, v4
	v_or3_b32 v3, v5, v3, v4
	s_delay_alu instid0(VALU_DEP_1)
	v_cvt_f64_f32_e32 v[3:4], v3
.LBB113_598:
	s_or_b32 exec_lo, exec_lo, s2
.LBB113_599:
	s_mov_b32 s2, -1
.LBB113_600:
	s_mov_b32 s3, 0
.LBB113_601:
	s_delay_alu instid0(SALU_CYCLE_1)
	s_and_b32 vcc_lo, exec_lo, s3
	s_cbranch_vccz .LBB113_634
; %bb.602:
	v_cmp_lt_i16_e32 vcc_lo, 22, v9
	s_cbranch_vccz .LBB113_614
; %bb.603:
	v_cmp_gt_i16_e32 vcc_lo, 24, v9
	s_cbranch_vccnz .LBB113_615
; %bb.604:
	v_cmp_lt_i16_e32 vcc_lo, 24, v9
	s_cbranch_vccz .LBB113_616
; %bb.605:
	global_load_u8 v5, v[1:2], off
	s_mov_b32 s23, 0
	s_mov_b32 s41, exec_lo
                                        ; implicit-def: $sgpr2_sgpr3
	s_waitcnt vmcnt(0)
	v_cmpx_lt_i16_e32 0x7f, v5
	s_xor_b32 s41, exec_lo, s41
	s_cbranch_execz .LBB113_609
; %bb.606:
	s_mov_b32 s42, -1
	s_mov_b32 s23, exec_lo
                                        ; implicit-def: $sgpr2_sgpr3
	v_cmpx_eq_u16_e32 0x80, v5
; %bb.607:
	s_mov_b32 s3, 0x7ff80000
	s_brev_b32 s2, 4
	s_xor_b32 s42, exec_lo, -1
; %bb.608:
	s_or_b32 exec_lo, exec_lo, s23
	s_delay_alu instid0(SALU_CYCLE_1)
	s_and_b32 s23, s42, exec_lo
.LBB113_609:
	s_or_saveexec_b32 s41, s41
	v_dual_mov_b32 v4, s3 :: v_dual_mov_b32 v3, s2
	s_xor_b32 exec_lo, exec_lo, s41
; %bb.610:
	v_cmp_ne_u16_e32 vcc_lo, 0, v5
	v_mov_b32_e32 v3, 0
	v_mov_b32_e32 v4, 0
	s_and_not1_b32 s2, s23, exec_lo
	s_and_b32 s3, vcc_lo, exec_lo
	s_delay_alu instid0(SALU_CYCLE_1)
	s_or_b32 s23, s2, s3
; %bb.611:
	s_or_b32 exec_lo, exec_lo, s41
	s_and_saveexec_b32 s2, s23
	s_cbranch_execz .LBB113_613
; %bb.612:
	v_and_b32_e32 v3, 0xffff, v5
	v_lshlrev_b32_e32 v5, 24, v5
	s_delay_alu instid0(VALU_DEP_2) | instskip(NEXT) | instid1(VALU_DEP_2)
	v_and_b32_e32 v4, 3, v3
	v_and_b32_e32 v5, 0x80000000, v5
	s_delay_alu instid0(VALU_DEP_2) | instskip(NEXT) | instid1(VALU_DEP_1)
	v_clz_i32_u32_e32 v6, v4
	v_min_u32_e32 v6, 32, v6
	s_delay_alu instid0(VALU_DEP_1) | instskip(SKIP_1) | instid1(VALU_DEP_2)
	v_subrev_nc_u32_e32 v7, 29, v6
	v_sub_nc_u32_e32 v6, 30, v6
	v_lshlrev_b32_e32 v7, v7, v3
	v_bfe_u32 v3, v3, 2, 5
	s_delay_alu instid0(VALU_DEP_2) | instskip(NEXT) | instid1(VALU_DEP_2)
	v_and_b32_e32 v7, 3, v7
	v_cmp_eq_u32_e32 vcc_lo, 0, v3
	s_delay_alu instid0(VALU_DEP_2) | instskip(NEXT) | instid1(VALU_DEP_1)
	v_dual_cndmask_b32 v3, v3, v6 :: v_dual_cndmask_b32 v4, v4, v7
	v_lshl_add_u32 v3, v3, 23, 0x37800000
	s_delay_alu instid0(VALU_DEP_2) | instskip(NEXT) | instid1(VALU_DEP_1)
	v_lshlrev_b32_e32 v4, 21, v4
	v_or3_b32 v3, v5, v3, v4
	s_delay_alu instid0(VALU_DEP_1)
	v_cvt_f64_f32_e32 v[3:4], v3
.LBB113_613:
	s_or_b32 exec_lo, exec_lo, s2
	s_mov_b32 s2, 0
	s_branch .LBB113_617
.LBB113_614:
	s_mov_b32 s3, -1
                                        ; implicit-def: $vgpr3_vgpr4
	s_branch .LBB113_623
.LBB113_615:
	s_mov_b32 s2, -1
                                        ; implicit-def: $vgpr3_vgpr4
	s_branch .LBB113_620
.LBB113_616:
	s_mov_b32 s2, -1
                                        ; implicit-def: $vgpr3_vgpr4
.LBB113_617:
	s_delay_alu instid0(SALU_CYCLE_1)
	s_and_b32 vcc_lo, exec_lo, s2
	s_cbranch_vccz .LBB113_619
; %bb.618:
	global_load_u8 v3, v[1:2], off
	s_waitcnt vmcnt(0)
	v_lshlrev_b32_e32 v3, 24, v3
	s_delay_alu instid0(VALU_DEP_1) | instskip(NEXT) | instid1(VALU_DEP_1)
	v_and_b32_e32 v4, 0x7f000000, v3
	v_clz_i32_u32_e32 v5, v4
	v_add_nc_u32_e32 v7, 0x1000000, v4
	v_cmp_ne_u32_e32 vcc_lo, 0, v4
	s_delay_alu instid0(VALU_DEP_3) | instskip(NEXT) | instid1(VALU_DEP_1)
	v_min_u32_e32 v5, 32, v5
	v_sub_nc_u32_e64 v5, v5, 4 clamp
	s_delay_alu instid0(VALU_DEP_1) | instskip(SKIP_1) | instid1(VALU_DEP_2)
	v_lshlrev_b32_e32 v6, v5, v4
	v_lshlrev_b32_e32 v5, 23, v5
	v_lshrrev_b32_e32 v6, 4, v6
	s_delay_alu instid0(VALU_DEP_1) | instskip(SKIP_1) | instid1(VALU_DEP_2)
	v_sub_nc_u32_e32 v5, v6, v5
	v_ashrrev_i32_e32 v6, 8, v7
	v_add_nc_u32_e32 v5, 0x3c000000, v5
	s_delay_alu instid0(VALU_DEP_1) | instskip(NEXT) | instid1(VALU_DEP_1)
	v_and_or_b32 v5, 0x7f800000, v6, v5
	v_cndmask_b32_e32 v4, 0, v5, vcc_lo
	s_delay_alu instid0(VALU_DEP_1) | instskip(NEXT) | instid1(VALU_DEP_1)
	v_and_or_b32 v3, 0x80000000, v3, v4
	v_cvt_f64_f32_e32 v[3:4], v3
.LBB113_619:
	s_mov_b32 s2, 0
.LBB113_620:
	s_delay_alu instid0(SALU_CYCLE_1)
	s_and_not1_b32 vcc_lo, exec_lo, s2
	s_cbranch_vccnz .LBB113_622
; %bb.621:
	global_load_u8 v3, v[1:2], off
	s_waitcnt vmcnt(0)
	v_lshlrev_b32_e32 v4, 25, v3
	v_lshlrev_b16 v3, 8, v3
	s_delay_alu instid0(VALU_DEP_2) | instskip(NEXT) | instid1(VALU_DEP_2)
	v_lshrrev_b32_e32 v5, 4, v4
	v_and_or_b32 v6, 0x7f00, v3, 0.5
	v_bfe_i32 v3, v3, 0, 16
	s_delay_alu instid0(VALU_DEP_3) | instskip(NEXT) | instid1(VALU_DEP_1)
	v_or_b32_e32 v5, 0x70000000, v5
	v_dual_add_f32 v6, -0.5, v6 :: v_dual_mul_f32 v5, 0x7800000, v5
	v_cmp_gt_u32_e32 vcc_lo, 0x8000000, v4
	s_delay_alu instid0(VALU_DEP_2) | instskip(NEXT) | instid1(VALU_DEP_1)
	v_cndmask_b32_e32 v4, v5, v6, vcc_lo
	v_and_or_b32 v3, 0x80000000, v3, v4
	s_delay_alu instid0(VALU_DEP_1)
	v_cvt_f64_f32_e32 v[3:4], v3
.LBB113_622:
	s_mov_b32 s3, 0
	s_mov_b32 s2, -1
.LBB113_623:
	s_and_not1_b32 vcc_lo, exec_lo, s3
	s_cbranch_vccnz .LBB113_634
; %bb.624:
	v_cmp_lt_i16_e32 vcc_lo, 14, v9
	s_cbranch_vccz .LBB113_627
; %bb.625:
	v_cmp_eq_u16_e32 vcc_lo, 15, v9
	s_cbranch_vccz .LBB113_628
; %bb.626:
	global_load_u16 v3, v[1:2], off
	s_mov_b32 s2, -1
	s_mov_b32 s22, 0
	s_waitcnt vmcnt(0)
	v_lshlrev_b32_e32 v3, 16, v3
	s_delay_alu instid0(VALU_DEP_1)
	v_cvt_f64_f32_e32 v[3:4], v3
	s_branch .LBB113_629
.LBB113_627:
	s_mov_b32 s3, -1
                                        ; implicit-def: $vgpr3_vgpr4
	s_branch .LBB113_630
.LBB113_628:
	s_mov_b32 s22, -1
                                        ; implicit-def: $vgpr3_vgpr4
.LBB113_629:
	s_mov_b32 s3, 0
.LBB113_630:
	s_delay_alu instid0(SALU_CYCLE_1)
	s_and_b32 vcc_lo, exec_lo, s3
	s_cbranch_vccz .LBB113_634
; %bb.631:
	v_cmp_eq_u16_e32 vcc_lo, 11, v9
	s_cbranch_vccz .LBB113_633
; %bb.632:
	global_load_u8 v3, v[1:2], off
	s_mov_b32 s22, 0
	s_mov_b32 s2, -1
	s_waitcnt vmcnt(0)
	v_cmp_ne_u16_e32 vcc_lo, 0, v3
	v_mov_b32_e32 v3, 0
	v_cndmask_b32_e64 v4, 0, 0x3ff00000, vcc_lo
	s_branch .LBB113_634
.LBB113_633:
	s_mov_b32 s22, -1
                                        ; implicit-def: $vgpr3_vgpr4
.LBB113_634:
	s_mov_b32 s3, 0
.LBB113_635:
	s_delay_alu instid0(SALU_CYCLE_1)
	s_and_b32 vcc_lo, exec_lo, s3
	s_cbranch_vccz .LBB113_684
; %bb.636:
	v_cmp_gt_i16_e32 vcc_lo, 5, v9
	s_cbranch_vccnz .LBB113_641
; %bb.637:
	v_cmp_gt_i16_e32 vcc_lo, 8, v9
	s_cbranch_vccnz .LBB113_642
	;; [unrolled: 3-line block ×3, first 2 shown]
; %bb.639:
	v_cmp_lt_i16_e32 vcc_lo, 9, v9
	s_cbranch_vccz .LBB113_644
; %bb.640:
	global_load_b64 v[3:4], v[1:2], off
	s_mov_b32 s2, 0
	s_branch .LBB113_645
.LBB113_641:
	s_mov_b32 s2, -1
                                        ; implicit-def: $vgpr3_vgpr4
	s_branch .LBB113_663
.LBB113_642:
	s_mov_b32 s2, -1
                                        ; implicit-def: $vgpr3_vgpr4
	s_branch .LBB113_651
.LBB113_643:
	s_mov_b32 s2, -1
                                        ; implicit-def: $vgpr3_vgpr4
	s_branch .LBB113_648
.LBB113_644:
	s_mov_b32 s2, -1
                                        ; implicit-def: $vgpr3_vgpr4
.LBB113_645:
	s_delay_alu instid0(SALU_CYCLE_1)
	s_and_not1_b32 vcc_lo, exec_lo, s2
	s_cbranch_vccnz .LBB113_647
; %bb.646:
	global_load_b32 v3, v[1:2], off
	s_waitcnt vmcnt(0)
	v_cvt_f64_f32_e32 v[3:4], v3
.LBB113_647:
	s_mov_b32 s2, 0
.LBB113_648:
	s_delay_alu instid0(SALU_CYCLE_1)
	s_and_not1_b32 vcc_lo, exec_lo, s2
	s_cbranch_vccnz .LBB113_650
; %bb.649:
	global_load_b32 v3, v[1:2], off
	s_waitcnt vmcnt(0)
	v_cvt_f32_f16_e32 v3, v3
	s_delay_alu instid0(VALU_DEP_1)
	v_cvt_f64_f32_e32 v[3:4], v3
.LBB113_650:
	s_mov_b32 s2, 0
.LBB113_651:
	s_delay_alu instid0(SALU_CYCLE_1)
	s_and_not1_b32 vcc_lo, exec_lo, s2
	s_cbranch_vccnz .LBB113_662
; %bb.652:
	v_cmp_gt_i16_e32 vcc_lo, 6, v9
	s_cbranch_vccnz .LBB113_655
; %bb.653:
	v_cmp_lt_i16_e32 vcc_lo, 6, v9
	s_cbranch_vccz .LBB113_656
; %bb.654:
	global_load_b64 v[3:4], v[1:2], off
	s_mov_b32 s2, 0
	s_branch .LBB113_657
.LBB113_655:
	s_mov_b32 s2, -1
                                        ; implicit-def: $vgpr3_vgpr4
	s_branch .LBB113_660
.LBB113_656:
	s_mov_b32 s2, -1
                                        ; implicit-def: $vgpr3_vgpr4
.LBB113_657:
	s_delay_alu instid0(SALU_CYCLE_1)
	s_and_not1_b32 vcc_lo, exec_lo, s2
	s_cbranch_vccnz .LBB113_659
; %bb.658:
	global_load_b32 v3, v[1:2], off
	s_waitcnt vmcnt(0)
	v_cvt_f64_f32_e32 v[3:4], v3
.LBB113_659:
	s_mov_b32 s2, 0
.LBB113_660:
	s_delay_alu instid0(SALU_CYCLE_1)
	s_and_not1_b32 vcc_lo, exec_lo, s2
	s_cbranch_vccnz .LBB113_662
; %bb.661:
	global_load_u16 v3, v[1:2], off
	s_waitcnt vmcnt(0)
	v_cvt_f32_f16_e32 v3, v3
	s_delay_alu instid0(VALU_DEP_1)
	v_cvt_f64_f32_e32 v[3:4], v3
.LBB113_662:
	s_mov_b32 s2, 0
.LBB113_663:
	s_delay_alu instid0(SALU_CYCLE_1)
	s_and_not1_b32 vcc_lo, exec_lo, s2
	s_cbranch_vccnz .LBB113_683
; %bb.664:
	v_cmp_gt_i16_e32 vcc_lo, 2, v9
	s_cbranch_vccnz .LBB113_668
; %bb.665:
	v_cmp_gt_i16_e32 vcc_lo, 3, v9
	s_cbranch_vccnz .LBB113_669
; %bb.666:
	v_cmp_lt_i16_e32 vcc_lo, 3, v9
	s_cbranch_vccz .LBB113_670
; %bb.667:
	global_load_b64 v[3:4], v[1:2], off
	s_mov_b32 s2, 0
	s_waitcnt vmcnt(0)
	v_cvt_f64_i32_e32 v[4:5], v4
	v_cvt_f64_u32_e32 v[6:7], v3
	s_delay_alu instid0(VALU_DEP_2) | instskip(NEXT) | instid1(VALU_DEP_1)
	v_ldexp_f64 v[4:5], v[4:5], 32
	v_add_f64 v[3:4], v[4:5], v[6:7]
	s_branch .LBB113_671
.LBB113_668:
	s_mov_b32 s2, -1
                                        ; implicit-def: $vgpr3_vgpr4
	s_branch .LBB113_677
.LBB113_669:
	s_mov_b32 s2, -1
                                        ; implicit-def: $vgpr3_vgpr4
	s_branch .LBB113_674
.LBB113_670:
	s_mov_b32 s2, -1
                                        ; implicit-def: $vgpr3_vgpr4
.LBB113_671:
	s_delay_alu instid0(SALU_CYCLE_1)
	s_and_not1_b32 vcc_lo, exec_lo, s2
	s_cbranch_vccnz .LBB113_673
; %bb.672:
	global_load_b32 v3, v[1:2], off
	s_waitcnt vmcnt(0)
	v_cvt_f64_i32_e32 v[3:4], v3
.LBB113_673:
	s_mov_b32 s2, 0
.LBB113_674:
	s_delay_alu instid0(SALU_CYCLE_1)
	s_and_not1_b32 vcc_lo, exec_lo, s2
	s_cbranch_vccnz .LBB113_676
; %bb.675:
	global_load_i16 v3, v[1:2], off
	s_waitcnt vmcnt(0)
	v_cvt_f64_i32_e32 v[3:4], v3
.LBB113_676:
	s_mov_b32 s2, 0
.LBB113_677:
	s_delay_alu instid0(SALU_CYCLE_1)
	s_and_not1_b32 vcc_lo, exec_lo, s2
	s_cbranch_vccnz .LBB113_683
; %bb.678:
	v_cmp_lt_i16_e32 vcc_lo, 0, v9
	s_mov_b32 s2, 0
	s_cbranch_vccz .LBB113_680
; %bb.679:
	global_load_i8 v3, v[1:2], off
	s_waitcnt vmcnt(0)
	v_cvt_f64_i32_e32 v[3:4], v3
	s_branch .LBB113_681
.LBB113_680:
	s_mov_b32 s2, -1
                                        ; implicit-def: $vgpr3_vgpr4
.LBB113_681:
	s_delay_alu instid0(SALU_CYCLE_1)
	s_and_not1_b32 vcc_lo, exec_lo, s2
	s_cbranch_vccnz .LBB113_683
; %bb.682:
	global_load_u8 v1, v[1:2], off
	s_waitcnt vmcnt(0)
	v_cvt_f64_u32_e32 v[3:4], v1
.LBB113_683:
	s_mov_b32 s2, -1
.LBB113_684:
	s_delay_alu instid0(SALU_CYCLE_1)
	s_and_not1_b32 vcc_lo, exec_lo, s2
	s_cbranch_vccnz .LBB113_692
; %bb.685:
	s_mov_b32 s2, 0x652b82fe
	s_mov_b32 s3, 0x3ff71547
	;; [unrolled: 1-line block ×3, first 2 shown]
	s_waitcnt vmcnt(0)
	s_delay_alu instid0(VALU_DEP_1)
	v_mul_f64 v[1:2], v[3:4], s[2:3]
	s_mov_b32 s3, 0xbfe62e42
	s_mov_b32 s2, 0xfefa39ef
	;; [unrolled: 1-line block ×6, first 2 shown]
	s_delay_alu instid0(VALU_DEP_1) | instskip(NEXT) | instid1(VALU_DEP_1)
	v_rndne_f64_e32 v[1:2], v[1:2]
	v_fma_f64 v[5:6], v[1:2], s[2:3], v[3:4]
	v_cvt_i32_f64_e32 v7, v[1:2]
	v_cmp_eq_f64_e32 vcc_lo, 0x40900000, v[1:2]
	s_mov_b32 s3, 0x40862e42
	s_delay_alu instid0(SALU_CYCLE_1)
	v_cmp_nlt_f64_e64 s2, s[2:3], v[3:4]
	v_cmp_ngt_f64_e64 s3, 0xc0428000, v[3:4]
	v_add_co_u32 v4, s41, s4, v0
	v_fma_f64 v[5:6], v[1:2], s[42:43], v[5:6]
	s_mov_b32 s42, 0x2a1b768b
	s_mov_b32 s43, 0x3e5af4eb
	v_cndmask_b32_e64 v1, v7, 0x3ff, vcc_lo
	s_delay_alu instid0(VALU_DEP_1) | instskip(NEXT) | instid1(VALU_DEP_3)
	v_ldexp_f64 v[1:2], 1.0, v1
	v_fma_f64 v[11:12], v[5:6], s[44:45], s[42:43]
	s_mov_b32 s42, 0xe0ac05b
	s_mov_b32 s43, 0x3e927e50
	s_delay_alu instid0(VALU_DEP_2) | instskip(NEXT) | instid1(VALU_DEP_2)
	v_add_f64 v[13:14], v[1:2], -1.0
	v_fma_f64 v[11:12], v[5:6], v[11:12], s[42:43]
	s_mov_b32 s42, 0x1b889c29
	s_mov_b32 s43, 0x3ec71de0
	s_delay_alu instid0(VALU_DEP_1) | instid1(SALU_CYCLE_1)
	v_fma_f64 v[11:12], v[5:6], v[11:12], s[42:43]
	s_mov_b32 s42, 0x197bcfd8
	s_mov_b32 s43, 0x3efa01a0
	s_delay_alu instid0(VALU_DEP_1) | instid1(SALU_CYCLE_1)
	;; [unrolled: 4-line block ×7, first 2 shown]
	v_fma_f64 v[11:12], v[5:6], v[11:12], s[42:43]
	s_delay_alu instid0(VALU_DEP_1) | instskip(NEXT) | instid1(VALU_DEP_1)
	v_fma_f64 v[11:12], v[5:6], v[11:12], 0.5
	v_mul_f64 v[11:12], v[5:6], v[11:12]
	s_delay_alu instid0(VALU_DEP_1) | instskip(NEXT) | instid1(VALU_DEP_1)
	v_fma_f64 v[5:6], v[5:6], v[11:12], v[5:6]
	v_fma_f64 v[1:2], v[1:2], v[5:6], v[13:14]
	v_and_b32_e32 v6, 0xff, v8
	v_add_co_ci_u32_e64 v5, null, s5, 0, s41
	s_mov_b32 s41, -1
	s_delay_alu instid0(VALU_DEP_3) | instskip(NEXT) | instid1(VALU_DEP_1)
	v_add_f64 v[11:12], v[1:2], v[1:2]
	v_cndmask_b32_e32 v2, v2, v12, vcc_lo
	s_delay_alu instid0(VALU_DEP_2) | instskip(SKIP_1) | instid1(VALU_DEP_3)
	v_cndmask_b32_e32 v0, v1, v11, vcc_lo
	v_cmp_gt_i16_e32 vcc_lo, 11, v6
	v_cndmask_b32_e64 v2, 0x7ff00000, v2, s2
	s_and_b32 s2, s3, s2
	s_delay_alu instid0(VALU_DEP_3) | instid1(SALU_CYCLE_1)
	v_cndmask_b32_e64 v0, 0, v0, s2
	s_mov_b32 s2, s38
	s_delay_alu instid0(VALU_DEP_2)
	v_cndmask_b32_e64 v1, 0xbff00000, v2, s3
	s_cbranch_vccnz .LBB113_693
; %bb.686:
	v_cmp_lt_i16_e32 vcc_lo, 25, v6
	s_cbranch_vccz .LBB113_734
; %bb.687:
	v_cmp_lt_i16_e32 vcc_lo, 28, v6
	s_cbranch_vccz .LBB113_735
; %bb.688:
	v_cmp_lt_i16_e32 vcc_lo, 43, v6
	s_cbranch_vccz .LBB113_736
; %bb.689:
	v_cmp_lt_i16_e32 vcc_lo, 45, v6
	s_cbranch_vccz .LBB113_737
; %bb.690:
	v_cmp_eq_u16_e32 vcc_lo, 46, v6
	s_mov_b32 s3, 0
	s_mov_b32 s2, -1
	s_cbranch_vccz .LBB113_738
; %bb.691:
	v_cvt_f32_f64_e32 v2, v[0:1]
	s_mov_b32 s23, -1
	s_mov_b32 s2, 0
	s_delay_alu instid0(VALU_DEP_1) | instskip(SKIP_1) | instid1(VALU_DEP_2)
	v_bfe_u32 v3, v2, 16, 1
	v_cmp_o_f32_e32 vcc_lo, v2, v2
	v_add3_u32 v3, v2, v3, 0x7fff
	s_delay_alu instid0(VALU_DEP_1) | instskip(NEXT) | instid1(VALU_DEP_1)
	v_lshrrev_b32_e32 v3, 16, v3
	v_cndmask_b32_e32 v2, 0x7fc0, v3, vcc_lo
	global_store_b32 v[4:5], v2, off
	s_branch .LBB113_738
.LBB113_692:
	s_mov_b32 s3, 0
	s_mov_b32 s2, s38
	s_branch .LBB113_733
.LBB113_693:
	s_and_b32 vcc_lo, exec_lo, s41
	s_cbranch_vccz .LBB113_807
; %bb.694:
	v_cmp_gt_i16_e32 vcc_lo, 5, v6
	s_mov_b32 s3, -1
	s_cbranch_vccnz .LBB113_715
; %bb.695:
	v_cmp_gt_i16_e32 vcc_lo, 8, v6
	s_cbranch_vccnz .LBB113_705
; %bb.696:
	v_cmp_gt_i16_e32 vcc_lo, 9, v6
	s_cbranch_vccnz .LBB113_702
; %bb.697:
	v_cmp_lt_i16_e32 vcc_lo, 9, v6
	s_cbranch_vccz .LBB113_699
; %bb.698:
	v_mov_b32_e32 v2, 0
	s_mov_b32 s3, 0
	s_delay_alu instid0(VALU_DEP_1)
	v_mov_b32_e32 v3, v2
	global_store_b128 v[4:5], v[0:3], off
.LBB113_699:
	s_and_not1_b32 vcc_lo, exec_lo, s3
	s_cbranch_vccnz .LBB113_701
; %bb.700:
	v_cvt_f32_f64_e32 v2, v[0:1]
	v_mov_b32_e32 v3, 0
	global_store_b64 v[4:5], v[2:3], off
.LBB113_701:
	s_mov_b32 s3, 0
.LBB113_702:
	s_delay_alu instid0(SALU_CYCLE_1)
	s_and_not1_b32 vcc_lo, exec_lo, s3
	s_cbranch_vccnz .LBB113_704
; %bb.703:
	v_cvt_f32_f64_e32 v2, v[0:1]
	s_delay_alu instid0(VALU_DEP_1) | instskip(NEXT) | instid1(VALU_DEP_1)
	v_cvt_f16_f32_e32 v2, v2
	v_and_b32_e32 v2, 0xffff, v2
	global_store_b32 v[4:5], v2, off
.LBB113_704:
	s_mov_b32 s3, 0
.LBB113_705:
	s_delay_alu instid0(SALU_CYCLE_1)
	s_and_not1_b32 vcc_lo, exec_lo, s3
	s_cbranch_vccnz .LBB113_714
; %bb.706:
	v_cmp_gt_i16_e32 vcc_lo, 6, v6
	s_mov_b32 s3, -1
	s_cbranch_vccnz .LBB113_712
; %bb.707:
	v_cmp_lt_i16_e32 vcc_lo, 6, v6
	s_cbranch_vccz .LBB113_709
; %bb.708:
	s_mov_b32 s3, 0
	global_store_b64 v[4:5], v[0:1], off
.LBB113_709:
	s_and_not1_b32 vcc_lo, exec_lo, s3
	s_cbranch_vccnz .LBB113_711
; %bb.710:
	v_cvt_f32_f64_e32 v2, v[0:1]
	global_store_b32 v[4:5], v2, off
.LBB113_711:
	s_mov_b32 s3, 0
.LBB113_712:
	s_delay_alu instid0(SALU_CYCLE_1)
	s_and_not1_b32 vcc_lo, exec_lo, s3
	s_cbranch_vccnz .LBB113_714
; %bb.713:
	v_cvt_f32_f64_e32 v2, v[0:1]
	s_delay_alu instid0(VALU_DEP_1)
	v_cvt_f16_f32_e32 v2, v2
	global_store_b16 v[4:5], v2, off
.LBB113_714:
	s_mov_b32 s3, 0
.LBB113_715:
	s_delay_alu instid0(SALU_CYCLE_1)
	s_and_not1_b32 vcc_lo, exec_lo, s3
	s_cbranch_vccnz .LBB113_731
; %bb.716:
	v_cmp_gt_i16_e32 vcc_lo, 2, v6
	s_mov_b32 s3, -1
	s_cbranch_vccnz .LBB113_726
; %bb.717:
	v_cmp_gt_i16_e32 vcc_lo, 3, v6
	s_cbranch_vccnz .LBB113_723
; %bb.718:
	v_cmp_lt_i16_e32 vcc_lo, 3, v6
	s_cbranch_vccz .LBB113_720
; %bb.719:
	v_trunc_f64_e32 v[2:3], v[0:1]
	s_mov_b32 s3, 0
	s_delay_alu instid0(VALU_DEP_1) | instskip(NEXT) | instid1(VALU_DEP_1)
	v_ldexp_f64 v[11:12], v[2:3], 0xffffffe0
	v_floor_f64_e32 v[11:12], v[11:12]
	s_delay_alu instid0(VALU_DEP_1) | instskip(SKIP_1) | instid1(VALU_DEP_2)
	v_fma_f64 v[2:3], 0xc1f00000, v[11:12], v[2:3]
	v_cvt_i32_f64_e32 v12, v[11:12]
	v_cvt_u32_f64_e32 v11, v[2:3]
	global_store_b64 v[4:5], v[11:12], off
.LBB113_720:
	s_and_not1_b32 vcc_lo, exec_lo, s3
	s_cbranch_vccnz .LBB113_722
; %bb.721:
	v_cvt_i32_f64_e32 v2, v[0:1]
	global_store_b32 v[4:5], v2, off
.LBB113_722:
	s_mov_b32 s3, 0
.LBB113_723:
	s_delay_alu instid0(SALU_CYCLE_1)
	s_and_not1_b32 vcc_lo, exec_lo, s3
	s_cbranch_vccnz .LBB113_725
; %bb.724:
	v_cvt_i32_f64_e32 v2, v[0:1]
	global_store_b16 v[4:5], v2, off
.LBB113_725:
	s_mov_b32 s3, 0
.LBB113_726:
	s_delay_alu instid0(SALU_CYCLE_1)
	s_and_not1_b32 vcc_lo, exec_lo, s3
	s_cbranch_vccnz .LBB113_731
; %bb.727:
	v_cmp_lt_i16_e32 vcc_lo, 0, v6
	s_mov_b32 s3, -1
	s_cbranch_vccz .LBB113_729
; %bb.728:
	v_cvt_i32_f64_e32 v2, v[0:1]
	s_mov_b32 s3, 0
	global_store_b8 v[4:5], v2, off
.LBB113_729:
	s_and_not1_b32 vcc_lo, exec_lo, s3
	s_cbranch_vccnz .LBB113_731
; %bb.730:
	v_trunc_f64_e32 v[0:1], v[0:1]
	s_delay_alu instid0(VALU_DEP_1) | instskip(NEXT) | instid1(VALU_DEP_1)
	v_ldexp_f64 v[2:3], v[0:1], 0xffffffe0
	v_floor_f64_e32 v[2:3], v[2:3]
	s_delay_alu instid0(VALU_DEP_1) | instskip(NEXT) | instid1(VALU_DEP_1)
	v_fma_f64 v[0:1], 0xc1f00000, v[2:3], v[0:1]
	v_cvt_u32_f64_e32 v0, v[0:1]
	global_store_b8 v[4:5], v0, off
.LBB113_731:
	s_branch .LBB113_808
.LBB113_732:
	s_mov_b32 s3, 0
.LBB113_733:
                                        ; implicit-def: $vgpr10
	s_branch .LBB113_809
.LBB113_734:
	s_mov_b32 s3, -1
	s_mov_b32 s2, s38
	s_branch .LBB113_765
.LBB113_735:
	s_mov_b32 s3, -1
	s_mov_b32 s2, s38
	s_branch .LBB113_748
.LBB113_736:
	s_mov_b32 s3, -1
	s_mov_b32 s2, s38
	s_branch .LBB113_744
.LBB113_737:
	s_mov_b32 s3, -1
	s_mov_b32 s2, s38
.LBB113_738:
	s_and_b32 vcc_lo, exec_lo, s3
	s_cbranch_vccz .LBB113_743
; %bb.739:
	v_cmp_eq_u16_e32 vcc_lo, 44, v6
	s_mov_b32 s2, -1
	s_cbranch_vccz .LBB113_743
; %bb.740:
	v_cvt_f32_f64_e32 v2, v[0:1]
	v_mov_b32_e32 v3, 0xff
	s_mov_b32 s3, exec_lo
	s_delay_alu instid0(VALU_DEP_2) | instskip(NEXT) | instid1(VALU_DEP_1)
	v_bfe_u32 v7, v2, 23, 8
	v_cmpx_ne_u32_e32 0xff, v7
; %bb.741:
	v_and_b32_e32 v3, 0x400000, v2
	v_and_or_b32 v7, 0x3fffff, v2, v7
	v_lshrrev_b32_e32 v2, 23, v2
	s_delay_alu instid0(VALU_DEP_3) | instskip(NEXT) | instid1(VALU_DEP_3)
	v_cmp_ne_u32_e32 vcc_lo, 0, v3
	v_cmp_ne_u32_e64 s2, 0, v7
	s_delay_alu instid0(VALU_DEP_1) | instskip(NEXT) | instid1(SALU_CYCLE_1)
	s_and_b32 s2, vcc_lo, s2
	v_cndmask_b32_e64 v3, 0, 1, s2
	s_delay_alu instid0(VALU_DEP_1)
	v_add_nc_u32_e32 v3, v2, v3
; %bb.742:
	s_or_b32 exec_lo, exec_lo, s3
	s_mov_b32 s23, -1
	s_mov_b32 s2, 0
	global_store_b8 v[4:5], v3, off
.LBB113_743:
	s_mov_b32 s3, 0
.LBB113_744:
	s_delay_alu instid0(SALU_CYCLE_1)
	s_and_b32 vcc_lo, exec_lo, s3
	s_cbranch_vccz .LBB113_747
; %bb.745:
	v_cmp_eq_u16_e32 vcc_lo, 29, v6
	s_mov_b32 s2, -1
	s_cbranch_vccz .LBB113_747
; %bb.746:
	v_trunc_f64_e32 v[2:3], v[0:1]
	s_mov_b32 s23, -1
	s_mov_b32 s2, 0
	s_mov_b32 s3, 0
	s_delay_alu instid0(VALU_DEP_1) | instskip(NEXT) | instid1(VALU_DEP_1)
	v_ldexp_f64 v[11:12], v[2:3], 0xffffffe0
	v_floor_f64_e32 v[11:12], v[11:12]
	s_delay_alu instid0(VALU_DEP_1) | instskip(SKIP_1) | instid1(VALU_DEP_2)
	v_fma_f64 v[2:3], 0xc1f00000, v[11:12], v[2:3]
	v_cvt_u32_f64_e32 v12, v[11:12]
	v_cvt_u32_f64_e32 v11, v[2:3]
	global_store_b64 v[4:5], v[11:12], off
	s_branch .LBB113_748
.LBB113_747:
	s_mov_b32 s3, 0
.LBB113_748:
	s_delay_alu instid0(SALU_CYCLE_1)
	s_and_b32 vcc_lo, exec_lo, s3
	s_cbranch_vccz .LBB113_764
; %bb.749:
	v_cmp_gt_i16_e32 vcc_lo, 27, v6
	s_mov_b32 s3, -1
	s_cbranch_vccnz .LBB113_755
; %bb.750:
	v_cmp_lt_i16_e32 vcc_lo, 27, v6
	s_cbranch_vccz .LBB113_752
; %bb.751:
	v_cvt_u32_f64_e32 v2, v[0:1]
	s_mov_b32 s3, 0
	global_store_b32 v[4:5], v2, off
.LBB113_752:
	s_and_not1_b32 vcc_lo, exec_lo, s3
	s_cbranch_vccnz .LBB113_754
; %bb.753:
	v_cvt_u32_f64_e32 v2, v[0:1]
	global_store_b16 v[4:5], v2, off
.LBB113_754:
	s_mov_b32 s3, 0
.LBB113_755:
	s_delay_alu instid0(SALU_CYCLE_1)
	s_and_not1_b32 vcc_lo, exec_lo, s3
	s_cbranch_vccnz .LBB113_763
; %bb.756:
	v_cvt_f32_f64_e32 v2, v[0:1]
	v_mov_b32_e32 v7, 0x80
	s_mov_b32 s3, exec_lo
	s_delay_alu instid0(VALU_DEP_2) | instskip(NEXT) | instid1(VALU_DEP_1)
	v_and_b32_e32 v3, 0x7fffffff, v2
	v_cmpx_gt_u32_e32 0x43800000, v3
	s_cbranch_execz .LBB113_762
; %bb.757:
	v_cmp_lt_u32_e32 vcc_lo, 0x3bffffff, v3
	s_mov_b32 s23, 0
                                        ; implicit-def: $vgpr3
	s_and_saveexec_b32 s41, vcc_lo
	s_delay_alu instid0(SALU_CYCLE_1)
	s_xor_b32 s41, exec_lo, s41
	s_cbranch_execz .LBB113_836
; %bb.758:
	v_bfe_u32 v3, v2, 20, 1
	s_mov_b32 s23, exec_lo
	s_delay_alu instid0(VALU_DEP_1) | instskip(NEXT) | instid1(VALU_DEP_1)
	v_add3_u32 v3, v2, v3, 0x487ffff
	v_lshrrev_b32_e32 v3, 20, v3
	s_or_saveexec_b32 s41, s41
                                        ; implicit-def: $sgpr42
	s_delay_alu instid0(SALU_CYCLE_1)
	s_xor_b32 exec_lo, exec_lo, s41
	s_cbranch_execnz .LBB113_837
.LBB113_759:
	s_or_b32 exec_lo, exec_lo, s41
	v_mov_b32_e32 v7, s42
	s_and_saveexec_b32 s41, s23
.LBB113_760:
	v_lshrrev_b32_e32 v2, 24, v2
	s_delay_alu instid0(VALU_DEP_1)
	v_and_or_b32 v7, 0x80, v2, v3
.LBB113_761:
	s_or_b32 exec_lo, exec_lo, s41
.LBB113_762:
	s_delay_alu instid0(SALU_CYCLE_1)
	s_or_b32 exec_lo, exec_lo, s3
	global_store_b8 v[4:5], v7, off
.LBB113_763:
	s_mov_b32 s23, -1
.LBB113_764:
	s_mov_b32 s3, 0
.LBB113_765:
	s_delay_alu instid0(SALU_CYCLE_1)
	s_and_b32 vcc_lo, exec_lo, s3
	s_cbranch_vccz .LBB113_806
; %bb.766:
	v_cmp_lt_i16_e32 vcc_lo, 22, v6
	s_mov_b32 s3, -1
	s_cbranch_vccz .LBB113_798
; %bb.767:
	v_cmp_gt_i16_e32 vcc_lo, 24, v6
	s_cbranch_vccnz .LBB113_787
; %bb.768:
	v_cmp_lt_i16_e32 vcc_lo, 24, v6
	s_cbranch_vccz .LBB113_776
; %bb.769:
	v_cvt_f32_f64_e32 v2, v[0:1]
	v_mov_b32_e32 v7, 0x80
	s_mov_b32 s3, exec_lo
	s_delay_alu instid0(VALU_DEP_2) | instskip(NEXT) | instid1(VALU_DEP_1)
	v_and_b32_e32 v3, 0x7fffffff, v2
	v_cmpx_gt_u32_e32 0x47800000, v3
	s_cbranch_execz .LBB113_775
; %bb.770:
	v_cmp_lt_u32_e32 vcc_lo, 0x37ffffff, v3
	s_mov_b32 s23, 0
                                        ; implicit-def: $vgpr3
	s_and_saveexec_b32 s41, vcc_lo
	s_delay_alu instid0(SALU_CYCLE_1)
	s_xor_b32 s41, exec_lo, s41
	s_cbranch_execz .LBB113_839
; %bb.771:
	v_bfe_u32 v3, v2, 21, 1
	s_mov_b32 s23, exec_lo
	s_delay_alu instid0(VALU_DEP_1) | instskip(NEXT) | instid1(VALU_DEP_1)
	v_add3_u32 v3, v2, v3, 0x88fffff
	v_lshrrev_b32_e32 v3, 21, v3
	s_or_saveexec_b32 s41, s41
                                        ; implicit-def: $sgpr42
	s_delay_alu instid0(SALU_CYCLE_1)
	s_xor_b32 exec_lo, exec_lo, s41
	s_cbranch_execnz .LBB113_840
.LBB113_772:
	s_or_b32 exec_lo, exec_lo, s41
	v_mov_b32_e32 v7, s42
	s_and_saveexec_b32 s41, s23
.LBB113_773:
	v_lshrrev_b32_e32 v2, 24, v2
	s_delay_alu instid0(VALU_DEP_1)
	v_and_or_b32 v7, 0x80, v2, v3
.LBB113_774:
	s_or_b32 exec_lo, exec_lo, s41
.LBB113_775:
	s_delay_alu instid0(SALU_CYCLE_1)
	s_or_b32 exec_lo, exec_lo, s3
	s_mov_b32 s3, 0
	global_store_b8 v[4:5], v7, off
.LBB113_776:
	s_and_b32 vcc_lo, exec_lo, s3
	s_cbranch_vccz .LBB113_786
; %bb.777:
	v_cvt_f32_f64_e32 v2, v[0:1]
	s_mov_b32 s3, exec_lo
                                        ; implicit-def: $vgpr3
	s_delay_alu instid0(VALU_DEP_1) | instskip(NEXT) | instid1(VALU_DEP_1)
	v_and_b32_e32 v7, 0x7fffffff, v2
	v_cmpx_gt_u32_e32 0x43f00000, v7
	s_xor_b32 s3, exec_lo, s3
	s_cbranch_execz .LBB113_783
; %bb.778:
	s_mov_b32 s23, exec_lo
                                        ; implicit-def: $vgpr3
	v_cmpx_lt_u32_e32 0x3c7fffff, v7
	s_xor_b32 s23, exec_lo, s23
; %bb.779:
	v_bfe_u32 v3, v2, 20, 1
	s_delay_alu instid0(VALU_DEP_1) | instskip(NEXT) | instid1(VALU_DEP_1)
	v_add3_u32 v3, v2, v3, 0x407ffff
	v_and_b32_e32 v7, 0xff00000, v3
	v_lshrrev_b32_e32 v3, 20, v3
	s_delay_alu instid0(VALU_DEP_2) | instskip(NEXT) | instid1(VALU_DEP_2)
	v_cmp_ne_u32_e32 vcc_lo, 0x7f00000, v7
	v_cndmask_b32_e32 v3, 0x7e, v3, vcc_lo
; %bb.780:
	s_and_not1_saveexec_b32 s23, s23
; %bb.781:
	v_add_f32_e64 v3, 0x46800000, |v2|
; %bb.782:
	s_or_b32 exec_lo, exec_lo, s23
                                        ; implicit-def: $vgpr7
.LBB113_783:
	s_and_not1_saveexec_b32 s3, s3
; %bb.784:
	v_mov_b32_e32 v3, 0x7f
	v_cmp_lt_u32_e32 vcc_lo, 0x7f800000, v7
	s_delay_alu instid0(VALU_DEP_2)
	v_cndmask_b32_e32 v3, 0x7e, v3, vcc_lo
; %bb.785:
	s_or_b32 exec_lo, exec_lo, s3
	v_lshrrev_b32_e32 v2, 24, v2
	s_delay_alu instid0(VALU_DEP_1)
	v_and_or_b32 v2, 0x80, v2, v3
	global_store_b8 v[4:5], v2, off
.LBB113_786:
	s_mov_b32 s3, 0
.LBB113_787:
	s_delay_alu instid0(SALU_CYCLE_1)
	s_and_not1_b32 vcc_lo, exec_lo, s3
	s_cbranch_vccnz .LBB113_797
; %bb.788:
	v_cvt_f32_f64_e32 v2, v[0:1]
	s_mov_b32 s3, exec_lo
                                        ; implicit-def: $vgpr3
	s_delay_alu instid0(VALU_DEP_1) | instskip(NEXT) | instid1(VALU_DEP_1)
	v_and_b32_e32 v7, 0x7fffffff, v2
	v_cmpx_gt_u32_e32 0x47800000, v7
	s_xor_b32 s3, exec_lo, s3
	s_cbranch_execz .LBB113_794
; %bb.789:
	s_mov_b32 s23, exec_lo
                                        ; implicit-def: $vgpr3
	v_cmpx_lt_u32_e32 0x387fffff, v7
	s_xor_b32 s23, exec_lo, s23
; %bb.790:
	v_bfe_u32 v3, v2, 21, 1
	s_delay_alu instid0(VALU_DEP_1) | instskip(NEXT) | instid1(VALU_DEP_1)
	v_add3_u32 v3, v2, v3, 0x80fffff
	v_lshrrev_b32_e32 v3, 21, v3
; %bb.791:
	s_and_not1_saveexec_b32 s23, s23
; %bb.792:
	v_add_f32_e64 v3, 0x43000000, |v2|
; %bb.793:
	s_or_b32 exec_lo, exec_lo, s23
                                        ; implicit-def: $vgpr7
.LBB113_794:
	s_and_not1_saveexec_b32 s3, s3
; %bb.795:
	v_mov_b32_e32 v3, 0x7f
	v_cmp_lt_u32_e32 vcc_lo, 0x7f800000, v7
	s_delay_alu instid0(VALU_DEP_2)
	v_cndmask_b32_e32 v3, 0x7c, v3, vcc_lo
; %bb.796:
	s_or_b32 exec_lo, exec_lo, s3
	v_lshrrev_b32_e32 v2, 24, v2
	s_delay_alu instid0(VALU_DEP_1)
	v_and_or_b32 v2, 0x80, v2, v3
	global_store_b8 v[4:5], v2, off
.LBB113_797:
	s_mov_b32 s3, 0
	s_mov_b32 s23, -1
.LBB113_798:
	s_and_not1_b32 vcc_lo, exec_lo, s3
	s_cbranch_vccnz .LBB113_806
; %bb.799:
	v_cmp_lt_i16_e32 vcc_lo, 14, v6
	s_mov_b32 s3, -1
	s_cbranch_vccz .LBB113_803
; %bb.800:
	v_cmp_eq_u16_e32 vcc_lo, 15, v6
	s_mov_b32 s2, -1
	s_cbranch_vccz .LBB113_802
; %bb.801:
	v_cvt_f32_f64_e32 v2, v[0:1]
	s_mov_b32 s23, -1
	s_mov_b32 s2, 0
	s_delay_alu instid0(VALU_DEP_1) | instskip(SKIP_1) | instid1(VALU_DEP_2)
	v_bfe_u32 v3, v2, 16, 1
	v_cmp_o_f32_e32 vcc_lo, v2, v2
	v_add3_u32 v3, v2, v3, 0x7fff
	s_delay_alu instid0(VALU_DEP_1) | instskip(NEXT) | instid1(VALU_DEP_1)
	v_lshrrev_b32_e32 v3, 16, v3
	v_cndmask_b32_e32 v2, 0x7fc0, v3, vcc_lo
	global_store_b16 v[4:5], v2, off
.LBB113_802:
	s_mov_b32 s3, 0
.LBB113_803:
	s_delay_alu instid0(SALU_CYCLE_1)
	s_and_b32 vcc_lo, exec_lo, s3
	s_cbranch_vccz .LBB113_806
; %bb.804:
	v_cmp_eq_u16_e32 vcc_lo, 11, v6
	s_mov_b32 s2, -1
	s_cbranch_vccz .LBB113_806
; %bb.805:
	v_cmp_neq_f64_e32 vcc_lo, 0, v[0:1]
	s_mov_b32 s23, -1
	s_mov_b32 s2, 0
	v_cndmask_b32_e64 v2, 0, 1, vcc_lo
	global_store_b8 v[4:5], v2, off
.LBB113_806:
.LBB113_807:
	s_and_not1_b32 vcc_lo, exec_lo, s23
	s_cbranch_vccnz .LBB113_732
.LBB113_808:
	v_add_nc_u32_e32 v10, 0x80, v10
	s_mov_b32 s3, -1
.LBB113_809:
	s_and_not1_b32 s23, s38, exec_lo
	s_and_b32 s2, s2, exec_lo
	s_and_not1_b32 s41, s37, exec_lo
	s_and_b32 s22, s22, exec_lo
	s_or_b32 s23, s23, s2
	s_or_b32 s22, s41, s22
	s_or_not1_b32 s42, s3, exec_lo
.LBB113_810:
	s_or_b32 exec_lo, exec_lo, s40
	s_mov_b32 s2, 0
	s_mov_b32 s3, 0
	;; [unrolled: 1-line block ×3, first 2 shown]
                                        ; implicit-def: $vgpr0_vgpr1
                                        ; implicit-def: $vgpr2
                                        ; implicit-def: $vgpr6_vgpr7
	s_and_saveexec_b32 s40, s42
	s_cbranch_execz .LBB113_908
; %bb.811:
	v_cmp_gt_i32_e32 vcc_lo, s30, v10
	s_mov_b32 s42, s22
                                        ; implicit-def: $vgpr0_vgpr1
                                        ; implicit-def: $vgpr2
                                        ; implicit-def: $vgpr6_vgpr7
	s_and_saveexec_b32 s30, vcc_lo
	s_cbranch_execz .LBB113_907
; %bb.812:
	s_and_not1_b32 vcc_lo, exec_lo, s27
	s_cbranch_vccnz .LBB113_817
; %bb.813:
	v_mov_b32_e32 v2, 0
	v_mov_b32_e32 v0, 0
	s_and_not1_b32 vcc_lo, exec_lo, s33
	s_mov_b32 s33, 0
	s_cbranch_vccnz .LBB113_822
; %bb.814:
	v_mov_b32_e32 v2, 0
	s_add_i32 s41, s31, 1
	s_cmp_eq_u32 s25, 2
	s_mov_b32 s31, 0
	s_cbranch_scc1 .LBB113_818
; %bb.815:
	v_dual_mov_b32 v0, 0 :: v_dual_mov_b32 v1, v10
	v_mov_b32_e32 v2, 0
	s_and_b32 s31, s41, 28
	s_mov_b32 s42, 0
	s_mov_b64 s[2:3], s[16:17]
.LBB113_816:                            ; =>This Inner Loop Header: Depth=1
	s_clause 0x1
	s_load_b256 s[44:51], s[2:3], 0x4
	s_load_b128 s[60:63], s[2:3], 0x24
	s_load_b256 s[52:59], s[20:21], 0x0
	s_add_u32 s2, s2, 48
	s_addc_u32 s3, s3, 0
	s_add_i32 s42, s42, 4
	s_add_u32 s20, s20, 32
	s_addc_u32 s21, s21, 0
	s_cmp_eq_u32 s31, s42
	s_waitcnt vmcnt(0) lgkmcnt(0)
	v_mul_hi_u32 v3, s45, v1
	s_delay_alu instid0(VALU_DEP_1) | instskip(NEXT) | instid1(VALU_DEP_1)
	v_add_nc_u32_e32 v3, v1, v3
	v_lshrrev_b32_e32 v3, s46, v3
	s_delay_alu instid0(VALU_DEP_1) | instskip(SKIP_1) | instid1(VALU_DEP_2)
	v_mul_hi_u32 v4, s48, v3
	v_mul_lo_u32 v6, v3, s44
	v_add_nc_u32_e32 v4, v3, v4
	s_delay_alu instid0(VALU_DEP_2) | instskip(NEXT) | instid1(VALU_DEP_2)
	v_sub_nc_u32_e32 v1, v1, v6
	v_lshrrev_b32_e32 v4, s49, v4
	s_delay_alu instid0(VALU_DEP_2) | instskip(SKIP_1) | instid1(VALU_DEP_3)
	v_mul_lo_u32 v6, v1, s52
	v_mul_lo_u32 v11, v1, s53
	v_mul_hi_u32 v5, s51, v4
	s_delay_alu instid0(VALU_DEP_1) | instskip(NEXT) | instid1(VALU_DEP_1)
	v_add_nc_u32_e32 v5, v4, v5
	v_lshrrev_b32_e32 v5, s60, v5
	s_delay_alu instid0(VALU_DEP_1) | instskip(SKIP_1) | instid1(VALU_DEP_2)
	v_mul_hi_u32 v7, s62, v5
	v_mul_lo_u32 v12, v5, s50
	v_add_nc_u32_e32 v1, v5, v7
	v_mul_lo_u32 v7, v4, s47
	s_delay_alu instid0(VALU_DEP_3) | instskip(NEXT) | instid1(VALU_DEP_3)
	v_sub_nc_u32_e32 v4, v4, v12
	v_lshrrev_b32_e32 v1, s63, v1
	s_delay_alu instid0(VALU_DEP_2) | instskip(SKIP_2) | instid1(VALU_DEP_4)
	v_mul_lo_u32 v12, v4, s56
	v_mul_lo_u32 v4, v4, s57
	v_sub_nc_u32_e32 v3, v3, v7
	v_mul_lo_u32 v13, v1, s61
	s_delay_alu instid0(VALU_DEP_2) | instskip(SKIP_1) | instid1(VALU_DEP_3)
	v_mul_lo_u32 v7, v3, s54
	v_mul_lo_u32 v3, v3, s55
	v_sub_nc_u32_e32 v5, v5, v13
	s_delay_alu instid0(VALU_DEP_3) | instskip(NEXT) | instid1(VALU_DEP_2)
	v_add3_u32 v2, v6, v2, v7
	v_mul_lo_u32 v13, v5, s58
	v_mul_lo_u32 v5, v5, s59
	v_add3_u32 v0, v11, v0, v3
	s_delay_alu instid0(VALU_DEP_3) | instskip(NEXT) | instid1(VALU_DEP_2)
	v_add3_u32 v2, v12, v2, v13
	v_add3_u32 v0, v4, v0, v5
	s_cbranch_scc0 .LBB113_816
	s_branch .LBB113_819
.LBB113_817:
	s_mov_b32 s33, -1
                                        ; implicit-def: $vgpr2
                                        ; implicit-def: $vgpr0
	s_branch .LBB113_822
.LBB113_818:
	v_dual_mov_b32 v1, v10 :: v_dual_mov_b32 v0, 0
.LBB113_819:
	s_and_b32 s41, s41, 3
	s_delay_alu instid0(SALU_CYCLE_1)
	s_cmp_eq_u32 s41, 0
	s_cbranch_scc1 .LBB113_822
; %bb.820:
	s_lshl_b32 s2, s31, 3
	s_mul_i32 s20, s31, 12
	s_add_u32 s2, s2, s16
	s_addc_u32 s3, s17, 0
	s_add_u32 s2, s2, 0xc4
	s_addc_u32 s3, s3, 0
	;; [unrolled: 2-line block ×3, first 2 shown]
.LBB113_821:                            ; =>This Inner Loop Header: Depth=1
	s_clause 0x1
	s_load_b64 s[42:43], s[20:21], 0x4
	s_load_b32 s31, s[20:21], 0xc
	s_load_b64 s[44:45], s[2:3], 0x0
	s_add_u32 s20, s20, 12
	s_addc_u32 s21, s21, 0
	s_add_u32 s2, s2, 8
	s_addc_u32 s3, s3, 0
	s_add_i32 s41, s41, -1
	s_delay_alu instid0(SALU_CYCLE_1) | instskip(SKIP_2) | instid1(VALU_DEP_1)
	s_cmp_lg_u32 s41, 0
	s_waitcnt vmcnt(0) lgkmcnt(0)
	v_mul_hi_u32 v3, s43, v1
	v_add_nc_u32_e32 v3, v1, v3
	s_delay_alu instid0(VALU_DEP_1) | instskip(NEXT) | instid1(VALU_DEP_1)
	v_lshrrev_b32_e32 v6, s31, v3
	v_mul_lo_u32 v3, v6, s42
	s_delay_alu instid0(VALU_DEP_1) | instskip(NEXT) | instid1(VALU_DEP_1)
	v_sub_nc_u32_e32 v1, v1, v3
	v_mad_u64_u32 v[3:4], null, v1, s44, v[2:3]
	v_mad_u64_u32 v[4:5], null, v1, s45, v[0:1]
	s_delay_alu instid0(VALU_DEP_2) | instskip(NEXT) | instid1(VALU_DEP_2)
	v_dual_mov_b32 v1, v6 :: v_dual_mov_b32 v2, v3
	v_mov_b32_e32 v0, v4
	s_cbranch_scc1 .LBB113_821
.LBB113_822:
	s_and_not1_b32 vcc_lo, exec_lo, s33
	s_cbranch_vccnz .LBB113_825
; %bb.823:
	s_waitcnt lgkmcnt(0)
	v_mul_hi_u32 v0, s13, v10
	s_and_not1_b32 vcc_lo, exec_lo, s29
	s_delay_alu instid0(VALU_DEP_1) | instskip(NEXT) | instid1(VALU_DEP_1)
	v_add_nc_u32_e32 v0, v10, v0
	v_lshrrev_b32_e32 v1, s14, v0
	s_delay_alu instid0(VALU_DEP_1) | instskip(NEXT) | instid1(VALU_DEP_1)
	v_mul_lo_u32 v0, v1, s12
	v_sub_nc_u32_e32 v0, v10, v0
	s_delay_alu instid0(VALU_DEP_1)
	v_mul_lo_u32 v2, v0, s8
	v_mul_lo_u32 v0, v0, s9
	s_cbranch_vccnz .LBB113_825
; %bb.824:
	s_waitcnt vmcnt(0)
	v_mul_hi_u32 v3, s18, v1
	s_delay_alu instid0(VALU_DEP_1) | instskip(NEXT) | instid1(VALU_DEP_1)
	v_add_nc_u32_e32 v3, v1, v3
	v_lshrrev_b32_e32 v3, s19, v3
	s_delay_alu instid0(VALU_DEP_1) | instskip(NEXT) | instid1(VALU_DEP_1)
	v_mul_lo_u32 v3, v3, s15
	v_sub_nc_u32_e32 v5, v1, v3
	s_delay_alu instid0(VALU_DEP_1) | instskip(SKIP_1) | instid1(VALU_DEP_2)
	v_mad_u64_u32 v[3:4], null, v5, s10, v[2:3]
	v_mad_u64_u32 v[1:2], null, v5, s11, v[0:1]
	v_mov_b32_e32 v2, v3
	s_delay_alu instid0(VALU_DEP_2)
	v_mov_b32_e32 v0, v1
.LBB113_825:
	v_cmp_gt_i16_e32 vcc_lo, 11, v9
	s_waitcnt lgkmcnt(0)
	s_delay_alu instid0(VALU_DEP_2) | instskip(NEXT) | instid1(VALU_DEP_1)
	v_add_co_u32 v0, s2, s6, v0
	v_add_co_ci_u32_e64 v1, null, s7, 0, s2
	s_mov_b32 s2, 0
	s_cbranch_vccnz .LBB113_832
; %bb.826:
	v_cmp_lt_i16_e32 vcc_lo, 25, v9
	s_mov_b32 s7, 0
	s_cbranch_vccz .LBB113_833
; %bb.827:
	v_cmp_lt_i16_e32 vcc_lo, 28, v9
	s_cbranch_vccz .LBB113_834
; %bb.828:
	v_cmp_lt_i16_e32 vcc_lo, 43, v9
	;; [unrolled: 3-line block ×3, first 2 shown]
	s_cbranch_vccz .LBB113_838
; %bb.830:
	v_cmp_eq_u16_e32 vcc_lo, 46, v9
	s_mov_b32 s3, 0
	s_cbranch_vccz .LBB113_841
; %bb.831:
	global_load_b32 v3, v[0:1], off
	s_mov_b32 s6, 0
	s_mov_b32 s2, -1
	s_waitcnt vmcnt(0)
	v_lshlrev_b32_e32 v3, 16, v3
	s_delay_alu instid0(VALU_DEP_1)
	v_cvt_f64_f32_e32 v[6:7], v3
	s_branch .LBB113_843
.LBB113_832:
	s_mov_b32 s3, -1
	s_mov_b32 s7, 0
	s_mov_b32 s6, s22
                                        ; implicit-def: $vgpr6_vgpr7
	s_branch .LBB113_906
.LBB113_833:
	s_mov_b32 s3, -1
	s_mov_b32 s6, s22
                                        ; implicit-def: $vgpr6_vgpr7
	s_branch .LBB113_874
.LBB113_834:
	s_mov_b32 s3, -1
	s_mov_b32 s6, s22
                                        ; implicit-def: $vgpr6_vgpr7
	s_branch .LBB113_853
.LBB113_835:
	s_mov_b32 s3, -1
	s_mov_b32 s6, s22
                                        ; implicit-def: $vgpr6_vgpr7
	s_branch .LBB113_848
.LBB113_836:
	s_or_saveexec_b32 s41, s41
                                        ; implicit-def: $sgpr42
	s_delay_alu instid0(SALU_CYCLE_1)
	s_xor_b32 exec_lo, exec_lo, s41
	s_cbranch_execz .LBB113_759
.LBB113_837:
	v_add_f32_e64 v3, 0x46000000, |v2|
	s_and_not1_b32 s23, s23, exec_lo
	s_mov_b32 s42, 0
	s_delay_alu instid0(VALU_DEP_1) | instskip(NEXT) | instid1(VALU_DEP_1)
	v_and_b32_e32 v3, 0xff, v3
	v_cmp_ne_u32_e32 vcc_lo, 0, v3
	s_and_b32 s43, vcc_lo, exec_lo
	s_delay_alu instid0(SALU_CYCLE_1)
	s_or_b32 s23, s23, s43
	s_or_b32 exec_lo, exec_lo, s41
	v_mov_b32_e32 v7, s42
	s_and_saveexec_b32 s41, s23
	s_cbranch_execnz .LBB113_760
	s_branch .LBB113_761
.LBB113_838:
	s_mov_b32 s3, -1
	s_mov_b32 s6, s22
	s_branch .LBB113_842
.LBB113_839:
	s_or_saveexec_b32 s41, s41
                                        ; implicit-def: $sgpr42
	s_delay_alu instid0(SALU_CYCLE_1)
	s_xor_b32 exec_lo, exec_lo, s41
	s_cbranch_execz .LBB113_772
.LBB113_840:
	v_add_f32_e64 v3, 0x42800000, |v2|
	s_and_not1_b32 s23, s23, exec_lo
	s_mov_b32 s42, 0
	s_delay_alu instid0(VALU_DEP_1) | instskip(NEXT) | instid1(VALU_DEP_1)
	v_and_b32_e32 v3, 0xff, v3
	v_cmp_ne_u32_e32 vcc_lo, 0, v3
	s_and_b32 s43, vcc_lo, exec_lo
	s_delay_alu instid0(SALU_CYCLE_1)
	s_or_b32 s23, s23, s43
	s_or_b32 exec_lo, exec_lo, s41
	v_mov_b32_e32 v7, s42
	s_and_saveexec_b32 s41, s23
	s_cbranch_execnz .LBB113_773
	s_branch .LBB113_774
.LBB113_841:
	s_mov_b32 s6, -1
.LBB113_842:
                                        ; implicit-def: $vgpr6_vgpr7
.LBB113_843:
	s_and_b32 vcc_lo, exec_lo, s3
	s_cbranch_vccz .LBB113_847
; %bb.844:
	v_cmp_eq_u16_e32 vcc_lo, 44, v9
	s_cbranch_vccz .LBB113_846
; %bb.845:
	global_load_u8 v5, v[0:1], off
	s_mov_b32 s6, 0
	s_mov_b32 s2, -1
	s_waitcnt vmcnt(0)
	v_cmp_ne_u32_e32 vcc_lo, 0xff, v5
	v_lshlrev_b32_e32 v3, 23, v5
	s_delay_alu instid0(VALU_DEP_1) | instskip(NEXT) | instid1(VALU_DEP_1)
	v_cvt_f64_f32_e32 v[3:4], v3
	v_cndmask_b32_e32 v4, 0x7ff80000, v4, vcc_lo
	s_delay_alu instid0(VALU_DEP_2) | instskip(SKIP_1) | instid1(VALU_DEP_3)
	v_cndmask_b32_e32 v3, 0x20000000, v3, vcc_lo
	v_cmp_ne_u32_e32 vcc_lo, 0, v5
	v_cndmask_b32_e32 v7, 0x38000000, v4, vcc_lo
	s_delay_alu instid0(VALU_DEP_3)
	v_cndmask_b32_e32 v6, 0, v3, vcc_lo
	s_branch .LBB113_847
.LBB113_846:
	s_mov_b32 s6, -1
                                        ; implicit-def: $vgpr6_vgpr7
.LBB113_847:
	s_mov_b32 s3, 0
.LBB113_848:
	s_delay_alu instid0(SALU_CYCLE_1)
	s_and_b32 vcc_lo, exec_lo, s3
	s_cbranch_vccz .LBB113_852
; %bb.849:
	v_cmp_eq_u16_e32 vcc_lo, 29, v9
	s_cbranch_vccz .LBB113_851
; %bb.850:
	global_load_b64 v[3:4], v[0:1], off
	s_mov_b32 s6, 0
	s_mov_b32 s2, -1
	s_mov_b32 s3, 0
	s_waitcnt vmcnt(0)
	v_cvt_f64_u32_e32 v[4:5], v4
	v_cvt_f64_u32_e32 v[6:7], v3
	s_delay_alu instid0(VALU_DEP_2) | instskip(NEXT) | instid1(VALU_DEP_1)
	v_ldexp_f64 v[4:5], v[4:5], 32
	v_add_f64 v[6:7], v[4:5], v[6:7]
	s_branch .LBB113_853
.LBB113_851:
	s_mov_b32 s6, -1
                                        ; implicit-def: $vgpr6_vgpr7
.LBB113_852:
	s_mov_b32 s3, 0
.LBB113_853:
	s_delay_alu instid0(SALU_CYCLE_1)
	s_and_b32 vcc_lo, exec_lo, s3
	s_cbranch_vccz .LBB113_873
; %bb.854:
	v_cmp_gt_i16_e32 vcc_lo, 27, v9
	s_cbranch_vccnz .LBB113_857
; %bb.855:
	v_cmp_lt_i16_e32 vcc_lo, 27, v9
	s_cbranch_vccz .LBB113_858
; %bb.856:
	global_load_b32 v3, v[0:1], off
	s_mov_b32 s2, 0
	s_waitcnt vmcnt(0)
	v_cvt_f64_u32_e32 v[6:7], v3
	s_branch .LBB113_859
.LBB113_857:
	s_mov_b32 s2, -1
                                        ; implicit-def: $vgpr6_vgpr7
	s_branch .LBB113_862
.LBB113_858:
	s_mov_b32 s2, -1
                                        ; implicit-def: $vgpr6_vgpr7
.LBB113_859:
	s_delay_alu instid0(SALU_CYCLE_1)
	s_and_not1_b32 vcc_lo, exec_lo, s2
	s_cbranch_vccnz .LBB113_861
; %bb.860:
	global_load_u16 v3, v[0:1], off
	s_waitcnt vmcnt(0)
	v_cvt_f64_u32_e32 v[6:7], v3
.LBB113_861:
	s_mov_b32 s2, 0
.LBB113_862:
	s_delay_alu instid0(SALU_CYCLE_1)
	s_and_not1_b32 vcc_lo, exec_lo, s2
	s_cbranch_vccnz .LBB113_872
; %bb.863:
	global_load_u8 v3, v[0:1], off
	s_mov_b32 s8, 0
	s_mov_b32 s9, exec_lo
                                        ; implicit-def: $sgpr2_sgpr3
	s_waitcnt vmcnt(0)
	v_cmpx_lt_i16_e32 0x7f, v3
	s_xor_b32 s9, exec_lo, s9
	s_cbranch_execz .LBB113_867
; %bb.864:
	s_mov_b32 s10, -1
	s_mov_b32 s8, exec_lo
                                        ; implicit-def: $sgpr2_sgpr3
	v_cmpx_eq_u16_e32 0x80, v3
; %bb.865:
	s_mov_b32 s3, 0x7ff80000
	s_brev_b32 s2, 4
	s_xor_b32 s10, exec_lo, -1
; %bb.866:
	s_or_b32 exec_lo, exec_lo, s8
	s_delay_alu instid0(SALU_CYCLE_1)
	s_and_b32 s8, s10, exec_lo
.LBB113_867:
	s_or_saveexec_b32 s9, s9
	v_dual_mov_b32 v7, s3 :: v_dual_mov_b32 v6, s2
	s_xor_b32 exec_lo, exec_lo, s9
; %bb.868:
	v_cmp_ne_u16_e32 vcc_lo, 0, v3
	v_mov_b32_e32 v6, 0
	v_mov_b32_e32 v7, 0
	s_and_not1_b32 s2, s8, exec_lo
	s_and_b32 s3, vcc_lo, exec_lo
	s_delay_alu instid0(SALU_CYCLE_1)
	s_or_b32 s8, s2, s3
; %bb.869:
	s_or_b32 exec_lo, exec_lo, s9
	s_and_saveexec_b32 s2, s8
	s_cbranch_execz .LBB113_871
; %bb.870:
	v_and_b32_e32 v4, 0xffff, v3
	v_lshlrev_b32_e32 v3, 24, v3
	s_delay_alu instid0(VALU_DEP_2) | instskip(NEXT) | instid1(VALU_DEP_2)
	v_and_b32_e32 v5, 7, v4
	v_and_b32_e32 v3, 0x80000000, v3
	s_delay_alu instid0(VALU_DEP_2) | instskip(NEXT) | instid1(VALU_DEP_1)
	v_clz_i32_u32_e32 v6, v5
	v_min_u32_e32 v6, 32, v6
	s_delay_alu instid0(VALU_DEP_1) | instskip(SKIP_1) | instid1(VALU_DEP_2)
	v_subrev_nc_u32_e32 v7, 28, v6
	v_sub_nc_u32_e32 v6, 29, v6
	v_lshlrev_b32_e32 v7, v7, v4
	v_bfe_u32 v4, v4, 3, 4
	s_delay_alu instid0(VALU_DEP_2) | instskip(NEXT) | instid1(VALU_DEP_2)
	v_and_b32_e32 v7, 7, v7
	v_cmp_eq_u32_e32 vcc_lo, 0, v4
	s_delay_alu instid0(VALU_DEP_2) | instskip(NEXT) | instid1(VALU_DEP_1)
	v_dual_cndmask_b32 v4, v4, v6 :: v_dual_cndmask_b32 v5, v5, v7
	v_lshl_add_u32 v4, v4, 23, 0x3b800000
	s_delay_alu instid0(VALU_DEP_2) | instskip(NEXT) | instid1(VALU_DEP_1)
	v_lshlrev_b32_e32 v5, 20, v5
	v_or3_b32 v3, v3, v4, v5
	s_delay_alu instid0(VALU_DEP_1)
	v_cvt_f64_f32_e32 v[6:7], v3
.LBB113_871:
	s_or_b32 exec_lo, exec_lo, s2
.LBB113_872:
	s_mov_b32 s2, -1
.LBB113_873:
	s_mov_b32 s3, 0
.LBB113_874:
	s_delay_alu instid0(SALU_CYCLE_1)
	s_and_b32 vcc_lo, exec_lo, s3
	s_cbranch_vccz .LBB113_905
; %bb.875:
	v_cmp_lt_i16_e32 vcc_lo, 22, v9
	s_cbranch_vccz .LBB113_887
; %bb.876:
	v_cmp_gt_i16_e32 vcc_lo, 24, v9
	s_cbranch_vccnz .LBB113_888
; %bb.877:
	v_cmp_lt_i16_e32 vcc_lo, 24, v9
	s_cbranch_vccz .LBB113_889
; %bb.878:
	global_load_u8 v3, v[0:1], off
	s_mov_b32 s8, exec_lo
                                        ; implicit-def: $sgpr2_sgpr3
	s_waitcnt vmcnt(0)
	v_cmpx_lt_i16_e32 0x7f, v3
	s_xor_b32 s8, exec_lo, s8
	s_cbranch_execz .LBB113_882
; %bb.879:
	s_mov_b32 s9, -1
	s_mov_b32 s7, exec_lo
                                        ; implicit-def: $sgpr2_sgpr3
	v_cmpx_eq_u16_e32 0x80, v3
; %bb.880:
	s_mov_b32 s3, 0x7ff80000
	s_brev_b32 s2, 4
	s_xor_b32 s9, exec_lo, -1
; %bb.881:
	s_or_b32 exec_lo, exec_lo, s7
	s_delay_alu instid0(SALU_CYCLE_1)
	s_and_b32 s7, s9, exec_lo
.LBB113_882:
	s_or_saveexec_b32 s8, s8
	v_dual_mov_b32 v7, s3 :: v_dual_mov_b32 v6, s2
	s_xor_b32 exec_lo, exec_lo, s8
; %bb.883:
	v_cmp_ne_u16_e32 vcc_lo, 0, v3
	v_mov_b32_e32 v6, 0
	v_mov_b32_e32 v7, 0
	s_and_not1_b32 s2, s7, exec_lo
	s_and_b32 s3, vcc_lo, exec_lo
	s_delay_alu instid0(SALU_CYCLE_1)
	s_or_b32 s7, s2, s3
; %bb.884:
	s_or_b32 exec_lo, exec_lo, s8
	s_and_saveexec_b32 s2, s7
	s_cbranch_execz .LBB113_886
; %bb.885:
	v_and_b32_e32 v4, 0xffff, v3
	v_lshlrev_b32_e32 v3, 24, v3
	s_delay_alu instid0(VALU_DEP_2) | instskip(NEXT) | instid1(VALU_DEP_2)
	v_and_b32_e32 v5, 3, v4
	v_and_b32_e32 v3, 0x80000000, v3
	s_delay_alu instid0(VALU_DEP_2) | instskip(NEXT) | instid1(VALU_DEP_1)
	v_clz_i32_u32_e32 v6, v5
	v_min_u32_e32 v6, 32, v6
	s_delay_alu instid0(VALU_DEP_1) | instskip(SKIP_1) | instid1(VALU_DEP_2)
	v_subrev_nc_u32_e32 v7, 29, v6
	v_sub_nc_u32_e32 v6, 30, v6
	v_lshlrev_b32_e32 v7, v7, v4
	v_bfe_u32 v4, v4, 2, 5
	s_delay_alu instid0(VALU_DEP_2) | instskip(NEXT) | instid1(VALU_DEP_2)
	v_and_b32_e32 v7, 3, v7
	v_cmp_eq_u32_e32 vcc_lo, 0, v4
	s_delay_alu instid0(VALU_DEP_2) | instskip(NEXT) | instid1(VALU_DEP_1)
	v_dual_cndmask_b32 v4, v4, v6 :: v_dual_cndmask_b32 v5, v5, v7
	v_lshl_add_u32 v4, v4, 23, 0x37800000
	s_delay_alu instid0(VALU_DEP_2) | instskip(NEXT) | instid1(VALU_DEP_1)
	v_lshlrev_b32_e32 v5, 21, v5
	v_or3_b32 v3, v3, v4, v5
	s_delay_alu instid0(VALU_DEP_1)
	v_cvt_f64_f32_e32 v[6:7], v3
.LBB113_886:
	s_or_b32 exec_lo, exec_lo, s2
	s_mov_b32 s2, 0
	s_branch .LBB113_890
.LBB113_887:
	s_mov_b32 s3, -1
                                        ; implicit-def: $vgpr6_vgpr7
	s_branch .LBB113_896
.LBB113_888:
	s_mov_b32 s2, -1
                                        ; implicit-def: $vgpr6_vgpr7
	s_branch .LBB113_893
.LBB113_889:
	s_mov_b32 s2, -1
                                        ; implicit-def: $vgpr6_vgpr7
.LBB113_890:
	s_delay_alu instid0(SALU_CYCLE_1)
	s_and_b32 vcc_lo, exec_lo, s2
	s_cbranch_vccz .LBB113_892
; %bb.891:
	global_load_u8 v3, v[0:1], off
	s_waitcnt vmcnt(0)
	v_lshlrev_b32_e32 v3, 24, v3
	s_delay_alu instid0(VALU_DEP_1) | instskip(NEXT) | instid1(VALU_DEP_1)
	v_and_b32_e32 v4, 0x7f000000, v3
	v_clz_i32_u32_e32 v5, v4
	v_add_nc_u32_e32 v7, 0x1000000, v4
	v_cmp_ne_u32_e32 vcc_lo, 0, v4
	s_delay_alu instid0(VALU_DEP_3) | instskip(NEXT) | instid1(VALU_DEP_1)
	v_min_u32_e32 v5, 32, v5
	v_sub_nc_u32_e64 v5, v5, 4 clamp
	s_delay_alu instid0(VALU_DEP_1) | instskip(SKIP_1) | instid1(VALU_DEP_2)
	v_lshlrev_b32_e32 v6, v5, v4
	v_lshlrev_b32_e32 v5, 23, v5
	v_lshrrev_b32_e32 v6, 4, v6
	s_delay_alu instid0(VALU_DEP_1) | instskip(SKIP_1) | instid1(VALU_DEP_2)
	v_sub_nc_u32_e32 v5, v6, v5
	v_ashrrev_i32_e32 v6, 8, v7
	v_add_nc_u32_e32 v5, 0x3c000000, v5
	s_delay_alu instid0(VALU_DEP_1) | instskip(NEXT) | instid1(VALU_DEP_1)
	v_and_or_b32 v5, 0x7f800000, v6, v5
	v_cndmask_b32_e32 v4, 0, v5, vcc_lo
	s_delay_alu instid0(VALU_DEP_1) | instskip(NEXT) | instid1(VALU_DEP_1)
	v_and_or_b32 v3, 0x80000000, v3, v4
	v_cvt_f64_f32_e32 v[6:7], v3
.LBB113_892:
	s_mov_b32 s2, 0
.LBB113_893:
	s_delay_alu instid0(SALU_CYCLE_1)
	s_and_not1_b32 vcc_lo, exec_lo, s2
	s_cbranch_vccnz .LBB113_895
; %bb.894:
	global_load_u8 v3, v[0:1], off
	s_waitcnt vmcnt(0)
	v_lshlrev_b32_e32 v4, 25, v3
	v_lshlrev_b16 v3, 8, v3
	s_delay_alu instid0(VALU_DEP_2) | instskip(NEXT) | instid1(VALU_DEP_2)
	v_lshrrev_b32_e32 v5, 4, v4
	v_and_or_b32 v6, 0x7f00, v3, 0.5
	v_bfe_i32 v3, v3, 0, 16
	s_delay_alu instid0(VALU_DEP_3) | instskip(NEXT) | instid1(VALU_DEP_1)
	v_or_b32_e32 v5, 0x70000000, v5
	v_dual_add_f32 v6, -0.5, v6 :: v_dual_mul_f32 v5, 0x7800000, v5
	v_cmp_gt_u32_e32 vcc_lo, 0x8000000, v4
	s_delay_alu instid0(VALU_DEP_2) | instskip(NEXT) | instid1(VALU_DEP_1)
	v_cndmask_b32_e32 v4, v5, v6, vcc_lo
	v_and_or_b32 v3, 0x80000000, v3, v4
	s_delay_alu instid0(VALU_DEP_1)
	v_cvt_f64_f32_e32 v[6:7], v3
.LBB113_895:
	s_mov_b32 s3, 0
	s_mov_b32 s2, -1
.LBB113_896:
	s_and_not1_b32 vcc_lo, exec_lo, s3
	s_mov_b32 s7, 0
	s_cbranch_vccnz .LBB113_905
; %bb.897:
	v_cmp_lt_i16_e32 vcc_lo, 14, v9
	s_cbranch_vccz .LBB113_900
; %bb.898:
	v_cmp_eq_u16_e32 vcc_lo, 15, v9
	s_cbranch_vccz .LBB113_901
; %bb.899:
	global_load_u16 v3, v[0:1], off
	s_mov_b32 s6, 0
	s_mov_b32 s2, -1
	s_waitcnt vmcnt(0)
	v_lshlrev_b32_e32 v3, 16, v3
	s_delay_alu instid0(VALU_DEP_1)
	v_cvt_f64_f32_e32 v[6:7], v3
	s_branch .LBB113_902
.LBB113_900:
	s_mov_b32 s3, -1
                                        ; implicit-def: $vgpr6_vgpr7
	s_branch .LBB113_903
.LBB113_901:
	s_mov_b32 s6, -1
                                        ; implicit-def: $vgpr6_vgpr7
.LBB113_902:
	s_mov_b32 s3, 0
.LBB113_903:
	s_delay_alu instid0(SALU_CYCLE_1)
	s_and_b32 vcc_lo, exec_lo, s3
	s_cbranch_vccz .LBB113_905
; %bb.904:
	v_cmp_ne_u16_e32 vcc_lo, 11, v9
	s_and_not1_b32 s3, s6, exec_lo
	s_mov_b32 s7, -1
                                        ; implicit-def: $vgpr6_vgpr7
	s_and_b32 s6, vcc_lo, exec_lo
	s_delay_alu instid0(SALU_CYCLE_1)
	s_or_b32 s6, s3, s6
.LBB113_905:
	s_mov_b32 s3, 0
.LBB113_906:
	s_and_not1_b32 s8, s22, exec_lo
	s_and_b32 s6, s6, exec_lo
	s_and_b32 s41, s2, exec_lo
	;; [unrolled: 1-line block ×4, first 2 shown]
	s_or_b32 s42, s8, s6
.LBB113_907:
	s_or_b32 exec_lo, exec_lo, s30
	s_waitcnt lgkmcnt(0)
	s_and_not1_b32 s6, s22, exec_lo
	s_and_b32 s7, s42, exec_lo
	s_and_b32 s41, s41, exec_lo
	;; [unrolled: 1-line block ×4, first 2 shown]
	s_or_b32 s22, s6, s7
.LBB113_908:
	s_or_b32 exec_lo, exec_lo, s40
	s_waitcnt lgkmcnt(0)
	s_and_not1_b32 s6, s38, exec_lo
	s_and_b32 s7, s23, exec_lo
	s_and_b32 s40, s41, exec_lo
	s_or_b32 s38, s6, s7
	s_and_not1_b32 s6, s37, exec_lo
	s_and_b32 s7, s22, exec_lo
	s_and_b32 s23, s3, exec_lo
	;; [unrolled: 1-line block ×3, first 2 shown]
	s_or_b32 s37, s6, s7
.LBB113_909:
	s_or_b32 exec_lo, exec_lo, s39
	s_delay_alu instid0(SALU_CYCLE_1)
	s_and_not1_b32 s2, s34, exec_lo
	s_waitcnt lgkmcnt(0)
	s_and_b32 s6, s38, exec_lo
	s_and_b32 s7, s37, exec_lo
	s_or_b32 s34, s2, s6
	s_and_not1_b32 s6, s35, exec_lo
	s_and_b32 s2, s40, exec_lo
	s_and_b32 s22, s23, exec_lo
	;; [unrolled: 1-line block ×3, first 2 shown]
	s_or_b32 s35, s6, s7
.LBB113_910:
	s_or_b32 exec_lo, exec_lo, s36
	s_waitcnt lgkmcnt(0)
	s_mov_b32 s6, 0
	s_and_saveexec_b32 s3, s35
	s_cbranch_execnz .LBB113_922
; %bb.911:
	s_or_b32 exec_lo, exec_lo, s3
	s_and_saveexec_b32 s3, s37
	s_delay_alu instid0(SALU_CYCLE_1)
	s_xor_b32 s3, exec_lo, s3
	s_cbranch_execz .LBB113_913
.LBB113_912:
	global_load_u8 v3, v[0:1], off
	v_mov_b32_e32 v6, 0
	s_or_b32 s2, s2, exec_lo
	s_waitcnt vmcnt(0)
	v_cmp_ne_u16_e32 vcc_lo, 0, v3
	v_cndmask_b32_e64 v7, 0, 0x3ff00000, vcc_lo
.LBB113_913:
	s_or_b32 exec_lo, exec_lo, s3
	s_and_saveexec_b32 s3, s22
	s_cbranch_execz .LBB113_961
; %bb.914:
	v_cmp_gt_i16_e32 vcc_lo, 5, v9
	s_cbranch_vccnz .LBB113_919
; %bb.915:
	v_cmp_gt_i16_e32 vcc_lo, 8, v9
	s_cbranch_vccnz .LBB113_920
	;; [unrolled: 3-line block ×3, first 2 shown]
; %bb.917:
	v_cmp_lt_i16_e32 vcc_lo, 9, v9
	s_cbranch_vccz .LBB113_924
; %bb.918:
	global_load_b64 v[6:7], v[0:1], off
	s_mov_b32 s7, 0
	s_branch .LBB113_925
.LBB113_919:
                                        ; implicit-def: $vgpr6_vgpr7
	s_branch .LBB113_942
.LBB113_920:
                                        ; implicit-def: $vgpr6_vgpr7
	s_branch .LBB113_931
.LBB113_921:
	s_mov_b32 s7, -1
                                        ; implicit-def: $vgpr6_vgpr7
	s_branch .LBB113_928
.LBB113_922:
	s_cbranch_execnz .LBB113_1192
; %bb.923:
	s_mov_b32 s6, exec_lo
	s_and_not1_b32 s37, s37, exec_lo
                                        ; implicit-def: $vgpr6_vgpr7
	s_or_b32 exec_lo, exec_lo, s3
	s_and_saveexec_b32 s3, s37
	s_delay_alu instid0(SALU_CYCLE_1)
	s_xor_b32 s3, exec_lo, s3
	s_cbranch_execnz .LBB113_912
	s_branch .LBB113_913
.LBB113_924:
	s_mov_b32 s7, -1
                                        ; implicit-def: $vgpr6_vgpr7
.LBB113_925:
	s_delay_alu instid0(SALU_CYCLE_1)
	s_and_not1_b32 vcc_lo, exec_lo, s7
	s_cbranch_vccnz .LBB113_927
; %bb.926:
	global_load_b32 v3, v[0:1], off
	s_waitcnt vmcnt(0)
	v_cvt_f64_f32_e32 v[6:7], v3
.LBB113_927:
	s_mov_b32 s7, 0
.LBB113_928:
	s_delay_alu instid0(SALU_CYCLE_1)
	s_and_not1_b32 vcc_lo, exec_lo, s7
	s_cbranch_vccnz .LBB113_930
; %bb.929:
	global_load_b32 v3, v[0:1], off
	s_waitcnt vmcnt(0)
	v_cvt_f32_f16_e32 v3, v3
	s_delay_alu instid0(VALU_DEP_1)
	v_cvt_f64_f32_e32 v[6:7], v3
.LBB113_930:
	s_cbranch_execnz .LBB113_941
.LBB113_931:
	v_cmp_gt_i16_e32 vcc_lo, 6, v9
	s_cbranch_vccnz .LBB113_934
; %bb.932:
	v_cmp_lt_i16_e32 vcc_lo, 6, v9
	s_cbranch_vccz .LBB113_935
; %bb.933:
	global_load_b64 v[6:7], v[0:1], off
	s_mov_b32 s7, 0
	s_branch .LBB113_936
.LBB113_934:
	s_mov_b32 s7, -1
                                        ; implicit-def: $vgpr6_vgpr7
	s_branch .LBB113_939
.LBB113_935:
	s_mov_b32 s7, -1
                                        ; implicit-def: $vgpr6_vgpr7
.LBB113_936:
	s_delay_alu instid0(SALU_CYCLE_1)
	s_and_not1_b32 vcc_lo, exec_lo, s7
	s_cbranch_vccnz .LBB113_938
; %bb.937:
	global_load_b32 v3, v[0:1], off
	s_waitcnt vmcnt(0)
	v_cvt_f64_f32_e32 v[6:7], v3
.LBB113_938:
	s_mov_b32 s7, 0
.LBB113_939:
	s_delay_alu instid0(SALU_CYCLE_1)
	s_and_not1_b32 vcc_lo, exec_lo, s7
	s_cbranch_vccnz .LBB113_941
; %bb.940:
	global_load_u16 v3, v[0:1], off
	s_waitcnt vmcnt(0)
	v_cvt_f32_f16_e32 v3, v3
	s_delay_alu instid0(VALU_DEP_1)
	v_cvt_f64_f32_e32 v[6:7], v3
.LBB113_941:
	s_cbranch_execnz .LBB113_960
.LBB113_942:
	v_cmp_gt_i16_e32 vcc_lo, 2, v9
	s_cbranch_vccnz .LBB113_946
; %bb.943:
	v_cmp_gt_i16_e32 vcc_lo, 3, v9
	s_cbranch_vccnz .LBB113_947
; %bb.944:
	v_cmp_lt_i16_e32 vcc_lo, 3, v9
	s_cbranch_vccz .LBB113_948
; %bb.945:
	global_load_b64 v[3:4], v[0:1], off
	s_mov_b32 s7, 0
	s_waitcnt vmcnt(0)
	v_cvt_f64_i32_e32 v[4:5], v4
	v_cvt_f64_u32_e32 v[6:7], v3
	s_delay_alu instid0(VALU_DEP_2) | instskip(NEXT) | instid1(VALU_DEP_1)
	v_ldexp_f64 v[4:5], v[4:5], 32
	v_add_f64 v[6:7], v[4:5], v[6:7]
	s_branch .LBB113_949
.LBB113_946:
                                        ; implicit-def: $vgpr6_vgpr7
	s_branch .LBB113_955
.LBB113_947:
	s_mov_b32 s7, -1
                                        ; implicit-def: $vgpr6_vgpr7
	s_branch .LBB113_952
.LBB113_948:
	s_mov_b32 s7, -1
                                        ; implicit-def: $vgpr6_vgpr7
.LBB113_949:
	s_delay_alu instid0(SALU_CYCLE_1)
	s_and_not1_b32 vcc_lo, exec_lo, s7
	s_cbranch_vccnz .LBB113_951
; %bb.950:
	global_load_b32 v3, v[0:1], off
	s_waitcnt vmcnt(0)
	v_cvt_f64_i32_e32 v[6:7], v3
.LBB113_951:
	s_mov_b32 s7, 0
.LBB113_952:
	s_delay_alu instid0(SALU_CYCLE_1)
	s_and_not1_b32 vcc_lo, exec_lo, s7
	s_cbranch_vccnz .LBB113_954
; %bb.953:
	global_load_i16 v3, v[0:1], off
	s_waitcnt vmcnt(0)
	v_cvt_f64_i32_e32 v[6:7], v3
.LBB113_954:
	s_cbranch_execnz .LBB113_960
.LBB113_955:
	v_cmp_lt_i16_e32 vcc_lo, 0, v9
	s_mov_b32 s7, 0
	s_cbranch_vccz .LBB113_957
; %bb.956:
	global_load_i8 v3, v[0:1], off
	s_waitcnt vmcnt(0)
	v_cvt_f64_i32_e32 v[6:7], v3
	s_branch .LBB113_958
.LBB113_957:
	s_mov_b32 s7, -1
                                        ; implicit-def: $vgpr6_vgpr7
.LBB113_958:
	s_delay_alu instid0(SALU_CYCLE_1)
	s_and_not1_b32 vcc_lo, exec_lo, s7
	s_cbranch_vccnz .LBB113_960
; %bb.959:
	global_load_u8 v0, v[0:1], off
	s_waitcnt vmcnt(0)
	v_cvt_f64_u32_e32 v[6:7], v0
.LBB113_960:
	s_or_b32 s2, s2, exec_lo
.LBB113_961:
	s_or_b32 exec_lo, exec_lo, s3
	s_mov_b32 s8, 0
	s_mov_b32 s3, 0
                                        ; implicit-def: $vgpr9
                                        ; implicit-def: $vgpr4_vgpr5
                                        ; implicit-def: $vgpr0_vgpr1
	s_and_saveexec_b32 s7, s2
	s_cbranch_execz .LBB113_1038
; %bb.962:
	s_mov_b32 s2, 0x652b82fe
	s_mov_b32 s3, 0x3ff71547
	;; [unrolled: 1-line block ×3, first 2 shown]
	s_waitcnt vmcnt(0)
	s_delay_alu instid0(VALU_DEP_1)
	v_mul_f64 v[0:1], v[6:7], s[2:3]
	s_mov_b32 s3, 0xbfe62e42
	s_mov_b32 s2, 0xfefa39ef
	;; [unrolled: 1-line block ×5, first 2 shown]
	s_delay_alu instid0(VALU_DEP_1) | instskip(NEXT) | instid1(VALU_DEP_1)
	v_rndne_f64_e32 v[0:1], v[0:1]
	v_fma_f64 v[3:4], v[0:1], s[2:3], v[6:7]
	v_cvt_i32_f64_e32 v5, v[0:1]
	v_cmp_eq_f64_e32 vcc_lo, 0x40900000, v[0:1]
	s_mov_b32 s3, 0x40862e42
	s_delay_alu instid0(SALU_CYCLE_1)
	v_cmp_nlt_f64_e64 s2, s[2:3], v[6:7]
	v_cmp_ngt_f64_e64 s3, 0xc0428000, v[6:7]
	v_fma_f64 v[3:4], v[0:1], s[8:9], v[3:4]
	s_mov_b32 s8, 0x2a1b768b
	s_mov_b32 s9, 0x3e5af4eb
	v_cndmask_b32_e64 v0, v5, 0x3ff, vcc_lo
	s_delay_alu instid0(VALU_DEP_1) | instskip(NEXT) | instid1(VALU_DEP_3)
	v_ldexp_f64 v[0:1], 1.0, v0
	v_fma_f64 v[9:10], v[3:4], s[10:11], s[8:9]
	s_mov_b32 s8, 0xe0ac05b
	s_mov_b32 s9, 0x3e927e50
	s_delay_alu instid0(VALU_DEP_2) | instskip(NEXT) | instid1(VALU_DEP_2)
	v_add_f64 v[11:12], v[0:1], -1.0
	v_fma_f64 v[9:10], v[3:4], v[9:10], s[8:9]
	s_mov_b32 s8, 0x1b889c29
	s_mov_b32 s9, 0x3ec71de0
	s_delay_alu instid0(VALU_DEP_1) | instid1(SALU_CYCLE_1)
	v_fma_f64 v[9:10], v[3:4], v[9:10], s[8:9]
	s_mov_b32 s8, 0x197bcfd8
	s_mov_b32 s9, 0x3efa01a0
	s_delay_alu instid0(VALU_DEP_1) | instid1(SALU_CYCLE_1)
	;; [unrolled: 4-line block ×7, first 2 shown]
	v_fma_f64 v[9:10], v[3:4], v[9:10], s[8:9]
	s_mov_b32 s8, 0
	s_delay_alu instid0(VALU_DEP_1) | instskip(NEXT) | instid1(VALU_DEP_1)
	v_fma_f64 v[9:10], v[3:4], v[9:10], 0.5
	v_mul_f64 v[9:10], v[3:4], v[9:10]
	s_delay_alu instid0(VALU_DEP_1) | instskip(SKIP_1) | instid1(VALU_DEP_2)
	v_fma_f64 v[3:4], v[3:4], v[9:10], v[3:4]
	v_and_b32_e32 v9, 0xff, v8
	v_fma_f64 v[0:1], v[0:1], v[3:4], v[11:12]
	s_delay_alu instid0(VALU_DEP_1) | instskip(NEXT) | instid1(VALU_DEP_1)
	v_add_f64 v[3:4], v[0:1], v[0:1]
	v_dual_cndmask_b32 v1, v1, v4 :: v_dual_cndmask_b32 v0, v0, v3
	v_add_co_u32 v4, s4, s4, v2
	v_cmp_gt_i16_e32 vcc_lo, 11, v9
	s_delay_alu instid0(VALU_DEP_3) | instskip(SKIP_3) | instid1(VALU_DEP_3)
	v_cndmask_b32_e64 v1, 0x7ff00000, v1, s2
	s_and_b32 s2, s3, s2
	v_add_co_ci_u32_e64 v5, null, s5, 0, s4
	v_cndmask_b32_e64 v0, 0, v0, s2
	v_cndmask_b32_e64 v1, 0xbff00000, v1, s3
	s_mov_b32 s4, -1
	s_mov_b32 s2, s34
	s_cbranch_vccnz .LBB113_1037
; %bb.963:
	v_cmp_lt_i16_e32 vcc_lo, 25, v9
	s_mov_b32 s3, -1
	s_mov_b32 s2, s34
	s_cbranch_vccz .LBB113_996
; %bb.964:
	v_cmp_lt_i16_e32 vcc_lo, 28, v9
	s_mov_b32 s2, s34
	s_cbranch_vccz .LBB113_980
; %bb.965:
	v_cmp_lt_i16_e32 vcc_lo, 43, v9
	;; [unrolled: 4-line block ×3, first 2 shown]
	s_mov_b32 s2, s34
	s_cbranch_vccz .LBB113_970
; %bb.967:
	v_cmp_eq_u16_e32 vcc_lo, 46, v9
	s_mov_b32 s2, -1
	s_cbranch_vccz .LBB113_969
; %bb.968:
	v_cvt_f32_f64_e32 v2, v[0:1]
	s_mov_b32 s2, 0
	s_delay_alu instid0(VALU_DEP_1) | instskip(SKIP_1) | instid1(VALU_DEP_2)
	v_bfe_u32 v3, v2, 16, 1
	v_cmp_o_f32_e32 vcc_lo, v2, v2
	v_add3_u32 v3, v2, v3, 0x7fff
	s_delay_alu instid0(VALU_DEP_1) | instskip(NEXT) | instid1(VALU_DEP_1)
	v_lshrrev_b32_e32 v3, 16, v3
	v_cndmask_b32_e32 v2, 0x7fc0, v3, vcc_lo
	global_store_b32 v[4:5], v2, off
.LBB113_969:
	s_mov_b32 s3, 0
.LBB113_970:
	s_delay_alu instid0(SALU_CYCLE_1)
	s_and_b32 vcc_lo, exec_lo, s3
	s_cbranch_vccz .LBB113_975
; %bb.971:
	v_cmp_eq_u16_e32 vcc_lo, 44, v9
	s_mov_b32 s2, -1
	s_cbranch_vccz .LBB113_975
; %bb.972:
	v_cvt_f32_f64_e32 v2, v[0:1]
	v_mov_b32_e32 v3, 0xff
	s_mov_b32 s3, exec_lo
	s_delay_alu instid0(VALU_DEP_2) | instskip(NEXT) | instid1(VALU_DEP_1)
	v_bfe_u32 v6, v2, 23, 8
	v_cmpx_ne_u32_e32 0xff, v6
; %bb.973:
	v_and_b32_e32 v3, 0x400000, v2
	v_and_or_b32 v6, 0x3fffff, v2, v6
	v_lshrrev_b32_e32 v2, 23, v2
	s_delay_alu instid0(VALU_DEP_3) | instskip(NEXT) | instid1(VALU_DEP_3)
	v_cmp_ne_u32_e32 vcc_lo, 0, v3
	v_cmp_ne_u32_e64 s2, 0, v6
	s_delay_alu instid0(VALU_DEP_1) | instskip(NEXT) | instid1(SALU_CYCLE_1)
	s_and_b32 s2, vcc_lo, s2
	v_cndmask_b32_e64 v3, 0, 1, s2
	s_delay_alu instid0(VALU_DEP_1)
	v_add_nc_u32_e32 v3, v2, v3
; %bb.974:
	s_or_b32 exec_lo, exec_lo, s3
	s_mov_b32 s2, 0
	global_store_b8 v[4:5], v3, off
.LBB113_975:
	s_mov_b32 s3, 0
.LBB113_976:
	s_delay_alu instid0(SALU_CYCLE_1)
	s_and_b32 vcc_lo, exec_lo, s3
	s_cbranch_vccz .LBB113_979
; %bb.977:
	v_cmp_eq_u16_e32 vcc_lo, 29, v9
	s_mov_b32 s2, -1
	s_cbranch_vccz .LBB113_979
; %bb.978:
	v_trunc_f64_e32 v[2:3], v[0:1]
	s_mov_b32 s2, 0
	s_delay_alu instid0(VALU_DEP_1) | instskip(NEXT) | instid1(VALU_DEP_1)
	v_ldexp_f64 v[6:7], v[2:3], 0xffffffe0
	v_floor_f64_e32 v[6:7], v[6:7]
	s_delay_alu instid0(VALU_DEP_1) | instskip(SKIP_1) | instid1(VALU_DEP_2)
	v_fma_f64 v[2:3], 0xc1f00000, v[6:7], v[2:3]
	v_cvt_u32_f64_e32 v7, v[6:7]
	v_cvt_u32_f64_e32 v6, v[2:3]
	global_store_b64 v[4:5], v[6:7], off
.LBB113_979:
	s_mov_b32 s3, 0
.LBB113_980:
	s_delay_alu instid0(SALU_CYCLE_1)
	s_and_b32 vcc_lo, exec_lo, s3
	s_cbranch_vccz .LBB113_995
; %bb.981:
	v_cmp_gt_i16_e32 vcc_lo, 27, v9
	s_mov_b32 s3, -1
	s_cbranch_vccnz .LBB113_987
; %bb.982:
	v_cvt_u32_f64_e32 v2, v[0:1]
	v_cmp_lt_i16_e32 vcc_lo, 27, v9
	s_cbranch_vccz .LBB113_984
; %bb.983:
	s_mov_b32 s3, 0
	global_store_b32 v[4:5], v2, off
.LBB113_984:
	s_and_not1_b32 vcc_lo, exec_lo, s3
	s_cbranch_vccnz .LBB113_986
; %bb.985:
	global_store_b16 v[4:5], v2, off
.LBB113_986:
	s_mov_b32 s3, 0
.LBB113_987:
	s_delay_alu instid0(SALU_CYCLE_1)
	s_and_not1_b32 vcc_lo, exec_lo, s3
	s_cbranch_vccnz .LBB113_995
; %bb.988:
	v_cvt_f32_f64_e32 v2, v[0:1]
	v_mov_b32_e32 v6, 0x80
	s_mov_b32 s3, exec_lo
	s_delay_alu instid0(VALU_DEP_2) | instskip(NEXT) | instid1(VALU_DEP_1)
	v_and_b32_e32 v3, 0x7fffffff, v2
	v_cmpx_gt_u32_e32 0x43800000, v3
	s_cbranch_execz .LBB113_994
; %bb.989:
	v_cmp_lt_u32_e32 vcc_lo, 0x3bffffff, v3
	s_mov_b32 s4, 0
                                        ; implicit-def: $vgpr3
	s_and_saveexec_b32 s5, vcc_lo
	s_delay_alu instid0(SALU_CYCLE_1)
	s_xor_b32 s5, exec_lo, s5
	s_cbranch_execz .LBB113_1283
; %bb.990:
	v_bfe_u32 v3, v2, 20, 1
	s_mov_b32 s4, exec_lo
	s_delay_alu instid0(VALU_DEP_1) | instskip(NEXT) | instid1(VALU_DEP_1)
	v_add3_u32 v3, v2, v3, 0x487ffff
	v_lshrrev_b32_e32 v3, 20, v3
	s_or_saveexec_b32 s5, s5
                                        ; implicit-def: $sgpr8
	s_delay_alu instid0(SALU_CYCLE_1)
	s_xor_b32 exec_lo, exec_lo, s5
	s_cbranch_execnz .LBB113_1284
.LBB113_991:
	s_or_b32 exec_lo, exec_lo, s5
	v_mov_b32_e32 v6, s8
	s_and_saveexec_b32 s5, s4
.LBB113_992:
	v_lshrrev_b32_e32 v2, 24, v2
	s_delay_alu instid0(VALU_DEP_1)
	v_and_or_b32 v6, 0x80, v2, v3
.LBB113_993:
	s_or_b32 exec_lo, exec_lo, s5
.LBB113_994:
	s_delay_alu instid0(SALU_CYCLE_1)
	s_or_b32 exec_lo, exec_lo, s3
	global_store_b8 v[4:5], v6, off
.LBB113_995:
	s_mov_b32 s3, 0
.LBB113_996:
	s_delay_alu instid0(SALU_CYCLE_1)
	s_and_b32 vcc_lo, exec_lo, s3
	s_mov_b32 s4, 0
	s_cbranch_vccz .LBB113_1036
; %bb.997:
	v_cmp_lt_i16_e32 vcc_lo, 22, v9
	s_mov_b32 s3, -1
	s_cbranch_vccz .LBB113_1029
; %bb.998:
	v_cmp_gt_i16_e32 vcc_lo, 24, v9
	s_cbranch_vccnz .LBB113_1018
; %bb.999:
	v_cmp_lt_i16_e32 vcc_lo, 24, v9
	s_cbranch_vccz .LBB113_1007
; %bb.1000:
	v_cvt_f32_f64_e32 v2, v[0:1]
	v_mov_b32_e32 v6, 0x80
	s_mov_b32 s3, exec_lo
	s_delay_alu instid0(VALU_DEP_2) | instskip(NEXT) | instid1(VALU_DEP_1)
	v_and_b32_e32 v3, 0x7fffffff, v2
	v_cmpx_gt_u32_e32 0x47800000, v3
	s_cbranch_execz .LBB113_1006
; %bb.1001:
	v_cmp_lt_u32_e32 vcc_lo, 0x37ffffff, v3
	s_mov_b32 s5, 0
                                        ; implicit-def: $vgpr3
	s_and_saveexec_b32 s8, vcc_lo
	s_delay_alu instid0(SALU_CYCLE_1)
	s_xor_b32 s8, exec_lo, s8
	s_cbranch_execz .LBB113_1327
; %bb.1002:
	v_bfe_u32 v3, v2, 21, 1
	s_mov_b32 s5, exec_lo
	s_delay_alu instid0(VALU_DEP_1) | instskip(NEXT) | instid1(VALU_DEP_1)
	v_add3_u32 v3, v2, v3, 0x88fffff
	v_lshrrev_b32_e32 v3, 21, v3
	s_or_saveexec_b32 s8, s8
                                        ; implicit-def: $sgpr9
	s_delay_alu instid0(SALU_CYCLE_1)
	s_xor_b32 exec_lo, exec_lo, s8
	s_cbranch_execnz .LBB113_1328
.LBB113_1003:
	s_or_b32 exec_lo, exec_lo, s8
	v_mov_b32_e32 v6, s9
	s_and_saveexec_b32 s8, s5
.LBB113_1004:
	v_lshrrev_b32_e32 v2, 24, v2
	s_delay_alu instid0(VALU_DEP_1)
	v_and_or_b32 v6, 0x80, v2, v3
.LBB113_1005:
	s_or_b32 exec_lo, exec_lo, s8
.LBB113_1006:
	s_delay_alu instid0(SALU_CYCLE_1)
	s_or_b32 exec_lo, exec_lo, s3
	s_mov_b32 s3, 0
	global_store_b8 v[4:5], v6, off
.LBB113_1007:
	s_and_b32 vcc_lo, exec_lo, s3
	s_cbranch_vccz .LBB113_1017
; %bb.1008:
	v_cvt_f32_f64_e32 v2, v[0:1]
	s_mov_b32 s3, exec_lo
                                        ; implicit-def: $vgpr3
	s_delay_alu instid0(VALU_DEP_1) | instskip(NEXT) | instid1(VALU_DEP_1)
	v_and_b32_e32 v6, 0x7fffffff, v2
	v_cmpx_gt_u32_e32 0x43f00000, v6
	s_xor_b32 s3, exec_lo, s3
	s_cbranch_execz .LBB113_1014
; %bb.1009:
	s_mov_b32 s5, exec_lo
                                        ; implicit-def: $vgpr3
	v_cmpx_lt_u32_e32 0x3c7fffff, v6
	s_xor_b32 s5, exec_lo, s5
; %bb.1010:
	v_bfe_u32 v3, v2, 20, 1
	s_delay_alu instid0(VALU_DEP_1) | instskip(NEXT) | instid1(VALU_DEP_1)
	v_add3_u32 v3, v2, v3, 0x407ffff
	v_and_b32_e32 v6, 0xff00000, v3
	v_lshrrev_b32_e32 v3, 20, v3
	s_delay_alu instid0(VALU_DEP_2) | instskip(NEXT) | instid1(VALU_DEP_2)
	v_cmp_ne_u32_e32 vcc_lo, 0x7f00000, v6
	v_cndmask_b32_e32 v3, 0x7e, v3, vcc_lo
; %bb.1011:
	s_and_not1_saveexec_b32 s5, s5
; %bb.1012:
	v_add_f32_e64 v3, 0x46800000, |v2|
; %bb.1013:
	s_or_b32 exec_lo, exec_lo, s5
                                        ; implicit-def: $vgpr6
.LBB113_1014:
	s_and_not1_saveexec_b32 s3, s3
; %bb.1015:
	v_mov_b32_e32 v3, 0x7f
	v_cmp_lt_u32_e32 vcc_lo, 0x7f800000, v6
	s_delay_alu instid0(VALU_DEP_2)
	v_cndmask_b32_e32 v3, 0x7e, v3, vcc_lo
; %bb.1016:
	s_or_b32 exec_lo, exec_lo, s3
	v_lshrrev_b32_e32 v2, 24, v2
	s_delay_alu instid0(VALU_DEP_1)
	v_and_or_b32 v2, 0x80, v2, v3
	global_store_b8 v[4:5], v2, off
.LBB113_1017:
	s_mov_b32 s3, 0
.LBB113_1018:
	s_delay_alu instid0(SALU_CYCLE_1)
	s_and_not1_b32 vcc_lo, exec_lo, s3
	s_cbranch_vccnz .LBB113_1028
; %bb.1019:
	v_cvt_f32_f64_e32 v2, v[0:1]
	s_mov_b32 s3, exec_lo
                                        ; implicit-def: $vgpr3
	s_delay_alu instid0(VALU_DEP_1) | instskip(NEXT) | instid1(VALU_DEP_1)
	v_and_b32_e32 v6, 0x7fffffff, v2
	v_cmpx_gt_u32_e32 0x47800000, v6
	s_xor_b32 s3, exec_lo, s3
	s_cbranch_execz .LBB113_1025
; %bb.1020:
	s_mov_b32 s5, exec_lo
                                        ; implicit-def: $vgpr3
	v_cmpx_lt_u32_e32 0x387fffff, v6
	s_xor_b32 s5, exec_lo, s5
; %bb.1021:
	v_bfe_u32 v3, v2, 21, 1
	s_delay_alu instid0(VALU_DEP_1) | instskip(NEXT) | instid1(VALU_DEP_1)
	v_add3_u32 v3, v2, v3, 0x80fffff
	v_lshrrev_b32_e32 v3, 21, v3
; %bb.1022:
	s_and_not1_saveexec_b32 s5, s5
; %bb.1023:
	v_add_f32_e64 v3, 0x43000000, |v2|
; %bb.1024:
	s_or_b32 exec_lo, exec_lo, s5
                                        ; implicit-def: $vgpr6
.LBB113_1025:
	s_and_not1_saveexec_b32 s3, s3
; %bb.1026:
	v_mov_b32_e32 v3, 0x7f
	v_cmp_lt_u32_e32 vcc_lo, 0x7f800000, v6
	s_delay_alu instid0(VALU_DEP_2)
	v_cndmask_b32_e32 v3, 0x7c, v3, vcc_lo
; %bb.1027:
	s_or_b32 exec_lo, exec_lo, s3
	v_lshrrev_b32_e32 v2, 24, v2
	s_delay_alu instid0(VALU_DEP_1)
	v_and_or_b32 v2, 0x80, v2, v3
	global_store_b8 v[4:5], v2, off
.LBB113_1028:
	s_mov_b32 s3, 0
.LBB113_1029:
	s_delay_alu instid0(SALU_CYCLE_1)
	s_and_not1_b32 vcc_lo, exec_lo, s3
	s_mov_b32 s8, 0
	s_cbranch_vccnz .LBB113_1037
; %bb.1030:
	v_cmp_lt_i16_e32 vcc_lo, 14, v9
	s_mov_b32 s3, -1
	s_cbranch_vccz .LBB113_1034
; %bb.1031:
	v_cmp_eq_u16_e32 vcc_lo, 15, v9
	s_mov_b32 s2, -1
	s_cbranch_vccz .LBB113_1033
; %bb.1032:
	v_cvt_f32_f64_e32 v2, v[0:1]
	s_mov_b32 s2, 0
	s_delay_alu instid0(VALU_DEP_1) | instskip(SKIP_1) | instid1(VALU_DEP_2)
	v_bfe_u32 v3, v2, 16, 1
	v_cmp_o_f32_e32 vcc_lo, v2, v2
	v_add3_u32 v3, v2, v3, 0x7fff
	s_delay_alu instid0(VALU_DEP_1) | instskip(NEXT) | instid1(VALU_DEP_1)
	v_lshrrev_b32_e32 v3, 16, v3
	v_cndmask_b32_e32 v2, 0x7fc0, v3, vcc_lo
	global_store_b16 v[4:5], v2, off
.LBB113_1033:
	s_mov_b32 s3, 0
.LBB113_1034:
	s_delay_alu instid0(SALU_CYCLE_1)
	s_and_b32 vcc_lo, exec_lo, s3
	s_cbranch_vccz .LBB113_1037
; %bb.1035:
	v_cmp_ne_u16_e32 vcc_lo, 11, v9
	s_and_not1_b32 s2, s2, exec_lo
	s_mov_b32 s8, -1
	s_and_b32 s3, vcc_lo, exec_lo
	s_delay_alu instid0(SALU_CYCLE_1)
	s_or_b32 s2, s2, s3
	s_branch .LBB113_1037
.LBB113_1036:
	s_mov_b32 s8, 0
.LBB113_1037:
	s_and_b32 s3, s4, exec_lo
	s_and_not1_b32 s4, s34, exec_lo
	s_and_b32 s2, s2, exec_lo
	s_and_b32 s8, s8, exec_lo
	s_or_b32 s34, s4, s2
.LBB113_1038:
	s_or_b32 exec_lo, exec_lo, s7
	s_and_saveexec_b32 s2, s34
	s_cbranch_execnz .LBB113_1152
; %bb.1039:
	s_or_b32 exec_lo, exec_lo, s2
	s_and_saveexec_b32 s2, s8
	s_delay_alu instid0(SALU_CYCLE_1)
	s_xor_b32 s2, exec_lo, s2
	s_cbranch_execz .LBB113_1041
.LBB113_1040:
	v_cmp_neq_f64_e32 vcc_lo, 0, v[0:1]
	v_cndmask_b32_e64 v2, 0, 1, vcc_lo
	s_waitcnt vmcnt(0)
	global_store_b8 v[4:5], v2, off
.LBB113_1041:
	s_or_b32 exec_lo, exec_lo, s2
	s_and_saveexec_b32 s2, s3
	s_delay_alu instid0(SALU_CYCLE_1)
	s_xor_b32 s2, exec_lo, s2
	s_cbranch_execz .LBB113_1079
; %bb.1042:
	v_cmp_gt_i16_e32 vcc_lo, 5, v9
	s_mov_b32 s3, -1
	s_cbranch_vccnz .LBB113_1063
; %bb.1043:
	v_cmp_gt_i16_e32 vcc_lo, 8, v9
	s_cbranch_vccnz .LBB113_1053
; %bb.1044:
	v_cmp_gt_i16_e32 vcc_lo, 9, v9
	s_cbranch_vccnz .LBB113_1050
; %bb.1045:
	v_cmp_lt_i16_e32 vcc_lo, 9, v9
	s_cbranch_vccz .LBB113_1047
; %bb.1046:
	v_mov_b32_e32 v2, 0
	s_mov_b32 s3, 0
	s_waitcnt vmcnt(0)
	s_delay_alu instid0(VALU_DEP_1)
	v_mov_b32_e32 v3, v2
	global_store_b128 v[4:5], v[0:3], off
.LBB113_1047:
	s_and_not1_b32 vcc_lo, exec_lo, s3
	s_cbranch_vccnz .LBB113_1049
; %bb.1048:
	v_cvt_f32_f64_e32 v2, v[0:1]
	s_waitcnt vmcnt(0)
	v_mov_b32_e32 v3, 0
	global_store_b64 v[4:5], v[2:3], off
.LBB113_1049:
	s_mov_b32 s3, 0
.LBB113_1050:
	s_delay_alu instid0(SALU_CYCLE_1)
	s_and_not1_b32 vcc_lo, exec_lo, s3
	s_cbranch_vccnz .LBB113_1052
; %bb.1051:
	v_cvt_f32_f64_e32 v2, v[0:1]
	s_delay_alu instid0(VALU_DEP_1) | instskip(NEXT) | instid1(VALU_DEP_1)
	v_cvt_f16_f32_e32 v2, v2
	v_and_b32_e32 v2, 0xffff, v2
	s_waitcnt vmcnt(0)
	global_store_b32 v[4:5], v2, off
.LBB113_1052:
	s_mov_b32 s3, 0
.LBB113_1053:
	s_delay_alu instid0(SALU_CYCLE_1)
	s_and_not1_b32 vcc_lo, exec_lo, s3
	s_cbranch_vccnz .LBB113_1062
; %bb.1054:
	v_cmp_gt_i16_e32 vcc_lo, 6, v9
	s_mov_b32 s3, -1
	s_cbranch_vccnz .LBB113_1060
; %bb.1055:
	v_cmp_lt_i16_e32 vcc_lo, 6, v9
	s_cbranch_vccz .LBB113_1057
; %bb.1056:
	s_mov_b32 s3, 0
	s_waitcnt vmcnt(0)
	global_store_b64 v[4:5], v[0:1], off
.LBB113_1057:
	s_and_not1_b32 vcc_lo, exec_lo, s3
	s_cbranch_vccnz .LBB113_1059
; %bb.1058:
	v_cvt_f32_f64_e32 v2, v[0:1]
	s_waitcnt vmcnt(0)
	global_store_b32 v[4:5], v2, off
.LBB113_1059:
	s_mov_b32 s3, 0
.LBB113_1060:
	s_delay_alu instid0(SALU_CYCLE_1)
	s_and_not1_b32 vcc_lo, exec_lo, s3
	s_cbranch_vccnz .LBB113_1062
; %bb.1061:
	v_cvt_f32_f64_e32 v2, v[0:1]
	s_delay_alu instid0(VALU_DEP_1)
	v_cvt_f16_f32_e32 v2, v2
	s_waitcnt vmcnt(0)
	global_store_b16 v[4:5], v2, off
.LBB113_1062:
	s_mov_b32 s3, 0
.LBB113_1063:
	s_delay_alu instid0(SALU_CYCLE_1)
	s_and_not1_b32 vcc_lo, exec_lo, s3
	s_cbranch_vccnz .LBB113_1079
; %bb.1064:
	v_cmp_gt_i16_e32 vcc_lo, 2, v9
	s_mov_b32 s3, -1
	s_cbranch_vccnz .LBB113_1074
; %bb.1065:
	v_cmp_gt_i16_e32 vcc_lo, 3, v9
	s_cbranch_vccnz .LBB113_1071
; %bb.1066:
	v_cmp_lt_i16_e32 vcc_lo, 3, v9
	s_cbranch_vccz .LBB113_1068
; %bb.1067:
	s_waitcnt vmcnt(0)
	v_trunc_f64_e32 v[2:3], v[0:1]
	s_mov_b32 s3, 0
	s_delay_alu instid0(VALU_DEP_1) | instskip(NEXT) | instid1(VALU_DEP_1)
	v_ldexp_f64 v[6:7], v[2:3], 0xffffffe0
	v_floor_f64_e32 v[6:7], v[6:7]
	s_delay_alu instid0(VALU_DEP_1) | instskip(SKIP_1) | instid1(VALU_DEP_2)
	v_fma_f64 v[2:3], 0xc1f00000, v[6:7], v[2:3]
	v_cvt_i32_f64_e32 v7, v[6:7]
	v_cvt_u32_f64_e32 v6, v[2:3]
	global_store_b64 v[4:5], v[6:7], off
.LBB113_1068:
	s_and_not1_b32 vcc_lo, exec_lo, s3
	s_cbranch_vccnz .LBB113_1070
; %bb.1069:
	v_cvt_i32_f64_e32 v2, v[0:1]
	s_waitcnt vmcnt(0)
	global_store_b32 v[4:5], v2, off
.LBB113_1070:
	s_mov_b32 s3, 0
.LBB113_1071:
	s_delay_alu instid0(SALU_CYCLE_1)
	s_and_not1_b32 vcc_lo, exec_lo, s3
	s_cbranch_vccnz .LBB113_1073
; %bb.1072:
	v_cvt_i32_f64_e32 v2, v[0:1]
	s_waitcnt vmcnt(0)
	global_store_b16 v[4:5], v2, off
.LBB113_1073:
	s_mov_b32 s3, 0
.LBB113_1074:
	s_delay_alu instid0(SALU_CYCLE_1)
	s_and_not1_b32 vcc_lo, exec_lo, s3
	s_cbranch_vccnz .LBB113_1079
; %bb.1075:
	v_cmp_lt_i16_e32 vcc_lo, 0, v9
	s_mov_b32 s3, -1
	s_cbranch_vccz .LBB113_1077
; %bb.1076:
	v_cvt_i32_f64_e32 v2, v[0:1]
	s_mov_b32 s3, 0
	s_waitcnt vmcnt(0)
	global_store_b8 v[4:5], v2, off
.LBB113_1077:
	s_and_not1_b32 vcc_lo, exec_lo, s3
	s_cbranch_vccnz .LBB113_1079
; %bb.1078:
	v_trunc_f64_e32 v[0:1], v[0:1]
	s_waitcnt vmcnt(0)
	s_delay_alu instid0(VALU_DEP_1) | instskip(NEXT) | instid1(VALU_DEP_1)
	v_ldexp_f64 v[2:3], v[0:1], 0xffffffe0
	v_floor_f64_e32 v[2:3], v[2:3]
	s_delay_alu instid0(VALU_DEP_1) | instskip(NEXT) | instid1(VALU_DEP_1)
	v_fma_f64 v[0:1], 0xc1f00000, v[2:3], v[0:1]
	v_cvt_u32_f64_e32 v0, v[0:1]
	global_store_b8 v[4:5], v0, off
.LBB113_1079:
	s_or_b32 exec_lo, exec_lo, s2
	s_delay_alu instid0(SALU_CYCLE_1)
	s_and_b32 s8, s6, exec_lo
                                        ; implicit-def: $vgpr2
                                        ; implicit-def: $vgpr10
.LBB113_1080:
	s_or_saveexec_b32 s9, s28
	s_mov_b32 s2, 0
                                        ; implicit-def: $vgpr4_vgpr5
                                        ; implicit-def: $vgpr15
                                        ; implicit-def: $vgpr0_vgpr1
	s_xor_b32 exec_lo, exec_lo, s9
	s_cbranch_execz .LBB113_2096
; %bb.1081:
	s_waitcnt vmcnt(0)
	v_cndmask_b32_e64 v3, 0, 1, s27
	s_and_not1_b32 vcc_lo, exec_lo, s27
	s_cbranch_vccnz .LBB113_1087
; %bb.1082:
	v_dual_mov_b32 v0, 0 :: v_dual_mov_b32 v1, 0
	s_cmp_lg_u32 s24, 0
	s_mov_b32 s6, 0
	s_cbranch_scc0 .LBB113_1091
; %bb.1083:
	s_min_u32 s7, s25, 15
	v_mov_b32_e32 v0, 0
	s_add_i32 s7, s7, 1
	s_cmp_eq_u32 s25, 2
	s_mov_b32 s10, 0
	s_cbranch_scc1 .LBB113_1088
; %bb.1084:
	v_dual_mov_b32 v1, 0 :: v_dual_mov_b32 v0, 0
	v_mov_b32_e32 v4, v10
	s_add_u32 s2, s16, 0xc4
	s_addc_u32 s3, s17, 0
	s_and_b32 s10, s7, 28
	s_mov_b32 s11, 0
	s_mov_b64 s[4:5], s[16:17]
.LBB113_1085:                           ; =>This Inner Loop Header: Depth=1
	s_clause 0x1
	s_load_b256 s[36:43], s[4:5], 0x4
	s_load_b128 s[12:15], s[4:5], 0x24
	s_load_b256 s[44:51], s[2:3], 0x0
	s_add_u32 s4, s4, 48
	s_addc_u32 s5, s5, 0
	s_add_i32 s11, s11, 4
	s_add_u32 s2, s2, 32
	s_addc_u32 s3, s3, 0
	s_cmp_lg_u32 s10, s11
	s_waitcnt lgkmcnt(0)
	v_mul_hi_u32 v5, s37, v4
	s_delay_alu instid0(VALU_DEP_1) | instskip(NEXT) | instid1(VALU_DEP_1)
	v_add_nc_u32_e32 v5, v4, v5
	v_lshrrev_b32_e32 v5, s38, v5
	s_delay_alu instid0(VALU_DEP_1) | instskip(SKIP_1) | instid1(VALU_DEP_2)
	v_mul_hi_u32 v6, s40, v5
	v_mul_lo_u32 v8, v5, s36
	v_add_nc_u32_e32 v6, v5, v6
	s_delay_alu instid0(VALU_DEP_2) | instskip(NEXT) | instid1(VALU_DEP_2)
	v_sub_nc_u32_e32 v4, v4, v8
	v_lshrrev_b32_e32 v6, s41, v6
	s_delay_alu instid0(VALU_DEP_2) | instskip(SKIP_1) | instid1(VALU_DEP_3)
	v_mul_lo_u32 v8, v4, s44
	v_mul_lo_u32 v11, v4, s45
	v_mul_hi_u32 v7, s43, v6
	s_delay_alu instid0(VALU_DEP_1) | instskip(NEXT) | instid1(VALU_DEP_1)
	v_add_nc_u32_e32 v7, v6, v7
	v_lshrrev_b32_e32 v7, s12, v7
	s_delay_alu instid0(VALU_DEP_1) | instskip(SKIP_1) | instid1(VALU_DEP_2)
	v_mul_hi_u32 v9, s14, v7
	v_mul_lo_u32 v12, v7, s42
	v_add_nc_u32_e32 v4, v7, v9
	v_mul_lo_u32 v9, v6, s39
	s_delay_alu instid0(VALU_DEP_3) | instskip(NEXT) | instid1(VALU_DEP_3)
	v_sub_nc_u32_e32 v6, v6, v12
	v_lshrrev_b32_e32 v4, s15, v4
	s_delay_alu instid0(VALU_DEP_2) | instskip(SKIP_2) | instid1(VALU_DEP_4)
	v_mul_lo_u32 v12, v6, s48
	v_mul_lo_u32 v6, v6, s49
	v_sub_nc_u32_e32 v5, v5, v9
	v_mul_lo_u32 v13, v4, s13
	s_delay_alu instid0(VALU_DEP_2) | instskip(SKIP_1) | instid1(VALU_DEP_3)
	v_mul_lo_u32 v9, v5, s46
	v_mul_lo_u32 v5, v5, s47
	v_sub_nc_u32_e32 v7, v7, v13
	s_delay_alu instid0(VALU_DEP_3) | instskip(NEXT) | instid1(VALU_DEP_2)
	v_add3_u32 v0, v8, v0, v9
	v_mul_lo_u32 v13, v7, s50
	v_mul_lo_u32 v7, v7, s51
	v_add3_u32 v1, v11, v1, v5
	s_delay_alu instid0(VALU_DEP_3) | instskip(NEXT) | instid1(VALU_DEP_2)
	v_add3_u32 v0, v12, v0, v13
	v_add3_u32 v1, v6, v1, v7
	s_cbranch_scc1 .LBB113_1085
; %bb.1086:
	s_and_b32 s7, s7, 3
	s_delay_alu instid0(SALU_CYCLE_1)
	s_cmp_eq_u32 s7, 0
	s_cbranch_scc0 .LBB113_1089
	s_branch .LBB113_1091
.LBB113_1087:
	s_mov_b32 s6, -1
                                        ; implicit-def: $vgpr0
                                        ; implicit-def: $vgpr1
	s_branch .LBB113_1091
.LBB113_1088:
	v_dual_mov_b32 v4, v10 :: v_dual_mov_b32 v1, 0
	s_and_b32 s7, s7, 3
	s_delay_alu instid0(SALU_CYCLE_1)
	s_cmp_eq_u32 s7, 0
	s_cbranch_scc1 .LBB113_1091
.LBB113_1089:
	s_lshl_b32 s2, s10, 3
	s_mul_i32 s4, s10, 12
	s_add_u32 s2, s2, s16
	s_addc_u32 s3, 0, s17
	s_add_u32 s2, s2, 0xc4
	s_addc_u32 s3, s3, 0
	;; [unrolled: 2-line block ×3, first 2 shown]
	.p2align	6
.LBB113_1090:                           ; =>This Inner Loop Header: Depth=1
	s_clause 0x1
	s_load_b64 s[10:11], s[4:5], 0x4
	s_load_b32 s14, s[4:5], 0xc
	s_load_b64 s[12:13], s[2:3], 0x0
	s_add_u32 s4, s4, 12
	s_addc_u32 s5, s5, 0
	s_add_u32 s2, s2, 8
	s_addc_u32 s3, s3, 0
	s_add_i32 s7, s7, -1
	s_delay_alu instid0(SALU_CYCLE_1) | instskip(SKIP_2) | instid1(VALU_DEP_1)
	s_cmp_lg_u32 s7, 0
	s_waitcnt lgkmcnt(0)
	v_mul_hi_u32 v5, s11, v4
	v_add_nc_u32_e32 v5, v4, v5
	s_delay_alu instid0(VALU_DEP_1) | instskip(NEXT) | instid1(VALU_DEP_1)
	v_lshrrev_b32_e32 v8, s14, v5
	v_mul_lo_u32 v5, v8, s10
	s_delay_alu instid0(VALU_DEP_1) | instskip(NEXT) | instid1(VALU_DEP_1)
	v_sub_nc_u32_e32 v4, v4, v5
	v_mad_u64_u32 v[5:6], null, v4, s12, v[0:1]
	v_mad_u64_u32 v[6:7], null, v4, s13, v[1:2]
	v_mov_b32_e32 v4, v8
	s_delay_alu instid0(VALU_DEP_2)
	v_dual_mov_b32 v0, v5 :: v_dual_mov_b32 v1, v6
	s_cbranch_scc1 .LBB113_1090
.LBB113_1091:
	s_and_not1_b32 vcc_lo, exec_lo, s6
	s_cbranch_vccnz .LBB113_1094
; %bb.1092:
	s_clause 0x1
	s_load_b128 s[4:7], s[16:17], 0x4
	s_load_b64 s[2:3], s[16:17], 0xc4
	s_cmp_lt_u32 s24, 2
	s_waitcnt lgkmcnt(0)
	v_mul_hi_u32 v0, s5, v10
	s_delay_alu instid0(VALU_DEP_1) | instskip(NEXT) | instid1(VALU_DEP_1)
	v_add_nc_u32_e32 v0, v10, v0
	v_lshrrev_b32_e32 v4, s6, v0
	s_delay_alu instid0(VALU_DEP_1) | instskip(NEXT) | instid1(VALU_DEP_1)
	v_mul_lo_u32 v0, v4, s4
	v_sub_nc_u32_e32 v1, v10, v0
	s_delay_alu instid0(VALU_DEP_1)
	v_mul_lo_u32 v0, v1, s2
	v_mul_lo_u32 v1, v1, s3
	s_cbranch_scc1 .LBB113_1094
; %bb.1093:
	s_clause 0x1
	s_load_b128 s[4:7], s[16:17], 0x10
	s_load_b64 s[2:3], s[16:17], 0xcc
	s_waitcnt lgkmcnt(0)
	v_mul_hi_u32 v5, s5, v4
	s_delay_alu instid0(VALU_DEP_1) | instskip(NEXT) | instid1(VALU_DEP_1)
	v_add_nc_u32_e32 v5, v4, v5
	v_lshrrev_b32_e32 v5, s6, v5
	s_delay_alu instid0(VALU_DEP_1) | instskip(NEXT) | instid1(VALU_DEP_1)
	v_mul_lo_u32 v5, v5, s4
	v_sub_nc_u32_e32 v7, v4, v5
	s_delay_alu instid0(VALU_DEP_1) | instskip(SKIP_1) | instid1(VALU_DEP_1)
	v_mad_u64_u32 v[4:5], null, v7, s2, v[0:1]
	v_mad_u64_u32 v[5:6], null, v7, s3, v[1:2]
	v_dual_mov_b32 v0, v4 :: v_dual_mov_b32 v1, v5
.LBB113_1094:
	v_cmp_ne_u32_e32 vcc_lo, 1, v3
	v_add_nc_u32_e32 v4, 0x80, v10
	s_cbranch_vccnz .LBB113_1100
; %bb.1095:
	v_mov_b32_e32 v6, 0
	v_mov_b32_e32 v8, 0
	s_cmp_lg_u32 s24, 0
	s_mov_b32 s6, 0
	s_cbranch_scc0 .LBB113_1104
; %bb.1096:
	s_min_u32 s7, s25, 15
	v_mov_b32_e32 v6, 0
	s_add_i32 s7, s7, 1
	s_cmp_eq_u32 s25, 2
	s_mov_b32 s10, 0
	s_cbranch_scc1 .LBB113_1101
; %bb.1097:
	v_dual_mov_b32 v8, 0 :: v_dual_mov_b32 v5, v4
	v_mov_b32_e32 v6, 0
	s_add_u32 s2, s16, 0xc4
	s_addc_u32 s3, s17, 0
	s_and_b32 s10, s7, 28
	s_mov_b32 s11, 0
	s_mov_b64 s[4:5], s[16:17]
.LBB113_1098:                           ; =>This Inner Loop Header: Depth=1
	s_clause 0x1
	s_load_b256 s[36:43], s[4:5], 0x4
	s_load_b128 s[12:15], s[4:5], 0x24
	s_load_b256 s[44:51], s[2:3], 0x0
	s_add_u32 s4, s4, 48
	s_addc_u32 s5, s5, 0
	s_add_i32 s11, s11, 4
	s_add_u32 s2, s2, 32
	s_addc_u32 s3, s3, 0
	s_cmp_lg_u32 s10, s11
	s_waitcnt lgkmcnt(0)
	v_mul_hi_u32 v7, s37, v5
	s_delay_alu instid0(VALU_DEP_1) | instskip(NEXT) | instid1(VALU_DEP_1)
	v_add_nc_u32_e32 v7, v5, v7
	v_lshrrev_b32_e32 v7, s38, v7
	s_delay_alu instid0(VALU_DEP_1) | instskip(SKIP_1) | instid1(VALU_DEP_2)
	v_mul_hi_u32 v9, s40, v7
	v_mul_lo_u32 v12, v7, s36
	v_add_nc_u32_e32 v9, v7, v9
	s_delay_alu instid0(VALU_DEP_2) | instskip(NEXT) | instid1(VALU_DEP_2)
	v_sub_nc_u32_e32 v5, v5, v12
	v_lshrrev_b32_e32 v9, s41, v9
	s_delay_alu instid0(VALU_DEP_2) | instskip(SKIP_1) | instid1(VALU_DEP_3)
	v_mul_lo_u32 v12, v5, s44
	v_mul_lo_u32 v14, v5, s45
	v_mul_hi_u32 v11, s43, v9
	s_delay_alu instid0(VALU_DEP_1) | instskip(NEXT) | instid1(VALU_DEP_1)
	v_add_nc_u32_e32 v11, v9, v11
	v_lshrrev_b32_e32 v11, s12, v11
	s_delay_alu instid0(VALU_DEP_1) | instskip(SKIP_1) | instid1(VALU_DEP_2)
	v_mul_hi_u32 v13, s14, v11
	v_mul_lo_u32 v15, v11, s42
	v_add_nc_u32_e32 v5, v11, v13
	v_mul_lo_u32 v13, v9, s39
	s_delay_alu instid0(VALU_DEP_3) | instskip(NEXT) | instid1(VALU_DEP_3)
	v_sub_nc_u32_e32 v9, v9, v15
	v_lshrrev_b32_e32 v5, s15, v5
	s_delay_alu instid0(VALU_DEP_2) | instskip(SKIP_2) | instid1(VALU_DEP_4)
	v_mul_lo_u32 v15, v9, s48
	v_mul_lo_u32 v9, v9, s49
	v_sub_nc_u32_e32 v7, v7, v13
	v_mul_lo_u32 v16, v5, s13
	s_delay_alu instid0(VALU_DEP_2) | instskip(SKIP_1) | instid1(VALU_DEP_3)
	v_mul_lo_u32 v13, v7, s46
	v_mul_lo_u32 v7, v7, s47
	v_sub_nc_u32_e32 v11, v11, v16
	s_delay_alu instid0(VALU_DEP_3) | instskip(NEXT) | instid1(VALU_DEP_2)
	v_add3_u32 v6, v12, v6, v13
	v_mul_lo_u32 v16, v11, s50
	v_mul_lo_u32 v11, v11, s51
	v_add3_u32 v7, v14, v8, v7
	s_delay_alu instid0(VALU_DEP_3) | instskip(NEXT) | instid1(VALU_DEP_2)
	v_add3_u32 v6, v15, v6, v16
	v_add3_u32 v8, v9, v7, v11
	s_cbranch_scc1 .LBB113_1098
; %bb.1099:
	s_and_b32 s7, s7, 3
	s_delay_alu instid0(SALU_CYCLE_1)
	s_cmp_eq_u32 s7, 0
	s_cbranch_scc0 .LBB113_1102
	s_branch .LBB113_1104
.LBB113_1100:
	s_mov_b32 s6, -1
                                        ; implicit-def: $vgpr6
                                        ; implicit-def: $vgpr8
	s_branch .LBB113_1104
.LBB113_1101:
	v_dual_mov_b32 v5, v4 :: v_dual_mov_b32 v8, 0
	s_and_b32 s7, s7, 3
	s_delay_alu instid0(SALU_CYCLE_1)
	s_cmp_eq_u32 s7, 0
	s_cbranch_scc1 .LBB113_1104
.LBB113_1102:
	s_lshl_b32 s2, s10, 3
	s_mul_i32 s4, s10, 12
	s_add_u32 s2, s2, s16
	s_addc_u32 s3, 0, s17
	s_add_u32 s2, s2, 0xc4
	s_addc_u32 s3, s3, 0
	;; [unrolled: 2-line block ×3, first 2 shown]
	.p2align	6
.LBB113_1103:                           ; =>This Inner Loop Header: Depth=1
	s_clause 0x1
	s_load_b64 s[10:11], s[4:5], 0x4
	s_load_b32 s14, s[4:5], 0xc
	s_load_b64 s[12:13], s[2:3], 0x0
	s_add_u32 s4, s4, 12
	s_addc_u32 s5, s5, 0
	s_add_u32 s2, s2, 8
	s_addc_u32 s3, s3, 0
	s_add_i32 s7, s7, -1
	s_delay_alu instid0(SALU_CYCLE_1) | instskip(SKIP_2) | instid1(VALU_DEP_1)
	s_cmp_lg_u32 s7, 0
	s_waitcnt lgkmcnt(0)
	v_mul_hi_u32 v7, s11, v5
	v_add_nc_u32_e32 v7, v5, v7
	s_delay_alu instid0(VALU_DEP_1) | instskip(NEXT) | instid1(VALU_DEP_1)
	v_lshrrev_b32_e32 v7, s14, v7
	v_mul_lo_u32 v9, v7, s10
	s_delay_alu instid0(VALU_DEP_1) | instskip(NEXT) | instid1(VALU_DEP_1)
	v_sub_nc_u32_e32 v5, v5, v9
	v_mad_u64_u32 v[11:12], null, v5, s12, v[6:7]
	v_mad_u64_u32 v[12:13], null, v5, s13, v[8:9]
	v_mov_b32_e32 v5, v7
	s_delay_alu instid0(VALU_DEP_3) | instskip(NEXT) | instid1(VALU_DEP_3)
	v_mov_b32_e32 v6, v11
	v_mov_b32_e32 v8, v12
	s_cbranch_scc1 .LBB113_1103
.LBB113_1104:
	s_and_not1_b32 vcc_lo, exec_lo, s6
	s_cbranch_vccnz .LBB113_1107
; %bb.1105:
	s_clause 0x1
	s_load_b128 s[4:7], s[16:17], 0x4
	s_load_b64 s[2:3], s[16:17], 0xc4
	s_cmp_lt_u32 s24, 2
	s_waitcnt lgkmcnt(0)
	v_mul_hi_u32 v5, s5, v4
	s_delay_alu instid0(VALU_DEP_1) | instskip(NEXT) | instid1(VALU_DEP_1)
	v_add_nc_u32_e32 v5, v4, v5
	v_lshrrev_b32_e32 v5, s6, v5
	s_delay_alu instid0(VALU_DEP_1) | instskip(NEXT) | instid1(VALU_DEP_1)
	v_mul_lo_u32 v6, v5, s4
	v_sub_nc_u32_e32 v4, v4, v6
	s_delay_alu instid0(VALU_DEP_1)
	v_mul_lo_u32 v6, v4, s2
	v_mul_lo_u32 v8, v4, s3
	s_cbranch_scc1 .LBB113_1107
; %bb.1106:
	s_clause 0x1
	s_load_b128 s[4:7], s[16:17], 0x10
	s_load_b64 s[2:3], s[16:17], 0xcc
	s_waitcnt lgkmcnt(0)
	v_mul_hi_u32 v4, s5, v5
	s_delay_alu instid0(VALU_DEP_1) | instskip(NEXT) | instid1(VALU_DEP_1)
	v_add_nc_u32_e32 v4, v5, v4
	v_lshrrev_b32_e32 v4, s6, v4
	s_delay_alu instid0(VALU_DEP_1) | instskip(NEXT) | instid1(VALU_DEP_1)
	v_mul_lo_u32 v4, v4, s4
	v_sub_nc_u32_e32 v7, v5, v4
	s_delay_alu instid0(VALU_DEP_1) | instskip(SKIP_1) | instid1(VALU_DEP_2)
	v_mad_u64_u32 v[4:5], null, v7, s2, v[6:7]
	v_mad_u64_u32 v[5:6], null, v7, s3, v[8:9]
	v_mov_b32_e32 v6, v4
	s_delay_alu instid0(VALU_DEP_2)
	v_mov_b32_e32 v8, v5
.LBB113_1107:
	v_cmp_ne_u32_e32 vcc_lo, 1, v3
	v_add_nc_u32_e32 v4, 0x100, v10
	s_cbranch_vccnz .LBB113_1113
; %bb.1108:
	v_mov_b32_e32 v5, 0
	v_mov_b32_e32 v7, 0
	s_cmp_lg_u32 s24, 0
	s_mov_b32 s6, 0
	s_cbranch_scc0 .LBB113_1117
; %bb.1109:
	s_min_u32 s7, s25, 15
	v_mov_b32_e32 v5, 0
	s_add_i32 s7, s7, 1
	s_cmp_eq_u32 s25, 2
	s_mov_b32 s10, 0
	s_cbranch_scc1 .LBB113_1114
; %bb.1110:
	v_mov_b32_e32 v7, 0
	v_mov_b32_e32 v5, 0
	;; [unrolled: 1-line block ×3, first 2 shown]
	s_add_u32 s2, s16, 0xc4
	s_addc_u32 s3, s17, 0
	s_and_b32 s10, s7, 28
	s_mov_b32 s11, 0
	s_mov_b64 s[4:5], s[16:17]
.LBB113_1111:                           ; =>This Inner Loop Header: Depth=1
	s_clause 0x1
	s_load_b256 s[36:43], s[4:5], 0x4
	s_load_b128 s[12:15], s[4:5], 0x24
	s_load_b256 s[44:51], s[2:3], 0x0
	s_add_u32 s4, s4, 48
	s_addc_u32 s5, s5, 0
	s_add_i32 s11, s11, 4
	s_add_u32 s2, s2, 32
	s_addc_u32 s3, s3, 0
	s_cmp_lg_u32 s10, s11
	s_waitcnt lgkmcnt(0)
	v_mul_hi_u32 v10, s37, v9
	s_delay_alu instid0(VALU_DEP_1) | instskip(NEXT) | instid1(VALU_DEP_1)
	v_add_nc_u32_e32 v10, v9, v10
	v_lshrrev_b32_e32 v10, s38, v10
	s_delay_alu instid0(VALU_DEP_1) | instskip(SKIP_1) | instid1(VALU_DEP_2)
	v_mul_hi_u32 v11, s40, v10
	v_mul_lo_u32 v13, v10, s36
	v_add_nc_u32_e32 v11, v10, v11
	s_delay_alu instid0(VALU_DEP_2) | instskip(NEXT) | instid1(VALU_DEP_2)
	v_sub_nc_u32_e32 v9, v9, v13
	v_lshrrev_b32_e32 v11, s41, v11
	s_delay_alu instid0(VALU_DEP_2) | instskip(SKIP_1) | instid1(VALU_DEP_3)
	v_mul_lo_u32 v13, v9, s44
	v_mul_lo_u32 v15, v9, s45
	v_mul_hi_u32 v12, s43, v11
	s_delay_alu instid0(VALU_DEP_1) | instskip(NEXT) | instid1(VALU_DEP_1)
	v_add_nc_u32_e32 v12, v11, v12
	v_lshrrev_b32_e32 v12, s12, v12
	s_delay_alu instid0(VALU_DEP_1) | instskip(SKIP_1) | instid1(VALU_DEP_2)
	v_mul_hi_u32 v14, s14, v12
	v_mul_lo_u32 v16, v12, s42
	v_add_nc_u32_e32 v9, v12, v14
	v_mul_lo_u32 v14, v11, s39
	s_delay_alu instid0(VALU_DEP_3) | instskip(NEXT) | instid1(VALU_DEP_3)
	v_sub_nc_u32_e32 v11, v11, v16
	v_lshrrev_b32_e32 v9, s15, v9
	s_delay_alu instid0(VALU_DEP_2) | instskip(SKIP_2) | instid1(VALU_DEP_4)
	v_mul_lo_u32 v16, v11, s48
	v_mul_lo_u32 v11, v11, s49
	v_sub_nc_u32_e32 v10, v10, v14
	v_mul_lo_u32 v17, v9, s13
	s_delay_alu instid0(VALU_DEP_2) | instskip(SKIP_1) | instid1(VALU_DEP_3)
	v_mul_lo_u32 v14, v10, s46
	v_mul_lo_u32 v10, v10, s47
	v_sub_nc_u32_e32 v12, v12, v17
	s_delay_alu instid0(VALU_DEP_3) | instskip(NEXT) | instid1(VALU_DEP_2)
	v_add3_u32 v5, v13, v5, v14
	v_mul_lo_u32 v17, v12, s50
	v_mul_lo_u32 v12, v12, s51
	v_add3_u32 v7, v15, v7, v10
	s_delay_alu instid0(VALU_DEP_3) | instskip(NEXT) | instid1(VALU_DEP_2)
	v_add3_u32 v5, v16, v5, v17
	v_add3_u32 v7, v11, v7, v12
	s_cbranch_scc1 .LBB113_1111
; %bb.1112:
	s_and_b32 s7, s7, 3
	s_delay_alu instid0(SALU_CYCLE_1)
	s_cmp_eq_u32 s7, 0
	s_cbranch_scc0 .LBB113_1115
	s_branch .LBB113_1117
.LBB113_1113:
	s_mov_b32 s6, -1
                                        ; implicit-def: $vgpr5
                                        ; implicit-def: $vgpr7
	s_branch .LBB113_1117
.LBB113_1114:
	v_mov_b32_e32 v9, v4
	v_mov_b32_e32 v7, 0
	s_and_b32 s7, s7, 3
	s_delay_alu instid0(SALU_CYCLE_1)
	s_cmp_eq_u32 s7, 0
	s_cbranch_scc1 .LBB113_1117
.LBB113_1115:
	s_lshl_b32 s2, s10, 3
	s_mul_i32 s4, s10, 12
	s_add_u32 s2, s2, s16
	s_addc_u32 s3, 0, s17
	s_add_u32 s2, s2, 0xc4
	s_addc_u32 s3, s3, 0
	;; [unrolled: 2-line block ×3, first 2 shown]
	.p2align	6
.LBB113_1116:                           ; =>This Inner Loop Header: Depth=1
	s_clause 0x1
	s_load_b64 s[10:11], s[4:5], 0x4
	s_load_b32 s14, s[4:5], 0xc
	s_load_b64 s[12:13], s[2:3], 0x0
	s_add_u32 s4, s4, 12
	s_addc_u32 s5, s5, 0
	s_add_u32 s2, s2, 8
	s_addc_u32 s3, s3, 0
	s_add_i32 s7, s7, -1
	s_delay_alu instid0(SALU_CYCLE_1) | instskip(SKIP_2) | instid1(VALU_DEP_1)
	s_cmp_lg_u32 s7, 0
	s_waitcnt lgkmcnt(0)
	v_mul_hi_u32 v10, s11, v9
	v_add_nc_u32_e32 v10, v9, v10
	s_delay_alu instid0(VALU_DEP_1) | instskip(NEXT) | instid1(VALU_DEP_1)
	v_lshrrev_b32_e32 v13, s14, v10
	v_mul_lo_u32 v10, v13, s10
	s_delay_alu instid0(VALU_DEP_1) | instskip(NEXT) | instid1(VALU_DEP_1)
	v_sub_nc_u32_e32 v9, v9, v10
	v_mad_u64_u32 v[10:11], null, v9, s12, v[5:6]
	v_mad_u64_u32 v[11:12], null, v9, s13, v[7:8]
	v_mov_b32_e32 v9, v13
	s_delay_alu instid0(VALU_DEP_3) | instskip(NEXT) | instid1(VALU_DEP_3)
	v_mov_b32_e32 v5, v10
	v_mov_b32_e32 v7, v11
	s_cbranch_scc1 .LBB113_1116
.LBB113_1117:
	s_and_not1_b32 vcc_lo, exec_lo, s6
	s_cbranch_vccnz .LBB113_1120
; %bb.1118:
	s_clause 0x1
	s_load_b128 s[4:7], s[16:17], 0x4
	s_load_b64 s[2:3], s[16:17], 0xc4
	s_cmp_lt_u32 s24, 2
	s_waitcnt lgkmcnt(0)
	v_mul_hi_u32 v5, s5, v4
	s_delay_alu instid0(VALU_DEP_1) | instskip(NEXT) | instid1(VALU_DEP_1)
	v_add_nc_u32_e32 v5, v4, v5
	v_lshrrev_b32_e32 v9, s6, v5
	s_delay_alu instid0(VALU_DEP_1) | instskip(NEXT) | instid1(VALU_DEP_1)
	v_mul_lo_u32 v5, v9, s4
	v_sub_nc_u32_e32 v4, v4, v5
	s_delay_alu instid0(VALU_DEP_1)
	v_mul_lo_u32 v5, v4, s2
	v_mul_lo_u32 v7, v4, s3
	s_cbranch_scc1 .LBB113_1120
; %bb.1119:
	s_clause 0x1
	s_load_b128 s[4:7], s[16:17], 0x10
	s_load_b64 s[2:3], s[16:17], 0xcc
	s_waitcnt lgkmcnt(0)
	v_mul_hi_u32 v4, s5, v9
	s_delay_alu instid0(VALU_DEP_1) | instskip(NEXT) | instid1(VALU_DEP_1)
	v_add_nc_u32_e32 v4, v9, v4
	v_lshrrev_b32_e32 v4, s6, v4
	s_delay_alu instid0(VALU_DEP_1) | instskip(NEXT) | instid1(VALU_DEP_1)
	v_mul_lo_u32 v4, v4, s4
	v_sub_nc_u32_e32 v11, v9, v4
	s_delay_alu instid0(VALU_DEP_1) | instskip(SKIP_1) | instid1(VALU_DEP_2)
	v_mad_u64_u32 v[9:10], null, v11, s2, v[5:6]
	v_mad_u64_u32 v[4:5], null, v11, s3, v[7:8]
	v_mov_b32_e32 v5, v9
	s_delay_alu instid0(VALU_DEP_2)
	v_mov_b32_e32 v7, v4
.LBB113_1120:
	v_cmp_ne_u32_e32 vcc_lo, 1, v3
	s_cbranch_vccnz .LBB113_1126
; %bb.1121:
	v_dual_mov_b32 v4, 0 :: v_dual_mov_b32 v3, 0
	s_cmp_lg_u32 s24, 0
	s_mov_b32 s6, 0
	s_cbranch_scc0 .LBB113_1130
; %bb.1122:
	s_min_u32 s7, s25, 15
	v_mov_b32_e32 v4, 0
	s_add_i32 s7, s7, 1
	s_cmp_eq_u32 s25, 2
	s_mov_b32 s10, 0
	s_cbranch_scc1 .LBB113_1127
; %bb.1123:
	v_dual_mov_b32 v3, 0 :: v_dual_mov_b32 v4, 0
	v_mov_b32_e32 v9, v2
	s_add_u32 s2, s16, 0xc4
	s_addc_u32 s3, s17, 0
	s_and_b32 s10, s7, 28
	s_mov_b32 s11, 0
	s_mov_b64 s[4:5], s[16:17]
.LBB113_1124:                           ; =>This Inner Loop Header: Depth=1
	s_clause 0x1
	s_load_b256 s[36:43], s[4:5], 0x4
	s_load_b128 s[12:15], s[4:5], 0x24
	s_load_b256 s[44:51], s[2:3], 0x0
	s_add_u32 s4, s4, 48
	s_addc_u32 s5, s5, 0
	s_add_i32 s11, s11, 4
	s_add_u32 s2, s2, 32
	s_addc_u32 s3, s3, 0
	s_cmp_lg_u32 s10, s11
	s_waitcnt lgkmcnt(0)
	v_mul_hi_u32 v10, s37, v9
	s_delay_alu instid0(VALU_DEP_1) | instskip(NEXT) | instid1(VALU_DEP_1)
	v_add_nc_u32_e32 v10, v9, v10
	v_lshrrev_b32_e32 v10, s38, v10
	s_delay_alu instid0(VALU_DEP_1) | instskip(SKIP_1) | instid1(VALU_DEP_2)
	v_mul_hi_u32 v11, s40, v10
	v_mul_lo_u32 v13, v10, s36
	v_add_nc_u32_e32 v11, v10, v11
	s_delay_alu instid0(VALU_DEP_2) | instskip(NEXT) | instid1(VALU_DEP_2)
	v_sub_nc_u32_e32 v9, v9, v13
	v_lshrrev_b32_e32 v11, s41, v11
	s_delay_alu instid0(VALU_DEP_2) | instskip(SKIP_1) | instid1(VALU_DEP_3)
	v_mul_lo_u32 v13, v9, s44
	v_mul_lo_u32 v15, v9, s45
	v_mul_hi_u32 v12, s43, v11
	s_delay_alu instid0(VALU_DEP_1) | instskip(NEXT) | instid1(VALU_DEP_1)
	v_add_nc_u32_e32 v12, v11, v12
	v_lshrrev_b32_e32 v12, s12, v12
	s_delay_alu instid0(VALU_DEP_1) | instskip(SKIP_1) | instid1(VALU_DEP_2)
	v_mul_hi_u32 v14, s14, v12
	v_mul_lo_u32 v16, v12, s42
	v_add_nc_u32_e32 v9, v12, v14
	v_mul_lo_u32 v14, v11, s39
	s_delay_alu instid0(VALU_DEP_3) | instskip(NEXT) | instid1(VALU_DEP_3)
	v_sub_nc_u32_e32 v11, v11, v16
	v_lshrrev_b32_e32 v9, s15, v9
	s_delay_alu instid0(VALU_DEP_2) | instskip(SKIP_2) | instid1(VALU_DEP_4)
	v_mul_lo_u32 v16, v11, s48
	v_mul_lo_u32 v11, v11, s49
	v_sub_nc_u32_e32 v10, v10, v14
	v_mul_lo_u32 v17, v9, s13
	s_delay_alu instid0(VALU_DEP_2) | instskip(SKIP_1) | instid1(VALU_DEP_3)
	v_mul_lo_u32 v14, v10, s46
	v_mul_lo_u32 v10, v10, s47
	v_sub_nc_u32_e32 v12, v12, v17
	s_delay_alu instid0(VALU_DEP_3) | instskip(NEXT) | instid1(VALU_DEP_2)
	v_add3_u32 v4, v13, v4, v14
	v_mul_lo_u32 v17, v12, s50
	v_mul_lo_u32 v12, v12, s51
	v_add3_u32 v3, v15, v3, v10
	s_delay_alu instid0(VALU_DEP_3) | instskip(NEXT) | instid1(VALU_DEP_2)
	v_add3_u32 v4, v16, v4, v17
	v_add3_u32 v3, v11, v3, v12
	s_cbranch_scc1 .LBB113_1124
; %bb.1125:
	s_and_b32 s7, s7, 3
	s_delay_alu instid0(SALU_CYCLE_1)
	s_cmp_eq_u32 s7, 0
	s_cbranch_scc0 .LBB113_1128
	s_branch .LBB113_1130
.LBB113_1126:
	s_mov_b32 s6, -1
                                        ; implicit-def: $vgpr4
                                        ; implicit-def: $vgpr3
	s_branch .LBB113_1130
.LBB113_1127:
	v_mov_b32_e32 v9, v2
	v_mov_b32_e32 v3, 0
	s_and_b32 s7, s7, 3
	s_delay_alu instid0(SALU_CYCLE_1)
	s_cmp_eq_u32 s7, 0
	s_cbranch_scc1 .LBB113_1130
.LBB113_1128:
	s_lshl_b32 s2, s10, 3
	s_mul_i32 s4, s10, 12
	s_add_u32 s2, s2, s16
	s_addc_u32 s3, 0, s17
	s_add_u32 s2, s2, 0xc4
	s_addc_u32 s3, s3, 0
	;; [unrolled: 2-line block ×3, first 2 shown]
	.p2align	6
.LBB113_1129:                           ; =>This Inner Loop Header: Depth=1
	s_clause 0x1
	s_load_b64 s[10:11], s[4:5], 0x4
	s_load_b32 s14, s[4:5], 0xc
	s_load_b64 s[12:13], s[2:3], 0x0
	s_add_u32 s4, s4, 12
	s_addc_u32 s5, s5, 0
	s_add_u32 s2, s2, 8
	s_addc_u32 s3, s3, 0
	s_add_i32 s7, s7, -1
	s_delay_alu instid0(SALU_CYCLE_1) | instskip(SKIP_2) | instid1(VALU_DEP_1)
	s_cmp_lg_u32 s7, 0
	s_waitcnt lgkmcnt(0)
	v_mul_hi_u32 v10, s11, v9
	v_add_nc_u32_e32 v10, v9, v10
	s_delay_alu instid0(VALU_DEP_1) | instskip(NEXT) | instid1(VALU_DEP_1)
	v_lshrrev_b32_e32 v13, s14, v10
	v_mul_lo_u32 v10, v13, s10
	s_delay_alu instid0(VALU_DEP_1) | instskip(NEXT) | instid1(VALU_DEP_1)
	v_sub_nc_u32_e32 v9, v9, v10
	v_mad_u64_u32 v[10:11], null, v9, s12, v[4:5]
	v_mad_u64_u32 v[11:12], null, v9, s13, v[3:4]
	s_delay_alu instid0(VALU_DEP_2) | instskip(NEXT) | instid1(VALU_DEP_2)
	v_dual_mov_b32 v9, v13 :: v_dual_mov_b32 v4, v10
	v_mov_b32_e32 v3, v11
	s_cbranch_scc1 .LBB113_1129
.LBB113_1130:
	s_and_not1_b32 vcc_lo, exec_lo, s6
	s_cbranch_vccnz .LBB113_1133
; %bb.1131:
	s_clause 0x1
	s_load_b128 s[4:7], s[16:17], 0x4
	s_load_b64 s[2:3], s[16:17], 0xc4
	s_cmp_lt_u32 s24, 2
	s_waitcnt lgkmcnt(0)
	v_mul_hi_u32 v3, s5, v2
	s_delay_alu instid0(VALU_DEP_1) | instskip(NEXT) | instid1(VALU_DEP_1)
	v_add_nc_u32_e32 v3, v2, v3
	v_lshrrev_b32_e32 v9, s6, v3
	s_delay_alu instid0(VALU_DEP_1) | instskip(NEXT) | instid1(VALU_DEP_1)
	v_mul_lo_u32 v3, v9, s4
	v_sub_nc_u32_e32 v2, v2, v3
	s_delay_alu instid0(VALU_DEP_1)
	v_mul_lo_u32 v4, v2, s2
	v_mul_lo_u32 v3, v2, s3
	s_cbranch_scc1 .LBB113_1133
; %bb.1132:
	s_clause 0x1
	s_load_b128 s[4:7], s[16:17], 0x10
	s_load_b64 s[2:3], s[16:17], 0xcc
	s_waitcnt lgkmcnt(0)
	v_mul_hi_u32 v2, s5, v9
	s_delay_alu instid0(VALU_DEP_1) | instskip(NEXT) | instid1(VALU_DEP_1)
	v_add_nc_u32_e32 v2, v9, v2
	v_lshrrev_b32_e32 v2, s6, v2
	s_delay_alu instid0(VALU_DEP_1) | instskip(NEXT) | instid1(VALU_DEP_1)
	v_mul_lo_u32 v2, v2, s4
	v_sub_nc_u32_e32 v2, v9, v2
	s_delay_alu instid0(VALU_DEP_1) | instskip(SKIP_1) | instid1(VALU_DEP_1)
	v_mad_u64_u32 v[9:10], null, v2, s2, v[4:5]
	v_mad_u64_u32 v[10:11], null, v2, s3, v[3:4]
	v_dual_mov_b32 v4, v9 :: v_dual_mov_b32 v3, v10
.LBB113_1133:
	s_clause 0x1
	s_load_b32 s2, s[0:1], 0x160
	s_load_b128 s[4:7], s[16:17], 0x148
	s_waitcnt lgkmcnt(0)
	s_lshr_b32 s0, s2, 16
	s_delay_alu instid0(SALU_CYCLE_1) | instskip(SKIP_1) | instid1(VALU_DEP_1)
	v_and_b32_e64 v15, 0xff, s0
	v_add_co_u32 v9, s0, s6, v1
	v_add_co_ci_u32_e64 v10, null, s7, 0, s0
	s_delay_alu instid0(VALU_DEP_3)
	v_cmp_gt_i16_e32 vcc_lo, 11, v15
	s_mov_b32 s0, 0
	s_cbranch_vccnz .LBB113_1140
; %bb.1134:
	v_cmp_lt_i16_e32 vcc_lo, 25, v15
	s_mov_b32 s10, 0
	s_cbranch_vccz .LBB113_1146
; %bb.1135:
	v_cmp_lt_i16_e32 vcc_lo, 28, v15
	s_cbranch_vccz .LBB113_1148
; %bb.1136:
	v_cmp_lt_i16_e32 vcc_lo, 43, v15
	;; [unrolled: 3-line block ×3, first 2 shown]
	s_cbranch_vccz .LBB113_1154
; %bb.1138:
	v_cmp_eq_u16_e32 vcc_lo, 46, v15
	s_mov_b32 s1, 0
	s_cbranch_vccz .LBB113_1196
; %bb.1139:
	global_load_b32 v1, v[9:10], off
	s_mov_b32 s3, 0
	s_mov_b32 s0, -1
	s_waitcnt vmcnt(0)
	v_lshlrev_b32_e32 v1, 16, v1
	s_delay_alu instid0(VALU_DEP_1)
	v_cvt_f64_f32_e32 v[1:2], v1
	s_branch .LBB113_1198
.LBB113_1140:
	s_mov_b32 s3, s8
                                        ; implicit-def: $vgpr1_vgpr2
	s_cbranch_execz .LBB113_1261
; %bb.1141:
	v_cmp_gt_i16_e32 vcc_lo, 5, v15
	s_cbranch_vccnz .LBB113_1147
; %bb.1142:
	v_cmp_gt_i16_e32 vcc_lo, 8, v15
	s_cbranch_vccnz .LBB113_1149
	;; [unrolled: 3-line block ×3, first 2 shown]
; %bb.1144:
	v_cmp_lt_i16_e32 vcc_lo, 9, v15
	s_cbranch_vccz .LBB113_1155
; %bb.1145:
	global_load_b64 v[1:2], v[9:10], off
	s_mov_b32 s0, 0
	s_branch .LBB113_1156
.LBB113_1146:
	s_mov_b32 s3, 0
                                        ; implicit-def: $vgpr1_vgpr2
	s_cbranch_execnz .LBB113_1228
	s_branch .LBB113_1257
.LBB113_1147:
                                        ; implicit-def: $vgpr1_vgpr2
	s_branch .LBB113_1173
.LBB113_1148:
	s_mov_b32 s1, -1
	s_mov_b32 s3, 0
                                        ; implicit-def: $vgpr1_vgpr2
	s_branch .LBB113_1207
.LBB113_1149:
                                        ; implicit-def: $vgpr1_vgpr2
	s_branch .LBB113_1162
.LBB113_1150:
	s_mov_b32 s3, 0
                                        ; implicit-def: $vgpr1_vgpr2
	s_cbranch_execnz .LBB113_1203
	s_branch .LBB113_1206
.LBB113_1151:
	s_mov_b32 s0, -1
                                        ; implicit-def: $vgpr1_vgpr2
	s_branch .LBB113_1159
.LBB113_1152:
	s_cbranch_execnz .LBB113_1194
; %bb.1153:
	s_or_b32 s6, s6, exec_lo
	s_and_not1_b32 s8, s8, exec_lo
	s_or_b32 exec_lo, exec_lo, s2
	s_and_saveexec_b32 s2, s8
	s_delay_alu instid0(SALU_CYCLE_1)
	s_xor_b32 s2, exec_lo, s2
	s_cbranch_execnz .LBB113_1040
	s_branch .LBB113_1041
.LBB113_1154:
	s_mov_b32 s1, -1
	s_mov_b32 s3, 0
	s_branch .LBB113_1197
.LBB113_1155:
	s_mov_b32 s0, -1
                                        ; implicit-def: $vgpr1_vgpr2
.LBB113_1156:
	s_delay_alu instid0(SALU_CYCLE_1)
	s_and_not1_b32 vcc_lo, exec_lo, s0
	s_cbranch_vccnz .LBB113_1158
; %bb.1157:
	global_load_b32 v1, v[9:10], off
	s_waitcnt vmcnt(0)
	v_cvt_f64_f32_e32 v[1:2], v1
.LBB113_1158:
	s_mov_b32 s0, 0
.LBB113_1159:
	s_delay_alu instid0(SALU_CYCLE_1)
	s_and_not1_b32 vcc_lo, exec_lo, s0
	s_cbranch_vccnz .LBB113_1161
; %bb.1160:
	global_load_b32 v1, v[9:10], off
	s_waitcnt vmcnt(0)
	v_cvt_f32_f16_e32 v1, v1
	s_delay_alu instid0(VALU_DEP_1)
	v_cvt_f64_f32_e32 v[1:2], v1
.LBB113_1161:
	s_cbranch_execnz .LBB113_1172
.LBB113_1162:
	v_cmp_gt_i16_e32 vcc_lo, 6, v15
	s_cbranch_vccnz .LBB113_1165
; %bb.1163:
	v_cmp_lt_i16_e32 vcc_lo, 6, v15
	s_cbranch_vccz .LBB113_1166
; %bb.1164:
	global_load_b64 v[1:2], v[9:10], off
	s_mov_b32 s0, 0
	s_branch .LBB113_1167
.LBB113_1165:
	s_mov_b32 s0, -1
                                        ; implicit-def: $vgpr1_vgpr2
	s_branch .LBB113_1170
.LBB113_1166:
	s_mov_b32 s0, -1
                                        ; implicit-def: $vgpr1_vgpr2
.LBB113_1167:
	s_delay_alu instid0(SALU_CYCLE_1)
	s_and_not1_b32 vcc_lo, exec_lo, s0
	s_cbranch_vccnz .LBB113_1169
; %bb.1168:
	global_load_b32 v1, v[9:10], off
	s_waitcnt vmcnt(0)
	v_cvt_f64_f32_e32 v[1:2], v1
.LBB113_1169:
	s_mov_b32 s0, 0
.LBB113_1170:
	s_delay_alu instid0(SALU_CYCLE_1)
	s_and_not1_b32 vcc_lo, exec_lo, s0
	s_cbranch_vccnz .LBB113_1172
; %bb.1171:
	global_load_u16 v1, v[9:10], off
	s_waitcnt vmcnt(0)
	v_cvt_f32_f16_e32 v1, v1
	s_delay_alu instid0(VALU_DEP_1)
	v_cvt_f64_f32_e32 v[1:2], v1
.LBB113_1172:
	s_cbranch_execnz .LBB113_1191
.LBB113_1173:
	v_cmp_gt_i16_e32 vcc_lo, 2, v15
	s_cbranch_vccnz .LBB113_1177
; %bb.1174:
	v_cmp_gt_i16_e32 vcc_lo, 3, v15
	s_cbranch_vccnz .LBB113_1178
; %bb.1175:
	v_cmp_lt_i16_e32 vcc_lo, 3, v15
	s_cbranch_vccz .LBB113_1179
; %bb.1176:
	global_load_b64 v[1:2], v[9:10], off
	s_mov_b32 s0, 0
	s_waitcnt vmcnt(0)
	v_cvt_f64_i32_e32 v[11:12], v2
	v_cvt_f64_u32_e32 v[1:2], v1
	s_delay_alu instid0(VALU_DEP_2) | instskip(NEXT) | instid1(VALU_DEP_1)
	v_ldexp_f64 v[11:12], v[11:12], 32
	v_add_f64 v[1:2], v[11:12], v[1:2]
	s_branch .LBB113_1180
.LBB113_1177:
                                        ; implicit-def: $vgpr1_vgpr2
	s_branch .LBB113_1186
.LBB113_1178:
	s_mov_b32 s0, -1
                                        ; implicit-def: $vgpr1_vgpr2
	s_branch .LBB113_1183
.LBB113_1179:
	s_mov_b32 s0, -1
                                        ; implicit-def: $vgpr1_vgpr2
.LBB113_1180:
	s_delay_alu instid0(SALU_CYCLE_1)
	s_and_not1_b32 vcc_lo, exec_lo, s0
	s_cbranch_vccnz .LBB113_1182
; %bb.1181:
	global_load_b32 v1, v[9:10], off
	s_waitcnt vmcnt(0)
	v_cvt_f64_i32_e32 v[1:2], v1
.LBB113_1182:
	s_mov_b32 s0, 0
.LBB113_1183:
	s_delay_alu instid0(SALU_CYCLE_1)
	s_and_not1_b32 vcc_lo, exec_lo, s0
	s_cbranch_vccnz .LBB113_1185
; %bb.1184:
	global_load_i16 v1, v[9:10], off
	s_waitcnt vmcnt(0)
	v_cvt_f64_i32_e32 v[1:2], v1
.LBB113_1185:
	s_cbranch_execnz .LBB113_1191
.LBB113_1186:
	v_cmp_lt_i16_e32 vcc_lo, 0, v15
	s_mov_b32 s0, 0
	s_cbranch_vccz .LBB113_1188
; %bb.1187:
	global_load_i8 v1, v[9:10], off
	s_waitcnt vmcnt(0)
	v_cvt_f64_i32_e32 v[1:2], v1
	s_branch .LBB113_1189
.LBB113_1188:
	s_mov_b32 s0, -1
                                        ; implicit-def: $vgpr1_vgpr2
.LBB113_1189:
	s_delay_alu instid0(SALU_CYCLE_1)
	s_and_not1_b32 vcc_lo, exec_lo, s0
	s_cbranch_vccnz .LBB113_1191
; %bb.1190:
	global_load_u8 v1, v[9:10], off
	s_waitcnt vmcnt(0)
	v_cvt_f64_u32_e32 v[1:2], v1
.LBB113_1191:
	s_branch .LBB113_1262
.LBB113_1192:
	s_trap 2
	s_sendmsg_rtn_b32 s0, sendmsg(MSG_RTN_GET_DOORBELL)
	s_mov_b32 ttmp2, m0
	s_waitcnt lgkmcnt(0)
	s_and_b32 s0, s0, 0x3ff
	s_delay_alu instid0(SALU_CYCLE_1) | instskip(NEXT) | instid1(SALU_CYCLE_1)
	s_bitset1_b32 s0, 10
	s_mov_b32 m0, s0
	s_sendmsg sendmsg(MSG_INTERRUPT)
	s_mov_b32 m0, ttmp2
.LBB113_1193:                           ; =>This Inner Loop Header: Depth=1
	s_sethalt 5
	s_branch .LBB113_1193
.LBB113_1194:
	s_trap 2
	s_sendmsg_rtn_b32 s0, sendmsg(MSG_RTN_GET_DOORBELL)
	s_mov_b32 ttmp2, m0
	s_waitcnt lgkmcnt(0)
	s_and_b32 s0, s0, 0x3ff
	s_delay_alu instid0(SALU_CYCLE_1) | instskip(NEXT) | instid1(SALU_CYCLE_1)
	s_bitset1_b32 s0, 10
	s_mov_b32 m0, s0
	s_sendmsg sendmsg(MSG_INTERRUPT)
	s_mov_b32 m0, ttmp2
.LBB113_1195:                           ; =>This Inner Loop Header: Depth=1
	s_sethalt 5
	s_branch .LBB113_1195
.LBB113_1196:
	s_mov_b32 s3, -1
.LBB113_1197:
                                        ; implicit-def: $vgpr1_vgpr2
.LBB113_1198:
	s_and_b32 vcc_lo, exec_lo, s1
	s_cbranch_vccz .LBB113_1201
; %bb.1199:
	v_cmp_eq_u16_e32 vcc_lo, 44, v15
	s_cbranch_vccz .LBB113_1202
; %bb.1200:
	global_load_u8 v11, v[9:10], off
	s_mov_b32 s3, 0
	s_mov_b32 s0, -1
	s_waitcnt vmcnt(0)
	v_cmp_ne_u32_e32 vcc_lo, 0xff, v11
	v_lshlrev_b32_e32 v1, 23, v11
	s_delay_alu instid0(VALU_DEP_1) | instskip(NEXT) | instid1(VALU_DEP_1)
	v_cvt_f64_f32_e32 v[1:2], v1
	v_cndmask_b32_e32 v2, 0x7ff80000, v2, vcc_lo
	s_delay_alu instid0(VALU_DEP_2) | instskip(SKIP_1) | instid1(VALU_DEP_3)
	v_cndmask_b32_e32 v1, 0x20000000, v1, vcc_lo
	v_cmp_ne_u32_e32 vcc_lo, 0, v11
	v_cndmask_b32_e32 v2, 0x38000000, v2, vcc_lo
	s_delay_alu instid0(VALU_DEP_3)
	v_cndmask_b32_e32 v1, 0, v1, vcc_lo
.LBB113_1201:
	s_branch .LBB113_1206
.LBB113_1202:
	s_mov_b32 s3, -1
                                        ; implicit-def: $vgpr1_vgpr2
	s_branch .LBB113_1206
.LBB113_1203:
	v_cmp_eq_u16_e32 vcc_lo, 29, v15
	s_cbranch_vccz .LBB113_1205
; %bb.1204:
	global_load_b64 v[1:2], v[9:10], off
	s_mov_b32 s3, 0
	s_mov_b32 s0, -1
	s_mov_b32 s1, 0
	s_waitcnt vmcnt(0)
	v_cvt_f64_u32_e32 v[11:12], v2
	v_cvt_f64_u32_e32 v[1:2], v1
	s_delay_alu instid0(VALU_DEP_2) | instskip(NEXT) | instid1(VALU_DEP_1)
	v_ldexp_f64 v[11:12], v[11:12], 32
	v_add_f64 v[1:2], v[11:12], v[1:2]
	s_branch .LBB113_1207
.LBB113_1205:
	s_mov_b32 s3, -1
                                        ; implicit-def: $vgpr1_vgpr2
.LBB113_1206:
	s_mov_b32 s1, 0
.LBB113_1207:
	s_delay_alu instid0(SALU_CYCLE_1)
	s_and_b32 vcc_lo, exec_lo, s1
	s_cbranch_vccz .LBB113_1227
; %bb.1208:
	v_cmp_gt_i16_e32 vcc_lo, 27, v15
	s_cbranch_vccnz .LBB113_1211
; %bb.1209:
	v_cmp_lt_i16_e32 vcc_lo, 27, v15
	s_cbranch_vccz .LBB113_1212
; %bb.1210:
	global_load_b32 v1, v[9:10], off
	s_mov_b32 s0, 0
	s_waitcnt vmcnt(0)
	v_cvt_f64_u32_e32 v[1:2], v1
	s_branch .LBB113_1213
.LBB113_1211:
	s_mov_b32 s0, -1
                                        ; implicit-def: $vgpr1_vgpr2
	s_branch .LBB113_1216
.LBB113_1212:
	s_mov_b32 s0, -1
                                        ; implicit-def: $vgpr1_vgpr2
.LBB113_1213:
	s_delay_alu instid0(SALU_CYCLE_1)
	s_and_not1_b32 vcc_lo, exec_lo, s0
	s_cbranch_vccnz .LBB113_1215
; %bb.1214:
	global_load_u16 v1, v[9:10], off
	s_waitcnt vmcnt(0)
	v_cvt_f64_u32_e32 v[1:2], v1
.LBB113_1215:
	s_mov_b32 s0, 0
.LBB113_1216:
	s_delay_alu instid0(SALU_CYCLE_1)
	s_and_not1_b32 vcc_lo, exec_lo, s0
	s_cbranch_vccnz .LBB113_1226
; %bb.1217:
	global_load_u8 v11, v[9:10], off
	s_mov_b32 s11, 0
	s_mov_b32 s12, exec_lo
                                        ; implicit-def: $sgpr0_sgpr1
	s_waitcnt vmcnt(0)
	v_cmpx_lt_i16_e32 0x7f, v11
	s_xor_b32 s12, exec_lo, s12
	s_cbranch_execz .LBB113_1221
; %bb.1218:
	s_mov_b32 s13, -1
	s_mov_b32 s11, exec_lo
                                        ; implicit-def: $sgpr0_sgpr1
	v_cmpx_eq_u16_e32 0x80, v11
; %bb.1219:
	s_mov_b32 s1, 0x7ff80000
	s_brev_b32 s0, 4
	s_xor_b32 s13, exec_lo, -1
; %bb.1220:
	s_or_b32 exec_lo, exec_lo, s11
	s_delay_alu instid0(SALU_CYCLE_1)
	s_and_b32 s11, s13, exec_lo
.LBB113_1221:
	s_or_saveexec_b32 s12, s12
	v_dual_mov_b32 v2, s1 :: v_dual_mov_b32 v1, s0
	s_xor_b32 exec_lo, exec_lo, s12
; %bb.1222:
	v_cmp_ne_u16_e32 vcc_lo, 0, v11
	v_mov_b32_e32 v1, 0
	v_mov_b32_e32 v2, 0
	s_and_not1_b32 s0, s11, exec_lo
	s_and_b32 s1, vcc_lo, exec_lo
	s_delay_alu instid0(SALU_CYCLE_1)
	s_or_b32 s11, s0, s1
; %bb.1223:
	s_or_b32 exec_lo, exec_lo, s12
	s_and_saveexec_b32 s0, s11
	s_cbranch_execz .LBB113_1225
; %bb.1224:
	v_and_b32_e32 v1, 0xffff, v11
	v_lshlrev_b32_e32 v11, 24, v11
	s_delay_alu instid0(VALU_DEP_2) | instskip(NEXT) | instid1(VALU_DEP_2)
	v_and_b32_e32 v2, 7, v1
	v_and_b32_e32 v11, 0x80000000, v11
	s_delay_alu instid0(VALU_DEP_2) | instskip(NEXT) | instid1(VALU_DEP_1)
	v_clz_i32_u32_e32 v12, v2
	v_min_u32_e32 v12, 32, v12
	s_delay_alu instid0(VALU_DEP_1) | instskip(SKIP_1) | instid1(VALU_DEP_2)
	v_subrev_nc_u32_e32 v13, 28, v12
	v_sub_nc_u32_e32 v12, 29, v12
	v_lshlrev_b32_e32 v13, v13, v1
	v_bfe_u32 v1, v1, 3, 4
	s_delay_alu instid0(VALU_DEP_2) | instskip(NEXT) | instid1(VALU_DEP_2)
	v_and_b32_e32 v13, 7, v13
	v_cmp_eq_u32_e32 vcc_lo, 0, v1
	s_delay_alu instid0(VALU_DEP_2) | instskip(NEXT) | instid1(VALU_DEP_1)
	v_dual_cndmask_b32 v1, v1, v12 :: v_dual_cndmask_b32 v2, v2, v13
	v_lshl_add_u32 v1, v1, 23, 0x3b800000
	s_delay_alu instid0(VALU_DEP_2) | instskip(NEXT) | instid1(VALU_DEP_1)
	v_lshlrev_b32_e32 v2, 20, v2
	v_or3_b32 v1, v11, v1, v2
	s_delay_alu instid0(VALU_DEP_1)
	v_cvt_f64_f32_e32 v[1:2], v1
.LBB113_1225:
	s_or_b32 exec_lo, exec_lo, s0
.LBB113_1226:
	s_mov_b32 s0, -1
.LBB113_1227:
	s_branch .LBB113_1257
.LBB113_1228:
	v_cmp_lt_i16_e32 vcc_lo, 22, v15
	s_cbranch_vccz .LBB113_1240
; %bb.1229:
	v_cmp_gt_i16_e32 vcc_lo, 24, v15
	s_cbranch_vccnz .LBB113_1241
; %bb.1230:
	v_cmp_lt_i16_e32 vcc_lo, 24, v15
	s_cbranch_vccz .LBB113_1242
; %bb.1231:
	global_load_u8 v11, v[9:10], off
	s_mov_b32 s11, exec_lo
                                        ; implicit-def: $sgpr0_sgpr1
	s_waitcnt vmcnt(0)
	v_cmpx_lt_i16_e32 0x7f, v11
	s_xor_b32 s11, exec_lo, s11
	s_cbranch_execz .LBB113_1235
; %bb.1232:
	s_mov_b32 s12, -1
	s_mov_b32 s10, exec_lo
                                        ; implicit-def: $sgpr0_sgpr1
	v_cmpx_eq_u16_e32 0x80, v11
; %bb.1233:
	s_mov_b32 s1, 0x7ff80000
	s_brev_b32 s0, 4
	s_xor_b32 s12, exec_lo, -1
; %bb.1234:
	s_or_b32 exec_lo, exec_lo, s10
	s_delay_alu instid0(SALU_CYCLE_1)
	s_and_b32 s10, s12, exec_lo
.LBB113_1235:
	s_or_saveexec_b32 s11, s11
	v_dual_mov_b32 v2, s1 :: v_dual_mov_b32 v1, s0
	s_xor_b32 exec_lo, exec_lo, s11
; %bb.1236:
	v_cmp_ne_u16_e32 vcc_lo, 0, v11
	v_mov_b32_e32 v1, 0
	v_mov_b32_e32 v2, 0
	s_and_not1_b32 s0, s10, exec_lo
	s_and_b32 s1, vcc_lo, exec_lo
	s_delay_alu instid0(SALU_CYCLE_1)
	s_or_b32 s10, s0, s1
; %bb.1237:
	s_or_b32 exec_lo, exec_lo, s11
	s_and_saveexec_b32 s0, s10
	s_cbranch_execz .LBB113_1239
; %bb.1238:
	v_and_b32_e32 v1, 0xffff, v11
	v_lshlrev_b32_e32 v11, 24, v11
	s_delay_alu instid0(VALU_DEP_2) | instskip(NEXT) | instid1(VALU_DEP_2)
	v_and_b32_e32 v2, 3, v1
	v_and_b32_e32 v11, 0x80000000, v11
	s_delay_alu instid0(VALU_DEP_2) | instskip(NEXT) | instid1(VALU_DEP_1)
	v_clz_i32_u32_e32 v12, v2
	v_min_u32_e32 v12, 32, v12
	s_delay_alu instid0(VALU_DEP_1) | instskip(SKIP_1) | instid1(VALU_DEP_2)
	v_subrev_nc_u32_e32 v13, 29, v12
	v_sub_nc_u32_e32 v12, 30, v12
	v_lshlrev_b32_e32 v13, v13, v1
	v_bfe_u32 v1, v1, 2, 5
	s_delay_alu instid0(VALU_DEP_2) | instskip(NEXT) | instid1(VALU_DEP_2)
	v_and_b32_e32 v13, 3, v13
	v_cmp_eq_u32_e32 vcc_lo, 0, v1
	s_delay_alu instid0(VALU_DEP_2) | instskip(NEXT) | instid1(VALU_DEP_1)
	v_dual_cndmask_b32 v1, v1, v12 :: v_dual_cndmask_b32 v2, v2, v13
	v_lshl_add_u32 v1, v1, 23, 0x37800000
	s_delay_alu instid0(VALU_DEP_2) | instskip(NEXT) | instid1(VALU_DEP_1)
	v_lshlrev_b32_e32 v2, 21, v2
	v_or3_b32 v1, v11, v1, v2
	s_delay_alu instid0(VALU_DEP_1)
	v_cvt_f64_f32_e32 v[1:2], v1
.LBB113_1239:
	s_or_b32 exec_lo, exec_lo, s0
	s_mov_b32 s0, 0
	s_branch .LBB113_1243
.LBB113_1240:
                                        ; implicit-def: $vgpr1_vgpr2
	s_mov_b32 s10, 0
	s_branch .LBB113_1249
.LBB113_1241:
	s_mov_b32 s0, -1
                                        ; implicit-def: $vgpr1_vgpr2
	s_branch .LBB113_1246
.LBB113_1242:
	s_mov_b32 s0, -1
                                        ; implicit-def: $vgpr1_vgpr2
.LBB113_1243:
	s_delay_alu instid0(SALU_CYCLE_1)
	s_and_b32 vcc_lo, exec_lo, s0
	s_cbranch_vccz .LBB113_1245
; %bb.1244:
	global_load_u8 v1, v[9:10], off
	s_waitcnt vmcnt(0)
	v_lshlrev_b32_e32 v1, 24, v1
	s_delay_alu instid0(VALU_DEP_1) | instskip(NEXT) | instid1(VALU_DEP_1)
	v_and_b32_e32 v2, 0x7f000000, v1
	v_clz_i32_u32_e32 v11, v2
	v_add_nc_u32_e32 v13, 0x1000000, v2
	v_cmp_ne_u32_e32 vcc_lo, 0, v2
	s_delay_alu instid0(VALU_DEP_3) | instskip(NEXT) | instid1(VALU_DEP_1)
	v_min_u32_e32 v11, 32, v11
	v_sub_nc_u32_e64 v11, v11, 4 clamp
	s_delay_alu instid0(VALU_DEP_1) | instskip(SKIP_1) | instid1(VALU_DEP_2)
	v_lshlrev_b32_e32 v12, v11, v2
	v_lshlrev_b32_e32 v11, 23, v11
	v_lshrrev_b32_e32 v12, 4, v12
	s_delay_alu instid0(VALU_DEP_1) | instskip(SKIP_1) | instid1(VALU_DEP_2)
	v_sub_nc_u32_e32 v11, v12, v11
	v_ashrrev_i32_e32 v12, 8, v13
	v_add_nc_u32_e32 v11, 0x3c000000, v11
	s_delay_alu instid0(VALU_DEP_1) | instskip(NEXT) | instid1(VALU_DEP_1)
	v_and_or_b32 v11, 0x7f800000, v12, v11
	v_cndmask_b32_e32 v2, 0, v11, vcc_lo
	s_delay_alu instid0(VALU_DEP_1) | instskip(NEXT) | instid1(VALU_DEP_1)
	v_and_or_b32 v1, 0x80000000, v1, v2
	v_cvt_f64_f32_e32 v[1:2], v1
.LBB113_1245:
	s_mov_b32 s0, 0
.LBB113_1246:
	s_delay_alu instid0(SALU_CYCLE_1)
	s_and_not1_b32 vcc_lo, exec_lo, s0
	s_cbranch_vccnz .LBB113_1248
; %bb.1247:
	global_load_u8 v1, v[9:10], off
	s_waitcnt vmcnt(0)
	v_lshlrev_b32_e32 v2, 25, v1
	v_lshlrev_b16 v1, 8, v1
	s_delay_alu instid0(VALU_DEP_2) | instskip(NEXT) | instid1(VALU_DEP_2)
	v_lshrrev_b32_e32 v11, 4, v2
	v_and_or_b32 v12, 0x7f00, v1, 0.5
	v_bfe_i32 v1, v1, 0, 16
	s_delay_alu instid0(VALU_DEP_3) | instskip(NEXT) | instid1(VALU_DEP_1)
	v_or_b32_e32 v11, 0x70000000, v11
	v_dual_add_f32 v12, -0.5, v12 :: v_dual_mul_f32 v11, 0x7800000, v11
	v_cmp_gt_u32_e32 vcc_lo, 0x8000000, v2
	s_delay_alu instid0(VALU_DEP_2) | instskip(NEXT) | instid1(VALU_DEP_1)
	v_cndmask_b32_e32 v2, v11, v12, vcc_lo
	v_and_or_b32 v1, 0x80000000, v1, v2
	s_delay_alu instid0(VALU_DEP_1)
	v_cvt_f64_f32_e32 v[1:2], v1
.LBB113_1248:
	s_mov_b32 s0, -1
	s_mov_b32 s10, 0
	s_cbranch_execnz .LBB113_1257
.LBB113_1249:
	v_cmp_lt_i16_e32 vcc_lo, 14, v15
	s_cbranch_vccz .LBB113_1252
; %bb.1250:
	v_cmp_eq_u16_e32 vcc_lo, 15, v15
	s_cbranch_vccz .LBB113_1253
; %bb.1251:
	global_load_u16 v1, v[9:10], off
	s_mov_b32 s3, 0
	s_mov_b32 s0, -1
	s_waitcnt vmcnt(0)
	v_lshlrev_b32_e32 v1, 16, v1
	s_delay_alu instid0(VALU_DEP_1)
	v_cvt_f64_f32_e32 v[1:2], v1
	s_branch .LBB113_1254
.LBB113_1252:
	s_mov_b32 s1, -1
                                        ; implicit-def: $vgpr1_vgpr2
	s_branch .LBB113_1255
.LBB113_1253:
	s_mov_b32 s3, -1
                                        ; implicit-def: $vgpr1_vgpr2
.LBB113_1254:
	s_mov_b32 s1, 0
.LBB113_1255:
	s_delay_alu instid0(SALU_CYCLE_1)
	s_and_b32 vcc_lo, exec_lo, s1
	s_cbranch_vccz .LBB113_1257
; %bb.1256:
	v_cmp_ne_u16_e64 s3, 11, v15
	s_mov_b32 s10, -1
                                        ; implicit-def: $vgpr1_vgpr2
.LBB113_1257:
	s_delay_alu instid0(VALU_DEP_1)
	s_and_b32 vcc_lo, exec_lo, s3
	s_mov_b32 s3, s8
	s_cbranch_vccnz .LBB113_1281
; %bb.1258:
	s_and_not1_b32 vcc_lo, exec_lo, s10
	s_cbranch_vccnz .LBB113_1260
.LBB113_1259:
	global_load_u8 v1, v[9:10], off
	s_mov_b32 s0, -1
	s_waitcnt vmcnt(0)
	v_cmp_ne_u16_e32 vcc_lo, 0, v1
	v_mov_b32_e32 v1, 0
	v_cndmask_b32_e64 v2, 0, 0x3ff00000, vcc_lo
.LBB113_1260:
.LBB113_1261:
	s_and_not1_b32 vcc_lo, exec_lo, s0
	s_cbranch_vccnz .LBB113_2094
.LBB113_1262:
	v_cmp_gt_i16_e32 vcc_lo, 11, v15
	v_add_co_u32 v8, s0, s6, v8
	s_delay_alu instid0(VALU_DEP_1)
	v_add_co_ci_u32_e64 v9, null, s7, 0, s0
	s_mov_b32 s0, 0
	s_cbranch_vccnz .LBB113_1269
; %bb.1263:
	v_cmp_lt_i16_e32 vcc_lo, 25, v15
	s_mov_b32 s11, 0
	s_cbranch_vccz .LBB113_1275
; %bb.1264:
	v_cmp_lt_i16_e32 vcc_lo, 28, v15
	s_cbranch_vccz .LBB113_1277
; %bb.1265:
	v_cmp_lt_i16_e32 vcc_lo, 43, v15
	;; [unrolled: 3-line block ×3, first 2 shown]
	s_cbranch_vccz .LBB113_1285
; %bb.1267:
	v_cmp_eq_u16_e32 vcc_lo, 46, v15
	s_mov_b32 s1, 0
	s_cbranch_vccz .LBB113_1329
; %bb.1268:
	global_load_b32 v10, v[8:9], off
	s_mov_b32 s10, 0
	s_mov_b32 s0, -1
	s_waitcnt vmcnt(0)
	v_lshlrev_b32_e32 v10, 16, v10
	s_delay_alu instid0(VALU_DEP_1)
	v_cvt_f64_f32_e32 v[11:12], v10
	s_branch .LBB113_1331
.LBB113_1269:
                                        ; implicit-def: $vgpr11_vgpr12
	s_cbranch_execz .LBB113_1396
; %bb.1270:
	v_cmp_gt_i16_e32 vcc_lo, 5, v15
	s_cbranch_vccnz .LBB113_1276
; %bb.1271:
	v_cmp_gt_i16_e32 vcc_lo, 8, v15
	s_cbranch_vccnz .LBB113_1278
	;; [unrolled: 3-line block ×3, first 2 shown]
; %bb.1273:
	v_cmp_lt_i16_e32 vcc_lo, 9, v15
	s_cbranch_vccz .LBB113_1286
; %bb.1274:
	global_load_b64 v[11:12], v[8:9], off
	s_mov_b32 s0, 0
	s_branch .LBB113_1287
.LBB113_1275:
	s_mov_b32 s10, 0
                                        ; implicit-def: $vgpr11_vgpr12
	s_cbranch_execnz .LBB113_1362
	s_branch .LBB113_1392
.LBB113_1276:
                                        ; implicit-def: $vgpr11_vgpr12
	s_branch .LBB113_1305
.LBB113_1277:
	s_mov_b32 s1, -1
	s_mov_b32 s10, 0
                                        ; implicit-def: $vgpr11_vgpr12
	s_branch .LBB113_1341
.LBB113_1278:
	s_mov_b32 s0, -1
                                        ; implicit-def: $vgpr11_vgpr12
	s_branch .LBB113_1293
.LBB113_1279:
	s_mov_b32 s1, -1
	s_mov_b32 s10, 0
                                        ; implicit-def: $vgpr11_vgpr12
	s_branch .LBB113_1336
.LBB113_1280:
	s_mov_b32 s0, -1
                                        ; implicit-def: $vgpr11_vgpr12
	s_branch .LBB113_1290
.LBB113_1281:
	s_cbranch_execnz .LBB113_1325
; %bb.1282:
	s_or_b32 s3, s8, exec_lo
                                        ; implicit-def: $vgpr1_vgpr2
	s_cbranch_execz .LBB113_1259
	s_branch .LBB113_1260
.LBB113_1283:
	s_or_saveexec_b32 s5, s5
                                        ; implicit-def: $sgpr8
	s_delay_alu instid0(SALU_CYCLE_1)
	s_xor_b32 exec_lo, exec_lo, s5
	s_cbranch_execz .LBB113_991
.LBB113_1284:
	v_add_f32_e64 v3, 0x46000000, |v2|
	s_and_not1_b32 s4, s4, exec_lo
	s_mov_b32 s8, 0
	s_delay_alu instid0(VALU_DEP_1) | instskip(NEXT) | instid1(VALU_DEP_1)
	v_and_b32_e32 v3, 0xff, v3
	v_cmp_ne_u32_e32 vcc_lo, 0, v3
	s_and_b32 s9, vcc_lo, exec_lo
	s_delay_alu instid0(SALU_CYCLE_1)
	s_or_b32 s4, s4, s9
	s_or_b32 exec_lo, exec_lo, s5
	v_mov_b32_e32 v6, s8
	s_and_saveexec_b32 s5, s4
	s_cbranch_execnz .LBB113_992
	s_branch .LBB113_993
.LBB113_1285:
	s_mov_b32 s1, -1
	s_mov_b32 s10, 0
	s_branch .LBB113_1330
.LBB113_1286:
	s_mov_b32 s0, -1
                                        ; implicit-def: $vgpr11_vgpr12
.LBB113_1287:
	s_delay_alu instid0(SALU_CYCLE_1)
	s_and_not1_b32 vcc_lo, exec_lo, s0
	s_cbranch_vccnz .LBB113_1289
; %bb.1288:
	global_load_b32 v10, v[8:9], off
	s_waitcnt vmcnt(0)
	v_cvt_f64_f32_e32 v[11:12], v10
.LBB113_1289:
	s_mov_b32 s0, 0
.LBB113_1290:
	s_delay_alu instid0(SALU_CYCLE_1)
	s_and_not1_b32 vcc_lo, exec_lo, s0
	s_cbranch_vccnz .LBB113_1292
; %bb.1291:
	global_load_b32 v10, v[8:9], off
	s_waitcnt vmcnt(0)
	v_cvt_f32_f16_e32 v10, v10
	s_delay_alu instid0(VALU_DEP_1)
	v_cvt_f64_f32_e32 v[11:12], v10
.LBB113_1292:
	s_mov_b32 s0, 0
.LBB113_1293:
	s_delay_alu instid0(SALU_CYCLE_1)
	s_and_not1_b32 vcc_lo, exec_lo, s0
	s_cbranch_vccnz .LBB113_1304
; %bb.1294:
	v_cmp_gt_i16_e32 vcc_lo, 6, v15
	s_cbranch_vccnz .LBB113_1297
; %bb.1295:
	v_cmp_lt_i16_e32 vcc_lo, 6, v15
	s_cbranch_vccz .LBB113_1298
; %bb.1296:
	global_load_b64 v[11:12], v[8:9], off
	s_mov_b32 s0, 0
	s_branch .LBB113_1299
.LBB113_1297:
	s_mov_b32 s0, -1
                                        ; implicit-def: $vgpr11_vgpr12
	s_branch .LBB113_1302
.LBB113_1298:
	s_mov_b32 s0, -1
                                        ; implicit-def: $vgpr11_vgpr12
.LBB113_1299:
	s_delay_alu instid0(SALU_CYCLE_1)
	s_and_not1_b32 vcc_lo, exec_lo, s0
	s_cbranch_vccnz .LBB113_1301
; %bb.1300:
	global_load_b32 v10, v[8:9], off
	s_waitcnt vmcnt(0)
	v_cvt_f64_f32_e32 v[11:12], v10
.LBB113_1301:
	s_mov_b32 s0, 0
.LBB113_1302:
	s_delay_alu instid0(SALU_CYCLE_1)
	s_and_not1_b32 vcc_lo, exec_lo, s0
	s_cbranch_vccnz .LBB113_1304
; %bb.1303:
	global_load_u16 v10, v[8:9], off
	s_waitcnt vmcnt(0)
	v_cvt_f32_f16_e32 v10, v10
	s_delay_alu instid0(VALU_DEP_1)
	v_cvt_f64_f32_e32 v[11:12], v10
.LBB113_1304:
	s_cbranch_execnz .LBB113_1324
.LBB113_1305:
	v_cmp_gt_i16_e32 vcc_lo, 2, v15
	s_cbranch_vccnz .LBB113_1309
; %bb.1306:
	v_cmp_gt_i16_e32 vcc_lo, 3, v15
	s_cbranch_vccnz .LBB113_1310
; %bb.1307:
	v_cmp_lt_i16_e32 vcc_lo, 3, v15
	s_cbranch_vccz .LBB113_1311
; %bb.1308:
	global_load_b64 v[10:11], v[8:9], off
	s_mov_b32 s0, 0
	s_waitcnt vmcnt(0)
	v_cvt_f64_i32_e32 v[11:12], v11
	v_cvt_f64_u32_e32 v[13:14], v10
	s_delay_alu instid0(VALU_DEP_2) | instskip(NEXT) | instid1(VALU_DEP_1)
	v_ldexp_f64 v[11:12], v[11:12], 32
	v_add_f64 v[11:12], v[11:12], v[13:14]
	s_branch .LBB113_1312
.LBB113_1309:
	s_mov_b32 s0, -1
                                        ; implicit-def: $vgpr11_vgpr12
	s_branch .LBB113_1318
.LBB113_1310:
	s_mov_b32 s0, -1
                                        ; implicit-def: $vgpr11_vgpr12
	s_branch .LBB113_1315
.LBB113_1311:
	s_mov_b32 s0, -1
                                        ; implicit-def: $vgpr11_vgpr12
.LBB113_1312:
	s_delay_alu instid0(SALU_CYCLE_1)
	s_and_not1_b32 vcc_lo, exec_lo, s0
	s_cbranch_vccnz .LBB113_1314
; %bb.1313:
	global_load_b32 v10, v[8:9], off
	s_waitcnt vmcnt(0)
	v_cvt_f64_i32_e32 v[11:12], v10
.LBB113_1314:
	s_mov_b32 s0, 0
.LBB113_1315:
	s_delay_alu instid0(SALU_CYCLE_1)
	s_and_not1_b32 vcc_lo, exec_lo, s0
	s_cbranch_vccnz .LBB113_1317
; %bb.1316:
	global_load_i16 v10, v[8:9], off
	s_waitcnt vmcnt(0)
	v_cvt_f64_i32_e32 v[11:12], v10
.LBB113_1317:
	s_mov_b32 s0, 0
.LBB113_1318:
	s_delay_alu instid0(SALU_CYCLE_1)
	s_and_not1_b32 vcc_lo, exec_lo, s0
	s_cbranch_vccnz .LBB113_1324
; %bb.1319:
	v_cmp_lt_i16_e32 vcc_lo, 0, v15
	s_mov_b32 s0, 0
	s_cbranch_vccz .LBB113_1321
; %bb.1320:
	global_load_i8 v10, v[8:9], off
	s_waitcnt vmcnt(0)
	v_cvt_f64_i32_e32 v[11:12], v10
	s_branch .LBB113_1322
.LBB113_1321:
	s_mov_b32 s0, -1
                                        ; implicit-def: $vgpr11_vgpr12
.LBB113_1322:
	s_delay_alu instid0(SALU_CYCLE_1)
	s_and_not1_b32 vcc_lo, exec_lo, s0
	s_cbranch_vccnz .LBB113_1324
; %bb.1323:
	global_load_u8 v8, v[8:9], off
	s_waitcnt vmcnt(0)
	v_cvt_f64_u32_e32 v[11:12], v8
.LBB113_1324:
	s_branch .LBB113_1397
.LBB113_1325:
	s_trap 2
	s_sendmsg_rtn_b32 s0, sendmsg(MSG_RTN_GET_DOORBELL)
	s_mov_b32 ttmp2, m0
	s_waitcnt lgkmcnt(0)
	s_and_b32 s0, s0, 0x3ff
	s_delay_alu instid0(SALU_CYCLE_1) | instskip(NEXT) | instid1(SALU_CYCLE_1)
	s_bitset1_b32 s0, 10
	s_mov_b32 m0, s0
	s_sendmsg sendmsg(MSG_INTERRUPT)
	s_mov_b32 m0, ttmp2
.LBB113_1326:                           ; =>This Inner Loop Header: Depth=1
	s_sethalt 5
	s_branch .LBB113_1326
.LBB113_1327:
	s_or_saveexec_b32 s8, s8
                                        ; implicit-def: $sgpr9
	s_delay_alu instid0(SALU_CYCLE_1)
	s_xor_b32 exec_lo, exec_lo, s8
	s_cbranch_execz .LBB113_1003
.LBB113_1328:
	v_add_f32_e64 v3, 0x42800000, |v2|
	s_and_not1_b32 s5, s5, exec_lo
	s_mov_b32 s9, 0
	s_delay_alu instid0(VALU_DEP_1) | instskip(NEXT) | instid1(VALU_DEP_1)
	v_and_b32_e32 v3, 0xff, v3
	v_cmp_ne_u32_e32 vcc_lo, 0, v3
	s_and_b32 s10, vcc_lo, exec_lo
	s_delay_alu instid0(SALU_CYCLE_1)
	s_or_b32 s5, s5, s10
	s_or_b32 exec_lo, exec_lo, s8
	v_mov_b32_e32 v6, s9
	s_and_saveexec_b32 s8, s5
	s_cbranch_execnz .LBB113_1004
	s_branch .LBB113_1005
.LBB113_1329:
	s_mov_b32 s10, -1
.LBB113_1330:
                                        ; implicit-def: $vgpr11_vgpr12
.LBB113_1331:
	s_and_b32 vcc_lo, exec_lo, s1
	s_cbranch_vccz .LBB113_1335
; %bb.1332:
	v_cmp_eq_u16_e32 vcc_lo, 44, v15
	s_cbranch_vccz .LBB113_1334
; %bb.1333:
	global_load_u8 v12, v[8:9], off
	s_mov_b32 s10, 0
	s_mov_b32 s0, -1
	s_waitcnt vmcnt(0)
	v_cmp_ne_u32_e32 vcc_lo, 0xff, v12
	v_lshlrev_b32_e32 v10, 23, v12
	s_delay_alu instid0(VALU_DEP_1) | instskip(NEXT) | instid1(VALU_DEP_1)
	v_cvt_f64_f32_e32 v[10:11], v10
	v_cndmask_b32_e32 v11, 0x7ff80000, v11, vcc_lo
	s_delay_alu instid0(VALU_DEP_2) | instskip(SKIP_1) | instid1(VALU_DEP_3)
	v_cndmask_b32_e32 v10, 0x20000000, v10, vcc_lo
	v_cmp_ne_u32_e32 vcc_lo, 0, v12
	v_cndmask_b32_e32 v12, 0x38000000, v11, vcc_lo
	s_delay_alu instid0(VALU_DEP_3)
	v_cndmask_b32_e32 v11, 0, v10, vcc_lo
	s_branch .LBB113_1335
.LBB113_1334:
	s_mov_b32 s10, -1
                                        ; implicit-def: $vgpr11_vgpr12
.LBB113_1335:
	s_mov_b32 s1, 0
.LBB113_1336:
	s_delay_alu instid0(SALU_CYCLE_1)
	s_and_b32 vcc_lo, exec_lo, s1
	s_cbranch_vccz .LBB113_1340
; %bb.1337:
	v_cmp_eq_u16_e32 vcc_lo, 29, v15
	s_cbranch_vccz .LBB113_1339
; %bb.1338:
	global_load_b64 v[10:11], v[8:9], off
	s_mov_b32 s10, 0
	s_mov_b32 s0, -1
	s_mov_b32 s1, 0
	s_waitcnt vmcnt(0)
	v_cvt_f64_u32_e32 v[11:12], v11
	v_cvt_f64_u32_e32 v[13:14], v10
	s_delay_alu instid0(VALU_DEP_2) | instskip(NEXT) | instid1(VALU_DEP_1)
	v_ldexp_f64 v[11:12], v[11:12], 32
	v_add_f64 v[11:12], v[11:12], v[13:14]
	s_branch .LBB113_1341
.LBB113_1339:
	s_mov_b32 s10, -1
                                        ; implicit-def: $vgpr11_vgpr12
.LBB113_1340:
	s_mov_b32 s1, 0
.LBB113_1341:
	s_delay_alu instid0(SALU_CYCLE_1)
	s_and_b32 vcc_lo, exec_lo, s1
	s_cbranch_vccz .LBB113_1361
; %bb.1342:
	v_cmp_gt_i16_e32 vcc_lo, 27, v15
	s_cbranch_vccnz .LBB113_1345
; %bb.1343:
	v_cmp_lt_i16_e32 vcc_lo, 27, v15
	s_cbranch_vccz .LBB113_1346
; %bb.1344:
	global_load_b32 v10, v[8:9], off
	s_mov_b32 s0, 0
	s_waitcnt vmcnt(0)
	v_cvt_f64_u32_e32 v[11:12], v10
	s_branch .LBB113_1347
.LBB113_1345:
	s_mov_b32 s0, -1
                                        ; implicit-def: $vgpr11_vgpr12
	s_branch .LBB113_1350
.LBB113_1346:
	s_mov_b32 s0, -1
                                        ; implicit-def: $vgpr11_vgpr12
.LBB113_1347:
	s_delay_alu instid0(SALU_CYCLE_1)
	s_and_not1_b32 vcc_lo, exec_lo, s0
	s_cbranch_vccnz .LBB113_1349
; %bb.1348:
	global_load_u16 v10, v[8:9], off
	s_waitcnt vmcnt(0)
	v_cvt_f64_u32_e32 v[11:12], v10
.LBB113_1349:
	s_mov_b32 s0, 0
.LBB113_1350:
	s_delay_alu instid0(SALU_CYCLE_1)
	s_and_not1_b32 vcc_lo, exec_lo, s0
	s_cbranch_vccnz .LBB113_1360
; %bb.1351:
	global_load_u8 v10, v[8:9], off
	s_mov_b32 s12, 0
	s_mov_b32 s13, exec_lo
                                        ; implicit-def: $sgpr0_sgpr1
	s_waitcnt vmcnt(0)
	v_cmpx_lt_i16_e32 0x7f, v10
	s_xor_b32 s13, exec_lo, s13
	s_cbranch_execz .LBB113_1355
; %bb.1352:
	s_mov_b32 s14, -1
	s_mov_b32 s12, exec_lo
                                        ; implicit-def: $sgpr0_sgpr1
	v_cmpx_eq_u16_e32 0x80, v10
; %bb.1353:
	s_mov_b32 s1, 0x7ff80000
	s_brev_b32 s0, 4
	s_xor_b32 s14, exec_lo, -1
; %bb.1354:
	s_or_b32 exec_lo, exec_lo, s12
	s_delay_alu instid0(SALU_CYCLE_1)
	s_and_b32 s12, s14, exec_lo
.LBB113_1355:
	s_or_saveexec_b32 s13, s13
	v_dual_mov_b32 v12, s1 :: v_dual_mov_b32 v11, s0
	s_xor_b32 exec_lo, exec_lo, s13
; %bb.1356:
	v_cmp_ne_u16_e32 vcc_lo, 0, v10
	v_mov_b32_e32 v11, 0
	v_mov_b32_e32 v12, 0
	s_and_not1_b32 s0, s12, exec_lo
	s_and_b32 s1, vcc_lo, exec_lo
	s_delay_alu instid0(SALU_CYCLE_1)
	s_or_b32 s12, s0, s1
; %bb.1357:
	s_or_b32 exec_lo, exec_lo, s13
	s_and_saveexec_b32 s0, s12
	s_cbranch_execz .LBB113_1359
; %bb.1358:
	v_and_b32_e32 v11, 0xffff, v10
	v_lshlrev_b32_e32 v10, 24, v10
	s_delay_alu instid0(VALU_DEP_2) | instskip(NEXT) | instid1(VALU_DEP_2)
	v_and_b32_e32 v12, 7, v11
	v_and_b32_e32 v10, 0x80000000, v10
	s_delay_alu instid0(VALU_DEP_2) | instskip(NEXT) | instid1(VALU_DEP_1)
	v_clz_i32_u32_e32 v13, v12
	v_min_u32_e32 v13, 32, v13
	s_delay_alu instid0(VALU_DEP_1) | instskip(SKIP_1) | instid1(VALU_DEP_2)
	v_subrev_nc_u32_e32 v14, 28, v13
	v_sub_nc_u32_e32 v13, 29, v13
	v_lshlrev_b32_e32 v14, v14, v11
	v_bfe_u32 v11, v11, 3, 4
	s_delay_alu instid0(VALU_DEP_2) | instskip(NEXT) | instid1(VALU_DEP_2)
	v_and_b32_e32 v14, 7, v14
	v_cmp_eq_u32_e32 vcc_lo, 0, v11
	s_delay_alu instid0(VALU_DEP_2) | instskip(NEXT) | instid1(VALU_DEP_1)
	v_dual_cndmask_b32 v11, v11, v13 :: v_dual_cndmask_b32 v12, v12, v14
	v_lshl_add_u32 v11, v11, 23, 0x3b800000
	s_delay_alu instid0(VALU_DEP_2) | instskip(NEXT) | instid1(VALU_DEP_1)
	v_lshlrev_b32_e32 v12, 20, v12
	v_or3_b32 v10, v10, v11, v12
	s_delay_alu instid0(VALU_DEP_1)
	v_cvt_f64_f32_e32 v[11:12], v10
.LBB113_1359:
	s_or_b32 exec_lo, exec_lo, s0
.LBB113_1360:
	s_mov_b32 s0, -1
.LBB113_1361:
	s_branch .LBB113_1392
.LBB113_1362:
	v_cmp_lt_i16_e32 vcc_lo, 22, v15
	s_cbranch_vccz .LBB113_1374
; %bb.1363:
	v_cmp_gt_i16_e32 vcc_lo, 24, v15
	s_cbranch_vccnz .LBB113_1375
; %bb.1364:
	v_cmp_lt_i16_e32 vcc_lo, 24, v15
	s_cbranch_vccz .LBB113_1376
; %bb.1365:
	global_load_u8 v10, v[8:9], off
	s_mov_b32 s12, exec_lo
                                        ; implicit-def: $sgpr0_sgpr1
	s_waitcnt vmcnt(0)
	v_cmpx_lt_i16_e32 0x7f, v10
	s_xor_b32 s12, exec_lo, s12
	s_cbranch_execz .LBB113_1369
; %bb.1366:
	s_mov_b32 s13, -1
	s_mov_b32 s11, exec_lo
                                        ; implicit-def: $sgpr0_sgpr1
	v_cmpx_eq_u16_e32 0x80, v10
; %bb.1367:
	s_mov_b32 s1, 0x7ff80000
	s_brev_b32 s0, 4
	s_xor_b32 s13, exec_lo, -1
; %bb.1368:
	s_or_b32 exec_lo, exec_lo, s11
	s_delay_alu instid0(SALU_CYCLE_1)
	s_and_b32 s11, s13, exec_lo
.LBB113_1369:
	s_or_saveexec_b32 s12, s12
	v_dual_mov_b32 v12, s1 :: v_dual_mov_b32 v11, s0
	s_xor_b32 exec_lo, exec_lo, s12
; %bb.1370:
	v_cmp_ne_u16_e32 vcc_lo, 0, v10
	v_mov_b32_e32 v11, 0
	v_mov_b32_e32 v12, 0
	s_and_not1_b32 s0, s11, exec_lo
	s_and_b32 s1, vcc_lo, exec_lo
	s_delay_alu instid0(SALU_CYCLE_1)
	s_or_b32 s11, s0, s1
; %bb.1371:
	s_or_b32 exec_lo, exec_lo, s12
	s_and_saveexec_b32 s0, s11
	s_cbranch_execz .LBB113_1373
; %bb.1372:
	v_and_b32_e32 v11, 0xffff, v10
	v_lshlrev_b32_e32 v10, 24, v10
	s_delay_alu instid0(VALU_DEP_2) | instskip(NEXT) | instid1(VALU_DEP_2)
	v_and_b32_e32 v12, 3, v11
	v_and_b32_e32 v10, 0x80000000, v10
	s_delay_alu instid0(VALU_DEP_2) | instskip(NEXT) | instid1(VALU_DEP_1)
	v_clz_i32_u32_e32 v13, v12
	v_min_u32_e32 v13, 32, v13
	s_delay_alu instid0(VALU_DEP_1) | instskip(SKIP_1) | instid1(VALU_DEP_2)
	v_subrev_nc_u32_e32 v14, 29, v13
	v_sub_nc_u32_e32 v13, 30, v13
	v_lshlrev_b32_e32 v14, v14, v11
	v_bfe_u32 v11, v11, 2, 5
	s_delay_alu instid0(VALU_DEP_2) | instskip(NEXT) | instid1(VALU_DEP_2)
	v_and_b32_e32 v14, 3, v14
	v_cmp_eq_u32_e32 vcc_lo, 0, v11
	s_delay_alu instid0(VALU_DEP_2) | instskip(NEXT) | instid1(VALU_DEP_1)
	v_dual_cndmask_b32 v11, v11, v13 :: v_dual_cndmask_b32 v12, v12, v14
	v_lshl_add_u32 v11, v11, 23, 0x37800000
	s_delay_alu instid0(VALU_DEP_2) | instskip(NEXT) | instid1(VALU_DEP_1)
	v_lshlrev_b32_e32 v12, 21, v12
	v_or3_b32 v10, v10, v11, v12
	s_delay_alu instid0(VALU_DEP_1)
	v_cvt_f64_f32_e32 v[11:12], v10
.LBB113_1373:
	s_or_b32 exec_lo, exec_lo, s0
	s_mov_b32 s0, 0
	s_branch .LBB113_1377
.LBB113_1374:
	s_mov_b32 s1, -1
                                        ; implicit-def: $vgpr11_vgpr12
	s_branch .LBB113_1383
.LBB113_1375:
	s_mov_b32 s0, -1
                                        ; implicit-def: $vgpr11_vgpr12
	s_branch .LBB113_1380
.LBB113_1376:
	s_mov_b32 s0, -1
                                        ; implicit-def: $vgpr11_vgpr12
.LBB113_1377:
	s_delay_alu instid0(SALU_CYCLE_1)
	s_and_b32 vcc_lo, exec_lo, s0
	s_cbranch_vccz .LBB113_1379
; %bb.1378:
	global_load_u8 v10, v[8:9], off
	s_waitcnt vmcnt(0)
	v_lshlrev_b32_e32 v10, 24, v10
	s_delay_alu instid0(VALU_DEP_1) | instskip(NEXT) | instid1(VALU_DEP_1)
	v_and_b32_e32 v11, 0x7f000000, v10
	v_clz_i32_u32_e32 v12, v11
	v_add_nc_u32_e32 v14, 0x1000000, v11
	v_cmp_ne_u32_e32 vcc_lo, 0, v11
	s_delay_alu instid0(VALU_DEP_3) | instskip(NEXT) | instid1(VALU_DEP_1)
	v_min_u32_e32 v12, 32, v12
	v_sub_nc_u32_e64 v12, v12, 4 clamp
	s_delay_alu instid0(VALU_DEP_1) | instskip(SKIP_1) | instid1(VALU_DEP_2)
	v_lshlrev_b32_e32 v13, v12, v11
	v_lshlrev_b32_e32 v12, 23, v12
	v_lshrrev_b32_e32 v13, 4, v13
	s_delay_alu instid0(VALU_DEP_1) | instskip(SKIP_1) | instid1(VALU_DEP_2)
	v_sub_nc_u32_e32 v12, v13, v12
	v_ashrrev_i32_e32 v13, 8, v14
	v_add_nc_u32_e32 v12, 0x3c000000, v12
	s_delay_alu instid0(VALU_DEP_1) | instskip(NEXT) | instid1(VALU_DEP_1)
	v_and_or_b32 v12, 0x7f800000, v13, v12
	v_cndmask_b32_e32 v11, 0, v12, vcc_lo
	s_delay_alu instid0(VALU_DEP_1) | instskip(NEXT) | instid1(VALU_DEP_1)
	v_and_or_b32 v10, 0x80000000, v10, v11
	v_cvt_f64_f32_e32 v[11:12], v10
.LBB113_1379:
	s_mov_b32 s0, 0
.LBB113_1380:
	s_delay_alu instid0(SALU_CYCLE_1)
	s_and_not1_b32 vcc_lo, exec_lo, s0
	s_cbranch_vccnz .LBB113_1382
; %bb.1381:
	global_load_u8 v10, v[8:9], off
	s_waitcnt vmcnt(0)
	v_lshlrev_b32_e32 v11, 25, v10
	v_lshlrev_b16 v10, 8, v10
	s_delay_alu instid0(VALU_DEP_2) | instskip(NEXT) | instid1(VALU_DEP_2)
	v_lshrrev_b32_e32 v12, 4, v11
	v_and_or_b32 v13, 0x7f00, v10, 0.5
	v_bfe_i32 v10, v10, 0, 16
	s_delay_alu instid0(VALU_DEP_3) | instskip(NEXT) | instid1(VALU_DEP_1)
	v_or_b32_e32 v12, 0x70000000, v12
	v_dual_add_f32 v13, -0.5, v13 :: v_dual_mul_f32 v12, 0x7800000, v12
	v_cmp_gt_u32_e32 vcc_lo, 0x8000000, v11
	s_delay_alu instid0(VALU_DEP_2) | instskip(NEXT) | instid1(VALU_DEP_1)
	v_cndmask_b32_e32 v11, v12, v13, vcc_lo
	v_and_or_b32 v10, 0x80000000, v10, v11
	s_delay_alu instid0(VALU_DEP_1)
	v_cvt_f64_f32_e32 v[11:12], v10
.LBB113_1382:
	s_mov_b32 s1, 0
	s_mov_b32 s0, -1
.LBB113_1383:
	s_and_not1_b32 vcc_lo, exec_lo, s1
	s_mov_b32 s11, 0
	s_cbranch_vccnz .LBB113_1392
; %bb.1384:
	v_cmp_lt_i16_e32 vcc_lo, 14, v15
	s_cbranch_vccz .LBB113_1387
; %bb.1385:
	v_cmp_eq_u16_e32 vcc_lo, 15, v15
	s_cbranch_vccz .LBB113_1388
; %bb.1386:
	global_load_u16 v10, v[8:9], off
	s_mov_b32 s10, 0
	s_mov_b32 s0, -1
	s_waitcnt vmcnt(0)
	v_lshlrev_b32_e32 v10, 16, v10
	s_delay_alu instid0(VALU_DEP_1)
	v_cvt_f64_f32_e32 v[11:12], v10
	s_branch .LBB113_1389
.LBB113_1387:
	s_mov_b32 s1, -1
                                        ; implicit-def: $vgpr11_vgpr12
	s_branch .LBB113_1390
.LBB113_1388:
	s_mov_b32 s10, -1
                                        ; implicit-def: $vgpr11_vgpr12
.LBB113_1389:
	s_mov_b32 s1, 0
.LBB113_1390:
	s_delay_alu instid0(SALU_CYCLE_1)
	s_and_b32 vcc_lo, exec_lo, s1
	s_cbranch_vccz .LBB113_1392
; %bb.1391:
	v_cmp_ne_u16_e64 s10, 11, v15
	s_mov_b32 s11, -1
                                        ; implicit-def: $vgpr11_vgpr12
.LBB113_1392:
	s_delay_alu instid0(VALU_DEP_1)
	s_and_b32 vcc_lo, exec_lo, s10
	s_cbranch_vccnz .LBB113_1416
; %bb.1393:
	s_and_not1_b32 vcc_lo, exec_lo, s11
	s_cbranch_vccnz .LBB113_1395
.LBB113_1394:
	global_load_u8 v10, v[8:9], off
	v_mov_b32_e32 v11, 0
	s_mov_b32 s0, -1
	s_waitcnt vmcnt(0)
	v_cmp_ne_u16_e32 vcc_lo, 0, v10
	v_cndmask_b32_e64 v12, 0, 0x3ff00000, vcc_lo
.LBB113_1395:
.LBB113_1396:
	s_and_not1_b32 vcc_lo, exec_lo, s0
	s_cbranch_vccnz .LBB113_2094
.LBB113_1397:
	v_cmp_gt_i16_e32 vcc_lo, 11, v15
	v_add_co_u32 v7, s0, s6, v7
	s_delay_alu instid0(VALU_DEP_1)
	v_add_co_ci_u32_e64 v8, null, s7, 0, s0
	s_mov_b32 s0, 0
	s_cbranch_vccnz .LBB113_1404
; %bb.1398:
	v_cmp_lt_i16_e32 vcc_lo, 25, v15
	s_mov_b32 s11, 0
	s_cbranch_vccz .LBB113_1410
; %bb.1399:
	v_cmp_lt_i16_e32 vcc_lo, 28, v15
	s_cbranch_vccz .LBB113_1412
; %bb.1400:
	v_cmp_lt_i16_e32 vcc_lo, 43, v15
	;; [unrolled: 3-line block ×3, first 2 shown]
	s_cbranch_vccz .LBB113_1418
; %bb.1402:
	v_cmp_eq_u16_e32 vcc_lo, 46, v15
	s_mov_b32 s1, 0
	s_cbranch_vccz .LBB113_1461
; %bb.1403:
	global_load_b32 v9, v[7:8], off
	s_mov_b32 s10, 0
	s_mov_b32 s0, -1
	s_waitcnt vmcnt(0)
	v_lshlrev_b32_e32 v9, 16, v9
	s_delay_alu instid0(VALU_DEP_1)
	v_cvt_f64_f32_e32 v[9:10], v9
	s_branch .LBB113_1463
.LBB113_1404:
                                        ; implicit-def: $vgpr9_vgpr10
	s_cbranch_execz .LBB113_1529
; %bb.1405:
	v_cmp_gt_i16_e32 vcc_lo, 5, v15
	s_cbranch_vccnz .LBB113_1411
; %bb.1406:
	v_cmp_gt_i16_e32 vcc_lo, 8, v15
	s_cbranch_vccnz .LBB113_1413
; %bb.1407:
	v_cmp_gt_i16_e32 vcc_lo, 9, v15
	s_cbranch_vccnz .LBB113_1415
; %bb.1408:
	v_cmp_lt_i16_e32 vcc_lo, 9, v15
	s_cbranch_vccz .LBB113_1419
; %bb.1409:
	global_load_b64 v[9:10], v[7:8], off
	s_mov_b32 s0, 0
	s_branch .LBB113_1420
.LBB113_1410:
	s_mov_b32 s1, -1
	s_mov_b32 s10, 0
                                        ; implicit-def: $vgpr9_vgpr10
	s_branch .LBB113_1494
.LBB113_1411:
	s_mov_b32 s0, -1
                                        ; implicit-def: $vgpr9_vgpr10
	s_branch .LBB113_1438
.LBB113_1412:
	s_mov_b32 s1, -1
	s_mov_b32 s10, 0
                                        ; implicit-def: $vgpr9_vgpr10
	s_branch .LBB113_1473
.LBB113_1413:
	s_mov_b32 s0, -1
                                        ; implicit-def: $vgpr9_vgpr10
	s_branch .LBB113_1426
.LBB113_1414:
	s_mov_b32 s1, -1
	s_mov_b32 s10, 0
                                        ; implicit-def: $vgpr9_vgpr10
	s_branch .LBB113_1468
.LBB113_1415:
	s_mov_b32 s0, -1
                                        ; implicit-def: $vgpr9_vgpr10
	s_branch .LBB113_1423
.LBB113_1416:
	s_cbranch_execnz .LBB113_1459
; %bb.1417:
	s_or_b32 s3, s3, exec_lo
                                        ; implicit-def: $vgpr11_vgpr12
	s_cbranch_execz .LBB113_1394
	s_branch .LBB113_1395
.LBB113_1418:
	s_mov_b32 s1, -1
	s_mov_b32 s10, 0
	s_branch .LBB113_1462
.LBB113_1419:
	s_mov_b32 s0, -1
                                        ; implicit-def: $vgpr9_vgpr10
.LBB113_1420:
	s_delay_alu instid0(SALU_CYCLE_1)
	s_and_not1_b32 vcc_lo, exec_lo, s0
	s_cbranch_vccnz .LBB113_1422
; %bb.1421:
	global_load_b32 v9, v[7:8], off
	s_waitcnt vmcnt(0)
	v_cvt_f64_f32_e32 v[9:10], v9
.LBB113_1422:
	s_mov_b32 s0, 0
.LBB113_1423:
	s_delay_alu instid0(SALU_CYCLE_1)
	s_and_not1_b32 vcc_lo, exec_lo, s0
	s_cbranch_vccnz .LBB113_1425
; %bb.1424:
	global_load_b32 v9, v[7:8], off
	s_waitcnt vmcnt(0)
	v_cvt_f32_f16_e32 v9, v9
	s_delay_alu instid0(VALU_DEP_1)
	v_cvt_f64_f32_e32 v[9:10], v9
.LBB113_1425:
	s_mov_b32 s0, 0
.LBB113_1426:
	s_delay_alu instid0(SALU_CYCLE_1)
	s_and_not1_b32 vcc_lo, exec_lo, s0
	s_cbranch_vccnz .LBB113_1437
; %bb.1427:
	v_cmp_gt_i16_e32 vcc_lo, 6, v15
	s_cbranch_vccnz .LBB113_1430
; %bb.1428:
	v_cmp_lt_i16_e32 vcc_lo, 6, v15
	s_cbranch_vccz .LBB113_1431
; %bb.1429:
	global_load_b64 v[9:10], v[7:8], off
	s_mov_b32 s0, 0
	s_branch .LBB113_1432
.LBB113_1430:
	s_mov_b32 s0, -1
                                        ; implicit-def: $vgpr9_vgpr10
	s_branch .LBB113_1435
.LBB113_1431:
	s_mov_b32 s0, -1
                                        ; implicit-def: $vgpr9_vgpr10
.LBB113_1432:
	s_delay_alu instid0(SALU_CYCLE_1)
	s_and_not1_b32 vcc_lo, exec_lo, s0
	s_cbranch_vccnz .LBB113_1434
; %bb.1433:
	global_load_b32 v9, v[7:8], off
	s_waitcnt vmcnt(0)
	v_cvt_f64_f32_e32 v[9:10], v9
.LBB113_1434:
	s_mov_b32 s0, 0
.LBB113_1435:
	s_delay_alu instid0(SALU_CYCLE_1)
	s_and_not1_b32 vcc_lo, exec_lo, s0
	s_cbranch_vccnz .LBB113_1437
; %bb.1436:
	global_load_u16 v9, v[7:8], off
	s_waitcnt vmcnt(0)
	v_cvt_f32_f16_e32 v9, v9
	s_delay_alu instid0(VALU_DEP_1)
	v_cvt_f64_f32_e32 v[9:10], v9
.LBB113_1437:
	s_mov_b32 s0, 0
.LBB113_1438:
	s_delay_alu instid0(SALU_CYCLE_1)
	s_and_not1_b32 vcc_lo, exec_lo, s0
	s_cbranch_vccnz .LBB113_1458
; %bb.1439:
	v_cmp_gt_i16_e32 vcc_lo, 2, v15
	s_cbranch_vccnz .LBB113_1443
; %bb.1440:
	v_cmp_gt_i16_e32 vcc_lo, 3, v15
	s_cbranch_vccnz .LBB113_1444
; %bb.1441:
	v_cmp_lt_i16_e32 vcc_lo, 3, v15
	s_cbranch_vccz .LBB113_1445
; %bb.1442:
	global_load_b64 v[9:10], v[7:8], off
	s_mov_b32 s0, 0
	s_waitcnt vmcnt(0)
	v_cvt_f64_i32_e32 v[13:14], v10
	v_cvt_f64_u32_e32 v[9:10], v9
	s_delay_alu instid0(VALU_DEP_2) | instskip(NEXT) | instid1(VALU_DEP_1)
	v_ldexp_f64 v[13:14], v[13:14], 32
	v_add_f64 v[9:10], v[13:14], v[9:10]
	s_branch .LBB113_1446
.LBB113_1443:
	s_mov_b32 s0, -1
                                        ; implicit-def: $vgpr9_vgpr10
	s_branch .LBB113_1452
.LBB113_1444:
	s_mov_b32 s0, -1
                                        ; implicit-def: $vgpr9_vgpr10
	s_branch .LBB113_1449
.LBB113_1445:
	s_mov_b32 s0, -1
                                        ; implicit-def: $vgpr9_vgpr10
.LBB113_1446:
	s_delay_alu instid0(SALU_CYCLE_1)
	s_and_not1_b32 vcc_lo, exec_lo, s0
	s_cbranch_vccnz .LBB113_1448
; %bb.1447:
	global_load_b32 v9, v[7:8], off
	s_waitcnt vmcnt(0)
	v_cvt_f64_i32_e32 v[9:10], v9
.LBB113_1448:
	s_mov_b32 s0, 0
.LBB113_1449:
	s_delay_alu instid0(SALU_CYCLE_1)
	s_and_not1_b32 vcc_lo, exec_lo, s0
	s_cbranch_vccnz .LBB113_1451
; %bb.1450:
	global_load_i16 v9, v[7:8], off
	s_waitcnt vmcnt(0)
	v_cvt_f64_i32_e32 v[9:10], v9
.LBB113_1451:
	s_mov_b32 s0, 0
.LBB113_1452:
	s_delay_alu instid0(SALU_CYCLE_1)
	s_and_not1_b32 vcc_lo, exec_lo, s0
	s_cbranch_vccnz .LBB113_1458
; %bb.1453:
	v_cmp_lt_i16_e32 vcc_lo, 0, v15
	s_mov_b32 s0, 0
	s_cbranch_vccz .LBB113_1455
; %bb.1454:
	global_load_i8 v9, v[7:8], off
	s_waitcnt vmcnt(0)
	v_cvt_f64_i32_e32 v[9:10], v9
	s_branch .LBB113_1456
.LBB113_1455:
	s_mov_b32 s0, -1
                                        ; implicit-def: $vgpr9_vgpr10
.LBB113_1456:
	s_delay_alu instid0(SALU_CYCLE_1)
	s_and_not1_b32 vcc_lo, exec_lo, s0
	s_cbranch_vccnz .LBB113_1458
; %bb.1457:
	global_load_u8 v7, v[7:8], off
	s_waitcnt vmcnt(0)
	v_cvt_f64_u32_e32 v[9:10], v7
.LBB113_1458:
	s_branch .LBB113_1530
.LBB113_1459:
	s_trap 2
	s_sendmsg_rtn_b32 s0, sendmsg(MSG_RTN_GET_DOORBELL)
	s_mov_b32 ttmp2, m0
	s_waitcnt lgkmcnt(0)
	s_and_b32 s0, s0, 0x3ff
	s_delay_alu instid0(SALU_CYCLE_1) | instskip(NEXT) | instid1(SALU_CYCLE_1)
	s_bitset1_b32 s0, 10
	s_mov_b32 m0, s0
	s_sendmsg sendmsg(MSG_INTERRUPT)
	s_mov_b32 m0, ttmp2
.LBB113_1460:                           ; =>This Inner Loop Header: Depth=1
	s_sethalt 5
	s_branch .LBB113_1460
.LBB113_1461:
	s_mov_b32 s10, -1
.LBB113_1462:
                                        ; implicit-def: $vgpr9_vgpr10
.LBB113_1463:
	s_and_b32 vcc_lo, exec_lo, s1
	s_cbranch_vccz .LBB113_1467
; %bb.1464:
	v_cmp_eq_u16_e32 vcc_lo, 44, v15
	s_cbranch_vccz .LBB113_1466
; %bb.1465:
	global_load_u8 v13, v[7:8], off
	s_mov_b32 s10, 0
	s_mov_b32 s0, -1
	s_waitcnt vmcnt(0)
	v_cmp_ne_u32_e32 vcc_lo, 0xff, v13
	v_lshlrev_b32_e32 v9, 23, v13
	s_delay_alu instid0(VALU_DEP_1) | instskip(NEXT) | instid1(VALU_DEP_1)
	v_cvt_f64_f32_e32 v[9:10], v9
	v_cndmask_b32_e32 v10, 0x7ff80000, v10, vcc_lo
	s_delay_alu instid0(VALU_DEP_2) | instskip(SKIP_1) | instid1(VALU_DEP_3)
	v_cndmask_b32_e32 v9, 0x20000000, v9, vcc_lo
	v_cmp_ne_u32_e32 vcc_lo, 0, v13
	v_cndmask_b32_e32 v10, 0x38000000, v10, vcc_lo
	s_delay_alu instid0(VALU_DEP_3)
	v_cndmask_b32_e32 v9, 0, v9, vcc_lo
	s_branch .LBB113_1467
.LBB113_1466:
	s_mov_b32 s10, -1
                                        ; implicit-def: $vgpr9_vgpr10
.LBB113_1467:
	s_mov_b32 s1, 0
.LBB113_1468:
	s_delay_alu instid0(SALU_CYCLE_1)
	s_and_b32 vcc_lo, exec_lo, s1
	s_cbranch_vccz .LBB113_1472
; %bb.1469:
	v_cmp_eq_u16_e32 vcc_lo, 29, v15
	s_cbranch_vccz .LBB113_1471
; %bb.1470:
	global_load_b64 v[9:10], v[7:8], off
	s_mov_b32 s10, 0
	s_mov_b32 s0, -1
	s_mov_b32 s1, 0
	s_waitcnt vmcnt(0)
	v_cvt_f64_u32_e32 v[13:14], v10
	v_cvt_f64_u32_e32 v[9:10], v9
	s_delay_alu instid0(VALU_DEP_2) | instskip(NEXT) | instid1(VALU_DEP_1)
	v_ldexp_f64 v[13:14], v[13:14], 32
	v_add_f64 v[9:10], v[13:14], v[9:10]
	s_branch .LBB113_1473
.LBB113_1471:
	s_mov_b32 s10, -1
                                        ; implicit-def: $vgpr9_vgpr10
.LBB113_1472:
	s_mov_b32 s1, 0
.LBB113_1473:
	s_delay_alu instid0(SALU_CYCLE_1)
	s_and_b32 vcc_lo, exec_lo, s1
	s_cbranch_vccz .LBB113_1493
; %bb.1474:
	v_cmp_gt_i16_e32 vcc_lo, 27, v15
	s_cbranch_vccnz .LBB113_1477
; %bb.1475:
	v_cmp_lt_i16_e32 vcc_lo, 27, v15
	s_cbranch_vccz .LBB113_1478
; %bb.1476:
	global_load_b32 v9, v[7:8], off
	s_mov_b32 s0, 0
	s_waitcnt vmcnt(0)
	v_cvt_f64_u32_e32 v[9:10], v9
	s_branch .LBB113_1479
.LBB113_1477:
	s_mov_b32 s0, -1
                                        ; implicit-def: $vgpr9_vgpr10
	s_branch .LBB113_1482
.LBB113_1478:
	s_mov_b32 s0, -1
                                        ; implicit-def: $vgpr9_vgpr10
.LBB113_1479:
	s_delay_alu instid0(SALU_CYCLE_1)
	s_and_not1_b32 vcc_lo, exec_lo, s0
	s_cbranch_vccnz .LBB113_1481
; %bb.1480:
	global_load_u16 v9, v[7:8], off
	s_waitcnt vmcnt(0)
	v_cvt_f64_u32_e32 v[9:10], v9
.LBB113_1481:
	s_mov_b32 s0, 0
.LBB113_1482:
	s_delay_alu instid0(SALU_CYCLE_1)
	s_and_not1_b32 vcc_lo, exec_lo, s0
	s_cbranch_vccnz .LBB113_1492
; %bb.1483:
	global_load_u8 v13, v[7:8], off
	s_mov_b32 s12, 0
	s_mov_b32 s13, exec_lo
                                        ; implicit-def: $sgpr0_sgpr1
	s_waitcnt vmcnt(0)
	v_cmpx_lt_i16_e32 0x7f, v13
	s_xor_b32 s13, exec_lo, s13
	s_cbranch_execz .LBB113_1487
; %bb.1484:
	s_mov_b32 s14, -1
	s_mov_b32 s12, exec_lo
                                        ; implicit-def: $sgpr0_sgpr1
	v_cmpx_eq_u16_e32 0x80, v13
; %bb.1485:
	s_mov_b32 s1, 0x7ff80000
	s_brev_b32 s0, 4
	s_xor_b32 s14, exec_lo, -1
; %bb.1486:
	s_or_b32 exec_lo, exec_lo, s12
	s_delay_alu instid0(SALU_CYCLE_1)
	s_and_b32 s12, s14, exec_lo
.LBB113_1487:
	s_or_saveexec_b32 s13, s13
	v_dual_mov_b32 v10, s1 :: v_dual_mov_b32 v9, s0
	s_xor_b32 exec_lo, exec_lo, s13
; %bb.1488:
	v_cmp_ne_u16_e32 vcc_lo, 0, v13
	v_mov_b32_e32 v9, 0
	v_mov_b32_e32 v10, 0
	s_and_not1_b32 s0, s12, exec_lo
	s_and_b32 s1, vcc_lo, exec_lo
	s_delay_alu instid0(SALU_CYCLE_1)
	s_or_b32 s12, s0, s1
; %bb.1489:
	s_or_b32 exec_lo, exec_lo, s13
	s_and_saveexec_b32 s0, s12
	s_cbranch_execz .LBB113_1491
; %bb.1490:
	v_and_b32_e32 v9, 0xffff, v13
	v_lshlrev_b32_e32 v13, 24, v13
	s_delay_alu instid0(VALU_DEP_2) | instskip(NEXT) | instid1(VALU_DEP_2)
	v_and_b32_e32 v10, 7, v9
	v_and_b32_e32 v13, 0x80000000, v13
	s_delay_alu instid0(VALU_DEP_2) | instskip(NEXT) | instid1(VALU_DEP_1)
	v_clz_i32_u32_e32 v14, v10
	v_min_u32_e32 v14, 32, v14
	s_delay_alu instid0(VALU_DEP_1) | instskip(SKIP_1) | instid1(VALU_DEP_2)
	v_subrev_nc_u32_e32 v16, 28, v14
	v_sub_nc_u32_e32 v14, 29, v14
	v_lshlrev_b32_e32 v16, v16, v9
	v_bfe_u32 v9, v9, 3, 4
	s_delay_alu instid0(VALU_DEP_2) | instskip(NEXT) | instid1(VALU_DEP_2)
	v_and_b32_e32 v16, 7, v16
	v_cmp_eq_u32_e32 vcc_lo, 0, v9
	s_delay_alu instid0(VALU_DEP_2) | instskip(NEXT) | instid1(VALU_DEP_1)
	v_dual_cndmask_b32 v9, v9, v14 :: v_dual_cndmask_b32 v10, v10, v16
	v_lshl_add_u32 v9, v9, 23, 0x3b800000
	s_delay_alu instid0(VALU_DEP_2) | instskip(NEXT) | instid1(VALU_DEP_1)
	v_lshlrev_b32_e32 v10, 20, v10
	v_or3_b32 v9, v13, v9, v10
	s_delay_alu instid0(VALU_DEP_1)
	v_cvt_f64_f32_e32 v[9:10], v9
.LBB113_1491:
	s_or_b32 exec_lo, exec_lo, s0
.LBB113_1492:
	s_mov_b32 s0, -1
.LBB113_1493:
	s_mov_b32 s1, 0
.LBB113_1494:
	s_delay_alu instid0(SALU_CYCLE_1)
	s_and_b32 vcc_lo, exec_lo, s1
	s_cbranch_vccz .LBB113_1525
; %bb.1495:
	v_cmp_lt_i16_e32 vcc_lo, 22, v15
	s_cbranch_vccz .LBB113_1507
; %bb.1496:
	v_cmp_gt_i16_e32 vcc_lo, 24, v15
	s_cbranch_vccnz .LBB113_1508
; %bb.1497:
	v_cmp_lt_i16_e32 vcc_lo, 24, v15
	s_cbranch_vccz .LBB113_1509
; %bb.1498:
	global_load_u8 v13, v[7:8], off
	s_mov_b32 s12, exec_lo
                                        ; implicit-def: $sgpr0_sgpr1
	s_waitcnt vmcnt(0)
	v_cmpx_lt_i16_e32 0x7f, v13
	s_xor_b32 s12, exec_lo, s12
	s_cbranch_execz .LBB113_1502
; %bb.1499:
	s_mov_b32 s13, -1
	s_mov_b32 s11, exec_lo
                                        ; implicit-def: $sgpr0_sgpr1
	v_cmpx_eq_u16_e32 0x80, v13
; %bb.1500:
	s_mov_b32 s1, 0x7ff80000
	s_brev_b32 s0, 4
	s_xor_b32 s13, exec_lo, -1
; %bb.1501:
	s_or_b32 exec_lo, exec_lo, s11
	s_delay_alu instid0(SALU_CYCLE_1)
	s_and_b32 s11, s13, exec_lo
.LBB113_1502:
	s_or_saveexec_b32 s12, s12
	v_dual_mov_b32 v10, s1 :: v_dual_mov_b32 v9, s0
	s_xor_b32 exec_lo, exec_lo, s12
; %bb.1503:
	v_cmp_ne_u16_e32 vcc_lo, 0, v13
	v_mov_b32_e32 v9, 0
	v_mov_b32_e32 v10, 0
	s_and_not1_b32 s0, s11, exec_lo
	s_and_b32 s1, vcc_lo, exec_lo
	s_delay_alu instid0(SALU_CYCLE_1)
	s_or_b32 s11, s0, s1
; %bb.1504:
	s_or_b32 exec_lo, exec_lo, s12
	s_and_saveexec_b32 s0, s11
	s_cbranch_execz .LBB113_1506
; %bb.1505:
	v_and_b32_e32 v9, 0xffff, v13
	v_lshlrev_b32_e32 v13, 24, v13
	s_delay_alu instid0(VALU_DEP_2) | instskip(NEXT) | instid1(VALU_DEP_2)
	v_and_b32_e32 v10, 3, v9
	v_and_b32_e32 v13, 0x80000000, v13
	s_delay_alu instid0(VALU_DEP_2) | instskip(NEXT) | instid1(VALU_DEP_1)
	v_clz_i32_u32_e32 v14, v10
	v_min_u32_e32 v14, 32, v14
	s_delay_alu instid0(VALU_DEP_1) | instskip(SKIP_1) | instid1(VALU_DEP_2)
	v_subrev_nc_u32_e32 v16, 29, v14
	v_sub_nc_u32_e32 v14, 30, v14
	v_lshlrev_b32_e32 v16, v16, v9
	v_bfe_u32 v9, v9, 2, 5
	s_delay_alu instid0(VALU_DEP_2) | instskip(NEXT) | instid1(VALU_DEP_2)
	v_and_b32_e32 v16, 3, v16
	v_cmp_eq_u32_e32 vcc_lo, 0, v9
	s_delay_alu instid0(VALU_DEP_2) | instskip(NEXT) | instid1(VALU_DEP_1)
	v_dual_cndmask_b32 v9, v9, v14 :: v_dual_cndmask_b32 v10, v10, v16
	v_lshl_add_u32 v9, v9, 23, 0x37800000
	s_delay_alu instid0(VALU_DEP_2) | instskip(NEXT) | instid1(VALU_DEP_1)
	v_lshlrev_b32_e32 v10, 21, v10
	v_or3_b32 v9, v13, v9, v10
	s_delay_alu instid0(VALU_DEP_1)
	v_cvt_f64_f32_e32 v[9:10], v9
.LBB113_1506:
	s_or_b32 exec_lo, exec_lo, s0
	s_mov_b32 s0, 0
	s_branch .LBB113_1510
.LBB113_1507:
	s_mov_b32 s1, -1
                                        ; implicit-def: $vgpr9_vgpr10
	s_branch .LBB113_1516
.LBB113_1508:
	s_mov_b32 s0, -1
                                        ; implicit-def: $vgpr9_vgpr10
	s_branch .LBB113_1513
.LBB113_1509:
	s_mov_b32 s0, -1
                                        ; implicit-def: $vgpr9_vgpr10
.LBB113_1510:
	s_delay_alu instid0(SALU_CYCLE_1)
	s_and_b32 vcc_lo, exec_lo, s0
	s_cbranch_vccz .LBB113_1512
; %bb.1511:
	global_load_u8 v9, v[7:8], off
	s_waitcnt vmcnt(0)
	v_lshlrev_b32_e32 v9, 24, v9
	s_delay_alu instid0(VALU_DEP_1) | instskip(NEXT) | instid1(VALU_DEP_1)
	v_and_b32_e32 v10, 0x7f000000, v9
	v_clz_i32_u32_e32 v13, v10
	v_add_nc_u32_e32 v16, 0x1000000, v10
	v_cmp_ne_u32_e32 vcc_lo, 0, v10
	s_delay_alu instid0(VALU_DEP_3) | instskip(NEXT) | instid1(VALU_DEP_1)
	v_min_u32_e32 v13, 32, v13
	v_sub_nc_u32_e64 v13, v13, 4 clamp
	s_delay_alu instid0(VALU_DEP_1) | instskip(SKIP_1) | instid1(VALU_DEP_2)
	v_lshlrev_b32_e32 v14, v13, v10
	v_lshlrev_b32_e32 v13, 23, v13
	v_lshrrev_b32_e32 v14, 4, v14
	s_delay_alu instid0(VALU_DEP_1) | instskip(SKIP_1) | instid1(VALU_DEP_2)
	v_sub_nc_u32_e32 v13, v14, v13
	v_ashrrev_i32_e32 v14, 8, v16
	v_add_nc_u32_e32 v13, 0x3c000000, v13
	s_delay_alu instid0(VALU_DEP_1) | instskip(NEXT) | instid1(VALU_DEP_1)
	v_and_or_b32 v13, 0x7f800000, v14, v13
	v_cndmask_b32_e32 v10, 0, v13, vcc_lo
	s_delay_alu instid0(VALU_DEP_1) | instskip(NEXT) | instid1(VALU_DEP_1)
	v_and_or_b32 v9, 0x80000000, v9, v10
	v_cvt_f64_f32_e32 v[9:10], v9
.LBB113_1512:
	s_mov_b32 s0, 0
.LBB113_1513:
	s_delay_alu instid0(SALU_CYCLE_1)
	s_and_not1_b32 vcc_lo, exec_lo, s0
	s_cbranch_vccnz .LBB113_1515
; %bb.1514:
	global_load_u8 v9, v[7:8], off
	s_waitcnt vmcnt(0)
	v_lshlrev_b32_e32 v10, 25, v9
	v_lshlrev_b16 v9, 8, v9
	s_delay_alu instid0(VALU_DEP_2) | instskip(NEXT) | instid1(VALU_DEP_2)
	v_lshrrev_b32_e32 v13, 4, v10
	v_and_or_b32 v14, 0x7f00, v9, 0.5
	v_cmp_gt_u32_e32 vcc_lo, 0x8000000, v10
	v_bfe_i32 v9, v9, 0, 16
	s_delay_alu instid0(VALU_DEP_4) | instskip(NEXT) | instid1(VALU_DEP_1)
	v_or_b32_e32 v13, 0x70000000, v13
	v_dual_add_f32 v14, -0.5, v14 :: v_dual_mul_f32 v13, 0x7800000, v13
	s_delay_alu instid0(VALU_DEP_1) | instskip(NEXT) | instid1(VALU_DEP_1)
	v_cndmask_b32_e32 v10, v13, v14, vcc_lo
	v_and_or_b32 v9, 0x80000000, v9, v10
	s_delay_alu instid0(VALU_DEP_1)
	v_cvt_f64_f32_e32 v[9:10], v9
.LBB113_1515:
	s_mov_b32 s1, 0
	s_mov_b32 s0, -1
.LBB113_1516:
	s_and_not1_b32 vcc_lo, exec_lo, s1
	s_mov_b32 s11, 0
	s_cbranch_vccnz .LBB113_1525
; %bb.1517:
	v_cmp_lt_i16_e32 vcc_lo, 14, v15
	s_cbranch_vccz .LBB113_1520
; %bb.1518:
	v_cmp_eq_u16_e32 vcc_lo, 15, v15
	s_cbranch_vccz .LBB113_1521
; %bb.1519:
	global_load_u16 v9, v[7:8], off
	s_mov_b32 s10, 0
	s_mov_b32 s0, -1
	s_waitcnt vmcnt(0)
	v_lshlrev_b32_e32 v9, 16, v9
	s_delay_alu instid0(VALU_DEP_1)
	v_cvt_f64_f32_e32 v[9:10], v9
	s_branch .LBB113_1522
.LBB113_1520:
	s_mov_b32 s1, -1
                                        ; implicit-def: $vgpr9_vgpr10
	s_branch .LBB113_1523
.LBB113_1521:
	s_mov_b32 s10, -1
                                        ; implicit-def: $vgpr9_vgpr10
.LBB113_1522:
	s_mov_b32 s1, 0
.LBB113_1523:
	s_delay_alu instid0(SALU_CYCLE_1)
	s_and_b32 vcc_lo, exec_lo, s1
	s_cbranch_vccz .LBB113_1525
; %bb.1524:
	v_cmp_ne_u16_e64 s10, 11, v15
	s_mov_b32 s11, -1
                                        ; implicit-def: $vgpr9_vgpr10
.LBB113_1525:
	s_delay_alu instid0(VALU_DEP_1)
	s_and_b32 vcc_lo, exec_lo, s10
	s_cbranch_vccnz .LBB113_1541
; %bb.1526:
	s_and_not1_b32 vcc_lo, exec_lo, s11
	s_cbranch_vccnz .LBB113_1528
.LBB113_1527:
	global_load_u8 v9, v[7:8], off
	s_mov_b32 s0, -1
	s_waitcnt vmcnt(0)
	v_cmp_ne_u16_e32 vcc_lo, 0, v9
	v_mov_b32_e32 v9, 0
	v_cndmask_b32_e64 v10, 0, 0x3ff00000, vcc_lo
.LBB113_1528:
.LBB113_1529:
	s_and_not1_b32 vcc_lo, exec_lo, s0
	s_cbranch_vccnz .LBB113_2094
.LBB113_1530:
	v_cmp_gt_i16_e32 vcc_lo, 11, v15
	v_add_co_u32 v13, s0, s6, v3
	s_delay_alu instid0(VALU_DEP_1)
	v_add_co_ci_u32_e64 v14, null, s7, 0, s0
	s_mov_b32 s0, 0
	s_cbranch_vccnz .LBB113_1537
; %bb.1531:
	v_cmp_lt_i16_e32 vcc_lo, 25, v15
	s_mov_b32 s7, 0
	s_cbranch_vccz .LBB113_1538
; %bb.1532:
	v_cmp_lt_i16_e32 vcc_lo, 28, v15
	s_cbranch_vccz .LBB113_1539
; %bb.1533:
	v_cmp_lt_i16_e32 vcc_lo, 43, v15
	;; [unrolled: 3-line block ×3, first 2 shown]
	s_cbranch_vccz .LBB113_1543
; %bb.1535:
	v_cmp_eq_u16_e32 vcc_lo, 46, v15
	s_mov_b32 s1, 0
	s_cbranch_vccz .LBB113_1546
; %bb.1536:
	global_load_b32 v3, v[13:14], off
	s_mov_b32 s6, 0
	s_mov_b32 s0, -1
	s_waitcnt vmcnt(0)
	v_lshlrev_b32_e32 v3, 16, v3
	s_delay_alu instid0(VALU_DEP_1)
	v_cvt_f64_f32_e32 v[7:8], v3
	s_branch .LBB113_1548
.LBB113_1537:
	s_mov_b32 s1, -1
                                        ; implicit-def: $vgpr7_vgpr8
	s_branch .LBB113_1614
.LBB113_1538:
	s_mov_b32 s1, -1
	s_mov_b32 s6, 0
                                        ; implicit-def: $vgpr7_vgpr8
	s_branch .LBB113_1579
.LBB113_1539:
	s_mov_b32 s1, -1
	s_mov_b32 s6, 0
                                        ; implicit-def: $vgpr7_vgpr8
	s_branch .LBB113_1558
.LBB113_1540:
	s_mov_b32 s1, -1
	s_mov_b32 s6, 0
                                        ; implicit-def: $vgpr7_vgpr8
	s_branch .LBB113_1553
.LBB113_1541:
	s_cbranch_execnz .LBB113_1544
; %bb.1542:
	s_or_b32 s3, s3, exec_lo
                                        ; implicit-def: $vgpr9_vgpr10
	s_cbranch_execz .LBB113_1527
	s_branch .LBB113_1528
.LBB113_1543:
	s_mov_b32 s1, -1
	s_mov_b32 s6, 0
	s_branch .LBB113_1547
.LBB113_1544:
	s_trap 2
	s_sendmsg_rtn_b32 s0, sendmsg(MSG_RTN_GET_DOORBELL)
	s_mov_b32 ttmp2, m0
	s_waitcnt lgkmcnt(0)
	s_and_b32 s0, s0, 0x3ff
	s_delay_alu instid0(SALU_CYCLE_1) | instskip(NEXT) | instid1(SALU_CYCLE_1)
	s_bitset1_b32 s0, 10
	s_mov_b32 m0, s0
	s_sendmsg sendmsg(MSG_INTERRUPT)
	s_mov_b32 m0, ttmp2
.LBB113_1545:                           ; =>This Inner Loop Header: Depth=1
	s_sethalt 5
	s_branch .LBB113_1545
.LBB113_1546:
	s_mov_b32 s6, -1
.LBB113_1547:
                                        ; implicit-def: $vgpr7_vgpr8
.LBB113_1548:
	s_and_b32 vcc_lo, exec_lo, s1
	s_cbranch_vccz .LBB113_1552
; %bb.1549:
	v_cmp_eq_u16_e32 vcc_lo, 44, v15
	s_cbranch_vccz .LBB113_1551
; %bb.1550:
	global_load_u8 v3, v[13:14], off
	s_mov_b32 s6, 0
	s_mov_b32 s0, -1
	s_waitcnt vmcnt(0)
	v_cmp_ne_u32_e32 vcc_lo, 0xff, v3
	v_lshlrev_b32_e32 v7, 23, v3
	s_delay_alu instid0(VALU_DEP_1) | instskip(NEXT) | instid1(VALU_DEP_1)
	v_cvt_f64_f32_e32 v[7:8], v7
	v_cndmask_b32_e32 v8, 0x7ff80000, v8, vcc_lo
	s_delay_alu instid0(VALU_DEP_2) | instskip(SKIP_1) | instid1(VALU_DEP_3)
	v_cndmask_b32_e32 v7, 0x20000000, v7, vcc_lo
	v_cmp_ne_u32_e32 vcc_lo, 0, v3
	v_cndmask_b32_e32 v8, 0x38000000, v8, vcc_lo
	s_delay_alu instid0(VALU_DEP_3)
	v_cndmask_b32_e32 v7, 0, v7, vcc_lo
	s_branch .LBB113_1552
.LBB113_1551:
	s_mov_b32 s6, -1
                                        ; implicit-def: $vgpr7_vgpr8
.LBB113_1552:
	s_mov_b32 s1, 0
.LBB113_1553:
	s_delay_alu instid0(SALU_CYCLE_1)
	s_and_b32 vcc_lo, exec_lo, s1
	s_cbranch_vccz .LBB113_1557
; %bb.1554:
	v_cmp_eq_u16_e32 vcc_lo, 29, v15
	s_cbranch_vccz .LBB113_1556
; %bb.1555:
	global_load_b64 v[7:8], v[13:14], off
	s_mov_b32 s6, 0
	s_mov_b32 s0, -1
	s_mov_b32 s1, 0
	s_waitcnt vmcnt(0)
	v_cvt_f64_u32_e32 v[16:17], v8
	v_cvt_f64_u32_e32 v[7:8], v7
	s_delay_alu instid0(VALU_DEP_2) | instskip(NEXT) | instid1(VALU_DEP_1)
	v_ldexp_f64 v[16:17], v[16:17], 32
	v_add_f64 v[7:8], v[16:17], v[7:8]
	s_branch .LBB113_1558
.LBB113_1556:
	s_mov_b32 s6, -1
                                        ; implicit-def: $vgpr7_vgpr8
.LBB113_1557:
	s_mov_b32 s1, 0
.LBB113_1558:
	s_delay_alu instid0(SALU_CYCLE_1)
	s_and_b32 vcc_lo, exec_lo, s1
	s_cbranch_vccz .LBB113_1578
; %bb.1559:
	v_cmp_gt_i16_e32 vcc_lo, 27, v15
	s_cbranch_vccnz .LBB113_1562
; %bb.1560:
	v_cmp_lt_i16_e32 vcc_lo, 27, v15
	s_cbranch_vccz .LBB113_1563
; %bb.1561:
	global_load_b32 v3, v[13:14], off
	s_mov_b32 s0, 0
	s_waitcnt vmcnt(0)
	v_cvt_f64_u32_e32 v[7:8], v3
	s_branch .LBB113_1564
.LBB113_1562:
	s_mov_b32 s0, -1
                                        ; implicit-def: $vgpr7_vgpr8
	s_branch .LBB113_1567
.LBB113_1563:
	s_mov_b32 s0, -1
                                        ; implicit-def: $vgpr7_vgpr8
.LBB113_1564:
	s_delay_alu instid0(SALU_CYCLE_1)
	s_and_not1_b32 vcc_lo, exec_lo, s0
	s_cbranch_vccnz .LBB113_1566
; %bb.1565:
	global_load_u16 v3, v[13:14], off
	s_waitcnt vmcnt(0)
	v_cvt_f64_u32_e32 v[7:8], v3
.LBB113_1566:
	s_mov_b32 s0, 0
.LBB113_1567:
	s_delay_alu instid0(SALU_CYCLE_1)
	s_and_not1_b32 vcc_lo, exec_lo, s0
	s_cbranch_vccnz .LBB113_1577
; %bb.1568:
	global_load_u8 v3, v[13:14], off
	s_mov_b32 s10, 0
	s_mov_b32 s11, exec_lo
                                        ; implicit-def: $sgpr0_sgpr1
	s_waitcnt vmcnt(0)
	v_cmpx_lt_i16_e32 0x7f, v3
	s_xor_b32 s11, exec_lo, s11
	s_cbranch_execz .LBB113_1572
; %bb.1569:
	s_mov_b32 s12, -1
	s_mov_b32 s10, exec_lo
                                        ; implicit-def: $sgpr0_sgpr1
	v_cmpx_eq_u16_e32 0x80, v3
; %bb.1570:
	s_mov_b32 s1, 0x7ff80000
	s_brev_b32 s0, 4
	s_xor_b32 s12, exec_lo, -1
; %bb.1571:
	s_or_b32 exec_lo, exec_lo, s10
	s_delay_alu instid0(SALU_CYCLE_1)
	s_and_b32 s10, s12, exec_lo
.LBB113_1572:
	s_or_saveexec_b32 s11, s11
	v_dual_mov_b32 v8, s1 :: v_dual_mov_b32 v7, s0
	s_xor_b32 exec_lo, exec_lo, s11
; %bb.1573:
	v_cmp_ne_u16_e32 vcc_lo, 0, v3
	v_mov_b32_e32 v7, 0
	v_mov_b32_e32 v8, 0
	s_and_not1_b32 s0, s10, exec_lo
	s_and_b32 s1, vcc_lo, exec_lo
	s_delay_alu instid0(SALU_CYCLE_1)
	s_or_b32 s10, s0, s1
; %bb.1574:
	s_or_b32 exec_lo, exec_lo, s11
	s_and_saveexec_b32 s0, s10
	s_cbranch_execz .LBB113_1576
; %bb.1575:
	v_and_b32_e32 v7, 0xffff, v3
	v_lshlrev_b32_e32 v3, 24, v3
	s_delay_alu instid0(VALU_DEP_2) | instskip(NEXT) | instid1(VALU_DEP_2)
	v_and_b32_e32 v8, 7, v7
	v_and_b32_e32 v3, 0x80000000, v3
	s_delay_alu instid0(VALU_DEP_2) | instskip(NEXT) | instid1(VALU_DEP_1)
	v_clz_i32_u32_e32 v16, v8
	v_min_u32_e32 v16, 32, v16
	s_delay_alu instid0(VALU_DEP_1) | instskip(SKIP_1) | instid1(VALU_DEP_2)
	v_subrev_nc_u32_e32 v17, 28, v16
	v_sub_nc_u32_e32 v16, 29, v16
	v_lshlrev_b32_e32 v17, v17, v7
	v_bfe_u32 v7, v7, 3, 4
	s_delay_alu instid0(VALU_DEP_2) | instskip(NEXT) | instid1(VALU_DEP_2)
	v_and_b32_e32 v17, 7, v17
	v_cmp_eq_u32_e32 vcc_lo, 0, v7
	s_delay_alu instid0(VALU_DEP_2) | instskip(NEXT) | instid1(VALU_DEP_1)
	v_dual_cndmask_b32 v7, v7, v16 :: v_dual_cndmask_b32 v8, v8, v17
	v_lshl_add_u32 v7, v7, 23, 0x3b800000
	s_delay_alu instid0(VALU_DEP_2) | instskip(NEXT) | instid1(VALU_DEP_1)
	v_lshlrev_b32_e32 v8, 20, v8
	v_or3_b32 v3, v3, v7, v8
	s_delay_alu instid0(VALU_DEP_1)
	v_cvt_f64_f32_e32 v[7:8], v3
.LBB113_1576:
	s_or_b32 exec_lo, exec_lo, s0
.LBB113_1577:
	s_mov_b32 s0, -1
.LBB113_1578:
	s_mov_b32 s1, 0
.LBB113_1579:
	s_delay_alu instid0(SALU_CYCLE_1)
	s_and_b32 vcc_lo, exec_lo, s1
	s_cbranch_vccz .LBB113_1610
; %bb.1580:
	v_cmp_lt_i16_e32 vcc_lo, 22, v15
	s_cbranch_vccz .LBB113_1592
; %bb.1581:
	v_cmp_gt_i16_e32 vcc_lo, 24, v15
	s_cbranch_vccnz .LBB113_1593
; %bb.1582:
	v_cmp_lt_i16_e32 vcc_lo, 24, v15
	s_cbranch_vccz .LBB113_1594
; %bb.1583:
	global_load_u8 v3, v[13:14], off
	s_mov_b32 s10, exec_lo
                                        ; implicit-def: $sgpr0_sgpr1
	s_waitcnt vmcnt(0)
	v_cmpx_lt_i16_e32 0x7f, v3
	s_xor_b32 s10, exec_lo, s10
	s_cbranch_execz .LBB113_1587
; %bb.1584:
	s_mov_b32 s11, -1
	s_mov_b32 s7, exec_lo
                                        ; implicit-def: $sgpr0_sgpr1
	v_cmpx_eq_u16_e32 0x80, v3
; %bb.1585:
	s_mov_b32 s1, 0x7ff80000
	s_brev_b32 s0, 4
	s_xor_b32 s11, exec_lo, -1
; %bb.1586:
	s_or_b32 exec_lo, exec_lo, s7
	s_delay_alu instid0(SALU_CYCLE_1)
	s_and_b32 s7, s11, exec_lo
.LBB113_1587:
	s_or_saveexec_b32 s10, s10
	v_dual_mov_b32 v8, s1 :: v_dual_mov_b32 v7, s0
	s_xor_b32 exec_lo, exec_lo, s10
; %bb.1588:
	v_cmp_ne_u16_e32 vcc_lo, 0, v3
	v_mov_b32_e32 v7, 0
	v_mov_b32_e32 v8, 0
	s_and_not1_b32 s0, s7, exec_lo
	s_and_b32 s1, vcc_lo, exec_lo
	s_delay_alu instid0(SALU_CYCLE_1)
	s_or_b32 s7, s0, s1
; %bb.1589:
	s_or_b32 exec_lo, exec_lo, s10
	s_and_saveexec_b32 s0, s7
	s_cbranch_execz .LBB113_1591
; %bb.1590:
	v_and_b32_e32 v7, 0xffff, v3
	v_lshlrev_b32_e32 v3, 24, v3
	s_delay_alu instid0(VALU_DEP_2) | instskip(NEXT) | instid1(VALU_DEP_2)
	v_and_b32_e32 v8, 3, v7
	v_and_b32_e32 v3, 0x80000000, v3
	s_delay_alu instid0(VALU_DEP_2) | instskip(NEXT) | instid1(VALU_DEP_1)
	v_clz_i32_u32_e32 v16, v8
	v_min_u32_e32 v16, 32, v16
	s_delay_alu instid0(VALU_DEP_1) | instskip(SKIP_1) | instid1(VALU_DEP_2)
	v_subrev_nc_u32_e32 v17, 29, v16
	v_sub_nc_u32_e32 v16, 30, v16
	v_lshlrev_b32_e32 v17, v17, v7
	v_bfe_u32 v7, v7, 2, 5
	s_delay_alu instid0(VALU_DEP_2) | instskip(NEXT) | instid1(VALU_DEP_2)
	v_and_b32_e32 v17, 3, v17
	v_cmp_eq_u32_e32 vcc_lo, 0, v7
	s_delay_alu instid0(VALU_DEP_2) | instskip(NEXT) | instid1(VALU_DEP_1)
	v_dual_cndmask_b32 v7, v7, v16 :: v_dual_cndmask_b32 v8, v8, v17
	v_lshl_add_u32 v7, v7, 23, 0x37800000
	s_delay_alu instid0(VALU_DEP_2) | instskip(NEXT) | instid1(VALU_DEP_1)
	v_lshlrev_b32_e32 v8, 21, v8
	v_or3_b32 v3, v3, v7, v8
	s_delay_alu instid0(VALU_DEP_1)
	v_cvt_f64_f32_e32 v[7:8], v3
.LBB113_1591:
	s_or_b32 exec_lo, exec_lo, s0
	s_mov_b32 s0, 0
	s_branch .LBB113_1595
.LBB113_1592:
	s_mov_b32 s1, -1
                                        ; implicit-def: $vgpr7_vgpr8
	s_branch .LBB113_1601
.LBB113_1593:
	s_mov_b32 s0, -1
                                        ; implicit-def: $vgpr7_vgpr8
	s_branch .LBB113_1598
.LBB113_1594:
	s_mov_b32 s0, -1
                                        ; implicit-def: $vgpr7_vgpr8
.LBB113_1595:
	s_delay_alu instid0(SALU_CYCLE_1)
	s_and_b32 vcc_lo, exec_lo, s0
	s_cbranch_vccz .LBB113_1597
; %bb.1596:
	global_load_u8 v3, v[13:14], off
	s_waitcnt vmcnt(0)
	v_lshlrev_b32_e32 v3, 24, v3
	s_delay_alu instid0(VALU_DEP_1) | instskip(NEXT) | instid1(VALU_DEP_1)
	v_and_b32_e32 v7, 0x7f000000, v3
	v_clz_i32_u32_e32 v8, v7
	v_cmp_ne_u32_e32 vcc_lo, 0, v7
	v_add_nc_u32_e32 v17, 0x1000000, v7
	s_delay_alu instid0(VALU_DEP_3) | instskip(NEXT) | instid1(VALU_DEP_1)
	v_min_u32_e32 v8, 32, v8
	v_sub_nc_u32_e64 v8, v8, 4 clamp
	s_delay_alu instid0(VALU_DEP_1) | instskip(SKIP_1) | instid1(VALU_DEP_2)
	v_lshlrev_b32_e32 v16, v8, v7
	v_lshlrev_b32_e32 v8, 23, v8
	v_lshrrev_b32_e32 v16, 4, v16
	s_delay_alu instid0(VALU_DEP_1) | instskip(SKIP_1) | instid1(VALU_DEP_2)
	v_sub_nc_u32_e32 v8, v16, v8
	v_ashrrev_i32_e32 v16, 8, v17
	v_add_nc_u32_e32 v8, 0x3c000000, v8
	s_delay_alu instid0(VALU_DEP_1) | instskip(NEXT) | instid1(VALU_DEP_1)
	v_and_or_b32 v8, 0x7f800000, v16, v8
	v_cndmask_b32_e32 v7, 0, v8, vcc_lo
	s_delay_alu instid0(VALU_DEP_1) | instskip(NEXT) | instid1(VALU_DEP_1)
	v_and_or_b32 v3, 0x80000000, v3, v7
	v_cvt_f64_f32_e32 v[7:8], v3
.LBB113_1597:
	s_mov_b32 s0, 0
.LBB113_1598:
	s_delay_alu instid0(SALU_CYCLE_1)
	s_and_not1_b32 vcc_lo, exec_lo, s0
	s_cbranch_vccnz .LBB113_1600
; %bb.1599:
	global_load_u8 v3, v[13:14], off
	s_waitcnt vmcnt(0)
	v_lshlrev_b32_e32 v7, 25, v3
	v_lshlrev_b16 v3, 8, v3
	s_delay_alu instid0(VALU_DEP_1) | instskip(SKIP_1) | instid1(VALU_DEP_2)
	v_and_or_b32 v16, 0x7f00, v3, 0.5
	v_bfe_i32 v3, v3, 0, 16
	v_add_f32_e32 v16, -0.5, v16
	v_lshrrev_b32_e32 v8, 4, v7
	v_cmp_gt_u32_e32 vcc_lo, 0x8000000, v7
	s_delay_alu instid0(VALU_DEP_2) | instskip(NEXT) | instid1(VALU_DEP_1)
	v_or_b32_e32 v8, 0x70000000, v8
	v_mul_f32_e32 v8, 0x7800000, v8
	s_delay_alu instid0(VALU_DEP_1) | instskip(NEXT) | instid1(VALU_DEP_1)
	v_cndmask_b32_e32 v7, v8, v16, vcc_lo
	v_and_or_b32 v3, 0x80000000, v3, v7
	s_delay_alu instid0(VALU_DEP_1)
	v_cvt_f64_f32_e32 v[7:8], v3
.LBB113_1600:
	s_mov_b32 s1, 0
	s_mov_b32 s0, -1
.LBB113_1601:
	s_and_not1_b32 vcc_lo, exec_lo, s1
	s_mov_b32 s7, 0
	s_cbranch_vccnz .LBB113_1610
; %bb.1602:
	v_cmp_lt_i16_e32 vcc_lo, 14, v15
	s_cbranch_vccz .LBB113_1605
; %bb.1603:
	v_cmp_eq_u16_e32 vcc_lo, 15, v15
	s_cbranch_vccz .LBB113_1606
; %bb.1604:
	global_load_u16 v3, v[13:14], off
	s_mov_b32 s6, 0
	s_mov_b32 s0, -1
	s_waitcnt vmcnt(0)
	v_lshlrev_b32_e32 v3, 16, v3
	s_delay_alu instid0(VALU_DEP_1)
	v_cvt_f64_f32_e32 v[7:8], v3
	s_branch .LBB113_1607
.LBB113_1605:
	s_mov_b32 s1, -1
                                        ; implicit-def: $vgpr7_vgpr8
	s_branch .LBB113_1608
.LBB113_1606:
	s_mov_b32 s6, -1
                                        ; implicit-def: $vgpr7_vgpr8
.LBB113_1607:
	s_mov_b32 s1, 0
.LBB113_1608:
	s_delay_alu instid0(SALU_CYCLE_1)
	s_and_b32 vcc_lo, exec_lo, s1
	s_cbranch_vccz .LBB113_1610
; %bb.1609:
	v_cmp_ne_u16_e64 s6, 11, v15
	s_mov_b32 s7, -1
                                        ; implicit-def: $vgpr7_vgpr8
.LBB113_1610:
	s_delay_alu instid0(VALU_DEP_1)
	s_and_b32 vcc_lo, exec_lo, s6
	s_cbranch_vccnz .LBB113_2139
; %bb.1611:
	s_and_not1_b32 vcc_lo, exec_lo, s7
	s_cbranch_vccnz .LBB113_1613
.LBB113_1612:
	global_load_u8 v3, v[13:14], off
	v_mov_b32_e32 v7, 0
	s_mov_b32 s0, -1
	s_waitcnt vmcnt(0)
	v_cmp_ne_u16_e32 vcc_lo, 0, v3
	v_cndmask_b32_e64 v8, 0, 0x3ff00000, vcc_lo
.LBB113_1613:
	s_mov_b32 s1, 0
.LBB113_1614:
	s_delay_alu instid0(SALU_CYCLE_1)
	s_and_b32 vcc_lo, exec_lo, s1
	s_cbranch_vccz .LBB113_1663
; %bb.1615:
	v_cmp_gt_i16_e32 vcc_lo, 5, v15
	s_cbranch_vccnz .LBB113_1620
; %bb.1616:
	v_cmp_gt_i16_e32 vcc_lo, 8, v15
	s_cbranch_vccnz .LBB113_1621
; %bb.1617:
	v_cmp_gt_i16_e32 vcc_lo, 9, v15
	s_cbranch_vccnz .LBB113_1622
; %bb.1618:
	v_cmp_lt_i16_e32 vcc_lo, 9, v15
	s_cbranch_vccz .LBB113_1623
; %bb.1619:
	global_load_b64 v[7:8], v[13:14], off
	s_mov_b32 s0, 0
	s_branch .LBB113_1624
.LBB113_1620:
	s_mov_b32 s0, -1
                                        ; implicit-def: $vgpr7_vgpr8
	s_branch .LBB113_1642
.LBB113_1621:
	s_mov_b32 s0, -1
                                        ; implicit-def: $vgpr7_vgpr8
	s_branch .LBB113_1630
.LBB113_1622:
	s_mov_b32 s0, -1
                                        ; implicit-def: $vgpr7_vgpr8
	s_branch .LBB113_1627
.LBB113_1623:
	s_mov_b32 s0, -1
                                        ; implicit-def: $vgpr7_vgpr8
.LBB113_1624:
	s_delay_alu instid0(SALU_CYCLE_1)
	s_and_not1_b32 vcc_lo, exec_lo, s0
	s_cbranch_vccnz .LBB113_1626
; %bb.1625:
	global_load_b32 v3, v[13:14], off
	s_waitcnt vmcnt(0)
	v_cvt_f64_f32_e32 v[7:8], v3
.LBB113_1626:
	s_mov_b32 s0, 0
.LBB113_1627:
	s_delay_alu instid0(SALU_CYCLE_1)
	s_and_not1_b32 vcc_lo, exec_lo, s0
	s_cbranch_vccnz .LBB113_1629
; %bb.1628:
	global_load_b32 v3, v[13:14], off
	s_waitcnt vmcnt(0)
	v_cvt_f32_f16_e32 v3, v3
	s_delay_alu instid0(VALU_DEP_1)
	v_cvt_f64_f32_e32 v[7:8], v3
.LBB113_1629:
	s_mov_b32 s0, 0
.LBB113_1630:
	s_delay_alu instid0(SALU_CYCLE_1)
	s_and_not1_b32 vcc_lo, exec_lo, s0
	s_cbranch_vccnz .LBB113_1641
; %bb.1631:
	v_cmp_gt_i16_e32 vcc_lo, 6, v15
	s_cbranch_vccnz .LBB113_1634
; %bb.1632:
	v_cmp_lt_i16_e32 vcc_lo, 6, v15
	s_cbranch_vccz .LBB113_1635
; %bb.1633:
	global_load_b64 v[7:8], v[13:14], off
	s_mov_b32 s0, 0
	s_branch .LBB113_1636
.LBB113_1634:
	s_mov_b32 s0, -1
                                        ; implicit-def: $vgpr7_vgpr8
	s_branch .LBB113_1639
.LBB113_1635:
	s_mov_b32 s0, -1
                                        ; implicit-def: $vgpr7_vgpr8
.LBB113_1636:
	s_delay_alu instid0(SALU_CYCLE_1)
	s_and_not1_b32 vcc_lo, exec_lo, s0
	s_cbranch_vccnz .LBB113_1638
; %bb.1637:
	global_load_b32 v3, v[13:14], off
	s_waitcnt vmcnt(0)
	v_cvt_f64_f32_e32 v[7:8], v3
.LBB113_1638:
	s_mov_b32 s0, 0
.LBB113_1639:
	s_delay_alu instid0(SALU_CYCLE_1)
	s_and_not1_b32 vcc_lo, exec_lo, s0
	s_cbranch_vccnz .LBB113_1641
; %bb.1640:
	global_load_u16 v3, v[13:14], off
	s_waitcnt vmcnt(0)
	v_cvt_f32_f16_e32 v3, v3
	s_delay_alu instid0(VALU_DEP_1)
	v_cvt_f64_f32_e32 v[7:8], v3
.LBB113_1641:
	s_mov_b32 s0, 0
.LBB113_1642:
	s_delay_alu instid0(SALU_CYCLE_1)
	s_and_not1_b32 vcc_lo, exec_lo, s0
	s_cbranch_vccnz .LBB113_1662
; %bb.1643:
	v_cmp_gt_i16_e32 vcc_lo, 2, v15
	s_cbranch_vccnz .LBB113_1647
; %bb.1644:
	v_cmp_gt_i16_e32 vcc_lo, 3, v15
	s_cbranch_vccnz .LBB113_1648
; %bb.1645:
	v_cmp_lt_i16_e32 vcc_lo, 3, v15
	s_cbranch_vccz .LBB113_1649
; %bb.1646:
	global_load_b64 v[7:8], v[13:14], off
	s_mov_b32 s0, 0
	s_waitcnt vmcnt(0)
	v_cvt_f64_i32_e32 v[16:17], v8
	v_cvt_f64_u32_e32 v[7:8], v7
	s_delay_alu instid0(VALU_DEP_2) | instskip(NEXT) | instid1(VALU_DEP_1)
	v_ldexp_f64 v[16:17], v[16:17], 32
	v_add_f64 v[7:8], v[16:17], v[7:8]
	s_branch .LBB113_1650
.LBB113_1647:
	s_mov_b32 s0, -1
                                        ; implicit-def: $vgpr7_vgpr8
	s_branch .LBB113_1656
.LBB113_1648:
	s_mov_b32 s0, -1
                                        ; implicit-def: $vgpr7_vgpr8
	s_branch .LBB113_1653
.LBB113_1649:
	s_mov_b32 s0, -1
                                        ; implicit-def: $vgpr7_vgpr8
.LBB113_1650:
	s_delay_alu instid0(SALU_CYCLE_1)
	s_and_not1_b32 vcc_lo, exec_lo, s0
	s_cbranch_vccnz .LBB113_1652
; %bb.1651:
	global_load_b32 v3, v[13:14], off
	s_waitcnt vmcnt(0)
	v_cvt_f64_i32_e32 v[7:8], v3
.LBB113_1652:
	s_mov_b32 s0, 0
.LBB113_1653:
	s_delay_alu instid0(SALU_CYCLE_1)
	s_and_not1_b32 vcc_lo, exec_lo, s0
	s_cbranch_vccnz .LBB113_1655
; %bb.1654:
	global_load_i16 v3, v[13:14], off
	s_waitcnt vmcnt(0)
	v_cvt_f64_i32_e32 v[7:8], v3
.LBB113_1655:
	s_mov_b32 s0, 0
.LBB113_1656:
	s_delay_alu instid0(SALU_CYCLE_1)
	s_and_not1_b32 vcc_lo, exec_lo, s0
	s_cbranch_vccnz .LBB113_1662
; %bb.1657:
	v_cmp_lt_i16_e32 vcc_lo, 0, v15
	s_mov_b32 s0, 0
	s_cbranch_vccz .LBB113_1659
; %bb.1658:
	global_load_i8 v3, v[13:14], off
	s_waitcnt vmcnt(0)
	v_cvt_f64_i32_e32 v[7:8], v3
	s_branch .LBB113_1660
.LBB113_1659:
	s_mov_b32 s0, -1
                                        ; implicit-def: $vgpr7_vgpr8
.LBB113_1660:
	s_delay_alu instid0(SALU_CYCLE_1)
	s_and_not1_b32 vcc_lo, exec_lo, s0
	s_cbranch_vccnz .LBB113_1662
; %bb.1661:
	global_load_u8 v3, v[13:14], off
	s_waitcnt vmcnt(0)
	v_cvt_f64_u32_e32 v[7:8], v3
.LBB113_1662:
	s_mov_b32 s0, -1
.LBB113_1663:
	s_delay_alu instid0(SALU_CYCLE_1)
	s_and_not1_b32 vcc_lo, exec_lo, s0
	s_cbranch_vccnz .LBB113_2094
; %bb.1664:
	s_mov_b32 s0, 0x652b82fe
	s_mov_b32 s1, 0x3ff71547
	;; [unrolled: 1-line block ×3, first 2 shown]
	s_waitcnt vmcnt(0)
	v_mul_f64 v[13:14], v[1:2], s[0:1]
	s_mov_b32 s1, 0xbfe62e42
	s_mov_b32 s0, 0xfefa39ef
	;; [unrolled: 1-line block ×5, first 2 shown]
	s_lshr_b32 s2, s2, 8
	s_delay_alu instid0(VALU_DEP_1) | instskip(NEXT) | instid1(VALU_DEP_1)
	v_rndne_f64_e32 v[13:14], v[13:14]
	v_fma_f64 v[15:16], v[13:14], s[0:1], v[1:2]
	v_cvt_i32_f64_e32 v3, v[13:14]
	v_cmp_eq_f64_e32 vcc_lo, 0x40900000, v[13:14]
	s_mov_b32 s1, 0x40862e42
	s_delay_alu instid0(SALU_CYCLE_1)
	v_cmp_nlt_f64_e64 s0, s[0:1], v[1:2]
	v_cmp_ngt_f64_e64 s1, 0xc0428000, v[1:2]
	v_fma_f64 v[15:16], v[13:14], s[6:7], v[15:16]
	s_mov_b32 s6, 0x2a1b768b
	s_mov_b32 s7, 0x3e5af4eb
	v_cndmask_b32_e64 v3, v3, 0x3ff, vcc_lo
	s_delay_alu instid0(VALU_DEP_1) | instskip(NEXT) | instid1(VALU_DEP_3)
	v_ldexp_f64 v[13:14], 1.0, v3
	v_fma_f64 v[17:18], v[15:16], s[10:11], s[6:7]
	s_mov_b32 s6, 0xe0ac05b
	s_mov_b32 s7, 0x3e927e50
	s_delay_alu instid0(VALU_DEP_2) | instskip(NEXT) | instid1(VALU_DEP_2)
	v_add_f64 v[19:20], v[13:14], -1.0
	v_fma_f64 v[17:18], v[15:16], v[17:18], s[6:7]
	s_mov_b32 s6, 0x1b889c29
	s_mov_b32 s7, 0x3ec71de0
	s_delay_alu instid0(VALU_DEP_1) | instid1(SALU_CYCLE_1)
	v_fma_f64 v[17:18], v[15:16], v[17:18], s[6:7]
	s_mov_b32 s6, 0x197bcfd8
	s_mov_b32 s7, 0x3efa01a0
	s_delay_alu instid0(VALU_DEP_1) | instid1(SALU_CYCLE_1)
	;; [unrolled: 4-line block ×7, first 2 shown]
	v_fma_f64 v[17:18], v[15:16], v[17:18], s[6:7]
	s_mov_b32 s6, 0
	s_delay_alu instid0(VALU_DEP_1) | instskip(NEXT) | instid1(VALU_DEP_1)
	v_fma_f64 v[17:18], v[15:16], v[17:18], 0.5
	v_mul_f64 v[17:18], v[15:16], v[17:18]
	s_delay_alu instid0(VALU_DEP_1) | instskip(NEXT) | instid1(VALU_DEP_1)
	v_fma_f64 v[15:16], v[15:16], v[17:18], v[15:16]
	v_fma_f64 v[13:14], v[13:14], v[15:16], v[19:20]
	v_and_b32_e64 v15, 0xff, s2
	s_delay_alu instid0(VALU_DEP_1) | instskip(NEXT) | instid1(VALU_DEP_3)
	v_cmp_gt_i16_e64 s2, 11, v15
	v_add_f64 v[16:17], v[13:14], v[13:14]
	s_delay_alu instid0(VALU_DEP_1) | instskip(SKIP_2) | instid1(VALU_DEP_2)
	v_dual_cndmask_b32 v3, v14, v17 :: v_dual_cndmask_b32 v2, v13, v16
	v_add_co_u32 v13, s7, s4, v0
	s_and_b32 vcc_lo, s1, s0
	v_cndmask_b32_e64 v3, 0x7ff00000, v3, s0
	v_add_co_ci_u32_e64 v14, null, s5, 0, s7
	v_cndmask_b32_e32 v0, 0, v2, vcc_lo
	s_and_b32 vcc_lo, exec_lo, s2
	s_delay_alu instid0(VALU_DEP_3)
	v_cndmask_b32_e64 v1, 0xbff00000, v3, s1
	s_mov_b32 s0, -1
	s_cbranch_vccnz .LBB113_1742
; %bb.1665:
	v_cmp_lt_i16_e32 vcc_lo, 25, v15
	s_mov_b32 s2, -1
	s_mov_b32 s1, 0
	s_mov_b32 s0, 0
	s_cbranch_vccz .LBB113_1698
; %bb.1666:
	v_cmp_lt_i16_e32 vcc_lo, 28, v15
	s_cbranch_vccz .LBB113_1681
; %bb.1667:
	v_cmp_lt_i16_e32 vcc_lo, 43, v15
	;; [unrolled: 3-line block ×3, first 2 shown]
	s_cbranch_vccz .LBB113_1671
; %bb.1669:
	v_cmp_eq_u16_e32 vcc_lo, 46, v15
	s_mov_b32 s0, -1
	s_mov_b32 s2, 0
	s_cbranch_vccz .LBB113_1671
; %bb.1670:
	v_cvt_f32_f64_e32 v2, v[0:1]
	s_mov_b32 s0, 0
	s_mov_b32 s6, -1
	s_delay_alu instid0(VALU_DEP_1) | instskip(SKIP_1) | instid1(VALU_DEP_2)
	v_bfe_u32 v3, v2, 16, 1
	v_cmp_o_f32_e32 vcc_lo, v2, v2
	v_add3_u32 v3, v2, v3, 0x7fff
	s_delay_alu instid0(VALU_DEP_1) | instskip(NEXT) | instid1(VALU_DEP_1)
	v_lshrrev_b32_e32 v3, 16, v3
	v_cndmask_b32_e32 v2, 0x7fc0, v3, vcc_lo
	global_store_b32 v[13:14], v2, off
.LBB113_1671:
	s_and_b32 vcc_lo, exec_lo, s2
	s_cbranch_vccz .LBB113_1676
; %bb.1672:
	v_cmp_eq_u16_e32 vcc_lo, 44, v15
	s_mov_b32 s0, -1
	s_cbranch_vccz .LBB113_1676
; %bb.1673:
	v_cvt_f32_f64_e32 v2, v[0:1]
	v_mov_b32_e32 v3, 0xff
	s_mov_b32 s2, exec_lo
	s_delay_alu instid0(VALU_DEP_2) | instskip(NEXT) | instid1(VALU_DEP_1)
	v_bfe_u32 v16, v2, 23, 8
	v_cmpx_ne_u32_e32 0xff, v16
; %bb.1674:
	v_and_b32_e32 v3, 0x400000, v2
	v_and_or_b32 v16, 0x3fffff, v2, v16
	v_lshrrev_b32_e32 v2, 23, v2
	s_delay_alu instid0(VALU_DEP_3) | instskip(NEXT) | instid1(VALU_DEP_3)
	v_cmp_ne_u32_e32 vcc_lo, 0, v3
	v_cmp_ne_u32_e64 s0, 0, v16
	s_delay_alu instid0(VALU_DEP_1) | instskip(NEXT) | instid1(SALU_CYCLE_1)
	s_and_b32 s0, vcc_lo, s0
	v_cndmask_b32_e64 v3, 0, 1, s0
	s_delay_alu instid0(VALU_DEP_1)
	v_add_nc_u32_e32 v3, v2, v3
; %bb.1675:
	s_or_b32 exec_lo, exec_lo, s2
	s_mov_b32 s0, 0
	s_mov_b32 s6, -1
	global_store_b8 v[13:14], v3, off
.LBB113_1676:
	s_mov_b32 s2, 0
.LBB113_1677:
	s_delay_alu instid0(SALU_CYCLE_1)
	s_and_b32 vcc_lo, exec_lo, s2
	s_cbranch_vccz .LBB113_1680
; %bb.1678:
	v_cmp_eq_u16_e32 vcc_lo, 29, v15
	s_mov_b32 s0, -1
	s_cbranch_vccz .LBB113_1680
; %bb.1679:
	v_trunc_f64_e32 v[2:3], v[0:1]
	s_mov_b32 s0, 0
	s_mov_b32 s6, -1
	s_delay_alu instid0(VALU_DEP_1) | instskip(NEXT) | instid1(VALU_DEP_1)
	v_ldexp_f64 v[16:17], v[2:3], 0xffffffe0
	v_floor_f64_e32 v[16:17], v[16:17]
	s_delay_alu instid0(VALU_DEP_1) | instskip(SKIP_1) | instid1(VALU_DEP_2)
	v_fma_f64 v[2:3], 0xc1f00000, v[16:17], v[2:3]
	v_cvt_u32_f64_e32 v17, v[16:17]
	v_cvt_u32_f64_e32 v16, v[2:3]
	global_store_b64 v[13:14], v[16:17], off
.LBB113_1680:
	s_mov_b32 s2, 0
.LBB113_1681:
	s_delay_alu instid0(SALU_CYCLE_1)
	s_and_b32 vcc_lo, exec_lo, s2
	s_cbranch_vccz .LBB113_1697
; %bb.1682:
	v_cmp_gt_i16_e32 vcc_lo, 27, v15
	s_mov_b32 s2, -1
	s_cbranch_vccnz .LBB113_1688
; %bb.1683:
	v_cvt_u32_f64_e32 v2, v[0:1]
	v_cmp_lt_i16_e32 vcc_lo, 27, v15
	s_cbranch_vccz .LBB113_1685
; %bb.1684:
	s_mov_b32 s2, 0
	global_store_b32 v[13:14], v2, off
.LBB113_1685:
	s_and_not1_b32 vcc_lo, exec_lo, s2
	s_cbranch_vccnz .LBB113_1687
; %bb.1686:
	global_store_b16 v[13:14], v2, off
.LBB113_1687:
	s_mov_b32 s2, 0
.LBB113_1688:
	s_delay_alu instid0(SALU_CYCLE_1)
	s_and_not1_b32 vcc_lo, exec_lo, s2
	s_cbranch_vccnz .LBB113_1696
; %bb.1689:
	v_cvt_f32_f64_e32 v2, v[0:1]
	v_mov_b32_e32 v16, 0x80
	s_mov_b32 s2, exec_lo
	s_delay_alu instid0(VALU_DEP_2) | instskip(NEXT) | instid1(VALU_DEP_1)
	v_and_b32_e32 v3, 0x7fffffff, v2
	v_cmpx_gt_u32_e32 0x43800000, v3
	s_cbranch_execz .LBB113_1695
; %bb.1690:
	v_cmp_lt_u32_e32 vcc_lo, 0x3bffffff, v3
	s_mov_b32 s6, 0
                                        ; implicit-def: $vgpr3
	s_and_saveexec_b32 s7, vcc_lo
	s_delay_alu instid0(SALU_CYCLE_1)
	s_xor_b32 s7, exec_lo, s7
	s_cbranch_execz .LBB113_2141
; %bb.1691:
	v_bfe_u32 v3, v2, 20, 1
	s_mov_b32 s6, exec_lo
	s_delay_alu instid0(VALU_DEP_1) | instskip(NEXT) | instid1(VALU_DEP_1)
	v_add3_u32 v3, v2, v3, 0x487ffff
	v_lshrrev_b32_e32 v3, 20, v3
	s_or_saveexec_b32 s7, s7
                                        ; implicit-def: $sgpr10
	s_delay_alu instid0(SALU_CYCLE_1)
	s_xor_b32 exec_lo, exec_lo, s7
	s_cbranch_execnz .LBB113_2142
.LBB113_1692:
	s_or_b32 exec_lo, exec_lo, s7
	v_mov_b32_e32 v16, s10
	s_and_saveexec_b32 s7, s6
.LBB113_1693:
	v_lshrrev_b32_e32 v2, 24, v2
	s_delay_alu instid0(VALU_DEP_1)
	v_and_or_b32 v16, 0x80, v2, v3
.LBB113_1694:
	s_or_b32 exec_lo, exec_lo, s7
.LBB113_1695:
	s_delay_alu instid0(SALU_CYCLE_1)
	s_or_b32 exec_lo, exec_lo, s2
	global_store_b8 v[13:14], v16, off
.LBB113_1696:
	s_mov_b32 s6, -1
.LBB113_1697:
	s_mov_b32 s2, 0
.LBB113_1698:
	s_delay_alu instid0(SALU_CYCLE_1)
	s_and_b32 vcc_lo, exec_lo, s2
	s_cbranch_vccz .LBB113_1738
; %bb.1699:
	v_cmp_lt_i16_e32 vcc_lo, 22, v15
	s_mov_b32 s1, -1
	s_cbranch_vccz .LBB113_1731
; %bb.1700:
	v_cmp_gt_i16_e32 vcc_lo, 24, v15
	s_cbranch_vccnz .LBB113_1720
; %bb.1701:
	v_cmp_lt_i16_e32 vcc_lo, 24, v15
	s_cbranch_vccz .LBB113_1709
; %bb.1702:
	v_cvt_f32_f64_e32 v2, v[0:1]
	v_mov_b32_e32 v16, 0x80
	s_mov_b32 s1, exec_lo
	s_delay_alu instid0(VALU_DEP_2) | instskip(NEXT) | instid1(VALU_DEP_1)
	v_and_b32_e32 v3, 0x7fffffff, v2
	v_cmpx_gt_u32_e32 0x47800000, v3
	s_cbranch_execz .LBB113_1708
; %bb.1703:
	v_cmp_lt_u32_e32 vcc_lo, 0x37ffffff, v3
	s_mov_b32 s2, 0
                                        ; implicit-def: $vgpr3
	s_and_saveexec_b32 s6, vcc_lo
	s_delay_alu instid0(SALU_CYCLE_1)
	s_xor_b32 s6, exec_lo, s6
	s_cbranch_execz .LBB113_2147
; %bb.1704:
	v_bfe_u32 v3, v2, 21, 1
	s_mov_b32 s2, exec_lo
	s_delay_alu instid0(VALU_DEP_1) | instskip(NEXT) | instid1(VALU_DEP_1)
	v_add3_u32 v3, v2, v3, 0x88fffff
	v_lshrrev_b32_e32 v3, 21, v3
	s_or_saveexec_b32 s6, s6
                                        ; implicit-def: $sgpr7
	s_delay_alu instid0(SALU_CYCLE_1)
	s_xor_b32 exec_lo, exec_lo, s6
	s_cbranch_execnz .LBB113_2148
.LBB113_1705:
	s_or_b32 exec_lo, exec_lo, s6
	v_mov_b32_e32 v16, s7
	s_and_saveexec_b32 s6, s2
.LBB113_1706:
	v_lshrrev_b32_e32 v2, 24, v2
	s_delay_alu instid0(VALU_DEP_1)
	v_and_or_b32 v16, 0x80, v2, v3
.LBB113_1707:
	s_or_b32 exec_lo, exec_lo, s6
.LBB113_1708:
	s_delay_alu instid0(SALU_CYCLE_1)
	s_or_b32 exec_lo, exec_lo, s1
	s_mov_b32 s1, 0
	global_store_b8 v[13:14], v16, off
.LBB113_1709:
	s_and_b32 vcc_lo, exec_lo, s1
	s_cbranch_vccz .LBB113_1719
; %bb.1710:
	v_cvt_f32_f64_e32 v2, v[0:1]
	s_mov_b32 s1, exec_lo
                                        ; implicit-def: $vgpr3
	s_delay_alu instid0(VALU_DEP_1) | instskip(NEXT) | instid1(VALU_DEP_1)
	v_and_b32_e32 v16, 0x7fffffff, v2
	v_cmpx_gt_u32_e32 0x43f00000, v16
	s_xor_b32 s1, exec_lo, s1
	s_cbranch_execz .LBB113_1716
; %bb.1711:
	s_mov_b32 s2, exec_lo
                                        ; implicit-def: $vgpr3
	v_cmpx_lt_u32_e32 0x3c7fffff, v16
	s_xor_b32 s2, exec_lo, s2
; %bb.1712:
	v_bfe_u32 v3, v2, 20, 1
	s_delay_alu instid0(VALU_DEP_1) | instskip(NEXT) | instid1(VALU_DEP_1)
	v_add3_u32 v3, v2, v3, 0x407ffff
	v_and_b32_e32 v16, 0xff00000, v3
	v_lshrrev_b32_e32 v3, 20, v3
	s_delay_alu instid0(VALU_DEP_2) | instskip(NEXT) | instid1(VALU_DEP_2)
	v_cmp_ne_u32_e32 vcc_lo, 0x7f00000, v16
	v_cndmask_b32_e32 v3, 0x7e, v3, vcc_lo
; %bb.1713:
	s_and_not1_saveexec_b32 s2, s2
; %bb.1714:
	v_add_f32_e64 v3, 0x46800000, |v2|
; %bb.1715:
	s_or_b32 exec_lo, exec_lo, s2
                                        ; implicit-def: $vgpr16
.LBB113_1716:
	s_and_not1_saveexec_b32 s1, s1
; %bb.1717:
	v_mov_b32_e32 v3, 0x7f
	v_cmp_lt_u32_e32 vcc_lo, 0x7f800000, v16
	s_delay_alu instid0(VALU_DEP_2)
	v_cndmask_b32_e32 v3, 0x7e, v3, vcc_lo
; %bb.1718:
	s_or_b32 exec_lo, exec_lo, s1
	v_lshrrev_b32_e32 v2, 24, v2
	s_delay_alu instid0(VALU_DEP_1)
	v_and_or_b32 v2, 0x80, v2, v3
	global_store_b8 v[13:14], v2, off
.LBB113_1719:
	s_mov_b32 s1, 0
.LBB113_1720:
	s_delay_alu instid0(SALU_CYCLE_1)
	s_and_not1_b32 vcc_lo, exec_lo, s1
	s_cbranch_vccnz .LBB113_1730
; %bb.1721:
	v_cvt_f32_f64_e32 v2, v[0:1]
	s_mov_b32 s1, exec_lo
                                        ; implicit-def: $vgpr3
	s_delay_alu instid0(VALU_DEP_1) | instskip(NEXT) | instid1(VALU_DEP_1)
	v_and_b32_e32 v16, 0x7fffffff, v2
	v_cmpx_gt_u32_e32 0x47800000, v16
	s_xor_b32 s1, exec_lo, s1
	s_cbranch_execz .LBB113_1727
; %bb.1722:
	s_mov_b32 s2, exec_lo
                                        ; implicit-def: $vgpr3
	v_cmpx_lt_u32_e32 0x387fffff, v16
	s_xor_b32 s2, exec_lo, s2
; %bb.1723:
	v_bfe_u32 v3, v2, 21, 1
	s_delay_alu instid0(VALU_DEP_1) | instskip(NEXT) | instid1(VALU_DEP_1)
	v_add3_u32 v3, v2, v3, 0x80fffff
	v_lshrrev_b32_e32 v3, 21, v3
; %bb.1724:
	s_and_not1_saveexec_b32 s2, s2
; %bb.1725:
	v_add_f32_e64 v3, 0x43000000, |v2|
; %bb.1726:
	s_or_b32 exec_lo, exec_lo, s2
                                        ; implicit-def: $vgpr16
.LBB113_1727:
	s_and_not1_saveexec_b32 s1, s1
; %bb.1728:
	v_mov_b32_e32 v3, 0x7f
	v_cmp_lt_u32_e32 vcc_lo, 0x7f800000, v16
	s_delay_alu instid0(VALU_DEP_2)
	v_cndmask_b32_e32 v3, 0x7c, v3, vcc_lo
; %bb.1729:
	s_or_b32 exec_lo, exec_lo, s1
	v_lshrrev_b32_e32 v2, 24, v2
	s_delay_alu instid0(VALU_DEP_1)
	v_and_or_b32 v2, 0x80, v2, v3
	global_store_b8 v[13:14], v2, off
.LBB113_1730:
	s_mov_b32 s1, 0
	s_mov_b32 s6, -1
.LBB113_1731:
	s_and_not1_b32 vcc_lo, exec_lo, s1
	s_mov_b32 s1, 0
	s_cbranch_vccnz .LBB113_1738
; %bb.1732:
	v_cmp_lt_i16_e32 vcc_lo, 14, v15
	s_mov_b32 s1, -1
	s_cbranch_vccz .LBB113_1736
; %bb.1733:
	v_cmp_eq_u16_e32 vcc_lo, 15, v15
	s_mov_b32 s0, -1
	s_cbranch_vccz .LBB113_1735
; %bb.1734:
	v_cvt_f32_f64_e32 v2, v[0:1]
	s_mov_b32 s0, 0
	s_mov_b32 s6, -1
	s_delay_alu instid0(VALU_DEP_1) | instskip(SKIP_1) | instid1(VALU_DEP_2)
	v_bfe_u32 v3, v2, 16, 1
	v_cmp_o_f32_e32 vcc_lo, v2, v2
	v_add3_u32 v3, v2, v3, 0x7fff
	s_delay_alu instid0(VALU_DEP_1) | instskip(NEXT) | instid1(VALU_DEP_1)
	v_lshrrev_b32_e32 v3, 16, v3
	v_cndmask_b32_e32 v2, 0x7fc0, v3, vcc_lo
	global_store_b16 v[13:14], v2, off
.LBB113_1735:
	s_mov_b32 s1, 0
.LBB113_1736:
	s_delay_alu instid0(SALU_CYCLE_1)
	s_and_b32 vcc_lo, exec_lo, s1
	s_mov_b32 s1, 0
	s_cbranch_vccz .LBB113_1738
; %bb.1737:
	v_cmp_ne_u16_e64 s0, 11, v15
	s_mov_b32 s1, -1
.LBB113_1738:
	s_delay_alu instid0(VALU_DEP_1)
	s_and_b32 vcc_lo, exec_lo, s0
	s_cbranch_vccnz .LBB113_2145
; %bb.1739:
	s_and_not1_b32 vcc_lo, exec_lo, s1
	s_cbranch_vccnz .LBB113_1741
.LBB113_1740:
	v_cmp_neq_f64_e32 vcc_lo, 0, v[0:1]
	s_mov_b32 s6, -1
	v_cndmask_b32_e64 v2, 0, 1, vcc_lo
	global_store_b8 v[13:14], v2, off
.LBB113_1741:
	s_mov_b32 s0, 0
.LBB113_1742:
	s_delay_alu instid0(SALU_CYCLE_1)
	s_and_b32 vcc_lo, exec_lo, s0
	s_cbranch_vccz .LBB113_1781
; %bb.1743:
	v_cmp_gt_i16_e32 vcc_lo, 5, v15
	s_mov_b32 s0, -1
	s_cbranch_vccnz .LBB113_1764
; %bb.1744:
	v_cmp_gt_i16_e32 vcc_lo, 8, v15
	s_cbranch_vccnz .LBB113_1754
; %bb.1745:
	v_cmp_gt_i16_e32 vcc_lo, 9, v15
	s_cbranch_vccnz .LBB113_1751
; %bb.1746:
	v_cmp_lt_i16_e32 vcc_lo, 9, v15
	s_cbranch_vccz .LBB113_1748
; %bb.1747:
	v_mov_b32_e32 v2, 0
	s_mov_b32 s0, 0
	s_delay_alu instid0(VALU_DEP_1)
	v_mov_b32_e32 v3, v2
	global_store_b128 v[13:14], v[0:3], off
.LBB113_1748:
	s_and_not1_b32 vcc_lo, exec_lo, s0
	s_cbranch_vccnz .LBB113_1750
; %bb.1749:
	v_cvt_f32_f64_e32 v2, v[0:1]
	v_mov_b32_e32 v3, 0
	global_store_b64 v[13:14], v[2:3], off
.LBB113_1750:
	s_mov_b32 s0, 0
.LBB113_1751:
	s_delay_alu instid0(SALU_CYCLE_1)
	s_and_not1_b32 vcc_lo, exec_lo, s0
	s_cbranch_vccnz .LBB113_1753
; %bb.1752:
	v_cvt_f32_f64_e32 v2, v[0:1]
	s_delay_alu instid0(VALU_DEP_1) | instskip(NEXT) | instid1(VALU_DEP_1)
	v_cvt_f16_f32_e32 v2, v2
	v_and_b32_e32 v2, 0xffff, v2
	global_store_b32 v[13:14], v2, off
.LBB113_1753:
	s_mov_b32 s0, 0
.LBB113_1754:
	s_delay_alu instid0(SALU_CYCLE_1)
	s_and_not1_b32 vcc_lo, exec_lo, s0
	s_cbranch_vccnz .LBB113_1763
; %bb.1755:
	v_cmp_gt_i16_e32 vcc_lo, 6, v15
	s_mov_b32 s0, -1
	s_cbranch_vccnz .LBB113_1761
; %bb.1756:
	v_cmp_lt_i16_e32 vcc_lo, 6, v15
	s_cbranch_vccz .LBB113_1758
; %bb.1757:
	s_mov_b32 s0, 0
	global_store_b64 v[13:14], v[0:1], off
.LBB113_1758:
	s_and_not1_b32 vcc_lo, exec_lo, s0
	s_cbranch_vccnz .LBB113_1760
; %bb.1759:
	v_cvt_f32_f64_e32 v2, v[0:1]
	global_store_b32 v[13:14], v2, off
.LBB113_1760:
	s_mov_b32 s0, 0
.LBB113_1761:
	s_delay_alu instid0(SALU_CYCLE_1)
	s_and_not1_b32 vcc_lo, exec_lo, s0
	s_cbranch_vccnz .LBB113_1763
; %bb.1762:
	v_cvt_f32_f64_e32 v2, v[0:1]
	s_delay_alu instid0(VALU_DEP_1)
	v_cvt_f16_f32_e32 v2, v2
	global_store_b16 v[13:14], v2, off
.LBB113_1763:
	s_mov_b32 s0, 0
.LBB113_1764:
	s_delay_alu instid0(SALU_CYCLE_1)
	s_and_not1_b32 vcc_lo, exec_lo, s0
	s_cbranch_vccnz .LBB113_1780
; %bb.1765:
	v_cmp_gt_i16_e32 vcc_lo, 2, v15
	s_mov_b32 s0, -1
	s_cbranch_vccnz .LBB113_1775
; %bb.1766:
	v_cmp_gt_i16_e32 vcc_lo, 3, v15
	s_cbranch_vccnz .LBB113_1772
; %bb.1767:
	v_cmp_lt_i16_e32 vcc_lo, 3, v15
	s_cbranch_vccz .LBB113_1769
; %bb.1768:
	v_trunc_f64_e32 v[2:3], v[0:1]
	s_mov_b32 s0, 0
	s_delay_alu instid0(VALU_DEP_1) | instskip(NEXT) | instid1(VALU_DEP_1)
	v_ldexp_f64 v[16:17], v[2:3], 0xffffffe0
	v_floor_f64_e32 v[16:17], v[16:17]
	s_delay_alu instid0(VALU_DEP_1) | instskip(SKIP_1) | instid1(VALU_DEP_2)
	v_fma_f64 v[2:3], 0xc1f00000, v[16:17], v[2:3]
	v_cvt_i32_f64_e32 v17, v[16:17]
	v_cvt_u32_f64_e32 v16, v[2:3]
	global_store_b64 v[13:14], v[16:17], off
.LBB113_1769:
	s_and_not1_b32 vcc_lo, exec_lo, s0
	s_cbranch_vccnz .LBB113_1771
; %bb.1770:
	v_cvt_i32_f64_e32 v2, v[0:1]
	global_store_b32 v[13:14], v2, off
.LBB113_1771:
	s_mov_b32 s0, 0
.LBB113_1772:
	s_delay_alu instid0(SALU_CYCLE_1)
	s_and_not1_b32 vcc_lo, exec_lo, s0
	s_cbranch_vccnz .LBB113_1774
; %bb.1773:
	v_cvt_i32_f64_e32 v2, v[0:1]
	global_store_b16 v[13:14], v2, off
.LBB113_1774:
	s_mov_b32 s0, 0
.LBB113_1775:
	s_delay_alu instid0(SALU_CYCLE_1)
	s_and_not1_b32 vcc_lo, exec_lo, s0
	s_cbranch_vccnz .LBB113_1780
; %bb.1776:
	v_cmp_lt_i16_e32 vcc_lo, 0, v15
	s_mov_b32 s0, -1
	s_cbranch_vccz .LBB113_1778
; %bb.1777:
	v_cvt_i32_f64_e32 v2, v[0:1]
	s_mov_b32 s0, 0
	global_store_b8 v[13:14], v2, off
.LBB113_1778:
	s_and_not1_b32 vcc_lo, exec_lo, s0
	s_cbranch_vccnz .LBB113_1780
; %bb.1779:
	v_trunc_f64_e32 v[0:1], v[0:1]
	s_delay_alu instid0(VALU_DEP_1) | instskip(NEXT) | instid1(VALU_DEP_1)
	v_ldexp_f64 v[2:3], v[0:1], 0xffffffe0
	v_floor_f64_e32 v[2:3], v[2:3]
	s_delay_alu instid0(VALU_DEP_1) | instskip(NEXT) | instid1(VALU_DEP_1)
	v_fma_f64 v[0:1], 0xc1f00000, v[2:3], v[0:1]
	v_cvt_u32_f64_e32 v0, v[0:1]
	global_store_b8 v[13:14], v0, off
.LBB113_1780:
	s_mov_b32 s6, -1
.LBB113_1781:
	s_delay_alu instid0(SALU_CYCLE_1)
	s_and_not1_b32 vcc_lo, exec_lo, s6
	s_cbranch_vccnz .LBB113_2094
; %bb.1782:
	s_mov_b32 s0, 0x652b82fe
	s_mov_b32 s1, 0x3ff71547
	s_mov_b32 s6, 0x3b39803f
	v_mul_f64 v[0:1], v[11:12], s[0:1]
	s_mov_b32 s1, 0xbfe62e42
	s_mov_b32 s0, 0xfefa39ef
	s_mov_b32 s7, 0xbc7abc9e
	s_mov_b32 s10, 0xa9d67f34
	s_mov_b32 s11, 0x3e21f32e
	v_cmp_gt_i16_e64 s2, 11, v15
	s_delay_alu instid0(VALU_DEP_2) | instskip(NEXT) | instid1(VALU_DEP_1)
	v_rndne_f64_e32 v[0:1], v[0:1]
	v_fma_f64 v[2:3], v[0:1], s[0:1], v[11:12]
	v_cvt_i32_f64_e32 v16, v[0:1]
	v_cmp_eq_f64_e32 vcc_lo, 0x40900000, v[0:1]
	s_mov_b32 s1, 0x40862e42
	s_delay_alu instid0(SALU_CYCLE_1)
	v_cmp_nlt_f64_e64 s0, s[0:1], v[11:12]
	v_cmp_ngt_f64_e64 s1, 0xc0428000, v[11:12]
	v_fma_f64 v[2:3], v[0:1], s[6:7], v[2:3]
	s_mov_b32 s6, 0x2a1b768b
	s_mov_b32 s7, 0x3e5af4eb
	v_cndmask_b32_e64 v0, v16, 0x3ff, vcc_lo
	s_delay_alu instid0(VALU_DEP_1) | instskip(NEXT) | instid1(VALU_DEP_3)
	v_ldexp_f64 v[0:1], 1.0, v0
	v_fma_f64 v[13:14], v[2:3], s[10:11], s[6:7]
	s_mov_b32 s6, 0xe0ac05b
	s_mov_b32 s7, 0x3e927e50
	s_delay_alu instid0(VALU_DEP_2) | instskip(NEXT) | instid1(VALU_DEP_2)
	v_add_f64 v[16:17], v[0:1], -1.0
	v_fma_f64 v[13:14], v[2:3], v[13:14], s[6:7]
	s_mov_b32 s6, 0x1b889c29
	s_mov_b32 s7, 0x3ec71de0
	s_delay_alu instid0(VALU_DEP_1) | instid1(SALU_CYCLE_1)
	v_fma_f64 v[13:14], v[2:3], v[13:14], s[6:7]
	s_mov_b32 s6, 0x197bcfd8
	s_mov_b32 s7, 0x3efa01a0
	s_delay_alu instid0(VALU_DEP_1) | instid1(SALU_CYCLE_1)
	;; [unrolled: 4-line block ×7, first 2 shown]
	v_fma_f64 v[13:14], v[2:3], v[13:14], s[6:7]
	v_add_co_u32 v11, s7, s4, v6
	s_delay_alu instid0(VALU_DEP_1) | instskip(SKIP_1) | instid1(VALU_DEP_3)
	v_add_co_ci_u32_e64 v12, null, s5, 0, s7
	s_mov_b32 s6, 0
	v_fma_f64 v[13:14], v[2:3], v[13:14], 0.5
	s_delay_alu instid0(VALU_DEP_1) | instskip(NEXT) | instid1(VALU_DEP_1)
	v_mul_f64 v[13:14], v[2:3], v[13:14]
	v_fma_f64 v[2:3], v[2:3], v[13:14], v[2:3]
	s_delay_alu instid0(VALU_DEP_1) | instskip(NEXT) | instid1(VALU_DEP_1)
	v_fma_f64 v[0:1], v[0:1], v[2:3], v[16:17]
	v_add_f64 v[2:3], v[0:1], v[0:1]
	s_delay_alu instid0(VALU_DEP_1) | instskip(SKIP_1) | instid1(VALU_DEP_1)
	v_dual_cndmask_b32 v1, v1, v3 :: v_dual_cndmask_b32 v0, v0, v2
	s_and_b32 vcc_lo, s1, s0
	v_cndmask_b32_e64 v1, 0x7ff00000, v1, s0
	s_delay_alu instid0(VALU_DEP_2) | instskip(SKIP_2) | instid1(VALU_DEP_2)
	v_cndmask_b32_e32 v0, 0, v0, vcc_lo
	s_and_b32 vcc_lo, exec_lo, s2
	s_mov_b32 s0, -1
	v_cndmask_b32_e64 v1, 0xbff00000, v1, s1
	s_cbranch_vccnz .LBB113_1860
; %bb.1783:
	v_cmp_lt_i16_e32 vcc_lo, 25, v15
	s_mov_b32 s2, -1
	s_mov_b32 s1, 0
	s_mov_b32 s0, 0
	s_cbranch_vccz .LBB113_1816
; %bb.1784:
	v_cmp_lt_i16_e32 vcc_lo, 28, v15
	s_cbranch_vccz .LBB113_1799
; %bb.1785:
	v_cmp_lt_i16_e32 vcc_lo, 43, v15
	;; [unrolled: 3-line block ×3, first 2 shown]
	s_cbranch_vccz .LBB113_1789
; %bb.1787:
	v_cmp_eq_u16_e32 vcc_lo, 46, v15
	s_mov_b32 s0, -1
	s_mov_b32 s2, 0
	s_cbranch_vccz .LBB113_1789
; %bb.1788:
	v_cvt_f32_f64_e32 v2, v[0:1]
	s_mov_b32 s0, 0
	s_mov_b32 s6, -1
	s_delay_alu instid0(VALU_DEP_1) | instskip(SKIP_1) | instid1(VALU_DEP_2)
	v_bfe_u32 v3, v2, 16, 1
	v_cmp_o_f32_e32 vcc_lo, v2, v2
	v_add3_u32 v3, v2, v3, 0x7fff
	s_delay_alu instid0(VALU_DEP_1) | instskip(NEXT) | instid1(VALU_DEP_1)
	v_lshrrev_b32_e32 v3, 16, v3
	v_cndmask_b32_e32 v2, 0x7fc0, v3, vcc_lo
	global_store_b32 v[11:12], v2, off
.LBB113_1789:
	s_and_b32 vcc_lo, exec_lo, s2
	s_cbranch_vccz .LBB113_1794
; %bb.1790:
	v_cmp_eq_u16_e32 vcc_lo, 44, v15
	s_mov_b32 s0, -1
	s_cbranch_vccz .LBB113_1794
; %bb.1791:
	v_cvt_f32_f64_e32 v2, v[0:1]
	v_mov_b32_e32 v3, 0xff
	s_mov_b32 s2, exec_lo
	s_delay_alu instid0(VALU_DEP_2) | instskip(NEXT) | instid1(VALU_DEP_1)
	v_bfe_u32 v6, v2, 23, 8
	v_cmpx_ne_u32_e32 0xff, v6
; %bb.1792:
	v_and_b32_e32 v3, 0x400000, v2
	v_and_or_b32 v6, 0x3fffff, v2, v6
	v_lshrrev_b32_e32 v2, 23, v2
	s_delay_alu instid0(VALU_DEP_3) | instskip(NEXT) | instid1(VALU_DEP_3)
	v_cmp_ne_u32_e32 vcc_lo, 0, v3
	v_cmp_ne_u32_e64 s0, 0, v6
	s_delay_alu instid0(VALU_DEP_1) | instskip(NEXT) | instid1(SALU_CYCLE_1)
	s_and_b32 s0, vcc_lo, s0
	v_cndmask_b32_e64 v3, 0, 1, s0
	s_delay_alu instid0(VALU_DEP_1)
	v_add_nc_u32_e32 v3, v2, v3
; %bb.1793:
	s_or_b32 exec_lo, exec_lo, s2
	s_mov_b32 s0, 0
	s_mov_b32 s6, -1
	global_store_b8 v[11:12], v3, off
.LBB113_1794:
	s_mov_b32 s2, 0
.LBB113_1795:
	s_delay_alu instid0(SALU_CYCLE_1)
	s_and_b32 vcc_lo, exec_lo, s2
	s_cbranch_vccz .LBB113_1798
; %bb.1796:
	v_cmp_eq_u16_e32 vcc_lo, 29, v15
	s_mov_b32 s0, -1
	s_cbranch_vccz .LBB113_1798
; %bb.1797:
	v_trunc_f64_e32 v[2:3], v[0:1]
	s_mov_b32 s0, 0
	s_mov_b32 s6, -1
	s_delay_alu instid0(VALU_DEP_1) | instskip(NEXT) | instid1(VALU_DEP_1)
	v_ldexp_f64 v[13:14], v[2:3], 0xffffffe0
	v_floor_f64_e32 v[13:14], v[13:14]
	s_delay_alu instid0(VALU_DEP_1) | instskip(SKIP_1) | instid1(VALU_DEP_2)
	v_fma_f64 v[2:3], 0xc1f00000, v[13:14], v[2:3]
	v_cvt_u32_f64_e32 v14, v[13:14]
	v_cvt_u32_f64_e32 v13, v[2:3]
	global_store_b64 v[11:12], v[13:14], off
.LBB113_1798:
	s_mov_b32 s2, 0
.LBB113_1799:
	s_delay_alu instid0(SALU_CYCLE_1)
	s_and_b32 vcc_lo, exec_lo, s2
	s_cbranch_vccz .LBB113_1815
; %bb.1800:
	v_cmp_gt_i16_e32 vcc_lo, 27, v15
	s_mov_b32 s2, -1
	s_cbranch_vccnz .LBB113_1806
; %bb.1801:
	v_cvt_u32_f64_e32 v2, v[0:1]
	v_cmp_lt_i16_e32 vcc_lo, 27, v15
	s_cbranch_vccz .LBB113_1803
; %bb.1802:
	s_mov_b32 s2, 0
	global_store_b32 v[11:12], v2, off
.LBB113_1803:
	s_and_not1_b32 vcc_lo, exec_lo, s2
	s_cbranch_vccnz .LBB113_1805
; %bb.1804:
	global_store_b16 v[11:12], v2, off
.LBB113_1805:
	s_mov_b32 s2, 0
.LBB113_1806:
	s_delay_alu instid0(SALU_CYCLE_1)
	s_and_not1_b32 vcc_lo, exec_lo, s2
	s_cbranch_vccnz .LBB113_1814
; %bb.1807:
	v_cvt_f32_f64_e32 v2, v[0:1]
	v_mov_b32_e32 v6, 0x80
	s_mov_b32 s2, exec_lo
	s_delay_alu instid0(VALU_DEP_2) | instskip(NEXT) | instid1(VALU_DEP_1)
	v_and_b32_e32 v3, 0x7fffffff, v2
	v_cmpx_gt_u32_e32 0x43800000, v3
	s_cbranch_execz .LBB113_1813
; %bb.1808:
	v_cmp_lt_u32_e32 vcc_lo, 0x3bffffff, v3
	s_mov_b32 s6, 0
                                        ; implicit-def: $vgpr3
	s_and_saveexec_b32 s7, vcc_lo
	s_delay_alu instid0(SALU_CYCLE_1)
	s_xor_b32 s7, exec_lo, s7
	s_cbranch_execz .LBB113_2149
; %bb.1809:
	v_bfe_u32 v3, v2, 20, 1
	s_mov_b32 s6, exec_lo
	s_delay_alu instid0(VALU_DEP_1) | instskip(NEXT) | instid1(VALU_DEP_1)
	v_add3_u32 v3, v2, v3, 0x487ffff
	v_lshrrev_b32_e32 v3, 20, v3
	s_or_saveexec_b32 s7, s7
                                        ; implicit-def: $sgpr10
	s_delay_alu instid0(SALU_CYCLE_1)
	s_xor_b32 exec_lo, exec_lo, s7
	s_cbranch_execnz .LBB113_2150
.LBB113_1810:
	s_or_b32 exec_lo, exec_lo, s7
	v_mov_b32_e32 v6, s10
	s_and_saveexec_b32 s7, s6
.LBB113_1811:
	v_lshrrev_b32_e32 v2, 24, v2
	s_delay_alu instid0(VALU_DEP_1)
	v_and_or_b32 v6, 0x80, v2, v3
.LBB113_1812:
	s_or_b32 exec_lo, exec_lo, s7
.LBB113_1813:
	s_delay_alu instid0(SALU_CYCLE_1)
	s_or_b32 exec_lo, exec_lo, s2
	global_store_b8 v[11:12], v6, off
.LBB113_1814:
	s_mov_b32 s6, -1
.LBB113_1815:
	s_mov_b32 s2, 0
.LBB113_1816:
	s_delay_alu instid0(SALU_CYCLE_1)
	s_and_b32 vcc_lo, exec_lo, s2
	s_cbranch_vccz .LBB113_1856
; %bb.1817:
	v_cmp_lt_i16_e32 vcc_lo, 22, v15
	s_mov_b32 s1, -1
	s_cbranch_vccz .LBB113_1849
; %bb.1818:
	v_cmp_gt_i16_e32 vcc_lo, 24, v15
	s_cbranch_vccnz .LBB113_1838
; %bb.1819:
	v_cmp_lt_i16_e32 vcc_lo, 24, v15
	s_cbranch_vccz .LBB113_1827
; %bb.1820:
	v_cvt_f32_f64_e32 v2, v[0:1]
	v_mov_b32_e32 v6, 0x80
	s_mov_b32 s1, exec_lo
	s_delay_alu instid0(VALU_DEP_2) | instskip(NEXT) | instid1(VALU_DEP_1)
	v_and_b32_e32 v3, 0x7fffffff, v2
	v_cmpx_gt_u32_e32 0x47800000, v3
	s_cbranch_execz .LBB113_1826
; %bb.1821:
	v_cmp_lt_u32_e32 vcc_lo, 0x37ffffff, v3
	s_mov_b32 s2, 0
                                        ; implicit-def: $vgpr3
	s_and_saveexec_b32 s6, vcc_lo
	s_delay_alu instid0(SALU_CYCLE_1)
	s_xor_b32 s6, exec_lo, s6
	s_cbranch_execz .LBB113_2155
; %bb.1822:
	v_bfe_u32 v3, v2, 21, 1
	s_mov_b32 s2, exec_lo
	s_delay_alu instid0(VALU_DEP_1) | instskip(NEXT) | instid1(VALU_DEP_1)
	v_add3_u32 v3, v2, v3, 0x88fffff
	v_lshrrev_b32_e32 v3, 21, v3
	s_or_saveexec_b32 s6, s6
                                        ; implicit-def: $sgpr7
	s_delay_alu instid0(SALU_CYCLE_1)
	s_xor_b32 exec_lo, exec_lo, s6
	s_cbranch_execnz .LBB113_2156
.LBB113_1823:
	s_or_b32 exec_lo, exec_lo, s6
	v_mov_b32_e32 v6, s7
	s_and_saveexec_b32 s6, s2
.LBB113_1824:
	v_lshrrev_b32_e32 v2, 24, v2
	s_delay_alu instid0(VALU_DEP_1)
	v_and_or_b32 v6, 0x80, v2, v3
.LBB113_1825:
	s_or_b32 exec_lo, exec_lo, s6
.LBB113_1826:
	s_delay_alu instid0(SALU_CYCLE_1)
	s_or_b32 exec_lo, exec_lo, s1
	s_mov_b32 s1, 0
	global_store_b8 v[11:12], v6, off
.LBB113_1827:
	s_and_b32 vcc_lo, exec_lo, s1
	s_cbranch_vccz .LBB113_1837
; %bb.1828:
	v_cvt_f32_f64_e32 v2, v[0:1]
	s_mov_b32 s1, exec_lo
                                        ; implicit-def: $vgpr3
	s_delay_alu instid0(VALU_DEP_1) | instskip(NEXT) | instid1(VALU_DEP_1)
	v_and_b32_e32 v6, 0x7fffffff, v2
	v_cmpx_gt_u32_e32 0x43f00000, v6
	s_xor_b32 s1, exec_lo, s1
	s_cbranch_execz .LBB113_1834
; %bb.1829:
	s_mov_b32 s2, exec_lo
                                        ; implicit-def: $vgpr3
	v_cmpx_lt_u32_e32 0x3c7fffff, v6
	s_xor_b32 s2, exec_lo, s2
; %bb.1830:
	v_bfe_u32 v3, v2, 20, 1
	s_delay_alu instid0(VALU_DEP_1) | instskip(NEXT) | instid1(VALU_DEP_1)
	v_add3_u32 v3, v2, v3, 0x407ffff
	v_and_b32_e32 v6, 0xff00000, v3
	v_lshrrev_b32_e32 v3, 20, v3
	s_delay_alu instid0(VALU_DEP_2) | instskip(NEXT) | instid1(VALU_DEP_2)
	v_cmp_ne_u32_e32 vcc_lo, 0x7f00000, v6
	v_cndmask_b32_e32 v3, 0x7e, v3, vcc_lo
; %bb.1831:
	s_and_not1_saveexec_b32 s2, s2
; %bb.1832:
	v_add_f32_e64 v3, 0x46800000, |v2|
; %bb.1833:
	s_or_b32 exec_lo, exec_lo, s2
                                        ; implicit-def: $vgpr6
.LBB113_1834:
	s_and_not1_saveexec_b32 s1, s1
; %bb.1835:
	v_mov_b32_e32 v3, 0x7f
	v_cmp_lt_u32_e32 vcc_lo, 0x7f800000, v6
	s_delay_alu instid0(VALU_DEP_2)
	v_cndmask_b32_e32 v3, 0x7e, v3, vcc_lo
; %bb.1836:
	s_or_b32 exec_lo, exec_lo, s1
	v_lshrrev_b32_e32 v2, 24, v2
	s_delay_alu instid0(VALU_DEP_1)
	v_and_or_b32 v2, 0x80, v2, v3
	global_store_b8 v[11:12], v2, off
.LBB113_1837:
	s_mov_b32 s1, 0
.LBB113_1838:
	s_delay_alu instid0(SALU_CYCLE_1)
	s_and_not1_b32 vcc_lo, exec_lo, s1
	s_cbranch_vccnz .LBB113_1848
; %bb.1839:
	v_cvt_f32_f64_e32 v2, v[0:1]
	s_mov_b32 s1, exec_lo
                                        ; implicit-def: $vgpr3
	s_delay_alu instid0(VALU_DEP_1) | instskip(NEXT) | instid1(VALU_DEP_1)
	v_and_b32_e32 v6, 0x7fffffff, v2
	v_cmpx_gt_u32_e32 0x47800000, v6
	s_xor_b32 s1, exec_lo, s1
	s_cbranch_execz .LBB113_1845
; %bb.1840:
	s_mov_b32 s2, exec_lo
                                        ; implicit-def: $vgpr3
	v_cmpx_lt_u32_e32 0x387fffff, v6
	s_xor_b32 s2, exec_lo, s2
; %bb.1841:
	v_bfe_u32 v3, v2, 21, 1
	s_delay_alu instid0(VALU_DEP_1) | instskip(NEXT) | instid1(VALU_DEP_1)
	v_add3_u32 v3, v2, v3, 0x80fffff
	v_lshrrev_b32_e32 v3, 21, v3
; %bb.1842:
	s_and_not1_saveexec_b32 s2, s2
; %bb.1843:
	v_add_f32_e64 v3, 0x43000000, |v2|
; %bb.1844:
	s_or_b32 exec_lo, exec_lo, s2
                                        ; implicit-def: $vgpr6
.LBB113_1845:
	s_and_not1_saveexec_b32 s1, s1
; %bb.1846:
	v_mov_b32_e32 v3, 0x7f
	v_cmp_lt_u32_e32 vcc_lo, 0x7f800000, v6
	s_delay_alu instid0(VALU_DEP_2)
	v_cndmask_b32_e32 v3, 0x7c, v3, vcc_lo
; %bb.1847:
	s_or_b32 exec_lo, exec_lo, s1
	v_lshrrev_b32_e32 v2, 24, v2
	s_delay_alu instid0(VALU_DEP_1)
	v_and_or_b32 v2, 0x80, v2, v3
	global_store_b8 v[11:12], v2, off
.LBB113_1848:
	s_mov_b32 s1, 0
	s_mov_b32 s6, -1
.LBB113_1849:
	s_and_not1_b32 vcc_lo, exec_lo, s1
	s_mov_b32 s1, 0
	s_cbranch_vccnz .LBB113_1856
; %bb.1850:
	v_cmp_lt_i16_e32 vcc_lo, 14, v15
	s_mov_b32 s1, -1
	s_cbranch_vccz .LBB113_1854
; %bb.1851:
	v_cmp_eq_u16_e32 vcc_lo, 15, v15
	s_mov_b32 s0, -1
	s_cbranch_vccz .LBB113_1853
; %bb.1852:
	v_cvt_f32_f64_e32 v2, v[0:1]
	s_mov_b32 s0, 0
	s_mov_b32 s6, -1
	s_delay_alu instid0(VALU_DEP_1) | instskip(SKIP_1) | instid1(VALU_DEP_2)
	v_bfe_u32 v3, v2, 16, 1
	v_cmp_o_f32_e32 vcc_lo, v2, v2
	v_add3_u32 v3, v2, v3, 0x7fff
	s_delay_alu instid0(VALU_DEP_1) | instskip(NEXT) | instid1(VALU_DEP_1)
	v_lshrrev_b32_e32 v3, 16, v3
	v_cndmask_b32_e32 v2, 0x7fc0, v3, vcc_lo
	global_store_b16 v[11:12], v2, off
.LBB113_1853:
	s_mov_b32 s1, 0
.LBB113_1854:
	s_delay_alu instid0(SALU_CYCLE_1)
	s_and_b32 vcc_lo, exec_lo, s1
	s_mov_b32 s1, 0
	s_cbranch_vccz .LBB113_1856
; %bb.1855:
	v_cmp_ne_u16_e64 s0, 11, v15
	s_mov_b32 s1, -1
.LBB113_1856:
	s_delay_alu instid0(VALU_DEP_1)
	s_and_b32 vcc_lo, exec_lo, s0
	s_cbranch_vccnz .LBB113_2153
; %bb.1857:
	s_and_not1_b32 vcc_lo, exec_lo, s1
	s_cbranch_vccnz .LBB113_1859
.LBB113_1858:
	v_cmp_neq_f64_e32 vcc_lo, 0, v[0:1]
	s_mov_b32 s6, -1
	v_cndmask_b32_e64 v2, 0, 1, vcc_lo
	global_store_b8 v[11:12], v2, off
.LBB113_1859:
	s_mov_b32 s0, 0
.LBB113_1860:
	s_delay_alu instid0(SALU_CYCLE_1)
	s_and_b32 vcc_lo, exec_lo, s0
	s_cbranch_vccz .LBB113_1899
; %bb.1861:
	v_cmp_gt_i16_e32 vcc_lo, 5, v15
	s_mov_b32 s0, -1
	s_cbranch_vccnz .LBB113_1882
; %bb.1862:
	v_cmp_gt_i16_e32 vcc_lo, 8, v15
	s_cbranch_vccnz .LBB113_1872
; %bb.1863:
	v_cmp_gt_i16_e32 vcc_lo, 9, v15
	s_cbranch_vccnz .LBB113_1869
; %bb.1864:
	v_cmp_lt_i16_e32 vcc_lo, 9, v15
	s_cbranch_vccz .LBB113_1866
; %bb.1865:
	v_mov_b32_e32 v2, 0
	s_mov_b32 s0, 0
	s_delay_alu instid0(VALU_DEP_1)
	v_mov_b32_e32 v3, v2
	global_store_b128 v[11:12], v[0:3], off
.LBB113_1866:
	s_and_not1_b32 vcc_lo, exec_lo, s0
	s_cbranch_vccnz .LBB113_1868
; %bb.1867:
	v_cvt_f32_f64_e32 v2, v[0:1]
	v_mov_b32_e32 v3, 0
	global_store_b64 v[11:12], v[2:3], off
.LBB113_1868:
	s_mov_b32 s0, 0
.LBB113_1869:
	s_delay_alu instid0(SALU_CYCLE_1)
	s_and_not1_b32 vcc_lo, exec_lo, s0
	s_cbranch_vccnz .LBB113_1871
; %bb.1870:
	v_cvt_f32_f64_e32 v2, v[0:1]
	s_delay_alu instid0(VALU_DEP_1) | instskip(NEXT) | instid1(VALU_DEP_1)
	v_cvt_f16_f32_e32 v2, v2
	v_and_b32_e32 v2, 0xffff, v2
	global_store_b32 v[11:12], v2, off
.LBB113_1871:
	s_mov_b32 s0, 0
.LBB113_1872:
	s_delay_alu instid0(SALU_CYCLE_1)
	s_and_not1_b32 vcc_lo, exec_lo, s0
	s_cbranch_vccnz .LBB113_1881
; %bb.1873:
	v_cmp_gt_i16_e32 vcc_lo, 6, v15
	s_mov_b32 s0, -1
	s_cbranch_vccnz .LBB113_1879
; %bb.1874:
	v_cmp_lt_i16_e32 vcc_lo, 6, v15
	s_cbranch_vccz .LBB113_1876
; %bb.1875:
	s_mov_b32 s0, 0
	global_store_b64 v[11:12], v[0:1], off
.LBB113_1876:
	s_and_not1_b32 vcc_lo, exec_lo, s0
	s_cbranch_vccnz .LBB113_1878
; %bb.1877:
	v_cvt_f32_f64_e32 v2, v[0:1]
	global_store_b32 v[11:12], v2, off
.LBB113_1878:
	s_mov_b32 s0, 0
.LBB113_1879:
	s_delay_alu instid0(SALU_CYCLE_1)
	s_and_not1_b32 vcc_lo, exec_lo, s0
	s_cbranch_vccnz .LBB113_1881
; %bb.1880:
	v_cvt_f32_f64_e32 v2, v[0:1]
	s_delay_alu instid0(VALU_DEP_1)
	v_cvt_f16_f32_e32 v2, v2
	global_store_b16 v[11:12], v2, off
.LBB113_1881:
	s_mov_b32 s0, 0
.LBB113_1882:
	s_delay_alu instid0(SALU_CYCLE_1)
	s_and_not1_b32 vcc_lo, exec_lo, s0
	s_cbranch_vccnz .LBB113_1898
; %bb.1883:
	v_cmp_gt_i16_e32 vcc_lo, 2, v15
	s_mov_b32 s0, -1
	s_cbranch_vccnz .LBB113_1893
; %bb.1884:
	v_cmp_gt_i16_e32 vcc_lo, 3, v15
	s_cbranch_vccnz .LBB113_1890
; %bb.1885:
	v_cmp_lt_i16_e32 vcc_lo, 3, v15
	s_cbranch_vccz .LBB113_1887
; %bb.1886:
	v_trunc_f64_e32 v[2:3], v[0:1]
	s_mov_b32 s0, 0
	s_delay_alu instid0(VALU_DEP_1) | instskip(NEXT) | instid1(VALU_DEP_1)
	v_ldexp_f64 v[13:14], v[2:3], 0xffffffe0
	v_floor_f64_e32 v[13:14], v[13:14]
	s_delay_alu instid0(VALU_DEP_1) | instskip(SKIP_1) | instid1(VALU_DEP_2)
	v_fma_f64 v[2:3], 0xc1f00000, v[13:14], v[2:3]
	v_cvt_i32_f64_e32 v14, v[13:14]
	v_cvt_u32_f64_e32 v13, v[2:3]
	global_store_b64 v[11:12], v[13:14], off
.LBB113_1887:
	s_and_not1_b32 vcc_lo, exec_lo, s0
	s_cbranch_vccnz .LBB113_1889
; %bb.1888:
	v_cvt_i32_f64_e32 v2, v[0:1]
	global_store_b32 v[11:12], v2, off
.LBB113_1889:
	s_mov_b32 s0, 0
.LBB113_1890:
	s_delay_alu instid0(SALU_CYCLE_1)
	s_and_not1_b32 vcc_lo, exec_lo, s0
	s_cbranch_vccnz .LBB113_1892
; %bb.1891:
	v_cvt_i32_f64_e32 v2, v[0:1]
	global_store_b16 v[11:12], v2, off
.LBB113_1892:
	s_mov_b32 s0, 0
.LBB113_1893:
	s_delay_alu instid0(SALU_CYCLE_1)
	s_and_not1_b32 vcc_lo, exec_lo, s0
	s_cbranch_vccnz .LBB113_1898
; %bb.1894:
	v_cmp_lt_i16_e32 vcc_lo, 0, v15
	s_mov_b32 s0, -1
	s_cbranch_vccz .LBB113_1896
; %bb.1895:
	v_cvt_i32_f64_e32 v2, v[0:1]
	s_mov_b32 s0, 0
	global_store_b8 v[11:12], v2, off
.LBB113_1896:
	s_and_not1_b32 vcc_lo, exec_lo, s0
	s_cbranch_vccnz .LBB113_1898
; %bb.1897:
	v_trunc_f64_e32 v[0:1], v[0:1]
	s_delay_alu instid0(VALU_DEP_1) | instskip(NEXT) | instid1(VALU_DEP_1)
	v_ldexp_f64 v[2:3], v[0:1], 0xffffffe0
	v_floor_f64_e32 v[2:3], v[2:3]
	s_delay_alu instid0(VALU_DEP_1) | instskip(NEXT) | instid1(VALU_DEP_1)
	v_fma_f64 v[0:1], 0xc1f00000, v[2:3], v[0:1]
	v_cvt_u32_f64_e32 v0, v[0:1]
	global_store_b8 v[11:12], v0, off
.LBB113_1898:
	s_mov_b32 s6, -1
.LBB113_1899:
	s_delay_alu instid0(SALU_CYCLE_1)
	s_and_not1_b32 vcc_lo, exec_lo, s6
	s_cbranch_vccnz .LBB113_2094
; %bb.1900:
	s_mov_b32 s0, 0x652b82fe
	s_mov_b32 s1, 0x3ff71547
	;; [unrolled: 1-line block ×3, first 2 shown]
	v_mul_f64 v[0:1], v[9:10], s[0:1]
	s_mov_b32 s1, 0xbfe62e42
	s_mov_b32 s0, 0xfefa39ef
	;; [unrolled: 1-line block ×5, first 2 shown]
	v_cmp_gt_i16_e64 s2, 11, v15
	s_delay_alu instid0(VALU_DEP_2) | instskip(NEXT) | instid1(VALU_DEP_1)
	v_rndne_f64_e32 v[0:1], v[0:1]
	v_fma_f64 v[2:3], v[0:1], s[0:1], v[9:10]
	v_cvt_i32_f64_e32 v6, v[0:1]
	v_cmp_eq_f64_e32 vcc_lo, 0x40900000, v[0:1]
	s_mov_b32 s1, 0x40862e42
	s_delay_alu instid0(SALU_CYCLE_1)
	v_cmp_nlt_f64_e64 s0, s[0:1], v[9:10]
	v_cmp_ngt_f64_e64 s1, 0xc0428000, v[9:10]
	v_fma_f64 v[2:3], v[0:1], s[6:7], v[2:3]
	s_mov_b32 s6, 0x2a1b768b
	s_mov_b32 s7, 0x3e5af4eb
	v_cndmask_b32_e64 v0, v6, 0x3ff, vcc_lo
	s_delay_alu instid0(VALU_DEP_1) | instskip(NEXT) | instid1(VALU_DEP_3)
	v_ldexp_f64 v[0:1], 1.0, v0
	v_fma_f64 v[11:12], v[2:3], s[10:11], s[6:7]
	s_mov_b32 s6, 0xe0ac05b
	s_mov_b32 s7, 0x3e927e50
	s_delay_alu instid0(VALU_DEP_2) | instskip(NEXT) | instid1(VALU_DEP_2)
	v_add_f64 v[13:14], v[0:1], -1.0
	v_fma_f64 v[11:12], v[2:3], v[11:12], s[6:7]
	s_mov_b32 s6, 0x1b889c29
	s_mov_b32 s7, 0x3ec71de0
	s_delay_alu instid0(VALU_DEP_1) | instid1(SALU_CYCLE_1)
	v_fma_f64 v[11:12], v[2:3], v[11:12], s[6:7]
	s_mov_b32 s6, 0x197bcfd8
	s_mov_b32 s7, 0x3efa01a0
	s_delay_alu instid0(VALU_DEP_1) | instid1(SALU_CYCLE_1)
	;; [unrolled: 4-line block ×7, first 2 shown]
	v_fma_f64 v[11:12], v[2:3], v[11:12], s[6:7]
	v_add_co_u32 v5, s7, s4, v5
	s_delay_alu instid0(VALU_DEP_1) | instskip(SKIP_1) | instid1(VALU_DEP_3)
	v_add_co_ci_u32_e64 v6, null, s5, 0, s7
	s_mov_b32 s6, 0
	v_fma_f64 v[11:12], v[2:3], v[11:12], 0.5
	s_delay_alu instid0(VALU_DEP_1) | instskip(NEXT) | instid1(VALU_DEP_1)
	v_mul_f64 v[11:12], v[2:3], v[11:12]
	v_fma_f64 v[2:3], v[2:3], v[11:12], v[2:3]
	s_delay_alu instid0(VALU_DEP_1) | instskip(NEXT) | instid1(VALU_DEP_1)
	v_fma_f64 v[0:1], v[0:1], v[2:3], v[13:14]
	v_add_f64 v[2:3], v[0:1], v[0:1]
	s_delay_alu instid0(VALU_DEP_1) | instskip(SKIP_1) | instid1(VALU_DEP_1)
	v_dual_cndmask_b32 v1, v1, v3 :: v_dual_cndmask_b32 v0, v0, v2
	s_and_b32 vcc_lo, s1, s0
	v_cndmask_b32_e64 v1, 0x7ff00000, v1, s0
	s_delay_alu instid0(VALU_DEP_2) | instskip(SKIP_2) | instid1(VALU_DEP_2)
	v_cndmask_b32_e32 v0, 0, v0, vcc_lo
	s_and_b32 vcc_lo, exec_lo, s2
	s_mov_b32 s0, -1
	v_cndmask_b32_e64 v1, 0xbff00000, v1, s1
	s_cbranch_vccnz .LBB113_1978
; %bb.1901:
	v_cmp_lt_i16_e32 vcc_lo, 25, v15
	s_mov_b32 s2, -1
	s_mov_b32 s1, 0
	s_mov_b32 s0, 0
	s_cbranch_vccz .LBB113_1934
; %bb.1902:
	v_cmp_lt_i16_e32 vcc_lo, 28, v15
	s_cbranch_vccz .LBB113_1917
; %bb.1903:
	v_cmp_lt_i16_e32 vcc_lo, 43, v15
	;; [unrolled: 3-line block ×3, first 2 shown]
	s_cbranch_vccz .LBB113_1907
; %bb.1905:
	v_cmp_eq_u16_e32 vcc_lo, 46, v15
	s_mov_b32 s0, -1
	s_mov_b32 s2, 0
	s_cbranch_vccz .LBB113_1907
; %bb.1906:
	v_cvt_f32_f64_e32 v2, v[0:1]
	s_mov_b32 s0, 0
	s_mov_b32 s6, -1
	s_delay_alu instid0(VALU_DEP_1) | instskip(SKIP_1) | instid1(VALU_DEP_2)
	v_bfe_u32 v3, v2, 16, 1
	v_cmp_o_f32_e32 vcc_lo, v2, v2
	v_add3_u32 v3, v2, v3, 0x7fff
	s_delay_alu instid0(VALU_DEP_1) | instskip(NEXT) | instid1(VALU_DEP_1)
	v_lshrrev_b32_e32 v3, 16, v3
	v_cndmask_b32_e32 v2, 0x7fc0, v3, vcc_lo
	global_store_b32 v[5:6], v2, off
.LBB113_1907:
	s_and_b32 vcc_lo, exec_lo, s2
	s_cbranch_vccz .LBB113_1912
; %bb.1908:
	v_cmp_eq_u16_e32 vcc_lo, 44, v15
	s_mov_b32 s0, -1
	s_cbranch_vccz .LBB113_1912
; %bb.1909:
	v_cvt_f32_f64_e32 v2, v[0:1]
	v_mov_b32_e32 v3, 0xff
	s_mov_b32 s2, exec_lo
	s_delay_alu instid0(VALU_DEP_2) | instskip(NEXT) | instid1(VALU_DEP_1)
	v_bfe_u32 v9, v2, 23, 8
	v_cmpx_ne_u32_e32 0xff, v9
; %bb.1910:
	v_and_b32_e32 v3, 0x400000, v2
	v_and_or_b32 v9, 0x3fffff, v2, v9
	v_lshrrev_b32_e32 v2, 23, v2
	s_delay_alu instid0(VALU_DEP_3) | instskip(NEXT) | instid1(VALU_DEP_3)
	v_cmp_ne_u32_e32 vcc_lo, 0, v3
	v_cmp_ne_u32_e64 s0, 0, v9
	s_delay_alu instid0(VALU_DEP_1) | instskip(NEXT) | instid1(SALU_CYCLE_1)
	s_and_b32 s0, vcc_lo, s0
	v_cndmask_b32_e64 v3, 0, 1, s0
	s_delay_alu instid0(VALU_DEP_1)
	v_add_nc_u32_e32 v3, v2, v3
; %bb.1911:
	s_or_b32 exec_lo, exec_lo, s2
	s_mov_b32 s0, 0
	s_mov_b32 s6, -1
	global_store_b8 v[5:6], v3, off
.LBB113_1912:
	s_mov_b32 s2, 0
.LBB113_1913:
	s_delay_alu instid0(SALU_CYCLE_1)
	s_and_b32 vcc_lo, exec_lo, s2
	s_cbranch_vccz .LBB113_1916
; %bb.1914:
	v_cmp_eq_u16_e32 vcc_lo, 29, v15
	s_mov_b32 s0, -1
	s_cbranch_vccz .LBB113_1916
; %bb.1915:
	v_trunc_f64_e32 v[2:3], v[0:1]
	s_mov_b32 s0, 0
	s_mov_b32 s6, -1
	s_delay_alu instid0(VALU_DEP_1) | instskip(NEXT) | instid1(VALU_DEP_1)
	v_ldexp_f64 v[9:10], v[2:3], 0xffffffe0
	v_floor_f64_e32 v[9:10], v[9:10]
	s_delay_alu instid0(VALU_DEP_1) | instskip(SKIP_1) | instid1(VALU_DEP_2)
	v_fma_f64 v[2:3], 0xc1f00000, v[9:10], v[2:3]
	v_cvt_u32_f64_e32 v10, v[9:10]
	v_cvt_u32_f64_e32 v9, v[2:3]
	global_store_b64 v[5:6], v[9:10], off
.LBB113_1916:
	s_mov_b32 s2, 0
.LBB113_1917:
	s_delay_alu instid0(SALU_CYCLE_1)
	s_and_b32 vcc_lo, exec_lo, s2
	s_cbranch_vccz .LBB113_1933
; %bb.1918:
	v_cmp_gt_i16_e32 vcc_lo, 27, v15
	s_mov_b32 s2, -1
	s_cbranch_vccnz .LBB113_1924
; %bb.1919:
	v_cvt_u32_f64_e32 v2, v[0:1]
	v_cmp_lt_i16_e32 vcc_lo, 27, v15
	s_cbranch_vccz .LBB113_1921
; %bb.1920:
	s_mov_b32 s2, 0
	global_store_b32 v[5:6], v2, off
.LBB113_1921:
	s_and_not1_b32 vcc_lo, exec_lo, s2
	s_cbranch_vccnz .LBB113_1923
; %bb.1922:
	global_store_b16 v[5:6], v2, off
.LBB113_1923:
	s_mov_b32 s2, 0
.LBB113_1924:
	s_delay_alu instid0(SALU_CYCLE_1)
	s_and_not1_b32 vcc_lo, exec_lo, s2
	s_cbranch_vccnz .LBB113_1932
; %bb.1925:
	v_cvt_f32_f64_e32 v2, v[0:1]
	v_mov_b32_e32 v9, 0x80
	s_mov_b32 s2, exec_lo
	s_delay_alu instid0(VALU_DEP_2) | instskip(NEXT) | instid1(VALU_DEP_1)
	v_and_b32_e32 v3, 0x7fffffff, v2
	v_cmpx_gt_u32_e32 0x43800000, v3
	s_cbranch_execz .LBB113_1931
; %bb.1926:
	v_cmp_lt_u32_e32 vcc_lo, 0x3bffffff, v3
	s_mov_b32 s6, 0
                                        ; implicit-def: $vgpr3
	s_and_saveexec_b32 s7, vcc_lo
	s_delay_alu instid0(SALU_CYCLE_1)
	s_xor_b32 s7, exec_lo, s7
	s_cbranch_execz .LBB113_2157
; %bb.1927:
	v_bfe_u32 v3, v2, 20, 1
	s_mov_b32 s6, exec_lo
	s_delay_alu instid0(VALU_DEP_1) | instskip(NEXT) | instid1(VALU_DEP_1)
	v_add3_u32 v3, v2, v3, 0x487ffff
	v_lshrrev_b32_e32 v3, 20, v3
	s_or_saveexec_b32 s7, s7
                                        ; implicit-def: $sgpr10
	s_delay_alu instid0(SALU_CYCLE_1)
	s_xor_b32 exec_lo, exec_lo, s7
	s_cbranch_execnz .LBB113_2158
.LBB113_1928:
	s_or_b32 exec_lo, exec_lo, s7
	v_mov_b32_e32 v9, s10
	s_and_saveexec_b32 s7, s6
.LBB113_1929:
	v_lshrrev_b32_e32 v2, 24, v2
	s_delay_alu instid0(VALU_DEP_1)
	v_and_or_b32 v9, 0x80, v2, v3
.LBB113_1930:
	s_or_b32 exec_lo, exec_lo, s7
.LBB113_1931:
	s_delay_alu instid0(SALU_CYCLE_1)
	s_or_b32 exec_lo, exec_lo, s2
	global_store_b8 v[5:6], v9, off
.LBB113_1932:
	s_mov_b32 s6, -1
.LBB113_1933:
	s_mov_b32 s2, 0
.LBB113_1934:
	s_delay_alu instid0(SALU_CYCLE_1)
	s_and_b32 vcc_lo, exec_lo, s2
	s_cbranch_vccz .LBB113_1974
; %bb.1935:
	v_cmp_lt_i16_e32 vcc_lo, 22, v15
	s_mov_b32 s1, -1
	s_cbranch_vccz .LBB113_1967
; %bb.1936:
	v_cmp_gt_i16_e32 vcc_lo, 24, v15
	s_cbranch_vccnz .LBB113_1956
; %bb.1937:
	v_cmp_lt_i16_e32 vcc_lo, 24, v15
	s_cbranch_vccz .LBB113_1945
; %bb.1938:
	v_cvt_f32_f64_e32 v2, v[0:1]
	v_mov_b32_e32 v9, 0x80
	s_mov_b32 s1, exec_lo
	s_delay_alu instid0(VALU_DEP_2) | instskip(NEXT) | instid1(VALU_DEP_1)
	v_and_b32_e32 v3, 0x7fffffff, v2
	v_cmpx_gt_u32_e32 0x47800000, v3
	s_cbranch_execz .LBB113_1944
; %bb.1939:
	v_cmp_lt_u32_e32 vcc_lo, 0x37ffffff, v3
	s_mov_b32 s2, 0
                                        ; implicit-def: $vgpr3
	s_and_saveexec_b32 s6, vcc_lo
	s_delay_alu instid0(SALU_CYCLE_1)
	s_xor_b32 s6, exec_lo, s6
	s_cbranch_execz .LBB113_2163
; %bb.1940:
	v_bfe_u32 v3, v2, 21, 1
	s_mov_b32 s2, exec_lo
	s_delay_alu instid0(VALU_DEP_1) | instskip(NEXT) | instid1(VALU_DEP_1)
	v_add3_u32 v3, v2, v3, 0x88fffff
	v_lshrrev_b32_e32 v3, 21, v3
	s_or_saveexec_b32 s6, s6
                                        ; implicit-def: $sgpr7
	s_delay_alu instid0(SALU_CYCLE_1)
	s_xor_b32 exec_lo, exec_lo, s6
	s_cbranch_execnz .LBB113_2164
.LBB113_1941:
	s_or_b32 exec_lo, exec_lo, s6
	v_mov_b32_e32 v9, s7
	s_and_saveexec_b32 s6, s2
.LBB113_1942:
	v_lshrrev_b32_e32 v2, 24, v2
	s_delay_alu instid0(VALU_DEP_1)
	v_and_or_b32 v9, 0x80, v2, v3
.LBB113_1943:
	s_or_b32 exec_lo, exec_lo, s6
.LBB113_1944:
	s_delay_alu instid0(SALU_CYCLE_1)
	s_or_b32 exec_lo, exec_lo, s1
	s_mov_b32 s1, 0
	global_store_b8 v[5:6], v9, off
.LBB113_1945:
	s_and_b32 vcc_lo, exec_lo, s1
	s_cbranch_vccz .LBB113_1955
; %bb.1946:
	v_cvt_f32_f64_e32 v2, v[0:1]
	s_mov_b32 s1, exec_lo
                                        ; implicit-def: $vgpr3
	s_delay_alu instid0(VALU_DEP_1) | instskip(NEXT) | instid1(VALU_DEP_1)
	v_and_b32_e32 v9, 0x7fffffff, v2
	v_cmpx_gt_u32_e32 0x43f00000, v9
	s_xor_b32 s1, exec_lo, s1
	s_cbranch_execz .LBB113_1952
; %bb.1947:
	s_mov_b32 s2, exec_lo
                                        ; implicit-def: $vgpr3
	v_cmpx_lt_u32_e32 0x3c7fffff, v9
	s_xor_b32 s2, exec_lo, s2
; %bb.1948:
	v_bfe_u32 v3, v2, 20, 1
	s_delay_alu instid0(VALU_DEP_1) | instskip(NEXT) | instid1(VALU_DEP_1)
	v_add3_u32 v3, v2, v3, 0x407ffff
	v_and_b32_e32 v9, 0xff00000, v3
	v_lshrrev_b32_e32 v3, 20, v3
	s_delay_alu instid0(VALU_DEP_2) | instskip(NEXT) | instid1(VALU_DEP_2)
	v_cmp_ne_u32_e32 vcc_lo, 0x7f00000, v9
	v_cndmask_b32_e32 v3, 0x7e, v3, vcc_lo
; %bb.1949:
	s_and_not1_saveexec_b32 s2, s2
; %bb.1950:
	v_add_f32_e64 v3, 0x46800000, |v2|
; %bb.1951:
	s_or_b32 exec_lo, exec_lo, s2
                                        ; implicit-def: $vgpr9
.LBB113_1952:
	s_and_not1_saveexec_b32 s1, s1
; %bb.1953:
	v_mov_b32_e32 v3, 0x7f
	v_cmp_lt_u32_e32 vcc_lo, 0x7f800000, v9
	s_delay_alu instid0(VALU_DEP_2)
	v_cndmask_b32_e32 v3, 0x7e, v3, vcc_lo
; %bb.1954:
	s_or_b32 exec_lo, exec_lo, s1
	v_lshrrev_b32_e32 v2, 24, v2
	s_delay_alu instid0(VALU_DEP_1)
	v_and_or_b32 v2, 0x80, v2, v3
	global_store_b8 v[5:6], v2, off
.LBB113_1955:
	s_mov_b32 s1, 0
.LBB113_1956:
	s_delay_alu instid0(SALU_CYCLE_1)
	s_and_not1_b32 vcc_lo, exec_lo, s1
	s_cbranch_vccnz .LBB113_1966
; %bb.1957:
	v_cvt_f32_f64_e32 v2, v[0:1]
	s_mov_b32 s1, exec_lo
                                        ; implicit-def: $vgpr3
	s_delay_alu instid0(VALU_DEP_1) | instskip(NEXT) | instid1(VALU_DEP_1)
	v_and_b32_e32 v9, 0x7fffffff, v2
	v_cmpx_gt_u32_e32 0x47800000, v9
	s_xor_b32 s1, exec_lo, s1
	s_cbranch_execz .LBB113_1963
; %bb.1958:
	s_mov_b32 s2, exec_lo
                                        ; implicit-def: $vgpr3
	v_cmpx_lt_u32_e32 0x387fffff, v9
	s_xor_b32 s2, exec_lo, s2
; %bb.1959:
	v_bfe_u32 v3, v2, 21, 1
	s_delay_alu instid0(VALU_DEP_1) | instskip(NEXT) | instid1(VALU_DEP_1)
	v_add3_u32 v3, v2, v3, 0x80fffff
	v_lshrrev_b32_e32 v3, 21, v3
; %bb.1960:
	s_and_not1_saveexec_b32 s2, s2
; %bb.1961:
	v_add_f32_e64 v3, 0x43000000, |v2|
; %bb.1962:
	s_or_b32 exec_lo, exec_lo, s2
                                        ; implicit-def: $vgpr9
.LBB113_1963:
	s_and_not1_saveexec_b32 s1, s1
; %bb.1964:
	v_mov_b32_e32 v3, 0x7f
	v_cmp_lt_u32_e32 vcc_lo, 0x7f800000, v9
	s_delay_alu instid0(VALU_DEP_2)
	v_cndmask_b32_e32 v3, 0x7c, v3, vcc_lo
; %bb.1965:
	s_or_b32 exec_lo, exec_lo, s1
	v_lshrrev_b32_e32 v2, 24, v2
	s_delay_alu instid0(VALU_DEP_1)
	v_and_or_b32 v2, 0x80, v2, v3
	global_store_b8 v[5:6], v2, off
.LBB113_1966:
	s_mov_b32 s1, 0
	s_mov_b32 s6, -1
.LBB113_1967:
	s_and_not1_b32 vcc_lo, exec_lo, s1
	s_mov_b32 s1, 0
	s_cbranch_vccnz .LBB113_1974
; %bb.1968:
	v_cmp_lt_i16_e32 vcc_lo, 14, v15
	s_mov_b32 s1, -1
	s_cbranch_vccz .LBB113_1972
; %bb.1969:
	v_cmp_eq_u16_e32 vcc_lo, 15, v15
	s_mov_b32 s0, -1
	s_cbranch_vccz .LBB113_1971
; %bb.1970:
	v_cvt_f32_f64_e32 v2, v[0:1]
	s_mov_b32 s0, 0
	s_mov_b32 s6, -1
	s_delay_alu instid0(VALU_DEP_1) | instskip(SKIP_1) | instid1(VALU_DEP_2)
	v_bfe_u32 v3, v2, 16, 1
	v_cmp_o_f32_e32 vcc_lo, v2, v2
	v_add3_u32 v3, v2, v3, 0x7fff
	s_delay_alu instid0(VALU_DEP_1) | instskip(NEXT) | instid1(VALU_DEP_1)
	v_lshrrev_b32_e32 v3, 16, v3
	v_cndmask_b32_e32 v2, 0x7fc0, v3, vcc_lo
	global_store_b16 v[5:6], v2, off
.LBB113_1971:
	s_mov_b32 s1, 0
.LBB113_1972:
	s_delay_alu instid0(SALU_CYCLE_1)
	s_and_b32 vcc_lo, exec_lo, s1
	s_mov_b32 s1, 0
	s_cbranch_vccz .LBB113_1974
; %bb.1973:
	v_cmp_ne_u16_e64 s0, 11, v15
	s_mov_b32 s1, -1
.LBB113_1974:
	s_delay_alu instid0(VALU_DEP_1)
	s_and_b32 vcc_lo, exec_lo, s0
	s_cbranch_vccnz .LBB113_2161
; %bb.1975:
	s_and_not1_b32 vcc_lo, exec_lo, s1
	s_cbranch_vccnz .LBB113_1977
.LBB113_1976:
	v_cmp_neq_f64_e32 vcc_lo, 0, v[0:1]
	s_mov_b32 s6, -1
	v_cndmask_b32_e64 v2, 0, 1, vcc_lo
	global_store_b8 v[5:6], v2, off
.LBB113_1977:
	s_mov_b32 s0, 0
.LBB113_1978:
	s_delay_alu instid0(SALU_CYCLE_1)
	s_and_b32 vcc_lo, exec_lo, s0
	s_cbranch_vccz .LBB113_2017
; %bb.1979:
	v_cmp_gt_i16_e32 vcc_lo, 5, v15
	s_mov_b32 s0, -1
	s_cbranch_vccnz .LBB113_2000
; %bb.1980:
	v_cmp_gt_i16_e32 vcc_lo, 8, v15
	s_cbranch_vccnz .LBB113_1990
; %bb.1981:
	v_cmp_gt_i16_e32 vcc_lo, 9, v15
	s_cbranch_vccnz .LBB113_1987
; %bb.1982:
	v_cmp_lt_i16_e32 vcc_lo, 9, v15
	s_cbranch_vccz .LBB113_1984
; %bb.1983:
	v_mov_b32_e32 v2, 0
	s_mov_b32 s0, 0
	s_delay_alu instid0(VALU_DEP_1)
	v_mov_b32_e32 v3, v2
	global_store_b128 v[5:6], v[0:3], off
.LBB113_1984:
	s_and_not1_b32 vcc_lo, exec_lo, s0
	s_cbranch_vccnz .LBB113_1986
; %bb.1985:
	v_cvt_f32_f64_e32 v2, v[0:1]
	v_mov_b32_e32 v3, 0
	global_store_b64 v[5:6], v[2:3], off
.LBB113_1986:
	s_mov_b32 s0, 0
.LBB113_1987:
	s_delay_alu instid0(SALU_CYCLE_1)
	s_and_not1_b32 vcc_lo, exec_lo, s0
	s_cbranch_vccnz .LBB113_1989
; %bb.1988:
	v_cvt_f32_f64_e32 v2, v[0:1]
	s_delay_alu instid0(VALU_DEP_1) | instskip(NEXT) | instid1(VALU_DEP_1)
	v_cvt_f16_f32_e32 v2, v2
	v_and_b32_e32 v2, 0xffff, v2
	global_store_b32 v[5:6], v2, off
.LBB113_1989:
	s_mov_b32 s0, 0
.LBB113_1990:
	s_delay_alu instid0(SALU_CYCLE_1)
	s_and_not1_b32 vcc_lo, exec_lo, s0
	s_cbranch_vccnz .LBB113_1999
; %bb.1991:
	v_cmp_gt_i16_e32 vcc_lo, 6, v15
	s_mov_b32 s0, -1
	s_cbranch_vccnz .LBB113_1997
; %bb.1992:
	v_cmp_lt_i16_e32 vcc_lo, 6, v15
	s_cbranch_vccz .LBB113_1994
; %bb.1993:
	s_mov_b32 s0, 0
	global_store_b64 v[5:6], v[0:1], off
.LBB113_1994:
	s_and_not1_b32 vcc_lo, exec_lo, s0
	s_cbranch_vccnz .LBB113_1996
; %bb.1995:
	v_cvt_f32_f64_e32 v2, v[0:1]
	global_store_b32 v[5:6], v2, off
.LBB113_1996:
	s_mov_b32 s0, 0
.LBB113_1997:
	s_delay_alu instid0(SALU_CYCLE_1)
	s_and_not1_b32 vcc_lo, exec_lo, s0
	s_cbranch_vccnz .LBB113_1999
; %bb.1998:
	v_cvt_f32_f64_e32 v2, v[0:1]
	s_delay_alu instid0(VALU_DEP_1)
	v_cvt_f16_f32_e32 v2, v2
	global_store_b16 v[5:6], v2, off
.LBB113_1999:
	s_mov_b32 s0, 0
.LBB113_2000:
	s_delay_alu instid0(SALU_CYCLE_1)
	s_and_not1_b32 vcc_lo, exec_lo, s0
	s_cbranch_vccnz .LBB113_2016
; %bb.2001:
	v_cmp_gt_i16_e32 vcc_lo, 2, v15
	s_mov_b32 s0, -1
	s_cbranch_vccnz .LBB113_2011
; %bb.2002:
	v_cmp_gt_i16_e32 vcc_lo, 3, v15
	s_cbranch_vccnz .LBB113_2008
; %bb.2003:
	v_cmp_lt_i16_e32 vcc_lo, 3, v15
	s_cbranch_vccz .LBB113_2005
; %bb.2004:
	v_trunc_f64_e32 v[2:3], v[0:1]
	s_mov_b32 s0, 0
	s_delay_alu instid0(VALU_DEP_1) | instskip(NEXT) | instid1(VALU_DEP_1)
	v_ldexp_f64 v[9:10], v[2:3], 0xffffffe0
	v_floor_f64_e32 v[9:10], v[9:10]
	s_delay_alu instid0(VALU_DEP_1) | instskip(SKIP_1) | instid1(VALU_DEP_2)
	v_fma_f64 v[2:3], 0xc1f00000, v[9:10], v[2:3]
	v_cvt_i32_f64_e32 v10, v[9:10]
	v_cvt_u32_f64_e32 v9, v[2:3]
	global_store_b64 v[5:6], v[9:10], off
.LBB113_2005:
	s_and_not1_b32 vcc_lo, exec_lo, s0
	s_cbranch_vccnz .LBB113_2007
; %bb.2006:
	v_cvt_i32_f64_e32 v2, v[0:1]
	global_store_b32 v[5:6], v2, off
.LBB113_2007:
	s_mov_b32 s0, 0
.LBB113_2008:
	s_delay_alu instid0(SALU_CYCLE_1)
	s_and_not1_b32 vcc_lo, exec_lo, s0
	s_cbranch_vccnz .LBB113_2010
; %bb.2009:
	v_cvt_i32_f64_e32 v2, v[0:1]
	global_store_b16 v[5:6], v2, off
.LBB113_2010:
	s_mov_b32 s0, 0
.LBB113_2011:
	s_delay_alu instid0(SALU_CYCLE_1)
	s_and_not1_b32 vcc_lo, exec_lo, s0
	s_cbranch_vccnz .LBB113_2016
; %bb.2012:
	v_cmp_lt_i16_e32 vcc_lo, 0, v15
	s_mov_b32 s0, -1
	s_cbranch_vccz .LBB113_2014
; %bb.2013:
	v_cvt_i32_f64_e32 v2, v[0:1]
	s_mov_b32 s0, 0
	global_store_b8 v[5:6], v2, off
.LBB113_2014:
	s_and_not1_b32 vcc_lo, exec_lo, s0
	s_cbranch_vccnz .LBB113_2016
; %bb.2015:
	v_trunc_f64_e32 v[0:1], v[0:1]
	s_delay_alu instid0(VALU_DEP_1) | instskip(NEXT) | instid1(VALU_DEP_1)
	v_ldexp_f64 v[2:3], v[0:1], 0xffffffe0
	v_floor_f64_e32 v[2:3], v[2:3]
	s_delay_alu instid0(VALU_DEP_1) | instskip(NEXT) | instid1(VALU_DEP_1)
	v_fma_f64 v[0:1], 0xc1f00000, v[2:3], v[0:1]
	v_cvt_u32_f64_e32 v0, v[0:1]
	global_store_b8 v[5:6], v0, off
.LBB113_2016:
	s_mov_b32 s6, -1
.LBB113_2017:
	s_delay_alu instid0(SALU_CYCLE_1)
	s_and_not1_b32 vcc_lo, exec_lo, s6
	s_cbranch_vccnz .LBB113_2094
; %bb.2018:
	s_mov_b32 s0, 0x652b82fe
	s_mov_b32 s1, 0x3ff71547
	;; [unrolled: 1-line block ×3, first 2 shown]
	v_mul_f64 v[0:1], v[7:8], s[0:1]
	s_mov_b32 s1, 0xbfe62e42
	s_mov_b32 s0, 0xfefa39ef
	;; [unrolled: 1-line block ×5, first 2 shown]
	v_cmp_gt_i16_e64 s2, 11, v15
	v_add_co_u32 v4, s4, s4, v4
	s_delay_alu instid0(VALU_DEP_3) | instskip(NEXT) | instid1(VALU_DEP_1)
	v_rndne_f64_e32 v[0:1], v[0:1]
	v_fma_f64 v[2:3], v[0:1], s[0:1], v[7:8]
	v_cvt_i32_f64_e32 v9, v[0:1]
	v_cmp_eq_f64_e32 vcc_lo, 0x40900000, v[0:1]
	s_mov_b32 s1, 0x40862e42
	s_delay_alu instid0(SALU_CYCLE_1)
	v_cmp_nlt_f64_e64 s0, s[0:1], v[7:8]
	v_cmp_ngt_f64_e64 s1, 0xc0428000, v[7:8]
	v_fma_f64 v[2:3], v[0:1], s[6:7], v[2:3]
	s_mov_b32 s6, 0x2a1b768b
	s_mov_b32 s7, 0x3e5af4eb
	v_cndmask_b32_e64 v0, v9, 0x3ff, vcc_lo
	s_delay_alu instid0(VALU_DEP_1) | instskip(NEXT) | instid1(VALU_DEP_3)
	v_ldexp_f64 v[0:1], 1.0, v0
	v_fma_f64 v[5:6], v[2:3], s[10:11], s[6:7]
	s_mov_b32 s6, 0xe0ac05b
	s_mov_b32 s7, 0x3e927e50
	s_delay_alu instid0(VALU_DEP_2) | instskip(NEXT) | instid1(VALU_DEP_2)
	v_add_f64 v[9:10], v[0:1], -1.0
	v_fma_f64 v[5:6], v[2:3], v[5:6], s[6:7]
	s_mov_b32 s6, 0x1b889c29
	s_mov_b32 s7, 0x3ec71de0
	s_delay_alu instid0(VALU_DEP_1) | instid1(SALU_CYCLE_1)
	v_fma_f64 v[5:6], v[2:3], v[5:6], s[6:7]
	s_mov_b32 s6, 0x197bcfd8
	s_mov_b32 s7, 0x3efa01a0
	s_delay_alu instid0(VALU_DEP_1) | instid1(SALU_CYCLE_1)
	;; [unrolled: 4-line block ×7, first 2 shown]
	v_fma_f64 v[5:6], v[2:3], v[5:6], s[6:7]
	s_mov_b32 s6, 0
	s_delay_alu instid0(VALU_DEP_1) | instskip(NEXT) | instid1(VALU_DEP_1)
	v_fma_f64 v[5:6], v[2:3], v[5:6], 0.5
	v_mul_f64 v[5:6], v[2:3], v[5:6]
	s_delay_alu instid0(VALU_DEP_1) | instskip(SKIP_1) | instid1(VALU_DEP_2)
	v_fma_f64 v[2:3], v[2:3], v[5:6], v[2:3]
	v_add_co_ci_u32_e64 v5, null, s5, 0, s4
	v_fma_f64 v[0:1], v[0:1], v[2:3], v[9:10]
	s_delay_alu instid0(VALU_DEP_1) | instskip(NEXT) | instid1(VALU_DEP_1)
	v_add_f64 v[2:3], v[0:1], v[0:1]
	v_dual_cndmask_b32 v1, v1, v3 :: v_dual_cndmask_b32 v0, v0, v2
	s_and_b32 vcc_lo, s1, s0
	s_delay_alu instid0(VALU_DEP_1) | instskip(NEXT) | instid1(VALU_DEP_2)
	v_cndmask_b32_e64 v1, 0x7ff00000, v1, s0
	v_cndmask_b32_e32 v0, 0, v0, vcc_lo
	s_and_b32 vcc_lo, exec_lo, s2
	s_mov_b32 s0, -1
	s_delay_alu instid0(VALU_DEP_2)
	v_cndmask_b32_e64 v1, 0xbff00000, v1, s1
	s_cbranch_vccnz .LBB113_2095
; %bb.2019:
	v_cmp_lt_i16_e32 vcc_lo, 25, v15
	s_mov_b32 s1, -1
	s_mov_b32 s0, 0
	s_cbranch_vccz .LBB113_2052
; %bb.2020:
	v_cmp_lt_i16_e32 vcc_lo, 28, v15
	s_cbranch_vccz .LBB113_2036
; %bb.2021:
	v_cmp_lt_i16_e32 vcc_lo, 43, v15
	;; [unrolled: 3-line block ×3, first 2 shown]
	s_cbranch_vccz .LBB113_2026
; %bb.2023:
	v_cmp_eq_u16_e32 vcc_lo, 46, v15
	s_mov_b32 s0, -1
	s_cbranch_vccz .LBB113_2025
; %bb.2024:
	v_cvt_f32_f64_e32 v2, v[0:1]
	s_mov_b32 s0, 0
	s_delay_alu instid0(VALU_DEP_1) | instskip(SKIP_1) | instid1(VALU_DEP_2)
	v_bfe_u32 v3, v2, 16, 1
	v_cmp_o_f32_e32 vcc_lo, v2, v2
	v_add3_u32 v3, v2, v3, 0x7fff
	s_delay_alu instid0(VALU_DEP_1) | instskip(NEXT) | instid1(VALU_DEP_1)
	v_lshrrev_b32_e32 v3, 16, v3
	v_cndmask_b32_e32 v2, 0x7fc0, v3, vcc_lo
	global_store_b32 v[4:5], v2, off
.LBB113_2025:
	s_mov_b32 s1, 0
.LBB113_2026:
	s_delay_alu instid0(SALU_CYCLE_1)
	s_and_b32 vcc_lo, exec_lo, s1
	s_cbranch_vccz .LBB113_2031
; %bb.2027:
	v_cmp_eq_u16_e32 vcc_lo, 44, v15
	s_mov_b32 s0, -1
	s_cbranch_vccz .LBB113_2031
; %bb.2028:
	v_cvt_f32_f64_e32 v2, v[0:1]
	v_mov_b32_e32 v3, 0xff
	s_mov_b32 s1, exec_lo
	s_delay_alu instid0(VALU_DEP_2) | instskip(NEXT) | instid1(VALU_DEP_1)
	v_bfe_u32 v6, v2, 23, 8
	v_cmpx_ne_u32_e32 0xff, v6
; %bb.2029:
	v_and_b32_e32 v3, 0x400000, v2
	v_and_or_b32 v6, 0x3fffff, v2, v6
	v_lshrrev_b32_e32 v2, 23, v2
	s_delay_alu instid0(VALU_DEP_3) | instskip(NEXT) | instid1(VALU_DEP_3)
	v_cmp_ne_u32_e32 vcc_lo, 0, v3
	v_cmp_ne_u32_e64 s0, 0, v6
	s_delay_alu instid0(VALU_DEP_1) | instskip(NEXT) | instid1(SALU_CYCLE_1)
	s_and_b32 s0, vcc_lo, s0
	v_cndmask_b32_e64 v3, 0, 1, s0
	s_delay_alu instid0(VALU_DEP_1)
	v_add_nc_u32_e32 v3, v2, v3
; %bb.2030:
	s_or_b32 exec_lo, exec_lo, s1
	s_mov_b32 s0, 0
	global_store_b8 v[4:5], v3, off
.LBB113_2031:
	s_mov_b32 s1, 0
.LBB113_2032:
	s_delay_alu instid0(SALU_CYCLE_1)
	s_and_b32 vcc_lo, exec_lo, s1
	s_cbranch_vccz .LBB113_2035
; %bb.2033:
	v_cmp_eq_u16_e32 vcc_lo, 29, v15
	s_mov_b32 s0, -1
	s_cbranch_vccz .LBB113_2035
; %bb.2034:
	v_trunc_f64_e32 v[2:3], v[0:1]
	s_mov_b32 s0, 0
	s_delay_alu instid0(VALU_DEP_1) | instskip(NEXT) | instid1(VALU_DEP_1)
	v_ldexp_f64 v[6:7], v[2:3], 0xffffffe0
	v_floor_f64_e32 v[6:7], v[6:7]
	s_delay_alu instid0(VALU_DEP_1) | instskip(SKIP_1) | instid1(VALU_DEP_2)
	v_fma_f64 v[2:3], 0xc1f00000, v[6:7], v[2:3]
	v_cvt_u32_f64_e32 v7, v[6:7]
	v_cvt_u32_f64_e32 v6, v[2:3]
	global_store_b64 v[4:5], v[6:7], off
.LBB113_2035:
	s_mov_b32 s1, 0
.LBB113_2036:
	s_delay_alu instid0(SALU_CYCLE_1)
	s_and_b32 vcc_lo, exec_lo, s1
	s_cbranch_vccz .LBB113_2051
; %bb.2037:
	v_cmp_gt_i16_e32 vcc_lo, 27, v15
	s_mov_b32 s1, -1
	s_cbranch_vccnz .LBB113_2043
; %bb.2038:
	v_cvt_u32_f64_e32 v2, v[0:1]
	v_cmp_lt_i16_e32 vcc_lo, 27, v15
	s_cbranch_vccz .LBB113_2040
; %bb.2039:
	s_mov_b32 s1, 0
	global_store_b32 v[4:5], v2, off
.LBB113_2040:
	s_and_not1_b32 vcc_lo, exec_lo, s1
	s_cbranch_vccnz .LBB113_2042
; %bb.2041:
	global_store_b16 v[4:5], v2, off
.LBB113_2042:
	s_mov_b32 s1, 0
.LBB113_2043:
	s_delay_alu instid0(SALU_CYCLE_1)
	s_and_not1_b32 vcc_lo, exec_lo, s1
	s_cbranch_vccnz .LBB113_2051
; %bb.2044:
	v_cvt_f32_f64_e32 v2, v[0:1]
	v_mov_b32_e32 v6, 0x80
	s_mov_b32 s1, exec_lo
	s_delay_alu instid0(VALU_DEP_2) | instskip(NEXT) | instid1(VALU_DEP_1)
	v_and_b32_e32 v3, 0x7fffffff, v2
	v_cmpx_gt_u32_e32 0x43800000, v3
	s_cbranch_execz .LBB113_2050
; %bb.2045:
	v_cmp_lt_u32_e32 vcc_lo, 0x3bffffff, v3
	s_mov_b32 s2, 0
                                        ; implicit-def: $vgpr3
	s_and_saveexec_b32 s4, vcc_lo
	s_delay_alu instid0(SALU_CYCLE_1)
	s_xor_b32 s4, exec_lo, s4
	s_cbranch_execz .LBB113_2165
; %bb.2046:
	v_bfe_u32 v3, v2, 20, 1
	s_mov_b32 s2, exec_lo
	s_delay_alu instid0(VALU_DEP_1) | instskip(NEXT) | instid1(VALU_DEP_1)
	v_add3_u32 v3, v2, v3, 0x487ffff
	v_lshrrev_b32_e32 v3, 20, v3
	s_or_saveexec_b32 s4, s4
                                        ; implicit-def: $sgpr5
	s_delay_alu instid0(SALU_CYCLE_1)
	s_xor_b32 exec_lo, exec_lo, s4
	s_cbranch_execnz .LBB113_2166
.LBB113_2047:
	s_or_b32 exec_lo, exec_lo, s4
	v_mov_b32_e32 v6, s5
	s_and_saveexec_b32 s4, s2
.LBB113_2048:
	v_lshrrev_b32_e32 v2, 24, v2
	s_delay_alu instid0(VALU_DEP_1)
	v_and_or_b32 v6, 0x80, v2, v3
.LBB113_2049:
	s_or_b32 exec_lo, exec_lo, s4
.LBB113_2050:
	s_delay_alu instid0(SALU_CYCLE_1)
	s_or_b32 exec_lo, exec_lo, s1
	global_store_b8 v[4:5], v6, off
.LBB113_2051:
	s_mov_b32 s1, 0
.LBB113_2052:
	s_delay_alu instid0(SALU_CYCLE_1)
	s_and_b32 vcc_lo, exec_lo, s1
	s_cbranch_vccz .LBB113_2092
; %bb.2053:
	v_cmp_lt_i16_e32 vcc_lo, 22, v15
	s_mov_b32 s1, -1
	s_cbranch_vccz .LBB113_2085
; %bb.2054:
	v_cmp_gt_i16_e32 vcc_lo, 24, v15
	s_cbranch_vccnz .LBB113_2074
; %bb.2055:
	v_cmp_lt_i16_e32 vcc_lo, 24, v15
	s_cbranch_vccz .LBB113_2063
; %bb.2056:
	v_cvt_f32_f64_e32 v2, v[0:1]
	v_mov_b32_e32 v6, 0x80
	s_mov_b32 s1, exec_lo
	s_delay_alu instid0(VALU_DEP_2) | instskip(NEXT) | instid1(VALU_DEP_1)
	v_and_b32_e32 v3, 0x7fffffff, v2
	v_cmpx_gt_u32_e32 0x47800000, v3
	s_cbranch_execz .LBB113_2062
; %bb.2057:
	v_cmp_lt_u32_e32 vcc_lo, 0x37ffffff, v3
	s_mov_b32 s2, 0
                                        ; implicit-def: $vgpr3
	s_and_saveexec_b32 s4, vcc_lo
	s_delay_alu instid0(SALU_CYCLE_1)
	s_xor_b32 s4, exec_lo, s4
	s_cbranch_execz .LBB113_2171
; %bb.2058:
	v_bfe_u32 v3, v2, 21, 1
	s_mov_b32 s2, exec_lo
	s_delay_alu instid0(VALU_DEP_1) | instskip(NEXT) | instid1(VALU_DEP_1)
	v_add3_u32 v3, v2, v3, 0x88fffff
	v_lshrrev_b32_e32 v3, 21, v3
	s_or_saveexec_b32 s4, s4
                                        ; implicit-def: $sgpr5
	s_delay_alu instid0(SALU_CYCLE_1)
	s_xor_b32 exec_lo, exec_lo, s4
	s_cbranch_execnz .LBB113_2172
.LBB113_2059:
	s_or_b32 exec_lo, exec_lo, s4
	v_mov_b32_e32 v6, s5
	s_and_saveexec_b32 s4, s2
.LBB113_2060:
	v_lshrrev_b32_e32 v2, 24, v2
	s_delay_alu instid0(VALU_DEP_1)
	v_and_or_b32 v6, 0x80, v2, v3
.LBB113_2061:
	s_or_b32 exec_lo, exec_lo, s4
.LBB113_2062:
	s_delay_alu instid0(SALU_CYCLE_1)
	s_or_b32 exec_lo, exec_lo, s1
	s_mov_b32 s1, 0
	global_store_b8 v[4:5], v6, off
.LBB113_2063:
	s_and_b32 vcc_lo, exec_lo, s1
	s_cbranch_vccz .LBB113_2073
; %bb.2064:
	v_cvt_f32_f64_e32 v2, v[0:1]
	s_mov_b32 s1, exec_lo
                                        ; implicit-def: $vgpr3
	s_delay_alu instid0(VALU_DEP_1) | instskip(NEXT) | instid1(VALU_DEP_1)
	v_and_b32_e32 v6, 0x7fffffff, v2
	v_cmpx_gt_u32_e32 0x43f00000, v6
	s_xor_b32 s1, exec_lo, s1
	s_cbranch_execz .LBB113_2070
; %bb.2065:
	s_mov_b32 s2, exec_lo
                                        ; implicit-def: $vgpr3
	v_cmpx_lt_u32_e32 0x3c7fffff, v6
	s_xor_b32 s2, exec_lo, s2
; %bb.2066:
	v_bfe_u32 v3, v2, 20, 1
	s_delay_alu instid0(VALU_DEP_1) | instskip(NEXT) | instid1(VALU_DEP_1)
	v_add3_u32 v3, v2, v3, 0x407ffff
	v_and_b32_e32 v6, 0xff00000, v3
	v_lshrrev_b32_e32 v3, 20, v3
	s_delay_alu instid0(VALU_DEP_2) | instskip(NEXT) | instid1(VALU_DEP_2)
	v_cmp_ne_u32_e32 vcc_lo, 0x7f00000, v6
	v_cndmask_b32_e32 v3, 0x7e, v3, vcc_lo
; %bb.2067:
	s_and_not1_saveexec_b32 s2, s2
; %bb.2068:
	v_add_f32_e64 v3, 0x46800000, |v2|
; %bb.2069:
	s_or_b32 exec_lo, exec_lo, s2
                                        ; implicit-def: $vgpr6
.LBB113_2070:
	s_and_not1_saveexec_b32 s1, s1
; %bb.2071:
	v_mov_b32_e32 v3, 0x7f
	v_cmp_lt_u32_e32 vcc_lo, 0x7f800000, v6
	s_delay_alu instid0(VALU_DEP_2)
	v_cndmask_b32_e32 v3, 0x7e, v3, vcc_lo
; %bb.2072:
	s_or_b32 exec_lo, exec_lo, s1
	v_lshrrev_b32_e32 v2, 24, v2
	s_delay_alu instid0(VALU_DEP_1)
	v_and_or_b32 v2, 0x80, v2, v3
	global_store_b8 v[4:5], v2, off
.LBB113_2073:
	s_mov_b32 s1, 0
.LBB113_2074:
	s_delay_alu instid0(SALU_CYCLE_1)
	s_and_not1_b32 vcc_lo, exec_lo, s1
	s_cbranch_vccnz .LBB113_2084
; %bb.2075:
	v_cvt_f32_f64_e32 v2, v[0:1]
	s_mov_b32 s1, exec_lo
                                        ; implicit-def: $vgpr3
	s_delay_alu instid0(VALU_DEP_1) | instskip(NEXT) | instid1(VALU_DEP_1)
	v_and_b32_e32 v6, 0x7fffffff, v2
	v_cmpx_gt_u32_e32 0x47800000, v6
	s_xor_b32 s1, exec_lo, s1
	s_cbranch_execz .LBB113_2081
; %bb.2076:
	s_mov_b32 s2, exec_lo
                                        ; implicit-def: $vgpr3
	v_cmpx_lt_u32_e32 0x387fffff, v6
	s_xor_b32 s2, exec_lo, s2
; %bb.2077:
	v_bfe_u32 v3, v2, 21, 1
	s_delay_alu instid0(VALU_DEP_1) | instskip(NEXT) | instid1(VALU_DEP_1)
	v_add3_u32 v3, v2, v3, 0x80fffff
	v_lshrrev_b32_e32 v3, 21, v3
; %bb.2078:
	s_and_not1_saveexec_b32 s2, s2
; %bb.2079:
	v_add_f32_e64 v3, 0x43000000, |v2|
; %bb.2080:
	s_or_b32 exec_lo, exec_lo, s2
                                        ; implicit-def: $vgpr6
.LBB113_2081:
	s_and_not1_saveexec_b32 s1, s1
; %bb.2082:
	v_mov_b32_e32 v3, 0x7f
	v_cmp_lt_u32_e32 vcc_lo, 0x7f800000, v6
	s_delay_alu instid0(VALU_DEP_2)
	v_cndmask_b32_e32 v3, 0x7c, v3, vcc_lo
; %bb.2083:
	s_or_b32 exec_lo, exec_lo, s1
	v_lshrrev_b32_e32 v2, 24, v2
	s_delay_alu instid0(VALU_DEP_1)
	v_and_or_b32 v2, 0x80, v2, v3
	global_store_b8 v[4:5], v2, off
.LBB113_2084:
	s_mov_b32 s1, 0
.LBB113_2085:
	s_delay_alu instid0(SALU_CYCLE_1)
	s_and_not1_b32 vcc_lo, exec_lo, s1
	s_mov_b32 s6, 0
	s_cbranch_vccnz .LBB113_2092
; %bb.2086:
	v_cmp_lt_i16_e32 vcc_lo, 14, v15
	s_mov_b32 s1, -1
	s_cbranch_vccz .LBB113_2090
; %bb.2087:
	v_cmp_eq_u16_e32 vcc_lo, 15, v15
	s_mov_b32 s0, -1
	s_cbranch_vccz .LBB113_2089
; %bb.2088:
	v_cvt_f32_f64_e32 v2, v[0:1]
	s_mov_b32 s0, 0
	s_delay_alu instid0(VALU_DEP_1) | instskip(SKIP_1) | instid1(VALU_DEP_2)
	v_bfe_u32 v3, v2, 16, 1
	v_cmp_o_f32_e32 vcc_lo, v2, v2
	v_add3_u32 v3, v2, v3, 0x7fff
	s_delay_alu instid0(VALU_DEP_1) | instskip(NEXT) | instid1(VALU_DEP_1)
	v_lshrrev_b32_e32 v3, 16, v3
	v_cndmask_b32_e32 v2, 0x7fc0, v3, vcc_lo
	global_store_b16 v[4:5], v2, off
.LBB113_2089:
	s_mov_b32 s1, 0
.LBB113_2090:
	s_delay_alu instid0(SALU_CYCLE_1)
	s_and_b32 vcc_lo, exec_lo, s1
	s_cbranch_vccz .LBB113_2092
; %bb.2091:
	v_cmp_ne_u16_e64 s0, 11, v15
	s_mov_b32 s6, -1
.LBB113_2092:
	s_delay_alu instid0(VALU_DEP_1)
	s_and_b32 vcc_lo, exec_lo, s0
	s_cbranch_vccnz .LBB113_2169
.LBB113_2093:
	s_mov_b32 s0, 0
	s_branch .LBB113_2095
.LBB113_2094:
	s_mov_b32 s0, 0
	s_mov_b32 s6, 0
                                        ; implicit-def: $vgpr4_vgpr5
                                        ; implicit-def: $vgpr15
                                        ; implicit-def: $vgpr0_vgpr1
.LBB113_2095:
	s_and_b32 s2, s0, exec_lo
	s_and_not1_b32 s0, s8, exec_lo
	s_and_b32 s1, s3, exec_lo
	s_and_b32 s26, s6, exec_lo
	s_or_b32 s8, s0, s1
.LBB113_2096:
	s_or_b32 exec_lo, exec_lo, s9
	s_and_saveexec_b32 s0, s8
	s_cbranch_execz .LBB113_2099
; %bb.2097:
	; divergent unreachable
	s_or_b32 exec_lo, exec_lo, s0
	s_and_saveexec_b32 s0, s26
	s_delay_alu instid0(SALU_CYCLE_1)
	s_xor_b32 s0, exec_lo, s0
	s_cbranch_execnz .LBB113_2100
.LBB113_2098:
	s_or_b32 exec_lo, exec_lo, s0
	s_and_saveexec_b32 s0, s2
	s_cbranch_execnz .LBB113_2101
	s_branch .LBB113_2138
.LBB113_2099:
	s_or_b32 exec_lo, exec_lo, s0
	s_and_saveexec_b32 s0, s26
	s_delay_alu instid0(SALU_CYCLE_1)
	s_xor_b32 s0, exec_lo, s0
	s_cbranch_execz .LBB113_2098
.LBB113_2100:
	s_waitcnt vmcnt(0)
	s_delay_alu instid0(VALU_DEP_1)
	v_cmp_neq_f64_e32 vcc_lo, 0, v[0:1]
	v_cndmask_b32_e64 v2, 0, 1, vcc_lo
	global_store_b8 v[4:5], v2, off
	s_or_b32 exec_lo, exec_lo, s0
	s_and_saveexec_b32 s0, s2
	s_cbranch_execz .LBB113_2138
.LBB113_2101:
	v_cmp_gt_i16_e32 vcc_lo, 5, v15
	s_mov_b32 s0, -1
	s_cbranch_vccnz .LBB113_2122
; %bb.2102:
	v_cmp_gt_i16_e32 vcc_lo, 8, v15
	s_cbranch_vccnz .LBB113_2112
; %bb.2103:
	v_cmp_gt_i16_e32 vcc_lo, 9, v15
	s_cbranch_vccnz .LBB113_2109
; %bb.2104:
	v_cmp_lt_i16_e32 vcc_lo, 9, v15
	s_cbranch_vccz .LBB113_2106
; %bb.2105:
	s_waitcnt vmcnt(0)
	v_mov_b32_e32 v2, 0
	s_mov_b32 s0, 0
	s_delay_alu instid0(VALU_DEP_1)
	v_mov_b32_e32 v3, v2
	global_store_b128 v[4:5], v[0:3], off
.LBB113_2106:
	s_and_not1_b32 vcc_lo, exec_lo, s0
	s_cbranch_vccnz .LBB113_2108
; %bb.2107:
	s_waitcnt vmcnt(0)
	v_cvt_f32_f64_e32 v2, v[0:1]
	v_mov_b32_e32 v3, 0
	global_store_b64 v[4:5], v[2:3], off
.LBB113_2108:
	s_mov_b32 s0, 0
.LBB113_2109:
	s_delay_alu instid0(SALU_CYCLE_1)
	s_and_not1_b32 vcc_lo, exec_lo, s0
	s_cbranch_vccnz .LBB113_2111
; %bb.2110:
	s_waitcnt vmcnt(0)
	v_cvt_f32_f64_e32 v2, v[0:1]
	s_delay_alu instid0(VALU_DEP_1) | instskip(NEXT) | instid1(VALU_DEP_1)
	v_cvt_f16_f32_e32 v2, v2
	v_and_b32_e32 v2, 0xffff, v2
	global_store_b32 v[4:5], v2, off
.LBB113_2111:
	s_mov_b32 s0, 0
.LBB113_2112:
	s_delay_alu instid0(SALU_CYCLE_1)
	s_and_not1_b32 vcc_lo, exec_lo, s0
	s_cbranch_vccnz .LBB113_2121
; %bb.2113:
	v_cmp_gt_i16_e32 vcc_lo, 6, v15
	s_mov_b32 s0, -1
	s_cbranch_vccnz .LBB113_2119
; %bb.2114:
	v_cmp_lt_i16_e32 vcc_lo, 6, v15
	s_cbranch_vccz .LBB113_2116
; %bb.2115:
	s_mov_b32 s0, 0
	s_waitcnt vmcnt(0)
	global_store_b64 v[4:5], v[0:1], off
.LBB113_2116:
	s_and_not1_b32 vcc_lo, exec_lo, s0
	s_cbranch_vccnz .LBB113_2118
; %bb.2117:
	s_waitcnt vmcnt(0)
	v_cvt_f32_f64_e32 v2, v[0:1]
	global_store_b32 v[4:5], v2, off
.LBB113_2118:
	s_mov_b32 s0, 0
.LBB113_2119:
	s_delay_alu instid0(SALU_CYCLE_1)
	s_and_not1_b32 vcc_lo, exec_lo, s0
	s_cbranch_vccnz .LBB113_2121
; %bb.2120:
	s_waitcnt vmcnt(0)
	v_cvt_f32_f64_e32 v2, v[0:1]
	s_delay_alu instid0(VALU_DEP_1)
	v_cvt_f16_f32_e32 v2, v2
	global_store_b16 v[4:5], v2, off
.LBB113_2121:
	s_mov_b32 s0, 0
.LBB113_2122:
	s_delay_alu instid0(SALU_CYCLE_1)
	s_and_not1_b32 vcc_lo, exec_lo, s0
	s_cbranch_vccnz .LBB113_2138
; %bb.2123:
	v_cmp_gt_i16_e32 vcc_lo, 2, v15
	s_mov_b32 s0, -1
	s_cbranch_vccnz .LBB113_2133
; %bb.2124:
	v_cmp_gt_i16_e32 vcc_lo, 3, v15
	s_cbranch_vccnz .LBB113_2130
; %bb.2125:
	v_cmp_lt_i16_e32 vcc_lo, 3, v15
	s_cbranch_vccz .LBB113_2127
; %bb.2126:
	s_waitcnt vmcnt(0)
	v_trunc_f64_e32 v[2:3], v[0:1]
	s_mov_b32 s0, 0
	s_delay_alu instid0(VALU_DEP_1) | instskip(NEXT) | instid1(VALU_DEP_1)
	v_ldexp_f64 v[6:7], v[2:3], 0xffffffe0
	v_floor_f64_e32 v[6:7], v[6:7]
	s_delay_alu instid0(VALU_DEP_1) | instskip(SKIP_1) | instid1(VALU_DEP_2)
	v_fma_f64 v[2:3], 0xc1f00000, v[6:7], v[2:3]
	v_cvt_i32_f64_e32 v7, v[6:7]
	v_cvt_u32_f64_e32 v6, v[2:3]
	global_store_b64 v[4:5], v[6:7], off
.LBB113_2127:
	s_and_not1_b32 vcc_lo, exec_lo, s0
	s_cbranch_vccnz .LBB113_2129
; %bb.2128:
	s_waitcnt vmcnt(0)
	v_cvt_i32_f64_e32 v2, v[0:1]
	global_store_b32 v[4:5], v2, off
.LBB113_2129:
	s_mov_b32 s0, 0
.LBB113_2130:
	s_delay_alu instid0(SALU_CYCLE_1)
	s_and_not1_b32 vcc_lo, exec_lo, s0
	s_cbranch_vccnz .LBB113_2132
; %bb.2131:
	s_waitcnt vmcnt(0)
	v_cvt_i32_f64_e32 v2, v[0:1]
	global_store_b16 v[4:5], v2, off
.LBB113_2132:
	s_mov_b32 s0, 0
.LBB113_2133:
	s_delay_alu instid0(SALU_CYCLE_1)
	s_and_not1_b32 vcc_lo, exec_lo, s0
	s_cbranch_vccnz .LBB113_2138
; %bb.2134:
	v_cmp_lt_i16_e32 vcc_lo, 0, v15
	s_mov_b32 s0, -1
	s_cbranch_vccz .LBB113_2136
; %bb.2135:
	s_waitcnt vmcnt(0)
	v_cvt_i32_f64_e32 v2, v[0:1]
	s_mov_b32 s0, 0
	global_store_b8 v[4:5], v2, off
.LBB113_2136:
	s_and_not1_b32 vcc_lo, exec_lo, s0
	s_cbranch_vccnz .LBB113_2138
; %bb.2137:
	s_waitcnt vmcnt(0)
	v_trunc_f64_e32 v[0:1], v[0:1]
	s_delay_alu instid0(VALU_DEP_1) | instskip(NEXT) | instid1(VALU_DEP_1)
	v_ldexp_f64 v[2:3], v[0:1], 0xffffffe0
	v_floor_f64_e32 v[2:3], v[2:3]
	s_delay_alu instid0(VALU_DEP_1) | instskip(NEXT) | instid1(VALU_DEP_1)
	v_fma_f64 v[0:1], 0xc1f00000, v[2:3], v[0:1]
	v_cvt_u32_f64_e32 v0, v[0:1]
	global_store_b8 v[4:5], v0, off
	s_nop 0
	s_sendmsg sendmsg(MSG_DEALLOC_VGPRS)
	s_endpgm
.LBB113_2138:
	s_nop 0
	s_sendmsg sendmsg(MSG_DEALLOC_VGPRS)
	s_endpgm
.LBB113_2139:
	s_cbranch_execnz .LBB113_2143
; %bb.2140:
	s_or_b32 s3, s3, exec_lo
                                        ; implicit-def: $vgpr7_vgpr8
	s_cbranch_execz .LBB113_1612
	s_branch .LBB113_1613
.LBB113_2141:
	s_or_saveexec_b32 s7, s7
                                        ; implicit-def: $sgpr10
	s_delay_alu instid0(SALU_CYCLE_1)
	s_xor_b32 exec_lo, exec_lo, s7
	s_cbranch_execz .LBB113_1692
.LBB113_2142:
	v_add_f32_e64 v3, 0x46000000, |v2|
	s_and_not1_b32 s6, s6, exec_lo
	s_mov_b32 s10, 0
	s_delay_alu instid0(VALU_DEP_1) | instskip(NEXT) | instid1(VALU_DEP_1)
	v_and_b32_e32 v3, 0xff, v3
	v_cmp_ne_u32_e32 vcc_lo, 0, v3
	s_and_b32 s11, vcc_lo, exec_lo
	s_delay_alu instid0(SALU_CYCLE_1)
	s_or_b32 s6, s6, s11
	s_or_b32 exec_lo, exec_lo, s7
	v_mov_b32_e32 v16, s10
	s_and_saveexec_b32 s7, s6
	s_cbranch_execnz .LBB113_1693
	s_branch .LBB113_1694
.LBB113_2143:
	s_trap 2
	s_sendmsg_rtn_b32 s0, sendmsg(MSG_RTN_GET_DOORBELL)
	s_mov_b32 ttmp2, m0
	s_waitcnt lgkmcnt(0)
	s_and_b32 s0, s0, 0x3ff
	s_delay_alu instid0(SALU_CYCLE_1) | instskip(NEXT) | instid1(SALU_CYCLE_1)
	s_bitset1_b32 s0, 10
	s_mov_b32 m0, s0
	s_sendmsg sendmsg(MSG_INTERRUPT)
	s_mov_b32 m0, ttmp2
.LBB113_2144:                           ; =>This Inner Loop Header: Depth=1
	s_sethalt 5
	s_branch .LBB113_2144
.LBB113_2145:
	s_cbranch_execnz .LBB113_2151
; %bb.2146:
	s_or_b32 s3, s3, exec_lo
	s_cbranch_execz .LBB113_1740
	s_branch .LBB113_1741
.LBB113_2147:
	s_or_saveexec_b32 s6, s6
                                        ; implicit-def: $sgpr7
	s_delay_alu instid0(SALU_CYCLE_1)
	s_xor_b32 exec_lo, exec_lo, s6
	s_cbranch_execz .LBB113_1705
.LBB113_2148:
	v_add_f32_e64 v3, 0x42800000, |v2|
	s_and_not1_b32 s2, s2, exec_lo
	s_mov_b32 s7, 0
	s_delay_alu instid0(VALU_DEP_1) | instskip(NEXT) | instid1(VALU_DEP_1)
	v_and_b32_e32 v3, 0xff, v3
	v_cmp_ne_u32_e32 vcc_lo, 0, v3
	s_and_b32 s10, vcc_lo, exec_lo
	s_delay_alu instid0(SALU_CYCLE_1)
	s_or_b32 s2, s2, s10
	s_or_b32 exec_lo, exec_lo, s6
	v_mov_b32_e32 v16, s7
	s_and_saveexec_b32 s6, s2
	s_cbranch_execnz .LBB113_1706
	s_branch .LBB113_1707
.LBB113_2149:
	s_or_saveexec_b32 s7, s7
                                        ; implicit-def: $sgpr10
	s_delay_alu instid0(SALU_CYCLE_1)
	s_xor_b32 exec_lo, exec_lo, s7
	s_cbranch_execz .LBB113_1810
.LBB113_2150:
	v_add_f32_e64 v3, 0x46000000, |v2|
	s_and_not1_b32 s6, s6, exec_lo
	s_mov_b32 s10, 0
	s_delay_alu instid0(VALU_DEP_1) | instskip(NEXT) | instid1(VALU_DEP_1)
	v_and_b32_e32 v3, 0xff, v3
	v_cmp_ne_u32_e32 vcc_lo, 0, v3
	s_and_b32 s11, vcc_lo, exec_lo
	s_delay_alu instid0(SALU_CYCLE_1)
	s_or_b32 s6, s6, s11
	s_or_b32 exec_lo, exec_lo, s7
	v_mov_b32_e32 v6, s10
	s_and_saveexec_b32 s7, s6
	s_cbranch_execnz .LBB113_1811
	s_branch .LBB113_1812
.LBB113_2151:
	s_trap 2
	s_sendmsg_rtn_b32 s0, sendmsg(MSG_RTN_GET_DOORBELL)
	s_mov_b32 ttmp2, m0
	s_waitcnt lgkmcnt(0)
	s_and_b32 s0, s0, 0x3ff
	s_delay_alu instid0(SALU_CYCLE_1) | instskip(NEXT) | instid1(SALU_CYCLE_1)
	s_bitset1_b32 s0, 10
	s_mov_b32 m0, s0
	s_sendmsg sendmsg(MSG_INTERRUPT)
	s_mov_b32 m0, ttmp2
.LBB113_2152:                           ; =>This Inner Loop Header: Depth=1
	s_sethalt 5
	s_branch .LBB113_2152
.LBB113_2153:
	s_cbranch_execnz .LBB113_2159
; %bb.2154:
	s_or_b32 s3, s3, exec_lo
	s_cbranch_execz .LBB113_1858
	s_branch .LBB113_1859
.LBB113_2155:
	s_or_saveexec_b32 s6, s6
                                        ; implicit-def: $sgpr7
	s_delay_alu instid0(SALU_CYCLE_1)
	s_xor_b32 exec_lo, exec_lo, s6
	s_cbranch_execz .LBB113_1823
.LBB113_2156:
	v_add_f32_e64 v3, 0x42800000, |v2|
	s_and_not1_b32 s2, s2, exec_lo
	s_mov_b32 s7, 0
	s_delay_alu instid0(VALU_DEP_1) | instskip(NEXT) | instid1(VALU_DEP_1)
	v_and_b32_e32 v3, 0xff, v3
	v_cmp_ne_u32_e32 vcc_lo, 0, v3
	s_and_b32 s10, vcc_lo, exec_lo
	s_delay_alu instid0(SALU_CYCLE_1)
	s_or_b32 s2, s2, s10
	s_or_b32 exec_lo, exec_lo, s6
	v_mov_b32_e32 v6, s7
	s_and_saveexec_b32 s6, s2
	s_cbranch_execnz .LBB113_1824
	s_branch .LBB113_1825
.LBB113_2157:
	s_or_saveexec_b32 s7, s7
                                        ; implicit-def: $sgpr10
	s_delay_alu instid0(SALU_CYCLE_1)
	s_xor_b32 exec_lo, exec_lo, s7
	s_cbranch_execz .LBB113_1928
.LBB113_2158:
	v_add_f32_e64 v3, 0x46000000, |v2|
	s_and_not1_b32 s6, s6, exec_lo
	s_mov_b32 s10, 0
	s_delay_alu instid0(VALU_DEP_1) | instskip(NEXT) | instid1(VALU_DEP_1)
	v_and_b32_e32 v3, 0xff, v3
	v_cmp_ne_u32_e32 vcc_lo, 0, v3
	s_and_b32 s11, vcc_lo, exec_lo
	s_delay_alu instid0(SALU_CYCLE_1)
	s_or_b32 s6, s6, s11
	s_or_b32 exec_lo, exec_lo, s7
	v_mov_b32_e32 v9, s10
	s_and_saveexec_b32 s7, s6
	s_cbranch_execnz .LBB113_1929
	s_branch .LBB113_1930
.LBB113_2159:
	s_trap 2
	s_sendmsg_rtn_b32 s0, sendmsg(MSG_RTN_GET_DOORBELL)
	s_mov_b32 ttmp2, m0
	s_waitcnt lgkmcnt(0)
	s_and_b32 s0, s0, 0x3ff
	s_delay_alu instid0(SALU_CYCLE_1) | instskip(NEXT) | instid1(SALU_CYCLE_1)
	s_bitset1_b32 s0, 10
	s_mov_b32 m0, s0
	s_sendmsg sendmsg(MSG_INTERRUPT)
	s_mov_b32 m0, ttmp2
.LBB113_2160:                           ; =>This Inner Loop Header: Depth=1
	s_sethalt 5
	s_branch .LBB113_2160
.LBB113_2161:
	s_cbranch_execnz .LBB113_2167
; %bb.2162:
	s_or_b32 s3, s3, exec_lo
	s_cbranch_execz .LBB113_1976
	s_branch .LBB113_1977
.LBB113_2163:
	s_or_saveexec_b32 s6, s6
                                        ; implicit-def: $sgpr7
	s_delay_alu instid0(SALU_CYCLE_1)
	s_xor_b32 exec_lo, exec_lo, s6
	s_cbranch_execz .LBB113_1941
.LBB113_2164:
	v_add_f32_e64 v3, 0x42800000, |v2|
	s_and_not1_b32 s2, s2, exec_lo
	s_mov_b32 s7, 0
	s_delay_alu instid0(VALU_DEP_1) | instskip(NEXT) | instid1(VALU_DEP_1)
	v_and_b32_e32 v3, 0xff, v3
	v_cmp_ne_u32_e32 vcc_lo, 0, v3
	s_and_b32 s10, vcc_lo, exec_lo
	s_delay_alu instid0(SALU_CYCLE_1)
	s_or_b32 s2, s2, s10
	s_or_b32 exec_lo, exec_lo, s6
	v_mov_b32_e32 v9, s7
	s_and_saveexec_b32 s6, s2
	s_cbranch_execnz .LBB113_1942
	s_branch .LBB113_1943
.LBB113_2165:
	s_or_saveexec_b32 s4, s4
                                        ; implicit-def: $sgpr5
	s_delay_alu instid0(SALU_CYCLE_1)
	s_xor_b32 exec_lo, exec_lo, s4
	s_cbranch_execz .LBB113_2047
.LBB113_2166:
	v_add_f32_e64 v3, 0x46000000, |v2|
	s_and_not1_b32 s2, s2, exec_lo
	s_mov_b32 s5, 0
	s_delay_alu instid0(VALU_DEP_1) | instskip(NEXT) | instid1(VALU_DEP_1)
	v_and_b32_e32 v3, 0xff, v3
	v_cmp_ne_u32_e32 vcc_lo, 0, v3
	s_and_b32 s7, vcc_lo, exec_lo
	s_delay_alu instid0(SALU_CYCLE_1)
	s_or_b32 s2, s2, s7
	s_or_b32 exec_lo, exec_lo, s4
	v_mov_b32_e32 v6, s5
	s_and_saveexec_b32 s4, s2
	s_cbranch_execnz .LBB113_2048
	s_branch .LBB113_2049
.LBB113_2167:
	s_trap 2
	s_sendmsg_rtn_b32 s0, sendmsg(MSG_RTN_GET_DOORBELL)
	s_mov_b32 ttmp2, m0
	s_waitcnt lgkmcnt(0)
	s_and_b32 s0, s0, 0x3ff
	s_delay_alu instid0(SALU_CYCLE_1) | instskip(NEXT) | instid1(SALU_CYCLE_1)
	s_bitset1_b32 s0, 10
	s_mov_b32 m0, s0
	s_sendmsg sendmsg(MSG_INTERRUPT)
	s_mov_b32 m0, ttmp2
.LBB113_2168:                           ; =>This Inner Loop Header: Depth=1
	s_sethalt 5
	s_branch .LBB113_2168
.LBB113_2169:
	s_cbranch_execnz .LBB113_2173
; %bb.2170:
	s_mov_b32 s6, 0
	s_or_b32 s3, s3, exec_lo
	s_branch .LBB113_2093
.LBB113_2171:
	s_or_saveexec_b32 s4, s4
                                        ; implicit-def: $sgpr5
	s_delay_alu instid0(SALU_CYCLE_1)
	s_xor_b32 exec_lo, exec_lo, s4
	s_cbranch_execz .LBB113_2059
.LBB113_2172:
	v_add_f32_e64 v3, 0x42800000, |v2|
	s_and_not1_b32 s2, s2, exec_lo
	s_mov_b32 s5, 0
	s_delay_alu instid0(VALU_DEP_1) | instskip(NEXT) | instid1(VALU_DEP_1)
	v_and_b32_e32 v3, 0xff, v3
	v_cmp_ne_u32_e32 vcc_lo, 0, v3
	s_and_b32 s6, vcc_lo, exec_lo
	s_delay_alu instid0(SALU_CYCLE_1)
	s_or_b32 s2, s2, s6
	s_or_b32 exec_lo, exec_lo, s4
	v_mov_b32_e32 v6, s5
	s_and_saveexec_b32 s4, s2
	s_cbranch_execnz .LBB113_2060
	s_branch .LBB113_2061
.LBB113_2173:
	s_trap 2
	s_sendmsg_rtn_b32 s0, sendmsg(MSG_RTN_GET_DOORBELL)
	s_mov_b32 ttmp2, m0
	s_waitcnt lgkmcnt(0)
	s_and_b32 s0, s0, 0x3ff
	s_delay_alu instid0(SALU_CYCLE_1) | instskip(NEXT) | instid1(SALU_CYCLE_1)
	s_bitset1_b32 s0, 10
	s_mov_b32 m0, s0
	s_sendmsg sendmsg(MSG_INTERRUPT)
	s_mov_b32 m0, ttmp2
.LBB113_2174:                           ; =>This Inner Loop Header: Depth=1
	s_sethalt 5
	s_branch .LBB113_2174
	.section	.rodata,"a",@progbits
	.p2align	6, 0x0
	.amdhsa_kernel _ZN2at6native32elementwise_kernel_manual_unrollILi128ELi4EZNS0_15gpu_kernel_implIZZZNS0_17expm1_kernel_cudaERNS_18TensorIteratorBaseEENKUlvE_clEvENKUlvE_clEvEUldE_EEvS4_RKT_EUlibE0_EEviT1_
		.amdhsa_group_segment_fixed_size 0
		.amdhsa_private_segment_fixed_size 0
		.amdhsa_kernarg_size 360
		.amdhsa_user_sgpr_count 15
		.amdhsa_user_sgpr_dispatch_ptr 0
		.amdhsa_user_sgpr_queue_ptr 0
		.amdhsa_user_sgpr_kernarg_segment_ptr 1
		.amdhsa_user_sgpr_dispatch_id 0
		.amdhsa_user_sgpr_private_segment_size 0
		.amdhsa_wavefront_size32 1
		.amdhsa_uses_dynamic_stack 0
		.amdhsa_enable_private_segment 0
		.amdhsa_system_sgpr_workgroup_id_x 1
		.amdhsa_system_sgpr_workgroup_id_y 0
		.amdhsa_system_sgpr_workgroup_id_z 0
		.amdhsa_system_sgpr_workgroup_info 0
		.amdhsa_system_vgpr_workitem_id 0
		.amdhsa_next_free_vgpr 21
		.amdhsa_next_free_sgpr 68
		.amdhsa_reserve_vcc 1
		.amdhsa_float_round_mode_32 0
		.amdhsa_float_round_mode_16_64 0
		.amdhsa_float_denorm_mode_32 3
		.amdhsa_float_denorm_mode_16_64 3
		.amdhsa_dx10_clamp 1
		.amdhsa_ieee_mode 1
		.amdhsa_fp16_overflow 0
		.amdhsa_workgroup_processor_mode 1
		.amdhsa_memory_ordered 1
		.amdhsa_forward_progress 0
		.amdhsa_shared_vgpr_count 0
		.amdhsa_exception_fp_ieee_invalid_op 0
		.amdhsa_exception_fp_denorm_src 0
		.amdhsa_exception_fp_ieee_div_zero 0
		.amdhsa_exception_fp_ieee_overflow 0
		.amdhsa_exception_fp_ieee_underflow 0
		.amdhsa_exception_fp_ieee_inexact 0
		.amdhsa_exception_int_div_zero 0
	.end_amdhsa_kernel
	.section	.text._ZN2at6native32elementwise_kernel_manual_unrollILi128ELi4EZNS0_15gpu_kernel_implIZZZNS0_17expm1_kernel_cudaERNS_18TensorIteratorBaseEENKUlvE_clEvENKUlvE_clEvEUldE_EEvS4_RKT_EUlibE0_EEviT1_,"axG",@progbits,_ZN2at6native32elementwise_kernel_manual_unrollILi128ELi4EZNS0_15gpu_kernel_implIZZZNS0_17expm1_kernel_cudaERNS_18TensorIteratorBaseEENKUlvE_clEvENKUlvE_clEvEUldE_EEvS4_RKT_EUlibE0_EEviT1_,comdat
.Lfunc_end113:
	.size	_ZN2at6native32elementwise_kernel_manual_unrollILi128ELi4EZNS0_15gpu_kernel_implIZZZNS0_17expm1_kernel_cudaERNS_18TensorIteratorBaseEENKUlvE_clEvENKUlvE_clEvEUldE_EEvS4_RKT_EUlibE0_EEviT1_, .Lfunc_end113-_ZN2at6native32elementwise_kernel_manual_unrollILi128ELi4EZNS0_15gpu_kernel_implIZZZNS0_17expm1_kernel_cudaERNS_18TensorIteratorBaseEENKUlvE_clEvENKUlvE_clEvEUldE_EEvS4_RKT_EUlibE0_EEviT1_
                                        ; -- End function
	.section	.AMDGPU.csdata,"",@progbits
; Kernel info:
; codeLenInByte = 45368
; NumSgprs: 70
; NumVgprs: 21
; ScratchSize: 0
; MemoryBound: 1
; FloatMode: 240
; IeeeMode: 1
; LDSByteSize: 0 bytes/workgroup (compile time only)
; SGPRBlocks: 8
; VGPRBlocks: 2
; NumSGPRsForWavesPerEU: 70
; NumVGPRsForWavesPerEU: 21
; Occupancy: 16
; WaveLimiterHint : 1
; COMPUTE_PGM_RSRC2:SCRATCH_EN: 0
; COMPUTE_PGM_RSRC2:USER_SGPR: 15
; COMPUTE_PGM_RSRC2:TRAP_HANDLER: 0
; COMPUTE_PGM_RSRC2:TGID_X_EN: 1
; COMPUTE_PGM_RSRC2:TGID_Y_EN: 0
; COMPUTE_PGM_RSRC2:TGID_Z_EN: 0
; COMPUTE_PGM_RSRC2:TIDIG_COMP_CNT: 0
	.section	.text._ZN2at6native29vectorized_elementwise_kernelILi16EZZZNS0_17expm1_kernel_cudaERNS_18TensorIteratorBaseEENKUlvE_clEvENKUlvE0_clEvEUlfE_St5arrayIPcLm2EEEEviT0_T1_,"axG",@progbits,_ZN2at6native29vectorized_elementwise_kernelILi16EZZZNS0_17expm1_kernel_cudaERNS_18TensorIteratorBaseEENKUlvE_clEvENKUlvE0_clEvEUlfE_St5arrayIPcLm2EEEEviT0_T1_,comdat
	.globl	_ZN2at6native29vectorized_elementwise_kernelILi16EZZZNS0_17expm1_kernel_cudaERNS_18TensorIteratorBaseEENKUlvE_clEvENKUlvE0_clEvEUlfE_St5arrayIPcLm2EEEEviT0_T1_ ; -- Begin function _ZN2at6native29vectorized_elementwise_kernelILi16EZZZNS0_17expm1_kernel_cudaERNS_18TensorIteratorBaseEENKUlvE_clEvENKUlvE0_clEvEUlfE_St5arrayIPcLm2EEEEviT0_T1_
	.p2align	8
	.type	_ZN2at6native29vectorized_elementwise_kernelILi16EZZZNS0_17expm1_kernel_cudaERNS_18TensorIteratorBaseEENKUlvE_clEvENKUlvE0_clEvEUlfE_St5arrayIPcLm2EEEEviT0_T1_,@function
_ZN2at6native29vectorized_elementwise_kernelILi16EZZZNS0_17expm1_kernel_cudaERNS_18TensorIteratorBaseEENKUlvE_clEvENKUlvE0_clEvEUlfE_St5arrayIPcLm2EEEEviT0_T1_: ; @_ZN2at6native29vectorized_elementwise_kernelILi16EZZZNS0_17expm1_kernel_cudaERNS_18TensorIteratorBaseEENKUlvE_clEvENKUlvE0_clEvEUlfE_St5arrayIPcLm2EEEEviT0_T1_
; %bb.0:
	s_clause 0x1
	s_load_b32 s2, s[0:1], 0x0
	s_load_b128 s[4:7], s[0:1], 0x8
	s_lshl_b32 s8, s15, 10
	s_mov_b32 s0, -1
	s_waitcnt lgkmcnt(0)
	s_sub_i32 s3, s2, s8
	s_delay_alu instid0(SALU_CYCLE_1)
	s_cmpk_gt_i32 s3, 0x3ff
	s_cbranch_scc0 .LBB114_2
; %bb.1:
	s_ashr_i32 s9, s8, 31
	v_lshlrev_b32_e32 v5, 4, v0
	s_lshl_b64 s[10:11], s[8:9], 2
	s_mov_b32 s9, 0x395133b1
	s_add_u32 s0, s6, s10
	s_addc_u32 s1, s7, s11
	s_add_u32 s10, s4, s10
	global_load_b128 v[1:4], v5, s[0:1]
	s_addc_u32 s11, s5, s11
	s_waitcnt vmcnt(0)
	v_dual_mul_f32 v6, 0x3fb8aa3b, v1 :: v_dual_mul_f32 v7, 0x3fb8aa3b, v2
	v_mul_f32_e32 v8, 0x3fb8aa3b, v3
	s_delay_alu instid0(VALU_DEP_2) | instskip(NEXT) | instid1(VALU_DEP_3)
	v_rndne_f32_e32 v6, v6
	v_rndne_f32_e32 v7, v7
	s_delay_alu instid0(VALU_DEP_3) | instskip(NEXT) | instid1(VALU_DEP_3)
	v_rndne_f32_e32 v8, v8
	v_cvt_i32_f32_e32 v11, v6
	s_delay_alu instid0(VALU_DEP_3)
	v_fmamk_f32 v12, v7, 0xbf317218, v2
	v_cvt_i32_f32_e32 v13, v7
	v_cmp_eq_f32_e64 s0, 0x43000000, v7
	v_cmp_eq_f32_e32 vcc_lo, 0x43000000, v6
	v_cvt_i32_f32_e32 v15, v8
	v_fmac_f32_e32 v12, 0x3102e308, v7
	v_cmp_eq_f32_e64 s1, 0x43000000, v8
	v_cndmask_b32_e64 v7, v13, 0x7f, s0
	s_delay_alu instid0(VALU_DEP_1) | instskip(NEXT) | instid1(VALU_DEP_1)
	v_ldexp_f32 v7, 1.0, v7
	v_dual_fmamk_f32 v10, v6, 0xbf317218, v1 :: v_dual_add_f32 v19, -1.0, v7
	s_delay_alu instid0(VALU_DEP_1) | instskip(SKIP_2) | instid1(VALU_DEP_2)
	v_fmac_f32_e32 v10, 0x3102e308, v6
	v_fmaak_f32 v13, s9, v12, 0x3ab69700
	v_cndmask_b32_e64 v6, v11, 0x7f, vcc_lo
	v_fmaak_f32 v13, v12, v13, 0x3c0887f9
	s_delay_alu instid0(VALU_DEP_2) | instskip(SKIP_1) | instid1(VALU_DEP_2)
	v_ldexp_f32 v6, 1.0, v6
	v_mul_f32_e32 v9, 0x3fb8aa3b, v4
	v_dual_fmaak_f32 v13, v12, v13, 0x3d2aaa81 :: v_dual_add_f32 v18, -1.0, v6
	s_delay_alu instid0(VALU_DEP_2) | instskip(NEXT) | instid1(VALU_DEP_2)
	v_rndne_f32_e32 v9, v9
	v_fmaak_f32 v13, v12, v13, 0x3e2aaaab
	s_delay_alu instid0(VALU_DEP_2) | instskip(SKIP_1) | instid1(VALU_DEP_3)
	v_cvt_i32_f32_e32 v17, v9
	v_cmp_eq_f32_e64 s2, 0x43000000, v9
	v_fma_f32 v13, v12, v13, 0.5
	s_delay_alu instid0(VALU_DEP_1) | instskip(NEXT) | instid1(VALU_DEP_1)
	v_dual_fmamk_f32 v16, v9, 0xbf317218, v4 :: v_dual_mul_f32 v13, v12, v13
	v_fmac_f32_e32 v16, 0x3102e308, v9
	s_delay_alu instid0(VALU_DEP_4) | instskip(NEXT) | instid1(VALU_DEP_2)
	v_cndmask_b32_e64 v9, v17, 0x7f, s2
	v_fmaak_f32 v17, s9, v16, 0x3ab69700
	s_delay_alu instid0(VALU_DEP_2) | instskip(SKIP_1) | instid1(VALU_DEP_3)
	v_ldexp_f32 v9, 1.0, v9
	v_fmamk_f32 v14, v8, 0xbf317218, v3
	v_fmaak_f32 v17, v16, v17, 0x3c0887f9
	s_delay_alu instid0(VALU_DEP_3) | instskip(NEXT) | instid1(VALU_DEP_2)
	v_add_f32_e32 v21, -1.0, v9
	v_fmaak_f32 v17, v16, v17, 0x3d2aaa81
	s_delay_alu instid0(VALU_DEP_1) | instskip(NEXT) | instid1(VALU_DEP_1)
	v_fmaak_f32 v17, v16, v17, 0x3e2aaaab
	v_fma_f32 v17, v16, v17, 0.5
	s_delay_alu instid0(VALU_DEP_1) | instskip(SKIP_1) | instid1(VALU_DEP_1)
	v_mul_f32_e32 v17, v16, v17
	v_fmac_f32_e32 v12, v12, v13
	v_fmac_f32_e32 v19, v7, v12
	;; [unrolled: 1-line block ×3, first 2 shown]
	v_cndmask_b32_e64 v8, v15, 0x7f, s1
	s_delay_alu instid0(VALU_DEP_3) | instskip(NEXT) | instid1(VALU_DEP_3)
	v_dual_fmac_f32 v16, v16, v17 :: v_dual_add_f32 v7, v19, v19
	v_fmaak_f32 v15, s9, v14, 0x3ab69700
	s_delay_alu instid0(VALU_DEP_3) | instskip(NEXT) | instid1(VALU_DEP_3)
	v_ldexp_f32 v8, 1.0, v8
	v_cndmask_b32_e64 v7, v19, v7, s0
	s_delay_alu instid0(VALU_DEP_3) | instskip(SKIP_1) | instid1(VALU_DEP_1)
	v_fmaak_f32 v15, v14, v15, 0x3c0887f9
	s_mov_b32 s0, 0
	v_dual_add_f32 v20, -1.0, v8 :: v_dual_fmaak_f32 v15, v14, v15, 0x3d2aaa81
	s_delay_alu instid0(VALU_DEP_1) | instskip(NEXT) | instid1(VALU_DEP_1)
	v_fmaak_f32 v15, v14, v15, 0x3e2aaaab
	v_fma_f32 v15, v14, v15, 0.5
	s_delay_alu instid0(VALU_DEP_1) | instskip(NEXT) | instid1(VALU_DEP_1)
	v_mul_f32_e32 v15, v14, v15
	v_dual_fmaak_f32 v11, s9, v10, 0x3ab69700 :: v_dual_fmac_f32 v14, v14, v15
	s_delay_alu instid0(VALU_DEP_1) | instskip(NEXT) | instid1(VALU_DEP_1)
	v_dual_fmaak_f32 v11, v10, v11, 0x3c0887f9 :: v_dual_fmac_f32 v20, v8, v14
	v_dual_fmaak_f32 v11, v10, v11, 0x3d2aaa81 :: v_dual_add_f32 v8, v20, v20
	s_delay_alu instid0(VALU_DEP_1) | instskip(NEXT) | instid1(VALU_DEP_2)
	v_fmaak_f32 v11, v10, v11, 0x3e2aaaab
	v_cndmask_b32_e64 v8, v20, v8, s1
	s_delay_alu instid0(VALU_DEP_2) | instskip(NEXT) | instid1(VALU_DEP_1)
	v_fma_f32 v11, v10, v11, 0.5
	v_mul_f32_e32 v11, v10, v11
	s_delay_alu instid0(VALU_DEP_1) | instskip(NEXT) | instid1(VALU_DEP_1)
	v_fmac_f32_e32 v10, v10, v11
	v_fmac_f32_e32 v18, v6, v10
	s_delay_alu instid0(VALU_DEP_1) | instskip(NEXT) | instid1(VALU_DEP_1)
	v_add_f32_e32 v6, v18, v18
	v_cndmask_b32_e32 v6, v18, v6, vcc_lo
	v_cmp_nlt_f32_e32 vcc_lo, 0x42b17217, v1
	s_delay_alu instid0(VALU_DEP_2) | instskip(SKIP_3) | instid1(VALU_DEP_4)
	v_dual_fmac_f32 v21, v9, v16 :: v_dual_cndmask_b32 v6, 0x7f800000, v6
	v_cmp_nlt_f32_e32 vcc_lo, 0x42b17217, v2
	v_cndmask_b32_e32 v7, 0x7f800000, v7, vcc_lo
	v_cmp_nlt_f32_e32 vcc_lo, 0x42b17217, v3
	v_dual_add_f32 v9, v21, v21 :: v_dual_cndmask_b32 v8, 0x7f800000, v8
	s_delay_alu instid0(VALU_DEP_1) | instskip(SKIP_1) | instid1(VALU_DEP_2)
	v_cndmask_b32_e64 v9, v21, v9, s2
	v_cmp_nlt_f32_e32 vcc_lo, 0x42b17217, v4
	v_cndmask_b32_e32 v9, 0x7f800000, v9, vcc_lo
	v_cmp_ngt_f32_e32 vcc_lo, 0xc1880000, v1
	v_cndmask_b32_e32 v1, -1.0, v6, vcc_lo
	v_cmp_ngt_f32_e32 vcc_lo, 0xc1880000, v2
	v_cndmask_b32_e32 v2, -1.0, v7, vcc_lo
	;; [unrolled: 2-line block ×4, first 2 shown]
	global_store_b128 v5, v[1:4], s[10:11]
.LBB114_2:
	s_and_not1_b32 vcc_lo, exec_lo, s0
	s_cbranch_vccnz .LBB114_20
; %bb.3:
	v_cmp_gt_i32_e32 vcc_lo, s3, v0
	v_dual_mov_b32 v8, 0 :: v_dual_mov_b32 v1, v0
	v_or_b32_e32 v5, s8, v0
	v_or_b32_e32 v7, 0x100, v0
	v_mov_b32_e32 v10, 0
	s_and_saveexec_b32 s1, vcc_lo
	s_cbranch_execz .LBB114_5
; %bb.4:
	v_mov_b32_e32 v6, 0
	s_delay_alu instid0(VALU_DEP_1) | instskip(NEXT) | instid1(VALU_DEP_1)
	v_lshlrev_b64 v[1:2], 2, v[5:6]
	v_add_co_u32 v1, s0, s6, v1
	s_delay_alu instid0(VALU_DEP_1)
	v_add_co_ci_u32_e64 v2, s0, s7, v2, s0
	global_load_b32 v10, v[1:2], off
	v_or_b32_e32 v1, 0x100, v0
.LBB114_5:
	s_or_b32 exec_lo, exec_lo, s1
	s_delay_alu instid0(SALU_CYCLE_1) | instskip(NEXT) | instid1(VALU_DEP_1)
	s_mov_b32 s1, exec_lo
	v_cmpx_gt_i32_e64 s3, v1
	s_cbranch_execz .LBB114_7
; %bb.6:
	v_dual_mov_b32 v3, 0 :: v_dual_add_nc_u32 v2, s8, v1
	v_add_nc_u32_e32 v1, 0x100, v1
	s_delay_alu instid0(VALU_DEP_2) | instskip(NEXT) | instid1(VALU_DEP_1)
	v_lshlrev_b64 v[2:3], 2, v[2:3]
	v_add_co_u32 v2, s0, s6, v2
	s_delay_alu instid0(VALU_DEP_1)
	v_add_co_ci_u32_e64 v3, s0, s7, v3, s0
	global_load_b32 v8, v[2:3], off
.LBB114_7:
	s_or_b32 exec_lo, exec_lo, s1
	v_dual_mov_b32 v6, 0 :: v_dual_mov_b32 v9, 0
	s_mov_b32 s1, exec_lo
	v_cmpx_gt_i32_e64 s3, v1
	s_cbranch_execnz .LBB114_21
; %bb.8:
	s_or_b32 exec_lo, exec_lo, s1
	s_delay_alu instid0(SALU_CYCLE_1)
	s_mov_b32 s1, exec_lo
	v_cmpx_gt_i32_e64 s3, v1
	s_cbranch_execnz .LBB114_22
.LBB114_9:
	s_or_b32 exec_lo, exec_lo, s1
                                        ; implicit-def: $vgpr1_vgpr2_vgpr3_vgpr4
	s_and_saveexec_b32 s1, vcc_lo
	s_cbranch_execnz .LBB114_23
.LBB114_10:
	s_or_b32 exec_lo, exec_lo, s1
	s_delay_alu instid0(SALU_CYCLE_1)
	s_mov_b32 s1, exec_lo
	v_cmpx_gt_i32_e64 s3, v7
	s_cbranch_execz .LBB114_12
.LBB114_11:
	s_waitcnt vmcnt(0)
	v_mul_f32_e32 v2, 0x3fb8aa3b, v8
	s_mov_b32 s0, 0x395133b1
	s_delay_alu instid0(VALU_DEP_1) | instskip(NEXT) | instid1(VALU_DEP_1)
	v_rndne_f32_e32 v2, v2
	v_fmamk_f32 v10, v2, 0xbf317218, v8
	v_cvt_i32_f32_e32 v12, v2
	s_delay_alu instid0(VALU_DEP_2) | instskip(NEXT) | instid1(VALU_DEP_1)
	v_fmamk_f32 v10, v2, 0x3102e308, v10
	v_fmaak_f32 v11, s0, v10, 0x3ab69700
	v_cmp_eq_f32_e64 s0, 0x43000000, v2
	s_delay_alu instid0(VALU_DEP_2) | instskip(NEXT) | instid1(VALU_DEP_2)
	v_fmaak_f32 v11, v10, v11, 0x3c0887f9
	v_cndmask_b32_e64 v2, v12, 0x7f, s0
	s_delay_alu instid0(VALU_DEP_2) | instskip(NEXT) | instid1(VALU_DEP_2)
	v_fmaak_f32 v11, v10, v11, 0x3d2aaa81
	v_ldexp_f32 v2, 1.0, v2
	s_delay_alu instid0(VALU_DEP_2) | instskip(NEXT) | instid1(VALU_DEP_1)
	v_fmaak_f32 v11, v10, v11, 0x3e2aaaab
	v_fma_f32 v11, v10, v11, 0.5
	s_delay_alu instid0(VALU_DEP_1) | instskip(NEXT) | instid1(VALU_DEP_1)
	v_mul_f32_e32 v11, v10, v11
	v_dual_fmac_f32 v10, v10, v11 :: v_dual_add_f32 v11, -1.0, v2
	s_delay_alu instid0(VALU_DEP_1) | instskip(NEXT) | instid1(VALU_DEP_1)
	v_fmac_f32_e32 v11, v2, v10
	v_add_f32_e32 v2, v11, v11
	s_delay_alu instid0(VALU_DEP_1) | instskip(SKIP_1) | instid1(VALU_DEP_1)
	v_cndmask_b32_e64 v2, v11, v2, s0
	v_cmp_nlt_f32_e64 s0, 0x42b17217, v8
	v_cndmask_b32_e64 v2, 0x7f800000, v2, s0
	v_cmp_ngt_f32_e64 s0, 0xc1880000, v8
	s_delay_alu instid0(VALU_DEP_1)
	v_cndmask_b32_e64 v2, -1.0, v2, s0
.LBB114_12:
	s_or_b32 exec_lo, exec_lo, s1
	s_waitcnt vmcnt(0)
	v_or_b32_e32 v8, 0x200, v0
	s_mov_b32 s1, exec_lo
	s_delay_alu instid0(VALU_DEP_1)
	v_cmpx_gt_i32_e64 s3, v8
	s_cbranch_execz .LBB114_14
; %bb.13:
	v_mul_f32_e32 v3, 0x3fb8aa3b, v9
	s_mov_b32 s0, 0x395133b1
	s_delay_alu instid0(VALU_DEP_1) | instskip(NEXT) | instid1(VALU_DEP_1)
	v_rndne_f32_e32 v3, v3
	v_fmamk_f32 v8, v3, 0xbf317218, v9
	v_cvt_i32_f32_e32 v11, v3
	s_delay_alu instid0(VALU_DEP_2) | instskip(NEXT) | instid1(VALU_DEP_1)
	v_fmamk_f32 v8, v3, 0x3102e308, v8
	v_fmaak_f32 v10, s0, v8, 0x3ab69700
	v_cmp_eq_f32_e64 s0, 0x43000000, v3
	s_delay_alu instid0(VALU_DEP_2) | instskip(NEXT) | instid1(VALU_DEP_2)
	v_fmaak_f32 v10, v8, v10, 0x3c0887f9
	v_cndmask_b32_e64 v3, v11, 0x7f, s0
	s_delay_alu instid0(VALU_DEP_2) | instskip(NEXT) | instid1(VALU_DEP_2)
	v_fmaak_f32 v10, v8, v10, 0x3d2aaa81
	v_ldexp_f32 v3, 1.0, v3
	s_delay_alu instid0(VALU_DEP_2) | instskip(NEXT) | instid1(VALU_DEP_1)
	v_fmaak_f32 v10, v8, v10, 0x3e2aaaab
	v_fma_f32 v10, v8, v10, 0.5
	s_delay_alu instid0(VALU_DEP_1) | instskip(NEXT) | instid1(VALU_DEP_1)
	v_mul_f32_e32 v10, v8, v10
	v_fmac_f32_e32 v8, v8, v10
	v_add_f32_e32 v10, -1.0, v3
	s_delay_alu instid0(VALU_DEP_1) | instskip(NEXT) | instid1(VALU_DEP_1)
	v_fmac_f32_e32 v10, v3, v8
	v_add_f32_e32 v3, v10, v10
	s_delay_alu instid0(VALU_DEP_1) | instskip(SKIP_1) | instid1(VALU_DEP_1)
	v_cndmask_b32_e64 v3, v10, v3, s0
	v_cmp_nlt_f32_e64 s0, 0x42b17217, v9
	v_cndmask_b32_e64 v3, 0x7f800000, v3, s0
	v_cmp_ngt_f32_e64 s0, 0xc1880000, v9
	s_delay_alu instid0(VALU_DEP_1)
	v_cndmask_b32_e64 v3, -1.0, v3, s0
.LBB114_14:
	s_or_b32 exec_lo, exec_lo, s1
	v_or_b32_e32 v8, 0x300, v0
	s_mov_b32 s1, exec_lo
	s_delay_alu instid0(VALU_DEP_1)
	v_cmpx_gt_i32_e64 s3, v8
	s_cbranch_execnz .LBB114_24
; %bb.15:
	s_or_b32 exec_lo, exec_lo, s1
	s_and_saveexec_b32 s0, vcc_lo
	s_delay_alu instid0(SALU_CYCLE_1)
	s_xor_b32 s0, exec_lo, s0
	s_cbranch_execnz .LBB114_25
.LBB114_16:
	s_or_b32 exec_lo, exec_lo, s0
	s_delay_alu instid0(SALU_CYCLE_1)
	s_mov_b32 s0, exec_lo
	v_cmpx_gt_i32_e64 s3, v0
	s_cbranch_execnz .LBB114_26
.LBB114_17:
	s_or_b32 exec_lo, exec_lo, s0
	s_delay_alu instid0(SALU_CYCLE_1)
	s_mov_b32 s0, exec_lo
	v_cmpx_gt_i32_e64 s3, v0
	s_cbranch_execnz .LBB114_27
.LBB114_18:
	s_or_b32 exec_lo, exec_lo, s0
	s_delay_alu instid0(SALU_CYCLE_1)
	s_mov_b32 s0, exec_lo
	v_cmpx_gt_i32_e64 s3, v0
	s_cbranch_execz .LBB114_20
.LBB114_19:
	v_dual_mov_b32 v1, 0 :: v_dual_add_nc_u32 v0, s8, v0
	s_delay_alu instid0(VALU_DEP_1) | instskip(NEXT) | instid1(VALU_DEP_1)
	v_lshlrev_b64 v[0:1], 2, v[0:1]
	v_add_co_u32 v0, vcc_lo, s4, v0
	s_delay_alu instid0(VALU_DEP_2)
	v_add_co_ci_u32_e32 v1, vcc_lo, s5, v1, vcc_lo
	global_store_b32 v[0:1], v4, off
.LBB114_20:
	s_nop 0
	s_sendmsg sendmsg(MSG_DEALLOC_VGPRS)
	s_endpgm
.LBB114_21:
	v_dual_mov_b32 v3, 0 :: v_dual_add_nc_u32 v2, s8, v1
	v_add_nc_u32_e32 v1, 0x100, v1
	s_delay_alu instid0(VALU_DEP_2) | instskip(NEXT) | instid1(VALU_DEP_1)
	v_lshlrev_b64 v[2:3], 2, v[2:3]
	v_add_co_u32 v2, s0, s6, v2
	s_delay_alu instid0(VALU_DEP_1) | instskip(SKIP_2) | instid1(SALU_CYCLE_1)
	v_add_co_ci_u32_e64 v3, s0, s7, v3, s0
	global_load_b32 v9, v[2:3], off
	s_or_b32 exec_lo, exec_lo, s1
	s_mov_b32 s1, exec_lo
	v_cmpx_gt_i32_e64 s3, v1
	s_cbranch_execz .LBB114_9
.LBB114_22:
	v_dual_mov_b32 v2, 0 :: v_dual_add_nc_u32 v1, s8, v1
	s_delay_alu instid0(VALU_DEP_1) | instskip(NEXT) | instid1(VALU_DEP_1)
	v_lshlrev_b64 v[1:2], 2, v[1:2]
	v_add_co_u32 v1, s0, s6, v1
	s_delay_alu instid0(VALU_DEP_1)
	v_add_co_ci_u32_e64 v2, s0, s7, v2, s0
	global_load_b32 v6, v[1:2], off
	s_or_b32 exec_lo, exec_lo, s1
                                        ; implicit-def: $vgpr1_vgpr2_vgpr3_vgpr4
	s_and_saveexec_b32 s1, vcc_lo
	s_cbranch_execz .LBB114_10
.LBB114_23:
	s_waitcnt vmcnt(0)
	v_mul_f32_e32 v1, 0x3fb8aa3b, v10
	s_mov_b32 s0, 0x395133b1
	s_delay_alu instid0(VALU_DEP_1) | instskip(NEXT) | instid1(VALU_DEP_1)
	v_rndne_f32_e32 v1, v1
	v_fmamk_f32 v2, v1, 0xbf317218, v10
	v_cvt_i32_f32_e32 v4, v1
	s_delay_alu instid0(VALU_DEP_2) | instskip(NEXT) | instid1(VALU_DEP_1)
	v_fmamk_f32 v2, v1, 0x3102e308, v2
	v_fmaak_f32 v3, s0, v2, 0x3ab69700
	v_cmp_eq_f32_e64 s0, 0x43000000, v1
	s_delay_alu instid0(VALU_DEP_2) | instskip(NEXT) | instid1(VALU_DEP_2)
	v_fmaak_f32 v3, v2, v3, 0x3c0887f9
	v_cndmask_b32_e64 v1, v4, 0x7f, s0
	s_delay_alu instid0(VALU_DEP_2) | instskip(NEXT) | instid1(VALU_DEP_2)
	v_fmaak_f32 v3, v2, v3, 0x3d2aaa81
	v_ldexp_f32 v1, 1.0, v1
	s_delay_alu instid0(VALU_DEP_2) | instskip(NEXT) | instid1(VALU_DEP_1)
	v_fmaak_f32 v3, v2, v3, 0x3e2aaaab
	v_fma_f32 v3, v2, v3, 0.5
	s_delay_alu instid0(VALU_DEP_1) | instskip(NEXT) | instid1(VALU_DEP_1)
	v_mul_f32_e32 v3, v2, v3
	v_dual_fmac_f32 v2, v2, v3 :: v_dual_add_f32 v3, -1.0, v1
	s_delay_alu instid0(VALU_DEP_1) | instskip(NEXT) | instid1(VALU_DEP_1)
	v_fmac_f32_e32 v3, v1, v2
	v_add_f32_e32 v1, v3, v3
	s_delay_alu instid0(VALU_DEP_1) | instskip(SKIP_1) | instid1(VALU_DEP_1)
	v_cndmask_b32_e64 v1, v3, v1, s0
	v_cmp_nlt_f32_e64 s0, 0x42b17217, v10
	v_cndmask_b32_e64 v1, 0x7f800000, v1, s0
	v_cmp_ngt_f32_e64 s0, 0xc1880000, v10
	s_delay_alu instid0(VALU_DEP_1) | instskip(SKIP_1) | instid1(SALU_CYCLE_1)
	v_cndmask_b32_e64 v1, -1.0, v1, s0
	s_or_b32 exec_lo, exec_lo, s1
	s_mov_b32 s1, exec_lo
	v_cmpx_gt_i32_e64 s3, v7
	s_cbranch_execnz .LBB114_11
	s_branch .LBB114_12
.LBB114_24:
	v_mul_f32_e32 v4, 0x3fb8aa3b, v6
	s_mov_b32 s0, 0x395133b1
	s_delay_alu instid0(VALU_DEP_1) | instskip(NEXT) | instid1(VALU_DEP_1)
	v_rndne_f32_e32 v4, v4
	v_fmamk_f32 v8, v4, 0xbf317218, v6
	v_cvt_i32_f32_e32 v10, v4
	s_delay_alu instid0(VALU_DEP_2) | instskip(NEXT) | instid1(VALU_DEP_1)
	v_fmamk_f32 v8, v4, 0x3102e308, v8
	v_fmaak_f32 v9, s0, v8, 0x3ab69700
	v_cmp_eq_f32_e64 s0, 0x43000000, v4
	s_delay_alu instid0(VALU_DEP_2) | instskip(NEXT) | instid1(VALU_DEP_2)
	v_fmaak_f32 v9, v8, v9, 0x3c0887f9
	v_cndmask_b32_e64 v4, v10, 0x7f, s0
	s_delay_alu instid0(VALU_DEP_2) | instskip(NEXT) | instid1(VALU_DEP_2)
	v_fmaak_f32 v9, v8, v9, 0x3d2aaa81
	v_ldexp_f32 v4, 1.0, v4
	s_delay_alu instid0(VALU_DEP_2) | instskip(NEXT) | instid1(VALU_DEP_1)
	v_fmaak_f32 v9, v8, v9, 0x3e2aaaab
	v_fma_f32 v9, v8, v9, 0.5
	s_delay_alu instid0(VALU_DEP_1) | instskip(NEXT) | instid1(VALU_DEP_1)
	v_mul_f32_e32 v9, v8, v9
	v_dual_fmac_f32 v8, v8, v9 :: v_dual_add_f32 v9, -1.0, v4
	s_delay_alu instid0(VALU_DEP_1) | instskip(NEXT) | instid1(VALU_DEP_1)
	v_fmac_f32_e32 v9, v4, v8
	v_add_f32_e32 v4, v9, v9
	s_delay_alu instid0(VALU_DEP_1) | instskip(SKIP_1) | instid1(VALU_DEP_1)
	v_cndmask_b32_e64 v4, v9, v4, s0
	v_cmp_nlt_f32_e64 s0, 0x42b17217, v6
	v_cndmask_b32_e64 v4, 0x7f800000, v4, s0
	v_cmp_ngt_f32_e64 s0, 0xc1880000, v6
	s_delay_alu instid0(VALU_DEP_1) | instskip(SKIP_2) | instid1(SALU_CYCLE_1)
	v_cndmask_b32_e64 v4, -1.0, v4, s0
	s_or_b32 exec_lo, exec_lo, s1
	s_and_saveexec_b32 s0, vcc_lo
	s_xor_b32 s0, exec_lo, s0
	s_cbranch_execz .LBB114_16
.LBB114_25:
	v_mov_b32_e32 v6, 0
	v_mov_b32_e32 v0, v7
	s_delay_alu instid0(VALU_DEP_2) | instskip(NEXT) | instid1(VALU_DEP_1)
	v_lshlrev_b64 v[5:6], 2, v[5:6]
	v_add_co_u32 v5, vcc_lo, s4, v5
	s_delay_alu instid0(VALU_DEP_2) | instskip(SKIP_2) | instid1(SALU_CYCLE_1)
	v_add_co_ci_u32_e32 v6, vcc_lo, s5, v6, vcc_lo
	global_store_b32 v[5:6], v1, off
	s_or_b32 exec_lo, exec_lo, s0
	s_mov_b32 s0, exec_lo
	v_cmpx_gt_i32_e64 s3, v0
	s_cbranch_execz .LBB114_17
.LBB114_26:
	v_dual_mov_b32 v6, 0 :: v_dual_add_nc_u32 v5, s8, v0
	v_add_nc_u32_e32 v0, 0x100, v0
	s_delay_alu instid0(VALU_DEP_2) | instskip(NEXT) | instid1(VALU_DEP_1)
	v_lshlrev_b64 v[5:6], 2, v[5:6]
	v_add_co_u32 v5, vcc_lo, s4, v5
	s_delay_alu instid0(VALU_DEP_2) | instskip(SKIP_2) | instid1(SALU_CYCLE_1)
	v_add_co_ci_u32_e32 v6, vcc_lo, s5, v6, vcc_lo
	global_store_b32 v[5:6], v2, off
	s_or_b32 exec_lo, exec_lo, s0
	s_mov_b32 s0, exec_lo
	v_cmpx_gt_i32_e64 s3, v0
	s_cbranch_execz .LBB114_18
.LBB114_27:
	v_dual_mov_b32 v2, 0 :: v_dual_add_nc_u32 v1, s8, v0
	v_add_nc_u32_e32 v0, 0x100, v0
	s_delay_alu instid0(VALU_DEP_2) | instskip(NEXT) | instid1(VALU_DEP_1)
	v_lshlrev_b64 v[1:2], 2, v[1:2]
	v_add_co_u32 v1, vcc_lo, s4, v1
	s_delay_alu instid0(VALU_DEP_2) | instskip(SKIP_2) | instid1(SALU_CYCLE_1)
	v_add_co_ci_u32_e32 v2, vcc_lo, s5, v2, vcc_lo
	global_store_b32 v[1:2], v3, off
	s_or_b32 exec_lo, exec_lo, s0
	s_mov_b32 s0, exec_lo
	v_cmpx_gt_i32_e64 s3, v0
	s_cbranch_execnz .LBB114_19
	s_branch .LBB114_20
	.section	.rodata,"a",@progbits
	.p2align	6, 0x0
	.amdhsa_kernel _ZN2at6native29vectorized_elementwise_kernelILi16EZZZNS0_17expm1_kernel_cudaERNS_18TensorIteratorBaseEENKUlvE_clEvENKUlvE0_clEvEUlfE_St5arrayIPcLm2EEEEviT0_T1_
		.amdhsa_group_segment_fixed_size 0
		.amdhsa_private_segment_fixed_size 0
		.amdhsa_kernarg_size 24
		.amdhsa_user_sgpr_count 15
		.amdhsa_user_sgpr_dispatch_ptr 0
		.amdhsa_user_sgpr_queue_ptr 0
		.amdhsa_user_sgpr_kernarg_segment_ptr 1
		.amdhsa_user_sgpr_dispatch_id 0
		.amdhsa_user_sgpr_private_segment_size 0
		.amdhsa_wavefront_size32 1
		.amdhsa_uses_dynamic_stack 0
		.amdhsa_enable_private_segment 0
		.amdhsa_system_sgpr_workgroup_id_x 1
		.amdhsa_system_sgpr_workgroup_id_y 0
		.amdhsa_system_sgpr_workgroup_id_z 0
		.amdhsa_system_sgpr_workgroup_info 0
		.amdhsa_system_vgpr_workitem_id 0
		.amdhsa_next_free_vgpr 22
		.amdhsa_next_free_sgpr 16
		.amdhsa_reserve_vcc 1
		.amdhsa_float_round_mode_32 0
		.amdhsa_float_round_mode_16_64 0
		.amdhsa_float_denorm_mode_32 3
		.amdhsa_float_denorm_mode_16_64 3
		.amdhsa_dx10_clamp 1
		.amdhsa_ieee_mode 1
		.amdhsa_fp16_overflow 0
		.amdhsa_workgroup_processor_mode 1
		.amdhsa_memory_ordered 1
		.amdhsa_forward_progress 0
		.amdhsa_shared_vgpr_count 0
		.amdhsa_exception_fp_ieee_invalid_op 0
		.amdhsa_exception_fp_denorm_src 0
		.amdhsa_exception_fp_ieee_div_zero 0
		.amdhsa_exception_fp_ieee_overflow 0
		.amdhsa_exception_fp_ieee_underflow 0
		.amdhsa_exception_fp_ieee_inexact 0
		.amdhsa_exception_int_div_zero 0
	.end_amdhsa_kernel
	.section	.text._ZN2at6native29vectorized_elementwise_kernelILi16EZZZNS0_17expm1_kernel_cudaERNS_18TensorIteratorBaseEENKUlvE_clEvENKUlvE0_clEvEUlfE_St5arrayIPcLm2EEEEviT0_T1_,"axG",@progbits,_ZN2at6native29vectorized_elementwise_kernelILi16EZZZNS0_17expm1_kernel_cudaERNS_18TensorIteratorBaseEENKUlvE_clEvENKUlvE0_clEvEUlfE_St5arrayIPcLm2EEEEviT0_T1_,comdat
.Lfunc_end114:
	.size	_ZN2at6native29vectorized_elementwise_kernelILi16EZZZNS0_17expm1_kernel_cudaERNS_18TensorIteratorBaseEENKUlvE_clEvENKUlvE0_clEvEUlfE_St5arrayIPcLm2EEEEviT0_T1_, .Lfunc_end114-_ZN2at6native29vectorized_elementwise_kernelILi16EZZZNS0_17expm1_kernel_cudaERNS_18TensorIteratorBaseEENKUlvE_clEvENKUlvE0_clEvEUlfE_St5arrayIPcLm2EEEEviT0_T1_
                                        ; -- End function
	.section	.AMDGPU.csdata,"",@progbits
; Kernel info:
; codeLenInByte = 2596
; NumSgprs: 18
; NumVgprs: 22
; ScratchSize: 0
; MemoryBound: 0
; FloatMode: 240
; IeeeMode: 1
; LDSByteSize: 0 bytes/workgroup (compile time only)
; SGPRBlocks: 2
; VGPRBlocks: 2
; NumSGPRsForWavesPerEU: 18
; NumVGPRsForWavesPerEU: 22
; Occupancy: 16
; WaveLimiterHint : 0
; COMPUTE_PGM_RSRC2:SCRATCH_EN: 0
; COMPUTE_PGM_RSRC2:USER_SGPR: 15
; COMPUTE_PGM_RSRC2:TRAP_HANDLER: 0
; COMPUTE_PGM_RSRC2:TGID_X_EN: 1
; COMPUTE_PGM_RSRC2:TGID_Y_EN: 0
; COMPUTE_PGM_RSRC2:TGID_Z_EN: 0
; COMPUTE_PGM_RSRC2:TIDIG_COMP_CNT: 0
	.section	.text._ZN2at6native29vectorized_elementwise_kernelILi8EZZZNS0_17expm1_kernel_cudaERNS_18TensorIteratorBaseEENKUlvE_clEvENKUlvE0_clEvEUlfE_St5arrayIPcLm2EEEEviT0_T1_,"axG",@progbits,_ZN2at6native29vectorized_elementwise_kernelILi8EZZZNS0_17expm1_kernel_cudaERNS_18TensorIteratorBaseEENKUlvE_clEvENKUlvE0_clEvEUlfE_St5arrayIPcLm2EEEEviT0_T1_,comdat
	.globl	_ZN2at6native29vectorized_elementwise_kernelILi8EZZZNS0_17expm1_kernel_cudaERNS_18TensorIteratorBaseEENKUlvE_clEvENKUlvE0_clEvEUlfE_St5arrayIPcLm2EEEEviT0_T1_ ; -- Begin function _ZN2at6native29vectorized_elementwise_kernelILi8EZZZNS0_17expm1_kernel_cudaERNS_18TensorIteratorBaseEENKUlvE_clEvENKUlvE0_clEvEUlfE_St5arrayIPcLm2EEEEviT0_T1_
	.p2align	8
	.type	_ZN2at6native29vectorized_elementwise_kernelILi8EZZZNS0_17expm1_kernel_cudaERNS_18TensorIteratorBaseEENKUlvE_clEvENKUlvE0_clEvEUlfE_St5arrayIPcLm2EEEEviT0_T1_,@function
_ZN2at6native29vectorized_elementwise_kernelILi8EZZZNS0_17expm1_kernel_cudaERNS_18TensorIteratorBaseEENKUlvE_clEvENKUlvE0_clEvEUlfE_St5arrayIPcLm2EEEEviT0_T1_: ; @_ZN2at6native29vectorized_elementwise_kernelILi8EZZZNS0_17expm1_kernel_cudaERNS_18TensorIteratorBaseEENKUlvE_clEvENKUlvE0_clEvEUlfE_St5arrayIPcLm2EEEEviT0_T1_
; %bb.0:
	s_clause 0x1
	s_load_b32 s2, s[0:1], 0x0
	s_load_b128 s[4:7], s[0:1], 0x8
	s_lshl_b32 s8, s15, 10
	s_mov_b32 s0, -1
	s_waitcnt lgkmcnt(0)
	s_sub_i32 s3, s2, s8
	s_delay_alu instid0(SALU_CYCLE_1)
	s_cmpk_gt_i32 s3, 0x3ff
	s_cbranch_scc0 .LBB115_2
; %bb.1:
	s_ashr_i32 s9, s8, 31
	v_lshlrev_b32_e32 v5, 4, v0
	s_lshl_b64 s[10:11], s[8:9], 2
	s_mov_b32 s9, 0x395133b1
	s_add_u32 s0, s6, s10
	s_addc_u32 s1, s7, s11
	s_add_u32 s10, s4, s10
	global_load_b128 v[1:4], v5, s[0:1]
	s_addc_u32 s11, s5, s11
	s_waitcnt vmcnt(0)
	v_dual_mul_f32 v6, 0x3fb8aa3b, v1 :: v_dual_mul_f32 v7, 0x3fb8aa3b, v2
	v_mul_f32_e32 v8, 0x3fb8aa3b, v3
	s_delay_alu instid0(VALU_DEP_2) | instskip(NEXT) | instid1(VALU_DEP_3)
	v_rndne_f32_e32 v6, v6
	v_rndne_f32_e32 v7, v7
	s_delay_alu instid0(VALU_DEP_3) | instskip(NEXT) | instid1(VALU_DEP_3)
	v_rndne_f32_e32 v8, v8
	v_cvt_i32_f32_e32 v11, v6
	s_delay_alu instid0(VALU_DEP_3)
	v_fmamk_f32 v12, v7, 0xbf317218, v2
	v_cvt_i32_f32_e32 v13, v7
	v_cmp_eq_f32_e64 s0, 0x43000000, v7
	v_cmp_eq_f32_e32 vcc_lo, 0x43000000, v6
	v_cvt_i32_f32_e32 v15, v8
	v_fmac_f32_e32 v12, 0x3102e308, v7
	v_cmp_eq_f32_e64 s1, 0x43000000, v8
	v_cndmask_b32_e64 v7, v13, 0x7f, s0
	s_delay_alu instid0(VALU_DEP_1) | instskip(NEXT) | instid1(VALU_DEP_1)
	v_ldexp_f32 v7, 1.0, v7
	v_dual_fmamk_f32 v10, v6, 0xbf317218, v1 :: v_dual_add_f32 v19, -1.0, v7
	s_delay_alu instid0(VALU_DEP_1) | instskip(SKIP_2) | instid1(VALU_DEP_2)
	v_fmac_f32_e32 v10, 0x3102e308, v6
	v_fmaak_f32 v13, s9, v12, 0x3ab69700
	v_cndmask_b32_e64 v6, v11, 0x7f, vcc_lo
	v_fmaak_f32 v13, v12, v13, 0x3c0887f9
	s_delay_alu instid0(VALU_DEP_2) | instskip(SKIP_1) | instid1(VALU_DEP_2)
	v_ldexp_f32 v6, 1.0, v6
	v_mul_f32_e32 v9, 0x3fb8aa3b, v4
	v_dual_fmaak_f32 v13, v12, v13, 0x3d2aaa81 :: v_dual_add_f32 v18, -1.0, v6
	s_delay_alu instid0(VALU_DEP_2) | instskip(NEXT) | instid1(VALU_DEP_2)
	v_rndne_f32_e32 v9, v9
	v_fmaak_f32 v13, v12, v13, 0x3e2aaaab
	s_delay_alu instid0(VALU_DEP_2) | instskip(SKIP_1) | instid1(VALU_DEP_3)
	v_cvt_i32_f32_e32 v17, v9
	v_cmp_eq_f32_e64 s2, 0x43000000, v9
	v_fma_f32 v13, v12, v13, 0.5
	s_delay_alu instid0(VALU_DEP_1) | instskip(NEXT) | instid1(VALU_DEP_1)
	v_dual_fmamk_f32 v16, v9, 0xbf317218, v4 :: v_dual_mul_f32 v13, v12, v13
	v_fmac_f32_e32 v16, 0x3102e308, v9
	s_delay_alu instid0(VALU_DEP_4) | instskip(NEXT) | instid1(VALU_DEP_2)
	v_cndmask_b32_e64 v9, v17, 0x7f, s2
	v_fmaak_f32 v17, s9, v16, 0x3ab69700
	s_delay_alu instid0(VALU_DEP_2) | instskip(SKIP_1) | instid1(VALU_DEP_3)
	v_ldexp_f32 v9, 1.0, v9
	v_fmamk_f32 v14, v8, 0xbf317218, v3
	v_fmaak_f32 v17, v16, v17, 0x3c0887f9
	s_delay_alu instid0(VALU_DEP_3) | instskip(NEXT) | instid1(VALU_DEP_2)
	v_add_f32_e32 v21, -1.0, v9
	v_fmaak_f32 v17, v16, v17, 0x3d2aaa81
	s_delay_alu instid0(VALU_DEP_1) | instskip(NEXT) | instid1(VALU_DEP_1)
	v_fmaak_f32 v17, v16, v17, 0x3e2aaaab
	v_fma_f32 v17, v16, v17, 0.5
	s_delay_alu instid0(VALU_DEP_1) | instskip(SKIP_1) | instid1(VALU_DEP_1)
	v_mul_f32_e32 v17, v16, v17
	v_fmac_f32_e32 v12, v12, v13
	v_fmac_f32_e32 v19, v7, v12
	;; [unrolled: 1-line block ×3, first 2 shown]
	v_cndmask_b32_e64 v8, v15, 0x7f, s1
	s_delay_alu instid0(VALU_DEP_3) | instskip(NEXT) | instid1(VALU_DEP_3)
	v_dual_fmac_f32 v16, v16, v17 :: v_dual_add_f32 v7, v19, v19
	v_fmaak_f32 v15, s9, v14, 0x3ab69700
	s_delay_alu instid0(VALU_DEP_3) | instskip(NEXT) | instid1(VALU_DEP_3)
	v_ldexp_f32 v8, 1.0, v8
	v_cndmask_b32_e64 v7, v19, v7, s0
	s_delay_alu instid0(VALU_DEP_3) | instskip(SKIP_1) | instid1(VALU_DEP_1)
	v_fmaak_f32 v15, v14, v15, 0x3c0887f9
	s_mov_b32 s0, 0
	v_dual_add_f32 v20, -1.0, v8 :: v_dual_fmaak_f32 v15, v14, v15, 0x3d2aaa81
	s_delay_alu instid0(VALU_DEP_1) | instskip(NEXT) | instid1(VALU_DEP_1)
	v_fmaak_f32 v15, v14, v15, 0x3e2aaaab
	v_fma_f32 v15, v14, v15, 0.5
	s_delay_alu instid0(VALU_DEP_1) | instskip(NEXT) | instid1(VALU_DEP_1)
	v_mul_f32_e32 v15, v14, v15
	v_dual_fmaak_f32 v11, s9, v10, 0x3ab69700 :: v_dual_fmac_f32 v14, v14, v15
	s_delay_alu instid0(VALU_DEP_1) | instskip(NEXT) | instid1(VALU_DEP_1)
	v_dual_fmaak_f32 v11, v10, v11, 0x3c0887f9 :: v_dual_fmac_f32 v20, v8, v14
	v_dual_fmaak_f32 v11, v10, v11, 0x3d2aaa81 :: v_dual_add_f32 v8, v20, v20
	s_delay_alu instid0(VALU_DEP_1) | instskip(NEXT) | instid1(VALU_DEP_2)
	v_fmaak_f32 v11, v10, v11, 0x3e2aaaab
	v_cndmask_b32_e64 v8, v20, v8, s1
	s_delay_alu instid0(VALU_DEP_2) | instskip(NEXT) | instid1(VALU_DEP_1)
	v_fma_f32 v11, v10, v11, 0.5
	v_mul_f32_e32 v11, v10, v11
	s_delay_alu instid0(VALU_DEP_1) | instskip(NEXT) | instid1(VALU_DEP_1)
	v_fmac_f32_e32 v10, v10, v11
	v_fmac_f32_e32 v18, v6, v10
	s_delay_alu instid0(VALU_DEP_1) | instskip(NEXT) | instid1(VALU_DEP_1)
	v_add_f32_e32 v6, v18, v18
	v_cndmask_b32_e32 v6, v18, v6, vcc_lo
	v_cmp_nlt_f32_e32 vcc_lo, 0x42b17217, v1
	s_delay_alu instid0(VALU_DEP_2) | instskip(SKIP_3) | instid1(VALU_DEP_4)
	v_dual_fmac_f32 v21, v9, v16 :: v_dual_cndmask_b32 v6, 0x7f800000, v6
	v_cmp_nlt_f32_e32 vcc_lo, 0x42b17217, v2
	v_cndmask_b32_e32 v7, 0x7f800000, v7, vcc_lo
	v_cmp_nlt_f32_e32 vcc_lo, 0x42b17217, v3
	v_dual_add_f32 v9, v21, v21 :: v_dual_cndmask_b32 v8, 0x7f800000, v8
	s_delay_alu instid0(VALU_DEP_1) | instskip(SKIP_1) | instid1(VALU_DEP_2)
	v_cndmask_b32_e64 v9, v21, v9, s2
	v_cmp_nlt_f32_e32 vcc_lo, 0x42b17217, v4
	v_cndmask_b32_e32 v9, 0x7f800000, v9, vcc_lo
	v_cmp_ngt_f32_e32 vcc_lo, 0xc1880000, v1
	v_cndmask_b32_e32 v1, -1.0, v6, vcc_lo
	v_cmp_ngt_f32_e32 vcc_lo, 0xc1880000, v2
	v_cndmask_b32_e32 v2, -1.0, v7, vcc_lo
	;; [unrolled: 2-line block ×4, first 2 shown]
	global_store_b128 v5, v[1:4], s[10:11]
.LBB115_2:
	s_and_not1_b32 vcc_lo, exec_lo, s0
	s_cbranch_vccnz .LBB115_20
; %bb.3:
	v_cmp_gt_i32_e32 vcc_lo, s3, v0
	v_dual_mov_b32 v8, 0 :: v_dual_mov_b32 v1, v0
	v_or_b32_e32 v5, s8, v0
	v_or_b32_e32 v7, 0x100, v0
	v_mov_b32_e32 v10, 0
	s_and_saveexec_b32 s1, vcc_lo
	s_cbranch_execz .LBB115_5
; %bb.4:
	v_mov_b32_e32 v6, 0
	s_delay_alu instid0(VALU_DEP_1) | instskip(NEXT) | instid1(VALU_DEP_1)
	v_lshlrev_b64 v[1:2], 2, v[5:6]
	v_add_co_u32 v1, s0, s6, v1
	s_delay_alu instid0(VALU_DEP_1)
	v_add_co_ci_u32_e64 v2, s0, s7, v2, s0
	global_load_b32 v10, v[1:2], off
	v_or_b32_e32 v1, 0x100, v0
.LBB115_5:
	s_or_b32 exec_lo, exec_lo, s1
	s_delay_alu instid0(SALU_CYCLE_1) | instskip(NEXT) | instid1(VALU_DEP_1)
	s_mov_b32 s1, exec_lo
	v_cmpx_gt_i32_e64 s3, v1
	s_cbranch_execz .LBB115_7
; %bb.6:
	v_dual_mov_b32 v3, 0 :: v_dual_add_nc_u32 v2, s8, v1
	v_add_nc_u32_e32 v1, 0x100, v1
	s_delay_alu instid0(VALU_DEP_2) | instskip(NEXT) | instid1(VALU_DEP_1)
	v_lshlrev_b64 v[2:3], 2, v[2:3]
	v_add_co_u32 v2, s0, s6, v2
	s_delay_alu instid0(VALU_DEP_1)
	v_add_co_ci_u32_e64 v3, s0, s7, v3, s0
	global_load_b32 v8, v[2:3], off
.LBB115_7:
	s_or_b32 exec_lo, exec_lo, s1
	v_dual_mov_b32 v6, 0 :: v_dual_mov_b32 v9, 0
	s_mov_b32 s1, exec_lo
	v_cmpx_gt_i32_e64 s3, v1
	s_cbranch_execnz .LBB115_21
; %bb.8:
	s_or_b32 exec_lo, exec_lo, s1
	s_delay_alu instid0(SALU_CYCLE_1)
	s_mov_b32 s1, exec_lo
	v_cmpx_gt_i32_e64 s3, v1
	s_cbranch_execnz .LBB115_22
.LBB115_9:
	s_or_b32 exec_lo, exec_lo, s1
                                        ; implicit-def: $vgpr1_vgpr2_vgpr3_vgpr4
	s_and_saveexec_b32 s1, vcc_lo
	s_cbranch_execnz .LBB115_23
.LBB115_10:
	s_or_b32 exec_lo, exec_lo, s1
	s_delay_alu instid0(SALU_CYCLE_1)
	s_mov_b32 s1, exec_lo
	v_cmpx_gt_i32_e64 s3, v7
	s_cbranch_execz .LBB115_12
.LBB115_11:
	s_waitcnt vmcnt(0)
	v_mul_f32_e32 v2, 0x3fb8aa3b, v8
	s_mov_b32 s0, 0x395133b1
	s_delay_alu instid0(VALU_DEP_1) | instskip(NEXT) | instid1(VALU_DEP_1)
	v_rndne_f32_e32 v2, v2
	v_fmamk_f32 v10, v2, 0xbf317218, v8
	v_cvt_i32_f32_e32 v12, v2
	s_delay_alu instid0(VALU_DEP_2) | instskip(NEXT) | instid1(VALU_DEP_1)
	v_fmamk_f32 v10, v2, 0x3102e308, v10
	v_fmaak_f32 v11, s0, v10, 0x3ab69700
	v_cmp_eq_f32_e64 s0, 0x43000000, v2
	s_delay_alu instid0(VALU_DEP_2) | instskip(NEXT) | instid1(VALU_DEP_2)
	v_fmaak_f32 v11, v10, v11, 0x3c0887f9
	v_cndmask_b32_e64 v2, v12, 0x7f, s0
	s_delay_alu instid0(VALU_DEP_2) | instskip(NEXT) | instid1(VALU_DEP_2)
	v_fmaak_f32 v11, v10, v11, 0x3d2aaa81
	v_ldexp_f32 v2, 1.0, v2
	s_delay_alu instid0(VALU_DEP_2) | instskip(NEXT) | instid1(VALU_DEP_1)
	v_fmaak_f32 v11, v10, v11, 0x3e2aaaab
	v_fma_f32 v11, v10, v11, 0.5
	s_delay_alu instid0(VALU_DEP_1) | instskip(NEXT) | instid1(VALU_DEP_1)
	v_mul_f32_e32 v11, v10, v11
	v_dual_fmac_f32 v10, v10, v11 :: v_dual_add_f32 v11, -1.0, v2
	s_delay_alu instid0(VALU_DEP_1) | instskip(NEXT) | instid1(VALU_DEP_1)
	v_fmac_f32_e32 v11, v2, v10
	v_add_f32_e32 v2, v11, v11
	s_delay_alu instid0(VALU_DEP_1) | instskip(SKIP_1) | instid1(VALU_DEP_1)
	v_cndmask_b32_e64 v2, v11, v2, s0
	v_cmp_nlt_f32_e64 s0, 0x42b17217, v8
	v_cndmask_b32_e64 v2, 0x7f800000, v2, s0
	v_cmp_ngt_f32_e64 s0, 0xc1880000, v8
	s_delay_alu instid0(VALU_DEP_1)
	v_cndmask_b32_e64 v2, -1.0, v2, s0
.LBB115_12:
	s_or_b32 exec_lo, exec_lo, s1
	s_waitcnt vmcnt(0)
	v_or_b32_e32 v8, 0x200, v0
	s_mov_b32 s1, exec_lo
	s_delay_alu instid0(VALU_DEP_1)
	v_cmpx_gt_i32_e64 s3, v8
	s_cbranch_execz .LBB115_14
; %bb.13:
	v_mul_f32_e32 v3, 0x3fb8aa3b, v9
	s_mov_b32 s0, 0x395133b1
	s_delay_alu instid0(VALU_DEP_1) | instskip(NEXT) | instid1(VALU_DEP_1)
	v_rndne_f32_e32 v3, v3
	v_fmamk_f32 v8, v3, 0xbf317218, v9
	v_cvt_i32_f32_e32 v11, v3
	s_delay_alu instid0(VALU_DEP_2) | instskip(NEXT) | instid1(VALU_DEP_1)
	v_fmamk_f32 v8, v3, 0x3102e308, v8
	v_fmaak_f32 v10, s0, v8, 0x3ab69700
	v_cmp_eq_f32_e64 s0, 0x43000000, v3
	s_delay_alu instid0(VALU_DEP_2) | instskip(NEXT) | instid1(VALU_DEP_2)
	v_fmaak_f32 v10, v8, v10, 0x3c0887f9
	v_cndmask_b32_e64 v3, v11, 0x7f, s0
	s_delay_alu instid0(VALU_DEP_2) | instskip(NEXT) | instid1(VALU_DEP_2)
	v_fmaak_f32 v10, v8, v10, 0x3d2aaa81
	v_ldexp_f32 v3, 1.0, v3
	s_delay_alu instid0(VALU_DEP_2) | instskip(NEXT) | instid1(VALU_DEP_1)
	v_fmaak_f32 v10, v8, v10, 0x3e2aaaab
	v_fma_f32 v10, v8, v10, 0.5
	s_delay_alu instid0(VALU_DEP_1) | instskip(NEXT) | instid1(VALU_DEP_1)
	v_mul_f32_e32 v10, v8, v10
	v_fmac_f32_e32 v8, v8, v10
	v_add_f32_e32 v10, -1.0, v3
	s_delay_alu instid0(VALU_DEP_1) | instskip(NEXT) | instid1(VALU_DEP_1)
	v_fmac_f32_e32 v10, v3, v8
	v_add_f32_e32 v3, v10, v10
	s_delay_alu instid0(VALU_DEP_1) | instskip(SKIP_1) | instid1(VALU_DEP_1)
	v_cndmask_b32_e64 v3, v10, v3, s0
	v_cmp_nlt_f32_e64 s0, 0x42b17217, v9
	v_cndmask_b32_e64 v3, 0x7f800000, v3, s0
	v_cmp_ngt_f32_e64 s0, 0xc1880000, v9
	s_delay_alu instid0(VALU_DEP_1)
	v_cndmask_b32_e64 v3, -1.0, v3, s0
.LBB115_14:
	s_or_b32 exec_lo, exec_lo, s1
	v_or_b32_e32 v8, 0x300, v0
	s_mov_b32 s1, exec_lo
	s_delay_alu instid0(VALU_DEP_1)
	v_cmpx_gt_i32_e64 s3, v8
	s_cbranch_execnz .LBB115_24
; %bb.15:
	s_or_b32 exec_lo, exec_lo, s1
	s_and_saveexec_b32 s0, vcc_lo
	s_delay_alu instid0(SALU_CYCLE_1)
	s_xor_b32 s0, exec_lo, s0
	s_cbranch_execnz .LBB115_25
.LBB115_16:
	s_or_b32 exec_lo, exec_lo, s0
	s_delay_alu instid0(SALU_CYCLE_1)
	s_mov_b32 s0, exec_lo
	v_cmpx_gt_i32_e64 s3, v0
	s_cbranch_execnz .LBB115_26
.LBB115_17:
	s_or_b32 exec_lo, exec_lo, s0
	s_delay_alu instid0(SALU_CYCLE_1)
	s_mov_b32 s0, exec_lo
	v_cmpx_gt_i32_e64 s3, v0
	s_cbranch_execnz .LBB115_27
.LBB115_18:
	s_or_b32 exec_lo, exec_lo, s0
	s_delay_alu instid0(SALU_CYCLE_1)
	s_mov_b32 s0, exec_lo
	v_cmpx_gt_i32_e64 s3, v0
	s_cbranch_execz .LBB115_20
.LBB115_19:
	v_dual_mov_b32 v1, 0 :: v_dual_add_nc_u32 v0, s8, v0
	s_delay_alu instid0(VALU_DEP_1) | instskip(NEXT) | instid1(VALU_DEP_1)
	v_lshlrev_b64 v[0:1], 2, v[0:1]
	v_add_co_u32 v0, vcc_lo, s4, v0
	s_delay_alu instid0(VALU_DEP_2)
	v_add_co_ci_u32_e32 v1, vcc_lo, s5, v1, vcc_lo
	global_store_b32 v[0:1], v4, off
.LBB115_20:
	s_nop 0
	s_sendmsg sendmsg(MSG_DEALLOC_VGPRS)
	s_endpgm
.LBB115_21:
	v_dual_mov_b32 v3, 0 :: v_dual_add_nc_u32 v2, s8, v1
	v_add_nc_u32_e32 v1, 0x100, v1
	s_delay_alu instid0(VALU_DEP_2) | instskip(NEXT) | instid1(VALU_DEP_1)
	v_lshlrev_b64 v[2:3], 2, v[2:3]
	v_add_co_u32 v2, s0, s6, v2
	s_delay_alu instid0(VALU_DEP_1) | instskip(SKIP_2) | instid1(SALU_CYCLE_1)
	v_add_co_ci_u32_e64 v3, s0, s7, v3, s0
	global_load_b32 v9, v[2:3], off
	s_or_b32 exec_lo, exec_lo, s1
	s_mov_b32 s1, exec_lo
	v_cmpx_gt_i32_e64 s3, v1
	s_cbranch_execz .LBB115_9
.LBB115_22:
	v_dual_mov_b32 v2, 0 :: v_dual_add_nc_u32 v1, s8, v1
	s_delay_alu instid0(VALU_DEP_1) | instskip(NEXT) | instid1(VALU_DEP_1)
	v_lshlrev_b64 v[1:2], 2, v[1:2]
	v_add_co_u32 v1, s0, s6, v1
	s_delay_alu instid0(VALU_DEP_1)
	v_add_co_ci_u32_e64 v2, s0, s7, v2, s0
	global_load_b32 v6, v[1:2], off
	s_or_b32 exec_lo, exec_lo, s1
                                        ; implicit-def: $vgpr1_vgpr2_vgpr3_vgpr4
	s_and_saveexec_b32 s1, vcc_lo
	s_cbranch_execz .LBB115_10
.LBB115_23:
	s_waitcnt vmcnt(0)
	v_mul_f32_e32 v1, 0x3fb8aa3b, v10
	s_mov_b32 s0, 0x395133b1
	s_delay_alu instid0(VALU_DEP_1) | instskip(NEXT) | instid1(VALU_DEP_1)
	v_rndne_f32_e32 v1, v1
	v_fmamk_f32 v2, v1, 0xbf317218, v10
	v_cvt_i32_f32_e32 v4, v1
	s_delay_alu instid0(VALU_DEP_2) | instskip(NEXT) | instid1(VALU_DEP_1)
	v_fmamk_f32 v2, v1, 0x3102e308, v2
	v_fmaak_f32 v3, s0, v2, 0x3ab69700
	v_cmp_eq_f32_e64 s0, 0x43000000, v1
	s_delay_alu instid0(VALU_DEP_2) | instskip(NEXT) | instid1(VALU_DEP_2)
	v_fmaak_f32 v3, v2, v3, 0x3c0887f9
	v_cndmask_b32_e64 v1, v4, 0x7f, s0
	s_delay_alu instid0(VALU_DEP_2) | instskip(NEXT) | instid1(VALU_DEP_2)
	v_fmaak_f32 v3, v2, v3, 0x3d2aaa81
	v_ldexp_f32 v1, 1.0, v1
	s_delay_alu instid0(VALU_DEP_2) | instskip(NEXT) | instid1(VALU_DEP_1)
	v_fmaak_f32 v3, v2, v3, 0x3e2aaaab
	v_fma_f32 v3, v2, v3, 0.5
	s_delay_alu instid0(VALU_DEP_1) | instskip(NEXT) | instid1(VALU_DEP_1)
	v_mul_f32_e32 v3, v2, v3
	v_dual_fmac_f32 v2, v2, v3 :: v_dual_add_f32 v3, -1.0, v1
	s_delay_alu instid0(VALU_DEP_1) | instskip(NEXT) | instid1(VALU_DEP_1)
	v_fmac_f32_e32 v3, v1, v2
	v_add_f32_e32 v1, v3, v3
	s_delay_alu instid0(VALU_DEP_1) | instskip(SKIP_1) | instid1(VALU_DEP_1)
	v_cndmask_b32_e64 v1, v3, v1, s0
	v_cmp_nlt_f32_e64 s0, 0x42b17217, v10
	v_cndmask_b32_e64 v1, 0x7f800000, v1, s0
	v_cmp_ngt_f32_e64 s0, 0xc1880000, v10
	s_delay_alu instid0(VALU_DEP_1) | instskip(SKIP_1) | instid1(SALU_CYCLE_1)
	v_cndmask_b32_e64 v1, -1.0, v1, s0
	s_or_b32 exec_lo, exec_lo, s1
	s_mov_b32 s1, exec_lo
	v_cmpx_gt_i32_e64 s3, v7
	s_cbranch_execnz .LBB115_11
	s_branch .LBB115_12
.LBB115_24:
	v_mul_f32_e32 v4, 0x3fb8aa3b, v6
	s_mov_b32 s0, 0x395133b1
	s_delay_alu instid0(VALU_DEP_1) | instskip(NEXT) | instid1(VALU_DEP_1)
	v_rndne_f32_e32 v4, v4
	v_fmamk_f32 v8, v4, 0xbf317218, v6
	v_cvt_i32_f32_e32 v10, v4
	s_delay_alu instid0(VALU_DEP_2) | instskip(NEXT) | instid1(VALU_DEP_1)
	v_fmamk_f32 v8, v4, 0x3102e308, v8
	v_fmaak_f32 v9, s0, v8, 0x3ab69700
	v_cmp_eq_f32_e64 s0, 0x43000000, v4
	s_delay_alu instid0(VALU_DEP_2) | instskip(NEXT) | instid1(VALU_DEP_2)
	v_fmaak_f32 v9, v8, v9, 0x3c0887f9
	v_cndmask_b32_e64 v4, v10, 0x7f, s0
	s_delay_alu instid0(VALU_DEP_2) | instskip(NEXT) | instid1(VALU_DEP_2)
	v_fmaak_f32 v9, v8, v9, 0x3d2aaa81
	v_ldexp_f32 v4, 1.0, v4
	s_delay_alu instid0(VALU_DEP_2) | instskip(NEXT) | instid1(VALU_DEP_1)
	v_fmaak_f32 v9, v8, v9, 0x3e2aaaab
	v_fma_f32 v9, v8, v9, 0.5
	s_delay_alu instid0(VALU_DEP_1) | instskip(NEXT) | instid1(VALU_DEP_1)
	v_mul_f32_e32 v9, v8, v9
	v_dual_fmac_f32 v8, v8, v9 :: v_dual_add_f32 v9, -1.0, v4
	s_delay_alu instid0(VALU_DEP_1) | instskip(NEXT) | instid1(VALU_DEP_1)
	v_fmac_f32_e32 v9, v4, v8
	v_add_f32_e32 v4, v9, v9
	s_delay_alu instid0(VALU_DEP_1) | instskip(SKIP_1) | instid1(VALU_DEP_1)
	v_cndmask_b32_e64 v4, v9, v4, s0
	v_cmp_nlt_f32_e64 s0, 0x42b17217, v6
	v_cndmask_b32_e64 v4, 0x7f800000, v4, s0
	v_cmp_ngt_f32_e64 s0, 0xc1880000, v6
	s_delay_alu instid0(VALU_DEP_1) | instskip(SKIP_2) | instid1(SALU_CYCLE_1)
	v_cndmask_b32_e64 v4, -1.0, v4, s0
	s_or_b32 exec_lo, exec_lo, s1
	s_and_saveexec_b32 s0, vcc_lo
	s_xor_b32 s0, exec_lo, s0
	s_cbranch_execz .LBB115_16
.LBB115_25:
	v_mov_b32_e32 v6, 0
	v_mov_b32_e32 v0, v7
	s_delay_alu instid0(VALU_DEP_2) | instskip(NEXT) | instid1(VALU_DEP_1)
	v_lshlrev_b64 v[5:6], 2, v[5:6]
	v_add_co_u32 v5, vcc_lo, s4, v5
	s_delay_alu instid0(VALU_DEP_2) | instskip(SKIP_2) | instid1(SALU_CYCLE_1)
	v_add_co_ci_u32_e32 v6, vcc_lo, s5, v6, vcc_lo
	global_store_b32 v[5:6], v1, off
	s_or_b32 exec_lo, exec_lo, s0
	s_mov_b32 s0, exec_lo
	v_cmpx_gt_i32_e64 s3, v0
	s_cbranch_execz .LBB115_17
.LBB115_26:
	v_dual_mov_b32 v6, 0 :: v_dual_add_nc_u32 v5, s8, v0
	v_add_nc_u32_e32 v0, 0x100, v0
	s_delay_alu instid0(VALU_DEP_2) | instskip(NEXT) | instid1(VALU_DEP_1)
	v_lshlrev_b64 v[5:6], 2, v[5:6]
	v_add_co_u32 v5, vcc_lo, s4, v5
	s_delay_alu instid0(VALU_DEP_2) | instskip(SKIP_2) | instid1(SALU_CYCLE_1)
	v_add_co_ci_u32_e32 v6, vcc_lo, s5, v6, vcc_lo
	global_store_b32 v[5:6], v2, off
	s_or_b32 exec_lo, exec_lo, s0
	s_mov_b32 s0, exec_lo
	v_cmpx_gt_i32_e64 s3, v0
	s_cbranch_execz .LBB115_18
.LBB115_27:
	v_dual_mov_b32 v2, 0 :: v_dual_add_nc_u32 v1, s8, v0
	v_add_nc_u32_e32 v0, 0x100, v0
	s_delay_alu instid0(VALU_DEP_2) | instskip(NEXT) | instid1(VALU_DEP_1)
	v_lshlrev_b64 v[1:2], 2, v[1:2]
	v_add_co_u32 v1, vcc_lo, s4, v1
	s_delay_alu instid0(VALU_DEP_2) | instskip(SKIP_2) | instid1(SALU_CYCLE_1)
	v_add_co_ci_u32_e32 v2, vcc_lo, s5, v2, vcc_lo
	global_store_b32 v[1:2], v3, off
	s_or_b32 exec_lo, exec_lo, s0
	s_mov_b32 s0, exec_lo
	v_cmpx_gt_i32_e64 s3, v0
	s_cbranch_execnz .LBB115_19
	s_branch .LBB115_20
	.section	.rodata,"a",@progbits
	.p2align	6, 0x0
	.amdhsa_kernel _ZN2at6native29vectorized_elementwise_kernelILi8EZZZNS0_17expm1_kernel_cudaERNS_18TensorIteratorBaseEENKUlvE_clEvENKUlvE0_clEvEUlfE_St5arrayIPcLm2EEEEviT0_T1_
		.amdhsa_group_segment_fixed_size 0
		.amdhsa_private_segment_fixed_size 0
		.amdhsa_kernarg_size 24
		.amdhsa_user_sgpr_count 15
		.amdhsa_user_sgpr_dispatch_ptr 0
		.amdhsa_user_sgpr_queue_ptr 0
		.amdhsa_user_sgpr_kernarg_segment_ptr 1
		.amdhsa_user_sgpr_dispatch_id 0
		.amdhsa_user_sgpr_private_segment_size 0
		.amdhsa_wavefront_size32 1
		.amdhsa_uses_dynamic_stack 0
		.amdhsa_enable_private_segment 0
		.amdhsa_system_sgpr_workgroup_id_x 1
		.amdhsa_system_sgpr_workgroup_id_y 0
		.amdhsa_system_sgpr_workgroup_id_z 0
		.amdhsa_system_sgpr_workgroup_info 0
		.amdhsa_system_vgpr_workitem_id 0
		.amdhsa_next_free_vgpr 22
		.amdhsa_next_free_sgpr 16
		.amdhsa_reserve_vcc 1
		.amdhsa_float_round_mode_32 0
		.amdhsa_float_round_mode_16_64 0
		.amdhsa_float_denorm_mode_32 3
		.amdhsa_float_denorm_mode_16_64 3
		.amdhsa_dx10_clamp 1
		.amdhsa_ieee_mode 1
		.amdhsa_fp16_overflow 0
		.amdhsa_workgroup_processor_mode 1
		.amdhsa_memory_ordered 1
		.amdhsa_forward_progress 0
		.amdhsa_shared_vgpr_count 0
		.amdhsa_exception_fp_ieee_invalid_op 0
		.amdhsa_exception_fp_denorm_src 0
		.amdhsa_exception_fp_ieee_div_zero 0
		.amdhsa_exception_fp_ieee_overflow 0
		.amdhsa_exception_fp_ieee_underflow 0
		.amdhsa_exception_fp_ieee_inexact 0
		.amdhsa_exception_int_div_zero 0
	.end_amdhsa_kernel
	.section	.text._ZN2at6native29vectorized_elementwise_kernelILi8EZZZNS0_17expm1_kernel_cudaERNS_18TensorIteratorBaseEENKUlvE_clEvENKUlvE0_clEvEUlfE_St5arrayIPcLm2EEEEviT0_T1_,"axG",@progbits,_ZN2at6native29vectorized_elementwise_kernelILi8EZZZNS0_17expm1_kernel_cudaERNS_18TensorIteratorBaseEENKUlvE_clEvENKUlvE0_clEvEUlfE_St5arrayIPcLm2EEEEviT0_T1_,comdat
.Lfunc_end115:
	.size	_ZN2at6native29vectorized_elementwise_kernelILi8EZZZNS0_17expm1_kernel_cudaERNS_18TensorIteratorBaseEENKUlvE_clEvENKUlvE0_clEvEUlfE_St5arrayIPcLm2EEEEviT0_T1_, .Lfunc_end115-_ZN2at6native29vectorized_elementwise_kernelILi8EZZZNS0_17expm1_kernel_cudaERNS_18TensorIteratorBaseEENKUlvE_clEvENKUlvE0_clEvEUlfE_St5arrayIPcLm2EEEEviT0_T1_
                                        ; -- End function
	.section	.AMDGPU.csdata,"",@progbits
; Kernel info:
; codeLenInByte = 2596
; NumSgprs: 18
; NumVgprs: 22
; ScratchSize: 0
; MemoryBound: 0
; FloatMode: 240
; IeeeMode: 1
; LDSByteSize: 0 bytes/workgroup (compile time only)
; SGPRBlocks: 2
; VGPRBlocks: 2
; NumSGPRsForWavesPerEU: 18
; NumVGPRsForWavesPerEU: 22
; Occupancy: 16
; WaveLimiterHint : 0
; COMPUTE_PGM_RSRC2:SCRATCH_EN: 0
; COMPUTE_PGM_RSRC2:USER_SGPR: 15
; COMPUTE_PGM_RSRC2:TRAP_HANDLER: 0
; COMPUTE_PGM_RSRC2:TGID_X_EN: 1
; COMPUTE_PGM_RSRC2:TGID_Y_EN: 0
; COMPUTE_PGM_RSRC2:TGID_Z_EN: 0
; COMPUTE_PGM_RSRC2:TIDIG_COMP_CNT: 0
	.section	.text._ZN2at6native29vectorized_elementwise_kernelILi4EZZZNS0_17expm1_kernel_cudaERNS_18TensorIteratorBaseEENKUlvE_clEvENKUlvE0_clEvEUlfE_St5arrayIPcLm2EEEEviT0_T1_,"axG",@progbits,_ZN2at6native29vectorized_elementwise_kernelILi4EZZZNS0_17expm1_kernel_cudaERNS_18TensorIteratorBaseEENKUlvE_clEvENKUlvE0_clEvEUlfE_St5arrayIPcLm2EEEEviT0_T1_,comdat
	.globl	_ZN2at6native29vectorized_elementwise_kernelILi4EZZZNS0_17expm1_kernel_cudaERNS_18TensorIteratorBaseEENKUlvE_clEvENKUlvE0_clEvEUlfE_St5arrayIPcLm2EEEEviT0_T1_ ; -- Begin function _ZN2at6native29vectorized_elementwise_kernelILi4EZZZNS0_17expm1_kernel_cudaERNS_18TensorIteratorBaseEENKUlvE_clEvENKUlvE0_clEvEUlfE_St5arrayIPcLm2EEEEviT0_T1_
	.p2align	8
	.type	_ZN2at6native29vectorized_elementwise_kernelILi4EZZZNS0_17expm1_kernel_cudaERNS_18TensorIteratorBaseEENKUlvE_clEvENKUlvE0_clEvEUlfE_St5arrayIPcLm2EEEEviT0_T1_,@function
_ZN2at6native29vectorized_elementwise_kernelILi4EZZZNS0_17expm1_kernel_cudaERNS_18TensorIteratorBaseEENKUlvE_clEvENKUlvE0_clEvEUlfE_St5arrayIPcLm2EEEEviT0_T1_: ; @_ZN2at6native29vectorized_elementwise_kernelILi4EZZZNS0_17expm1_kernel_cudaERNS_18TensorIteratorBaseEENKUlvE_clEvENKUlvE0_clEvEUlfE_St5arrayIPcLm2EEEEviT0_T1_
; %bb.0:
	s_clause 0x1
	s_load_b32 s2, s[0:1], 0x0
	s_load_b128 s[4:7], s[0:1], 0x8
	s_lshl_b32 s8, s15, 10
	s_mov_b32 s0, -1
	s_waitcnt lgkmcnt(0)
	s_sub_i32 s3, s2, s8
	s_delay_alu instid0(SALU_CYCLE_1)
	s_cmpk_gt_i32 s3, 0x3ff
	s_cbranch_scc0 .LBB116_2
; %bb.1:
	s_ashr_i32 s9, s8, 31
	v_lshlrev_b32_e32 v5, 4, v0
	s_lshl_b64 s[10:11], s[8:9], 2
	s_mov_b32 s9, 0x395133b1
	s_add_u32 s0, s6, s10
	s_addc_u32 s1, s7, s11
	s_add_u32 s10, s4, s10
	global_load_b128 v[1:4], v5, s[0:1]
	s_addc_u32 s11, s5, s11
	s_waitcnt vmcnt(0)
	v_dual_mul_f32 v6, 0x3fb8aa3b, v1 :: v_dual_mul_f32 v7, 0x3fb8aa3b, v2
	v_mul_f32_e32 v8, 0x3fb8aa3b, v3
	s_delay_alu instid0(VALU_DEP_2) | instskip(NEXT) | instid1(VALU_DEP_3)
	v_rndne_f32_e32 v6, v6
	v_rndne_f32_e32 v7, v7
	s_delay_alu instid0(VALU_DEP_3) | instskip(NEXT) | instid1(VALU_DEP_3)
	v_rndne_f32_e32 v8, v8
	v_cvt_i32_f32_e32 v11, v6
	s_delay_alu instid0(VALU_DEP_3)
	v_fmamk_f32 v12, v7, 0xbf317218, v2
	v_cvt_i32_f32_e32 v13, v7
	v_cmp_eq_f32_e64 s0, 0x43000000, v7
	v_cmp_eq_f32_e32 vcc_lo, 0x43000000, v6
	v_cvt_i32_f32_e32 v15, v8
	v_fmac_f32_e32 v12, 0x3102e308, v7
	v_cmp_eq_f32_e64 s1, 0x43000000, v8
	v_cndmask_b32_e64 v7, v13, 0x7f, s0
	s_delay_alu instid0(VALU_DEP_1) | instskip(NEXT) | instid1(VALU_DEP_1)
	v_ldexp_f32 v7, 1.0, v7
	v_dual_fmamk_f32 v10, v6, 0xbf317218, v1 :: v_dual_add_f32 v19, -1.0, v7
	s_delay_alu instid0(VALU_DEP_1) | instskip(SKIP_2) | instid1(VALU_DEP_2)
	v_fmac_f32_e32 v10, 0x3102e308, v6
	v_fmaak_f32 v13, s9, v12, 0x3ab69700
	v_cndmask_b32_e64 v6, v11, 0x7f, vcc_lo
	v_fmaak_f32 v13, v12, v13, 0x3c0887f9
	s_delay_alu instid0(VALU_DEP_2) | instskip(SKIP_1) | instid1(VALU_DEP_2)
	v_ldexp_f32 v6, 1.0, v6
	v_mul_f32_e32 v9, 0x3fb8aa3b, v4
	v_dual_fmaak_f32 v13, v12, v13, 0x3d2aaa81 :: v_dual_add_f32 v18, -1.0, v6
	s_delay_alu instid0(VALU_DEP_2) | instskip(NEXT) | instid1(VALU_DEP_2)
	v_rndne_f32_e32 v9, v9
	v_fmaak_f32 v13, v12, v13, 0x3e2aaaab
	s_delay_alu instid0(VALU_DEP_2) | instskip(SKIP_1) | instid1(VALU_DEP_3)
	v_cvt_i32_f32_e32 v17, v9
	v_cmp_eq_f32_e64 s2, 0x43000000, v9
	v_fma_f32 v13, v12, v13, 0.5
	s_delay_alu instid0(VALU_DEP_1) | instskip(NEXT) | instid1(VALU_DEP_1)
	v_dual_fmamk_f32 v16, v9, 0xbf317218, v4 :: v_dual_mul_f32 v13, v12, v13
	v_fmac_f32_e32 v16, 0x3102e308, v9
	s_delay_alu instid0(VALU_DEP_4) | instskip(NEXT) | instid1(VALU_DEP_2)
	v_cndmask_b32_e64 v9, v17, 0x7f, s2
	v_fmaak_f32 v17, s9, v16, 0x3ab69700
	s_delay_alu instid0(VALU_DEP_2) | instskip(SKIP_1) | instid1(VALU_DEP_3)
	v_ldexp_f32 v9, 1.0, v9
	v_fmamk_f32 v14, v8, 0xbf317218, v3
	v_fmaak_f32 v17, v16, v17, 0x3c0887f9
	s_delay_alu instid0(VALU_DEP_3) | instskip(NEXT) | instid1(VALU_DEP_2)
	v_add_f32_e32 v21, -1.0, v9
	v_fmaak_f32 v17, v16, v17, 0x3d2aaa81
	s_delay_alu instid0(VALU_DEP_1) | instskip(NEXT) | instid1(VALU_DEP_1)
	v_fmaak_f32 v17, v16, v17, 0x3e2aaaab
	v_fma_f32 v17, v16, v17, 0.5
	s_delay_alu instid0(VALU_DEP_1) | instskip(SKIP_1) | instid1(VALU_DEP_1)
	v_mul_f32_e32 v17, v16, v17
	v_fmac_f32_e32 v12, v12, v13
	v_fmac_f32_e32 v19, v7, v12
	;; [unrolled: 1-line block ×3, first 2 shown]
	v_cndmask_b32_e64 v8, v15, 0x7f, s1
	s_delay_alu instid0(VALU_DEP_3) | instskip(NEXT) | instid1(VALU_DEP_3)
	v_dual_fmac_f32 v16, v16, v17 :: v_dual_add_f32 v7, v19, v19
	v_fmaak_f32 v15, s9, v14, 0x3ab69700
	s_delay_alu instid0(VALU_DEP_3) | instskip(NEXT) | instid1(VALU_DEP_3)
	v_ldexp_f32 v8, 1.0, v8
	v_cndmask_b32_e64 v7, v19, v7, s0
	s_delay_alu instid0(VALU_DEP_3) | instskip(SKIP_1) | instid1(VALU_DEP_1)
	v_fmaak_f32 v15, v14, v15, 0x3c0887f9
	s_mov_b32 s0, 0
	v_dual_add_f32 v20, -1.0, v8 :: v_dual_fmaak_f32 v15, v14, v15, 0x3d2aaa81
	s_delay_alu instid0(VALU_DEP_1) | instskip(NEXT) | instid1(VALU_DEP_1)
	v_fmaak_f32 v15, v14, v15, 0x3e2aaaab
	v_fma_f32 v15, v14, v15, 0.5
	s_delay_alu instid0(VALU_DEP_1) | instskip(NEXT) | instid1(VALU_DEP_1)
	v_mul_f32_e32 v15, v14, v15
	v_dual_fmaak_f32 v11, s9, v10, 0x3ab69700 :: v_dual_fmac_f32 v14, v14, v15
	s_delay_alu instid0(VALU_DEP_1) | instskip(NEXT) | instid1(VALU_DEP_1)
	v_dual_fmaak_f32 v11, v10, v11, 0x3c0887f9 :: v_dual_fmac_f32 v20, v8, v14
	v_dual_fmaak_f32 v11, v10, v11, 0x3d2aaa81 :: v_dual_add_f32 v8, v20, v20
	s_delay_alu instid0(VALU_DEP_1) | instskip(NEXT) | instid1(VALU_DEP_2)
	v_fmaak_f32 v11, v10, v11, 0x3e2aaaab
	v_cndmask_b32_e64 v8, v20, v8, s1
	s_delay_alu instid0(VALU_DEP_2) | instskip(NEXT) | instid1(VALU_DEP_1)
	v_fma_f32 v11, v10, v11, 0.5
	v_mul_f32_e32 v11, v10, v11
	s_delay_alu instid0(VALU_DEP_1) | instskip(NEXT) | instid1(VALU_DEP_1)
	v_fmac_f32_e32 v10, v10, v11
	v_fmac_f32_e32 v18, v6, v10
	s_delay_alu instid0(VALU_DEP_1) | instskip(NEXT) | instid1(VALU_DEP_1)
	v_add_f32_e32 v6, v18, v18
	v_cndmask_b32_e32 v6, v18, v6, vcc_lo
	v_cmp_nlt_f32_e32 vcc_lo, 0x42b17217, v1
	s_delay_alu instid0(VALU_DEP_2) | instskip(SKIP_3) | instid1(VALU_DEP_4)
	v_dual_fmac_f32 v21, v9, v16 :: v_dual_cndmask_b32 v6, 0x7f800000, v6
	v_cmp_nlt_f32_e32 vcc_lo, 0x42b17217, v2
	v_cndmask_b32_e32 v7, 0x7f800000, v7, vcc_lo
	v_cmp_nlt_f32_e32 vcc_lo, 0x42b17217, v3
	v_dual_add_f32 v9, v21, v21 :: v_dual_cndmask_b32 v8, 0x7f800000, v8
	s_delay_alu instid0(VALU_DEP_1) | instskip(SKIP_1) | instid1(VALU_DEP_2)
	v_cndmask_b32_e64 v9, v21, v9, s2
	v_cmp_nlt_f32_e32 vcc_lo, 0x42b17217, v4
	v_cndmask_b32_e32 v9, 0x7f800000, v9, vcc_lo
	v_cmp_ngt_f32_e32 vcc_lo, 0xc1880000, v1
	v_cndmask_b32_e32 v1, -1.0, v6, vcc_lo
	v_cmp_ngt_f32_e32 vcc_lo, 0xc1880000, v2
	v_cndmask_b32_e32 v2, -1.0, v7, vcc_lo
	;; [unrolled: 2-line block ×4, first 2 shown]
	global_store_b128 v5, v[1:4], s[10:11]
.LBB116_2:
	s_and_not1_b32 vcc_lo, exec_lo, s0
	s_cbranch_vccnz .LBB116_20
; %bb.3:
	v_cmp_gt_i32_e32 vcc_lo, s3, v0
	v_dual_mov_b32 v8, 0 :: v_dual_mov_b32 v1, v0
	v_or_b32_e32 v5, s8, v0
	v_or_b32_e32 v7, 0x100, v0
	v_mov_b32_e32 v10, 0
	s_and_saveexec_b32 s1, vcc_lo
	s_cbranch_execz .LBB116_5
; %bb.4:
	v_mov_b32_e32 v6, 0
	s_delay_alu instid0(VALU_DEP_1) | instskip(NEXT) | instid1(VALU_DEP_1)
	v_lshlrev_b64 v[1:2], 2, v[5:6]
	v_add_co_u32 v1, s0, s6, v1
	s_delay_alu instid0(VALU_DEP_1)
	v_add_co_ci_u32_e64 v2, s0, s7, v2, s0
	global_load_b32 v10, v[1:2], off
	v_or_b32_e32 v1, 0x100, v0
.LBB116_5:
	s_or_b32 exec_lo, exec_lo, s1
	s_delay_alu instid0(SALU_CYCLE_1) | instskip(NEXT) | instid1(VALU_DEP_1)
	s_mov_b32 s1, exec_lo
	v_cmpx_gt_i32_e64 s3, v1
	s_cbranch_execz .LBB116_7
; %bb.6:
	v_dual_mov_b32 v3, 0 :: v_dual_add_nc_u32 v2, s8, v1
	v_add_nc_u32_e32 v1, 0x100, v1
	s_delay_alu instid0(VALU_DEP_2) | instskip(NEXT) | instid1(VALU_DEP_1)
	v_lshlrev_b64 v[2:3], 2, v[2:3]
	v_add_co_u32 v2, s0, s6, v2
	s_delay_alu instid0(VALU_DEP_1)
	v_add_co_ci_u32_e64 v3, s0, s7, v3, s0
	global_load_b32 v8, v[2:3], off
.LBB116_7:
	s_or_b32 exec_lo, exec_lo, s1
	v_dual_mov_b32 v6, 0 :: v_dual_mov_b32 v9, 0
	s_mov_b32 s1, exec_lo
	v_cmpx_gt_i32_e64 s3, v1
	s_cbranch_execnz .LBB116_21
; %bb.8:
	s_or_b32 exec_lo, exec_lo, s1
	s_delay_alu instid0(SALU_CYCLE_1)
	s_mov_b32 s1, exec_lo
	v_cmpx_gt_i32_e64 s3, v1
	s_cbranch_execnz .LBB116_22
.LBB116_9:
	s_or_b32 exec_lo, exec_lo, s1
                                        ; implicit-def: $vgpr1_vgpr2_vgpr3_vgpr4
	s_and_saveexec_b32 s1, vcc_lo
	s_cbranch_execnz .LBB116_23
.LBB116_10:
	s_or_b32 exec_lo, exec_lo, s1
	s_delay_alu instid0(SALU_CYCLE_1)
	s_mov_b32 s1, exec_lo
	v_cmpx_gt_i32_e64 s3, v7
	s_cbranch_execz .LBB116_12
.LBB116_11:
	s_waitcnt vmcnt(0)
	v_mul_f32_e32 v2, 0x3fb8aa3b, v8
	s_mov_b32 s0, 0x395133b1
	s_delay_alu instid0(VALU_DEP_1) | instskip(NEXT) | instid1(VALU_DEP_1)
	v_rndne_f32_e32 v2, v2
	v_fmamk_f32 v10, v2, 0xbf317218, v8
	v_cvt_i32_f32_e32 v12, v2
	s_delay_alu instid0(VALU_DEP_2) | instskip(NEXT) | instid1(VALU_DEP_1)
	v_fmamk_f32 v10, v2, 0x3102e308, v10
	v_fmaak_f32 v11, s0, v10, 0x3ab69700
	v_cmp_eq_f32_e64 s0, 0x43000000, v2
	s_delay_alu instid0(VALU_DEP_2) | instskip(NEXT) | instid1(VALU_DEP_2)
	v_fmaak_f32 v11, v10, v11, 0x3c0887f9
	v_cndmask_b32_e64 v2, v12, 0x7f, s0
	s_delay_alu instid0(VALU_DEP_2) | instskip(NEXT) | instid1(VALU_DEP_2)
	v_fmaak_f32 v11, v10, v11, 0x3d2aaa81
	v_ldexp_f32 v2, 1.0, v2
	s_delay_alu instid0(VALU_DEP_2) | instskip(NEXT) | instid1(VALU_DEP_1)
	v_fmaak_f32 v11, v10, v11, 0x3e2aaaab
	v_fma_f32 v11, v10, v11, 0.5
	s_delay_alu instid0(VALU_DEP_1) | instskip(NEXT) | instid1(VALU_DEP_1)
	v_mul_f32_e32 v11, v10, v11
	v_dual_fmac_f32 v10, v10, v11 :: v_dual_add_f32 v11, -1.0, v2
	s_delay_alu instid0(VALU_DEP_1) | instskip(NEXT) | instid1(VALU_DEP_1)
	v_fmac_f32_e32 v11, v2, v10
	v_add_f32_e32 v2, v11, v11
	s_delay_alu instid0(VALU_DEP_1) | instskip(SKIP_1) | instid1(VALU_DEP_1)
	v_cndmask_b32_e64 v2, v11, v2, s0
	v_cmp_nlt_f32_e64 s0, 0x42b17217, v8
	v_cndmask_b32_e64 v2, 0x7f800000, v2, s0
	v_cmp_ngt_f32_e64 s0, 0xc1880000, v8
	s_delay_alu instid0(VALU_DEP_1)
	v_cndmask_b32_e64 v2, -1.0, v2, s0
.LBB116_12:
	s_or_b32 exec_lo, exec_lo, s1
	s_waitcnt vmcnt(0)
	v_or_b32_e32 v8, 0x200, v0
	s_mov_b32 s1, exec_lo
	s_delay_alu instid0(VALU_DEP_1)
	v_cmpx_gt_i32_e64 s3, v8
	s_cbranch_execz .LBB116_14
; %bb.13:
	v_mul_f32_e32 v3, 0x3fb8aa3b, v9
	s_mov_b32 s0, 0x395133b1
	s_delay_alu instid0(VALU_DEP_1) | instskip(NEXT) | instid1(VALU_DEP_1)
	v_rndne_f32_e32 v3, v3
	v_fmamk_f32 v8, v3, 0xbf317218, v9
	v_cvt_i32_f32_e32 v11, v3
	s_delay_alu instid0(VALU_DEP_2) | instskip(NEXT) | instid1(VALU_DEP_1)
	v_fmamk_f32 v8, v3, 0x3102e308, v8
	v_fmaak_f32 v10, s0, v8, 0x3ab69700
	v_cmp_eq_f32_e64 s0, 0x43000000, v3
	s_delay_alu instid0(VALU_DEP_2) | instskip(NEXT) | instid1(VALU_DEP_2)
	v_fmaak_f32 v10, v8, v10, 0x3c0887f9
	v_cndmask_b32_e64 v3, v11, 0x7f, s0
	s_delay_alu instid0(VALU_DEP_2) | instskip(NEXT) | instid1(VALU_DEP_2)
	v_fmaak_f32 v10, v8, v10, 0x3d2aaa81
	v_ldexp_f32 v3, 1.0, v3
	s_delay_alu instid0(VALU_DEP_2) | instskip(NEXT) | instid1(VALU_DEP_1)
	v_fmaak_f32 v10, v8, v10, 0x3e2aaaab
	v_fma_f32 v10, v8, v10, 0.5
	s_delay_alu instid0(VALU_DEP_1) | instskip(NEXT) | instid1(VALU_DEP_1)
	v_mul_f32_e32 v10, v8, v10
	v_fmac_f32_e32 v8, v8, v10
	v_add_f32_e32 v10, -1.0, v3
	s_delay_alu instid0(VALU_DEP_1) | instskip(NEXT) | instid1(VALU_DEP_1)
	v_fmac_f32_e32 v10, v3, v8
	v_add_f32_e32 v3, v10, v10
	s_delay_alu instid0(VALU_DEP_1) | instskip(SKIP_1) | instid1(VALU_DEP_1)
	v_cndmask_b32_e64 v3, v10, v3, s0
	v_cmp_nlt_f32_e64 s0, 0x42b17217, v9
	v_cndmask_b32_e64 v3, 0x7f800000, v3, s0
	v_cmp_ngt_f32_e64 s0, 0xc1880000, v9
	s_delay_alu instid0(VALU_DEP_1)
	v_cndmask_b32_e64 v3, -1.0, v3, s0
.LBB116_14:
	s_or_b32 exec_lo, exec_lo, s1
	v_or_b32_e32 v8, 0x300, v0
	s_mov_b32 s1, exec_lo
	s_delay_alu instid0(VALU_DEP_1)
	v_cmpx_gt_i32_e64 s3, v8
	s_cbranch_execnz .LBB116_24
; %bb.15:
	s_or_b32 exec_lo, exec_lo, s1
	s_and_saveexec_b32 s0, vcc_lo
	s_delay_alu instid0(SALU_CYCLE_1)
	s_xor_b32 s0, exec_lo, s0
	s_cbranch_execnz .LBB116_25
.LBB116_16:
	s_or_b32 exec_lo, exec_lo, s0
	s_delay_alu instid0(SALU_CYCLE_1)
	s_mov_b32 s0, exec_lo
	v_cmpx_gt_i32_e64 s3, v0
	s_cbranch_execnz .LBB116_26
.LBB116_17:
	s_or_b32 exec_lo, exec_lo, s0
	s_delay_alu instid0(SALU_CYCLE_1)
	s_mov_b32 s0, exec_lo
	v_cmpx_gt_i32_e64 s3, v0
	s_cbranch_execnz .LBB116_27
.LBB116_18:
	s_or_b32 exec_lo, exec_lo, s0
	s_delay_alu instid0(SALU_CYCLE_1)
	s_mov_b32 s0, exec_lo
	v_cmpx_gt_i32_e64 s3, v0
	s_cbranch_execz .LBB116_20
.LBB116_19:
	v_dual_mov_b32 v1, 0 :: v_dual_add_nc_u32 v0, s8, v0
	s_delay_alu instid0(VALU_DEP_1) | instskip(NEXT) | instid1(VALU_DEP_1)
	v_lshlrev_b64 v[0:1], 2, v[0:1]
	v_add_co_u32 v0, vcc_lo, s4, v0
	s_delay_alu instid0(VALU_DEP_2)
	v_add_co_ci_u32_e32 v1, vcc_lo, s5, v1, vcc_lo
	global_store_b32 v[0:1], v4, off
.LBB116_20:
	s_nop 0
	s_sendmsg sendmsg(MSG_DEALLOC_VGPRS)
	s_endpgm
.LBB116_21:
	v_dual_mov_b32 v3, 0 :: v_dual_add_nc_u32 v2, s8, v1
	v_add_nc_u32_e32 v1, 0x100, v1
	s_delay_alu instid0(VALU_DEP_2) | instskip(NEXT) | instid1(VALU_DEP_1)
	v_lshlrev_b64 v[2:3], 2, v[2:3]
	v_add_co_u32 v2, s0, s6, v2
	s_delay_alu instid0(VALU_DEP_1) | instskip(SKIP_2) | instid1(SALU_CYCLE_1)
	v_add_co_ci_u32_e64 v3, s0, s7, v3, s0
	global_load_b32 v9, v[2:3], off
	s_or_b32 exec_lo, exec_lo, s1
	s_mov_b32 s1, exec_lo
	v_cmpx_gt_i32_e64 s3, v1
	s_cbranch_execz .LBB116_9
.LBB116_22:
	v_dual_mov_b32 v2, 0 :: v_dual_add_nc_u32 v1, s8, v1
	s_delay_alu instid0(VALU_DEP_1) | instskip(NEXT) | instid1(VALU_DEP_1)
	v_lshlrev_b64 v[1:2], 2, v[1:2]
	v_add_co_u32 v1, s0, s6, v1
	s_delay_alu instid0(VALU_DEP_1)
	v_add_co_ci_u32_e64 v2, s0, s7, v2, s0
	global_load_b32 v6, v[1:2], off
	s_or_b32 exec_lo, exec_lo, s1
                                        ; implicit-def: $vgpr1_vgpr2_vgpr3_vgpr4
	s_and_saveexec_b32 s1, vcc_lo
	s_cbranch_execz .LBB116_10
.LBB116_23:
	s_waitcnt vmcnt(0)
	v_mul_f32_e32 v1, 0x3fb8aa3b, v10
	s_mov_b32 s0, 0x395133b1
	s_delay_alu instid0(VALU_DEP_1) | instskip(NEXT) | instid1(VALU_DEP_1)
	v_rndne_f32_e32 v1, v1
	v_fmamk_f32 v2, v1, 0xbf317218, v10
	v_cvt_i32_f32_e32 v4, v1
	s_delay_alu instid0(VALU_DEP_2) | instskip(NEXT) | instid1(VALU_DEP_1)
	v_fmamk_f32 v2, v1, 0x3102e308, v2
	v_fmaak_f32 v3, s0, v2, 0x3ab69700
	v_cmp_eq_f32_e64 s0, 0x43000000, v1
	s_delay_alu instid0(VALU_DEP_2) | instskip(NEXT) | instid1(VALU_DEP_2)
	v_fmaak_f32 v3, v2, v3, 0x3c0887f9
	v_cndmask_b32_e64 v1, v4, 0x7f, s0
	s_delay_alu instid0(VALU_DEP_2) | instskip(NEXT) | instid1(VALU_DEP_2)
	v_fmaak_f32 v3, v2, v3, 0x3d2aaa81
	v_ldexp_f32 v1, 1.0, v1
	s_delay_alu instid0(VALU_DEP_2) | instskip(NEXT) | instid1(VALU_DEP_1)
	v_fmaak_f32 v3, v2, v3, 0x3e2aaaab
	v_fma_f32 v3, v2, v3, 0.5
	s_delay_alu instid0(VALU_DEP_1) | instskip(NEXT) | instid1(VALU_DEP_1)
	v_mul_f32_e32 v3, v2, v3
	v_dual_fmac_f32 v2, v2, v3 :: v_dual_add_f32 v3, -1.0, v1
	s_delay_alu instid0(VALU_DEP_1) | instskip(NEXT) | instid1(VALU_DEP_1)
	v_fmac_f32_e32 v3, v1, v2
	v_add_f32_e32 v1, v3, v3
	s_delay_alu instid0(VALU_DEP_1) | instskip(SKIP_1) | instid1(VALU_DEP_1)
	v_cndmask_b32_e64 v1, v3, v1, s0
	v_cmp_nlt_f32_e64 s0, 0x42b17217, v10
	v_cndmask_b32_e64 v1, 0x7f800000, v1, s0
	v_cmp_ngt_f32_e64 s0, 0xc1880000, v10
	s_delay_alu instid0(VALU_DEP_1) | instskip(SKIP_1) | instid1(SALU_CYCLE_1)
	v_cndmask_b32_e64 v1, -1.0, v1, s0
	s_or_b32 exec_lo, exec_lo, s1
	s_mov_b32 s1, exec_lo
	v_cmpx_gt_i32_e64 s3, v7
	s_cbranch_execnz .LBB116_11
	s_branch .LBB116_12
.LBB116_24:
	v_mul_f32_e32 v4, 0x3fb8aa3b, v6
	s_mov_b32 s0, 0x395133b1
	s_delay_alu instid0(VALU_DEP_1) | instskip(NEXT) | instid1(VALU_DEP_1)
	v_rndne_f32_e32 v4, v4
	v_fmamk_f32 v8, v4, 0xbf317218, v6
	v_cvt_i32_f32_e32 v10, v4
	s_delay_alu instid0(VALU_DEP_2) | instskip(NEXT) | instid1(VALU_DEP_1)
	v_fmamk_f32 v8, v4, 0x3102e308, v8
	v_fmaak_f32 v9, s0, v8, 0x3ab69700
	v_cmp_eq_f32_e64 s0, 0x43000000, v4
	s_delay_alu instid0(VALU_DEP_2) | instskip(NEXT) | instid1(VALU_DEP_2)
	v_fmaak_f32 v9, v8, v9, 0x3c0887f9
	v_cndmask_b32_e64 v4, v10, 0x7f, s0
	s_delay_alu instid0(VALU_DEP_2) | instskip(NEXT) | instid1(VALU_DEP_2)
	v_fmaak_f32 v9, v8, v9, 0x3d2aaa81
	v_ldexp_f32 v4, 1.0, v4
	s_delay_alu instid0(VALU_DEP_2) | instskip(NEXT) | instid1(VALU_DEP_1)
	v_fmaak_f32 v9, v8, v9, 0x3e2aaaab
	v_fma_f32 v9, v8, v9, 0.5
	s_delay_alu instid0(VALU_DEP_1) | instskip(NEXT) | instid1(VALU_DEP_1)
	v_mul_f32_e32 v9, v8, v9
	v_dual_fmac_f32 v8, v8, v9 :: v_dual_add_f32 v9, -1.0, v4
	s_delay_alu instid0(VALU_DEP_1) | instskip(NEXT) | instid1(VALU_DEP_1)
	v_fmac_f32_e32 v9, v4, v8
	v_add_f32_e32 v4, v9, v9
	s_delay_alu instid0(VALU_DEP_1) | instskip(SKIP_1) | instid1(VALU_DEP_1)
	v_cndmask_b32_e64 v4, v9, v4, s0
	v_cmp_nlt_f32_e64 s0, 0x42b17217, v6
	v_cndmask_b32_e64 v4, 0x7f800000, v4, s0
	v_cmp_ngt_f32_e64 s0, 0xc1880000, v6
	s_delay_alu instid0(VALU_DEP_1) | instskip(SKIP_2) | instid1(SALU_CYCLE_1)
	v_cndmask_b32_e64 v4, -1.0, v4, s0
	s_or_b32 exec_lo, exec_lo, s1
	s_and_saveexec_b32 s0, vcc_lo
	s_xor_b32 s0, exec_lo, s0
	s_cbranch_execz .LBB116_16
.LBB116_25:
	v_mov_b32_e32 v6, 0
	v_mov_b32_e32 v0, v7
	s_delay_alu instid0(VALU_DEP_2) | instskip(NEXT) | instid1(VALU_DEP_1)
	v_lshlrev_b64 v[5:6], 2, v[5:6]
	v_add_co_u32 v5, vcc_lo, s4, v5
	s_delay_alu instid0(VALU_DEP_2) | instskip(SKIP_2) | instid1(SALU_CYCLE_1)
	v_add_co_ci_u32_e32 v6, vcc_lo, s5, v6, vcc_lo
	global_store_b32 v[5:6], v1, off
	s_or_b32 exec_lo, exec_lo, s0
	s_mov_b32 s0, exec_lo
	v_cmpx_gt_i32_e64 s3, v0
	s_cbranch_execz .LBB116_17
.LBB116_26:
	v_dual_mov_b32 v6, 0 :: v_dual_add_nc_u32 v5, s8, v0
	v_add_nc_u32_e32 v0, 0x100, v0
	s_delay_alu instid0(VALU_DEP_2) | instskip(NEXT) | instid1(VALU_DEP_1)
	v_lshlrev_b64 v[5:6], 2, v[5:6]
	v_add_co_u32 v5, vcc_lo, s4, v5
	s_delay_alu instid0(VALU_DEP_2) | instskip(SKIP_2) | instid1(SALU_CYCLE_1)
	v_add_co_ci_u32_e32 v6, vcc_lo, s5, v6, vcc_lo
	global_store_b32 v[5:6], v2, off
	s_or_b32 exec_lo, exec_lo, s0
	s_mov_b32 s0, exec_lo
	v_cmpx_gt_i32_e64 s3, v0
	s_cbranch_execz .LBB116_18
.LBB116_27:
	v_dual_mov_b32 v2, 0 :: v_dual_add_nc_u32 v1, s8, v0
	v_add_nc_u32_e32 v0, 0x100, v0
	s_delay_alu instid0(VALU_DEP_2) | instskip(NEXT) | instid1(VALU_DEP_1)
	v_lshlrev_b64 v[1:2], 2, v[1:2]
	v_add_co_u32 v1, vcc_lo, s4, v1
	s_delay_alu instid0(VALU_DEP_2) | instskip(SKIP_2) | instid1(SALU_CYCLE_1)
	v_add_co_ci_u32_e32 v2, vcc_lo, s5, v2, vcc_lo
	global_store_b32 v[1:2], v3, off
	s_or_b32 exec_lo, exec_lo, s0
	s_mov_b32 s0, exec_lo
	v_cmpx_gt_i32_e64 s3, v0
	s_cbranch_execnz .LBB116_19
	s_branch .LBB116_20
	.section	.rodata,"a",@progbits
	.p2align	6, 0x0
	.amdhsa_kernel _ZN2at6native29vectorized_elementwise_kernelILi4EZZZNS0_17expm1_kernel_cudaERNS_18TensorIteratorBaseEENKUlvE_clEvENKUlvE0_clEvEUlfE_St5arrayIPcLm2EEEEviT0_T1_
		.amdhsa_group_segment_fixed_size 0
		.amdhsa_private_segment_fixed_size 0
		.amdhsa_kernarg_size 24
		.amdhsa_user_sgpr_count 15
		.amdhsa_user_sgpr_dispatch_ptr 0
		.amdhsa_user_sgpr_queue_ptr 0
		.amdhsa_user_sgpr_kernarg_segment_ptr 1
		.amdhsa_user_sgpr_dispatch_id 0
		.amdhsa_user_sgpr_private_segment_size 0
		.amdhsa_wavefront_size32 1
		.amdhsa_uses_dynamic_stack 0
		.amdhsa_enable_private_segment 0
		.amdhsa_system_sgpr_workgroup_id_x 1
		.amdhsa_system_sgpr_workgroup_id_y 0
		.amdhsa_system_sgpr_workgroup_id_z 0
		.amdhsa_system_sgpr_workgroup_info 0
		.amdhsa_system_vgpr_workitem_id 0
		.amdhsa_next_free_vgpr 22
		.amdhsa_next_free_sgpr 16
		.amdhsa_reserve_vcc 1
		.amdhsa_float_round_mode_32 0
		.amdhsa_float_round_mode_16_64 0
		.amdhsa_float_denorm_mode_32 3
		.amdhsa_float_denorm_mode_16_64 3
		.amdhsa_dx10_clamp 1
		.amdhsa_ieee_mode 1
		.amdhsa_fp16_overflow 0
		.amdhsa_workgroup_processor_mode 1
		.amdhsa_memory_ordered 1
		.amdhsa_forward_progress 0
		.amdhsa_shared_vgpr_count 0
		.amdhsa_exception_fp_ieee_invalid_op 0
		.amdhsa_exception_fp_denorm_src 0
		.amdhsa_exception_fp_ieee_div_zero 0
		.amdhsa_exception_fp_ieee_overflow 0
		.amdhsa_exception_fp_ieee_underflow 0
		.amdhsa_exception_fp_ieee_inexact 0
		.amdhsa_exception_int_div_zero 0
	.end_amdhsa_kernel
	.section	.text._ZN2at6native29vectorized_elementwise_kernelILi4EZZZNS0_17expm1_kernel_cudaERNS_18TensorIteratorBaseEENKUlvE_clEvENKUlvE0_clEvEUlfE_St5arrayIPcLm2EEEEviT0_T1_,"axG",@progbits,_ZN2at6native29vectorized_elementwise_kernelILi4EZZZNS0_17expm1_kernel_cudaERNS_18TensorIteratorBaseEENKUlvE_clEvENKUlvE0_clEvEUlfE_St5arrayIPcLm2EEEEviT0_T1_,comdat
.Lfunc_end116:
	.size	_ZN2at6native29vectorized_elementwise_kernelILi4EZZZNS0_17expm1_kernel_cudaERNS_18TensorIteratorBaseEENKUlvE_clEvENKUlvE0_clEvEUlfE_St5arrayIPcLm2EEEEviT0_T1_, .Lfunc_end116-_ZN2at6native29vectorized_elementwise_kernelILi4EZZZNS0_17expm1_kernel_cudaERNS_18TensorIteratorBaseEENKUlvE_clEvENKUlvE0_clEvEUlfE_St5arrayIPcLm2EEEEviT0_T1_
                                        ; -- End function
	.section	.AMDGPU.csdata,"",@progbits
; Kernel info:
; codeLenInByte = 2596
; NumSgprs: 18
; NumVgprs: 22
; ScratchSize: 0
; MemoryBound: 0
; FloatMode: 240
; IeeeMode: 1
; LDSByteSize: 0 bytes/workgroup (compile time only)
; SGPRBlocks: 2
; VGPRBlocks: 2
; NumSGPRsForWavesPerEU: 18
; NumVGPRsForWavesPerEU: 22
; Occupancy: 16
; WaveLimiterHint : 0
; COMPUTE_PGM_RSRC2:SCRATCH_EN: 0
; COMPUTE_PGM_RSRC2:USER_SGPR: 15
; COMPUTE_PGM_RSRC2:TRAP_HANDLER: 0
; COMPUTE_PGM_RSRC2:TGID_X_EN: 1
; COMPUTE_PGM_RSRC2:TGID_Y_EN: 0
; COMPUTE_PGM_RSRC2:TGID_Z_EN: 0
; COMPUTE_PGM_RSRC2:TIDIG_COMP_CNT: 0
	.section	.text._ZN2at6native29vectorized_elementwise_kernelILi2EZZZNS0_17expm1_kernel_cudaERNS_18TensorIteratorBaseEENKUlvE_clEvENKUlvE0_clEvEUlfE_St5arrayIPcLm2EEEEviT0_T1_,"axG",@progbits,_ZN2at6native29vectorized_elementwise_kernelILi2EZZZNS0_17expm1_kernel_cudaERNS_18TensorIteratorBaseEENKUlvE_clEvENKUlvE0_clEvEUlfE_St5arrayIPcLm2EEEEviT0_T1_,comdat
	.globl	_ZN2at6native29vectorized_elementwise_kernelILi2EZZZNS0_17expm1_kernel_cudaERNS_18TensorIteratorBaseEENKUlvE_clEvENKUlvE0_clEvEUlfE_St5arrayIPcLm2EEEEviT0_T1_ ; -- Begin function _ZN2at6native29vectorized_elementwise_kernelILi2EZZZNS0_17expm1_kernel_cudaERNS_18TensorIteratorBaseEENKUlvE_clEvENKUlvE0_clEvEUlfE_St5arrayIPcLm2EEEEviT0_T1_
	.p2align	8
	.type	_ZN2at6native29vectorized_elementwise_kernelILi2EZZZNS0_17expm1_kernel_cudaERNS_18TensorIteratorBaseEENKUlvE_clEvENKUlvE0_clEvEUlfE_St5arrayIPcLm2EEEEviT0_T1_,@function
_ZN2at6native29vectorized_elementwise_kernelILi2EZZZNS0_17expm1_kernel_cudaERNS_18TensorIteratorBaseEENKUlvE_clEvENKUlvE0_clEvEUlfE_St5arrayIPcLm2EEEEviT0_T1_: ; @_ZN2at6native29vectorized_elementwise_kernelILi2EZZZNS0_17expm1_kernel_cudaERNS_18TensorIteratorBaseEENKUlvE_clEvENKUlvE0_clEvEUlfE_St5arrayIPcLm2EEEEviT0_T1_
; %bb.0:
	s_clause 0x1
	s_load_b32 s2, s[0:1], 0x0
	s_load_b128 s[4:7], s[0:1], 0x8
	s_lshl_b32 s8, s15, 10
	s_mov_b32 s0, -1
	s_waitcnt lgkmcnt(0)
	s_sub_i32 s3, s2, s8
	s_delay_alu instid0(SALU_CYCLE_1)
	s_cmpk_gt_i32 s3, 0x3ff
	s_cbranch_scc0 .LBB117_2
; %bb.1:
	s_ashr_i32 s9, s8, 31
	v_lshlrev_b32_e32 v5, 3, v0
	s_lshl_b64 s[10:11], s[8:9], 2
	s_mov_b32 s9, 0x395133b1
	s_add_u32 s0, s6, s10
	s_addc_u32 s1, s7, s11
	s_add_u32 s10, s4, s10
	s_clause 0x1
	global_load_b64 v[1:2], v5, s[0:1]
	global_load_b64 v[3:4], v5, s[0:1] offset:2048
	s_addc_u32 s11, s5, s11
	s_waitcnt vmcnt(1)
	v_dual_mul_f32 v6, 0x3fb8aa3b, v1 :: v_dual_mul_f32 v7, 0x3fb8aa3b, v2
	s_waitcnt vmcnt(0)
	v_mul_f32_e32 v8, 0x3fb8aa3b, v3
	s_delay_alu instid0(VALU_DEP_2) | instskip(NEXT) | instid1(VALU_DEP_3)
	v_rndne_f32_e32 v6, v6
	v_rndne_f32_e32 v7, v7
	s_delay_alu instid0(VALU_DEP_3) | instskip(NEXT) | instid1(VALU_DEP_3)
	v_rndne_f32_e32 v8, v8
	v_cvt_i32_f32_e32 v11, v6
	s_delay_alu instid0(VALU_DEP_3)
	v_fmamk_f32 v12, v7, 0xbf317218, v2
	v_cvt_i32_f32_e32 v13, v7
	v_cmp_eq_f32_e64 s0, 0x43000000, v7
	v_cmp_eq_f32_e32 vcc_lo, 0x43000000, v6
	v_cvt_i32_f32_e32 v15, v8
	v_fmac_f32_e32 v12, 0x3102e308, v7
	v_cmp_eq_f32_e64 s1, 0x43000000, v8
	v_cndmask_b32_e64 v7, v13, 0x7f, s0
	s_delay_alu instid0(VALU_DEP_1) | instskip(NEXT) | instid1(VALU_DEP_1)
	v_ldexp_f32 v7, 1.0, v7
	v_dual_fmamk_f32 v10, v6, 0xbf317218, v1 :: v_dual_add_f32 v19, -1.0, v7
	s_delay_alu instid0(VALU_DEP_1) | instskip(SKIP_2) | instid1(VALU_DEP_2)
	v_fmac_f32_e32 v10, 0x3102e308, v6
	v_fmaak_f32 v13, s9, v12, 0x3ab69700
	v_cndmask_b32_e64 v6, v11, 0x7f, vcc_lo
	v_fmaak_f32 v13, v12, v13, 0x3c0887f9
	s_delay_alu instid0(VALU_DEP_2) | instskip(SKIP_1) | instid1(VALU_DEP_2)
	v_ldexp_f32 v6, 1.0, v6
	v_mul_f32_e32 v9, 0x3fb8aa3b, v4
	v_dual_fmaak_f32 v13, v12, v13, 0x3d2aaa81 :: v_dual_add_f32 v18, -1.0, v6
	s_delay_alu instid0(VALU_DEP_2) | instskip(NEXT) | instid1(VALU_DEP_2)
	v_rndne_f32_e32 v9, v9
	v_fmaak_f32 v13, v12, v13, 0x3e2aaaab
	s_delay_alu instid0(VALU_DEP_2) | instskip(SKIP_1) | instid1(VALU_DEP_3)
	v_cvt_i32_f32_e32 v17, v9
	v_cmp_eq_f32_e64 s2, 0x43000000, v9
	v_fma_f32 v13, v12, v13, 0.5
	s_delay_alu instid0(VALU_DEP_1) | instskip(NEXT) | instid1(VALU_DEP_1)
	v_dual_fmamk_f32 v16, v9, 0xbf317218, v4 :: v_dual_mul_f32 v13, v12, v13
	v_fmac_f32_e32 v16, 0x3102e308, v9
	s_delay_alu instid0(VALU_DEP_4) | instskip(NEXT) | instid1(VALU_DEP_2)
	v_cndmask_b32_e64 v9, v17, 0x7f, s2
	v_fmaak_f32 v17, s9, v16, 0x3ab69700
	s_delay_alu instid0(VALU_DEP_2) | instskip(SKIP_1) | instid1(VALU_DEP_3)
	v_ldexp_f32 v9, 1.0, v9
	v_fmamk_f32 v14, v8, 0xbf317218, v3
	v_fmaak_f32 v17, v16, v17, 0x3c0887f9
	s_delay_alu instid0(VALU_DEP_3) | instskip(NEXT) | instid1(VALU_DEP_2)
	v_add_f32_e32 v21, -1.0, v9
	v_fmaak_f32 v17, v16, v17, 0x3d2aaa81
	s_delay_alu instid0(VALU_DEP_1) | instskip(NEXT) | instid1(VALU_DEP_1)
	v_fmaak_f32 v17, v16, v17, 0x3e2aaaab
	v_fma_f32 v17, v16, v17, 0.5
	s_delay_alu instid0(VALU_DEP_1) | instskip(SKIP_1) | instid1(VALU_DEP_1)
	v_mul_f32_e32 v17, v16, v17
	v_fmac_f32_e32 v12, v12, v13
	v_fmac_f32_e32 v19, v7, v12
	;; [unrolled: 1-line block ×3, first 2 shown]
	v_cndmask_b32_e64 v8, v15, 0x7f, s1
	s_delay_alu instid0(VALU_DEP_3) | instskip(NEXT) | instid1(VALU_DEP_3)
	v_dual_fmac_f32 v16, v16, v17 :: v_dual_add_f32 v7, v19, v19
	v_fmaak_f32 v15, s9, v14, 0x3ab69700
	s_delay_alu instid0(VALU_DEP_3) | instskip(NEXT) | instid1(VALU_DEP_3)
	v_ldexp_f32 v8, 1.0, v8
	v_cndmask_b32_e64 v7, v19, v7, s0
	s_delay_alu instid0(VALU_DEP_3) | instskip(SKIP_1) | instid1(VALU_DEP_1)
	v_fmaak_f32 v15, v14, v15, 0x3c0887f9
	s_mov_b32 s0, 0
	v_dual_add_f32 v20, -1.0, v8 :: v_dual_fmaak_f32 v15, v14, v15, 0x3d2aaa81
	s_delay_alu instid0(VALU_DEP_1) | instskip(NEXT) | instid1(VALU_DEP_1)
	v_fmaak_f32 v15, v14, v15, 0x3e2aaaab
	v_fma_f32 v15, v14, v15, 0.5
	s_delay_alu instid0(VALU_DEP_1) | instskip(NEXT) | instid1(VALU_DEP_1)
	v_mul_f32_e32 v15, v14, v15
	v_dual_fmaak_f32 v11, s9, v10, 0x3ab69700 :: v_dual_fmac_f32 v14, v14, v15
	s_delay_alu instid0(VALU_DEP_1) | instskip(NEXT) | instid1(VALU_DEP_1)
	v_dual_fmaak_f32 v11, v10, v11, 0x3c0887f9 :: v_dual_fmac_f32 v20, v8, v14
	v_dual_fmaak_f32 v11, v10, v11, 0x3d2aaa81 :: v_dual_add_f32 v8, v20, v20
	s_delay_alu instid0(VALU_DEP_1) | instskip(NEXT) | instid1(VALU_DEP_2)
	v_fmaak_f32 v11, v10, v11, 0x3e2aaaab
	v_cndmask_b32_e64 v8, v20, v8, s1
	s_delay_alu instid0(VALU_DEP_2) | instskip(NEXT) | instid1(VALU_DEP_1)
	v_fma_f32 v11, v10, v11, 0.5
	v_mul_f32_e32 v11, v10, v11
	s_delay_alu instid0(VALU_DEP_1) | instskip(NEXT) | instid1(VALU_DEP_1)
	v_fmac_f32_e32 v10, v10, v11
	v_fmac_f32_e32 v18, v6, v10
	s_delay_alu instid0(VALU_DEP_1) | instskip(NEXT) | instid1(VALU_DEP_1)
	v_add_f32_e32 v6, v18, v18
	v_cndmask_b32_e32 v6, v18, v6, vcc_lo
	v_cmp_nlt_f32_e32 vcc_lo, 0x42b17217, v1
	s_delay_alu instid0(VALU_DEP_2) | instskip(SKIP_3) | instid1(VALU_DEP_4)
	v_dual_fmac_f32 v21, v9, v16 :: v_dual_cndmask_b32 v6, 0x7f800000, v6
	v_cmp_nlt_f32_e32 vcc_lo, 0x42b17217, v2
	v_cndmask_b32_e32 v7, 0x7f800000, v7, vcc_lo
	v_cmp_nlt_f32_e32 vcc_lo, 0x42b17217, v3
	v_dual_add_f32 v9, v21, v21 :: v_dual_cndmask_b32 v8, 0x7f800000, v8
	s_delay_alu instid0(VALU_DEP_1) | instskip(SKIP_1) | instid1(VALU_DEP_2)
	v_cndmask_b32_e64 v9, v21, v9, s2
	v_cmp_nlt_f32_e32 vcc_lo, 0x42b17217, v4
	v_cndmask_b32_e32 v9, 0x7f800000, v9, vcc_lo
	v_cmp_ngt_f32_e32 vcc_lo, 0xc1880000, v1
	v_cndmask_b32_e32 v1, -1.0, v6, vcc_lo
	v_cmp_ngt_f32_e32 vcc_lo, 0xc1880000, v2
	v_cndmask_b32_e32 v2, -1.0, v7, vcc_lo
	;; [unrolled: 2-line block ×4, first 2 shown]
	s_clause 0x1
	global_store_b64 v5, v[1:2], s[10:11]
	global_store_b64 v5, v[3:4], s[10:11] offset:2048
.LBB117_2:
	s_and_not1_b32 vcc_lo, exec_lo, s0
	s_cbranch_vccnz .LBB117_20
; %bb.3:
	v_cmp_gt_i32_e32 vcc_lo, s3, v0
	v_dual_mov_b32 v8, 0 :: v_dual_mov_b32 v1, v0
	v_or_b32_e32 v5, s8, v0
	v_or_b32_e32 v7, 0x100, v0
	v_mov_b32_e32 v10, 0
	s_and_saveexec_b32 s1, vcc_lo
	s_cbranch_execz .LBB117_5
; %bb.4:
	v_mov_b32_e32 v6, 0
	s_delay_alu instid0(VALU_DEP_1) | instskip(NEXT) | instid1(VALU_DEP_1)
	v_lshlrev_b64 v[1:2], 2, v[5:6]
	v_add_co_u32 v1, s0, s6, v1
	s_delay_alu instid0(VALU_DEP_1)
	v_add_co_ci_u32_e64 v2, s0, s7, v2, s0
	global_load_b32 v10, v[1:2], off
	v_or_b32_e32 v1, 0x100, v0
.LBB117_5:
	s_or_b32 exec_lo, exec_lo, s1
	s_delay_alu instid0(SALU_CYCLE_1) | instskip(NEXT) | instid1(VALU_DEP_1)
	s_mov_b32 s1, exec_lo
	v_cmpx_gt_i32_e64 s3, v1
	s_cbranch_execz .LBB117_7
; %bb.6:
	v_dual_mov_b32 v3, 0 :: v_dual_add_nc_u32 v2, s8, v1
	v_add_nc_u32_e32 v1, 0x100, v1
	s_delay_alu instid0(VALU_DEP_2) | instskip(NEXT) | instid1(VALU_DEP_1)
	v_lshlrev_b64 v[2:3], 2, v[2:3]
	v_add_co_u32 v2, s0, s6, v2
	s_delay_alu instid0(VALU_DEP_1)
	v_add_co_ci_u32_e64 v3, s0, s7, v3, s0
	global_load_b32 v8, v[2:3], off
.LBB117_7:
	s_or_b32 exec_lo, exec_lo, s1
	v_dual_mov_b32 v6, 0 :: v_dual_mov_b32 v9, 0
	s_mov_b32 s1, exec_lo
	v_cmpx_gt_i32_e64 s3, v1
	s_cbranch_execnz .LBB117_21
; %bb.8:
	s_or_b32 exec_lo, exec_lo, s1
	s_delay_alu instid0(SALU_CYCLE_1)
	s_mov_b32 s1, exec_lo
	v_cmpx_gt_i32_e64 s3, v1
	s_cbranch_execnz .LBB117_22
.LBB117_9:
	s_or_b32 exec_lo, exec_lo, s1
                                        ; implicit-def: $vgpr1_vgpr2_vgpr3_vgpr4
	s_and_saveexec_b32 s1, vcc_lo
	s_cbranch_execnz .LBB117_23
.LBB117_10:
	s_or_b32 exec_lo, exec_lo, s1
	s_delay_alu instid0(SALU_CYCLE_1)
	s_mov_b32 s1, exec_lo
	v_cmpx_gt_i32_e64 s3, v7
	s_cbranch_execz .LBB117_12
.LBB117_11:
	s_waitcnt vmcnt(0)
	v_mul_f32_e32 v2, 0x3fb8aa3b, v8
	s_mov_b32 s0, 0x395133b1
	s_delay_alu instid0(VALU_DEP_1) | instskip(NEXT) | instid1(VALU_DEP_1)
	v_rndne_f32_e32 v2, v2
	v_fmamk_f32 v10, v2, 0xbf317218, v8
	v_cvt_i32_f32_e32 v12, v2
	s_delay_alu instid0(VALU_DEP_2) | instskip(NEXT) | instid1(VALU_DEP_1)
	v_fmamk_f32 v10, v2, 0x3102e308, v10
	v_fmaak_f32 v11, s0, v10, 0x3ab69700
	v_cmp_eq_f32_e64 s0, 0x43000000, v2
	s_delay_alu instid0(VALU_DEP_2) | instskip(NEXT) | instid1(VALU_DEP_2)
	v_fmaak_f32 v11, v10, v11, 0x3c0887f9
	v_cndmask_b32_e64 v2, v12, 0x7f, s0
	s_delay_alu instid0(VALU_DEP_2) | instskip(NEXT) | instid1(VALU_DEP_2)
	v_fmaak_f32 v11, v10, v11, 0x3d2aaa81
	v_ldexp_f32 v2, 1.0, v2
	s_delay_alu instid0(VALU_DEP_2) | instskip(NEXT) | instid1(VALU_DEP_1)
	v_fmaak_f32 v11, v10, v11, 0x3e2aaaab
	v_fma_f32 v11, v10, v11, 0.5
	s_delay_alu instid0(VALU_DEP_1) | instskip(NEXT) | instid1(VALU_DEP_1)
	v_mul_f32_e32 v11, v10, v11
	v_dual_fmac_f32 v10, v10, v11 :: v_dual_add_f32 v11, -1.0, v2
	s_delay_alu instid0(VALU_DEP_1) | instskip(NEXT) | instid1(VALU_DEP_1)
	v_fmac_f32_e32 v11, v2, v10
	v_add_f32_e32 v2, v11, v11
	s_delay_alu instid0(VALU_DEP_1) | instskip(SKIP_1) | instid1(VALU_DEP_1)
	v_cndmask_b32_e64 v2, v11, v2, s0
	v_cmp_nlt_f32_e64 s0, 0x42b17217, v8
	v_cndmask_b32_e64 v2, 0x7f800000, v2, s0
	v_cmp_ngt_f32_e64 s0, 0xc1880000, v8
	s_delay_alu instid0(VALU_DEP_1)
	v_cndmask_b32_e64 v2, -1.0, v2, s0
.LBB117_12:
	s_or_b32 exec_lo, exec_lo, s1
	s_waitcnt vmcnt(0)
	v_or_b32_e32 v8, 0x200, v0
	s_mov_b32 s1, exec_lo
	s_delay_alu instid0(VALU_DEP_1)
	v_cmpx_gt_i32_e64 s3, v8
	s_cbranch_execz .LBB117_14
; %bb.13:
	v_mul_f32_e32 v3, 0x3fb8aa3b, v9
	s_mov_b32 s0, 0x395133b1
	s_delay_alu instid0(VALU_DEP_1) | instskip(NEXT) | instid1(VALU_DEP_1)
	v_rndne_f32_e32 v3, v3
	v_fmamk_f32 v8, v3, 0xbf317218, v9
	v_cvt_i32_f32_e32 v11, v3
	s_delay_alu instid0(VALU_DEP_2) | instskip(NEXT) | instid1(VALU_DEP_1)
	v_fmamk_f32 v8, v3, 0x3102e308, v8
	v_fmaak_f32 v10, s0, v8, 0x3ab69700
	v_cmp_eq_f32_e64 s0, 0x43000000, v3
	s_delay_alu instid0(VALU_DEP_2) | instskip(NEXT) | instid1(VALU_DEP_2)
	v_fmaak_f32 v10, v8, v10, 0x3c0887f9
	v_cndmask_b32_e64 v3, v11, 0x7f, s0
	s_delay_alu instid0(VALU_DEP_2) | instskip(NEXT) | instid1(VALU_DEP_2)
	v_fmaak_f32 v10, v8, v10, 0x3d2aaa81
	v_ldexp_f32 v3, 1.0, v3
	s_delay_alu instid0(VALU_DEP_2) | instskip(NEXT) | instid1(VALU_DEP_1)
	v_fmaak_f32 v10, v8, v10, 0x3e2aaaab
	v_fma_f32 v10, v8, v10, 0.5
	s_delay_alu instid0(VALU_DEP_1) | instskip(NEXT) | instid1(VALU_DEP_1)
	v_mul_f32_e32 v10, v8, v10
	v_fmac_f32_e32 v8, v8, v10
	v_add_f32_e32 v10, -1.0, v3
	s_delay_alu instid0(VALU_DEP_1) | instskip(NEXT) | instid1(VALU_DEP_1)
	v_fmac_f32_e32 v10, v3, v8
	v_add_f32_e32 v3, v10, v10
	s_delay_alu instid0(VALU_DEP_1) | instskip(SKIP_1) | instid1(VALU_DEP_1)
	v_cndmask_b32_e64 v3, v10, v3, s0
	v_cmp_nlt_f32_e64 s0, 0x42b17217, v9
	v_cndmask_b32_e64 v3, 0x7f800000, v3, s0
	v_cmp_ngt_f32_e64 s0, 0xc1880000, v9
	s_delay_alu instid0(VALU_DEP_1)
	v_cndmask_b32_e64 v3, -1.0, v3, s0
.LBB117_14:
	s_or_b32 exec_lo, exec_lo, s1
	v_or_b32_e32 v8, 0x300, v0
	s_mov_b32 s1, exec_lo
	s_delay_alu instid0(VALU_DEP_1)
	v_cmpx_gt_i32_e64 s3, v8
	s_cbranch_execnz .LBB117_24
; %bb.15:
	s_or_b32 exec_lo, exec_lo, s1
	s_and_saveexec_b32 s0, vcc_lo
	s_delay_alu instid0(SALU_CYCLE_1)
	s_xor_b32 s0, exec_lo, s0
	s_cbranch_execnz .LBB117_25
.LBB117_16:
	s_or_b32 exec_lo, exec_lo, s0
	s_delay_alu instid0(SALU_CYCLE_1)
	s_mov_b32 s0, exec_lo
	v_cmpx_gt_i32_e64 s3, v0
	s_cbranch_execnz .LBB117_26
.LBB117_17:
	s_or_b32 exec_lo, exec_lo, s0
	s_delay_alu instid0(SALU_CYCLE_1)
	s_mov_b32 s0, exec_lo
	v_cmpx_gt_i32_e64 s3, v0
	s_cbranch_execnz .LBB117_27
.LBB117_18:
	s_or_b32 exec_lo, exec_lo, s0
	s_delay_alu instid0(SALU_CYCLE_1)
	s_mov_b32 s0, exec_lo
	v_cmpx_gt_i32_e64 s3, v0
	s_cbranch_execz .LBB117_20
.LBB117_19:
	v_dual_mov_b32 v1, 0 :: v_dual_add_nc_u32 v0, s8, v0
	s_delay_alu instid0(VALU_DEP_1) | instskip(NEXT) | instid1(VALU_DEP_1)
	v_lshlrev_b64 v[0:1], 2, v[0:1]
	v_add_co_u32 v0, vcc_lo, s4, v0
	s_delay_alu instid0(VALU_DEP_2)
	v_add_co_ci_u32_e32 v1, vcc_lo, s5, v1, vcc_lo
	global_store_b32 v[0:1], v4, off
.LBB117_20:
	s_nop 0
	s_sendmsg sendmsg(MSG_DEALLOC_VGPRS)
	s_endpgm
.LBB117_21:
	v_dual_mov_b32 v3, 0 :: v_dual_add_nc_u32 v2, s8, v1
	v_add_nc_u32_e32 v1, 0x100, v1
	s_delay_alu instid0(VALU_DEP_2) | instskip(NEXT) | instid1(VALU_DEP_1)
	v_lshlrev_b64 v[2:3], 2, v[2:3]
	v_add_co_u32 v2, s0, s6, v2
	s_delay_alu instid0(VALU_DEP_1) | instskip(SKIP_2) | instid1(SALU_CYCLE_1)
	v_add_co_ci_u32_e64 v3, s0, s7, v3, s0
	global_load_b32 v9, v[2:3], off
	s_or_b32 exec_lo, exec_lo, s1
	s_mov_b32 s1, exec_lo
	v_cmpx_gt_i32_e64 s3, v1
	s_cbranch_execz .LBB117_9
.LBB117_22:
	v_dual_mov_b32 v2, 0 :: v_dual_add_nc_u32 v1, s8, v1
	s_delay_alu instid0(VALU_DEP_1) | instskip(NEXT) | instid1(VALU_DEP_1)
	v_lshlrev_b64 v[1:2], 2, v[1:2]
	v_add_co_u32 v1, s0, s6, v1
	s_delay_alu instid0(VALU_DEP_1)
	v_add_co_ci_u32_e64 v2, s0, s7, v2, s0
	global_load_b32 v6, v[1:2], off
	s_or_b32 exec_lo, exec_lo, s1
                                        ; implicit-def: $vgpr1_vgpr2_vgpr3_vgpr4
	s_and_saveexec_b32 s1, vcc_lo
	s_cbranch_execz .LBB117_10
.LBB117_23:
	s_waitcnt vmcnt(0)
	v_mul_f32_e32 v1, 0x3fb8aa3b, v10
	s_mov_b32 s0, 0x395133b1
	s_delay_alu instid0(VALU_DEP_1) | instskip(NEXT) | instid1(VALU_DEP_1)
	v_rndne_f32_e32 v1, v1
	v_fmamk_f32 v2, v1, 0xbf317218, v10
	v_cvt_i32_f32_e32 v4, v1
	s_delay_alu instid0(VALU_DEP_2) | instskip(NEXT) | instid1(VALU_DEP_1)
	v_fmamk_f32 v2, v1, 0x3102e308, v2
	v_fmaak_f32 v3, s0, v2, 0x3ab69700
	v_cmp_eq_f32_e64 s0, 0x43000000, v1
	s_delay_alu instid0(VALU_DEP_2) | instskip(NEXT) | instid1(VALU_DEP_2)
	v_fmaak_f32 v3, v2, v3, 0x3c0887f9
	v_cndmask_b32_e64 v1, v4, 0x7f, s0
	s_delay_alu instid0(VALU_DEP_2) | instskip(NEXT) | instid1(VALU_DEP_2)
	v_fmaak_f32 v3, v2, v3, 0x3d2aaa81
	v_ldexp_f32 v1, 1.0, v1
	s_delay_alu instid0(VALU_DEP_2) | instskip(NEXT) | instid1(VALU_DEP_1)
	v_fmaak_f32 v3, v2, v3, 0x3e2aaaab
	v_fma_f32 v3, v2, v3, 0.5
	s_delay_alu instid0(VALU_DEP_1) | instskip(NEXT) | instid1(VALU_DEP_1)
	v_mul_f32_e32 v3, v2, v3
	v_dual_fmac_f32 v2, v2, v3 :: v_dual_add_f32 v3, -1.0, v1
	s_delay_alu instid0(VALU_DEP_1) | instskip(NEXT) | instid1(VALU_DEP_1)
	v_fmac_f32_e32 v3, v1, v2
	v_add_f32_e32 v1, v3, v3
	s_delay_alu instid0(VALU_DEP_1) | instskip(SKIP_1) | instid1(VALU_DEP_1)
	v_cndmask_b32_e64 v1, v3, v1, s0
	v_cmp_nlt_f32_e64 s0, 0x42b17217, v10
	v_cndmask_b32_e64 v1, 0x7f800000, v1, s0
	v_cmp_ngt_f32_e64 s0, 0xc1880000, v10
	s_delay_alu instid0(VALU_DEP_1) | instskip(SKIP_1) | instid1(SALU_CYCLE_1)
	v_cndmask_b32_e64 v1, -1.0, v1, s0
	s_or_b32 exec_lo, exec_lo, s1
	s_mov_b32 s1, exec_lo
	v_cmpx_gt_i32_e64 s3, v7
	s_cbranch_execnz .LBB117_11
	s_branch .LBB117_12
.LBB117_24:
	v_mul_f32_e32 v4, 0x3fb8aa3b, v6
	s_mov_b32 s0, 0x395133b1
	s_delay_alu instid0(VALU_DEP_1) | instskip(NEXT) | instid1(VALU_DEP_1)
	v_rndne_f32_e32 v4, v4
	v_fmamk_f32 v8, v4, 0xbf317218, v6
	v_cvt_i32_f32_e32 v10, v4
	s_delay_alu instid0(VALU_DEP_2) | instskip(NEXT) | instid1(VALU_DEP_1)
	v_fmamk_f32 v8, v4, 0x3102e308, v8
	v_fmaak_f32 v9, s0, v8, 0x3ab69700
	v_cmp_eq_f32_e64 s0, 0x43000000, v4
	s_delay_alu instid0(VALU_DEP_2) | instskip(NEXT) | instid1(VALU_DEP_2)
	v_fmaak_f32 v9, v8, v9, 0x3c0887f9
	v_cndmask_b32_e64 v4, v10, 0x7f, s0
	s_delay_alu instid0(VALU_DEP_2) | instskip(NEXT) | instid1(VALU_DEP_2)
	v_fmaak_f32 v9, v8, v9, 0x3d2aaa81
	v_ldexp_f32 v4, 1.0, v4
	s_delay_alu instid0(VALU_DEP_2) | instskip(NEXT) | instid1(VALU_DEP_1)
	v_fmaak_f32 v9, v8, v9, 0x3e2aaaab
	v_fma_f32 v9, v8, v9, 0.5
	s_delay_alu instid0(VALU_DEP_1) | instskip(NEXT) | instid1(VALU_DEP_1)
	v_mul_f32_e32 v9, v8, v9
	v_dual_fmac_f32 v8, v8, v9 :: v_dual_add_f32 v9, -1.0, v4
	s_delay_alu instid0(VALU_DEP_1) | instskip(NEXT) | instid1(VALU_DEP_1)
	v_fmac_f32_e32 v9, v4, v8
	v_add_f32_e32 v4, v9, v9
	s_delay_alu instid0(VALU_DEP_1) | instskip(SKIP_1) | instid1(VALU_DEP_1)
	v_cndmask_b32_e64 v4, v9, v4, s0
	v_cmp_nlt_f32_e64 s0, 0x42b17217, v6
	v_cndmask_b32_e64 v4, 0x7f800000, v4, s0
	v_cmp_ngt_f32_e64 s0, 0xc1880000, v6
	s_delay_alu instid0(VALU_DEP_1) | instskip(SKIP_2) | instid1(SALU_CYCLE_1)
	v_cndmask_b32_e64 v4, -1.0, v4, s0
	s_or_b32 exec_lo, exec_lo, s1
	s_and_saveexec_b32 s0, vcc_lo
	s_xor_b32 s0, exec_lo, s0
	s_cbranch_execz .LBB117_16
.LBB117_25:
	v_mov_b32_e32 v6, 0
	v_mov_b32_e32 v0, v7
	s_delay_alu instid0(VALU_DEP_2) | instskip(NEXT) | instid1(VALU_DEP_1)
	v_lshlrev_b64 v[5:6], 2, v[5:6]
	v_add_co_u32 v5, vcc_lo, s4, v5
	s_delay_alu instid0(VALU_DEP_2) | instskip(SKIP_2) | instid1(SALU_CYCLE_1)
	v_add_co_ci_u32_e32 v6, vcc_lo, s5, v6, vcc_lo
	global_store_b32 v[5:6], v1, off
	s_or_b32 exec_lo, exec_lo, s0
	s_mov_b32 s0, exec_lo
	v_cmpx_gt_i32_e64 s3, v0
	s_cbranch_execz .LBB117_17
.LBB117_26:
	v_dual_mov_b32 v6, 0 :: v_dual_add_nc_u32 v5, s8, v0
	v_add_nc_u32_e32 v0, 0x100, v0
	s_delay_alu instid0(VALU_DEP_2) | instskip(NEXT) | instid1(VALU_DEP_1)
	v_lshlrev_b64 v[5:6], 2, v[5:6]
	v_add_co_u32 v5, vcc_lo, s4, v5
	s_delay_alu instid0(VALU_DEP_2) | instskip(SKIP_2) | instid1(SALU_CYCLE_1)
	v_add_co_ci_u32_e32 v6, vcc_lo, s5, v6, vcc_lo
	global_store_b32 v[5:6], v2, off
	s_or_b32 exec_lo, exec_lo, s0
	s_mov_b32 s0, exec_lo
	v_cmpx_gt_i32_e64 s3, v0
	s_cbranch_execz .LBB117_18
.LBB117_27:
	v_dual_mov_b32 v2, 0 :: v_dual_add_nc_u32 v1, s8, v0
	v_add_nc_u32_e32 v0, 0x100, v0
	s_delay_alu instid0(VALU_DEP_2) | instskip(NEXT) | instid1(VALU_DEP_1)
	v_lshlrev_b64 v[1:2], 2, v[1:2]
	v_add_co_u32 v1, vcc_lo, s4, v1
	s_delay_alu instid0(VALU_DEP_2) | instskip(SKIP_2) | instid1(SALU_CYCLE_1)
	v_add_co_ci_u32_e32 v2, vcc_lo, s5, v2, vcc_lo
	global_store_b32 v[1:2], v3, off
	s_or_b32 exec_lo, exec_lo, s0
	s_mov_b32 s0, exec_lo
	v_cmpx_gt_i32_e64 s3, v0
	s_cbranch_execnz .LBB117_19
	s_branch .LBB117_20
	.section	.rodata,"a",@progbits
	.p2align	6, 0x0
	.amdhsa_kernel _ZN2at6native29vectorized_elementwise_kernelILi2EZZZNS0_17expm1_kernel_cudaERNS_18TensorIteratorBaseEENKUlvE_clEvENKUlvE0_clEvEUlfE_St5arrayIPcLm2EEEEviT0_T1_
		.amdhsa_group_segment_fixed_size 0
		.amdhsa_private_segment_fixed_size 0
		.amdhsa_kernarg_size 24
		.amdhsa_user_sgpr_count 15
		.amdhsa_user_sgpr_dispatch_ptr 0
		.amdhsa_user_sgpr_queue_ptr 0
		.amdhsa_user_sgpr_kernarg_segment_ptr 1
		.amdhsa_user_sgpr_dispatch_id 0
		.amdhsa_user_sgpr_private_segment_size 0
		.amdhsa_wavefront_size32 1
		.amdhsa_uses_dynamic_stack 0
		.amdhsa_enable_private_segment 0
		.amdhsa_system_sgpr_workgroup_id_x 1
		.amdhsa_system_sgpr_workgroup_id_y 0
		.amdhsa_system_sgpr_workgroup_id_z 0
		.amdhsa_system_sgpr_workgroup_info 0
		.amdhsa_system_vgpr_workitem_id 0
		.amdhsa_next_free_vgpr 22
		.amdhsa_next_free_sgpr 16
		.amdhsa_reserve_vcc 1
		.amdhsa_float_round_mode_32 0
		.amdhsa_float_round_mode_16_64 0
		.amdhsa_float_denorm_mode_32 3
		.amdhsa_float_denorm_mode_16_64 3
		.amdhsa_dx10_clamp 1
		.amdhsa_ieee_mode 1
		.amdhsa_fp16_overflow 0
		.amdhsa_workgroup_processor_mode 1
		.amdhsa_memory_ordered 1
		.amdhsa_forward_progress 0
		.amdhsa_shared_vgpr_count 0
		.amdhsa_exception_fp_ieee_invalid_op 0
		.amdhsa_exception_fp_denorm_src 0
		.amdhsa_exception_fp_ieee_div_zero 0
		.amdhsa_exception_fp_ieee_overflow 0
		.amdhsa_exception_fp_ieee_underflow 0
		.amdhsa_exception_fp_ieee_inexact 0
		.amdhsa_exception_int_div_zero 0
	.end_amdhsa_kernel
	.section	.text._ZN2at6native29vectorized_elementwise_kernelILi2EZZZNS0_17expm1_kernel_cudaERNS_18TensorIteratorBaseEENKUlvE_clEvENKUlvE0_clEvEUlfE_St5arrayIPcLm2EEEEviT0_T1_,"axG",@progbits,_ZN2at6native29vectorized_elementwise_kernelILi2EZZZNS0_17expm1_kernel_cudaERNS_18TensorIteratorBaseEENKUlvE_clEvENKUlvE0_clEvEUlfE_St5arrayIPcLm2EEEEviT0_T1_,comdat
.Lfunc_end117:
	.size	_ZN2at6native29vectorized_elementwise_kernelILi2EZZZNS0_17expm1_kernel_cudaERNS_18TensorIteratorBaseEENKUlvE_clEvENKUlvE0_clEvEUlfE_St5arrayIPcLm2EEEEviT0_T1_, .Lfunc_end117-_ZN2at6native29vectorized_elementwise_kernelILi2EZZZNS0_17expm1_kernel_cudaERNS_18TensorIteratorBaseEENKUlvE_clEvENKUlvE0_clEvEUlfE_St5arrayIPcLm2EEEEviT0_T1_
                                        ; -- End function
	.section	.AMDGPU.csdata,"",@progbits
; Kernel info:
; codeLenInByte = 2624
; NumSgprs: 18
; NumVgprs: 22
; ScratchSize: 0
; MemoryBound: 0
; FloatMode: 240
; IeeeMode: 1
; LDSByteSize: 0 bytes/workgroup (compile time only)
; SGPRBlocks: 2
; VGPRBlocks: 2
; NumSGPRsForWavesPerEU: 18
; NumVGPRsForWavesPerEU: 22
; Occupancy: 16
; WaveLimiterHint : 1
; COMPUTE_PGM_RSRC2:SCRATCH_EN: 0
; COMPUTE_PGM_RSRC2:USER_SGPR: 15
; COMPUTE_PGM_RSRC2:TRAP_HANDLER: 0
; COMPUTE_PGM_RSRC2:TGID_X_EN: 1
; COMPUTE_PGM_RSRC2:TGID_Y_EN: 0
; COMPUTE_PGM_RSRC2:TGID_Z_EN: 0
; COMPUTE_PGM_RSRC2:TIDIG_COMP_CNT: 0
	.section	.text._ZN2at6native27unrolled_elementwise_kernelIZZZNS0_17expm1_kernel_cudaERNS_18TensorIteratorBaseEENKUlvE_clEvENKUlvE0_clEvEUlfE_St5arrayIPcLm2EELi4E23TrivialOffsetCalculatorILi1EjESB_NS0_6memory15LoadWithoutCastENSC_16StoreWithoutCastEEEviT_T0_T2_T3_T4_T5_,"axG",@progbits,_ZN2at6native27unrolled_elementwise_kernelIZZZNS0_17expm1_kernel_cudaERNS_18TensorIteratorBaseEENKUlvE_clEvENKUlvE0_clEvEUlfE_St5arrayIPcLm2EELi4E23TrivialOffsetCalculatorILi1EjESB_NS0_6memory15LoadWithoutCastENSC_16StoreWithoutCastEEEviT_T0_T2_T3_T4_T5_,comdat
	.globl	_ZN2at6native27unrolled_elementwise_kernelIZZZNS0_17expm1_kernel_cudaERNS_18TensorIteratorBaseEENKUlvE_clEvENKUlvE0_clEvEUlfE_St5arrayIPcLm2EELi4E23TrivialOffsetCalculatorILi1EjESB_NS0_6memory15LoadWithoutCastENSC_16StoreWithoutCastEEEviT_T0_T2_T3_T4_T5_ ; -- Begin function _ZN2at6native27unrolled_elementwise_kernelIZZZNS0_17expm1_kernel_cudaERNS_18TensorIteratorBaseEENKUlvE_clEvENKUlvE0_clEvEUlfE_St5arrayIPcLm2EELi4E23TrivialOffsetCalculatorILi1EjESB_NS0_6memory15LoadWithoutCastENSC_16StoreWithoutCastEEEviT_T0_T2_T3_T4_T5_
	.p2align	8
	.type	_ZN2at6native27unrolled_elementwise_kernelIZZZNS0_17expm1_kernel_cudaERNS_18TensorIteratorBaseEENKUlvE_clEvENKUlvE0_clEvEUlfE_St5arrayIPcLm2EELi4E23TrivialOffsetCalculatorILi1EjESB_NS0_6memory15LoadWithoutCastENSC_16StoreWithoutCastEEEviT_T0_T2_T3_T4_T5_,@function
_ZN2at6native27unrolled_elementwise_kernelIZZZNS0_17expm1_kernel_cudaERNS_18TensorIteratorBaseEENKUlvE_clEvENKUlvE0_clEvEUlfE_St5arrayIPcLm2EELi4E23TrivialOffsetCalculatorILi1EjESB_NS0_6memory15LoadWithoutCastENSC_16StoreWithoutCastEEEviT_T0_T2_T3_T4_T5_: ; @_ZN2at6native27unrolled_elementwise_kernelIZZZNS0_17expm1_kernel_cudaERNS_18TensorIteratorBaseEENKUlvE_clEvENKUlvE0_clEvEUlfE_St5arrayIPcLm2EELi4E23TrivialOffsetCalculatorILi1EjESB_NS0_6memory15LoadWithoutCastENSC_16StoreWithoutCastEEEviT_T0_T2_T3_T4_T5_
; %bb.0:
	s_clause 0x1
	s_load_b32 s2, s[0:1], 0x0
	s_load_b128 s[4:7], s[0:1], 0x8
	s_lshl_b32 s1, s15, 10
	v_dual_mov_b32 v8, 0 :: v_dual_mov_b32 v1, v0
	v_mov_b32_e32 v10, 0
	v_or_b32_e32 v5, s1, v0
	v_or_b32_e32 v7, 0x100, v0
	s_waitcnt lgkmcnt(0)
	s_sub_i32 s2, s2, s1
	s_delay_alu instid0(SALU_CYCLE_1)
	v_cmp_gt_i32_e32 vcc_lo, s2, v0
	s_and_saveexec_b32 s3, vcc_lo
	s_cbranch_execz .LBB118_2
; %bb.1:
	v_mov_b32_e32 v6, 0
	s_delay_alu instid0(VALU_DEP_1) | instskip(NEXT) | instid1(VALU_DEP_1)
	v_lshlrev_b64 v[1:2], 2, v[5:6]
	v_add_co_u32 v1, s0, s6, v1
	s_delay_alu instid0(VALU_DEP_1)
	v_add_co_ci_u32_e64 v2, s0, s7, v2, s0
	global_load_b32 v10, v[1:2], off
	v_or_b32_e32 v1, 0x100, v0
.LBB118_2:
	s_or_b32 exec_lo, exec_lo, s3
	s_delay_alu instid0(SALU_CYCLE_1) | instskip(NEXT) | instid1(VALU_DEP_1)
	s_mov_b32 s3, exec_lo
	v_cmpx_gt_i32_e64 s2, v1
	s_cbranch_execz .LBB118_4
; %bb.3:
	v_dual_mov_b32 v3, 0 :: v_dual_add_nc_u32 v2, s1, v1
	v_add_nc_u32_e32 v1, 0x100, v1
	s_delay_alu instid0(VALU_DEP_2) | instskip(NEXT) | instid1(VALU_DEP_1)
	v_lshlrev_b64 v[2:3], 2, v[2:3]
	v_add_co_u32 v2, s0, s6, v2
	s_delay_alu instid0(VALU_DEP_1)
	v_add_co_ci_u32_e64 v3, s0, s7, v3, s0
	global_load_b32 v8, v[2:3], off
.LBB118_4:
	s_or_b32 exec_lo, exec_lo, s3
	v_dual_mov_b32 v6, 0 :: v_dual_mov_b32 v9, 0
	s_mov_b32 s3, exec_lo
	v_cmpx_gt_i32_e64 s2, v1
	s_cbranch_execnz .LBB118_17
; %bb.5:
	s_or_b32 exec_lo, exec_lo, s3
	s_delay_alu instid0(SALU_CYCLE_1)
	s_mov_b32 s3, exec_lo
	v_cmpx_gt_i32_e64 s2, v1
	s_cbranch_execnz .LBB118_18
.LBB118_6:
	s_or_b32 exec_lo, exec_lo, s3
                                        ; implicit-def: $vgpr1_vgpr2_vgpr3_vgpr4
	s_and_saveexec_b32 s3, vcc_lo
	s_cbranch_execnz .LBB118_19
.LBB118_7:
	s_or_b32 exec_lo, exec_lo, s3
	s_delay_alu instid0(SALU_CYCLE_1)
	s_mov_b32 s3, exec_lo
	v_cmpx_gt_i32_e64 s2, v7
	s_cbranch_execz .LBB118_9
.LBB118_8:
	s_waitcnt vmcnt(0)
	v_mul_f32_e32 v2, 0x3fb8aa3b, v8
	s_mov_b32 s0, 0x395133b1
	s_delay_alu instid0(VALU_DEP_1) | instskip(NEXT) | instid1(VALU_DEP_1)
	v_rndne_f32_e32 v2, v2
	v_fmamk_f32 v10, v2, 0xbf317218, v8
	v_cvt_i32_f32_e32 v12, v2
	s_delay_alu instid0(VALU_DEP_2) | instskip(NEXT) | instid1(VALU_DEP_1)
	v_fmamk_f32 v10, v2, 0x3102e308, v10
	v_fmaak_f32 v11, s0, v10, 0x3ab69700
	v_cmp_eq_f32_e64 s0, 0x43000000, v2
	s_delay_alu instid0(VALU_DEP_2) | instskip(NEXT) | instid1(VALU_DEP_2)
	v_fmaak_f32 v11, v10, v11, 0x3c0887f9
	v_cndmask_b32_e64 v2, v12, 0x7f, s0
	s_delay_alu instid0(VALU_DEP_2) | instskip(NEXT) | instid1(VALU_DEP_2)
	v_fmaak_f32 v11, v10, v11, 0x3d2aaa81
	v_ldexp_f32 v2, 1.0, v2
	s_delay_alu instid0(VALU_DEP_2) | instskip(NEXT) | instid1(VALU_DEP_1)
	v_fmaak_f32 v11, v10, v11, 0x3e2aaaab
	v_fma_f32 v11, v10, v11, 0.5
	s_delay_alu instid0(VALU_DEP_1) | instskip(NEXT) | instid1(VALU_DEP_1)
	v_mul_f32_e32 v11, v10, v11
	v_dual_fmac_f32 v10, v10, v11 :: v_dual_add_f32 v11, -1.0, v2
	s_delay_alu instid0(VALU_DEP_1) | instskip(NEXT) | instid1(VALU_DEP_1)
	v_fmac_f32_e32 v11, v2, v10
	v_add_f32_e32 v2, v11, v11
	s_delay_alu instid0(VALU_DEP_1) | instskip(SKIP_1) | instid1(VALU_DEP_1)
	v_cndmask_b32_e64 v2, v11, v2, s0
	v_cmp_nlt_f32_e64 s0, 0x42b17217, v8
	v_cndmask_b32_e64 v2, 0x7f800000, v2, s0
	v_cmp_ngt_f32_e64 s0, 0xc1880000, v8
	s_delay_alu instid0(VALU_DEP_1)
	v_cndmask_b32_e64 v2, -1.0, v2, s0
.LBB118_9:
	s_or_b32 exec_lo, exec_lo, s3
	s_waitcnt vmcnt(0)
	v_or_b32_e32 v8, 0x200, v0
	s_mov_b32 s3, exec_lo
	s_delay_alu instid0(VALU_DEP_1)
	v_cmpx_gt_i32_e64 s2, v8
	s_cbranch_execz .LBB118_11
; %bb.10:
	v_mul_f32_e32 v3, 0x3fb8aa3b, v9
	s_mov_b32 s0, 0x395133b1
	s_delay_alu instid0(VALU_DEP_1) | instskip(NEXT) | instid1(VALU_DEP_1)
	v_rndne_f32_e32 v3, v3
	v_fmamk_f32 v8, v3, 0xbf317218, v9
	v_cvt_i32_f32_e32 v11, v3
	s_delay_alu instid0(VALU_DEP_2) | instskip(NEXT) | instid1(VALU_DEP_1)
	v_fmamk_f32 v8, v3, 0x3102e308, v8
	v_fmaak_f32 v10, s0, v8, 0x3ab69700
	v_cmp_eq_f32_e64 s0, 0x43000000, v3
	s_delay_alu instid0(VALU_DEP_2) | instskip(NEXT) | instid1(VALU_DEP_2)
	v_fmaak_f32 v10, v8, v10, 0x3c0887f9
	v_cndmask_b32_e64 v3, v11, 0x7f, s0
	s_delay_alu instid0(VALU_DEP_2) | instskip(NEXT) | instid1(VALU_DEP_2)
	v_fmaak_f32 v10, v8, v10, 0x3d2aaa81
	v_ldexp_f32 v3, 1.0, v3
	s_delay_alu instid0(VALU_DEP_2) | instskip(NEXT) | instid1(VALU_DEP_1)
	v_fmaak_f32 v10, v8, v10, 0x3e2aaaab
	v_fma_f32 v10, v8, v10, 0.5
	s_delay_alu instid0(VALU_DEP_1) | instskip(NEXT) | instid1(VALU_DEP_1)
	v_mul_f32_e32 v10, v8, v10
	v_fmac_f32_e32 v8, v8, v10
	v_add_f32_e32 v10, -1.0, v3
	s_delay_alu instid0(VALU_DEP_1) | instskip(NEXT) | instid1(VALU_DEP_1)
	v_fmac_f32_e32 v10, v3, v8
	v_add_f32_e32 v3, v10, v10
	s_delay_alu instid0(VALU_DEP_1) | instskip(SKIP_1) | instid1(VALU_DEP_1)
	v_cndmask_b32_e64 v3, v10, v3, s0
	v_cmp_nlt_f32_e64 s0, 0x42b17217, v9
	v_cndmask_b32_e64 v3, 0x7f800000, v3, s0
	v_cmp_ngt_f32_e64 s0, 0xc1880000, v9
	s_delay_alu instid0(VALU_DEP_1)
	v_cndmask_b32_e64 v3, -1.0, v3, s0
.LBB118_11:
	s_or_b32 exec_lo, exec_lo, s3
	v_or_b32_e32 v8, 0x300, v0
	s_mov_b32 s3, exec_lo
	s_delay_alu instid0(VALU_DEP_1)
	v_cmpx_gt_i32_e64 s2, v8
	s_cbranch_execnz .LBB118_20
; %bb.12:
	s_or_b32 exec_lo, exec_lo, s3
	s_and_saveexec_b32 s0, vcc_lo
	s_delay_alu instid0(SALU_CYCLE_1)
	s_xor_b32 s0, exec_lo, s0
	s_cbranch_execnz .LBB118_21
.LBB118_13:
	s_or_b32 exec_lo, exec_lo, s0
	s_delay_alu instid0(SALU_CYCLE_1)
	s_mov_b32 s0, exec_lo
	v_cmpx_gt_i32_e64 s2, v0
	s_cbranch_execnz .LBB118_22
.LBB118_14:
	s_or_b32 exec_lo, exec_lo, s0
	s_delay_alu instid0(SALU_CYCLE_1)
	s_mov_b32 s0, exec_lo
	v_cmpx_gt_i32_e64 s2, v0
	s_cbranch_execnz .LBB118_23
.LBB118_15:
	s_or_b32 exec_lo, exec_lo, s0
	s_delay_alu instid0(SALU_CYCLE_1)
	s_mov_b32 s0, exec_lo
	v_cmpx_gt_i32_e64 s2, v0
	s_cbranch_execnz .LBB118_24
.LBB118_16:
	s_nop 0
	s_sendmsg sendmsg(MSG_DEALLOC_VGPRS)
	s_endpgm
.LBB118_17:
	v_dual_mov_b32 v3, 0 :: v_dual_add_nc_u32 v2, s1, v1
	v_add_nc_u32_e32 v1, 0x100, v1
	s_delay_alu instid0(VALU_DEP_2) | instskip(NEXT) | instid1(VALU_DEP_1)
	v_lshlrev_b64 v[2:3], 2, v[2:3]
	v_add_co_u32 v2, s0, s6, v2
	s_delay_alu instid0(VALU_DEP_1) | instskip(SKIP_2) | instid1(SALU_CYCLE_1)
	v_add_co_ci_u32_e64 v3, s0, s7, v3, s0
	global_load_b32 v9, v[2:3], off
	s_or_b32 exec_lo, exec_lo, s3
	s_mov_b32 s3, exec_lo
	v_cmpx_gt_i32_e64 s2, v1
	s_cbranch_execz .LBB118_6
.LBB118_18:
	v_dual_mov_b32 v2, 0 :: v_dual_add_nc_u32 v1, s1, v1
	s_delay_alu instid0(VALU_DEP_1) | instskip(NEXT) | instid1(VALU_DEP_1)
	v_lshlrev_b64 v[1:2], 2, v[1:2]
	v_add_co_u32 v1, s0, s6, v1
	s_delay_alu instid0(VALU_DEP_1)
	v_add_co_ci_u32_e64 v2, s0, s7, v2, s0
	global_load_b32 v6, v[1:2], off
	s_or_b32 exec_lo, exec_lo, s3
                                        ; implicit-def: $vgpr1_vgpr2_vgpr3_vgpr4
	s_and_saveexec_b32 s3, vcc_lo
	s_cbranch_execz .LBB118_7
.LBB118_19:
	s_waitcnt vmcnt(0)
	v_mul_f32_e32 v1, 0x3fb8aa3b, v10
	s_mov_b32 s0, 0x395133b1
	s_delay_alu instid0(VALU_DEP_1) | instskip(NEXT) | instid1(VALU_DEP_1)
	v_rndne_f32_e32 v1, v1
	v_fmamk_f32 v2, v1, 0xbf317218, v10
	v_cvt_i32_f32_e32 v4, v1
	s_delay_alu instid0(VALU_DEP_2) | instskip(NEXT) | instid1(VALU_DEP_1)
	v_fmamk_f32 v2, v1, 0x3102e308, v2
	v_fmaak_f32 v3, s0, v2, 0x3ab69700
	v_cmp_eq_f32_e64 s0, 0x43000000, v1
	s_delay_alu instid0(VALU_DEP_2) | instskip(NEXT) | instid1(VALU_DEP_2)
	v_fmaak_f32 v3, v2, v3, 0x3c0887f9
	v_cndmask_b32_e64 v1, v4, 0x7f, s0
	s_delay_alu instid0(VALU_DEP_2) | instskip(NEXT) | instid1(VALU_DEP_2)
	v_fmaak_f32 v3, v2, v3, 0x3d2aaa81
	v_ldexp_f32 v1, 1.0, v1
	s_delay_alu instid0(VALU_DEP_2) | instskip(NEXT) | instid1(VALU_DEP_1)
	v_fmaak_f32 v3, v2, v3, 0x3e2aaaab
	v_fma_f32 v3, v2, v3, 0.5
	s_delay_alu instid0(VALU_DEP_1) | instskip(NEXT) | instid1(VALU_DEP_1)
	v_mul_f32_e32 v3, v2, v3
	v_dual_fmac_f32 v2, v2, v3 :: v_dual_add_f32 v3, -1.0, v1
	s_delay_alu instid0(VALU_DEP_1) | instskip(NEXT) | instid1(VALU_DEP_1)
	v_fmac_f32_e32 v3, v1, v2
	v_add_f32_e32 v1, v3, v3
	s_delay_alu instid0(VALU_DEP_1) | instskip(SKIP_1) | instid1(VALU_DEP_1)
	v_cndmask_b32_e64 v1, v3, v1, s0
	v_cmp_nlt_f32_e64 s0, 0x42b17217, v10
	v_cndmask_b32_e64 v1, 0x7f800000, v1, s0
	v_cmp_ngt_f32_e64 s0, 0xc1880000, v10
	s_delay_alu instid0(VALU_DEP_1) | instskip(SKIP_1) | instid1(SALU_CYCLE_1)
	v_cndmask_b32_e64 v1, -1.0, v1, s0
	s_or_b32 exec_lo, exec_lo, s3
	s_mov_b32 s3, exec_lo
	v_cmpx_gt_i32_e64 s2, v7
	s_cbranch_execnz .LBB118_8
	s_branch .LBB118_9
.LBB118_20:
	v_mul_f32_e32 v4, 0x3fb8aa3b, v6
	s_mov_b32 s0, 0x395133b1
	s_delay_alu instid0(VALU_DEP_1) | instskip(NEXT) | instid1(VALU_DEP_1)
	v_rndne_f32_e32 v4, v4
	v_fmamk_f32 v8, v4, 0xbf317218, v6
	v_cvt_i32_f32_e32 v10, v4
	s_delay_alu instid0(VALU_DEP_2) | instskip(NEXT) | instid1(VALU_DEP_1)
	v_fmamk_f32 v8, v4, 0x3102e308, v8
	v_fmaak_f32 v9, s0, v8, 0x3ab69700
	v_cmp_eq_f32_e64 s0, 0x43000000, v4
	s_delay_alu instid0(VALU_DEP_2) | instskip(NEXT) | instid1(VALU_DEP_2)
	v_fmaak_f32 v9, v8, v9, 0x3c0887f9
	v_cndmask_b32_e64 v4, v10, 0x7f, s0
	s_delay_alu instid0(VALU_DEP_2) | instskip(NEXT) | instid1(VALU_DEP_2)
	v_fmaak_f32 v9, v8, v9, 0x3d2aaa81
	v_ldexp_f32 v4, 1.0, v4
	s_delay_alu instid0(VALU_DEP_2) | instskip(NEXT) | instid1(VALU_DEP_1)
	v_fmaak_f32 v9, v8, v9, 0x3e2aaaab
	v_fma_f32 v9, v8, v9, 0.5
	s_delay_alu instid0(VALU_DEP_1) | instskip(NEXT) | instid1(VALU_DEP_1)
	v_mul_f32_e32 v9, v8, v9
	v_dual_fmac_f32 v8, v8, v9 :: v_dual_add_f32 v9, -1.0, v4
	s_delay_alu instid0(VALU_DEP_1) | instskip(NEXT) | instid1(VALU_DEP_1)
	v_fmac_f32_e32 v9, v4, v8
	v_add_f32_e32 v4, v9, v9
	s_delay_alu instid0(VALU_DEP_1) | instskip(SKIP_1) | instid1(VALU_DEP_1)
	v_cndmask_b32_e64 v4, v9, v4, s0
	v_cmp_nlt_f32_e64 s0, 0x42b17217, v6
	v_cndmask_b32_e64 v4, 0x7f800000, v4, s0
	v_cmp_ngt_f32_e64 s0, 0xc1880000, v6
	s_delay_alu instid0(VALU_DEP_1) | instskip(SKIP_2) | instid1(SALU_CYCLE_1)
	v_cndmask_b32_e64 v4, -1.0, v4, s0
	s_or_b32 exec_lo, exec_lo, s3
	s_and_saveexec_b32 s0, vcc_lo
	s_xor_b32 s0, exec_lo, s0
	s_cbranch_execz .LBB118_13
.LBB118_21:
	v_mov_b32_e32 v6, 0
	v_mov_b32_e32 v0, v7
	s_delay_alu instid0(VALU_DEP_2) | instskip(NEXT) | instid1(VALU_DEP_1)
	v_lshlrev_b64 v[5:6], 2, v[5:6]
	v_add_co_u32 v5, vcc_lo, s4, v5
	s_delay_alu instid0(VALU_DEP_2) | instskip(SKIP_2) | instid1(SALU_CYCLE_1)
	v_add_co_ci_u32_e32 v6, vcc_lo, s5, v6, vcc_lo
	global_store_b32 v[5:6], v1, off
	s_or_b32 exec_lo, exec_lo, s0
	s_mov_b32 s0, exec_lo
	v_cmpx_gt_i32_e64 s2, v0
	s_cbranch_execz .LBB118_14
.LBB118_22:
	v_dual_mov_b32 v6, 0 :: v_dual_add_nc_u32 v5, s1, v0
	v_add_nc_u32_e32 v0, 0x100, v0
	s_delay_alu instid0(VALU_DEP_2) | instskip(NEXT) | instid1(VALU_DEP_1)
	v_lshlrev_b64 v[5:6], 2, v[5:6]
	v_add_co_u32 v5, vcc_lo, s4, v5
	s_delay_alu instid0(VALU_DEP_2) | instskip(SKIP_2) | instid1(SALU_CYCLE_1)
	v_add_co_ci_u32_e32 v6, vcc_lo, s5, v6, vcc_lo
	global_store_b32 v[5:6], v2, off
	s_or_b32 exec_lo, exec_lo, s0
	s_mov_b32 s0, exec_lo
	v_cmpx_gt_i32_e64 s2, v0
	s_cbranch_execz .LBB118_15
.LBB118_23:
	v_dual_mov_b32 v2, 0 :: v_dual_add_nc_u32 v1, s1, v0
	v_add_nc_u32_e32 v0, 0x100, v0
	s_delay_alu instid0(VALU_DEP_2) | instskip(NEXT) | instid1(VALU_DEP_1)
	v_lshlrev_b64 v[1:2], 2, v[1:2]
	v_add_co_u32 v1, vcc_lo, s4, v1
	s_delay_alu instid0(VALU_DEP_2) | instskip(SKIP_2) | instid1(SALU_CYCLE_1)
	v_add_co_ci_u32_e32 v2, vcc_lo, s5, v2, vcc_lo
	global_store_b32 v[1:2], v3, off
	s_or_b32 exec_lo, exec_lo, s0
	s_mov_b32 s0, exec_lo
	v_cmpx_gt_i32_e64 s2, v0
	s_cbranch_execz .LBB118_16
.LBB118_24:
	v_dual_mov_b32 v1, 0 :: v_dual_add_nc_u32 v0, s1, v0
	s_delay_alu instid0(VALU_DEP_1) | instskip(NEXT) | instid1(VALU_DEP_1)
	v_lshlrev_b64 v[0:1], 2, v[0:1]
	v_add_co_u32 v0, vcc_lo, s4, v0
	s_delay_alu instid0(VALU_DEP_2)
	v_add_co_ci_u32_e32 v1, vcc_lo, s5, v1, vcc_lo
	global_store_b32 v[0:1], v4, off
	s_nop 0
	s_sendmsg sendmsg(MSG_DEALLOC_VGPRS)
	s_endpgm
	.section	.rodata,"a",@progbits
	.p2align	6, 0x0
	.amdhsa_kernel _ZN2at6native27unrolled_elementwise_kernelIZZZNS0_17expm1_kernel_cudaERNS_18TensorIteratorBaseEENKUlvE_clEvENKUlvE0_clEvEUlfE_St5arrayIPcLm2EELi4E23TrivialOffsetCalculatorILi1EjESB_NS0_6memory15LoadWithoutCastENSC_16StoreWithoutCastEEEviT_T0_T2_T3_T4_T5_
		.amdhsa_group_segment_fixed_size 0
		.amdhsa_private_segment_fixed_size 0
		.amdhsa_kernarg_size 28
		.amdhsa_user_sgpr_count 15
		.amdhsa_user_sgpr_dispatch_ptr 0
		.amdhsa_user_sgpr_queue_ptr 0
		.amdhsa_user_sgpr_kernarg_segment_ptr 1
		.amdhsa_user_sgpr_dispatch_id 0
		.amdhsa_user_sgpr_private_segment_size 0
		.amdhsa_wavefront_size32 1
		.amdhsa_uses_dynamic_stack 0
		.amdhsa_enable_private_segment 0
		.amdhsa_system_sgpr_workgroup_id_x 1
		.amdhsa_system_sgpr_workgroup_id_y 0
		.amdhsa_system_sgpr_workgroup_id_z 0
		.amdhsa_system_sgpr_workgroup_info 0
		.amdhsa_system_vgpr_workitem_id 0
		.amdhsa_next_free_vgpr 13
		.amdhsa_next_free_sgpr 16
		.amdhsa_reserve_vcc 1
		.amdhsa_float_round_mode_32 0
		.amdhsa_float_round_mode_16_64 0
		.amdhsa_float_denorm_mode_32 3
		.amdhsa_float_denorm_mode_16_64 3
		.amdhsa_dx10_clamp 1
		.amdhsa_ieee_mode 1
		.amdhsa_fp16_overflow 0
		.amdhsa_workgroup_processor_mode 1
		.amdhsa_memory_ordered 1
		.amdhsa_forward_progress 0
		.amdhsa_shared_vgpr_count 0
		.amdhsa_exception_fp_ieee_invalid_op 0
		.amdhsa_exception_fp_denorm_src 0
		.amdhsa_exception_fp_ieee_div_zero 0
		.amdhsa_exception_fp_ieee_overflow 0
		.amdhsa_exception_fp_ieee_underflow 0
		.amdhsa_exception_fp_ieee_inexact 0
		.amdhsa_exception_int_div_zero 0
	.end_amdhsa_kernel
	.section	.text._ZN2at6native27unrolled_elementwise_kernelIZZZNS0_17expm1_kernel_cudaERNS_18TensorIteratorBaseEENKUlvE_clEvENKUlvE0_clEvEUlfE_St5arrayIPcLm2EELi4E23TrivialOffsetCalculatorILi1EjESB_NS0_6memory15LoadWithoutCastENSC_16StoreWithoutCastEEEviT_T0_T2_T3_T4_T5_,"axG",@progbits,_ZN2at6native27unrolled_elementwise_kernelIZZZNS0_17expm1_kernel_cudaERNS_18TensorIteratorBaseEENKUlvE_clEvENKUlvE0_clEvEUlfE_St5arrayIPcLm2EELi4E23TrivialOffsetCalculatorILi1EjESB_NS0_6memory15LoadWithoutCastENSC_16StoreWithoutCastEEEviT_T0_T2_T3_T4_T5_,comdat
.Lfunc_end118:
	.size	_ZN2at6native27unrolled_elementwise_kernelIZZZNS0_17expm1_kernel_cudaERNS_18TensorIteratorBaseEENKUlvE_clEvENKUlvE0_clEvEUlfE_St5arrayIPcLm2EELi4E23TrivialOffsetCalculatorILi1EjESB_NS0_6memory15LoadWithoutCastENSC_16StoreWithoutCastEEEviT_T0_T2_T3_T4_T5_, .Lfunc_end118-_ZN2at6native27unrolled_elementwise_kernelIZZZNS0_17expm1_kernel_cudaERNS_18TensorIteratorBaseEENKUlvE_clEvENKUlvE0_clEvEUlfE_St5arrayIPcLm2EELi4E23TrivialOffsetCalculatorILi1EjESB_NS0_6memory15LoadWithoutCastENSC_16StoreWithoutCastEEEviT_T0_T2_T3_T4_T5_
                                        ; -- End function
	.section	.AMDGPU.csdata,"",@progbits
; Kernel info:
; codeLenInByte = 1792
; NumSgprs: 18
; NumVgprs: 13
; ScratchSize: 0
; MemoryBound: 0
; FloatMode: 240
; IeeeMode: 1
; LDSByteSize: 0 bytes/workgroup (compile time only)
; SGPRBlocks: 2
; VGPRBlocks: 1
; NumSGPRsForWavesPerEU: 18
; NumVGPRsForWavesPerEU: 13
; Occupancy: 16
; WaveLimiterHint : 0
; COMPUTE_PGM_RSRC2:SCRATCH_EN: 0
; COMPUTE_PGM_RSRC2:USER_SGPR: 15
; COMPUTE_PGM_RSRC2:TRAP_HANDLER: 0
; COMPUTE_PGM_RSRC2:TGID_X_EN: 1
; COMPUTE_PGM_RSRC2:TGID_Y_EN: 0
; COMPUTE_PGM_RSRC2:TGID_Z_EN: 0
; COMPUTE_PGM_RSRC2:TIDIG_COMP_CNT: 0
	.section	.text._ZN2at6native32elementwise_kernel_manual_unrollILi128ELi4EZNS0_22gpu_kernel_impl_nocastIZZZNS0_17expm1_kernel_cudaERNS_18TensorIteratorBaseEENKUlvE_clEvENKUlvE0_clEvEUlfE_EEvS4_RKT_EUlibE_EEviT1_,"axG",@progbits,_ZN2at6native32elementwise_kernel_manual_unrollILi128ELi4EZNS0_22gpu_kernel_impl_nocastIZZZNS0_17expm1_kernel_cudaERNS_18TensorIteratorBaseEENKUlvE_clEvENKUlvE0_clEvEUlfE_EEvS4_RKT_EUlibE_EEviT1_,comdat
	.globl	_ZN2at6native32elementwise_kernel_manual_unrollILi128ELi4EZNS0_22gpu_kernel_impl_nocastIZZZNS0_17expm1_kernel_cudaERNS_18TensorIteratorBaseEENKUlvE_clEvENKUlvE0_clEvEUlfE_EEvS4_RKT_EUlibE_EEviT1_ ; -- Begin function _ZN2at6native32elementwise_kernel_manual_unrollILi128ELi4EZNS0_22gpu_kernel_impl_nocastIZZZNS0_17expm1_kernel_cudaERNS_18TensorIteratorBaseEENKUlvE_clEvENKUlvE0_clEvEUlfE_EEvS4_RKT_EUlibE_EEviT1_
	.p2align	8
	.type	_ZN2at6native32elementwise_kernel_manual_unrollILi128ELi4EZNS0_22gpu_kernel_impl_nocastIZZZNS0_17expm1_kernel_cudaERNS_18TensorIteratorBaseEENKUlvE_clEvENKUlvE0_clEvEUlfE_EEvS4_RKT_EUlibE_EEviT1_,@function
_ZN2at6native32elementwise_kernel_manual_unrollILi128ELi4EZNS0_22gpu_kernel_impl_nocastIZZZNS0_17expm1_kernel_cudaERNS_18TensorIteratorBaseEENKUlvE_clEvENKUlvE0_clEvEUlfE_EEvS4_RKT_EUlibE_EEviT1_: ; @_ZN2at6native32elementwise_kernel_manual_unrollILi128ELi4EZNS0_22gpu_kernel_impl_nocastIZZZNS0_17expm1_kernel_cudaERNS_18TensorIteratorBaseEENKUlvE_clEvENKUlvE0_clEvEUlfE_EEvS4_RKT_EUlibE_EEviT1_
; %bb.0:
	s_clause 0x1
	s_load_b32 s22, s[0:1], 0x8
	s_load_b32 s27, s[0:1], 0x0
	v_lshl_or_b32 v4, s15, 9, v0
	s_or_b32 s0, s0, 8
	s_mov_b32 s2, exec_lo
	s_delay_alu instid0(VALU_DEP_1) | instskip(SKIP_2) | instid1(SALU_CYCLE_1)
	v_or_b32_e32 v8, 0x180, v4
	s_waitcnt lgkmcnt(0)
	s_add_i32 s23, s22, -1
	s_cmp_gt_u32 s23, 1
	s_cselect_b32 s24, -1, 0
	v_cmpx_le_i32_e64 s27, v8
	s_xor_b32 s25, exec_lo, s2
	s_cbranch_execz .LBB119_7
; %bb.1:
	s_clause 0x3
	s_load_b128 s[12:15], s[0:1], 0x4
	s_load_b64 s[2:3], s[0:1], 0x14
	s_load_b128 s[8:11], s[0:1], 0xc4
	s_load_b128 s[4:7], s[0:1], 0x148
	s_cmp_lg_u32 s22, 0
	s_mov_b32 s30, exec_lo
	s_cselect_b32 s29, -1, 0
	s_add_u32 s16, s0, 0xc4
	s_addc_u32 s17, s1, 0
	s_min_u32 s28, s23, 15
	s_cmp_gt_u32 s22, 1
	s_cselect_b32 s26, -1, 0
	v_cmpx_gt_i32_e64 s27, v4
	s_cbranch_execz .LBB119_14
; %bb.2:
	s_and_not1_b32 vcc_lo, exec_lo, s24
	s_cbranch_vccnz .LBB119_21
; %bb.3:
	v_dual_mov_b32 v0, 0 :: v_dual_mov_b32 v1, 0
	s_and_not1_b32 vcc_lo, exec_lo, s29
	s_mov_b32 s31, 0
	s_cbranch_vccnz .LBB119_73
; %bb.4:
	v_mov_b32_e32 v0, 0
	s_add_i32 s34, s28, 1
	s_cmp_eq_u32 s23, 2
	s_mov_b32 s33, 0
	s_cbranch_scc1 .LBB119_69
; %bb.5:
	v_dual_mov_b32 v1, 0 :: v_dual_mov_b32 v0, 0
	v_mov_b32_e32 v2, v4
	s_and_b32 s33, s34, 28
	s_mov_b32 s35, 0
	s_mov_b64 s[18:19], s[16:17]
	s_mov_b64 s[20:21], s[0:1]
.LBB119_6:                              ; =>This Inner Loop Header: Depth=1
	s_clause 0x1
	s_load_b256 s[36:43], s[20:21], 0x4
	s_load_b128 s[52:55], s[20:21], 0x24
	s_load_b256 s[44:51], s[18:19], 0x0
	s_add_u32 s20, s20, 48
	s_addc_u32 s21, s21, 0
	s_add_i32 s35, s35, 4
	s_add_u32 s18, s18, 32
	s_addc_u32 s19, s19, 0
	s_cmp_lg_u32 s33, s35
	s_waitcnt lgkmcnt(0)
	v_mul_hi_u32 v3, s37, v2
	s_delay_alu instid0(VALU_DEP_1) | instskip(NEXT) | instid1(VALU_DEP_1)
	v_add_nc_u32_e32 v3, v2, v3
	v_lshrrev_b32_e32 v3, s38, v3
	s_delay_alu instid0(VALU_DEP_1) | instskip(SKIP_1) | instid1(VALU_DEP_2)
	v_mul_hi_u32 v5, s40, v3
	v_mul_lo_u32 v7, v3, s36
	v_add_nc_u32_e32 v5, v3, v5
	s_delay_alu instid0(VALU_DEP_2) | instskip(NEXT) | instid1(VALU_DEP_2)
	v_sub_nc_u32_e32 v2, v2, v7
	v_lshrrev_b32_e32 v5, s41, v5
	s_delay_alu instid0(VALU_DEP_2) | instskip(SKIP_1) | instid1(VALU_DEP_3)
	v_mul_lo_u32 v7, v2, s44
	v_mul_lo_u32 v9, v2, s45
	v_mul_hi_u32 v6, s43, v5
	s_delay_alu instid0(VALU_DEP_1) | instskip(NEXT) | instid1(VALU_DEP_1)
	v_add_nc_u32_e32 v6, v5, v6
	v_lshrrev_b32_e32 v6, s52, v6
	s_delay_alu instid0(VALU_DEP_1) | instskip(SKIP_1) | instid1(VALU_DEP_2)
	v_mul_hi_u32 v8, s54, v6
	v_mul_lo_u32 v10, v6, s42
	v_add_nc_u32_e32 v2, v6, v8
	v_mul_lo_u32 v8, v5, s39
	s_delay_alu instid0(VALU_DEP_3) | instskip(NEXT) | instid1(VALU_DEP_3)
	v_sub_nc_u32_e32 v5, v5, v10
	v_lshrrev_b32_e32 v2, s55, v2
	s_delay_alu instid0(VALU_DEP_2) | instskip(SKIP_2) | instid1(VALU_DEP_4)
	v_mul_lo_u32 v10, v5, s48
	v_mul_lo_u32 v5, v5, s49
	v_sub_nc_u32_e32 v3, v3, v8
	v_mul_lo_u32 v11, v2, s53
	s_delay_alu instid0(VALU_DEP_2) | instskip(SKIP_1) | instid1(VALU_DEP_3)
	v_mul_lo_u32 v8, v3, s46
	v_mul_lo_u32 v3, v3, s47
	v_sub_nc_u32_e32 v6, v6, v11
	s_delay_alu instid0(VALU_DEP_3) | instskip(NEXT) | instid1(VALU_DEP_2)
	v_add3_u32 v0, v7, v0, v8
	v_mul_lo_u32 v11, v6, s50
	v_mul_lo_u32 v6, v6, s51
	v_add3_u32 v1, v9, v1, v3
	s_delay_alu instid0(VALU_DEP_3) | instskip(NEXT) | instid1(VALU_DEP_2)
	v_add3_u32 v0, v10, v0, v11
	v_add3_u32 v1, v5, v1, v6
	s_cbranch_scc1 .LBB119_6
	s_branch .LBB119_70
.LBB119_7:
	s_and_not1_saveexec_b32 s2, s25
	s_cbranch_execz .LBB119_94
.LBB119_8:
	v_cndmask_b32_e64 v6, 0, 1, s24
	s_and_not1_b32 vcc_lo, exec_lo, s24
	s_cbranch_vccnz .LBB119_20
; %bb.9:
	v_dual_mov_b32 v0, 0 :: v_dual_mov_b32 v1, 0
	s_cmp_lg_u32 s22, 0
	s_mov_b32 s6, 0
	s_cbranch_scc0 .LBB119_26
; %bb.10:
	s_min_u32 s7, s23, 15
	v_mov_b32_e32 v0, 0
	s_add_i32 s7, s7, 1
	s_cmp_eq_u32 s23, 2
	s_mov_b32 s8, 0
	s_cbranch_scc1 .LBB119_23
; %bb.11:
	v_dual_mov_b32 v1, 0 :: v_dual_mov_b32 v0, 0
	v_mov_b32_e32 v2, v4
	s_add_u32 s2, s0, 0xc4
	s_addc_u32 s3, s1, 0
	s_and_b32 s8, s7, 28
	s_mov_b32 s9, 0
	s_mov_b64 s[4:5], s[0:1]
.LBB119_12:                             ; =>This Inner Loop Header: Depth=1
	s_clause 0x1
	s_load_b256 s[12:19], s[4:5], 0x4
	s_load_b128 s[36:39], s[4:5], 0x24
	s_load_b256 s[24:31], s[2:3], 0x0
	s_add_u32 s4, s4, 48
	s_addc_u32 s5, s5, 0
	s_add_i32 s9, s9, 4
	s_add_u32 s2, s2, 32
	s_addc_u32 s3, s3, 0
	s_cmp_lg_u32 s8, s9
	s_waitcnt lgkmcnt(0)
	v_mul_hi_u32 v3, s13, v2
	s_delay_alu instid0(VALU_DEP_1) | instskip(NEXT) | instid1(VALU_DEP_1)
	v_add_nc_u32_e32 v3, v2, v3
	v_lshrrev_b32_e32 v3, s14, v3
	s_delay_alu instid0(VALU_DEP_1) | instskip(SKIP_1) | instid1(VALU_DEP_2)
	v_mul_hi_u32 v5, s16, v3
	v_mul_lo_u32 v9, v3, s12
	v_add_nc_u32_e32 v5, v3, v5
	s_delay_alu instid0(VALU_DEP_2) | instskip(NEXT) | instid1(VALU_DEP_2)
	v_sub_nc_u32_e32 v2, v2, v9
	v_lshrrev_b32_e32 v5, s17, v5
	s_delay_alu instid0(VALU_DEP_2) | instskip(SKIP_1) | instid1(VALU_DEP_3)
	v_mul_lo_u32 v9, v2, s24
	v_mul_lo_u32 v11, v2, s25
	v_mul_hi_u32 v7, s19, v5
	s_delay_alu instid0(VALU_DEP_1) | instskip(NEXT) | instid1(VALU_DEP_1)
	v_add_nc_u32_e32 v7, v5, v7
	v_lshrrev_b32_e32 v7, s36, v7
	s_delay_alu instid0(VALU_DEP_1) | instskip(SKIP_1) | instid1(VALU_DEP_2)
	v_mul_hi_u32 v10, s38, v7
	v_mul_lo_u32 v12, v7, s18
	v_add_nc_u32_e32 v2, v7, v10
	v_mul_lo_u32 v10, v5, s15
	s_delay_alu instid0(VALU_DEP_3) | instskip(NEXT) | instid1(VALU_DEP_3)
	v_sub_nc_u32_e32 v5, v5, v12
	v_lshrrev_b32_e32 v2, s39, v2
	s_delay_alu instid0(VALU_DEP_2) | instskip(SKIP_2) | instid1(VALU_DEP_4)
	v_mul_lo_u32 v12, v5, s28
	v_mul_lo_u32 v5, v5, s29
	v_sub_nc_u32_e32 v3, v3, v10
	v_mul_lo_u32 v13, v2, s37
	s_delay_alu instid0(VALU_DEP_2) | instskip(SKIP_1) | instid1(VALU_DEP_3)
	v_mul_lo_u32 v10, v3, s26
	v_mul_lo_u32 v3, v3, s27
	v_sub_nc_u32_e32 v7, v7, v13
	s_delay_alu instid0(VALU_DEP_3) | instskip(NEXT) | instid1(VALU_DEP_2)
	v_add3_u32 v0, v9, v0, v10
	v_mul_lo_u32 v13, v7, s30
	v_mul_lo_u32 v7, v7, s31
	v_add3_u32 v1, v11, v1, v3
	s_delay_alu instid0(VALU_DEP_3) | instskip(NEXT) | instid1(VALU_DEP_2)
	v_add3_u32 v0, v12, v0, v13
	v_add3_u32 v1, v5, v1, v7
	s_cbranch_scc1 .LBB119_12
; %bb.13:
	s_and_b32 s7, s7, 3
	s_delay_alu instid0(SALU_CYCLE_1)
	s_cmp_eq_u32 s7, 0
	s_cbranch_scc0 .LBB119_24
	s_branch .LBB119_26
.LBB119_14:
	s_or_b32 exec_lo, exec_lo, s30
	s_delay_alu instid0(SALU_CYCLE_1)
	s_mov_b32 s30, exec_lo
	v_cmpx_gt_i32_e64 s27, v4
	s_cbranch_execz .LBB119_77
.LBB119_15:
	s_and_not1_b32 vcc_lo, exec_lo, s24
	s_cbranch_vccnz .LBB119_22
; %bb.16:
	v_dual_mov_b32 v0, 0 :: v_dual_mov_b32 v1, 0
	s_and_not1_b32 vcc_lo, exec_lo, s29
	s_mov_b32 s31, 0
	s_cbranch_vccnz .LBB119_88
; %bb.17:
	v_mov_b32_e32 v0, 0
	s_add_i32 s34, s28, 1
	s_cmp_eq_u32 s23, 2
	s_mov_b32 s33, 0
	s_cbranch_scc1 .LBB119_84
; %bb.18:
	v_dual_mov_b32 v1, 0 :: v_dual_mov_b32 v0, 0
	v_mov_b32_e32 v2, v4
	s_and_b32 s33, s34, 28
	s_mov_b32 s35, 0
	s_mov_b64 s[18:19], s[16:17]
	s_mov_b64 s[20:21], s[0:1]
.LBB119_19:                             ; =>This Inner Loop Header: Depth=1
	s_clause 0x1
	s_load_b256 s[36:43], s[20:21], 0x4
	s_load_b128 s[52:55], s[20:21], 0x24
	s_load_b256 s[44:51], s[18:19], 0x0
	s_add_u32 s20, s20, 48
	s_addc_u32 s21, s21, 0
	s_add_i32 s35, s35, 4
	s_add_u32 s18, s18, 32
	s_addc_u32 s19, s19, 0
	s_cmp_eq_u32 s33, s35
	s_waitcnt lgkmcnt(0)
	v_mul_hi_u32 v3, s37, v2
	s_delay_alu instid0(VALU_DEP_1) | instskip(NEXT) | instid1(VALU_DEP_1)
	v_add_nc_u32_e32 v3, v2, v3
	v_lshrrev_b32_e32 v3, s38, v3
	s_delay_alu instid0(VALU_DEP_1) | instskip(SKIP_1) | instid1(VALU_DEP_2)
	v_mul_hi_u32 v5, s40, v3
	v_mul_lo_u32 v7, v3, s36
	v_add_nc_u32_e32 v5, v3, v5
	s_delay_alu instid0(VALU_DEP_2) | instskip(NEXT) | instid1(VALU_DEP_2)
	v_sub_nc_u32_e32 v2, v2, v7
	v_lshrrev_b32_e32 v5, s41, v5
	s_delay_alu instid0(VALU_DEP_2) | instskip(SKIP_1) | instid1(VALU_DEP_3)
	v_mul_lo_u32 v7, v2, s44
	v_mul_lo_u32 v9, v2, s45
	v_mul_hi_u32 v6, s43, v5
	s_delay_alu instid0(VALU_DEP_1) | instskip(NEXT) | instid1(VALU_DEP_1)
	v_add_nc_u32_e32 v6, v5, v6
	v_lshrrev_b32_e32 v6, s52, v6
	s_delay_alu instid0(VALU_DEP_1) | instskip(SKIP_1) | instid1(VALU_DEP_2)
	v_mul_hi_u32 v8, s54, v6
	v_mul_lo_u32 v10, v6, s42
	v_add_nc_u32_e32 v2, v6, v8
	v_mul_lo_u32 v8, v5, s39
	s_delay_alu instid0(VALU_DEP_3) | instskip(NEXT) | instid1(VALU_DEP_3)
	v_sub_nc_u32_e32 v5, v5, v10
	v_lshrrev_b32_e32 v2, s55, v2
	s_delay_alu instid0(VALU_DEP_2) | instskip(SKIP_2) | instid1(VALU_DEP_4)
	v_mul_lo_u32 v10, v5, s48
	v_mul_lo_u32 v5, v5, s49
	v_sub_nc_u32_e32 v3, v3, v8
	v_mul_lo_u32 v11, v2, s53
	s_delay_alu instid0(VALU_DEP_2) | instskip(SKIP_1) | instid1(VALU_DEP_3)
	v_mul_lo_u32 v8, v3, s46
	v_mul_lo_u32 v3, v3, s47
	v_sub_nc_u32_e32 v6, v6, v11
	s_delay_alu instid0(VALU_DEP_3) | instskip(NEXT) | instid1(VALU_DEP_2)
	v_add3_u32 v0, v7, v0, v8
	v_mul_lo_u32 v11, v6, s50
	v_mul_lo_u32 v6, v6, s51
	v_add3_u32 v1, v9, v1, v3
	s_delay_alu instid0(VALU_DEP_3) | instskip(NEXT) | instid1(VALU_DEP_2)
	v_add3_u32 v0, v10, v0, v11
	v_add3_u32 v1, v5, v1, v6
	s_cbranch_scc0 .LBB119_19
	s_branch .LBB119_85
.LBB119_20:
	s_mov_b32 s6, -1
                                        ; implicit-def: $vgpr0
                                        ; implicit-def: $vgpr1
	s_branch .LBB119_26
.LBB119_21:
	s_mov_b32 s31, -1
                                        ; implicit-def: $vgpr0
                                        ; implicit-def: $vgpr1
	s_branch .LBB119_73
.LBB119_22:
	s_mov_b32 s31, -1
                                        ; implicit-def: $vgpr0
                                        ; implicit-def: $vgpr1
	s_branch .LBB119_88
.LBB119_23:
	v_dual_mov_b32 v2, v4 :: v_dual_mov_b32 v1, 0
	s_and_b32 s7, s7, 3
	s_delay_alu instid0(SALU_CYCLE_1)
	s_cmp_eq_u32 s7, 0
	s_cbranch_scc1 .LBB119_26
.LBB119_24:
	s_lshl_b32 s2, s8, 3
	s_mul_i32 s4, s8, 12
	s_add_u32 s2, s2, s0
	s_addc_u32 s3, 0, s1
	s_add_u32 s2, s2, 0xc4
	s_addc_u32 s3, s3, 0
	s_add_u32 s4, s0, s4
	s_addc_u32 s5, 0, s1
	.p2align	6
.LBB119_25:                             ; =>This Inner Loop Header: Depth=1
	s_clause 0x1
	s_load_b64 s[8:9], s[4:5], 0x4
	s_load_b32 s12, s[4:5], 0xc
	s_load_b64 s[10:11], s[2:3], 0x0
	s_add_u32 s4, s4, 12
	s_addc_u32 s5, s5, 0
	s_add_u32 s2, s2, 8
	s_addc_u32 s3, s3, 0
	s_add_i32 s7, s7, -1
	s_delay_alu instid0(SALU_CYCLE_1) | instskip(SKIP_2) | instid1(VALU_DEP_1)
	s_cmp_lg_u32 s7, 0
	s_waitcnt lgkmcnt(0)
	v_mul_hi_u32 v3, s9, v2
	v_add_nc_u32_e32 v3, v2, v3
	s_delay_alu instid0(VALU_DEP_1) | instskip(NEXT) | instid1(VALU_DEP_1)
	v_lshrrev_b32_e32 v3, s12, v3
	v_mul_lo_u32 v5, v3, s8
	s_delay_alu instid0(VALU_DEP_1) | instskip(NEXT) | instid1(VALU_DEP_1)
	v_sub_nc_u32_e32 v2, v2, v5
	v_mad_u64_u32 v[9:10], null, v2, s10, v[0:1]
	v_mad_u64_u32 v[10:11], null, v2, s11, v[1:2]
	v_mov_b32_e32 v2, v3
	s_delay_alu instid0(VALU_DEP_2)
	v_dual_mov_b32 v0, v9 :: v_dual_mov_b32 v1, v10
	s_cbranch_scc1 .LBB119_25
.LBB119_26:
	s_and_not1_b32 vcc_lo, exec_lo, s6
	s_cbranch_vccnz .LBB119_29
; %bb.27:
	s_clause 0x1
	s_load_b128 s[4:7], s[0:1], 0x4
	s_load_b64 s[2:3], s[0:1], 0xc4
	s_cmp_lt_u32 s22, 2
	s_waitcnt lgkmcnt(0)
	v_mul_hi_u32 v0, s5, v4
	s_delay_alu instid0(VALU_DEP_1) | instskip(NEXT) | instid1(VALU_DEP_1)
	v_add_nc_u32_e32 v0, v4, v0
	v_lshrrev_b32_e32 v2, s6, v0
	s_delay_alu instid0(VALU_DEP_1) | instskip(NEXT) | instid1(VALU_DEP_1)
	v_mul_lo_u32 v0, v2, s4
	v_sub_nc_u32_e32 v1, v4, v0
	s_delay_alu instid0(VALU_DEP_1)
	v_mul_lo_u32 v0, v1, s2
	v_mul_lo_u32 v1, v1, s3
	s_cbranch_scc1 .LBB119_29
; %bb.28:
	s_clause 0x1
	s_load_b128 s[4:7], s[0:1], 0x10
	s_load_b64 s[2:3], s[0:1], 0xcc
	s_waitcnt lgkmcnt(0)
	v_mul_hi_u32 v3, s5, v2
	s_delay_alu instid0(VALU_DEP_1) | instskip(NEXT) | instid1(VALU_DEP_1)
	v_add_nc_u32_e32 v3, v2, v3
	v_lshrrev_b32_e32 v3, s6, v3
	s_delay_alu instid0(VALU_DEP_1) | instskip(NEXT) | instid1(VALU_DEP_1)
	v_mul_lo_u32 v3, v3, s4
	v_sub_nc_u32_e32 v5, v2, v3
	s_delay_alu instid0(VALU_DEP_1) | instskip(NEXT) | instid1(VALU_DEP_1)
	v_mad_u64_u32 v[2:3], null, v5, s2, v[0:1]
	v_mad_u64_u32 v[9:10], null, v5, s3, v[1:2]
	s_delay_alu instid0(VALU_DEP_1)
	v_dual_mov_b32 v0, v2 :: v_dual_mov_b32 v1, v9
.LBB119_29:
	v_cmp_ne_u32_e32 vcc_lo, 1, v6
	v_add_nc_u32_e32 v5, 0x80, v4
	s_cbranch_vccnz .LBB119_35
; %bb.30:
	v_dual_mov_b32 v2, 0 :: v_dual_mov_b32 v3, 0
	s_cmp_lg_u32 s22, 0
	s_mov_b32 s6, 0
	s_cbranch_scc0 .LBB119_39
; %bb.31:
	s_min_u32 s7, s23, 15
	v_mov_b32_e32 v2, 0
	s_add_i32 s7, s7, 1
	s_cmp_eq_u32 s23, 2
	s_mov_b32 s8, 0
	s_cbranch_scc1 .LBB119_36
; %bb.32:
	v_dual_mov_b32 v3, 0 :: v_dual_mov_b32 v2, 0
	v_mov_b32_e32 v7, v5
	s_add_u32 s2, s0, 0xc4
	s_addc_u32 s3, s1, 0
	s_and_b32 s8, s7, 28
	s_mov_b32 s9, 0
	s_mov_b64 s[4:5], s[0:1]
.LBB119_33:                             ; =>This Inner Loop Header: Depth=1
	s_clause 0x1
	s_load_b256 s[12:19], s[4:5], 0x4
	s_load_b128 s[36:39], s[4:5], 0x24
	s_load_b256 s[24:31], s[2:3], 0x0
	s_add_u32 s4, s4, 48
	s_addc_u32 s5, s5, 0
	s_add_i32 s9, s9, 4
	s_add_u32 s2, s2, 32
	s_addc_u32 s3, s3, 0
	s_cmp_lg_u32 s8, s9
	s_waitcnt lgkmcnt(0)
	v_mul_hi_u32 v9, s13, v7
	s_delay_alu instid0(VALU_DEP_1) | instskip(NEXT) | instid1(VALU_DEP_1)
	v_add_nc_u32_e32 v9, v7, v9
	v_lshrrev_b32_e32 v9, s14, v9
	s_delay_alu instid0(VALU_DEP_1) | instskip(SKIP_1) | instid1(VALU_DEP_2)
	v_mul_hi_u32 v10, s16, v9
	v_mul_lo_u32 v12, v9, s12
	v_add_nc_u32_e32 v10, v9, v10
	s_delay_alu instid0(VALU_DEP_2) | instskip(NEXT) | instid1(VALU_DEP_2)
	v_sub_nc_u32_e32 v7, v7, v12
	v_lshrrev_b32_e32 v10, s17, v10
	s_delay_alu instid0(VALU_DEP_2) | instskip(SKIP_1) | instid1(VALU_DEP_3)
	v_mul_lo_u32 v12, v7, s24
	v_mul_lo_u32 v14, v7, s25
	v_mul_hi_u32 v11, s19, v10
	s_delay_alu instid0(VALU_DEP_1) | instskip(NEXT) | instid1(VALU_DEP_1)
	v_add_nc_u32_e32 v11, v10, v11
	v_lshrrev_b32_e32 v11, s36, v11
	s_delay_alu instid0(VALU_DEP_1) | instskip(SKIP_1) | instid1(VALU_DEP_2)
	v_mul_hi_u32 v13, s38, v11
	v_mul_lo_u32 v15, v11, s18
	v_add_nc_u32_e32 v7, v11, v13
	v_mul_lo_u32 v13, v10, s15
	s_delay_alu instid0(VALU_DEP_3) | instskip(NEXT) | instid1(VALU_DEP_3)
	v_sub_nc_u32_e32 v10, v10, v15
	v_lshrrev_b32_e32 v7, s39, v7
	s_delay_alu instid0(VALU_DEP_2) | instskip(SKIP_2) | instid1(VALU_DEP_4)
	v_mul_lo_u32 v15, v10, s28
	v_mul_lo_u32 v10, v10, s29
	v_sub_nc_u32_e32 v9, v9, v13
	v_mul_lo_u32 v16, v7, s37
	s_delay_alu instid0(VALU_DEP_2) | instskip(SKIP_1) | instid1(VALU_DEP_3)
	v_mul_lo_u32 v13, v9, s26
	v_mul_lo_u32 v9, v9, s27
	v_sub_nc_u32_e32 v11, v11, v16
	s_delay_alu instid0(VALU_DEP_3) | instskip(NEXT) | instid1(VALU_DEP_2)
	v_add3_u32 v2, v12, v2, v13
	v_mul_lo_u32 v16, v11, s30
	v_mul_lo_u32 v11, v11, s31
	v_add3_u32 v3, v14, v3, v9
	s_delay_alu instid0(VALU_DEP_3) | instskip(NEXT) | instid1(VALU_DEP_2)
	v_add3_u32 v2, v15, v2, v16
	v_add3_u32 v3, v10, v3, v11
	s_cbranch_scc1 .LBB119_33
; %bb.34:
	s_and_b32 s7, s7, 3
	s_delay_alu instid0(SALU_CYCLE_1)
	s_cmp_eq_u32 s7, 0
	s_cbranch_scc0 .LBB119_37
	s_branch .LBB119_39
.LBB119_35:
	s_mov_b32 s6, -1
                                        ; implicit-def: $vgpr2
                                        ; implicit-def: $vgpr3
	s_branch .LBB119_39
.LBB119_36:
	v_mov_b32_e32 v7, v5
	v_mov_b32_e32 v3, 0
	s_and_b32 s7, s7, 3
	s_delay_alu instid0(SALU_CYCLE_1)
	s_cmp_eq_u32 s7, 0
	s_cbranch_scc1 .LBB119_39
.LBB119_37:
	s_lshl_b32 s2, s8, 3
	s_mul_i32 s4, s8, 12
	s_add_u32 s2, s2, s0
	s_addc_u32 s3, 0, s1
	s_add_u32 s2, s2, 0xc4
	s_addc_u32 s3, s3, 0
	;; [unrolled: 2-line block ×3, first 2 shown]
	.p2align	6
.LBB119_38:                             ; =>This Inner Loop Header: Depth=1
	s_clause 0x1
	s_load_b64 s[8:9], s[4:5], 0x4
	s_load_b32 s12, s[4:5], 0xc
	s_load_b64 s[10:11], s[2:3], 0x0
	s_add_u32 s4, s4, 12
	s_addc_u32 s5, s5, 0
	s_add_u32 s2, s2, 8
	s_addc_u32 s3, s3, 0
	s_add_i32 s7, s7, -1
	s_delay_alu instid0(SALU_CYCLE_1) | instskip(SKIP_2) | instid1(VALU_DEP_1)
	s_cmp_lg_u32 s7, 0
	s_waitcnt lgkmcnt(0)
	v_mul_hi_u32 v9, s9, v7
	v_add_nc_u32_e32 v9, v7, v9
	s_delay_alu instid0(VALU_DEP_1) | instskip(NEXT) | instid1(VALU_DEP_1)
	v_lshrrev_b32_e32 v12, s12, v9
	v_mul_lo_u32 v9, v12, s8
	s_delay_alu instid0(VALU_DEP_1) | instskip(NEXT) | instid1(VALU_DEP_1)
	v_sub_nc_u32_e32 v7, v7, v9
	v_mad_u64_u32 v[9:10], null, v7, s10, v[2:3]
	v_mad_u64_u32 v[10:11], null, v7, s11, v[3:4]
	s_delay_alu instid0(VALU_DEP_2) | instskip(NEXT) | instid1(VALU_DEP_2)
	v_dual_mov_b32 v7, v12 :: v_dual_mov_b32 v2, v9
	v_mov_b32_e32 v3, v10
	s_cbranch_scc1 .LBB119_38
.LBB119_39:
	s_and_not1_b32 vcc_lo, exec_lo, s6
	s_cbranch_vccnz .LBB119_42
; %bb.40:
	s_clause 0x1
	s_load_b128 s[4:7], s[0:1], 0x4
	s_load_b64 s[2:3], s[0:1], 0xc4
	s_cmp_lt_u32 s22, 2
	s_waitcnt lgkmcnt(0)
	v_mul_hi_u32 v2, s5, v5
	s_delay_alu instid0(VALU_DEP_1) | instskip(NEXT) | instid1(VALU_DEP_1)
	v_add_nc_u32_e32 v2, v5, v2
	v_lshrrev_b32_e32 v7, s6, v2
	s_delay_alu instid0(VALU_DEP_1) | instskip(NEXT) | instid1(VALU_DEP_1)
	v_mul_lo_u32 v2, v7, s4
	v_sub_nc_u32_e32 v3, v5, v2
	s_delay_alu instid0(VALU_DEP_1)
	v_mul_lo_u32 v2, v3, s2
	v_mul_lo_u32 v3, v3, s3
	s_cbranch_scc1 .LBB119_42
; %bb.41:
	s_clause 0x1
	s_load_b128 s[4:7], s[0:1], 0x10
	s_load_b64 s[2:3], s[0:1], 0xcc
	s_waitcnt lgkmcnt(0)
	v_mul_hi_u32 v5, s5, v7
	s_delay_alu instid0(VALU_DEP_1) | instskip(NEXT) | instid1(VALU_DEP_1)
	v_add_nc_u32_e32 v5, v7, v5
	v_lshrrev_b32_e32 v5, s6, v5
	s_delay_alu instid0(VALU_DEP_1) | instskip(NEXT) | instid1(VALU_DEP_1)
	v_mul_lo_u32 v5, v5, s4
	v_sub_nc_u32_e32 v5, v7, v5
	s_delay_alu instid0(VALU_DEP_1) | instskip(SKIP_1) | instid1(VALU_DEP_1)
	v_mad_u64_u32 v[9:10], null, v5, s2, v[2:3]
	v_mad_u64_u32 v[10:11], null, v5, s3, v[3:4]
	v_dual_mov_b32 v2, v9 :: v_dual_mov_b32 v3, v10
.LBB119_42:
	v_cmp_ne_u32_e32 vcc_lo, 1, v6
	v_add_nc_u32_e32 v7, 0x100, v4
	s_cbranch_vccnz .LBB119_48
; %bb.43:
	v_dual_mov_b32 v4, 0 :: v_dual_mov_b32 v5, 0
	s_cmp_lg_u32 s22, 0
	s_mov_b32 s6, 0
	s_cbranch_scc0 .LBB119_52
; %bb.44:
	s_min_u32 s7, s23, 15
	v_mov_b32_e32 v4, 0
	s_add_i32 s7, s7, 1
	s_cmp_eq_u32 s23, 2
	s_mov_b32 s8, 0
	s_cbranch_scc1 .LBB119_49
; %bb.45:
	v_dual_mov_b32 v5, 0 :: v_dual_mov_b32 v4, 0
	v_mov_b32_e32 v9, v7
	s_add_u32 s2, s0, 0xc4
	s_addc_u32 s3, s1, 0
	s_and_b32 s8, s7, 28
	s_mov_b32 s9, 0
	s_mov_b64 s[4:5], s[0:1]
.LBB119_46:                             ; =>This Inner Loop Header: Depth=1
	s_clause 0x1
	s_load_b256 s[12:19], s[4:5], 0x4
	s_load_b128 s[36:39], s[4:5], 0x24
	s_load_b256 s[24:31], s[2:3], 0x0
	s_add_u32 s4, s4, 48
	s_addc_u32 s5, s5, 0
	s_add_i32 s9, s9, 4
	s_add_u32 s2, s2, 32
	s_addc_u32 s3, s3, 0
	s_cmp_lg_u32 s8, s9
	s_waitcnt lgkmcnt(0)
	v_mul_hi_u32 v10, s13, v9
	s_delay_alu instid0(VALU_DEP_1) | instskip(NEXT) | instid1(VALU_DEP_1)
	v_add_nc_u32_e32 v10, v9, v10
	v_lshrrev_b32_e32 v10, s14, v10
	s_delay_alu instid0(VALU_DEP_1) | instskip(SKIP_1) | instid1(VALU_DEP_2)
	v_mul_hi_u32 v11, s16, v10
	v_mul_lo_u32 v13, v10, s12
	v_add_nc_u32_e32 v11, v10, v11
	s_delay_alu instid0(VALU_DEP_2) | instskip(NEXT) | instid1(VALU_DEP_2)
	v_sub_nc_u32_e32 v9, v9, v13
	v_lshrrev_b32_e32 v11, s17, v11
	s_delay_alu instid0(VALU_DEP_2) | instskip(SKIP_1) | instid1(VALU_DEP_3)
	v_mul_lo_u32 v13, v9, s24
	v_mul_lo_u32 v15, v9, s25
	v_mul_hi_u32 v12, s19, v11
	s_delay_alu instid0(VALU_DEP_1) | instskip(NEXT) | instid1(VALU_DEP_1)
	v_add_nc_u32_e32 v12, v11, v12
	v_lshrrev_b32_e32 v12, s36, v12
	s_delay_alu instid0(VALU_DEP_1) | instskip(SKIP_1) | instid1(VALU_DEP_2)
	v_mul_hi_u32 v14, s38, v12
	v_mul_lo_u32 v16, v12, s18
	v_add_nc_u32_e32 v9, v12, v14
	v_mul_lo_u32 v14, v11, s15
	s_delay_alu instid0(VALU_DEP_3) | instskip(NEXT) | instid1(VALU_DEP_3)
	v_sub_nc_u32_e32 v11, v11, v16
	v_lshrrev_b32_e32 v9, s39, v9
	s_delay_alu instid0(VALU_DEP_2) | instskip(SKIP_2) | instid1(VALU_DEP_4)
	v_mul_lo_u32 v16, v11, s28
	v_mul_lo_u32 v11, v11, s29
	v_sub_nc_u32_e32 v10, v10, v14
	v_mul_lo_u32 v17, v9, s37
	s_delay_alu instid0(VALU_DEP_2) | instskip(SKIP_1) | instid1(VALU_DEP_3)
	v_mul_lo_u32 v14, v10, s26
	v_mul_lo_u32 v10, v10, s27
	v_sub_nc_u32_e32 v12, v12, v17
	s_delay_alu instid0(VALU_DEP_3) | instskip(NEXT) | instid1(VALU_DEP_2)
	v_add3_u32 v4, v13, v4, v14
	v_mul_lo_u32 v17, v12, s30
	v_mul_lo_u32 v12, v12, s31
	v_add3_u32 v5, v15, v5, v10
	s_delay_alu instid0(VALU_DEP_3) | instskip(NEXT) | instid1(VALU_DEP_2)
	v_add3_u32 v4, v16, v4, v17
	v_add3_u32 v5, v11, v5, v12
	s_cbranch_scc1 .LBB119_46
; %bb.47:
	s_and_b32 s7, s7, 3
	s_delay_alu instid0(SALU_CYCLE_1)
	s_cmp_eq_u32 s7, 0
	s_cbranch_scc0 .LBB119_50
	s_branch .LBB119_52
.LBB119_48:
	s_mov_b32 s6, -1
                                        ; implicit-def: $vgpr4
                                        ; implicit-def: $vgpr5
	s_branch .LBB119_52
.LBB119_49:
	v_mov_b32_e32 v9, v7
	v_mov_b32_e32 v5, 0
	s_and_b32 s7, s7, 3
	s_delay_alu instid0(SALU_CYCLE_1)
	s_cmp_eq_u32 s7, 0
	s_cbranch_scc1 .LBB119_52
.LBB119_50:
	s_lshl_b32 s2, s8, 3
	s_mul_i32 s4, s8, 12
	s_add_u32 s2, s2, s0
	s_addc_u32 s3, 0, s1
	s_add_u32 s2, s2, 0xc4
	s_addc_u32 s3, s3, 0
	s_add_u32 s4, s0, s4
	s_addc_u32 s5, 0, s1
	.p2align	6
.LBB119_51:                             ; =>This Inner Loop Header: Depth=1
	s_clause 0x1
	s_load_b64 s[8:9], s[4:5], 0x4
	s_load_b32 s12, s[4:5], 0xc
	s_load_b64 s[10:11], s[2:3], 0x0
	s_add_u32 s4, s4, 12
	s_addc_u32 s5, s5, 0
	s_add_u32 s2, s2, 8
	s_addc_u32 s3, s3, 0
	s_add_i32 s7, s7, -1
	s_delay_alu instid0(SALU_CYCLE_1) | instskip(SKIP_2) | instid1(VALU_DEP_1)
	s_cmp_lg_u32 s7, 0
	s_waitcnt lgkmcnt(0)
	v_mul_hi_u32 v10, s9, v9
	v_add_nc_u32_e32 v10, v9, v10
	s_delay_alu instid0(VALU_DEP_1) | instskip(NEXT) | instid1(VALU_DEP_1)
	v_lshrrev_b32_e32 v13, s12, v10
	v_mul_lo_u32 v10, v13, s8
	s_delay_alu instid0(VALU_DEP_1) | instskip(NEXT) | instid1(VALU_DEP_1)
	v_sub_nc_u32_e32 v9, v9, v10
	v_mad_u64_u32 v[10:11], null, v9, s10, v[4:5]
	v_mad_u64_u32 v[11:12], null, v9, s11, v[5:6]
	s_delay_alu instid0(VALU_DEP_2) | instskip(NEXT) | instid1(VALU_DEP_2)
	v_dual_mov_b32 v9, v13 :: v_dual_mov_b32 v4, v10
	v_mov_b32_e32 v5, v11
	s_cbranch_scc1 .LBB119_51
.LBB119_52:
	s_and_not1_b32 vcc_lo, exec_lo, s6
	s_cbranch_vccnz .LBB119_55
; %bb.53:
	s_clause 0x1
	s_load_b128 s[4:7], s[0:1], 0x4
	s_load_b64 s[2:3], s[0:1], 0xc4
	s_cmp_lt_u32 s22, 2
	s_waitcnt lgkmcnt(0)
	v_mul_hi_u32 v4, s5, v7
	s_delay_alu instid0(VALU_DEP_1) | instskip(NEXT) | instid1(VALU_DEP_1)
	v_add_nc_u32_e32 v4, v7, v4
	v_lshrrev_b32_e32 v9, s6, v4
	s_delay_alu instid0(VALU_DEP_1) | instskip(NEXT) | instid1(VALU_DEP_1)
	v_mul_lo_u32 v4, v9, s4
	v_sub_nc_u32_e32 v5, v7, v4
	s_delay_alu instid0(VALU_DEP_1)
	v_mul_lo_u32 v4, v5, s2
	v_mul_lo_u32 v5, v5, s3
	s_cbranch_scc1 .LBB119_55
; %bb.54:
	s_clause 0x1
	s_load_b128 s[4:7], s[0:1], 0x10
	s_load_b64 s[2:3], s[0:1], 0xcc
	s_waitcnt lgkmcnt(0)
	v_mul_hi_u32 v7, s5, v9
	s_delay_alu instid0(VALU_DEP_1) | instskip(NEXT) | instid1(VALU_DEP_1)
	v_add_nc_u32_e32 v7, v9, v7
	v_lshrrev_b32_e32 v7, s6, v7
	s_delay_alu instid0(VALU_DEP_1) | instskip(NEXT) | instid1(VALU_DEP_1)
	v_mul_lo_u32 v7, v7, s4
	v_sub_nc_u32_e32 v7, v9, v7
	s_delay_alu instid0(VALU_DEP_1) | instskip(SKIP_1) | instid1(VALU_DEP_1)
	v_mad_u64_u32 v[9:10], null, v7, s2, v[4:5]
	v_mad_u64_u32 v[10:11], null, v7, s3, v[5:6]
	v_dual_mov_b32 v4, v9 :: v_dual_mov_b32 v5, v10
.LBB119_55:
	v_cmp_ne_u32_e32 vcc_lo, 1, v6
	s_cbranch_vccnz .LBB119_61
; %bb.56:
	v_dual_mov_b32 v6, 0 :: v_dual_mov_b32 v7, 0
	s_cmp_lg_u32 s22, 0
	s_mov_b32 s6, 0
	s_cbranch_scc0 .LBB119_65
; %bb.57:
	s_min_u32 s7, s23, 15
	v_mov_b32_e32 v6, 0
	s_add_i32 s7, s7, 1
	s_cmp_eq_u32 s23, 2
	s_mov_b32 s8, 0
	s_cbranch_scc1 .LBB119_62
; %bb.58:
	v_dual_mov_b32 v7, 0 :: v_dual_mov_b32 v6, 0
	v_mov_b32_e32 v9, v8
	s_add_u32 s2, s0, 0xc4
	s_addc_u32 s3, s1, 0
	s_and_b32 s8, s7, 28
	s_mov_b32 s9, 0
	s_mov_b64 s[4:5], s[0:1]
.LBB119_59:                             ; =>This Inner Loop Header: Depth=1
	s_clause 0x1
	s_load_b256 s[12:19], s[4:5], 0x4
	s_load_b128 s[36:39], s[4:5], 0x24
	s_load_b256 s[24:31], s[2:3], 0x0
	s_add_u32 s4, s4, 48
	s_addc_u32 s5, s5, 0
	s_add_i32 s9, s9, 4
	s_add_u32 s2, s2, 32
	s_addc_u32 s3, s3, 0
	s_cmp_lg_u32 s8, s9
	s_waitcnt lgkmcnt(0)
	v_mul_hi_u32 v10, s13, v9
	s_delay_alu instid0(VALU_DEP_1) | instskip(NEXT) | instid1(VALU_DEP_1)
	v_add_nc_u32_e32 v10, v9, v10
	v_lshrrev_b32_e32 v10, s14, v10
	s_delay_alu instid0(VALU_DEP_1) | instskip(SKIP_1) | instid1(VALU_DEP_2)
	v_mul_hi_u32 v11, s16, v10
	v_mul_lo_u32 v13, v10, s12
	v_add_nc_u32_e32 v11, v10, v11
	s_delay_alu instid0(VALU_DEP_2) | instskip(NEXT) | instid1(VALU_DEP_2)
	v_sub_nc_u32_e32 v9, v9, v13
	v_lshrrev_b32_e32 v11, s17, v11
	s_delay_alu instid0(VALU_DEP_2) | instskip(SKIP_1) | instid1(VALU_DEP_3)
	v_mul_lo_u32 v13, v9, s24
	v_mul_lo_u32 v15, v9, s25
	v_mul_hi_u32 v12, s19, v11
	s_delay_alu instid0(VALU_DEP_1) | instskip(NEXT) | instid1(VALU_DEP_1)
	v_add_nc_u32_e32 v12, v11, v12
	v_lshrrev_b32_e32 v12, s36, v12
	s_delay_alu instid0(VALU_DEP_1) | instskip(SKIP_1) | instid1(VALU_DEP_2)
	v_mul_hi_u32 v14, s38, v12
	v_mul_lo_u32 v16, v12, s18
	v_add_nc_u32_e32 v9, v12, v14
	v_mul_lo_u32 v14, v11, s15
	s_delay_alu instid0(VALU_DEP_3) | instskip(NEXT) | instid1(VALU_DEP_3)
	v_sub_nc_u32_e32 v11, v11, v16
	v_lshrrev_b32_e32 v9, s39, v9
	s_delay_alu instid0(VALU_DEP_2) | instskip(SKIP_2) | instid1(VALU_DEP_4)
	v_mul_lo_u32 v16, v11, s28
	v_mul_lo_u32 v11, v11, s29
	v_sub_nc_u32_e32 v10, v10, v14
	v_mul_lo_u32 v17, v9, s37
	s_delay_alu instid0(VALU_DEP_2) | instskip(SKIP_1) | instid1(VALU_DEP_3)
	v_mul_lo_u32 v14, v10, s26
	v_mul_lo_u32 v10, v10, s27
	v_sub_nc_u32_e32 v12, v12, v17
	s_delay_alu instid0(VALU_DEP_3) | instskip(NEXT) | instid1(VALU_DEP_2)
	v_add3_u32 v6, v13, v6, v14
	v_mul_lo_u32 v17, v12, s30
	v_mul_lo_u32 v12, v12, s31
	v_add3_u32 v7, v15, v7, v10
	s_delay_alu instid0(VALU_DEP_3) | instskip(NEXT) | instid1(VALU_DEP_2)
	v_add3_u32 v6, v16, v6, v17
	v_add3_u32 v7, v11, v7, v12
	s_cbranch_scc1 .LBB119_59
; %bb.60:
	s_and_b32 s7, s7, 3
	s_delay_alu instid0(SALU_CYCLE_1)
	s_cmp_eq_u32 s7, 0
	s_cbranch_scc0 .LBB119_63
	s_branch .LBB119_65
.LBB119_61:
	s_mov_b32 s6, -1
                                        ; implicit-def: $vgpr6
                                        ; implicit-def: $vgpr7
	s_branch .LBB119_65
.LBB119_62:
	v_mov_b32_e32 v9, v8
	v_mov_b32_e32 v7, 0
	s_and_b32 s7, s7, 3
	s_delay_alu instid0(SALU_CYCLE_1)
	s_cmp_eq_u32 s7, 0
	s_cbranch_scc1 .LBB119_65
.LBB119_63:
	s_lshl_b32 s2, s8, 3
	s_mul_i32 s4, s8, 12
	s_add_u32 s2, s2, s0
	s_addc_u32 s3, 0, s1
	s_add_u32 s2, s2, 0xc4
	s_addc_u32 s3, s3, 0
	;; [unrolled: 2-line block ×3, first 2 shown]
	.p2align	6
.LBB119_64:                             ; =>This Inner Loop Header: Depth=1
	s_clause 0x1
	s_load_b64 s[8:9], s[4:5], 0x4
	s_load_b32 s12, s[4:5], 0xc
	s_load_b64 s[10:11], s[2:3], 0x0
	s_add_u32 s4, s4, 12
	s_addc_u32 s5, s5, 0
	s_add_u32 s2, s2, 8
	s_addc_u32 s3, s3, 0
	s_add_i32 s7, s7, -1
	s_delay_alu instid0(SALU_CYCLE_1) | instskip(SKIP_2) | instid1(VALU_DEP_1)
	s_cmp_lg_u32 s7, 0
	s_waitcnt lgkmcnt(0)
	v_mul_hi_u32 v10, s9, v9
	v_add_nc_u32_e32 v10, v9, v10
	s_delay_alu instid0(VALU_DEP_1) | instskip(NEXT) | instid1(VALU_DEP_1)
	v_lshrrev_b32_e32 v13, s12, v10
	v_mul_lo_u32 v10, v13, s8
	s_delay_alu instid0(VALU_DEP_1) | instskip(NEXT) | instid1(VALU_DEP_1)
	v_sub_nc_u32_e32 v9, v9, v10
	v_mad_u64_u32 v[10:11], null, v9, s10, v[6:7]
	v_mad_u64_u32 v[11:12], null, v9, s11, v[7:8]
	s_delay_alu instid0(VALU_DEP_2) | instskip(NEXT) | instid1(VALU_DEP_2)
	v_dual_mov_b32 v9, v13 :: v_dual_mov_b32 v6, v10
	v_mov_b32_e32 v7, v11
	s_cbranch_scc1 .LBB119_64
.LBB119_65:
	s_and_not1_b32 vcc_lo, exec_lo, s6
	s_cbranch_vccnz .LBB119_68
; %bb.66:
	s_clause 0x1
	s_load_b128 s[4:7], s[0:1], 0x4
	s_load_b64 s[2:3], s[0:1], 0xc4
	s_cmp_lt_u32 s22, 2
	s_waitcnt lgkmcnt(0)
	v_mul_hi_u32 v6, s5, v8
	s_delay_alu instid0(VALU_DEP_1) | instskip(NEXT) | instid1(VALU_DEP_1)
	v_add_nc_u32_e32 v6, v8, v6
	v_lshrrev_b32_e32 v9, s6, v6
	s_delay_alu instid0(VALU_DEP_1) | instskip(NEXT) | instid1(VALU_DEP_1)
	v_mul_lo_u32 v6, v9, s4
	v_sub_nc_u32_e32 v7, v8, v6
	s_delay_alu instid0(VALU_DEP_1)
	v_mul_lo_u32 v6, v7, s2
	v_mul_lo_u32 v7, v7, s3
	s_cbranch_scc1 .LBB119_68
; %bb.67:
	s_clause 0x1
	s_load_b128 s[4:7], s[0:1], 0x10
	s_load_b64 s[2:3], s[0:1], 0xcc
	s_waitcnt lgkmcnt(0)
	v_mul_hi_u32 v8, s5, v9
	s_delay_alu instid0(VALU_DEP_1) | instskip(NEXT) | instid1(VALU_DEP_1)
	v_add_nc_u32_e32 v8, v9, v8
	v_lshrrev_b32_e32 v8, s6, v8
	s_delay_alu instid0(VALU_DEP_1) | instskip(NEXT) | instid1(VALU_DEP_1)
	v_mul_lo_u32 v8, v8, s4
	v_sub_nc_u32_e32 v11, v9, v8
	s_delay_alu instid0(VALU_DEP_1) | instskip(NEXT) | instid1(VALU_DEP_1)
	v_mad_u64_u32 v[8:9], null, v11, s2, v[6:7]
	v_mad_u64_u32 v[9:10], null, v11, s3, v[7:8]
	s_delay_alu instid0(VALU_DEP_1)
	v_dual_mov_b32 v6, v8 :: v_dual_mov_b32 v7, v9
.LBB119_68:
	s_load_b128 s[4:7], s[0:1], 0x148
	s_mov_b32 s3, 0x395133b1
	s_waitcnt lgkmcnt(0)
	s_clause 0x3
	global_load_b32 v1, v1, s[6:7]
	global_load_b32 v3, v3, s[6:7]
	;; [unrolled: 1-line block ×4, first 2 shown]
	s_waitcnt vmcnt(2)
	v_dual_mul_f32 v8, 0x3fb8aa3b, v1 :: v_dual_mul_f32 v9, 0x3fb8aa3b, v3
	s_waitcnt vmcnt(0)
	v_dual_mul_f32 v10, 0x3fb8aa3b, v5 :: v_dual_mul_f32 v11, 0x3fb8aa3b, v7
	s_delay_alu instid0(VALU_DEP_2) | instskip(NEXT) | instid1(VALU_DEP_3)
	v_rndne_f32_e32 v8, v8
	v_rndne_f32_e32 v9, v9
	s_delay_alu instid0(VALU_DEP_3) | instskip(NEXT) | instid1(VALU_DEP_4)
	v_rndne_f32_e32 v10, v10
	v_rndne_f32_e32 v11, v11
	s_delay_alu instid0(VALU_DEP_4) | instskip(NEXT) | instid1(VALU_DEP_4)
	v_cmp_eq_f32_e32 vcc_lo, 0x43000000, v8
	v_fmamk_f32 v14, v9, 0xbf317218, v3
	v_cvt_i32_f32_e32 v15, v9
	v_cmp_eq_f32_e64 s0, 0x43000000, v9
	v_cvt_i32_f32_e32 v19, v11
	v_cmp_eq_f32_e64 s2, 0x43000000, v11
	v_fmac_f32_e32 v14, 0x3102e308, v9
	v_cvt_i32_f32_e32 v17, v10
	v_cndmask_b32_e64 v9, v15, 0x7f, s0
	v_cmp_eq_f32_e64 s1, 0x43000000, v10
	v_cvt_i32_f32_e32 v13, v8
	v_fmaak_f32 v15, s3, v14, 0x3ab69700
	s_delay_alu instid0(VALU_DEP_4) | instskip(SKIP_1) | instid1(VALU_DEP_3)
	v_ldexp_f32 v9, 1.0, v9
	v_fmamk_f32 v12, v8, 0xbf317218, v1
	v_fmaak_f32 v15, v14, v15, 0x3c0887f9
	s_delay_alu instid0(VALU_DEP_3) | instskip(NEXT) | instid1(VALU_DEP_2)
	v_add_f32_e32 v21, -1.0, v9
	v_fmaak_f32 v15, v14, v15, 0x3d2aaa81
	s_delay_alu instid0(VALU_DEP_1) | instskip(NEXT) | instid1(VALU_DEP_1)
	v_fmaak_f32 v15, v14, v15, 0x3e2aaaab
	v_fma_f32 v15, v14, v15, 0.5
	s_delay_alu instid0(VALU_DEP_1) | instskip(NEXT) | instid1(VALU_DEP_1)
	v_dual_fmamk_f32 v18, v11, 0xbf317218, v7 :: v_dual_mul_f32 v15, v14, v15
	v_fmac_f32_e32 v18, 0x3102e308, v11
	v_cndmask_b32_e64 v11, v19, 0x7f, s2
	s_delay_alu instid0(VALU_DEP_2) | instskip(NEXT) | instid1(VALU_DEP_2)
	v_fmaak_f32 v19, s3, v18, 0x3ab69700
	v_ldexp_f32 v11, 1.0, v11
	v_fmamk_f32 v16, v10, 0xbf317218, v5
	s_delay_alu instid0(VALU_DEP_3) | instskip(NEXT) | instid1(VALU_DEP_3)
	v_fmaak_f32 v19, v18, v19, 0x3c0887f9
	v_add_f32_e32 v23, -1.0, v11
	s_delay_alu instid0(VALU_DEP_2) | instskip(NEXT) | instid1(VALU_DEP_1)
	v_fmaak_f32 v19, v18, v19, 0x3d2aaa81
	v_fmaak_f32 v19, v18, v19, 0x3e2aaaab
	s_delay_alu instid0(VALU_DEP_1) | instskip(NEXT) | instid1(VALU_DEP_1)
	v_fma_f32 v19, v18, v19, 0.5
	v_mul_f32_e32 v19, v18, v19
	v_fmac_f32_e32 v14, v14, v15
	s_delay_alu instid0(VALU_DEP_1) | instskip(SKIP_2) | instid1(VALU_DEP_3)
	v_fmac_f32_e32 v21, v9, v14
	v_fmac_f32_e32 v16, 0x3102e308, v10
	v_cndmask_b32_e64 v10, v17, 0x7f, s1
	v_dual_fmac_f32 v18, v18, v19 :: v_dual_add_f32 v9, v21, v21
	s_delay_alu instid0(VALU_DEP_3) | instskip(NEXT) | instid1(VALU_DEP_3)
	v_fmaak_f32 v17, s3, v16, 0x3ab69700
	v_ldexp_f32 v10, 1.0, v10
	s_delay_alu instid0(VALU_DEP_3) | instskip(NEXT) | instid1(VALU_DEP_2)
	v_cndmask_b32_e64 v9, v21, v9, s0
	v_dual_fmaak_f32 v17, v16, v17, 0x3c0887f9 :: v_dual_add_f32 v22, -1.0, v10
	s_delay_alu instid0(VALU_DEP_1) | instskip(NEXT) | instid1(VALU_DEP_1)
	v_fmaak_f32 v17, v16, v17, 0x3d2aaa81
	v_fmaak_f32 v17, v16, v17, 0x3e2aaaab
	s_delay_alu instid0(VALU_DEP_1) | instskip(SKIP_2) | instid1(VALU_DEP_3)
	v_fma_f32 v17, v16, v17, 0.5
	v_fmac_f32_e32 v12, 0x3102e308, v8
	v_cndmask_b32_e64 v8, v13, 0x7f, vcc_lo
	v_mul_f32_e32 v17, v16, v17
	s_delay_alu instid0(VALU_DEP_3) | instskip(NEXT) | instid1(VALU_DEP_3)
	v_fmaak_f32 v13, s3, v12, 0x3ab69700
	v_ldexp_f32 v8, 1.0, v8
	s_delay_alu instid0(VALU_DEP_3) | instskip(NEXT) | instid1(VALU_DEP_2)
	v_fmac_f32_e32 v16, v16, v17
	v_dual_fmaak_f32 v13, v12, v13, 0x3c0887f9 :: v_dual_add_f32 v20, -1.0, v8
	s_delay_alu instid0(VALU_DEP_1) | instskip(NEXT) | instid1(VALU_DEP_1)
	v_dual_fmac_f32 v22, v10, v16 :: v_dual_fmaak_f32 v13, v12, v13, 0x3d2aaa81
	v_dual_add_f32 v10, v22, v22 :: v_dual_fmaak_f32 v13, v12, v13, 0x3e2aaaab
	s_delay_alu instid0(VALU_DEP_1) | instskip(NEXT) | instid1(VALU_DEP_2)
	v_cndmask_b32_e64 v10, v22, v10, s1
	v_fma_f32 v13, v12, v13, 0.5
	s_delay_alu instid0(VALU_DEP_1) | instskip(NEXT) | instid1(VALU_DEP_1)
	v_mul_f32_e32 v13, v12, v13
	v_fmac_f32_e32 v12, v12, v13
	s_delay_alu instid0(VALU_DEP_1) | instskip(NEXT) | instid1(VALU_DEP_1)
	v_fmac_f32_e32 v20, v8, v12
	v_add_f32_e32 v8, v20, v20
	s_delay_alu instid0(VALU_DEP_1) | instskip(SKIP_1) | instid1(VALU_DEP_2)
	v_cndmask_b32_e32 v8, v20, v8, vcc_lo
	v_cmp_nlt_f32_e32 vcc_lo, 0x42b17217, v1
	v_dual_fmac_f32 v23, v11, v18 :: v_dual_cndmask_b32 v8, 0x7f800000, v8
	v_cmp_nlt_f32_e32 vcc_lo, 0x42b17217, v3
	v_cndmask_b32_e32 v9, 0x7f800000, v9, vcc_lo
	v_cmp_nlt_f32_e32 vcc_lo, 0x42b17217, v5
	s_delay_alu instid0(VALU_DEP_4) | instskip(NEXT) | instid1(VALU_DEP_1)
	v_dual_add_f32 v11, v23, v23 :: v_dual_cndmask_b32 v10, 0x7f800000, v10
	v_cndmask_b32_e64 v11, v23, v11, s2
	v_cmp_nlt_f32_e32 vcc_lo, 0x42b17217, v7
	s_delay_alu instid0(VALU_DEP_2)
	v_cndmask_b32_e32 v11, 0x7f800000, v11, vcc_lo
	v_cmp_ngt_f32_e32 vcc_lo, 0xc1880000, v1
	v_cndmask_b32_e32 v1, -1.0, v8, vcc_lo
	v_cmp_ngt_f32_e32 vcc_lo, 0xc1880000, v3
	v_cndmask_b32_e32 v3, -1.0, v9, vcc_lo
	;; [unrolled: 2-line block ×4, first 2 shown]
	s_clause 0x3
	global_store_b32 v0, v1, s[4:5]
	global_store_b32 v2, v3, s[4:5]
	;; [unrolled: 1-line block ×4, first 2 shown]
	s_nop 0
	s_sendmsg sendmsg(MSG_DEALLOC_VGPRS)
	s_endpgm
.LBB119_69:
	v_dual_mov_b32 v2, v4 :: v_dual_mov_b32 v1, 0
.LBB119_70:
	s_and_b32 s34, s34, 3
	s_delay_alu instid0(SALU_CYCLE_1)
	s_cmp_eq_u32 s34, 0
	s_cbranch_scc1 .LBB119_73
; %bb.71:
	s_lshl_b32 s18, s33, 3
	s_mul_i32 s20, s33, 12
	s_add_u32 s18, s18, s0
	s_addc_u32 s19, s1, 0
	s_add_u32 s18, s18, 0xc4
	s_addc_u32 s19, s19, 0
	;; [unrolled: 2-line block ×3, first 2 shown]
	.p2align	6
.LBB119_72:                             ; =>This Inner Loop Header: Depth=1
	s_clause 0x1
	s_load_b64 s[36:37], s[20:21], 0x4
	s_load_b32 s33, s[20:21], 0xc
	s_load_b64 s[38:39], s[18:19], 0x0
	s_add_u32 s20, s20, 12
	s_addc_u32 s21, s21, 0
	s_add_u32 s18, s18, 8
	s_addc_u32 s19, s19, 0
	s_add_i32 s34, s34, -1
	s_delay_alu instid0(SALU_CYCLE_1) | instskip(SKIP_2) | instid1(VALU_DEP_1)
	s_cmp_lg_u32 s34, 0
	s_waitcnt lgkmcnt(0)
	v_mul_hi_u32 v3, s37, v2
	v_add_nc_u32_e32 v3, v2, v3
	s_delay_alu instid0(VALU_DEP_1) | instskip(NEXT) | instid1(VALU_DEP_1)
	v_lshrrev_b32_e32 v3, s33, v3
	v_mul_lo_u32 v5, v3, s36
	s_delay_alu instid0(VALU_DEP_1) | instskip(NEXT) | instid1(VALU_DEP_1)
	v_sub_nc_u32_e32 v2, v2, v5
	v_mad_u64_u32 v[5:6], null, v2, s38, v[0:1]
	v_mad_u64_u32 v[6:7], null, v2, s39, v[1:2]
	v_mov_b32_e32 v2, v3
	s_delay_alu instid0(VALU_DEP_2)
	v_dual_mov_b32 v0, v5 :: v_dual_mov_b32 v1, v6
	s_cbranch_scc1 .LBB119_72
.LBB119_73:
	s_and_not1_b32 vcc_lo, exec_lo, s31
	s_cbranch_vccnz .LBB119_76
; %bb.74:
	s_waitcnt lgkmcnt(0)
	v_mul_hi_u32 v0, s13, v4
	s_and_not1_b32 vcc_lo, exec_lo, s26
	s_delay_alu instid0(VALU_DEP_1) | instskip(NEXT) | instid1(VALU_DEP_1)
	v_add_nc_u32_e32 v0, v4, v0
	v_lshrrev_b32_e32 v2, s14, v0
	s_delay_alu instid0(VALU_DEP_1) | instskip(NEXT) | instid1(VALU_DEP_1)
	v_mul_lo_u32 v0, v2, s12
	v_sub_nc_u32_e32 v1, v4, v0
	s_delay_alu instid0(VALU_DEP_1)
	v_mul_lo_u32 v0, v1, s8
	v_mul_lo_u32 v1, v1, s9
	s_cbranch_vccnz .LBB119_76
; %bb.75:
	v_mul_hi_u32 v3, s2, v2
	s_delay_alu instid0(VALU_DEP_1) | instskip(NEXT) | instid1(VALU_DEP_1)
	v_add_nc_u32_e32 v3, v2, v3
	v_lshrrev_b32_e32 v3, s3, v3
	s_delay_alu instid0(VALU_DEP_1) | instskip(NEXT) | instid1(VALU_DEP_1)
	v_mul_lo_u32 v3, v3, s15
	v_sub_nc_u32_e32 v7, v2, v3
	s_delay_alu instid0(VALU_DEP_1) | instskip(NEXT) | instid1(VALU_DEP_1)
	v_mad_u64_u32 v[2:3], null, v7, s10, v[0:1]
	v_mad_u64_u32 v[5:6], null, v7, s11, v[1:2]
	s_delay_alu instid0(VALU_DEP_1)
	v_dual_mov_b32 v0, v2 :: v_dual_mov_b32 v1, v5
.LBB119_76:
	s_waitcnt lgkmcnt(0)
	global_load_b32 v1, v1, s[6:7]
	s_mov_b32 s18, 0x395133b1
	v_add_nc_u32_e32 v4, 0x80, v4
	s_waitcnt vmcnt(0)
	v_mul_f32_e32 v2, 0x3fb8aa3b, v1
	s_delay_alu instid0(VALU_DEP_1) | instskip(NEXT) | instid1(VALU_DEP_1)
	v_rndne_f32_e32 v2, v2
	v_fmamk_f32 v3, v2, 0xbf317218, v1
	v_cmp_eq_f32_e32 vcc_lo, 0x43000000, v2
	v_cvt_i32_f32_e32 v6, v2
	s_delay_alu instid0(VALU_DEP_3) | instskip(NEXT) | instid1(VALU_DEP_2)
	v_fmamk_f32 v3, v2, 0x3102e308, v3
	v_cndmask_b32_e64 v2, v6, 0x7f, vcc_lo
	s_delay_alu instid0(VALU_DEP_2) | instskip(NEXT) | instid1(VALU_DEP_2)
	v_fmaak_f32 v5, s18, v3, 0x3ab69700
	v_ldexp_f32 v2, 1.0, v2
	s_delay_alu instid0(VALU_DEP_2) | instskip(NEXT) | instid1(VALU_DEP_1)
	v_fmaak_f32 v5, v3, v5, 0x3c0887f9
	v_fmaak_f32 v5, v3, v5, 0x3d2aaa81
	s_delay_alu instid0(VALU_DEP_1) | instskip(NEXT) | instid1(VALU_DEP_1)
	v_fmaak_f32 v5, v3, v5, 0x3e2aaaab
	v_fma_f32 v5, v3, v5, 0.5
	s_delay_alu instid0(VALU_DEP_1) | instskip(NEXT) | instid1(VALU_DEP_1)
	v_mul_f32_e32 v5, v3, v5
	v_fmac_f32_e32 v3, v3, v5
	v_add_f32_e32 v5, -1.0, v2
	s_delay_alu instid0(VALU_DEP_1) | instskip(NEXT) | instid1(VALU_DEP_1)
	v_fmac_f32_e32 v5, v2, v3
	v_add_f32_e32 v2, v5, v5
	s_delay_alu instid0(VALU_DEP_1) | instskip(SKIP_1) | instid1(VALU_DEP_2)
	v_cndmask_b32_e32 v2, v5, v2, vcc_lo
	v_cmp_nlt_f32_e32 vcc_lo, 0x42b17217, v1
	v_cndmask_b32_e32 v2, 0x7f800000, v2, vcc_lo
	v_cmp_ngt_f32_e32 vcc_lo, 0xc1880000, v1
	s_delay_alu instid0(VALU_DEP_2) | instskip(SKIP_2) | instid1(SALU_CYCLE_1)
	v_cndmask_b32_e32 v1, -1.0, v2, vcc_lo
	global_store_b32 v0, v1, s[4:5]
	s_or_b32 exec_lo, exec_lo, s30
	s_mov_b32 s30, exec_lo
	v_cmpx_gt_i32_e64 s27, v4
	s_cbranch_execnz .LBB119_15
.LBB119_77:
	s_or_b32 exec_lo, exec_lo, s30
	s_delay_alu instid0(SALU_CYCLE_1)
	s_mov_b32 s30, exec_lo
	v_cmpx_gt_i32_e64 s27, v4
	s_cbranch_execz .LBB119_92
.LBB119_78:
	s_and_not1_b32 vcc_lo, exec_lo, s24
	s_cbranch_vccnz .LBB119_83
; %bb.79:
	v_dual_mov_b32 v0, 0 :: v_dual_mov_b32 v1, 0
	s_and_not1_b32 vcc_lo, exec_lo, s29
	s_mov_b32 s31, 0
	s_cbranch_vccnz .LBB119_99
; %bb.80:
	v_mov_b32_e32 v0, 0
	s_add_i32 s34, s28, 1
	s_cmp_eq_u32 s23, 2
	s_mov_b32 s33, 0
	s_cbranch_scc1 .LBB119_95
; %bb.81:
	v_dual_mov_b32 v1, 0 :: v_dual_mov_b32 v0, 0
	v_mov_b32_e32 v2, v4
	s_and_b32 s33, s34, 28
	s_mov_b32 s35, 0
	s_mov_b64 s[18:19], s[16:17]
	s_mov_b64 s[20:21], s[0:1]
.LBB119_82:                             ; =>This Inner Loop Header: Depth=1
	s_clause 0x1
	s_load_b256 s[36:43], s[20:21], 0x4
	s_load_b128 s[52:55], s[20:21], 0x24
	s_load_b256 s[44:51], s[18:19], 0x0
	s_add_u32 s20, s20, 48
	s_addc_u32 s21, s21, 0
	s_add_i32 s35, s35, 4
	s_add_u32 s18, s18, 32
	s_addc_u32 s19, s19, 0
	s_cmp_eq_u32 s33, s35
	s_waitcnt lgkmcnt(0)
	v_mul_hi_u32 v3, s37, v2
	s_delay_alu instid0(VALU_DEP_1) | instskip(NEXT) | instid1(VALU_DEP_1)
	v_add_nc_u32_e32 v3, v2, v3
	v_lshrrev_b32_e32 v3, s38, v3
	s_delay_alu instid0(VALU_DEP_1) | instskip(SKIP_1) | instid1(VALU_DEP_2)
	v_mul_hi_u32 v5, s40, v3
	v_mul_lo_u32 v7, v3, s36
	v_add_nc_u32_e32 v5, v3, v5
	s_delay_alu instid0(VALU_DEP_2) | instskip(NEXT) | instid1(VALU_DEP_2)
	v_sub_nc_u32_e32 v2, v2, v7
	v_lshrrev_b32_e32 v5, s41, v5
	s_delay_alu instid0(VALU_DEP_2) | instskip(SKIP_1) | instid1(VALU_DEP_3)
	v_mul_lo_u32 v7, v2, s44
	v_mul_lo_u32 v9, v2, s45
	v_mul_hi_u32 v6, s43, v5
	s_delay_alu instid0(VALU_DEP_1) | instskip(NEXT) | instid1(VALU_DEP_1)
	v_add_nc_u32_e32 v6, v5, v6
	v_lshrrev_b32_e32 v6, s52, v6
	s_delay_alu instid0(VALU_DEP_1) | instskip(SKIP_1) | instid1(VALU_DEP_2)
	v_mul_hi_u32 v8, s54, v6
	v_mul_lo_u32 v10, v6, s42
	v_add_nc_u32_e32 v2, v6, v8
	v_mul_lo_u32 v8, v5, s39
	s_delay_alu instid0(VALU_DEP_3) | instskip(NEXT) | instid1(VALU_DEP_3)
	v_sub_nc_u32_e32 v5, v5, v10
	v_lshrrev_b32_e32 v2, s55, v2
	s_delay_alu instid0(VALU_DEP_2) | instskip(SKIP_2) | instid1(VALU_DEP_4)
	v_mul_lo_u32 v10, v5, s48
	v_mul_lo_u32 v5, v5, s49
	v_sub_nc_u32_e32 v3, v3, v8
	v_mul_lo_u32 v11, v2, s53
	s_delay_alu instid0(VALU_DEP_2) | instskip(SKIP_1) | instid1(VALU_DEP_3)
	v_mul_lo_u32 v8, v3, s46
	v_mul_lo_u32 v3, v3, s47
	v_sub_nc_u32_e32 v6, v6, v11
	s_delay_alu instid0(VALU_DEP_3) | instskip(NEXT) | instid1(VALU_DEP_2)
	v_add3_u32 v0, v7, v0, v8
	v_mul_lo_u32 v11, v6, s50
	v_mul_lo_u32 v6, v6, s51
	v_add3_u32 v1, v9, v1, v3
	s_delay_alu instid0(VALU_DEP_3) | instskip(NEXT) | instid1(VALU_DEP_2)
	v_add3_u32 v0, v10, v0, v11
	v_add3_u32 v1, v5, v1, v6
	s_cbranch_scc0 .LBB119_82
	s_branch .LBB119_96
.LBB119_83:
	s_mov_b32 s31, -1
                                        ; implicit-def: $vgpr0
                                        ; implicit-def: $vgpr1
	s_branch .LBB119_99
.LBB119_84:
	v_dual_mov_b32 v2, v4 :: v_dual_mov_b32 v1, 0
.LBB119_85:
	s_and_b32 s34, s34, 3
	s_delay_alu instid0(SALU_CYCLE_1)
	s_cmp_eq_u32 s34, 0
	s_cbranch_scc1 .LBB119_88
; %bb.86:
	s_lshl_b32 s18, s33, 3
	s_mul_i32 s20, s33, 12
	s_add_u32 s18, s18, s0
	s_addc_u32 s19, s1, 0
	s_add_u32 s18, s18, 0xc4
	s_addc_u32 s19, s19, 0
	s_add_u32 s20, s0, s20
	s_addc_u32 s21, s1, 0
	.p2align	6
.LBB119_87:                             ; =>This Inner Loop Header: Depth=1
	s_clause 0x1
	s_load_b64 s[36:37], s[20:21], 0x4
	s_load_b32 s33, s[20:21], 0xc
	s_load_b64 s[38:39], s[18:19], 0x0
	s_add_u32 s20, s20, 12
	s_addc_u32 s21, s21, 0
	s_add_u32 s18, s18, 8
	s_addc_u32 s19, s19, 0
	s_add_i32 s34, s34, -1
	s_delay_alu instid0(SALU_CYCLE_1) | instskip(SKIP_2) | instid1(VALU_DEP_1)
	s_cmp_lg_u32 s34, 0
	s_waitcnt lgkmcnt(0)
	v_mul_hi_u32 v3, s37, v2
	v_add_nc_u32_e32 v3, v2, v3
	s_delay_alu instid0(VALU_DEP_1) | instskip(NEXT) | instid1(VALU_DEP_1)
	v_lshrrev_b32_e32 v3, s33, v3
	v_mul_lo_u32 v5, v3, s36
	s_delay_alu instid0(VALU_DEP_1) | instskip(NEXT) | instid1(VALU_DEP_1)
	v_sub_nc_u32_e32 v2, v2, v5
	v_mad_u64_u32 v[5:6], null, v2, s38, v[0:1]
	v_mad_u64_u32 v[6:7], null, v2, s39, v[1:2]
	v_mov_b32_e32 v2, v3
	s_delay_alu instid0(VALU_DEP_2)
	v_dual_mov_b32 v0, v5 :: v_dual_mov_b32 v1, v6
	s_cbranch_scc1 .LBB119_87
.LBB119_88:
	s_and_not1_b32 vcc_lo, exec_lo, s31
	s_cbranch_vccnz .LBB119_91
; %bb.89:
	s_waitcnt lgkmcnt(0)
	v_mul_hi_u32 v0, s13, v4
	s_and_not1_b32 vcc_lo, exec_lo, s26
	s_delay_alu instid0(VALU_DEP_1) | instskip(NEXT) | instid1(VALU_DEP_1)
	v_add_nc_u32_e32 v0, v4, v0
	v_lshrrev_b32_e32 v2, s14, v0
	s_delay_alu instid0(VALU_DEP_1) | instskip(NEXT) | instid1(VALU_DEP_1)
	v_mul_lo_u32 v0, v2, s12
	v_sub_nc_u32_e32 v1, v4, v0
	s_delay_alu instid0(VALU_DEP_1)
	v_mul_lo_u32 v0, v1, s8
	v_mul_lo_u32 v1, v1, s9
	s_cbranch_vccnz .LBB119_91
; %bb.90:
	v_mul_hi_u32 v3, s2, v2
	s_delay_alu instid0(VALU_DEP_1) | instskip(NEXT) | instid1(VALU_DEP_1)
	v_add_nc_u32_e32 v3, v2, v3
	v_lshrrev_b32_e32 v3, s3, v3
	s_delay_alu instid0(VALU_DEP_1) | instskip(NEXT) | instid1(VALU_DEP_1)
	v_mul_lo_u32 v3, v3, s15
	v_sub_nc_u32_e32 v7, v2, v3
	s_delay_alu instid0(VALU_DEP_1) | instskip(NEXT) | instid1(VALU_DEP_1)
	v_mad_u64_u32 v[2:3], null, v7, s10, v[0:1]
	v_mad_u64_u32 v[5:6], null, v7, s11, v[1:2]
	s_delay_alu instid0(VALU_DEP_1)
	v_dual_mov_b32 v0, v2 :: v_dual_mov_b32 v1, v5
.LBB119_91:
	s_waitcnt lgkmcnt(0)
	global_load_b32 v1, v1, s[6:7]
	s_mov_b32 s18, 0x395133b1
	v_add_nc_u32_e32 v4, 0x80, v4
	s_waitcnt vmcnt(0)
	v_mul_f32_e32 v2, 0x3fb8aa3b, v1
	s_delay_alu instid0(VALU_DEP_1) | instskip(NEXT) | instid1(VALU_DEP_1)
	v_rndne_f32_e32 v2, v2
	v_fmamk_f32 v3, v2, 0xbf317218, v1
	v_cmp_eq_f32_e32 vcc_lo, 0x43000000, v2
	v_cvt_i32_f32_e32 v6, v2
	s_delay_alu instid0(VALU_DEP_3) | instskip(NEXT) | instid1(VALU_DEP_2)
	v_fmamk_f32 v3, v2, 0x3102e308, v3
	v_cndmask_b32_e64 v2, v6, 0x7f, vcc_lo
	s_delay_alu instid0(VALU_DEP_2) | instskip(NEXT) | instid1(VALU_DEP_2)
	v_fmaak_f32 v5, s18, v3, 0x3ab69700
	v_ldexp_f32 v2, 1.0, v2
	s_delay_alu instid0(VALU_DEP_2) | instskip(NEXT) | instid1(VALU_DEP_1)
	v_fmaak_f32 v5, v3, v5, 0x3c0887f9
	v_fmaak_f32 v5, v3, v5, 0x3d2aaa81
	s_delay_alu instid0(VALU_DEP_1) | instskip(NEXT) | instid1(VALU_DEP_1)
	v_fmaak_f32 v5, v3, v5, 0x3e2aaaab
	v_fma_f32 v5, v3, v5, 0.5
	s_delay_alu instid0(VALU_DEP_1) | instskip(NEXT) | instid1(VALU_DEP_1)
	v_mul_f32_e32 v5, v3, v5
	v_fmac_f32_e32 v3, v3, v5
	v_add_f32_e32 v5, -1.0, v2
	s_delay_alu instid0(VALU_DEP_1) | instskip(NEXT) | instid1(VALU_DEP_1)
	v_fmac_f32_e32 v5, v2, v3
	v_add_f32_e32 v2, v5, v5
	s_delay_alu instid0(VALU_DEP_1) | instskip(SKIP_1) | instid1(VALU_DEP_2)
	v_cndmask_b32_e32 v2, v5, v2, vcc_lo
	v_cmp_nlt_f32_e32 vcc_lo, 0x42b17217, v1
	v_cndmask_b32_e32 v2, 0x7f800000, v2, vcc_lo
	v_cmp_ngt_f32_e32 vcc_lo, 0xc1880000, v1
	s_delay_alu instid0(VALU_DEP_2) | instskip(SKIP_2) | instid1(SALU_CYCLE_1)
	v_cndmask_b32_e32 v1, -1.0, v2, vcc_lo
	global_store_b32 v0, v1, s[4:5]
	s_or_b32 exec_lo, exec_lo, s30
	s_mov_b32 s30, exec_lo
	v_cmpx_gt_i32_e64 s27, v4
	s_cbranch_execnz .LBB119_78
.LBB119_92:
	s_or_b32 exec_lo, exec_lo, s30
	s_delay_alu instid0(SALU_CYCLE_1)
	s_mov_b32 s20, exec_lo
	v_cmpx_gt_i32_e64 s27, v4
	s_cbranch_execnz .LBB119_103
.LBB119_93:
	s_or_b32 exec_lo, exec_lo, s20
                                        ; implicit-def: $vgpr8
                                        ; implicit-def: $vgpr4
	s_waitcnt lgkmcnt(0)
	s_and_not1_saveexec_b32 s2, s25
	s_cbranch_execnz .LBB119_8
.LBB119_94:
	s_nop 0
	s_sendmsg sendmsg(MSG_DEALLOC_VGPRS)
	s_endpgm
.LBB119_95:
	v_dual_mov_b32 v2, v4 :: v_dual_mov_b32 v1, 0
.LBB119_96:
	s_and_b32 s34, s34, 3
	s_delay_alu instid0(SALU_CYCLE_1)
	s_cmp_eq_u32 s34, 0
	s_cbranch_scc1 .LBB119_99
; %bb.97:
	s_lshl_b32 s18, s33, 3
	s_mul_i32 s20, s33, 12
	s_add_u32 s18, s18, s0
	s_addc_u32 s19, s1, 0
	s_add_u32 s18, s18, 0xc4
	s_addc_u32 s19, s19, 0
	;; [unrolled: 2-line block ×3, first 2 shown]
	.p2align	6
.LBB119_98:                             ; =>This Inner Loop Header: Depth=1
	s_clause 0x1
	s_load_b64 s[36:37], s[20:21], 0x4
	s_load_b32 s33, s[20:21], 0xc
	s_load_b64 s[38:39], s[18:19], 0x0
	s_add_u32 s20, s20, 12
	s_addc_u32 s21, s21, 0
	s_add_u32 s18, s18, 8
	s_addc_u32 s19, s19, 0
	s_add_i32 s34, s34, -1
	s_delay_alu instid0(SALU_CYCLE_1) | instskip(SKIP_2) | instid1(VALU_DEP_1)
	s_cmp_lg_u32 s34, 0
	s_waitcnt lgkmcnt(0)
	v_mul_hi_u32 v3, s37, v2
	v_add_nc_u32_e32 v3, v2, v3
	s_delay_alu instid0(VALU_DEP_1) | instskip(NEXT) | instid1(VALU_DEP_1)
	v_lshrrev_b32_e32 v3, s33, v3
	v_mul_lo_u32 v5, v3, s36
	s_delay_alu instid0(VALU_DEP_1) | instskip(NEXT) | instid1(VALU_DEP_1)
	v_sub_nc_u32_e32 v2, v2, v5
	v_mad_u64_u32 v[5:6], null, v2, s38, v[0:1]
	v_mad_u64_u32 v[6:7], null, v2, s39, v[1:2]
	v_mov_b32_e32 v2, v3
	s_delay_alu instid0(VALU_DEP_2)
	v_dual_mov_b32 v0, v5 :: v_dual_mov_b32 v1, v6
	s_cbranch_scc1 .LBB119_98
.LBB119_99:
	s_and_not1_b32 vcc_lo, exec_lo, s31
	s_cbranch_vccnz .LBB119_102
; %bb.100:
	s_waitcnt lgkmcnt(0)
	v_mul_hi_u32 v0, s13, v4
	s_and_not1_b32 vcc_lo, exec_lo, s26
	s_delay_alu instid0(VALU_DEP_1) | instskip(NEXT) | instid1(VALU_DEP_1)
	v_add_nc_u32_e32 v0, v4, v0
	v_lshrrev_b32_e32 v2, s14, v0
	s_delay_alu instid0(VALU_DEP_1) | instskip(NEXT) | instid1(VALU_DEP_1)
	v_mul_lo_u32 v0, v2, s12
	v_sub_nc_u32_e32 v1, v4, v0
	s_delay_alu instid0(VALU_DEP_1)
	v_mul_lo_u32 v0, v1, s8
	v_mul_lo_u32 v1, v1, s9
	s_cbranch_vccnz .LBB119_102
; %bb.101:
	v_mul_hi_u32 v3, s2, v2
	s_delay_alu instid0(VALU_DEP_1) | instskip(NEXT) | instid1(VALU_DEP_1)
	v_add_nc_u32_e32 v3, v2, v3
	v_lshrrev_b32_e32 v3, s3, v3
	s_delay_alu instid0(VALU_DEP_1) | instskip(NEXT) | instid1(VALU_DEP_1)
	v_mul_lo_u32 v3, v3, s15
	v_sub_nc_u32_e32 v7, v2, v3
	s_delay_alu instid0(VALU_DEP_1) | instskip(NEXT) | instid1(VALU_DEP_1)
	v_mad_u64_u32 v[2:3], null, v7, s10, v[0:1]
	v_mad_u64_u32 v[5:6], null, v7, s11, v[1:2]
	s_delay_alu instid0(VALU_DEP_1)
	v_dual_mov_b32 v0, v2 :: v_dual_mov_b32 v1, v5
.LBB119_102:
	s_waitcnt lgkmcnt(0)
	global_load_b32 v1, v1, s[6:7]
	s_mov_b32 s18, 0x395133b1
	v_add_nc_u32_e32 v4, 0x80, v4
	s_waitcnt vmcnt(0)
	v_mul_f32_e32 v2, 0x3fb8aa3b, v1
	s_delay_alu instid0(VALU_DEP_1) | instskip(NEXT) | instid1(VALU_DEP_1)
	v_rndne_f32_e32 v2, v2
	v_fmamk_f32 v3, v2, 0xbf317218, v1
	v_cmp_eq_f32_e32 vcc_lo, 0x43000000, v2
	v_cvt_i32_f32_e32 v6, v2
	s_delay_alu instid0(VALU_DEP_3) | instskip(NEXT) | instid1(VALU_DEP_2)
	v_fmamk_f32 v3, v2, 0x3102e308, v3
	v_cndmask_b32_e64 v2, v6, 0x7f, vcc_lo
	s_delay_alu instid0(VALU_DEP_2) | instskip(NEXT) | instid1(VALU_DEP_2)
	v_fmaak_f32 v5, s18, v3, 0x3ab69700
	v_ldexp_f32 v2, 1.0, v2
	s_delay_alu instid0(VALU_DEP_2) | instskip(NEXT) | instid1(VALU_DEP_1)
	v_fmaak_f32 v5, v3, v5, 0x3c0887f9
	v_fmaak_f32 v5, v3, v5, 0x3d2aaa81
	s_delay_alu instid0(VALU_DEP_1) | instskip(NEXT) | instid1(VALU_DEP_1)
	v_fmaak_f32 v5, v3, v5, 0x3e2aaaab
	v_fma_f32 v5, v3, v5, 0.5
	s_delay_alu instid0(VALU_DEP_1) | instskip(NEXT) | instid1(VALU_DEP_1)
	v_mul_f32_e32 v5, v3, v5
	v_fmac_f32_e32 v3, v3, v5
	v_add_f32_e32 v5, -1.0, v2
	s_delay_alu instid0(VALU_DEP_1) | instskip(NEXT) | instid1(VALU_DEP_1)
	v_fmac_f32_e32 v5, v2, v3
	v_add_f32_e32 v2, v5, v5
	s_delay_alu instid0(VALU_DEP_1) | instskip(SKIP_1) | instid1(VALU_DEP_2)
	v_cndmask_b32_e32 v2, v5, v2, vcc_lo
	v_cmp_nlt_f32_e32 vcc_lo, 0x42b17217, v1
	v_cndmask_b32_e32 v2, 0x7f800000, v2, vcc_lo
	v_cmp_ngt_f32_e32 vcc_lo, 0xc1880000, v1
	s_delay_alu instid0(VALU_DEP_2) | instskip(SKIP_2) | instid1(SALU_CYCLE_1)
	v_cndmask_b32_e32 v1, -1.0, v2, vcc_lo
	global_store_b32 v0, v1, s[4:5]
	s_or_b32 exec_lo, exec_lo, s30
	s_mov_b32 s20, exec_lo
	v_cmpx_gt_i32_e64 s27, v4
	s_cbranch_execz .LBB119_93
.LBB119_103:
	s_and_not1_b32 vcc_lo, exec_lo, s24
	s_cbranch_vccnz .LBB119_108
; %bb.104:
	v_dual_mov_b32 v0, 0 :: v_dual_mov_b32 v1, 0
	s_and_not1_b32 vcc_lo, exec_lo, s29
	s_mov_b32 s21, 0
	s_cbranch_vccnz .LBB119_113
; %bb.105:
	v_mov_b32_e32 v0, 0
	s_add_i32 s28, s28, 1
	s_cmp_eq_u32 s23, 2
	s_mov_b32 s27, 0
	s_cbranch_scc1 .LBB119_109
; %bb.106:
	v_dual_mov_b32 v1, 0 :: v_dual_mov_b32 v0, 0
	v_mov_b32_e32 v2, v4
	s_and_b32 s27, s28, 28
	s_mov_b32 s29, 0
	s_mov_b64 s[18:19], s[0:1]
.LBB119_107:                            ; =>This Inner Loop Header: Depth=1
	s_clause 0x1
	s_load_b256 s[36:43], s[18:19], 0x4
	s_load_b128 s[52:55], s[18:19], 0x24
	s_load_b256 s[44:51], s[16:17], 0x0
	s_add_u32 s18, s18, 48
	s_addc_u32 s19, s19, 0
	s_add_i32 s29, s29, 4
	s_add_u32 s16, s16, 32
	s_addc_u32 s17, s17, 0
	s_cmp_eq_u32 s27, s29
	s_waitcnt lgkmcnt(0)
	v_mul_hi_u32 v3, s37, v2
	s_delay_alu instid0(VALU_DEP_1) | instskip(NEXT) | instid1(VALU_DEP_1)
	v_add_nc_u32_e32 v3, v2, v3
	v_lshrrev_b32_e32 v3, s38, v3
	s_delay_alu instid0(VALU_DEP_1) | instskip(SKIP_1) | instid1(VALU_DEP_2)
	v_mul_hi_u32 v5, s40, v3
	v_mul_lo_u32 v7, v3, s36
	v_add_nc_u32_e32 v5, v3, v5
	s_delay_alu instid0(VALU_DEP_2) | instskip(NEXT) | instid1(VALU_DEP_2)
	v_sub_nc_u32_e32 v2, v2, v7
	v_lshrrev_b32_e32 v5, s41, v5
	s_delay_alu instid0(VALU_DEP_2) | instskip(SKIP_1) | instid1(VALU_DEP_3)
	v_mul_lo_u32 v7, v2, s44
	v_mul_lo_u32 v9, v2, s45
	v_mul_hi_u32 v6, s43, v5
	s_delay_alu instid0(VALU_DEP_1) | instskip(NEXT) | instid1(VALU_DEP_1)
	v_add_nc_u32_e32 v6, v5, v6
	v_lshrrev_b32_e32 v6, s52, v6
	s_delay_alu instid0(VALU_DEP_1) | instskip(SKIP_1) | instid1(VALU_DEP_2)
	v_mul_hi_u32 v8, s54, v6
	v_mul_lo_u32 v10, v6, s42
	v_add_nc_u32_e32 v2, v6, v8
	v_mul_lo_u32 v8, v5, s39
	s_delay_alu instid0(VALU_DEP_3) | instskip(NEXT) | instid1(VALU_DEP_3)
	v_sub_nc_u32_e32 v5, v5, v10
	v_lshrrev_b32_e32 v2, s55, v2
	s_delay_alu instid0(VALU_DEP_2) | instskip(SKIP_2) | instid1(VALU_DEP_4)
	v_mul_lo_u32 v10, v5, s48
	v_mul_lo_u32 v5, v5, s49
	v_sub_nc_u32_e32 v3, v3, v8
	v_mul_lo_u32 v11, v2, s53
	s_delay_alu instid0(VALU_DEP_2) | instskip(SKIP_1) | instid1(VALU_DEP_3)
	v_mul_lo_u32 v8, v3, s46
	v_mul_lo_u32 v3, v3, s47
	v_sub_nc_u32_e32 v6, v6, v11
	s_delay_alu instid0(VALU_DEP_3) | instskip(NEXT) | instid1(VALU_DEP_2)
	v_add3_u32 v0, v7, v0, v8
	v_mul_lo_u32 v11, v6, s50
	v_mul_lo_u32 v6, v6, s51
	v_add3_u32 v1, v9, v1, v3
	s_delay_alu instid0(VALU_DEP_3) | instskip(NEXT) | instid1(VALU_DEP_2)
	v_add3_u32 v0, v10, v0, v11
	v_add3_u32 v1, v5, v1, v6
	s_cbranch_scc0 .LBB119_107
	s_branch .LBB119_110
.LBB119_108:
	s_mov_b32 s21, -1
                                        ; implicit-def: $vgpr0
                                        ; implicit-def: $vgpr1
	s_branch .LBB119_113
.LBB119_109:
	v_dual_mov_b32 v2, v4 :: v_dual_mov_b32 v1, 0
.LBB119_110:
	s_and_b32 s28, s28, 3
	s_delay_alu instid0(SALU_CYCLE_1)
	s_cmp_eq_u32 s28, 0
	s_cbranch_scc1 .LBB119_113
; %bb.111:
	s_lshl_b32 s16, s27, 3
	s_mul_i32 s18, s27, 12
	s_add_u32 s16, s16, s0
	s_addc_u32 s17, s1, 0
	s_add_u32 s16, s16, 0xc4
	s_addc_u32 s17, s17, 0
	;; [unrolled: 2-line block ×3, first 2 shown]
	.p2align	6
.LBB119_112:                            ; =>This Inner Loop Header: Depth=1
	s_clause 0x1
	s_load_b64 s[30:31], s[18:19], 0x4
	s_load_b32 s27, s[18:19], 0xc
	s_load_b64 s[34:35], s[16:17], 0x0
	s_add_u32 s18, s18, 12
	s_addc_u32 s19, s19, 0
	s_add_u32 s16, s16, 8
	s_addc_u32 s17, s17, 0
	s_add_i32 s28, s28, -1
	s_delay_alu instid0(SALU_CYCLE_1) | instskip(SKIP_2) | instid1(VALU_DEP_1)
	s_cmp_lg_u32 s28, 0
	s_waitcnt lgkmcnt(0)
	v_mul_hi_u32 v3, s31, v2
	v_add_nc_u32_e32 v3, v2, v3
	s_delay_alu instid0(VALU_DEP_1) | instskip(NEXT) | instid1(VALU_DEP_1)
	v_lshrrev_b32_e32 v3, s27, v3
	v_mul_lo_u32 v5, v3, s30
	s_delay_alu instid0(VALU_DEP_1) | instskip(NEXT) | instid1(VALU_DEP_1)
	v_sub_nc_u32_e32 v2, v2, v5
	v_mad_u64_u32 v[5:6], null, v2, s34, v[0:1]
	v_mad_u64_u32 v[6:7], null, v2, s35, v[1:2]
	v_mov_b32_e32 v2, v3
	s_delay_alu instid0(VALU_DEP_2)
	v_dual_mov_b32 v0, v5 :: v_dual_mov_b32 v1, v6
	s_cbranch_scc1 .LBB119_112
.LBB119_113:
	s_and_not1_b32 vcc_lo, exec_lo, s21
	s_cbranch_vccnz .LBB119_116
; %bb.114:
	s_waitcnt lgkmcnt(0)
	v_mul_hi_u32 v0, s13, v4
	s_and_not1_b32 vcc_lo, exec_lo, s26
	s_delay_alu instid0(VALU_DEP_1) | instskip(NEXT) | instid1(VALU_DEP_1)
	v_add_nc_u32_e32 v0, v4, v0
	v_lshrrev_b32_e32 v2, s14, v0
	s_delay_alu instid0(VALU_DEP_1) | instskip(NEXT) | instid1(VALU_DEP_1)
	v_mul_lo_u32 v0, v2, s12
	v_sub_nc_u32_e32 v1, v4, v0
	s_delay_alu instid0(VALU_DEP_1)
	v_mul_lo_u32 v0, v1, s8
	v_mul_lo_u32 v1, v1, s9
	s_cbranch_vccnz .LBB119_116
; %bb.115:
	v_mul_hi_u32 v3, s2, v2
	s_delay_alu instid0(VALU_DEP_1) | instskip(NEXT) | instid1(VALU_DEP_1)
	v_add_nc_u32_e32 v3, v2, v3
	v_lshrrev_b32_e32 v3, s3, v3
	s_delay_alu instid0(VALU_DEP_1) | instskip(NEXT) | instid1(VALU_DEP_1)
	v_mul_lo_u32 v3, v3, s15
	v_sub_nc_u32_e32 v5, v2, v3
	s_delay_alu instid0(VALU_DEP_1) | instskip(NEXT) | instid1(VALU_DEP_1)
	v_mad_u64_u32 v[2:3], null, v5, s10, v[0:1]
	v_mad_u64_u32 v[3:4], null, v5, s11, v[1:2]
	s_delay_alu instid0(VALU_DEP_1)
	v_dual_mov_b32 v0, v2 :: v_dual_mov_b32 v1, v3
.LBB119_116:
	s_waitcnt lgkmcnt(0)
	global_load_b32 v1, v1, s[6:7]
	s_mov_b32 s2, 0x395133b1
	s_waitcnt vmcnt(0)
	v_mul_f32_e32 v2, 0x3fb8aa3b, v1
	s_delay_alu instid0(VALU_DEP_1) | instskip(NEXT) | instid1(VALU_DEP_1)
	v_rndne_f32_e32 v2, v2
	v_fmamk_f32 v3, v2, 0xbf317218, v1
	v_cvt_i32_f32_e32 v5, v2
	v_cmp_eq_f32_e32 vcc_lo, 0x43000000, v2
	s_delay_alu instid0(VALU_DEP_3) | instskip(NEXT) | instid1(VALU_DEP_3)
	v_fmamk_f32 v3, v2, 0x3102e308, v3
	v_cndmask_b32_e64 v2, v5, 0x7f, vcc_lo
	s_delay_alu instid0(VALU_DEP_2) | instskip(NEXT) | instid1(VALU_DEP_2)
	v_fmaak_f32 v4, s2, v3, 0x3ab69700
	v_ldexp_f32 v2, 1.0, v2
	s_delay_alu instid0(VALU_DEP_2) | instskip(NEXT) | instid1(VALU_DEP_1)
	v_fmaak_f32 v4, v3, v4, 0x3c0887f9
	v_fmaak_f32 v4, v3, v4, 0x3d2aaa81
	s_delay_alu instid0(VALU_DEP_1) | instskip(NEXT) | instid1(VALU_DEP_1)
	v_fmaak_f32 v4, v3, v4, 0x3e2aaaab
	v_fma_f32 v4, v3, v4, 0.5
	s_delay_alu instid0(VALU_DEP_1) | instskip(NEXT) | instid1(VALU_DEP_1)
	v_mul_f32_e32 v4, v3, v4
	v_dual_fmac_f32 v3, v3, v4 :: v_dual_add_f32 v4, -1.0, v2
	s_delay_alu instid0(VALU_DEP_1) | instskip(NEXT) | instid1(VALU_DEP_1)
	v_fmac_f32_e32 v4, v2, v3
	v_add_f32_e32 v2, v4, v4
	s_delay_alu instid0(VALU_DEP_1) | instskip(SKIP_1) | instid1(VALU_DEP_2)
	v_cndmask_b32_e32 v2, v4, v2, vcc_lo
	v_cmp_nlt_f32_e32 vcc_lo, 0x42b17217, v1
	v_cndmask_b32_e32 v2, 0x7f800000, v2, vcc_lo
	v_cmp_ngt_f32_e32 vcc_lo, 0xc1880000, v1
	s_delay_alu instid0(VALU_DEP_2)
	v_cndmask_b32_e32 v1, -1.0, v2, vcc_lo
	global_store_b32 v0, v1, s[4:5]
	s_or_b32 exec_lo, exec_lo, s20
                                        ; implicit-def: $vgpr8
                                        ; implicit-def: $vgpr4
	s_and_not1_saveexec_b32 s2, s25
	s_cbranch_execz .LBB119_94
	s_branch .LBB119_8
	.section	.rodata,"a",@progbits
	.p2align	6, 0x0
	.amdhsa_kernel _ZN2at6native32elementwise_kernel_manual_unrollILi128ELi4EZNS0_22gpu_kernel_impl_nocastIZZZNS0_17expm1_kernel_cudaERNS_18TensorIteratorBaseEENKUlvE_clEvENKUlvE0_clEvEUlfE_EEvS4_RKT_EUlibE_EEviT1_
		.amdhsa_group_segment_fixed_size 0
		.amdhsa_private_segment_fixed_size 0
		.amdhsa_kernarg_size 360
		.amdhsa_user_sgpr_count 15
		.amdhsa_user_sgpr_dispatch_ptr 0
		.amdhsa_user_sgpr_queue_ptr 0
		.amdhsa_user_sgpr_kernarg_segment_ptr 1
		.amdhsa_user_sgpr_dispatch_id 0
		.amdhsa_user_sgpr_private_segment_size 0
		.amdhsa_wavefront_size32 1
		.amdhsa_uses_dynamic_stack 0
		.amdhsa_enable_private_segment 0
		.amdhsa_system_sgpr_workgroup_id_x 1
		.amdhsa_system_sgpr_workgroup_id_y 0
		.amdhsa_system_sgpr_workgroup_id_z 0
		.amdhsa_system_sgpr_workgroup_info 0
		.amdhsa_system_vgpr_workitem_id 0
		.amdhsa_next_free_vgpr 24
		.amdhsa_next_free_sgpr 56
		.amdhsa_reserve_vcc 1
		.amdhsa_float_round_mode_32 0
		.amdhsa_float_round_mode_16_64 0
		.amdhsa_float_denorm_mode_32 3
		.amdhsa_float_denorm_mode_16_64 3
		.amdhsa_dx10_clamp 1
		.amdhsa_ieee_mode 1
		.amdhsa_fp16_overflow 0
		.amdhsa_workgroup_processor_mode 1
		.amdhsa_memory_ordered 1
		.amdhsa_forward_progress 0
		.amdhsa_shared_vgpr_count 0
		.amdhsa_exception_fp_ieee_invalid_op 0
		.amdhsa_exception_fp_denorm_src 0
		.amdhsa_exception_fp_ieee_div_zero 0
		.amdhsa_exception_fp_ieee_overflow 0
		.amdhsa_exception_fp_ieee_underflow 0
		.amdhsa_exception_fp_ieee_inexact 0
		.amdhsa_exception_int_div_zero 0
	.end_amdhsa_kernel
	.section	.text._ZN2at6native32elementwise_kernel_manual_unrollILi128ELi4EZNS0_22gpu_kernel_impl_nocastIZZZNS0_17expm1_kernel_cudaERNS_18TensorIteratorBaseEENKUlvE_clEvENKUlvE0_clEvEUlfE_EEvS4_RKT_EUlibE_EEviT1_,"axG",@progbits,_ZN2at6native32elementwise_kernel_manual_unrollILi128ELi4EZNS0_22gpu_kernel_impl_nocastIZZZNS0_17expm1_kernel_cudaERNS_18TensorIteratorBaseEENKUlvE_clEvENKUlvE0_clEvEUlfE_EEvS4_RKT_EUlibE_EEviT1_,comdat
.Lfunc_end119:
	.size	_ZN2at6native32elementwise_kernel_manual_unrollILi128ELi4EZNS0_22gpu_kernel_impl_nocastIZZZNS0_17expm1_kernel_cudaERNS_18TensorIteratorBaseEENKUlvE_clEvENKUlvE0_clEvEUlfE_EEvS4_RKT_EUlibE_EEviT1_, .Lfunc_end119-_ZN2at6native32elementwise_kernel_manual_unrollILi128ELi4EZNS0_22gpu_kernel_impl_nocastIZZZNS0_17expm1_kernel_cudaERNS_18TensorIteratorBaseEENKUlvE_clEvENKUlvE0_clEvEUlfE_EEvS4_RKT_EUlibE_EEviT1_
                                        ; -- End function
	.section	.AMDGPU.csdata,"",@progbits
; Kernel info:
; codeLenInByte = 8276
; NumSgprs: 58
; NumVgprs: 24
; ScratchSize: 0
; MemoryBound: 0
; FloatMode: 240
; IeeeMode: 1
; LDSByteSize: 0 bytes/workgroup (compile time only)
; SGPRBlocks: 7
; VGPRBlocks: 2
; NumSGPRsForWavesPerEU: 58
; NumVGPRsForWavesPerEU: 24
; Occupancy: 16
; WaveLimiterHint : 1
; COMPUTE_PGM_RSRC2:SCRATCH_EN: 0
; COMPUTE_PGM_RSRC2:USER_SGPR: 15
; COMPUTE_PGM_RSRC2:TRAP_HANDLER: 0
; COMPUTE_PGM_RSRC2:TGID_X_EN: 1
; COMPUTE_PGM_RSRC2:TGID_Y_EN: 0
; COMPUTE_PGM_RSRC2:TGID_Z_EN: 0
; COMPUTE_PGM_RSRC2:TIDIG_COMP_CNT: 0
	.section	.text._ZN2at6native32elementwise_kernel_manual_unrollILi128ELi4EZNS0_15gpu_kernel_implIZZZNS0_17expm1_kernel_cudaERNS_18TensorIteratorBaseEENKUlvE_clEvENKUlvE0_clEvEUlfE_EEvS4_RKT_EUlibE_EEviT1_,"axG",@progbits,_ZN2at6native32elementwise_kernel_manual_unrollILi128ELi4EZNS0_15gpu_kernel_implIZZZNS0_17expm1_kernel_cudaERNS_18TensorIteratorBaseEENKUlvE_clEvENKUlvE0_clEvEUlfE_EEvS4_RKT_EUlibE_EEviT1_,comdat
	.globl	_ZN2at6native32elementwise_kernel_manual_unrollILi128ELi4EZNS0_15gpu_kernel_implIZZZNS0_17expm1_kernel_cudaERNS_18TensorIteratorBaseEENKUlvE_clEvENKUlvE0_clEvEUlfE_EEvS4_RKT_EUlibE_EEviT1_ ; -- Begin function _ZN2at6native32elementwise_kernel_manual_unrollILi128ELi4EZNS0_15gpu_kernel_implIZZZNS0_17expm1_kernel_cudaERNS_18TensorIteratorBaseEENKUlvE_clEvENKUlvE0_clEvEUlfE_EEvS4_RKT_EUlibE_EEviT1_
	.p2align	8
	.type	_ZN2at6native32elementwise_kernel_manual_unrollILi128ELi4EZNS0_15gpu_kernel_implIZZZNS0_17expm1_kernel_cudaERNS_18TensorIteratorBaseEENKUlvE_clEvENKUlvE0_clEvEUlfE_EEvS4_RKT_EUlibE_EEviT1_,@function
_ZN2at6native32elementwise_kernel_manual_unrollILi128ELi4EZNS0_15gpu_kernel_implIZZZNS0_17expm1_kernel_cudaERNS_18TensorIteratorBaseEENKUlvE_clEvENKUlvE0_clEvEUlfE_EEvS4_RKT_EUlibE_EEviT1_: ; @_ZN2at6native32elementwise_kernel_manual_unrollILi128ELi4EZNS0_15gpu_kernel_implIZZZNS0_17expm1_kernel_cudaERNS_18TensorIteratorBaseEENKUlvE_clEvENKUlvE0_clEvEUlfE_EEvS4_RKT_EUlibE_EEviT1_
; %bb.0:
	v_mov_b32_e32 v1, 0
	s_clause 0x2
	s_load_b32 s12, s[0:1], 0x0
	s_load_b64 s[8:9], s[0:1], 0x18
	s_load_b128 s[4:7], s[0:1], 0x8
	v_lshl_or_b32 v5, s15, 9, v0
	s_mov_b32 s3, 0
	s_mov_b32 s11, 0
	global_load_u16 v4, v1, s[0:1] offset:33
	s_mov_b32 s0, exec_lo
	v_or_b32_e32 v0, 0x180, v5
	s_waitcnt vmcnt(0)
	v_lshrrev_b16 v6, 8, v4
	s_waitcnt lgkmcnt(0)
	s_delay_alu instid0(VALU_DEP_2)
	v_cmpx_le_i32_e64 s12, v0
	s_xor_b32 s10, exec_lo, s0
	s_cbranch_execz .LBB120_1032
; %bb.1:
	s_mov_b32 s1, -1
	s_mov_b32 s15, 0
	s_mov_b32 s13, 0
	s_mov_b32 s14, exec_lo
	v_cmpx_gt_i32_e64 s12, v5
	s_cbranch_execz .LBB120_251
; %bb.2:
	v_mul_lo_u32 v0, v5, s9
	v_cmp_gt_i16_e32 vcc_lo, 11, v6
	s_delay_alu instid0(VALU_DEP_2) | instskip(SKIP_1) | instid1(VALU_DEP_1)
	v_ashrrev_i32_e32 v1, 31, v0
	v_add_co_u32 v0, s0, s6, v0
	v_add_co_ci_u32_e64 v1, s0, s7, v1, s0
	s_cbranch_vccnz .LBB120_9
; %bb.3:
	v_cmp_lt_i16_e32 vcc_lo, 25, v6
	s_cbranch_vccz .LBB120_18
; %bb.4:
	v_cmp_lt_i16_e32 vcc_lo, 28, v6
	s_cbranch_vccz .LBB120_21
; %bb.5:
	v_cmp_lt_i16_e32 vcc_lo, 43, v6
	s_cbranch_vccz .LBB120_23
; %bb.6:
	v_cmp_lt_i16_e32 vcc_lo, 45, v6
	s_cbranch_vccz .LBB120_27
; %bb.7:
	v_cmp_eq_u16_e32 vcc_lo, 46, v6
	s_mov_b32 s1, 0
	s_cbranch_vccz .LBB120_26
; %bb.8:
	global_load_b32 v2, v[0:1], off
	s_mov_b32 s0, -1
	s_waitcnt vmcnt(0)
	v_lshlrev_b32_e32 v2, 16, v2
	s_branch .LBB120_28
.LBB120_9:
	s_mov_b32 s0, 0
                                        ; implicit-def: $vgpr2
	s_and_b32 vcc_lo, exec_lo, s1
	s_cbranch_vccnz .LBB120_201
.LBB120_10:
	s_and_not1_b32 vcc_lo, exec_lo, s0
	s_cbranch_vccnz .LBB120_248
.LBB120_11:
	s_waitcnt vmcnt(0)
	s_delay_alu instid0(VALU_DEP_1) | instskip(SKIP_1) | instid1(VALU_DEP_1)
	v_mul_f32_e32 v0, 0x3fb8aa3b, v2
	s_mov_b32 s0, 0x395133b1
	v_rndne_f32_e32 v0, v0
	s_delay_alu instid0(VALU_DEP_1) | instskip(SKIP_2) | instid1(VALU_DEP_3)
	v_fmamk_f32 v1, v0, 0xbf317218, v2
	v_cvt_i32_f32_e32 v7, v0
	v_cmp_eq_f32_e32 vcc_lo, 0x43000000, v0
	v_fmamk_f32 v1, v0, 0x3102e308, v1
	s_delay_alu instid0(VALU_DEP_3) | instskip(SKIP_1) | instid1(VALU_DEP_3)
	v_cndmask_b32_e64 v0, v7, 0x7f, vcc_lo
	v_and_b32_e32 v7, 0xff, v4
	v_fmaak_f32 v3, s0, v1, 0x3ab69700
	v_cmp_lt_f32_e64 s0, 0x42b17217, v2
	s_delay_alu instid0(VALU_DEP_4) | instskip(NEXT) | instid1(VALU_DEP_1)
	v_ldexp_f32 v0, 1.0, v0
	v_dual_add_f32 v8, -1.0, v0 :: v_dual_fmaak_f32 v3, v1, v3, 0x3c0887f9
	s_delay_alu instid0(VALU_DEP_1) | instskip(NEXT) | instid1(VALU_DEP_1)
	v_fmaak_f32 v3, v1, v3, 0x3d2aaa81
	v_fmaak_f32 v3, v1, v3, 0x3e2aaaab
	s_delay_alu instid0(VALU_DEP_1) | instskip(NEXT) | instid1(VALU_DEP_1)
	v_fma_f32 v3, v1, v3, 0.5
	v_mul_f32_e32 v3, v1, v3
	s_delay_alu instid0(VALU_DEP_1) | instskip(NEXT) | instid1(VALU_DEP_1)
	v_fmac_f32_e32 v1, v1, v3
	v_fmac_f32_e32 v8, v0, v1
	v_mul_lo_u32 v0, v5, s8
	s_delay_alu instid0(VALU_DEP_2) | instskip(NEXT) | instid1(VALU_DEP_1)
	v_add_f32_e32 v1, v8, v8
	v_cndmask_b32_e32 v3, v8, v1, vcc_lo
	s_delay_alu instid0(VALU_DEP_3) | instskip(SKIP_2) | instid1(VALU_DEP_4)
	v_ashrrev_i32_e32 v1, 31, v0
	v_add_co_u32 v0, s1, s4, v0
	v_cmp_gt_i16_e32 vcc_lo, 11, v7
	v_cndmask_b32_e64 v8, v3, 0x7f800000, s0
	s_delay_alu instid0(VALU_DEP_4) | instskip(SKIP_1) | instid1(VALU_DEP_1)
	v_add_co_ci_u32_e64 v1, s1, s5, v1, s1
	v_cmp_gt_f32_e64 s1, 0xc1880000, v2
	v_cndmask_b32_e64 v2, v8, -1.0, s1
	s_cbranch_vccnz .LBB120_19
; %bb.12:
	v_cmp_lt_i16_e32 vcc_lo, 25, v7
	s_cbranch_vccz .LBB120_22
; %bb.13:
	v_cmp_lt_i16_e32 vcc_lo, 28, v7
	s_cbranch_vccz .LBB120_24
	;; [unrolled: 3-line block ×4, first 2 shown]
; %bb.16:
	v_cmp_eq_u16_e32 vcc_lo, 46, v7
	s_mov_b32 s16, 0
	s_mov_b32 s2, -1
	s_mov_b32 s11, 0
	s_cbranch_vccz .LBB120_32
; %bb.17:
	v_bfe_u32 v8, v2, 16, 1
	v_cmp_o_f32_e32 vcc_lo, v2, v2
	s_mov_b32 s11, -1
	s_mov_b32 s2, 0
	s_delay_alu instid0(VALU_DEP_2) | instskip(NEXT) | instid1(VALU_DEP_1)
	v_add3_u32 v8, v2, v8, 0x7fff
	v_lshrrev_b32_e32 v8, 16, v8
	s_delay_alu instid0(VALU_DEP_1)
	v_cndmask_b32_e32 v8, 0x7fc0, v8, vcc_lo
	global_store_b32 v[0:1], v8, off
	s_branch .LBB120_32
.LBB120_18:
	s_mov_b32 s0, 0
                                        ; implicit-def: $vgpr2
	s_and_b32 vcc_lo, exec_lo, s1
	s_cbranch_vccnz .LBB120_166
	s_branch .LBB120_200
.LBB120_19:
	s_mov_b32 s2, 0
	s_mov_b32 s11, 0
	s_cbranch_execnz .LBB120_101
.LBB120_20:
	s_and_not1_b32 vcc_lo, exec_lo, s11
	s_cbranch_vccnz .LBB120_249
	s_branch .LBB120_139
.LBB120_21:
	s_mov_b32 s0, 0
                                        ; implicit-def: $vgpr2
	s_branch .LBB120_147
.LBB120_22:
	s_mov_b32 s16, -1
	s_mov_b32 s2, 0
	s_mov_b32 s11, 0
	s_branch .LBB120_59
.LBB120_23:
	s_mov_b32 s0, 0
                                        ; implicit-def: $vgpr2
	s_branch .LBB120_142
.LBB120_24:
	s_mov_b32 s16, -1
	s_mov_b32 s2, 0
	s_mov_b32 s11, 0
	s_branch .LBB120_42
.LBB120_25:
	s_mov_b32 s16, -1
	s_mov_b32 s2, 0
	s_mov_b32 s11, 0
	s_branch .LBB120_38
.LBB120_26:
	s_mov_b32 s13, -1
.LBB120_27:
	s_mov_b32 s0, 0
                                        ; implicit-def: $vgpr2
.LBB120_28:
	s_and_b32 vcc_lo, exec_lo, s1
	s_cbranch_vccz .LBB120_141
; %bb.29:
	v_cmp_eq_u16_e32 vcc_lo, 44, v6
	s_cbranch_vccz .LBB120_140
; %bb.30:
	global_load_u8 v2, v[0:1], off
	s_mov_b32 s13, 0
	s_mov_b32 s0, -1
	s_waitcnt vmcnt(0)
	v_lshlrev_b32_e32 v3, 23, v2
	v_cmp_ne_u32_e32 vcc_lo, 0xff, v2
	s_delay_alu instid0(VALU_DEP_2) | instskip(SKIP_1) | instid1(VALU_DEP_2)
	v_cndmask_b32_e32 v3, 0x7f800001, v3, vcc_lo
	v_cmp_ne_u32_e32 vcc_lo, 0, v2
	v_cndmask_b32_e32 v2, 0x400000, v3, vcc_lo
	s_branch .LBB120_141
.LBB120_31:
	s_mov_b32 s16, -1
	s_mov_b32 s2, 0
	s_mov_b32 s11, 0
.LBB120_32:
	s_and_b32 vcc_lo, exec_lo, s16
	s_cbranch_vccz .LBB120_37
; %bb.33:
	v_cmp_eq_u16_e32 vcc_lo, 44, v7
	s_mov_b32 s2, -1
	s_cbranch_vccz .LBB120_37
; %bb.34:
	v_bfe_u32 v9, v2, 23, 8
	v_mov_b32_e32 v8, 0xff
	s_mov_b32 s11, exec_lo
	s_delay_alu instid0(VALU_DEP_2)
	v_cmpx_ne_u32_e32 0xff, v9
; %bb.35:
	v_and_b32_e32 v8, 0x400000, v2
	v_and_or_b32 v9, 0x3fffff, v2, v9
	s_delay_alu instid0(VALU_DEP_2) | instskip(NEXT) | instid1(VALU_DEP_2)
	v_cmp_ne_u32_e32 vcc_lo, 0, v8
	v_cmp_ne_u32_e64 s2, 0, v9
	v_lshrrev_b32_e32 v8, 23, v2
	s_delay_alu instid0(VALU_DEP_2) | instskip(NEXT) | instid1(SALU_CYCLE_1)
	s_and_b32 s2, vcc_lo, s2
	v_cndmask_b32_e64 v9, 0, 1, s2
	s_delay_alu instid0(VALU_DEP_1)
	v_add_nc_u32_e32 v8, v8, v9
; %bb.36:
	s_or_b32 exec_lo, exec_lo, s11
	s_mov_b32 s11, -1
	s_mov_b32 s2, 0
	global_store_b8 v[0:1], v8, off
.LBB120_37:
	s_mov_b32 s16, 0
.LBB120_38:
	s_delay_alu instid0(SALU_CYCLE_1)
	s_and_b32 vcc_lo, exec_lo, s16
	s_cbranch_vccz .LBB120_41
; %bb.39:
	v_cmp_eq_u16_e32 vcc_lo, 29, v7
	s_mov_b32 s2, -1
	s_cbranch_vccz .LBB120_41
; %bb.40:
	v_trunc_f32_e32 v8, v2
	s_mov_b32 s11, -1
	s_mov_b32 s2, 0
	s_mov_b32 s16, 0
	s_delay_alu instid0(VALU_DEP_1) | instskip(NEXT) | instid1(VALU_DEP_1)
	v_mul_f32_e32 v9, 0x2f800000, v8
	v_floor_f32_e32 v9, v9
	s_delay_alu instid0(VALU_DEP_1) | instskip(SKIP_1) | instid1(VALU_DEP_2)
	v_fmamk_f32 v8, v9, 0xcf800000, v8
	v_cvt_u32_f32_e32 v9, v9
	v_cvt_u32_f32_e32 v8, v8
	global_store_b64 v[0:1], v[8:9], off
	s_branch .LBB120_42
.LBB120_41:
	s_mov_b32 s16, 0
.LBB120_42:
	s_delay_alu instid0(SALU_CYCLE_1)
	s_and_b32 vcc_lo, exec_lo, s16
	s_cbranch_vccz .LBB120_58
; %bb.43:
	v_cmp_gt_i16_e32 vcc_lo, 27, v7
	s_mov_b32 s11, -1
	s_cbranch_vccnz .LBB120_49
; %bb.44:
	v_cmp_lt_i16_e32 vcc_lo, 27, v7
	s_cbranch_vccz .LBB120_46
; %bb.45:
	v_cvt_u32_f32_e32 v8, v2
	s_mov_b32 s11, 0
	global_store_b32 v[0:1], v8, off
.LBB120_46:
	s_and_not1_b32 vcc_lo, exec_lo, s11
	s_cbranch_vccnz .LBB120_48
; %bb.47:
	v_cvt_u32_f32_e32 v8, v2
	global_store_b16 v[0:1], v8, off
.LBB120_48:
	s_mov_b32 s11, 0
.LBB120_49:
	s_delay_alu instid0(SALU_CYCLE_1)
	s_and_not1_b32 vcc_lo, exec_lo, s11
	s_cbranch_vccnz .LBB120_57
; %bb.50:
	v_cndmask_b32_e64 v8, |v3|, 0x7f800000, s0
	v_mov_b32_e32 v10, 0x80
	s_mov_b32 s11, exec_lo
	s_delay_alu instid0(VALU_DEP_2) | instskip(NEXT) | instid1(VALU_DEP_1)
	v_cndmask_b32_e64 v9, v8, 1.0, s1
	v_cmpx_gt_u32_e32 0x43800000, v9
	s_cbranch_execz .LBB120_56
; %bb.51:
	s_mov_b32 s16, 0
	s_mov_b32 s17, exec_lo
                                        ; implicit-def: $vgpr8
	v_cmpx_lt_u32_e32 0x3bffffff, v9
	s_xor_b32 s17, exec_lo, s17
	s_cbranch_execz .LBB120_275
; %bb.52:
	v_bfe_u32 v8, v2, 20, 1
	s_mov_b32 s16, exec_lo
                                        ; implicit-def: $vgpr9
	s_delay_alu instid0(VALU_DEP_1) | instskip(NEXT) | instid1(VALU_DEP_1)
	v_add3_u32 v8, v2, v8, 0x487ffff
	v_lshrrev_b32_e32 v8, 20, v8
	s_or_saveexec_b32 s17, s17
                                        ; implicit-def: $sgpr18
	s_delay_alu instid0(SALU_CYCLE_1)
	s_xor_b32 exec_lo, exec_lo, s17
	s_cbranch_execnz .LBB120_276
.LBB120_53:
	s_or_b32 exec_lo, exec_lo, s17
	v_mov_b32_e32 v10, s18
	s_and_saveexec_b32 s17, s16
.LBB120_54:
	v_lshrrev_b32_e32 v9, 24, v2
	s_delay_alu instid0(VALU_DEP_1)
	v_and_or_b32 v10, 0x80, v9, v8
.LBB120_55:
	s_or_b32 exec_lo, exec_lo, s17
.LBB120_56:
	s_delay_alu instid0(SALU_CYCLE_1)
	s_or_b32 exec_lo, exec_lo, s11
	global_store_b8 v[0:1], v10, off
.LBB120_57:
	s_mov_b32 s11, -1
.LBB120_58:
	s_mov_b32 s16, 0
.LBB120_59:
	s_delay_alu instid0(SALU_CYCLE_1)
	s_and_b32 vcc_lo, exec_lo, s16
	s_cbranch_vccz .LBB120_100
; %bb.60:
	v_cmp_lt_i16_e32 vcc_lo, 22, v7
	s_mov_b32 s16, -1
	s_cbranch_vccz .LBB120_92
; %bb.61:
	v_cmp_gt_i16_e32 vcc_lo, 24, v7
	s_mov_b32 s11, -1
	s_cbranch_vccnz .LBB120_81
; %bb.62:
	v_cmp_lt_i16_e32 vcc_lo, 24, v7
	s_cbranch_vccz .LBB120_70
; %bb.63:
	v_cndmask_b32_e64 v8, |v3|, 0x7f800000, s0
	v_mov_b32_e32 v10, 0x80
	s_mov_b32 s11, exec_lo
	s_delay_alu instid0(VALU_DEP_2) | instskip(NEXT) | instid1(VALU_DEP_1)
	v_cndmask_b32_e64 v9, v8, 1.0, s1
	v_cmpx_gt_u32_e32 0x47800000, v9
	s_cbranch_execz .LBB120_69
; %bb.64:
	s_mov_b32 s16, 0
	s_mov_b32 s17, exec_lo
                                        ; implicit-def: $vgpr8
	v_cmpx_lt_u32_e32 0x37ffffff, v9
	s_xor_b32 s17, exec_lo, s17
	s_cbranch_execz .LBB120_279
; %bb.65:
	v_bfe_u32 v8, v2, 21, 1
	s_mov_b32 s16, exec_lo
                                        ; implicit-def: $vgpr9
	s_delay_alu instid0(VALU_DEP_1) | instskip(NEXT) | instid1(VALU_DEP_1)
	v_add3_u32 v8, v2, v8, 0x88fffff
	v_lshrrev_b32_e32 v8, 21, v8
	s_or_saveexec_b32 s17, s17
                                        ; implicit-def: $sgpr18
	s_delay_alu instid0(SALU_CYCLE_1)
	s_xor_b32 exec_lo, exec_lo, s17
	s_cbranch_execnz .LBB120_280
.LBB120_66:
	s_or_b32 exec_lo, exec_lo, s17
	v_mov_b32_e32 v10, s18
	s_and_saveexec_b32 s17, s16
.LBB120_67:
	v_lshrrev_b32_e32 v9, 24, v2
	s_delay_alu instid0(VALU_DEP_1)
	v_and_or_b32 v10, 0x80, v9, v8
.LBB120_68:
	s_or_b32 exec_lo, exec_lo, s17
.LBB120_69:
	s_delay_alu instid0(SALU_CYCLE_1)
	s_or_b32 exec_lo, exec_lo, s11
	s_mov_b32 s11, 0
	global_store_b8 v[0:1], v10, off
.LBB120_70:
	s_and_b32 vcc_lo, exec_lo, s11
	s_cbranch_vccz .LBB120_80
; %bb.71:
	v_cndmask_b32_e64 v8, |v3|, 0x7f800000, s0
	s_mov_b32 s11, exec_lo
	s_delay_alu instid0(VALU_DEP_1) | instskip(NEXT) | instid1(VALU_DEP_1)
	v_cndmask_b32_e64 v9, v8, 1.0, s1
                                        ; implicit-def: $vgpr8
	v_cmpx_gt_u32_e32 0x43f00000, v9
	s_xor_b32 s11, exec_lo, s11
	s_cbranch_execz .LBB120_77
; %bb.72:
	s_mov_b32 s16, exec_lo
                                        ; implicit-def: $vgpr8
	v_cmpx_lt_u32_e32 0x3c7fffff, v9
	s_xor_b32 s16, exec_lo, s16
; %bb.73:
	v_bfe_u32 v8, v2, 20, 1
	s_delay_alu instid0(VALU_DEP_1) | instskip(NEXT) | instid1(VALU_DEP_1)
	v_add3_u32 v8, v2, v8, 0x407ffff
	v_and_b32_e32 v9, 0xff00000, v8
	v_lshrrev_b32_e32 v8, 20, v8
	s_delay_alu instid0(VALU_DEP_2) | instskip(NEXT) | instid1(VALU_DEP_2)
	v_cmp_ne_u32_e32 vcc_lo, 0x7f00000, v9
                                        ; implicit-def: $vgpr9
	v_cndmask_b32_e32 v8, 0x7e, v8, vcc_lo
; %bb.74:
	s_and_not1_saveexec_b32 s16, s16
; %bb.75:
	v_add_f32_e32 v8, 0x46800000, v9
; %bb.76:
	s_or_b32 exec_lo, exec_lo, s16
                                        ; implicit-def: $vgpr9
.LBB120_77:
	s_and_not1_saveexec_b32 s11, s11
; %bb.78:
	v_mov_b32_e32 v8, 0x7f
	v_cmp_lt_u32_e32 vcc_lo, 0x7f800000, v9
	s_delay_alu instid0(VALU_DEP_2)
	v_cndmask_b32_e32 v8, 0x7e, v8, vcc_lo
; %bb.79:
	s_or_b32 exec_lo, exec_lo, s11
	v_lshrrev_b32_e32 v9, 24, v2
	s_delay_alu instid0(VALU_DEP_1)
	v_and_or_b32 v8, 0x80, v9, v8
	global_store_b8 v[0:1], v8, off
.LBB120_80:
	s_mov_b32 s11, 0
.LBB120_81:
	s_delay_alu instid0(SALU_CYCLE_1)
	s_and_not1_b32 vcc_lo, exec_lo, s11
	s_cbranch_vccnz .LBB120_91
; %bb.82:
	v_cndmask_b32_e64 v3, |v3|, 0x7f800000, s0
	s_mov_b32 s0, exec_lo
	s_delay_alu instid0(VALU_DEP_1) | instskip(NEXT) | instid1(VALU_DEP_1)
	v_cndmask_b32_e64 v8, v3, 1.0, s1
                                        ; implicit-def: $vgpr3
	v_cmpx_gt_u32_e32 0x47800000, v8
	s_xor_b32 s0, exec_lo, s0
	s_cbranch_execz .LBB120_88
; %bb.83:
	s_mov_b32 s1, exec_lo
                                        ; implicit-def: $vgpr3
	v_cmpx_lt_u32_e32 0x387fffff, v8
	s_xor_b32 s1, exec_lo, s1
; %bb.84:
	v_bfe_u32 v3, v2, 21, 1
                                        ; implicit-def: $vgpr8
	s_delay_alu instid0(VALU_DEP_1) | instskip(NEXT) | instid1(VALU_DEP_1)
	v_add3_u32 v3, v2, v3, 0x80fffff
	v_lshrrev_b32_e32 v3, 21, v3
; %bb.85:
	s_and_not1_saveexec_b32 s1, s1
; %bb.86:
	v_add_f32_e32 v3, 0x43000000, v8
; %bb.87:
	s_or_b32 exec_lo, exec_lo, s1
                                        ; implicit-def: $vgpr8
.LBB120_88:
	s_and_not1_saveexec_b32 s0, s0
; %bb.89:
	v_mov_b32_e32 v3, 0x7f
	v_cmp_lt_u32_e32 vcc_lo, 0x7f800000, v8
	s_delay_alu instid0(VALU_DEP_2)
	v_cndmask_b32_e32 v3, 0x7c, v3, vcc_lo
; %bb.90:
	s_or_b32 exec_lo, exec_lo, s0
	v_lshrrev_b32_e32 v8, 24, v2
	s_delay_alu instid0(VALU_DEP_1)
	v_and_or_b32 v3, 0x80, v8, v3
	global_store_b8 v[0:1], v3, off
.LBB120_91:
	s_mov_b32 s16, 0
	s_mov_b32 s11, -1
.LBB120_92:
	s_and_not1_b32 vcc_lo, exec_lo, s16
	s_cbranch_vccnz .LBB120_100
; %bb.93:
	v_cmp_lt_i16_e32 vcc_lo, 14, v7
	s_mov_b32 s0, -1
	s_cbranch_vccz .LBB120_97
; %bb.94:
	v_cmp_eq_u16_e32 vcc_lo, 15, v7
	s_mov_b32 s2, -1
	s_cbranch_vccz .LBB120_96
; %bb.95:
	v_bfe_u32 v3, v2, 16, 1
	v_cmp_o_f32_e32 vcc_lo, v2, v2
	s_mov_b32 s11, -1
	s_mov_b32 s2, 0
	s_delay_alu instid0(VALU_DEP_2) | instskip(NEXT) | instid1(VALU_DEP_1)
	v_add3_u32 v3, v2, v3, 0x7fff
	v_lshrrev_b32_e32 v3, 16, v3
	s_delay_alu instid0(VALU_DEP_1)
	v_cndmask_b32_e32 v3, 0x7fc0, v3, vcc_lo
	global_store_b16 v[0:1], v3, off
.LBB120_96:
	s_mov_b32 s0, 0
.LBB120_97:
	s_delay_alu instid0(SALU_CYCLE_1)
	s_and_b32 vcc_lo, exec_lo, s0
	s_cbranch_vccz .LBB120_100
; %bb.98:
	v_cmp_eq_u16_e32 vcc_lo, 11, v7
	s_mov_b32 s2, -1
	s_cbranch_vccz .LBB120_100
; %bb.99:
	v_cmp_neq_f32_e32 vcc_lo, 0, v2
	s_mov_b32 s2, 0
	s_mov_b32 s11, -1
	v_cndmask_b32_e64 v3, 0, 1, vcc_lo
	global_store_b8 v[0:1], v3, off
.LBB120_100:
	s_branch .LBB120_20
.LBB120_101:
	v_cmp_gt_i16_e32 vcc_lo, 5, v7
	s_mov_b32 s0, -1
	s_cbranch_vccnz .LBB120_122
; %bb.102:
	v_cmp_gt_i16_e32 vcc_lo, 8, v7
	s_cbranch_vccnz .LBB120_112
; %bb.103:
	v_cmp_gt_i16_e32 vcc_lo, 9, v7
	s_cbranch_vccnz .LBB120_109
; %bb.104:
	v_cmp_lt_i16_e32 vcc_lo, 9, v7
	s_cbranch_vccz .LBB120_106
; %bb.105:
	v_cvt_f64_f32_e32 v[8:9], v2
	v_mov_b32_e32 v10, 0
	s_mov_b32 s0, 0
	s_delay_alu instid0(VALU_DEP_1)
	v_mov_b32_e32 v11, v10
	global_store_b128 v[0:1], v[8:11], off
.LBB120_106:
	s_and_not1_b32 vcc_lo, exec_lo, s0
	s_cbranch_vccnz .LBB120_108
; %bb.107:
	v_mov_b32_e32 v3, 0
	global_store_b64 v[0:1], v[2:3], off
.LBB120_108:
	s_mov_b32 s0, 0
.LBB120_109:
	s_delay_alu instid0(SALU_CYCLE_1)
	s_and_not1_b32 vcc_lo, exec_lo, s0
	s_cbranch_vccnz .LBB120_111
; %bb.110:
	v_cvt_f16_f32_e32 v3, v2
	s_delay_alu instid0(VALU_DEP_1)
	v_and_b32_e32 v3, 0xffff, v3
	global_store_b32 v[0:1], v3, off
.LBB120_111:
	s_mov_b32 s0, 0
.LBB120_112:
	s_delay_alu instid0(SALU_CYCLE_1)
	s_and_not1_b32 vcc_lo, exec_lo, s0
	s_cbranch_vccnz .LBB120_121
; %bb.113:
	v_cmp_gt_i16_e32 vcc_lo, 6, v7
	s_mov_b32 s0, -1
	s_cbranch_vccnz .LBB120_119
; %bb.114:
	v_cmp_lt_i16_e32 vcc_lo, 6, v7
	s_cbranch_vccz .LBB120_116
; %bb.115:
	v_cvt_f64_f32_e32 v[8:9], v2
	s_mov_b32 s0, 0
	global_store_b64 v[0:1], v[8:9], off
.LBB120_116:
	s_and_not1_b32 vcc_lo, exec_lo, s0
	s_cbranch_vccnz .LBB120_118
; %bb.117:
	global_store_b32 v[0:1], v2, off
.LBB120_118:
	s_mov_b32 s0, 0
.LBB120_119:
	s_delay_alu instid0(SALU_CYCLE_1)
	s_and_not1_b32 vcc_lo, exec_lo, s0
	s_cbranch_vccnz .LBB120_121
; %bb.120:
	v_cvt_f16_f32_e32 v3, v2
	global_store_b16 v[0:1], v3, off
.LBB120_121:
	s_mov_b32 s0, 0
.LBB120_122:
	s_delay_alu instid0(SALU_CYCLE_1)
	s_and_not1_b32 vcc_lo, exec_lo, s0
	s_cbranch_vccnz .LBB120_138
; %bb.123:
	v_cmp_gt_i16_e32 vcc_lo, 2, v7
	s_mov_b32 s0, -1
	s_cbranch_vccnz .LBB120_133
; %bb.124:
	v_cmp_gt_i16_e32 vcc_lo, 3, v7
	s_cbranch_vccnz .LBB120_130
; %bb.125:
	v_cmp_lt_i16_e32 vcc_lo, 3, v7
	s_cbranch_vccz .LBB120_127
; %bb.126:
	v_trunc_f32_e32 v3, v2
	s_mov_b32 s0, 0
	s_delay_alu instid0(VALU_DEP_1) | instskip(NEXT) | instid1(VALU_DEP_1)
	v_mul_f32_e64 v8, 0x2f800000, |v3|
	v_floor_f32_e32 v8, v8
	s_delay_alu instid0(VALU_DEP_1) | instskip(SKIP_2) | instid1(VALU_DEP_3)
	v_fma_f32 v9, 0xcf800000, v8, |v3|
	v_ashrrev_i32_e32 v3, 31, v3
	v_cvt_u32_f32_e32 v8, v8
	v_cvt_u32_f32_e32 v9, v9
	s_delay_alu instid0(VALU_DEP_2) | instskip(NEXT) | instid1(VALU_DEP_2)
	v_xor_b32_e32 v10, v8, v3
	v_xor_b32_e32 v9, v9, v3
	s_delay_alu instid0(VALU_DEP_1) | instskip(NEXT) | instid1(VALU_DEP_3)
	v_sub_co_u32 v8, vcc_lo, v9, v3
	v_sub_co_ci_u32_e32 v9, vcc_lo, v10, v3, vcc_lo
	global_store_b64 v[0:1], v[8:9], off
.LBB120_127:
	s_and_not1_b32 vcc_lo, exec_lo, s0
	s_cbranch_vccnz .LBB120_129
; %bb.128:
	v_cvt_i32_f32_e32 v3, v2
	global_store_b32 v[0:1], v3, off
.LBB120_129:
	s_mov_b32 s0, 0
.LBB120_130:
	s_delay_alu instid0(SALU_CYCLE_1)
	s_and_not1_b32 vcc_lo, exec_lo, s0
	s_cbranch_vccnz .LBB120_132
; %bb.131:
	v_cvt_i32_f32_e32 v3, v2
	global_store_b16 v[0:1], v3, off
.LBB120_132:
	s_mov_b32 s0, 0
.LBB120_133:
	s_delay_alu instid0(SALU_CYCLE_1)
	s_and_not1_b32 vcc_lo, exec_lo, s0
	s_cbranch_vccnz .LBB120_138
; %bb.134:
	v_cmp_lt_i16_e32 vcc_lo, 0, v7
	s_mov_b32 s0, -1
	s_cbranch_vccz .LBB120_136
; %bb.135:
	v_cvt_i32_f32_e32 v3, v2
	s_mov_b32 s0, 0
	global_store_b8 v[0:1], v3, off
.LBB120_136:
	s_and_not1_b32 vcc_lo, exec_lo, s0
	s_cbranch_vccnz .LBB120_138
; %bb.137:
	v_trunc_f32_e32 v2, v2
	s_delay_alu instid0(VALU_DEP_1) | instskip(NEXT) | instid1(VALU_DEP_1)
	v_mul_f32_e64 v3, 0x2f800000, |v2|
	v_floor_f32_e32 v3, v3
	s_delay_alu instid0(VALU_DEP_1) | instskip(SKIP_1) | instid1(VALU_DEP_2)
	v_fma_f32 v3, 0xcf800000, v3, |v2|
	v_ashrrev_i32_e32 v2, 31, v2
	v_cvt_u32_f32_e32 v3, v3
	s_delay_alu instid0(VALU_DEP_1) | instskip(NEXT) | instid1(VALU_DEP_1)
	v_xor_b32_e32 v3, v3, v2
	v_sub_nc_u32_e32 v2, v3, v2
	global_store_b8 v[0:1], v2, off
.LBB120_138:
.LBB120_139:
	v_add_nc_u32_e32 v5, 0x80, v5
	s_mov_b32 s0, -1
	s_branch .LBB120_250
.LBB120_140:
	s_mov_b32 s13, -1
                                        ; implicit-def: $vgpr2
.LBB120_141:
	s_mov_b32 s1, 0
.LBB120_142:
	s_delay_alu instid0(SALU_CYCLE_1)
	s_and_b32 vcc_lo, exec_lo, s1
	s_cbranch_vccz .LBB120_146
; %bb.143:
	v_cmp_eq_u16_e32 vcc_lo, 29, v6
	s_cbranch_vccz .LBB120_145
; %bb.144:
	global_load_b64 v[2:3], v[0:1], off
	s_mov_b32 s0, -1
	s_mov_b32 s13, 0
	s_mov_b32 s1, 0
	s_waitcnt vmcnt(0)
	v_clz_i32_u32_e32 v7, v3
	s_delay_alu instid0(VALU_DEP_1) | instskip(NEXT) | instid1(VALU_DEP_1)
	v_min_u32_e32 v7, 32, v7
	v_lshlrev_b64 v[2:3], v7, v[2:3]
	s_delay_alu instid0(VALU_DEP_1) | instskip(NEXT) | instid1(VALU_DEP_1)
	v_min_u32_e32 v2, 1, v2
	v_or_b32_e32 v2, v3, v2
	v_sub_nc_u32_e32 v3, 32, v7
	s_delay_alu instid0(VALU_DEP_2) | instskip(NEXT) | instid1(VALU_DEP_1)
	v_cvt_f32_u32_e32 v2, v2
	v_ldexp_f32 v2, v2, v3
	s_branch .LBB120_147
.LBB120_145:
	s_mov_b32 s13, -1
                                        ; implicit-def: $vgpr2
.LBB120_146:
	s_mov_b32 s1, 0
.LBB120_147:
	s_delay_alu instid0(SALU_CYCLE_1)
	s_and_b32 vcc_lo, exec_lo, s1
	s_cbranch_vccz .LBB120_165
; %bb.148:
	v_cmp_gt_i16_e32 vcc_lo, 27, v6
	s_cbranch_vccnz .LBB120_151
; %bb.149:
	v_cmp_lt_i16_e32 vcc_lo, 27, v6
	s_cbranch_vccz .LBB120_152
; %bb.150:
	global_load_b32 v2, v[0:1], off
	s_mov_b32 s0, 0
	s_waitcnt vmcnt(0)
	v_cvt_f32_u32_e32 v2, v2
	s_branch .LBB120_153
.LBB120_151:
	s_mov_b32 s0, -1
                                        ; implicit-def: $vgpr2
	s_branch .LBB120_156
.LBB120_152:
	s_mov_b32 s0, -1
                                        ; implicit-def: $vgpr2
.LBB120_153:
	s_delay_alu instid0(SALU_CYCLE_1)
	s_and_not1_b32 vcc_lo, exec_lo, s0
	s_cbranch_vccnz .LBB120_155
; %bb.154:
	global_load_u16 v2, v[0:1], off
	s_waitcnt vmcnt(0)
	v_cvt_f32_u32_e32 v2, v2
.LBB120_155:
	s_mov_b32 s0, 0
.LBB120_156:
	s_delay_alu instid0(SALU_CYCLE_1)
	s_and_not1_b32 vcc_lo, exec_lo, s0
	s_cbranch_vccnz .LBB120_164
; %bb.157:
	global_load_u8 v3, v[0:1], off
	s_mov_b32 s0, 0
	s_mov_b32 s2, exec_lo
                                        ; implicit-def: $sgpr1
	s_waitcnt vmcnt(0)
	v_cmpx_lt_i16_e32 0x7f, v3
	s_xor_b32 s2, exec_lo, s2
	s_cbranch_execz .LBB120_177
; %bb.158:
	s_mov_b32 s0, -1
	s_mov_b32 s11, exec_lo
                                        ; implicit-def: $sgpr1
	v_cmpx_eq_u16_e32 0x80, v3
; %bb.159:
	s_mov_b32 s1, 0x7f800001
	s_xor_b32 s0, exec_lo, -1
; %bb.160:
	s_or_b32 exec_lo, exec_lo, s11
	s_delay_alu instid0(SALU_CYCLE_1)
	s_and_b32 s0, s0, exec_lo
	s_or_saveexec_b32 s2, s2
	v_mov_b32_e32 v2, s1
	s_xor_b32 exec_lo, exec_lo, s2
	s_cbranch_execnz .LBB120_178
.LBB120_161:
	s_or_b32 exec_lo, exec_lo, s2
	s_and_saveexec_b32 s1, s0
	s_cbranch_execz .LBB120_163
.LBB120_162:
	v_and_b32_e32 v2, 0xffff, v3
	v_lshlrev_b32_e32 v3, 24, v3
	s_delay_alu instid0(VALU_DEP_2) | instskip(NEXT) | instid1(VALU_DEP_2)
	v_and_b32_e32 v7, 7, v2
	v_and_b32_e32 v3, 0x80000000, v3
	s_delay_alu instid0(VALU_DEP_2) | instskip(NEXT) | instid1(VALU_DEP_1)
	v_clz_i32_u32_e32 v8, v7
	v_min_u32_e32 v8, 32, v8
	s_delay_alu instid0(VALU_DEP_1) | instskip(SKIP_1) | instid1(VALU_DEP_2)
	v_subrev_nc_u32_e32 v9, 28, v8
	v_sub_nc_u32_e32 v8, 29, v8
	v_lshlrev_b32_e32 v9, v9, v2
	v_bfe_u32 v2, v2, 3, 4
	s_delay_alu instid0(VALU_DEP_2) | instskip(NEXT) | instid1(VALU_DEP_2)
	v_and_b32_e32 v9, 7, v9
	v_cmp_eq_u32_e32 vcc_lo, 0, v2
	s_delay_alu instid0(VALU_DEP_2) | instskip(NEXT) | instid1(VALU_DEP_1)
	v_dual_cndmask_b32 v2, v2, v8 :: v_dual_cndmask_b32 v7, v7, v9
	v_lshl_add_u32 v2, v2, 23, 0x3b800000
	s_delay_alu instid0(VALU_DEP_2) | instskip(NEXT) | instid1(VALU_DEP_1)
	v_lshlrev_b32_e32 v7, 20, v7
	v_or3_b32 v2, v3, v2, v7
.LBB120_163:
	s_or_b32 exec_lo, exec_lo, s1
.LBB120_164:
	s_mov_b32 s0, -1
.LBB120_165:
	s_branch .LBB120_200
.LBB120_166:
	v_cmp_lt_i16_e32 vcc_lo, 22, v6
	s_cbranch_vccz .LBB120_176
; %bb.167:
	v_cmp_gt_i16_e32 vcc_lo, 24, v6
	s_cbranch_vccnz .LBB120_179
; %bb.168:
	v_cmp_lt_i16_e32 vcc_lo, 24, v6
	s_cbranch_vccz .LBB120_180
; %bb.169:
	global_load_u8 v3, v[0:1], off
	s_mov_b32 s0, 0
	s_mov_b32 s2, exec_lo
                                        ; implicit-def: $sgpr1
	s_waitcnt vmcnt(0)
	v_cmpx_lt_i16_e32 0x7f, v3
	s_xor_b32 s2, exec_lo, s2
	s_cbranch_execz .LBB120_192
; %bb.170:
	s_mov_b32 s0, -1
	s_mov_b32 s11, exec_lo
                                        ; implicit-def: $sgpr1
	v_cmpx_eq_u16_e32 0x80, v3
; %bb.171:
	s_mov_b32 s1, 0x7f800001
	s_xor_b32 s0, exec_lo, -1
; %bb.172:
	s_or_b32 exec_lo, exec_lo, s11
	s_delay_alu instid0(SALU_CYCLE_1)
	s_and_b32 s0, s0, exec_lo
	s_or_saveexec_b32 s2, s2
	v_mov_b32_e32 v2, s1
	s_xor_b32 exec_lo, exec_lo, s2
	s_cbranch_execnz .LBB120_193
.LBB120_173:
	s_or_b32 exec_lo, exec_lo, s2
	s_and_saveexec_b32 s1, s0
	s_cbranch_execz .LBB120_175
.LBB120_174:
	v_and_b32_e32 v2, 0xffff, v3
	v_lshlrev_b32_e32 v3, 24, v3
	s_delay_alu instid0(VALU_DEP_2) | instskip(NEXT) | instid1(VALU_DEP_2)
	v_and_b32_e32 v7, 3, v2
	v_and_b32_e32 v3, 0x80000000, v3
	s_delay_alu instid0(VALU_DEP_2) | instskip(NEXT) | instid1(VALU_DEP_1)
	v_clz_i32_u32_e32 v8, v7
	v_min_u32_e32 v8, 32, v8
	s_delay_alu instid0(VALU_DEP_1) | instskip(SKIP_1) | instid1(VALU_DEP_2)
	v_subrev_nc_u32_e32 v9, 29, v8
	v_sub_nc_u32_e32 v8, 30, v8
	v_lshlrev_b32_e32 v9, v9, v2
	v_bfe_u32 v2, v2, 2, 5
	s_delay_alu instid0(VALU_DEP_2) | instskip(NEXT) | instid1(VALU_DEP_2)
	v_and_b32_e32 v9, 3, v9
	v_cmp_eq_u32_e32 vcc_lo, 0, v2
	s_delay_alu instid0(VALU_DEP_2) | instskip(NEXT) | instid1(VALU_DEP_1)
	v_dual_cndmask_b32 v2, v2, v8 :: v_dual_cndmask_b32 v7, v7, v9
	v_lshl_add_u32 v2, v2, 23, 0x37800000
	s_delay_alu instid0(VALU_DEP_2) | instskip(NEXT) | instid1(VALU_DEP_1)
	v_lshlrev_b32_e32 v7, 21, v7
	v_or3_b32 v2, v3, v2, v7
.LBB120_175:
	s_or_b32 exec_lo, exec_lo, s1
	s_mov_b32 s0, 0
	s_branch .LBB120_181
.LBB120_176:
	s_mov_b32 s1, -1
                                        ; implicit-def: $vgpr2
	s_branch .LBB120_187
.LBB120_177:
	s_or_saveexec_b32 s2, s2
	v_mov_b32_e32 v2, s1
	s_xor_b32 exec_lo, exec_lo, s2
	s_cbranch_execz .LBB120_161
.LBB120_178:
	v_cmp_ne_u16_e32 vcc_lo, 0, v3
	v_mov_b32_e32 v2, 0
	s_and_not1_b32 s0, s0, exec_lo
	s_and_b32 s1, vcc_lo, exec_lo
	s_delay_alu instid0(SALU_CYCLE_1)
	s_or_b32 s0, s0, s1
	s_or_b32 exec_lo, exec_lo, s2
	s_and_saveexec_b32 s1, s0
	s_cbranch_execnz .LBB120_162
	s_branch .LBB120_163
.LBB120_179:
	s_mov_b32 s0, -1
                                        ; implicit-def: $vgpr2
	s_branch .LBB120_184
.LBB120_180:
	s_mov_b32 s0, -1
                                        ; implicit-def: $vgpr2
.LBB120_181:
	s_delay_alu instid0(SALU_CYCLE_1)
	s_and_b32 vcc_lo, exec_lo, s0
	s_cbranch_vccz .LBB120_183
; %bb.182:
	global_load_u8 v2, v[0:1], off
	s_waitcnt vmcnt(0)
	v_lshlrev_b32_e32 v2, 24, v2
	s_delay_alu instid0(VALU_DEP_1) | instskip(NEXT) | instid1(VALU_DEP_1)
	v_and_b32_e32 v3, 0x7f000000, v2
	v_clz_i32_u32_e32 v7, v3
	v_add_nc_u32_e32 v9, 0x1000000, v3
	v_cmp_ne_u32_e32 vcc_lo, 0, v3
	s_delay_alu instid0(VALU_DEP_3) | instskip(NEXT) | instid1(VALU_DEP_1)
	v_min_u32_e32 v7, 32, v7
	v_sub_nc_u32_e64 v7, v7, 4 clamp
	s_delay_alu instid0(VALU_DEP_1) | instskip(SKIP_1) | instid1(VALU_DEP_2)
	v_lshlrev_b32_e32 v8, v7, v3
	v_lshlrev_b32_e32 v7, 23, v7
	v_lshrrev_b32_e32 v8, 4, v8
	s_delay_alu instid0(VALU_DEP_1) | instskip(SKIP_1) | instid1(VALU_DEP_2)
	v_sub_nc_u32_e32 v7, v8, v7
	v_ashrrev_i32_e32 v8, 8, v9
	v_add_nc_u32_e32 v7, 0x3c000000, v7
	s_delay_alu instid0(VALU_DEP_1) | instskip(NEXT) | instid1(VALU_DEP_1)
	v_and_or_b32 v7, 0x7f800000, v8, v7
	v_cndmask_b32_e32 v3, 0, v7, vcc_lo
	s_delay_alu instid0(VALU_DEP_1)
	v_and_or_b32 v2, 0x80000000, v2, v3
.LBB120_183:
	s_mov_b32 s0, 0
.LBB120_184:
	s_delay_alu instid0(SALU_CYCLE_1)
	s_and_not1_b32 vcc_lo, exec_lo, s0
	s_cbranch_vccnz .LBB120_186
; %bb.185:
	global_load_u8 v2, v[0:1], off
	s_waitcnt vmcnt(0)
	v_lshlrev_b32_e32 v3, 25, v2
	v_lshlrev_b16 v2, 8, v2
	s_delay_alu instid0(VALU_DEP_1) | instskip(SKIP_1) | instid1(VALU_DEP_2)
	v_and_or_b32 v8, 0x7f00, v2, 0.5
	v_bfe_i32 v2, v2, 0, 16
	v_add_f32_e32 v8, -0.5, v8
	v_lshrrev_b32_e32 v7, 4, v3
	v_cmp_gt_u32_e32 vcc_lo, 0x8000000, v3
	s_delay_alu instid0(VALU_DEP_2) | instskip(NEXT) | instid1(VALU_DEP_1)
	v_or_b32_e32 v7, 0x70000000, v7
	v_mul_f32_e32 v7, 0x7800000, v7
	s_delay_alu instid0(VALU_DEP_1) | instskip(NEXT) | instid1(VALU_DEP_1)
	v_cndmask_b32_e32 v3, v7, v8, vcc_lo
	v_and_or_b32 v2, 0x80000000, v2, v3
.LBB120_186:
	s_mov_b32 s1, 0
	s_mov_b32 s0, -1
.LBB120_187:
	s_and_not1_b32 vcc_lo, exec_lo, s1
	s_cbranch_vccnz .LBB120_200
; %bb.188:
	v_cmp_lt_i16_e32 vcc_lo, 14, v6
	s_cbranch_vccz .LBB120_191
; %bb.189:
	v_cmp_eq_u16_e32 vcc_lo, 15, v6
	s_cbranch_vccz .LBB120_194
; %bb.190:
	global_load_u16 v2, v[0:1], off
	s_mov_b32 s0, -1
	s_mov_b32 s13, 0
	s_waitcnt vmcnt(0)
	v_lshlrev_b32_e32 v2, 16, v2
	s_branch .LBB120_195
.LBB120_191:
	s_mov_b32 s1, -1
                                        ; implicit-def: $vgpr2
	s_branch .LBB120_196
.LBB120_192:
	s_or_saveexec_b32 s2, s2
	v_mov_b32_e32 v2, s1
	s_xor_b32 exec_lo, exec_lo, s2
	s_cbranch_execz .LBB120_173
.LBB120_193:
	v_cmp_ne_u16_e32 vcc_lo, 0, v3
	v_mov_b32_e32 v2, 0
	s_and_not1_b32 s0, s0, exec_lo
	s_and_b32 s1, vcc_lo, exec_lo
	s_delay_alu instid0(SALU_CYCLE_1)
	s_or_b32 s0, s0, s1
	s_or_b32 exec_lo, exec_lo, s2
	s_and_saveexec_b32 s1, s0
	s_cbranch_execnz .LBB120_174
	s_branch .LBB120_175
.LBB120_194:
	s_mov_b32 s13, -1
                                        ; implicit-def: $vgpr2
.LBB120_195:
	s_mov_b32 s1, 0
.LBB120_196:
	s_delay_alu instid0(SALU_CYCLE_1)
	s_and_b32 vcc_lo, exec_lo, s1
	s_cbranch_vccz .LBB120_200
; %bb.197:
	v_cmp_eq_u16_e32 vcc_lo, 11, v6
	s_cbranch_vccz .LBB120_199
; %bb.198:
	global_load_u8 v2, v[0:1], off
	s_mov_b32 s13, 0
	s_mov_b32 s0, -1
	s_waitcnt vmcnt(0)
	v_cmp_ne_u16_e32 vcc_lo, 0, v2
	v_cndmask_b32_e64 v2, 0, 1.0, vcc_lo
	s_branch .LBB120_200
.LBB120_199:
	s_mov_b32 s13, -1
                                        ; implicit-def: $vgpr2
.LBB120_200:
	s_branch .LBB120_10
.LBB120_201:
	v_cmp_gt_i16_e32 vcc_lo, 5, v6
	s_cbranch_vccnz .LBB120_206
; %bb.202:
	v_cmp_gt_i16_e32 vcc_lo, 8, v6
	s_cbranch_vccnz .LBB120_207
; %bb.203:
	;; [unrolled: 3-line block ×3, first 2 shown]
	v_cmp_lt_i16_e32 vcc_lo, 9, v6
	s_cbranch_vccz .LBB120_209
; %bb.205:
	global_load_b64 v[2:3], v[0:1], off
	s_mov_b32 s0, 0
	s_waitcnt vmcnt(0)
	v_cvt_f32_f64_e32 v2, v[2:3]
	s_branch .LBB120_210
.LBB120_206:
                                        ; implicit-def: $vgpr2
	s_branch .LBB120_228
.LBB120_207:
	s_mov_b32 s0, -1
                                        ; implicit-def: $vgpr2
	s_branch .LBB120_216
.LBB120_208:
	s_mov_b32 s0, -1
                                        ; implicit-def: $vgpr2
	s_branch .LBB120_213
.LBB120_209:
	s_mov_b32 s0, -1
                                        ; implicit-def: $vgpr2
.LBB120_210:
	s_delay_alu instid0(SALU_CYCLE_1)
	s_and_not1_b32 vcc_lo, exec_lo, s0
	s_cbranch_vccnz .LBB120_212
; %bb.211:
	global_load_b32 v2, v[0:1], off
.LBB120_212:
	s_mov_b32 s0, 0
.LBB120_213:
	s_delay_alu instid0(SALU_CYCLE_1)
	s_and_not1_b32 vcc_lo, exec_lo, s0
	s_cbranch_vccnz .LBB120_215
; %bb.214:
	global_load_b32 v2, v[0:1], off
	s_waitcnt vmcnt(0)
	v_cvt_f32_f16_e32 v2, v2
.LBB120_215:
	s_mov_b32 s0, 0
.LBB120_216:
	s_delay_alu instid0(SALU_CYCLE_1)
	s_and_not1_b32 vcc_lo, exec_lo, s0
	s_cbranch_vccnz .LBB120_227
; %bb.217:
	v_cmp_gt_i16_e32 vcc_lo, 6, v6
	s_cbranch_vccnz .LBB120_220
; %bb.218:
	v_cmp_lt_i16_e32 vcc_lo, 6, v6
	s_cbranch_vccz .LBB120_221
; %bb.219:
	global_load_b64 v[2:3], v[0:1], off
	s_mov_b32 s0, 0
	s_waitcnt vmcnt(0)
	v_cvt_f32_f64_e32 v2, v[2:3]
	s_branch .LBB120_222
.LBB120_220:
	s_mov_b32 s0, -1
                                        ; implicit-def: $vgpr2
	s_branch .LBB120_225
.LBB120_221:
	s_mov_b32 s0, -1
                                        ; implicit-def: $vgpr2
.LBB120_222:
	s_delay_alu instid0(SALU_CYCLE_1)
	s_and_not1_b32 vcc_lo, exec_lo, s0
	s_cbranch_vccnz .LBB120_224
; %bb.223:
	global_load_b32 v2, v[0:1], off
.LBB120_224:
	s_mov_b32 s0, 0
.LBB120_225:
	s_delay_alu instid0(SALU_CYCLE_1)
	s_and_not1_b32 vcc_lo, exec_lo, s0
	s_cbranch_vccnz .LBB120_227
; %bb.226:
	global_load_u16 v2, v[0:1], off
	s_waitcnt vmcnt(0)
	v_cvt_f32_f16_e32 v2, v2
.LBB120_227:
	s_cbranch_execnz .LBB120_247
.LBB120_228:
	v_cmp_gt_i16_e32 vcc_lo, 2, v6
	s_cbranch_vccnz .LBB120_232
; %bb.229:
	v_cmp_gt_i16_e32 vcc_lo, 3, v6
	s_cbranch_vccnz .LBB120_233
; %bb.230:
	v_cmp_lt_i16_e32 vcc_lo, 3, v6
	s_cbranch_vccz .LBB120_234
; %bb.231:
	global_load_b64 v[2:3], v[0:1], off
	s_mov_b32 s0, 0
	s_waitcnt vmcnt(0)
	v_xor_b32_e32 v7, v2, v3
	v_cls_i32_e32 v8, v3
	s_delay_alu instid0(VALU_DEP_2) | instskip(NEXT) | instid1(VALU_DEP_2)
	v_ashrrev_i32_e32 v7, 31, v7
	v_add_nc_u32_e32 v8, -1, v8
	s_delay_alu instid0(VALU_DEP_2) | instskip(NEXT) | instid1(VALU_DEP_1)
	v_add_nc_u32_e32 v7, 32, v7
	v_min_u32_e32 v7, v8, v7
	s_delay_alu instid0(VALU_DEP_1) | instskip(NEXT) | instid1(VALU_DEP_1)
	v_lshlrev_b64 v[2:3], v7, v[2:3]
	v_min_u32_e32 v2, 1, v2
	s_delay_alu instid0(VALU_DEP_1) | instskip(SKIP_1) | instid1(VALU_DEP_2)
	v_or_b32_e32 v2, v3, v2
	v_sub_nc_u32_e32 v3, 32, v7
	v_cvt_f32_i32_e32 v2, v2
	s_delay_alu instid0(VALU_DEP_1)
	v_ldexp_f32 v2, v2, v3
	s_branch .LBB120_235
.LBB120_232:
	s_mov_b32 s0, -1
                                        ; implicit-def: $vgpr2
	s_branch .LBB120_241
.LBB120_233:
	s_mov_b32 s0, -1
                                        ; implicit-def: $vgpr2
	s_branch .LBB120_238
.LBB120_234:
	s_mov_b32 s0, -1
                                        ; implicit-def: $vgpr2
.LBB120_235:
	s_delay_alu instid0(SALU_CYCLE_1)
	s_and_not1_b32 vcc_lo, exec_lo, s0
	s_cbranch_vccnz .LBB120_237
; %bb.236:
	global_load_b32 v2, v[0:1], off
	s_waitcnt vmcnt(0)
	v_cvt_f32_i32_e32 v2, v2
.LBB120_237:
	s_mov_b32 s0, 0
.LBB120_238:
	s_delay_alu instid0(SALU_CYCLE_1)
	s_and_not1_b32 vcc_lo, exec_lo, s0
	s_cbranch_vccnz .LBB120_240
; %bb.239:
	global_load_i16 v2, v[0:1], off
	s_waitcnt vmcnt(0)
	v_cvt_f32_i32_e32 v2, v2
.LBB120_240:
	s_mov_b32 s0, 0
.LBB120_241:
	s_delay_alu instid0(SALU_CYCLE_1)
	s_and_not1_b32 vcc_lo, exec_lo, s0
	s_cbranch_vccnz .LBB120_247
; %bb.242:
	v_cmp_lt_i16_e32 vcc_lo, 0, v6
	s_mov_b32 s0, 0
	s_cbranch_vccz .LBB120_244
; %bb.243:
	global_load_i8 v2, v[0:1], off
	s_waitcnt vmcnt(0)
	v_cvt_f32_i32_e32 v2, v2
	s_branch .LBB120_245
.LBB120_244:
	s_mov_b32 s0, -1
                                        ; implicit-def: $vgpr2
.LBB120_245:
	s_delay_alu instid0(SALU_CYCLE_1)
	s_and_not1_b32 vcc_lo, exec_lo, s0
	s_cbranch_vccnz .LBB120_247
; %bb.246:
	global_load_u8 v0, v[0:1], off
	s_waitcnt vmcnt(0)
	v_cvt_f32_ubyte0_e32 v2, v0
.LBB120_247:
	s_branch .LBB120_11
.LBB120_248:
	s_mov_b32 s2, 0
.LBB120_249:
	s_mov_b32 s0, 0
                                        ; implicit-def: $vgpr5
.LBB120_250:
	s_and_b32 s11, s2, exec_lo
	s_and_b32 s13, s13, exec_lo
	s_or_not1_b32 s1, s0, exec_lo
.LBB120_251:
	s_or_b32 exec_lo, exec_lo, s14
	s_mov_b32 s2, 0
	s_mov_b32 s0, 0
                                        ; implicit-def: $vgpr0_vgpr1
                                        ; implicit-def: $vgpr3
	s_and_saveexec_b32 s14, s1
	s_cbranch_execz .LBB120_859
; %bb.252:
	s_mov_b32 s18, -1
	s_mov_b32 s15, s13
	s_mov_b32 s16, s11
	s_mov_b32 s17, exec_lo
	v_cmpx_gt_i32_e64 s12, v5
	s_cbranch_execz .LBB120_511
; %bb.253:
	v_mul_lo_u32 v0, v5, s9
	v_cmp_gt_i16_e32 vcc_lo, 11, v6
	s_delay_alu instid0(VALU_DEP_2) | instskip(SKIP_1) | instid1(VALU_DEP_1)
	v_ashrrev_i32_e32 v1, 31, v0
	v_add_co_u32 v0, s0, s6, v0
	v_add_co_ci_u32_e64 v1, s0, s7, v1, s0
	s_cbranch_vccnz .LBB120_260
; %bb.254:
	v_cmp_lt_i16_e32 vcc_lo, 25, v6
	s_cbranch_vccz .LBB120_269
; %bb.255:
	v_cmp_lt_i16_e32 vcc_lo, 28, v6
	s_cbranch_vccz .LBB120_271
	;; [unrolled: 3-line block ×4, first 2 shown]
; %bb.258:
	v_cmp_eq_u16_e32 vcc_lo, 46, v6
	s_mov_b32 s1, 0
	s_cbranch_vccz .LBB120_281
; %bb.259:
	global_load_b32 v2, v[0:1], off
	s_mov_b32 s0, -1
	s_mov_b32 s15, 0
	s_waitcnt vmcnt(0)
	v_lshlrev_b32_e32 v2, 16, v2
	s_branch .LBB120_283
.LBB120_260:
	s_mov_b32 s0, 0
	s_mov_b32 s15, s13
                                        ; implicit-def: $vgpr2
	s_cbranch_execnz .LBB120_460
.LBB120_261:
	s_and_not1_b32 vcc_lo, exec_lo, s0
	s_cbranch_vccnz .LBB120_508
.LBB120_262:
	s_waitcnt vmcnt(0)
	s_delay_alu instid0(VALU_DEP_1) | instskip(SKIP_1) | instid1(VALU_DEP_1)
	v_mul_f32_e32 v0, 0x3fb8aa3b, v2
	s_mov_b32 s0, 0x395133b1
	v_rndne_f32_e32 v0, v0
	s_delay_alu instid0(VALU_DEP_1) | instskip(SKIP_2) | instid1(VALU_DEP_3)
	v_fmamk_f32 v1, v0, 0xbf317218, v2
	v_cvt_i32_f32_e32 v7, v0
	v_cmp_eq_f32_e32 vcc_lo, 0x43000000, v0
	v_fmamk_f32 v1, v0, 0x3102e308, v1
	s_delay_alu instid0(VALU_DEP_3) | instskip(SKIP_1) | instid1(VALU_DEP_3)
	v_cndmask_b32_e64 v0, v7, 0x7f, vcc_lo
	v_and_b32_e32 v7, 0xff, v4
	v_fmaak_f32 v3, s0, v1, 0x3ab69700
	v_cmp_lt_f32_e64 s0, 0x42b17217, v2
	s_delay_alu instid0(VALU_DEP_4) | instskip(NEXT) | instid1(VALU_DEP_1)
	v_ldexp_f32 v0, 1.0, v0
	v_dual_add_f32 v8, -1.0, v0 :: v_dual_fmaak_f32 v3, v1, v3, 0x3c0887f9
	s_delay_alu instid0(VALU_DEP_1) | instskip(NEXT) | instid1(VALU_DEP_1)
	v_fmaak_f32 v3, v1, v3, 0x3d2aaa81
	v_fmaak_f32 v3, v1, v3, 0x3e2aaaab
	s_delay_alu instid0(VALU_DEP_1) | instskip(NEXT) | instid1(VALU_DEP_1)
	v_fma_f32 v3, v1, v3, 0.5
	v_mul_f32_e32 v3, v1, v3
	s_delay_alu instid0(VALU_DEP_1) | instskip(NEXT) | instid1(VALU_DEP_1)
	v_fmac_f32_e32 v1, v1, v3
	v_fmac_f32_e32 v8, v0, v1
	v_mul_lo_u32 v0, v5, s8
	s_delay_alu instid0(VALU_DEP_2) | instskip(NEXT) | instid1(VALU_DEP_1)
	v_add_f32_e32 v1, v8, v8
	v_cndmask_b32_e32 v3, v8, v1, vcc_lo
	s_delay_alu instid0(VALU_DEP_3) | instskip(SKIP_2) | instid1(VALU_DEP_4)
	v_ashrrev_i32_e32 v1, 31, v0
	v_add_co_u32 v0, s1, s4, v0
	v_cmp_gt_i16_e32 vcc_lo, 11, v7
	v_cndmask_b32_e64 v8, v3, 0x7f800000, s0
	s_delay_alu instid0(VALU_DEP_4) | instskip(SKIP_1) | instid1(VALU_DEP_1)
	v_add_co_ci_u32_e64 v1, s1, s5, v1, s1
	v_cmp_gt_f32_e64 s1, 0xc1880000, v2
	v_cndmask_b32_e64 v2, v8, -1.0, s1
	s_cbranch_vccnz .LBB120_270
; %bb.263:
	v_cmp_lt_i16_e32 vcc_lo, 25, v7
	s_cbranch_vccz .LBB120_272
; %bb.264:
	v_cmp_lt_i16_e32 vcc_lo, 28, v7
	s_cbranch_vccz .LBB120_274
	;; [unrolled: 3-line block ×4, first 2 shown]
; %bb.267:
	v_cmp_eq_u16_e32 vcc_lo, 46, v7
	s_mov_b32 s18, 0
	s_mov_b32 s2, -1
	s_mov_b32 s16, 0
	s_cbranch_vccz .LBB120_287
; %bb.268:
	v_bfe_u32 v8, v2, 16, 1
	v_cmp_o_f32_e32 vcc_lo, v2, v2
	s_mov_b32 s16, -1
	s_mov_b32 s2, 0
	s_delay_alu instid0(VALU_DEP_2) | instskip(NEXT) | instid1(VALU_DEP_1)
	v_add3_u32 v8, v2, v8, 0x7fff
	v_lshrrev_b32_e32 v8, 16, v8
	s_delay_alu instid0(VALU_DEP_1)
	v_cndmask_b32_e32 v8, 0x7fc0, v8, vcc_lo
	global_store_b32 v[0:1], v8, off
	s_branch .LBB120_287
.LBB120_269:
	s_mov_b32 s1, -1
	s_mov_b32 s0, 0
	s_mov_b32 s15, s13
                                        ; implicit-def: $vgpr2
	s_branch .LBB120_424
.LBB120_270:
	s_mov_b32 s0, -1
	s_mov_b32 s16, 0
	s_mov_b32 s2, s11
	s_branch .LBB120_356
.LBB120_271:
	s_mov_b32 s1, -1
	s_mov_b32 s0, 0
	s_mov_b32 s15, s13
                                        ; implicit-def: $vgpr2
	s_branch .LBB120_405
.LBB120_272:
	s_mov_b32 s16, 0
	s_mov_b32 s2, s11
	s_branch .LBB120_314
.LBB120_273:
	s_mov_b32 s1, -1
	s_mov_b32 s0, 0
	s_mov_b32 s15, s13
                                        ; implicit-def: $vgpr2
	s_branch .LBB120_400
.LBB120_274:
	s_mov_b32 s16, 0
	s_mov_b32 s2, s11
	s_branch .LBB120_297
.LBB120_275:
	s_or_saveexec_b32 s17, s17
                                        ; implicit-def: $sgpr18
	s_delay_alu instid0(SALU_CYCLE_1)
	s_xor_b32 exec_lo, exec_lo, s17
	s_cbranch_execz .LBB120_53
.LBB120_276:
	v_add_f32_e32 v8, 0x46000000, v9
	s_and_not1_b32 s16, s16, exec_lo
	s_mov_b32 s18, 0
	s_delay_alu instid0(VALU_DEP_1) | instskip(NEXT) | instid1(VALU_DEP_1)
	v_and_b32_e32 v8, 0xff, v8
	v_cmp_ne_u32_e32 vcc_lo, 0, v8
	s_and_b32 s19, vcc_lo, exec_lo
	s_delay_alu instid0(SALU_CYCLE_1)
	s_or_b32 s16, s16, s19
	s_or_b32 exec_lo, exec_lo, s17
	v_mov_b32_e32 v10, s18
	s_and_saveexec_b32 s17, s16
	s_cbranch_execnz .LBB120_54
	s_branch .LBB120_55
.LBB120_277:
	s_mov_b32 s1, -1
	s_mov_b32 s0, 0
	s_mov_b32 s15, s13
	s_branch .LBB120_282
.LBB120_278:
	s_mov_b32 s16, 0
	s_mov_b32 s2, s11
	s_branch .LBB120_293
.LBB120_279:
	s_or_saveexec_b32 s17, s17
                                        ; implicit-def: $sgpr18
	s_delay_alu instid0(SALU_CYCLE_1)
	s_xor_b32 exec_lo, exec_lo, s17
	s_cbranch_execz .LBB120_66
.LBB120_280:
	v_add_f32_e32 v8, 0x42800000, v9
	s_and_not1_b32 s16, s16, exec_lo
	s_mov_b32 s18, 0
	s_delay_alu instid0(VALU_DEP_1) | instskip(NEXT) | instid1(VALU_DEP_1)
	v_and_b32_e32 v8, 0xff, v8
	v_cmp_ne_u32_e32 vcc_lo, 0, v8
	s_and_b32 s19, vcc_lo, exec_lo
	s_delay_alu instid0(SALU_CYCLE_1)
	s_or_b32 s16, s16, s19
	s_or_b32 exec_lo, exec_lo, s17
	v_mov_b32_e32 v10, s18
	s_and_saveexec_b32 s17, s16
	s_cbranch_execnz .LBB120_67
	s_branch .LBB120_68
.LBB120_281:
	s_mov_b32 s15, -1
	s_mov_b32 s0, 0
.LBB120_282:
                                        ; implicit-def: $vgpr2
.LBB120_283:
	s_and_b32 vcc_lo, exec_lo, s1
	s_cbranch_vccz .LBB120_399
; %bb.284:
	v_cmp_eq_u16_e32 vcc_lo, 44, v6
	s_cbranch_vccz .LBB120_398
; %bb.285:
	global_load_u8 v2, v[0:1], off
	s_mov_b32 s15, 0
	s_mov_b32 s0, -1
	s_waitcnt vmcnt(0)
	v_lshlrev_b32_e32 v3, 23, v2
	v_cmp_ne_u32_e32 vcc_lo, 0xff, v2
	s_delay_alu instid0(VALU_DEP_2) | instskip(SKIP_1) | instid1(VALU_DEP_2)
	v_cndmask_b32_e32 v3, 0x7f800001, v3, vcc_lo
	v_cmp_ne_u32_e32 vcc_lo, 0, v2
	v_cndmask_b32_e32 v2, 0x400000, v3, vcc_lo
	s_branch .LBB120_399
.LBB120_286:
	s_mov_b32 s16, 0
	s_mov_b32 s2, s11
.LBB120_287:
	s_and_b32 vcc_lo, exec_lo, s18
	s_cbranch_vccz .LBB120_292
; %bb.288:
	v_cmp_eq_u16_e32 vcc_lo, 44, v7
	s_mov_b32 s2, -1
	s_cbranch_vccz .LBB120_292
; %bb.289:
	v_bfe_u32 v9, v2, 23, 8
	v_mov_b32_e32 v8, 0xff
	s_mov_b32 s16, exec_lo
	s_delay_alu instid0(VALU_DEP_2)
	v_cmpx_ne_u32_e32 0xff, v9
; %bb.290:
	v_and_b32_e32 v8, 0x400000, v2
	v_and_or_b32 v9, 0x3fffff, v2, v9
	s_delay_alu instid0(VALU_DEP_2) | instskip(NEXT) | instid1(VALU_DEP_2)
	v_cmp_ne_u32_e32 vcc_lo, 0, v8
	v_cmp_ne_u32_e64 s2, 0, v9
	v_lshrrev_b32_e32 v8, 23, v2
	s_delay_alu instid0(VALU_DEP_2) | instskip(NEXT) | instid1(SALU_CYCLE_1)
	s_and_b32 s2, vcc_lo, s2
	v_cndmask_b32_e64 v9, 0, 1, s2
	s_delay_alu instid0(VALU_DEP_1)
	v_add_nc_u32_e32 v8, v8, v9
; %bb.291:
	s_or_b32 exec_lo, exec_lo, s16
	s_mov_b32 s16, -1
	s_mov_b32 s2, 0
	global_store_b8 v[0:1], v8, off
.LBB120_292:
	s_mov_b32 s18, 0
.LBB120_293:
	s_delay_alu instid0(SALU_CYCLE_1)
	s_and_b32 vcc_lo, exec_lo, s18
	s_cbranch_vccz .LBB120_296
; %bb.294:
	v_cmp_eq_u16_e32 vcc_lo, 29, v7
	s_mov_b32 s2, -1
	s_cbranch_vccz .LBB120_296
; %bb.295:
	v_trunc_f32_e32 v8, v2
	s_mov_b32 s16, -1
	s_mov_b32 s2, 0
	s_mov_b32 s18, 0
	s_delay_alu instid0(VALU_DEP_1) | instskip(NEXT) | instid1(VALU_DEP_1)
	v_mul_f32_e32 v9, 0x2f800000, v8
	v_floor_f32_e32 v9, v9
	s_delay_alu instid0(VALU_DEP_1) | instskip(SKIP_1) | instid1(VALU_DEP_2)
	v_fmamk_f32 v8, v9, 0xcf800000, v8
	v_cvt_u32_f32_e32 v9, v9
	v_cvt_u32_f32_e32 v8, v8
	global_store_b64 v[0:1], v[8:9], off
	s_branch .LBB120_297
.LBB120_296:
	s_mov_b32 s18, 0
.LBB120_297:
	s_delay_alu instid0(SALU_CYCLE_1)
	s_and_b32 vcc_lo, exec_lo, s18
	s_cbranch_vccz .LBB120_313
; %bb.298:
	v_cmp_gt_i16_e32 vcc_lo, 27, v7
	s_mov_b32 s16, -1
	s_cbranch_vccnz .LBB120_304
; %bb.299:
	v_cmp_lt_i16_e32 vcc_lo, 27, v7
	s_cbranch_vccz .LBB120_301
; %bb.300:
	v_cvt_u32_f32_e32 v8, v2
	s_mov_b32 s16, 0
	global_store_b32 v[0:1], v8, off
.LBB120_301:
	s_and_not1_b32 vcc_lo, exec_lo, s16
	s_cbranch_vccnz .LBB120_303
; %bb.302:
	v_cvt_u32_f32_e32 v8, v2
	global_store_b16 v[0:1], v8, off
.LBB120_303:
	s_mov_b32 s16, 0
.LBB120_304:
	s_delay_alu instid0(SALU_CYCLE_1)
	s_and_not1_b32 vcc_lo, exec_lo, s16
	s_cbranch_vccnz .LBB120_312
; %bb.305:
	v_cndmask_b32_e64 v8, |v3|, 0x7f800000, s0
	v_mov_b32_e32 v10, 0x80
	s_mov_b32 s16, exec_lo
	s_delay_alu instid0(VALU_DEP_2) | instskip(NEXT) | instid1(VALU_DEP_1)
	v_cndmask_b32_e64 v9, v8, 1.0, s1
	v_cmpx_gt_u32_e32 0x43800000, v9
	s_cbranch_execz .LBB120_311
; %bb.306:
	s_mov_b32 s18, 0
	s_mov_b32 s19, exec_lo
                                        ; implicit-def: $vgpr8
	v_cmpx_lt_u32_e32 0x3bffffff, v9
	s_xor_b32 s19, exec_lo, s19
	s_cbranch_execz .LBB120_524
; %bb.307:
	v_bfe_u32 v8, v2, 20, 1
	s_mov_b32 s18, exec_lo
                                        ; implicit-def: $vgpr9
	s_delay_alu instid0(VALU_DEP_1) | instskip(NEXT) | instid1(VALU_DEP_1)
	v_add3_u32 v8, v2, v8, 0x487ffff
	v_lshrrev_b32_e32 v8, 20, v8
	s_or_saveexec_b32 s19, s19
                                        ; implicit-def: $sgpr20
	s_delay_alu instid0(SALU_CYCLE_1)
	s_xor_b32 exec_lo, exec_lo, s19
	s_cbranch_execnz .LBB120_525
.LBB120_308:
	s_or_b32 exec_lo, exec_lo, s19
	v_mov_b32_e32 v10, s20
	s_and_saveexec_b32 s19, s18
.LBB120_309:
	v_lshrrev_b32_e32 v9, 24, v2
	s_delay_alu instid0(VALU_DEP_1)
	v_and_or_b32 v10, 0x80, v9, v8
.LBB120_310:
	s_or_b32 exec_lo, exec_lo, s19
.LBB120_311:
	s_delay_alu instid0(SALU_CYCLE_1)
	s_or_b32 exec_lo, exec_lo, s16
	global_store_b8 v[0:1], v10, off
.LBB120_312:
	s_mov_b32 s16, -1
.LBB120_313:
	s_mov_b32 s18, 0
.LBB120_314:
	s_delay_alu instid0(SALU_CYCLE_1)
	s_and_b32 vcc_lo, exec_lo, s18
	s_cbranch_vccz .LBB120_355
; %bb.315:
	v_cmp_lt_i16_e32 vcc_lo, 22, v7
	s_mov_b32 s18, -1
	s_cbranch_vccz .LBB120_347
; %bb.316:
	v_cmp_gt_i16_e32 vcc_lo, 24, v7
	s_mov_b32 s16, -1
	s_cbranch_vccnz .LBB120_336
; %bb.317:
	v_cmp_lt_i16_e32 vcc_lo, 24, v7
	s_cbranch_vccz .LBB120_325
; %bb.318:
	v_cndmask_b32_e64 v8, |v3|, 0x7f800000, s0
	v_mov_b32_e32 v10, 0x80
	s_mov_b32 s16, exec_lo
	s_delay_alu instid0(VALU_DEP_2) | instskip(NEXT) | instid1(VALU_DEP_1)
	v_cndmask_b32_e64 v9, v8, 1.0, s1
	v_cmpx_gt_u32_e32 0x47800000, v9
	s_cbranch_execz .LBB120_324
; %bb.319:
	s_mov_b32 s18, 0
	s_mov_b32 s19, exec_lo
                                        ; implicit-def: $vgpr8
	v_cmpx_lt_u32_e32 0x37ffffff, v9
	s_xor_b32 s19, exec_lo, s19
	s_cbranch_execz .LBB120_527
; %bb.320:
	v_bfe_u32 v8, v2, 21, 1
	s_mov_b32 s18, exec_lo
                                        ; implicit-def: $vgpr9
	s_delay_alu instid0(VALU_DEP_1) | instskip(NEXT) | instid1(VALU_DEP_1)
	v_add3_u32 v8, v2, v8, 0x88fffff
	v_lshrrev_b32_e32 v8, 21, v8
	s_or_saveexec_b32 s19, s19
                                        ; implicit-def: $sgpr20
	s_delay_alu instid0(SALU_CYCLE_1)
	s_xor_b32 exec_lo, exec_lo, s19
	s_cbranch_execnz .LBB120_528
.LBB120_321:
	s_or_b32 exec_lo, exec_lo, s19
	v_mov_b32_e32 v10, s20
	s_and_saveexec_b32 s19, s18
.LBB120_322:
	v_lshrrev_b32_e32 v9, 24, v2
	s_delay_alu instid0(VALU_DEP_1)
	v_and_or_b32 v10, 0x80, v9, v8
.LBB120_323:
	s_or_b32 exec_lo, exec_lo, s19
.LBB120_324:
	s_delay_alu instid0(SALU_CYCLE_1)
	s_or_b32 exec_lo, exec_lo, s16
	s_mov_b32 s16, 0
	global_store_b8 v[0:1], v10, off
.LBB120_325:
	s_and_b32 vcc_lo, exec_lo, s16
	s_cbranch_vccz .LBB120_335
; %bb.326:
	v_cndmask_b32_e64 v8, |v3|, 0x7f800000, s0
	s_mov_b32 s16, exec_lo
	s_delay_alu instid0(VALU_DEP_1) | instskip(NEXT) | instid1(VALU_DEP_1)
	v_cndmask_b32_e64 v9, v8, 1.0, s1
                                        ; implicit-def: $vgpr8
	v_cmpx_gt_u32_e32 0x43f00000, v9
	s_xor_b32 s16, exec_lo, s16
	s_cbranch_execz .LBB120_332
; %bb.327:
	s_mov_b32 s18, exec_lo
                                        ; implicit-def: $vgpr8
	v_cmpx_lt_u32_e32 0x3c7fffff, v9
	s_xor_b32 s18, exec_lo, s18
; %bb.328:
	v_bfe_u32 v8, v2, 20, 1
	s_delay_alu instid0(VALU_DEP_1) | instskip(NEXT) | instid1(VALU_DEP_1)
	v_add3_u32 v8, v2, v8, 0x407ffff
	v_and_b32_e32 v9, 0xff00000, v8
	v_lshrrev_b32_e32 v8, 20, v8
	s_delay_alu instid0(VALU_DEP_2) | instskip(NEXT) | instid1(VALU_DEP_2)
	v_cmp_ne_u32_e32 vcc_lo, 0x7f00000, v9
                                        ; implicit-def: $vgpr9
	v_cndmask_b32_e32 v8, 0x7e, v8, vcc_lo
; %bb.329:
	s_and_not1_saveexec_b32 s18, s18
; %bb.330:
	v_add_f32_e32 v8, 0x46800000, v9
; %bb.331:
	s_or_b32 exec_lo, exec_lo, s18
                                        ; implicit-def: $vgpr9
.LBB120_332:
	s_and_not1_saveexec_b32 s16, s16
; %bb.333:
	v_mov_b32_e32 v8, 0x7f
	v_cmp_lt_u32_e32 vcc_lo, 0x7f800000, v9
	s_delay_alu instid0(VALU_DEP_2)
	v_cndmask_b32_e32 v8, 0x7e, v8, vcc_lo
; %bb.334:
	s_or_b32 exec_lo, exec_lo, s16
	v_lshrrev_b32_e32 v9, 24, v2
	s_delay_alu instid0(VALU_DEP_1)
	v_and_or_b32 v8, 0x80, v9, v8
	global_store_b8 v[0:1], v8, off
.LBB120_335:
	s_mov_b32 s16, 0
.LBB120_336:
	s_delay_alu instid0(SALU_CYCLE_1)
	s_and_not1_b32 vcc_lo, exec_lo, s16
	s_cbranch_vccnz .LBB120_346
; %bb.337:
	v_cndmask_b32_e64 v3, |v3|, 0x7f800000, s0
	s_mov_b32 s0, exec_lo
	s_delay_alu instid0(VALU_DEP_1) | instskip(NEXT) | instid1(VALU_DEP_1)
	v_cndmask_b32_e64 v8, v3, 1.0, s1
                                        ; implicit-def: $vgpr3
	v_cmpx_gt_u32_e32 0x47800000, v8
	s_xor_b32 s0, exec_lo, s0
	s_cbranch_execz .LBB120_343
; %bb.338:
	s_mov_b32 s1, exec_lo
                                        ; implicit-def: $vgpr3
	v_cmpx_lt_u32_e32 0x387fffff, v8
	s_xor_b32 s1, exec_lo, s1
; %bb.339:
	v_bfe_u32 v3, v2, 21, 1
                                        ; implicit-def: $vgpr8
	s_delay_alu instid0(VALU_DEP_1) | instskip(NEXT) | instid1(VALU_DEP_1)
	v_add3_u32 v3, v2, v3, 0x80fffff
	v_lshrrev_b32_e32 v3, 21, v3
; %bb.340:
	s_and_not1_saveexec_b32 s1, s1
; %bb.341:
	v_add_f32_e32 v3, 0x43000000, v8
; %bb.342:
	s_or_b32 exec_lo, exec_lo, s1
                                        ; implicit-def: $vgpr8
.LBB120_343:
	s_and_not1_saveexec_b32 s0, s0
; %bb.344:
	v_mov_b32_e32 v3, 0x7f
	v_cmp_lt_u32_e32 vcc_lo, 0x7f800000, v8
	s_delay_alu instid0(VALU_DEP_2)
	v_cndmask_b32_e32 v3, 0x7c, v3, vcc_lo
; %bb.345:
	s_or_b32 exec_lo, exec_lo, s0
	v_lshrrev_b32_e32 v8, 24, v2
	s_delay_alu instid0(VALU_DEP_1)
	v_and_or_b32 v3, 0x80, v8, v3
	global_store_b8 v[0:1], v3, off
.LBB120_346:
	s_mov_b32 s18, 0
	s_mov_b32 s16, -1
.LBB120_347:
	s_and_not1_b32 vcc_lo, exec_lo, s18
	s_cbranch_vccnz .LBB120_355
; %bb.348:
	v_cmp_lt_i16_e32 vcc_lo, 14, v7
	s_mov_b32 s0, -1
	s_cbranch_vccz .LBB120_352
; %bb.349:
	v_cmp_eq_u16_e32 vcc_lo, 15, v7
	s_mov_b32 s2, -1
	s_cbranch_vccz .LBB120_351
; %bb.350:
	v_bfe_u32 v3, v2, 16, 1
	v_cmp_o_f32_e32 vcc_lo, v2, v2
	s_mov_b32 s16, -1
	s_mov_b32 s2, 0
	s_delay_alu instid0(VALU_DEP_2) | instskip(NEXT) | instid1(VALU_DEP_1)
	v_add3_u32 v3, v2, v3, 0x7fff
	v_lshrrev_b32_e32 v3, 16, v3
	s_delay_alu instid0(VALU_DEP_1)
	v_cndmask_b32_e32 v3, 0x7fc0, v3, vcc_lo
	global_store_b16 v[0:1], v3, off
.LBB120_351:
	s_mov_b32 s0, 0
.LBB120_352:
	s_delay_alu instid0(SALU_CYCLE_1)
	s_and_b32 vcc_lo, exec_lo, s0
	s_cbranch_vccz .LBB120_355
; %bb.353:
	v_cmp_eq_u16_e32 vcc_lo, 11, v7
	s_mov_b32 s2, -1
	s_cbranch_vccz .LBB120_355
; %bb.354:
	v_cmp_neq_f32_e32 vcc_lo, 0, v2
	s_mov_b32 s2, 0
	s_mov_b32 s16, -1
	v_cndmask_b32_e64 v3, 0, 1, vcc_lo
	global_store_b8 v[0:1], v3, off
.LBB120_355:
	s_mov_b32 s0, 0
.LBB120_356:
	s_delay_alu instid0(SALU_CYCLE_1)
	s_and_b32 vcc_lo, exec_lo, s0
	s_cbranch_vccz .LBB120_395
; %bb.357:
	v_cmp_gt_i16_e32 vcc_lo, 5, v7
	s_mov_b32 s0, -1
	s_cbranch_vccnz .LBB120_378
; %bb.358:
	v_cmp_gt_i16_e32 vcc_lo, 8, v7
	s_cbranch_vccnz .LBB120_368
; %bb.359:
	v_cmp_gt_i16_e32 vcc_lo, 9, v7
	s_cbranch_vccnz .LBB120_365
; %bb.360:
	v_cmp_lt_i16_e32 vcc_lo, 9, v7
	s_cbranch_vccz .LBB120_362
; %bb.361:
	v_cvt_f64_f32_e32 v[8:9], v2
	v_mov_b32_e32 v10, 0
	s_mov_b32 s0, 0
	s_delay_alu instid0(VALU_DEP_1)
	v_mov_b32_e32 v11, v10
	global_store_b128 v[0:1], v[8:11], off
.LBB120_362:
	s_and_not1_b32 vcc_lo, exec_lo, s0
	s_cbranch_vccnz .LBB120_364
; %bb.363:
	v_mov_b32_e32 v3, 0
	global_store_b64 v[0:1], v[2:3], off
.LBB120_364:
	s_mov_b32 s0, 0
.LBB120_365:
	s_delay_alu instid0(SALU_CYCLE_1)
	s_and_not1_b32 vcc_lo, exec_lo, s0
	s_cbranch_vccnz .LBB120_367
; %bb.366:
	v_cvt_f16_f32_e32 v3, v2
	s_delay_alu instid0(VALU_DEP_1)
	v_and_b32_e32 v3, 0xffff, v3
	global_store_b32 v[0:1], v3, off
.LBB120_367:
	s_mov_b32 s0, 0
.LBB120_368:
	s_delay_alu instid0(SALU_CYCLE_1)
	s_and_not1_b32 vcc_lo, exec_lo, s0
	s_cbranch_vccnz .LBB120_377
; %bb.369:
	v_cmp_gt_i16_e32 vcc_lo, 6, v7
	s_mov_b32 s0, -1
	s_cbranch_vccnz .LBB120_375
; %bb.370:
	v_cmp_lt_i16_e32 vcc_lo, 6, v7
	s_cbranch_vccz .LBB120_372
; %bb.371:
	v_cvt_f64_f32_e32 v[8:9], v2
	s_mov_b32 s0, 0
	global_store_b64 v[0:1], v[8:9], off
.LBB120_372:
	s_and_not1_b32 vcc_lo, exec_lo, s0
	s_cbranch_vccnz .LBB120_374
; %bb.373:
	global_store_b32 v[0:1], v2, off
.LBB120_374:
	s_mov_b32 s0, 0
.LBB120_375:
	s_delay_alu instid0(SALU_CYCLE_1)
	s_and_not1_b32 vcc_lo, exec_lo, s0
	s_cbranch_vccnz .LBB120_377
; %bb.376:
	v_cvt_f16_f32_e32 v3, v2
	global_store_b16 v[0:1], v3, off
.LBB120_377:
	s_mov_b32 s0, 0
.LBB120_378:
	s_delay_alu instid0(SALU_CYCLE_1)
	s_and_not1_b32 vcc_lo, exec_lo, s0
	s_cbranch_vccnz .LBB120_394
; %bb.379:
	v_cmp_gt_i16_e32 vcc_lo, 2, v7
	s_mov_b32 s0, -1
	s_cbranch_vccnz .LBB120_389
; %bb.380:
	v_cmp_gt_i16_e32 vcc_lo, 3, v7
	s_cbranch_vccnz .LBB120_386
; %bb.381:
	v_cmp_lt_i16_e32 vcc_lo, 3, v7
	s_cbranch_vccz .LBB120_383
; %bb.382:
	v_trunc_f32_e32 v3, v2
	s_mov_b32 s0, 0
	s_delay_alu instid0(VALU_DEP_1) | instskip(NEXT) | instid1(VALU_DEP_1)
	v_mul_f32_e64 v8, 0x2f800000, |v3|
	v_floor_f32_e32 v8, v8
	s_delay_alu instid0(VALU_DEP_1) | instskip(SKIP_2) | instid1(VALU_DEP_3)
	v_fma_f32 v9, 0xcf800000, v8, |v3|
	v_ashrrev_i32_e32 v3, 31, v3
	v_cvt_u32_f32_e32 v8, v8
	v_cvt_u32_f32_e32 v9, v9
	s_delay_alu instid0(VALU_DEP_2) | instskip(NEXT) | instid1(VALU_DEP_2)
	v_xor_b32_e32 v10, v8, v3
	v_xor_b32_e32 v9, v9, v3
	s_delay_alu instid0(VALU_DEP_1) | instskip(NEXT) | instid1(VALU_DEP_3)
	v_sub_co_u32 v8, vcc_lo, v9, v3
	v_sub_co_ci_u32_e32 v9, vcc_lo, v10, v3, vcc_lo
	global_store_b64 v[0:1], v[8:9], off
.LBB120_383:
	s_and_not1_b32 vcc_lo, exec_lo, s0
	s_cbranch_vccnz .LBB120_385
; %bb.384:
	v_cvt_i32_f32_e32 v3, v2
	global_store_b32 v[0:1], v3, off
.LBB120_385:
	s_mov_b32 s0, 0
.LBB120_386:
	s_delay_alu instid0(SALU_CYCLE_1)
	s_and_not1_b32 vcc_lo, exec_lo, s0
	s_cbranch_vccnz .LBB120_388
; %bb.387:
	v_cvt_i32_f32_e32 v3, v2
	global_store_b16 v[0:1], v3, off
.LBB120_388:
	s_mov_b32 s0, 0
.LBB120_389:
	s_delay_alu instid0(SALU_CYCLE_1)
	s_and_not1_b32 vcc_lo, exec_lo, s0
	s_cbranch_vccnz .LBB120_394
; %bb.390:
	v_cmp_lt_i16_e32 vcc_lo, 0, v7
	s_mov_b32 s0, -1
	s_cbranch_vccz .LBB120_392
; %bb.391:
	v_cvt_i32_f32_e32 v3, v2
	s_mov_b32 s0, 0
	global_store_b8 v[0:1], v3, off
.LBB120_392:
	s_and_not1_b32 vcc_lo, exec_lo, s0
	s_cbranch_vccnz .LBB120_394
; %bb.393:
	v_trunc_f32_e32 v2, v2
	s_delay_alu instid0(VALU_DEP_1) | instskip(NEXT) | instid1(VALU_DEP_1)
	v_mul_f32_e64 v3, 0x2f800000, |v2|
	v_floor_f32_e32 v3, v3
	s_delay_alu instid0(VALU_DEP_1) | instskip(SKIP_1) | instid1(VALU_DEP_2)
	v_fma_f32 v3, 0xcf800000, v3, |v2|
	v_ashrrev_i32_e32 v2, 31, v2
	v_cvt_u32_f32_e32 v3, v3
	s_delay_alu instid0(VALU_DEP_1) | instskip(NEXT) | instid1(VALU_DEP_1)
	v_xor_b32_e32 v3, v3, v2
	v_sub_nc_u32_e32 v2, v3, v2
	global_store_b8 v[0:1], v2, off
.LBB120_394:
	s_mov_b32 s16, -1
.LBB120_395:
	s_delay_alu instid0(SALU_CYCLE_1)
	s_and_not1_b32 vcc_lo, exec_lo, s16
	s_cbranch_vccnz .LBB120_397
; %bb.396:
	v_add_nc_u32_e32 v5, 0x80, v5
	s_mov_b32 s0, -1
	s_branch .LBB120_510
.LBB120_397:
	s_mov_b32 s0, 0
	s_branch .LBB120_509
.LBB120_398:
	s_mov_b32 s15, -1
                                        ; implicit-def: $vgpr2
.LBB120_399:
	s_mov_b32 s1, 0
.LBB120_400:
	s_delay_alu instid0(SALU_CYCLE_1)
	s_and_b32 vcc_lo, exec_lo, s1
	s_cbranch_vccz .LBB120_404
; %bb.401:
	v_cmp_eq_u16_e32 vcc_lo, 29, v6
	s_cbranch_vccz .LBB120_403
; %bb.402:
	global_load_b64 v[2:3], v[0:1], off
	s_mov_b32 s0, -1
	s_mov_b32 s15, 0
	s_mov_b32 s1, 0
	s_waitcnt vmcnt(0)
	v_clz_i32_u32_e32 v7, v3
	s_delay_alu instid0(VALU_DEP_1) | instskip(NEXT) | instid1(VALU_DEP_1)
	v_min_u32_e32 v7, 32, v7
	v_lshlrev_b64 v[2:3], v7, v[2:3]
	s_delay_alu instid0(VALU_DEP_1) | instskip(NEXT) | instid1(VALU_DEP_1)
	v_min_u32_e32 v2, 1, v2
	v_or_b32_e32 v2, v3, v2
	v_sub_nc_u32_e32 v3, 32, v7
	s_delay_alu instid0(VALU_DEP_2) | instskip(NEXT) | instid1(VALU_DEP_1)
	v_cvt_f32_u32_e32 v2, v2
	v_ldexp_f32 v2, v2, v3
	s_branch .LBB120_405
.LBB120_403:
	s_mov_b32 s15, -1
                                        ; implicit-def: $vgpr2
.LBB120_404:
	s_mov_b32 s1, 0
.LBB120_405:
	s_delay_alu instid0(SALU_CYCLE_1)
	s_and_b32 vcc_lo, exec_lo, s1
	s_cbranch_vccz .LBB120_423
; %bb.406:
	v_cmp_gt_i16_e32 vcc_lo, 27, v6
	s_cbranch_vccnz .LBB120_409
; %bb.407:
	v_cmp_lt_i16_e32 vcc_lo, 27, v6
	s_cbranch_vccz .LBB120_410
; %bb.408:
	global_load_b32 v2, v[0:1], off
	s_mov_b32 s0, 0
	s_waitcnt vmcnt(0)
	v_cvt_f32_u32_e32 v2, v2
	s_branch .LBB120_411
.LBB120_409:
	s_mov_b32 s0, -1
                                        ; implicit-def: $vgpr2
	s_branch .LBB120_414
.LBB120_410:
	s_mov_b32 s0, -1
                                        ; implicit-def: $vgpr2
.LBB120_411:
	s_delay_alu instid0(SALU_CYCLE_1)
	s_and_not1_b32 vcc_lo, exec_lo, s0
	s_cbranch_vccnz .LBB120_413
; %bb.412:
	global_load_u16 v2, v[0:1], off
	s_waitcnt vmcnt(0)
	v_cvt_f32_u32_e32 v2, v2
.LBB120_413:
	s_mov_b32 s0, 0
.LBB120_414:
	s_delay_alu instid0(SALU_CYCLE_1)
	s_and_not1_b32 vcc_lo, exec_lo, s0
	s_cbranch_vccnz .LBB120_422
; %bb.415:
	global_load_u8 v3, v[0:1], off
	s_mov_b32 s0, 0
	s_mov_b32 s2, exec_lo
                                        ; implicit-def: $sgpr1
	s_waitcnt vmcnt(0)
	v_cmpx_lt_i16_e32 0x7f, v3
	s_xor_b32 s2, exec_lo, s2
	s_cbranch_execz .LBB120_436
; %bb.416:
	s_mov_b32 s0, -1
	s_mov_b32 s16, exec_lo
                                        ; implicit-def: $sgpr1
	v_cmpx_eq_u16_e32 0x80, v3
; %bb.417:
	s_mov_b32 s1, 0x7f800001
	s_xor_b32 s0, exec_lo, -1
; %bb.418:
	s_or_b32 exec_lo, exec_lo, s16
	s_delay_alu instid0(SALU_CYCLE_1)
	s_and_b32 s0, s0, exec_lo
	s_or_saveexec_b32 s2, s2
	v_mov_b32_e32 v2, s1
	s_xor_b32 exec_lo, exec_lo, s2
	s_cbranch_execnz .LBB120_437
.LBB120_419:
	s_or_b32 exec_lo, exec_lo, s2
	s_and_saveexec_b32 s1, s0
	s_cbranch_execz .LBB120_421
.LBB120_420:
	v_and_b32_e32 v2, 0xffff, v3
	v_lshlrev_b32_e32 v3, 24, v3
	s_delay_alu instid0(VALU_DEP_2) | instskip(NEXT) | instid1(VALU_DEP_2)
	v_and_b32_e32 v7, 7, v2
	v_and_b32_e32 v3, 0x80000000, v3
	s_delay_alu instid0(VALU_DEP_2) | instskip(NEXT) | instid1(VALU_DEP_1)
	v_clz_i32_u32_e32 v8, v7
	v_min_u32_e32 v8, 32, v8
	s_delay_alu instid0(VALU_DEP_1) | instskip(SKIP_1) | instid1(VALU_DEP_2)
	v_subrev_nc_u32_e32 v9, 28, v8
	v_sub_nc_u32_e32 v8, 29, v8
	v_lshlrev_b32_e32 v9, v9, v2
	v_bfe_u32 v2, v2, 3, 4
	s_delay_alu instid0(VALU_DEP_2) | instskip(NEXT) | instid1(VALU_DEP_2)
	v_and_b32_e32 v9, 7, v9
	v_cmp_eq_u32_e32 vcc_lo, 0, v2
	s_delay_alu instid0(VALU_DEP_2) | instskip(NEXT) | instid1(VALU_DEP_1)
	v_dual_cndmask_b32 v2, v2, v8 :: v_dual_cndmask_b32 v7, v7, v9
	v_lshl_add_u32 v2, v2, 23, 0x3b800000
	s_delay_alu instid0(VALU_DEP_2) | instskip(NEXT) | instid1(VALU_DEP_1)
	v_lshlrev_b32_e32 v7, 20, v7
	v_or3_b32 v2, v3, v2, v7
.LBB120_421:
	s_or_b32 exec_lo, exec_lo, s1
.LBB120_422:
	s_mov_b32 s0, -1
.LBB120_423:
	s_mov_b32 s1, 0
.LBB120_424:
	s_delay_alu instid0(SALU_CYCLE_1)
	s_and_b32 vcc_lo, exec_lo, s1
	s_cbranch_vccz .LBB120_459
; %bb.425:
	v_cmp_lt_i16_e32 vcc_lo, 22, v6
	s_cbranch_vccz .LBB120_435
; %bb.426:
	v_cmp_gt_i16_e32 vcc_lo, 24, v6
	s_cbranch_vccnz .LBB120_438
; %bb.427:
	v_cmp_lt_i16_e32 vcc_lo, 24, v6
	s_cbranch_vccz .LBB120_439
; %bb.428:
	global_load_u8 v3, v[0:1], off
	s_mov_b32 s0, 0
	s_mov_b32 s2, exec_lo
                                        ; implicit-def: $sgpr1
	s_waitcnt vmcnt(0)
	v_cmpx_lt_i16_e32 0x7f, v3
	s_xor_b32 s2, exec_lo, s2
	s_cbranch_execz .LBB120_451
; %bb.429:
	s_mov_b32 s0, -1
	s_mov_b32 s16, exec_lo
                                        ; implicit-def: $sgpr1
	v_cmpx_eq_u16_e32 0x80, v3
; %bb.430:
	s_mov_b32 s1, 0x7f800001
	s_xor_b32 s0, exec_lo, -1
; %bb.431:
	s_or_b32 exec_lo, exec_lo, s16
	s_delay_alu instid0(SALU_CYCLE_1)
	s_and_b32 s0, s0, exec_lo
	s_or_saveexec_b32 s2, s2
	v_mov_b32_e32 v2, s1
	s_xor_b32 exec_lo, exec_lo, s2
	s_cbranch_execnz .LBB120_452
.LBB120_432:
	s_or_b32 exec_lo, exec_lo, s2
	s_and_saveexec_b32 s1, s0
	s_cbranch_execz .LBB120_434
.LBB120_433:
	v_and_b32_e32 v2, 0xffff, v3
	v_lshlrev_b32_e32 v3, 24, v3
	s_delay_alu instid0(VALU_DEP_2) | instskip(NEXT) | instid1(VALU_DEP_2)
	v_and_b32_e32 v7, 3, v2
	v_and_b32_e32 v3, 0x80000000, v3
	s_delay_alu instid0(VALU_DEP_2) | instskip(NEXT) | instid1(VALU_DEP_1)
	v_clz_i32_u32_e32 v8, v7
	v_min_u32_e32 v8, 32, v8
	s_delay_alu instid0(VALU_DEP_1) | instskip(SKIP_1) | instid1(VALU_DEP_2)
	v_subrev_nc_u32_e32 v9, 29, v8
	v_sub_nc_u32_e32 v8, 30, v8
	v_lshlrev_b32_e32 v9, v9, v2
	v_bfe_u32 v2, v2, 2, 5
	s_delay_alu instid0(VALU_DEP_2) | instskip(NEXT) | instid1(VALU_DEP_2)
	v_and_b32_e32 v9, 3, v9
	v_cmp_eq_u32_e32 vcc_lo, 0, v2
	s_delay_alu instid0(VALU_DEP_2) | instskip(NEXT) | instid1(VALU_DEP_1)
	v_dual_cndmask_b32 v2, v2, v8 :: v_dual_cndmask_b32 v7, v7, v9
	v_lshl_add_u32 v2, v2, 23, 0x37800000
	s_delay_alu instid0(VALU_DEP_2) | instskip(NEXT) | instid1(VALU_DEP_1)
	v_lshlrev_b32_e32 v7, 21, v7
	v_or3_b32 v2, v3, v2, v7
.LBB120_434:
	s_or_b32 exec_lo, exec_lo, s1
	s_mov_b32 s0, 0
	s_branch .LBB120_440
.LBB120_435:
	s_mov_b32 s1, -1
                                        ; implicit-def: $vgpr2
	s_branch .LBB120_446
.LBB120_436:
	s_or_saveexec_b32 s2, s2
	v_mov_b32_e32 v2, s1
	s_xor_b32 exec_lo, exec_lo, s2
	s_cbranch_execz .LBB120_419
.LBB120_437:
	v_cmp_ne_u16_e32 vcc_lo, 0, v3
	v_mov_b32_e32 v2, 0
	s_and_not1_b32 s0, s0, exec_lo
	s_and_b32 s1, vcc_lo, exec_lo
	s_delay_alu instid0(SALU_CYCLE_1)
	s_or_b32 s0, s0, s1
	s_or_b32 exec_lo, exec_lo, s2
	s_and_saveexec_b32 s1, s0
	s_cbranch_execnz .LBB120_420
	s_branch .LBB120_421
.LBB120_438:
	s_mov_b32 s0, -1
                                        ; implicit-def: $vgpr2
	s_branch .LBB120_443
.LBB120_439:
	s_mov_b32 s0, -1
                                        ; implicit-def: $vgpr2
.LBB120_440:
	s_delay_alu instid0(SALU_CYCLE_1)
	s_and_b32 vcc_lo, exec_lo, s0
	s_cbranch_vccz .LBB120_442
; %bb.441:
	global_load_u8 v2, v[0:1], off
	s_waitcnt vmcnt(0)
	v_lshlrev_b32_e32 v2, 24, v2
	s_delay_alu instid0(VALU_DEP_1) | instskip(NEXT) | instid1(VALU_DEP_1)
	v_and_b32_e32 v3, 0x7f000000, v2
	v_clz_i32_u32_e32 v7, v3
	v_add_nc_u32_e32 v9, 0x1000000, v3
	v_cmp_ne_u32_e32 vcc_lo, 0, v3
	s_delay_alu instid0(VALU_DEP_3) | instskip(NEXT) | instid1(VALU_DEP_1)
	v_min_u32_e32 v7, 32, v7
	v_sub_nc_u32_e64 v7, v7, 4 clamp
	s_delay_alu instid0(VALU_DEP_1) | instskip(SKIP_1) | instid1(VALU_DEP_2)
	v_lshlrev_b32_e32 v8, v7, v3
	v_lshlrev_b32_e32 v7, 23, v7
	v_lshrrev_b32_e32 v8, 4, v8
	s_delay_alu instid0(VALU_DEP_1) | instskip(SKIP_1) | instid1(VALU_DEP_2)
	v_sub_nc_u32_e32 v7, v8, v7
	v_ashrrev_i32_e32 v8, 8, v9
	v_add_nc_u32_e32 v7, 0x3c000000, v7
	s_delay_alu instid0(VALU_DEP_1) | instskip(NEXT) | instid1(VALU_DEP_1)
	v_and_or_b32 v7, 0x7f800000, v8, v7
	v_cndmask_b32_e32 v3, 0, v7, vcc_lo
	s_delay_alu instid0(VALU_DEP_1)
	v_and_or_b32 v2, 0x80000000, v2, v3
.LBB120_442:
	s_mov_b32 s0, 0
.LBB120_443:
	s_delay_alu instid0(SALU_CYCLE_1)
	s_and_not1_b32 vcc_lo, exec_lo, s0
	s_cbranch_vccnz .LBB120_445
; %bb.444:
	global_load_u8 v2, v[0:1], off
	s_waitcnt vmcnt(0)
	v_lshlrev_b32_e32 v3, 25, v2
	v_lshlrev_b16 v2, 8, v2
	s_delay_alu instid0(VALU_DEP_1) | instskip(SKIP_1) | instid1(VALU_DEP_2)
	v_and_or_b32 v8, 0x7f00, v2, 0.5
	v_bfe_i32 v2, v2, 0, 16
	v_add_f32_e32 v8, -0.5, v8
	v_lshrrev_b32_e32 v7, 4, v3
	v_cmp_gt_u32_e32 vcc_lo, 0x8000000, v3
	s_delay_alu instid0(VALU_DEP_2) | instskip(NEXT) | instid1(VALU_DEP_1)
	v_or_b32_e32 v7, 0x70000000, v7
	v_mul_f32_e32 v7, 0x7800000, v7
	s_delay_alu instid0(VALU_DEP_1) | instskip(NEXT) | instid1(VALU_DEP_1)
	v_cndmask_b32_e32 v3, v7, v8, vcc_lo
	v_and_or_b32 v2, 0x80000000, v2, v3
.LBB120_445:
	s_mov_b32 s1, 0
	s_mov_b32 s0, -1
.LBB120_446:
	s_and_not1_b32 vcc_lo, exec_lo, s1
	s_cbranch_vccnz .LBB120_459
; %bb.447:
	v_cmp_lt_i16_e32 vcc_lo, 14, v6
	s_cbranch_vccz .LBB120_450
; %bb.448:
	v_cmp_eq_u16_e32 vcc_lo, 15, v6
	s_cbranch_vccz .LBB120_453
; %bb.449:
	global_load_u16 v2, v[0:1], off
	s_mov_b32 s0, -1
	s_mov_b32 s15, 0
	s_waitcnt vmcnt(0)
	v_lshlrev_b32_e32 v2, 16, v2
	s_branch .LBB120_454
.LBB120_450:
	s_mov_b32 s1, -1
                                        ; implicit-def: $vgpr2
	s_branch .LBB120_455
.LBB120_451:
	s_or_saveexec_b32 s2, s2
	v_mov_b32_e32 v2, s1
	s_xor_b32 exec_lo, exec_lo, s2
	s_cbranch_execz .LBB120_432
.LBB120_452:
	v_cmp_ne_u16_e32 vcc_lo, 0, v3
	v_mov_b32_e32 v2, 0
	s_and_not1_b32 s0, s0, exec_lo
	s_and_b32 s1, vcc_lo, exec_lo
	s_delay_alu instid0(SALU_CYCLE_1)
	s_or_b32 s0, s0, s1
	s_or_b32 exec_lo, exec_lo, s2
	s_and_saveexec_b32 s1, s0
	s_cbranch_execnz .LBB120_433
	s_branch .LBB120_434
.LBB120_453:
	s_mov_b32 s15, -1
                                        ; implicit-def: $vgpr2
.LBB120_454:
	s_mov_b32 s1, 0
.LBB120_455:
	s_delay_alu instid0(SALU_CYCLE_1)
	s_and_b32 vcc_lo, exec_lo, s1
	s_cbranch_vccz .LBB120_459
; %bb.456:
	v_cmp_eq_u16_e32 vcc_lo, 11, v6
	s_cbranch_vccz .LBB120_458
; %bb.457:
	global_load_u8 v2, v[0:1], off
	s_mov_b32 s15, 0
	s_mov_b32 s0, -1
	s_waitcnt vmcnt(0)
	v_cmp_ne_u16_e32 vcc_lo, 0, v2
	v_cndmask_b32_e64 v2, 0, 1.0, vcc_lo
	s_branch .LBB120_459
.LBB120_458:
	s_mov_b32 s15, -1
                                        ; implicit-def: $vgpr2
.LBB120_459:
	s_branch .LBB120_261
.LBB120_460:
	v_cmp_gt_i16_e32 vcc_lo, 5, v6
	s_cbranch_vccnz .LBB120_465
; %bb.461:
	v_cmp_gt_i16_e32 vcc_lo, 8, v6
	s_cbranch_vccnz .LBB120_466
; %bb.462:
	;; [unrolled: 3-line block ×3, first 2 shown]
	v_cmp_lt_i16_e32 vcc_lo, 9, v6
	s_cbranch_vccz .LBB120_468
; %bb.464:
	global_load_b64 v[2:3], v[0:1], off
	s_mov_b32 s0, 0
	s_waitcnt vmcnt(0)
	v_cvt_f32_f64_e32 v2, v[2:3]
	s_branch .LBB120_469
.LBB120_465:
	s_mov_b32 s0, -1
                                        ; implicit-def: $vgpr2
	s_branch .LBB120_487
.LBB120_466:
	s_mov_b32 s0, -1
                                        ; implicit-def: $vgpr2
	s_branch .LBB120_475
.LBB120_467:
	s_mov_b32 s0, -1
                                        ; implicit-def: $vgpr2
	s_branch .LBB120_472
.LBB120_468:
	s_mov_b32 s0, -1
                                        ; implicit-def: $vgpr2
.LBB120_469:
	s_delay_alu instid0(SALU_CYCLE_1)
	s_and_not1_b32 vcc_lo, exec_lo, s0
	s_cbranch_vccnz .LBB120_471
; %bb.470:
	global_load_b32 v2, v[0:1], off
.LBB120_471:
	s_mov_b32 s0, 0
.LBB120_472:
	s_delay_alu instid0(SALU_CYCLE_1)
	s_and_not1_b32 vcc_lo, exec_lo, s0
	s_cbranch_vccnz .LBB120_474
; %bb.473:
	global_load_b32 v2, v[0:1], off
	s_waitcnt vmcnt(0)
	v_cvt_f32_f16_e32 v2, v2
.LBB120_474:
	s_mov_b32 s0, 0
.LBB120_475:
	s_delay_alu instid0(SALU_CYCLE_1)
	s_and_not1_b32 vcc_lo, exec_lo, s0
	s_cbranch_vccnz .LBB120_486
; %bb.476:
	v_cmp_gt_i16_e32 vcc_lo, 6, v6
	s_cbranch_vccnz .LBB120_479
; %bb.477:
	v_cmp_lt_i16_e32 vcc_lo, 6, v6
	s_cbranch_vccz .LBB120_480
; %bb.478:
	global_load_b64 v[2:3], v[0:1], off
	s_mov_b32 s0, 0
	s_waitcnt vmcnt(0)
	v_cvt_f32_f64_e32 v2, v[2:3]
	s_branch .LBB120_481
.LBB120_479:
	s_mov_b32 s0, -1
                                        ; implicit-def: $vgpr2
	s_branch .LBB120_484
.LBB120_480:
	s_mov_b32 s0, -1
                                        ; implicit-def: $vgpr2
.LBB120_481:
	s_delay_alu instid0(SALU_CYCLE_1)
	s_and_not1_b32 vcc_lo, exec_lo, s0
	s_cbranch_vccnz .LBB120_483
; %bb.482:
	global_load_b32 v2, v[0:1], off
.LBB120_483:
	s_mov_b32 s0, 0
.LBB120_484:
	s_delay_alu instid0(SALU_CYCLE_1)
	s_and_not1_b32 vcc_lo, exec_lo, s0
	s_cbranch_vccnz .LBB120_486
; %bb.485:
	global_load_u16 v2, v[0:1], off
	s_waitcnt vmcnt(0)
	v_cvt_f32_f16_e32 v2, v2
.LBB120_486:
	s_mov_b32 s0, 0
.LBB120_487:
	s_delay_alu instid0(SALU_CYCLE_1)
	s_and_not1_b32 vcc_lo, exec_lo, s0
	s_cbranch_vccnz .LBB120_507
; %bb.488:
	v_cmp_gt_i16_e32 vcc_lo, 2, v6
	s_cbranch_vccnz .LBB120_492
; %bb.489:
	v_cmp_gt_i16_e32 vcc_lo, 3, v6
	s_cbranch_vccnz .LBB120_493
; %bb.490:
	v_cmp_lt_i16_e32 vcc_lo, 3, v6
	s_cbranch_vccz .LBB120_494
; %bb.491:
	global_load_b64 v[2:3], v[0:1], off
	s_mov_b32 s0, 0
	s_waitcnt vmcnt(0)
	v_xor_b32_e32 v7, v2, v3
	v_cls_i32_e32 v8, v3
	s_delay_alu instid0(VALU_DEP_2) | instskip(NEXT) | instid1(VALU_DEP_2)
	v_ashrrev_i32_e32 v7, 31, v7
	v_add_nc_u32_e32 v8, -1, v8
	s_delay_alu instid0(VALU_DEP_2) | instskip(NEXT) | instid1(VALU_DEP_1)
	v_add_nc_u32_e32 v7, 32, v7
	v_min_u32_e32 v7, v8, v7
	s_delay_alu instid0(VALU_DEP_1) | instskip(NEXT) | instid1(VALU_DEP_1)
	v_lshlrev_b64 v[2:3], v7, v[2:3]
	v_min_u32_e32 v2, 1, v2
	s_delay_alu instid0(VALU_DEP_1) | instskip(SKIP_1) | instid1(VALU_DEP_2)
	v_or_b32_e32 v2, v3, v2
	v_sub_nc_u32_e32 v3, 32, v7
	v_cvt_f32_i32_e32 v2, v2
	s_delay_alu instid0(VALU_DEP_1)
	v_ldexp_f32 v2, v2, v3
	s_branch .LBB120_495
.LBB120_492:
	s_mov_b32 s0, -1
                                        ; implicit-def: $vgpr2
	s_branch .LBB120_501
.LBB120_493:
	s_mov_b32 s0, -1
                                        ; implicit-def: $vgpr2
	s_branch .LBB120_498
.LBB120_494:
	s_mov_b32 s0, -1
                                        ; implicit-def: $vgpr2
.LBB120_495:
	s_delay_alu instid0(SALU_CYCLE_1)
	s_and_not1_b32 vcc_lo, exec_lo, s0
	s_cbranch_vccnz .LBB120_497
; %bb.496:
	global_load_b32 v2, v[0:1], off
	s_waitcnt vmcnt(0)
	v_cvt_f32_i32_e32 v2, v2
.LBB120_497:
	s_mov_b32 s0, 0
.LBB120_498:
	s_delay_alu instid0(SALU_CYCLE_1)
	s_and_not1_b32 vcc_lo, exec_lo, s0
	s_cbranch_vccnz .LBB120_500
; %bb.499:
	global_load_i16 v2, v[0:1], off
	s_waitcnt vmcnt(0)
	v_cvt_f32_i32_e32 v2, v2
.LBB120_500:
	s_mov_b32 s0, 0
.LBB120_501:
	s_delay_alu instid0(SALU_CYCLE_1)
	s_and_not1_b32 vcc_lo, exec_lo, s0
	s_cbranch_vccnz .LBB120_507
; %bb.502:
	v_cmp_lt_i16_e32 vcc_lo, 0, v6
	s_mov_b32 s0, 0
	s_cbranch_vccz .LBB120_504
; %bb.503:
	global_load_i8 v2, v[0:1], off
	s_waitcnt vmcnt(0)
	v_cvt_f32_i32_e32 v2, v2
	s_branch .LBB120_505
.LBB120_504:
	s_mov_b32 s0, -1
                                        ; implicit-def: $vgpr2
.LBB120_505:
	s_delay_alu instid0(SALU_CYCLE_1)
	s_and_not1_b32 vcc_lo, exec_lo, s0
	s_cbranch_vccnz .LBB120_507
; %bb.506:
	global_load_u8 v0, v[0:1], off
	s_waitcnt vmcnt(0)
	v_cvt_f32_ubyte0_e32 v2, v0
.LBB120_507:
	s_branch .LBB120_262
.LBB120_508:
	s_mov_b32 s0, 0
	s_mov_b32 s2, s11
.LBB120_509:
                                        ; implicit-def: $vgpr5
.LBB120_510:
	s_and_not1_b32 s1, s11, exec_lo
	s_and_b32 s2, s2, exec_lo
	s_and_not1_b32 s18, s13, exec_lo
	s_and_b32 s15, s15, exec_lo
	s_or_b32 s16, s1, s2
	s_or_b32 s15, s18, s15
	s_or_not1_b32 s18, s0, exec_lo
.LBB120_511:
	s_or_b32 exec_lo, exec_lo, s17
	s_mov_b32 s1, 0
	s_mov_b32 s2, 0
	s_mov_b32 s0, 0
                                        ; implicit-def: $vgpr0_vgpr1
                                        ; implicit-def: $vgpr3
	s_and_saveexec_b32 s17, s18
	s_cbranch_execz .LBB120_858
; %bb.512:
	s_mov_b32 s0, -1
	s_mov_b32 s1, s15
	s_mov_b32 s2, s16
	s_mov_b32 s18, exec_lo
	v_cmpx_gt_i32_e64 s12, v5
	s_cbranch_execz .LBB120_772
; %bb.513:
	v_mul_lo_u32 v0, v5, s9
	v_cmp_gt_i16_e32 vcc_lo, 11, v6
	s_delay_alu instid0(VALU_DEP_2) | instskip(SKIP_1) | instid1(VALU_DEP_1)
	v_ashrrev_i32_e32 v1, 31, v0
	v_add_co_u32 v0, s0, s6, v0
	v_add_co_ci_u32_e64 v1, s0, s7, v1, s0
	s_cbranch_vccnz .LBB120_520
; %bb.514:
	v_cmp_lt_i16_e32 vcc_lo, 25, v6
	s_cbranch_vccz .LBB120_521
; %bb.515:
	v_cmp_lt_i16_e32 vcc_lo, 28, v6
	s_cbranch_vccz .LBB120_522
	;; [unrolled: 3-line block ×4, first 2 shown]
; %bb.518:
	v_cmp_eq_u16_e32 vcc_lo, 46, v6
	s_mov_b32 s1, 0
	s_cbranch_vccz .LBB120_529
; %bb.519:
	global_load_b32 v2, v[0:1], off
	s_mov_b32 s0, -1
	s_mov_b32 s19, 0
	s_waitcnt vmcnt(0)
	v_lshlrev_b32_e32 v2, 16, v2
	s_branch .LBB120_531
.LBB120_520:
	s_mov_b32 s1, -1
	s_mov_b32 s0, 0
	s_mov_b32 s19, s15
                                        ; implicit-def: $vgpr2
	s_branch .LBB120_596
.LBB120_521:
	s_mov_b32 s1, -1
	s_mov_b32 s0, 0
	s_mov_b32 s19, s15
                                        ; implicit-def: $vgpr2
	s_branch .LBB120_560
.LBB120_522:
	s_mov_b32 s1, -1
	s_mov_b32 s0, 0
	s_mov_b32 s19, s15
                                        ; implicit-def: $vgpr2
	s_branch .LBB120_541
.LBB120_523:
	s_mov_b32 s1, -1
	s_mov_b32 s0, 0
	s_mov_b32 s19, s15
                                        ; implicit-def: $vgpr2
	s_branch .LBB120_536
.LBB120_524:
	s_or_saveexec_b32 s19, s19
                                        ; implicit-def: $sgpr20
	s_delay_alu instid0(SALU_CYCLE_1)
	s_xor_b32 exec_lo, exec_lo, s19
	s_cbranch_execz .LBB120_308
.LBB120_525:
	v_add_f32_e32 v8, 0x46000000, v9
	s_and_not1_b32 s18, s18, exec_lo
	s_mov_b32 s20, 0
	s_delay_alu instid0(VALU_DEP_1) | instskip(NEXT) | instid1(VALU_DEP_1)
	v_and_b32_e32 v8, 0xff, v8
	v_cmp_ne_u32_e32 vcc_lo, 0, v8
	s_and_b32 s21, vcc_lo, exec_lo
	s_delay_alu instid0(SALU_CYCLE_1)
	s_or_b32 s18, s18, s21
	s_or_b32 exec_lo, exec_lo, s19
	v_mov_b32_e32 v10, s20
	s_and_saveexec_b32 s19, s18
	s_cbranch_execnz .LBB120_309
	s_branch .LBB120_310
.LBB120_526:
	s_mov_b32 s1, -1
	s_mov_b32 s0, 0
	s_mov_b32 s19, s15
	s_branch .LBB120_530
.LBB120_527:
	s_or_saveexec_b32 s19, s19
                                        ; implicit-def: $sgpr20
	s_delay_alu instid0(SALU_CYCLE_1)
	s_xor_b32 exec_lo, exec_lo, s19
	s_cbranch_execz .LBB120_321
.LBB120_528:
	v_add_f32_e32 v8, 0x42800000, v9
	s_and_not1_b32 s18, s18, exec_lo
	s_mov_b32 s20, 0
	s_delay_alu instid0(VALU_DEP_1) | instskip(NEXT) | instid1(VALU_DEP_1)
	v_and_b32_e32 v8, 0xff, v8
	v_cmp_ne_u32_e32 vcc_lo, 0, v8
	s_and_b32 s21, vcc_lo, exec_lo
	s_delay_alu instid0(SALU_CYCLE_1)
	s_or_b32 s18, s18, s21
	s_or_b32 exec_lo, exec_lo, s19
	v_mov_b32_e32 v10, s20
	s_and_saveexec_b32 s19, s18
	s_cbranch_execnz .LBB120_322
	s_branch .LBB120_323
.LBB120_529:
	s_mov_b32 s19, -1
	s_mov_b32 s0, 0
.LBB120_530:
                                        ; implicit-def: $vgpr2
.LBB120_531:
	s_and_b32 vcc_lo, exec_lo, s1
	s_cbranch_vccz .LBB120_535
; %bb.532:
	v_cmp_eq_u16_e32 vcc_lo, 44, v6
	s_cbranch_vccz .LBB120_534
; %bb.533:
	global_load_u8 v2, v[0:1], off
	s_mov_b32 s19, 0
	s_mov_b32 s0, -1
	s_waitcnt vmcnt(0)
	v_lshlrev_b32_e32 v3, 23, v2
	v_cmp_ne_u32_e32 vcc_lo, 0xff, v2
	s_delay_alu instid0(VALU_DEP_2) | instskip(SKIP_1) | instid1(VALU_DEP_2)
	v_cndmask_b32_e32 v3, 0x7f800001, v3, vcc_lo
	v_cmp_ne_u32_e32 vcc_lo, 0, v2
	v_cndmask_b32_e32 v2, 0x400000, v3, vcc_lo
	s_branch .LBB120_535
.LBB120_534:
	s_mov_b32 s19, -1
                                        ; implicit-def: $vgpr2
.LBB120_535:
	s_mov_b32 s1, 0
.LBB120_536:
	s_delay_alu instid0(SALU_CYCLE_1)
	s_and_b32 vcc_lo, exec_lo, s1
	s_cbranch_vccz .LBB120_540
; %bb.537:
	v_cmp_eq_u16_e32 vcc_lo, 29, v6
	s_cbranch_vccz .LBB120_539
; %bb.538:
	global_load_b64 v[2:3], v[0:1], off
	s_mov_b32 s0, -1
	s_mov_b32 s19, 0
	s_mov_b32 s1, 0
	s_waitcnt vmcnt(0)
	v_clz_i32_u32_e32 v7, v3
	s_delay_alu instid0(VALU_DEP_1) | instskip(NEXT) | instid1(VALU_DEP_1)
	v_min_u32_e32 v7, 32, v7
	v_lshlrev_b64 v[2:3], v7, v[2:3]
	s_delay_alu instid0(VALU_DEP_1) | instskip(NEXT) | instid1(VALU_DEP_1)
	v_min_u32_e32 v2, 1, v2
	v_or_b32_e32 v2, v3, v2
	v_sub_nc_u32_e32 v3, 32, v7
	s_delay_alu instid0(VALU_DEP_2) | instskip(NEXT) | instid1(VALU_DEP_1)
	v_cvt_f32_u32_e32 v2, v2
	v_ldexp_f32 v2, v2, v3
	s_branch .LBB120_541
.LBB120_539:
	s_mov_b32 s19, -1
                                        ; implicit-def: $vgpr2
.LBB120_540:
	s_mov_b32 s1, 0
.LBB120_541:
	s_delay_alu instid0(SALU_CYCLE_1)
	s_and_b32 vcc_lo, exec_lo, s1
	s_cbranch_vccz .LBB120_559
; %bb.542:
	v_cmp_gt_i16_e32 vcc_lo, 27, v6
	s_cbranch_vccnz .LBB120_545
; %bb.543:
	v_cmp_lt_i16_e32 vcc_lo, 27, v6
	s_cbranch_vccz .LBB120_546
; %bb.544:
	global_load_b32 v2, v[0:1], off
	s_mov_b32 s0, 0
	s_waitcnt vmcnt(0)
	v_cvt_f32_u32_e32 v2, v2
	s_branch .LBB120_547
.LBB120_545:
	s_mov_b32 s0, -1
                                        ; implicit-def: $vgpr2
	s_branch .LBB120_550
.LBB120_546:
	s_mov_b32 s0, -1
                                        ; implicit-def: $vgpr2
.LBB120_547:
	s_delay_alu instid0(SALU_CYCLE_1)
	s_and_not1_b32 vcc_lo, exec_lo, s0
	s_cbranch_vccnz .LBB120_549
; %bb.548:
	global_load_u16 v2, v[0:1], off
	s_waitcnt vmcnt(0)
	v_cvt_f32_u32_e32 v2, v2
.LBB120_549:
	s_mov_b32 s0, 0
.LBB120_550:
	s_delay_alu instid0(SALU_CYCLE_1)
	s_and_not1_b32 vcc_lo, exec_lo, s0
	s_cbranch_vccnz .LBB120_558
; %bb.551:
	global_load_u8 v3, v[0:1], off
	s_mov_b32 s0, 0
	s_mov_b32 s2, exec_lo
                                        ; implicit-def: $sgpr1
	s_waitcnt vmcnt(0)
	v_cmpx_lt_i16_e32 0x7f, v3
	s_xor_b32 s2, exec_lo, s2
	s_cbranch_execz .LBB120_572
; %bb.552:
	s_mov_b32 s0, -1
	s_mov_b32 s20, exec_lo
                                        ; implicit-def: $sgpr1
	v_cmpx_eq_u16_e32 0x80, v3
; %bb.553:
	s_mov_b32 s1, 0x7f800001
	s_xor_b32 s0, exec_lo, -1
; %bb.554:
	s_or_b32 exec_lo, exec_lo, s20
	s_delay_alu instid0(SALU_CYCLE_1)
	s_and_b32 s0, s0, exec_lo
	s_or_saveexec_b32 s2, s2
	v_mov_b32_e32 v2, s1
	s_xor_b32 exec_lo, exec_lo, s2
	s_cbranch_execnz .LBB120_573
.LBB120_555:
	s_or_b32 exec_lo, exec_lo, s2
	s_and_saveexec_b32 s1, s0
	s_cbranch_execz .LBB120_557
.LBB120_556:
	v_and_b32_e32 v2, 0xffff, v3
	v_lshlrev_b32_e32 v3, 24, v3
	s_delay_alu instid0(VALU_DEP_2) | instskip(NEXT) | instid1(VALU_DEP_2)
	v_and_b32_e32 v7, 7, v2
	v_and_b32_e32 v3, 0x80000000, v3
	s_delay_alu instid0(VALU_DEP_2) | instskip(NEXT) | instid1(VALU_DEP_1)
	v_clz_i32_u32_e32 v8, v7
	v_min_u32_e32 v8, 32, v8
	s_delay_alu instid0(VALU_DEP_1) | instskip(SKIP_1) | instid1(VALU_DEP_2)
	v_subrev_nc_u32_e32 v9, 28, v8
	v_sub_nc_u32_e32 v8, 29, v8
	v_lshlrev_b32_e32 v9, v9, v2
	v_bfe_u32 v2, v2, 3, 4
	s_delay_alu instid0(VALU_DEP_2) | instskip(NEXT) | instid1(VALU_DEP_2)
	v_and_b32_e32 v9, 7, v9
	v_cmp_eq_u32_e32 vcc_lo, 0, v2
	s_delay_alu instid0(VALU_DEP_2) | instskip(NEXT) | instid1(VALU_DEP_1)
	v_dual_cndmask_b32 v2, v2, v8 :: v_dual_cndmask_b32 v7, v7, v9
	v_lshl_add_u32 v2, v2, 23, 0x3b800000
	s_delay_alu instid0(VALU_DEP_2) | instskip(NEXT) | instid1(VALU_DEP_1)
	v_lshlrev_b32_e32 v7, 20, v7
	v_or3_b32 v2, v3, v2, v7
.LBB120_557:
	s_or_b32 exec_lo, exec_lo, s1
.LBB120_558:
	s_mov_b32 s0, -1
.LBB120_559:
	s_mov_b32 s1, 0
.LBB120_560:
	s_delay_alu instid0(SALU_CYCLE_1)
	s_and_b32 vcc_lo, exec_lo, s1
	s_cbranch_vccz .LBB120_595
; %bb.561:
	v_cmp_lt_i16_e32 vcc_lo, 22, v6
	s_cbranch_vccz .LBB120_571
; %bb.562:
	v_cmp_gt_i16_e32 vcc_lo, 24, v6
	s_cbranch_vccnz .LBB120_574
; %bb.563:
	v_cmp_lt_i16_e32 vcc_lo, 24, v6
	s_cbranch_vccz .LBB120_575
; %bb.564:
	global_load_u8 v3, v[0:1], off
	s_mov_b32 s0, 0
	s_mov_b32 s2, exec_lo
                                        ; implicit-def: $sgpr1
	s_waitcnt vmcnt(0)
	v_cmpx_lt_i16_e32 0x7f, v3
	s_xor_b32 s2, exec_lo, s2
	s_cbranch_execz .LBB120_587
; %bb.565:
	s_mov_b32 s0, -1
	s_mov_b32 s20, exec_lo
                                        ; implicit-def: $sgpr1
	v_cmpx_eq_u16_e32 0x80, v3
; %bb.566:
	s_mov_b32 s1, 0x7f800001
	s_xor_b32 s0, exec_lo, -1
; %bb.567:
	s_or_b32 exec_lo, exec_lo, s20
	s_delay_alu instid0(SALU_CYCLE_1)
	s_and_b32 s0, s0, exec_lo
	s_or_saveexec_b32 s2, s2
	v_mov_b32_e32 v2, s1
	s_xor_b32 exec_lo, exec_lo, s2
	s_cbranch_execnz .LBB120_588
.LBB120_568:
	s_or_b32 exec_lo, exec_lo, s2
	s_and_saveexec_b32 s1, s0
	s_cbranch_execz .LBB120_570
.LBB120_569:
	v_and_b32_e32 v2, 0xffff, v3
	v_lshlrev_b32_e32 v3, 24, v3
	s_delay_alu instid0(VALU_DEP_2) | instskip(NEXT) | instid1(VALU_DEP_2)
	v_and_b32_e32 v7, 3, v2
	v_and_b32_e32 v3, 0x80000000, v3
	s_delay_alu instid0(VALU_DEP_2) | instskip(NEXT) | instid1(VALU_DEP_1)
	v_clz_i32_u32_e32 v8, v7
	v_min_u32_e32 v8, 32, v8
	s_delay_alu instid0(VALU_DEP_1) | instskip(SKIP_1) | instid1(VALU_DEP_2)
	v_subrev_nc_u32_e32 v9, 29, v8
	v_sub_nc_u32_e32 v8, 30, v8
	v_lshlrev_b32_e32 v9, v9, v2
	v_bfe_u32 v2, v2, 2, 5
	s_delay_alu instid0(VALU_DEP_2) | instskip(NEXT) | instid1(VALU_DEP_2)
	v_and_b32_e32 v9, 3, v9
	v_cmp_eq_u32_e32 vcc_lo, 0, v2
	s_delay_alu instid0(VALU_DEP_2) | instskip(NEXT) | instid1(VALU_DEP_1)
	v_dual_cndmask_b32 v2, v2, v8 :: v_dual_cndmask_b32 v7, v7, v9
	v_lshl_add_u32 v2, v2, 23, 0x37800000
	s_delay_alu instid0(VALU_DEP_2) | instskip(NEXT) | instid1(VALU_DEP_1)
	v_lshlrev_b32_e32 v7, 21, v7
	v_or3_b32 v2, v3, v2, v7
.LBB120_570:
	s_or_b32 exec_lo, exec_lo, s1
	s_mov_b32 s0, 0
	s_branch .LBB120_576
.LBB120_571:
	s_mov_b32 s1, -1
                                        ; implicit-def: $vgpr2
	s_branch .LBB120_582
.LBB120_572:
	s_or_saveexec_b32 s2, s2
	v_mov_b32_e32 v2, s1
	s_xor_b32 exec_lo, exec_lo, s2
	s_cbranch_execz .LBB120_555
.LBB120_573:
	v_cmp_ne_u16_e32 vcc_lo, 0, v3
	v_mov_b32_e32 v2, 0
	s_and_not1_b32 s0, s0, exec_lo
	s_and_b32 s1, vcc_lo, exec_lo
	s_delay_alu instid0(SALU_CYCLE_1)
	s_or_b32 s0, s0, s1
	s_or_b32 exec_lo, exec_lo, s2
	s_and_saveexec_b32 s1, s0
	s_cbranch_execnz .LBB120_556
	s_branch .LBB120_557
.LBB120_574:
	s_mov_b32 s0, -1
                                        ; implicit-def: $vgpr2
	s_branch .LBB120_579
.LBB120_575:
	s_mov_b32 s0, -1
                                        ; implicit-def: $vgpr2
.LBB120_576:
	s_delay_alu instid0(SALU_CYCLE_1)
	s_and_b32 vcc_lo, exec_lo, s0
	s_cbranch_vccz .LBB120_578
; %bb.577:
	global_load_u8 v2, v[0:1], off
	s_waitcnt vmcnt(0)
	v_lshlrev_b32_e32 v2, 24, v2
	s_delay_alu instid0(VALU_DEP_1) | instskip(NEXT) | instid1(VALU_DEP_1)
	v_and_b32_e32 v3, 0x7f000000, v2
	v_clz_i32_u32_e32 v7, v3
	v_add_nc_u32_e32 v9, 0x1000000, v3
	v_cmp_ne_u32_e32 vcc_lo, 0, v3
	s_delay_alu instid0(VALU_DEP_3) | instskip(NEXT) | instid1(VALU_DEP_1)
	v_min_u32_e32 v7, 32, v7
	v_sub_nc_u32_e64 v7, v7, 4 clamp
	s_delay_alu instid0(VALU_DEP_1) | instskip(SKIP_1) | instid1(VALU_DEP_2)
	v_lshlrev_b32_e32 v8, v7, v3
	v_lshlrev_b32_e32 v7, 23, v7
	v_lshrrev_b32_e32 v8, 4, v8
	s_delay_alu instid0(VALU_DEP_1) | instskip(SKIP_1) | instid1(VALU_DEP_2)
	v_sub_nc_u32_e32 v7, v8, v7
	v_ashrrev_i32_e32 v8, 8, v9
	v_add_nc_u32_e32 v7, 0x3c000000, v7
	s_delay_alu instid0(VALU_DEP_1) | instskip(NEXT) | instid1(VALU_DEP_1)
	v_and_or_b32 v7, 0x7f800000, v8, v7
	v_cndmask_b32_e32 v3, 0, v7, vcc_lo
	s_delay_alu instid0(VALU_DEP_1)
	v_and_or_b32 v2, 0x80000000, v2, v3
.LBB120_578:
	s_mov_b32 s0, 0
.LBB120_579:
	s_delay_alu instid0(SALU_CYCLE_1)
	s_and_not1_b32 vcc_lo, exec_lo, s0
	s_cbranch_vccnz .LBB120_581
; %bb.580:
	global_load_u8 v2, v[0:1], off
	s_waitcnt vmcnt(0)
	v_lshlrev_b32_e32 v3, 25, v2
	v_lshlrev_b16 v2, 8, v2
	s_delay_alu instid0(VALU_DEP_1) | instskip(SKIP_1) | instid1(VALU_DEP_2)
	v_and_or_b32 v8, 0x7f00, v2, 0.5
	v_bfe_i32 v2, v2, 0, 16
	v_add_f32_e32 v8, -0.5, v8
	v_lshrrev_b32_e32 v7, 4, v3
	v_cmp_gt_u32_e32 vcc_lo, 0x8000000, v3
	s_delay_alu instid0(VALU_DEP_2) | instskip(NEXT) | instid1(VALU_DEP_1)
	v_or_b32_e32 v7, 0x70000000, v7
	v_mul_f32_e32 v7, 0x7800000, v7
	s_delay_alu instid0(VALU_DEP_1) | instskip(NEXT) | instid1(VALU_DEP_1)
	v_cndmask_b32_e32 v3, v7, v8, vcc_lo
	v_and_or_b32 v2, 0x80000000, v2, v3
.LBB120_581:
	s_mov_b32 s1, 0
	s_mov_b32 s0, -1
.LBB120_582:
	s_and_not1_b32 vcc_lo, exec_lo, s1
	s_cbranch_vccnz .LBB120_595
; %bb.583:
	v_cmp_lt_i16_e32 vcc_lo, 14, v6
	s_cbranch_vccz .LBB120_586
; %bb.584:
	v_cmp_eq_u16_e32 vcc_lo, 15, v6
	s_cbranch_vccz .LBB120_589
; %bb.585:
	global_load_u16 v2, v[0:1], off
	s_mov_b32 s0, -1
	s_mov_b32 s19, 0
	s_waitcnt vmcnt(0)
	v_lshlrev_b32_e32 v2, 16, v2
	s_branch .LBB120_590
.LBB120_586:
	s_mov_b32 s1, -1
                                        ; implicit-def: $vgpr2
	s_branch .LBB120_591
.LBB120_587:
	s_or_saveexec_b32 s2, s2
	v_mov_b32_e32 v2, s1
	s_xor_b32 exec_lo, exec_lo, s2
	s_cbranch_execz .LBB120_568
.LBB120_588:
	v_cmp_ne_u16_e32 vcc_lo, 0, v3
	v_mov_b32_e32 v2, 0
	s_and_not1_b32 s0, s0, exec_lo
	s_and_b32 s1, vcc_lo, exec_lo
	s_delay_alu instid0(SALU_CYCLE_1)
	s_or_b32 s0, s0, s1
	s_or_b32 exec_lo, exec_lo, s2
	s_and_saveexec_b32 s1, s0
	s_cbranch_execnz .LBB120_569
	s_branch .LBB120_570
.LBB120_589:
	s_mov_b32 s19, -1
                                        ; implicit-def: $vgpr2
.LBB120_590:
	s_mov_b32 s1, 0
.LBB120_591:
	s_delay_alu instid0(SALU_CYCLE_1)
	s_and_b32 vcc_lo, exec_lo, s1
	s_cbranch_vccz .LBB120_595
; %bb.592:
	v_cmp_eq_u16_e32 vcc_lo, 11, v6
	s_cbranch_vccz .LBB120_594
; %bb.593:
	global_load_u8 v2, v[0:1], off
	s_mov_b32 s19, 0
	s_mov_b32 s0, -1
	s_waitcnt vmcnt(0)
	v_cmp_ne_u16_e32 vcc_lo, 0, v2
	v_cndmask_b32_e64 v2, 0, 1.0, vcc_lo
	s_branch .LBB120_595
.LBB120_594:
	s_mov_b32 s19, -1
                                        ; implicit-def: $vgpr2
.LBB120_595:
	s_mov_b32 s1, 0
.LBB120_596:
	s_delay_alu instid0(SALU_CYCLE_1)
	s_and_b32 vcc_lo, exec_lo, s1
	s_cbranch_vccz .LBB120_645
; %bb.597:
	v_cmp_gt_i16_e32 vcc_lo, 5, v6
	s_cbranch_vccnz .LBB120_602
; %bb.598:
	v_cmp_gt_i16_e32 vcc_lo, 8, v6
	s_cbranch_vccnz .LBB120_603
	;; [unrolled: 3-line block ×3, first 2 shown]
; %bb.600:
	v_cmp_lt_i16_e32 vcc_lo, 9, v6
	s_cbranch_vccz .LBB120_605
; %bb.601:
	global_load_b64 v[2:3], v[0:1], off
	s_mov_b32 s0, 0
	s_waitcnt vmcnt(0)
	v_cvt_f32_f64_e32 v2, v[2:3]
	s_branch .LBB120_606
.LBB120_602:
	s_mov_b32 s0, -1
                                        ; implicit-def: $vgpr2
	s_branch .LBB120_624
.LBB120_603:
	s_mov_b32 s0, -1
                                        ; implicit-def: $vgpr2
	s_branch .LBB120_612
.LBB120_604:
	s_mov_b32 s0, -1
                                        ; implicit-def: $vgpr2
	s_branch .LBB120_609
.LBB120_605:
	s_mov_b32 s0, -1
                                        ; implicit-def: $vgpr2
.LBB120_606:
	s_delay_alu instid0(SALU_CYCLE_1)
	s_and_not1_b32 vcc_lo, exec_lo, s0
	s_cbranch_vccnz .LBB120_608
; %bb.607:
	global_load_b32 v2, v[0:1], off
.LBB120_608:
	s_mov_b32 s0, 0
.LBB120_609:
	s_delay_alu instid0(SALU_CYCLE_1)
	s_and_not1_b32 vcc_lo, exec_lo, s0
	s_cbranch_vccnz .LBB120_611
; %bb.610:
	global_load_b32 v2, v[0:1], off
	s_waitcnt vmcnt(0)
	v_cvt_f32_f16_e32 v2, v2
.LBB120_611:
	s_mov_b32 s0, 0
.LBB120_612:
	s_delay_alu instid0(SALU_CYCLE_1)
	s_and_not1_b32 vcc_lo, exec_lo, s0
	s_cbranch_vccnz .LBB120_623
; %bb.613:
	v_cmp_gt_i16_e32 vcc_lo, 6, v6
	s_cbranch_vccnz .LBB120_616
; %bb.614:
	v_cmp_lt_i16_e32 vcc_lo, 6, v6
	s_cbranch_vccz .LBB120_617
; %bb.615:
	global_load_b64 v[2:3], v[0:1], off
	s_mov_b32 s0, 0
	s_waitcnt vmcnt(0)
	v_cvt_f32_f64_e32 v2, v[2:3]
	s_branch .LBB120_618
.LBB120_616:
	s_mov_b32 s0, -1
                                        ; implicit-def: $vgpr2
	s_branch .LBB120_621
.LBB120_617:
	s_mov_b32 s0, -1
                                        ; implicit-def: $vgpr2
.LBB120_618:
	s_delay_alu instid0(SALU_CYCLE_1)
	s_and_not1_b32 vcc_lo, exec_lo, s0
	s_cbranch_vccnz .LBB120_620
; %bb.619:
	global_load_b32 v2, v[0:1], off
.LBB120_620:
	s_mov_b32 s0, 0
.LBB120_621:
	s_delay_alu instid0(SALU_CYCLE_1)
	s_and_not1_b32 vcc_lo, exec_lo, s0
	s_cbranch_vccnz .LBB120_623
; %bb.622:
	global_load_u16 v2, v[0:1], off
	s_waitcnt vmcnt(0)
	v_cvt_f32_f16_e32 v2, v2
.LBB120_623:
	s_mov_b32 s0, 0
.LBB120_624:
	s_delay_alu instid0(SALU_CYCLE_1)
	s_and_not1_b32 vcc_lo, exec_lo, s0
	s_cbranch_vccnz .LBB120_644
; %bb.625:
	v_cmp_gt_i16_e32 vcc_lo, 2, v6
	s_cbranch_vccnz .LBB120_629
; %bb.626:
	v_cmp_gt_i16_e32 vcc_lo, 3, v6
	s_cbranch_vccnz .LBB120_630
; %bb.627:
	v_cmp_lt_i16_e32 vcc_lo, 3, v6
	s_cbranch_vccz .LBB120_631
; %bb.628:
	global_load_b64 v[2:3], v[0:1], off
	s_mov_b32 s0, 0
	s_waitcnt vmcnt(0)
	v_xor_b32_e32 v7, v2, v3
	v_cls_i32_e32 v8, v3
	s_delay_alu instid0(VALU_DEP_2) | instskip(NEXT) | instid1(VALU_DEP_2)
	v_ashrrev_i32_e32 v7, 31, v7
	v_add_nc_u32_e32 v8, -1, v8
	s_delay_alu instid0(VALU_DEP_2) | instskip(NEXT) | instid1(VALU_DEP_1)
	v_add_nc_u32_e32 v7, 32, v7
	v_min_u32_e32 v7, v8, v7
	s_delay_alu instid0(VALU_DEP_1) | instskip(NEXT) | instid1(VALU_DEP_1)
	v_lshlrev_b64 v[2:3], v7, v[2:3]
	v_min_u32_e32 v2, 1, v2
	s_delay_alu instid0(VALU_DEP_1) | instskip(SKIP_1) | instid1(VALU_DEP_2)
	v_or_b32_e32 v2, v3, v2
	v_sub_nc_u32_e32 v3, 32, v7
	v_cvt_f32_i32_e32 v2, v2
	s_delay_alu instid0(VALU_DEP_1)
	v_ldexp_f32 v2, v2, v3
	s_branch .LBB120_632
.LBB120_629:
	s_mov_b32 s0, -1
                                        ; implicit-def: $vgpr2
	s_branch .LBB120_638
.LBB120_630:
	s_mov_b32 s0, -1
                                        ; implicit-def: $vgpr2
	s_branch .LBB120_635
.LBB120_631:
	s_mov_b32 s0, -1
                                        ; implicit-def: $vgpr2
.LBB120_632:
	s_delay_alu instid0(SALU_CYCLE_1)
	s_and_not1_b32 vcc_lo, exec_lo, s0
	s_cbranch_vccnz .LBB120_634
; %bb.633:
	global_load_b32 v2, v[0:1], off
	s_waitcnt vmcnt(0)
	v_cvt_f32_i32_e32 v2, v2
.LBB120_634:
	s_mov_b32 s0, 0
.LBB120_635:
	s_delay_alu instid0(SALU_CYCLE_1)
	s_and_not1_b32 vcc_lo, exec_lo, s0
	s_cbranch_vccnz .LBB120_637
; %bb.636:
	global_load_i16 v2, v[0:1], off
	s_waitcnt vmcnt(0)
	v_cvt_f32_i32_e32 v2, v2
.LBB120_637:
	s_mov_b32 s0, 0
.LBB120_638:
	s_delay_alu instid0(SALU_CYCLE_1)
	s_and_not1_b32 vcc_lo, exec_lo, s0
	s_cbranch_vccnz .LBB120_644
; %bb.639:
	v_cmp_lt_i16_e32 vcc_lo, 0, v6
	s_mov_b32 s0, 0
	s_cbranch_vccz .LBB120_641
; %bb.640:
	global_load_i8 v2, v[0:1], off
	s_waitcnt vmcnt(0)
	v_cvt_f32_i32_e32 v2, v2
	s_branch .LBB120_642
.LBB120_641:
	s_mov_b32 s0, -1
                                        ; implicit-def: $vgpr2
.LBB120_642:
	s_delay_alu instid0(SALU_CYCLE_1)
	s_and_not1_b32 vcc_lo, exec_lo, s0
	s_cbranch_vccnz .LBB120_644
; %bb.643:
	global_load_u8 v0, v[0:1], off
	s_waitcnt vmcnt(0)
	v_cvt_f32_ubyte0_e32 v2, v0
.LBB120_644:
	s_mov_b32 s0, -1
.LBB120_645:
	s_delay_alu instid0(SALU_CYCLE_1)
	s_and_not1_b32 vcc_lo, exec_lo, s0
	s_cbranch_vccnz .LBB120_653
; %bb.646:
	s_waitcnt vmcnt(0)
	s_delay_alu instid0(VALU_DEP_1) | instskip(SKIP_1) | instid1(VALU_DEP_1)
	v_mul_f32_e32 v0, 0x3fb8aa3b, v2
	s_mov_b32 s0, 0x395133b1
	v_rndne_f32_e32 v0, v0
	s_delay_alu instid0(VALU_DEP_1) | instskip(SKIP_2) | instid1(VALU_DEP_3)
	v_fmamk_f32 v1, v0, 0xbf317218, v2
	v_cvt_i32_f32_e32 v7, v0
	v_cmp_eq_f32_e32 vcc_lo, 0x43000000, v0
	v_fmamk_f32 v1, v0, 0x3102e308, v1
	s_delay_alu instid0(VALU_DEP_3) | instskip(SKIP_1) | instid1(VALU_DEP_3)
	v_cndmask_b32_e64 v0, v7, 0x7f, vcc_lo
	v_and_b32_e32 v7, 0xff, v4
	v_fmaak_f32 v3, s0, v1, 0x3ab69700
	v_cmp_lt_f32_e64 s0, 0x42b17217, v2
	s_delay_alu instid0(VALU_DEP_4) | instskip(NEXT) | instid1(VALU_DEP_1)
	v_ldexp_f32 v0, 1.0, v0
	v_dual_add_f32 v8, -1.0, v0 :: v_dual_fmaak_f32 v3, v1, v3, 0x3c0887f9
	s_delay_alu instid0(VALU_DEP_1) | instskip(NEXT) | instid1(VALU_DEP_1)
	v_fmaak_f32 v3, v1, v3, 0x3d2aaa81
	v_fmaak_f32 v3, v1, v3, 0x3e2aaaab
	s_delay_alu instid0(VALU_DEP_1) | instskip(NEXT) | instid1(VALU_DEP_1)
	v_fma_f32 v3, v1, v3, 0.5
	v_mul_f32_e32 v3, v1, v3
	s_delay_alu instid0(VALU_DEP_1) | instskip(NEXT) | instid1(VALU_DEP_1)
	v_fmac_f32_e32 v1, v1, v3
	v_fmac_f32_e32 v8, v0, v1
	v_mul_lo_u32 v0, v5, s8
	s_delay_alu instid0(VALU_DEP_2) | instskip(NEXT) | instid1(VALU_DEP_1)
	v_add_f32_e32 v1, v8, v8
	v_cndmask_b32_e32 v3, v8, v1, vcc_lo
	s_delay_alu instid0(VALU_DEP_3) | instskip(SKIP_2) | instid1(VALU_DEP_4)
	v_ashrrev_i32_e32 v1, 31, v0
	v_add_co_u32 v0, s1, s4, v0
	v_cmp_gt_i16_e32 vcc_lo, 11, v7
	v_cndmask_b32_e64 v8, v3, 0x7f800000, s0
	s_delay_alu instid0(VALU_DEP_4) | instskip(SKIP_1) | instid1(VALU_DEP_1)
	v_add_co_ci_u32_e64 v1, s1, s5, v1, s1
	v_cmp_gt_f32_e64 s1, 0xc1880000, v2
	v_cndmask_b32_e64 v2, v8, -1.0, s1
	s_cbranch_vccnz .LBB120_654
; %bb.647:
	v_cmp_lt_i16_e32 vcc_lo, 25, v7
	s_cbranch_vccz .LBB120_655
; %bb.648:
	v_cmp_lt_i16_e32 vcc_lo, 28, v7
	s_cbranch_vccz .LBB120_656
	;; [unrolled: 3-line block ×4, first 2 shown]
; %bb.651:
	v_cmp_eq_u16_e32 vcc_lo, 46, v7
	s_mov_b32 s21, 0
	s_mov_b32 s2, -1
	s_mov_b32 s20, 0
	s_cbranch_vccz .LBB120_659
; %bb.652:
	v_bfe_u32 v8, v2, 16, 1
	v_cmp_o_f32_e32 vcc_lo, v2, v2
	s_mov_b32 s20, -1
	s_mov_b32 s2, 0
	s_delay_alu instid0(VALU_DEP_2) | instskip(NEXT) | instid1(VALU_DEP_1)
	v_add3_u32 v8, v2, v8, 0x7fff
	v_lshrrev_b32_e32 v8, 16, v8
	s_delay_alu instid0(VALU_DEP_1)
	v_cndmask_b32_e32 v8, 0x7fc0, v8, vcc_lo
	global_store_b32 v[0:1], v8, off
	s_branch .LBB120_659
.LBB120_653:
	s_mov_b32 s0, 0
	s_mov_b32 s2, s16
	s_branch .LBB120_770
.LBB120_654:
	s_mov_b32 s0, -1
	s_mov_b32 s20, 0
	s_mov_b32 s2, s16
	s_branch .LBB120_728
.LBB120_655:
	s_mov_b32 s21, -1
	s_mov_b32 s20, 0
	s_mov_b32 s2, s16
	s_branch .LBB120_686
.LBB120_656:
	s_mov_b32 s21, -1
	s_mov_b32 s20, 0
	s_mov_b32 s2, s16
	s_branch .LBB120_669
.LBB120_657:
	s_mov_b32 s21, -1
	s_mov_b32 s20, 0
	s_mov_b32 s2, s16
	s_branch .LBB120_665
.LBB120_658:
	s_mov_b32 s21, -1
	s_mov_b32 s20, 0
	s_mov_b32 s2, s16
.LBB120_659:
	s_and_b32 vcc_lo, exec_lo, s21
	s_cbranch_vccz .LBB120_664
; %bb.660:
	v_cmp_eq_u16_e32 vcc_lo, 44, v7
	s_mov_b32 s2, -1
	s_cbranch_vccz .LBB120_664
; %bb.661:
	v_bfe_u32 v9, v2, 23, 8
	v_mov_b32_e32 v8, 0xff
	s_mov_b32 s20, exec_lo
	s_delay_alu instid0(VALU_DEP_2)
	v_cmpx_ne_u32_e32 0xff, v9
; %bb.662:
	v_and_b32_e32 v8, 0x400000, v2
	v_and_or_b32 v9, 0x3fffff, v2, v9
	s_delay_alu instid0(VALU_DEP_2) | instskip(NEXT) | instid1(VALU_DEP_2)
	v_cmp_ne_u32_e32 vcc_lo, 0, v8
	v_cmp_ne_u32_e64 s2, 0, v9
	v_lshrrev_b32_e32 v8, 23, v2
	s_delay_alu instid0(VALU_DEP_2) | instskip(NEXT) | instid1(SALU_CYCLE_1)
	s_and_b32 s2, vcc_lo, s2
	v_cndmask_b32_e64 v9, 0, 1, s2
	s_delay_alu instid0(VALU_DEP_1)
	v_add_nc_u32_e32 v8, v8, v9
; %bb.663:
	s_or_b32 exec_lo, exec_lo, s20
	s_mov_b32 s20, -1
	s_mov_b32 s2, 0
	global_store_b8 v[0:1], v8, off
.LBB120_664:
	s_mov_b32 s21, 0
.LBB120_665:
	s_delay_alu instid0(SALU_CYCLE_1)
	s_and_b32 vcc_lo, exec_lo, s21
	s_cbranch_vccz .LBB120_668
; %bb.666:
	v_cmp_eq_u16_e32 vcc_lo, 29, v7
	s_mov_b32 s2, -1
	s_cbranch_vccz .LBB120_668
; %bb.667:
	v_trunc_f32_e32 v8, v2
	s_mov_b32 s20, -1
	s_mov_b32 s2, 0
	s_mov_b32 s21, 0
	s_delay_alu instid0(VALU_DEP_1) | instskip(NEXT) | instid1(VALU_DEP_1)
	v_mul_f32_e32 v9, 0x2f800000, v8
	v_floor_f32_e32 v9, v9
	s_delay_alu instid0(VALU_DEP_1) | instskip(SKIP_1) | instid1(VALU_DEP_2)
	v_fmamk_f32 v8, v9, 0xcf800000, v8
	v_cvt_u32_f32_e32 v9, v9
	v_cvt_u32_f32_e32 v8, v8
	global_store_b64 v[0:1], v[8:9], off
	s_branch .LBB120_669
.LBB120_668:
	s_mov_b32 s21, 0
.LBB120_669:
	s_delay_alu instid0(SALU_CYCLE_1)
	s_and_b32 vcc_lo, exec_lo, s21
	s_cbranch_vccz .LBB120_685
; %bb.670:
	v_cmp_gt_i16_e32 vcc_lo, 27, v7
	s_mov_b32 s20, -1
	s_cbranch_vccnz .LBB120_676
; %bb.671:
	v_cmp_lt_i16_e32 vcc_lo, 27, v7
	s_cbranch_vccz .LBB120_673
; %bb.672:
	v_cvt_u32_f32_e32 v8, v2
	s_mov_b32 s20, 0
	global_store_b32 v[0:1], v8, off
.LBB120_673:
	s_and_not1_b32 vcc_lo, exec_lo, s20
	s_cbranch_vccnz .LBB120_675
; %bb.674:
	v_cvt_u32_f32_e32 v8, v2
	global_store_b16 v[0:1], v8, off
.LBB120_675:
	s_mov_b32 s20, 0
.LBB120_676:
	s_delay_alu instid0(SALU_CYCLE_1)
	s_and_not1_b32 vcc_lo, exec_lo, s20
	s_cbranch_vccnz .LBB120_684
; %bb.677:
	v_cndmask_b32_e64 v8, |v3|, 0x7f800000, s0
	v_mov_b32_e32 v10, 0x80
	s_mov_b32 s20, exec_lo
	s_delay_alu instid0(VALU_DEP_2) | instskip(NEXT) | instid1(VALU_DEP_1)
	v_cndmask_b32_e64 v9, v8, 1.0, s1
	v_cmpx_gt_u32_e32 0x43800000, v9
	s_cbranch_execz .LBB120_683
; %bb.678:
	s_mov_b32 s21, 0
	s_mov_b32 s22, exec_lo
                                        ; implicit-def: $vgpr8
	v_cmpx_lt_u32_e32 0x3bffffff, v9
	s_xor_b32 s22, exec_lo, s22
	s_cbranch_execz .LBB120_785
; %bb.679:
	v_bfe_u32 v8, v2, 20, 1
	s_mov_b32 s21, exec_lo
                                        ; implicit-def: $vgpr9
	s_delay_alu instid0(VALU_DEP_1) | instskip(NEXT) | instid1(VALU_DEP_1)
	v_add3_u32 v8, v2, v8, 0x487ffff
	v_lshrrev_b32_e32 v8, 20, v8
	s_or_saveexec_b32 s22, s22
                                        ; implicit-def: $sgpr23
	s_delay_alu instid0(SALU_CYCLE_1)
	s_xor_b32 exec_lo, exec_lo, s22
	s_cbranch_execnz .LBB120_786
.LBB120_680:
	s_or_b32 exec_lo, exec_lo, s22
	v_mov_b32_e32 v10, s23
	s_and_saveexec_b32 s22, s21
.LBB120_681:
	v_lshrrev_b32_e32 v9, 24, v2
	s_delay_alu instid0(VALU_DEP_1)
	v_and_or_b32 v10, 0x80, v9, v8
.LBB120_682:
	s_or_b32 exec_lo, exec_lo, s22
.LBB120_683:
	s_delay_alu instid0(SALU_CYCLE_1)
	s_or_b32 exec_lo, exec_lo, s20
	global_store_b8 v[0:1], v10, off
.LBB120_684:
	s_mov_b32 s20, -1
.LBB120_685:
	s_mov_b32 s21, 0
.LBB120_686:
	s_delay_alu instid0(SALU_CYCLE_1)
	s_and_b32 vcc_lo, exec_lo, s21
	s_cbranch_vccz .LBB120_727
; %bb.687:
	v_cmp_lt_i16_e32 vcc_lo, 22, v7
	s_mov_b32 s21, -1
	s_cbranch_vccz .LBB120_719
; %bb.688:
	v_cmp_gt_i16_e32 vcc_lo, 24, v7
	s_mov_b32 s20, -1
	s_cbranch_vccnz .LBB120_708
; %bb.689:
	v_cmp_lt_i16_e32 vcc_lo, 24, v7
	s_cbranch_vccz .LBB120_697
; %bb.690:
	v_cndmask_b32_e64 v8, |v3|, 0x7f800000, s0
	v_mov_b32_e32 v10, 0x80
	s_mov_b32 s20, exec_lo
	s_delay_alu instid0(VALU_DEP_2) | instskip(NEXT) | instid1(VALU_DEP_1)
	v_cndmask_b32_e64 v9, v8, 1.0, s1
	v_cmpx_gt_u32_e32 0x47800000, v9
	s_cbranch_execz .LBB120_696
; %bb.691:
	s_mov_b32 s21, 0
	s_mov_b32 s22, exec_lo
                                        ; implicit-def: $vgpr8
	v_cmpx_lt_u32_e32 0x37ffffff, v9
	s_xor_b32 s22, exec_lo, s22
	s_cbranch_execz .LBB120_788
; %bb.692:
	v_bfe_u32 v8, v2, 21, 1
	s_mov_b32 s21, exec_lo
                                        ; implicit-def: $vgpr9
	s_delay_alu instid0(VALU_DEP_1) | instskip(NEXT) | instid1(VALU_DEP_1)
	v_add3_u32 v8, v2, v8, 0x88fffff
	v_lshrrev_b32_e32 v8, 21, v8
	s_or_saveexec_b32 s22, s22
                                        ; implicit-def: $sgpr23
	s_delay_alu instid0(SALU_CYCLE_1)
	s_xor_b32 exec_lo, exec_lo, s22
	s_cbranch_execnz .LBB120_789
.LBB120_693:
	s_or_b32 exec_lo, exec_lo, s22
	v_mov_b32_e32 v10, s23
	s_and_saveexec_b32 s22, s21
.LBB120_694:
	v_lshrrev_b32_e32 v9, 24, v2
	s_delay_alu instid0(VALU_DEP_1)
	v_and_or_b32 v10, 0x80, v9, v8
.LBB120_695:
	s_or_b32 exec_lo, exec_lo, s22
.LBB120_696:
	s_delay_alu instid0(SALU_CYCLE_1)
	s_or_b32 exec_lo, exec_lo, s20
	s_mov_b32 s20, 0
	global_store_b8 v[0:1], v10, off
.LBB120_697:
	s_and_b32 vcc_lo, exec_lo, s20
	s_cbranch_vccz .LBB120_707
; %bb.698:
	v_cndmask_b32_e64 v8, |v3|, 0x7f800000, s0
	s_mov_b32 s20, exec_lo
	s_delay_alu instid0(VALU_DEP_1) | instskip(NEXT) | instid1(VALU_DEP_1)
	v_cndmask_b32_e64 v9, v8, 1.0, s1
                                        ; implicit-def: $vgpr8
	v_cmpx_gt_u32_e32 0x43f00000, v9
	s_xor_b32 s20, exec_lo, s20
	s_cbranch_execz .LBB120_704
; %bb.699:
	s_mov_b32 s21, exec_lo
                                        ; implicit-def: $vgpr8
	v_cmpx_lt_u32_e32 0x3c7fffff, v9
	s_xor_b32 s21, exec_lo, s21
; %bb.700:
	v_bfe_u32 v8, v2, 20, 1
	s_delay_alu instid0(VALU_DEP_1) | instskip(NEXT) | instid1(VALU_DEP_1)
	v_add3_u32 v8, v2, v8, 0x407ffff
	v_and_b32_e32 v9, 0xff00000, v8
	v_lshrrev_b32_e32 v8, 20, v8
	s_delay_alu instid0(VALU_DEP_2) | instskip(NEXT) | instid1(VALU_DEP_2)
	v_cmp_ne_u32_e32 vcc_lo, 0x7f00000, v9
                                        ; implicit-def: $vgpr9
	v_cndmask_b32_e32 v8, 0x7e, v8, vcc_lo
; %bb.701:
	s_and_not1_saveexec_b32 s21, s21
; %bb.702:
	v_add_f32_e32 v8, 0x46800000, v9
; %bb.703:
	s_or_b32 exec_lo, exec_lo, s21
                                        ; implicit-def: $vgpr9
.LBB120_704:
	s_and_not1_saveexec_b32 s20, s20
; %bb.705:
	v_mov_b32_e32 v8, 0x7f
	v_cmp_lt_u32_e32 vcc_lo, 0x7f800000, v9
	s_delay_alu instid0(VALU_DEP_2)
	v_cndmask_b32_e32 v8, 0x7e, v8, vcc_lo
; %bb.706:
	s_or_b32 exec_lo, exec_lo, s20
	v_lshrrev_b32_e32 v9, 24, v2
	s_delay_alu instid0(VALU_DEP_1)
	v_and_or_b32 v8, 0x80, v9, v8
	global_store_b8 v[0:1], v8, off
.LBB120_707:
	s_mov_b32 s20, 0
.LBB120_708:
	s_delay_alu instid0(SALU_CYCLE_1)
	s_and_not1_b32 vcc_lo, exec_lo, s20
	s_cbranch_vccnz .LBB120_718
; %bb.709:
	v_cndmask_b32_e64 v3, |v3|, 0x7f800000, s0
	s_mov_b32 s0, exec_lo
	s_delay_alu instid0(VALU_DEP_1) | instskip(NEXT) | instid1(VALU_DEP_1)
	v_cndmask_b32_e64 v8, v3, 1.0, s1
                                        ; implicit-def: $vgpr3
	v_cmpx_gt_u32_e32 0x47800000, v8
	s_xor_b32 s0, exec_lo, s0
	s_cbranch_execz .LBB120_715
; %bb.710:
	s_mov_b32 s1, exec_lo
                                        ; implicit-def: $vgpr3
	v_cmpx_lt_u32_e32 0x387fffff, v8
	s_xor_b32 s1, exec_lo, s1
; %bb.711:
	v_bfe_u32 v3, v2, 21, 1
                                        ; implicit-def: $vgpr8
	s_delay_alu instid0(VALU_DEP_1) | instskip(NEXT) | instid1(VALU_DEP_1)
	v_add3_u32 v3, v2, v3, 0x80fffff
	v_lshrrev_b32_e32 v3, 21, v3
; %bb.712:
	s_and_not1_saveexec_b32 s1, s1
; %bb.713:
	v_add_f32_e32 v3, 0x43000000, v8
; %bb.714:
	s_or_b32 exec_lo, exec_lo, s1
                                        ; implicit-def: $vgpr8
.LBB120_715:
	s_and_not1_saveexec_b32 s0, s0
; %bb.716:
	v_mov_b32_e32 v3, 0x7f
	v_cmp_lt_u32_e32 vcc_lo, 0x7f800000, v8
	s_delay_alu instid0(VALU_DEP_2)
	v_cndmask_b32_e32 v3, 0x7c, v3, vcc_lo
; %bb.717:
	s_or_b32 exec_lo, exec_lo, s0
	v_lshrrev_b32_e32 v8, 24, v2
	s_delay_alu instid0(VALU_DEP_1)
	v_and_or_b32 v3, 0x80, v8, v3
	global_store_b8 v[0:1], v3, off
.LBB120_718:
	s_mov_b32 s21, 0
	s_mov_b32 s20, -1
.LBB120_719:
	s_and_not1_b32 vcc_lo, exec_lo, s21
	s_cbranch_vccnz .LBB120_727
; %bb.720:
	v_cmp_lt_i16_e32 vcc_lo, 14, v7
	s_mov_b32 s0, -1
	s_cbranch_vccz .LBB120_724
; %bb.721:
	v_cmp_eq_u16_e32 vcc_lo, 15, v7
	s_mov_b32 s2, -1
	s_cbranch_vccz .LBB120_723
; %bb.722:
	v_bfe_u32 v3, v2, 16, 1
	v_cmp_o_f32_e32 vcc_lo, v2, v2
	s_mov_b32 s20, -1
	s_mov_b32 s2, 0
	s_delay_alu instid0(VALU_DEP_2) | instskip(NEXT) | instid1(VALU_DEP_1)
	v_add3_u32 v3, v2, v3, 0x7fff
	v_lshrrev_b32_e32 v3, 16, v3
	s_delay_alu instid0(VALU_DEP_1)
	v_cndmask_b32_e32 v3, 0x7fc0, v3, vcc_lo
	global_store_b16 v[0:1], v3, off
.LBB120_723:
	s_mov_b32 s0, 0
.LBB120_724:
	s_delay_alu instid0(SALU_CYCLE_1)
	s_and_b32 vcc_lo, exec_lo, s0
	s_cbranch_vccz .LBB120_727
; %bb.725:
	v_cmp_eq_u16_e32 vcc_lo, 11, v7
	s_mov_b32 s2, -1
	s_cbranch_vccz .LBB120_727
; %bb.726:
	v_cmp_neq_f32_e32 vcc_lo, 0, v2
	s_mov_b32 s2, 0
	s_mov_b32 s20, -1
	v_cndmask_b32_e64 v3, 0, 1, vcc_lo
	global_store_b8 v[0:1], v3, off
.LBB120_727:
	s_mov_b32 s0, 0
.LBB120_728:
	s_delay_alu instid0(SALU_CYCLE_1)
	s_and_b32 vcc_lo, exec_lo, s0
	s_cbranch_vccz .LBB120_767
; %bb.729:
	v_cmp_gt_i16_e32 vcc_lo, 5, v7
	s_mov_b32 s0, -1
	s_cbranch_vccnz .LBB120_750
; %bb.730:
	v_cmp_gt_i16_e32 vcc_lo, 8, v7
	s_cbranch_vccnz .LBB120_740
; %bb.731:
	v_cmp_gt_i16_e32 vcc_lo, 9, v7
	s_cbranch_vccnz .LBB120_737
; %bb.732:
	v_cmp_lt_i16_e32 vcc_lo, 9, v7
	s_cbranch_vccz .LBB120_734
; %bb.733:
	v_cvt_f64_f32_e32 v[8:9], v2
	v_mov_b32_e32 v10, 0
	s_mov_b32 s0, 0
	s_delay_alu instid0(VALU_DEP_1)
	v_mov_b32_e32 v11, v10
	global_store_b128 v[0:1], v[8:11], off
.LBB120_734:
	s_and_not1_b32 vcc_lo, exec_lo, s0
	s_cbranch_vccnz .LBB120_736
; %bb.735:
	v_mov_b32_e32 v3, 0
	global_store_b64 v[0:1], v[2:3], off
.LBB120_736:
	s_mov_b32 s0, 0
.LBB120_737:
	s_delay_alu instid0(SALU_CYCLE_1)
	s_and_not1_b32 vcc_lo, exec_lo, s0
	s_cbranch_vccnz .LBB120_739
; %bb.738:
	v_cvt_f16_f32_e32 v3, v2
	s_delay_alu instid0(VALU_DEP_1)
	v_and_b32_e32 v3, 0xffff, v3
	global_store_b32 v[0:1], v3, off
.LBB120_739:
	s_mov_b32 s0, 0
.LBB120_740:
	s_delay_alu instid0(SALU_CYCLE_1)
	s_and_not1_b32 vcc_lo, exec_lo, s0
	s_cbranch_vccnz .LBB120_749
; %bb.741:
	v_cmp_gt_i16_e32 vcc_lo, 6, v7
	s_mov_b32 s0, -1
	s_cbranch_vccnz .LBB120_747
; %bb.742:
	v_cmp_lt_i16_e32 vcc_lo, 6, v7
	s_cbranch_vccz .LBB120_744
; %bb.743:
	v_cvt_f64_f32_e32 v[8:9], v2
	s_mov_b32 s0, 0
	global_store_b64 v[0:1], v[8:9], off
.LBB120_744:
	s_and_not1_b32 vcc_lo, exec_lo, s0
	s_cbranch_vccnz .LBB120_746
; %bb.745:
	global_store_b32 v[0:1], v2, off
.LBB120_746:
	s_mov_b32 s0, 0
.LBB120_747:
	s_delay_alu instid0(SALU_CYCLE_1)
	s_and_not1_b32 vcc_lo, exec_lo, s0
	s_cbranch_vccnz .LBB120_749
; %bb.748:
	v_cvt_f16_f32_e32 v3, v2
	global_store_b16 v[0:1], v3, off
.LBB120_749:
	s_mov_b32 s0, 0
.LBB120_750:
	s_delay_alu instid0(SALU_CYCLE_1)
	s_and_not1_b32 vcc_lo, exec_lo, s0
	s_cbranch_vccnz .LBB120_766
; %bb.751:
	v_cmp_gt_i16_e32 vcc_lo, 2, v7
	s_mov_b32 s0, -1
	s_cbranch_vccnz .LBB120_761
; %bb.752:
	v_cmp_gt_i16_e32 vcc_lo, 3, v7
	s_cbranch_vccnz .LBB120_758
; %bb.753:
	v_cmp_lt_i16_e32 vcc_lo, 3, v7
	s_cbranch_vccz .LBB120_755
; %bb.754:
	v_trunc_f32_e32 v3, v2
	s_mov_b32 s0, 0
	s_delay_alu instid0(VALU_DEP_1) | instskip(NEXT) | instid1(VALU_DEP_1)
	v_mul_f32_e64 v8, 0x2f800000, |v3|
	v_floor_f32_e32 v8, v8
	s_delay_alu instid0(VALU_DEP_1) | instskip(SKIP_2) | instid1(VALU_DEP_3)
	v_fma_f32 v9, 0xcf800000, v8, |v3|
	v_ashrrev_i32_e32 v3, 31, v3
	v_cvt_u32_f32_e32 v8, v8
	v_cvt_u32_f32_e32 v9, v9
	s_delay_alu instid0(VALU_DEP_2) | instskip(NEXT) | instid1(VALU_DEP_2)
	v_xor_b32_e32 v10, v8, v3
	v_xor_b32_e32 v9, v9, v3
	s_delay_alu instid0(VALU_DEP_1) | instskip(NEXT) | instid1(VALU_DEP_3)
	v_sub_co_u32 v8, vcc_lo, v9, v3
	v_sub_co_ci_u32_e32 v9, vcc_lo, v10, v3, vcc_lo
	global_store_b64 v[0:1], v[8:9], off
.LBB120_755:
	s_and_not1_b32 vcc_lo, exec_lo, s0
	s_cbranch_vccnz .LBB120_757
; %bb.756:
	v_cvt_i32_f32_e32 v3, v2
	global_store_b32 v[0:1], v3, off
.LBB120_757:
	s_mov_b32 s0, 0
.LBB120_758:
	s_delay_alu instid0(SALU_CYCLE_1)
	s_and_not1_b32 vcc_lo, exec_lo, s0
	s_cbranch_vccnz .LBB120_760
; %bb.759:
	v_cvt_i32_f32_e32 v3, v2
	global_store_b16 v[0:1], v3, off
.LBB120_760:
	s_mov_b32 s0, 0
.LBB120_761:
	s_delay_alu instid0(SALU_CYCLE_1)
	s_and_not1_b32 vcc_lo, exec_lo, s0
	s_cbranch_vccnz .LBB120_766
; %bb.762:
	v_cmp_lt_i16_e32 vcc_lo, 0, v7
	s_mov_b32 s0, -1
	s_cbranch_vccz .LBB120_764
; %bb.763:
	v_cvt_i32_f32_e32 v3, v2
	s_mov_b32 s0, 0
	global_store_b8 v[0:1], v3, off
.LBB120_764:
	s_and_not1_b32 vcc_lo, exec_lo, s0
	s_cbranch_vccnz .LBB120_766
; %bb.765:
	v_trunc_f32_e32 v2, v2
	s_delay_alu instid0(VALU_DEP_1) | instskip(NEXT) | instid1(VALU_DEP_1)
	v_mul_f32_e64 v3, 0x2f800000, |v2|
	v_floor_f32_e32 v3, v3
	s_delay_alu instid0(VALU_DEP_1) | instskip(SKIP_1) | instid1(VALU_DEP_2)
	v_fma_f32 v3, 0xcf800000, v3, |v2|
	v_ashrrev_i32_e32 v2, 31, v2
	v_cvt_u32_f32_e32 v3, v3
	s_delay_alu instid0(VALU_DEP_1) | instskip(NEXT) | instid1(VALU_DEP_1)
	v_xor_b32_e32 v3, v3, v2
	v_sub_nc_u32_e32 v2, v3, v2
	global_store_b8 v[0:1], v2, off
.LBB120_766:
	s_mov_b32 s20, -1
.LBB120_767:
	s_delay_alu instid0(SALU_CYCLE_1)
	s_and_not1_b32 vcc_lo, exec_lo, s20
	s_cbranch_vccnz .LBB120_769
; %bb.768:
	v_add_nc_u32_e32 v5, 0x80, v5
	s_mov_b32 s0, -1
	s_branch .LBB120_771
.LBB120_769:
	s_mov_b32 s0, 0
.LBB120_770:
                                        ; implicit-def: $vgpr5
.LBB120_771:
	s_and_not1_b32 s1, s16, exec_lo
	s_and_b32 s2, s2, exec_lo
	s_and_not1_b32 s20, s15, exec_lo
	s_and_b32 s19, s19, exec_lo
	s_or_b32 s2, s1, s2
	s_or_b32 s1, s20, s19
	s_or_not1_b32 s0, s0, exec_lo
.LBB120_772:
	s_or_b32 exec_lo, exec_lo, s18
	s_mov_b32 s19, 0
	s_mov_b32 s20, 0
	;; [unrolled: 1-line block ×3, first 2 shown]
                                        ; implicit-def: $vgpr0_vgpr1
                                        ; implicit-def: $vgpr3
	s_and_saveexec_b32 s18, s0
	s_cbranch_execz .LBB120_857
; %bb.773:
	v_cmp_gt_i32_e32 vcc_lo, s12, v5
	s_mov_b32 s0, 0
	s_mov_b32 s19, s1
                                        ; implicit-def: $vgpr0_vgpr1
                                        ; implicit-def: $vgpr3
	s_and_saveexec_b32 s12, vcc_lo
	s_cbranch_execz .LBB120_856
; %bb.774:
	v_mul_lo_u32 v0, v5, s9
	v_cmp_gt_i16_e32 vcc_lo, 11, v6
	s_delay_alu instid0(VALU_DEP_2) | instskip(SKIP_1) | instid1(VALU_DEP_1)
	v_ashrrev_i32_e32 v1, 31, v0
	v_add_co_u32 v0, s0, s6, v0
	v_add_co_ci_u32_e64 v1, s0, s7, v1, s0
	s_cbranch_vccnz .LBB120_781
; %bb.775:
	v_cmp_lt_i16_e32 vcc_lo, 25, v6
	s_mov_b32 s19, 0
	s_cbranch_vccz .LBB120_782
; %bb.776:
	v_cmp_lt_i16_e32 vcc_lo, 28, v6
	s_cbranch_vccz .LBB120_783
; %bb.777:
	v_cmp_lt_i16_e32 vcc_lo, 43, v6
	;; [unrolled: 3-line block ×3, first 2 shown]
	s_cbranch_vccz .LBB120_787
; %bb.779:
	v_cmp_eq_u16_e32 vcc_lo, 46, v6
	s_cbranch_vccz .LBB120_790
; %bb.780:
	global_load_b32 v2, v[0:1], off
	s_mov_b32 s0, 0
	s_mov_b32 s20, -1
	s_waitcnt vmcnt(0)
	v_lshlrev_b32_e32 v3, 16, v2
	s_branch .LBB120_792
.LBB120_781:
	s_mov_b32 s22, -1
	s_mov_b32 s19, 0
	s_mov_b32 s0, s1
                                        ; implicit-def: $vgpr3
	s_branch .LBB120_855
.LBB120_782:
	s_mov_b32 s21, -1
	s_mov_b32 s0, s1
                                        ; implicit-def: $vgpr3
	s_branch .LBB120_821
.LBB120_783:
	s_mov_b32 s21, -1
	s_mov_b32 s0, s1
                                        ; implicit-def: $vgpr3
	s_branch .LBB120_802
.LBB120_784:
	s_mov_b32 s21, -1
	s_mov_b32 s0, s1
                                        ; implicit-def: $vgpr3
	s_branch .LBB120_797
.LBB120_785:
	s_or_saveexec_b32 s22, s22
                                        ; implicit-def: $sgpr23
	s_delay_alu instid0(SALU_CYCLE_1)
	s_xor_b32 exec_lo, exec_lo, s22
	s_cbranch_execz .LBB120_680
.LBB120_786:
	v_add_f32_e32 v8, 0x46000000, v9
	s_and_not1_b32 s21, s21, exec_lo
	s_mov_b32 s23, 0
	s_delay_alu instid0(VALU_DEP_1) | instskip(NEXT) | instid1(VALU_DEP_1)
	v_and_b32_e32 v8, 0xff, v8
	v_cmp_ne_u32_e32 vcc_lo, 0, v8
	s_and_b32 s24, vcc_lo, exec_lo
	s_delay_alu instid0(SALU_CYCLE_1)
	s_or_b32 s21, s21, s24
	s_or_b32 exec_lo, exec_lo, s22
	v_mov_b32_e32 v10, s23
	s_and_saveexec_b32 s22, s21
	s_cbranch_execnz .LBB120_681
	s_branch .LBB120_682
.LBB120_787:
	s_mov_b32 s21, -1
	s_mov_b32 s0, s1
	s_branch .LBB120_791
.LBB120_788:
	s_or_saveexec_b32 s22, s22
                                        ; implicit-def: $sgpr23
	s_delay_alu instid0(SALU_CYCLE_1)
	s_xor_b32 exec_lo, exec_lo, s22
	s_cbranch_execz .LBB120_693
.LBB120_789:
	v_add_f32_e32 v8, 0x42800000, v9
	s_and_not1_b32 s21, s21, exec_lo
	s_mov_b32 s23, 0
	s_delay_alu instid0(VALU_DEP_1) | instskip(NEXT) | instid1(VALU_DEP_1)
	v_and_b32_e32 v8, 0xff, v8
	v_cmp_ne_u32_e32 vcc_lo, 0, v8
	s_and_b32 s24, vcc_lo, exec_lo
	s_delay_alu instid0(SALU_CYCLE_1)
	s_or_b32 s21, s21, s24
	s_or_b32 exec_lo, exec_lo, s22
	v_mov_b32_e32 v10, s23
	s_and_saveexec_b32 s22, s21
	s_cbranch_execnz .LBB120_694
	s_branch .LBB120_695
.LBB120_790:
	s_mov_b32 s0, -1
.LBB120_791:
                                        ; implicit-def: $vgpr3
.LBB120_792:
	s_and_b32 vcc_lo, exec_lo, s21
	s_cbranch_vccz .LBB120_796
; %bb.793:
	v_cmp_eq_u16_e32 vcc_lo, 44, v6
	s_cbranch_vccz .LBB120_795
; %bb.794:
	global_load_u8 v2, v[0:1], off
	s_mov_b32 s0, 0
	s_mov_b32 s20, -1
	s_waitcnt vmcnt(0)
	v_lshlrev_b32_e32 v3, 23, v2
	v_cmp_ne_u32_e32 vcc_lo, 0xff, v2
	s_delay_alu instid0(VALU_DEP_2) | instskip(SKIP_1) | instid1(VALU_DEP_2)
	v_cndmask_b32_e32 v3, 0x7f800001, v3, vcc_lo
	v_cmp_ne_u32_e32 vcc_lo, 0, v2
	v_cndmask_b32_e32 v3, 0x400000, v3, vcc_lo
	s_branch .LBB120_796
.LBB120_795:
	s_mov_b32 s0, -1
                                        ; implicit-def: $vgpr3
.LBB120_796:
	s_mov_b32 s21, 0
.LBB120_797:
	s_delay_alu instid0(SALU_CYCLE_1)
	s_and_b32 vcc_lo, exec_lo, s21
	s_cbranch_vccz .LBB120_801
; %bb.798:
	v_cmp_eq_u16_e32 vcc_lo, 29, v6
	s_cbranch_vccz .LBB120_800
; %bb.799:
	global_load_b64 v[2:3], v[0:1], off
	s_mov_b32 s0, 0
	s_mov_b32 s20, -1
	s_mov_b32 s21, 0
	s_waitcnt vmcnt(0)
	v_clz_i32_u32_e32 v7, v3
	s_delay_alu instid0(VALU_DEP_1) | instskip(NEXT) | instid1(VALU_DEP_1)
	v_min_u32_e32 v7, 32, v7
	v_lshlrev_b64 v[2:3], v7, v[2:3]
	s_delay_alu instid0(VALU_DEP_1) | instskip(NEXT) | instid1(VALU_DEP_1)
	v_min_u32_e32 v2, 1, v2
	v_or_b32_e32 v2, v3, v2
	v_sub_nc_u32_e32 v3, 32, v7
	s_delay_alu instid0(VALU_DEP_2) | instskip(NEXT) | instid1(VALU_DEP_1)
	v_cvt_f32_u32_e32 v2, v2
	v_ldexp_f32 v3, v2, v3
	s_branch .LBB120_802
.LBB120_800:
	s_mov_b32 s0, -1
                                        ; implicit-def: $vgpr3
.LBB120_801:
	s_mov_b32 s21, 0
.LBB120_802:
	s_delay_alu instid0(SALU_CYCLE_1)
	s_and_b32 vcc_lo, exec_lo, s21
	s_cbranch_vccz .LBB120_820
; %bb.803:
	v_cmp_gt_i16_e32 vcc_lo, 27, v6
	s_cbranch_vccnz .LBB120_806
; %bb.804:
	v_cmp_lt_i16_e32 vcc_lo, 27, v6
	s_cbranch_vccz .LBB120_807
; %bb.805:
	global_load_b32 v2, v[0:1], off
	s_mov_b32 s20, 0
	s_waitcnt vmcnt(0)
	v_cvt_f32_u32_e32 v3, v2
	s_branch .LBB120_808
.LBB120_806:
	s_mov_b32 s20, -1
                                        ; implicit-def: $vgpr3
	s_branch .LBB120_811
.LBB120_807:
	s_mov_b32 s20, -1
                                        ; implicit-def: $vgpr3
.LBB120_808:
	s_delay_alu instid0(SALU_CYCLE_1)
	s_and_not1_b32 vcc_lo, exec_lo, s20
	s_cbranch_vccnz .LBB120_810
; %bb.809:
	global_load_u16 v2, v[0:1], off
	s_waitcnt vmcnt(0)
	v_cvt_f32_u32_e32 v3, v2
.LBB120_810:
	s_mov_b32 s20, 0
.LBB120_811:
	s_delay_alu instid0(SALU_CYCLE_1)
	s_and_not1_b32 vcc_lo, exec_lo, s20
	s_cbranch_vccnz .LBB120_819
; %bb.812:
	global_load_u8 v2, v[0:1], off
	s_mov_b32 s20, 0
	s_mov_b32 s22, exec_lo
                                        ; implicit-def: $sgpr21
	s_waitcnt vmcnt(0)
	v_cmpx_lt_i16_e32 0x7f, v2
	s_xor_b32 s22, exec_lo, s22
	s_cbranch_execz .LBB120_833
; %bb.813:
	s_mov_b32 s20, -1
	s_mov_b32 s23, exec_lo
                                        ; implicit-def: $sgpr21
	v_cmpx_eq_u16_e32 0x80, v2
; %bb.814:
	s_mov_b32 s21, 0x7f800001
	s_xor_b32 s20, exec_lo, -1
; %bb.815:
	s_or_b32 exec_lo, exec_lo, s23
	s_delay_alu instid0(SALU_CYCLE_1)
	s_and_b32 s20, s20, exec_lo
	s_or_saveexec_b32 s22, s22
	v_mov_b32_e32 v3, s21
	s_xor_b32 exec_lo, exec_lo, s22
	s_cbranch_execnz .LBB120_834
.LBB120_816:
	s_or_b32 exec_lo, exec_lo, s22
	s_and_saveexec_b32 s21, s20
	s_cbranch_execz .LBB120_818
.LBB120_817:
	v_and_b32_e32 v3, 0xffff, v2
	s_delay_alu instid0(VALU_DEP_1) | instskip(NEXT) | instid1(VALU_DEP_1)
	v_and_b32_e32 v7, 7, v3
	v_clz_i32_u32_e32 v8, v7
	s_delay_alu instid0(VALU_DEP_1) | instskip(NEXT) | instid1(VALU_DEP_1)
	v_min_u32_e32 v8, 32, v8
	v_subrev_nc_u32_e32 v9, 28, v8
	v_sub_nc_u32_e32 v8, 29, v8
	s_delay_alu instid0(VALU_DEP_2) | instskip(SKIP_1) | instid1(VALU_DEP_2)
	v_lshlrev_b32_e32 v9, v9, v3
	v_bfe_u32 v3, v3, 3, 4
	v_and_b32_e32 v9, 7, v9
	s_delay_alu instid0(VALU_DEP_2) | instskip(SKIP_1) | instid1(VALU_DEP_1)
	v_cmp_eq_u32_e32 vcc_lo, 0, v3
	v_dual_cndmask_b32 v3, v3, v8 :: v_dual_lshlrev_b32 v2, 24, v2
	v_dual_cndmask_b32 v7, v7, v9 :: v_dual_and_b32 v2, 0x80000000, v2
	s_delay_alu instid0(VALU_DEP_2) | instskip(NEXT) | instid1(VALU_DEP_2)
	v_lshl_add_u32 v3, v3, 23, 0x3b800000
	v_lshlrev_b32_e32 v7, 20, v7
	s_delay_alu instid0(VALU_DEP_1)
	v_or3_b32 v3, v2, v3, v7
.LBB120_818:
	s_or_b32 exec_lo, exec_lo, s21
.LBB120_819:
	s_mov_b32 s20, -1
.LBB120_820:
	s_mov_b32 s21, 0
.LBB120_821:
	s_delay_alu instid0(SALU_CYCLE_1)
	s_and_b32 vcc_lo, exec_lo, s21
	s_cbranch_vccz .LBB120_854
; %bb.822:
	v_cmp_lt_i16_e32 vcc_lo, 22, v6
	s_cbranch_vccz .LBB120_832
; %bb.823:
	v_cmp_gt_i16_e32 vcc_lo, 24, v6
	s_cbranch_vccnz .LBB120_835
; %bb.824:
	v_cmp_lt_i16_e32 vcc_lo, 24, v6
	s_cbranch_vccz .LBB120_836
; %bb.825:
	global_load_u8 v2, v[0:1], off
	s_mov_b32 s21, exec_lo
                                        ; implicit-def: $sgpr20
	s_waitcnt vmcnt(0)
	v_cmpx_lt_i16_e32 0x7f, v2
	s_xor_b32 s21, exec_lo, s21
	s_cbranch_execz .LBB120_848
; %bb.826:
	s_mov_b32 s19, -1
	s_mov_b32 s22, exec_lo
                                        ; implicit-def: $sgpr20
	v_cmpx_eq_u16_e32 0x80, v2
; %bb.827:
	s_mov_b32 s20, 0x7f800001
	s_xor_b32 s19, exec_lo, -1
; %bb.828:
	s_or_b32 exec_lo, exec_lo, s22
	s_delay_alu instid0(SALU_CYCLE_1)
	s_and_b32 s19, s19, exec_lo
	s_or_saveexec_b32 s21, s21
	v_mov_b32_e32 v3, s20
	s_xor_b32 exec_lo, exec_lo, s21
	s_cbranch_execnz .LBB120_849
.LBB120_829:
	s_or_b32 exec_lo, exec_lo, s21
	s_and_saveexec_b32 s20, s19
	s_cbranch_execz .LBB120_831
.LBB120_830:
	v_and_b32_e32 v3, 0xffff, v2
	s_delay_alu instid0(VALU_DEP_1) | instskip(NEXT) | instid1(VALU_DEP_1)
	v_and_b32_e32 v7, 3, v3
	v_clz_i32_u32_e32 v8, v7
	s_delay_alu instid0(VALU_DEP_1) | instskip(NEXT) | instid1(VALU_DEP_1)
	v_min_u32_e32 v8, 32, v8
	v_subrev_nc_u32_e32 v9, 29, v8
	v_sub_nc_u32_e32 v8, 30, v8
	s_delay_alu instid0(VALU_DEP_2) | instskip(SKIP_1) | instid1(VALU_DEP_2)
	v_lshlrev_b32_e32 v9, v9, v3
	v_bfe_u32 v3, v3, 2, 5
	v_and_b32_e32 v9, 3, v9
	s_delay_alu instid0(VALU_DEP_2) | instskip(SKIP_1) | instid1(VALU_DEP_1)
	v_cmp_eq_u32_e32 vcc_lo, 0, v3
	v_dual_cndmask_b32 v3, v3, v8 :: v_dual_lshlrev_b32 v2, 24, v2
	v_dual_cndmask_b32 v7, v7, v9 :: v_dual_and_b32 v2, 0x80000000, v2
	s_delay_alu instid0(VALU_DEP_2) | instskip(NEXT) | instid1(VALU_DEP_2)
	v_lshl_add_u32 v3, v3, 23, 0x37800000
	v_lshlrev_b32_e32 v7, 21, v7
	s_delay_alu instid0(VALU_DEP_1)
	v_or3_b32 v3, v2, v3, v7
.LBB120_831:
	s_or_b32 exec_lo, exec_lo, s20
	s_mov_b32 s19, 0
	s_branch .LBB120_837
.LBB120_832:
	s_mov_b32 s19, -1
                                        ; implicit-def: $vgpr3
	s_branch .LBB120_843
.LBB120_833:
	s_or_saveexec_b32 s22, s22
	v_mov_b32_e32 v3, s21
	s_xor_b32 exec_lo, exec_lo, s22
	s_cbranch_execz .LBB120_816
.LBB120_834:
	v_cmp_ne_u16_e32 vcc_lo, 0, v2
	v_mov_b32_e32 v3, 0
	s_and_not1_b32 s20, s20, exec_lo
	s_and_b32 s21, vcc_lo, exec_lo
	s_delay_alu instid0(SALU_CYCLE_1)
	s_or_b32 s20, s20, s21
	s_or_b32 exec_lo, exec_lo, s22
	s_and_saveexec_b32 s21, s20
	s_cbranch_execnz .LBB120_817
	s_branch .LBB120_818
.LBB120_835:
	s_mov_b32 s19, -1
                                        ; implicit-def: $vgpr3
	s_branch .LBB120_840
.LBB120_836:
	s_mov_b32 s19, -1
                                        ; implicit-def: $vgpr3
.LBB120_837:
	s_delay_alu instid0(SALU_CYCLE_1)
	s_and_b32 vcc_lo, exec_lo, s19
	s_cbranch_vccz .LBB120_839
; %bb.838:
	global_load_u8 v2, v[0:1], off
	s_waitcnt vmcnt(0)
	v_lshlrev_b32_e32 v2, 24, v2
	s_delay_alu instid0(VALU_DEP_1) | instskip(NEXT) | instid1(VALU_DEP_1)
	v_and_b32_e32 v3, 0x7f000000, v2
	v_clz_i32_u32_e32 v7, v3
	v_add_nc_u32_e32 v9, 0x1000000, v3
	v_cmp_ne_u32_e32 vcc_lo, 0, v3
	s_delay_alu instid0(VALU_DEP_3) | instskip(NEXT) | instid1(VALU_DEP_1)
	v_min_u32_e32 v7, 32, v7
	v_sub_nc_u32_e64 v7, v7, 4 clamp
	s_delay_alu instid0(VALU_DEP_1) | instskip(SKIP_1) | instid1(VALU_DEP_2)
	v_lshlrev_b32_e32 v8, v7, v3
	v_lshlrev_b32_e32 v7, 23, v7
	v_lshrrev_b32_e32 v8, 4, v8
	s_delay_alu instid0(VALU_DEP_1) | instskip(SKIP_1) | instid1(VALU_DEP_2)
	v_sub_nc_u32_e32 v7, v8, v7
	v_ashrrev_i32_e32 v8, 8, v9
	v_add_nc_u32_e32 v7, 0x3c000000, v7
	s_delay_alu instid0(VALU_DEP_1) | instskip(NEXT) | instid1(VALU_DEP_1)
	v_and_or_b32 v7, 0x7f800000, v8, v7
	v_cndmask_b32_e32 v3, 0, v7, vcc_lo
	s_delay_alu instid0(VALU_DEP_1)
	v_and_or_b32 v3, 0x80000000, v2, v3
.LBB120_839:
	s_mov_b32 s19, 0
.LBB120_840:
	s_delay_alu instid0(SALU_CYCLE_1)
	s_and_not1_b32 vcc_lo, exec_lo, s19
	s_cbranch_vccnz .LBB120_842
; %bb.841:
	global_load_u8 v2, v[0:1], off
	s_waitcnt vmcnt(0)
	v_lshlrev_b32_e32 v3, 25, v2
	v_lshlrev_b16 v2, 8, v2
	s_delay_alu instid0(VALU_DEP_1) | instskip(SKIP_1) | instid1(VALU_DEP_2)
	v_and_or_b32 v8, 0x7f00, v2, 0.5
	v_bfe_i32 v2, v2, 0, 16
	v_add_f32_e32 v8, -0.5, v8
	v_lshrrev_b32_e32 v7, 4, v3
	v_cmp_gt_u32_e32 vcc_lo, 0x8000000, v3
	s_delay_alu instid0(VALU_DEP_2) | instskip(NEXT) | instid1(VALU_DEP_1)
	v_or_b32_e32 v7, 0x70000000, v7
	v_mul_f32_e32 v7, 0x7800000, v7
	s_delay_alu instid0(VALU_DEP_1) | instskip(NEXT) | instid1(VALU_DEP_1)
	v_cndmask_b32_e32 v3, v7, v8, vcc_lo
	v_and_or_b32 v3, 0x80000000, v2, v3
.LBB120_842:
	s_mov_b32 s19, 0
	s_mov_b32 s20, -1
.LBB120_843:
	s_and_not1_b32 vcc_lo, exec_lo, s19
	s_mov_b32 s19, 0
	s_cbranch_vccnz .LBB120_854
; %bb.844:
	v_cmp_lt_i16_e32 vcc_lo, 14, v6
	s_cbranch_vccz .LBB120_847
; %bb.845:
	v_cmp_eq_u16_e32 vcc_lo, 15, v6
	s_cbranch_vccz .LBB120_850
; %bb.846:
	global_load_u16 v2, v[0:1], off
	s_mov_b32 s0, 0
	s_mov_b32 s20, -1
	s_waitcnt vmcnt(0)
	v_lshlrev_b32_e32 v3, 16, v2
	s_branch .LBB120_852
.LBB120_847:
	s_mov_b32 s19, -1
	s_branch .LBB120_851
.LBB120_848:
	s_or_saveexec_b32 s21, s21
	v_mov_b32_e32 v3, s20
	s_xor_b32 exec_lo, exec_lo, s21
	s_cbranch_execz .LBB120_829
.LBB120_849:
	v_cmp_ne_u16_e32 vcc_lo, 0, v2
	v_mov_b32_e32 v3, 0
	s_and_not1_b32 s19, s19, exec_lo
	s_and_b32 s20, vcc_lo, exec_lo
	s_delay_alu instid0(SALU_CYCLE_1)
	s_or_b32 s19, s19, s20
	s_or_b32 exec_lo, exec_lo, s21
	s_and_saveexec_b32 s20, s19
	s_cbranch_execnz .LBB120_830
	s_branch .LBB120_831
.LBB120_850:
	s_mov_b32 s0, -1
.LBB120_851:
                                        ; implicit-def: $vgpr3
.LBB120_852:
	s_and_b32 vcc_lo, exec_lo, s19
	s_mov_b32 s19, 0
	s_cbranch_vccz .LBB120_854
; %bb.853:
	v_cmp_ne_u16_e32 vcc_lo, 11, v6
	s_and_not1_b32 s0, s0, exec_lo
	s_mov_b32 s19, -1
                                        ; implicit-def: $vgpr3
	s_and_b32 s21, vcc_lo, exec_lo
	s_delay_alu instid0(SALU_CYCLE_1)
	s_or_b32 s0, s0, s21
.LBB120_854:
	s_mov_b32 s22, 0
.LBB120_855:
	s_and_b32 s21, s20, exec_lo
	s_and_b32 s20, s22, exec_lo
	s_and_not1_b32 s22, s1, exec_lo
	s_and_b32 s23, s0, exec_lo
	s_and_b32 s0, s19, exec_lo
	s_or_b32 s19, s22, s23
.LBB120_856:
	s_or_b32 exec_lo, exec_lo, s12
	s_delay_alu instid0(SALU_CYCLE_1)
	s_and_not1_b32 s1, s1, exec_lo
	s_and_b32 s12, s19, exec_lo
	s_and_b32 s21, s21, exec_lo
	s_and_b32 s20, s20, exec_lo
	s_and_b32 s19, s0, exec_lo
	s_or_b32 s1, s1, s12
.LBB120_857:
	s_or_b32 exec_lo, exec_lo, s18
	s_delay_alu instid0(SALU_CYCLE_1)
	s_and_not1_b32 s0, s16, exec_lo
	s_and_b32 s2, s2, exec_lo
	s_and_not1_b32 s12, s15, exec_lo
	s_and_b32 s15, s1, exec_lo
	s_or_b32 s16, s0, s2
	s_and_b32 s0, s21, exec_lo
	s_and_b32 s2, s20, exec_lo
	;; [unrolled: 1-line block ×3, first 2 shown]
	s_or_b32 s15, s12, s15
.LBB120_858:
	s_or_b32 exec_lo, exec_lo, s17
	s_delay_alu instid0(SALU_CYCLE_1)
	s_and_not1_b32 s11, s11, exec_lo
	s_and_b32 s12, s16, exec_lo
	s_and_b32 s0, s0, exec_lo
	s_or_b32 s11, s11, s12
	s_and_not1_b32 s12, s13, exec_lo
	s_and_b32 s13, s15, exec_lo
	s_and_b32 s2, s2, exec_lo
	;; [unrolled: 1-line block ×3, first 2 shown]
	s_or_b32 s13, s12, s13
.LBB120_859:
	s_or_b32 exec_lo, exec_lo, s14
	s_mov_b32 s12, 0
	s_and_saveexec_b32 s1, s13
	s_cbranch_execnz .LBB120_871
; %bb.860:
	s_or_b32 exec_lo, exec_lo, s1
	s_and_saveexec_b32 s1, s15
	s_delay_alu instid0(SALU_CYCLE_1)
	s_xor_b32 s1, exec_lo, s1
	s_cbranch_execz .LBB120_862
.LBB120_861:
	global_load_u8 v2, v[0:1], off
	s_or_b32 s0, s0, exec_lo
	s_waitcnt vmcnt(0)
	v_cmp_ne_u16_e32 vcc_lo, 0, v2
	v_cndmask_b32_e64 v3, 0, 1.0, vcc_lo
.LBB120_862:
	s_or_b32 exec_lo, exec_lo, s1
	s_and_saveexec_b32 s1, s2
	s_cbranch_execz .LBB120_910
; %bb.863:
	v_cmp_gt_i16_e32 vcc_lo, 5, v6
	s_cbranch_vccnz .LBB120_868
; %bb.864:
	v_cmp_gt_i16_e32 vcc_lo, 8, v6
	s_cbranch_vccnz .LBB120_869
	;; [unrolled: 3-line block ×3, first 2 shown]
; %bb.866:
	v_cmp_lt_i16_e32 vcc_lo, 9, v6
	s_cbranch_vccz .LBB120_873
; %bb.867:
	global_load_b64 v[2:3], v[0:1], off
	s_mov_b32 s2, 0
	s_waitcnt vmcnt(0)
	v_cvt_f32_f64_e32 v3, v[2:3]
	s_branch .LBB120_874
.LBB120_868:
                                        ; implicit-def: $vgpr3
	s_branch .LBB120_891
.LBB120_869:
                                        ; implicit-def: $vgpr3
	s_branch .LBB120_880
.LBB120_870:
	s_mov_b32 s2, -1
                                        ; implicit-def: $vgpr3
	s_branch .LBB120_877
.LBB120_871:
	s_cbranch_execnz .LBB120_919
; %bb.872:
	s_mov_b32 s12, exec_lo
	s_and_not1_b32 s15, s15, exec_lo
                                        ; implicit-def: $vgpr3
	s_or_b32 exec_lo, exec_lo, s1
	s_and_saveexec_b32 s1, s15
	s_delay_alu instid0(SALU_CYCLE_1)
	s_xor_b32 s1, exec_lo, s1
	s_cbranch_execnz .LBB120_861
	s_branch .LBB120_862
.LBB120_873:
	s_mov_b32 s2, -1
                                        ; implicit-def: $vgpr3
.LBB120_874:
	s_delay_alu instid0(SALU_CYCLE_1)
	s_and_not1_b32 vcc_lo, exec_lo, s2
	s_cbranch_vccnz .LBB120_876
; %bb.875:
	global_load_b32 v3, v[0:1], off
.LBB120_876:
	s_mov_b32 s2, 0
.LBB120_877:
	s_delay_alu instid0(SALU_CYCLE_1)
	s_and_not1_b32 vcc_lo, exec_lo, s2
	s_cbranch_vccnz .LBB120_879
; %bb.878:
	global_load_b32 v2, v[0:1], off
	s_waitcnt vmcnt(0)
	v_cvt_f32_f16_e32 v3, v2
.LBB120_879:
	s_cbranch_execnz .LBB120_890
.LBB120_880:
	v_cmp_gt_i16_e32 vcc_lo, 6, v6
	s_cbranch_vccnz .LBB120_883
; %bb.881:
	v_cmp_lt_i16_e32 vcc_lo, 6, v6
	s_cbranch_vccz .LBB120_884
; %bb.882:
	global_load_b64 v[2:3], v[0:1], off
	s_mov_b32 s2, 0
	s_waitcnt vmcnt(0)
	v_cvt_f32_f64_e32 v3, v[2:3]
	s_branch .LBB120_885
.LBB120_883:
	s_mov_b32 s2, -1
                                        ; implicit-def: $vgpr3
	s_branch .LBB120_888
.LBB120_884:
	s_mov_b32 s2, -1
                                        ; implicit-def: $vgpr3
.LBB120_885:
	s_delay_alu instid0(SALU_CYCLE_1)
	s_and_not1_b32 vcc_lo, exec_lo, s2
	s_cbranch_vccnz .LBB120_887
; %bb.886:
	global_load_b32 v3, v[0:1], off
.LBB120_887:
	s_mov_b32 s2, 0
.LBB120_888:
	s_delay_alu instid0(SALU_CYCLE_1)
	s_and_not1_b32 vcc_lo, exec_lo, s2
	s_cbranch_vccnz .LBB120_890
; %bb.889:
	global_load_u16 v2, v[0:1], off
	s_waitcnt vmcnt(0)
	v_cvt_f32_f16_e32 v3, v2
.LBB120_890:
	s_cbranch_execnz .LBB120_909
.LBB120_891:
	v_cmp_gt_i16_e32 vcc_lo, 2, v6
	s_cbranch_vccnz .LBB120_895
; %bb.892:
	v_cmp_gt_i16_e32 vcc_lo, 3, v6
	s_cbranch_vccnz .LBB120_896
; %bb.893:
	v_cmp_lt_i16_e32 vcc_lo, 3, v6
	s_cbranch_vccz .LBB120_897
; %bb.894:
	global_load_b64 v[2:3], v[0:1], off
	s_mov_b32 s2, 0
	s_waitcnt vmcnt(0)
	v_xor_b32_e32 v7, v2, v3
	v_cls_i32_e32 v8, v3
	s_delay_alu instid0(VALU_DEP_2) | instskip(NEXT) | instid1(VALU_DEP_2)
	v_ashrrev_i32_e32 v7, 31, v7
	v_add_nc_u32_e32 v8, -1, v8
	s_delay_alu instid0(VALU_DEP_2) | instskip(NEXT) | instid1(VALU_DEP_1)
	v_add_nc_u32_e32 v7, 32, v7
	v_min_u32_e32 v7, v8, v7
	s_delay_alu instid0(VALU_DEP_1) | instskip(NEXT) | instid1(VALU_DEP_1)
	v_lshlrev_b64 v[2:3], v7, v[2:3]
	v_min_u32_e32 v2, 1, v2
	s_delay_alu instid0(VALU_DEP_1) | instskip(SKIP_1) | instid1(VALU_DEP_2)
	v_or_b32_e32 v2, v3, v2
	v_sub_nc_u32_e32 v3, 32, v7
	v_cvt_f32_i32_e32 v2, v2
	s_delay_alu instid0(VALU_DEP_1)
	v_ldexp_f32 v3, v2, v3
	s_branch .LBB120_898
.LBB120_895:
                                        ; implicit-def: $vgpr3
	s_branch .LBB120_904
.LBB120_896:
	s_mov_b32 s2, -1
                                        ; implicit-def: $vgpr3
	s_branch .LBB120_901
.LBB120_897:
	s_mov_b32 s2, -1
                                        ; implicit-def: $vgpr3
.LBB120_898:
	s_delay_alu instid0(SALU_CYCLE_1)
	s_and_not1_b32 vcc_lo, exec_lo, s2
	s_cbranch_vccnz .LBB120_900
; %bb.899:
	global_load_b32 v2, v[0:1], off
	s_waitcnt vmcnt(0)
	v_cvt_f32_i32_e32 v3, v2
.LBB120_900:
	s_mov_b32 s2, 0
.LBB120_901:
	s_delay_alu instid0(SALU_CYCLE_1)
	s_and_not1_b32 vcc_lo, exec_lo, s2
	s_cbranch_vccnz .LBB120_903
; %bb.902:
	global_load_i16 v2, v[0:1], off
	s_waitcnt vmcnt(0)
	v_cvt_f32_i32_e32 v3, v2
.LBB120_903:
	s_cbranch_execnz .LBB120_909
.LBB120_904:
	v_cmp_lt_i16_e32 vcc_lo, 0, v6
	s_mov_b32 s2, 0
	s_cbranch_vccz .LBB120_906
; %bb.905:
	global_load_i8 v2, v[0:1], off
	s_waitcnt vmcnt(0)
	v_cvt_f32_i32_e32 v3, v2
	s_branch .LBB120_907
.LBB120_906:
	s_mov_b32 s2, -1
                                        ; implicit-def: $vgpr3
.LBB120_907:
	s_delay_alu instid0(SALU_CYCLE_1)
	s_and_not1_b32 vcc_lo, exec_lo, s2
	s_cbranch_vccnz .LBB120_909
; %bb.908:
	global_load_u8 v0, v[0:1], off
	s_waitcnt vmcnt(0)
	v_cvt_f32_ubyte0_e32 v3, v0
.LBB120_909:
	s_or_b32 s0, s0, exec_lo
.LBB120_910:
	s_or_b32 exec_lo, exec_lo, s1
	s_mov_b32 s2, 0
	s_mov_b32 s1, 0
                                        ; implicit-def: $vgpr6
                                        ; implicit-def: $vgpr0_vgpr1
                                        ; implicit-def: $vgpr2
	s_and_saveexec_b32 s13, s0
	s_cbranch_execz .LBB120_990
; %bb.911:
	s_waitcnt vmcnt(0)
	s_delay_alu instid0(VALU_DEP_1) | instskip(SKIP_1) | instid1(VALU_DEP_1)
	v_mul_f32_e32 v0, 0x3fb8aa3b, v3
	s_mov_b32 s0, 0x395133b1
	v_rndne_f32_e32 v0, v0
	s_delay_alu instid0(VALU_DEP_1) | instskip(SKIP_2) | instid1(VALU_DEP_3)
	v_fmamk_f32 v1, v0, 0xbf317218, v3
	v_cvt_i32_f32_e32 v6, v0
	v_cmp_eq_f32_e32 vcc_lo, 0x43000000, v0
	v_fmamk_f32 v1, v0, 0x3102e308, v1
	s_delay_alu instid0(VALU_DEP_3) | instskip(SKIP_1) | instid1(VALU_DEP_2)
	v_cndmask_b32_e64 v0, v6, 0x7f, vcc_lo
	v_and_b32_e32 v6, 0xff, v4
	v_ldexp_f32 v0, 1.0, v0
	s_delay_alu instid0(VALU_DEP_4) | instskip(SKIP_1) | instid1(VALU_DEP_2)
	v_fmaak_f32 v2, s0, v1, 0x3ab69700
	v_cmp_lt_f32_e64 s0, 0x42b17217, v3
	v_dual_add_f32 v7, -1.0, v0 :: v_dual_fmaak_f32 v2, v1, v2, 0x3c0887f9
	s_delay_alu instid0(VALU_DEP_1) | instskip(NEXT) | instid1(VALU_DEP_1)
	v_fmaak_f32 v2, v1, v2, 0x3d2aaa81
	v_fmaak_f32 v2, v1, v2, 0x3e2aaaab
	s_delay_alu instid0(VALU_DEP_1) | instskip(NEXT) | instid1(VALU_DEP_1)
	v_fma_f32 v2, v1, v2, 0.5
	v_mul_f32_e32 v2, v1, v2
	s_delay_alu instid0(VALU_DEP_1) | instskip(NEXT) | instid1(VALU_DEP_1)
	v_fmac_f32_e32 v1, v1, v2
	v_fmac_f32_e32 v7, v0, v1
	v_mul_lo_u32 v0, v5, s8
	s_delay_alu instid0(VALU_DEP_2) | instskip(NEXT) | instid1(VALU_DEP_1)
	v_add_f32_e32 v1, v7, v7
	v_cndmask_b32_e32 v4, v7, v1, vcc_lo
	s_delay_alu instid0(VALU_DEP_3) | instskip(SKIP_2) | instid1(VALU_DEP_4)
	v_ashrrev_i32_e32 v1, 31, v0
	v_add_co_u32 v0, s1, s4, v0
	v_cmp_gt_i16_e32 vcc_lo, 11, v6
	v_cndmask_b32_e64 v2, v4, 0x7f800000, s0
	s_delay_alu instid0(VALU_DEP_4) | instskip(SKIP_1) | instid1(VALU_DEP_1)
	v_add_co_ci_u32_e64 v1, s1, s5, v1, s1
	v_cmp_gt_f32_e64 s1, 0xc1880000, v3
	v_cndmask_b32_e64 v2, v2, -1.0, s1
	s_cbranch_vccnz .LBB120_918
; %bb.912:
	v_cmp_lt_i16_e32 vcc_lo, 25, v6
	s_mov_b32 s14, -1
	s_mov_b32 s2, s11
	s_cbranch_vccz .LBB120_948
; %bb.913:
	v_cmp_lt_i16_e32 vcc_lo, 28, v6
	s_mov_b32 s2, s11
	s_cbranch_vccz .LBB120_932
; %bb.914:
	v_cmp_lt_i16_e32 vcc_lo, 43, v6
	;; [unrolled: 4-line block ×3, first 2 shown]
	s_mov_b32 s2, s11
	s_cbranch_vccz .LBB120_922
; %bb.916:
	v_cmp_eq_u16_e32 vcc_lo, 46, v6
	s_mov_b32 s2, -1
	s_cbranch_vccz .LBB120_921
; %bb.917:
	v_bfe_u32 v3, v2, 16, 1
	v_cmp_o_f32_e32 vcc_lo, v2, v2
	s_mov_b32 s2, 0
	s_mov_b32 s14, 0
	s_delay_alu instid0(VALU_DEP_2) | instskip(NEXT) | instid1(VALU_DEP_1)
	v_add3_u32 v3, v2, v3, 0x7fff
	v_lshrrev_b32_e32 v3, 16, v3
	s_delay_alu instid0(VALU_DEP_1)
	v_cndmask_b32_e32 v3, 0x7fc0, v3, vcc_lo
	global_store_b32 v[0:1], v3, off
	s_branch .LBB120_922
.LBB120_918:
	s_mov_b32 s0, 0
	s_mov_b32 s14, -1
	s_mov_b32 s2, s11
	s_branch .LBB120_989
.LBB120_919:
	s_trap 2
	s_sendmsg_rtn_b32 s0, sendmsg(MSG_RTN_GET_DOORBELL)
	s_mov_b32 ttmp2, m0
	s_waitcnt lgkmcnt(0)
	s_and_b32 s0, s0, 0x3ff
	s_delay_alu instid0(SALU_CYCLE_1) | instskip(NEXT) | instid1(SALU_CYCLE_1)
	s_bitset1_b32 s0, 10
	s_mov_b32 m0, s0
	s_sendmsg sendmsg(MSG_INTERRUPT)
	s_mov_b32 m0, ttmp2
.LBB120_920:                            ; =>This Inner Loop Header: Depth=1
	s_sethalt 5
	s_branch .LBB120_920
.LBB120_921:
	s_mov_b32 s14, 0
.LBB120_922:
	s_delay_alu instid0(SALU_CYCLE_1)
	s_and_b32 vcc_lo, exec_lo, s14
	s_cbranch_vccz .LBB120_927
; %bb.923:
	v_cmp_eq_u16_e32 vcc_lo, 44, v6
	s_mov_b32 s2, -1
	s_cbranch_vccz .LBB120_927
; %bb.924:
	v_bfe_u32 v5, v2, 23, 8
	v_mov_b32_e32 v3, 0xff
	s_mov_b32 s14, exec_lo
	s_delay_alu instid0(VALU_DEP_2)
	v_cmpx_ne_u32_e32 0xff, v5
; %bb.925:
	v_and_b32_e32 v3, 0x400000, v2
	v_and_or_b32 v5, 0x3fffff, v2, v5
	s_delay_alu instid0(VALU_DEP_2) | instskip(NEXT) | instid1(VALU_DEP_2)
	v_cmp_ne_u32_e32 vcc_lo, 0, v3
	v_cmp_ne_u32_e64 s2, 0, v5
	v_lshrrev_b32_e32 v3, 23, v2
	s_delay_alu instid0(VALU_DEP_2) | instskip(NEXT) | instid1(SALU_CYCLE_1)
	s_and_b32 s2, vcc_lo, s2
	v_cndmask_b32_e64 v5, 0, 1, s2
	s_delay_alu instid0(VALU_DEP_1)
	v_add_nc_u32_e32 v3, v3, v5
; %bb.926:
	s_or_b32 exec_lo, exec_lo, s14
	s_mov_b32 s2, 0
	global_store_b8 v[0:1], v3, off
.LBB120_927:
	s_mov_b32 s14, 0
.LBB120_928:
	s_delay_alu instid0(SALU_CYCLE_1)
	s_and_b32 vcc_lo, exec_lo, s14
	s_cbranch_vccz .LBB120_931
; %bb.929:
	v_cmp_eq_u16_e32 vcc_lo, 29, v6
	s_mov_b32 s2, -1
	s_cbranch_vccz .LBB120_931
; %bb.930:
	v_trunc_f32_e32 v3, v2
	s_mov_b32 s2, 0
	s_mov_b32 s14, 0
	s_delay_alu instid0(VALU_DEP_1) | instskip(NEXT) | instid1(VALU_DEP_1)
	v_mul_f32_e32 v5, 0x2f800000, v3
	v_floor_f32_e32 v5, v5
	s_delay_alu instid0(VALU_DEP_1) | instskip(SKIP_1) | instid1(VALU_DEP_2)
	v_fmamk_f32 v3, v5, 0xcf800000, v3
	v_cvt_u32_f32_e32 v8, v5
	v_cvt_u32_f32_e32 v7, v3
	global_store_b64 v[0:1], v[7:8], off
	s_branch .LBB120_932
.LBB120_931:
	s_mov_b32 s14, 0
.LBB120_932:
	s_delay_alu instid0(SALU_CYCLE_1)
	s_and_b32 vcc_lo, exec_lo, s14
	s_cbranch_vccz .LBB120_947
; %bb.933:
	v_cmp_gt_i16_e32 vcc_lo, 27, v6
	s_mov_b32 s14, -1
	s_cbranch_vccnz .LBB120_939
; %bb.934:
	v_cmp_lt_i16_e32 vcc_lo, 27, v6
	v_cvt_u32_f32_e32 v3, v2
	s_cbranch_vccz .LBB120_936
; %bb.935:
	s_mov_b32 s14, 0
	global_store_b32 v[0:1], v3, off
.LBB120_936:
	s_and_not1_b32 vcc_lo, exec_lo, s14
	s_cbranch_vccnz .LBB120_938
; %bb.937:
	global_store_b16 v[0:1], v3, off
.LBB120_938:
	s_mov_b32 s14, 0
.LBB120_939:
	s_delay_alu instid0(SALU_CYCLE_1)
	s_and_not1_b32 vcc_lo, exec_lo, s14
	s_cbranch_vccnz .LBB120_947
; %bb.940:
	v_cndmask_b32_e64 v3, |v4|, 0x7f800000, s0
	v_mov_b32_e32 v7, 0x80
	s_mov_b32 s14, exec_lo
	s_delay_alu instid0(VALU_DEP_2) | instskip(NEXT) | instid1(VALU_DEP_1)
	v_cndmask_b32_e64 v5, v3, 1.0, s1
	v_cmpx_gt_u32_e32 0x43800000, v5
	s_cbranch_execz .LBB120_946
; %bb.941:
	s_mov_b32 s15, 0
	s_mov_b32 s16, exec_lo
                                        ; implicit-def: $vgpr3
	v_cmpx_lt_u32_e32 0x3bffffff, v5
	s_xor_b32 s16, exec_lo, s16
	s_cbranch_execz .LBB120_1181
; %bb.942:
	v_bfe_u32 v3, v2, 20, 1
	s_mov_b32 s15, exec_lo
                                        ; implicit-def: $vgpr5
	s_delay_alu instid0(VALU_DEP_1) | instskip(NEXT) | instid1(VALU_DEP_1)
	v_add3_u32 v3, v2, v3, 0x487ffff
	v_lshrrev_b32_e32 v3, 20, v3
	s_or_saveexec_b32 s16, s16
                                        ; implicit-def: $sgpr17
	s_delay_alu instid0(SALU_CYCLE_1)
	s_xor_b32 exec_lo, exec_lo, s16
	s_cbranch_execnz .LBB120_1182
.LBB120_943:
	s_or_b32 exec_lo, exec_lo, s16
	v_mov_b32_e32 v7, s17
	s_and_saveexec_b32 s16, s15
.LBB120_944:
	v_lshrrev_b32_e32 v5, 24, v2
	s_delay_alu instid0(VALU_DEP_1)
	v_and_or_b32 v7, 0x80, v5, v3
.LBB120_945:
	s_or_b32 exec_lo, exec_lo, s16
.LBB120_946:
	s_delay_alu instid0(SALU_CYCLE_1)
	s_or_b32 exec_lo, exec_lo, s14
	global_store_b8 v[0:1], v7, off
.LBB120_947:
	s_mov_b32 s14, 0
.LBB120_948:
	s_delay_alu instid0(SALU_CYCLE_1)
	s_and_b32 vcc_lo, exec_lo, s14
	s_mov_b32 s14, 0
	s_cbranch_vccz .LBB120_988
; %bb.949:
	v_cmp_lt_i16_e32 vcc_lo, 22, v6
	s_mov_b32 s15, -1
	s_cbranch_vccz .LBB120_981
; %bb.950:
	v_cmp_gt_i16_e32 vcc_lo, 24, v6
	s_cbranch_vccnz .LBB120_970
; %bb.951:
	v_cmp_lt_i16_e32 vcc_lo, 24, v6
	s_cbranch_vccz .LBB120_959
; %bb.952:
	v_cndmask_b32_e64 v3, |v4|, 0x7f800000, s0
	v_mov_b32_e32 v7, 0x80
	s_mov_b32 s15, exec_lo
	s_delay_alu instid0(VALU_DEP_2) | instskip(NEXT) | instid1(VALU_DEP_1)
	v_cndmask_b32_e64 v5, v3, 1.0, s1
	v_cmpx_gt_u32_e32 0x47800000, v5
	s_cbranch_execz .LBB120_958
; %bb.953:
	s_mov_b32 s16, 0
	s_mov_b32 s17, exec_lo
                                        ; implicit-def: $vgpr3
	v_cmpx_lt_u32_e32 0x37ffffff, v5
	s_xor_b32 s17, exec_lo, s17
	s_cbranch_execz .LBB120_1225
; %bb.954:
	v_bfe_u32 v3, v2, 21, 1
	s_mov_b32 s16, exec_lo
                                        ; implicit-def: $vgpr5
	s_delay_alu instid0(VALU_DEP_1) | instskip(NEXT) | instid1(VALU_DEP_1)
	v_add3_u32 v3, v2, v3, 0x88fffff
	v_lshrrev_b32_e32 v3, 21, v3
	s_or_saveexec_b32 s17, s17
                                        ; implicit-def: $sgpr18
	s_delay_alu instid0(SALU_CYCLE_1)
	s_xor_b32 exec_lo, exec_lo, s17
	s_cbranch_execnz .LBB120_1226
.LBB120_955:
	s_or_b32 exec_lo, exec_lo, s17
	v_mov_b32_e32 v7, s18
	s_and_saveexec_b32 s17, s16
.LBB120_956:
	v_lshrrev_b32_e32 v5, 24, v2
	s_delay_alu instid0(VALU_DEP_1)
	v_and_or_b32 v7, 0x80, v5, v3
.LBB120_957:
	s_or_b32 exec_lo, exec_lo, s17
.LBB120_958:
	s_delay_alu instid0(SALU_CYCLE_1)
	s_or_b32 exec_lo, exec_lo, s15
	s_mov_b32 s15, 0
	global_store_b8 v[0:1], v7, off
.LBB120_959:
	s_and_b32 vcc_lo, exec_lo, s15
	s_cbranch_vccz .LBB120_969
; %bb.960:
	v_cndmask_b32_e64 v3, |v4|, 0x7f800000, s0
	s_mov_b32 s15, exec_lo
	s_delay_alu instid0(VALU_DEP_1) | instskip(NEXT) | instid1(VALU_DEP_1)
	v_cndmask_b32_e64 v5, v3, 1.0, s1
                                        ; implicit-def: $vgpr3
	v_cmpx_gt_u32_e32 0x43f00000, v5
	s_xor_b32 s15, exec_lo, s15
	s_cbranch_execz .LBB120_966
; %bb.961:
	s_mov_b32 s16, exec_lo
                                        ; implicit-def: $vgpr3
	v_cmpx_lt_u32_e32 0x3c7fffff, v5
	s_xor_b32 s16, exec_lo, s16
; %bb.962:
	v_bfe_u32 v3, v2, 20, 1
	s_delay_alu instid0(VALU_DEP_1) | instskip(NEXT) | instid1(VALU_DEP_1)
	v_add3_u32 v3, v2, v3, 0x407ffff
	v_and_b32_e32 v5, 0xff00000, v3
	v_lshrrev_b32_e32 v3, 20, v3
	s_delay_alu instid0(VALU_DEP_2) | instskip(NEXT) | instid1(VALU_DEP_2)
	v_cmp_ne_u32_e32 vcc_lo, 0x7f00000, v5
                                        ; implicit-def: $vgpr5
	v_cndmask_b32_e32 v3, 0x7e, v3, vcc_lo
; %bb.963:
	s_and_not1_saveexec_b32 s16, s16
; %bb.964:
	v_add_f32_e32 v3, 0x46800000, v5
; %bb.965:
	s_or_b32 exec_lo, exec_lo, s16
                                        ; implicit-def: $vgpr5
.LBB120_966:
	s_and_not1_saveexec_b32 s15, s15
; %bb.967:
	v_mov_b32_e32 v3, 0x7f
	v_cmp_lt_u32_e32 vcc_lo, 0x7f800000, v5
	s_delay_alu instid0(VALU_DEP_2)
	v_cndmask_b32_e32 v3, 0x7e, v3, vcc_lo
; %bb.968:
	s_or_b32 exec_lo, exec_lo, s15
	v_lshrrev_b32_e32 v5, 24, v2
	s_delay_alu instid0(VALU_DEP_1)
	v_and_or_b32 v3, 0x80, v5, v3
	global_store_b8 v[0:1], v3, off
.LBB120_969:
	s_mov_b32 s15, 0
.LBB120_970:
	s_delay_alu instid0(SALU_CYCLE_1)
	s_and_not1_b32 vcc_lo, exec_lo, s15
	s_cbranch_vccnz .LBB120_980
; %bb.971:
	v_cndmask_b32_e64 v3, |v4|, 0x7f800000, s0
	s_mov_b32 s0, exec_lo
	s_delay_alu instid0(VALU_DEP_1) | instskip(NEXT) | instid1(VALU_DEP_1)
	v_cndmask_b32_e64 v4, v3, 1.0, s1
                                        ; implicit-def: $vgpr3
	v_cmpx_gt_u32_e32 0x47800000, v4
	s_xor_b32 s0, exec_lo, s0
	s_cbranch_execz .LBB120_977
; %bb.972:
	s_mov_b32 s1, exec_lo
                                        ; implicit-def: $vgpr3
	v_cmpx_lt_u32_e32 0x387fffff, v4
	s_xor_b32 s1, exec_lo, s1
; %bb.973:
	v_bfe_u32 v3, v2, 21, 1
                                        ; implicit-def: $vgpr4
	s_delay_alu instid0(VALU_DEP_1) | instskip(NEXT) | instid1(VALU_DEP_1)
	v_add3_u32 v3, v2, v3, 0x80fffff
	v_lshrrev_b32_e32 v3, 21, v3
; %bb.974:
	s_and_not1_saveexec_b32 s1, s1
; %bb.975:
	v_add_f32_e32 v3, 0x43000000, v4
; %bb.976:
	s_or_b32 exec_lo, exec_lo, s1
                                        ; implicit-def: $vgpr4
.LBB120_977:
	s_and_not1_saveexec_b32 s0, s0
; %bb.978:
	v_mov_b32_e32 v3, 0x7f
	v_cmp_lt_u32_e32 vcc_lo, 0x7f800000, v4
	s_delay_alu instid0(VALU_DEP_2)
	v_cndmask_b32_e32 v3, 0x7c, v3, vcc_lo
; %bb.979:
	s_or_b32 exec_lo, exec_lo, s0
	v_lshrrev_b32_e32 v4, 24, v2
	s_delay_alu instid0(VALU_DEP_1)
	v_and_or_b32 v3, 0x80, v4, v3
	global_store_b8 v[0:1], v3, off
.LBB120_980:
	s_mov_b32 s15, 0
.LBB120_981:
	s_delay_alu instid0(SALU_CYCLE_1)
	s_and_not1_b32 vcc_lo, exec_lo, s15
	s_mov_b32 s0, 0
	s_cbranch_vccnz .LBB120_989
; %bb.982:
	v_cmp_lt_i16_e32 vcc_lo, 14, v6
	s_mov_b32 s0, -1
	s_cbranch_vccz .LBB120_986
; %bb.983:
	v_cmp_eq_u16_e32 vcc_lo, 15, v6
	s_mov_b32 s2, -1
	s_cbranch_vccz .LBB120_985
; %bb.984:
	v_bfe_u32 v3, v2, 16, 1
	v_cmp_o_f32_e32 vcc_lo, v2, v2
	s_mov_b32 s2, 0
	s_delay_alu instid0(VALU_DEP_2) | instskip(NEXT) | instid1(VALU_DEP_1)
	v_add3_u32 v3, v2, v3, 0x7fff
	v_lshrrev_b32_e32 v3, 16, v3
	s_delay_alu instid0(VALU_DEP_1)
	v_cndmask_b32_e32 v3, 0x7fc0, v3, vcc_lo
	global_store_b16 v[0:1], v3, off
.LBB120_985:
	s_mov_b32 s0, 0
.LBB120_986:
	s_delay_alu instid0(SALU_CYCLE_1)
	s_and_b32 vcc_lo, exec_lo, s0
	s_mov_b32 s0, 0
	s_cbranch_vccz .LBB120_989
; %bb.987:
	v_cmp_ne_u16_e32 vcc_lo, 11, v6
	s_and_not1_b32 s1, s2, exec_lo
	s_mov_b32 s0, -1
	s_and_b32 s2, vcc_lo, exec_lo
	s_delay_alu instid0(SALU_CYCLE_1)
	s_or_b32 s2, s1, s2
	s_branch .LBB120_989
.LBB120_988:
	s_mov_b32 s0, 0
.LBB120_989:
	s_and_b32 s1, s14, exec_lo
	s_and_not1_b32 s11, s11, exec_lo
	s_and_b32 s14, s2, exec_lo
	s_and_b32 s2, s0, exec_lo
	s_or_b32 s11, s11, s14
.LBB120_990:
	s_or_b32 exec_lo, exec_lo, s13
	s_and_saveexec_b32 s0, s11
	s_cbranch_execnz .LBB120_1052
; %bb.991:
	s_or_b32 exec_lo, exec_lo, s0
	s_and_saveexec_b32 s0, s2
	s_delay_alu instid0(SALU_CYCLE_1)
	s_xor_b32 s0, exec_lo, s0
	s_cbranch_execz .LBB120_993
.LBB120_992:
	s_waitcnt vmcnt(0)
	v_cmp_neq_f32_e32 vcc_lo, 0, v2
	v_cndmask_b32_e64 v3, 0, 1, vcc_lo
	global_store_b8 v[0:1], v3, off
.LBB120_993:
	s_or_b32 exec_lo, exec_lo, s0
	s_and_saveexec_b32 s0, s1
	s_delay_alu instid0(SALU_CYCLE_1)
	s_xor_b32 s0, exec_lo, s0
	s_cbranch_execz .LBB120_1031
; %bb.994:
	v_cmp_gt_i16_e32 vcc_lo, 5, v6
	s_mov_b32 s1, -1
	s_cbranch_vccnz .LBB120_1015
; %bb.995:
	v_cmp_gt_i16_e32 vcc_lo, 8, v6
	s_cbranch_vccnz .LBB120_1005
; %bb.996:
	v_cmp_gt_i16_e32 vcc_lo, 9, v6
	s_cbranch_vccnz .LBB120_1002
; %bb.997:
	v_cmp_lt_i16_e32 vcc_lo, 9, v6
	s_cbranch_vccz .LBB120_999
; %bb.998:
	s_waitcnt vmcnt(0)
	v_cvt_f64_f32_e32 v[7:8], v2
	v_mov_b32_e32 v9, 0
	s_mov_b32 s1, 0
	s_delay_alu instid0(VALU_DEP_1)
	v_mov_b32_e32 v10, v9
	global_store_b128 v[0:1], v[7:10], off
.LBB120_999:
	s_and_not1_b32 vcc_lo, exec_lo, s1
	s_cbranch_vccnz .LBB120_1001
; %bb.1000:
	s_waitcnt vmcnt(0)
	v_mov_b32_e32 v3, 0
	global_store_b64 v[0:1], v[2:3], off
.LBB120_1001:
	s_mov_b32 s1, 0
.LBB120_1002:
	s_delay_alu instid0(SALU_CYCLE_1)
	s_and_not1_b32 vcc_lo, exec_lo, s1
	s_cbranch_vccnz .LBB120_1004
; %bb.1003:
	s_waitcnt vmcnt(0)
	v_cvt_f16_f32_e32 v3, v2
	s_delay_alu instid0(VALU_DEP_1)
	v_and_b32_e32 v3, 0xffff, v3
	global_store_b32 v[0:1], v3, off
.LBB120_1004:
	s_mov_b32 s1, 0
.LBB120_1005:
	s_delay_alu instid0(SALU_CYCLE_1)
	s_and_not1_b32 vcc_lo, exec_lo, s1
	s_cbranch_vccnz .LBB120_1014
; %bb.1006:
	v_cmp_gt_i16_e32 vcc_lo, 6, v6
	s_mov_b32 s1, -1
	s_cbranch_vccnz .LBB120_1012
; %bb.1007:
	v_cmp_lt_i16_e32 vcc_lo, 6, v6
	s_cbranch_vccz .LBB120_1009
; %bb.1008:
	s_waitcnt vmcnt(0)
	v_cvt_f64_f32_e32 v[3:4], v2
	s_mov_b32 s1, 0
	global_store_b64 v[0:1], v[3:4], off
.LBB120_1009:
	s_and_not1_b32 vcc_lo, exec_lo, s1
	s_cbranch_vccnz .LBB120_1011
; %bb.1010:
	s_waitcnt vmcnt(0)
	global_store_b32 v[0:1], v2, off
.LBB120_1011:
	s_mov_b32 s1, 0
.LBB120_1012:
	s_delay_alu instid0(SALU_CYCLE_1)
	s_and_not1_b32 vcc_lo, exec_lo, s1
	s_cbranch_vccnz .LBB120_1014
; %bb.1013:
	s_waitcnt vmcnt(0)
	v_cvt_f16_f32_e32 v3, v2
	global_store_b16 v[0:1], v3, off
.LBB120_1014:
	s_mov_b32 s1, 0
.LBB120_1015:
	s_delay_alu instid0(SALU_CYCLE_1)
	s_and_not1_b32 vcc_lo, exec_lo, s1
	s_cbranch_vccnz .LBB120_1031
; %bb.1016:
	v_cmp_gt_i16_e32 vcc_lo, 2, v6
	s_mov_b32 s1, -1
	s_cbranch_vccnz .LBB120_1026
; %bb.1017:
	v_cmp_gt_i16_e32 vcc_lo, 3, v6
	s_cbranch_vccnz .LBB120_1023
; %bb.1018:
	v_cmp_lt_i16_e32 vcc_lo, 3, v6
	s_cbranch_vccz .LBB120_1020
; %bb.1019:
	s_waitcnt vmcnt(0)
	v_trunc_f32_e32 v3, v2
	s_mov_b32 s1, 0
	s_delay_alu instid0(VALU_DEP_1) | instskip(SKIP_1) | instid1(VALU_DEP_2)
	v_mul_f32_e64 v4, 0x2f800000, |v3|
	v_ashrrev_i32_e32 v7, 31, v3
	v_floor_f32_e32 v4, v4
	s_delay_alu instid0(VALU_DEP_1) | instskip(SKIP_1) | instid1(VALU_DEP_2)
	v_fma_f32 v5, 0xcf800000, v4, |v3|
	v_cvt_u32_f32_e32 v4, v4
	v_cvt_u32_f32_e32 v3, v5
	s_delay_alu instid0(VALU_DEP_2) | instskip(NEXT) | instid1(VALU_DEP_2)
	v_xor_b32_e32 v4, v4, v7
	v_xor_b32_e32 v3, v3, v7
	s_delay_alu instid0(VALU_DEP_1) | instskip(NEXT) | instid1(VALU_DEP_3)
	v_sub_co_u32 v3, vcc_lo, v3, v7
	v_sub_co_ci_u32_e32 v4, vcc_lo, v4, v7, vcc_lo
	global_store_b64 v[0:1], v[3:4], off
.LBB120_1020:
	s_and_not1_b32 vcc_lo, exec_lo, s1
	s_cbranch_vccnz .LBB120_1022
; %bb.1021:
	s_waitcnt vmcnt(0)
	v_cvt_i32_f32_e32 v3, v2
	global_store_b32 v[0:1], v3, off
.LBB120_1022:
	s_mov_b32 s1, 0
.LBB120_1023:
	s_delay_alu instid0(SALU_CYCLE_1)
	s_and_not1_b32 vcc_lo, exec_lo, s1
	s_cbranch_vccnz .LBB120_1025
; %bb.1024:
	s_waitcnt vmcnt(0)
	v_cvt_i32_f32_e32 v3, v2
	global_store_b16 v[0:1], v3, off
.LBB120_1025:
	s_mov_b32 s1, 0
.LBB120_1026:
	s_delay_alu instid0(SALU_CYCLE_1)
	s_and_not1_b32 vcc_lo, exec_lo, s1
	s_cbranch_vccnz .LBB120_1031
; %bb.1027:
	v_cmp_lt_i16_e32 vcc_lo, 0, v6
	s_mov_b32 s1, -1
	s_cbranch_vccz .LBB120_1029
; %bb.1028:
	s_waitcnt vmcnt(0)
	v_cvt_i32_f32_e32 v3, v2
	s_mov_b32 s1, 0
	global_store_b8 v[0:1], v3, off
.LBB120_1029:
	s_and_not1_b32 vcc_lo, exec_lo, s1
	s_cbranch_vccnz .LBB120_1031
; %bb.1030:
	s_waitcnt vmcnt(0)
	v_trunc_f32_e32 v2, v2
	s_delay_alu instid0(VALU_DEP_1) | instskip(NEXT) | instid1(VALU_DEP_1)
	v_mul_f32_e64 v3, 0x2f800000, |v2|
	v_floor_f32_e32 v3, v3
	s_delay_alu instid0(VALU_DEP_1) | instskip(SKIP_1) | instid1(VALU_DEP_2)
	v_fma_f32 v3, 0xcf800000, v3, |v2|
	v_ashrrev_i32_e32 v2, 31, v2
	v_cvt_u32_f32_e32 v3, v3
	s_delay_alu instid0(VALU_DEP_1) | instskip(NEXT) | instid1(VALU_DEP_1)
	v_xor_b32_e32 v3, v3, v2
	v_sub_nc_u32_e32 v2, v3, v2
	global_store_b8 v[0:1], v2, off
.LBB120_1031:
	s_or_b32 exec_lo, exec_lo, s0
	s_delay_alu instid0(SALU_CYCLE_1)
	s_and_b32 s11, s12, exec_lo
                                        ; implicit-def: $vgpr5
                                        ; implicit-def: $vgpr6
                                        ; implicit-def: $vgpr4
.LBB120_1032:
	s_or_saveexec_b32 s10, s10
	s_mov_b32 s0, 0
                                        ; implicit-def: $vgpr7
                                        ; implicit-def: $vgpr0_vgpr1
                                        ; implicit-def: $vgpr2
	s_xor_b32 exec_lo, exec_lo, s10
	s_cbranch_execz .LBB120_1997
; %bb.1033:
	s_waitcnt vmcnt(0)
	v_mul_lo_u32 v3, s9, v5
	v_cmp_gt_i16_e32 vcc_lo, 11, v6
	s_delay_alu instid0(VALU_DEP_2) | instskip(SKIP_1) | instid1(VALU_DEP_1)
	v_ashrrev_i32_e32 v1, 31, v3
	v_add_co_u32 v0, s0, s6, v3
	v_add_co_ci_u32_e64 v1, s0, s7, v1, s0
	s_cbranch_vccnz .LBB120_1040
; %bb.1034:
	v_cmp_lt_i16_e32 vcc_lo, 25, v6
	s_mov_b32 s1, 0
	s_cbranch_vccz .LBB120_1046
; %bb.1035:
	v_cmp_lt_i16_e32 vcc_lo, 28, v6
	s_cbranch_vccz .LBB120_1048
; %bb.1036:
	v_cmp_lt_i16_e32 vcc_lo, 43, v6
	;; [unrolled: 3-line block ×3, first 2 shown]
	s_cbranch_vccz .LBB120_1054
; %bb.1038:
	v_cmp_eq_u16_e32 vcc_lo, 46, v6
	s_cbranch_vccz .LBB120_1094
; %bb.1039:
	global_load_b32 v2, v[0:1], off
	s_mov_b32 s0, 0
	s_mov_b32 s2, -1
	s_waitcnt vmcnt(0)
	v_lshlrev_b32_e32 v2, 16, v2
	s_branch .LBB120_1096
.LBB120_1040:
	s_mov_b32 s2, 0
	s_mov_b32 s3, s11
                                        ; implicit-def: $vgpr2
	s_cbranch_execz .LBB120_1159
; %bb.1041:
	v_cmp_gt_i16_e32 vcc_lo, 5, v6
	s_cbranch_vccnz .LBB120_1047
; %bb.1042:
	v_cmp_gt_i16_e32 vcc_lo, 8, v6
	s_cbranch_vccnz .LBB120_1049
; %bb.1043:
	v_cmp_gt_i16_e32 vcc_lo, 9, v6
	s_cbranch_vccnz .LBB120_1051
; %bb.1044:
	v_cmp_lt_i16_e32 vcc_lo, 9, v6
	s_cbranch_vccz .LBB120_1055
; %bb.1045:
	global_load_b64 v[7:8], v[0:1], off
	s_mov_b32 s0, 0
	s_waitcnt vmcnt(0)
	v_cvt_f32_f64_e32 v2, v[7:8]
	s_branch .LBB120_1056
.LBB120_1046:
	s_mov_b32 s2, 0
	s_mov_b32 s0, 0
                                        ; implicit-def: $vgpr2
	s_cbranch_execnz .LBB120_1124
	s_branch .LBB120_1155
.LBB120_1047:
                                        ; implicit-def: $vgpr2
	s_branch .LBB120_1073
.LBB120_1048:
	s_mov_b32 s3, -1
	s_mov_b32 s2, 0
	s_mov_b32 s0, 0
                                        ; implicit-def: $vgpr2
	s_branch .LBB120_1105
.LBB120_1049:
                                        ; implicit-def: $vgpr2
	s_branch .LBB120_1062
.LBB120_1050:
	s_mov_b32 s2, 0
	s_mov_b32 s0, 0
                                        ; implicit-def: $vgpr2
	s_cbranch_execnz .LBB120_1101
	s_branch .LBB120_1104
.LBB120_1051:
	s_mov_b32 s0, -1
                                        ; implicit-def: $vgpr2
	s_branch .LBB120_1059
.LBB120_1052:
	s_cbranch_execnz .LBB120_1092
; %bb.1053:
	s_or_b32 s12, s12, exec_lo
	s_and_not1_b32 s2, s2, exec_lo
	s_or_b32 exec_lo, exec_lo, s0
	s_and_saveexec_b32 s0, s2
	s_delay_alu instid0(SALU_CYCLE_1)
	s_xor_b32 s0, exec_lo, s0
	s_cbranch_execnz .LBB120_992
	s_branch .LBB120_993
.LBB120_1054:
	s_mov_b32 s3, -1
	s_mov_b32 s2, 0
	s_mov_b32 s0, 0
	s_branch .LBB120_1095
.LBB120_1055:
	s_mov_b32 s0, -1
                                        ; implicit-def: $vgpr2
.LBB120_1056:
	s_delay_alu instid0(SALU_CYCLE_1)
	s_and_not1_b32 vcc_lo, exec_lo, s0
	s_cbranch_vccnz .LBB120_1058
; %bb.1057:
	global_load_b32 v2, v[0:1], off
.LBB120_1058:
	s_mov_b32 s0, 0
.LBB120_1059:
	s_delay_alu instid0(SALU_CYCLE_1)
	s_and_not1_b32 vcc_lo, exec_lo, s0
	s_cbranch_vccnz .LBB120_1061
; %bb.1060:
	global_load_b32 v2, v[0:1], off
	s_waitcnt vmcnt(0)
	v_cvt_f32_f16_e32 v2, v2
.LBB120_1061:
	s_cbranch_execnz .LBB120_1072
.LBB120_1062:
	v_cmp_gt_i16_e32 vcc_lo, 6, v6
	s_cbranch_vccnz .LBB120_1065
; %bb.1063:
	v_cmp_lt_i16_e32 vcc_lo, 6, v6
	s_cbranch_vccz .LBB120_1066
; %bb.1064:
	global_load_b64 v[7:8], v[0:1], off
	s_mov_b32 s0, 0
	s_waitcnt vmcnt(0)
	v_cvt_f32_f64_e32 v2, v[7:8]
	s_branch .LBB120_1067
.LBB120_1065:
	s_mov_b32 s0, -1
                                        ; implicit-def: $vgpr2
	s_branch .LBB120_1070
.LBB120_1066:
	s_mov_b32 s0, -1
                                        ; implicit-def: $vgpr2
.LBB120_1067:
	s_delay_alu instid0(SALU_CYCLE_1)
	s_and_not1_b32 vcc_lo, exec_lo, s0
	s_cbranch_vccnz .LBB120_1069
; %bb.1068:
	global_load_b32 v2, v[0:1], off
.LBB120_1069:
	s_mov_b32 s0, 0
.LBB120_1070:
	s_delay_alu instid0(SALU_CYCLE_1)
	s_and_not1_b32 vcc_lo, exec_lo, s0
	s_cbranch_vccnz .LBB120_1072
; %bb.1071:
	global_load_u16 v2, v[0:1], off
	s_waitcnt vmcnt(0)
	v_cvt_f32_f16_e32 v2, v2
.LBB120_1072:
	s_cbranch_execnz .LBB120_1091
.LBB120_1073:
	v_cmp_gt_i16_e32 vcc_lo, 2, v6
	s_cbranch_vccnz .LBB120_1077
; %bb.1074:
	v_cmp_gt_i16_e32 vcc_lo, 3, v6
	s_cbranch_vccnz .LBB120_1078
; %bb.1075:
	v_cmp_lt_i16_e32 vcc_lo, 3, v6
	s_cbranch_vccz .LBB120_1079
; %bb.1076:
	global_load_b64 v[7:8], v[0:1], off
	s_mov_b32 s0, 0
	s_waitcnt vmcnt(0)
	v_xor_b32_e32 v2, v7, v8
	v_cls_i32_e32 v9, v8
	s_delay_alu instid0(VALU_DEP_2) | instskip(NEXT) | instid1(VALU_DEP_2)
	v_ashrrev_i32_e32 v2, 31, v2
	v_add_nc_u32_e32 v9, -1, v9
	s_delay_alu instid0(VALU_DEP_2) | instskip(NEXT) | instid1(VALU_DEP_1)
	v_add_nc_u32_e32 v2, 32, v2
	v_min_u32_e32 v2, v9, v2
	s_delay_alu instid0(VALU_DEP_1) | instskip(SKIP_1) | instid1(VALU_DEP_2)
	v_lshlrev_b64 v[7:8], v2, v[7:8]
	v_sub_nc_u32_e32 v2, 32, v2
	v_min_u32_e32 v7, 1, v7
	s_delay_alu instid0(VALU_DEP_1) | instskip(NEXT) | instid1(VALU_DEP_1)
	v_or_b32_e32 v7, v8, v7
	v_cvt_f32_i32_e32 v7, v7
	s_delay_alu instid0(VALU_DEP_1)
	v_ldexp_f32 v2, v7, v2
	s_branch .LBB120_1080
.LBB120_1077:
                                        ; implicit-def: $vgpr2
	s_branch .LBB120_1086
.LBB120_1078:
	s_mov_b32 s0, -1
                                        ; implicit-def: $vgpr2
	s_branch .LBB120_1083
.LBB120_1079:
	s_mov_b32 s0, -1
                                        ; implicit-def: $vgpr2
.LBB120_1080:
	s_delay_alu instid0(SALU_CYCLE_1)
	s_and_not1_b32 vcc_lo, exec_lo, s0
	s_cbranch_vccnz .LBB120_1082
; %bb.1081:
	global_load_b32 v2, v[0:1], off
	s_waitcnt vmcnt(0)
	v_cvt_f32_i32_e32 v2, v2
.LBB120_1082:
	s_mov_b32 s0, 0
.LBB120_1083:
	s_delay_alu instid0(SALU_CYCLE_1)
	s_and_not1_b32 vcc_lo, exec_lo, s0
	s_cbranch_vccnz .LBB120_1085
; %bb.1084:
	global_load_i16 v2, v[0:1], off
	s_waitcnt vmcnt(0)
	v_cvt_f32_i32_e32 v2, v2
.LBB120_1085:
	s_cbranch_execnz .LBB120_1091
.LBB120_1086:
	v_cmp_lt_i16_e32 vcc_lo, 0, v6
	s_mov_b32 s0, 0
	s_cbranch_vccz .LBB120_1088
; %bb.1087:
	global_load_i8 v2, v[0:1], off
	s_waitcnt vmcnt(0)
	v_cvt_f32_i32_e32 v2, v2
	s_branch .LBB120_1089
.LBB120_1088:
	s_mov_b32 s0, -1
                                        ; implicit-def: $vgpr2
.LBB120_1089:
	s_delay_alu instid0(SALU_CYCLE_1)
	s_and_not1_b32 vcc_lo, exec_lo, s0
	s_cbranch_vccnz .LBB120_1091
; %bb.1090:
	global_load_u8 v0, v[0:1], off
	s_waitcnt vmcnt(0)
	v_cvt_f32_ubyte0_e32 v2, v0
.LBB120_1091:
	s_branch .LBB120_1160
.LBB120_1092:
	s_trap 2
	s_sendmsg_rtn_b32 s0, sendmsg(MSG_RTN_GET_DOORBELL)
	s_mov_b32 ttmp2, m0
	s_waitcnt lgkmcnt(0)
	s_and_b32 s0, s0, 0x3ff
	s_delay_alu instid0(SALU_CYCLE_1) | instskip(NEXT) | instid1(SALU_CYCLE_1)
	s_bitset1_b32 s0, 10
	s_mov_b32 m0, s0
	s_sendmsg sendmsg(MSG_INTERRUPT)
	s_mov_b32 m0, ttmp2
.LBB120_1093:                           ; =>This Inner Loop Header: Depth=1
	s_sethalt 5
	s_branch .LBB120_1093
.LBB120_1094:
	s_mov_b32 s0, -1
	s_mov_b32 s2, 0
.LBB120_1095:
                                        ; implicit-def: $vgpr2
.LBB120_1096:
	s_and_b32 vcc_lo, exec_lo, s3
	s_cbranch_vccz .LBB120_1099
; %bb.1097:
	v_cmp_eq_u16_e32 vcc_lo, 44, v6
	s_cbranch_vccz .LBB120_1100
; %bb.1098:
	global_load_u8 v2, v[0:1], off
	s_mov_b32 s0, 0
	s_mov_b32 s2, -1
	s_waitcnt vmcnt(0)
	v_lshlrev_b32_e32 v7, 23, v2
	v_cmp_ne_u32_e32 vcc_lo, 0xff, v2
	s_delay_alu instid0(VALU_DEP_2) | instskip(SKIP_1) | instid1(VALU_DEP_2)
	v_cndmask_b32_e32 v7, 0x7f800001, v7, vcc_lo
	v_cmp_ne_u32_e32 vcc_lo, 0, v2
	v_cndmask_b32_e32 v2, 0x400000, v7, vcc_lo
.LBB120_1099:
	s_branch .LBB120_1104
.LBB120_1100:
	s_mov_b32 s0, -1
                                        ; implicit-def: $vgpr2
	s_branch .LBB120_1104
.LBB120_1101:
	v_cmp_eq_u16_e32 vcc_lo, 29, v6
	s_cbranch_vccz .LBB120_1103
; %bb.1102:
	global_load_b64 v[7:8], v[0:1], off
	s_mov_b32 s0, 0
	s_mov_b32 s2, -1
	s_mov_b32 s3, 0
	s_waitcnt vmcnt(0)
	v_clz_i32_u32_e32 v2, v8
	s_delay_alu instid0(VALU_DEP_1) | instskip(NEXT) | instid1(VALU_DEP_1)
	v_min_u32_e32 v2, 32, v2
	v_lshlrev_b64 v[7:8], v2, v[7:8]
	v_sub_nc_u32_e32 v2, 32, v2
	s_delay_alu instid0(VALU_DEP_2) | instskip(NEXT) | instid1(VALU_DEP_1)
	v_min_u32_e32 v7, 1, v7
	v_or_b32_e32 v7, v8, v7
	s_delay_alu instid0(VALU_DEP_1) | instskip(NEXT) | instid1(VALU_DEP_1)
	v_cvt_f32_u32_e32 v7, v7
	v_ldexp_f32 v2, v7, v2
	s_branch .LBB120_1105
.LBB120_1103:
	s_mov_b32 s0, -1
                                        ; implicit-def: $vgpr2
.LBB120_1104:
	s_mov_b32 s3, 0
.LBB120_1105:
	s_delay_alu instid0(SALU_CYCLE_1)
	s_and_b32 vcc_lo, exec_lo, s3
	s_cbranch_vccz .LBB120_1123
; %bb.1106:
	v_cmp_gt_i16_e32 vcc_lo, 27, v6
	s_cbranch_vccnz .LBB120_1109
; %bb.1107:
	v_cmp_lt_i16_e32 vcc_lo, 27, v6
	s_cbranch_vccz .LBB120_1110
; %bb.1108:
	global_load_b32 v2, v[0:1], off
	s_mov_b32 s2, 0
	s_waitcnt vmcnt(0)
	v_cvt_f32_u32_e32 v2, v2
	s_branch .LBB120_1111
.LBB120_1109:
	s_mov_b32 s2, -1
                                        ; implicit-def: $vgpr2
	s_branch .LBB120_1114
.LBB120_1110:
	s_mov_b32 s2, -1
                                        ; implicit-def: $vgpr2
.LBB120_1111:
	s_delay_alu instid0(SALU_CYCLE_1)
	s_and_not1_b32 vcc_lo, exec_lo, s2
	s_cbranch_vccnz .LBB120_1113
; %bb.1112:
	global_load_u16 v2, v[0:1], off
	s_waitcnt vmcnt(0)
	v_cvt_f32_u32_e32 v2, v2
.LBB120_1113:
	s_mov_b32 s2, 0
.LBB120_1114:
	s_delay_alu instid0(SALU_CYCLE_1)
	s_and_not1_b32 vcc_lo, exec_lo, s2
	s_cbranch_vccnz .LBB120_1122
; %bb.1115:
	global_load_u8 v7, v[0:1], off
	s_mov_b32 s2, 0
	s_mov_b32 s12, exec_lo
                                        ; implicit-def: $sgpr3
	s_waitcnt vmcnt(0)
	v_cmpx_lt_i16_e32 0x7f, v7
	s_xor_b32 s12, exec_lo, s12
	s_cbranch_execz .LBB120_1135
; %bb.1116:
	s_mov_b32 s2, -1
	s_mov_b32 s13, exec_lo
                                        ; implicit-def: $sgpr3
	v_cmpx_eq_u16_e32 0x80, v7
; %bb.1117:
	s_mov_b32 s3, 0x7f800001
	s_xor_b32 s2, exec_lo, -1
; %bb.1118:
	s_or_b32 exec_lo, exec_lo, s13
	s_delay_alu instid0(SALU_CYCLE_1)
	s_and_b32 s2, s2, exec_lo
	s_or_saveexec_b32 s12, s12
	v_mov_b32_e32 v2, s3
	s_xor_b32 exec_lo, exec_lo, s12
	s_cbranch_execnz .LBB120_1136
.LBB120_1119:
	s_or_b32 exec_lo, exec_lo, s12
	s_and_saveexec_b32 s3, s2
	s_cbranch_execz .LBB120_1121
.LBB120_1120:
	v_and_b32_e32 v2, 0xffff, v7
	s_delay_alu instid0(VALU_DEP_1) | instskip(NEXT) | instid1(VALU_DEP_1)
	v_and_b32_e32 v8, 7, v2
	v_clz_i32_u32_e32 v9, v8
	s_delay_alu instid0(VALU_DEP_1) | instskip(NEXT) | instid1(VALU_DEP_1)
	v_min_u32_e32 v9, 32, v9
	v_subrev_nc_u32_e32 v10, 28, v9
	v_sub_nc_u32_e32 v9, 29, v9
	s_delay_alu instid0(VALU_DEP_2) | instskip(SKIP_1) | instid1(VALU_DEP_2)
	v_lshlrev_b32_e32 v10, v10, v2
	v_bfe_u32 v2, v2, 3, 4
	v_and_b32_e32 v10, 7, v10
	s_delay_alu instid0(VALU_DEP_2) | instskip(SKIP_1) | instid1(VALU_DEP_1)
	v_cmp_eq_u32_e32 vcc_lo, 0, v2
	v_dual_cndmask_b32 v2, v2, v9 :: v_dual_lshlrev_b32 v7, 24, v7
	v_dual_cndmask_b32 v8, v8, v10 :: v_dual_and_b32 v7, 0x80000000, v7
	s_delay_alu instid0(VALU_DEP_2) | instskip(NEXT) | instid1(VALU_DEP_2)
	v_lshl_add_u32 v2, v2, 23, 0x3b800000
	v_lshlrev_b32_e32 v8, 20, v8
	s_delay_alu instid0(VALU_DEP_1)
	v_or3_b32 v2, v7, v2, v8
.LBB120_1121:
	s_or_b32 exec_lo, exec_lo, s3
.LBB120_1122:
	s_mov_b32 s2, -1
.LBB120_1123:
	s_branch .LBB120_1155
.LBB120_1124:
	v_cmp_lt_i16_e32 vcc_lo, 22, v6
	s_cbranch_vccz .LBB120_1134
; %bb.1125:
	v_cmp_gt_i16_e32 vcc_lo, 24, v6
	s_cbranch_vccnz .LBB120_1137
; %bb.1126:
	v_cmp_lt_i16_e32 vcc_lo, 24, v6
	s_cbranch_vccz .LBB120_1138
; %bb.1127:
	global_load_u8 v7, v[0:1], off
	s_mov_b32 s3, exec_lo
                                        ; implicit-def: $sgpr2
	s_waitcnt vmcnt(0)
	v_cmpx_lt_i16_e32 0x7f, v7
	s_xor_b32 s3, exec_lo, s3
	s_cbranch_execz .LBB120_1149
; %bb.1128:
	s_mov_b32 s1, -1
	s_mov_b32 s12, exec_lo
                                        ; implicit-def: $sgpr2
	v_cmpx_eq_u16_e32 0x80, v7
; %bb.1129:
	s_mov_b32 s2, 0x7f800001
	s_xor_b32 s1, exec_lo, -1
; %bb.1130:
	s_or_b32 exec_lo, exec_lo, s12
	s_delay_alu instid0(SALU_CYCLE_1)
	s_and_b32 s1, s1, exec_lo
	s_or_saveexec_b32 s3, s3
	v_mov_b32_e32 v2, s2
	s_xor_b32 exec_lo, exec_lo, s3
	s_cbranch_execnz .LBB120_1150
.LBB120_1131:
	s_or_b32 exec_lo, exec_lo, s3
	s_and_saveexec_b32 s2, s1
	s_cbranch_execz .LBB120_1133
.LBB120_1132:
	v_and_b32_e32 v2, 0xffff, v7
	s_delay_alu instid0(VALU_DEP_1) | instskip(NEXT) | instid1(VALU_DEP_1)
	v_and_b32_e32 v8, 3, v2
	v_clz_i32_u32_e32 v9, v8
	s_delay_alu instid0(VALU_DEP_1) | instskip(NEXT) | instid1(VALU_DEP_1)
	v_min_u32_e32 v9, 32, v9
	v_subrev_nc_u32_e32 v10, 29, v9
	v_sub_nc_u32_e32 v9, 30, v9
	s_delay_alu instid0(VALU_DEP_2) | instskip(SKIP_1) | instid1(VALU_DEP_2)
	v_lshlrev_b32_e32 v10, v10, v2
	v_bfe_u32 v2, v2, 2, 5
	v_and_b32_e32 v10, 3, v10
	s_delay_alu instid0(VALU_DEP_2) | instskip(SKIP_1) | instid1(VALU_DEP_1)
	v_cmp_eq_u32_e32 vcc_lo, 0, v2
	v_dual_cndmask_b32 v2, v2, v9 :: v_dual_lshlrev_b32 v7, 24, v7
	v_dual_cndmask_b32 v8, v8, v10 :: v_dual_and_b32 v7, 0x80000000, v7
	s_delay_alu instid0(VALU_DEP_2) | instskip(NEXT) | instid1(VALU_DEP_2)
	v_lshl_add_u32 v2, v2, 23, 0x37800000
	v_lshlrev_b32_e32 v8, 21, v8
	s_delay_alu instid0(VALU_DEP_1)
	v_or3_b32 v2, v7, v2, v8
.LBB120_1133:
	s_or_b32 exec_lo, exec_lo, s2
	s_mov_b32 s1, 0
	s_branch .LBB120_1139
.LBB120_1134:
                                        ; implicit-def: $vgpr2
	s_mov_b32 s1, 0
	s_branch .LBB120_1145
.LBB120_1135:
	s_or_saveexec_b32 s12, s12
	v_mov_b32_e32 v2, s3
	s_xor_b32 exec_lo, exec_lo, s12
	s_cbranch_execz .LBB120_1119
.LBB120_1136:
	v_cmp_ne_u16_e32 vcc_lo, 0, v7
	v_mov_b32_e32 v2, 0
	s_and_not1_b32 s2, s2, exec_lo
	s_and_b32 s3, vcc_lo, exec_lo
	s_delay_alu instid0(SALU_CYCLE_1)
	s_or_b32 s2, s2, s3
	s_or_b32 exec_lo, exec_lo, s12
	s_and_saveexec_b32 s3, s2
	s_cbranch_execnz .LBB120_1120
	s_branch .LBB120_1121
.LBB120_1137:
	s_mov_b32 s1, -1
                                        ; implicit-def: $vgpr2
	s_branch .LBB120_1142
.LBB120_1138:
	s_mov_b32 s1, -1
                                        ; implicit-def: $vgpr2
.LBB120_1139:
	s_delay_alu instid0(SALU_CYCLE_1)
	s_and_b32 vcc_lo, exec_lo, s1
	s_cbranch_vccz .LBB120_1141
; %bb.1140:
	global_load_u8 v2, v[0:1], off
	s_waitcnt vmcnt(0)
	v_lshlrev_b32_e32 v2, 24, v2
	s_delay_alu instid0(VALU_DEP_1) | instskip(NEXT) | instid1(VALU_DEP_1)
	v_and_b32_e32 v7, 0x7f000000, v2
	v_clz_i32_u32_e32 v8, v7
	v_add_nc_u32_e32 v10, 0x1000000, v7
	v_cmp_ne_u32_e32 vcc_lo, 0, v7
	s_delay_alu instid0(VALU_DEP_3) | instskip(NEXT) | instid1(VALU_DEP_1)
	v_min_u32_e32 v8, 32, v8
	v_sub_nc_u32_e64 v8, v8, 4 clamp
	s_delay_alu instid0(VALU_DEP_1) | instskip(SKIP_1) | instid1(VALU_DEP_2)
	v_lshlrev_b32_e32 v9, v8, v7
	v_lshlrev_b32_e32 v8, 23, v8
	v_lshrrev_b32_e32 v9, 4, v9
	s_delay_alu instid0(VALU_DEP_1) | instskip(SKIP_1) | instid1(VALU_DEP_2)
	v_sub_nc_u32_e32 v8, v9, v8
	v_ashrrev_i32_e32 v9, 8, v10
	v_add_nc_u32_e32 v8, 0x3c000000, v8
	s_delay_alu instid0(VALU_DEP_1) | instskip(NEXT) | instid1(VALU_DEP_1)
	v_and_or_b32 v8, 0x7f800000, v9, v8
	v_cndmask_b32_e32 v7, 0, v8, vcc_lo
	s_delay_alu instid0(VALU_DEP_1)
	v_and_or_b32 v2, 0x80000000, v2, v7
.LBB120_1141:
	s_mov_b32 s1, 0
.LBB120_1142:
	s_delay_alu instid0(SALU_CYCLE_1)
	s_and_not1_b32 vcc_lo, exec_lo, s1
	s_cbranch_vccnz .LBB120_1144
; %bb.1143:
	global_load_u8 v2, v[0:1], off
	s_waitcnt vmcnt(0)
	v_lshlrev_b32_e32 v7, 25, v2
	v_lshlrev_b16 v2, 8, v2
	s_delay_alu instid0(VALU_DEP_2) | instskip(NEXT) | instid1(VALU_DEP_2)
	v_lshrrev_b32_e32 v8, 4, v7
	v_and_or_b32 v9, 0x7f00, v2, 0.5
	v_bfe_i32 v2, v2, 0, 16
	s_delay_alu instid0(VALU_DEP_3) | instskip(NEXT) | instid1(VALU_DEP_1)
	v_or_b32_e32 v8, 0x70000000, v8
	v_dual_add_f32 v9, -0.5, v9 :: v_dual_mul_f32 v8, 0x7800000, v8
	v_cmp_gt_u32_e32 vcc_lo, 0x8000000, v7
	s_delay_alu instid0(VALU_DEP_2) | instskip(NEXT) | instid1(VALU_DEP_1)
	v_cndmask_b32_e32 v7, v8, v9, vcc_lo
	v_and_or_b32 v2, 0x80000000, v2, v7
.LBB120_1144:
	s_mov_b32 s2, -1
	s_mov_b32 s1, 0
	s_cbranch_execnz .LBB120_1155
.LBB120_1145:
	v_cmp_lt_i16_e32 vcc_lo, 14, v6
	s_cbranch_vccz .LBB120_1148
; %bb.1146:
	v_cmp_eq_u16_e32 vcc_lo, 15, v6
	s_cbranch_vccz .LBB120_1151
; %bb.1147:
	global_load_u16 v2, v[0:1], off
	s_mov_b32 s0, 0
	s_mov_b32 s2, -1
	s_waitcnt vmcnt(0)
	v_lshlrev_b32_e32 v2, 16, v2
	s_branch .LBB120_1153
.LBB120_1148:
	s_mov_b32 s1, -1
	s_branch .LBB120_1152
.LBB120_1149:
	s_or_saveexec_b32 s3, s3
	v_mov_b32_e32 v2, s2
	s_xor_b32 exec_lo, exec_lo, s3
	s_cbranch_execz .LBB120_1131
.LBB120_1150:
	v_cmp_ne_u16_e32 vcc_lo, 0, v7
	v_mov_b32_e32 v2, 0
	s_and_not1_b32 s1, s1, exec_lo
	s_and_b32 s2, vcc_lo, exec_lo
	s_delay_alu instid0(SALU_CYCLE_1)
	s_or_b32 s1, s1, s2
	s_or_b32 exec_lo, exec_lo, s3
	s_and_saveexec_b32 s2, s1
	s_cbranch_execnz .LBB120_1132
	s_branch .LBB120_1133
.LBB120_1151:
	s_mov_b32 s0, -1
.LBB120_1152:
                                        ; implicit-def: $vgpr2
.LBB120_1153:
	s_and_b32 vcc_lo, exec_lo, s1
	s_mov_b32 s1, 0
	s_cbranch_vccz .LBB120_1155
; %bb.1154:
	v_cmp_ne_u16_e64 s0, 11, v6
	s_mov_b32 s1, -1
                                        ; implicit-def: $vgpr2
.LBB120_1155:
	s_delay_alu instid0(VALU_DEP_1)
	s_and_b32 vcc_lo, exec_lo, s0
	s_mov_b32 s3, s11
	s_cbranch_vccnz .LBB120_1179
; %bb.1156:
	s_and_not1_b32 vcc_lo, exec_lo, s1
	s_cbranch_vccnz .LBB120_1158
.LBB120_1157:
	global_load_u8 v2, v[0:1], off
	s_mov_b32 s2, -1
	s_waitcnt vmcnt(0)
	v_cmp_ne_u16_e32 vcc_lo, 0, v2
	v_cndmask_b32_e64 v2, 0, 1.0, vcc_lo
.LBB120_1158:
.LBB120_1159:
	s_and_not1_b32 vcc_lo, exec_lo, s2
	s_cbranch_vccnz .LBB120_1995
.LBB120_1160:
	s_lshl_b32 s1, s9, 7
	v_cmp_gt_i16_e32 vcc_lo, 11, v6
	v_add_nc_u32_e32 v3, s1, v3
	s_delay_alu instid0(VALU_DEP_1) | instskip(SKIP_1) | instid1(VALU_DEP_1)
	v_ashrrev_i32_e32 v1, 31, v3
	v_add_co_u32 v0, s0, s6, v3
	v_add_co_ci_u32_e64 v1, s0, s7, v1, s0
	s_cbranch_vccnz .LBB120_1167
; %bb.1161:
	v_cmp_lt_i16_e32 vcc_lo, 25, v6
	s_mov_b32 s2, 0
	s_cbranch_vccz .LBB120_1173
; %bb.1162:
	v_cmp_lt_i16_e32 vcc_lo, 28, v6
	s_cbranch_vccz .LBB120_1175
; %bb.1163:
	v_cmp_lt_i16_e32 vcc_lo, 43, v6
	s_cbranch_vccz .LBB120_1177
; %bb.1164:
	v_cmp_lt_i16_e32 vcc_lo, 45, v6
	s_cbranch_vccz .LBB120_1183
; %bb.1165:
	v_cmp_eq_u16_e32 vcc_lo, 46, v6
	s_mov_b32 s12, 0
	s_cbranch_vccz .LBB120_1227
; %bb.1166:
	global_load_b32 v7, v[0:1], off
	s_mov_b32 s0, 0
	s_mov_b32 s9, -1
	s_waitcnt vmcnt(0)
	v_lshlrev_b32_e32 v10, 16, v7
	s_branch .LBB120_1229
.LBB120_1167:
	s_mov_b32 s9, 0
                                        ; implicit-def: $vgpr10
	s_cbranch_execz .LBB120_1294
; %bb.1168:
	v_cmp_gt_i16_e32 vcc_lo, 5, v6
	s_cbranch_vccnz .LBB120_1174
; %bb.1169:
	v_cmp_gt_i16_e32 vcc_lo, 8, v6
	s_cbranch_vccnz .LBB120_1176
	;; [unrolled: 3-line block ×3, first 2 shown]
; %bb.1171:
	v_cmp_lt_i16_e32 vcc_lo, 9, v6
	s_cbranch_vccz .LBB120_1184
; %bb.1172:
	global_load_b64 v[7:8], v[0:1], off
	s_mov_b32 s0, 0
	s_waitcnt vmcnt(0)
	v_cvt_f32_f64_e32 v10, v[7:8]
	s_branch .LBB120_1185
.LBB120_1173:
	s_mov_b32 s9, 0
	s_mov_b32 s0, 0
                                        ; implicit-def: $vgpr10
	s_cbranch_execnz .LBB120_1258
	s_branch .LBB120_1290
.LBB120_1174:
                                        ; implicit-def: $vgpr10
	s_branch .LBB120_1203
.LBB120_1175:
	s_mov_b32 s12, -1
	s_mov_b32 s9, 0
	s_mov_b32 s0, 0
                                        ; implicit-def: $vgpr10
	s_branch .LBB120_1239
.LBB120_1176:
	s_mov_b32 s0, -1
                                        ; implicit-def: $vgpr10
	s_branch .LBB120_1191
.LBB120_1177:
	s_mov_b32 s12, -1
	s_mov_b32 s9, 0
	s_mov_b32 s0, 0
                                        ; implicit-def: $vgpr10
	s_branch .LBB120_1234
.LBB120_1178:
	s_mov_b32 s0, -1
                                        ; implicit-def: $vgpr10
	s_branch .LBB120_1188
.LBB120_1179:
	s_cbranch_execnz .LBB120_1223
; %bb.1180:
	s_or_b32 s3, s11, exec_lo
                                        ; implicit-def: $vgpr2
	s_cbranch_execz .LBB120_1157
	s_branch .LBB120_1158
.LBB120_1181:
	s_or_saveexec_b32 s16, s16
                                        ; implicit-def: $sgpr17
	s_delay_alu instid0(SALU_CYCLE_1)
	s_xor_b32 exec_lo, exec_lo, s16
	s_cbranch_execz .LBB120_943
.LBB120_1182:
	v_add_f32_e32 v3, 0x46000000, v5
	s_and_not1_b32 s15, s15, exec_lo
	s_mov_b32 s17, 0
	s_delay_alu instid0(VALU_DEP_1) | instskip(NEXT) | instid1(VALU_DEP_1)
	v_and_b32_e32 v3, 0xff, v3
	v_cmp_ne_u32_e32 vcc_lo, 0, v3
	s_and_b32 s18, vcc_lo, exec_lo
	s_delay_alu instid0(SALU_CYCLE_1)
	s_or_b32 s15, s15, s18
	s_or_b32 exec_lo, exec_lo, s16
	v_mov_b32_e32 v7, s17
	s_and_saveexec_b32 s16, s15
	s_cbranch_execnz .LBB120_944
	s_branch .LBB120_945
.LBB120_1183:
	s_mov_b32 s12, -1
	s_mov_b32 s9, 0
	s_mov_b32 s0, 0
	s_branch .LBB120_1228
.LBB120_1184:
	s_mov_b32 s0, -1
                                        ; implicit-def: $vgpr10
.LBB120_1185:
	s_delay_alu instid0(SALU_CYCLE_1)
	s_and_not1_b32 vcc_lo, exec_lo, s0
	s_cbranch_vccnz .LBB120_1187
; %bb.1186:
	global_load_b32 v10, v[0:1], off
.LBB120_1187:
	s_mov_b32 s0, 0
.LBB120_1188:
	s_delay_alu instid0(SALU_CYCLE_1)
	s_and_not1_b32 vcc_lo, exec_lo, s0
	s_cbranch_vccnz .LBB120_1190
; %bb.1189:
	global_load_b32 v7, v[0:1], off
	s_waitcnt vmcnt(0)
	v_cvt_f32_f16_e32 v10, v7
.LBB120_1190:
	s_mov_b32 s0, 0
.LBB120_1191:
	s_delay_alu instid0(SALU_CYCLE_1)
	s_and_not1_b32 vcc_lo, exec_lo, s0
	s_cbranch_vccnz .LBB120_1202
; %bb.1192:
	v_cmp_gt_i16_e32 vcc_lo, 6, v6
	s_cbranch_vccnz .LBB120_1195
; %bb.1193:
	v_cmp_lt_i16_e32 vcc_lo, 6, v6
	s_cbranch_vccz .LBB120_1196
; %bb.1194:
	global_load_b64 v[7:8], v[0:1], off
	s_mov_b32 s0, 0
	s_waitcnt vmcnt(0)
	v_cvt_f32_f64_e32 v10, v[7:8]
	s_branch .LBB120_1197
.LBB120_1195:
	s_mov_b32 s0, -1
                                        ; implicit-def: $vgpr10
	s_branch .LBB120_1200
.LBB120_1196:
	s_mov_b32 s0, -1
                                        ; implicit-def: $vgpr10
.LBB120_1197:
	s_delay_alu instid0(SALU_CYCLE_1)
	s_and_not1_b32 vcc_lo, exec_lo, s0
	s_cbranch_vccnz .LBB120_1199
; %bb.1198:
	global_load_b32 v10, v[0:1], off
.LBB120_1199:
	s_mov_b32 s0, 0
.LBB120_1200:
	s_delay_alu instid0(SALU_CYCLE_1)
	s_and_not1_b32 vcc_lo, exec_lo, s0
	s_cbranch_vccnz .LBB120_1202
; %bb.1201:
	global_load_u16 v7, v[0:1], off
	s_waitcnt vmcnt(0)
	v_cvt_f32_f16_e32 v10, v7
.LBB120_1202:
	s_cbranch_execnz .LBB120_1222
.LBB120_1203:
	v_cmp_gt_i16_e32 vcc_lo, 2, v6
	s_cbranch_vccnz .LBB120_1207
; %bb.1204:
	v_cmp_gt_i16_e32 vcc_lo, 3, v6
	s_cbranch_vccnz .LBB120_1208
; %bb.1205:
	v_cmp_lt_i16_e32 vcc_lo, 3, v6
	s_cbranch_vccz .LBB120_1209
; %bb.1206:
	global_load_b64 v[7:8], v[0:1], off
	s_mov_b32 s0, 0
	s_waitcnt vmcnt(0)
	v_xor_b32_e32 v9, v7, v8
	v_cls_i32_e32 v10, v8
	s_delay_alu instid0(VALU_DEP_2) | instskip(NEXT) | instid1(VALU_DEP_2)
	v_ashrrev_i32_e32 v9, 31, v9
	v_add_nc_u32_e32 v10, -1, v10
	s_delay_alu instid0(VALU_DEP_2) | instskip(NEXT) | instid1(VALU_DEP_1)
	v_add_nc_u32_e32 v9, 32, v9
	v_min_u32_e32 v9, v10, v9
	s_delay_alu instid0(VALU_DEP_1) | instskip(NEXT) | instid1(VALU_DEP_1)
	v_lshlrev_b64 v[7:8], v9, v[7:8]
	v_min_u32_e32 v7, 1, v7
	s_delay_alu instid0(VALU_DEP_1) | instskip(SKIP_1) | instid1(VALU_DEP_2)
	v_or_b32_e32 v7, v8, v7
	v_sub_nc_u32_e32 v8, 32, v9
	v_cvt_f32_i32_e32 v7, v7
	s_delay_alu instid0(VALU_DEP_1)
	v_ldexp_f32 v10, v7, v8
	s_branch .LBB120_1210
.LBB120_1207:
	s_mov_b32 s0, -1
                                        ; implicit-def: $vgpr10
	s_branch .LBB120_1216
.LBB120_1208:
	s_mov_b32 s0, -1
                                        ; implicit-def: $vgpr10
	s_branch .LBB120_1213
.LBB120_1209:
	s_mov_b32 s0, -1
                                        ; implicit-def: $vgpr10
.LBB120_1210:
	s_delay_alu instid0(SALU_CYCLE_1)
	s_and_not1_b32 vcc_lo, exec_lo, s0
	s_cbranch_vccnz .LBB120_1212
; %bb.1211:
	global_load_b32 v7, v[0:1], off
	s_waitcnt vmcnt(0)
	v_cvt_f32_i32_e32 v10, v7
.LBB120_1212:
	s_mov_b32 s0, 0
.LBB120_1213:
	s_delay_alu instid0(SALU_CYCLE_1)
	s_and_not1_b32 vcc_lo, exec_lo, s0
	s_cbranch_vccnz .LBB120_1215
; %bb.1214:
	global_load_i16 v7, v[0:1], off
	s_waitcnt vmcnt(0)
	v_cvt_f32_i32_e32 v10, v7
.LBB120_1215:
	s_mov_b32 s0, 0
.LBB120_1216:
	s_delay_alu instid0(SALU_CYCLE_1)
	s_and_not1_b32 vcc_lo, exec_lo, s0
	s_cbranch_vccnz .LBB120_1222
; %bb.1217:
	v_cmp_lt_i16_e32 vcc_lo, 0, v6
	s_mov_b32 s0, 0
	s_cbranch_vccz .LBB120_1219
; %bb.1218:
	global_load_i8 v7, v[0:1], off
	s_waitcnt vmcnt(0)
	v_cvt_f32_i32_e32 v10, v7
	s_branch .LBB120_1220
.LBB120_1219:
	s_mov_b32 s0, -1
                                        ; implicit-def: $vgpr10
.LBB120_1220:
	s_delay_alu instid0(SALU_CYCLE_1)
	s_and_not1_b32 vcc_lo, exec_lo, s0
	s_cbranch_vccnz .LBB120_1222
; %bb.1221:
	global_load_u8 v0, v[0:1], off
	s_waitcnt vmcnt(0)
	v_cvt_f32_ubyte0_e32 v10, v0
.LBB120_1222:
	s_branch .LBB120_1295
.LBB120_1223:
	s_trap 2
	s_sendmsg_rtn_b32 s0, sendmsg(MSG_RTN_GET_DOORBELL)
	s_mov_b32 ttmp2, m0
	s_waitcnt lgkmcnt(0)
	s_and_b32 s0, s0, 0x3ff
	s_delay_alu instid0(SALU_CYCLE_1) | instskip(NEXT) | instid1(SALU_CYCLE_1)
	s_bitset1_b32 s0, 10
	s_mov_b32 m0, s0
	s_sendmsg sendmsg(MSG_INTERRUPT)
	s_mov_b32 m0, ttmp2
.LBB120_1224:                           ; =>This Inner Loop Header: Depth=1
	s_sethalt 5
	s_branch .LBB120_1224
.LBB120_1225:
	s_or_saveexec_b32 s17, s17
                                        ; implicit-def: $sgpr18
	s_delay_alu instid0(SALU_CYCLE_1)
	s_xor_b32 exec_lo, exec_lo, s17
	s_cbranch_execz .LBB120_955
.LBB120_1226:
	v_add_f32_e32 v3, 0x42800000, v5
	s_and_not1_b32 s16, s16, exec_lo
	s_mov_b32 s18, 0
	s_delay_alu instid0(VALU_DEP_1) | instskip(NEXT) | instid1(VALU_DEP_1)
	v_and_b32_e32 v3, 0xff, v3
	v_cmp_ne_u32_e32 vcc_lo, 0, v3
	s_and_b32 s19, vcc_lo, exec_lo
	s_delay_alu instid0(SALU_CYCLE_1)
	s_or_b32 s16, s16, s19
	s_or_b32 exec_lo, exec_lo, s17
	v_mov_b32_e32 v7, s18
	s_and_saveexec_b32 s17, s16
	s_cbranch_execnz .LBB120_956
	s_branch .LBB120_957
.LBB120_1227:
	s_mov_b32 s0, -1
	s_mov_b32 s9, 0
.LBB120_1228:
                                        ; implicit-def: $vgpr10
.LBB120_1229:
	s_and_b32 vcc_lo, exec_lo, s12
	s_cbranch_vccz .LBB120_1233
; %bb.1230:
	v_cmp_eq_u16_e32 vcc_lo, 44, v6
	s_cbranch_vccz .LBB120_1232
; %bb.1231:
	global_load_u8 v7, v[0:1], off
	s_mov_b32 s0, 0
	s_mov_b32 s9, -1
	s_waitcnt vmcnt(0)
	v_lshlrev_b32_e32 v8, 23, v7
	v_cmp_ne_u32_e32 vcc_lo, 0xff, v7
	s_delay_alu instid0(VALU_DEP_2) | instskip(SKIP_1) | instid1(VALU_DEP_2)
	v_cndmask_b32_e32 v8, 0x7f800001, v8, vcc_lo
	v_cmp_ne_u32_e32 vcc_lo, 0, v7
	v_cndmask_b32_e32 v10, 0x400000, v8, vcc_lo
	s_branch .LBB120_1233
.LBB120_1232:
	s_mov_b32 s0, -1
                                        ; implicit-def: $vgpr10
.LBB120_1233:
	s_mov_b32 s12, 0
.LBB120_1234:
	s_delay_alu instid0(SALU_CYCLE_1)
	s_and_b32 vcc_lo, exec_lo, s12
	s_cbranch_vccz .LBB120_1238
; %bb.1235:
	v_cmp_eq_u16_e32 vcc_lo, 29, v6
	s_cbranch_vccz .LBB120_1237
; %bb.1236:
	global_load_b64 v[7:8], v[0:1], off
	s_mov_b32 s0, 0
	s_mov_b32 s9, -1
	s_mov_b32 s12, 0
	s_waitcnt vmcnt(0)
	v_clz_i32_u32_e32 v9, v8
	s_delay_alu instid0(VALU_DEP_1) | instskip(NEXT) | instid1(VALU_DEP_1)
	v_min_u32_e32 v9, 32, v9
	v_lshlrev_b64 v[7:8], v9, v[7:8]
	s_delay_alu instid0(VALU_DEP_1) | instskip(NEXT) | instid1(VALU_DEP_1)
	v_min_u32_e32 v7, 1, v7
	v_or_b32_e32 v7, v8, v7
	v_sub_nc_u32_e32 v8, 32, v9
	s_delay_alu instid0(VALU_DEP_2) | instskip(NEXT) | instid1(VALU_DEP_1)
	v_cvt_f32_u32_e32 v7, v7
	v_ldexp_f32 v10, v7, v8
	s_branch .LBB120_1239
.LBB120_1237:
	s_mov_b32 s0, -1
                                        ; implicit-def: $vgpr10
.LBB120_1238:
	s_mov_b32 s12, 0
.LBB120_1239:
	s_delay_alu instid0(SALU_CYCLE_1)
	s_and_b32 vcc_lo, exec_lo, s12
	s_cbranch_vccz .LBB120_1257
; %bb.1240:
	v_cmp_gt_i16_e32 vcc_lo, 27, v6
	s_cbranch_vccnz .LBB120_1243
; %bb.1241:
	v_cmp_lt_i16_e32 vcc_lo, 27, v6
	s_cbranch_vccz .LBB120_1244
; %bb.1242:
	global_load_b32 v7, v[0:1], off
	s_mov_b32 s9, 0
	s_waitcnt vmcnt(0)
	v_cvt_f32_u32_e32 v10, v7
	s_branch .LBB120_1245
.LBB120_1243:
	s_mov_b32 s9, -1
                                        ; implicit-def: $vgpr10
	s_branch .LBB120_1248
.LBB120_1244:
	s_mov_b32 s9, -1
                                        ; implicit-def: $vgpr10
.LBB120_1245:
	s_delay_alu instid0(SALU_CYCLE_1)
	s_and_not1_b32 vcc_lo, exec_lo, s9
	s_cbranch_vccnz .LBB120_1247
; %bb.1246:
	global_load_u16 v7, v[0:1], off
	s_waitcnt vmcnt(0)
	v_cvt_f32_u32_e32 v10, v7
.LBB120_1247:
	s_mov_b32 s9, 0
.LBB120_1248:
	s_delay_alu instid0(SALU_CYCLE_1)
	s_and_not1_b32 vcc_lo, exec_lo, s9
	s_cbranch_vccnz .LBB120_1256
; %bb.1249:
	global_load_u8 v7, v[0:1], off
	s_mov_b32 s9, 0
	s_mov_b32 s13, exec_lo
                                        ; implicit-def: $sgpr12
	s_waitcnt vmcnt(0)
	v_cmpx_lt_i16_e32 0x7f, v7
	s_xor_b32 s13, exec_lo, s13
	s_cbranch_execz .LBB120_1269
; %bb.1250:
	s_mov_b32 s9, -1
	s_mov_b32 s14, exec_lo
                                        ; implicit-def: $sgpr12
	v_cmpx_eq_u16_e32 0x80, v7
; %bb.1251:
	s_mov_b32 s12, 0x7f800001
	s_xor_b32 s9, exec_lo, -1
; %bb.1252:
	s_or_b32 exec_lo, exec_lo, s14
	s_delay_alu instid0(SALU_CYCLE_1)
	s_and_b32 s9, s9, exec_lo
	s_or_saveexec_b32 s13, s13
	v_mov_b32_e32 v10, s12
	s_xor_b32 exec_lo, exec_lo, s13
	s_cbranch_execnz .LBB120_1270
.LBB120_1253:
	s_or_b32 exec_lo, exec_lo, s13
	s_and_saveexec_b32 s12, s9
	s_cbranch_execz .LBB120_1255
.LBB120_1254:
	v_and_b32_e32 v8, 0xffff, v7
	v_lshlrev_b32_e32 v7, 24, v7
	s_delay_alu instid0(VALU_DEP_2) | instskip(NEXT) | instid1(VALU_DEP_2)
	v_and_b32_e32 v9, 7, v8
	v_and_b32_e32 v7, 0x80000000, v7
	s_delay_alu instid0(VALU_DEP_2) | instskip(NEXT) | instid1(VALU_DEP_1)
	v_clz_i32_u32_e32 v10, v9
	v_min_u32_e32 v10, 32, v10
	s_delay_alu instid0(VALU_DEP_1) | instskip(SKIP_1) | instid1(VALU_DEP_2)
	v_subrev_nc_u32_e32 v11, 28, v10
	v_sub_nc_u32_e32 v10, 29, v10
	v_lshlrev_b32_e32 v11, v11, v8
	v_bfe_u32 v8, v8, 3, 4
	s_delay_alu instid0(VALU_DEP_2) | instskip(NEXT) | instid1(VALU_DEP_2)
	v_and_b32_e32 v11, 7, v11
	v_cmp_eq_u32_e32 vcc_lo, 0, v8
	s_delay_alu instid0(VALU_DEP_2) | instskip(NEXT) | instid1(VALU_DEP_1)
	v_dual_cndmask_b32 v8, v8, v10 :: v_dual_cndmask_b32 v9, v9, v11
	v_lshl_add_u32 v8, v8, 23, 0x3b800000
	s_delay_alu instid0(VALU_DEP_2) | instskip(NEXT) | instid1(VALU_DEP_1)
	v_lshlrev_b32_e32 v9, 20, v9
	v_or3_b32 v10, v7, v8, v9
.LBB120_1255:
	s_or_b32 exec_lo, exec_lo, s12
.LBB120_1256:
	s_mov_b32 s9, -1
.LBB120_1257:
	s_branch .LBB120_1290
.LBB120_1258:
	v_cmp_lt_i16_e32 vcc_lo, 22, v6
	s_cbranch_vccz .LBB120_1268
; %bb.1259:
	v_cmp_gt_i16_e32 vcc_lo, 24, v6
	s_cbranch_vccnz .LBB120_1271
; %bb.1260:
	v_cmp_lt_i16_e32 vcc_lo, 24, v6
	s_cbranch_vccz .LBB120_1272
; %bb.1261:
	global_load_u8 v7, v[0:1], off
	s_mov_b32 s12, exec_lo
                                        ; implicit-def: $sgpr9
	s_waitcnt vmcnt(0)
	v_cmpx_lt_i16_e32 0x7f, v7
	s_xor_b32 s12, exec_lo, s12
	s_cbranch_execz .LBB120_1284
; %bb.1262:
	s_mov_b32 s2, -1
	s_mov_b32 s13, exec_lo
                                        ; implicit-def: $sgpr9
	v_cmpx_eq_u16_e32 0x80, v7
; %bb.1263:
	s_mov_b32 s9, 0x7f800001
	s_xor_b32 s2, exec_lo, -1
; %bb.1264:
	s_or_b32 exec_lo, exec_lo, s13
	s_delay_alu instid0(SALU_CYCLE_1)
	s_and_b32 s2, s2, exec_lo
	s_or_saveexec_b32 s12, s12
	v_mov_b32_e32 v10, s9
	s_xor_b32 exec_lo, exec_lo, s12
	s_cbranch_execnz .LBB120_1285
.LBB120_1265:
	s_or_b32 exec_lo, exec_lo, s12
	s_and_saveexec_b32 s9, s2
	s_cbranch_execz .LBB120_1267
.LBB120_1266:
	v_and_b32_e32 v8, 0xffff, v7
	v_lshlrev_b32_e32 v7, 24, v7
	s_delay_alu instid0(VALU_DEP_2) | instskip(NEXT) | instid1(VALU_DEP_2)
	v_and_b32_e32 v9, 3, v8
	v_and_b32_e32 v7, 0x80000000, v7
	s_delay_alu instid0(VALU_DEP_2) | instskip(NEXT) | instid1(VALU_DEP_1)
	v_clz_i32_u32_e32 v10, v9
	v_min_u32_e32 v10, 32, v10
	s_delay_alu instid0(VALU_DEP_1) | instskip(SKIP_1) | instid1(VALU_DEP_2)
	v_subrev_nc_u32_e32 v11, 29, v10
	v_sub_nc_u32_e32 v10, 30, v10
	v_lshlrev_b32_e32 v11, v11, v8
	v_bfe_u32 v8, v8, 2, 5
	s_delay_alu instid0(VALU_DEP_2) | instskip(NEXT) | instid1(VALU_DEP_2)
	v_and_b32_e32 v11, 3, v11
	v_cmp_eq_u32_e32 vcc_lo, 0, v8
	s_delay_alu instid0(VALU_DEP_2) | instskip(NEXT) | instid1(VALU_DEP_1)
	v_dual_cndmask_b32 v8, v8, v10 :: v_dual_cndmask_b32 v9, v9, v11
	v_lshl_add_u32 v8, v8, 23, 0x37800000
	s_delay_alu instid0(VALU_DEP_2) | instskip(NEXT) | instid1(VALU_DEP_1)
	v_lshlrev_b32_e32 v9, 21, v9
	v_or3_b32 v10, v7, v8, v9
.LBB120_1267:
	s_or_b32 exec_lo, exec_lo, s9
	s_mov_b32 s2, 0
	s_branch .LBB120_1273
.LBB120_1268:
	s_mov_b32 s2, -1
                                        ; implicit-def: $vgpr10
	s_branch .LBB120_1279
.LBB120_1269:
	s_or_saveexec_b32 s13, s13
	v_mov_b32_e32 v10, s12
	s_xor_b32 exec_lo, exec_lo, s13
	s_cbranch_execz .LBB120_1253
.LBB120_1270:
	v_cmp_ne_u16_e32 vcc_lo, 0, v7
	v_mov_b32_e32 v10, 0
	s_and_not1_b32 s9, s9, exec_lo
	s_and_b32 s12, vcc_lo, exec_lo
	s_delay_alu instid0(SALU_CYCLE_1)
	s_or_b32 s9, s9, s12
	s_or_b32 exec_lo, exec_lo, s13
	s_and_saveexec_b32 s12, s9
	s_cbranch_execnz .LBB120_1254
	s_branch .LBB120_1255
.LBB120_1271:
	s_mov_b32 s2, -1
                                        ; implicit-def: $vgpr10
	s_branch .LBB120_1276
.LBB120_1272:
	s_mov_b32 s2, -1
                                        ; implicit-def: $vgpr10
.LBB120_1273:
	s_delay_alu instid0(SALU_CYCLE_1)
	s_and_b32 vcc_lo, exec_lo, s2
	s_cbranch_vccz .LBB120_1275
; %bb.1274:
	global_load_u8 v7, v[0:1], off
	s_waitcnt vmcnt(0)
	v_lshlrev_b32_e32 v7, 24, v7
	s_delay_alu instid0(VALU_DEP_1) | instskip(NEXT) | instid1(VALU_DEP_1)
	v_and_b32_e32 v8, 0x7f000000, v7
	v_clz_i32_u32_e32 v9, v8
	v_add_nc_u32_e32 v11, 0x1000000, v8
	v_cmp_ne_u32_e32 vcc_lo, 0, v8
	s_delay_alu instid0(VALU_DEP_3) | instskip(NEXT) | instid1(VALU_DEP_1)
	v_min_u32_e32 v9, 32, v9
	v_sub_nc_u32_e64 v9, v9, 4 clamp
	s_delay_alu instid0(VALU_DEP_1) | instskip(SKIP_1) | instid1(VALU_DEP_2)
	v_lshlrev_b32_e32 v10, v9, v8
	v_lshlrev_b32_e32 v9, 23, v9
	v_lshrrev_b32_e32 v10, 4, v10
	s_delay_alu instid0(VALU_DEP_1) | instskip(SKIP_1) | instid1(VALU_DEP_2)
	v_sub_nc_u32_e32 v9, v10, v9
	v_ashrrev_i32_e32 v10, 8, v11
	v_add_nc_u32_e32 v9, 0x3c000000, v9
	s_delay_alu instid0(VALU_DEP_1) | instskip(NEXT) | instid1(VALU_DEP_1)
	v_and_or_b32 v9, 0x7f800000, v10, v9
	v_cndmask_b32_e32 v8, 0, v9, vcc_lo
	s_delay_alu instid0(VALU_DEP_1)
	v_and_or_b32 v10, 0x80000000, v7, v8
.LBB120_1275:
	s_mov_b32 s2, 0
.LBB120_1276:
	s_delay_alu instid0(SALU_CYCLE_1)
	s_and_not1_b32 vcc_lo, exec_lo, s2
	s_cbranch_vccnz .LBB120_1278
; %bb.1277:
	global_load_u8 v7, v[0:1], off
	s_waitcnt vmcnt(0)
	v_lshlrev_b32_e32 v8, 25, v7
	v_lshlrev_b16 v7, 8, v7
	s_delay_alu instid0(VALU_DEP_2) | instskip(NEXT) | instid1(VALU_DEP_2)
	v_lshrrev_b32_e32 v9, 4, v8
	v_and_or_b32 v10, 0x7f00, v7, 0.5
	v_bfe_i32 v7, v7, 0, 16
	s_delay_alu instid0(VALU_DEP_3) | instskip(NEXT) | instid1(VALU_DEP_1)
	v_or_b32_e32 v9, 0x70000000, v9
	v_dual_add_f32 v10, -0.5, v10 :: v_dual_mul_f32 v9, 0x7800000, v9
	v_cmp_gt_u32_e32 vcc_lo, 0x8000000, v8
	s_delay_alu instid0(VALU_DEP_2) | instskip(NEXT) | instid1(VALU_DEP_1)
	v_cndmask_b32_e32 v8, v9, v10, vcc_lo
	v_and_or_b32 v10, 0x80000000, v7, v8
.LBB120_1278:
	s_mov_b32 s2, 0
	s_mov_b32 s9, -1
.LBB120_1279:
	s_and_not1_b32 vcc_lo, exec_lo, s2
	s_mov_b32 s2, 0
	s_cbranch_vccnz .LBB120_1290
; %bb.1280:
	v_cmp_lt_i16_e32 vcc_lo, 14, v6
	s_cbranch_vccz .LBB120_1283
; %bb.1281:
	v_cmp_eq_u16_e32 vcc_lo, 15, v6
	s_cbranch_vccz .LBB120_1286
; %bb.1282:
	global_load_u16 v7, v[0:1], off
	s_mov_b32 s0, 0
	s_mov_b32 s9, -1
	s_waitcnt vmcnt(0)
	v_lshlrev_b32_e32 v10, 16, v7
	s_branch .LBB120_1288
.LBB120_1283:
	s_mov_b32 s2, -1
	s_branch .LBB120_1287
.LBB120_1284:
	s_or_saveexec_b32 s12, s12
	v_mov_b32_e32 v10, s9
	s_xor_b32 exec_lo, exec_lo, s12
	s_cbranch_execz .LBB120_1265
.LBB120_1285:
	v_cmp_ne_u16_e32 vcc_lo, 0, v7
	v_mov_b32_e32 v10, 0
	s_and_not1_b32 s2, s2, exec_lo
	s_and_b32 s9, vcc_lo, exec_lo
	s_delay_alu instid0(SALU_CYCLE_1)
	s_or_b32 s2, s2, s9
	s_or_b32 exec_lo, exec_lo, s12
	s_and_saveexec_b32 s9, s2
	s_cbranch_execnz .LBB120_1266
	s_branch .LBB120_1267
.LBB120_1286:
	s_mov_b32 s0, -1
.LBB120_1287:
                                        ; implicit-def: $vgpr10
.LBB120_1288:
	s_and_b32 vcc_lo, exec_lo, s2
	s_mov_b32 s2, 0
	s_cbranch_vccz .LBB120_1290
; %bb.1289:
	v_cmp_ne_u16_e64 s0, 11, v6
	s_mov_b32 s2, -1
                                        ; implicit-def: $vgpr10
.LBB120_1290:
	s_delay_alu instid0(VALU_DEP_1)
	s_and_b32 vcc_lo, exec_lo, s0
	s_cbranch_vccnz .LBB120_1314
; %bb.1291:
	s_and_not1_b32 vcc_lo, exec_lo, s2
	s_cbranch_vccnz .LBB120_1293
.LBB120_1292:
	global_load_u8 v7, v[0:1], off
	s_mov_b32 s9, -1
	s_waitcnt vmcnt(0)
	v_cmp_ne_u16_e32 vcc_lo, 0, v7
	v_cndmask_b32_e64 v10, 0, 1.0, vcc_lo
.LBB120_1293:
.LBB120_1294:
	s_and_not1_b32 vcc_lo, exec_lo, s9
	s_cbranch_vccnz .LBB120_1995
.LBB120_1295:
	v_add_nc_u32_e32 v3, s1, v3
	v_cmp_gt_i16_e32 vcc_lo, 11, v6
	s_delay_alu instid0(VALU_DEP_2) | instskip(SKIP_1) | instid1(VALU_DEP_1)
	v_ashrrev_i32_e32 v1, 31, v3
	v_add_co_u32 v0, s0, s6, v3
	v_add_co_ci_u32_e64 v1, s0, s7, v1, s0
	s_cbranch_vccnz .LBB120_1302
; %bb.1296:
	v_cmp_lt_i16_e32 vcc_lo, 25, v6
	s_mov_b32 s2, 0
	s_cbranch_vccz .LBB120_1308
; %bb.1297:
	v_cmp_lt_i16_e32 vcc_lo, 28, v6
	s_cbranch_vccz .LBB120_1310
; %bb.1298:
	v_cmp_lt_i16_e32 vcc_lo, 43, v6
	;; [unrolled: 3-line block ×3, first 2 shown]
	s_cbranch_vccz .LBB120_1316
; %bb.1300:
	v_cmp_eq_u16_e32 vcc_lo, 46, v6
	s_mov_b32 s12, 0
	s_cbranch_vccz .LBB120_1359
; %bb.1301:
	global_load_b32 v7, v[0:1], off
	s_mov_b32 s0, 0
	s_mov_b32 s9, -1
	s_waitcnt vmcnt(0)
	v_lshlrev_b32_e32 v9, 16, v7
	s_branch .LBB120_1361
.LBB120_1302:
	s_mov_b32 s9, 0
                                        ; implicit-def: $vgpr9
	s_cbranch_execz .LBB120_1427
; %bb.1303:
	v_cmp_gt_i16_e32 vcc_lo, 5, v6
	s_cbranch_vccnz .LBB120_1309
; %bb.1304:
	v_cmp_gt_i16_e32 vcc_lo, 8, v6
	s_cbranch_vccnz .LBB120_1311
	;; [unrolled: 3-line block ×3, first 2 shown]
; %bb.1306:
	v_cmp_lt_i16_e32 vcc_lo, 9, v6
	s_cbranch_vccz .LBB120_1317
; %bb.1307:
	global_load_b64 v[7:8], v[0:1], off
	s_mov_b32 s0, 0
	s_waitcnt vmcnt(0)
	v_cvt_f32_f64_e32 v9, v[7:8]
	s_branch .LBB120_1318
.LBB120_1308:
	s_mov_b32 s12, -1
	s_mov_b32 s9, 0
	s_mov_b32 s0, 0
                                        ; implicit-def: $vgpr9
	s_branch .LBB120_1390
.LBB120_1309:
	s_mov_b32 s0, -1
                                        ; implicit-def: $vgpr9
	s_branch .LBB120_1336
.LBB120_1310:
	s_mov_b32 s12, -1
	s_mov_b32 s9, 0
	s_mov_b32 s0, 0
                                        ; implicit-def: $vgpr9
	s_branch .LBB120_1371
.LBB120_1311:
	s_mov_b32 s0, -1
                                        ; implicit-def: $vgpr9
	s_branch .LBB120_1324
.LBB120_1312:
	s_mov_b32 s12, -1
	s_mov_b32 s9, 0
	s_mov_b32 s0, 0
                                        ; implicit-def: $vgpr9
	s_branch .LBB120_1366
.LBB120_1313:
	s_mov_b32 s0, -1
                                        ; implicit-def: $vgpr9
	s_branch .LBB120_1321
.LBB120_1314:
	s_cbranch_execnz .LBB120_1357
; %bb.1315:
	s_or_b32 s3, s3, exec_lo
                                        ; implicit-def: $vgpr10
	s_cbranch_execz .LBB120_1292
	s_branch .LBB120_1293
.LBB120_1316:
	s_mov_b32 s12, -1
	s_mov_b32 s9, 0
	s_mov_b32 s0, 0
	s_branch .LBB120_1360
.LBB120_1317:
	s_mov_b32 s0, -1
                                        ; implicit-def: $vgpr9
.LBB120_1318:
	s_delay_alu instid0(SALU_CYCLE_1)
	s_and_not1_b32 vcc_lo, exec_lo, s0
	s_cbranch_vccnz .LBB120_1320
; %bb.1319:
	global_load_b32 v9, v[0:1], off
.LBB120_1320:
	s_mov_b32 s0, 0
.LBB120_1321:
	s_delay_alu instid0(SALU_CYCLE_1)
	s_and_not1_b32 vcc_lo, exec_lo, s0
	s_cbranch_vccnz .LBB120_1323
; %bb.1322:
	global_load_b32 v7, v[0:1], off
	s_waitcnt vmcnt(0)
	v_cvt_f32_f16_e32 v9, v7
.LBB120_1323:
	s_mov_b32 s0, 0
.LBB120_1324:
	s_delay_alu instid0(SALU_CYCLE_1)
	s_and_not1_b32 vcc_lo, exec_lo, s0
	s_cbranch_vccnz .LBB120_1335
; %bb.1325:
	v_cmp_gt_i16_e32 vcc_lo, 6, v6
	s_cbranch_vccnz .LBB120_1328
; %bb.1326:
	v_cmp_lt_i16_e32 vcc_lo, 6, v6
	s_cbranch_vccz .LBB120_1329
; %bb.1327:
	global_load_b64 v[7:8], v[0:1], off
	s_mov_b32 s0, 0
	s_waitcnt vmcnt(0)
	v_cvt_f32_f64_e32 v9, v[7:8]
	s_branch .LBB120_1330
.LBB120_1328:
	s_mov_b32 s0, -1
                                        ; implicit-def: $vgpr9
	s_branch .LBB120_1333
.LBB120_1329:
	s_mov_b32 s0, -1
                                        ; implicit-def: $vgpr9
.LBB120_1330:
	s_delay_alu instid0(SALU_CYCLE_1)
	s_and_not1_b32 vcc_lo, exec_lo, s0
	s_cbranch_vccnz .LBB120_1332
; %bb.1331:
	global_load_b32 v9, v[0:1], off
.LBB120_1332:
	s_mov_b32 s0, 0
.LBB120_1333:
	s_delay_alu instid0(SALU_CYCLE_1)
	s_and_not1_b32 vcc_lo, exec_lo, s0
	s_cbranch_vccnz .LBB120_1335
; %bb.1334:
	global_load_u16 v7, v[0:1], off
	s_waitcnt vmcnt(0)
	v_cvt_f32_f16_e32 v9, v7
.LBB120_1335:
	s_mov_b32 s0, 0
.LBB120_1336:
	s_delay_alu instid0(SALU_CYCLE_1)
	s_and_not1_b32 vcc_lo, exec_lo, s0
	s_cbranch_vccnz .LBB120_1356
; %bb.1337:
	v_cmp_gt_i16_e32 vcc_lo, 2, v6
	s_cbranch_vccnz .LBB120_1341
; %bb.1338:
	v_cmp_gt_i16_e32 vcc_lo, 3, v6
	s_cbranch_vccnz .LBB120_1342
; %bb.1339:
	v_cmp_lt_i16_e32 vcc_lo, 3, v6
	s_cbranch_vccz .LBB120_1343
; %bb.1340:
	global_load_b64 v[7:8], v[0:1], off
	s_mov_b32 s0, 0
	s_waitcnt vmcnt(0)
	v_xor_b32_e32 v9, v7, v8
	v_cls_i32_e32 v11, v8
	s_delay_alu instid0(VALU_DEP_2) | instskip(NEXT) | instid1(VALU_DEP_2)
	v_ashrrev_i32_e32 v9, 31, v9
	v_add_nc_u32_e32 v11, -1, v11
	s_delay_alu instid0(VALU_DEP_2) | instskip(NEXT) | instid1(VALU_DEP_1)
	v_add_nc_u32_e32 v9, 32, v9
	v_min_u32_e32 v9, v11, v9
	s_delay_alu instid0(VALU_DEP_1) | instskip(NEXT) | instid1(VALU_DEP_1)
	v_lshlrev_b64 v[7:8], v9, v[7:8]
	v_min_u32_e32 v7, 1, v7
	s_delay_alu instid0(VALU_DEP_1) | instskip(SKIP_1) | instid1(VALU_DEP_2)
	v_or_b32_e32 v7, v8, v7
	v_sub_nc_u32_e32 v8, 32, v9
	v_cvt_f32_i32_e32 v7, v7
	s_delay_alu instid0(VALU_DEP_1)
	v_ldexp_f32 v9, v7, v8
	s_branch .LBB120_1344
.LBB120_1341:
	s_mov_b32 s0, -1
                                        ; implicit-def: $vgpr9
	s_branch .LBB120_1350
.LBB120_1342:
	s_mov_b32 s0, -1
                                        ; implicit-def: $vgpr9
	s_branch .LBB120_1347
.LBB120_1343:
	s_mov_b32 s0, -1
                                        ; implicit-def: $vgpr9
.LBB120_1344:
	s_delay_alu instid0(SALU_CYCLE_1)
	s_and_not1_b32 vcc_lo, exec_lo, s0
	s_cbranch_vccnz .LBB120_1346
; %bb.1345:
	global_load_b32 v7, v[0:1], off
	s_waitcnt vmcnt(0)
	v_cvt_f32_i32_e32 v9, v7
.LBB120_1346:
	s_mov_b32 s0, 0
.LBB120_1347:
	s_delay_alu instid0(SALU_CYCLE_1)
	s_and_not1_b32 vcc_lo, exec_lo, s0
	s_cbranch_vccnz .LBB120_1349
; %bb.1348:
	global_load_i16 v7, v[0:1], off
	s_waitcnt vmcnt(0)
	v_cvt_f32_i32_e32 v9, v7
.LBB120_1349:
	s_mov_b32 s0, 0
.LBB120_1350:
	s_delay_alu instid0(SALU_CYCLE_1)
	s_and_not1_b32 vcc_lo, exec_lo, s0
	s_cbranch_vccnz .LBB120_1356
; %bb.1351:
	v_cmp_lt_i16_e32 vcc_lo, 0, v6
	s_mov_b32 s0, 0
	s_cbranch_vccz .LBB120_1353
; %bb.1352:
	global_load_i8 v7, v[0:1], off
	s_waitcnt vmcnt(0)
	v_cvt_f32_i32_e32 v9, v7
	s_branch .LBB120_1354
.LBB120_1353:
	s_mov_b32 s0, -1
                                        ; implicit-def: $vgpr9
.LBB120_1354:
	s_delay_alu instid0(SALU_CYCLE_1)
	s_and_not1_b32 vcc_lo, exec_lo, s0
	s_cbranch_vccnz .LBB120_1356
; %bb.1355:
	global_load_u8 v0, v[0:1], off
	s_waitcnt vmcnt(0)
	v_cvt_f32_ubyte0_e32 v9, v0
.LBB120_1356:
	s_branch .LBB120_1428
.LBB120_1357:
	s_trap 2
	s_sendmsg_rtn_b32 s0, sendmsg(MSG_RTN_GET_DOORBELL)
	s_mov_b32 ttmp2, m0
	s_waitcnt lgkmcnt(0)
	s_and_b32 s0, s0, 0x3ff
	s_delay_alu instid0(SALU_CYCLE_1) | instskip(NEXT) | instid1(SALU_CYCLE_1)
	s_bitset1_b32 s0, 10
	s_mov_b32 m0, s0
	s_sendmsg sendmsg(MSG_INTERRUPT)
	s_mov_b32 m0, ttmp2
.LBB120_1358:                           ; =>This Inner Loop Header: Depth=1
	s_sethalt 5
	s_branch .LBB120_1358
.LBB120_1359:
	s_mov_b32 s0, -1
	s_mov_b32 s9, 0
.LBB120_1360:
                                        ; implicit-def: $vgpr9
.LBB120_1361:
	s_and_b32 vcc_lo, exec_lo, s12
	s_cbranch_vccz .LBB120_1365
; %bb.1362:
	v_cmp_eq_u16_e32 vcc_lo, 44, v6
	s_cbranch_vccz .LBB120_1364
; %bb.1363:
	global_load_u8 v7, v[0:1], off
	s_mov_b32 s0, 0
	s_mov_b32 s9, -1
	s_waitcnt vmcnt(0)
	v_lshlrev_b32_e32 v8, 23, v7
	v_cmp_ne_u32_e32 vcc_lo, 0xff, v7
	s_delay_alu instid0(VALU_DEP_2) | instskip(SKIP_1) | instid1(VALU_DEP_2)
	v_cndmask_b32_e32 v8, 0x7f800001, v8, vcc_lo
	v_cmp_ne_u32_e32 vcc_lo, 0, v7
	v_cndmask_b32_e32 v9, 0x400000, v8, vcc_lo
	s_branch .LBB120_1365
.LBB120_1364:
	s_mov_b32 s0, -1
                                        ; implicit-def: $vgpr9
.LBB120_1365:
	s_mov_b32 s12, 0
.LBB120_1366:
	s_delay_alu instid0(SALU_CYCLE_1)
	s_and_b32 vcc_lo, exec_lo, s12
	s_cbranch_vccz .LBB120_1370
; %bb.1367:
	v_cmp_eq_u16_e32 vcc_lo, 29, v6
	s_cbranch_vccz .LBB120_1369
; %bb.1368:
	global_load_b64 v[7:8], v[0:1], off
	s_mov_b32 s0, 0
	s_mov_b32 s9, -1
	s_mov_b32 s12, 0
	s_waitcnt vmcnt(0)
	v_clz_i32_u32_e32 v9, v8
	s_delay_alu instid0(VALU_DEP_1) | instskip(NEXT) | instid1(VALU_DEP_1)
	v_min_u32_e32 v9, 32, v9
	v_lshlrev_b64 v[7:8], v9, v[7:8]
	s_delay_alu instid0(VALU_DEP_1) | instskip(NEXT) | instid1(VALU_DEP_1)
	v_min_u32_e32 v7, 1, v7
	v_or_b32_e32 v7, v8, v7
	v_sub_nc_u32_e32 v8, 32, v9
	s_delay_alu instid0(VALU_DEP_2) | instskip(NEXT) | instid1(VALU_DEP_1)
	v_cvt_f32_u32_e32 v7, v7
	v_ldexp_f32 v9, v7, v8
	s_branch .LBB120_1371
.LBB120_1369:
	s_mov_b32 s0, -1
                                        ; implicit-def: $vgpr9
.LBB120_1370:
	s_mov_b32 s12, 0
.LBB120_1371:
	s_delay_alu instid0(SALU_CYCLE_1)
	s_and_b32 vcc_lo, exec_lo, s12
	s_cbranch_vccz .LBB120_1389
; %bb.1372:
	v_cmp_gt_i16_e32 vcc_lo, 27, v6
	s_cbranch_vccnz .LBB120_1375
; %bb.1373:
	v_cmp_lt_i16_e32 vcc_lo, 27, v6
	s_cbranch_vccz .LBB120_1376
; %bb.1374:
	global_load_b32 v7, v[0:1], off
	s_mov_b32 s9, 0
	s_waitcnt vmcnt(0)
	v_cvt_f32_u32_e32 v9, v7
	s_branch .LBB120_1377
.LBB120_1375:
	s_mov_b32 s9, -1
                                        ; implicit-def: $vgpr9
	s_branch .LBB120_1380
.LBB120_1376:
	s_mov_b32 s9, -1
                                        ; implicit-def: $vgpr9
.LBB120_1377:
	s_delay_alu instid0(SALU_CYCLE_1)
	s_and_not1_b32 vcc_lo, exec_lo, s9
	s_cbranch_vccnz .LBB120_1379
; %bb.1378:
	global_load_u16 v7, v[0:1], off
	s_waitcnt vmcnt(0)
	v_cvt_f32_u32_e32 v9, v7
.LBB120_1379:
	s_mov_b32 s9, 0
.LBB120_1380:
	s_delay_alu instid0(SALU_CYCLE_1)
	s_and_not1_b32 vcc_lo, exec_lo, s9
	s_cbranch_vccnz .LBB120_1388
; %bb.1381:
	global_load_u8 v7, v[0:1], off
	s_mov_b32 s9, 0
	s_mov_b32 s13, exec_lo
                                        ; implicit-def: $sgpr12
	s_waitcnt vmcnt(0)
	v_cmpx_lt_i16_e32 0x7f, v7
	s_xor_b32 s13, exec_lo, s13
	s_cbranch_execz .LBB120_1402
; %bb.1382:
	s_mov_b32 s9, -1
	s_mov_b32 s14, exec_lo
                                        ; implicit-def: $sgpr12
	v_cmpx_eq_u16_e32 0x80, v7
; %bb.1383:
	s_mov_b32 s12, 0x7f800001
	s_xor_b32 s9, exec_lo, -1
; %bb.1384:
	s_or_b32 exec_lo, exec_lo, s14
	s_delay_alu instid0(SALU_CYCLE_1)
	s_and_b32 s9, s9, exec_lo
	s_or_saveexec_b32 s13, s13
	v_mov_b32_e32 v9, s12
	s_xor_b32 exec_lo, exec_lo, s13
	s_cbranch_execnz .LBB120_1403
.LBB120_1385:
	s_or_b32 exec_lo, exec_lo, s13
	s_and_saveexec_b32 s12, s9
	s_cbranch_execz .LBB120_1387
.LBB120_1386:
	v_and_b32_e32 v8, 0xffff, v7
	v_lshlrev_b32_e32 v7, 24, v7
	s_delay_alu instid0(VALU_DEP_2) | instskip(NEXT) | instid1(VALU_DEP_2)
	v_and_b32_e32 v9, 7, v8
	v_and_b32_e32 v7, 0x80000000, v7
	s_delay_alu instid0(VALU_DEP_2) | instskip(NEXT) | instid1(VALU_DEP_1)
	v_clz_i32_u32_e32 v11, v9
	v_min_u32_e32 v11, 32, v11
	s_delay_alu instid0(VALU_DEP_1) | instskip(SKIP_1) | instid1(VALU_DEP_2)
	v_subrev_nc_u32_e32 v12, 28, v11
	v_sub_nc_u32_e32 v11, 29, v11
	v_lshlrev_b32_e32 v12, v12, v8
	v_bfe_u32 v8, v8, 3, 4
	s_delay_alu instid0(VALU_DEP_2) | instskip(NEXT) | instid1(VALU_DEP_2)
	v_and_b32_e32 v12, 7, v12
	v_cmp_eq_u32_e32 vcc_lo, 0, v8
	s_delay_alu instid0(VALU_DEP_2) | instskip(NEXT) | instid1(VALU_DEP_1)
	v_dual_cndmask_b32 v8, v8, v11 :: v_dual_cndmask_b32 v9, v9, v12
	v_lshl_add_u32 v8, v8, 23, 0x3b800000
	s_delay_alu instid0(VALU_DEP_2) | instskip(NEXT) | instid1(VALU_DEP_1)
	v_lshlrev_b32_e32 v9, 20, v9
	v_or3_b32 v9, v7, v8, v9
.LBB120_1387:
	s_or_b32 exec_lo, exec_lo, s12
.LBB120_1388:
	s_mov_b32 s9, -1
.LBB120_1389:
	s_mov_b32 s12, 0
.LBB120_1390:
	s_delay_alu instid0(SALU_CYCLE_1)
	s_and_b32 vcc_lo, exec_lo, s12
	s_cbranch_vccz .LBB120_1423
; %bb.1391:
	v_cmp_lt_i16_e32 vcc_lo, 22, v6
	s_cbranch_vccz .LBB120_1401
; %bb.1392:
	v_cmp_gt_i16_e32 vcc_lo, 24, v6
	s_cbranch_vccnz .LBB120_1404
; %bb.1393:
	v_cmp_lt_i16_e32 vcc_lo, 24, v6
	s_cbranch_vccz .LBB120_1405
; %bb.1394:
	global_load_u8 v7, v[0:1], off
	s_mov_b32 s12, exec_lo
                                        ; implicit-def: $sgpr9
	s_waitcnt vmcnt(0)
	v_cmpx_lt_i16_e32 0x7f, v7
	s_xor_b32 s12, exec_lo, s12
	s_cbranch_execz .LBB120_1417
; %bb.1395:
	s_mov_b32 s2, -1
	s_mov_b32 s13, exec_lo
                                        ; implicit-def: $sgpr9
	v_cmpx_eq_u16_e32 0x80, v7
; %bb.1396:
	s_mov_b32 s9, 0x7f800001
	s_xor_b32 s2, exec_lo, -1
; %bb.1397:
	s_or_b32 exec_lo, exec_lo, s13
	s_delay_alu instid0(SALU_CYCLE_1)
	s_and_b32 s2, s2, exec_lo
	s_or_saveexec_b32 s12, s12
	v_mov_b32_e32 v9, s9
	s_xor_b32 exec_lo, exec_lo, s12
	s_cbranch_execnz .LBB120_1418
.LBB120_1398:
	s_or_b32 exec_lo, exec_lo, s12
	s_and_saveexec_b32 s9, s2
	s_cbranch_execz .LBB120_1400
.LBB120_1399:
	v_and_b32_e32 v8, 0xffff, v7
	v_lshlrev_b32_e32 v7, 24, v7
	s_delay_alu instid0(VALU_DEP_2) | instskip(NEXT) | instid1(VALU_DEP_2)
	v_and_b32_e32 v9, 3, v8
	v_and_b32_e32 v7, 0x80000000, v7
	s_delay_alu instid0(VALU_DEP_2) | instskip(NEXT) | instid1(VALU_DEP_1)
	v_clz_i32_u32_e32 v11, v9
	v_min_u32_e32 v11, 32, v11
	s_delay_alu instid0(VALU_DEP_1) | instskip(SKIP_1) | instid1(VALU_DEP_2)
	v_subrev_nc_u32_e32 v12, 29, v11
	v_sub_nc_u32_e32 v11, 30, v11
	v_lshlrev_b32_e32 v12, v12, v8
	v_bfe_u32 v8, v8, 2, 5
	s_delay_alu instid0(VALU_DEP_2) | instskip(NEXT) | instid1(VALU_DEP_2)
	v_and_b32_e32 v12, 3, v12
	v_cmp_eq_u32_e32 vcc_lo, 0, v8
	s_delay_alu instid0(VALU_DEP_2) | instskip(NEXT) | instid1(VALU_DEP_1)
	v_dual_cndmask_b32 v8, v8, v11 :: v_dual_cndmask_b32 v9, v9, v12
	v_lshl_add_u32 v8, v8, 23, 0x37800000
	s_delay_alu instid0(VALU_DEP_2) | instskip(NEXT) | instid1(VALU_DEP_1)
	v_lshlrev_b32_e32 v9, 21, v9
	v_or3_b32 v9, v7, v8, v9
.LBB120_1400:
	s_or_b32 exec_lo, exec_lo, s9
	s_mov_b32 s2, 0
	s_branch .LBB120_1406
.LBB120_1401:
	s_mov_b32 s2, -1
                                        ; implicit-def: $vgpr9
	s_branch .LBB120_1412
.LBB120_1402:
	s_or_saveexec_b32 s13, s13
	v_mov_b32_e32 v9, s12
	s_xor_b32 exec_lo, exec_lo, s13
	s_cbranch_execz .LBB120_1385
.LBB120_1403:
	v_cmp_ne_u16_e32 vcc_lo, 0, v7
	v_mov_b32_e32 v9, 0
	s_and_not1_b32 s9, s9, exec_lo
	s_and_b32 s12, vcc_lo, exec_lo
	s_delay_alu instid0(SALU_CYCLE_1)
	s_or_b32 s9, s9, s12
	s_or_b32 exec_lo, exec_lo, s13
	s_and_saveexec_b32 s12, s9
	s_cbranch_execnz .LBB120_1386
	s_branch .LBB120_1387
.LBB120_1404:
	s_mov_b32 s2, -1
                                        ; implicit-def: $vgpr9
	s_branch .LBB120_1409
.LBB120_1405:
	s_mov_b32 s2, -1
                                        ; implicit-def: $vgpr9
.LBB120_1406:
	s_delay_alu instid0(SALU_CYCLE_1)
	s_and_b32 vcc_lo, exec_lo, s2
	s_cbranch_vccz .LBB120_1408
; %bb.1407:
	global_load_u8 v7, v[0:1], off
	s_waitcnt vmcnt(0)
	v_lshlrev_b32_e32 v7, 24, v7
	s_delay_alu instid0(VALU_DEP_1) | instskip(NEXT) | instid1(VALU_DEP_1)
	v_and_b32_e32 v8, 0x7f000000, v7
	v_clz_i32_u32_e32 v9, v8
	v_add_nc_u32_e32 v12, 0x1000000, v8
	v_cmp_ne_u32_e32 vcc_lo, 0, v8
	s_delay_alu instid0(VALU_DEP_3) | instskip(NEXT) | instid1(VALU_DEP_1)
	v_min_u32_e32 v9, 32, v9
	v_sub_nc_u32_e64 v9, v9, 4 clamp
	s_delay_alu instid0(VALU_DEP_1) | instskip(SKIP_1) | instid1(VALU_DEP_2)
	v_lshlrev_b32_e32 v11, v9, v8
	v_lshlrev_b32_e32 v9, 23, v9
	v_lshrrev_b32_e32 v11, 4, v11
	s_delay_alu instid0(VALU_DEP_1) | instskip(SKIP_1) | instid1(VALU_DEP_2)
	v_sub_nc_u32_e32 v9, v11, v9
	v_ashrrev_i32_e32 v11, 8, v12
	v_add_nc_u32_e32 v9, 0x3c000000, v9
	s_delay_alu instid0(VALU_DEP_1) | instskip(NEXT) | instid1(VALU_DEP_1)
	v_and_or_b32 v9, 0x7f800000, v11, v9
	v_cndmask_b32_e32 v8, 0, v9, vcc_lo
	s_delay_alu instid0(VALU_DEP_1)
	v_and_or_b32 v9, 0x80000000, v7, v8
.LBB120_1408:
	s_mov_b32 s2, 0
.LBB120_1409:
	s_delay_alu instid0(SALU_CYCLE_1)
	s_and_not1_b32 vcc_lo, exec_lo, s2
	s_cbranch_vccnz .LBB120_1411
; %bb.1410:
	global_load_u8 v7, v[0:1], off
	s_waitcnt vmcnt(0)
	v_lshlrev_b32_e32 v8, 25, v7
	v_lshlrev_b16 v7, 8, v7
	s_delay_alu instid0(VALU_DEP_2) | instskip(NEXT) | instid1(VALU_DEP_2)
	v_lshrrev_b32_e32 v9, 4, v8
	v_and_or_b32 v11, 0x7f00, v7, 0.5
	v_bfe_i32 v7, v7, 0, 16
	s_delay_alu instid0(VALU_DEP_3) | instskip(NEXT) | instid1(VALU_DEP_3)
	v_or_b32_e32 v9, 0x70000000, v9
	v_add_f32_e32 v11, -0.5, v11
	s_delay_alu instid0(VALU_DEP_2) | instskip(SKIP_1) | instid1(VALU_DEP_2)
	v_mul_f32_e32 v9, 0x7800000, v9
	v_cmp_gt_u32_e32 vcc_lo, 0x8000000, v8
	v_cndmask_b32_e32 v8, v9, v11, vcc_lo
	s_delay_alu instid0(VALU_DEP_1)
	v_and_or_b32 v9, 0x80000000, v7, v8
.LBB120_1411:
	s_mov_b32 s2, 0
	s_mov_b32 s9, -1
.LBB120_1412:
	s_and_not1_b32 vcc_lo, exec_lo, s2
	s_mov_b32 s2, 0
	s_cbranch_vccnz .LBB120_1423
; %bb.1413:
	v_cmp_lt_i16_e32 vcc_lo, 14, v6
	s_cbranch_vccz .LBB120_1416
; %bb.1414:
	v_cmp_eq_u16_e32 vcc_lo, 15, v6
	s_cbranch_vccz .LBB120_1419
; %bb.1415:
	global_load_u16 v7, v[0:1], off
	s_mov_b32 s0, 0
	s_mov_b32 s9, -1
	s_waitcnt vmcnt(0)
	v_lshlrev_b32_e32 v9, 16, v7
	s_branch .LBB120_1421
.LBB120_1416:
	s_mov_b32 s2, -1
	s_branch .LBB120_1420
.LBB120_1417:
	s_or_saveexec_b32 s12, s12
	v_mov_b32_e32 v9, s9
	s_xor_b32 exec_lo, exec_lo, s12
	s_cbranch_execz .LBB120_1398
.LBB120_1418:
	v_cmp_ne_u16_e32 vcc_lo, 0, v7
	v_mov_b32_e32 v9, 0
	s_and_not1_b32 s2, s2, exec_lo
	s_and_b32 s9, vcc_lo, exec_lo
	s_delay_alu instid0(SALU_CYCLE_1)
	s_or_b32 s2, s2, s9
	s_or_b32 exec_lo, exec_lo, s12
	s_and_saveexec_b32 s9, s2
	s_cbranch_execnz .LBB120_1399
	s_branch .LBB120_1400
.LBB120_1419:
	s_mov_b32 s0, -1
.LBB120_1420:
                                        ; implicit-def: $vgpr9
.LBB120_1421:
	s_and_b32 vcc_lo, exec_lo, s2
	s_mov_b32 s2, 0
	s_cbranch_vccz .LBB120_1423
; %bb.1422:
	v_cmp_ne_u16_e64 s0, 11, v6
	s_mov_b32 s2, -1
                                        ; implicit-def: $vgpr9
.LBB120_1423:
	s_delay_alu instid0(VALU_DEP_1)
	s_and_b32 vcc_lo, exec_lo, s0
	s_cbranch_vccnz .LBB120_1439
; %bb.1424:
	s_and_not1_b32 vcc_lo, exec_lo, s2
	s_cbranch_vccnz .LBB120_1426
.LBB120_1425:
	global_load_u8 v7, v[0:1], off
	s_mov_b32 s9, -1
	s_waitcnt vmcnt(0)
	v_cmp_ne_u16_e32 vcc_lo, 0, v7
	v_cndmask_b32_e64 v9, 0, 1.0, vcc_lo
.LBB120_1426:
.LBB120_1427:
	s_and_not1_b32 vcc_lo, exec_lo, s9
	s_cbranch_vccnz .LBB120_1995
.LBB120_1428:
	v_add_nc_u32_e32 v0, s1, v3
	v_cmp_gt_i16_e32 vcc_lo, 11, v6
	s_delay_alu instid0(VALU_DEP_2) | instskip(SKIP_1) | instid1(VALU_DEP_1)
	v_ashrrev_i32_e32 v1, 31, v0
	v_add_co_u32 v0, s0, s6, v0
	v_add_co_ci_u32_e64 v1, s0, s7, v1, s0
	s_cbranch_vccnz .LBB120_1435
; %bb.1429:
	v_cmp_lt_i16_e32 vcc_lo, 25, v6
	s_mov_b32 s1, 0
	s_cbranch_vccz .LBB120_1436
; %bb.1430:
	v_cmp_lt_i16_e32 vcc_lo, 28, v6
	s_cbranch_vccz .LBB120_1437
; %bb.1431:
	v_cmp_lt_i16_e32 vcc_lo, 43, v6
	;; [unrolled: 3-line block ×3, first 2 shown]
	s_cbranch_vccz .LBB120_1441
; %bb.1433:
	v_cmp_eq_u16_e32 vcc_lo, 46, v6
	s_mov_b32 s6, 0
	s_cbranch_vccz .LBB120_1444
; %bb.1434:
	global_load_b32 v3, v[0:1], off
	s_mov_b32 s0, 0
	s_mov_b32 s2, -1
	s_waitcnt vmcnt(0)
	v_lshlrev_b32_e32 v8, 16, v3
	s_branch .LBB120_1446
.LBB120_1435:
	s_mov_b32 s0, -1
	s_mov_b32 s2, 0
                                        ; implicit-def: $vgpr8
	s_branch .LBB120_1512
.LBB120_1436:
	s_mov_b32 s6, -1
	s_mov_b32 s2, 0
	s_mov_b32 s0, 0
                                        ; implicit-def: $vgpr8
	s_branch .LBB120_1475
.LBB120_1437:
	s_mov_b32 s6, -1
	s_mov_b32 s2, 0
	s_mov_b32 s0, 0
                                        ; implicit-def: $vgpr8
	s_branch .LBB120_1456
.LBB120_1438:
	s_mov_b32 s6, -1
	s_mov_b32 s2, 0
	s_mov_b32 s0, 0
                                        ; implicit-def: $vgpr8
	s_branch .LBB120_1451
.LBB120_1439:
	s_cbranch_execnz .LBB120_1442
; %bb.1440:
	s_or_b32 s3, s3, exec_lo
                                        ; implicit-def: $vgpr9
	s_cbranch_execz .LBB120_1425
	s_branch .LBB120_1426
.LBB120_1441:
	s_mov_b32 s6, -1
	s_mov_b32 s2, 0
	s_mov_b32 s0, 0
	s_branch .LBB120_1445
.LBB120_1442:
	s_trap 2
	s_sendmsg_rtn_b32 s0, sendmsg(MSG_RTN_GET_DOORBELL)
	s_mov_b32 ttmp2, m0
	s_waitcnt lgkmcnt(0)
	s_and_b32 s0, s0, 0x3ff
	s_delay_alu instid0(SALU_CYCLE_1) | instskip(NEXT) | instid1(SALU_CYCLE_1)
	s_bitset1_b32 s0, 10
	s_mov_b32 m0, s0
	s_sendmsg sendmsg(MSG_INTERRUPT)
	s_mov_b32 m0, ttmp2
.LBB120_1443:                           ; =>This Inner Loop Header: Depth=1
	s_sethalt 5
	s_branch .LBB120_1443
.LBB120_1444:
	s_mov_b32 s0, -1
	s_mov_b32 s2, 0
.LBB120_1445:
                                        ; implicit-def: $vgpr8
.LBB120_1446:
	s_and_b32 vcc_lo, exec_lo, s6
	s_cbranch_vccz .LBB120_1450
; %bb.1447:
	v_cmp_eq_u16_e32 vcc_lo, 44, v6
	s_cbranch_vccz .LBB120_1449
; %bb.1448:
	global_load_u8 v3, v[0:1], off
	s_mov_b32 s0, 0
	s_mov_b32 s2, -1
	s_waitcnt vmcnt(0)
	v_lshlrev_b32_e32 v7, 23, v3
	v_cmp_ne_u32_e32 vcc_lo, 0xff, v3
	s_delay_alu instid0(VALU_DEP_2) | instskip(SKIP_1) | instid1(VALU_DEP_2)
	v_cndmask_b32_e32 v7, 0x7f800001, v7, vcc_lo
	v_cmp_ne_u32_e32 vcc_lo, 0, v3
	v_cndmask_b32_e32 v8, 0x400000, v7, vcc_lo
	s_branch .LBB120_1450
.LBB120_1449:
	s_mov_b32 s0, -1
                                        ; implicit-def: $vgpr8
.LBB120_1450:
	s_mov_b32 s6, 0
.LBB120_1451:
	s_delay_alu instid0(SALU_CYCLE_1)
	s_and_b32 vcc_lo, exec_lo, s6
	s_cbranch_vccz .LBB120_1455
; %bb.1452:
	v_cmp_eq_u16_e32 vcc_lo, 29, v6
	s_cbranch_vccz .LBB120_1454
; %bb.1453:
	global_load_b64 v[7:8], v[0:1], off
	s_mov_b32 s0, 0
	s_mov_b32 s2, -1
	s_mov_b32 s6, 0
	s_waitcnt vmcnt(0)
	v_clz_i32_u32_e32 v3, v8
	s_delay_alu instid0(VALU_DEP_1) | instskip(NEXT) | instid1(VALU_DEP_1)
	v_min_u32_e32 v3, 32, v3
	v_lshlrev_b64 v[7:8], v3, v[7:8]
	v_sub_nc_u32_e32 v3, 32, v3
	s_delay_alu instid0(VALU_DEP_2) | instskip(NEXT) | instid1(VALU_DEP_1)
	v_min_u32_e32 v7, 1, v7
	v_or_b32_e32 v7, v8, v7
	s_delay_alu instid0(VALU_DEP_1) | instskip(NEXT) | instid1(VALU_DEP_1)
	v_cvt_f32_u32_e32 v7, v7
	v_ldexp_f32 v8, v7, v3
	s_branch .LBB120_1456
.LBB120_1454:
	s_mov_b32 s0, -1
                                        ; implicit-def: $vgpr8
.LBB120_1455:
	s_mov_b32 s6, 0
.LBB120_1456:
	s_delay_alu instid0(SALU_CYCLE_1)
	s_and_b32 vcc_lo, exec_lo, s6
	s_cbranch_vccz .LBB120_1474
; %bb.1457:
	v_cmp_gt_i16_e32 vcc_lo, 27, v6
	s_cbranch_vccnz .LBB120_1460
; %bb.1458:
	v_cmp_lt_i16_e32 vcc_lo, 27, v6
	s_cbranch_vccz .LBB120_1461
; %bb.1459:
	global_load_b32 v3, v[0:1], off
	s_mov_b32 s2, 0
	s_waitcnt vmcnt(0)
	v_cvt_f32_u32_e32 v8, v3
	s_branch .LBB120_1462
.LBB120_1460:
	s_mov_b32 s2, -1
                                        ; implicit-def: $vgpr8
	s_branch .LBB120_1465
.LBB120_1461:
	s_mov_b32 s2, -1
                                        ; implicit-def: $vgpr8
.LBB120_1462:
	s_delay_alu instid0(SALU_CYCLE_1)
	s_and_not1_b32 vcc_lo, exec_lo, s2
	s_cbranch_vccnz .LBB120_1464
; %bb.1463:
	global_load_u16 v3, v[0:1], off
	s_waitcnt vmcnt(0)
	v_cvt_f32_u32_e32 v8, v3
.LBB120_1464:
	s_mov_b32 s2, 0
.LBB120_1465:
	s_delay_alu instid0(SALU_CYCLE_1)
	s_and_not1_b32 vcc_lo, exec_lo, s2
	s_cbranch_vccnz .LBB120_1473
; %bb.1466:
	global_load_u8 v3, v[0:1], off
	s_mov_b32 s2, 0
	s_mov_b32 s7, exec_lo
                                        ; implicit-def: $sgpr6
	s_waitcnt vmcnt(0)
	v_cmpx_lt_i16_e32 0x7f, v3
	s_xor_b32 s7, exec_lo, s7
	s_cbranch_execz .LBB120_1487
; %bb.1467:
	s_mov_b32 s2, -1
	s_mov_b32 s9, exec_lo
                                        ; implicit-def: $sgpr6
	v_cmpx_eq_u16_e32 0x80, v3
; %bb.1468:
	s_mov_b32 s6, 0x7f800001
	s_xor_b32 s2, exec_lo, -1
; %bb.1469:
	s_or_b32 exec_lo, exec_lo, s9
	s_delay_alu instid0(SALU_CYCLE_1)
	s_and_b32 s2, s2, exec_lo
	s_or_saveexec_b32 s7, s7
	v_mov_b32_e32 v8, s6
	s_xor_b32 exec_lo, exec_lo, s7
	s_cbranch_execnz .LBB120_1488
.LBB120_1470:
	s_or_b32 exec_lo, exec_lo, s7
	s_and_saveexec_b32 s6, s2
	s_cbranch_execz .LBB120_1472
.LBB120_1471:
	v_and_b32_e32 v7, 0xffff, v3
	v_lshlrev_b32_e32 v3, 24, v3
	s_delay_alu instid0(VALU_DEP_2) | instskip(NEXT) | instid1(VALU_DEP_2)
	v_and_b32_e32 v8, 7, v7
	v_and_b32_e32 v3, 0x80000000, v3
	s_delay_alu instid0(VALU_DEP_2) | instskip(NEXT) | instid1(VALU_DEP_1)
	v_clz_i32_u32_e32 v11, v8
	v_min_u32_e32 v11, 32, v11
	s_delay_alu instid0(VALU_DEP_1) | instskip(SKIP_1) | instid1(VALU_DEP_2)
	v_subrev_nc_u32_e32 v12, 28, v11
	v_sub_nc_u32_e32 v11, 29, v11
	v_lshlrev_b32_e32 v12, v12, v7
	v_bfe_u32 v7, v7, 3, 4
	s_delay_alu instid0(VALU_DEP_1) | instskip(NEXT) | instid1(VALU_DEP_3)
	v_cmp_eq_u32_e32 vcc_lo, 0, v7
	v_dual_cndmask_b32 v7, v7, v11 :: v_dual_and_b32 v12, 7, v12
	s_delay_alu instid0(VALU_DEP_1) | instskip(NEXT) | instid1(VALU_DEP_2)
	v_cndmask_b32_e32 v8, v8, v12, vcc_lo
	v_lshl_add_u32 v7, v7, 23, 0x3b800000
	s_delay_alu instid0(VALU_DEP_2) | instskip(NEXT) | instid1(VALU_DEP_1)
	v_lshlrev_b32_e32 v8, 20, v8
	v_or3_b32 v8, v3, v7, v8
.LBB120_1472:
	s_or_b32 exec_lo, exec_lo, s6
.LBB120_1473:
	s_mov_b32 s2, -1
.LBB120_1474:
	s_mov_b32 s6, 0
.LBB120_1475:
	s_delay_alu instid0(SALU_CYCLE_1)
	s_and_b32 vcc_lo, exec_lo, s6
	s_cbranch_vccz .LBB120_1508
; %bb.1476:
	v_cmp_lt_i16_e32 vcc_lo, 22, v6
	s_cbranch_vccz .LBB120_1486
; %bb.1477:
	v_cmp_gt_i16_e32 vcc_lo, 24, v6
	s_cbranch_vccnz .LBB120_1489
; %bb.1478:
	v_cmp_lt_i16_e32 vcc_lo, 24, v6
	s_cbranch_vccz .LBB120_1490
; %bb.1479:
	global_load_u8 v3, v[0:1], off
	s_mov_b32 s6, exec_lo
                                        ; implicit-def: $sgpr2
	s_waitcnt vmcnt(0)
	v_cmpx_lt_i16_e32 0x7f, v3
	s_xor_b32 s6, exec_lo, s6
	s_cbranch_execz .LBB120_1502
; %bb.1480:
	s_mov_b32 s1, -1
	s_mov_b32 s7, exec_lo
                                        ; implicit-def: $sgpr2
	v_cmpx_eq_u16_e32 0x80, v3
; %bb.1481:
	s_mov_b32 s2, 0x7f800001
	s_xor_b32 s1, exec_lo, -1
; %bb.1482:
	s_or_b32 exec_lo, exec_lo, s7
	s_delay_alu instid0(SALU_CYCLE_1)
	s_and_b32 s1, s1, exec_lo
	s_or_saveexec_b32 s6, s6
	v_mov_b32_e32 v8, s2
	s_xor_b32 exec_lo, exec_lo, s6
	s_cbranch_execnz .LBB120_1503
.LBB120_1483:
	s_or_b32 exec_lo, exec_lo, s6
	s_and_saveexec_b32 s2, s1
	s_cbranch_execz .LBB120_1485
.LBB120_1484:
	v_and_b32_e32 v7, 0xffff, v3
	v_lshlrev_b32_e32 v3, 24, v3
	s_delay_alu instid0(VALU_DEP_2) | instskip(NEXT) | instid1(VALU_DEP_2)
	v_and_b32_e32 v8, 3, v7
	v_and_b32_e32 v3, 0x80000000, v3
	s_delay_alu instid0(VALU_DEP_2) | instskip(NEXT) | instid1(VALU_DEP_1)
	v_clz_i32_u32_e32 v11, v8
	v_min_u32_e32 v11, 32, v11
	s_delay_alu instid0(VALU_DEP_1) | instskip(SKIP_1) | instid1(VALU_DEP_2)
	v_subrev_nc_u32_e32 v12, 29, v11
	v_sub_nc_u32_e32 v11, 30, v11
	v_lshlrev_b32_e32 v12, v12, v7
	v_bfe_u32 v7, v7, 2, 5
	s_delay_alu instid0(VALU_DEP_1) | instskip(NEXT) | instid1(VALU_DEP_3)
	v_cmp_eq_u32_e32 vcc_lo, 0, v7
	v_dual_cndmask_b32 v7, v7, v11 :: v_dual_and_b32 v12, 3, v12
	s_delay_alu instid0(VALU_DEP_1) | instskip(NEXT) | instid1(VALU_DEP_2)
	v_cndmask_b32_e32 v8, v8, v12, vcc_lo
	v_lshl_add_u32 v7, v7, 23, 0x37800000
	s_delay_alu instid0(VALU_DEP_2) | instskip(NEXT) | instid1(VALU_DEP_1)
	v_lshlrev_b32_e32 v8, 21, v8
	v_or3_b32 v8, v3, v7, v8
.LBB120_1485:
	s_or_b32 exec_lo, exec_lo, s2
	s_mov_b32 s1, 0
	s_branch .LBB120_1491
.LBB120_1486:
	s_mov_b32 s1, -1
                                        ; implicit-def: $vgpr8
	s_branch .LBB120_1497
.LBB120_1487:
	s_or_saveexec_b32 s7, s7
	v_mov_b32_e32 v8, s6
	s_xor_b32 exec_lo, exec_lo, s7
	s_cbranch_execz .LBB120_1470
.LBB120_1488:
	v_cmp_ne_u16_e32 vcc_lo, 0, v3
	v_mov_b32_e32 v8, 0
	s_and_not1_b32 s2, s2, exec_lo
	s_and_b32 s6, vcc_lo, exec_lo
	s_delay_alu instid0(SALU_CYCLE_1)
	s_or_b32 s2, s2, s6
	s_or_b32 exec_lo, exec_lo, s7
	s_and_saveexec_b32 s6, s2
	s_cbranch_execnz .LBB120_1471
	s_branch .LBB120_1472
.LBB120_1489:
	s_mov_b32 s1, -1
                                        ; implicit-def: $vgpr8
	s_branch .LBB120_1494
.LBB120_1490:
	s_mov_b32 s1, -1
                                        ; implicit-def: $vgpr8
.LBB120_1491:
	s_delay_alu instid0(SALU_CYCLE_1)
	s_and_b32 vcc_lo, exec_lo, s1
	s_cbranch_vccz .LBB120_1493
; %bb.1492:
	global_load_u8 v3, v[0:1], off
	s_waitcnt vmcnt(0)
	v_lshlrev_b32_e32 v3, 24, v3
	s_delay_alu instid0(VALU_DEP_1) | instskip(NEXT) | instid1(VALU_DEP_1)
	v_and_b32_e32 v7, 0x7f000000, v3
	v_clz_i32_u32_e32 v8, v7
	v_cmp_ne_u32_e32 vcc_lo, 0, v7
	v_add_nc_u32_e32 v12, 0x1000000, v7
	s_delay_alu instid0(VALU_DEP_3) | instskip(NEXT) | instid1(VALU_DEP_1)
	v_min_u32_e32 v8, 32, v8
	v_sub_nc_u32_e64 v8, v8, 4 clamp
	s_delay_alu instid0(VALU_DEP_1) | instskip(SKIP_1) | instid1(VALU_DEP_2)
	v_lshlrev_b32_e32 v11, v8, v7
	v_lshlrev_b32_e32 v8, 23, v8
	v_lshrrev_b32_e32 v11, 4, v11
	s_delay_alu instid0(VALU_DEP_1) | instskip(SKIP_1) | instid1(VALU_DEP_2)
	v_sub_nc_u32_e32 v8, v11, v8
	v_ashrrev_i32_e32 v11, 8, v12
	v_add_nc_u32_e32 v8, 0x3c000000, v8
	s_delay_alu instid0(VALU_DEP_1) | instskip(NEXT) | instid1(VALU_DEP_1)
	v_and_or_b32 v8, 0x7f800000, v11, v8
	v_cndmask_b32_e32 v7, 0, v8, vcc_lo
	s_delay_alu instid0(VALU_DEP_1)
	v_and_or_b32 v8, 0x80000000, v3, v7
.LBB120_1493:
	s_mov_b32 s1, 0
.LBB120_1494:
	s_delay_alu instid0(SALU_CYCLE_1)
	s_and_not1_b32 vcc_lo, exec_lo, s1
	s_cbranch_vccnz .LBB120_1496
; %bb.1495:
	global_load_u8 v3, v[0:1], off
	s_waitcnt vmcnt(0)
	v_lshlrev_b32_e32 v7, 25, v3
	v_lshlrev_b16 v3, 8, v3
	s_delay_alu instid0(VALU_DEP_2) | instskip(NEXT) | instid1(VALU_DEP_2)
	v_lshrrev_b32_e32 v8, 4, v7
	v_and_or_b32 v11, 0x7f00, v3, 0.5
	v_bfe_i32 v3, v3, 0, 16
	s_delay_alu instid0(VALU_DEP_3) | instskip(NEXT) | instid1(VALU_DEP_1)
	v_or_b32_e32 v8, 0x70000000, v8
	v_dual_add_f32 v11, -0.5, v11 :: v_dual_mul_f32 v8, 0x7800000, v8
	v_cmp_gt_u32_e32 vcc_lo, 0x8000000, v7
	s_delay_alu instid0(VALU_DEP_2) | instskip(NEXT) | instid1(VALU_DEP_1)
	v_cndmask_b32_e32 v7, v8, v11, vcc_lo
	v_and_or_b32 v8, 0x80000000, v3, v7
.LBB120_1496:
	s_mov_b32 s1, 0
	s_mov_b32 s2, -1
.LBB120_1497:
	s_and_not1_b32 vcc_lo, exec_lo, s1
	s_mov_b32 s1, 0
	s_cbranch_vccnz .LBB120_1508
; %bb.1498:
	v_cmp_lt_i16_e32 vcc_lo, 14, v6
	s_cbranch_vccz .LBB120_1501
; %bb.1499:
	v_cmp_eq_u16_e32 vcc_lo, 15, v6
	s_cbranch_vccz .LBB120_1504
; %bb.1500:
	global_load_u16 v3, v[0:1], off
	s_mov_b32 s0, 0
	s_mov_b32 s2, -1
	s_waitcnt vmcnt(0)
	v_lshlrev_b32_e32 v8, 16, v3
	s_branch .LBB120_1506
.LBB120_1501:
	s_mov_b32 s1, -1
	s_branch .LBB120_1505
.LBB120_1502:
	s_or_saveexec_b32 s6, s6
	v_mov_b32_e32 v8, s2
	s_xor_b32 exec_lo, exec_lo, s6
	s_cbranch_execz .LBB120_1483
.LBB120_1503:
	v_cmp_ne_u16_e32 vcc_lo, 0, v3
	v_mov_b32_e32 v8, 0
	s_and_not1_b32 s1, s1, exec_lo
	s_and_b32 s2, vcc_lo, exec_lo
	s_delay_alu instid0(SALU_CYCLE_1)
	s_or_b32 s1, s1, s2
	s_or_b32 exec_lo, exec_lo, s6
	s_and_saveexec_b32 s2, s1
	s_cbranch_execnz .LBB120_1484
	s_branch .LBB120_1485
.LBB120_1504:
	s_mov_b32 s0, -1
.LBB120_1505:
                                        ; implicit-def: $vgpr8
.LBB120_1506:
	s_and_b32 vcc_lo, exec_lo, s1
	s_mov_b32 s1, 0
	s_cbranch_vccz .LBB120_1508
; %bb.1507:
	v_cmp_ne_u16_e64 s0, 11, v6
	s_mov_b32 s1, -1
                                        ; implicit-def: $vgpr8
.LBB120_1508:
	s_delay_alu instid0(VALU_DEP_1)
	s_and_b32 vcc_lo, exec_lo, s0
	s_cbranch_vccnz .LBB120_2041
; %bb.1509:
	s_and_not1_b32 vcc_lo, exec_lo, s1
	s_cbranch_vccnz .LBB120_1511
.LBB120_1510:
	global_load_u8 v3, v[0:1], off
	s_mov_b32 s2, -1
	s_waitcnt vmcnt(0)
	v_cmp_ne_u16_e32 vcc_lo, 0, v3
	v_cndmask_b32_e64 v8, 0, 1.0, vcc_lo
.LBB120_1511:
	s_mov_b32 s0, 0
.LBB120_1512:
	s_delay_alu instid0(SALU_CYCLE_1)
	s_and_b32 vcc_lo, exec_lo, s0
	s_cbranch_vccz .LBB120_1561
; %bb.1513:
	v_cmp_gt_i16_e32 vcc_lo, 5, v6
	s_cbranch_vccnz .LBB120_1518
; %bb.1514:
	v_cmp_gt_i16_e32 vcc_lo, 8, v6
	s_cbranch_vccnz .LBB120_1519
	;; [unrolled: 3-line block ×3, first 2 shown]
; %bb.1516:
	v_cmp_lt_i16_e32 vcc_lo, 9, v6
	s_cbranch_vccz .LBB120_1521
; %bb.1517:
	global_load_b64 v[7:8], v[0:1], off
	s_mov_b32 s0, 0
	s_waitcnt vmcnt(0)
	v_cvt_f32_f64_e32 v8, v[7:8]
	s_branch .LBB120_1522
.LBB120_1518:
	s_mov_b32 s0, -1
                                        ; implicit-def: $vgpr8
	s_branch .LBB120_1540
.LBB120_1519:
	s_mov_b32 s0, -1
                                        ; implicit-def: $vgpr8
	s_branch .LBB120_1528
.LBB120_1520:
	s_mov_b32 s0, -1
                                        ; implicit-def: $vgpr8
	s_branch .LBB120_1525
.LBB120_1521:
	s_mov_b32 s0, -1
                                        ; implicit-def: $vgpr8
.LBB120_1522:
	s_delay_alu instid0(SALU_CYCLE_1)
	s_and_not1_b32 vcc_lo, exec_lo, s0
	s_cbranch_vccnz .LBB120_1524
; %bb.1523:
	global_load_b32 v8, v[0:1], off
.LBB120_1524:
	s_mov_b32 s0, 0
.LBB120_1525:
	s_delay_alu instid0(SALU_CYCLE_1)
	s_and_not1_b32 vcc_lo, exec_lo, s0
	s_cbranch_vccnz .LBB120_1527
; %bb.1526:
	global_load_b32 v3, v[0:1], off
	s_waitcnt vmcnt(0)
	v_cvt_f32_f16_e32 v8, v3
.LBB120_1527:
	s_mov_b32 s0, 0
.LBB120_1528:
	s_delay_alu instid0(SALU_CYCLE_1)
	s_and_not1_b32 vcc_lo, exec_lo, s0
	s_cbranch_vccnz .LBB120_1539
; %bb.1529:
	v_cmp_gt_i16_e32 vcc_lo, 6, v6
	s_cbranch_vccnz .LBB120_1532
; %bb.1530:
	v_cmp_lt_i16_e32 vcc_lo, 6, v6
	s_cbranch_vccz .LBB120_1533
; %bb.1531:
	global_load_b64 v[7:8], v[0:1], off
	s_mov_b32 s0, 0
	s_waitcnt vmcnt(0)
	v_cvt_f32_f64_e32 v8, v[7:8]
	s_branch .LBB120_1534
.LBB120_1532:
	s_mov_b32 s0, -1
                                        ; implicit-def: $vgpr8
	s_branch .LBB120_1537
.LBB120_1533:
	s_mov_b32 s0, -1
                                        ; implicit-def: $vgpr8
.LBB120_1534:
	s_delay_alu instid0(SALU_CYCLE_1)
	s_and_not1_b32 vcc_lo, exec_lo, s0
	s_cbranch_vccnz .LBB120_1536
; %bb.1535:
	global_load_b32 v8, v[0:1], off
.LBB120_1536:
	s_mov_b32 s0, 0
.LBB120_1537:
	s_delay_alu instid0(SALU_CYCLE_1)
	s_and_not1_b32 vcc_lo, exec_lo, s0
	s_cbranch_vccnz .LBB120_1539
; %bb.1538:
	global_load_u16 v3, v[0:1], off
	s_waitcnt vmcnt(0)
	v_cvt_f32_f16_e32 v8, v3
.LBB120_1539:
	s_mov_b32 s0, 0
.LBB120_1540:
	s_delay_alu instid0(SALU_CYCLE_1)
	s_and_not1_b32 vcc_lo, exec_lo, s0
	s_cbranch_vccnz .LBB120_1560
; %bb.1541:
	v_cmp_gt_i16_e32 vcc_lo, 2, v6
	s_cbranch_vccnz .LBB120_1545
; %bb.1542:
	v_cmp_gt_i16_e32 vcc_lo, 3, v6
	s_cbranch_vccnz .LBB120_1546
; %bb.1543:
	v_cmp_lt_i16_e32 vcc_lo, 3, v6
	s_cbranch_vccz .LBB120_1547
; %bb.1544:
	global_load_b64 v[7:8], v[0:1], off
	s_mov_b32 s0, 0
	s_waitcnt vmcnt(0)
	v_xor_b32_e32 v3, v7, v8
	v_cls_i32_e32 v11, v8
	s_delay_alu instid0(VALU_DEP_2) | instskip(NEXT) | instid1(VALU_DEP_2)
	v_ashrrev_i32_e32 v3, 31, v3
	v_add_nc_u32_e32 v11, -1, v11
	s_delay_alu instid0(VALU_DEP_2) | instskip(NEXT) | instid1(VALU_DEP_1)
	v_add_nc_u32_e32 v3, 32, v3
	v_min_u32_e32 v3, v11, v3
	s_delay_alu instid0(VALU_DEP_1) | instskip(SKIP_1) | instid1(VALU_DEP_2)
	v_lshlrev_b64 v[7:8], v3, v[7:8]
	v_sub_nc_u32_e32 v3, 32, v3
	v_min_u32_e32 v7, 1, v7
	s_delay_alu instid0(VALU_DEP_1) | instskip(NEXT) | instid1(VALU_DEP_1)
	v_or_b32_e32 v7, v8, v7
	v_cvt_f32_i32_e32 v7, v7
	s_delay_alu instid0(VALU_DEP_1)
	v_ldexp_f32 v8, v7, v3
	s_branch .LBB120_1548
.LBB120_1545:
	s_mov_b32 s0, -1
                                        ; implicit-def: $vgpr8
	s_branch .LBB120_1554
.LBB120_1546:
	s_mov_b32 s0, -1
                                        ; implicit-def: $vgpr8
	s_branch .LBB120_1551
.LBB120_1547:
	s_mov_b32 s0, -1
                                        ; implicit-def: $vgpr8
.LBB120_1548:
	s_delay_alu instid0(SALU_CYCLE_1)
	s_and_not1_b32 vcc_lo, exec_lo, s0
	s_cbranch_vccnz .LBB120_1550
; %bb.1549:
	global_load_b32 v3, v[0:1], off
	s_waitcnt vmcnt(0)
	v_cvt_f32_i32_e32 v8, v3
.LBB120_1550:
	s_mov_b32 s0, 0
.LBB120_1551:
	s_delay_alu instid0(SALU_CYCLE_1)
	s_and_not1_b32 vcc_lo, exec_lo, s0
	s_cbranch_vccnz .LBB120_1553
; %bb.1552:
	global_load_i16 v3, v[0:1], off
	s_waitcnt vmcnt(0)
	v_cvt_f32_i32_e32 v8, v3
.LBB120_1553:
	s_mov_b32 s0, 0
.LBB120_1554:
	s_delay_alu instid0(SALU_CYCLE_1)
	s_and_not1_b32 vcc_lo, exec_lo, s0
	s_cbranch_vccnz .LBB120_1560
; %bb.1555:
	v_cmp_lt_i16_e32 vcc_lo, 0, v6
	s_mov_b32 s0, 0
	s_cbranch_vccz .LBB120_1557
; %bb.1556:
	global_load_i8 v3, v[0:1], off
	s_waitcnt vmcnt(0)
	v_cvt_f32_i32_e32 v8, v3
	s_branch .LBB120_1558
.LBB120_1557:
	s_mov_b32 s0, -1
                                        ; implicit-def: $vgpr8
.LBB120_1558:
	s_delay_alu instid0(SALU_CYCLE_1)
	s_and_not1_b32 vcc_lo, exec_lo, s0
	s_cbranch_vccnz .LBB120_1560
; %bb.1559:
	global_load_u8 v0, v[0:1], off
	s_waitcnt vmcnt(0)
	v_cvt_f32_ubyte0_e32 v8, v0
.LBB120_1560:
	s_mov_b32 s2, -1
.LBB120_1561:
	s_delay_alu instid0(SALU_CYCLE_1)
	s_and_not1_b32 vcc_lo, exec_lo, s2
	s_cbranch_vccnz .LBB120_1995
; %bb.1562:
	s_waitcnt vmcnt(0)
	v_mul_f32_e32 v0, 0x3fb8aa3b, v2
	s_mov_b32 s0, 0x395133b1
	v_mul_lo_u32 v5, s8, v5
	v_and_b32_e32 v7, 0xff, v4
	s_delay_alu instid0(VALU_DEP_3) | instskip(NEXT) | instid1(VALU_DEP_1)
	v_rndne_f32_e32 v0, v0
	v_fmamk_f32 v1, v0, 0xbf317218, v2
	v_cvt_i32_f32_e32 v6, v0
	v_cmp_eq_f32_e32 vcc_lo, 0x43000000, v0
	s_delay_alu instid0(VALU_DEP_3) | instskip(NEXT) | instid1(VALU_DEP_3)
	v_fmamk_f32 v1, v0, 0x3102e308, v1
	v_cndmask_b32_e64 v0, v6, 0x7f, vcc_lo
	s_delay_alu instid0(VALU_DEP_2) | instskip(SKIP_1) | instid1(VALU_DEP_3)
	v_fmaak_f32 v3, s0, v1, 0x3ab69700
	v_cmp_lt_f32_e64 s0, 0x42b17217, v2
	v_ldexp_f32 v0, 1.0, v0
	s_delay_alu instid0(VALU_DEP_1) | instskip(NEXT) | instid1(VALU_DEP_1)
	v_dual_add_f32 v6, -1.0, v0 :: v_dual_fmaak_f32 v3, v1, v3, 0x3c0887f9
	v_fmaak_f32 v3, v1, v3, 0x3d2aaa81
	s_delay_alu instid0(VALU_DEP_1) | instskip(NEXT) | instid1(VALU_DEP_1)
	v_fmaak_f32 v3, v1, v3, 0x3e2aaaab
	v_fma_f32 v3, v1, v3, 0.5
	s_delay_alu instid0(VALU_DEP_1) | instskip(NEXT) | instid1(VALU_DEP_1)
	v_mul_f32_e32 v3, v1, v3
	v_fmac_f32_e32 v1, v1, v3
	s_delay_alu instid0(VALU_DEP_1) | instskip(SKIP_1) | instid1(VALU_DEP_2)
	v_fmac_f32_e32 v6, v0, v1
	v_ashrrev_i32_e32 v1, 31, v5
	v_add_f32_e32 v0, v6, v6
	s_delay_alu instid0(VALU_DEP_1) | instskip(SKIP_1) | instid1(VALU_DEP_1)
	v_cndmask_b32_e32 v3, v6, v0, vcc_lo
	v_add_co_u32 v0, s1, s4, v5
	v_add_co_ci_u32_e64 v1, s1, s5, v1, s1
	s_delay_alu instid0(VALU_DEP_3) | instskip(SKIP_2) | instid1(VALU_DEP_2)
	v_cndmask_b32_e64 v4, v3, 0x7f800000, s0
	v_cmp_gt_f32_e64 s1, 0xc1880000, v2
	v_cmp_gt_i16_e32 vcc_lo, 11, v7
	v_cndmask_b32_e64 v2, v4, -1.0, s1
	s_cbranch_vccnz .LBB120_1640
; %bb.1563:
	v_cmp_lt_i16_e32 vcc_lo, 25, v7
	s_mov_b32 s9, -1
	s_mov_b32 s6, 0
	s_mov_b32 s7, 0
	;; [unrolled: 1-line block ×3, first 2 shown]
	s_cbranch_vccz .LBB120_1596
; %bb.1564:
	v_cmp_lt_i16_e32 vcc_lo, 28, v7
	s_cbranch_vccz .LBB120_1579
; %bb.1565:
	v_cmp_lt_i16_e32 vcc_lo, 43, v7
	;; [unrolled: 3-line block ×3, first 2 shown]
	s_cbranch_vccz .LBB120_1569
; %bb.1567:
	v_cmp_eq_u16_e32 vcc_lo, 46, v7
	s_mov_b32 s2, -1
	s_mov_b32 s9, 0
	s_cbranch_vccz .LBB120_1569
; %bb.1568:
	v_bfe_u32 v4, v2, 16, 1
	v_cmp_o_f32_e32 vcc_lo, v2, v2
	s_mov_b32 s2, 0
	s_mov_b32 s7, -1
	s_delay_alu instid0(VALU_DEP_2) | instskip(NEXT) | instid1(VALU_DEP_1)
	v_add3_u32 v4, v2, v4, 0x7fff
	v_lshrrev_b32_e32 v4, 16, v4
	s_delay_alu instid0(VALU_DEP_1)
	v_cndmask_b32_e32 v4, 0x7fc0, v4, vcc_lo
	global_store_b32 v[0:1], v4, off
.LBB120_1569:
	s_and_b32 vcc_lo, exec_lo, s9
	s_cbranch_vccz .LBB120_1574
; %bb.1570:
	v_cmp_eq_u16_e32 vcc_lo, 44, v7
	s_mov_b32 s2, -1
	s_cbranch_vccz .LBB120_1574
; %bb.1571:
	v_bfe_u32 v6, v2, 23, 8
	v_mov_b32_e32 v4, 0xff
	s_mov_b32 s7, exec_lo
	s_delay_alu instid0(VALU_DEP_2)
	v_cmpx_ne_u32_e32 0xff, v6
; %bb.1572:
	v_and_b32_e32 v4, 0x400000, v2
	v_and_or_b32 v6, 0x3fffff, v2, v6
	s_delay_alu instid0(VALU_DEP_2) | instskip(NEXT) | instid1(VALU_DEP_2)
	v_cmp_ne_u32_e32 vcc_lo, 0, v4
	v_cmp_ne_u32_e64 s2, 0, v6
	v_lshrrev_b32_e32 v4, 23, v2
	s_delay_alu instid0(VALU_DEP_2) | instskip(NEXT) | instid1(SALU_CYCLE_1)
	s_and_b32 s2, vcc_lo, s2
	v_cndmask_b32_e64 v6, 0, 1, s2
	s_delay_alu instid0(VALU_DEP_1)
	v_add_nc_u32_e32 v4, v4, v6
; %bb.1573:
	s_or_b32 exec_lo, exec_lo, s7
	s_mov_b32 s2, 0
	s_mov_b32 s7, -1
	global_store_b8 v[0:1], v4, off
.LBB120_1574:
	s_mov_b32 s9, 0
.LBB120_1575:
	s_delay_alu instid0(SALU_CYCLE_1)
	s_and_b32 vcc_lo, exec_lo, s9
	s_cbranch_vccz .LBB120_1578
; %bb.1576:
	v_cmp_eq_u16_e32 vcc_lo, 29, v7
	s_mov_b32 s2, -1
	s_cbranch_vccz .LBB120_1578
; %bb.1577:
	v_trunc_f32_e32 v4, v2
	s_mov_b32 s2, 0
	s_mov_b32 s7, -1
	s_delay_alu instid0(VALU_DEP_1) | instskip(NEXT) | instid1(VALU_DEP_1)
	v_mul_f32_e32 v6, 0x2f800000, v4
	v_floor_f32_e32 v6, v6
	s_delay_alu instid0(VALU_DEP_1) | instskip(SKIP_1) | instid1(VALU_DEP_2)
	v_fmamk_f32 v4, v6, 0xcf800000, v4
	v_cvt_u32_f32_e32 v12, v6
	v_cvt_u32_f32_e32 v11, v4
	global_store_b64 v[0:1], v[11:12], off
.LBB120_1578:
	s_mov_b32 s9, 0
.LBB120_1579:
	s_delay_alu instid0(SALU_CYCLE_1)
	s_and_b32 vcc_lo, exec_lo, s9
	s_cbranch_vccz .LBB120_1595
; %bb.1580:
	v_cmp_gt_i16_e32 vcc_lo, 27, v7
	s_mov_b32 s7, -1
	s_cbranch_vccnz .LBB120_1586
; %bb.1581:
	v_cmp_lt_i16_e32 vcc_lo, 27, v7
	v_cvt_u32_f32_e32 v4, v2
	s_cbranch_vccz .LBB120_1583
; %bb.1582:
	s_mov_b32 s7, 0
	global_store_b32 v[0:1], v4, off
.LBB120_1583:
	s_and_not1_b32 vcc_lo, exec_lo, s7
	s_cbranch_vccnz .LBB120_1585
; %bb.1584:
	global_store_b16 v[0:1], v4, off
.LBB120_1585:
	s_mov_b32 s7, 0
.LBB120_1586:
	s_delay_alu instid0(SALU_CYCLE_1)
	s_and_not1_b32 vcc_lo, exec_lo, s7
	s_cbranch_vccnz .LBB120_1594
; %bb.1587:
	v_cndmask_b32_e64 v4, |v3|, 0x7f800000, s0
	v_mov_b32_e32 v11, 0x80
	s_mov_b32 s7, exec_lo
	s_delay_alu instid0(VALU_DEP_2) | instskip(NEXT) | instid1(VALU_DEP_1)
	v_cndmask_b32_e64 v6, v4, 1.0, s1
	v_cmpx_gt_u32_e32 0x43800000, v6
	s_cbranch_execz .LBB120_1593
; %bb.1588:
	s_mov_b32 s9, 0
	s_mov_b32 s12, exec_lo
                                        ; implicit-def: $vgpr4
	v_cmpx_lt_u32_e32 0x3bffffff, v6
	s_xor_b32 s12, exec_lo, s12
	s_cbranch_execz .LBB120_2043
; %bb.1589:
	v_bfe_u32 v4, v2, 20, 1
	s_mov_b32 s9, exec_lo
                                        ; implicit-def: $vgpr6
	s_delay_alu instid0(VALU_DEP_1) | instskip(NEXT) | instid1(VALU_DEP_1)
	v_add3_u32 v4, v2, v4, 0x487ffff
	v_lshrrev_b32_e32 v4, 20, v4
	s_or_saveexec_b32 s12, s12
                                        ; implicit-def: $sgpr13
	s_delay_alu instid0(SALU_CYCLE_1)
	s_xor_b32 exec_lo, exec_lo, s12
	s_cbranch_execnz .LBB120_2044
.LBB120_1590:
	s_or_b32 exec_lo, exec_lo, s12
	v_mov_b32_e32 v11, s13
	s_and_saveexec_b32 s12, s9
.LBB120_1591:
	v_lshrrev_b32_e32 v6, 24, v2
	s_delay_alu instid0(VALU_DEP_1)
	v_and_or_b32 v11, 0x80, v6, v4
.LBB120_1592:
	s_or_b32 exec_lo, exec_lo, s12
.LBB120_1593:
	s_delay_alu instid0(SALU_CYCLE_1)
	s_or_b32 exec_lo, exec_lo, s7
	global_store_b8 v[0:1], v11, off
.LBB120_1594:
	s_mov_b32 s7, -1
.LBB120_1595:
	s_mov_b32 s9, 0
.LBB120_1596:
	s_delay_alu instid0(SALU_CYCLE_1)
	s_and_b32 vcc_lo, exec_lo, s9
	s_cbranch_vccz .LBB120_1636
; %bb.1597:
	v_cmp_lt_i16_e32 vcc_lo, 22, v7
	s_mov_b32 s6, -1
	s_cbranch_vccz .LBB120_1629
; %bb.1598:
	v_cmp_gt_i16_e32 vcc_lo, 24, v7
	s_cbranch_vccnz .LBB120_1618
; %bb.1599:
	v_cmp_lt_i16_e32 vcc_lo, 24, v7
	s_cbranch_vccz .LBB120_1607
; %bb.1600:
	v_cndmask_b32_e64 v4, |v3|, 0x7f800000, s0
	v_mov_b32_e32 v11, 0x80
	s_mov_b32 s6, exec_lo
	s_delay_alu instid0(VALU_DEP_2) | instskip(NEXT) | instid1(VALU_DEP_1)
	v_cndmask_b32_e64 v6, v4, 1.0, s1
	v_cmpx_gt_u32_e32 0x47800000, v6
	s_cbranch_execz .LBB120_1606
; %bb.1601:
	s_mov_b32 s7, 0
	s_mov_b32 s9, exec_lo
                                        ; implicit-def: $vgpr4
	v_cmpx_lt_u32_e32 0x37ffffff, v6
	s_xor_b32 s9, exec_lo, s9
	s_cbranch_execz .LBB120_2049
; %bb.1602:
	v_bfe_u32 v4, v2, 21, 1
	s_mov_b32 s7, exec_lo
                                        ; implicit-def: $vgpr6
	s_delay_alu instid0(VALU_DEP_1) | instskip(NEXT) | instid1(VALU_DEP_1)
	v_add3_u32 v4, v2, v4, 0x88fffff
	v_lshrrev_b32_e32 v4, 21, v4
	s_or_saveexec_b32 s9, s9
                                        ; implicit-def: $sgpr12
	s_delay_alu instid0(SALU_CYCLE_1)
	s_xor_b32 exec_lo, exec_lo, s9
	s_cbranch_execnz .LBB120_2050
.LBB120_1603:
	s_or_b32 exec_lo, exec_lo, s9
	v_mov_b32_e32 v11, s12
	s_and_saveexec_b32 s9, s7
.LBB120_1604:
	v_lshrrev_b32_e32 v6, 24, v2
	s_delay_alu instid0(VALU_DEP_1)
	v_and_or_b32 v11, 0x80, v6, v4
.LBB120_1605:
	s_or_b32 exec_lo, exec_lo, s9
.LBB120_1606:
	s_delay_alu instid0(SALU_CYCLE_1)
	s_or_b32 exec_lo, exec_lo, s6
	s_mov_b32 s6, 0
	global_store_b8 v[0:1], v11, off
.LBB120_1607:
	s_and_b32 vcc_lo, exec_lo, s6
	s_cbranch_vccz .LBB120_1617
; %bb.1608:
	v_cndmask_b32_e64 v4, |v3|, 0x7f800000, s0
	s_mov_b32 s6, exec_lo
	s_delay_alu instid0(VALU_DEP_1) | instskip(NEXT) | instid1(VALU_DEP_1)
	v_cndmask_b32_e64 v6, v4, 1.0, s1
                                        ; implicit-def: $vgpr4
	v_cmpx_gt_u32_e32 0x43f00000, v6
	s_xor_b32 s6, exec_lo, s6
	s_cbranch_execz .LBB120_1614
; %bb.1609:
	s_mov_b32 s7, exec_lo
                                        ; implicit-def: $vgpr4
	v_cmpx_lt_u32_e32 0x3c7fffff, v6
	s_xor_b32 s7, exec_lo, s7
; %bb.1610:
	v_bfe_u32 v4, v2, 20, 1
	s_delay_alu instid0(VALU_DEP_1) | instskip(NEXT) | instid1(VALU_DEP_1)
	v_add3_u32 v4, v2, v4, 0x407ffff
	v_and_b32_e32 v6, 0xff00000, v4
	v_lshrrev_b32_e32 v4, 20, v4
	s_delay_alu instid0(VALU_DEP_2) | instskip(NEXT) | instid1(VALU_DEP_2)
	v_cmp_ne_u32_e32 vcc_lo, 0x7f00000, v6
                                        ; implicit-def: $vgpr6
	v_cndmask_b32_e32 v4, 0x7e, v4, vcc_lo
; %bb.1611:
	s_and_not1_saveexec_b32 s7, s7
; %bb.1612:
	v_add_f32_e32 v4, 0x46800000, v6
; %bb.1613:
	s_or_b32 exec_lo, exec_lo, s7
                                        ; implicit-def: $vgpr6
.LBB120_1614:
	s_and_not1_saveexec_b32 s6, s6
; %bb.1615:
	v_mov_b32_e32 v4, 0x7f
	v_cmp_lt_u32_e32 vcc_lo, 0x7f800000, v6
	s_delay_alu instid0(VALU_DEP_2)
	v_cndmask_b32_e32 v4, 0x7e, v4, vcc_lo
; %bb.1616:
	s_or_b32 exec_lo, exec_lo, s6
	v_lshrrev_b32_e32 v6, 24, v2
	s_delay_alu instid0(VALU_DEP_1)
	v_and_or_b32 v4, 0x80, v6, v4
	global_store_b8 v[0:1], v4, off
.LBB120_1617:
	s_mov_b32 s6, 0
.LBB120_1618:
	s_delay_alu instid0(SALU_CYCLE_1)
	s_and_not1_b32 vcc_lo, exec_lo, s6
	s_cbranch_vccnz .LBB120_1628
; %bb.1619:
	v_cndmask_b32_e64 v3, |v3|, 0x7f800000, s0
	s_mov_b32 s0, exec_lo
	s_delay_alu instid0(VALU_DEP_1) | instskip(NEXT) | instid1(VALU_DEP_1)
	v_cndmask_b32_e64 v4, v3, 1.0, s1
                                        ; implicit-def: $vgpr3
	v_cmpx_gt_u32_e32 0x47800000, v4
	s_xor_b32 s0, exec_lo, s0
	s_cbranch_execz .LBB120_1625
; %bb.1620:
	s_mov_b32 s1, exec_lo
                                        ; implicit-def: $vgpr3
	v_cmpx_lt_u32_e32 0x387fffff, v4
	s_xor_b32 s1, exec_lo, s1
; %bb.1621:
	v_bfe_u32 v3, v2, 21, 1
                                        ; implicit-def: $vgpr4
	s_delay_alu instid0(VALU_DEP_1) | instskip(NEXT) | instid1(VALU_DEP_1)
	v_add3_u32 v3, v2, v3, 0x80fffff
	v_lshrrev_b32_e32 v3, 21, v3
; %bb.1622:
	s_and_not1_saveexec_b32 s1, s1
; %bb.1623:
	v_add_f32_e32 v3, 0x43000000, v4
; %bb.1624:
	s_or_b32 exec_lo, exec_lo, s1
                                        ; implicit-def: $vgpr4
.LBB120_1625:
	s_and_not1_saveexec_b32 s0, s0
; %bb.1626:
	v_mov_b32_e32 v3, 0x7f
	v_cmp_lt_u32_e32 vcc_lo, 0x7f800000, v4
	s_delay_alu instid0(VALU_DEP_2)
	v_cndmask_b32_e32 v3, 0x7c, v3, vcc_lo
; %bb.1627:
	s_or_b32 exec_lo, exec_lo, s0
	v_lshrrev_b32_e32 v4, 24, v2
	s_delay_alu instid0(VALU_DEP_1)
	v_and_or_b32 v3, 0x80, v4, v3
	global_store_b8 v[0:1], v3, off
.LBB120_1628:
	s_mov_b32 s6, 0
	s_mov_b32 s7, -1
.LBB120_1629:
	s_and_not1_b32 vcc_lo, exec_lo, s6
	s_mov_b32 s6, 0
	s_cbranch_vccnz .LBB120_1636
; %bb.1630:
	v_cmp_lt_i16_e32 vcc_lo, 14, v7
	s_mov_b32 s0, -1
	s_cbranch_vccz .LBB120_1634
; %bb.1631:
	v_cmp_eq_u16_e32 vcc_lo, 15, v7
	s_mov_b32 s2, -1
	s_cbranch_vccz .LBB120_1633
; %bb.1632:
	v_bfe_u32 v3, v2, 16, 1
	v_cmp_o_f32_e32 vcc_lo, v2, v2
	s_mov_b32 s2, 0
	s_mov_b32 s7, -1
	s_delay_alu instid0(VALU_DEP_2) | instskip(NEXT) | instid1(VALU_DEP_1)
	v_add3_u32 v3, v2, v3, 0x7fff
	v_lshrrev_b32_e32 v3, 16, v3
	s_delay_alu instid0(VALU_DEP_1)
	v_cndmask_b32_e32 v3, 0x7fc0, v3, vcc_lo
	global_store_b16 v[0:1], v3, off
.LBB120_1633:
	s_mov_b32 s0, 0
.LBB120_1634:
	s_delay_alu instid0(SALU_CYCLE_1)
	s_and_b32 vcc_lo, exec_lo, s0
	s_cbranch_vccz .LBB120_1636
; %bb.1635:
	v_cmp_ne_u16_e64 s2, 11, v7
	s_mov_b32 s6, -1
.LBB120_1636:
	s_delay_alu instid0(VALU_DEP_1)
	s_and_b32 vcc_lo, exec_lo, s2
	s_cbranch_vccnz .LBB120_2047
; %bb.1637:
	s_and_not1_b32 vcc_lo, exec_lo, s6
	s_cbranch_vccnz .LBB120_1639
.LBB120_1638:
	v_cmp_neq_f32_e32 vcc_lo, 0, v2
	s_mov_b32 s7, -1
	v_cndmask_b32_e64 v3, 0, 1, vcc_lo
	global_store_b8 v[0:1], v3, off
.LBB120_1639:
	s_mov_b32 s0, 0
	s_branch .LBB120_1641
.LBB120_1640:
	s_mov_b32 s0, -1
	s_mov_b32 s7, 0
.LBB120_1641:
	s_and_b32 vcc_lo, exec_lo, s0
	s_cbranch_vccz .LBB120_1680
; %bb.1642:
	v_cmp_gt_i16_e32 vcc_lo, 5, v7
	s_mov_b32 s0, -1
	s_cbranch_vccnz .LBB120_1663
; %bb.1643:
	v_cmp_gt_i16_e32 vcc_lo, 8, v7
	s_cbranch_vccnz .LBB120_1653
; %bb.1644:
	v_cmp_gt_i16_e32 vcc_lo, 9, v7
	s_cbranch_vccnz .LBB120_1650
; %bb.1645:
	v_cmp_lt_i16_e32 vcc_lo, 9, v7
	s_cbranch_vccz .LBB120_1647
; %bb.1646:
	v_cvt_f64_f32_e32 v[11:12], v2
	v_mov_b32_e32 v13, 0
	s_mov_b32 s0, 0
	s_delay_alu instid0(VALU_DEP_1)
	v_mov_b32_e32 v14, v13
	global_store_b128 v[0:1], v[11:14], off
.LBB120_1647:
	s_and_not1_b32 vcc_lo, exec_lo, s0
	s_cbranch_vccnz .LBB120_1649
; %bb.1648:
	v_mov_b32_e32 v3, 0
	global_store_b64 v[0:1], v[2:3], off
.LBB120_1649:
	s_mov_b32 s0, 0
.LBB120_1650:
	s_delay_alu instid0(SALU_CYCLE_1)
	s_and_not1_b32 vcc_lo, exec_lo, s0
	s_cbranch_vccnz .LBB120_1652
; %bb.1651:
	v_cvt_f16_f32_e32 v3, v2
	s_delay_alu instid0(VALU_DEP_1)
	v_and_b32_e32 v3, 0xffff, v3
	global_store_b32 v[0:1], v3, off
.LBB120_1652:
	s_mov_b32 s0, 0
.LBB120_1653:
	s_delay_alu instid0(SALU_CYCLE_1)
	s_and_not1_b32 vcc_lo, exec_lo, s0
	s_cbranch_vccnz .LBB120_1662
; %bb.1654:
	v_cmp_gt_i16_e32 vcc_lo, 6, v7
	s_mov_b32 s0, -1
	s_cbranch_vccnz .LBB120_1660
; %bb.1655:
	v_cmp_lt_i16_e32 vcc_lo, 6, v7
	s_cbranch_vccz .LBB120_1657
; %bb.1656:
	v_cvt_f64_f32_e32 v[3:4], v2
	s_mov_b32 s0, 0
	global_store_b64 v[0:1], v[3:4], off
.LBB120_1657:
	s_and_not1_b32 vcc_lo, exec_lo, s0
	s_cbranch_vccnz .LBB120_1659
; %bb.1658:
	global_store_b32 v[0:1], v2, off
.LBB120_1659:
	s_mov_b32 s0, 0
.LBB120_1660:
	s_delay_alu instid0(SALU_CYCLE_1)
	s_and_not1_b32 vcc_lo, exec_lo, s0
	s_cbranch_vccnz .LBB120_1662
; %bb.1661:
	v_cvt_f16_f32_e32 v3, v2
	global_store_b16 v[0:1], v3, off
.LBB120_1662:
	s_mov_b32 s0, 0
.LBB120_1663:
	s_delay_alu instid0(SALU_CYCLE_1)
	s_and_not1_b32 vcc_lo, exec_lo, s0
	s_cbranch_vccnz .LBB120_1679
; %bb.1664:
	v_cmp_gt_i16_e32 vcc_lo, 2, v7
	s_mov_b32 s0, -1
	s_cbranch_vccnz .LBB120_1674
; %bb.1665:
	v_cmp_gt_i16_e32 vcc_lo, 3, v7
	s_cbranch_vccnz .LBB120_1671
; %bb.1666:
	v_cmp_lt_i16_e32 vcc_lo, 3, v7
	s_cbranch_vccz .LBB120_1668
; %bb.1667:
	v_trunc_f32_e32 v3, v2
	s_mov_b32 s0, 0
	s_delay_alu instid0(VALU_DEP_1) | instskip(SKIP_1) | instid1(VALU_DEP_2)
	v_mul_f32_e64 v4, 0x2f800000, |v3|
	v_ashrrev_i32_e32 v11, 31, v3
	v_floor_f32_e32 v4, v4
	s_delay_alu instid0(VALU_DEP_1) | instskip(SKIP_1) | instid1(VALU_DEP_2)
	v_fma_f32 v6, 0xcf800000, v4, |v3|
	v_cvt_u32_f32_e32 v4, v4
	v_cvt_u32_f32_e32 v3, v6
	s_delay_alu instid0(VALU_DEP_2) | instskip(NEXT) | instid1(VALU_DEP_2)
	v_xor_b32_e32 v4, v4, v11
	v_xor_b32_e32 v3, v3, v11
	s_delay_alu instid0(VALU_DEP_1) | instskip(NEXT) | instid1(VALU_DEP_3)
	v_sub_co_u32 v3, vcc_lo, v3, v11
	v_sub_co_ci_u32_e32 v4, vcc_lo, v4, v11, vcc_lo
	global_store_b64 v[0:1], v[3:4], off
.LBB120_1668:
	s_and_not1_b32 vcc_lo, exec_lo, s0
	s_cbranch_vccnz .LBB120_1670
; %bb.1669:
	v_cvt_i32_f32_e32 v3, v2
	global_store_b32 v[0:1], v3, off
.LBB120_1670:
	s_mov_b32 s0, 0
.LBB120_1671:
	s_delay_alu instid0(SALU_CYCLE_1)
	s_and_not1_b32 vcc_lo, exec_lo, s0
	s_cbranch_vccnz .LBB120_1673
; %bb.1672:
	v_cvt_i32_f32_e32 v3, v2
	global_store_b16 v[0:1], v3, off
.LBB120_1673:
	s_mov_b32 s0, 0
.LBB120_1674:
	s_delay_alu instid0(SALU_CYCLE_1)
	s_and_not1_b32 vcc_lo, exec_lo, s0
	s_cbranch_vccnz .LBB120_1679
; %bb.1675:
	v_cmp_lt_i16_e32 vcc_lo, 0, v7
	s_mov_b32 s0, -1
	s_cbranch_vccz .LBB120_1677
; %bb.1676:
	v_cvt_i32_f32_e32 v3, v2
	s_mov_b32 s0, 0
	global_store_b8 v[0:1], v3, off
.LBB120_1677:
	s_and_not1_b32 vcc_lo, exec_lo, s0
	s_cbranch_vccnz .LBB120_1679
; %bb.1678:
	v_trunc_f32_e32 v2, v2
	s_delay_alu instid0(VALU_DEP_1) | instskip(NEXT) | instid1(VALU_DEP_1)
	v_mul_f32_e64 v3, 0x2f800000, |v2|
	v_floor_f32_e32 v3, v3
	s_delay_alu instid0(VALU_DEP_1) | instskip(SKIP_1) | instid1(VALU_DEP_2)
	v_fma_f32 v3, 0xcf800000, v3, |v2|
	v_ashrrev_i32_e32 v2, 31, v2
	v_cvt_u32_f32_e32 v3, v3
	s_delay_alu instid0(VALU_DEP_1) | instskip(NEXT) | instid1(VALU_DEP_1)
	v_xor_b32_e32 v3, v3, v2
	v_sub_nc_u32_e32 v2, v3, v2
	global_store_b8 v[0:1], v2, off
.LBB120_1679:
	s_mov_b32 s7, -1
.LBB120_1680:
	s_delay_alu instid0(SALU_CYCLE_1)
	s_and_not1_b32 vcc_lo, exec_lo, s7
	s_cbranch_vccnz .LBB120_1995
; %bb.1681:
	v_mul_f32_e32 v0, 0x3fb8aa3b, v10
	s_lshl_b32 s6, s8, 7
	s_mov_b32 s0, 0x395133b1
	v_add_nc_u32_e32 v4, s6, v5
	s_delay_alu instid0(VALU_DEP_2) | instskip(NEXT) | instid1(VALU_DEP_1)
	v_rndne_f32_e32 v0, v0
	v_fmamk_f32 v1, v0, 0xbf317218, v10
	v_cvt_i32_f32_e32 v3, v0
	v_cmp_eq_f32_e32 vcc_lo, 0x43000000, v0
	s_delay_alu instid0(VALU_DEP_3) | instskip(NEXT) | instid1(VALU_DEP_3)
	v_fmamk_f32 v1, v0, 0x3102e308, v1
	v_cndmask_b32_e64 v0, v3, 0x7f, vcc_lo
	s_delay_alu instid0(VALU_DEP_1) | instskip(NEXT) | instid1(VALU_DEP_3)
	v_ldexp_f32 v0, 1.0, v0
	v_fmaak_f32 v2, s0, v1, 0x3ab69700
	v_cmp_lt_f32_e64 s0, 0x42b17217, v10
	s_delay_alu instid0(VALU_DEP_2) | instskip(NEXT) | instid1(VALU_DEP_1)
	v_dual_add_f32 v3, -1.0, v0 :: v_dual_fmaak_f32 v2, v1, v2, 0x3c0887f9
	v_fmaak_f32 v2, v1, v2, 0x3d2aaa81
	s_delay_alu instid0(VALU_DEP_1) | instskip(NEXT) | instid1(VALU_DEP_1)
	v_fmaak_f32 v2, v1, v2, 0x3e2aaaab
	v_fma_f32 v2, v1, v2, 0.5
	s_delay_alu instid0(VALU_DEP_1) | instskip(NEXT) | instid1(VALU_DEP_1)
	v_mul_f32_e32 v2, v1, v2
	v_fmac_f32_e32 v1, v1, v2
	s_delay_alu instid0(VALU_DEP_1) | instskip(SKIP_1) | instid1(VALU_DEP_2)
	v_fmac_f32_e32 v3, v0, v1
	v_ashrrev_i32_e32 v1, 31, v4
	v_add_f32_e32 v0, v3, v3
	s_delay_alu instid0(VALU_DEP_1) | instskip(SKIP_1) | instid1(VALU_DEP_1)
	v_cndmask_b32_e32 v3, v3, v0, vcc_lo
	v_add_co_u32 v0, s1, s4, v4
	v_add_co_ci_u32_e64 v1, s1, s5, v1, s1
	s_delay_alu instid0(VALU_DEP_3) | instskip(SKIP_2) | instid1(VALU_DEP_2)
	v_cndmask_b32_e64 v2, v3, 0x7f800000, s0
	v_cmp_gt_f32_e64 s1, 0xc1880000, v10
	v_cmp_gt_i16_e32 vcc_lo, 11, v7
	v_cndmask_b32_e64 v2, v2, -1.0, s1
	s_cbranch_vccnz .LBB120_1759
; %bb.1682:
	v_cmp_lt_i16_e32 vcc_lo, 25, v7
	s_mov_b32 s9, -1
	s_mov_b32 s7, 0
	s_mov_b32 s8, 0
	;; [unrolled: 1-line block ×3, first 2 shown]
	s_cbranch_vccz .LBB120_1715
; %bb.1683:
	v_cmp_lt_i16_e32 vcc_lo, 28, v7
	s_cbranch_vccz .LBB120_1698
; %bb.1684:
	v_cmp_lt_i16_e32 vcc_lo, 43, v7
	;; [unrolled: 3-line block ×3, first 2 shown]
	s_cbranch_vccz .LBB120_1688
; %bb.1686:
	v_cmp_eq_u16_e32 vcc_lo, 46, v7
	s_mov_b32 s2, -1
	s_mov_b32 s9, 0
	s_cbranch_vccz .LBB120_1688
; %bb.1687:
	v_bfe_u32 v5, v2, 16, 1
	v_cmp_o_f32_e32 vcc_lo, v2, v2
	s_mov_b32 s2, 0
	s_mov_b32 s8, -1
	s_delay_alu instid0(VALU_DEP_2) | instskip(NEXT) | instid1(VALU_DEP_1)
	v_add3_u32 v5, v2, v5, 0x7fff
	v_lshrrev_b32_e32 v5, 16, v5
	s_delay_alu instid0(VALU_DEP_1)
	v_cndmask_b32_e32 v5, 0x7fc0, v5, vcc_lo
	global_store_b32 v[0:1], v5, off
.LBB120_1688:
	s_and_b32 vcc_lo, exec_lo, s9
	s_cbranch_vccz .LBB120_1693
; %bb.1689:
	v_cmp_eq_u16_e32 vcc_lo, 44, v7
	s_mov_b32 s2, -1
	s_cbranch_vccz .LBB120_1693
; %bb.1690:
	v_bfe_u32 v6, v2, 23, 8
	v_mov_b32_e32 v5, 0xff
	s_mov_b32 s8, exec_lo
	s_delay_alu instid0(VALU_DEP_2)
	v_cmpx_ne_u32_e32 0xff, v6
; %bb.1691:
	v_and_b32_e32 v5, 0x400000, v2
	v_and_or_b32 v6, 0x3fffff, v2, v6
	s_delay_alu instid0(VALU_DEP_2) | instskip(NEXT) | instid1(VALU_DEP_2)
	v_cmp_ne_u32_e32 vcc_lo, 0, v5
	v_cmp_ne_u32_e64 s2, 0, v6
	v_lshrrev_b32_e32 v5, 23, v2
	s_delay_alu instid0(VALU_DEP_2) | instskip(NEXT) | instid1(SALU_CYCLE_1)
	s_and_b32 s2, vcc_lo, s2
	v_cndmask_b32_e64 v6, 0, 1, s2
	s_delay_alu instid0(VALU_DEP_1)
	v_add_nc_u32_e32 v5, v5, v6
; %bb.1692:
	s_or_b32 exec_lo, exec_lo, s8
	s_mov_b32 s2, 0
	s_mov_b32 s8, -1
	global_store_b8 v[0:1], v5, off
.LBB120_1693:
	s_mov_b32 s9, 0
.LBB120_1694:
	s_delay_alu instid0(SALU_CYCLE_1)
	s_and_b32 vcc_lo, exec_lo, s9
	s_cbranch_vccz .LBB120_1697
; %bb.1695:
	v_cmp_eq_u16_e32 vcc_lo, 29, v7
	s_mov_b32 s2, -1
	s_cbranch_vccz .LBB120_1697
; %bb.1696:
	v_trunc_f32_e32 v5, v2
	s_mov_b32 s2, 0
	s_mov_b32 s8, -1
	s_delay_alu instid0(VALU_DEP_1) | instskip(NEXT) | instid1(VALU_DEP_1)
	v_mul_f32_e32 v6, 0x2f800000, v5
	v_floor_f32_e32 v6, v6
	s_delay_alu instid0(VALU_DEP_1) | instskip(SKIP_1) | instid1(VALU_DEP_2)
	v_fmamk_f32 v5, v6, 0xcf800000, v5
	v_cvt_u32_f32_e32 v6, v6
	v_cvt_u32_f32_e32 v5, v5
	global_store_b64 v[0:1], v[5:6], off
.LBB120_1697:
	s_mov_b32 s9, 0
.LBB120_1698:
	s_delay_alu instid0(SALU_CYCLE_1)
	s_and_b32 vcc_lo, exec_lo, s9
	s_cbranch_vccz .LBB120_1714
; %bb.1699:
	v_cmp_gt_i16_e32 vcc_lo, 27, v7
	s_mov_b32 s8, -1
	s_cbranch_vccnz .LBB120_1705
; %bb.1700:
	v_cmp_lt_i16_e32 vcc_lo, 27, v7
	v_cvt_u32_f32_e32 v5, v2
	s_cbranch_vccz .LBB120_1702
; %bb.1701:
	s_mov_b32 s8, 0
	global_store_b32 v[0:1], v5, off
.LBB120_1702:
	s_and_not1_b32 vcc_lo, exec_lo, s8
	s_cbranch_vccnz .LBB120_1704
; %bb.1703:
	global_store_b16 v[0:1], v5, off
.LBB120_1704:
	s_mov_b32 s8, 0
.LBB120_1705:
	s_delay_alu instid0(SALU_CYCLE_1)
	s_and_not1_b32 vcc_lo, exec_lo, s8
	s_cbranch_vccnz .LBB120_1713
; %bb.1706:
	v_cndmask_b32_e64 v5, |v3|, 0x7f800000, s0
	v_mov_b32_e32 v10, 0x80
	s_mov_b32 s8, exec_lo
	s_delay_alu instid0(VALU_DEP_2) | instskip(NEXT) | instid1(VALU_DEP_1)
	v_cndmask_b32_e64 v6, v5, 1.0, s1
	v_cmpx_gt_u32_e32 0x43800000, v6
	s_cbranch_execz .LBB120_1712
; %bb.1707:
	s_mov_b32 s9, 0
	s_mov_b32 s12, exec_lo
                                        ; implicit-def: $vgpr5
	v_cmpx_lt_u32_e32 0x3bffffff, v6
	s_xor_b32 s12, exec_lo, s12
	s_cbranch_execz .LBB120_2051
; %bb.1708:
	v_bfe_u32 v5, v2, 20, 1
	s_mov_b32 s9, exec_lo
                                        ; implicit-def: $vgpr6
	s_delay_alu instid0(VALU_DEP_1) | instskip(NEXT) | instid1(VALU_DEP_1)
	v_add3_u32 v5, v2, v5, 0x487ffff
	v_lshrrev_b32_e32 v5, 20, v5
	s_or_saveexec_b32 s12, s12
                                        ; implicit-def: $sgpr13
	s_delay_alu instid0(SALU_CYCLE_1)
	s_xor_b32 exec_lo, exec_lo, s12
	s_cbranch_execnz .LBB120_2052
.LBB120_1709:
	s_or_b32 exec_lo, exec_lo, s12
	v_mov_b32_e32 v10, s13
	s_and_saveexec_b32 s12, s9
.LBB120_1710:
	v_lshrrev_b32_e32 v6, 24, v2
	s_delay_alu instid0(VALU_DEP_1)
	v_and_or_b32 v10, 0x80, v6, v5
.LBB120_1711:
	s_or_b32 exec_lo, exec_lo, s12
.LBB120_1712:
	s_delay_alu instid0(SALU_CYCLE_1)
	s_or_b32 exec_lo, exec_lo, s8
	global_store_b8 v[0:1], v10, off
.LBB120_1713:
	s_mov_b32 s8, -1
.LBB120_1714:
	s_mov_b32 s9, 0
.LBB120_1715:
	s_delay_alu instid0(SALU_CYCLE_1)
	s_and_b32 vcc_lo, exec_lo, s9
	s_cbranch_vccz .LBB120_1755
; %bb.1716:
	v_cmp_lt_i16_e32 vcc_lo, 22, v7
	s_mov_b32 s7, -1
	s_cbranch_vccz .LBB120_1748
; %bb.1717:
	v_cmp_gt_i16_e32 vcc_lo, 24, v7
	s_cbranch_vccnz .LBB120_1737
; %bb.1718:
	v_cmp_lt_i16_e32 vcc_lo, 24, v7
	s_cbranch_vccz .LBB120_1726
; %bb.1719:
	v_cndmask_b32_e64 v5, |v3|, 0x7f800000, s0
	v_mov_b32_e32 v10, 0x80
	s_mov_b32 s7, exec_lo
	s_delay_alu instid0(VALU_DEP_2) | instskip(NEXT) | instid1(VALU_DEP_1)
	v_cndmask_b32_e64 v6, v5, 1.0, s1
	v_cmpx_gt_u32_e32 0x47800000, v6
	s_cbranch_execz .LBB120_1725
; %bb.1720:
	s_mov_b32 s8, 0
	s_mov_b32 s9, exec_lo
                                        ; implicit-def: $vgpr5
	v_cmpx_lt_u32_e32 0x37ffffff, v6
	s_xor_b32 s9, exec_lo, s9
	s_cbranch_execz .LBB120_2057
; %bb.1721:
	v_bfe_u32 v5, v2, 21, 1
	s_mov_b32 s8, exec_lo
                                        ; implicit-def: $vgpr6
	s_delay_alu instid0(VALU_DEP_1) | instskip(NEXT) | instid1(VALU_DEP_1)
	v_add3_u32 v5, v2, v5, 0x88fffff
	v_lshrrev_b32_e32 v5, 21, v5
	s_or_saveexec_b32 s9, s9
                                        ; implicit-def: $sgpr12
	s_delay_alu instid0(SALU_CYCLE_1)
	s_xor_b32 exec_lo, exec_lo, s9
	s_cbranch_execnz .LBB120_2058
.LBB120_1722:
	s_or_b32 exec_lo, exec_lo, s9
	v_mov_b32_e32 v10, s12
	s_and_saveexec_b32 s9, s8
.LBB120_1723:
	v_lshrrev_b32_e32 v6, 24, v2
	s_delay_alu instid0(VALU_DEP_1)
	v_and_or_b32 v10, 0x80, v6, v5
.LBB120_1724:
	s_or_b32 exec_lo, exec_lo, s9
.LBB120_1725:
	s_delay_alu instid0(SALU_CYCLE_1)
	s_or_b32 exec_lo, exec_lo, s7
	s_mov_b32 s7, 0
	global_store_b8 v[0:1], v10, off
.LBB120_1726:
	s_and_b32 vcc_lo, exec_lo, s7
	s_cbranch_vccz .LBB120_1736
; %bb.1727:
	v_cndmask_b32_e64 v5, |v3|, 0x7f800000, s0
	s_mov_b32 s7, exec_lo
	s_delay_alu instid0(VALU_DEP_1) | instskip(NEXT) | instid1(VALU_DEP_1)
	v_cndmask_b32_e64 v6, v5, 1.0, s1
                                        ; implicit-def: $vgpr5
	v_cmpx_gt_u32_e32 0x43f00000, v6
	s_xor_b32 s7, exec_lo, s7
	s_cbranch_execz .LBB120_1733
; %bb.1728:
	s_mov_b32 s8, exec_lo
                                        ; implicit-def: $vgpr5
	v_cmpx_lt_u32_e32 0x3c7fffff, v6
	s_xor_b32 s8, exec_lo, s8
; %bb.1729:
	v_bfe_u32 v5, v2, 20, 1
	s_delay_alu instid0(VALU_DEP_1) | instskip(NEXT) | instid1(VALU_DEP_1)
	v_add3_u32 v5, v2, v5, 0x407ffff
	v_and_b32_e32 v6, 0xff00000, v5
	v_lshrrev_b32_e32 v5, 20, v5
	s_delay_alu instid0(VALU_DEP_2) | instskip(NEXT) | instid1(VALU_DEP_2)
	v_cmp_ne_u32_e32 vcc_lo, 0x7f00000, v6
                                        ; implicit-def: $vgpr6
	v_cndmask_b32_e32 v5, 0x7e, v5, vcc_lo
; %bb.1730:
	s_and_not1_saveexec_b32 s8, s8
; %bb.1731:
	v_add_f32_e32 v5, 0x46800000, v6
; %bb.1732:
	s_or_b32 exec_lo, exec_lo, s8
                                        ; implicit-def: $vgpr6
.LBB120_1733:
	s_and_not1_saveexec_b32 s7, s7
; %bb.1734:
	v_mov_b32_e32 v5, 0x7f
	v_cmp_lt_u32_e32 vcc_lo, 0x7f800000, v6
	s_delay_alu instid0(VALU_DEP_2)
	v_cndmask_b32_e32 v5, 0x7e, v5, vcc_lo
; %bb.1735:
	s_or_b32 exec_lo, exec_lo, s7
	v_lshrrev_b32_e32 v6, 24, v2
	s_delay_alu instid0(VALU_DEP_1)
	v_and_or_b32 v5, 0x80, v6, v5
	global_store_b8 v[0:1], v5, off
.LBB120_1736:
	s_mov_b32 s7, 0
.LBB120_1737:
	s_delay_alu instid0(SALU_CYCLE_1)
	s_and_not1_b32 vcc_lo, exec_lo, s7
	s_cbranch_vccnz .LBB120_1747
; %bb.1738:
	v_cndmask_b32_e64 v3, |v3|, 0x7f800000, s0
	s_mov_b32 s0, exec_lo
	s_delay_alu instid0(VALU_DEP_1) | instskip(NEXT) | instid1(VALU_DEP_1)
	v_cndmask_b32_e64 v5, v3, 1.0, s1
                                        ; implicit-def: $vgpr3
	v_cmpx_gt_u32_e32 0x47800000, v5
	s_xor_b32 s0, exec_lo, s0
	s_cbranch_execz .LBB120_1744
; %bb.1739:
	s_mov_b32 s1, exec_lo
                                        ; implicit-def: $vgpr3
	v_cmpx_lt_u32_e32 0x387fffff, v5
	s_xor_b32 s1, exec_lo, s1
; %bb.1740:
	v_bfe_u32 v3, v2, 21, 1
                                        ; implicit-def: $vgpr5
	s_delay_alu instid0(VALU_DEP_1) | instskip(NEXT) | instid1(VALU_DEP_1)
	v_add3_u32 v3, v2, v3, 0x80fffff
	v_lshrrev_b32_e32 v3, 21, v3
; %bb.1741:
	s_and_not1_saveexec_b32 s1, s1
; %bb.1742:
	v_add_f32_e32 v3, 0x43000000, v5
; %bb.1743:
	s_or_b32 exec_lo, exec_lo, s1
                                        ; implicit-def: $vgpr5
.LBB120_1744:
	s_and_not1_saveexec_b32 s0, s0
; %bb.1745:
	v_mov_b32_e32 v3, 0x7f
	v_cmp_lt_u32_e32 vcc_lo, 0x7f800000, v5
	s_delay_alu instid0(VALU_DEP_2)
	v_cndmask_b32_e32 v3, 0x7c, v3, vcc_lo
; %bb.1746:
	s_or_b32 exec_lo, exec_lo, s0
	v_lshrrev_b32_e32 v5, 24, v2
	s_delay_alu instid0(VALU_DEP_1)
	v_and_or_b32 v3, 0x80, v5, v3
	global_store_b8 v[0:1], v3, off
.LBB120_1747:
	s_mov_b32 s7, 0
	s_mov_b32 s8, -1
.LBB120_1748:
	s_and_not1_b32 vcc_lo, exec_lo, s7
	s_mov_b32 s7, 0
	s_cbranch_vccnz .LBB120_1755
; %bb.1749:
	v_cmp_lt_i16_e32 vcc_lo, 14, v7
	s_mov_b32 s0, -1
	s_cbranch_vccz .LBB120_1753
; %bb.1750:
	v_cmp_eq_u16_e32 vcc_lo, 15, v7
	s_mov_b32 s2, -1
	s_cbranch_vccz .LBB120_1752
; %bb.1751:
	v_bfe_u32 v3, v2, 16, 1
	v_cmp_o_f32_e32 vcc_lo, v2, v2
	s_mov_b32 s2, 0
	s_mov_b32 s8, -1
	s_delay_alu instid0(VALU_DEP_2) | instskip(NEXT) | instid1(VALU_DEP_1)
	v_add3_u32 v3, v2, v3, 0x7fff
	v_lshrrev_b32_e32 v3, 16, v3
	s_delay_alu instid0(VALU_DEP_1)
	v_cndmask_b32_e32 v3, 0x7fc0, v3, vcc_lo
	global_store_b16 v[0:1], v3, off
.LBB120_1752:
	s_mov_b32 s0, 0
.LBB120_1753:
	s_delay_alu instid0(SALU_CYCLE_1)
	s_and_b32 vcc_lo, exec_lo, s0
	s_cbranch_vccz .LBB120_1755
; %bb.1754:
	v_cmp_ne_u16_e64 s2, 11, v7
	s_mov_b32 s7, -1
.LBB120_1755:
	s_delay_alu instid0(VALU_DEP_1)
	s_and_b32 vcc_lo, exec_lo, s2
	s_cbranch_vccnz .LBB120_2055
; %bb.1756:
	s_and_not1_b32 vcc_lo, exec_lo, s7
	s_cbranch_vccnz .LBB120_1758
.LBB120_1757:
	v_cmp_neq_f32_e32 vcc_lo, 0, v2
	s_mov_b32 s8, -1
	v_cndmask_b32_e64 v3, 0, 1, vcc_lo
	global_store_b8 v[0:1], v3, off
.LBB120_1758:
	s_mov_b32 s0, 0
	s_branch .LBB120_1760
.LBB120_1759:
	s_mov_b32 s0, -1
	s_mov_b32 s8, 0
.LBB120_1760:
	s_and_b32 vcc_lo, exec_lo, s0
	s_cbranch_vccz .LBB120_1799
; %bb.1761:
	v_cmp_gt_i16_e32 vcc_lo, 5, v7
	s_mov_b32 s0, -1
	s_cbranch_vccnz .LBB120_1782
; %bb.1762:
	v_cmp_gt_i16_e32 vcc_lo, 8, v7
	s_cbranch_vccnz .LBB120_1772
; %bb.1763:
	v_cmp_gt_i16_e32 vcc_lo, 9, v7
	s_cbranch_vccnz .LBB120_1769
; %bb.1764:
	v_cmp_lt_i16_e32 vcc_lo, 9, v7
	s_cbranch_vccz .LBB120_1766
; %bb.1765:
	v_cvt_f64_f32_e32 v[10:11], v2
	v_mov_b32_e32 v12, 0
	s_mov_b32 s0, 0
	s_delay_alu instid0(VALU_DEP_1)
	v_mov_b32_e32 v13, v12
	global_store_b128 v[0:1], v[10:13], off
.LBB120_1766:
	s_and_not1_b32 vcc_lo, exec_lo, s0
	s_cbranch_vccnz .LBB120_1768
; %bb.1767:
	v_mov_b32_e32 v3, 0
	global_store_b64 v[0:1], v[2:3], off
.LBB120_1768:
	s_mov_b32 s0, 0
.LBB120_1769:
	s_delay_alu instid0(SALU_CYCLE_1)
	s_and_not1_b32 vcc_lo, exec_lo, s0
	s_cbranch_vccnz .LBB120_1771
; %bb.1770:
	v_cvt_f16_f32_e32 v3, v2
	s_delay_alu instid0(VALU_DEP_1)
	v_and_b32_e32 v3, 0xffff, v3
	global_store_b32 v[0:1], v3, off
.LBB120_1771:
	s_mov_b32 s0, 0
.LBB120_1772:
	s_delay_alu instid0(SALU_CYCLE_1)
	s_and_not1_b32 vcc_lo, exec_lo, s0
	s_cbranch_vccnz .LBB120_1781
; %bb.1773:
	v_cmp_gt_i16_e32 vcc_lo, 6, v7
	s_mov_b32 s0, -1
	s_cbranch_vccnz .LBB120_1779
; %bb.1774:
	v_cmp_lt_i16_e32 vcc_lo, 6, v7
	s_cbranch_vccz .LBB120_1776
; %bb.1775:
	v_cvt_f64_f32_e32 v[5:6], v2
	s_mov_b32 s0, 0
	global_store_b64 v[0:1], v[5:6], off
.LBB120_1776:
	s_and_not1_b32 vcc_lo, exec_lo, s0
	s_cbranch_vccnz .LBB120_1778
; %bb.1777:
	global_store_b32 v[0:1], v2, off
.LBB120_1778:
	s_mov_b32 s0, 0
.LBB120_1779:
	s_delay_alu instid0(SALU_CYCLE_1)
	s_and_not1_b32 vcc_lo, exec_lo, s0
	s_cbranch_vccnz .LBB120_1781
; %bb.1780:
	v_cvt_f16_f32_e32 v3, v2
	global_store_b16 v[0:1], v3, off
.LBB120_1781:
	s_mov_b32 s0, 0
.LBB120_1782:
	s_delay_alu instid0(SALU_CYCLE_1)
	s_and_not1_b32 vcc_lo, exec_lo, s0
	s_cbranch_vccnz .LBB120_1798
; %bb.1783:
	v_cmp_gt_i16_e32 vcc_lo, 2, v7
	s_mov_b32 s0, -1
	s_cbranch_vccnz .LBB120_1793
; %bb.1784:
	v_cmp_gt_i16_e32 vcc_lo, 3, v7
	s_cbranch_vccnz .LBB120_1790
; %bb.1785:
	v_cmp_lt_i16_e32 vcc_lo, 3, v7
	s_cbranch_vccz .LBB120_1787
; %bb.1786:
	v_trunc_f32_e32 v3, v2
	s_mov_b32 s0, 0
	s_delay_alu instid0(VALU_DEP_1) | instskip(NEXT) | instid1(VALU_DEP_1)
	v_mul_f32_e64 v5, 0x2f800000, |v3|
	v_floor_f32_e32 v5, v5
	s_delay_alu instid0(VALU_DEP_1) | instskip(SKIP_2) | instid1(VALU_DEP_3)
	v_fma_f32 v6, 0xcf800000, v5, |v3|
	v_ashrrev_i32_e32 v3, 31, v3
	v_cvt_u32_f32_e32 v5, v5
	v_cvt_u32_f32_e32 v6, v6
	s_delay_alu instid0(VALU_DEP_2) | instskip(NEXT) | instid1(VALU_DEP_2)
	v_xor_b32_e32 v10, v5, v3
	v_xor_b32_e32 v6, v6, v3
	s_delay_alu instid0(VALU_DEP_1) | instskip(NEXT) | instid1(VALU_DEP_3)
	v_sub_co_u32 v5, vcc_lo, v6, v3
	v_sub_co_ci_u32_e32 v6, vcc_lo, v10, v3, vcc_lo
	global_store_b64 v[0:1], v[5:6], off
.LBB120_1787:
	s_and_not1_b32 vcc_lo, exec_lo, s0
	s_cbranch_vccnz .LBB120_1789
; %bb.1788:
	v_cvt_i32_f32_e32 v3, v2
	global_store_b32 v[0:1], v3, off
.LBB120_1789:
	s_mov_b32 s0, 0
.LBB120_1790:
	s_delay_alu instid0(SALU_CYCLE_1)
	s_and_not1_b32 vcc_lo, exec_lo, s0
	s_cbranch_vccnz .LBB120_1792
; %bb.1791:
	v_cvt_i32_f32_e32 v3, v2
	global_store_b16 v[0:1], v3, off
.LBB120_1792:
	s_mov_b32 s0, 0
.LBB120_1793:
	s_delay_alu instid0(SALU_CYCLE_1)
	s_and_not1_b32 vcc_lo, exec_lo, s0
	s_cbranch_vccnz .LBB120_1798
; %bb.1794:
	v_cmp_lt_i16_e32 vcc_lo, 0, v7
	s_mov_b32 s0, -1
	s_cbranch_vccz .LBB120_1796
; %bb.1795:
	v_cvt_i32_f32_e32 v3, v2
	s_mov_b32 s0, 0
	global_store_b8 v[0:1], v3, off
.LBB120_1796:
	s_and_not1_b32 vcc_lo, exec_lo, s0
	s_cbranch_vccnz .LBB120_1798
; %bb.1797:
	v_trunc_f32_e32 v2, v2
	s_delay_alu instid0(VALU_DEP_1) | instskip(NEXT) | instid1(VALU_DEP_1)
	v_mul_f32_e64 v3, 0x2f800000, |v2|
	v_floor_f32_e32 v3, v3
	s_delay_alu instid0(VALU_DEP_1) | instskip(SKIP_1) | instid1(VALU_DEP_2)
	v_fma_f32 v3, 0xcf800000, v3, |v2|
	v_ashrrev_i32_e32 v2, 31, v2
	v_cvt_u32_f32_e32 v3, v3
	s_delay_alu instid0(VALU_DEP_1) | instskip(NEXT) | instid1(VALU_DEP_1)
	v_xor_b32_e32 v3, v3, v2
	v_sub_nc_u32_e32 v2, v3, v2
	global_store_b8 v[0:1], v2, off
.LBB120_1798:
	s_mov_b32 s8, -1
.LBB120_1799:
	s_delay_alu instid0(SALU_CYCLE_1)
	s_and_not1_b32 vcc_lo, exec_lo, s8
	s_cbranch_vccnz .LBB120_1995
; %bb.1800:
	v_mul_f32_e32 v0, 0x3fb8aa3b, v9
	s_mov_b32 s0, 0x395133b1
	v_add_nc_u32_e32 v4, s6, v4
	s_delay_alu instid0(VALU_DEP_2) | instskip(NEXT) | instid1(VALU_DEP_1)
	v_rndne_f32_e32 v0, v0
	v_fmamk_f32 v1, v0, 0xbf317218, v9
	v_cvt_i32_f32_e32 v3, v0
	v_cmp_eq_f32_e32 vcc_lo, 0x43000000, v0
	s_delay_alu instid0(VALU_DEP_3) | instskip(NEXT) | instid1(VALU_DEP_3)
	v_fmamk_f32 v1, v0, 0x3102e308, v1
	v_cndmask_b32_e64 v0, v3, 0x7f, vcc_lo
	s_delay_alu instid0(VALU_DEP_1) | instskip(NEXT) | instid1(VALU_DEP_3)
	v_ldexp_f32 v0, 1.0, v0
	v_fmaak_f32 v2, s0, v1, 0x3ab69700
	v_cmp_lt_f32_e64 s0, 0x42b17217, v9
	s_delay_alu instid0(VALU_DEP_2) | instskip(NEXT) | instid1(VALU_DEP_1)
	v_dual_add_f32 v3, -1.0, v0 :: v_dual_fmaak_f32 v2, v1, v2, 0x3c0887f9
	v_fmaak_f32 v2, v1, v2, 0x3d2aaa81
	s_delay_alu instid0(VALU_DEP_1) | instskip(NEXT) | instid1(VALU_DEP_1)
	v_fmaak_f32 v2, v1, v2, 0x3e2aaaab
	v_fma_f32 v2, v1, v2, 0.5
	s_delay_alu instid0(VALU_DEP_1) | instskip(NEXT) | instid1(VALU_DEP_1)
	v_mul_f32_e32 v2, v1, v2
	v_fmac_f32_e32 v1, v1, v2
	s_delay_alu instid0(VALU_DEP_1) | instskip(SKIP_1) | instid1(VALU_DEP_2)
	v_fmac_f32_e32 v3, v0, v1
	v_ashrrev_i32_e32 v1, 31, v4
	v_add_f32_e32 v0, v3, v3
	s_delay_alu instid0(VALU_DEP_1) | instskip(SKIP_1) | instid1(VALU_DEP_1)
	v_cndmask_b32_e32 v3, v3, v0, vcc_lo
	v_add_co_u32 v0, s1, s4, v4
	v_add_co_ci_u32_e64 v1, s1, s5, v1, s1
	s_delay_alu instid0(VALU_DEP_3) | instskip(SKIP_2) | instid1(VALU_DEP_2)
	v_cndmask_b32_e64 v2, v3, 0x7f800000, s0
	v_cmp_gt_f32_e64 s1, 0xc1880000, v9
	v_cmp_gt_i16_e32 vcc_lo, 11, v7
	v_cndmask_b32_e64 v2, v2, -1.0, s1
	s_cbranch_vccnz .LBB120_1878
; %bb.1801:
	v_cmp_lt_i16_e32 vcc_lo, 25, v7
	s_mov_b32 s9, -1
	s_mov_b32 s7, 0
	s_mov_b32 s8, 0
	;; [unrolled: 1-line block ×3, first 2 shown]
	s_cbranch_vccz .LBB120_1834
; %bb.1802:
	v_cmp_lt_i16_e32 vcc_lo, 28, v7
	s_cbranch_vccz .LBB120_1817
; %bb.1803:
	v_cmp_lt_i16_e32 vcc_lo, 43, v7
	;; [unrolled: 3-line block ×3, first 2 shown]
	s_cbranch_vccz .LBB120_1807
; %bb.1805:
	v_cmp_eq_u16_e32 vcc_lo, 46, v7
	s_mov_b32 s2, -1
	s_mov_b32 s9, 0
	s_cbranch_vccz .LBB120_1807
; %bb.1806:
	v_bfe_u32 v5, v2, 16, 1
	v_cmp_o_f32_e32 vcc_lo, v2, v2
	s_mov_b32 s2, 0
	s_mov_b32 s8, -1
	s_delay_alu instid0(VALU_DEP_2) | instskip(NEXT) | instid1(VALU_DEP_1)
	v_add3_u32 v5, v2, v5, 0x7fff
	v_lshrrev_b32_e32 v5, 16, v5
	s_delay_alu instid0(VALU_DEP_1)
	v_cndmask_b32_e32 v5, 0x7fc0, v5, vcc_lo
	global_store_b32 v[0:1], v5, off
.LBB120_1807:
	s_and_b32 vcc_lo, exec_lo, s9
	s_cbranch_vccz .LBB120_1812
; %bb.1808:
	v_cmp_eq_u16_e32 vcc_lo, 44, v7
	s_mov_b32 s2, -1
	s_cbranch_vccz .LBB120_1812
; %bb.1809:
	v_bfe_u32 v6, v2, 23, 8
	v_mov_b32_e32 v5, 0xff
	s_mov_b32 s8, exec_lo
	s_delay_alu instid0(VALU_DEP_2)
	v_cmpx_ne_u32_e32 0xff, v6
; %bb.1810:
	v_and_b32_e32 v5, 0x400000, v2
	v_and_or_b32 v6, 0x3fffff, v2, v6
	s_delay_alu instid0(VALU_DEP_2) | instskip(NEXT) | instid1(VALU_DEP_2)
	v_cmp_ne_u32_e32 vcc_lo, 0, v5
	v_cmp_ne_u32_e64 s2, 0, v6
	v_lshrrev_b32_e32 v5, 23, v2
	s_delay_alu instid0(VALU_DEP_2) | instskip(NEXT) | instid1(SALU_CYCLE_1)
	s_and_b32 s2, vcc_lo, s2
	v_cndmask_b32_e64 v6, 0, 1, s2
	s_delay_alu instid0(VALU_DEP_1)
	v_add_nc_u32_e32 v5, v5, v6
; %bb.1811:
	s_or_b32 exec_lo, exec_lo, s8
	s_mov_b32 s2, 0
	s_mov_b32 s8, -1
	global_store_b8 v[0:1], v5, off
.LBB120_1812:
	s_mov_b32 s9, 0
.LBB120_1813:
	s_delay_alu instid0(SALU_CYCLE_1)
	s_and_b32 vcc_lo, exec_lo, s9
	s_cbranch_vccz .LBB120_1816
; %bb.1814:
	v_cmp_eq_u16_e32 vcc_lo, 29, v7
	s_mov_b32 s2, -1
	s_cbranch_vccz .LBB120_1816
; %bb.1815:
	v_trunc_f32_e32 v5, v2
	s_mov_b32 s2, 0
	s_mov_b32 s8, -1
	s_delay_alu instid0(VALU_DEP_1) | instskip(NEXT) | instid1(VALU_DEP_1)
	v_mul_f32_e32 v6, 0x2f800000, v5
	v_floor_f32_e32 v6, v6
	s_delay_alu instid0(VALU_DEP_1) | instskip(SKIP_1) | instid1(VALU_DEP_2)
	v_fmamk_f32 v5, v6, 0xcf800000, v5
	v_cvt_u32_f32_e32 v6, v6
	v_cvt_u32_f32_e32 v5, v5
	global_store_b64 v[0:1], v[5:6], off
.LBB120_1816:
	s_mov_b32 s9, 0
.LBB120_1817:
	s_delay_alu instid0(SALU_CYCLE_1)
	s_and_b32 vcc_lo, exec_lo, s9
	s_cbranch_vccz .LBB120_1833
; %bb.1818:
	v_cmp_gt_i16_e32 vcc_lo, 27, v7
	s_mov_b32 s8, -1
	s_cbranch_vccnz .LBB120_1824
; %bb.1819:
	v_cmp_lt_i16_e32 vcc_lo, 27, v7
	v_cvt_u32_f32_e32 v5, v2
	s_cbranch_vccz .LBB120_1821
; %bb.1820:
	s_mov_b32 s8, 0
	global_store_b32 v[0:1], v5, off
.LBB120_1821:
	s_and_not1_b32 vcc_lo, exec_lo, s8
	s_cbranch_vccnz .LBB120_1823
; %bb.1822:
	global_store_b16 v[0:1], v5, off
.LBB120_1823:
	s_mov_b32 s8, 0
.LBB120_1824:
	s_delay_alu instid0(SALU_CYCLE_1)
	s_and_not1_b32 vcc_lo, exec_lo, s8
	s_cbranch_vccnz .LBB120_1832
; %bb.1825:
	v_cndmask_b32_e64 v5, |v3|, 0x7f800000, s0
	v_mov_b32_e32 v9, 0x80
	s_mov_b32 s8, exec_lo
	s_delay_alu instid0(VALU_DEP_2) | instskip(NEXT) | instid1(VALU_DEP_1)
	v_cndmask_b32_e64 v6, v5, 1.0, s1
	v_cmpx_gt_u32_e32 0x43800000, v6
	s_cbranch_execz .LBB120_1831
; %bb.1826:
	s_mov_b32 s9, 0
	s_mov_b32 s12, exec_lo
                                        ; implicit-def: $vgpr5
	v_cmpx_lt_u32_e32 0x3bffffff, v6
	s_xor_b32 s12, exec_lo, s12
	s_cbranch_execz .LBB120_2059
; %bb.1827:
	v_bfe_u32 v5, v2, 20, 1
	s_mov_b32 s9, exec_lo
                                        ; implicit-def: $vgpr6
	s_delay_alu instid0(VALU_DEP_1) | instskip(NEXT) | instid1(VALU_DEP_1)
	v_add3_u32 v5, v2, v5, 0x487ffff
	v_lshrrev_b32_e32 v5, 20, v5
	s_or_saveexec_b32 s12, s12
                                        ; implicit-def: $sgpr13
	s_delay_alu instid0(SALU_CYCLE_1)
	s_xor_b32 exec_lo, exec_lo, s12
	s_cbranch_execnz .LBB120_2060
.LBB120_1828:
	s_or_b32 exec_lo, exec_lo, s12
	v_mov_b32_e32 v9, s13
	s_and_saveexec_b32 s12, s9
.LBB120_1829:
	v_lshrrev_b32_e32 v6, 24, v2
	s_delay_alu instid0(VALU_DEP_1)
	v_and_or_b32 v9, 0x80, v6, v5
.LBB120_1830:
	s_or_b32 exec_lo, exec_lo, s12
.LBB120_1831:
	s_delay_alu instid0(SALU_CYCLE_1)
	s_or_b32 exec_lo, exec_lo, s8
	global_store_b8 v[0:1], v9, off
.LBB120_1832:
	s_mov_b32 s8, -1
.LBB120_1833:
	s_mov_b32 s9, 0
.LBB120_1834:
	s_delay_alu instid0(SALU_CYCLE_1)
	s_and_b32 vcc_lo, exec_lo, s9
	s_cbranch_vccz .LBB120_1874
; %bb.1835:
	v_cmp_lt_i16_e32 vcc_lo, 22, v7
	s_mov_b32 s7, -1
	s_cbranch_vccz .LBB120_1867
; %bb.1836:
	v_cmp_gt_i16_e32 vcc_lo, 24, v7
	s_cbranch_vccnz .LBB120_1856
; %bb.1837:
	v_cmp_lt_i16_e32 vcc_lo, 24, v7
	s_cbranch_vccz .LBB120_1845
; %bb.1838:
	v_cndmask_b32_e64 v5, |v3|, 0x7f800000, s0
	v_mov_b32_e32 v9, 0x80
	s_mov_b32 s7, exec_lo
	s_delay_alu instid0(VALU_DEP_2) | instskip(NEXT) | instid1(VALU_DEP_1)
	v_cndmask_b32_e64 v6, v5, 1.0, s1
	v_cmpx_gt_u32_e32 0x47800000, v6
	s_cbranch_execz .LBB120_1844
; %bb.1839:
	s_mov_b32 s8, 0
	s_mov_b32 s9, exec_lo
                                        ; implicit-def: $vgpr5
	v_cmpx_lt_u32_e32 0x37ffffff, v6
	s_xor_b32 s9, exec_lo, s9
	s_cbranch_execz .LBB120_2065
; %bb.1840:
	v_bfe_u32 v5, v2, 21, 1
	s_mov_b32 s8, exec_lo
                                        ; implicit-def: $vgpr6
	s_delay_alu instid0(VALU_DEP_1) | instskip(NEXT) | instid1(VALU_DEP_1)
	v_add3_u32 v5, v2, v5, 0x88fffff
	v_lshrrev_b32_e32 v5, 21, v5
	s_or_saveexec_b32 s9, s9
                                        ; implicit-def: $sgpr12
	s_delay_alu instid0(SALU_CYCLE_1)
	s_xor_b32 exec_lo, exec_lo, s9
	s_cbranch_execnz .LBB120_2066
.LBB120_1841:
	s_or_b32 exec_lo, exec_lo, s9
	v_mov_b32_e32 v9, s12
	s_and_saveexec_b32 s9, s8
.LBB120_1842:
	v_lshrrev_b32_e32 v6, 24, v2
	s_delay_alu instid0(VALU_DEP_1)
	v_and_or_b32 v9, 0x80, v6, v5
.LBB120_1843:
	s_or_b32 exec_lo, exec_lo, s9
.LBB120_1844:
	s_delay_alu instid0(SALU_CYCLE_1)
	s_or_b32 exec_lo, exec_lo, s7
	s_mov_b32 s7, 0
	global_store_b8 v[0:1], v9, off
.LBB120_1845:
	s_and_b32 vcc_lo, exec_lo, s7
	s_cbranch_vccz .LBB120_1855
; %bb.1846:
	v_cndmask_b32_e64 v5, |v3|, 0x7f800000, s0
	s_mov_b32 s7, exec_lo
	s_delay_alu instid0(VALU_DEP_1) | instskip(NEXT) | instid1(VALU_DEP_1)
	v_cndmask_b32_e64 v6, v5, 1.0, s1
                                        ; implicit-def: $vgpr5
	v_cmpx_gt_u32_e32 0x43f00000, v6
	s_xor_b32 s7, exec_lo, s7
	s_cbranch_execz .LBB120_1852
; %bb.1847:
	s_mov_b32 s8, exec_lo
                                        ; implicit-def: $vgpr5
	v_cmpx_lt_u32_e32 0x3c7fffff, v6
	s_xor_b32 s8, exec_lo, s8
; %bb.1848:
	v_bfe_u32 v5, v2, 20, 1
	s_delay_alu instid0(VALU_DEP_1) | instskip(NEXT) | instid1(VALU_DEP_1)
	v_add3_u32 v5, v2, v5, 0x407ffff
	v_and_b32_e32 v6, 0xff00000, v5
	v_lshrrev_b32_e32 v5, 20, v5
	s_delay_alu instid0(VALU_DEP_2) | instskip(NEXT) | instid1(VALU_DEP_2)
	v_cmp_ne_u32_e32 vcc_lo, 0x7f00000, v6
                                        ; implicit-def: $vgpr6
	v_cndmask_b32_e32 v5, 0x7e, v5, vcc_lo
; %bb.1849:
	s_and_not1_saveexec_b32 s8, s8
; %bb.1850:
	v_add_f32_e32 v5, 0x46800000, v6
; %bb.1851:
	s_or_b32 exec_lo, exec_lo, s8
                                        ; implicit-def: $vgpr6
.LBB120_1852:
	s_and_not1_saveexec_b32 s7, s7
; %bb.1853:
	v_mov_b32_e32 v5, 0x7f
	v_cmp_lt_u32_e32 vcc_lo, 0x7f800000, v6
	s_delay_alu instid0(VALU_DEP_2)
	v_cndmask_b32_e32 v5, 0x7e, v5, vcc_lo
; %bb.1854:
	s_or_b32 exec_lo, exec_lo, s7
	v_lshrrev_b32_e32 v6, 24, v2
	s_delay_alu instid0(VALU_DEP_1)
	v_and_or_b32 v5, 0x80, v6, v5
	global_store_b8 v[0:1], v5, off
.LBB120_1855:
	s_mov_b32 s7, 0
.LBB120_1856:
	s_delay_alu instid0(SALU_CYCLE_1)
	s_and_not1_b32 vcc_lo, exec_lo, s7
	s_cbranch_vccnz .LBB120_1866
; %bb.1857:
	v_cndmask_b32_e64 v3, |v3|, 0x7f800000, s0
	s_mov_b32 s0, exec_lo
	s_delay_alu instid0(VALU_DEP_1) | instskip(NEXT) | instid1(VALU_DEP_1)
	v_cndmask_b32_e64 v5, v3, 1.0, s1
                                        ; implicit-def: $vgpr3
	v_cmpx_gt_u32_e32 0x47800000, v5
	s_xor_b32 s0, exec_lo, s0
	s_cbranch_execz .LBB120_1863
; %bb.1858:
	s_mov_b32 s1, exec_lo
                                        ; implicit-def: $vgpr3
	v_cmpx_lt_u32_e32 0x387fffff, v5
	s_xor_b32 s1, exec_lo, s1
; %bb.1859:
	v_bfe_u32 v3, v2, 21, 1
                                        ; implicit-def: $vgpr5
	s_delay_alu instid0(VALU_DEP_1) | instskip(NEXT) | instid1(VALU_DEP_1)
	v_add3_u32 v3, v2, v3, 0x80fffff
	v_lshrrev_b32_e32 v3, 21, v3
; %bb.1860:
	s_and_not1_saveexec_b32 s1, s1
; %bb.1861:
	v_add_f32_e32 v3, 0x43000000, v5
; %bb.1862:
	s_or_b32 exec_lo, exec_lo, s1
                                        ; implicit-def: $vgpr5
.LBB120_1863:
	s_and_not1_saveexec_b32 s0, s0
; %bb.1864:
	v_mov_b32_e32 v3, 0x7f
	v_cmp_lt_u32_e32 vcc_lo, 0x7f800000, v5
	s_delay_alu instid0(VALU_DEP_2)
	v_cndmask_b32_e32 v3, 0x7c, v3, vcc_lo
; %bb.1865:
	s_or_b32 exec_lo, exec_lo, s0
	v_lshrrev_b32_e32 v5, 24, v2
	s_delay_alu instid0(VALU_DEP_1)
	v_and_or_b32 v3, 0x80, v5, v3
	global_store_b8 v[0:1], v3, off
.LBB120_1866:
	s_mov_b32 s7, 0
	s_mov_b32 s8, -1
.LBB120_1867:
	s_and_not1_b32 vcc_lo, exec_lo, s7
	s_mov_b32 s7, 0
	s_cbranch_vccnz .LBB120_1874
; %bb.1868:
	v_cmp_lt_i16_e32 vcc_lo, 14, v7
	s_mov_b32 s0, -1
	s_cbranch_vccz .LBB120_1872
; %bb.1869:
	v_cmp_eq_u16_e32 vcc_lo, 15, v7
	s_mov_b32 s2, -1
	s_cbranch_vccz .LBB120_1871
; %bb.1870:
	v_bfe_u32 v3, v2, 16, 1
	v_cmp_o_f32_e32 vcc_lo, v2, v2
	s_mov_b32 s2, 0
	s_mov_b32 s8, -1
	s_delay_alu instid0(VALU_DEP_2) | instskip(NEXT) | instid1(VALU_DEP_1)
	v_add3_u32 v3, v2, v3, 0x7fff
	v_lshrrev_b32_e32 v3, 16, v3
	s_delay_alu instid0(VALU_DEP_1)
	v_cndmask_b32_e32 v3, 0x7fc0, v3, vcc_lo
	global_store_b16 v[0:1], v3, off
.LBB120_1871:
	s_mov_b32 s0, 0
.LBB120_1872:
	s_delay_alu instid0(SALU_CYCLE_1)
	s_and_b32 vcc_lo, exec_lo, s0
	s_cbranch_vccz .LBB120_1874
; %bb.1873:
	v_cmp_ne_u16_e64 s2, 11, v7
	s_mov_b32 s7, -1
.LBB120_1874:
	s_delay_alu instid0(VALU_DEP_1)
	s_and_b32 vcc_lo, exec_lo, s2
	s_cbranch_vccnz .LBB120_2063
; %bb.1875:
	s_and_not1_b32 vcc_lo, exec_lo, s7
	s_cbranch_vccnz .LBB120_1877
.LBB120_1876:
	v_cmp_neq_f32_e32 vcc_lo, 0, v2
	s_mov_b32 s8, -1
	v_cndmask_b32_e64 v3, 0, 1, vcc_lo
	global_store_b8 v[0:1], v3, off
.LBB120_1877:
	s_mov_b32 s0, 0
	s_branch .LBB120_1879
.LBB120_1878:
	s_mov_b32 s0, -1
	s_mov_b32 s8, 0
.LBB120_1879:
	s_and_b32 vcc_lo, exec_lo, s0
	s_cbranch_vccz .LBB120_1918
; %bb.1880:
	v_cmp_gt_i16_e32 vcc_lo, 5, v7
	s_mov_b32 s0, -1
	s_cbranch_vccnz .LBB120_1901
; %bb.1881:
	v_cmp_gt_i16_e32 vcc_lo, 8, v7
	s_cbranch_vccnz .LBB120_1891
; %bb.1882:
	v_cmp_gt_i16_e32 vcc_lo, 9, v7
	s_cbranch_vccnz .LBB120_1888
; %bb.1883:
	v_cmp_lt_i16_e32 vcc_lo, 9, v7
	s_cbranch_vccz .LBB120_1885
; %bb.1884:
	v_cvt_f64_f32_e32 v[9:10], v2
	v_mov_b32_e32 v11, 0
	s_mov_b32 s0, 0
	s_delay_alu instid0(VALU_DEP_1)
	v_mov_b32_e32 v12, v11
	global_store_b128 v[0:1], v[9:12], off
.LBB120_1885:
	s_and_not1_b32 vcc_lo, exec_lo, s0
	s_cbranch_vccnz .LBB120_1887
; %bb.1886:
	v_mov_b32_e32 v3, 0
	global_store_b64 v[0:1], v[2:3], off
.LBB120_1887:
	s_mov_b32 s0, 0
.LBB120_1888:
	s_delay_alu instid0(SALU_CYCLE_1)
	s_and_not1_b32 vcc_lo, exec_lo, s0
	s_cbranch_vccnz .LBB120_1890
; %bb.1889:
	v_cvt_f16_f32_e32 v3, v2
	s_delay_alu instid0(VALU_DEP_1)
	v_and_b32_e32 v3, 0xffff, v3
	global_store_b32 v[0:1], v3, off
.LBB120_1890:
	s_mov_b32 s0, 0
.LBB120_1891:
	s_delay_alu instid0(SALU_CYCLE_1)
	s_and_not1_b32 vcc_lo, exec_lo, s0
	s_cbranch_vccnz .LBB120_1900
; %bb.1892:
	v_cmp_gt_i16_e32 vcc_lo, 6, v7
	s_mov_b32 s0, -1
	s_cbranch_vccnz .LBB120_1898
; %bb.1893:
	v_cmp_lt_i16_e32 vcc_lo, 6, v7
	s_cbranch_vccz .LBB120_1895
; %bb.1894:
	v_cvt_f64_f32_e32 v[5:6], v2
	s_mov_b32 s0, 0
	global_store_b64 v[0:1], v[5:6], off
.LBB120_1895:
	s_and_not1_b32 vcc_lo, exec_lo, s0
	s_cbranch_vccnz .LBB120_1897
; %bb.1896:
	global_store_b32 v[0:1], v2, off
.LBB120_1897:
	s_mov_b32 s0, 0
.LBB120_1898:
	s_delay_alu instid0(SALU_CYCLE_1)
	s_and_not1_b32 vcc_lo, exec_lo, s0
	s_cbranch_vccnz .LBB120_1900
; %bb.1899:
	v_cvt_f16_f32_e32 v3, v2
	global_store_b16 v[0:1], v3, off
.LBB120_1900:
	s_mov_b32 s0, 0
.LBB120_1901:
	s_delay_alu instid0(SALU_CYCLE_1)
	s_and_not1_b32 vcc_lo, exec_lo, s0
	s_cbranch_vccnz .LBB120_1917
; %bb.1902:
	v_cmp_gt_i16_e32 vcc_lo, 2, v7
	s_mov_b32 s0, -1
	s_cbranch_vccnz .LBB120_1912
; %bb.1903:
	v_cmp_gt_i16_e32 vcc_lo, 3, v7
	s_cbranch_vccnz .LBB120_1909
; %bb.1904:
	v_cmp_lt_i16_e32 vcc_lo, 3, v7
	s_cbranch_vccz .LBB120_1906
; %bb.1905:
	v_trunc_f32_e32 v3, v2
	s_mov_b32 s0, 0
	s_delay_alu instid0(VALU_DEP_1) | instskip(NEXT) | instid1(VALU_DEP_1)
	v_mul_f32_e64 v5, 0x2f800000, |v3|
	v_floor_f32_e32 v5, v5
	s_delay_alu instid0(VALU_DEP_1) | instskip(SKIP_2) | instid1(VALU_DEP_3)
	v_fma_f32 v6, 0xcf800000, v5, |v3|
	v_ashrrev_i32_e32 v3, 31, v3
	v_cvt_u32_f32_e32 v5, v5
	v_cvt_u32_f32_e32 v6, v6
	s_delay_alu instid0(VALU_DEP_2) | instskip(NEXT) | instid1(VALU_DEP_2)
	v_xor_b32_e32 v9, v5, v3
	v_xor_b32_e32 v6, v6, v3
	s_delay_alu instid0(VALU_DEP_1) | instskip(NEXT) | instid1(VALU_DEP_3)
	v_sub_co_u32 v5, vcc_lo, v6, v3
	v_sub_co_ci_u32_e32 v6, vcc_lo, v9, v3, vcc_lo
	global_store_b64 v[0:1], v[5:6], off
.LBB120_1906:
	s_and_not1_b32 vcc_lo, exec_lo, s0
	s_cbranch_vccnz .LBB120_1908
; %bb.1907:
	v_cvt_i32_f32_e32 v3, v2
	global_store_b32 v[0:1], v3, off
.LBB120_1908:
	s_mov_b32 s0, 0
.LBB120_1909:
	s_delay_alu instid0(SALU_CYCLE_1)
	s_and_not1_b32 vcc_lo, exec_lo, s0
	s_cbranch_vccnz .LBB120_1911
; %bb.1910:
	v_cvt_i32_f32_e32 v3, v2
	global_store_b16 v[0:1], v3, off
.LBB120_1911:
	s_mov_b32 s0, 0
.LBB120_1912:
	s_delay_alu instid0(SALU_CYCLE_1)
	s_and_not1_b32 vcc_lo, exec_lo, s0
	s_cbranch_vccnz .LBB120_1917
; %bb.1913:
	v_cmp_lt_i16_e32 vcc_lo, 0, v7
	s_mov_b32 s0, -1
	s_cbranch_vccz .LBB120_1915
; %bb.1914:
	v_cvt_i32_f32_e32 v3, v2
	s_mov_b32 s0, 0
	global_store_b8 v[0:1], v3, off
.LBB120_1915:
	s_and_not1_b32 vcc_lo, exec_lo, s0
	s_cbranch_vccnz .LBB120_1917
; %bb.1916:
	v_trunc_f32_e32 v2, v2
	s_delay_alu instid0(VALU_DEP_1) | instskip(NEXT) | instid1(VALU_DEP_1)
	v_mul_f32_e64 v3, 0x2f800000, |v2|
	v_floor_f32_e32 v3, v3
	s_delay_alu instid0(VALU_DEP_1) | instskip(SKIP_1) | instid1(VALU_DEP_2)
	v_fma_f32 v3, 0xcf800000, v3, |v2|
	v_ashrrev_i32_e32 v2, 31, v2
	v_cvt_u32_f32_e32 v3, v3
	s_delay_alu instid0(VALU_DEP_1) | instskip(NEXT) | instid1(VALU_DEP_1)
	v_xor_b32_e32 v3, v3, v2
	v_sub_nc_u32_e32 v2, v3, v2
	global_store_b8 v[0:1], v2, off
.LBB120_1917:
	s_mov_b32 s8, -1
.LBB120_1918:
	s_delay_alu instid0(SALU_CYCLE_1)
	s_and_not1_b32 vcc_lo, exec_lo, s8
	s_cbranch_vccnz .LBB120_1995
; %bb.1919:
	v_mul_f32_e32 v0, 0x3fb8aa3b, v8
	s_mov_b32 s0, 0x395133b1
	s_delay_alu instid0(VALU_DEP_1) | instskip(NEXT) | instid1(VALU_DEP_1)
	v_rndne_f32_e32 v0, v0
	v_fmamk_f32 v1, v0, 0xbf317218, v8
	v_cvt_i32_f32_e32 v3, v0
	v_cmp_eq_f32_e32 vcc_lo, 0x43000000, v0
	s_delay_alu instid0(VALU_DEP_3) | instskip(NEXT) | instid1(VALU_DEP_3)
	v_fmamk_f32 v1, v0, 0x3102e308, v1
	v_cndmask_b32_e64 v0, v3, 0x7f, vcc_lo
	s_delay_alu instid0(VALU_DEP_1) | instskip(NEXT) | instid1(VALU_DEP_3)
	v_ldexp_f32 v0, 1.0, v0
	v_fmaak_f32 v2, s0, v1, 0x3ab69700
	v_cmp_lt_f32_e64 s0, 0x42b17217, v8
	s_delay_alu instid0(VALU_DEP_2) | instskip(NEXT) | instid1(VALU_DEP_1)
	v_dual_add_f32 v3, -1.0, v0 :: v_dual_fmaak_f32 v2, v1, v2, 0x3c0887f9
	v_fmaak_f32 v2, v1, v2, 0x3d2aaa81
	s_delay_alu instid0(VALU_DEP_1) | instskip(NEXT) | instid1(VALU_DEP_1)
	v_fmaak_f32 v2, v1, v2, 0x3e2aaaab
	v_fma_f32 v2, v1, v2, 0.5
	s_delay_alu instid0(VALU_DEP_1) | instskip(NEXT) | instid1(VALU_DEP_1)
	v_mul_f32_e32 v2, v1, v2
	v_fmac_f32_e32 v1, v1, v2
	s_delay_alu instid0(VALU_DEP_1) | instskip(NEXT) | instid1(VALU_DEP_1)
	v_fmac_f32_e32 v3, v0, v1
	v_dual_add_f32 v0, v3, v3 :: v_dual_add_nc_u32 v1, s6, v4
	s_delay_alu instid0(VALU_DEP_1) | instskip(NEXT) | instid1(VALU_DEP_2)
	v_ashrrev_i32_e32 v2, 31, v1
	v_cndmask_b32_e32 v3, v3, v0, vcc_lo
	v_add_co_u32 v0, s1, s4, v1
	s_delay_alu instid0(VALU_DEP_1) | instskip(NEXT) | instid1(VALU_DEP_3)
	v_add_co_ci_u32_e64 v1, s1, s5, v2, s1
	v_cndmask_b32_e64 v4, v3, 0x7f800000, s0
	v_cmp_gt_f32_e64 s1, 0xc1880000, v8
	v_cmp_gt_i16_e32 vcc_lo, 11, v7
	s_delay_alu instid0(VALU_DEP_2)
	v_cndmask_b32_e64 v2, v4, -1.0, s1
	s_cbranch_vccnz .LBB120_2040
; %bb.1920:
	v_cmp_lt_i16_e32 vcc_lo, 25, v7
	s_mov_b32 s5, -1
	s_mov_b32 s4, 0
	s_mov_b32 s2, 0
	s_cbranch_vccz .LBB120_1953
; %bb.1921:
	v_cmp_lt_i16_e32 vcc_lo, 28, v7
	s_cbranch_vccz .LBB120_1937
; %bb.1922:
	v_cmp_lt_i16_e32 vcc_lo, 43, v7
	;; [unrolled: 3-line block ×3, first 2 shown]
	s_cbranch_vccz .LBB120_1927
; %bb.1924:
	v_cmp_eq_u16_e32 vcc_lo, 46, v7
	s_mov_b32 s2, -1
	s_cbranch_vccz .LBB120_1926
; %bb.1925:
	v_bfe_u32 v4, v2, 16, 1
	v_cmp_o_f32_e32 vcc_lo, v2, v2
	s_mov_b32 s2, 0
	s_delay_alu instid0(VALU_DEP_2) | instskip(NEXT) | instid1(VALU_DEP_1)
	v_add3_u32 v4, v2, v4, 0x7fff
	v_lshrrev_b32_e32 v4, 16, v4
	s_delay_alu instid0(VALU_DEP_1)
	v_cndmask_b32_e32 v4, 0x7fc0, v4, vcc_lo
	global_store_b32 v[0:1], v4, off
.LBB120_1926:
	s_mov_b32 s5, 0
.LBB120_1927:
	s_delay_alu instid0(SALU_CYCLE_1)
	s_and_b32 vcc_lo, exec_lo, s5
	s_cbranch_vccz .LBB120_1932
; %bb.1928:
	v_cmp_eq_u16_e32 vcc_lo, 44, v7
	s_mov_b32 s2, -1
	s_cbranch_vccz .LBB120_1932
; %bb.1929:
	v_bfe_u32 v5, v2, 23, 8
	v_mov_b32_e32 v4, 0xff
	s_mov_b32 s5, exec_lo
	s_delay_alu instid0(VALU_DEP_2)
	v_cmpx_ne_u32_e32 0xff, v5
; %bb.1930:
	v_and_b32_e32 v4, 0x400000, v2
	v_and_or_b32 v5, 0x3fffff, v2, v5
	s_delay_alu instid0(VALU_DEP_2) | instskip(NEXT) | instid1(VALU_DEP_2)
	v_cmp_ne_u32_e32 vcc_lo, 0, v4
	v_cmp_ne_u32_e64 s2, 0, v5
	v_lshrrev_b32_e32 v4, 23, v2
	s_delay_alu instid0(VALU_DEP_2) | instskip(NEXT) | instid1(SALU_CYCLE_1)
	s_and_b32 s2, vcc_lo, s2
	v_cndmask_b32_e64 v5, 0, 1, s2
	s_delay_alu instid0(VALU_DEP_1)
	v_add_nc_u32_e32 v4, v4, v5
; %bb.1931:
	s_or_b32 exec_lo, exec_lo, s5
	s_mov_b32 s2, 0
	global_store_b8 v[0:1], v4, off
.LBB120_1932:
	s_mov_b32 s5, 0
.LBB120_1933:
	s_delay_alu instid0(SALU_CYCLE_1)
	s_and_b32 vcc_lo, exec_lo, s5
	s_cbranch_vccz .LBB120_1936
; %bb.1934:
	v_cmp_eq_u16_e32 vcc_lo, 29, v7
	s_mov_b32 s2, -1
	s_cbranch_vccz .LBB120_1936
; %bb.1935:
	v_trunc_f32_e32 v4, v2
	s_mov_b32 s2, 0
	s_delay_alu instid0(VALU_DEP_1) | instskip(NEXT) | instid1(VALU_DEP_1)
	v_mul_f32_e32 v5, 0x2f800000, v4
	v_floor_f32_e32 v5, v5
	s_delay_alu instid0(VALU_DEP_1) | instskip(SKIP_1) | instid1(VALU_DEP_2)
	v_fmamk_f32 v4, v5, 0xcf800000, v4
	v_cvt_u32_f32_e32 v5, v5
	v_cvt_u32_f32_e32 v4, v4
	global_store_b64 v[0:1], v[4:5], off
.LBB120_1936:
	s_mov_b32 s5, 0
.LBB120_1937:
	s_delay_alu instid0(SALU_CYCLE_1)
	s_and_b32 vcc_lo, exec_lo, s5
	s_cbranch_vccz .LBB120_1952
; %bb.1938:
	v_cmp_gt_i16_e32 vcc_lo, 27, v7
	s_mov_b32 s5, -1
	s_cbranch_vccnz .LBB120_1944
; %bb.1939:
	v_cmp_lt_i16_e32 vcc_lo, 27, v7
	v_cvt_u32_f32_e32 v4, v2
	s_cbranch_vccz .LBB120_1941
; %bb.1940:
	s_mov_b32 s5, 0
	global_store_b32 v[0:1], v4, off
.LBB120_1941:
	s_and_not1_b32 vcc_lo, exec_lo, s5
	s_cbranch_vccnz .LBB120_1943
; %bb.1942:
	global_store_b16 v[0:1], v4, off
.LBB120_1943:
	s_mov_b32 s5, 0
.LBB120_1944:
	s_delay_alu instid0(SALU_CYCLE_1)
	s_and_not1_b32 vcc_lo, exec_lo, s5
	s_cbranch_vccnz .LBB120_1952
; %bb.1945:
	v_cndmask_b32_e64 v4, |v3|, 0x7f800000, s0
	v_mov_b32_e32 v6, 0x80
	s_mov_b32 s5, exec_lo
	s_delay_alu instid0(VALU_DEP_2) | instskip(NEXT) | instid1(VALU_DEP_1)
	v_cndmask_b32_e64 v5, v4, 1.0, s1
	v_cmpx_gt_u32_e32 0x43800000, v5
	s_cbranch_execz .LBB120_1951
; %bb.1946:
	s_mov_b32 s6, 0
	s_mov_b32 s7, exec_lo
                                        ; implicit-def: $vgpr4
	v_cmpx_lt_u32_e32 0x3bffffff, v5
	s_xor_b32 s7, exec_lo, s7
	s_cbranch_execz .LBB120_2067
; %bb.1947:
	v_bfe_u32 v4, v2, 20, 1
	s_mov_b32 s6, exec_lo
                                        ; implicit-def: $vgpr5
	s_delay_alu instid0(VALU_DEP_1) | instskip(NEXT) | instid1(VALU_DEP_1)
	v_add3_u32 v4, v2, v4, 0x487ffff
	v_lshrrev_b32_e32 v4, 20, v4
	s_or_saveexec_b32 s7, s7
                                        ; implicit-def: $sgpr8
	s_delay_alu instid0(SALU_CYCLE_1)
	s_xor_b32 exec_lo, exec_lo, s7
	s_cbranch_execnz .LBB120_2068
.LBB120_1948:
	s_or_b32 exec_lo, exec_lo, s7
	v_mov_b32_e32 v6, s8
	s_and_saveexec_b32 s7, s6
.LBB120_1949:
	v_lshrrev_b32_e32 v5, 24, v2
	s_delay_alu instid0(VALU_DEP_1)
	v_and_or_b32 v6, 0x80, v5, v4
.LBB120_1950:
	s_or_b32 exec_lo, exec_lo, s7
.LBB120_1951:
	s_delay_alu instid0(SALU_CYCLE_1)
	s_or_b32 exec_lo, exec_lo, s5
	global_store_b8 v[0:1], v6, off
.LBB120_1952:
	s_mov_b32 s5, 0
.LBB120_1953:
	s_delay_alu instid0(SALU_CYCLE_1)
	s_and_b32 vcc_lo, exec_lo, s5
	s_cbranch_vccz .LBB120_1993
; %bb.1954:
	v_cmp_lt_i16_e32 vcc_lo, 22, v7
	s_mov_b32 s4, -1
	s_cbranch_vccz .LBB120_1986
; %bb.1955:
	v_cmp_gt_i16_e32 vcc_lo, 24, v7
	s_cbranch_vccnz .LBB120_1975
; %bb.1956:
	v_cmp_lt_i16_e32 vcc_lo, 24, v7
	s_cbranch_vccz .LBB120_1964
; %bb.1957:
	v_cndmask_b32_e64 v4, |v3|, 0x7f800000, s0
	v_mov_b32_e32 v6, 0x80
	s_mov_b32 s4, exec_lo
	s_delay_alu instid0(VALU_DEP_2) | instskip(NEXT) | instid1(VALU_DEP_1)
	v_cndmask_b32_e64 v5, v4, 1.0, s1
	v_cmpx_gt_u32_e32 0x47800000, v5
	s_cbranch_execz .LBB120_1963
; %bb.1958:
	s_mov_b32 s5, 0
	s_mov_b32 s6, exec_lo
                                        ; implicit-def: $vgpr4
	v_cmpx_lt_u32_e32 0x37ffffff, v5
	s_xor_b32 s6, exec_lo, s6
	s_cbranch_execz .LBB120_2073
; %bb.1959:
	v_bfe_u32 v4, v2, 21, 1
	s_mov_b32 s5, exec_lo
                                        ; implicit-def: $vgpr5
	s_delay_alu instid0(VALU_DEP_1) | instskip(NEXT) | instid1(VALU_DEP_1)
	v_add3_u32 v4, v2, v4, 0x88fffff
	v_lshrrev_b32_e32 v4, 21, v4
	s_or_saveexec_b32 s6, s6
                                        ; implicit-def: $sgpr7
	s_delay_alu instid0(SALU_CYCLE_1)
	s_xor_b32 exec_lo, exec_lo, s6
	s_cbranch_execnz .LBB120_2074
.LBB120_1960:
	s_or_b32 exec_lo, exec_lo, s6
	v_mov_b32_e32 v6, s7
	s_and_saveexec_b32 s6, s5
.LBB120_1961:
	v_lshrrev_b32_e32 v5, 24, v2
	s_delay_alu instid0(VALU_DEP_1)
	v_and_or_b32 v6, 0x80, v5, v4
.LBB120_1962:
	s_or_b32 exec_lo, exec_lo, s6
.LBB120_1963:
	s_delay_alu instid0(SALU_CYCLE_1)
	s_or_b32 exec_lo, exec_lo, s4
	s_mov_b32 s4, 0
	global_store_b8 v[0:1], v6, off
.LBB120_1964:
	s_and_b32 vcc_lo, exec_lo, s4
	s_cbranch_vccz .LBB120_1974
; %bb.1965:
	v_cndmask_b32_e64 v4, |v3|, 0x7f800000, s0
	s_mov_b32 s4, exec_lo
	s_delay_alu instid0(VALU_DEP_1) | instskip(NEXT) | instid1(VALU_DEP_1)
	v_cndmask_b32_e64 v5, v4, 1.0, s1
                                        ; implicit-def: $vgpr4
	v_cmpx_gt_u32_e32 0x43f00000, v5
	s_xor_b32 s4, exec_lo, s4
	s_cbranch_execz .LBB120_1971
; %bb.1966:
	s_mov_b32 s5, exec_lo
                                        ; implicit-def: $vgpr4
	v_cmpx_lt_u32_e32 0x3c7fffff, v5
	s_xor_b32 s5, exec_lo, s5
; %bb.1967:
	v_bfe_u32 v4, v2, 20, 1
	s_delay_alu instid0(VALU_DEP_1) | instskip(NEXT) | instid1(VALU_DEP_1)
	v_add3_u32 v4, v2, v4, 0x407ffff
	v_and_b32_e32 v5, 0xff00000, v4
	v_lshrrev_b32_e32 v4, 20, v4
	s_delay_alu instid0(VALU_DEP_2) | instskip(NEXT) | instid1(VALU_DEP_2)
	v_cmp_ne_u32_e32 vcc_lo, 0x7f00000, v5
                                        ; implicit-def: $vgpr5
	v_cndmask_b32_e32 v4, 0x7e, v4, vcc_lo
; %bb.1968:
	s_and_not1_saveexec_b32 s5, s5
; %bb.1969:
	v_add_f32_e32 v4, 0x46800000, v5
; %bb.1970:
	s_or_b32 exec_lo, exec_lo, s5
                                        ; implicit-def: $vgpr5
.LBB120_1971:
	s_and_not1_saveexec_b32 s4, s4
; %bb.1972:
	v_mov_b32_e32 v4, 0x7f
	v_cmp_lt_u32_e32 vcc_lo, 0x7f800000, v5
	s_delay_alu instid0(VALU_DEP_2)
	v_cndmask_b32_e32 v4, 0x7e, v4, vcc_lo
; %bb.1973:
	s_or_b32 exec_lo, exec_lo, s4
	v_lshrrev_b32_e32 v5, 24, v2
	s_delay_alu instid0(VALU_DEP_1)
	v_and_or_b32 v4, 0x80, v5, v4
	global_store_b8 v[0:1], v4, off
.LBB120_1974:
	s_mov_b32 s4, 0
.LBB120_1975:
	s_delay_alu instid0(SALU_CYCLE_1)
	s_and_not1_b32 vcc_lo, exec_lo, s4
	s_cbranch_vccnz .LBB120_1985
; %bb.1976:
	v_cndmask_b32_e64 v3, |v3|, 0x7f800000, s0
	s_mov_b32 s0, exec_lo
	s_delay_alu instid0(VALU_DEP_1) | instskip(NEXT) | instid1(VALU_DEP_1)
	v_cndmask_b32_e64 v4, v3, 1.0, s1
                                        ; implicit-def: $vgpr3
	v_cmpx_gt_u32_e32 0x47800000, v4
	s_xor_b32 s0, exec_lo, s0
	s_cbranch_execz .LBB120_1982
; %bb.1977:
	s_mov_b32 s1, exec_lo
                                        ; implicit-def: $vgpr3
	v_cmpx_lt_u32_e32 0x387fffff, v4
	s_xor_b32 s1, exec_lo, s1
; %bb.1978:
	v_bfe_u32 v3, v2, 21, 1
                                        ; implicit-def: $vgpr4
	s_delay_alu instid0(VALU_DEP_1) | instskip(NEXT) | instid1(VALU_DEP_1)
	v_add3_u32 v3, v2, v3, 0x80fffff
	v_lshrrev_b32_e32 v3, 21, v3
; %bb.1979:
	s_and_not1_saveexec_b32 s1, s1
; %bb.1980:
	v_add_f32_e32 v3, 0x43000000, v4
; %bb.1981:
	s_or_b32 exec_lo, exec_lo, s1
                                        ; implicit-def: $vgpr4
.LBB120_1982:
	s_and_not1_saveexec_b32 s0, s0
; %bb.1983:
	v_mov_b32_e32 v3, 0x7f
	v_cmp_lt_u32_e32 vcc_lo, 0x7f800000, v4
	s_delay_alu instid0(VALU_DEP_2)
	v_cndmask_b32_e32 v3, 0x7c, v3, vcc_lo
; %bb.1984:
	s_or_b32 exec_lo, exec_lo, s0
	v_lshrrev_b32_e32 v4, 24, v2
	s_delay_alu instid0(VALU_DEP_1)
	v_and_or_b32 v3, 0x80, v4, v3
	global_store_b8 v[0:1], v3, off
.LBB120_1985:
	s_mov_b32 s4, 0
.LBB120_1986:
	s_delay_alu instid0(SALU_CYCLE_1)
	s_and_not1_b32 vcc_lo, exec_lo, s4
	s_mov_b32 s4, 0
	s_cbranch_vccnz .LBB120_1993
; %bb.1987:
	v_cmp_lt_i16_e32 vcc_lo, 14, v7
	s_mov_b32 s0, -1
	s_cbranch_vccz .LBB120_1991
; %bb.1988:
	v_cmp_eq_u16_e32 vcc_lo, 15, v7
	s_mov_b32 s2, -1
	s_cbranch_vccz .LBB120_1990
; %bb.1989:
	v_bfe_u32 v3, v2, 16, 1
	v_cmp_o_f32_e32 vcc_lo, v2, v2
	s_mov_b32 s2, 0
	s_delay_alu instid0(VALU_DEP_2) | instskip(NEXT) | instid1(VALU_DEP_1)
	v_add3_u32 v3, v2, v3, 0x7fff
	v_lshrrev_b32_e32 v3, 16, v3
	s_delay_alu instid0(VALU_DEP_1)
	v_cndmask_b32_e32 v3, 0x7fc0, v3, vcc_lo
	global_store_b16 v[0:1], v3, off
.LBB120_1990:
	s_mov_b32 s0, 0
.LBB120_1991:
	s_delay_alu instid0(SALU_CYCLE_1)
	s_and_b32 vcc_lo, exec_lo, s0
	s_cbranch_vccz .LBB120_1993
; %bb.1992:
	v_cmp_ne_u16_e64 s2, 11, v7
	s_mov_b32 s4, -1
.LBB120_1993:
	s_delay_alu instid0(VALU_DEP_1)
	s_and_b32 vcc_lo, exec_lo, s2
	s_cbranch_vccnz .LBB120_2071
.LBB120_1994:
	s_mov_b32 s0, 0
	s_branch .LBB120_1996
.LBB120_1995:
	s_mov_b32 s0, 0
	s_mov_b32 s4, 0
                                        ; implicit-def: $vgpr7
                                        ; implicit-def: $vgpr0_vgpr1
                                        ; implicit-def: $vgpr2
.LBB120_1996:
	s_and_not1_b32 s1, s11, exec_lo
	s_and_b32 s2, s3, exec_lo
	s_and_b32 s0, s0, exec_lo
	;; [unrolled: 1-line block ×3, first 2 shown]
	s_or_b32 s11, s1, s2
.LBB120_1997:
	s_or_b32 exec_lo, exec_lo, s10
	s_and_saveexec_b32 s1, s11
	s_cbranch_execz .LBB120_2000
; %bb.1998:
	; divergent unreachable
	s_or_b32 exec_lo, exec_lo, s1
	s_and_saveexec_b32 s1, s3
	s_delay_alu instid0(SALU_CYCLE_1)
	s_xor_b32 s1, exec_lo, s1
	s_cbranch_execnz .LBB120_2001
.LBB120_1999:
	s_or_b32 exec_lo, exec_lo, s1
	s_and_saveexec_b32 s1, s0
	s_cbranch_execnz .LBB120_2002
	s_branch .LBB120_2039
.LBB120_2000:
	s_or_b32 exec_lo, exec_lo, s1
	s_and_saveexec_b32 s1, s3
	s_delay_alu instid0(SALU_CYCLE_1)
	s_xor_b32 s1, exec_lo, s1
	s_cbranch_execz .LBB120_1999
.LBB120_2001:
	s_waitcnt vmcnt(0)
	v_cmp_neq_f32_e32 vcc_lo, 0, v2
	v_cndmask_b32_e64 v3, 0, 1, vcc_lo
	global_store_b8 v[0:1], v3, off
	s_or_b32 exec_lo, exec_lo, s1
	s_and_saveexec_b32 s1, s0
	s_cbranch_execz .LBB120_2039
.LBB120_2002:
	v_cmp_gt_i16_e32 vcc_lo, 5, v7
	s_mov_b32 s0, -1
	s_cbranch_vccnz .LBB120_2023
; %bb.2003:
	v_cmp_gt_i16_e32 vcc_lo, 8, v7
	s_cbranch_vccnz .LBB120_2013
; %bb.2004:
	v_cmp_gt_i16_e32 vcc_lo, 9, v7
	s_cbranch_vccnz .LBB120_2010
; %bb.2005:
	v_cmp_lt_i16_e32 vcc_lo, 9, v7
	s_cbranch_vccz .LBB120_2007
; %bb.2006:
	s_waitcnt vmcnt(0)
	v_cvt_f64_f32_e32 v[3:4], v2
	v_mov_b32_e32 v5, 0
	s_mov_b32 s0, 0
	s_delay_alu instid0(VALU_DEP_1)
	v_mov_b32_e32 v6, v5
	global_store_b128 v[0:1], v[3:6], off
.LBB120_2007:
	s_and_not1_b32 vcc_lo, exec_lo, s0
	s_cbranch_vccnz .LBB120_2009
; %bb.2008:
	s_waitcnt vmcnt(0)
	v_mov_b32_e32 v3, 0
	global_store_b64 v[0:1], v[2:3], off
.LBB120_2009:
	s_mov_b32 s0, 0
.LBB120_2010:
	s_delay_alu instid0(SALU_CYCLE_1)
	s_and_not1_b32 vcc_lo, exec_lo, s0
	s_cbranch_vccnz .LBB120_2012
; %bb.2011:
	s_waitcnt vmcnt(0)
	v_cvt_f16_f32_e32 v3, v2
	s_delay_alu instid0(VALU_DEP_1)
	v_and_b32_e32 v3, 0xffff, v3
	global_store_b32 v[0:1], v3, off
.LBB120_2012:
	s_mov_b32 s0, 0
.LBB120_2013:
	s_delay_alu instid0(SALU_CYCLE_1)
	s_and_not1_b32 vcc_lo, exec_lo, s0
	s_cbranch_vccnz .LBB120_2022
; %bb.2014:
	v_cmp_gt_i16_e32 vcc_lo, 6, v7
	s_mov_b32 s0, -1
	s_cbranch_vccnz .LBB120_2020
; %bb.2015:
	v_cmp_lt_i16_e32 vcc_lo, 6, v7
	s_cbranch_vccz .LBB120_2017
; %bb.2016:
	s_waitcnt vmcnt(0)
	v_cvt_f64_f32_e32 v[3:4], v2
	s_mov_b32 s0, 0
	global_store_b64 v[0:1], v[3:4], off
.LBB120_2017:
	s_and_not1_b32 vcc_lo, exec_lo, s0
	s_cbranch_vccnz .LBB120_2019
; %bb.2018:
	s_waitcnt vmcnt(0)
	global_store_b32 v[0:1], v2, off
.LBB120_2019:
	s_mov_b32 s0, 0
.LBB120_2020:
	s_delay_alu instid0(SALU_CYCLE_1)
	s_and_not1_b32 vcc_lo, exec_lo, s0
	s_cbranch_vccnz .LBB120_2022
; %bb.2021:
	s_waitcnt vmcnt(0)
	v_cvt_f16_f32_e32 v3, v2
	global_store_b16 v[0:1], v3, off
.LBB120_2022:
	s_mov_b32 s0, 0
.LBB120_2023:
	s_delay_alu instid0(SALU_CYCLE_1)
	s_and_not1_b32 vcc_lo, exec_lo, s0
	s_cbranch_vccnz .LBB120_2039
; %bb.2024:
	v_cmp_gt_i16_e32 vcc_lo, 2, v7
	s_mov_b32 s0, -1
	s_cbranch_vccnz .LBB120_2034
; %bb.2025:
	v_cmp_gt_i16_e32 vcc_lo, 3, v7
	s_cbranch_vccnz .LBB120_2031
; %bb.2026:
	v_cmp_lt_i16_e32 vcc_lo, 3, v7
	s_cbranch_vccz .LBB120_2028
; %bb.2027:
	s_waitcnt vmcnt(0)
	v_trunc_f32_e32 v3, v2
	s_mov_b32 s0, 0
	s_delay_alu instid0(VALU_DEP_1) | instskip(SKIP_1) | instid1(VALU_DEP_2)
	v_mul_f32_e64 v4, 0x2f800000, |v3|
	v_ashrrev_i32_e32 v6, 31, v3
	v_floor_f32_e32 v4, v4
	s_delay_alu instid0(VALU_DEP_1) | instskip(SKIP_1) | instid1(VALU_DEP_2)
	v_fma_f32 v5, 0xcf800000, v4, |v3|
	v_cvt_u32_f32_e32 v4, v4
	v_cvt_u32_f32_e32 v3, v5
	s_delay_alu instid0(VALU_DEP_2) | instskip(NEXT) | instid1(VALU_DEP_2)
	v_xor_b32_e32 v4, v4, v6
	v_xor_b32_e32 v3, v3, v6
	s_delay_alu instid0(VALU_DEP_1) | instskip(NEXT) | instid1(VALU_DEP_3)
	v_sub_co_u32 v3, vcc_lo, v3, v6
	v_sub_co_ci_u32_e32 v4, vcc_lo, v4, v6, vcc_lo
	global_store_b64 v[0:1], v[3:4], off
.LBB120_2028:
	s_and_not1_b32 vcc_lo, exec_lo, s0
	s_cbranch_vccnz .LBB120_2030
; %bb.2029:
	s_waitcnt vmcnt(0)
	v_cvt_i32_f32_e32 v3, v2
	global_store_b32 v[0:1], v3, off
.LBB120_2030:
	s_mov_b32 s0, 0
.LBB120_2031:
	s_delay_alu instid0(SALU_CYCLE_1)
	s_and_not1_b32 vcc_lo, exec_lo, s0
	s_cbranch_vccnz .LBB120_2033
; %bb.2032:
	s_waitcnt vmcnt(0)
	v_cvt_i32_f32_e32 v3, v2
	global_store_b16 v[0:1], v3, off
.LBB120_2033:
	s_mov_b32 s0, 0
.LBB120_2034:
	s_delay_alu instid0(SALU_CYCLE_1)
	s_and_not1_b32 vcc_lo, exec_lo, s0
	s_cbranch_vccnz .LBB120_2039
; %bb.2035:
	v_cmp_lt_i16_e32 vcc_lo, 0, v7
	s_mov_b32 s0, -1
	s_cbranch_vccz .LBB120_2037
; %bb.2036:
	s_waitcnt vmcnt(0)
	v_cvt_i32_f32_e32 v3, v2
	s_mov_b32 s0, 0
	global_store_b8 v[0:1], v3, off
.LBB120_2037:
	s_and_not1_b32 vcc_lo, exec_lo, s0
	s_cbranch_vccnz .LBB120_2039
; %bb.2038:
	s_waitcnt vmcnt(0)
	v_trunc_f32_e32 v2, v2
	s_delay_alu instid0(VALU_DEP_1) | instskip(NEXT) | instid1(VALU_DEP_1)
	v_mul_f32_e64 v3, 0x2f800000, |v2|
	v_floor_f32_e32 v3, v3
	s_delay_alu instid0(VALU_DEP_1) | instskip(SKIP_1) | instid1(VALU_DEP_2)
	v_fma_f32 v3, 0xcf800000, v3, |v2|
	v_ashrrev_i32_e32 v2, 31, v2
	v_cvt_u32_f32_e32 v3, v3
	s_delay_alu instid0(VALU_DEP_1) | instskip(NEXT) | instid1(VALU_DEP_1)
	v_xor_b32_e32 v3, v3, v2
	v_sub_nc_u32_e32 v2, v3, v2
	global_store_b8 v[0:1], v2, off
	s_nop 0
	s_sendmsg sendmsg(MSG_DEALLOC_VGPRS)
	s_endpgm
.LBB120_2039:
	s_nop 0
	s_sendmsg sendmsg(MSG_DEALLOC_VGPRS)
	s_endpgm
.LBB120_2040:
	s_mov_b32 s4, 0
	s_mov_b32 s0, -1
	s_branch .LBB120_1996
.LBB120_2041:
	s_cbranch_execnz .LBB120_2045
; %bb.2042:
	s_or_b32 s3, s3, exec_lo
                                        ; implicit-def: $vgpr8
	s_cbranch_execz .LBB120_1510
	s_branch .LBB120_1511
.LBB120_2043:
	s_or_saveexec_b32 s12, s12
                                        ; implicit-def: $sgpr13
	s_delay_alu instid0(SALU_CYCLE_1)
	s_xor_b32 exec_lo, exec_lo, s12
	s_cbranch_execz .LBB120_1590
.LBB120_2044:
	v_add_f32_e32 v4, 0x46000000, v6
	s_and_not1_b32 s9, s9, exec_lo
	s_mov_b32 s13, 0
	s_delay_alu instid0(VALU_DEP_1) | instskip(NEXT) | instid1(VALU_DEP_1)
	v_and_b32_e32 v4, 0xff, v4
	v_cmp_ne_u32_e32 vcc_lo, 0, v4
	s_and_b32 s14, vcc_lo, exec_lo
	s_delay_alu instid0(SALU_CYCLE_1)
	s_or_b32 s9, s9, s14
	s_or_b32 exec_lo, exec_lo, s12
	v_mov_b32_e32 v11, s13
	s_and_saveexec_b32 s12, s9
	s_cbranch_execnz .LBB120_1591
	s_branch .LBB120_1592
.LBB120_2045:
	s_trap 2
	s_sendmsg_rtn_b32 s0, sendmsg(MSG_RTN_GET_DOORBELL)
	s_mov_b32 ttmp2, m0
	s_waitcnt lgkmcnt(0)
	s_and_b32 s0, s0, 0x3ff
	s_delay_alu instid0(SALU_CYCLE_1) | instskip(NEXT) | instid1(SALU_CYCLE_1)
	s_bitset1_b32 s0, 10
	s_mov_b32 m0, s0
	s_sendmsg sendmsg(MSG_INTERRUPT)
	s_mov_b32 m0, ttmp2
.LBB120_2046:                           ; =>This Inner Loop Header: Depth=1
	s_sethalt 5
	s_branch .LBB120_2046
.LBB120_2047:
	s_cbranch_execnz .LBB120_2053
; %bb.2048:
	s_or_b32 s3, s3, exec_lo
	s_cbranch_execz .LBB120_1638
	s_branch .LBB120_1639
.LBB120_2049:
	s_or_saveexec_b32 s9, s9
                                        ; implicit-def: $sgpr12
	s_delay_alu instid0(SALU_CYCLE_1)
	s_xor_b32 exec_lo, exec_lo, s9
	s_cbranch_execz .LBB120_1603
.LBB120_2050:
	v_add_f32_e32 v4, 0x42800000, v6
	s_and_not1_b32 s7, s7, exec_lo
	s_mov_b32 s12, 0
	s_delay_alu instid0(VALU_DEP_1) | instskip(NEXT) | instid1(VALU_DEP_1)
	v_and_b32_e32 v4, 0xff, v4
	v_cmp_ne_u32_e32 vcc_lo, 0, v4
	s_and_b32 s13, vcc_lo, exec_lo
	s_delay_alu instid0(SALU_CYCLE_1)
	s_or_b32 s7, s7, s13
	s_or_b32 exec_lo, exec_lo, s9
	v_mov_b32_e32 v11, s12
	s_and_saveexec_b32 s9, s7
	s_cbranch_execnz .LBB120_1604
	s_branch .LBB120_1605
.LBB120_2051:
	s_or_saveexec_b32 s12, s12
                                        ; implicit-def: $sgpr13
	s_delay_alu instid0(SALU_CYCLE_1)
	s_xor_b32 exec_lo, exec_lo, s12
	s_cbranch_execz .LBB120_1709
.LBB120_2052:
	v_add_f32_e32 v5, 0x46000000, v6
	s_and_not1_b32 s9, s9, exec_lo
	s_mov_b32 s13, 0
	s_delay_alu instid0(VALU_DEP_1) | instskip(NEXT) | instid1(VALU_DEP_1)
	v_and_b32_e32 v5, 0xff, v5
	v_cmp_ne_u32_e32 vcc_lo, 0, v5
	s_and_b32 s14, vcc_lo, exec_lo
	s_delay_alu instid0(SALU_CYCLE_1)
	s_or_b32 s9, s9, s14
	s_or_b32 exec_lo, exec_lo, s12
	v_mov_b32_e32 v10, s13
	s_and_saveexec_b32 s12, s9
	s_cbranch_execnz .LBB120_1710
	s_branch .LBB120_1711
.LBB120_2053:
	s_trap 2
	s_sendmsg_rtn_b32 s0, sendmsg(MSG_RTN_GET_DOORBELL)
	s_mov_b32 ttmp2, m0
	s_waitcnt lgkmcnt(0)
	s_and_b32 s0, s0, 0x3ff
	s_delay_alu instid0(SALU_CYCLE_1) | instskip(NEXT) | instid1(SALU_CYCLE_1)
	s_bitset1_b32 s0, 10
	s_mov_b32 m0, s0
	s_sendmsg sendmsg(MSG_INTERRUPT)
	s_mov_b32 m0, ttmp2
.LBB120_2054:                           ; =>This Inner Loop Header: Depth=1
	s_sethalt 5
	s_branch .LBB120_2054
.LBB120_2055:
	s_cbranch_execnz .LBB120_2061
; %bb.2056:
	s_or_b32 s3, s3, exec_lo
	s_cbranch_execz .LBB120_1757
	s_branch .LBB120_1758
.LBB120_2057:
	s_or_saveexec_b32 s9, s9
                                        ; implicit-def: $sgpr12
	s_delay_alu instid0(SALU_CYCLE_1)
	s_xor_b32 exec_lo, exec_lo, s9
	s_cbranch_execz .LBB120_1722
.LBB120_2058:
	v_add_f32_e32 v5, 0x42800000, v6
	s_and_not1_b32 s8, s8, exec_lo
	s_mov_b32 s12, 0
	s_delay_alu instid0(VALU_DEP_1) | instskip(NEXT) | instid1(VALU_DEP_1)
	v_and_b32_e32 v5, 0xff, v5
	v_cmp_ne_u32_e32 vcc_lo, 0, v5
	s_and_b32 s13, vcc_lo, exec_lo
	s_delay_alu instid0(SALU_CYCLE_1)
	s_or_b32 s8, s8, s13
	s_or_b32 exec_lo, exec_lo, s9
	v_mov_b32_e32 v10, s12
	s_and_saveexec_b32 s9, s8
	s_cbranch_execnz .LBB120_1723
	s_branch .LBB120_1724
.LBB120_2059:
	s_or_saveexec_b32 s12, s12
                                        ; implicit-def: $sgpr13
	s_delay_alu instid0(SALU_CYCLE_1)
	s_xor_b32 exec_lo, exec_lo, s12
	s_cbranch_execz .LBB120_1828
.LBB120_2060:
	v_add_f32_e32 v5, 0x46000000, v6
	s_and_not1_b32 s9, s9, exec_lo
	s_mov_b32 s13, 0
	s_delay_alu instid0(VALU_DEP_1) | instskip(NEXT) | instid1(VALU_DEP_1)
	v_and_b32_e32 v5, 0xff, v5
	v_cmp_ne_u32_e32 vcc_lo, 0, v5
	s_and_b32 s14, vcc_lo, exec_lo
	s_delay_alu instid0(SALU_CYCLE_1)
	s_or_b32 s9, s9, s14
	s_or_b32 exec_lo, exec_lo, s12
	v_mov_b32_e32 v9, s13
	s_and_saveexec_b32 s12, s9
	s_cbranch_execnz .LBB120_1829
	s_branch .LBB120_1830
.LBB120_2061:
	s_trap 2
	s_sendmsg_rtn_b32 s0, sendmsg(MSG_RTN_GET_DOORBELL)
	s_mov_b32 ttmp2, m0
	s_waitcnt lgkmcnt(0)
	s_and_b32 s0, s0, 0x3ff
	s_delay_alu instid0(SALU_CYCLE_1) | instskip(NEXT) | instid1(SALU_CYCLE_1)
	s_bitset1_b32 s0, 10
	s_mov_b32 m0, s0
	s_sendmsg sendmsg(MSG_INTERRUPT)
	s_mov_b32 m0, ttmp2
.LBB120_2062:                           ; =>This Inner Loop Header: Depth=1
	s_sethalt 5
	s_branch .LBB120_2062
.LBB120_2063:
	s_cbranch_execnz .LBB120_2069
; %bb.2064:
	s_or_b32 s3, s3, exec_lo
	s_cbranch_execz .LBB120_1876
	s_branch .LBB120_1877
.LBB120_2065:
	s_or_saveexec_b32 s9, s9
                                        ; implicit-def: $sgpr12
	s_delay_alu instid0(SALU_CYCLE_1)
	s_xor_b32 exec_lo, exec_lo, s9
	s_cbranch_execz .LBB120_1841
.LBB120_2066:
	v_add_f32_e32 v5, 0x42800000, v6
	s_and_not1_b32 s8, s8, exec_lo
	s_mov_b32 s12, 0
	s_delay_alu instid0(VALU_DEP_1) | instskip(NEXT) | instid1(VALU_DEP_1)
	v_and_b32_e32 v5, 0xff, v5
	v_cmp_ne_u32_e32 vcc_lo, 0, v5
	s_and_b32 s13, vcc_lo, exec_lo
	s_delay_alu instid0(SALU_CYCLE_1)
	s_or_b32 s8, s8, s13
	s_or_b32 exec_lo, exec_lo, s9
	v_mov_b32_e32 v9, s12
	s_and_saveexec_b32 s9, s8
	s_cbranch_execnz .LBB120_1842
	s_branch .LBB120_1843
.LBB120_2067:
	s_or_saveexec_b32 s7, s7
                                        ; implicit-def: $sgpr8
	s_delay_alu instid0(SALU_CYCLE_1)
	s_xor_b32 exec_lo, exec_lo, s7
	s_cbranch_execz .LBB120_1948
.LBB120_2068:
	v_add_f32_e32 v4, 0x46000000, v5
	s_and_not1_b32 s6, s6, exec_lo
	s_mov_b32 s8, 0
	s_delay_alu instid0(VALU_DEP_1) | instskip(NEXT) | instid1(VALU_DEP_1)
	v_and_b32_e32 v4, 0xff, v4
	v_cmp_ne_u32_e32 vcc_lo, 0, v4
	s_and_b32 s9, vcc_lo, exec_lo
	s_delay_alu instid0(SALU_CYCLE_1)
	s_or_b32 s6, s6, s9
	s_or_b32 exec_lo, exec_lo, s7
	v_mov_b32_e32 v6, s8
	s_and_saveexec_b32 s7, s6
	s_cbranch_execnz .LBB120_1949
	s_branch .LBB120_1950
.LBB120_2069:
	s_trap 2
	s_sendmsg_rtn_b32 s0, sendmsg(MSG_RTN_GET_DOORBELL)
	s_mov_b32 ttmp2, m0
	s_waitcnt lgkmcnt(0)
	s_and_b32 s0, s0, 0x3ff
	s_delay_alu instid0(SALU_CYCLE_1) | instskip(NEXT) | instid1(SALU_CYCLE_1)
	s_bitset1_b32 s0, 10
	s_mov_b32 m0, s0
	s_sendmsg sendmsg(MSG_INTERRUPT)
	s_mov_b32 m0, ttmp2
.LBB120_2070:                           ; =>This Inner Loop Header: Depth=1
	s_sethalt 5
	s_branch .LBB120_2070
.LBB120_2071:
	s_cbranch_execnz .LBB120_2075
; %bb.2072:
	s_mov_b32 s4, 0
	s_or_b32 s3, s3, exec_lo
	s_branch .LBB120_1994
.LBB120_2073:
	s_or_saveexec_b32 s6, s6
                                        ; implicit-def: $sgpr7
	s_delay_alu instid0(SALU_CYCLE_1)
	s_xor_b32 exec_lo, exec_lo, s6
	s_cbranch_execz .LBB120_1960
.LBB120_2074:
	v_add_f32_e32 v4, 0x42800000, v5
	s_and_not1_b32 s5, s5, exec_lo
	s_mov_b32 s7, 0
	s_delay_alu instid0(VALU_DEP_1) | instskip(NEXT) | instid1(VALU_DEP_1)
	v_and_b32_e32 v4, 0xff, v4
	v_cmp_ne_u32_e32 vcc_lo, 0, v4
	s_and_b32 s8, vcc_lo, exec_lo
	s_delay_alu instid0(SALU_CYCLE_1)
	s_or_b32 s5, s5, s8
	s_or_b32 exec_lo, exec_lo, s6
	v_mov_b32_e32 v6, s7
	s_and_saveexec_b32 s6, s5
	s_cbranch_execnz .LBB120_1961
	s_branch .LBB120_1962
.LBB120_2075:
	s_trap 2
	s_sendmsg_rtn_b32 s0, sendmsg(MSG_RTN_GET_DOORBELL)
	s_mov_b32 ttmp2, m0
	s_waitcnt lgkmcnt(0)
	s_and_b32 s0, s0, 0x3ff
	s_delay_alu instid0(SALU_CYCLE_1) | instskip(NEXT) | instid1(SALU_CYCLE_1)
	s_bitset1_b32 s0, 10
	s_mov_b32 m0, s0
	s_sendmsg sendmsg(MSG_INTERRUPT)
	s_mov_b32 m0, ttmp2
.LBB120_2076:                           ; =>This Inner Loop Header: Depth=1
	s_sethalt 5
	s_branch .LBB120_2076
	.section	.rodata,"a",@progbits
	.p2align	6, 0x0
	.amdhsa_kernel _ZN2at6native32elementwise_kernel_manual_unrollILi128ELi4EZNS0_15gpu_kernel_implIZZZNS0_17expm1_kernel_cudaERNS_18TensorIteratorBaseEENKUlvE_clEvENKUlvE0_clEvEUlfE_EEvS4_RKT_EUlibE_EEviT1_
		.amdhsa_group_segment_fixed_size 0
		.amdhsa_private_segment_fixed_size 0
		.amdhsa_kernarg_size 40
		.amdhsa_user_sgpr_count 15
		.amdhsa_user_sgpr_dispatch_ptr 0
		.amdhsa_user_sgpr_queue_ptr 0
		.amdhsa_user_sgpr_kernarg_segment_ptr 1
		.amdhsa_user_sgpr_dispatch_id 0
		.amdhsa_user_sgpr_private_segment_size 0
		.amdhsa_wavefront_size32 1
		.amdhsa_uses_dynamic_stack 0
		.amdhsa_enable_private_segment 0
		.amdhsa_system_sgpr_workgroup_id_x 1
		.amdhsa_system_sgpr_workgroup_id_y 0
		.amdhsa_system_sgpr_workgroup_id_z 0
		.amdhsa_system_sgpr_workgroup_info 0
		.amdhsa_system_vgpr_workitem_id 0
		.amdhsa_next_free_vgpr 15
		.amdhsa_next_free_sgpr 25
		.amdhsa_reserve_vcc 1
		.amdhsa_float_round_mode_32 0
		.amdhsa_float_round_mode_16_64 0
		.amdhsa_float_denorm_mode_32 3
		.amdhsa_float_denorm_mode_16_64 3
		.amdhsa_dx10_clamp 1
		.amdhsa_ieee_mode 1
		.amdhsa_fp16_overflow 0
		.amdhsa_workgroup_processor_mode 1
		.amdhsa_memory_ordered 1
		.amdhsa_forward_progress 0
		.amdhsa_shared_vgpr_count 0
		.amdhsa_exception_fp_ieee_invalid_op 0
		.amdhsa_exception_fp_denorm_src 0
		.amdhsa_exception_fp_ieee_div_zero 0
		.amdhsa_exception_fp_ieee_overflow 0
		.amdhsa_exception_fp_ieee_underflow 0
		.amdhsa_exception_fp_ieee_inexact 0
		.amdhsa_exception_int_div_zero 0
	.end_amdhsa_kernel
	.section	.text._ZN2at6native32elementwise_kernel_manual_unrollILi128ELi4EZNS0_15gpu_kernel_implIZZZNS0_17expm1_kernel_cudaERNS_18TensorIteratorBaseEENKUlvE_clEvENKUlvE0_clEvEUlfE_EEvS4_RKT_EUlibE_EEviT1_,"axG",@progbits,_ZN2at6native32elementwise_kernel_manual_unrollILi128ELi4EZNS0_15gpu_kernel_implIZZZNS0_17expm1_kernel_cudaERNS_18TensorIteratorBaseEENKUlvE_clEvENKUlvE0_clEvEUlfE_EEvS4_RKT_EUlibE_EEviT1_,comdat
.Lfunc_end120:
	.size	_ZN2at6native32elementwise_kernel_manual_unrollILi128ELi4EZNS0_15gpu_kernel_implIZZZNS0_17expm1_kernel_cudaERNS_18TensorIteratorBaseEENKUlvE_clEvENKUlvE0_clEvEUlfE_EEvS4_RKT_EUlibE_EEviT1_, .Lfunc_end120-_ZN2at6native32elementwise_kernel_manual_unrollILi128ELi4EZNS0_15gpu_kernel_implIZZZNS0_17expm1_kernel_cudaERNS_18TensorIteratorBaseEENKUlvE_clEvENKUlvE0_clEvEUlfE_EEvS4_RKT_EUlibE_EEviT1_
                                        ; -- End function
	.section	.AMDGPU.csdata,"",@progbits
; Kernel info:
; codeLenInByte = 37296
; NumSgprs: 27
; NumVgprs: 15
; ScratchSize: 0
; MemoryBound: 1
; FloatMode: 240
; IeeeMode: 1
; LDSByteSize: 0 bytes/workgroup (compile time only)
; SGPRBlocks: 3
; VGPRBlocks: 1
; NumSGPRsForWavesPerEU: 27
; NumVGPRsForWavesPerEU: 15
; Occupancy: 16
; WaveLimiterHint : 0
; COMPUTE_PGM_RSRC2:SCRATCH_EN: 0
; COMPUTE_PGM_RSRC2:USER_SGPR: 15
; COMPUTE_PGM_RSRC2:TRAP_HANDLER: 0
; COMPUTE_PGM_RSRC2:TGID_X_EN: 1
; COMPUTE_PGM_RSRC2:TGID_Y_EN: 0
; COMPUTE_PGM_RSRC2:TGID_Z_EN: 0
; COMPUTE_PGM_RSRC2:TIDIG_COMP_CNT: 0
	.section	.text._ZN2at6native32elementwise_kernel_manual_unrollILi128ELi4EZNS0_15gpu_kernel_implIZZZNS0_17expm1_kernel_cudaERNS_18TensorIteratorBaseEENKUlvE_clEvENKUlvE0_clEvEUlfE_EEvS4_RKT_EUlibE0_EEviT1_,"axG",@progbits,_ZN2at6native32elementwise_kernel_manual_unrollILi128ELi4EZNS0_15gpu_kernel_implIZZZNS0_17expm1_kernel_cudaERNS_18TensorIteratorBaseEENKUlvE_clEvENKUlvE0_clEvEUlfE_EEvS4_RKT_EUlibE0_EEviT1_,comdat
	.globl	_ZN2at6native32elementwise_kernel_manual_unrollILi128ELi4EZNS0_15gpu_kernel_implIZZZNS0_17expm1_kernel_cudaERNS_18TensorIteratorBaseEENKUlvE_clEvENKUlvE0_clEvEUlfE_EEvS4_RKT_EUlibE0_EEviT1_ ; -- Begin function _ZN2at6native32elementwise_kernel_manual_unrollILi128ELi4EZNS0_15gpu_kernel_implIZZZNS0_17expm1_kernel_cudaERNS_18TensorIteratorBaseEENKUlvE_clEvENKUlvE0_clEvEUlfE_EEvS4_RKT_EUlibE0_EEviT1_
	.p2align	8
	.type	_ZN2at6native32elementwise_kernel_manual_unrollILi128ELi4EZNS0_15gpu_kernel_implIZZZNS0_17expm1_kernel_cudaERNS_18TensorIteratorBaseEENKUlvE_clEvENKUlvE0_clEvEUlfE_EEvS4_RKT_EUlibE0_EEviT1_,@function
_ZN2at6native32elementwise_kernel_manual_unrollILi128ELi4EZNS0_15gpu_kernel_implIZZZNS0_17expm1_kernel_cudaERNS_18TensorIteratorBaseEENKUlvE_clEvENKUlvE0_clEvEUlfE_EEvS4_RKT_EUlibE0_EEviT1_: ; @_ZN2at6native32elementwise_kernel_manual_unrollILi128ELi4EZNS0_15gpu_kernel_implIZZZNS0_17expm1_kernel_cudaERNS_18TensorIteratorBaseEENKUlvE_clEvENKUlvE0_clEvEUlfE_EEvS4_RKT_EUlibE0_EEviT1_
; %bb.0:
	s_clause 0x1
	s_load_b32 s24, s[0:1], 0x8
	s_load_b32 s30, s[0:1], 0x0
	v_lshl_or_b32 v8, s15, 9, v0
	s_or_b32 s6, s0, 8
	s_mov_b32 s3, -1
	s_mov_b32 s26, 0
	s_mov_b32 s7, s1
	v_or_b32_e32 v9, 0x180, v8
	s_mov_b32 s8, 0
	s_mov_b32 s2, exec_lo
	s_waitcnt lgkmcnt(0)
	s_add_i32 s25, s24, -1
	s_delay_alu instid0(SALU_CYCLE_1)
	s_cmp_gt_u32 s25, 1
	s_cselect_b32 s27, -1, 0
	v_cmpx_le_i32_e64 s30, v9
	s_xor_b32 s28, exec_lo, s2
	s_cbranch_execz .LBB121_1076
; %bb.1:
	v_mov_b32_e32 v0, 0
	s_clause 0x3
	s_load_b128 s[16:19], s[6:7], 0x4
	s_load_b64 s[20:21], s[6:7], 0x14
	s_load_b128 s[12:15], s[6:7], 0xc4
	s_load_b128 s[8:11], s[6:7], 0x148
	s_cmp_lg_u32 s24, 0
	s_mov_b32 s37, 0
	s_cselect_b32 s33, -1, 0
	global_load_u16 v4, v0, s[6:7] offset:345
	s_add_u32 s22, s6, 0xc4
	s_addc_u32 s23, s7, 0
	s_min_u32 s31, s25, 15
	s_cmp_gt_u32 s24, 1
	s_mov_b32 s35, 0
	s_cselect_b32 s29, -1, 0
	s_mov_b32 s34, 0
	s_mov_b32 s36, exec_lo
	s_waitcnt vmcnt(0)
	v_lshrrev_b16 v5, 8, v4
	v_cmpx_gt_i32_e64 s30, v8
	s_cbranch_execz .LBB121_263
; %bb.2:
	s_and_not1_b32 vcc_lo, exec_lo, s27
	s_cbranch_vccnz .LBB121_7
; %bb.3:
	v_dual_mov_b32 v0, 0 :: v_dual_mov_b32 v1, 0
	s_and_not1_b32 vcc_lo, exec_lo, s33
	s_cbranch_vccnz .LBB121_12
; %bb.4:
	v_mov_b32_e32 v0, 0
	s_add_i32 s38, s31, 1
	s_cmp_eq_u32 s25, 2
	s_cbranch_scc1 .LBB121_8
; %bb.5:
	v_dual_mov_b32 v1, 0 :: v_dual_mov_b32 v0, 0
	v_mov_b32_e32 v2, v8
	s_and_b32 s35, s38, 28
	s_mov_b32 s39, 0
	s_mov_b64 s[2:3], s[22:23]
	s_mov_b64 s[4:5], s[6:7]
.LBB121_6:                              ; =>This Inner Loop Header: Depth=1
	s_clause 0x1
	s_load_b256 s[40:47], s[4:5], 0x4
	s_load_b128 s[56:59], s[4:5], 0x24
	s_load_b256 s[48:55], s[2:3], 0x0
	s_add_u32 s4, s4, 48
	s_addc_u32 s5, s5, 0
	s_add_i32 s39, s39, 4
	s_add_u32 s2, s2, 32
	s_addc_u32 s3, s3, 0
	s_cmp_lg_u32 s35, s39
	s_waitcnt lgkmcnt(0)
	v_mul_hi_u32 v3, s41, v2
	s_delay_alu instid0(VALU_DEP_1) | instskip(NEXT) | instid1(VALU_DEP_1)
	v_add_nc_u32_e32 v3, v2, v3
	v_lshrrev_b32_e32 v3, s42, v3
	s_delay_alu instid0(VALU_DEP_1) | instskip(SKIP_1) | instid1(VALU_DEP_2)
	v_mul_hi_u32 v6, s44, v3
	v_mul_lo_u32 v9, v3, s40
	v_add_nc_u32_e32 v6, v3, v6
	s_delay_alu instid0(VALU_DEP_2) | instskip(NEXT) | instid1(VALU_DEP_2)
	v_sub_nc_u32_e32 v2, v2, v9
	v_lshrrev_b32_e32 v6, s45, v6
	s_delay_alu instid0(VALU_DEP_2) | instskip(SKIP_1) | instid1(VALU_DEP_3)
	v_mul_lo_u32 v9, v2, s48
	v_mul_lo_u32 v11, v2, s49
	v_mul_hi_u32 v7, s47, v6
	s_delay_alu instid0(VALU_DEP_1) | instskip(NEXT) | instid1(VALU_DEP_1)
	v_add_nc_u32_e32 v7, v6, v7
	v_lshrrev_b32_e32 v7, s56, v7
	s_delay_alu instid0(VALU_DEP_1) | instskip(SKIP_1) | instid1(VALU_DEP_2)
	v_mul_hi_u32 v10, s58, v7
	v_mul_lo_u32 v12, v7, s46
	v_add_nc_u32_e32 v2, v7, v10
	v_mul_lo_u32 v10, v6, s43
	s_delay_alu instid0(VALU_DEP_3) | instskip(NEXT) | instid1(VALU_DEP_3)
	v_sub_nc_u32_e32 v6, v6, v12
	v_lshrrev_b32_e32 v2, s59, v2
	s_delay_alu instid0(VALU_DEP_2) | instskip(SKIP_2) | instid1(VALU_DEP_4)
	v_mul_lo_u32 v12, v6, s52
	v_mul_lo_u32 v6, v6, s53
	v_sub_nc_u32_e32 v3, v3, v10
	v_mul_lo_u32 v13, v2, s57
	s_delay_alu instid0(VALU_DEP_2) | instskip(SKIP_1) | instid1(VALU_DEP_3)
	v_mul_lo_u32 v10, v3, s50
	v_mul_lo_u32 v3, v3, s51
	v_sub_nc_u32_e32 v7, v7, v13
	s_delay_alu instid0(VALU_DEP_3) | instskip(NEXT) | instid1(VALU_DEP_2)
	v_add3_u32 v0, v9, v0, v10
	v_mul_lo_u32 v13, v7, s54
	v_mul_lo_u32 v7, v7, s55
	v_add3_u32 v1, v11, v1, v3
	s_delay_alu instid0(VALU_DEP_3) | instskip(NEXT) | instid1(VALU_DEP_2)
	v_add3_u32 v0, v12, v0, v13
	v_add3_u32 v1, v6, v1, v7
	s_cbranch_scc1 .LBB121_6
	s_branch .LBB121_9
.LBB121_7:
	s_mov_b32 s34, -1
                                        ; implicit-def: $vgpr0
                                        ; implicit-def: $vgpr1
	s_branch .LBB121_12
.LBB121_8:
	v_dual_mov_b32 v2, v8 :: v_dual_mov_b32 v1, 0
.LBB121_9:
	s_and_b32 s38, s38, 3
	s_delay_alu instid0(SALU_CYCLE_1)
	s_cmp_eq_u32 s38, 0
	s_cbranch_scc1 .LBB121_12
; %bb.10:
	s_lshl_b32 s2, s35, 3
	s_mul_i32 s4, s35, 12
	s_add_u32 s2, s2, s6
	s_addc_u32 s3, s7, 0
	s_add_u32 s2, s2, 0xc4
	s_addc_u32 s3, s3, 0
	;; [unrolled: 2-line block ×3, first 2 shown]
	.p2align	6
.LBB121_11:                             ; =>This Inner Loop Header: Depth=1
	s_clause 0x1
	s_load_b64 s[40:41], s[4:5], 0x4
	s_load_b32 s35, s[4:5], 0xc
	s_load_b64 s[42:43], s[2:3], 0x0
	s_add_u32 s4, s4, 12
	s_addc_u32 s5, s5, 0
	s_add_u32 s2, s2, 8
	s_addc_u32 s3, s3, 0
	s_add_i32 s38, s38, -1
	s_delay_alu instid0(SALU_CYCLE_1) | instskip(SKIP_2) | instid1(VALU_DEP_1)
	s_cmp_lg_u32 s38, 0
	s_waitcnt lgkmcnt(0)
	v_mul_hi_u32 v3, s41, v2
	v_add_nc_u32_e32 v3, v2, v3
	s_delay_alu instid0(VALU_DEP_1) | instskip(NEXT) | instid1(VALU_DEP_1)
	v_lshrrev_b32_e32 v3, s35, v3
	v_mul_lo_u32 v6, v3, s40
	s_delay_alu instid0(VALU_DEP_1) | instskip(NEXT) | instid1(VALU_DEP_1)
	v_sub_nc_u32_e32 v2, v2, v6
	v_mad_u64_u32 v[6:7], null, v2, s42, v[0:1]
	v_mad_u64_u32 v[9:10], null, v2, s43, v[1:2]
	v_mov_b32_e32 v2, v3
	s_delay_alu instid0(VALU_DEP_2)
	v_dual_mov_b32 v0, v6 :: v_dual_mov_b32 v1, v9
	s_cbranch_scc1 .LBB121_11
.LBB121_12:
	s_and_not1_b32 vcc_lo, exec_lo, s34
	s_cbranch_vccnz .LBB121_15
; %bb.13:
	s_waitcnt lgkmcnt(0)
	v_mul_hi_u32 v0, s17, v8
	s_and_not1_b32 vcc_lo, exec_lo, s29
	s_delay_alu instid0(VALU_DEP_1) | instskip(NEXT) | instid1(VALU_DEP_1)
	v_add_nc_u32_e32 v0, v8, v0
	v_lshrrev_b32_e32 v2, s18, v0
	s_delay_alu instid0(VALU_DEP_1) | instskip(NEXT) | instid1(VALU_DEP_1)
	v_mul_lo_u32 v0, v2, s16
	v_sub_nc_u32_e32 v1, v8, v0
	s_delay_alu instid0(VALU_DEP_1)
	v_mul_lo_u32 v0, v1, s12
	v_mul_lo_u32 v1, v1, s13
	s_cbranch_vccnz .LBB121_15
; %bb.14:
	v_mul_hi_u32 v3, s20, v2
	s_delay_alu instid0(VALU_DEP_1) | instskip(NEXT) | instid1(VALU_DEP_1)
	v_add_nc_u32_e32 v3, v2, v3
	v_lshrrev_b32_e32 v3, s21, v3
	s_delay_alu instid0(VALU_DEP_1) | instskip(NEXT) | instid1(VALU_DEP_1)
	v_mul_lo_u32 v3, v3, s19
	v_sub_nc_u32_e32 v9, v2, v3
	s_delay_alu instid0(VALU_DEP_1) | instskip(NEXT) | instid1(VALU_DEP_1)
	v_mad_u64_u32 v[2:3], null, v9, s14, v[0:1]
	v_mad_u64_u32 v[6:7], null, v9, s15, v[1:2]
	v_mov_b32_e32 v0, v2
	s_delay_alu instid0(VALU_DEP_2)
	v_mov_b32_e32 v1, v6
.LBB121_15:
	v_cmp_gt_i16_e32 vcc_lo, 11, v5
	s_waitcnt lgkmcnt(0)
	s_delay_alu instid0(VALU_DEP_2) | instskip(NEXT) | instid1(VALU_DEP_1)
	v_add_co_u32 v1, s2, s10, v1
	v_add_co_ci_u32_e64 v2, null, s11, 0, s2
	s_mov_b32 s5, 0
	s_cbranch_vccnz .LBB121_22
; %bb.16:
	v_cmp_lt_i16_e32 vcc_lo, 25, v5
	s_cbranch_vccz .LBB121_141
; %bb.17:
	v_cmp_lt_i16_e32 vcc_lo, 28, v5
	s_cbranch_vccz .LBB121_142
	;; [unrolled: 3-line block ×4, first 2 shown]
; %bb.20:
	v_cmp_eq_u16_e32 vcc_lo, 46, v5
	s_mov_b32 s3, 0
	s_cbranch_vccz .LBB121_145
; %bb.21:
	global_load_b32 v3, v[1:2], off
	s_mov_b32 s2, -1
	s_waitcnt vmcnt(0)
	v_lshlrev_b32_e32 v3, 16, v3
	s_branch .LBB121_147
.LBB121_22:
	s_mov_b32 s2, 0
                                        ; implicit-def: $vgpr3
	s_cbranch_execnz .LBB121_213
.LBB121_23:
	s_and_not1_b32 vcc_lo, exec_lo, s2
	s_cbranch_vccnz .LBB121_260
.LBB121_24:
	s_waitcnt vmcnt(0)
	s_delay_alu instid0(VALU_DEP_1) | instskip(SKIP_3) | instid1(VALU_DEP_2)
	v_mul_f32_e32 v1, 0x3fb8aa3b, v3
	s_mov_b32 s2, 0x395133b1
	v_add_co_u32 v0, s3, s8, v0
	s_mov_b32 s4, 0
	v_rndne_f32_e32 v1, v1
	s_mov_b32 s35, -1
	s_mov_b32 s34, 0
	s_delay_alu instid0(VALU_DEP_1) | instskip(SKIP_2) | instid1(VALU_DEP_3)
	v_fmamk_f32 v2, v1, 0xbf317218, v3
	v_cmp_eq_f32_e32 vcc_lo, 0x43000000, v1
	v_cvt_i32_f32_e32 v7, v1
	v_fmamk_f32 v2, v1, 0x3102e308, v2
	s_delay_alu instid0(VALU_DEP_2) | instskip(NEXT) | instid1(VALU_DEP_2)
	v_cndmask_b32_e64 v1, v7, 0x7f, vcc_lo
	v_fmaak_f32 v6, s2, v2, 0x3ab69700
	v_cmp_lt_f32_e64 s2, 0x42b17217, v3
	s_delay_alu instid0(VALU_DEP_3) | instskip(NEXT) | instid1(VALU_DEP_1)
	v_ldexp_f32 v1, 1.0, v1
	v_dual_fmaak_f32 v6, v2, v6, 0x3c0887f9 :: v_dual_add_f32 v7, -1.0, v1
	s_delay_alu instid0(VALU_DEP_1) | instskip(NEXT) | instid1(VALU_DEP_1)
	v_fmaak_f32 v6, v2, v6, 0x3d2aaa81
	v_fmaak_f32 v6, v2, v6, 0x3e2aaaab
	s_delay_alu instid0(VALU_DEP_1) | instskip(NEXT) | instid1(VALU_DEP_1)
	v_fma_f32 v6, v2, v6, 0.5
	v_mul_f32_e32 v6, v2, v6
	s_delay_alu instid0(VALU_DEP_1) | instskip(NEXT) | instid1(VALU_DEP_1)
	v_fmac_f32_e32 v2, v2, v6
	v_dual_fmac_f32 v7, v1, v2 :: v_dual_and_b32 v6, 0xff, v4
	s_delay_alu instid0(VALU_DEP_1) | instskip(NEXT) | instid1(VALU_DEP_1)
	v_add_f32_e32 v1, v7, v7
	v_cndmask_b32_e32 v7, v7, v1, vcc_lo
	v_add_co_ci_u32_e64 v1, null, s9, 0, s3
	v_cmp_gt_f32_e64 s3, 0xc1880000, v3
	v_cmp_gt_i16_e32 vcc_lo, 11, v6
	s_delay_alu instid0(VALU_DEP_4) | instskip(NEXT) | instid1(VALU_DEP_1)
	v_cndmask_b32_e64 v2, v7, 0x7f800000, s2
	v_cndmask_b32_e64 v2, v2, -1.0, s3
	s_cbranch_vccnz .LBB121_101
; %bb.25:
	v_cmp_lt_i16_e32 vcc_lo, 25, v6
	s_cbranch_vccz .LBB121_58
; %bb.26:
	v_cmp_lt_i16_e32 vcc_lo, 28, v6
	s_cbranch_vccz .LBB121_41
	;; [unrolled: 3-line block ×4, first 2 shown]
; %bb.29:
	v_cmp_eq_u16_e32 vcc_lo, 46, v6
	s_mov_b32 s35, 0
	s_mov_b32 s4, -1
	s_cbranch_vccz .LBB121_31
; %bb.30:
	v_bfe_u32 v3, v2, 16, 1
	v_cmp_o_f32_e32 vcc_lo, v2, v2
	s_mov_b32 s34, -1
	s_mov_b32 s4, 0
	s_delay_alu instid0(VALU_DEP_2) | instskip(NEXT) | instid1(VALU_DEP_1)
	v_add3_u32 v3, v2, v3, 0x7fff
	v_lshrrev_b32_e32 v3, 16, v3
	s_delay_alu instid0(VALU_DEP_1)
	v_cndmask_b32_e32 v3, 0x7fc0, v3, vcc_lo
	global_store_b32 v[0:1], v3, off
.LBB121_31:
	s_and_b32 vcc_lo, exec_lo, s35
	s_cbranch_vccz .LBB121_36
; %bb.32:
	v_cmp_eq_u16_e32 vcc_lo, 44, v6
	s_mov_b32 s4, -1
	s_cbranch_vccz .LBB121_36
; %bb.33:
	v_bfe_u32 v9, v2, 23, 8
	v_mov_b32_e32 v3, 0xff
	s_mov_b32 s34, exec_lo
	s_delay_alu instid0(VALU_DEP_2)
	v_cmpx_ne_u32_e32 0xff, v9
; %bb.34:
	v_and_b32_e32 v3, 0x400000, v2
	v_and_or_b32 v9, 0x3fffff, v2, v9
	s_delay_alu instid0(VALU_DEP_2) | instskip(NEXT) | instid1(VALU_DEP_2)
	v_cmp_ne_u32_e32 vcc_lo, 0, v3
	v_cmp_ne_u32_e64 s4, 0, v9
	v_lshrrev_b32_e32 v3, 23, v2
	s_delay_alu instid0(VALU_DEP_2) | instskip(NEXT) | instid1(SALU_CYCLE_1)
	s_and_b32 s4, vcc_lo, s4
	v_cndmask_b32_e64 v9, 0, 1, s4
	s_delay_alu instid0(VALU_DEP_1)
	v_add_nc_u32_e32 v3, v3, v9
; %bb.35:
	s_or_b32 exec_lo, exec_lo, s34
	s_mov_b32 s34, -1
	s_mov_b32 s4, 0
	global_store_b8 v[0:1], v3, off
.LBB121_36:
	s_mov_b32 s35, 0
.LBB121_37:
	s_delay_alu instid0(SALU_CYCLE_1)
	s_and_b32 vcc_lo, exec_lo, s35
	s_cbranch_vccz .LBB121_40
; %bb.38:
	v_cmp_eq_u16_e32 vcc_lo, 29, v6
	s_mov_b32 s4, -1
	s_cbranch_vccz .LBB121_40
; %bb.39:
	v_trunc_f32_e32 v3, v2
	s_mov_b32 s34, -1
	s_mov_b32 s4, 0
	s_delay_alu instid0(VALU_DEP_1) | instskip(NEXT) | instid1(VALU_DEP_1)
	v_mul_f32_e32 v9, 0x2f800000, v3
	v_floor_f32_e32 v9, v9
	s_delay_alu instid0(VALU_DEP_1) | instskip(SKIP_1) | instid1(VALU_DEP_2)
	v_fmamk_f32 v3, v9, 0xcf800000, v3
	v_cvt_u32_f32_e32 v10, v9
	v_cvt_u32_f32_e32 v9, v3
	global_store_b64 v[0:1], v[9:10], off
.LBB121_40:
	s_mov_b32 s35, 0
.LBB121_41:
	s_delay_alu instid0(SALU_CYCLE_1)
	s_and_b32 vcc_lo, exec_lo, s35
	s_cbranch_vccz .LBB121_57
; %bb.42:
	v_cmp_gt_i16_e32 vcc_lo, 27, v6
	s_mov_b32 s34, -1
	s_cbranch_vccnz .LBB121_48
; %bb.43:
	v_cmp_lt_i16_e32 vcc_lo, 27, v6
	s_cbranch_vccz .LBB121_45
; %bb.44:
	v_cvt_u32_f32_e32 v3, v2
	s_mov_b32 s34, 0
	global_store_b32 v[0:1], v3, off
.LBB121_45:
	s_and_not1_b32 vcc_lo, exec_lo, s34
	s_cbranch_vccnz .LBB121_47
; %bb.46:
	v_cvt_u32_f32_e32 v3, v2
	global_store_b16 v[0:1], v3, off
.LBB121_47:
	s_mov_b32 s34, 0
.LBB121_48:
	s_delay_alu instid0(SALU_CYCLE_1)
	s_and_not1_b32 vcc_lo, exec_lo, s34
	s_cbranch_vccnz .LBB121_56
; %bb.49:
	v_cndmask_b32_e64 v3, |v7|, 0x7f800000, s2
	v_mov_b32_e32 v10, 0x80
	s_mov_b32 s34, exec_lo
	s_delay_alu instid0(VALU_DEP_2) | instskip(NEXT) | instid1(VALU_DEP_1)
	v_cndmask_b32_e64 v9, v3, 1.0, s3
	v_cmpx_gt_u32_e32 0x43800000, v9
	s_cbranch_execz .LBB121_55
; %bb.50:
	s_mov_b32 s35, 0
	s_mov_b32 s38, exec_lo
                                        ; implicit-def: $vgpr3
	v_cmpx_lt_u32_e32 0x3bffffff, v9
	s_xor_b32 s38, exec_lo, s38
	s_cbranch_execz .LBB121_150
; %bb.51:
	v_bfe_u32 v3, v2, 20, 1
	s_mov_b32 s35, exec_lo
                                        ; implicit-def: $vgpr9
	s_delay_alu instid0(VALU_DEP_1) | instskip(NEXT) | instid1(VALU_DEP_1)
	v_add3_u32 v3, v2, v3, 0x487ffff
	v_lshrrev_b32_e32 v3, 20, v3
	s_or_saveexec_b32 s38, s38
                                        ; implicit-def: $sgpr39
	s_delay_alu instid0(SALU_CYCLE_1)
	s_xor_b32 exec_lo, exec_lo, s38
	s_cbranch_execnz .LBB121_151
.LBB121_52:
	s_or_b32 exec_lo, exec_lo, s38
	v_mov_b32_e32 v10, s39
	s_and_saveexec_b32 s38, s35
.LBB121_53:
	v_lshrrev_b32_e32 v9, 24, v2
	s_delay_alu instid0(VALU_DEP_1)
	v_and_or_b32 v10, 0x80, v9, v3
.LBB121_54:
	s_or_b32 exec_lo, exec_lo, s38
.LBB121_55:
	s_delay_alu instid0(SALU_CYCLE_1)
	s_or_b32 exec_lo, exec_lo, s34
	global_store_b8 v[0:1], v10, off
.LBB121_56:
	s_mov_b32 s34, -1
.LBB121_57:
	s_mov_b32 s35, 0
.LBB121_58:
	s_delay_alu instid0(SALU_CYCLE_1)
	s_and_b32 vcc_lo, exec_lo, s35
	s_cbranch_vccz .LBB121_99
; %bb.59:
	v_cmp_lt_i16_e32 vcc_lo, 22, v6
	s_mov_b32 s35, -1
	s_cbranch_vccz .LBB121_91
; %bb.60:
	v_cmp_gt_i16_e32 vcc_lo, 24, v6
	s_mov_b32 s34, -1
	s_cbranch_vccnz .LBB121_80
; %bb.61:
	v_cmp_lt_i16_e32 vcc_lo, 24, v6
	s_cbranch_vccz .LBB121_69
; %bb.62:
	v_cndmask_b32_e64 v3, |v7|, 0x7f800000, s2
	v_mov_b32_e32 v10, 0x80
	s_mov_b32 s34, exec_lo
	s_delay_alu instid0(VALU_DEP_2) | instskip(NEXT) | instid1(VALU_DEP_1)
	v_cndmask_b32_e64 v9, v3, 1.0, s3
	v_cmpx_gt_u32_e32 0x47800000, v9
	s_cbranch_execz .LBB121_68
; %bb.63:
	s_mov_b32 s35, 0
	s_mov_b32 s38, exec_lo
                                        ; implicit-def: $vgpr3
	v_cmpx_lt_u32_e32 0x37ffffff, v9
	s_xor_b32 s38, exec_lo, s38
	s_cbranch_execz .LBB121_341
; %bb.64:
	v_bfe_u32 v3, v2, 21, 1
	s_mov_b32 s35, exec_lo
                                        ; implicit-def: $vgpr9
	s_delay_alu instid0(VALU_DEP_1) | instskip(NEXT) | instid1(VALU_DEP_1)
	v_add3_u32 v3, v2, v3, 0x88fffff
	v_lshrrev_b32_e32 v3, 21, v3
	s_or_saveexec_b32 s38, s38
                                        ; implicit-def: $sgpr39
	s_delay_alu instid0(SALU_CYCLE_1)
	s_xor_b32 exec_lo, exec_lo, s38
	s_cbranch_execnz .LBB121_342
.LBB121_65:
	s_or_b32 exec_lo, exec_lo, s38
	v_mov_b32_e32 v10, s39
	s_and_saveexec_b32 s38, s35
.LBB121_66:
	v_lshrrev_b32_e32 v9, 24, v2
	s_delay_alu instid0(VALU_DEP_1)
	v_and_or_b32 v10, 0x80, v9, v3
.LBB121_67:
	s_or_b32 exec_lo, exec_lo, s38
.LBB121_68:
	s_delay_alu instid0(SALU_CYCLE_1)
	s_or_b32 exec_lo, exec_lo, s34
	s_mov_b32 s34, 0
	global_store_b8 v[0:1], v10, off
.LBB121_69:
	s_and_b32 vcc_lo, exec_lo, s34
	s_cbranch_vccz .LBB121_79
; %bb.70:
	v_cndmask_b32_e64 v3, |v7|, 0x7f800000, s2
	s_mov_b32 s34, exec_lo
	s_delay_alu instid0(VALU_DEP_1) | instskip(NEXT) | instid1(VALU_DEP_1)
	v_cndmask_b32_e64 v9, v3, 1.0, s3
                                        ; implicit-def: $vgpr3
	v_cmpx_gt_u32_e32 0x43f00000, v9
	s_xor_b32 s34, exec_lo, s34
	s_cbranch_execz .LBB121_76
; %bb.71:
	s_mov_b32 s35, exec_lo
                                        ; implicit-def: $vgpr3
	v_cmpx_lt_u32_e32 0x3c7fffff, v9
	s_xor_b32 s35, exec_lo, s35
; %bb.72:
	v_bfe_u32 v3, v2, 20, 1
	s_delay_alu instid0(VALU_DEP_1) | instskip(NEXT) | instid1(VALU_DEP_1)
	v_add3_u32 v3, v2, v3, 0x407ffff
	v_and_b32_e32 v9, 0xff00000, v3
	v_lshrrev_b32_e32 v3, 20, v3
	s_delay_alu instid0(VALU_DEP_2) | instskip(NEXT) | instid1(VALU_DEP_2)
	v_cmp_ne_u32_e32 vcc_lo, 0x7f00000, v9
                                        ; implicit-def: $vgpr9
	v_cndmask_b32_e32 v3, 0x7e, v3, vcc_lo
; %bb.73:
	s_and_not1_saveexec_b32 s35, s35
; %bb.74:
	v_add_f32_e32 v3, 0x46800000, v9
; %bb.75:
	s_or_b32 exec_lo, exec_lo, s35
                                        ; implicit-def: $vgpr9
.LBB121_76:
	s_and_not1_saveexec_b32 s34, s34
; %bb.77:
	v_mov_b32_e32 v3, 0x7f
	v_cmp_lt_u32_e32 vcc_lo, 0x7f800000, v9
	s_delay_alu instid0(VALU_DEP_2)
	v_cndmask_b32_e32 v3, 0x7e, v3, vcc_lo
; %bb.78:
	s_or_b32 exec_lo, exec_lo, s34
	v_lshrrev_b32_e32 v9, 24, v2
	s_delay_alu instid0(VALU_DEP_1)
	v_and_or_b32 v3, 0x80, v9, v3
	global_store_b8 v[0:1], v3, off
.LBB121_79:
	s_mov_b32 s34, 0
.LBB121_80:
	s_delay_alu instid0(SALU_CYCLE_1)
	s_and_not1_b32 vcc_lo, exec_lo, s34
	s_cbranch_vccnz .LBB121_90
; %bb.81:
	v_cndmask_b32_e64 v3, |v7|, 0x7f800000, s2
	s_mov_b32 s2, exec_lo
	s_delay_alu instid0(VALU_DEP_1) | instskip(NEXT) | instid1(VALU_DEP_1)
	v_cndmask_b32_e64 v7, v3, 1.0, s3
                                        ; implicit-def: $vgpr3
	v_cmpx_gt_u32_e32 0x47800000, v7
	s_xor_b32 s2, exec_lo, s2
	s_cbranch_execz .LBB121_87
; %bb.82:
	s_mov_b32 s3, exec_lo
                                        ; implicit-def: $vgpr3
	v_cmpx_lt_u32_e32 0x387fffff, v7
	s_xor_b32 s3, exec_lo, s3
; %bb.83:
	v_bfe_u32 v3, v2, 21, 1
                                        ; implicit-def: $vgpr7
	s_delay_alu instid0(VALU_DEP_1) | instskip(NEXT) | instid1(VALU_DEP_1)
	v_add3_u32 v3, v2, v3, 0x80fffff
	v_lshrrev_b32_e32 v3, 21, v3
; %bb.84:
	s_and_not1_saveexec_b32 s3, s3
; %bb.85:
	v_add_f32_e32 v3, 0x43000000, v7
; %bb.86:
	s_or_b32 exec_lo, exec_lo, s3
                                        ; implicit-def: $vgpr7
.LBB121_87:
	s_and_not1_saveexec_b32 s2, s2
; %bb.88:
	v_mov_b32_e32 v3, 0x7f
	v_cmp_lt_u32_e32 vcc_lo, 0x7f800000, v7
	s_delay_alu instid0(VALU_DEP_2)
	v_cndmask_b32_e32 v3, 0x7c, v3, vcc_lo
; %bb.89:
	s_or_b32 exec_lo, exec_lo, s2
	v_lshrrev_b32_e32 v7, 24, v2
	s_delay_alu instid0(VALU_DEP_1)
	v_and_or_b32 v3, 0x80, v7, v3
	global_store_b8 v[0:1], v3, off
.LBB121_90:
	s_mov_b32 s35, 0
	s_mov_b32 s34, -1
.LBB121_91:
	s_and_not1_b32 vcc_lo, exec_lo, s35
	s_cbranch_vccnz .LBB121_99
; %bb.92:
	v_cmp_lt_i16_e32 vcc_lo, 14, v6
	s_mov_b32 s2, -1
	s_cbranch_vccz .LBB121_96
; %bb.93:
	v_cmp_eq_u16_e32 vcc_lo, 15, v6
	s_mov_b32 s4, -1
	s_cbranch_vccz .LBB121_95
; %bb.94:
	v_bfe_u32 v3, v2, 16, 1
	v_cmp_o_f32_e32 vcc_lo, v2, v2
	s_mov_b32 s34, -1
	s_mov_b32 s4, 0
	s_delay_alu instid0(VALU_DEP_2) | instskip(NEXT) | instid1(VALU_DEP_1)
	v_add3_u32 v3, v2, v3, 0x7fff
	v_lshrrev_b32_e32 v3, 16, v3
	s_delay_alu instid0(VALU_DEP_1)
	v_cndmask_b32_e32 v3, 0x7fc0, v3, vcc_lo
	global_store_b16 v[0:1], v3, off
.LBB121_95:
	s_mov_b32 s2, 0
.LBB121_96:
	s_delay_alu instid0(SALU_CYCLE_1)
	s_and_b32 vcc_lo, exec_lo, s2
	s_cbranch_vccz .LBB121_99
; %bb.97:
	v_cmp_eq_u16_e32 vcc_lo, 11, v6
	s_mov_b32 s4, -1
	s_cbranch_vccz .LBB121_99
; %bb.98:
	v_cmp_neq_f32_e32 vcc_lo, 0, v2
	s_mov_b32 s4, 0
	s_mov_b32 s34, -1
	v_cndmask_b32_e64 v3, 0, 1, vcc_lo
	global_store_b8 v[0:1], v3, off
.LBB121_99:
.LBB121_100:
	s_and_not1_b32 vcc_lo, exec_lo, s34
	s_cbranch_vccz .LBB121_140
	s_branch .LBB121_261
.LBB121_101:
	s_and_b32 vcc_lo, exec_lo, s35
	s_cbranch_vccz .LBB121_100
; %bb.102:
	v_cmp_gt_i16_e32 vcc_lo, 5, v6
	s_mov_b32 s2, -1
	s_cbranch_vccnz .LBB121_123
; %bb.103:
	v_cmp_gt_i16_e32 vcc_lo, 8, v6
	s_cbranch_vccnz .LBB121_113
; %bb.104:
	v_cmp_gt_i16_e32 vcc_lo, 9, v6
	s_cbranch_vccnz .LBB121_110
; %bb.105:
	v_cmp_lt_i16_e32 vcc_lo, 9, v6
	s_cbranch_vccz .LBB121_107
; %bb.106:
	v_cvt_f64_f32_e32 v[9:10], v2
	v_mov_b32_e32 v11, 0
	s_mov_b32 s2, 0
	s_delay_alu instid0(VALU_DEP_1)
	v_mov_b32_e32 v12, v11
	global_store_b128 v[0:1], v[9:12], off
.LBB121_107:
	s_and_not1_b32 vcc_lo, exec_lo, s2
	s_cbranch_vccnz .LBB121_109
; %bb.108:
	v_mov_b32_e32 v3, 0
	global_store_b64 v[0:1], v[2:3], off
.LBB121_109:
	s_mov_b32 s2, 0
.LBB121_110:
	s_delay_alu instid0(SALU_CYCLE_1)
	s_and_not1_b32 vcc_lo, exec_lo, s2
	s_cbranch_vccnz .LBB121_112
; %bb.111:
	v_cvt_f16_f32_e32 v3, v2
	s_delay_alu instid0(VALU_DEP_1)
	v_and_b32_e32 v3, 0xffff, v3
	global_store_b32 v[0:1], v3, off
.LBB121_112:
	s_mov_b32 s2, 0
.LBB121_113:
	s_delay_alu instid0(SALU_CYCLE_1)
	s_and_not1_b32 vcc_lo, exec_lo, s2
	s_cbranch_vccnz .LBB121_122
; %bb.114:
	v_cmp_gt_i16_e32 vcc_lo, 6, v6
	s_mov_b32 s2, -1
	s_cbranch_vccnz .LBB121_120
; %bb.115:
	v_cmp_lt_i16_e32 vcc_lo, 6, v6
	s_cbranch_vccz .LBB121_117
; %bb.116:
	v_cvt_f64_f32_e32 v[9:10], v2
	s_mov_b32 s2, 0
	global_store_b64 v[0:1], v[9:10], off
.LBB121_117:
	s_and_not1_b32 vcc_lo, exec_lo, s2
	s_cbranch_vccnz .LBB121_119
; %bb.118:
	global_store_b32 v[0:1], v2, off
.LBB121_119:
	s_mov_b32 s2, 0
.LBB121_120:
	s_delay_alu instid0(SALU_CYCLE_1)
	s_and_not1_b32 vcc_lo, exec_lo, s2
	s_cbranch_vccnz .LBB121_122
; %bb.121:
	v_cvt_f16_f32_e32 v3, v2
	global_store_b16 v[0:1], v3, off
.LBB121_122:
	s_mov_b32 s2, 0
.LBB121_123:
	s_delay_alu instid0(SALU_CYCLE_1)
	s_and_not1_b32 vcc_lo, exec_lo, s2
	s_cbranch_vccnz .LBB121_139
; %bb.124:
	v_cmp_gt_i16_e32 vcc_lo, 2, v6
	s_mov_b32 s2, -1
	s_cbranch_vccnz .LBB121_134
; %bb.125:
	v_cmp_gt_i16_e32 vcc_lo, 3, v6
	s_cbranch_vccnz .LBB121_131
; %bb.126:
	v_cmp_lt_i16_e32 vcc_lo, 3, v6
	s_cbranch_vccz .LBB121_128
; %bb.127:
	v_trunc_f32_e32 v3, v2
	s_mov_b32 s2, 0
	s_delay_alu instid0(VALU_DEP_1) | instskip(NEXT) | instid1(VALU_DEP_1)
	v_mul_f32_e64 v7, 0x2f800000, |v3|
	v_floor_f32_e32 v7, v7
	s_delay_alu instid0(VALU_DEP_1) | instskip(SKIP_2) | instid1(VALU_DEP_3)
	v_fma_f32 v9, 0xcf800000, v7, |v3|
	v_ashrrev_i32_e32 v3, 31, v3
	v_cvt_u32_f32_e32 v7, v7
	v_cvt_u32_f32_e32 v9, v9
	s_delay_alu instid0(VALU_DEP_2) | instskip(NEXT) | instid1(VALU_DEP_2)
	v_xor_b32_e32 v7, v7, v3
	v_xor_b32_e32 v9, v9, v3
	s_delay_alu instid0(VALU_DEP_1) | instskip(NEXT) | instid1(VALU_DEP_3)
	v_sub_co_u32 v9, vcc_lo, v9, v3
	v_sub_co_ci_u32_e32 v10, vcc_lo, v7, v3, vcc_lo
	global_store_b64 v[0:1], v[9:10], off
.LBB121_128:
	s_and_not1_b32 vcc_lo, exec_lo, s2
	s_cbranch_vccnz .LBB121_130
; %bb.129:
	v_cvt_i32_f32_e32 v3, v2
	global_store_b32 v[0:1], v3, off
.LBB121_130:
	s_mov_b32 s2, 0
.LBB121_131:
	s_delay_alu instid0(SALU_CYCLE_1)
	s_and_not1_b32 vcc_lo, exec_lo, s2
	s_cbranch_vccnz .LBB121_133
; %bb.132:
	v_cvt_i32_f32_e32 v3, v2
	global_store_b16 v[0:1], v3, off
.LBB121_133:
	s_mov_b32 s2, 0
.LBB121_134:
	s_delay_alu instid0(SALU_CYCLE_1)
	s_and_not1_b32 vcc_lo, exec_lo, s2
	s_cbranch_vccnz .LBB121_139
; %bb.135:
	v_cmp_lt_i16_e32 vcc_lo, 0, v6
	s_mov_b32 s2, -1
	s_cbranch_vccz .LBB121_137
; %bb.136:
	v_cvt_i32_f32_e32 v3, v2
	s_mov_b32 s2, 0
	global_store_b8 v[0:1], v3, off
.LBB121_137:
	s_and_not1_b32 vcc_lo, exec_lo, s2
	s_cbranch_vccnz .LBB121_139
; %bb.138:
	v_trunc_f32_e32 v2, v2
	s_delay_alu instid0(VALU_DEP_1) | instskip(NEXT) | instid1(VALU_DEP_1)
	v_mul_f32_e64 v3, 0x2f800000, |v2|
	v_floor_f32_e32 v3, v3
	s_delay_alu instid0(VALU_DEP_1) | instskip(SKIP_1) | instid1(VALU_DEP_2)
	v_fma_f32 v3, 0xcf800000, v3, |v2|
	v_ashrrev_i32_e32 v2, 31, v2
	v_cvt_u32_f32_e32 v3, v3
	s_delay_alu instid0(VALU_DEP_1) | instskip(NEXT) | instid1(VALU_DEP_1)
	v_xor_b32_e32 v3, v3, v2
	v_sub_nc_u32_e32 v2, v3, v2
	global_store_b8 v[0:1], v2, off
.LBB121_139:
.LBB121_140:
	v_add_nc_u32_e32 v8, 0x80, v8
	s_mov_b32 s2, -1
	s_branch .LBB121_262
.LBB121_141:
	s_mov_b32 s2, 0
                                        ; implicit-def: $vgpr3
	s_cbranch_execnz .LBB121_178
	s_branch .LBB121_212
.LBB121_142:
	s_mov_b32 s3, -1
	s_mov_b32 s2, 0
                                        ; implicit-def: $vgpr3
	s_branch .LBB121_159
.LBB121_143:
	s_mov_b32 s3, -1
	s_mov_b32 s2, 0
                                        ; implicit-def: $vgpr3
	s_branch .LBB121_154
.LBB121_144:
	s_mov_b32 s3, -1
	s_branch .LBB121_146
.LBB121_145:
	s_mov_b32 s5, -1
.LBB121_146:
	s_mov_b32 s2, 0
                                        ; implicit-def: $vgpr3
.LBB121_147:
	s_and_b32 vcc_lo, exec_lo, s3
	s_cbranch_vccz .LBB121_153
; %bb.148:
	v_cmp_eq_u16_e32 vcc_lo, 44, v5
	s_cbranch_vccz .LBB121_152
; %bb.149:
	global_load_u8 v3, v[1:2], off
	s_mov_b32 s5, 0
	s_mov_b32 s2, -1
	s_waitcnt vmcnt(0)
	v_lshlrev_b32_e32 v6, 23, v3
	v_cmp_ne_u32_e32 vcc_lo, 0xff, v3
	s_delay_alu instid0(VALU_DEP_2) | instskip(SKIP_1) | instid1(VALU_DEP_2)
	v_cndmask_b32_e32 v6, 0x7f800001, v6, vcc_lo
	v_cmp_ne_u32_e32 vcc_lo, 0, v3
	v_cndmask_b32_e32 v3, 0x400000, v6, vcc_lo
	s_branch .LBB121_153
.LBB121_150:
	s_or_saveexec_b32 s38, s38
                                        ; implicit-def: $sgpr39
	s_delay_alu instid0(SALU_CYCLE_1)
	s_xor_b32 exec_lo, exec_lo, s38
	s_cbranch_execz .LBB121_52
.LBB121_151:
	v_add_f32_e32 v3, 0x46000000, v9
	s_and_not1_b32 s35, s35, exec_lo
	s_mov_b32 s39, 0
	s_delay_alu instid0(VALU_DEP_1) | instskip(NEXT) | instid1(VALU_DEP_1)
	v_and_b32_e32 v3, 0xff, v3
	v_cmp_ne_u32_e32 vcc_lo, 0, v3
	s_and_b32 s40, vcc_lo, exec_lo
	s_delay_alu instid0(SALU_CYCLE_1)
	s_or_b32 s35, s35, s40
	s_or_b32 exec_lo, exec_lo, s38
	v_mov_b32_e32 v10, s39
	s_and_saveexec_b32 s38, s35
	s_cbranch_execnz .LBB121_53
	s_branch .LBB121_54
.LBB121_152:
	s_mov_b32 s5, -1
                                        ; implicit-def: $vgpr3
.LBB121_153:
	s_mov_b32 s3, 0
.LBB121_154:
	s_delay_alu instid0(SALU_CYCLE_1)
	s_and_b32 vcc_lo, exec_lo, s3
	s_cbranch_vccz .LBB121_158
; %bb.155:
	v_cmp_eq_u16_e32 vcc_lo, 29, v5
	s_cbranch_vccz .LBB121_157
; %bb.156:
	global_load_b64 v[6:7], v[1:2], off
	s_mov_b32 s2, -1
	s_mov_b32 s5, 0
	s_mov_b32 s3, 0
	s_waitcnt vmcnt(0)
	v_clz_i32_u32_e32 v3, v7
	s_delay_alu instid0(VALU_DEP_1) | instskip(NEXT) | instid1(VALU_DEP_1)
	v_min_u32_e32 v3, 32, v3
	v_lshlrev_b64 v[6:7], v3, v[6:7]
	v_sub_nc_u32_e32 v3, 32, v3
	s_delay_alu instid0(VALU_DEP_2) | instskip(NEXT) | instid1(VALU_DEP_1)
	v_min_u32_e32 v6, 1, v6
	v_or_b32_e32 v6, v7, v6
	s_delay_alu instid0(VALU_DEP_1) | instskip(NEXT) | instid1(VALU_DEP_1)
	v_cvt_f32_u32_e32 v6, v6
	v_ldexp_f32 v3, v6, v3
	s_branch .LBB121_159
.LBB121_157:
	s_mov_b32 s5, -1
                                        ; implicit-def: $vgpr3
.LBB121_158:
	s_mov_b32 s3, 0
.LBB121_159:
	s_delay_alu instid0(SALU_CYCLE_1)
	s_and_b32 vcc_lo, exec_lo, s3
	s_cbranch_vccz .LBB121_177
; %bb.160:
	v_cmp_gt_i16_e32 vcc_lo, 27, v5
	s_cbranch_vccnz .LBB121_163
; %bb.161:
	v_cmp_lt_i16_e32 vcc_lo, 27, v5
	s_cbranch_vccz .LBB121_164
; %bb.162:
	global_load_b32 v3, v[1:2], off
	s_mov_b32 s2, 0
	s_waitcnt vmcnt(0)
	v_cvt_f32_u32_e32 v3, v3
	s_branch .LBB121_165
.LBB121_163:
	s_mov_b32 s2, -1
                                        ; implicit-def: $vgpr3
	s_branch .LBB121_168
.LBB121_164:
	s_mov_b32 s2, -1
                                        ; implicit-def: $vgpr3
.LBB121_165:
	s_delay_alu instid0(SALU_CYCLE_1)
	s_and_not1_b32 vcc_lo, exec_lo, s2
	s_cbranch_vccnz .LBB121_167
; %bb.166:
	global_load_u16 v3, v[1:2], off
	s_waitcnt vmcnt(0)
	v_cvt_f32_u32_e32 v3, v3
.LBB121_167:
	s_mov_b32 s2, 0
.LBB121_168:
	s_delay_alu instid0(SALU_CYCLE_1)
	s_and_not1_b32 vcc_lo, exec_lo, s2
	s_cbranch_vccnz .LBB121_176
; %bb.169:
	global_load_u8 v6, v[1:2], off
	s_mov_b32 s2, 0
	s_mov_b32 s4, exec_lo
                                        ; implicit-def: $sgpr3
	s_waitcnt vmcnt(0)
	v_cmpx_lt_i16_e32 0x7f, v6
	s_xor_b32 s4, exec_lo, s4
	s_cbranch_execz .LBB121_189
; %bb.170:
	s_mov_b32 s2, -1
	s_mov_b32 s34, exec_lo
                                        ; implicit-def: $sgpr3
	v_cmpx_eq_u16_e32 0x80, v6
; %bb.171:
	s_mov_b32 s3, 0x7f800001
	s_xor_b32 s2, exec_lo, -1
; %bb.172:
	s_or_b32 exec_lo, exec_lo, s34
	s_delay_alu instid0(SALU_CYCLE_1)
	s_and_b32 s2, s2, exec_lo
	s_or_saveexec_b32 s4, s4
	v_mov_b32_e32 v3, s3
	s_xor_b32 exec_lo, exec_lo, s4
	s_cbranch_execnz .LBB121_190
.LBB121_173:
	s_or_b32 exec_lo, exec_lo, s4
	s_and_saveexec_b32 s3, s2
	s_cbranch_execz .LBB121_175
.LBB121_174:
	v_and_b32_e32 v3, 0xffff, v6
	v_lshlrev_b32_e32 v6, 24, v6
	s_delay_alu instid0(VALU_DEP_2) | instskip(NEXT) | instid1(VALU_DEP_2)
	v_and_b32_e32 v7, 7, v3
	v_and_b32_e32 v6, 0x80000000, v6
	s_delay_alu instid0(VALU_DEP_2) | instskip(NEXT) | instid1(VALU_DEP_1)
	v_clz_i32_u32_e32 v9, v7
	v_min_u32_e32 v9, 32, v9
	s_delay_alu instid0(VALU_DEP_1) | instskip(SKIP_1) | instid1(VALU_DEP_2)
	v_subrev_nc_u32_e32 v10, 28, v9
	v_sub_nc_u32_e32 v9, 29, v9
	v_lshlrev_b32_e32 v10, v10, v3
	v_bfe_u32 v3, v3, 3, 4
	s_delay_alu instid0(VALU_DEP_1) | instskip(NEXT) | instid1(VALU_DEP_3)
	v_cmp_eq_u32_e32 vcc_lo, 0, v3
	v_dual_cndmask_b32 v3, v3, v9 :: v_dual_and_b32 v10, 7, v10
	s_delay_alu instid0(VALU_DEP_1) | instskip(NEXT) | instid1(VALU_DEP_2)
	v_lshl_add_u32 v3, v3, 23, 0x3b800000
	v_cndmask_b32_e32 v7, v7, v10, vcc_lo
	s_delay_alu instid0(VALU_DEP_1) | instskip(NEXT) | instid1(VALU_DEP_1)
	v_lshlrev_b32_e32 v7, 20, v7
	v_or3_b32 v3, v6, v3, v7
.LBB121_175:
	s_or_b32 exec_lo, exec_lo, s3
.LBB121_176:
	s_mov_b32 s2, -1
.LBB121_177:
	s_branch .LBB121_212
.LBB121_178:
	v_cmp_lt_i16_e32 vcc_lo, 22, v5
	s_cbranch_vccz .LBB121_188
; %bb.179:
	v_cmp_gt_i16_e32 vcc_lo, 24, v5
	s_cbranch_vccnz .LBB121_191
; %bb.180:
	v_cmp_lt_i16_e32 vcc_lo, 24, v5
	s_cbranch_vccz .LBB121_192
; %bb.181:
	global_load_u8 v6, v[1:2], off
	s_mov_b32 s2, 0
	s_mov_b32 s4, exec_lo
                                        ; implicit-def: $sgpr3
	s_waitcnt vmcnt(0)
	v_cmpx_lt_i16_e32 0x7f, v6
	s_xor_b32 s4, exec_lo, s4
	s_cbranch_execz .LBB121_204
; %bb.182:
	s_mov_b32 s2, -1
	s_mov_b32 s34, exec_lo
                                        ; implicit-def: $sgpr3
	v_cmpx_eq_u16_e32 0x80, v6
; %bb.183:
	s_mov_b32 s3, 0x7f800001
	s_xor_b32 s2, exec_lo, -1
; %bb.184:
	s_or_b32 exec_lo, exec_lo, s34
	s_delay_alu instid0(SALU_CYCLE_1)
	s_and_b32 s2, s2, exec_lo
	s_or_saveexec_b32 s4, s4
	v_mov_b32_e32 v3, s3
	s_xor_b32 exec_lo, exec_lo, s4
	s_cbranch_execnz .LBB121_205
.LBB121_185:
	s_or_b32 exec_lo, exec_lo, s4
	s_and_saveexec_b32 s3, s2
	s_cbranch_execz .LBB121_187
.LBB121_186:
	v_and_b32_e32 v3, 0xffff, v6
	v_lshlrev_b32_e32 v6, 24, v6
	s_delay_alu instid0(VALU_DEP_2) | instskip(NEXT) | instid1(VALU_DEP_2)
	v_and_b32_e32 v7, 3, v3
	v_and_b32_e32 v6, 0x80000000, v6
	s_delay_alu instid0(VALU_DEP_2) | instskip(NEXT) | instid1(VALU_DEP_1)
	v_clz_i32_u32_e32 v9, v7
	v_min_u32_e32 v9, 32, v9
	s_delay_alu instid0(VALU_DEP_1) | instskip(SKIP_1) | instid1(VALU_DEP_2)
	v_subrev_nc_u32_e32 v10, 29, v9
	v_sub_nc_u32_e32 v9, 30, v9
	v_lshlrev_b32_e32 v10, v10, v3
	v_bfe_u32 v3, v3, 2, 5
	s_delay_alu instid0(VALU_DEP_1) | instskip(NEXT) | instid1(VALU_DEP_3)
	v_cmp_eq_u32_e32 vcc_lo, 0, v3
	v_dual_cndmask_b32 v3, v3, v9 :: v_dual_and_b32 v10, 3, v10
	s_delay_alu instid0(VALU_DEP_1) | instskip(NEXT) | instid1(VALU_DEP_2)
	v_lshl_add_u32 v3, v3, 23, 0x37800000
	v_cndmask_b32_e32 v7, v7, v10, vcc_lo
	s_delay_alu instid0(VALU_DEP_1) | instskip(NEXT) | instid1(VALU_DEP_1)
	v_lshlrev_b32_e32 v7, 21, v7
	v_or3_b32 v3, v6, v3, v7
.LBB121_187:
	s_or_b32 exec_lo, exec_lo, s3
	s_mov_b32 s2, 0
	s_branch .LBB121_193
.LBB121_188:
	s_mov_b32 s3, -1
                                        ; implicit-def: $vgpr3
	s_branch .LBB121_199
.LBB121_189:
	s_or_saveexec_b32 s4, s4
	v_mov_b32_e32 v3, s3
	s_xor_b32 exec_lo, exec_lo, s4
	s_cbranch_execz .LBB121_173
.LBB121_190:
	v_cmp_ne_u16_e32 vcc_lo, 0, v6
	v_mov_b32_e32 v3, 0
	s_and_not1_b32 s2, s2, exec_lo
	s_and_b32 s3, vcc_lo, exec_lo
	s_delay_alu instid0(SALU_CYCLE_1)
	s_or_b32 s2, s2, s3
	s_or_b32 exec_lo, exec_lo, s4
	s_and_saveexec_b32 s3, s2
	s_cbranch_execnz .LBB121_174
	s_branch .LBB121_175
.LBB121_191:
	s_mov_b32 s2, -1
                                        ; implicit-def: $vgpr3
	s_branch .LBB121_196
.LBB121_192:
	s_mov_b32 s2, -1
                                        ; implicit-def: $vgpr3
.LBB121_193:
	s_delay_alu instid0(SALU_CYCLE_1)
	s_and_b32 vcc_lo, exec_lo, s2
	s_cbranch_vccz .LBB121_195
; %bb.194:
	global_load_u8 v3, v[1:2], off
	s_waitcnt vmcnt(0)
	v_lshlrev_b32_e32 v3, 24, v3
	s_delay_alu instid0(VALU_DEP_1) | instskip(NEXT) | instid1(VALU_DEP_1)
	v_and_b32_e32 v6, 0x7f000000, v3
	v_clz_i32_u32_e32 v7, v6
	v_cmp_ne_u32_e32 vcc_lo, 0, v6
	v_add_nc_u32_e32 v10, 0x1000000, v6
	s_delay_alu instid0(VALU_DEP_3) | instskip(NEXT) | instid1(VALU_DEP_1)
	v_min_u32_e32 v7, 32, v7
	v_sub_nc_u32_e64 v7, v7, 4 clamp
	s_delay_alu instid0(VALU_DEP_1) | instskip(SKIP_1) | instid1(VALU_DEP_2)
	v_lshlrev_b32_e32 v9, v7, v6
	v_lshlrev_b32_e32 v7, 23, v7
	v_lshrrev_b32_e32 v9, 4, v9
	s_delay_alu instid0(VALU_DEP_1) | instskip(SKIP_1) | instid1(VALU_DEP_2)
	v_sub_nc_u32_e32 v7, v9, v7
	v_ashrrev_i32_e32 v9, 8, v10
	v_add_nc_u32_e32 v7, 0x3c000000, v7
	s_delay_alu instid0(VALU_DEP_1) | instskip(NEXT) | instid1(VALU_DEP_1)
	v_and_or_b32 v7, 0x7f800000, v9, v7
	v_cndmask_b32_e32 v6, 0, v7, vcc_lo
	s_delay_alu instid0(VALU_DEP_1)
	v_and_or_b32 v3, 0x80000000, v3, v6
.LBB121_195:
	s_mov_b32 s2, 0
.LBB121_196:
	s_delay_alu instid0(SALU_CYCLE_1)
	s_and_not1_b32 vcc_lo, exec_lo, s2
	s_cbranch_vccnz .LBB121_198
; %bb.197:
	global_load_u8 v3, v[1:2], off
	s_waitcnt vmcnt(0)
	v_lshlrev_b32_e32 v6, 25, v3
	v_lshlrev_b16 v3, 8, v3
	s_delay_alu instid0(VALU_DEP_1) | instskip(SKIP_1) | instid1(VALU_DEP_2)
	v_and_or_b32 v9, 0x7f00, v3, 0.5
	v_bfe_i32 v3, v3, 0, 16
	v_add_f32_e32 v9, -0.5, v9
	v_lshrrev_b32_e32 v7, 4, v6
	v_cmp_gt_u32_e32 vcc_lo, 0x8000000, v6
	s_delay_alu instid0(VALU_DEP_2) | instskip(NEXT) | instid1(VALU_DEP_1)
	v_or_b32_e32 v7, 0x70000000, v7
	v_mul_f32_e32 v7, 0x7800000, v7
	s_delay_alu instid0(VALU_DEP_1) | instskip(NEXT) | instid1(VALU_DEP_1)
	v_cndmask_b32_e32 v6, v7, v9, vcc_lo
	v_and_or_b32 v3, 0x80000000, v3, v6
.LBB121_198:
	s_mov_b32 s3, 0
	s_mov_b32 s2, -1
.LBB121_199:
	s_and_not1_b32 vcc_lo, exec_lo, s3
	s_cbranch_vccnz .LBB121_212
; %bb.200:
	v_cmp_lt_i16_e32 vcc_lo, 14, v5
	s_cbranch_vccz .LBB121_203
; %bb.201:
	v_cmp_eq_u16_e32 vcc_lo, 15, v5
	s_cbranch_vccz .LBB121_206
; %bb.202:
	global_load_u16 v3, v[1:2], off
	s_mov_b32 s2, -1
	s_mov_b32 s5, 0
	s_waitcnt vmcnt(0)
	v_lshlrev_b32_e32 v3, 16, v3
	s_branch .LBB121_207
.LBB121_203:
	s_mov_b32 s3, -1
                                        ; implicit-def: $vgpr3
	s_branch .LBB121_208
.LBB121_204:
	s_or_saveexec_b32 s4, s4
	v_mov_b32_e32 v3, s3
	s_xor_b32 exec_lo, exec_lo, s4
	s_cbranch_execz .LBB121_185
.LBB121_205:
	v_cmp_ne_u16_e32 vcc_lo, 0, v6
	v_mov_b32_e32 v3, 0
	s_and_not1_b32 s2, s2, exec_lo
	s_and_b32 s3, vcc_lo, exec_lo
	s_delay_alu instid0(SALU_CYCLE_1)
	s_or_b32 s2, s2, s3
	s_or_b32 exec_lo, exec_lo, s4
	s_and_saveexec_b32 s3, s2
	s_cbranch_execnz .LBB121_186
	s_branch .LBB121_187
.LBB121_206:
	s_mov_b32 s5, -1
                                        ; implicit-def: $vgpr3
.LBB121_207:
	s_mov_b32 s3, 0
.LBB121_208:
	s_delay_alu instid0(SALU_CYCLE_1)
	s_and_b32 vcc_lo, exec_lo, s3
	s_cbranch_vccz .LBB121_212
; %bb.209:
	v_cmp_eq_u16_e32 vcc_lo, 11, v5
	s_cbranch_vccz .LBB121_211
; %bb.210:
	global_load_u8 v3, v[1:2], off
	s_mov_b32 s5, 0
	s_mov_b32 s2, -1
	s_waitcnt vmcnt(0)
	v_cmp_ne_u16_e32 vcc_lo, 0, v3
	v_cndmask_b32_e64 v3, 0, 1.0, vcc_lo
	s_branch .LBB121_212
.LBB121_211:
	s_mov_b32 s5, -1
                                        ; implicit-def: $vgpr3
.LBB121_212:
	s_branch .LBB121_23
.LBB121_213:
	v_cmp_gt_i16_e32 vcc_lo, 5, v5
	s_cbranch_vccnz .LBB121_218
; %bb.214:
	v_cmp_gt_i16_e32 vcc_lo, 8, v5
	s_cbranch_vccnz .LBB121_219
; %bb.215:
	;; [unrolled: 3-line block ×3, first 2 shown]
	v_cmp_lt_i16_e32 vcc_lo, 9, v5
	s_cbranch_vccz .LBB121_221
; %bb.217:
	global_load_b64 v[6:7], v[1:2], off
	s_mov_b32 s2, 0
	s_waitcnt vmcnt(0)
	v_cvt_f32_f64_e32 v3, v[6:7]
	s_branch .LBB121_222
.LBB121_218:
                                        ; implicit-def: $vgpr3
	s_branch .LBB121_240
.LBB121_219:
	s_mov_b32 s2, -1
                                        ; implicit-def: $vgpr3
	s_branch .LBB121_228
.LBB121_220:
	s_mov_b32 s2, -1
                                        ; implicit-def: $vgpr3
	s_branch .LBB121_225
.LBB121_221:
	s_mov_b32 s2, -1
                                        ; implicit-def: $vgpr3
.LBB121_222:
	s_delay_alu instid0(SALU_CYCLE_1)
	s_and_not1_b32 vcc_lo, exec_lo, s2
	s_cbranch_vccnz .LBB121_224
; %bb.223:
	global_load_b32 v3, v[1:2], off
.LBB121_224:
	s_mov_b32 s2, 0
.LBB121_225:
	s_delay_alu instid0(SALU_CYCLE_1)
	s_and_not1_b32 vcc_lo, exec_lo, s2
	s_cbranch_vccnz .LBB121_227
; %bb.226:
	global_load_b32 v3, v[1:2], off
	s_waitcnt vmcnt(0)
	v_cvt_f32_f16_e32 v3, v3
.LBB121_227:
	s_mov_b32 s2, 0
.LBB121_228:
	s_delay_alu instid0(SALU_CYCLE_1)
	s_and_not1_b32 vcc_lo, exec_lo, s2
	s_cbranch_vccnz .LBB121_239
; %bb.229:
	v_cmp_gt_i16_e32 vcc_lo, 6, v5
	s_cbranch_vccnz .LBB121_232
; %bb.230:
	v_cmp_lt_i16_e32 vcc_lo, 6, v5
	s_cbranch_vccz .LBB121_233
; %bb.231:
	global_load_b64 v[6:7], v[1:2], off
	s_mov_b32 s2, 0
	s_waitcnt vmcnt(0)
	v_cvt_f32_f64_e32 v3, v[6:7]
	s_branch .LBB121_234
.LBB121_232:
	s_mov_b32 s2, -1
                                        ; implicit-def: $vgpr3
	s_branch .LBB121_237
.LBB121_233:
	s_mov_b32 s2, -1
                                        ; implicit-def: $vgpr3
.LBB121_234:
	s_delay_alu instid0(SALU_CYCLE_1)
	s_and_not1_b32 vcc_lo, exec_lo, s2
	s_cbranch_vccnz .LBB121_236
; %bb.235:
	global_load_b32 v3, v[1:2], off
.LBB121_236:
	s_mov_b32 s2, 0
.LBB121_237:
	s_delay_alu instid0(SALU_CYCLE_1)
	s_and_not1_b32 vcc_lo, exec_lo, s2
	s_cbranch_vccnz .LBB121_239
; %bb.238:
	global_load_u16 v3, v[1:2], off
	s_waitcnt vmcnt(0)
	v_cvt_f32_f16_e32 v3, v3
.LBB121_239:
	s_cbranch_execnz .LBB121_259
.LBB121_240:
	v_cmp_gt_i16_e32 vcc_lo, 2, v5
	s_cbranch_vccnz .LBB121_244
; %bb.241:
	v_cmp_gt_i16_e32 vcc_lo, 3, v5
	s_cbranch_vccnz .LBB121_245
; %bb.242:
	v_cmp_lt_i16_e32 vcc_lo, 3, v5
	s_cbranch_vccz .LBB121_246
; %bb.243:
	global_load_b64 v[6:7], v[1:2], off
	s_mov_b32 s2, 0
	s_waitcnt vmcnt(0)
	v_xor_b32_e32 v3, v6, v7
	v_cls_i32_e32 v9, v7
	s_delay_alu instid0(VALU_DEP_2) | instskip(NEXT) | instid1(VALU_DEP_2)
	v_ashrrev_i32_e32 v3, 31, v3
	v_add_nc_u32_e32 v9, -1, v9
	s_delay_alu instid0(VALU_DEP_2) | instskip(NEXT) | instid1(VALU_DEP_1)
	v_add_nc_u32_e32 v3, 32, v3
	v_min_u32_e32 v3, v9, v3
	s_delay_alu instid0(VALU_DEP_1) | instskip(SKIP_1) | instid1(VALU_DEP_2)
	v_lshlrev_b64 v[6:7], v3, v[6:7]
	v_sub_nc_u32_e32 v3, 32, v3
	v_min_u32_e32 v6, 1, v6
	s_delay_alu instid0(VALU_DEP_1) | instskip(NEXT) | instid1(VALU_DEP_1)
	v_or_b32_e32 v6, v7, v6
	v_cvt_f32_i32_e32 v6, v6
	s_delay_alu instid0(VALU_DEP_1)
	v_ldexp_f32 v3, v6, v3
	s_branch .LBB121_247
.LBB121_244:
	s_mov_b32 s2, -1
                                        ; implicit-def: $vgpr3
	s_branch .LBB121_253
.LBB121_245:
	s_mov_b32 s2, -1
                                        ; implicit-def: $vgpr3
	s_branch .LBB121_250
.LBB121_246:
	s_mov_b32 s2, -1
                                        ; implicit-def: $vgpr3
.LBB121_247:
	s_delay_alu instid0(SALU_CYCLE_1)
	s_and_not1_b32 vcc_lo, exec_lo, s2
	s_cbranch_vccnz .LBB121_249
; %bb.248:
	global_load_b32 v3, v[1:2], off
	s_waitcnt vmcnt(0)
	v_cvt_f32_i32_e32 v3, v3
.LBB121_249:
	s_mov_b32 s2, 0
.LBB121_250:
	s_delay_alu instid0(SALU_CYCLE_1)
	s_and_not1_b32 vcc_lo, exec_lo, s2
	s_cbranch_vccnz .LBB121_252
; %bb.251:
	global_load_i16 v3, v[1:2], off
	s_waitcnt vmcnt(0)
	v_cvt_f32_i32_e32 v3, v3
.LBB121_252:
	s_mov_b32 s2, 0
.LBB121_253:
	s_delay_alu instid0(SALU_CYCLE_1)
	s_and_not1_b32 vcc_lo, exec_lo, s2
	s_cbranch_vccnz .LBB121_259
; %bb.254:
	v_cmp_lt_i16_e32 vcc_lo, 0, v5
	s_mov_b32 s2, 0
	s_cbranch_vccz .LBB121_256
; %bb.255:
	global_load_i8 v3, v[1:2], off
	s_waitcnt vmcnt(0)
	v_cvt_f32_i32_e32 v3, v3
	s_branch .LBB121_257
.LBB121_256:
	s_mov_b32 s2, -1
                                        ; implicit-def: $vgpr3
.LBB121_257:
	s_delay_alu instid0(SALU_CYCLE_1)
	s_and_not1_b32 vcc_lo, exec_lo, s2
	s_cbranch_vccnz .LBB121_259
; %bb.258:
	global_load_u8 v1, v[1:2], off
	s_waitcnt vmcnt(0)
	v_cvt_f32_ubyte0_e32 v3, v1
.LBB121_259:
	s_branch .LBB121_24
.LBB121_260:
	s_mov_b32 s4, 0
.LBB121_261:
	s_mov_b32 s2, 0
                                        ; implicit-def: $vgpr8
.LBB121_262:
	s_and_b32 s34, s4, exec_lo
	s_and_b32 s35, s5, exec_lo
	s_or_not1_b32 s3, s2, exec_lo
.LBB121_263:
	s_or_b32 exec_lo, exec_lo, s36
	s_mov_b32 s4, 0
	s_mov_b32 s2, 0
                                        ; implicit-def: $vgpr1_vgpr2
                                        ; implicit-def: $vgpr0
                                        ; implicit-def: $vgpr6
	s_and_saveexec_b32 s36, s3
	s_cbranch_execz .LBB121_906
; %bb.264:
	s_mov_b32 s2, -1
	s_mov_b32 s37, s35
	s_mov_b32 s38, s34
	s_mov_b32 s39, exec_lo
	v_cmpx_gt_i32_e64 s30, v8
	s_cbranch_execz .LBB121_533
; %bb.265:
	s_and_not1_b32 vcc_lo, exec_lo, s27
	s_cbranch_vccnz .LBB121_270
; %bb.266:
	v_dual_mov_b32 v0, 0 :: v_dual_mov_b32 v1, 0
	s_and_not1_b32 vcc_lo, exec_lo, s33
	s_mov_b32 s37, 0
	s_cbranch_vccnz .LBB121_275
; %bb.267:
	v_mov_b32_e32 v0, 0
	s_add_i32 s40, s31, 1
	s_cmp_eq_u32 s25, 2
	s_mov_b32 s38, 0
	s_cbranch_scc1 .LBB121_271
; %bb.268:
	v_dual_mov_b32 v1, 0 :: v_dual_mov_b32 v0, 0
	v_mov_b32_e32 v2, v8
	s_and_b32 s38, s40, 28
	s_mov_b32 s41, 0
	s_mov_b64 s[2:3], s[22:23]
	s_mov_b64 s[4:5], s[6:7]
.LBB121_269:                            ; =>This Inner Loop Header: Depth=1
	s_clause 0x1
	s_load_b256 s[44:51], s[4:5], 0x4
	s_load_b128 s[60:63], s[4:5], 0x24
	s_load_b256 s[52:59], s[2:3], 0x0
	s_add_u32 s4, s4, 48
	s_addc_u32 s5, s5, 0
	s_add_i32 s41, s41, 4
	s_add_u32 s2, s2, 32
	s_addc_u32 s3, s3, 0
	s_cmp_eq_u32 s38, s41
	s_waitcnt vmcnt(0) lgkmcnt(0)
	v_mul_hi_u32 v3, s45, v2
	s_delay_alu instid0(VALU_DEP_1) | instskip(NEXT) | instid1(VALU_DEP_1)
	v_add_nc_u32_e32 v3, v2, v3
	v_lshrrev_b32_e32 v3, s46, v3
	s_delay_alu instid0(VALU_DEP_1) | instskip(SKIP_1) | instid1(VALU_DEP_2)
	v_mul_hi_u32 v6, s48, v3
	v_mul_lo_u32 v9, v3, s44
	v_add_nc_u32_e32 v6, v3, v6
	s_delay_alu instid0(VALU_DEP_2) | instskip(NEXT) | instid1(VALU_DEP_2)
	v_sub_nc_u32_e32 v2, v2, v9
	v_lshrrev_b32_e32 v6, s49, v6
	s_delay_alu instid0(VALU_DEP_2) | instskip(SKIP_1) | instid1(VALU_DEP_3)
	v_mul_lo_u32 v9, v2, s52
	v_mul_lo_u32 v11, v2, s53
	v_mul_hi_u32 v7, s51, v6
	s_delay_alu instid0(VALU_DEP_1) | instskip(NEXT) | instid1(VALU_DEP_1)
	v_add_nc_u32_e32 v7, v6, v7
	v_lshrrev_b32_e32 v7, s60, v7
	s_delay_alu instid0(VALU_DEP_1) | instskip(SKIP_1) | instid1(VALU_DEP_2)
	v_mul_hi_u32 v10, s62, v7
	v_mul_lo_u32 v12, v7, s50
	v_add_nc_u32_e32 v2, v7, v10
	v_mul_lo_u32 v10, v6, s47
	s_delay_alu instid0(VALU_DEP_3) | instskip(NEXT) | instid1(VALU_DEP_3)
	v_sub_nc_u32_e32 v6, v6, v12
	v_lshrrev_b32_e32 v2, s63, v2
	s_delay_alu instid0(VALU_DEP_2) | instskip(SKIP_2) | instid1(VALU_DEP_4)
	v_mul_lo_u32 v12, v6, s56
	v_mul_lo_u32 v6, v6, s57
	v_sub_nc_u32_e32 v3, v3, v10
	v_mul_lo_u32 v13, v2, s61
	s_delay_alu instid0(VALU_DEP_2) | instskip(SKIP_1) | instid1(VALU_DEP_3)
	v_mul_lo_u32 v10, v3, s54
	v_mul_lo_u32 v3, v3, s55
	v_sub_nc_u32_e32 v7, v7, v13
	s_delay_alu instid0(VALU_DEP_3) | instskip(NEXT) | instid1(VALU_DEP_2)
	v_add3_u32 v0, v9, v0, v10
	v_mul_lo_u32 v13, v7, s58
	v_mul_lo_u32 v7, v7, s59
	v_add3_u32 v1, v11, v1, v3
	s_delay_alu instid0(VALU_DEP_3) | instskip(NEXT) | instid1(VALU_DEP_2)
	v_add3_u32 v0, v12, v0, v13
	v_add3_u32 v1, v6, v1, v7
	s_cbranch_scc0 .LBB121_269
	s_branch .LBB121_272
.LBB121_270:
	s_mov_b32 s37, -1
                                        ; implicit-def: $vgpr0
                                        ; implicit-def: $vgpr1
	s_branch .LBB121_275
.LBB121_271:
	v_dual_mov_b32 v2, v8 :: v_dual_mov_b32 v1, 0
.LBB121_272:
	s_and_b32 s40, s40, 3
	s_delay_alu instid0(SALU_CYCLE_1)
	s_cmp_eq_u32 s40, 0
	s_cbranch_scc1 .LBB121_275
; %bb.273:
	s_lshl_b32 s2, s38, 3
	s_mul_i32 s4, s38, 12
	s_add_u32 s2, s2, s6
	s_addc_u32 s3, s7, 0
	s_add_u32 s2, s2, 0xc4
	s_addc_u32 s3, s3, 0
	;; [unrolled: 2-line block ×3, first 2 shown]
	.p2align	6
.LBB121_274:                            ; =>This Inner Loop Header: Depth=1
	s_clause 0x1
	s_load_b64 s[42:43], s[4:5], 0x4
	s_load_b32 s38, s[4:5], 0xc
	s_load_b64 s[44:45], s[2:3], 0x0
	s_add_u32 s4, s4, 12
	s_addc_u32 s5, s5, 0
	s_add_u32 s2, s2, 8
	s_addc_u32 s3, s3, 0
	s_add_i32 s40, s40, -1
	s_delay_alu instid0(SALU_CYCLE_1) | instskip(SKIP_2) | instid1(VALU_DEP_1)
	s_cmp_lg_u32 s40, 0
	s_waitcnt vmcnt(0) lgkmcnt(0)
	v_mul_hi_u32 v3, s43, v2
	v_add_nc_u32_e32 v3, v2, v3
	s_delay_alu instid0(VALU_DEP_1) | instskip(NEXT) | instid1(VALU_DEP_1)
	v_lshrrev_b32_e32 v3, s38, v3
	v_mul_lo_u32 v6, v3, s42
	s_delay_alu instid0(VALU_DEP_1) | instskip(NEXT) | instid1(VALU_DEP_1)
	v_sub_nc_u32_e32 v2, v2, v6
	v_mad_u64_u32 v[6:7], null, v2, s44, v[0:1]
	v_mad_u64_u32 v[9:10], null, v2, s45, v[1:2]
	v_mov_b32_e32 v2, v3
	s_delay_alu instid0(VALU_DEP_2)
	v_dual_mov_b32 v0, v6 :: v_dual_mov_b32 v1, v9
	s_cbranch_scc1 .LBB121_274
.LBB121_275:
	s_and_not1_b32 vcc_lo, exec_lo, s37
	s_cbranch_vccnz .LBB121_278
; %bb.276:
	s_waitcnt lgkmcnt(0)
	v_mul_hi_u32 v0, s17, v8
	s_and_not1_b32 vcc_lo, exec_lo, s29
	s_delay_alu instid0(VALU_DEP_1) | instskip(NEXT) | instid1(VALU_DEP_1)
	v_add_nc_u32_e32 v0, v8, v0
	v_lshrrev_b32_e32 v2, s18, v0
	s_delay_alu instid0(VALU_DEP_1) | instskip(NEXT) | instid1(VALU_DEP_1)
	v_mul_lo_u32 v0, v2, s16
	v_sub_nc_u32_e32 v1, v8, v0
	s_delay_alu instid0(VALU_DEP_1)
	v_mul_lo_u32 v0, v1, s12
	v_mul_lo_u32 v1, v1, s13
	s_cbranch_vccnz .LBB121_278
; %bb.277:
	s_waitcnt vmcnt(0)
	v_mul_hi_u32 v3, s20, v2
	s_delay_alu instid0(VALU_DEP_1) | instskip(NEXT) | instid1(VALU_DEP_1)
	v_add_nc_u32_e32 v3, v2, v3
	v_lshrrev_b32_e32 v3, s21, v3
	s_delay_alu instid0(VALU_DEP_1) | instskip(NEXT) | instid1(VALU_DEP_1)
	v_mul_lo_u32 v3, v3, s19
	v_sub_nc_u32_e32 v9, v2, v3
	s_delay_alu instid0(VALU_DEP_1) | instskip(NEXT) | instid1(VALU_DEP_1)
	v_mad_u64_u32 v[2:3], null, v9, s14, v[0:1]
	v_mad_u64_u32 v[6:7], null, v9, s15, v[1:2]
	v_mov_b32_e32 v0, v2
	s_delay_alu instid0(VALU_DEP_2)
	v_mov_b32_e32 v1, v6
.LBB121_278:
	v_cmp_gt_i16_e32 vcc_lo, 11, v5
	s_waitcnt lgkmcnt(0)
	s_delay_alu instid0(VALU_DEP_2) | instskip(NEXT) | instid1(VALU_DEP_1)
	v_add_co_u32 v1, s2, s10, v1
	v_add_co_ci_u32_e64 v2, null, s11, 0, s2
	s_mov_b32 s2, 0
	s_cbranch_vccnz .LBB121_285
; %bb.279:
	v_cmp_lt_i16_e32 vcc_lo, 25, v5
	s_cbranch_vccz .LBB121_334
; %bb.280:
	v_cmp_lt_i16_e32 vcc_lo, 28, v5
	s_cbranch_vccz .LBB121_335
	;; [unrolled: 3-line block ×4, first 2 shown]
; %bb.283:
	v_cmp_eq_u16_e32 vcc_lo, 46, v5
	s_mov_b32 s3, 0
	s_cbranch_vccz .LBB121_343
; %bb.284:
	global_load_b32 v3, v[1:2], off
	s_mov_b32 s2, -1
	s_mov_b32 s5, 0
	s_waitcnt vmcnt(0)
	v_lshlrev_b32_e32 v3, 16, v3
	s_branch .LBB121_345
.LBB121_285:
	s_mov_b32 s5, s35
                                        ; implicit-def: $vgpr3
	s_cbranch_execnz .LBB121_482
.LBB121_286:
	s_and_not1_b32 vcc_lo, exec_lo, s2
	s_cbranch_vccnz .LBB121_530
.LBB121_287:
	s_waitcnt vmcnt(0)
	s_delay_alu instid0(VALU_DEP_1) | instskip(SKIP_3) | instid1(VALU_DEP_2)
	v_mul_f32_e32 v1, 0x3fb8aa3b, v3
	s_mov_b32 s2, 0x395133b1
	v_add_co_u32 v0, s3, s8, v0
	s_mov_b32 s37, 0
	v_rndne_f32_e32 v1, v1
	s_mov_b32 s38, -1
	s_mov_b32 s4, s34
	s_delay_alu instid0(VALU_DEP_1) | instskip(SKIP_2) | instid1(VALU_DEP_3)
	v_fmamk_f32 v2, v1, 0xbf317218, v3
	v_cmp_eq_f32_e32 vcc_lo, 0x43000000, v1
	v_cvt_i32_f32_e32 v7, v1
	v_fmamk_f32 v2, v1, 0x3102e308, v2
	s_delay_alu instid0(VALU_DEP_2) | instskip(NEXT) | instid1(VALU_DEP_2)
	v_cndmask_b32_e64 v1, v7, 0x7f, vcc_lo
	v_fmaak_f32 v6, s2, v2, 0x3ab69700
	v_cmp_lt_f32_e64 s2, 0x42b17217, v3
	s_delay_alu instid0(VALU_DEP_3) | instskip(NEXT) | instid1(VALU_DEP_1)
	v_ldexp_f32 v1, 1.0, v1
	v_dual_fmaak_f32 v6, v2, v6, 0x3c0887f9 :: v_dual_add_f32 v7, -1.0, v1
	s_delay_alu instid0(VALU_DEP_1) | instskip(NEXT) | instid1(VALU_DEP_1)
	v_fmaak_f32 v6, v2, v6, 0x3d2aaa81
	v_fmaak_f32 v6, v2, v6, 0x3e2aaaab
	s_delay_alu instid0(VALU_DEP_1) | instskip(NEXT) | instid1(VALU_DEP_1)
	v_fma_f32 v6, v2, v6, 0.5
	v_mul_f32_e32 v6, v2, v6
	s_delay_alu instid0(VALU_DEP_1) | instskip(NEXT) | instid1(VALU_DEP_1)
	v_fmac_f32_e32 v2, v2, v6
	v_dual_fmac_f32 v7, v1, v2 :: v_dual_and_b32 v6, 0xff, v4
	s_delay_alu instid0(VALU_DEP_1) | instskip(NEXT) | instid1(VALU_DEP_1)
	v_add_f32_e32 v1, v7, v7
	v_cndmask_b32_e32 v7, v7, v1, vcc_lo
	v_add_co_ci_u32_e64 v1, null, s9, 0, s3
	v_cmp_gt_f32_e64 s3, 0xc1880000, v3
	v_cmp_gt_i16_e32 vcc_lo, 11, v6
	s_delay_alu instid0(VALU_DEP_4) | instskip(NEXT) | instid1(VALU_DEP_1)
	v_cndmask_b32_e64 v2, v7, 0x7f800000, s2
	v_cndmask_b32_e64 v2, v2, -1.0, s3
	s_cbranch_vccnz .LBB121_294
; %bb.288:
	v_cmp_lt_i16_e32 vcc_lo, 25, v6
	s_cbranch_vccz .LBB121_336
; %bb.289:
	v_cmp_lt_i16_e32 vcc_lo, 28, v6
	s_cbranch_vccz .LBB121_338
	;; [unrolled: 3-line block ×4, first 2 shown]
; %bb.292:
	v_cmp_eq_u16_e32 vcc_lo, 46, v6
	s_mov_b32 s38, 0
	s_mov_b32 s4, -1
	s_cbranch_vccz .LBB121_349
; %bb.293:
	v_bfe_u32 v3, v2, 16, 1
	v_cmp_o_f32_e32 vcc_lo, v2, v2
	s_mov_b32 s37, -1
	s_mov_b32 s4, 0
	s_delay_alu instid0(VALU_DEP_2) | instskip(NEXT) | instid1(VALU_DEP_1)
	v_add3_u32 v3, v2, v3, 0x7fff
	v_lshrrev_b32_e32 v3, 16, v3
	s_delay_alu instid0(VALU_DEP_1)
	v_cndmask_b32_e32 v3, 0x7fc0, v3, vcc_lo
	global_store_b32 v[0:1], v3, off
	s_branch .LBB121_349
.LBB121_294:
	s_and_b32 vcc_lo, exec_lo, s38
	s_cbranch_vccz .LBB121_418
; %bb.295:
	v_cmp_gt_i16_e32 vcc_lo, 5, v6
	s_mov_b32 s2, -1
	s_cbranch_vccnz .LBB121_316
; %bb.296:
	v_cmp_gt_i16_e32 vcc_lo, 8, v6
	s_cbranch_vccnz .LBB121_306
; %bb.297:
	v_cmp_gt_i16_e32 vcc_lo, 9, v6
	s_cbranch_vccnz .LBB121_303
; %bb.298:
	v_cmp_lt_i16_e32 vcc_lo, 9, v6
	s_cbranch_vccz .LBB121_300
; %bb.299:
	v_cvt_f64_f32_e32 v[9:10], v2
	v_mov_b32_e32 v11, 0
	s_mov_b32 s2, 0
	s_delay_alu instid0(VALU_DEP_1)
	v_mov_b32_e32 v12, v11
	global_store_b128 v[0:1], v[9:12], off
.LBB121_300:
	s_and_not1_b32 vcc_lo, exec_lo, s2
	s_cbranch_vccnz .LBB121_302
; %bb.301:
	v_mov_b32_e32 v3, 0
	global_store_b64 v[0:1], v[2:3], off
.LBB121_302:
	s_mov_b32 s2, 0
.LBB121_303:
	s_delay_alu instid0(SALU_CYCLE_1)
	s_and_not1_b32 vcc_lo, exec_lo, s2
	s_cbranch_vccnz .LBB121_305
; %bb.304:
	v_cvt_f16_f32_e32 v3, v2
	s_delay_alu instid0(VALU_DEP_1)
	v_and_b32_e32 v3, 0xffff, v3
	global_store_b32 v[0:1], v3, off
.LBB121_305:
	s_mov_b32 s2, 0
.LBB121_306:
	s_delay_alu instid0(SALU_CYCLE_1)
	s_and_not1_b32 vcc_lo, exec_lo, s2
	s_cbranch_vccnz .LBB121_315
; %bb.307:
	v_cmp_gt_i16_e32 vcc_lo, 6, v6
	s_mov_b32 s2, -1
	s_cbranch_vccnz .LBB121_313
; %bb.308:
	v_cmp_lt_i16_e32 vcc_lo, 6, v6
	s_cbranch_vccz .LBB121_310
; %bb.309:
	v_cvt_f64_f32_e32 v[9:10], v2
	s_mov_b32 s2, 0
	global_store_b64 v[0:1], v[9:10], off
.LBB121_310:
	s_and_not1_b32 vcc_lo, exec_lo, s2
	s_cbranch_vccnz .LBB121_312
; %bb.311:
	global_store_b32 v[0:1], v2, off
.LBB121_312:
	s_mov_b32 s2, 0
.LBB121_313:
	s_delay_alu instid0(SALU_CYCLE_1)
	s_and_not1_b32 vcc_lo, exec_lo, s2
	s_cbranch_vccnz .LBB121_315
; %bb.314:
	v_cvt_f16_f32_e32 v3, v2
	global_store_b16 v[0:1], v3, off
.LBB121_315:
	s_mov_b32 s2, 0
.LBB121_316:
	s_delay_alu instid0(SALU_CYCLE_1)
	s_and_not1_b32 vcc_lo, exec_lo, s2
	s_cbranch_vccnz .LBB121_332
; %bb.317:
	v_cmp_gt_i16_e32 vcc_lo, 2, v6
	s_mov_b32 s2, -1
	s_cbranch_vccnz .LBB121_327
; %bb.318:
	v_cmp_gt_i16_e32 vcc_lo, 3, v6
	s_cbranch_vccnz .LBB121_324
; %bb.319:
	v_cmp_lt_i16_e32 vcc_lo, 3, v6
	s_cbranch_vccz .LBB121_321
; %bb.320:
	v_trunc_f32_e32 v3, v2
	s_mov_b32 s2, 0
	s_delay_alu instid0(VALU_DEP_1) | instskip(NEXT) | instid1(VALU_DEP_1)
	v_mul_f32_e64 v7, 0x2f800000, |v3|
	v_floor_f32_e32 v7, v7
	s_delay_alu instid0(VALU_DEP_1) | instskip(SKIP_2) | instid1(VALU_DEP_3)
	v_fma_f32 v9, 0xcf800000, v7, |v3|
	v_ashrrev_i32_e32 v3, 31, v3
	v_cvt_u32_f32_e32 v7, v7
	v_cvt_u32_f32_e32 v9, v9
	s_delay_alu instid0(VALU_DEP_2) | instskip(NEXT) | instid1(VALU_DEP_2)
	v_xor_b32_e32 v7, v7, v3
	v_xor_b32_e32 v9, v9, v3
	s_delay_alu instid0(VALU_DEP_1) | instskip(NEXT) | instid1(VALU_DEP_3)
	v_sub_co_u32 v9, vcc_lo, v9, v3
	v_sub_co_ci_u32_e32 v10, vcc_lo, v7, v3, vcc_lo
	global_store_b64 v[0:1], v[9:10], off
.LBB121_321:
	s_and_not1_b32 vcc_lo, exec_lo, s2
	s_cbranch_vccnz .LBB121_323
; %bb.322:
	v_cvt_i32_f32_e32 v3, v2
	global_store_b32 v[0:1], v3, off
.LBB121_323:
	s_mov_b32 s2, 0
.LBB121_324:
	s_delay_alu instid0(SALU_CYCLE_1)
	s_and_not1_b32 vcc_lo, exec_lo, s2
	s_cbranch_vccnz .LBB121_326
; %bb.325:
	v_cvt_i32_f32_e32 v3, v2
	global_store_b16 v[0:1], v3, off
.LBB121_326:
	s_mov_b32 s2, 0
.LBB121_327:
	s_delay_alu instid0(SALU_CYCLE_1)
	s_and_not1_b32 vcc_lo, exec_lo, s2
	s_cbranch_vccnz .LBB121_332
; %bb.328:
	v_cmp_lt_i16_e32 vcc_lo, 0, v6
	s_mov_b32 s2, -1
	s_cbranch_vccz .LBB121_330
; %bb.329:
	v_cvt_i32_f32_e32 v3, v2
	s_mov_b32 s2, 0
	global_store_b8 v[0:1], v3, off
.LBB121_330:
	s_and_not1_b32 vcc_lo, exec_lo, s2
	s_cbranch_vccnz .LBB121_332
; %bb.331:
	v_trunc_f32_e32 v2, v2
	s_delay_alu instid0(VALU_DEP_1) | instskip(NEXT) | instid1(VALU_DEP_1)
	v_mul_f32_e64 v3, 0x2f800000, |v2|
	v_floor_f32_e32 v3, v3
	s_delay_alu instid0(VALU_DEP_1) | instskip(SKIP_1) | instid1(VALU_DEP_2)
	v_fma_f32 v3, 0xcf800000, v3, |v2|
	v_ashrrev_i32_e32 v2, 31, v2
	v_cvt_u32_f32_e32 v3, v3
	s_delay_alu instid0(VALU_DEP_1) | instskip(NEXT) | instid1(VALU_DEP_1)
	v_xor_b32_e32 v3, v3, v2
	v_sub_nc_u32_e32 v2, v3, v2
	global_store_b8 v[0:1], v2, off
.LBB121_332:
	s_branch .LBB121_419
.LBB121_333:
	s_mov_b32 s2, 0
	s_branch .LBB121_531
.LBB121_334:
	s_mov_b32 s3, -1
	s_mov_b32 s5, s35
                                        ; implicit-def: $vgpr3
	s_branch .LBB121_446
.LBB121_335:
	s_mov_b32 s3, -1
	s_mov_b32 s5, s35
                                        ; implicit-def: $vgpr3
	s_branch .LBB121_427
.LBB121_336:
	s_mov_b32 s4, s34
	s_branch .LBB121_376
.LBB121_337:
	s_mov_b32 s3, -1
	s_mov_b32 s5, s35
                                        ; implicit-def: $vgpr3
	s_branch .LBB121_422
.LBB121_338:
	s_mov_b32 s4, s34
	s_branch .LBB121_359
.LBB121_339:
	s_mov_b32 s3, -1
	s_mov_b32 s5, s35
	s_branch .LBB121_344
.LBB121_340:
	s_mov_b32 s4, s34
	s_branch .LBB121_355
.LBB121_341:
	s_or_saveexec_b32 s38, s38
                                        ; implicit-def: $sgpr39
	s_delay_alu instid0(SALU_CYCLE_1)
	s_xor_b32 exec_lo, exec_lo, s38
	s_cbranch_execz .LBB121_65
.LBB121_342:
	v_add_f32_e32 v3, 0x42800000, v9
	s_and_not1_b32 s35, s35, exec_lo
	s_mov_b32 s39, 0
	s_delay_alu instid0(VALU_DEP_1) | instskip(NEXT) | instid1(VALU_DEP_1)
	v_and_b32_e32 v3, 0xff, v3
	v_cmp_ne_u32_e32 vcc_lo, 0, v3
	s_and_b32 s40, vcc_lo, exec_lo
	s_delay_alu instid0(SALU_CYCLE_1)
	s_or_b32 s35, s35, s40
	s_or_b32 exec_lo, exec_lo, s38
	v_mov_b32_e32 v10, s39
	s_and_saveexec_b32 s38, s35
	s_cbranch_execnz .LBB121_66
	s_branch .LBB121_67
.LBB121_343:
	s_mov_b32 s5, -1
.LBB121_344:
                                        ; implicit-def: $vgpr3
.LBB121_345:
	s_and_b32 vcc_lo, exec_lo, s3
	s_cbranch_vccz .LBB121_421
; %bb.346:
	v_cmp_eq_u16_e32 vcc_lo, 44, v5
	s_cbranch_vccz .LBB121_420
; %bb.347:
	global_load_u8 v3, v[1:2], off
	s_mov_b32 s5, 0
	s_mov_b32 s2, -1
	s_waitcnt vmcnt(0)
	v_lshlrev_b32_e32 v6, 23, v3
	v_cmp_ne_u32_e32 vcc_lo, 0xff, v3
	s_delay_alu instid0(VALU_DEP_2) | instskip(SKIP_1) | instid1(VALU_DEP_2)
	v_cndmask_b32_e32 v6, 0x7f800001, v6, vcc_lo
	v_cmp_ne_u32_e32 vcc_lo, 0, v3
	v_cndmask_b32_e32 v3, 0x400000, v6, vcc_lo
	s_branch .LBB121_421
.LBB121_348:
	s_mov_b32 s4, s34
.LBB121_349:
	s_and_b32 vcc_lo, exec_lo, s38
	s_cbranch_vccz .LBB121_354
; %bb.350:
	v_cmp_eq_u16_e32 vcc_lo, 44, v6
	s_mov_b32 s4, -1
	s_cbranch_vccz .LBB121_354
; %bb.351:
	v_bfe_u32 v9, v2, 23, 8
	v_mov_b32_e32 v3, 0xff
	s_mov_b32 s37, exec_lo
	s_delay_alu instid0(VALU_DEP_2)
	v_cmpx_ne_u32_e32 0xff, v9
; %bb.352:
	v_and_b32_e32 v3, 0x400000, v2
	v_and_or_b32 v9, 0x3fffff, v2, v9
	s_delay_alu instid0(VALU_DEP_2) | instskip(NEXT) | instid1(VALU_DEP_2)
	v_cmp_ne_u32_e32 vcc_lo, 0, v3
	v_cmp_ne_u32_e64 s4, 0, v9
	v_lshrrev_b32_e32 v3, 23, v2
	s_delay_alu instid0(VALU_DEP_2) | instskip(NEXT) | instid1(SALU_CYCLE_1)
	s_and_b32 s4, vcc_lo, s4
	v_cndmask_b32_e64 v9, 0, 1, s4
	s_delay_alu instid0(VALU_DEP_1)
	v_add_nc_u32_e32 v3, v3, v9
; %bb.353:
	s_or_b32 exec_lo, exec_lo, s37
	s_mov_b32 s37, -1
	s_mov_b32 s4, 0
	global_store_b8 v[0:1], v3, off
.LBB121_354:
	s_mov_b32 s38, 0
.LBB121_355:
	s_delay_alu instid0(SALU_CYCLE_1)
	s_and_b32 vcc_lo, exec_lo, s38
	s_cbranch_vccz .LBB121_358
; %bb.356:
	v_cmp_eq_u16_e32 vcc_lo, 29, v6
	s_mov_b32 s4, -1
	s_cbranch_vccz .LBB121_358
; %bb.357:
	v_trunc_f32_e32 v3, v2
	s_mov_b32 s37, -1
	s_mov_b32 s4, 0
	s_mov_b32 s38, 0
	s_delay_alu instid0(VALU_DEP_1) | instskip(NEXT) | instid1(VALU_DEP_1)
	v_mul_f32_e32 v9, 0x2f800000, v3
	v_floor_f32_e32 v9, v9
	s_delay_alu instid0(VALU_DEP_1) | instskip(SKIP_1) | instid1(VALU_DEP_2)
	v_fmamk_f32 v3, v9, 0xcf800000, v3
	v_cvt_u32_f32_e32 v10, v9
	v_cvt_u32_f32_e32 v9, v3
	global_store_b64 v[0:1], v[9:10], off
	s_branch .LBB121_359
.LBB121_358:
	s_mov_b32 s38, 0
.LBB121_359:
	s_delay_alu instid0(SALU_CYCLE_1)
	s_and_b32 vcc_lo, exec_lo, s38
	s_cbranch_vccz .LBB121_375
; %bb.360:
	v_cmp_gt_i16_e32 vcc_lo, 27, v6
	s_mov_b32 s37, -1
	s_cbranch_vccnz .LBB121_366
; %bb.361:
	v_cmp_lt_i16_e32 vcc_lo, 27, v6
	s_cbranch_vccz .LBB121_363
; %bb.362:
	v_cvt_u32_f32_e32 v3, v2
	s_mov_b32 s37, 0
	global_store_b32 v[0:1], v3, off
.LBB121_363:
	s_and_not1_b32 vcc_lo, exec_lo, s37
	s_cbranch_vccnz .LBB121_365
; %bb.364:
	v_cvt_u32_f32_e32 v3, v2
	global_store_b16 v[0:1], v3, off
.LBB121_365:
	s_mov_b32 s37, 0
.LBB121_366:
	s_delay_alu instid0(SALU_CYCLE_1)
	s_and_not1_b32 vcc_lo, exec_lo, s37
	s_cbranch_vccnz .LBB121_374
; %bb.367:
	v_cndmask_b32_e64 v3, |v7|, 0x7f800000, s2
	v_mov_b32_e32 v10, 0x80
	s_mov_b32 s37, exec_lo
	s_delay_alu instid0(VALU_DEP_2) | instskip(NEXT) | instid1(VALU_DEP_1)
	v_cndmask_b32_e64 v9, v3, 1.0, s3
	v_cmpx_gt_u32_e32 0x43800000, v9
	s_cbranch_execz .LBB121_373
; %bb.368:
	s_mov_b32 s38, 0
	s_mov_b32 s40, exec_lo
                                        ; implicit-def: $vgpr3
	v_cmpx_lt_u32_e32 0x3bffffff, v9
	s_xor_b32 s40, exec_lo, s40
	s_cbranch_execz .LBB121_559
; %bb.369:
	v_bfe_u32 v3, v2, 20, 1
	s_mov_b32 s38, exec_lo
                                        ; implicit-def: $vgpr9
	s_delay_alu instid0(VALU_DEP_1) | instskip(NEXT) | instid1(VALU_DEP_1)
	v_add3_u32 v3, v2, v3, 0x487ffff
	v_lshrrev_b32_e32 v3, 20, v3
	s_or_saveexec_b32 s40, s40
                                        ; implicit-def: $sgpr41
	s_delay_alu instid0(SALU_CYCLE_1)
	s_xor_b32 exec_lo, exec_lo, s40
	s_cbranch_execnz .LBB121_560
.LBB121_370:
	s_or_b32 exec_lo, exec_lo, s40
	v_mov_b32_e32 v10, s41
	s_and_saveexec_b32 s40, s38
.LBB121_371:
	v_lshrrev_b32_e32 v9, 24, v2
	s_delay_alu instid0(VALU_DEP_1)
	v_and_or_b32 v10, 0x80, v9, v3
.LBB121_372:
	s_or_b32 exec_lo, exec_lo, s40
.LBB121_373:
	s_delay_alu instid0(SALU_CYCLE_1)
	s_or_b32 exec_lo, exec_lo, s37
	global_store_b8 v[0:1], v10, off
.LBB121_374:
	s_mov_b32 s37, -1
.LBB121_375:
	s_mov_b32 s38, 0
.LBB121_376:
	s_delay_alu instid0(SALU_CYCLE_1)
	s_and_b32 vcc_lo, exec_lo, s38
	s_cbranch_vccz .LBB121_417
; %bb.377:
	v_cmp_lt_i16_e32 vcc_lo, 22, v6
	s_mov_b32 s38, -1
	s_cbranch_vccz .LBB121_409
; %bb.378:
	v_cmp_gt_i16_e32 vcc_lo, 24, v6
	s_mov_b32 s37, -1
	s_cbranch_vccnz .LBB121_398
; %bb.379:
	v_cmp_lt_i16_e32 vcc_lo, 24, v6
	s_cbranch_vccz .LBB121_387
; %bb.380:
	v_cndmask_b32_e64 v3, |v7|, 0x7f800000, s2
	v_mov_b32_e32 v10, 0x80
	s_mov_b32 s37, exec_lo
	s_delay_alu instid0(VALU_DEP_2) | instskip(NEXT) | instid1(VALU_DEP_1)
	v_cndmask_b32_e64 v9, v3, 1.0, s3
	v_cmpx_gt_u32_e32 0x47800000, v9
	s_cbranch_execz .LBB121_386
; %bb.381:
	s_mov_b32 s38, 0
	s_mov_b32 s40, exec_lo
                                        ; implicit-def: $vgpr3
	v_cmpx_lt_u32_e32 0x37ffffff, v9
	s_xor_b32 s40, exec_lo, s40
	s_cbranch_execz .LBB121_562
; %bb.382:
	v_bfe_u32 v3, v2, 21, 1
	s_mov_b32 s38, exec_lo
                                        ; implicit-def: $vgpr9
	s_delay_alu instid0(VALU_DEP_1) | instskip(NEXT) | instid1(VALU_DEP_1)
	v_add3_u32 v3, v2, v3, 0x88fffff
	v_lshrrev_b32_e32 v3, 21, v3
	s_or_saveexec_b32 s40, s40
                                        ; implicit-def: $sgpr41
	s_delay_alu instid0(SALU_CYCLE_1)
	s_xor_b32 exec_lo, exec_lo, s40
	s_cbranch_execnz .LBB121_563
.LBB121_383:
	s_or_b32 exec_lo, exec_lo, s40
	v_mov_b32_e32 v10, s41
	s_and_saveexec_b32 s40, s38
.LBB121_384:
	v_lshrrev_b32_e32 v9, 24, v2
	s_delay_alu instid0(VALU_DEP_1)
	v_and_or_b32 v10, 0x80, v9, v3
.LBB121_385:
	s_or_b32 exec_lo, exec_lo, s40
.LBB121_386:
	s_delay_alu instid0(SALU_CYCLE_1)
	s_or_b32 exec_lo, exec_lo, s37
	s_mov_b32 s37, 0
	global_store_b8 v[0:1], v10, off
.LBB121_387:
	s_and_b32 vcc_lo, exec_lo, s37
	s_cbranch_vccz .LBB121_397
; %bb.388:
	v_cndmask_b32_e64 v3, |v7|, 0x7f800000, s2
	s_mov_b32 s37, exec_lo
	s_delay_alu instid0(VALU_DEP_1) | instskip(NEXT) | instid1(VALU_DEP_1)
	v_cndmask_b32_e64 v9, v3, 1.0, s3
                                        ; implicit-def: $vgpr3
	v_cmpx_gt_u32_e32 0x43f00000, v9
	s_xor_b32 s37, exec_lo, s37
	s_cbranch_execz .LBB121_394
; %bb.389:
	s_mov_b32 s38, exec_lo
                                        ; implicit-def: $vgpr3
	v_cmpx_lt_u32_e32 0x3c7fffff, v9
	s_xor_b32 s38, exec_lo, s38
; %bb.390:
	v_bfe_u32 v3, v2, 20, 1
	s_delay_alu instid0(VALU_DEP_1) | instskip(NEXT) | instid1(VALU_DEP_1)
	v_add3_u32 v3, v2, v3, 0x407ffff
	v_and_b32_e32 v9, 0xff00000, v3
	v_lshrrev_b32_e32 v3, 20, v3
	s_delay_alu instid0(VALU_DEP_2) | instskip(NEXT) | instid1(VALU_DEP_2)
	v_cmp_ne_u32_e32 vcc_lo, 0x7f00000, v9
                                        ; implicit-def: $vgpr9
	v_cndmask_b32_e32 v3, 0x7e, v3, vcc_lo
; %bb.391:
	s_and_not1_saveexec_b32 s38, s38
; %bb.392:
	v_add_f32_e32 v3, 0x46800000, v9
; %bb.393:
	s_or_b32 exec_lo, exec_lo, s38
                                        ; implicit-def: $vgpr9
.LBB121_394:
	s_and_not1_saveexec_b32 s37, s37
; %bb.395:
	v_mov_b32_e32 v3, 0x7f
	v_cmp_lt_u32_e32 vcc_lo, 0x7f800000, v9
	s_delay_alu instid0(VALU_DEP_2)
	v_cndmask_b32_e32 v3, 0x7e, v3, vcc_lo
; %bb.396:
	s_or_b32 exec_lo, exec_lo, s37
	v_lshrrev_b32_e32 v9, 24, v2
	s_delay_alu instid0(VALU_DEP_1)
	v_and_or_b32 v3, 0x80, v9, v3
	global_store_b8 v[0:1], v3, off
.LBB121_397:
	s_mov_b32 s37, 0
.LBB121_398:
	s_delay_alu instid0(SALU_CYCLE_1)
	s_and_not1_b32 vcc_lo, exec_lo, s37
	s_cbranch_vccnz .LBB121_408
; %bb.399:
	v_cndmask_b32_e64 v3, |v7|, 0x7f800000, s2
	s_mov_b32 s2, exec_lo
	s_delay_alu instid0(VALU_DEP_1) | instskip(NEXT) | instid1(VALU_DEP_1)
	v_cndmask_b32_e64 v7, v3, 1.0, s3
                                        ; implicit-def: $vgpr3
	v_cmpx_gt_u32_e32 0x47800000, v7
	s_xor_b32 s2, exec_lo, s2
	s_cbranch_execz .LBB121_405
; %bb.400:
	s_mov_b32 s3, exec_lo
                                        ; implicit-def: $vgpr3
	v_cmpx_lt_u32_e32 0x387fffff, v7
	s_xor_b32 s3, exec_lo, s3
; %bb.401:
	v_bfe_u32 v3, v2, 21, 1
                                        ; implicit-def: $vgpr7
	s_delay_alu instid0(VALU_DEP_1) | instskip(NEXT) | instid1(VALU_DEP_1)
	v_add3_u32 v3, v2, v3, 0x80fffff
	v_lshrrev_b32_e32 v3, 21, v3
; %bb.402:
	s_and_not1_saveexec_b32 s3, s3
; %bb.403:
	v_add_f32_e32 v3, 0x43000000, v7
; %bb.404:
	s_or_b32 exec_lo, exec_lo, s3
                                        ; implicit-def: $vgpr7
.LBB121_405:
	s_and_not1_saveexec_b32 s2, s2
; %bb.406:
	v_mov_b32_e32 v3, 0x7f
	v_cmp_lt_u32_e32 vcc_lo, 0x7f800000, v7
	s_delay_alu instid0(VALU_DEP_2)
	v_cndmask_b32_e32 v3, 0x7c, v3, vcc_lo
; %bb.407:
	s_or_b32 exec_lo, exec_lo, s2
	v_lshrrev_b32_e32 v7, 24, v2
	s_delay_alu instid0(VALU_DEP_1)
	v_and_or_b32 v3, 0x80, v7, v3
	global_store_b8 v[0:1], v3, off
.LBB121_408:
	s_mov_b32 s38, 0
	s_mov_b32 s37, -1
.LBB121_409:
	s_and_not1_b32 vcc_lo, exec_lo, s38
	s_cbranch_vccnz .LBB121_417
; %bb.410:
	v_cmp_lt_i16_e32 vcc_lo, 14, v6
	s_mov_b32 s2, -1
	s_cbranch_vccz .LBB121_414
; %bb.411:
	v_cmp_eq_u16_e32 vcc_lo, 15, v6
	s_mov_b32 s4, -1
	s_cbranch_vccz .LBB121_413
; %bb.412:
	v_bfe_u32 v3, v2, 16, 1
	v_cmp_o_f32_e32 vcc_lo, v2, v2
	s_mov_b32 s37, -1
	s_mov_b32 s4, 0
	s_delay_alu instid0(VALU_DEP_2) | instskip(NEXT) | instid1(VALU_DEP_1)
	v_add3_u32 v3, v2, v3, 0x7fff
	v_lshrrev_b32_e32 v3, 16, v3
	s_delay_alu instid0(VALU_DEP_1)
	v_cndmask_b32_e32 v3, 0x7fc0, v3, vcc_lo
	global_store_b16 v[0:1], v3, off
.LBB121_413:
	s_mov_b32 s2, 0
.LBB121_414:
	s_delay_alu instid0(SALU_CYCLE_1)
	s_and_b32 vcc_lo, exec_lo, s2
	s_cbranch_vccz .LBB121_417
; %bb.415:
	v_cmp_eq_u16_e32 vcc_lo, 11, v6
	s_mov_b32 s4, -1
	s_cbranch_vccz .LBB121_417
; %bb.416:
	v_cmp_neq_f32_e32 vcc_lo, 0, v2
	s_mov_b32 s4, 0
	s_mov_b32 s37, -1
	v_cndmask_b32_e64 v3, 0, 1, vcc_lo
	global_store_b8 v[0:1], v3, off
.LBB121_417:
.LBB121_418:
	s_and_not1_b32 vcc_lo, exec_lo, s37
	s_cbranch_vccnz .LBB121_333
.LBB121_419:
	v_add_nc_u32_e32 v8, 0x80, v8
	s_mov_b32 s2, -1
	s_branch .LBB121_532
.LBB121_420:
	s_mov_b32 s5, -1
                                        ; implicit-def: $vgpr3
.LBB121_421:
	s_mov_b32 s3, 0
.LBB121_422:
	s_delay_alu instid0(SALU_CYCLE_1)
	s_and_b32 vcc_lo, exec_lo, s3
	s_cbranch_vccz .LBB121_426
; %bb.423:
	v_cmp_eq_u16_e32 vcc_lo, 29, v5
	s_cbranch_vccz .LBB121_425
; %bb.424:
	global_load_b64 v[6:7], v[1:2], off
	s_mov_b32 s2, -1
	s_mov_b32 s5, 0
	s_mov_b32 s3, 0
	s_waitcnt vmcnt(0)
	v_clz_i32_u32_e32 v3, v7
	s_delay_alu instid0(VALU_DEP_1) | instskip(NEXT) | instid1(VALU_DEP_1)
	v_min_u32_e32 v3, 32, v3
	v_lshlrev_b64 v[6:7], v3, v[6:7]
	v_sub_nc_u32_e32 v3, 32, v3
	s_delay_alu instid0(VALU_DEP_2) | instskip(NEXT) | instid1(VALU_DEP_1)
	v_min_u32_e32 v6, 1, v6
	v_or_b32_e32 v6, v7, v6
	s_delay_alu instid0(VALU_DEP_1) | instskip(NEXT) | instid1(VALU_DEP_1)
	v_cvt_f32_u32_e32 v6, v6
	v_ldexp_f32 v3, v6, v3
	s_branch .LBB121_427
.LBB121_425:
	s_mov_b32 s5, -1
                                        ; implicit-def: $vgpr3
.LBB121_426:
	s_mov_b32 s3, 0
.LBB121_427:
	s_delay_alu instid0(SALU_CYCLE_1)
	s_and_b32 vcc_lo, exec_lo, s3
	s_cbranch_vccz .LBB121_445
; %bb.428:
	v_cmp_gt_i16_e32 vcc_lo, 27, v5
	s_cbranch_vccnz .LBB121_431
; %bb.429:
	v_cmp_lt_i16_e32 vcc_lo, 27, v5
	s_cbranch_vccz .LBB121_432
; %bb.430:
	global_load_b32 v3, v[1:2], off
	s_mov_b32 s2, 0
	s_waitcnt vmcnt(0)
	v_cvt_f32_u32_e32 v3, v3
	s_branch .LBB121_433
.LBB121_431:
	s_mov_b32 s2, -1
                                        ; implicit-def: $vgpr3
	s_branch .LBB121_436
.LBB121_432:
	s_mov_b32 s2, -1
                                        ; implicit-def: $vgpr3
.LBB121_433:
	s_delay_alu instid0(SALU_CYCLE_1)
	s_and_not1_b32 vcc_lo, exec_lo, s2
	s_cbranch_vccnz .LBB121_435
; %bb.434:
	global_load_u16 v3, v[1:2], off
	s_waitcnt vmcnt(0)
	v_cvt_f32_u32_e32 v3, v3
.LBB121_435:
	s_mov_b32 s2, 0
.LBB121_436:
	s_delay_alu instid0(SALU_CYCLE_1)
	s_and_not1_b32 vcc_lo, exec_lo, s2
	s_cbranch_vccnz .LBB121_444
; %bb.437:
	global_load_u8 v6, v[1:2], off
	s_mov_b32 s2, 0
	s_mov_b32 s4, exec_lo
                                        ; implicit-def: $sgpr3
	s_waitcnt vmcnt(0)
	v_cmpx_lt_i16_e32 0x7f, v6
	s_xor_b32 s4, exec_lo, s4
	s_cbranch_execz .LBB121_458
; %bb.438:
	s_mov_b32 s2, -1
	s_mov_b32 s37, exec_lo
                                        ; implicit-def: $sgpr3
	v_cmpx_eq_u16_e32 0x80, v6
; %bb.439:
	s_mov_b32 s3, 0x7f800001
	s_xor_b32 s2, exec_lo, -1
; %bb.440:
	s_or_b32 exec_lo, exec_lo, s37
	s_delay_alu instid0(SALU_CYCLE_1)
	s_and_b32 s2, s2, exec_lo
	s_or_saveexec_b32 s4, s4
	v_mov_b32_e32 v3, s3
	s_xor_b32 exec_lo, exec_lo, s4
	s_cbranch_execnz .LBB121_459
.LBB121_441:
	s_or_b32 exec_lo, exec_lo, s4
	s_and_saveexec_b32 s3, s2
	s_cbranch_execz .LBB121_443
.LBB121_442:
	v_and_b32_e32 v3, 0xffff, v6
	v_lshlrev_b32_e32 v6, 24, v6
	s_delay_alu instid0(VALU_DEP_2) | instskip(NEXT) | instid1(VALU_DEP_2)
	v_and_b32_e32 v7, 7, v3
	v_and_b32_e32 v6, 0x80000000, v6
	s_delay_alu instid0(VALU_DEP_2) | instskip(NEXT) | instid1(VALU_DEP_1)
	v_clz_i32_u32_e32 v9, v7
	v_min_u32_e32 v9, 32, v9
	s_delay_alu instid0(VALU_DEP_1) | instskip(SKIP_1) | instid1(VALU_DEP_2)
	v_subrev_nc_u32_e32 v10, 28, v9
	v_sub_nc_u32_e32 v9, 29, v9
	v_lshlrev_b32_e32 v10, v10, v3
	v_bfe_u32 v3, v3, 3, 4
	s_delay_alu instid0(VALU_DEP_1) | instskip(NEXT) | instid1(VALU_DEP_3)
	v_cmp_eq_u32_e32 vcc_lo, 0, v3
	v_dual_cndmask_b32 v3, v3, v9 :: v_dual_and_b32 v10, 7, v10
	s_delay_alu instid0(VALU_DEP_1) | instskip(NEXT) | instid1(VALU_DEP_2)
	v_lshl_add_u32 v3, v3, 23, 0x3b800000
	v_cndmask_b32_e32 v7, v7, v10, vcc_lo
	s_delay_alu instid0(VALU_DEP_1) | instskip(NEXT) | instid1(VALU_DEP_1)
	v_lshlrev_b32_e32 v7, 20, v7
	v_or3_b32 v3, v6, v3, v7
.LBB121_443:
	s_or_b32 exec_lo, exec_lo, s3
.LBB121_444:
	s_mov_b32 s2, -1
.LBB121_445:
	s_mov_b32 s3, 0
.LBB121_446:
	s_delay_alu instid0(SALU_CYCLE_1)
	s_and_b32 vcc_lo, exec_lo, s3
	s_cbranch_vccz .LBB121_481
; %bb.447:
	v_cmp_lt_i16_e32 vcc_lo, 22, v5
	s_cbranch_vccz .LBB121_457
; %bb.448:
	v_cmp_gt_i16_e32 vcc_lo, 24, v5
	s_cbranch_vccnz .LBB121_460
; %bb.449:
	v_cmp_lt_i16_e32 vcc_lo, 24, v5
	s_cbranch_vccz .LBB121_461
; %bb.450:
	global_load_u8 v6, v[1:2], off
	s_mov_b32 s2, 0
	s_mov_b32 s4, exec_lo
                                        ; implicit-def: $sgpr3
	s_waitcnt vmcnt(0)
	v_cmpx_lt_i16_e32 0x7f, v6
	s_xor_b32 s4, exec_lo, s4
	s_cbranch_execz .LBB121_473
; %bb.451:
	s_mov_b32 s2, -1
	s_mov_b32 s37, exec_lo
                                        ; implicit-def: $sgpr3
	v_cmpx_eq_u16_e32 0x80, v6
; %bb.452:
	s_mov_b32 s3, 0x7f800001
	s_xor_b32 s2, exec_lo, -1
; %bb.453:
	s_or_b32 exec_lo, exec_lo, s37
	s_delay_alu instid0(SALU_CYCLE_1)
	s_and_b32 s2, s2, exec_lo
	s_or_saveexec_b32 s4, s4
	v_mov_b32_e32 v3, s3
	s_xor_b32 exec_lo, exec_lo, s4
	s_cbranch_execnz .LBB121_474
.LBB121_454:
	s_or_b32 exec_lo, exec_lo, s4
	s_and_saveexec_b32 s3, s2
	s_cbranch_execz .LBB121_456
.LBB121_455:
	v_and_b32_e32 v3, 0xffff, v6
	v_lshlrev_b32_e32 v6, 24, v6
	s_delay_alu instid0(VALU_DEP_2) | instskip(NEXT) | instid1(VALU_DEP_2)
	v_and_b32_e32 v7, 3, v3
	v_and_b32_e32 v6, 0x80000000, v6
	s_delay_alu instid0(VALU_DEP_2) | instskip(NEXT) | instid1(VALU_DEP_1)
	v_clz_i32_u32_e32 v9, v7
	v_min_u32_e32 v9, 32, v9
	s_delay_alu instid0(VALU_DEP_1) | instskip(SKIP_1) | instid1(VALU_DEP_2)
	v_subrev_nc_u32_e32 v10, 29, v9
	v_sub_nc_u32_e32 v9, 30, v9
	v_lshlrev_b32_e32 v10, v10, v3
	v_bfe_u32 v3, v3, 2, 5
	s_delay_alu instid0(VALU_DEP_1) | instskip(NEXT) | instid1(VALU_DEP_3)
	v_cmp_eq_u32_e32 vcc_lo, 0, v3
	v_dual_cndmask_b32 v3, v3, v9 :: v_dual_and_b32 v10, 3, v10
	s_delay_alu instid0(VALU_DEP_1) | instskip(NEXT) | instid1(VALU_DEP_2)
	v_lshl_add_u32 v3, v3, 23, 0x37800000
	v_cndmask_b32_e32 v7, v7, v10, vcc_lo
	s_delay_alu instid0(VALU_DEP_1) | instskip(NEXT) | instid1(VALU_DEP_1)
	v_lshlrev_b32_e32 v7, 21, v7
	v_or3_b32 v3, v6, v3, v7
.LBB121_456:
	s_or_b32 exec_lo, exec_lo, s3
	s_mov_b32 s2, 0
	s_branch .LBB121_462
.LBB121_457:
	s_mov_b32 s3, -1
                                        ; implicit-def: $vgpr3
	s_branch .LBB121_468
.LBB121_458:
	s_or_saveexec_b32 s4, s4
	v_mov_b32_e32 v3, s3
	s_xor_b32 exec_lo, exec_lo, s4
	s_cbranch_execz .LBB121_441
.LBB121_459:
	v_cmp_ne_u16_e32 vcc_lo, 0, v6
	v_mov_b32_e32 v3, 0
	s_and_not1_b32 s2, s2, exec_lo
	s_and_b32 s3, vcc_lo, exec_lo
	s_delay_alu instid0(SALU_CYCLE_1)
	s_or_b32 s2, s2, s3
	s_or_b32 exec_lo, exec_lo, s4
	s_and_saveexec_b32 s3, s2
	s_cbranch_execnz .LBB121_442
	s_branch .LBB121_443
.LBB121_460:
	s_mov_b32 s2, -1
                                        ; implicit-def: $vgpr3
	s_branch .LBB121_465
.LBB121_461:
	s_mov_b32 s2, -1
                                        ; implicit-def: $vgpr3
.LBB121_462:
	s_delay_alu instid0(SALU_CYCLE_1)
	s_and_b32 vcc_lo, exec_lo, s2
	s_cbranch_vccz .LBB121_464
; %bb.463:
	global_load_u8 v3, v[1:2], off
	s_waitcnt vmcnt(0)
	v_lshlrev_b32_e32 v3, 24, v3
	s_delay_alu instid0(VALU_DEP_1) | instskip(NEXT) | instid1(VALU_DEP_1)
	v_and_b32_e32 v6, 0x7f000000, v3
	v_clz_i32_u32_e32 v7, v6
	v_cmp_ne_u32_e32 vcc_lo, 0, v6
	v_add_nc_u32_e32 v10, 0x1000000, v6
	s_delay_alu instid0(VALU_DEP_3) | instskip(NEXT) | instid1(VALU_DEP_1)
	v_min_u32_e32 v7, 32, v7
	v_sub_nc_u32_e64 v7, v7, 4 clamp
	s_delay_alu instid0(VALU_DEP_1) | instskip(SKIP_1) | instid1(VALU_DEP_2)
	v_lshlrev_b32_e32 v9, v7, v6
	v_lshlrev_b32_e32 v7, 23, v7
	v_lshrrev_b32_e32 v9, 4, v9
	s_delay_alu instid0(VALU_DEP_1) | instskip(SKIP_1) | instid1(VALU_DEP_2)
	v_sub_nc_u32_e32 v7, v9, v7
	v_ashrrev_i32_e32 v9, 8, v10
	v_add_nc_u32_e32 v7, 0x3c000000, v7
	s_delay_alu instid0(VALU_DEP_1) | instskip(NEXT) | instid1(VALU_DEP_1)
	v_and_or_b32 v7, 0x7f800000, v9, v7
	v_cndmask_b32_e32 v6, 0, v7, vcc_lo
	s_delay_alu instid0(VALU_DEP_1)
	v_and_or_b32 v3, 0x80000000, v3, v6
.LBB121_464:
	s_mov_b32 s2, 0
.LBB121_465:
	s_delay_alu instid0(SALU_CYCLE_1)
	s_and_not1_b32 vcc_lo, exec_lo, s2
	s_cbranch_vccnz .LBB121_467
; %bb.466:
	global_load_u8 v3, v[1:2], off
	s_waitcnt vmcnt(0)
	v_lshlrev_b32_e32 v6, 25, v3
	v_lshlrev_b16 v3, 8, v3
	s_delay_alu instid0(VALU_DEP_1) | instskip(SKIP_1) | instid1(VALU_DEP_2)
	v_and_or_b32 v9, 0x7f00, v3, 0.5
	v_bfe_i32 v3, v3, 0, 16
	v_add_f32_e32 v9, -0.5, v9
	v_lshrrev_b32_e32 v7, 4, v6
	v_cmp_gt_u32_e32 vcc_lo, 0x8000000, v6
	s_delay_alu instid0(VALU_DEP_2) | instskip(NEXT) | instid1(VALU_DEP_1)
	v_or_b32_e32 v7, 0x70000000, v7
	v_mul_f32_e32 v7, 0x7800000, v7
	s_delay_alu instid0(VALU_DEP_1) | instskip(NEXT) | instid1(VALU_DEP_1)
	v_cndmask_b32_e32 v6, v7, v9, vcc_lo
	v_and_or_b32 v3, 0x80000000, v3, v6
.LBB121_467:
	s_mov_b32 s3, 0
	s_mov_b32 s2, -1
.LBB121_468:
	s_and_not1_b32 vcc_lo, exec_lo, s3
	s_cbranch_vccnz .LBB121_481
; %bb.469:
	v_cmp_lt_i16_e32 vcc_lo, 14, v5
	s_cbranch_vccz .LBB121_472
; %bb.470:
	v_cmp_eq_u16_e32 vcc_lo, 15, v5
	s_cbranch_vccz .LBB121_475
; %bb.471:
	global_load_u16 v3, v[1:2], off
	s_mov_b32 s2, -1
	s_mov_b32 s5, 0
	s_waitcnt vmcnt(0)
	v_lshlrev_b32_e32 v3, 16, v3
	s_branch .LBB121_476
.LBB121_472:
	s_mov_b32 s3, -1
                                        ; implicit-def: $vgpr3
	s_branch .LBB121_477
.LBB121_473:
	s_or_saveexec_b32 s4, s4
	v_mov_b32_e32 v3, s3
	s_xor_b32 exec_lo, exec_lo, s4
	s_cbranch_execz .LBB121_454
.LBB121_474:
	v_cmp_ne_u16_e32 vcc_lo, 0, v6
	v_mov_b32_e32 v3, 0
	s_and_not1_b32 s2, s2, exec_lo
	s_and_b32 s3, vcc_lo, exec_lo
	s_delay_alu instid0(SALU_CYCLE_1)
	s_or_b32 s2, s2, s3
	s_or_b32 exec_lo, exec_lo, s4
	s_and_saveexec_b32 s3, s2
	s_cbranch_execnz .LBB121_455
	s_branch .LBB121_456
.LBB121_475:
	s_mov_b32 s5, -1
                                        ; implicit-def: $vgpr3
.LBB121_476:
	s_mov_b32 s3, 0
.LBB121_477:
	s_delay_alu instid0(SALU_CYCLE_1)
	s_and_b32 vcc_lo, exec_lo, s3
	s_cbranch_vccz .LBB121_481
; %bb.478:
	v_cmp_eq_u16_e32 vcc_lo, 11, v5
	s_cbranch_vccz .LBB121_480
; %bb.479:
	global_load_u8 v3, v[1:2], off
	s_mov_b32 s5, 0
	s_mov_b32 s2, -1
	s_waitcnt vmcnt(0)
	v_cmp_ne_u16_e32 vcc_lo, 0, v3
	v_cndmask_b32_e64 v3, 0, 1.0, vcc_lo
	s_branch .LBB121_481
.LBB121_480:
	s_mov_b32 s5, -1
                                        ; implicit-def: $vgpr3
.LBB121_481:
	s_branch .LBB121_286
.LBB121_482:
	v_cmp_gt_i16_e32 vcc_lo, 5, v5
	s_cbranch_vccnz .LBB121_487
; %bb.483:
	v_cmp_gt_i16_e32 vcc_lo, 8, v5
	s_cbranch_vccnz .LBB121_488
; %bb.484:
	;; [unrolled: 3-line block ×3, first 2 shown]
	v_cmp_lt_i16_e32 vcc_lo, 9, v5
	s_cbranch_vccz .LBB121_490
; %bb.486:
	global_load_b64 v[6:7], v[1:2], off
	s_mov_b32 s2, 0
	s_waitcnt vmcnt(0)
	v_cvt_f32_f64_e32 v3, v[6:7]
	s_branch .LBB121_491
.LBB121_487:
	s_mov_b32 s2, -1
                                        ; implicit-def: $vgpr3
	s_branch .LBB121_509
.LBB121_488:
	s_mov_b32 s2, -1
                                        ; implicit-def: $vgpr3
	s_branch .LBB121_497
.LBB121_489:
	s_mov_b32 s2, -1
                                        ; implicit-def: $vgpr3
	s_branch .LBB121_494
.LBB121_490:
	s_mov_b32 s2, -1
                                        ; implicit-def: $vgpr3
.LBB121_491:
	s_delay_alu instid0(SALU_CYCLE_1)
	s_and_not1_b32 vcc_lo, exec_lo, s2
	s_cbranch_vccnz .LBB121_493
; %bb.492:
	global_load_b32 v3, v[1:2], off
.LBB121_493:
	s_mov_b32 s2, 0
.LBB121_494:
	s_delay_alu instid0(SALU_CYCLE_1)
	s_and_not1_b32 vcc_lo, exec_lo, s2
	s_cbranch_vccnz .LBB121_496
; %bb.495:
	global_load_b32 v3, v[1:2], off
	s_waitcnt vmcnt(0)
	v_cvt_f32_f16_e32 v3, v3
.LBB121_496:
	s_mov_b32 s2, 0
.LBB121_497:
	s_delay_alu instid0(SALU_CYCLE_1)
	s_and_not1_b32 vcc_lo, exec_lo, s2
	s_cbranch_vccnz .LBB121_508
; %bb.498:
	v_cmp_gt_i16_e32 vcc_lo, 6, v5
	s_cbranch_vccnz .LBB121_501
; %bb.499:
	v_cmp_lt_i16_e32 vcc_lo, 6, v5
	s_cbranch_vccz .LBB121_502
; %bb.500:
	global_load_b64 v[6:7], v[1:2], off
	s_mov_b32 s2, 0
	s_waitcnt vmcnt(0)
	v_cvt_f32_f64_e32 v3, v[6:7]
	s_branch .LBB121_503
.LBB121_501:
	s_mov_b32 s2, -1
                                        ; implicit-def: $vgpr3
	s_branch .LBB121_506
.LBB121_502:
	s_mov_b32 s2, -1
                                        ; implicit-def: $vgpr3
.LBB121_503:
	s_delay_alu instid0(SALU_CYCLE_1)
	s_and_not1_b32 vcc_lo, exec_lo, s2
	s_cbranch_vccnz .LBB121_505
; %bb.504:
	global_load_b32 v3, v[1:2], off
.LBB121_505:
	s_mov_b32 s2, 0
.LBB121_506:
	s_delay_alu instid0(SALU_CYCLE_1)
	s_and_not1_b32 vcc_lo, exec_lo, s2
	s_cbranch_vccnz .LBB121_508
; %bb.507:
	global_load_u16 v3, v[1:2], off
	s_waitcnt vmcnt(0)
	v_cvt_f32_f16_e32 v3, v3
.LBB121_508:
	s_mov_b32 s2, 0
.LBB121_509:
	s_delay_alu instid0(SALU_CYCLE_1)
	s_and_not1_b32 vcc_lo, exec_lo, s2
	s_cbranch_vccnz .LBB121_529
; %bb.510:
	v_cmp_gt_i16_e32 vcc_lo, 2, v5
	s_cbranch_vccnz .LBB121_514
; %bb.511:
	v_cmp_gt_i16_e32 vcc_lo, 3, v5
	s_cbranch_vccnz .LBB121_515
; %bb.512:
	v_cmp_lt_i16_e32 vcc_lo, 3, v5
	s_cbranch_vccz .LBB121_516
; %bb.513:
	global_load_b64 v[6:7], v[1:2], off
	s_mov_b32 s2, 0
	s_waitcnt vmcnt(0)
	v_xor_b32_e32 v3, v6, v7
	v_cls_i32_e32 v9, v7
	s_delay_alu instid0(VALU_DEP_2) | instskip(NEXT) | instid1(VALU_DEP_2)
	v_ashrrev_i32_e32 v3, 31, v3
	v_add_nc_u32_e32 v9, -1, v9
	s_delay_alu instid0(VALU_DEP_2) | instskip(NEXT) | instid1(VALU_DEP_1)
	v_add_nc_u32_e32 v3, 32, v3
	v_min_u32_e32 v3, v9, v3
	s_delay_alu instid0(VALU_DEP_1) | instskip(SKIP_1) | instid1(VALU_DEP_2)
	v_lshlrev_b64 v[6:7], v3, v[6:7]
	v_sub_nc_u32_e32 v3, 32, v3
	v_min_u32_e32 v6, 1, v6
	s_delay_alu instid0(VALU_DEP_1) | instskip(NEXT) | instid1(VALU_DEP_1)
	v_or_b32_e32 v6, v7, v6
	v_cvt_f32_i32_e32 v6, v6
	s_delay_alu instid0(VALU_DEP_1)
	v_ldexp_f32 v3, v6, v3
	s_branch .LBB121_517
.LBB121_514:
	s_mov_b32 s2, -1
                                        ; implicit-def: $vgpr3
	s_branch .LBB121_523
.LBB121_515:
	s_mov_b32 s2, -1
                                        ; implicit-def: $vgpr3
	s_branch .LBB121_520
.LBB121_516:
	s_mov_b32 s2, -1
                                        ; implicit-def: $vgpr3
.LBB121_517:
	s_delay_alu instid0(SALU_CYCLE_1)
	s_and_not1_b32 vcc_lo, exec_lo, s2
	s_cbranch_vccnz .LBB121_519
; %bb.518:
	global_load_b32 v3, v[1:2], off
	s_waitcnt vmcnt(0)
	v_cvt_f32_i32_e32 v3, v3
.LBB121_519:
	s_mov_b32 s2, 0
.LBB121_520:
	s_delay_alu instid0(SALU_CYCLE_1)
	s_and_not1_b32 vcc_lo, exec_lo, s2
	s_cbranch_vccnz .LBB121_522
; %bb.521:
	global_load_i16 v3, v[1:2], off
	s_waitcnt vmcnt(0)
	v_cvt_f32_i32_e32 v3, v3
.LBB121_522:
	s_mov_b32 s2, 0
.LBB121_523:
	s_delay_alu instid0(SALU_CYCLE_1)
	s_and_not1_b32 vcc_lo, exec_lo, s2
	s_cbranch_vccnz .LBB121_529
; %bb.524:
	v_cmp_lt_i16_e32 vcc_lo, 0, v5
	s_mov_b32 s2, 0
	s_cbranch_vccz .LBB121_526
; %bb.525:
	global_load_i8 v3, v[1:2], off
	s_waitcnt vmcnt(0)
	v_cvt_f32_i32_e32 v3, v3
	s_branch .LBB121_527
.LBB121_526:
	s_mov_b32 s2, -1
                                        ; implicit-def: $vgpr3
.LBB121_527:
	s_delay_alu instid0(SALU_CYCLE_1)
	s_and_not1_b32 vcc_lo, exec_lo, s2
	s_cbranch_vccnz .LBB121_529
; %bb.528:
	global_load_u8 v1, v[1:2], off
	s_waitcnt vmcnt(0)
	v_cvt_f32_ubyte0_e32 v3, v1
.LBB121_529:
	s_branch .LBB121_287
.LBB121_530:
	s_mov_b32 s2, 0
	s_mov_b32 s4, s34
.LBB121_531:
                                        ; implicit-def: $vgpr8
.LBB121_532:
	s_and_not1_b32 s3, s34, exec_lo
	s_and_b32 s4, s4, exec_lo
	s_and_not1_b32 s37, s35, exec_lo
	s_and_b32 s5, s5, exec_lo
	s_or_b32 s38, s3, s4
	s_or_b32 s37, s37, s5
	s_or_not1_b32 s2, s2, exec_lo
.LBB121_533:
	s_or_b32 exec_lo, exec_lo, s39
	s_mov_b32 s3, 0
	s_mov_b32 s4, 0
	;; [unrolled: 1-line block ×3, first 2 shown]
                                        ; implicit-def: $vgpr1_vgpr2
                                        ; implicit-def: $vgpr0
                                        ; implicit-def: $vgpr6
	s_and_saveexec_b32 s39, s2
	s_cbranch_execz .LBB121_905
; %bb.534:
	s_mov_b32 s5, -1
	s_mov_b32 s41, s37
	s_mov_b32 s42, s38
	s_mov_b32 s40, exec_lo
	v_cmpx_gt_i32_e64 s30, v8
	s_cbranch_execz .LBB121_806
; %bb.535:
	s_and_not1_b32 vcc_lo, exec_lo, s27
	s_cbranch_vccnz .LBB121_540
; %bb.536:
	v_dual_mov_b32 v0, 0 :: v_dual_mov_b32 v1, 0
	s_and_not1_b32 vcc_lo, exec_lo, s33
	s_mov_b32 s41, 0
	s_cbranch_vccnz .LBB121_545
; %bb.537:
	v_mov_b32_e32 v0, 0
	s_add_i32 s43, s31, 1
	s_cmp_eq_u32 s25, 2
	s_mov_b32 s42, 0
	s_cbranch_scc1 .LBB121_541
; %bb.538:
	v_dual_mov_b32 v1, 0 :: v_dual_mov_b32 v0, 0
	v_mov_b32_e32 v2, v8
	s_and_b32 s42, s43, 28
	s_mov_b32 s44, 0
	s_mov_b64 s[2:3], s[22:23]
	s_mov_b64 s[4:5], s[6:7]
.LBB121_539:                            ; =>This Inner Loop Header: Depth=1
	s_clause 0x1
	s_load_b256 s[48:55], s[4:5], 0x4
	s_load_b128 s[64:67], s[4:5], 0x24
	s_load_b256 s[56:63], s[2:3], 0x0
	s_add_u32 s4, s4, 48
	s_addc_u32 s5, s5, 0
	s_add_i32 s44, s44, 4
	s_add_u32 s2, s2, 32
	s_addc_u32 s3, s3, 0
	s_cmp_eq_u32 s42, s44
	s_waitcnt vmcnt(0) lgkmcnt(0)
	v_mul_hi_u32 v3, s49, v2
	s_delay_alu instid0(VALU_DEP_1) | instskip(NEXT) | instid1(VALU_DEP_1)
	v_add_nc_u32_e32 v3, v2, v3
	v_lshrrev_b32_e32 v3, s50, v3
	s_delay_alu instid0(VALU_DEP_1) | instskip(SKIP_1) | instid1(VALU_DEP_2)
	v_mul_hi_u32 v6, s52, v3
	v_mul_lo_u32 v9, v3, s48
	v_add_nc_u32_e32 v6, v3, v6
	s_delay_alu instid0(VALU_DEP_2) | instskip(NEXT) | instid1(VALU_DEP_2)
	v_sub_nc_u32_e32 v2, v2, v9
	v_lshrrev_b32_e32 v6, s53, v6
	s_delay_alu instid0(VALU_DEP_2) | instskip(SKIP_1) | instid1(VALU_DEP_3)
	v_mul_lo_u32 v9, v2, s56
	v_mul_lo_u32 v11, v2, s57
	v_mul_hi_u32 v7, s55, v6
	s_delay_alu instid0(VALU_DEP_1) | instskip(NEXT) | instid1(VALU_DEP_1)
	v_add_nc_u32_e32 v7, v6, v7
	v_lshrrev_b32_e32 v7, s64, v7
	s_delay_alu instid0(VALU_DEP_1) | instskip(SKIP_1) | instid1(VALU_DEP_2)
	v_mul_hi_u32 v10, s66, v7
	v_mul_lo_u32 v12, v7, s54
	v_add_nc_u32_e32 v2, v7, v10
	v_mul_lo_u32 v10, v6, s51
	s_delay_alu instid0(VALU_DEP_3) | instskip(NEXT) | instid1(VALU_DEP_3)
	v_sub_nc_u32_e32 v6, v6, v12
	v_lshrrev_b32_e32 v2, s67, v2
	s_delay_alu instid0(VALU_DEP_2) | instskip(SKIP_2) | instid1(VALU_DEP_4)
	v_mul_lo_u32 v12, v6, s60
	v_mul_lo_u32 v6, v6, s61
	v_sub_nc_u32_e32 v3, v3, v10
	v_mul_lo_u32 v13, v2, s65
	s_delay_alu instid0(VALU_DEP_2) | instskip(SKIP_1) | instid1(VALU_DEP_3)
	v_mul_lo_u32 v10, v3, s58
	v_mul_lo_u32 v3, v3, s59
	v_sub_nc_u32_e32 v7, v7, v13
	s_delay_alu instid0(VALU_DEP_3) | instskip(NEXT) | instid1(VALU_DEP_2)
	v_add3_u32 v0, v9, v0, v10
	v_mul_lo_u32 v13, v7, s62
	v_mul_lo_u32 v7, v7, s63
	v_add3_u32 v1, v11, v1, v3
	s_delay_alu instid0(VALU_DEP_3) | instskip(NEXT) | instid1(VALU_DEP_2)
	v_add3_u32 v0, v12, v0, v13
	v_add3_u32 v1, v6, v1, v7
	s_cbranch_scc0 .LBB121_539
	s_branch .LBB121_542
.LBB121_540:
	s_mov_b32 s41, -1
                                        ; implicit-def: $vgpr0
                                        ; implicit-def: $vgpr1
	s_branch .LBB121_545
.LBB121_541:
	v_dual_mov_b32 v2, v8 :: v_dual_mov_b32 v1, 0
.LBB121_542:
	s_and_b32 s43, s43, 3
	s_delay_alu instid0(SALU_CYCLE_1)
	s_cmp_eq_u32 s43, 0
	s_cbranch_scc1 .LBB121_545
; %bb.543:
	s_lshl_b32 s2, s42, 3
	s_mul_i32 s4, s42, 12
	s_add_u32 s2, s2, s6
	s_addc_u32 s3, s7, 0
	s_add_u32 s2, s2, 0xc4
	s_addc_u32 s3, s3, 0
	;; [unrolled: 2-line block ×3, first 2 shown]
	.p2align	6
.LBB121_544:                            ; =>This Inner Loop Header: Depth=1
	s_clause 0x1
	s_load_b64 s[44:45], s[4:5], 0x4
	s_load_b32 s42, s[4:5], 0xc
	s_load_b64 s[46:47], s[2:3], 0x0
	s_add_u32 s4, s4, 12
	s_addc_u32 s5, s5, 0
	s_add_u32 s2, s2, 8
	s_addc_u32 s3, s3, 0
	s_add_i32 s43, s43, -1
	s_delay_alu instid0(SALU_CYCLE_1) | instskip(SKIP_2) | instid1(VALU_DEP_1)
	s_cmp_lg_u32 s43, 0
	s_waitcnt vmcnt(0) lgkmcnt(0)
	v_mul_hi_u32 v3, s45, v2
	v_add_nc_u32_e32 v3, v2, v3
	s_delay_alu instid0(VALU_DEP_1) | instskip(NEXT) | instid1(VALU_DEP_1)
	v_lshrrev_b32_e32 v3, s42, v3
	v_mul_lo_u32 v6, v3, s44
	s_delay_alu instid0(VALU_DEP_1) | instskip(NEXT) | instid1(VALU_DEP_1)
	v_sub_nc_u32_e32 v2, v2, v6
	v_mad_u64_u32 v[6:7], null, v2, s46, v[0:1]
	v_mad_u64_u32 v[9:10], null, v2, s47, v[1:2]
	v_mov_b32_e32 v2, v3
	s_delay_alu instid0(VALU_DEP_2)
	v_dual_mov_b32 v0, v6 :: v_dual_mov_b32 v1, v9
	s_cbranch_scc1 .LBB121_544
.LBB121_545:
	s_and_not1_b32 vcc_lo, exec_lo, s41
	s_cbranch_vccnz .LBB121_548
; %bb.546:
	s_waitcnt lgkmcnt(0)
	v_mul_hi_u32 v0, s17, v8
	s_and_not1_b32 vcc_lo, exec_lo, s29
	s_delay_alu instid0(VALU_DEP_1) | instskip(NEXT) | instid1(VALU_DEP_1)
	v_add_nc_u32_e32 v0, v8, v0
	v_lshrrev_b32_e32 v2, s18, v0
	s_delay_alu instid0(VALU_DEP_1) | instskip(NEXT) | instid1(VALU_DEP_1)
	v_mul_lo_u32 v0, v2, s16
	v_sub_nc_u32_e32 v1, v8, v0
	s_delay_alu instid0(VALU_DEP_1)
	v_mul_lo_u32 v0, v1, s12
	v_mul_lo_u32 v1, v1, s13
	s_cbranch_vccnz .LBB121_548
; %bb.547:
	s_waitcnt vmcnt(0)
	v_mul_hi_u32 v3, s20, v2
	s_delay_alu instid0(VALU_DEP_1) | instskip(NEXT) | instid1(VALU_DEP_1)
	v_add_nc_u32_e32 v3, v2, v3
	v_lshrrev_b32_e32 v3, s21, v3
	s_delay_alu instid0(VALU_DEP_1) | instskip(NEXT) | instid1(VALU_DEP_1)
	v_mul_lo_u32 v3, v3, s19
	v_sub_nc_u32_e32 v9, v2, v3
	s_delay_alu instid0(VALU_DEP_1) | instskip(NEXT) | instid1(VALU_DEP_1)
	v_mad_u64_u32 v[2:3], null, v9, s14, v[0:1]
	v_mad_u64_u32 v[6:7], null, v9, s15, v[1:2]
	v_mov_b32_e32 v0, v2
	s_delay_alu instid0(VALU_DEP_2)
	v_mov_b32_e32 v1, v6
.LBB121_548:
	v_cmp_gt_i16_e32 vcc_lo, 11, v5
	s_waitcnt lgkmcnt(0)
	s_delay_alu instid0(VALU_DEP_2) | instskip(NEXT) | instid1(VALU_DEP_1)
	v_add_co_u32 v1, s2, s10, v1
	v_add_co_ci_u32_e64 v2, null, s11, 0, s2
	s_mov_b32 s2, 0
	s_cbranch_vccnz .LBB121_555
; %bb.549:
	v_cmp_lt_i16_e32 vcc_lo, 25, v5
	s_cbranch_vccz .LBB121_556
; %bb.550:
	v_cmp_lt_i16_e32 vcc_lo, 28, v5
	s_cbranch_vccz .LBB121_557
	;; [unrolled: 3-line block ×4, first 2 shown]
; %bb.553:
	v_cmp_eq_u16_e32 vcc_lo, 46, v5
	s_mov_b32 s3, 0
	s_cbranch_vccz .LBB121_564
; %bb.554:
	global_load_b32 v3, v[1:2], off
	s_mov_b32 s2, -1
	s_mov_b32 s5, 0
	s_waitcnt vmcnt(0)
	v_lshlrev_b32_e32 v3, 16, v3
	s_branch .LBB121_566
.LBB121_555:
	s_mov_b32 s3, -1
	s_mov_b32 s5, s37
                                        ; implicit-def: $vgpr3
	s_branch .LBB121_631
.LBB121_556:
	s_mov_b32 s3, -1
	s_mov_b32 s5, s37
                                        ; implicit-def: $vgpr3
	s_branch .LBB121_595
.LBB121_557:
	s_mov_b32 s3, -1
	s_mov_b32 s5, s37
                                        ; implicit-def: $vgpr3
	s_branch .LBB121_576
.LBB121_558:
	s_mov_b32 s3, -1
	s_mov_b32 s5, s37
                                        ; implicit-def: $vgpr3
	s_branch .LBB121_571
.LBB121_559:
	s_or_saveexec_b32 s40, s40
                                        ; implicit-def: $sgpr41
	s_delay_alu instid0(SALU_CYCLE_1)
	s_xor_b32 exec_lo, exec_lo, s40
	s_cbranch_execz .LBB121_370
.LBB121_560:
	v_add_f32_e32 v3, 0x46000000, v9
	s_and_not1_b32 s38, s38, exec_lo
	s_mov_b32 s41, 0
	s_delay_alu instid0(VALU_DEP_1) | instskip(NEXT) | instid1(VALU_DEP_1)
	v_and_b32_e32 v3, 0xff, v3
	v_cmp_ne_u32_e32 vcc_lo, 0, v3
	s_and_b32 s42, vcc_lo, exec_lo
	s_delay_alu instid0(SALU_CYCLE_1)
	s_or_b32 s38, s38, s42
	s_or_b32 exec_lo, exec_lo, s40
	v_mov_b32_e32 v10, s41
	s_and_saveexec_b32 s40, s38
	s_cbranch_execnz .LBB121_371
	s_branch .LBB121_372
.LBB121_561:
	s_mov_b32 s3, -1
	s_mov_b32 s5, s37
	s_branch .LBB121_565
.LBB121_562:
	s_or_saveexec_b32 s40, s40
                                        ; implicit-def: $sgpr41
	s_delay_alu instid0(SALU_CYCLE_1)
	s_xor_b32 exec_lo, exec_lo, s40
	s_cbranch_execz .LBB121_383
.LBB121_563:
	v_add_f32_e32 v3, 0x42800000, v9
	s_and_not1_b32 s38, s38, exec_lo
	s_mov_b32 s41, 0
	s_delay_alu instid0(VALU_DEP_1) | instskip(NEXT) | instid1(VALU_DEP_1)
	v_and_b32_e32 v3, 0xff, v3
	v_cmp_ne_u32_e32 vcc_lo, 0, v3
	s_and_b32 s42, vcc_lo, exec_lo
	s_delay_alu instid0(SALU_CYCLE_1)
	s_or_b32 s38, s38, s42
	s_or_b32 exec_lo, exec_lo, s40
	v_mov_b32_e32 v10, s41
	s_and_saveexec_b32 s40, s38
	s_cbranch_execnz .LBB121_384
	s_branch .LBB121_385
.LBB121_564:
	s_mov_b32 s5, -1
.LBB121_565:
                                        ; implicit-def: $vgpr3
.LBB121_566:
	s_and_b32 vcc_lo, exec_lo, s3
	s_cbranch_vccz .LBB121_570
; %bb.567:
	v_cmp_eq_u16_e32 vcc_lo, 44, v5
	s_cbranch_vccz .LBB121_569
; %bb.568:
	global_load_u8 v3, v[1:2], off
	s_mov_b32 s5, 0
	s_mov_b32 s2, -1
	s_waitcnt vmcnt(0)
	v_lshlrev_b32_e32 v6, 23, v3
	v_cmp_ne_u32_e32 vcc_lo, 0xff, v3
	s_delay_alu instid0(VALU_DEP_2) | instskip(SKIP_1) | instid1(VALU_DEP_2)
	v_cndmask_b32_e32 v6, 0x7f800001, v6, vcc_lo
	v_cmp_ne_u32_e32 vcc_lo, 0, v3
	v_cndmask_b32_e32 v3, 0x400000, v6, vcc_lo
	s_branch .LBB121_570
.LBB121_569:
	s_mov_b32 s5, -1
                                        ; implicit-def: $vgpr3
.LBB121_570:
	s_mov_b32 s3, 0
.LBB121_571:
	s_delay_alu instid0(SALU_CYCLE_1)
	s_and_b32 vcc_lo, exec_lo, s3
	s_cbranch_vccz .LBB121_575
; %bb.572:
	v_cmp_eq_u16_e32 vcc_lo, 29, v5
	s_cbranch_vccz .LBB121_574
; %bb.573:
	global_load_b64 v[6:7], v[1:2], off
	s_mov_b32 s2, -1
	s_mov_b32 s5, 0
	s_mov_b32 s3, 0
	s_waitcnt vmcnt(0)
	v_clz_i32_u32_e32 v3, v7
	s_delay_alu instid0(VALU_DEP_1) | instskip(NEXT) | instid1(VALU_DEP_1)
	v_min_u32_e32 v3, 32, v3
	v_lshlrev_b64 v[6:7], v3, v[6:7]
	v_sub_nc_u32_e32 v3, 32, v3
	s_delay_alu instid0(VALU_DEP_2) | instskip(NEXT) | instid1(VALU_DEP_1)
	v_min_u32_e32 v6, 1, v6
	v_or_b32_e32 v6, v7, v6
	s_delay_alu instid0(VALU_DEP_1) | instskip(NEXT) | instid1(VALU_DEP_1)
	v_cvt_f32_u32_e32 v6, v6
	v_ldexp_f32 v3, v6, v3
	s_branch .LBB121_576
.LBB121_574:
	s_mov_b32 s5, -1
                                        ; implicit-def: $vgpr3
.LBB121_575:
	s_mov_b32 s3, 0
.LBB121_576:
	s_delay_alu instid0(SALU_CYCLE_1)
	s_and_b32 vcc_lo, exec_lo, s3
	s_cbranch_vccz .LBB121_594
; %bb.577:
	v_cmp_gt_i16_e32 vcc_lo, 27, v5
	s_cbranch_vccnz .LBB121_580
; %bb.578:
	v_cmp_lt_i16_e32 vcc_lo, 27, v5
	s_cbranch_vccz .LBB121_581
; %bb.579:
	global_load_b32 v3, v[1:2], off
	s_mov_b32 s2, 0
	s_waitcnt vmcnt(0)
	v_cvt_f32_u32_e32 v3, v3
	s_branch .LBB121_582
.LBB121_580:
	s_mov_b32 s2, -1
                                        ; implicit-def: $vgpr3
	s_branch .LBB121_585
.LBB121_581:
	s_mov_b32 s2, -1
                                        ; implicit-def: $vgpr3
.LBB121_582:
	s_delay_alu instid0(SALU_CYCLE_1)
	s_and_not1_b32 vcc_lo, exec_lo, s2
	s_cbranch_vccnz .LBB121_584
; %bb.583:
	global_load_u16 v3, v[1:2], off
	s_waitcnt vmcnt(0)
	v_cvt_f32_u32_e32 v3, v3
.LBB121_584:
	s_mov_b32 s2, 0
.LBB121_585:
	s_delay_alu instid0(SALU_CYCLE_1)
	s_and_not1_b32 vcc_lo, exec_lo, s2
	s_cbranch_vccnz .LBB121_593
; %bb.586:
	global_load_u8 v6, v[1:2], off
	s_mov_b32 s2, 0
	s_mov_b32 s4, exec_lo
                                        ; implicit-def: $sgpr3
	s_waitcnt vmcnt(0)
	v_cmpx_lt_i16_e32 0x7f, v6
	s_xor_b32 s4, exec_lo, s4
	s_cbranch_execz .LBB121_607
; %bb.587:
	s_mov_b32 s2, -1
	s_mov_b32 s41, exec_lo
                                        ; implicit-def: $sgpr3
	v_cmpx_eq_u16_e32 0x80, v6
; %bb.588:
	s_mov_b32 s3, 0x7f800001
	s_xor_b32 s2, exec_lo, -1
; %bb.589:
	s_or_b32 exec_lo, exec_lo, s41
	s_delay_alu instid0(SALU_CYCLE_1)
	s_and_b32 s2, s2, exec_lo
	s_or_saveexec_b32 s4, s4
	v_mov_b32_e32 v3, s3
	s_xor_b32 exec_lo, exec_lo, s4
	s_cbranch_execnz .LBB121_608
.LBB121_590:
	s_or_b32 exec_lo, exec_lo, s4
	s_and_saveexec_b32 s3, s2
	s_cbranch_execz .LBB121_592
.LBB121_591:
	v_and_b32_e32 v3, 0xffff, v6
	v_lshlrev_b32_e32 v6, 24, v6
	s_delay_alu instid0(VALU_DEP_2) | instskip(NEXT) | instid1(VALU_DEP_2)
	v_and_b32_e32 v7, 7, v3
	v_and_b32_e32 v6, 0x80000000, v6
	s_delay_alu instid0(VALU_DEP_2) | instskip(NEXT) | instid1(VALU_DEP_1)
	v_clz_i32_u32_e32 v9, v7
	v_min_u32_e32 v9, 32, v9
	s_delay_alu instid0(VALU_DEP_1) | instskip(SKIP_1) | instid1(VALU_DEP_2)
	v_subrev_nc_u32_e32 v10, 28, v9
	v_sub_nc_u32_e32 v9, 29, v9
	v_lshlrev_b32_e32 v10, v10, v3
	v_bfe_u32 v3, v3, 3, 4
	s_delay_alu instid0(VALU_DEP_1) | instskip(NEXT) | instid1(VALU_DEP_3)
	v_cmp_eq_u32_e32 vcc_lo, 0, v3
	v_dual_cndmask_b32 v3, v3, v9 :: v_dual_and_b32 v10, 7, v10
	s_delay_alu instid0(VALU_DEP_1) | instskip(NEXT) | instid1(VALU_DEP_2)
	v_lshl_add_u32 v3, v3, 23, 0x3b800000
	v_cndmask_b32_e32 v7, v7, v10, vcc_lo
	s_delay_alu instid0(VALU_DEP_1) | instskip(NEXT) | instid1(VALU_DEP_1)
	v_lshlrev_b32_e32 v7, 20, v7
	v_or3_b32 v3, v6, v3, v7
.LBB121_592:
	s_or_b32 exec_lo, exec_lo, s3
.LBB121_593:
	s_mov_b32 s2, -1
.LBB121_594:
	s_mov_b32 s3, 0
.LBB121_595:
	s_delay_alu instid0(SALU_CYCLE_1)
	s_and_b32 vcc_lo, exec_lo, s3
	s_cbranch_vccz .LBB121_630
; %bb.596:
	v_cmp_lt_i16_e32 vcc_lo, 22, v5
	s_cbranch_vccz .LBB121_606
; %bb.597:
	v_cmp_gt_i16_e32 vcc_lo, 24, v5
	s_cbranch_vccnz .LBB121_609
; %bb.598:
	v_cmp_lt_i16_e32 vcc_lo, 24, v5
	s_cbranch_vccz .LBB121_610
; %bb.599:
	global_load_u8 v6, v[1:2], off
	s_mov_b32 s2, 0
	s_mov_b32 s4, exec_lo
                                        ; implicit-def: $sgpr3
	s_waitcnt vmcnt(0)
	v_cmpx_lt_i16_e32 0x7f, v6
	s_xor_b32 s4, exec_lo, s4
	s_cbranch_execz .LBB121_622
; %bb.600:
	s_mov_b32 s2, -1
	s_mov_b32 s41, exec_lo
                                        ; implicit-def: $sgpr3
	v_cmpx_eq_u16_e32 0x80, v6
; %bb.601:
	s_mov_b32 s3, 0x7f800001
	s_xor_b32 s2, exec_lo, -1
; %bb.602:
	s_or_b32 exec_lo, exec_lo, s41
	s_delay_alu instid0(SALU_CYCLE_1)
	s_and_b32 s2, s2, exec_lo
	s_or_saveexec_b32 s4, s4
	v_mov_b32_e32 v3, s3
	s_xor_b32 exec_lo, exec_lo, s4
	s_cbranch_execnz .LBB121_623
.LBB121_603:
	s_or_b32 exec_lo, exec_lo, s4
	s_and_saveexec_b32 s3, s2
	s_cbranch_execz .LBB121_605
.LBB121_604:
	v_and_b32_e32 v3, 0xffff, v6
	v_lshlrev_b32_e32 v6, 24, v6
	s_delay_alu instid0(VALU_DEP_2) | instskip(NEXT) | instid1(VALU_DEP_2)
	v_and_b32_e32 v7, 3, v3
	v_and_b32_e32 v6, 0x80000000, v6
	s_delay_alu instid0(VALU_DEP_2) | instskip(NEXT) | instid1(VALU_DEP_1)
	v_clz_i32_u32_e32 v9, v7
	v_min_u32_e32 v9, 32, v9
	s_delay_alu instid0(VALU_DEP_1) | instskip(SKIP_1) | instid1(VALU_DEP_2)
	v_subrev_nc_u32_e32 v10, 29, v9
	v_sub_nc_u32_e32 v9, 30, v9
	v_lshlrev_b32_e32 v10, v10, v3
	v_bfe_u32 v3, v3, 2, 5
	s_delay_alu instid0(VALU_DEP_1) | instskip(NEXT) | instid1(VALU_DEP_3)
	v_cmp_eq_u32_e32 vcc_lo, 0, v3
	v_dual_cndmask_b32 v3, v3, v9 :: v_dual_and_b32 v10, 3, v10
	s_delay_alu instid0(VALU_DEP_1) | instskip(NEXT) | instid1(VALU_DEP_2)
	v_lshl_add_u32 v3, v3, 23, 0x37800000
	v_cndmask_b32_e32 v7, v7, v10, vcc_lo
	s_delay_alu instid0(VALU_DEP_1) | instskip(NEXT) | instid1(VALU_DEP_1)
	v_lshlrev_b32_e32 v7, 21, v7
	v_or3_b32 v3, v6, v3, v7
.LBB121_605:
	s_or_b32 exec_lo, exec_lo, s3
	s_mov_b32 s2, 0
	s_branch .LBB121_611
.LBB121_606:
	s_mov_b32 s3, -1
                                        ; implicit-def: $vgpr3
	s_branch .LBB121_617
.LBB121_607:
	s_or_saveexec_b32 s4, s4
	v_mov_b32_e32 v3, s3
	s_xor_b32 exec_lo, exec_lo, s4
	s_cbranch_execz .LBB121_590
.LBB121_608:
	v_cmp_ne_u16_e32 vcc_lo, 0, v6
	v_mov_b32_e32 v3, 0
	s_and_not1_b32 s2, s2, exec_lo
	s_and_b32 s3, vcc_lo, exec_lo
	s_delay_alu instid0(SALU_CYCLE_1)
	s_or_b32 s2, s2, s3
	s_or_b32 exec_lo, exec_lo, s4
	s_and_saveexec_b32 s3, s2
	s_cbranch_execnz .LBB121_591
	s_branch .LBB121_592
.LBB121_609:
	s_mov_b32 s2, -1
                                        ; implicit-def: $vgpr3
	s_branch .LBB121_614
.LBB121_610:
	s_mov_b32 s2, -1
                                        ; implicit-def: $vgpr3
.LBB121_611:
	s_delay_alu instid0(SALU_CYCLE_1)
	s_and_b32 vcc_lo, exec_lo, s2
	s_cbranch_vccz .LBB121_613
; %bb.612:
	global_load_u8 v3, v[1:2], off
	s_waitcnt vmcnt(0)
	v_lshlrev_b32_e32 v3, 24, v3
	s_delay_alu instid0(VALU_DEP_1) | instskip(NEXT) | instid1(VALU_DEP_1)
	v_and_b32_e32 v6, 0x7f000000, v3
	v_clz_i32_u32_e32 v7, v6
	v_cmp_ne_u32_e32 vcc_lo, 0, v6
	v_add_nc_u32_e32 v10, 0x1000000, v6
	s_delay_alu instid0(VALU_DEP_3) | instskip(NEXT) | instid1(VALU_DEP_1)
	v_min_u32_e32 v7, 32, v7
	v_sub_nc_u32_e64 v7, v7, 4 clamp
	s_delay_alu instid0(VALU_DEP_1) | instskip(SKIP_1) | instid1(VALU_DEP_2)
	v_lshlrev_b32_e32 v9, v7, v6
	v_lshlrev_b32_e32 v7, 23, v7
	v_lshrrev_b32_e32 v9, 4, v9
	s_delay_alu instid0(VALU_DEP_1) | instskip(SKIP_1) | instid1(VALU_DEP_2)
	v_sub_nc_u32_e32 v7, v9, v7
	v_ashrrev_i32_e32 v9, 8, v10
	v_add_nc_u32_e32 v7, 0x3c000000, v7
	s_delay_alu instid0(VALU_DEP_1) | instskip(NEXT) | instid1(VALU_DEP_1)
	v_and_or_b32 v7, 0x7f800000, v9, v7
	v_cndmask_b32_e32 v6, 0, v7, vcc_lo
	s_delay_alu instid0(VALU_DEP_1)
	v_and_or_b32 v3, 0x80000000, v3, v6
.LBB121_613:
	s_mov_b32 s2, 0
.LBB121_614:
	s_delay_alu instid0(SALU_CYCLE_1)
	s_and_not1_b32 vcc_lo, exec_lo, s2
	s_cbranch_vccnz .LBB121_616
; %bb.615:
	global_load_u8 v3, v[1:2], off
	s_waitcnt vmcnt(0)
	v_lshlrev_b32_e32 v6, 25, v3
	v_lshlrev_b16 v3, 8, v3
	s_delay_alu instid0(VALU_DEP_1) | instskip(SKIP_1) | instid1(VALU_DEP_2)
	v_and_or_b32 v9, 0x7f00, v3, 0.5
	v_bfe_i32 v3, v3, 0, 16
	v_add_f32_e32 v9, -0.5, v9
	v_lshrrev_b32_e32 v7, 4, v6
	v_cmp_gt_u32_e32 vcc_lo, 0x8000000, v6
	s_delay_alu instid0(VALU_DEP_2) | instskip(NEXT) | instid1(VALU_DEP_1)
	v_or_b32_e32 v7, 0x70000000, v7
	v_mul_f32_e32 v7, 0x7800000, v7
	s_delay_alu instid0(VALU_DEP_1) | instskip(NEXT) | instid1(VALU_DEP_1)
	v_cndmask_b32_e32 v6, v7, v9, vcc_lo
	v_and_or_b32 v3, 0x80000000, v3, v6
.LBB121_616:
	s_mov_b32 s3, 0
	s_mov_b32 s2, -1
.LBB121_617:
	s_and_not1_b32 vcc_lo, exec_lo, s3
	s_cbranch_vccnz .LBB121_630
; %bb.618:
	v_cmp_lt_i16_e32 vcc_lo, 14, v5
	s_cbranch_vccz .LBB121_621
; %bb.619:
	v_cmp_eq_u16_e32 vcc_lo, 15, v5
	s_cbranch_vccz .LBB121_624
; %bb.620:
	global_load_u16 v3, v[1:2], off
	s_mov_b32 s2, -1
	s_mov_b32 s5, 0
	s_waitcnt vmcnt(0)
	v_lshlrev_b32_e32 v3, 16, v3
	s_branch .LBB121_625
.LBB121_621:
	s_mov_b32 s3, -1
                                        ; implicit-def: $vgpr3
	s_branch .LBB121_626
.LBB121_622:
	s_or_saveexec_b32 s4, s4
	v_mov_b32_e32 v3, s3
	s_xor_b32 exec_lo, exec_lo, s4
	s_cbranch_execz .LBB121_603
.LBB121_623:
	v_cmp_ne_u16_e32 vcc_lo, 0, v6
	v_mov_b32_e32 v3, 0
	s_and_not1_b32 s2, s2, exec_lo
	s_and_b32 s3, vcc_lo, exec_lo
	s_delay_alu instid0(SALU_CYCLE_1)
	s_or_b32 s2, s2, s3
	s_or_b32 exec_lo, exec_lo, s4
	s_and_saveexec_b32 s3, s2
	s_cbranch_execnz .LBB121_604
	s_branch .LBB121_605
.LBB121_624:
	s_mov_b32 s5, -1
                                        ; implicit-def: $vgpr3
.LBB121_625:
	s_mov_b32 s3, 0
.LBB121_626:
	s_delay_alu instid0(SALU_CYCLE_1)
	s_and_b32 vcc_lo, exec_lo, s3
	s_cbranch_vccz .LBB121_630
; %bb.627:
	v_cmp_eq_u16_e32 vcc_lo, 11, v5
	s_cbranch_vccz .LBB121_629
; %bb.628:
	global_load_u8 v3, v[1:2], off
	s_mov_b32 s5, 0
	s_mov_b32 s2, -1
	s_waitcnt vmcnt(0)
	v_cmp_ne_u16_e32 vcc_lo, 0, v3
	v_cndmask_b32_e64 v3, 0, 1.0, vcc_lo
	s_branch .LBB121_630
.LBB121_629:
	s_mov_b32 s5, -1
                                        ; implicit-def: $vgpr3
.LBB121_630:
	s_mov_b32 s3, 0
.LBB121_631:
	s_delay_alu instid0(SALU_CYCLE_1)
	s_and_b32 vcc_lo, exec_lo, s3
	s_cbranch_vccz .LBB121_680
; %bb.632:
	v_cmp_gt_i16_e32 vcc_lo, 5, v5
	s_cbranch_vccnz .LBB121_637
; %bb.633:
	v_cmp_gt_i16_e32 vcc_lo, 8, v5
	s_cbranch_vccnz .LBB121_638
	;; [unrolled: 3-line block ×3, first 2 shown]
; %bb.635:
	v_cmp_lt_i16_e32 vcc_lo, 9, v5
	s_cbranch_vccz .LBB121_640
; %bb.636:
	global_load_b64 v[6:7], v[1:2], off
	s_mov_b32 s2, 0
	s_waitcnt vmcnt(0)
	v_cvt_f32_f64_e32 v3, v[6:7]
	s_branch .LBB121_641
.LBB121_637:
	s_mov_b32 s2, -1
                                        ; implicit-def: $vgpr3
	s_branch .LBB121_659
.LBB121_638:
	s_mov_b32 s2, -1
                                        ; implicit-def: $vgpr3
	s_branch .LBB121_647
.LBB121_639:
	s_mov_b32 s2, -1
                                        ; implicit-def: $vgpr3
	s_branch .LBB121_644
.LBB121_640:
	s_mov_b32 s2, -1
                                        ; implicit-def: $vgpr3
.LBB121_641:
	s_delay_alu instid0(SALU_CYCLE_1)
	s_and_not1_b32 vcc_lo, exec_lo, s2
	s_cbranch_vccnz .LBB121_643
; %bb.642:
	global_load_b32 v3, v[1:2], off
.LBB121_643:
	s_mov_b32 s2, 0
.LBB121_644:
	s_delay_alu instid0(SALU_CYCLE_1)
	s_and_not1_b32 vcc_lo, exec_lo, s2
	s_cbranch_vccnz .LBB121_646
; %bb.645:
	global_load_b32 v3, v[1:2], off
	s_waitcnt vmcnt(0)
	v_cvt_f32_f16_e32 v3, v3
.LBB121_646:
	s_mov_b32 s2, 0
.LBB121_647:
	s_delay_alu instid0(SALU_CYCLE_1)
	s_and_not1_b32 vcc_lo, exec_lo, s2
	s_cbranch_vccnz .LBB121_658
; %bb.648:
	v_cmp_gt_i16_e32 vcc_lo, 6, v5
	s_cbranch_vccnz .LBB121_651
; %bb.649:
	v_cmp_lt_i16_e32 vcc_lo, 6, v5
	s_cbranch_vccz .LBB121_652
; %bb.650:
	global_load_b64 v[6:7], v[1:2], off
	s_mov_b32 s2, 0
	s_waitcnt vmcnt(0)
	v_cvt_f32_f64_e32 v3, v[6:7]
	s_branch .LBB121_653
.LBB121_651:
	s_mov_b32 s2, -1
                                        ; implicit-def: $vgpr3
	s_branch .LBB121_656
.LBB121_652:
	s_mov_b32 s2, -1
                                        ; implicit-def: $vgpr3
.LBB121_653:
	s_delay_alu instid0(SALU_CYCLE_1)
	s_and_not1_b32 vcc_lo, exec_lo, s2
	s_cbranch_vccnz .LBB121_655
; %bb.654:
	global_load_b32 v3, v[1:2], off
.LBB121_655:
	s_mov_b32 s2, 0
.LBB121_656:
	s_delay_alu instid0(SALU_CYCLE_1)
	s_and_not1_b32 vcc_lo, exec_lo, s2
	s_cbranch_vccnz .LBB121_658
; %bb.657:
	global_load_u16 v3, v[1:2], off
	s_waitcnt vmcnt(0)
	v_cvt_f32_f16_e32 v3, v3
.LBB121_658:
	s_mov_b32 s2, 0
.LBB121_659:
	s_delay_alu instid0(SALU_CYCLE_1)
	s_and_not1_b32 vcc_lo, exec_lo, s2
	s_cbranch_vccnz .LBB121_679
; %bb.660:
	v_cmp_gt_i16_e32 vcc_lo, 2, v5
	s_cbranch_vccnz .LBB121_664
; %bb.661:
	v_cmp_gt_i16_e32 vcc_lo, 3, v5
	s_cbranch_vccnz .LBB121_665
; %bb.662:
	v_cmp_lt_i16_e32 vcc_lo, 3, v5
	s_cbranch_vccz .LBB121_666
; %bb.663:
	global_load_b64 v[6:7], v[1:2], off
	s_mov_b32 s2, 0
	s_waitcnt vmcnt(0)
	v_xor_b32_e32 v3, v6, v7
	v_cls_i32_e32 v9, v7
	s_delay_alu instid0(VALU_DEP_2) | instskip(NEXT) | instid1(VALU_DEP_2)
	v_ashrrev_i32_e32 v3, 31, v3
	v_add_nc_u32_e32 v9, -1, v9
	s_delay_alu instid0(VALU_DEP_2) | instskip(NEXT) | instid1(VALU_DEP_1)
	v_add_nc_u32_e32 v3, 32, v3
	v_min_u32_e32 v3, v9, v3
	s_delay_alu instid0(VALU_DEP_1) | instskip(SKIP_1) | instid1(VALU_DEP_2)
	v_lshlrev_b64 v[6:7], v3, v[6:7]
	v_sub_nc_u32_e32 v3, 32, v3
	v_min_u32_e32 v6, 1, v6
	s_delay_alu instid0(VALU_DEP_1) | instskip(NEXT) | instid1(VALU_DEP_1)
	v_or_b32_e32 v6, v7, v6
	v_cvt_f32_i32_e32 v6, v6
	s_delay_alu instid0(VALU_DEP_1)
	v_ldexp_f32 v3, v6, v3
	s_branch .LBB121_667
.LBB121_664:
	s_mov_b32 s2, -1
                                        ; implicit-def: $vgpr3
	s_branch .LBB121_673
.LBB121_665:
	s_mov_b32 s2, -1
                                        ; implicit-def: $vgpr3
	s_branch .LBB121_670
.LBB121_666:
	s_mov_b32 s2, -1
                                        ; implicit-def: $vgpr3
.LBB121_667:
	s_delay_alu instid0(SALU_CYCLE_1)
	s_and_not1_b32 vcc_lo, exec_lo, s2
	s_cbranch_vccnz .LBB121_669
; %bb.668:
	global_load_b32 v3, v[1:2], off
	s_waitcnt vmcnt(0)
	v_cvt_f32_i32_e32 v3, v3
.LBB121_669:
	s_mov_b32 s2, 0
.LBB121_670:
	s_delay_alu instid0(SALU_CYCLE_1)
	s_and_not1_b32 vcc_lo, exec_lo, s2
	s_cbranch_vccnz .LBB121_672
; %bb.671:
	global_load_i16 v3, v[1:2], off
	s_waitcnt vmcnt(0)
	v_cvt_f32_i32_e32 v3, v3
.LBB121_672:
	s_mov_b32 s2, 0
.LBB121_673:
	s_delay_alu instid0(SALU_CYCLE_1)
	s_and_not1_b32 vcc_lo, exec_lo, s2
	s_cbranch_vccnz .LBB121_679
; %bb.674:
	v_cmp_lt_i16_e32 vcc_lo, 0, v5
	s_mov_b32 s2, 0
	s_cbranch_vccz .LBB121_676
; %bb.675:
	global_load_i8 v3, v[1:2], off
	s_waitcnt vmcnt(0)
	v_cvt_f32_i32_e32 v3, v3
	s_branch .LBB121_677
.LBB121_676:
	s_mov_b32 s2, -1
                                        ; implicit-def: $vgpr3
.LBB121_677:
	s_delay_alu instid0(SALU_CYCLE_1)
	s_and_not1_b32 vcc_lo, exec_lo, s2
	s_cbranch_vccnz .LBB121_679
; %bb.678:
	global_load_u8 v1, v[1:2], off
	s_waitcnt vmcnt(0)
	v_cvt_f32_ubyte0_e32 v3, v1
.LBB121_679:
	s_mov_b32 s2, -1
.LBB121_680:
	s_delay_alu instid0(SALU_CYCLE_1)
	s_and_not1_b32 vcc_lo, exec_lo, s2
	s_cbranch_vccnz .LBB121_688
; %bb.681:
	s_waitcnt vmcnt(0)
	s_delay_alu instid0(VALU_DEP_1) | instskip(SKIP_3) | instid1(VALU_DEP_2)
	v_mul_f32_e32 v1, 0x3fb8aa3b, v3
	s_mov_b32 s2, 0x395133b1
	v_add_co_u32 v0, s3, s8, v0
	s_mov_b32 s41, 0
	v_rndne_f32_e32 v1, v1
	s_mov_b32 s42, -1
	s_mov_b32 s4, s38
	s_delay_alu instid0(VALU_DEP_1) | instskip(SKIP_2) | instid1(VALU_DEP_3)
	v_fmamk_f32 v2, v1, 0xbf317218, v3
	v_cmp_eq_f32_e32 vcc_lo, 0x43000000, v1
	v_cvt_i32_f32_e32 v7, v1
	v_fmamk_f32 v2, v1, 0x3102e308, v2
	s_delay_alu instid0(VALU_DEP_2) | instskip(NEXT) | instid1(VALU_DEP_2)
	v_cndmask_b32_e64 v1, v7, 0x7f, vcc_lo
	v_fmaak_f32 v6, s2, v2, 0x3ab69700
	v_cmp_lt_f32_e64 s2, 0x42b17217, v3
	s_delay_alu instid0(VALU_DEP_3) | instskip(NEXT) | instid1(VALU_DEP_1)
	v_ldexp_f32 v1, 1.0, v1
	v_dual_fmaak_f32 v6, v2, v6, 0x3c0887f9 :: v_dual_add_f32 v7, -1.0, v1
	s_delay_alu instid0(VALU_DEP_1) | instskip(NEXT) | instid1(VALU_DEP_1)
	v_fmaak_f32 v6, v2, v6, 0x3d2aaa81
	v_fmaak_f32 v6, v2, v6, 0x3e2aaaab
	s_delay_alu instid0(VALU_DEP_1) | instskip(NEXT) | instid1(VALU_DEP_1)
	v_fma_f32 v6, v2, v6, 0.5
	v_mul_f32_e32 v6, v2, v6
	s_delay_alu instid0(VALU_DEP_1) | instskip(NEXT) | instid1(VALU_DEP_1)
	v_fmac_f32_e32 v2, v2, v6
	v_dual_fmac_f32 v7, v1, v2 :: v_dual_and_b32 v6, 0xff, v4
	s_delay_alu instid0(VALU_DEP_1) | instskip(NEXT) | instid1(VALU_DEP_1)
	v_add_f32_e32 v1, v7, v7
	v_cndmask_b32_e32 v7, v7, v1, vcc_lo
	v_add_co_ci_u32_e64 v1, null, s9, 0, s3
	v_cmp_gt_f32_e64 s3, 0xc1880000, v3
	v_cmp_gt_i16_e32 vcc_lo, 11, v6
	s_delay_alu instid0(VALU_DEP_4) | instskip(NEXT) | instid1(VALU_DEP_1)
	v_cndmask_b32_e64 v2, v7, 0x7f800000, s2
	v_cndmask_b32_e64 v2, v2, -1.0, s3
	s_cbranch_vccnz .LBB121_689
; %bb.682:
	v_cmp_lt_i16_e32 vcc_lo, 25, v6
	s_cbranch_vccz .LBB121_730
; %bb.683:
	v_cmp_lt_i16_e32 vcc_lo, 28, v6
	s_cbranch_vccz .LBB121_731
	;; [unrolled: 3-line block ×4, first 2 shown]
; %bb.686:
	v_cmp_eq_u16_e32 vcc_lo, 46, v6
	s_mov_b32 s42, 0
	s_mov_b32 s4, -1
	s_cbranch_vccz .LBB121_734
; %bb.687:
	v_bfe_u32 v3, v2, 16, 1
	v_cmp_o_f32_e32 vcc_lo, v2, v2
	s_mov_b32 s41, -1
	s_mov_b32 s4, 0
	s_delay_alu instid0(VALU_DEP_2) | instskip(NEXT) | instid1(VALU_DEP_1)
	v_add3_u32 v3, v2, v3, 0x7fff
	v_lshrrev_b32_e32 v3, 16, v3
	s_delay_alu instid0(VALU_DEP_1)
	v_cndmask_b32_e32 v3, 0x7fc0, v3, vcc_lo
	global_store_b32 v[0:1], v3, off
	s_branch .LBB121_734
.LBB121_688:
	s_mov_b32 s2, 0
	s_mov_b32 s4, s38
	s_branch .LBB121_729
.LBB121_689:
	s_and_b32 vcc_lo, exec_lo, s42
	s_cbranch_vccz .LBB121_803
; %bb.690:
	v_cmp_gt_i16_e32 vcc_lo, 5, v6
	s_mov_b32 s2, -1
	s_cbranch_vccnz .LBB121_711
; %bb.691:
	v_cmp_gt_i16_e32 vcc_lo, 8, v6
	s_cbranch_vccnz .LBB121_701
; %bb.692:
	v_cmp_gt_i16_e32 vcc_lo, 9, v6
	s_cbranch_vccnz .LBB121_698
; %bb.693:
	v_cmp_lt_i16_e32 vcc_lo, 9, v6
	s_cbranch_vccz .LBB121_695
; %bb.694:
	v_cvt_f64_f32_e32 v[9:10], v2
	v_mov_b32_e32 v11, 0
	s_mov_b32 s2, 0
	s_delay_alu instid0(VALU_DEP_1)
	v_mov_b32_e32 v12, v11
	global_store_b128 v[0:1], v[9:12], off
.LBB121_695:
	s_and_not1_b32 vcc_lo, exec_lo, s2
	s_cbranch_vccnz .LBB121_697
; %bb.696:
	v_mov_b32_e32 v3, 0
	global_store_b64 v[0:1], v[2:3], off
.LBB121_697:
	s_mov_b32 s2, 0
.LBB121_698:
	s_delay_alu instid0(SALU_CYCLE_1)
	s_and_not1_b32 vcc_lo, exec_lo, s2
	s_cbranch_vccnz .LBB121_700
; %bb.699:
	v_cvt_f16_f32_e32 v3, v2
	s_delay_alu instid0(VALU_DEP_1)
	v_and_b32_e32 v3, 0xffff, v3
	global_store_b32 v[0:1], v3, off
.LBB121_700:
	s_mov_b32 s2, 0
.LBB121_701:
	s_delay_alu instid0(SALU_CYCLE_1)
	s_and_not1_b32 vcc_lo, exec_lo, s2
	s_cbranch_vccnz .LBB121_710
; %bb.702:
	v_cmp_gt_i16_e32 vcc_lo, 6, v6
	s_mov_b32 s2, -1
	s_cbranch_vccnz .LBB121_708
; %bb.703:
	v_cmp_lt_i16_e32 vcc_lo, 6, v6
	s_cbranch_vccz .LBB121_705
; %bb.704:
	v_cvt_f64_f32_e32 v[9:10], v2
	s_mov_b32 s2, 0
	global_store_b64 v[0:1], v[9:10], off
.LBB121_705:
	s_and_not1_b32 vcc_lo, exec_lo, s2
	s_cbranch_vccnz .LBB121_707
; %bb.706:
	global_store_b32 v[0:1], v2, off
.LBB121_707:
	s_mov_b32 s2, 0
.LBB121_708:
	s_delay_alu instid0(SALU_CYCLE_1)
	s_and_not1_b32 vcc_lo, exec_lo, s2
	s_cbranch_vccnz .LBB121_710
; %bb.709:
	v_cvt_f16_f32_e32 v3, v2
	global_store_b16 v[0:1], v3, off
.LBB121_710:
	s_mov_b32 s2, 0
.LBB121_711:
	s_delay_alu instid0(SALU_CYCLE_1)
	s_and_not1_b32 vcc_lo, exec_lo, s2
	s_cbranch_vccnz .LBB121_727
; %bb.712:
	v_cmp_gt_i16_e32 vcc_lo, 2, v6
	s_mov_b32 s2, -1
	s_cbranch_vccnz .LBB121_722
; %bb.713:
	v_cmp_gt_i16_e32 vcc_lo, 3, v6
	s_cbranch_vccnz .LBB121_719
; %bb.714:
	v_cmp_lt_i16_e32 vcc_lo, 3, v6
	s_cbranch_vccz .LBB121_716
; %bb.715:
	v_trunc_f32_e32 v3, v2
	s_mov_b32 s2, 0
	s_delay_alu instid0(VALU_DEP_1) | instskip(NEXT) | instid1(VALU_DEP_1)
	v_mul_f32_e64 v7, 0x2f800000, |v3|
	v_floor_f32_e32 v7, v7
	s_delay_alu instid0(VALU_DEP_1) | instskip(SKIP_2) | instid1(VALU_DEP_3)
	v_fma_f32 v9, 0xcf800000, v7, |v3|
	v_ashrrev_i32_e32 v3, 31, v3
	v_cvt_u32_f32_e32 v7, v7
	v_cvt_u32_f32_e32 v9, v9
	s_delay_alu instid0(VALU_DEP_2) | instskip(NEXT) | instid1(VALU_DEP_2)
	v_xor_b32_e32 v7, v7, v3
	v_xor_b32_e32 v9, v9, v3
	s_delay_alu instid0(VALU_DEP_1) | instskip(NEXT) | instid1(VALU_DEP_3)
	v_sub_co_u32 v9, vcc_lo, v9, v3
	v_sub_co_ci_u32_e32 v10, vcc_lo, v7, v3, vcc_lo
	global_store_b64 v[0:1], v[9:10], off
.LBB121_716:
	s_and_not1_b32 vcc_lo, exec_lo, s2
	s_cbranch_vccnz .LBB121_718
; %bb.717:
	v_cvt_i32_f32_e32 v3, v2
	global_store_b32 v[0:1], v3, off
.LBB121_718:
	s_mov_b32 s2, 0
.LBB121_719:
	s_delay_alu instid0(SALU_CYCLE_1)
	s_and_not1_b32 vcc_lo, exec_lo, s2
	s_cbranch_vccnz .LBB121_721
; %bb.720:
	v_cvt_i32_f32_e32 v3, v2
	global_store_b16 v[0:1], v3, off
.LBB121_721:
	s_mov_b32 s2, 0
.LBB121_722:
	s_delay_alu instid0(SALU_CYCLE_1)
	s_and_not1_b32 vcc_lo, exec_lo, s2
	s_cbranch_vccnz .LBB121_727
; %bb.723:
	v_cmp_lt_i16_e32 vcc_lo, 0, v6
	s_mov_b32 s2, -1
	s_cbranch_vccz .LBB121_725
; %bb.724:
	v_cvt_i32_f32_e32 v3, v2
	s_mov_b32 s2, 0
	global_store_b8 v[0:1], v3, off
.LBB121_725:
	s_and_not1_b32 vcc_lo, exec_lo, s2
	s_cbranch_vccnz .LBB121_727
; %bb.726:
	v_trunc_f32_e32 v2, v2
	s_delay_alu instid0(VALU_DEP_1) | instskip(NEXT) | instid1(VALU_DEP_1)
	v_mul_f32_e64 v3, 0x2f800000, |v2|
	v_floor_f32_e32 v3, v3
	s_delay_alu instid0(VALU_DEP_1) | instskip(SKIP_1) | instid1(VALU_DEP_2)
	v_fma_f32 v3, 0xcf800000, v3, |v2|
	v_ashrrev_i32_e32 v2, 31, v2
	v_cvt_u32_f32_e32 v3, v3
	s_delay_alu instid0(VALU_DEP_1) | instskip(NEXT) | instid1(VALU_DEP_1)
	v_xor_b32_e32 v3, v3, v2
	v_sub_nc_u32_e32 v2, v3, v2
	global_store_b8 v[0:1], v2, off
.LBB121_727:
	s_branch .LBB121_804
.LBB121_728:
	s_mov_b32 s2, 0
.LBB121_729:
                                        ; implicit-def: $vgpr8
	s_branch .LBB121_805
.LBB121_730:
	s_mov_b32 s4, s38
	s_branch .LBB121_761
.LBB121_731:
	s_mov_b32 s4, s38
	s_branch .LBB121_744
.LBB121_732:
	s_mov_b32 s4, s38
	s_branch .LBB121_740
.LBB121_733:
	s_mov_b32 s4, s38
.LBB121_734:
	s_and_b32 vcc_lo, exec_lo, s42
	s_cbranch_vccz .LBB121_739
; %bb.735:
	v_cmp_eq_u16_e32 vcc_lo, 44, v6
	s_mov_b32 s4, -1
	s_cbranch_vccz .LBB121_739
; %bb.736:
	v_bfe_u32 v9, v2, 23, 8
	v_mov_b32_e32 v3, 0xff
	s_mov_b32 s41, exec_lo
	s_delay_alu instid0(VALU_DEP_2)
	v_cmpx_ne_u32_e32 0xff, v9
; %bb.737:
	v_and_b32_e32 v3, 0x400000, v2
	v_and_or_b32 v9, 0x3fffff, v2, v9
	s_delay_alu instid0(VALU_DEP_2) | instskip(NEXT) | instid1(VALU_DEP_2)
	v_cmp_ne_u32_e32 vcc_lo, 0, v3
	v_cmp_ne_u32_e64 s4, 0, v9
	v_lshrrev_b32_e32 v3, 23, v2
	s_delay_alu instid0(VALU_DEP_2) | instskip(NEXT) | instid1(SALU_CYCLE_1)
	s_and_b32 s4, vcc_lo, s4
	v_cndmask_b32_e64 v9, 0, 1, s4
	s_delay_alu instid0(VALU_DEP_1)
	v_add_nc_u32_e32 v3, v3, v9
; %bb.738:
	s_or_b32 exec_lo, exec_lo, s41
	s_mov_b32 s41, -1
	s_mov_b32 s4, 0
	global_store_b8 v[0:1], v3, off
.LBB121_739:
	s_mov_b32 s42, 0
.LBB121_740:
	s_delay_alu instid0(SALU_CYCLE_1)
	s_and_b32 vcc_lo, exec_lo, s42
	s_cbranch_vccz .LBB121_743
; %bb.741:
	v_cmp_eq_u16_e32 vcc_lo, 29, v6
	s_mov_b32 s4, -1
	s_cbranch_vccz .LBB121_743
; %bb.742:
	v_trunc_f32_e32 v3, v2
	s_mov_b32 s41, -1
	s_mov_b32 s4, 0
	s_mov_b32 s42, 0
	s_delay_alu instid0(VALU_DEP_1) | instskip(NEXT) | instid1(VALU_DEP_1)
	v_mul_f32_e32 v9, 0x2f800000, v3
	v_floor_f32_e32 v9, v9
	s_delay_alu instid0(VALU_DEP_1) | instskip(SKIP_1) | instid1(VALU_DEP_2)
	v_fmamk_f32 v3, v9, 0xcf800000, v3
	v_cvt_u32_f32_e32 v10, v9
	v_cvt_u32_f32_e32 v9, v3
	global_store_b64 v[0:1], v[9:10], off
	s_branch .LBB121_744
.LBB121_743:
	s_mov_b32 s42, 0
.LBB121_744:
	s_delay_alu instid0(SALU_CYCLE_1)
	s_and_b32 vcc_lo, exec_lo, s42
	s_cbranch_vccz .LBB121_760
; %bb.745:
	v_cmp_gt_i16_e32 vcc_lo, 27, v6
	s_mov_b32 s41, -1
	s_cbranch_vccnz .LBB121_751
; %bb.746:
	v_cmp_lt_i16_e32 vcc_lo, 27, v6
	s_cbranch_vccz .LBB121_748
; %bb.747:
	v_cvt_u32_f32_e32 v3, v2
	s_mov_b32 s41, 0
	global_store_b32 v[0:1], v3, off
.LBB121_748:
	s_and_not1_b32 vcc_lo, exec_lo, s41
	s_cbranch_vccnz .LBB121_750
; %bb.749:
	v_cvt_u32_f32_e32 v3, v2
	global_store_b16 v[0:1], v3, off
.LBB121_750:
	s_mov_b32 s41, 0
.LBB121_751:
	s_delay_alu instid0(SALU_CYCLE_1)
	s_and_not1_b32 vcc_lo, exec_lo, s41
	s_cbranch_vccnz .LBB121_759
; %bb.752:
	v_cndmask_b32_e64 v3, |v7|, 0x7f800000, s2
	v_mov_b32_e32 v10, 0x80
	s_mov_b32 s41, exec_lo
	s_delay_alu instid0(VALU_DEP_2) | instskip(NEXT) | instid1(VALU_DEP_1)
	v_cndmask_b32_e64 v9, v3, 1.0, s3
	v_cmpx_gt_u32_e32 0x43800000, v9
	s_cbranch_execz .LBB121_758
; %bb.753:
	s_mov_b32 s42, 0
	s_mov_b32 s43, exec_lo
                                        ; implicit-def: $vgpr3
	v_cmpx_lt_u32_e32 0x3bffffff, v9
	s_xor_b32 s43, exec_lo, s43
	s_cbranch_execz .LBB121_832
; %bb.754:
	v_bfe_u32 v3, v2, 20, 1
	s_mov_b32 s42, exec_lo
                                        ; implicit-def: $vgpr9
	s_delay_alu instid0(VALU_DEP_1) | instskip(NEXT) | instid1(VALU_DEP_1)
	v_add3_u32 v3, v2, v3, 0x487ffff
	v_lshrrev_b32_e32 v3, 20, v3
	s_or_saveexec_b32 s43, s43
                                        ; implicit-def: $sgpr44
	s_delay_alu instid0(SALU_CYCLE_1)
	s_xor_b32 exec_lo, exec_lo, s43
	s_cbranch_execnz .LBB121_833
.LBB121_755:
	s_or_b32 exec_lo, exec_lo, s43
	v_mov_b32_e32 v10, s44
	s_and_saveexec_b32 s43, s42
.LBB121_756:
	v_lshrrev_b32_e32 v9, 24, v2
	s_delay_alu instid0(VALU_DEP_1)
	v_and_or_b32 v10, 0x80, v9, v3
.LBB121_757:
	s_or_b32 exec_lo, exec_lo, s43
.LBB121_758:
	s_delay_alu instid0(SALU_CYCLE_1)
	s_or_b32 exec_lo, exec_lo, s41
	global_store_b8 v[0:1], v10, off
.LBB121_759:
	s_mov_b32 s41, -1
.LBB121_760:
	s_mov_b32 s42, 0
.LBB121_761:
	s_delay_alu instid0(SALU_CYCLE_1)
	s_and_b32 vcc_lo, exec_lo, s42
	s_cbranch_vccz .LBB121_802
; %bb.762:
	v_cmp_lt_i16_e32 vcc_lo, 22, v6
	s_mov_b32 s42, -1
	s_cbranch_vccz .LBB121_794
; %bb.763:
	v_cmp_gt_i16_e32 vcc_lo, 24, v6
	s_mov_b32 s41, -1
	s_cbranch_vccnz .LBB121_783
; %bb.764:
	v_cmp_lt_i16_e32 vcc_lo, 24, v6
	s_cbranch_vccz .LBB121_772
; %bb.765:
	v_cndmask_b32_e64 v3, |v7|, 0x7f800000, s2
	v_mov_b32_e32 v10, 0x80
	s_mov_b32 s41, exec_lo
	s_delay_alu instid0(VALU_DEP_2) | instskip(NEXT) | instid1(VALU_DEP_1)
	v_cndmask_b32_e64 v9, v3, 1.0, s3
	v_cmpx_gt_u32_e32 0x47800000, v9
	s_cbranch_execz .LBB121_771
; %bb.766:
	s_mov_b32 s42, 0
	s_mov_b32 s43, exec_lo
                                        ; implicit-def: $vgpr3
	v_cmpx_lt_u32_e32 0x37ffffff, v9
	s_xor_b32 s43, exec_lo, s43
	s_cbranch_execz .LBB121_835
; %bb.767:
	v_bfe_u32 v3, v2, 21, 1
	s_mov_b32 s42, exec_lo
                                        ; implicit-def: $vgpr9
	s_delay_alu instid0(VALU_DEP_1) | instskip(NEXT) | instid1(VALU_DEP_1)
	v_add3_u32 v3, v2, v3, 0x88fffff
	v_lshrrev_b32_e32 v3, 21, v3
	s_or_saveexec_b32 s43, s43
                                        ; implicit-def: $sgpr44
	s_delay_alu instid0(SALU_CYCLE_1)
	s_xor_b32 exec_lo, exec_lo, s43
	s_cbranch_execnz .LBB121_836
.LBB121_768:
	s_or_b32 exec_lo, exec_lo, s43
	v_mov_b32_e32 v10, s44
	s_and_saveexec_b32 s43, s42
.LBB121_769:
	v_lshrrev_b32_e32 v9, 24, v2
	s_delay_alu instid0(VALU_DEP_1)
	v_and_or_b32 v10, 0x80, v9, v3
.LBB121_770:
	s_or_b32 exec_lo, exec_lo, s43
.LBB121_771:
	s_delay_alu instid0(SALU_CYCLE_1)
	s_or_b32 exec_lo, exec_lo, s41
	s_mov_b32 s41, 0
	global_store_b8 v[0:1], v10, off
.LBB121_772:
	s_and_b32 vcc_lo, exec_lo, s41
	s_cbranch_vccz .LBB121_782
; %bb.773:
	v_cndmask_b32_e64 v3, |v7|, 0x7f800000, s2
	s_mov_b32 s41, exec_lo
	s_delay_alu instid0(VALU_DEP_1) | instskip(NEXT) | instid1(VALU_DEP_1)
	v_cndmask_b32_e64 v9, v3, 1.0, s3
                                        ; implicit-def: $vgpr3
	v_cmpx_gt_u32_e32 0x43f00000, v9
	s_xor_b32 s41, exec_lo, s41
	s_cbranch_execz .LBB121_779
; %bb.774:
	s_mov_b32 s42, exec_lo
                                        ; implicit-def: $vgpr3
	v_cmpx_lt_u32_e32 0x3c7fffff, v9
	s_xor_b32 s42, exec_lo, s42
; %bb.775:
	v_bfe_u32 v3, v2, 20, 1
	s_delay_alu instid0(VALU_DEP_1) | instskip(NEXT) | instid1(VALU_DEP_1)
	v_add3_u32 v3, v2, v3, 0x407ffff
	v_and_b32_e32 v9, 0xff00000, v3
	v_lshrrev_b32_e32 v3, 20, v3
	s_delay_alu instid0(VALU_DEP_2) | instskip(NEXT) | instid1(VALU_DEP_2)
	v_cmp_ne_u32_e32 vcc_lo, 0x7f00000, v9
                                        ; implicit-def: $vgpr9
	v_cndmask_b32_e32 v3, 0x7e, v3, vcc_lo
; %bb.776:
	s_and_not1_saveexec_b32 s42, s42
; %bb.777:
	v_add_f32_e32 v3, 0x46800000, v9
; %bb.778:
	s_or_b32 exec_lo, exec_lo, s42
                                        ; implicit-def: $vgpr9
.LBB121_779:
	s_and_not1_saveexec_b32 s41, s41
; %bb.780:
	v_mov_b32_e32 v3, 0x7f
	v_cmp_lt_u32_e32 vcc_lo, 0x7f800000, v9
	s_delay_alu instid0(VALU_DEP_2)
	v_cndmask_b32_e32 v3, 0x7e, v3, vcc_lo
; %bb.781:
	s_or_b32 exec_lo, exec_lo, s41
	v_lshrrev_b32_e32 v9, 24, v2
	s_delay_alu instid0(VALU_DEP_1)
	v_and_or_b32 v3, 0x80, v9, v3
	global_store_b8 v[0:1], v3, off
.LBB121_782:
	s_mov_b32 s41, 0
.LBB121_783:
	s_delay_alu instid0(SALU_CYCLE_1)
	s_and_not1_b32 vcc_lo, exec_lo, s41
	s_cbranch_vccnz .LBB121_793
; %bb.784:
	v_cndmask_b32_e64 v3, |v7|, 0x7f800000, s2
	s_mov_b32 s2, exec_lo
	s_delay_alu instid0(VALU_DEP_1) | instskip(NEXT) | instid1(VALU_DEP_1)
	v_cndmask_b32_e64 v7, v3, 1.0, s3
                                        ; implicit-def: $vgpr3
	v_cmpx_gt_u32_e32 0x47800000, v7
	s_xor_b32 s2, exec_lo, s2
	s_cbranch_execz .LBB121_790
; %bb.785:
	s_mov_b32 s3, exec_lo
                                        ; implicit-def: $vgpr3
	v_cmpx_lt_u32_e32 0x387fffff, v7
	s_xor_b32 s3, exec_lo, s3
; %bb.786:
	v_bfe_u32 v3, v2, 21, 1
                                        ; implicit-def: $vgpr7
	s_delay_alu instid0(VALU_DEP_1) | instskip(NEXT) | instid1(VALU_DEP_1)
	v_add3_u32 v3, v2, v3, 0x80fffff
	v_lshrrev_b32_e32 v3, 21, v3
; %bb.787:
	s_and_not1_saveexec_b32 s3, s3
; %bb.788:
	v_add_f32_e32 v3, 0x43000000, v7
; %bb.789:
	s_or_b32 exec_lo, exec_lo, s3
                                        ; implicit-def: $vgpr7
.LBB121_790:
	s_and_not1_saveexec_b32 s2, s2
; %bb.791:
	v_mov_b32_e32 v3, 0x7f
	v_cmp_lt_u32_e32 vcc_lo, 0x7f800000, v7
	s_delay_alu instid0(VALU_DEP_2)
	v_cndmask_b32_e32 v3, 0x7c, v3, vcc_lo
; %bb.792:
	s_or_b32 exec_lo, exec_lo, s2
	v_lshrrev_b32_e32 v7, 24, v2
	s_delay_alu instid0(VALU_DEP_1)
	v_and_or_b32 v3, 0x80, v7, v3
	global_store_b8 v[0:1], v3, off
.LBB121_793:
	s_mov_b32 s42, 0
	s_mov_b32 s41, -1
.LBB121_794:
	s_and_not1_b32 vcc_lo, exec_lo, s42
	s_cbranch_vccnz .LBB121_802
; %bb.795:
	v_cmp_lt_i16_e32 vcc_lo, 14, v6
	s_mov_b32 s2, -1
	s_cbranch_vccz .LBB121_799
; %bb.796:
	v_cmp_eq_u16_e32 vcc_lo, 15, v6
	s_mov_b32 s4, -1
	s_cbranch_vccz .LBB121_798
; %bb.797:
	v_bfe_u32 v3, v2, 16, 1
	v_cmp_o_f32_e32 vcc_lo, v2, v2
	s_mov_b32 s41, -1
	s_mov_b32 s4, 0
	s_delay_alu instid0(VALU_DEP_2) | instskip(NEXT) | instid1(VALU_DEP_1)
	v_add3_u32 v3, v2, v3, 0x7fff
	v_lshrrev_b32_e32 v3, 16, v3
	s_delay_alu instid0(VALU_DEP_1)
	v_cndmask_b32_e32 v3, 0x7fc0, v3, vcc_lo
	global_store_b16 v[0:1], v3, off
.LBB121_798:
	s_mov_b32 s2, 0
.LBB121_799:
	s_delay_alu instid0(SALU_CYCLE_1)
	s_and_b32 vcc_lo, exec_lo, s2
	s_cbranch_vccz .LBB121_802
; %bb.800:
	v_cmp_eq_u16_e32 vcc_lo, 11, v6
	s_mov_b32 s4, -1
	s_cbranch_vccz .LBB121_802
; %bb.801:
	v_cmp_neq_f32_e32 vcc_lo, 0, v2
	s_mov_b32 s4, 0
	s_mov_b32 s41, -1
	v_cndmask_b32_e64 v3, 0, 1, vcc_lo
	global_store_b8 v[0:1], v3, off
.LBB121_802:
.LBB121_803:
	s_and_not1_b32 vcc_lo, exec_lo, s41
	s_cbranch_vccnz .LBB121_728
.LBB121_804:
	v_add_nc_u32_e32 v8, 0x80, v8
	s_mov_b32 s2, -1
.LBB121_805:
	s_and_not1_b32 s3, s38, exec_lo
	s_and_b32 s4, s4, exec_lo
	s_and_not1_b32 s41, s37, exec_lo
	s_and_b32 s5, s5, exec_lo
	s_or_b32 s42, s3, s4
	s_or_b32 s41, s41, s5
	s_or_not1_b32 s5, s2, exec_lo
.LBB121_806:
	s_or_b32 exec_lo, exec_lo, s40
	s_mov_b32 s2, 0
	s_mov_b32 s3, 0
	;; [unrolled: 1-line block ×3, first 2 shown]
                                        ; implicit-def: $vgpr1_vgpr2
                                        ; implicit-def: $vgpr0
                                        ; implicit-def: $vgpr6
	s_and_saveexec_b32 s40, s5
	s_cbranch_execz .LBB121_904
; %bb.807:
	v_cmp_gt_i32_e32 vcc_lo, s30, v8
	s_mov_b32 s43, s41
	s_mov_b32 s5, 0
                                        ; implicit-def: $vgpr1_vgpr2
                                        ; implicit-def: $vgpr0
                                        ; implicit-def: $vgpr6
	s_and_saveexec_b32 s30, vcc_lo
	s_cbranch_execz .LBB121_903
; %bb.808:
	s_and_not1_b32 vcc_lo, exec_lo, s27
	s_cbranch_vccnz .LBB121_813
; %bb.809:
	v_dual_mov_b32 v0, 0 :: v_dual_mov_b32 v1, 0
	s_and_not1_b32 vcc_lo, exec_lo, s33
	s_mov_b32 s33, 0
	s_cbranch_vccnz .LBB121_818
; %bb.810:
	v_mov_b32_e32 v0, 0
	s_add_i32 s31, s31, 1
	s_cmp_eq_u32 s25, 2
	s_cbranch_scc1 .LBB121_814
; %bb.811:
	v_dual_mov_b32 v1, 0 :: v_dual_mov_b32 v0, 0
	v_mov_b32_e32 v2, v8
	s_and_b32 s4, s31, 28
	s_mov_b64 s[2:3], s[6:7]
.LBB121_812:                            ; =>This Inner Loop Header: Depth=1
	s_clause 0x1
	s_load_b256 s[44:51], s[2:3], 0x4
	s_load_b128 s[60:63], s[2:3], 0x24
	s_load_b256 s[52:59], s[22:23], 0x0
	s_add_u32 s2, s2, 48
	s_addc_u32 s3, s3, 0
	s_add_i32 s5, s5, 4
	s_add_u32 s22, s22, 32
	s_addc_u32 s23, s23, 0
	s_cmp_eq_u32 s4, s5
	s_waitcnt vmcnt(0) lgkmcnt(0)
	v_mul_hi_u32 v3, s45, v2
	s_delay_alu instid0(VALU_DEP_1) | instskip(NEXT) | instid1(VALU_DEP_1)
	v_add_nc_u32_e32 v3, v2, v3
	v_lshrrev_b32_e32 v3, s46, v3
	s_delay_alu instid0(VALU_DEP_1) | instskip(SKIP_1) | instid1(VALU_DEP_2)
	v_mul_hi_u32 v6, s48, v3
	v_mul_lo_u32 v9, v3, s44
	v_add_nc_u32_e32 v6, v3, v6
	s_delay_alu instid0(VALU_DEP_2) | instskip(NEXT) | instid1(VALU_DEP_2)
	v_sub_nc_u32_e32 v2, v2, v9
	v_lshrrev_b32_e32 v6, s49, v6
	s_delay_alu instid0(VALU_DEP_2) | instskip(SKIP_1) | instid1(VALU_DEP_3)
	v_mul_lo_u32 v9, v2, s52
	v_mul_lo_u32 v11, v2, s53
	v_mul_hi_u32 v7, s51, v6
	s_delay_alu instid0(VALU_DEP_1) | instskip(NEXT) | instid1(VALU_DEP_1)
	v_add_nc_u32_e32 v7, v6, v7
	v_lshrrev_b32_e32 v7, s60, v7
	s_delay_alu instid0(VALU_DEP_1) | instskip(SKIP_1) | instid1(VALU_DEP_2)
	v_mul_hi_u32 v10, s62, v7
	v_mul_lo_u32 v12, v7, s50
	v_add_nc_u32_e32 v2, v7, v10
	v_mul_lo_u32 v10, v6, s47
	s_delay_alu instid0(VALU_DEP_3) | instskip(NEXT) | instid1(VALU_DEP_3)
	v_sub_nc_u32_e32 v6, v6, v12
	v_lshrrev_b32_e32 v2, s63, v2
	s_delay_alu instid0(VALU_DEP_2) | instskip(SKIP_2) | instid1(VALU_DEP_4)
	v_mul_lo_u32 v12, v6, s56
	v_mul_lo_u32 v6, v6, s57
	v_sub_nc_u32_e32 v3, v3, v10
	v_mul_lo_u32 v13, v2, s61
	s_delay_alu instid0(VALU_DEP_2) | instskip(SKIP_1) | instid1(VALU_DEP_3)
	v_mul_lo_u32 v10, v3, s54
	v_mul_lo_u32 v3, v3, s55
	v_sub_nc_u32_e32 v7, v7, v13
	s_delay_alu instid0(VALU_DEP_3) | instskip(NEXT) | instid1(VALU_DEP_2)
	v_add3_u32 v0, v9, v0, v10
	v_mul_lo_u32 v13, v7, s58
	v_mul_lo_u32 v7, v7, s59
	v_add3_u32 v1, v11, v1, v3
	s_delay_alu instid0(VALU_DEP_3) | instskip(NEXT) | instid1(VALU_DEP_2)
	v_add3_u32 v0, v12, v0, v13
	v_add3_u32 v1, v6, v1, v7
	s_cbranch_scc0 .LBB121_812
	s_branch .LBB121_815
.LBB121_813:
	s_mov_b32 s33, -1
                                        ; implicit-def: $vgpr0
                                        ; implicit-def: $vgpr1
	s_branch .LBB121_818
.LBB121_814:
	v_dual_mov_b32 v2, v8 :: v_dual_mov_b32 v1, 0
.LBB121_815:
	s_and_b32 s22, s31, 3
	s_delay_alu instid0(SALU_CYCLE_1)
	s_cmp_eq_u32 s22, 0
	s_cbranch_scc1 .LBB121_818
; %bb.816:
	s_lshl_b32 s2, s4, 3
	s_mul_i32 s4, s4, 12
	s_add_u32 s2, s2, s6
	s_addc_u32 s3, s7, 0
	s_add_u32 s2, s2, 0xc4
	s_addc_u32 s3, s3, 0
	;; [unrolled: 2-line block ×3, first 2 shown]
.LBB121_817:                            ; =>This Inner Loop Header: Depth=1
	s_clause 0x1
	s_load_b64 s[44:45], s[4:5], 0x4
	s_load_b32 s23, s[4:5], 0xc
	s_load_b64 s[46:47], s[2:3], 0x0
	s_add_u32 s4, s4, 12
	s_addc_u32 s5, s5, 0
	s_add_u32 s2, s2, 8
	s_addc_u32 s3, s3, 0
	s_add_i32 s22, s22, -1
	s_delay_alu instid0(SALU_CYCLE_1) | instskip(SKIP_2) | instid1(VALU_DEP_1)
	s_cmp_lg_u32 s22, 0
	s_waitcnt vmcnt(0) lgkmcnt(0)
	v_mul_hi_u32 v3, s45, v2
	v_add_nc_u32_e32 v3, v2, v3
	s_delay_alu instid0(VALU_DEP_1) | instskip(NEXT) | instid1(VALU_DEP_1)
	v_lshrrev_b32_e32 v3, s23, v3
	v_mul_lo_u32 v6, v3, s44
	s_delay_alu instid0(VALU_DEP_1) | instskip(NEXT) | instid1(VALU_DEP_1)
	v_sub_nc_u32_e32 v2, v2, v6
	v_mad_u64_u32 v[6:7], null, v2, s46, v[0:1]
	v_mad_u64_u32 v[9:10], null, v2, s47, v[1:2]
	v_mov_b32_e32 v2, v3
	s_delay_alu instid0(VALU_DEP_2)
	v_dual_mov_b32 v0, v6 :: v_dual_mov_b32 v1, v9
	s_cbranch_scc1 .LBB121_817
.LBB121_818:
	s_and_not1_b32 vcc_lo, exec_lo, s33
	s_cbranch_vccnz .LBB121_821
; %bb.819:
	s_waitcnt lgkmcnt(0)
	v_mul_hi_u32 v0, s17, v8
	s_and_not1_b32 vcc_lo, exec_lo, s29
	s_delay_alu instid0(VALU_DEP_1) | instskip(NEXT) | instid1(VALU_DEP_1)
	v_add_nc_u32_e32 v0, v8, v0
	v_lshrrev_b32_e32 v2, s18, v0
	s_delay_alu instid0(VALU_DEP_1) | instskip(NEXT) | instid1(VALU_DEP_1)
	v_mul_lo_u32 v0, v2, s16
	v_sub_nc_u32_e32 v1, v8, v0
	s_delay_alu instid0(VALU_DEP_1)
	v_mul_lo_u32 v0, v1, s12
	v_mul_lo_u32 v1, v1, s13
	s_cbranch_vccnz .LBB121_821
; %bb.820:
	s_waitcnt vmcnt(0)
	v_mul_hi_u32 v3, s20, v2
	s_delay_alu instid0(VALU_DEP_1) | instskip(NEXT) | instid1(VALU_DEP_1)
	v_add_nc_u32_e32 v3, v2, v3
	v_lshrrev_b32_e32 v3, s21, v3
	s_delay_alu instid0(VALU_DEP_1) | instskip(NEXT) | instid1(VALU_DEP_1)
	v_mul_lo_u32 v3, v3, s19
	v_sub_nc_u32_e32 v8, v2, v3
	s_delay_alu instid0(VALU_DEP_1) | instskip(NEXT) | instid1(VALU_DEP_1)
	v_mad_u64_u32 v[2:3], null, v8, s14, v[0:1]
	v_mad_u64_u32 v[6:7], null, v8, s15, v[1:2]
	v_mov_b32_e32 v0, v2
	s_delay_alu instid0(VALU_DEP_2)
	v_mov_b32_e32 v1, v6
.LBB121_821:
	v_cmp_gt_i16_e32 vcc_lo, 11, v5
	s_waitcnt lgkmcnt(0)
	s_delay_alu instid0(VALU_DEP_2) | instskip(NEXT) | instid1(VALU_DEP_1)
	v_add_co_u32 v1, s2, s10, v1
	v_add_co_ci_u32_e64 v2, null, s11, 0, s2
	s_mov_b32 s4, 0
	s_cbranch_vccnz .LBB121_828
; %bb.822:
	v_cmp_lt_i16_e32 vcc_lo, 25, v5
	s_mov_b32 s3, 0
	s_cbranch_vccz .LBB121_829
; %bb.823:
	v_cmp_lt_i16_e32 vcc_lo, 28, v5
	s_cbranch_vccz .LBB121_830
; %bb.824:
	v_cmp_lt_i16_e32 vcc_lo, 43, v5
	;; [unrolled: 3-line block ×3, first 2 shown]
	s_cbranch_vccz .LBB121_834
; %bb.826:
	v_cmp_eq_u16_e32 vcc_lo, 46, v5
	s_mov_b32 s5, 0
	s_cbranch_vccz .LBB121_837
; %bb.827:
	global_load_b32 v3, v[1:2], off
	s_mov_b32 s2, 0
	s_mov_b32 s4, -1
	s_waitcnt vmcnt(0)
	v_lshlrev_b32_e32 v6, 16, v3
	s_branch .LBB121_839
.LBB121_828:
	s_mov_b32 s5, -1
	s_mov_b32 s3, 0
	s_mov_b32 s2, s41
                                        ; implicit-def: $vgpr6
	s_branch .LBB121_902
.LBB121_829:
	s_mov_b32 s5, -1
	s_mov_b32 s2, s41
                                        ; implicit-def: $vgpr6
	s_branch .LBB121_868
.LBB121_830:
	s_mov_b32 s5, -1
	s_mov_b32 s2, s41
                                        ; implicit-def: $vgpr6
	s_branch .LBB121_849
.LBB121_831:
	s_mov_b32 s5, -1
	s_mov_b32 s2, s41
                                        ; implicit-def: $vgpr6
	s_branch .LBB121_844
.LBB121_832:
	s_or_saveexec_b32 s43, s43
                                        ; implicit-def: $sgpr44
	s_delay_alu instid0(SALU_CYCLE_1)
	s_xor_b32 exec_lo, exec_lo, s43
	s_cbranch_execz .LBB121_755
.LBB121_833:
	v_add_f32_e32 v3, 0x46000000, v9
	s_and_not1_b32 s42, s42, exec_lo
	s_mov_b32 s44, 0
	s_delay_alu instid0(VALU_DEP_1) | instskip(NEXT) | instid1(VALU_DEP_1)
	v_and_b32_e32 v3, 0xff, v3
	v_cmp_ne_u32_e32 vcc_lo, 0, v3
	s_and_b32 s45, vcc_lo, exec_lo
	s_delay_alu instid0(SALU_CYCLE_1)
	s_or_b32 s42, s42, s45
	s_or_b32 exec_lo, exec_lo, s43
	v_mov_b32_e32 v10, s44
	s_and_saveexec_b32 s43, s42
	s_cbranch_execnz .LBB121_756
	s_branch .LBB121_757
.LBB121_834:
	s_mov_b32 s5, -1
	s_mov_b32 s2, s41
	s_branch .LBB121_838
.LBB121_835:
	s_or_saveexec_b32 s43, s43
                                        ; implicit-def: $sgpr44
	s_delay_alu instid0(SALU_CYCLE_1)
	s_xor_b32 exec_lo, exec_lo, s43
	s_cbranch_execz .LBB121_768
.LBB121_836:
	v_add_f32_e32 v3, 0x42800000, v9
	s_and_not1_b32 s42, s42, exec_lo
	s_mov_b32 s44, 0
	s_delay_alu instid0(VALU_DEP_1) | instskip(NEXT) | instid1(VALU_DEP_1)
	v_and_b32_e32 v3, 0xff, v3
	v_cmp_ne_u32_e32 vcc_lo, 0, v3
	s_and_b32 s45, vcc_lo, exec_lo
	s_delay_alu instid0(SALU_CYCLE_1)
	s_or_b32 s42, s42, s45
	s_or_b32 exec_lo, exec_lo, s43
	v_mov_b32_e32 v10, s44
	s_and_saveexec_b32 s43, s42
	s_cbranch_execnz .LBB121_769
	s_branch .LBB121_770
.LBB121_837:
	s_mov_b32 s2, -1
.LBB121_838:
                                        ; implicit-def: $vgpr6
.LBB121_839:
	s_and_b32 vcc_lo, exec_lo, s5
	s_cbranch_vccz .LBB121_843
; %bb.840:
	v_cmp_eq_u16_e32 vcc_lo, 44, v5
	s_cbranch_vccz .LBB121_842
; %bb.841:
	global_load_u8 v3, v[1:2], off
	s_mov_b32 s2, 0
	s_mov_b32 s4, -1
	s_waitcnt vmcnt(0)
	v_lshlrev_b32_e32 v6, 23, v3
	v_cmp_ne_u32_e32 vcc_lo, 0xff, v3
	s_delay_alu instid0(VALU_DEP_2) | instskip(SKIP_1) | instid1(VALU_DEP_2)
	v_cndmask_b32_e32 v6, 0x7f800001, v6, vcc_lo
	v_cmp_ne_u32_e32 vcc_lo, 0, v3
	v_cndmask_b32_e32 v6, 0x400000, v6, vcc_lo
	s_branch .LBB121_843
.LBB121_842:
	s_mov_b32 s2, -1
                                        ; implicit-def: $vgpr6
.LBB121_843:
	s_mov_b32 s5, 0
.LBB121_844:
	s_delay_alu instid0(SALU_CYCLE_1)
	s_and_b32 vcc_lo, exec_lo, s5
	s_cbranch_vccz .LBB121_848
; %bb.845:
	v_cmp_eq_u16_e32 vcc_lo, 29, v5
	s_cbranch_vccz .LBB121_847
; %bb.846:
	global_load_b64 v[6:7], v[1:2], off
	s_mov_b32 s2, 0
	s_mov_b32 s4, -1
	s_mov_b32 s5, 0
	s_waitcnt vmcnt(0)
	v_clz_i32_u32_e32 v3, v7
	s_delay_alu instid0(VALU_DEP_1) | instskip(NEXT) | instid1(VALU_DEP_1)
	v_min_u32_e32 v3, 32, v3
	v_lshlrev_b64 v[6:7], v3, v[6:7]
	v_sub_nc_u32_e32 v3, 32, v3
	s_delay_alu instid0(VALU_DEP_2) | instskip(NEXT) | instid1(VALU_DEP_1)
	v_min_u32_e32 v6, 1, v6
	v_or_b32_e32 v6, v7, v6
	s_delay_alu instid0(VALU_DEP_1) | instskip(NEXT) | instid1(VALU_DEP_1)
	v_cvt_f32_u32_e32 v6, v6
	v_ldexp_f32 v6, v6, v3
	s_branch .LBB121_849
.LBB121_847:
	s_mov_b32 s2, -1
                                        ; implicit-def: $vgpr6
.LBB121_848:
	s_mov_b32 s5, 0
.LBB121_849:
	s_delay_alu instid0(SALU_CYCLE_1)
	s_and_b32 vcc_lo, exec_lo, s5
	s_cbranch_vccz .LBB121_867
; %bb.850:
	v_cmp_gt_i16_e32 vcc_lo, 27, v5
	s_cbranch_vccnz .LBB121_853
; %bb.851:
	v_cmp_lt_i16_e32 vcc_lo, 27, v5
	s_cbranch_vccz .LBB121_854
; %bb.852:
	global_load_b32 v3, v[1:2], off
	s_mov_b32 s4, 0
	s_waitcnt vmcnt(0)
	v_cvt_f32_u32_e32 v6, v3
	s_branch .LBB121_855
.LBB121_853:
	s_mov_b32 s4, -1
                                        ; implicit-def: $vgpr6
	s_branch .LBB121_858
.LBB121_854:
	s_mov_b32 s4, -1
                                        ; implicit-def: $vgpr6
.LBB121_855:
	s_delay_alu instid0(SALU_CYCLE_1)
	s_and_not1_b32 vcc_lo, exec_lo, s4
	s_cbranch_vccnz .LBB121_857
; %bb.856:
	global_load_u16 v3, v[1:2], off
	s_waitcnt vmcnt(0)
	v_cvt_f32_u32_e32 v6, v3
.LBB121_857:
	s_mov_b32 s4, 0
.LBB121_858:
	s_delay_alu instid0(SALU_CYCLE_1)
	s_and_not1_b32 vcc_lo, exec_lo, s4
	s_cbranch_vccnz .LBB121_866
; %bb.859:
	global_load_u8 v3, v[1:2], off
	s_mov_b32 s4, 0
	s_mov_b32 s10, exec_lo
                                        ; implicit-def: $sgpr5
	s_waitcnt vmcnt(0)
	v_cmpx_lt_i16_e32 0x7f, v3
	s_xor_b32 s10, exec_lo, s10
	s_cbranch_execz .LBB121_880
; %bb.860:
	s_mov_b32 s4, -1
	s_mov_b32 s11, exec_lo
                                        ; implicit-def: $sgpr5
	v_cmpx_eq_u16_e32 0x80, v3
; %bb.861:
	s_mov_b32 s5, 0x7f800001
	s_xor_b32 s4, exec_lo, -1
; %bb.862:
	s_or_b32 exec_lo, exec_lo, s11
	s_delay_alu instid0(SALU_CYCLE_1)
	s_and_b32 s4, s4, exec_lo
	s_or_saveexec_b32 s10, s10
	v_mov_b32_e32 v6, s5
	s_xor_b32 exec_lo, exec_lo, s10
	s_cbranch_execnz .LBB121_881
.LBB121_863:
	s_or_b32 exec_lo, exec_lo, s10
	s_and_saveexec_b32 s5, s4
	s_cbranch_execz .LBB121_865
.LBB121_864:
	v_and_b32_e32 v6, 0xffff, v3
	v_lshlrev_b32_e32 v3, 24, v3
	s_delay_alu instid0(VALU_DEP_2) | instskip(NEXT) | instid1(VALU_DEP_2)
	v_and_b32_e32 v7, 7, v6
	v_and_b32_e32 v3, 0x80000000, v3
	s_delay_alu instid0(VALU_DEP_2) | instskip(NEXT) | instid1(VALU_DEP_1)
	v_clz_i32_u32_e32 v8, v7
	v_min_u32_e32 v8, 32, v8
	s_delay_alu instid0(VALU_DEP_1) | instskip(SKIP_1) | instid1(VALU_DEP_2)
	v_subrev_nc_u32_e32 v9, 28, v8
	v_sub_nc_u32_e32 v8, 29, v8
	v_lshlrev_b32_e32 v9, v9, v6
	v_bfe_u32 v6, v6, 3, 4
	s_delay_alu instid0(VALU_DEP_2) | instskip(NEXT) | instid1(VALU_DEP_2)
	v_and_b32_e32 v9, 7, v9
	v_cmp_eq_u32_e32 vcc_lo, 0, v6
	s_delay_alu instid0(VALU_DEP_2) | instskip(NEXT) | instid1(VALU_DEP_1)
	v_dual_cndmask_b32 v6, v6, v8 :: v_dual_cndmask_b32 v7, v7, v9
	v_lshl_add_u32 v6, v6, 23, 0x3b800000
	s_delay_alu instid0(VALU_DEP_2) | instskip(NEXT) | instid1(VALU_DEP_1)
	v_lshlrev_b32_e32 v7, 20, v7
	v_or3_b32 v6, v3, v6, v7
.LBB121_865:
	s_or_b32 exec_lo, exec_lo, s5
.LBB121_866:
	s_mov_b32 s4, -1
.LBB121_867:
	s_mov_b32 s5, 0
.LBB121_868:
	s_delay_alu instid0(SALU_CYCLE_1)
	s_and_b32 vcc_lo, exec_lo, s5
	s_cbranch_vccz .LBB121_901
; %bb.869:
	v_cmp_lt_i16_e32 vcc_lo, 22, v5
	s_cbranch_vccz .LBB121_879
; %bb.870:
	v_cmp_gt_i16_e32 vcc_lo, 24, v5
	s_cbranch_vccnz .LBB121_882
; %bb.871:
	v_cmp_lt_i16_e32 vcc_lo, 24, v5
	s_cbranch_vccz .LBB121_883
; %bb.872:
	global_load_u8 v3, v[1:2], off
	s_mov_b32 s5, exec_lo
                                        ; implicit-def: $sgpr4
	s_waitcnt vmcnt(0)
	v_cmpx_lt_i16_e32 0x7f, v3
	s_xor_b32 s5, exec_lo, s5
	s_cbranch_execz .LBB121_895
; %bb.873:
	s_mov_b32 s3, -1
	s_mov_b32 s10, exec_lo
                                        ; implicit-def: $sgpr4
	v_cmpx_eq_u16_e32 0x80, v3
; %bb.874:
	s_mov_b32 s4, 0x7f800001
	s_xor_b32 s3, exec_lo, -1
; %bb.875:
	s_or_b32 exec_lo, exec_lo, s10
	s_delay_alu instid0(SALU_CYCLE_1)
	s_and_b32 s3, s3, exec_lo
	s_or_saveexec_b32 s5, s5
	v_mov_b32_e32 v6, s4
	s_xor_b32 exec_lo, exec_lo, s5
	s_cbranch_execnz .LBB121_896
.LBB121_876:
	s_or_b32 exec_lo, exec_lo, s5
	s_and_saveexec_b32 s4, s3
	s_cbranch_execz .LBB121_878
.LBB121_877:
	v_and_b32_e32 v6, 0xffff, v3
	v_lshlrev_b32_e32 v3, 24, v3
	s_delay_alu instid0(VALU_DEP_2) | instskip(NEXT) | instid1(VALU_DEP_2)
	v_and_b32_e32 v7, 3, v6
	v_and_b32_e32 v3, 0x80000000, v3
	s_delay_alu instid0(VALU_DEP_2) | instskip(NEXT) | instid1(VALU_DEP_1)
	v_clz_i32_u32_e32 v8, v7
	v_min_u32_e32 v8, 32, v8
	s_delay_alu instid0(VALU_DEP_1) | instskip(SKIP_1) | instid1(VALU_DEP_2)
	v_subrev_nc_u32_e32 v9, 29, v8
	v_sub_nc_u32_e32 v8, 30, v8
	v_lshlrev_b32_e32 v9, v9, v6
	v_bfe_u32 v6, v6, 2, 5
	s_delay_alu instid0(VALU_DEP_2) | instskip(NEXT) | instid1(VALU_DEP_2)
	v_and_b32_e32 v9, 3, v9
	v_cmp_eq_u32_e32 vcc_lo, 0, v6
	s_delay_alu instid0(VALU_DEP_2) | instskip(NEXT) | instid1(VALU_DEP_1)
	v_dual_cndmask_b32 v6, v6, v8 :: v_dual_cndmask_b32 v7, v7, v9
	v_lshl_add_u32 v6, v6, 23, 0x37800000
	s_delay_alu instid0(VALU_DEP_2) | instskip(NEXT) | instid1(VALU_DEP_1)
	v_lshlrev_b32_e32 v7, 21, v7
	v_or3_b32 v6, v3, v6, v7
.LBB121_878:
	s_or_b32 exec_lo, exec_lo, s4
	s_mov_b32 s3, 0
	s_branch .LBB121_884
.LBB121_879:
	s_mov_b32 s3, -1
                                        ; implicit-def: $vgpr6
	s_branch .LBB121_890
.LBB121_880:
	s_or_saveexec_b32 s10, s10
	v_mov_b32_e32 v6, s5
	s_xor_b32 exec_lo, exec_lo, s10
	s_cbranch_execz .LBB121_863
.LBB121_881:
	v_cmp_ne_u16_e32 vcc_lo, 0, v3
	v_mov_b32_e32 v6, 0
	s_and_not1_b32 s4, s4, exec_lo
	s_and_b32 s5, vcc_lo, exec_lo
	s_delay_alu instid0(SALU_CYCLE_1)
	s_or_b32 s4, s4, s5
	s_or_b32 exec_lo, exec_lo, s10
	s_and_saveexec_b32 s5, s4
	s_cbranch_execnz .LBB121_864
	s_branch .LBB121_865
.LBB121_882:
	s_mov_b32 s3, -1
                                        ; implicit-def: $vgpr6
	s_branch .LBB121_887
.LBB121_883:
	s_mov_b32 s3, -1
                                        ; implicit-def: $vgpr6
.LBB121_884:
	s_delay_alu instid0(SALU_CYCLE_1)
	s_and_b32 vcc_lo, exec_lo, s3
	s_cbranch_vccz .LBB121_886
; %bb.885:
	global_load_u8 v3, v[1:2], off
	s_waitcnt vmcnt(0)
	v_lshlrev_b32_e32 v3, 24, v3
	s_delay_alu instid0(VALU_DEP_1) | instskip(NEXT) | instid1(VALU_DEP_1)
	v_and_b32_e32 v6, 0x7f000000, v3
	v_clz_i32_u32_e32 v7, v6
	v_cmp_ne_u32_e32 vcc_lo, 0, v6
	v_add_nc_u32_e32 v9, 0x1000000, v6
	s_delay_alu instid0(VALU_DEP_3) | instskip(NEXT) | instid1(VALU_DEP_1)
	v_min_u32_e32 v7, 32, v7
	v_sub_nc_u32_e64 v7, v7, 4 clamp
	s_delay_alu instid0(VALU_DEP_1) | instskip(SKIP_1) | instid1(VALU_DEP_2)
	v_lshlrev_b32_e32 v8, v7, v6
	v_lshlrev_b32_e32 v7, 23, v7
	v_lshrrev_b32_e32 v8, 4, v8
	s_delay_alu instid0(VALU_DEP_1) | instskip(SKIP_1) | instid1(VALU_DEP_2)
	v_sub_nc_u32_e32 v7, v8, v7
	v_ashrrev_i32_e32 v8, 8, v9
	v_add_nc_u32_e32 v7, 0x3c000000, v7
	s_delay_alu instid0(VALU_DEP_1) | instskip(NEXT) | instid1(VALU_DEP_1)
	v_and_or_b32 v7, 0x7f800000, v8, v7
	v_cndmask_b32_e32 v6, 0, v7, vcc_lo
	s_delay_alu instid0(VALU_DEP_1)
	v_and_or_b32 v6, 0x80000000, v3, v6
.LBB121_886:
	s_mov_b32 s3, 0
.LBB121_887:
	s_delay_alu instid0(SALU_CYCLE_1)
	s_and_not1_b32 vcc_lo, exec_lo, s3
	s_cbranch_vccnz .LBB121_889
; %bb.888:
	global_load_u8 v3, v[1:2], off
	s_waitcnt vmcnt(0)
	v_lshlrev_b32_e32 v6, 25, v3
	v_lshlrev_b16 v3, 8, v3
	s_delay_alu instid0(VALU_DEP_2) | instskip(NEXT) | instid1(VALU_DEP_2)
	v_lshrrev_b32_e32 v7, 4, v6
	v_and_or_b32 v8, 0x7f00, v3, 0.5
	v_cmp_gt_u32_e32 vcc_lo, 0x8000000, v6
	v_bfe_i32 v3, v3, 0, 16
	s_delay_alu instid0(VALU_DEP_4) | instskip(NEXT) | instid1(VALU_DEP_1)
	v_or_b32_e32 v7, 0x70000000, v7
	v_dual_add_f32 v8, -0.5, v8 :: v_dual_mul_f32 v7, 0x7800000, v7
	s_delay_alu instid0(VALU_DEP_1) | instskip(NEXT) | instid1(VALU_DEP_1)
	v_cndmask_b32_e32 v6, v7, v8, vcc_lo
	v_and_or_b32 v6, 0x80000000, v3, v6
.LBB121_889:
	s_mov_b32 s3, 0
	s_mov_b32 s4, -1
.LBB121_890:
	s_and_not1_b32 vcc_lo, exec_lo, s3
	s_mov_b32 s3, 0
	s_cbranch_vccnz .LBB121_901
; %bb.891:
	v_cmp_lt_i16_e32 vcc_lo, 14, v5
	s_cbranch_vccz .LBB121_894
; %bb.892:
	v_cmp_eq_u16_e32 vcc_lo, 15, v5
	s_cbranch_vccz .LBB121_897
; %bb.893:
	global_load_u16 v3, v[1:2], off
	s_mov_b32 s2, 0
	s_mov_b32 s4, -1
	s_waitcnt vmcnt(0)
	v_lshlrev_b32_e32 v6, 16, v3
	s_branch .LBB121_899
.LBB121_894:
	s_mov_b32 s3, -1
	s_branch .LBB121_898
.LBB121_895:
	s_or_saveexec_b32 s5, s5
	v_mov_b32_e32 v6, s4
	s_xor_b32 exec_lo, exec_lo, s5
	s_cbranch_execz .LBB121_876
.LBB121_896:
	v_cmp_ne_u16_e32 vcc_lo, 0, v3
	v_mov_b32_e32 v6, 0
	s_and_not1_b32 s3, s3, exec_lo
	s_and_b32 s4, vcc_lo, exec_lo
	s_delay_alu instid0(SALU_CYCLE_1)
	s_or_b32 s3, s3, s4
	s_or_b32 exec_lo, exec_lo, s5
	s_and_saveexec_b32 s4, s3
	s_cbranch_execnz .LBB121_877
	s_branch .LBB121_878
.LBB121_897:
	s_mov_b32 s2, -1
.LBB121_898:
                                        ; implicit-def: $vgpr6
.LBB121_899:
	s_and_b32 vcc_lo, exec_lo, s3
	s_mov_b32 s3, 0
	s_cbranch_vccz .LBB121_901
; %bb.900:
	v_cmp_ne_u16_e32 vcc_lo, 11, v5
	s_and_not1_b32 s2, s2, exec_lo
	s_mov_b32 s3, -1
                                        ; implicit-def: $vgpr6
	s_and_b32 s5, vcc_lo, exec_lo
	s_delay_alu instid0(SALU_CYCLE_1)
	s_or_b32 s2, s2, s5
.LBB121_901:
	s_mov_b32 s5, 0
.LBB121_902:
	s_and_not1_b32 s10, s41, exec_lo
	s_and_b32 s11, s2, exec_lo
	s_and_b32 s4, s4, exec_lo
	;; [unrolled: 1-line block ×4, first 2 shown]
	s_or_b32 s43, s10, s11
.LBB121_903:
	s_or_b32 exec_lo, exec_lo, s30
	s_delay_alu instid0(SALU_CYCLE_1)
	s_and_b32 s3, s5, exec_lo
	s_and_not1_b32 s5, s41, exec_lo
	s_waitcnt lgkmcnt(0)
	s_and_b32 s10, s43, exec_lo
	s_and_b32 s4, s4, exec_lo
	;; [unrolled: 1-line block ×3, first 2 shown]
	s_or_b32 s41, s5, s10
.LBB121_904:
	s_or_b32 exec_lo, exec_lo, s40
	s_delay_alu instid0(SALU_CYCLE_1)
	s_and_not1_b32 s5, s38, exec_lo
	s_waitcnt lgkmcnt(0)
	s_and_b32 s10, s42, exec_lo
	s_and_b32 s11, s41, exec_lo
	s_or_b32 s38, s5, s10
	s_and_not1_b32 s10, s37, exec_lo
	s_and_b32 s5, s4, exec_lo
	s_and_b32 s4, s3, exec_lo
	;; [unrolled: 1-line block ×3, first 2 shown]
	s_or_b32 s37, s10, s11
.LBB121_905:
	s_or_b32 exec_lo, exec_lo, s39
	s_delay_alu instid0(SALU_CYCLE_1)
	s_and_not1_b32 s2, s34, exec_lo
	s_waitcnt lgkmcnt(0)
	s_and_b32 s10, s38, exec_lo
	s_and_b32 s4, s4, exec_lo
	s_or_b32 s34, s2, s10
	s_and_b32 s2, s5, exec_lo
	s_and_not1_b32 s5, s35, exec_lo
	s_and_b32 s10, s37, exec_lo
	s_and_b32 s37, s3, exec_lo
	s_or_b32 s35, s5, s10
.LBB121_906:
	s_or_b32 exec_lo, exec_lo, s36
	s_mov_b32 s5, 0
	s_and_saveexec_b32 s3, s35
	s_cbranch_execnz .LBB121_918
; %bb.907:
	s_or_b32 exec_lo, exec_lo, s3
	s_and_saveexec_b32 s3, s37
	s_delay_alu instid0(SALU_CYCLE_1)
	s_xor_b32 s3, exec_lo, s3
	s_cbranch_execz .LBB121_909
.LBB121_908:
	global_load_u8 v3, v[1:2], off
	s_or_b32 s2, s2, exec_lo
	s_waitcnt vmcnt(0)
	v_cmp_ne_u16_e32 vcc_lo, 0, v3
	v_cndmask_b32_e64 v6, 0, 1.0, vcc_lo
.LBB121_909:
	s_or_b32 exec_lo, exec_lo, s3
	s_and_saveexec_b32 s3, s4
	s_cbranch_execz .LBB121_957
; %bb.910:
	v_cmp_gt_i16_e32 vcc_lo, 5, v5
	s_cbranch_vccnz .LBB121_915
; %bb.911:
	v_cmp_gt_i16_e32 vcc_lo, 8, v5
	s_cbranch_vccnz .LBB121_916
	;; [unrolled: 3-line block ×3, first 2 shown]
; %bb.913:
	v_cmp_lt_i16_e32 vcc_lo, 9, v5
	s_cbranch_vccz .LBB121_920
; %bb.914:
	global_load_b64 v[6:7], v[1:2], off
	s_mov_b32 s4, 0
	s_waitcnt vmcnt(0)
	v_cvt_f32_f64_e32 v6, v[6:7]
	s_branch .LBB121_921
.LBB121_915:
                                        ; implicit-def: $vgpr6
	s_branch .LBB121_938
.LBB121_916:
                                        ; implicit-def: $vgpr6
	s_branch .LBB121_927
.LBB121_917:
	s_mov_b32 s4, -1
                                        ; implicit-def: $vgpr6
	s_branch .LBB121_924
.LBB121_918:
	s_cbranch_execnz .LBB121_1188
; %bb.919:
	s_mov_b32 s5, exec_lo
	s_and_not1_b32 s37, s37, exec_lo
                                        ; implicit-def: $vgpr6
	s_or_b32 exec_lo, exec_lo, s3
	s_and_saveexec_b32 s3, s37
	s_delay_alu instid0(SALU_CYCLE_1)
	s_xor_b32 s3, exec_lo, s3
	s_cbranch_execnz .LBB121_908
	s_branch .LBB121_909
.LBB121_920:
	s_mov_b32 s4, -1
                                        ; implicit-def: $vgpr6
.LBB121_921:
	s_delay_alu instid0(SALU_CYCLE_1)
	s_and_not1_b32 vcc_lo, exec_lo, s4
	s_cbranch_vccnz .LBB121_923
; %bb.922:
	global_load_b32 v6, v[1:2], off
.LBB121_923:
	s_mov_b32 s4, 0
.LBB121_924:
	s_delay_alu instid0(SALU_CYCLE_1)
	s_and_not1_b32 vcc_lo, exec_lo, s4
	s_cbranch_vccnz .LBB121_926
; %bb.925:
	global_load_b32 v3, v[1:2], off
	s_waitcnt vmcnt(0)
	v_cvt_f32_f16_e32 v6, v3
.LBB121_926:
	s_cbranch_execnz .LBB121_937
.LBB121_927:
	v_cmp_gt_i16_e32 vcc_lo, 6, v5
	s_cbranch_vccnz .LBB121_930
; %bb.928:
	v_cmp_lt_i16_e32 vcc_lo, 6, v5
	s_cbranch_vccz .LBB121_931
; %bb.929:
	global_load_b64 v[6:7], v[1:2], off
	s_mov_b32 s4, 0
	s_waitcnt vmcnt(0)
	v_cvt_f32_f64_e32 v6, v[6:7]
	s_branch .LBB121_932
.LBB121_930:
	s_mov_b32 s4, -1
                                        ; implicit-def: $vgpr6
	s_branch .LBB121_935
.LBB121_931:
	s_mov_b32 s4, -1
                                        ; implicit-def: $vgpr6
.LBB121_932:
	s_delay_alu instid0(SALU_CYCLE_1)
	s_and_not1_b32 vcc_lo, exec_lo, s4
	s_cbranch_vccnz .LBB121_934
; %bb.933:
	global_load_b32 v6, v[1:2], off
.LBB121_934:
	s_mov_b32 s4, 0
.LBB121_935:
	s_delay_alu instid0(SALU_CYCLE_1)
	s_and_not1_b32 vcc_lo, exec_lo, s4
	s_cbranch_vccnz .LBB121_937
; %bb.936:
	global_load_u16 v3, v[1:2], off
	s_waitcnt vmcnt(0)
	v_cvt_f32_f16_e32 v6, v3
.LBB121_937:
	s_cbranch_execnz .LBB121_956
.LBB121_938:
	v_cmp_gt_i16_e32 vcc_lo, 2, v5
	s_cbranch_vccnz .LBB121_942
; %bb.939:
	v_cmp_gt_i16_e32 vcc_lo, 3, v5
	s_cbranch_vccnz .LBB121_943
; %bb.940:
	v_cmp_lt_i16_e32 vcc_lo, 3, v5
	s_cbranch_vccz .LBB121_944
; %bb.941:
	global_load_b64 v[6:7], v[1:2], off
	s_mov_b32 s4, 0
	s_waitcnt vmcnt(0)
	v_xor_b32_e32 v3, v6, v7
	v_cls_i32_e32 v8, v7
	s_delay_alu instid0(VALU_DEP_2) | instskip(NEXT) | instid1(VALU_DEP_2)
	v_ashrrev_i32_e32 v3, 31, v3
	v_add_nc_u32_e32 v8, -1, v8
	s_delay_alu instid0(VALU_DEP_2) | instskip(NEXT) | instid1(VALU_DEP_1)
	v_add_nc_u32_e32 v3, 32, v3
	v_min_u32_e32 v3, v8, v3
	s_delay_alu instid0(VALU_DEP_1) | instskip(SKIP_1) | instid1(VALU_DEP_2)
	v_lshlrev_b64 v[6:7], v3, v[6:7]
	v_sub_nc_u32_e32 v3, 32, v3
	v_min_u32_e32 v6, 1, v6
	s_delay_alu instid0(VALU_DEP_1) | instskip(NEXT) | instid1(VALU_DEP_1)
	v_or_b32_e32 v6, v7, v6
	v_cvt_f32_i32_e32 v6, v6
	s_delay_alu instid0(VALU_DEP_1)
	v_ldexp_f32 v6, v6, v3
	s_branch .LBB121_945
.LBB121_942:
                                        ; implicit-def: $vgpr6
	s_branch .LBB121_951
.LBB121_943:
	s_mov_b32 s4, -1
                                        ; implicit-def: $vgpr6
	s_branch .LBB121_948
.LBB121_944:
	s_mov_b32 s4, -1
                                        ; implicit-def: $vgpr6
.LBB121_945:
	s_delay_alu instid0(SALU_CYCLE_1)
	s_and_not1_b32 vcc_lo, exec_lo, s4
	s_cbranch_vccnz .LBB121_947
; %bb.946:
	global_load_b32 v3, v[1:2], off
	s_waitcnt vmcnt(0)
	v_cvt_f32_i32_e32 v6, v3
.LBB121_947:
	s_mov_b32 s4, 0
.LBB121_948:
	s_delay_alu instid0(SALU_CYCLE_1)
	s_and_not1_b32 vcc_lo, exec_lo, s4
	s_cbranch_vccnz .LBB121_950
; %bb.949:
	global_load_i16 v3, v[1:2], off
	s_waitcnt vmcnt(0)
	v_cvt_f32_i32_e32 v6, v3
.LBB121_950:
	s_cbranch_execnz .LBB121_956
.LBB121_951:
	v_cmp_lt_i16_e32 vcc_lo, 0, v5
	s_mov_b32 s4, 0
	s_cbranch_vccz .LBB121_953
; %bb.952:
	global_load_i8 v3, v[1:2], off
	s_waitcnt vmcnt(0)
	v_cvt_f32_i32_e32 v6, v3
	s_branch .LBB121_954
.LBB121_953:
	s_mov_b32 s4, -1
                                        ; implicit-def: $vgpr6
.LBB121_954:
	s_delay_alu instid0(SALU_CYCLE_1)
	s_and_not1_b32 vcc_lo, exec_lo, s4
	s_cbranch_vccnz .LBB121_956
; %bb.955:
	global_load_u8 v1, v[1:2], off
	s_waitcnt vmcnt(0)
	v_cvt_f32_ubyte0_e32 v6, v1
.LBB121_956:
	s_or_b32 s2, s2, exec_lo
.LBB121_957:
	s_or_b32 exec_lo, exec_lo, s3
	s_mov_b32 s4, 0
	s_mov_b32 s3, 0
                                        ; implicit-def: $vgpr5
                                        ; implicit-def: $vgpr1_vgpr2
                                        ; implicit-def: $vgpr3
	s_waitcnt lgkmcnt(0)
	s_and_saveexec_b32 s10, s2
	s_cbranch_execz .LBB121_1034
; %bb.958:
	s_waitcnt vmcnt(0)
	s_delay_alu instid0(VALU_DEP_1) | instskip(SKIP_3) | instid1(VALU_DEP_1)
	v_mul_f32_e32 v1, 0x3fb8aa3b, v6
	s_mov_b32 s2, 0x395133b1
	s_mov_b32 s11, 0
	;; [unrolled: 1-line block ×3, first 2 shown]
	v_rndne_f32_e32 v1, v1
	s_delay_alu instid0(VALU_DEP_1) | instskip(SKIP_2) | instid1(VALU_DEP_3)
	v_fmamk_f32 v2, v1, 0xbf317218, v6
	v_cmp_eq_f32_e32 vcc_lo, 0x43000000, v1
	v_cvt_i32_f32_e32 v5, v1
	v_fmamk_f32 v2, v1, 0x3102e308, v2
	s_delay_alu instid0(VALU_DEP_2) | instskip(SKIP_1) | instid1(VALU_DEP_3)
	v_cndmask_b32_e64 v1, v5, 0x7f, vcc_lo
	v_and_b32_e32 v5, 0xff, v4
	v_fmaak_f32 v3, s2, v2, 0x3ab69700
	v_cmp_lt_f32_e64 s2, 0x42b17217, v6
	s_delay_alu instid0(VALU_DEP_4) | instskip(NEXT) | instid1(VALU_DEP_3)
	v_ldexp_f32 v1, 1.0, v1
	v_fmaak_f32 v3, v2, v3, 0x3c0887f9
	s_delay_alu instid0(VALU_DEP_2) | instskip(NEXT) | instid1(VALU_DEP_2)
	v_add_f32_e32 v7, -1.0, v1
	v_fmaak_f32 v3, v2, v3, 0x3d2aaa81
	s_delay_alu instid0(VALU_DEP_1) | instskip(NEXT) | instid1(VALU_DEP_1)
	v_fmaak_f32 v3, v2, v3, 0x3e2aaaab
	v_fma_f32 v3, v2, v3, 0.5
	s_delay_alu instid0(VALU_DEP_1) | instskip(NEXT) | instid1(VALU_DEP_1)
	v_mul_f32_e32 v3, v2, v3
	v_fmac_f32_e32 v2, v2, v3
	s_delay_alu instid0(VALU_DEP_1) | instskip(NEXT) | instid1(VALU_DEP_1)
	v_fmac_f32_e32 v7, v1, v2
	v_add_f32_e32 v1, v7, v7
	s_delay_alu instid0(VALU_DEP_1) | instskip(SKIP_1) | instid1(VALU_DEP_1)
	v_cndmask_b32_e32 v4, v7, v1, vcc_lo
	v_add_co_u32 v1, s3, s8, v0
	v_add_co_ci_u32_e64 v2, null, s9, 0, s3
	s_delay_alu instid0(VALU_DEP_3) | instskip(SKIP_3) | instid1(VALU_DEP_2)
	v_cndmask_b32_e64 v3, v4, 0x7f800000, s2
	v_cmp_gt_f32_e64 s3, 0xc1880000, v6
	v_cmp_gt_i16_e32 vcc_lo, 11, v5
	s_mov_b32 s8, -1
	v_cndmask_b32_e64 v3, v3, -1.0, s3
	s_cbranch_vccnz .LBB121_1033
; %bb.959:
	v_cmp_lt_i16_e32 vcc_lo, 25, v5
	s_mov_b32 s4, s34
	s_cbranch_vccz .LBB121_992
; %bb.960:
	v_cmp_lt_i16_e32 vcc_lo, 28, v5
	s_mov_b32 s4, s34
	s_cbranch_vccz .LBB121_976
	;; [unrolled: 4-line block ×4, first 2 shown]
; %bb.963:
	v_cmp_eq_u16_e32 vcc_lo, 46, v5
	s_mov_b32 s4, -1
	s_cbranch_vccz .LBB121_965
; %bb.964:
	v_bfe_u32 v0, v3, 16, 1
	v_cmp_o_f32_e32 vcc_lo, v3, v3
	s_mov_b32 s4, 0
	s_delay_alu instid0(VALU_DEP_2) | instskip(NEXT) | instid1(VALU_DEP_1)
	v_add3_u32 v0, v3, v0, 0x7fff
	v_lshrrev_b32_e32 v0, 16, v0
	s_delay_alu instid0(VALU_DEP_1)
	v_cndmask_b32_e32 v0, 0x7fc0, v0, vcc_lo
	global_store_b32 v[1:2], v0, off
.LBB121_965:
	s_mov_b32 s8, 0
.LBB121_966:
	s_delay_alu instid0(SALU_CYCLE_1)
	s_and_b32 vcc_lo, exec_lo, s8
	s_cbranch_vccz .LBB121_971
; %bb.967:
	v_cmp_eq_u16_e32 vcc_lo, 44, v5
	s_mov_b32 s4, -1
	s_cbranch_vccz .LBB121_971
; %bb.968:
	v_bfe_u32 v6, v3, 23, 8
	v_mov_b32_e32 v0, 0xff
	s_mov_b32 s8, exec_lo
	s_delay_alu instid0(VALU_DEP_2)
	v_cmpx_ne_u32_e32 0xff, v6
; %bb.969:
	v_and_b32_e32 v0, 0x400000, v3
	v_and_or_b32 v6, 0x3fffff, v3, v6
	s_delay_alu instid0(VALU_DEP_2) | instskip(NEXT) | instid1(VALU_DEP_2)
	v_cmp_ne_u32_e32 vcc_lo, 0, v0
	v_cmp_ne_u32_e64 s4, 0, v6
	v_lshrrev_b32_e32 v0, 23, v3
	s_delay_alu instid0(VALU_DEP_2) | instskip(NEXT) | instid1(SALU_CYCLE_1)
	s_and_b32 s4, vcc_lo, s4
	v_cndmask_b32_e64 v6, 0, 1, s4
	s_delay_alu instid0(VALU_DEP_1)
	v_add_nc_u32_e32 v0, v0, v6
; %bb.970:
	s_or_b32 exec_lo, exec_lo, s8
	s_mov_b32 s4, 0
	global_store_b8 v[1:2], v0, off
.LBB121_971:
	s_mov_b32 s8, 0
.LBB121_972:
	s_delay_alu instid0(SALU_CYCLE_1)
	s_and_b32 vcc_lo, exec_lo, s8
	s_cbranch_vccz .LBB121_975
; %bb.973:
	v_cmp_eq_u16_e32 vcc_lo, 29, v5
	s_mov_b32 s4, -1
	s_cbranch_vccz .LBB121_975
; %bb.974:
	v_trunc_f32_e32 v0, v3
	s_mov_b32 s4, 0
	s_delay_alu instid0(VALU_DEP_1) | instskip(NEXT) | instid1(VALU_DEP_1)
	v_mul_f32_e32 v6, 0x2f800000, v0
	v_floor_f32_e32 v6, v6
	s_delay_alu instid0(VALU_DEP_1) | instskip(SKIP_1) | instid1(VALU_DEP_2)
	v_fmamk_f32 v0, v6, 0xcf800000, v0
	v_cvt_u32_f32_e32 v7, v6
	v_cvt_u32_f32_e32 v6, v0
	global_store_b64 v[1:2], v[6:7], off
.LBB121_975:
	s_mov_b32 s8, 0
.LBB121_976:
	s_delay_alu instid0(SALU_CYCLE_1)
	s_and_b32 vcc_lo, exec_lo, s8
	s_cbranch_vccz .LBB121_991
; %bb.977:
	v_cmp_gt_i16_e32 vcc_lo, 27, v5
	s_mov_b32 s8, -1
	s_cbranch_vccnz .LBB121_983
; %bb.978:
	v_cmp_lt_i16_e32 vcc_lo, 27, v5
	v_cvt_u32_f32_e32 v0, v3
	s_cbranch_vccz .LBB121_980
; %bb.979:
	s_mov_b32 s8, 0
	global_store_b32 v[1:2], v0, off
.LBB121_980:
	s_and_not1_b32 vcc_lo, exec_lo, s8
	s_cbranch_vccnz .LBB121_982
; %bb.981:
	global_store_b16 v[1:2], v0, off
.LBB121_982:
	s_mov_b32 s8, 0
.LBB121_983:
	s_delay_alu instid0(SALU_CYCLE_1)
	s_and_not1_b32 vcc_lo, exec_lo, s8
	s_cbranch_vccnz .LBB121_991
; %bb.984:
	v_cndmask_b32_e64 v0, |v4|, 0x7f800000, s2
	v_mov_b32_e32 v7, 0x80
	s_mov_b32 s8, exec_lo
	s_delay_alu instid0(VALU_DEP_2) | instskip(NEXT) | instid1(VALU_DEP_1)
	v_cndmask_b32_e64 v6, v0, 1.0, s3
	v_cmpx_gt_u32_e32 0x43800000, v6
	s_cbranch_execz .LBB121_990
; %bb.985:
	s_mov_b32 s9, 0
	s_mov_b32 s11, exec_lo
                                        ; implicit-def: $vgpr0
	v_cmpx_lt_u32_e32 0x3bffffff, v6
	s_xor_b32 s11, exec_lo, s11
	s_cbranch_execz .LBB121_1279
; %bb.986:
	v_bfe_u32 v0, v3, 20, 1
	s_mov_b32 s9, exec_lo
                                        ; implicit-def: $vgpr6
	s_delay_alu instid0(VALU_DEP_1) | instskip(NEXT) | instid1(VALU_DEP_1)
	v_add3_u32 v0, v3, v0, 0x487ffff
	v_lshrrev_b32_e32 v0, 20, v0
	s_or_saveexec_b32 s11, s11
                                        ; implicit-def: $sgpr12
	s_delay_alu instid0(SALU_CYCLE_1)
	s_xor_b32 exec_lo, exec_lo, s11
	s_cbranch_execnz .LBB121_1280
.LBB121_987:
	s_or_b32 exec_lo, exec_lo, s11
	v_mov_b32_e32 v7, s12
	s_and_saveexec_b32 s11, s9
.LBB121_988:
	v_lshrrev_b32_e32 v6, 24, v3
	s_delay_alu instid0(VALU_DEP_1)
	v_and_or_b32 v7, 0x80, v6, v0
.LBB121_989:
	s_or_b32 exec_lo, exec_lo, s11
.LBB121_990:
	s_delay_alu instid0(SALU_CYCLE_1)
	s_or_b32 exec_lo, exec_lo, s8
	global_store_b8 v[1:2], v7, off
.LBB121_991:
	s_mov_b32 s8, 0
.LBB121_992:
	s_delay_alu instid0(SALU_CYCLE_1)
	s_and_b32 vcc_lo, exec_lo, s8
	s_mov_b32 s8, 0
	s_cbranch_vccz .LBB121_1032
; %bb.993:
	v_cmp_lt_i16_e32 vcc_lo, 22, v5
	s_mov_b32 s9, -1
	s_cbranch_vccz .LBB121_1025
; %bb.994:
	v_cmp_gt_i16_e32 vcc_lo, 24, v5
	s_cbranch_vccnz .LBB121_1014
; %bb.995:
	v_cmp_lt_i16_e32 vcc_lo, 24, v5
	s_cbranch_vccz .LBB121_1003
; %bb.996:
	v_cndmask_b32_e64 v0, |v4|, 0x7f800000, s2
	v_mov_b32_e32 v7, 0x80
	s_mov_b32 s9, exec_lo
	s_delay_alu instid0(VALU_DEP_2) | instskip(NEXT) | instid1(VALU_DEP_1)
	v_cndmask_b32_e64 v6, v0, 1.0, s3
	v_cmpx_gt_u32_e32 0x47800000, v6
	s_cbranch_execz .LBB121_1002
; %bb.997:
	s_mov_b32 s11, 0
	s_mov_b32 s12, exec_lo
                                        ; implicit-def: $vgpr0
	v_cmpx_lt_u32_e32 0x37ffffff, v6
	s_xor_b32 s12, exec_lo, s12
	s_cbranch_execz .LBB121_1323
; %bb.998:
	v_bfe_u32 v0, v3, 21, 1
	s_mov_b32 s11, exec_lo
                                        ; implicit-def: $vgpr6
	s_delay_alu instid0(VALU_DEP_1) | instskip(NEXT) | instid1(VALU_DEP_1)
	v_add3_u32 v0, v3, v0, 0x88fffff
	v_lshrrev_b32_e32 v0, 21, v0
	s_or_saveexec_b32 s12, s12
                                        ; implicit-def: $sgpr13
	s_delay_alu instid0(SALU_CYCLE_1)
	s_xor_b32 exec_lo, exec_lo, s12
	s_cbranch_execnz .LBB121_1324
.LBB121_999:
	s_or_b32 exec_lo, exec_lo, s12
	v_mov_b32_e32 v7, s13
	s_and_saveexec_b32 s12, s11
.LBB121_1000:
	v_lshrrev_b32_e32 v6, 24, v3
	s_delay_alu instid0(VALU_DEP_1)
	v_and_or_b32 v7, 0x80, v6, v0
.LBB121_1001:
	s_or_b32 exec_lo, exec_lo, s12
.LBB121_1002:
	s_delay_alu instid0(SALU_CYCLE_1)
	s_or_b32 exec_lo, exec_lo, s9
	s_mov_b32 s9, 0
	global_store_b8 v[1:2], v7, off
.LBB121_1003:
	s_and_b32 vcc_lo, exec_lo, s9
	s_cbranch_vccz .LBB121_1013
; %bb.1004:
	v_cndmask_b32_e64 v0, |v4|, 0x7f800000, s2
	s_mov_b32 s9, exec_lo
	s_delay_alu instid0(VALU_DEP_1) | instskip(NEXT) | instid1(VALU_DEP_1)
	v_cndmask_b32_e64 v6, v0, 1.0, s3
                                        ; implicit-def: $vgpr0
	v_cmpx_gt_u32_e32 0x43f00000, v6
	s_xor_b32 s9, exec_lo, s9
	s_cbranch_execz .LBB121_1010
; %bb.1005:
	s_mov_b32 s11, exec_lo
                                        ; implicit-def: $vgpr0
	v_cmpx_lt_u32_e32 0x3c7fffff, v6
	s_xor_b32 s11, exec_lo, s11
; %bb.1006:
	v_bfe_u32 v0, v3, 20, 1
	s_delay_alu instid0(VALU_DEP_1) | instskip(NEXT) | instid1(VALU_DEP_1)
	v_add3_u32 v0, v3, v0, 0x407ffff
	v_and_b32_e32 v6, 0xff00000, v0
	v_lshrrev_b32_e32 v0, 20, v0
	s_delay_alu instid0(VALU_DEP_2) | instskip(NEXT) | instid1(VALU_DEP_2)
	v_cmp_ne_u32_e32 vcc_lo, 0x7f00000, v6
                                        ; implicit-def: $vgpr6
	v_cndmask_b32_e32 v0, 0x7e, v0, vcc_lo
; %bb.1007:
	s_and_not1_saveexec_b32 s11, s11
; %bb.1008:
	v_add_f32_e32 v0, 0x46800000, v6
; %bb.1009:
	s_or_b32 exec_lo, exec_lo, s11
                                        ; implicit-def: $vgpr6
.LBB121_1010:
	s_and_not1_saveexec_b32 s9, s9
; %bb.1011:
	v_mov_b32_e32 v0, 0x7f
	v_cmp_lt_u32_e32 vcc_lo, 0x7f800000, v6
	s_delay_alu instid0(VALU_DEP_2)
	v_cndmask_b32_e32 v0, 0x7e, v0, vcc_lo
; %bb.1012:
	s_or_b32 exec_lo, exec_lo, s9
	v_lshrrev_b32_e32 v6, 24, v3
	s_delay_alu instid0(VALU_DEP_1)
	v_and_or_b32 v0, 0x80, v6, v0
	global_store_b8 v[1:2], v0, off
.LBB121_1013:
	s_mov_b32 s9, 0
.LBB121_1014:
	s_delay_alu instid0(SALU_CYCLE_1)
	s_and_not1_b32 vcc_lo, exec_lo, s9
	s_cbranch_vccnz .LBB121_1024
; %bb.1015:
	v_cndmask_b32_e64 v0, |v4|, 0x7f800000, s2
	s_mov_b32 s2, exec_lo
	s_delay_alu instid0(VALU_DEP_1) | instskip(NEXT) | instid1(VALU_DEP_1)
	v_cndmask_b32_e64 v4, v0, 1.0, s3
                                        ; implicit-def: $vgpr0
	v_cmpx_gt_u32_e32 0x47800000, v4
	s_xor_b32 s2, exec_lo, s2
	s_cbranch_execz .LBB121_1021
; %bb.1016:
	s_mov_b32 s3, exec_lo
                                        ; implicit-def: $vgpr0
	v_cmpx_lt_u32_e32 0x387fffff, v4
	s_xor_b32 s3, exec_lo, s3
; %bb.1017:
	v_bfe_u32 v0, v3, 21, 1
                                        ; implicit-def: $vgpr4
	s_delay_alu instid0(VALU_DEP_1) | instskip(NEXT) | instid1(VALU_DEP_1)
	v_add3_u32 v0, v3, v0, 0x80fffff
	v_lshrrev_b32_e32 v0, 21, v0
; %bb.1018:
	s_and_not1_saveexec_b32 s3, s3
; %bb.1019:
	v_add_f32_e32 v0, 0x43000000, v4
; %bb.1020:
	s_or_b32 exec_lo, exec_lo, s3
                                        ; implicit-def: $vgpr4
.LBB121_1021:
	s_and_not1_saveexec_b32 s2, s2
; %bb.1022:
	v_mov_b32_e32 v0, 0x7f
	v_cmp_lt_u32_e32 vcc_lo, 0x7f800000, v4
	s_delay_alu instid0(VALU_DEP_2)
	v_cndmask_b32_e32 v0, 0x7c, v0, vcc_lo
; %bb.1023:
	s_or_b32 exec_lo, exec_lo, s2
	v_lshrrev_b32_e32 v4, 24, v3
	s_delay_alu instid0(VALU_DEP_1)
	v_and_or_b32 v0, 0x80, v4, v0
	global_store_b8 v[1:2], v0, off
.LBB121_1024:
	s_mov_b32 s9, 0
.LBB121_1025:
	s_delay_alu instid0(SALU_CYCLE_1)
	s_and_not1_b32 vcc_lo, exec_lo, s9
	s_mov_b32 s11, 0
	s_cbranch_vccnz .LBB121_1033
; %bb.1026:
	v_cmp_lt_i16_e32 vcc_lo, 14, v5
	s_mov_b32 s2, -1
	s_cbranch_vccz .LBB121_1030
; %bb.1027:
	v_cmp_eq_u16_e32 vcc_lo, 15, v5
	s_mov_b32 s4, -1
	s_cbranch_vccz .LBB121_1029
; %bb.1028:
	v_bfe_u32 v0, v3, 16, 1
	v_cmp_o_f32_e32 vcc_lo, v3, v3
	s_mov_b32 s4, 0
	s_delay_alu instid0(VALU_DEP_2) | instskip(NEXT) | instid1(VALU_DEP_1)
	v_add3_u32 v0, v3, v0, 0x7fff
	v_lshrrev_b32_e32 v0, 16, v0
	s_delay_alu instid0(VALU_DEP_1)
	v_cndmask_b32_e32 v0, 0x7fc0, v0, vcc_lo
	global_store_b16 v[1:2], v0, off
.LBB121_1029:
	s_mov_b32 s2, 0
.LBB121_1030:
	s_delay_alu instid0(SALU_CYCLE_1)
	s_and_b32 vcc_lo, exec_lo, s2
	s_cbranch_vccz .LBB121_1033
; %bb.1031:
	v_cmp_ne_u16_e32 vcc_lo, 11, v5
	s_and_not1_b32 s2, s4, exec_lo
	s_mov_b32 s11, -1
	s_and_b32 s3, vcc_lo, exec_lo
	s_delay_alu instid0(SALU_CYCLE_1)
	s_or_b32 s4, s2, s3
	s_branch .LBB121_1033
.LBB121_1032:
	s_mov_b32 s11, 0
.LBB121_1033:
	s_and_b32 s3, s8, exec_lo
	s_and_not1_b32 s2, s34, exec_lo
	s_and_b32 s8, s4, exec_lo
	s_and_b32 s4, s11, exec_lo
	s_or_b32 s34, s2, s8
.LBB121_1034:
	s_or_b32 exec_lo, exec_lo, s10
	s_and_saveexec_b32 s2, s34
	s_cbranch_execnz .LBB121_1148
; %bb.1035:
	s_or_b32 exec_lo, exec_lo, s2
	s_and_saveexec_b32 s2, s4
	s_delay_alu instid0(SALU_CYCLE_1)
	s_xor_b32 s2, exec_lo, s2
	s_cbranch_execz .LBB121_1037
.LBB121_1036:
	s_waitcnt vmcnt(0)
	v_cmp_neq_f32_e32 vcc_lo, 0, v3
	v_cndmask_b32_e64 v0, 0, 1, vcc_lo
	global_store_b8 v[1:2], v0, off
.LBB121_1037:
	s_or_b32 exec_lo, exec_lo, s2
	s_and_saveexec_b32 s2, s3
	s_delay_alu instid0(SALU_CYCLE_1)
	s_xor_b32 s2, exec_lo, s2
	s_cbranch_execz .LBB121_1075
; %bb.1038:
	v_cmp_gt_i16_e32 vcc_lo, 5, v5
	s_mov_b32 s3, -1
	s_cbranch_vccnz .LBB121_1059
; %bb.1039:
	v_cmp_gt_i16_e32 vcc_lo, 8, v5
	s_cbranch_vccnz .LBB121_1049
; %bb.1040:
	v_cmp_gt_i16_e32 vcc_lo, 9, v5
	s_cbranch_vccnz .LBB121_1046
; %bb.1041:
	v_cmp_lt_i16_e32 vcc_lo, 9, v5
	s_cbranch_vccz .LBB121_1043
; %bb.1042:
	s_waitcnt vmcnt(0)
	v_cvt_f64_f32_e32 v[6:7], v3
	v_mov_b32_e32 v8, 0
	s_mov_b32 s3, 0
	s_delay_alu instid0(VALU_DEP_1)
	v_mov_b32_e32 v9, v8
	global_store_b128 v[1:2], v[6:9], off
.LBB121_1043:
	s_and_not1_b32 vcc_lo, exec_lo, s3
	s_cbranch_vccnz .LBB121_1045
; %bb.1044:
	v_mov_b32_e32 v4, 0
	s_waitcnt vmcnt(0)
	global_store_b64 v[1:2], v[3:4], off
.LBB121_1045:
	s_mov_b32 s3, 0
.LBB121_1046:
	s_delay_alu instid0(SALU_CYCLE_1)
	s_and_not1_b32 vcc_lo, exec_lo, s3
	s_cbranch_vccnz .LBB121_1048
; %bb.1047:
	s_waitcnt vmcnt(0)
	v_cvt_f16_f32_e32 v0, v3
	s_delay_alu instid0(VALU_DEP_1)
	v_and_b32_e32 v0, 0xffff, v0
	global_store_b32 v[1:2], v0, off
.LBB121_1048:
	s_mov_b32 s3, 0
.LBB121_1049:
	s_delay_alu instid0(SALU_CYCLE_1)
	s_and_not1_b32 vcc_lo, exec_lo, s3
	s_cbranch_vccnz .LBB121_1058
; %bb.1050:
	v_cmp_gt_i16_e32 vcc_lo, 6, v5
	s_mov_b32 s3, -1
	s_cbranch_vccnz .LBB121_1056
; %bb.1051:
	v_cmp_lt_i16_e32 vcc_lo, 6, v5
	s_cbranch_vccz .LBB121_1053
; %bb.1052:
	s_waitcnt vmcnt(0)
	v_cvt_f64_f32_e32 v[6:7], v3
	s_mov_b32 s3, 0
	global_store_b64 v[1:2], v[6:7], off
.LBB121_1053:
	s_and_not1_b32 vcc_lo, exec_lo, s3
	s_cbranch_vccnz .LBB121_1055
; %bb.1054:
	s_waitcnt vmcnt(0)
	global_store_b32 v[1:2], v3, off
.LBB121_1055:
	s_mov_b32 s3, 0
.LBB121_1056:
	s_delay_alu instid0(SALU_CYCLE_1)
	s_and_not1_b32 vcc_lo, exec_lo, s3
	s_cbranch_vccnz .LBB121_1058
; %bb.1057:
	s_waitcnt vmcnt(0)
	v_cvt_f16_f32_e32 v0, v3
	global_store_b16 v[1:2], v0, off
.LBB121_1058:
	s_mov_b32 s3, 0
.LBB121_1059:
	s_delay_alu instid0(SALU_CYCLE_1)
	s_and_not1_b32 vcc_lo, exec_lo, s3
	s_cbranch_vccnz .LBB121_1075
; %bb.1060:
	v_cmp_gt_i16_e32 vcc_lo, 2, v5
	s_mov_b32 s3, -1
	s_cbranch_vccnz .LBB121_1070
; %bb.1061:
	v_cmp_gt_i16_e32 vcc_lo, 3, v5
	s_cbranch_vccnz .LBB121_1067
; %bb.1062:
	v_cmp_lt_i16_e32 vcc_lo, 3, v5
	s_cbranch_vccz .LBB121_1064
; %bb.1063:
	s_waitcnt vmcnt(0)
	v_trunc_f32_e32 v0, v3
	s_mov_b32 s3, 0
	s_delay_alu instid0(VALU_DEP_1) | instskip(NEXT) | instid1(VALU_DEP_1)
	v_mul_f32_e64 v4, 0x2f800000, |v0|
	v_floor_f32_e32 v4, v4
	s_delay_alu instid0(VALU_DEP_1) | instskip(SKIP_2) | instid1(VALU_DEP_3)
	v_fma_f32 v6, 0xcf800000, v4, |v0|
	v_ashrrev_i32_e32 v0, 31, v0
	v_cvt_u32_f32_e32 v4, v4
	v_cvt_u32_f32_e32 v6, v6
	s_delay_alu instid0(VALU_DEP_2) | instskip(NEXT) | instid1(VALU_DEP_2)
	v_xor_b32_e32 v4, v4, v0
	v_xor_b32_e32 v6, v6, v0
	s_delay_alu instid0(VALU_DEP_1) | instskip(NEXT) | instid1(VALU_DEP_3)
	v_sub_co_u32 v6, vcc_lo, v6, v0
	v_sub_co_ci_u32_e32 v7, vcc_lo, v4, v0, vcc_lo
	global_store_b64 v[1:2], v[6:7], off
.LBB121_1064:
	s_and_not1_b32 vcc_lo, exec_lo, s3
	s_cbranch_vccnz .LBB121_1066
; %bb.1065:
	s_waitcnt vmcnt(0)
	v_cvt_i32_f32_e32 v0, v3
	global_store_b32 v[1:2], v0, off
.LBB121_1066:
	s_mov_b32 s3, 0
.LBB121_1067:
	s_delay_alu instid0(SALU_CYCLE_1)
	s_and_not1_b32 vcc_lo, exec_lo, s3
	s_cbranch_vccnz .LBB121_1069
; %bb.1068:
	s_waitcnt vmcnt(0)
	v_cvt_i32_f32_e32 v0, v3
	global_store_b16 v[1:2], v0, off
.LBB121_1069:
	s_mov_b32 s3, 0
.LBB121_1070:
	s_delay_alu instid0(SALU_CYCLE_1)
	s_and_not1_b32 vcc_lo, exec_lo, s3
	s_cbranch_vccnz .LBB121_1075
; %bb.1071:
	v_cmp_lt_i16_e32 vcc_lo, 0, v5
	s_mov_b32 s3, -1
	s_cbranch_vccz .LBB121_1073
; %bb.1072:
	s_waitcnt vmcnt(0)
	v_cvt_i32_f32_e32 v0, v3
	s_mov_b32 s3, 0
	global_store_b8 v[1:2], v0, off
.LBB121_1073:
	s_and_not1_b32 vcc_lo, exec_lo, s3
	s_cbranch_vccnz .LBB121_1075
; %bb.1074:
	s_waitcnt vmcnt(0)
	v_trunc_f32_e32 v0, v3
	s_delay_alu instid0(VALU_DEP_1) | instskip(NEXT) | instid1(VALU_DEP_1)
	v_mul_f32_e64 v3, 0x2f800000, |v0|
	v_floor_f32_e32 v3, v3
	s_delay_alu instid0(VALU_DEP_1) | instskip(SKIP_1) | instid1(VALU_DEP_2)
	v_fma_f32 v3, 0xcf800000, v3, |v0|
	v_ashrrev_i32_e32 v0, 31, v0
	v_cvt_u32_f32_e32 v3, v3
	s_delay_alu instid0(VALU_DEP_1) | instskip(NEXT) | instid1(VALU_DEP_1)
	v_xor_b32_e32 v3, v3, v0
	v_sub_nc_u32_e32 v0, v3, v0
	global_store_b8 v[1:2], v0, off
.LBB121_1075:
	s_or_b32 exec_lo, exec_lo, s2
	s_delay_alu instid0(SALU_CYCLE_1)
	s_and_b32 s8, s5, exec_lo
                                        ; implicit-def: $vgpr9
                                        ; implicit-def: $vgpr8
.LBB121_1076:
	s_or_saveexec_b32 s9, s28
	s_mov_b32 s2, 0
                                        ; implicit-def: $vgpr0_vgpr1
                                        ; implicit-def: $vgpr7
                                        ; implicit-def: $vgpr2
	s_xor_b32 exec_lo, exec_lo, s9
	s_cbranch_execz .LBB121_2092
; %bb.1077:
	v_cndmask_b32_e64 v0, 0, 1, s27
	s_and_not1_b32 vcc_lo, exec_lo, s27
	s_cbranch_vccnz .LBB121_1083
; %bb.1078:
	s_waitcnt vmcnt(0)
	v_mov_b32_e32 v3, 0
	v_mov_b32_e32 v7, 0
	s_cmp_lg_u32 s24, 0
	s_mov_b32 s10, 0
	s_cbranch_scc0 .LBB121_1087
; %bb.1079:
	s_min_u32 s11, s25, 15
	v_mov_b32_e32 v3, 0
	s_add_i32 s11, s11, 1
	s_cmp_eq_u32 s25, 2
	s_mov_b32 s12, 0
	s_cbranch_scc1 .LBB121_1084
; %bb.1080:
	v_mov_b32_e32 v7, 0
	v_mov_b32_e32 v3, 0
	;; [unrolled: 1-line block ×3, first 2 shown]
	s_add_u32 s2, s6, 0xc4
	s_addc_u32 s3, s7, 0
	s_and_b32 s12, s11, 28
	s_mov_b32 s13, 0
	s_mov_b64 s[4:5], s[6:7]
.LBB121_1081:                           ; =>This Inner Loop Header: Depth=1
	s_clause 0x1
	s_load_b256 s[16:23], s[4:5], 0x4
	s_load_b128 s[28:31], s[4:5], 0x24
	s_load_b256 s[36:43], s[2:3], 0x0
	s_add_u32 s4, s4, 48
	s_addc_u32 s5, s5, 0
	s_add_i32 s13, s13, 4
	s_add_u32 s2, s2, 32
	s_addc_u32 s3, s3, 0
	s_cmp_lg_u32 s12, s13
	s_waitcnt lgkmcnt(0)
	v_mul_hi_u32 v2, s17, v1
	s_delay_alu instid0(VALU_DEP_1) | instskip(NEXT) | instid1(VALU_DEP_1)
	v_add_nc_u32_e32 v2, v1, v2
	v_lshrrev_b32_e32 v2, s18, v2
	s_delay_alu instid0(VALU_DEP_1) | instskip(SKIP_1) | instid1(VALU_DEP_2)
	v_mul_hi_u32 v4, s20, v2
	v_mul_lo_u32 v6, v2, s16
	v_add_nc_u32_e32 v4, v2, v4
	s_delay_alu instid0(VALU_DEP_2) | instskip(NEXT) | instid1(VALU_DEP_2)
	v_sub_nc_u32_e32 v1, v1, v6
	v_lshrrev_b32_e32 v4, s21, v4
	s_delay_alu instid0(VALU_DEP_2) | instskip(SKIP_1) | instid1(VALU_DEP_3)
	v_mul_lo_u32 v6, v1, s36
	v_mul_lo_u32 v11, v1, s37
	v_mul_hi_u32 v5, s23, v4
	s_delay_alu instid0(VALU_DEP_1) | instskip(NEXT) | instid1(VALU_DEP_1)
	v_add_nc_u32_e32 v5, v4, v5
	v_lshrrev_b32_e32 v5, s28, v5
	s_delay_alu instid0(VALU_DEP_1) | instskip(SKIP_1) | instid1(VALU_DEP_2)
	v_mul_hi_u32 v10, s30, v5
	v_mul_lo_u32 v12, v5, s22
	v_add_nc_u32_e32 v1, v5, v10
	v_mul_lo_u32 v10, v4, s19
	s_delay_alu instid0(VALU_DEP_3) | instskip(NEXT) | instid1(VALU_DEP_3)
	v_sub_nc_u32_e32 v4, v4, v12
	v_lshrrev_b32_e32 v1, s31, v1
	s_delay_alu instid0(VALU_DEP_2) | instskip(SKIP_2) | instid1(VALU_DEP_4)
	v_mul_lo_u32 v12, v4, s40
	v_mul_lo_u32 v4, v4, s41
	v_sub_nc_u32_e32 v2, v2, v10
	v_mul_lo_u32 v13, v1, s29
	s_delay_alu instid0(VALU_DEP_2) | instskip(SKIP_1) | instid1(VALU_DEP_3)
	v_mul_lo_u32 v10, v2, s38
	v_mul_lo_u32 v2, v2, s39
	v_sub_nc_u32_e32 v5, v5, v13
	s_delay_alu instid0(VALU_DEP_3) | instskip(NEXT) | instid1(VALU_DEP_2)
	v_add3_u32 v3, v6, v3, v10
	v_mul_lo_u32 v13, v5, s42
	v_mul_lo_u32 v5, v5, s43
	v_add3_u32 v2, v11, v7, v2
	s_delay_alu instid0(VALU_DEP_3) | instskip(NEXT) | instid1(VALU_DEP_2)
	v_add3_u32 v3, v12, v3, v13
	v_add3_u32 v7, v4, v2, v5
	s_cbranch_scc1 .LBB121_1081
; %bb.1082:
	s_and_b32 s11, s11, 3
	s_delay_alu instid0(SALU_CYCLE_1)
	s_cmp_eq_u32 s11, 0
	s_cbranch_scc0 .LBB121_1085
	s_branch .LBB121_1087
.LBB121_1083:
	s_mov_b32 s10, -1
                                        ; implicit-def: $vgpr3
                                        ; implicit-def: $vgpr7
	s_branch .LBB121_1087
.LBB121_1084:
	v_mov_b32_e32 v1, v8
	v_mov_b32_e32 v7, 0
	s_and_b32 s11, s11, 3
	s_delay_alu instid0(SALU_CYCLE_1)
	s_cmp_eq_u32 s11, 0
	s_cbranch_scc1 .LBB121_1087
.LBB121_1085:
	s_lshl_b32 s2, s12, 3
	s_mul_i32 s4, s12, 12
	s_add_u32 s2, s2, s6
	s_addc_u32 s3, 0, s7
	s_add_u32 s2, s2, 0xc4
	s_addc_u32 s3, s3, 0
	;; [unrolled: 2-line block ×3, first 2 shown]
	.p2align	6
.LBB121_1086:                           ; =>This Inner Loop Header: Depth=1
	s_clause 0x1
	s_load_b64 s[12:13], s[4:5], 0x4
	s_load_b32 s16, s[4:5], 0xc
	s_load_b64 s[14:15], s[2:3], 0x0
	s_add_u32 s4, s4, 12
	s_addc_u32 s5, s5, 0
	s_add_u32 s2, s2, 8
	s_addc_u32 s3, s3, 0
	s_add_i32 s11, s11, -1
	s_delay_alu instid0(SALU_CYCLE_1) | instskip(SKIP_2) | instid1(VALU_DEP_1)
	s_cmp_lg_u32 s11, 0
	s_waitcnt lgkmcnt(0)
	v_mul_hi_u32 v2, s13, v1
	v_add_nc_u32_e32 v2, v1, v2
	s_delay_alu instid0(VALU_DEP_1) | instskip(NEXT) | instid1(VALU_DEP_1)
	v_lshrrev_b32_e32 v6, s16, v2
	v_mul_lo_u32 v2, v6, s12
	s_delay_alu instid0(VALU_DEP_1) | instskip(NEXT) | instid1(VALU_DEP_1)
	v_sub_nc_u32_e32 v1, v1, v2
	v_mad_u64_u32 v[4:5], null, v1, s14, v[3:4]
	v_mad_u64_u32 v[2:3], null, v1, s15, v[7:8]
	v_mov_b32_e32 v1, v6
	s_delay_alu instid0(VALU_DEP_3) | instskip(NEXT) | instid1(VALU_DEP_3)
	v_mov_b32_e32 v3, v4
	v_mov_b32_e32 v7, v2
	s_cbranch_scc1 .LBB121_1086
.LBB121_1087:
	s_and_not1_b32 vcc_lo, exec_lo, s10
	s_cbranch_vccnz .LBB121_1090
; %bb.1088:
	s_clause 0x1
	s_load_b128 s[12:15], s[6:7], 0x4
	s_load_b64 s[2:3], s[6:7], 0xc4
	s_cmp_lt_u32 s24, 2
	s_waitcnt lgkmcnt(0)
	v_mul_hi_u32 v1, s13, v8
	s_delay_alu instid0(VALU_DEP_1) | instskip(NEXT) | instid1(VALU_DEP_1)
	v_add_nc_u32_e32 v1, v8, v1
	v_lshrrev_b32_e32 v1, s14, v1
	s_delay_alu instid0(VALU_DEP_1) | instskip(NEXT) | instid1(VALU_DEP_1)
	v_mul_lo_u32 v2, v1, s12
	v_sub_nc_u32_e32 v2, v8, v2
	s_waitcnt vmcnt(0)
	s_delay_alu instid0(VALU_DEP_1)
	v_mul_lo_u32 v3, v2, s2
	v_mul_lo_u32 v7, v2, s3
	s_cbranch_scc1 .LBB121_1090
; %bb.1089:
	s_clause 0x1
	s_load_b128 s[12:15], s[6:7], 0x10
	s_load_b64 s[2:3], s[6:7], 0xcc
	s_waitcnt lgkmcnt(0)
	v_mul_hi_u32 v2, s13, v1
	s_delay_alu instid0(VALU_DEP_1) | instskip(NEXT) | instid1(VALU_DEP_1)
	v_add_nc_u32_e32 v2, v1, v2
	v_lshrrev_b32_e32 v2, s14, v2
	s_delay_alu instid0(VALU_DEP_1) | instskip(NEXT) | instid1(VALU_DEP_1)
	v_mul_lo_u32 v2, v2, s12
	v_sub_nc_u32_e32 v4, v1, v2
	s_delay_alu instid0(VALU_DEP_1) | instskip(SKIP_1) | instid1(VALU_DEP_2)
	v_mad_u64_u32 v[1:2], null, v4, s2, v[3:4]
	v_mad_u64_u32 v[2:3], null, v4, s3, v[7:8]
	v_mov_b32_e32 v3, v1
	s_delay_alu instid0(VALU_DEP_2)
	v_mov_b32_e32 v7, v2
.LBB121_1090:
	v_cmp_ne_u32_e32 vcc_lo, 1, v0
	v_add_nc_u32_e32 v1, 0x80, v8
	s_cbranch_vccnz .LBB121_1096
; %bb.1091:
	v_mov_b32_e32 v2, 0
	s_waitcnt vmcnt(0)
	v_mov_b32_e32 v6, 0
	s_cmp_lg_u32 s24, 0
	s_mov_b32 s10, 0
	s_cbranch_scc0 .LBB121_1100
; %bb.1092:
	s_min_u32 s11, s25, 15
	v_mov_b32_e32 v2, 0
	s_add_i32 s11, s11, 1
	s_cmp_eq_u32 s25, 2
	s_mov_b32 s12, 0
	s_cbranch_scc1 .LBB121_1097
; %bb.1093:
	v_mov_b32_e32 v6, 0
	v_mov_b32_e32 v2, 0
	;; [unrolled: 1-line block ×3, first 2 shown]
	s_add_u32 s2, s6, 0xc4
	s_addc_u32 s3, s7, 0
	s_and_b32 s12, s11, 28
	s_mov_b32 s13, 0
	s_mov_b64 s[4:5], s[6:7]
.LBB121_1094:                           ; =>This Inner Loop Header: Depth=1
	s_clause 0x1
	s_load_b256 s[16:23], s[4:5], 0x4
	s_load_b128 s[28:31], s[4:5], 0x24
	s_load_b256 s[36:43], s[2:3], 0x0
	s_add_u32 s4, s4, 48
	s_addc_u32 s5, s5, 0
	s_add_i32 s13, s13, 4
	s_add_u32 s2, s2, 32
	s_addc_u32 s3, s3, 0
	s_cmp_lg_u32 s12, s13
	s_waitcnt lgkmcnt(0)
	v_mul_hi_u32 v5, s17, v4
	s_delay_alu instid0(VALU_DEP_1) | instskip(NEXT) | instid1(VALU_DEP_1)
	v_add_nc_u32_e32 v5, v4, v5
	v_lshrrev_b32_e32 v5, s18, v5
	s_delay_alu instid0(VALU_DEP_1) | instskip(SKIP_1) | instid1(VALU_DEP_2)
	v_mul_hi_u32 v10, s20, v5
	v_mul_lo_u32 v12, v5, s16
	v_add_nc_u32_e32 v10, v5, v10
	s_delay_alu instid0(VALU_DEP_2) | instskip(NEXT) | instid1(VALU_DEP_2)
	v_sub_nc_u32_e32 v4, v4, v12
	v_lshrrev_b32_e32 v10, s21, v10
	s_delay_alu instid0(VALU_DEP_2) | instskip(SKIP_1) | instid1(VALU_DEP_3)
	v_mul_lo_u32 v12, v4, s36
	v_mul_lo_u32 v14, v4, s37
	v_mul_hi_u32 v11, s23, v10
	s_delay_alu instid0(VALU_DEP_1) | instskip(NEXT) | instid1(VALU_DEP_1)
	v_add_nc_u32_e32 v11, v10, v11
	v_lshrrev_b32_e32 v11, s28, v11
	s_delay_alu instid0(VALU_DEP_1) | instskip(SKIP_1) | instid1(VALU_DEP_2)
	v_mul_hi_u32 v13, s30, v11
	v_mul_lo_u32 v15, v11, s22
	v_add_nc_u32_e32 v4, v11, v13
	v_mul_lo_u32 v13, v10, s19
	s_delay_alu instid0(VALU_DEP_3) | instskip(NEXT) | instid1(VALU_DEP_3)
	v_sub_nc_u32_e32 v10, v10, v15
	v_lshrrev_b32_e32 v4, s31, v4
	s_delay_alu instid0(VALU_DEP_2) | instskip(SKIP_2) | instid1(VALU_DEP_4)
	v_mul_lo_u32 v15, v10, s40
	v_mul_lo_u32 v10, v10, s41
	v_sub_nc_u32_e32 v5, v5, v13
	v_mul_lo_u32 v16, v4, s29
	s_delay_alu instid0(VALU_DEP_2) | instskip(SKIP_1) | instid1(VALU_DEP_3)
	v_mul_lo_u32 v13, v5, s38
	v_mul_lo_u32 v5, v5, s39
	v_sub_nc_u32_e32 v11, v11, v16
	s_delay_alu instid0(VALU_DEP_3) | instskip(NEXT) | instid1(VALU_DEP_2)
	v_add3_u32 v2, v12, v2, v13
	v_mul_lo_u32 v16, v11, s42
	v_mul_lo_u32 v11, v11, s43
	v_add3_u32 v5, v14, v6, v5
	s_delay_alu instid0(VALU_DEP_3) | instskip(NEXT) | instid1(VALU_DEP_2)
	v_add3_u32 v2, v15, v2, v16
	v_add3_u32 v6, v10, v5, v11
	s_cbranch_scc1 .LBB121_1094
; %bb.1095:
	s_and_b32 s11, s11, 3
	s_delay_alu instid0(SALU_CYCLE_1)
	s_cmp_eq_u32 s11, 0
	s_cbranch_scc0 .LBB121_1098
	s_branch .LBB121_1100
.LBB121_1096:
	s_mov_b32 s10, -1
                                        ; implicit-def: $vgpr2
                                        ; implicit-def: $vgpr6
	s_branch .LBB121_1100
.LBB121_1097:
	v_mov_b32_e32 v4, v1
	v_mov_b32_e32 v6, 0
	s_and_b32 s11, s11, 3
	s_delay_alu instid0(SALU_CYCLE_1)
	s_cmp_eq_u32 s11, 0
	s_cbranch_scc1 .LBB121_1100
.LBB121_1098:
	s_lshl_b32 s2, s12, 3
	s_mul_i32 s4, s12, 12
	s_add_u32 s2, s2, s6
	s_addc_u32 s3, 0, s7
	s_add_u32 s2, s2, 0xc4
	s_addc_u32 s3, s3, 0
	;; [unrolled: 2-line block ×3, first 2 shown]
	.p2align	6
.LBB121_1099:                           ; =>This Inner Loop Header: Depth=1
	s_clause 0x1
	s_load_b64 s[12:13], s[4:5], 0x4
	s_load_b32 s16, s[4:5], 0xc
	s_load_b64 s[14:15], s[2:3], 0x0
	s_add_u32 s4, s4, 12
	s_addc_u32 s5, s5, 0
	s_add_u32 s2, s2, 8
	s_addc_u32 s3, s3, 0
	s_add_i32 s11, s11, -1
	s_delay_alu instid0(SALU_CYCLE_1) | instskip(SKIP_2) | instid1(VALU_DEP_1)
	s_cmp_lg_u32 s11, 0
	s_waitcnt lgkmcnt(0)
	v_mul_hi_u32 v5, s13, v4
	v_add_nc_u32_e32 v5, v4, v5
	s_delay_alu instid0(VALU_DEP_1) | instskip(NEXT) | instid1(VALU_DEP_1)
	v_lshrrev_b32_e32 v5, s16, v5
	v_mul_lo_u32 v10, v5, s12
	s_delay_alu instid0(VALU_DEP_1) | instskip(NEXT) | instid1(VALU_DEP_1)
	v_sub_nc_u32_e32 v4, v4, v10
	v_mad_u64_u32 v[10:11], null, v4, s14, v[2:3]
	v_mad_u64_u32 v[11:12], null, v4, s15, v[6:7]
	v_mov_b32_e32 v4, v5
	s_delay_alu instid0(VALU_DEP_3) | instskip(NEXT) | instid1(VALU_DEP_3)
	v_mov_b32_e32 v2, v10
	v_mov_b32_e32 v6, v11
	s_cbranch_scc1 .LBB121_1099
.LBB121_1100:
	s_and_not1_b32 vcc_lo, exec_lo, s10
	s_cbranch_vccnz .LBB121_1103
; %bb.1101:
	s_clause 0x1
	s_load_b128 s[12:15], s[6:7], 0x4
	s_load_b64 s[2:3], s[6:7], 0xc4
	s_cmp_lt_u32 s24, 2
	s_waitcnt lgkmcnt(0)
	v_mul_hi_u32 v2, s13, v1
	s_delay_alu instid0(VALU_DEP_1) | instskip(NEXT) | instid1(VALU_DEP_1)
	v_add_nc_u32_e32 v2, v1, v2
	v_lshrrev_b32_e32 v4, s14, v2
	s_delay_alu instid0(VALU_DEP_1) | instskip(NEXT) | instid1(VALU_DEP_1)
	v_mul_lo_u32 v2, v4, s12
	v_sub_nc_u32_e32 v1, v1, v2
	s_delay_alu instid0(VALU_DEP_1)
	v_mul_lo_u32 v2, v1, s2
	s_waitcnt vmcnt(0)
	v_mul_lo_u32 v6, v1, s3
	s_cbranch_scc1 .LBB121_1103
; %bb.1102:
	s_clause 0x1
	s_load_b128 s[12:15], s[6:7], 0x10
	s_load_b64 s[2:3], s[6:7], 0xcc
	s_waitcnt lgkmcnt(0)
	v_mul_hi_u32 v1, s13, v4
	s_delay_alu instid0(VALU_DEP_1) | instskip(NEXT) | instid1(VALU_DEP_1)
	v_add_nc_u32_e32 v1, v4, v1
	v_lshrrev_b32_e32 v1, s14, v1
	s_delay_alu instid0(VALU_DEP_1) | instskip(NEXT) | instid1(VALU_DEP_1)
	v_mul_lo_u32 v1, v1, s12
	v_sub_nc_u32_e32 v10, v4, v1
	s_delay_alu instid0(VALU_DEP_1) | instskip(SKIP_1) | instid1(VALU_DEP_2)
	v_mad_u64_u32 v[4:5], null, v10, s2, v[2:3]
	v_mad_u64_u32 v[1:2], null, v10, s3, v[6:7]
	v_mov_b32_e32 v2, v4
	s_delay_alu instid0(VALU_DEP_2)
	v_mov_b32_e32 v6, v1
.LBB121_1103:
	v_cmp_ne_u32_e32 vcc_lo, 1, v0
	v_add_nc_u32_e32 v4, 0x100, v8
	s_cbranch_vccnz .LBB121_1109
; %bb.1104:
	v_mov_b32_e32 v1, 0
	v_mov_b32_e32 v5, 0
	s_cmp_lg_u32 s24, 0
	s_mov_b32 s10, 0
	s_cbranch_scc0 .LBB121_1113
; %bb.1105:
	s_min_u32 s11, s25, 15
	v_mov_b32_e32 v1, 0
	s_add_i32 s11, s11, 1
	s_cmp_eq_u32 s25, 2
	s_mov_b32 s12, 0
	s_cbranch_scc1 .LBB121_1110
; %bb.1106:
	v_dual_mov_b32 v5, 0 :: v_dual_mov_b32 v8, v4
	v_mov_b32_e32 v1, 0
	s_add_u32 s2, s6, 0xc4
	s_addc_u32 s3, s7, 0
	s_and_b32 s12, s11, 28
	s_mov_b32 s13, 0
	s_mov_b64 s[4:5], s[6:7]
.LBB121_1107:                           ; =>This Inner Loop Header: Depth=1
	s_clause 0x1
	s_load_b256 s[16:23], s[4:5], 0x4
	s_load_b128 s[28:31], s[4:5], 0x24
	s_load_b256 s[36:43], s[2:3], 0x0
	s_add_u32 s4, s4, 48
	s_addc_u32 s5, s5, 0
	s_add_i32 s13, s13, 4
	s_add_u32 s2, s2, 32
	s_addc_u32 s3, s3, 0
	s_cmp_lg_u32 s12, s13
	s_waitcnt lgkmcnt(0)
	v_mul_hi_u32 v10, s17, v8
	s_delay_alu instid0(VALU_DEP_1) | instskip(NEXT) | instid1(VALU_DEP_1)
	v_add_nc_u32_e32 v10, v8, v10
	v_lshrrev_b32_e32 v10, s18, v10
	s_delay_alu instid0(VALU_DEP_1) | instskip(SKIP_1) | instid1(VALU_DEP_2)
	v_mul_hi_u32 v11, s20, v10
	v_mul_lo_u32 v13, v10, s16
	v_add_nc_u32_e32 v11, v10, v11
	s_delay_alu instid0(VALU_DEP_2) | instskip(NEXT) | instid1(VALU_DEP_2)
	v_sub_nc_u32_e32 v8, v8, v13
	v_lshrrev_b32_e32 v11, s21, v11
	s_delay_alu instid0(VALU_DEP_2) | instskip(SKIP_1) | instid1(VALU_DEP_3)
	v_mul_lo_u32 v13, v8, s36
	v_mul_lo_u32 v15, v8, s37
	v_mul_hi_u32 v12, s23, v11
	s_delay_alu instid0(VALU_DEP_1) | instskip(NEXT) | instid1(VALU_DEP_1)
	v_add_nc_u32_e32 v12, v11, v12
	v_lshrrev_b32_e32 v12, s28, v12
	s_delay_alu instid0(VALU_DEP_1) | instskip(SKIP_1) | instid1(VALU_DEP_2)
	v_mul_hi_u32 v14, s30, v12
	v_mul_lo_u32 v16, v12, s22
	v_add_nc_u32_e32 v8, v12, v14
	v_mul_lo_u32 v14, v11, s19
	s_delay_alu instid0(VALU_DEP_3) | instskip(NEXT) | instid1(VALU_DEP_3)
	v_sub_nc_u32_e32 v11, v11, v16
	v_lshrrev_b32_e32 v8, s31, v8
	s_delay_alu instid0(VALU_DEP_2) | instskip(SKIP_2) | instid1(VALU_DEP_4)
	v_mul_lo_u32 v16, v11, s40
	v_mul_lo_u32 v11, v11, s41
	v_sub_nc_u32_e32 v10, v10, v14
	v_mul_lo_u32 v17, v8, s29
	s_delay_alu instid0(VALU_DEP_2) | instskip(SKIP_1) | instid1(VALU_DEP_3)
	v_mul_lo_u32 v14, v10, s38
	v_mul_lo_u32 v10, v10, s39
	v_sub_nc_u32_e32 v12, v12, v17
	s_delay_alu instid0(VALU_DEP_3) | instskip(NEXT) | instid1(VALU_DEP_2)
	v_add3_u32 v1, v13, v1, v14
	v_mul_lo_u32 v17, v12, s42
	v_mul_lo_u32 v12, v12, s43
	v_add3_u32 v5, v15, v5, v10
	s_delay_alu instid0(VALU_DEP_3) | instskip(NEXT) | instid1(VALU_DEP_2)
	v_add3_u32 v1, v16, v1, v17
	v_add3_u32 v5, v11, v5, v12
	s_cbranch_scc1 .LBB121_1107
; %bb.1108:
	s_and_b32 s11, s11, 3
	s_delay_alu instid0(SALU_CYCLE_1)
	s_cmp_eq_u32 s11, 0
	s_cbranch_scc0 .LBB121_1111
	s_branch .LBB121_1113
.LBB121_1109:
	s_mov_b32 s10, -1
                                        ; implicit-def: $vgpr1
                                        ; implicit-def: $vgpr5
	s_branch .LBB121_1113
.LBB121_1110:
	v_dual_mov_b32 v8, v4 :: v_dual_mov_b32 v5, 0
	s_and_b32 s11, s11, 3
	s_delay_alu instid0(SALU_CYCLE_1)
	s_cmp_eq_u32 s11, 0
	s_cbranch_scc1 .LBB121_1113
.LBB121_1111:
	s_lshl_b32 s2, s12, 3
	s_mul_i32 s4, s12, 12
	s_add_u32 s2, s2, s6
	s_addc_u32 s3, 0, s7
	s_add_u32 s2, s2, 0xc4
	s_addc_u32 s3, s3, 0
	;; [unrolled: 2-line block ×3, first 2 shown]
	.p2align	6
.LBB121_1112:                           ; =>This Inner Loop Header: Depth=1
	s_clause 0x1
	s_load_b64 s[12:13], s[4:5], 0x4
	s_load_b32 s16, s[4:5], 0xc
	s_load_b64 s[14:15], s[2:3], 0x0
	s_add_u32 s4, s4, 12
	s_addc_u32 s5, s5, 0
	s_add_u32 s2, s2, 8
	s_addc_u32 s3, s3, 0
	s_add_i32 s11, s11, -1
	s_delay_alu instid0(SALU_CYCLE_1) | instskip(SKIP_2) | instid1(VALU_DEP_1)
	s_cmp_lg_u32 s11, 0
	s_waitcnt lgkmcnt(0)
	v_mul_hi_u32 v10, s13, v8
	v_add_nc_u32_e32 v10, v8, v10
	s_delay_alu instid0(VALU_DEP_1) | instskip(NEXT) | instid1(VALU_DEP_1)
	v_lshrrev_b32_e32 v13, s16, v10
	v_mul_lo_u32 v10, v13, s12
	s_delay_alu instid0(VALU_DEP_1) | instskip(NEXT) | instid1(VALU_DEP_1)
	v_sub_nc_u32_e32 v8, v8, v10
	v_mad_u64_u32 v[10:11], null, v8, s14, v[1:2]
	s_waitcnt vmcnt(0)
	v_mad_u64_u32 v[11:12], null, v8, s15, v[5:6]
	s_delay_alu instid0(VALU_DEP_2) | instskip(NEXT) | instid1(VALU_DEP_2)
	v_dual_mov_b32 v8, v13 :: v_dual_mov_b32 v1, v10
	v_mov_b32_e32 v5, v11
	s_cbranch_scc1 .LBB121_1112
.LBB121_1113:
	s_and_not1_b32 vcc_lo, exec_lo, s10
	s_cbranch_vccnz .LBB121_1116
; %bb.1114:
	s_clause 0x1
	s_load_b128 s[12:15], s[6:7], 0x4
	s_load_b64 s[2:3], s[6:7], 0xc4
	s_cmp_lt_u32 s24, 2
	s_waitcnt lgkmcnt(0)
	v_mul_hi_u32 v1, s13, v4
	s_delay_alu instid0(VALU_DEP_1) | instskip(NEXT) | instid1(VALU_DEP_1)
	v_add_nc_u32_e32 v1, v4, v1
	v_lshrrev_b32_e32 v8, s14, v1
	s_delay_alu instid0(VALU_DEP_1) | instskip(NEXT) | instid1(VALU_DEP_1)
	v_mul_lo_u32 v1, v8, s12
	v_sub_nc_u32_e32 v4, v4, v1
	s_delay_alu instid0(VALU_DEP_1)
	v_mul_lo_u32 v1, v4, s2
	v_mul_lo_u32 v5, v4, s3
	s_cbranch_scc1 .LBB121_1116
; %bb.1115:
	s_clause 0x1
	s_load_b128 s[12:15], s[6:7], 0x10
	s_load_b64 s[2:3], s[6:7], 0xcc
	s_waitcnt lgkmcnt(0)
	v_mul_hi_u32 v4, s13, v8
	s_delay_alu instid0(VALU_DEP_1) | instskip(NEXT) | instid1(VALU_DEP_1)
	v_add_nc_u32_e32 v4, v8, v4
	v_lshrrev_b32_e32 v4, s14, v4
	s_delay_alu instid0(VALU_DEP_1) | instskip(NEXT) | instid1(VALU_DEP_1)
	v_mul_lo_u32 v4, v4, s12
	v_sub_nc_u32_e32 v4, v8, v4
	s_delay_alu instid0(VALU_DEP_1) | instskip(SKIP_2) | instid1(VALU_DEP_2)
	v_mad_u64_u32 v[10:11], null, v4, s2, v[1:2]
	s_waitcnt vmcnt(0)
	v_mad_u64_u32 v[11:12], null, v4, s3, v[5:6]
	v_mov_b32_e32 v1, v10
	s_delay_alu instid0(VALU_DEP_2)
	v_mov_b32_e32 v5, v11
.LBB121_1116:
	v_cmp_ne_u32_e32 vcc_lo, 1, v0
	s_cbranch_vccnz .LBB121_1122
; %bb.1117:
	v_mov_b32_e32 v0, 0
	v_mov_b32_e32 v4, 0
	s_cmp_lg_u32 s24, 0
	s_mov_b32 s10, 0
	s_cbranch_scc0 .LBB121_1126
; %bb.1118:
	s_min_u32 s11, s25, 15
	v_mov_b32_e32 v0, 0
	s_add_i32 s11, s11, 1
	s_cmp_eq_u32 s25, 2
	s_mov_b32 s12, 0
	s_cbranch_scc1 .LBB121_1123
; %bb.1119:
	v_mov_b32_e32 v4, 0
	v_mov_b32_e32 v0, 0
	;; [unrolled: 1-line block ×3, first 2 shown]
	s_add_u32 s2, s6, 0xc4
	s_addc_u32 s3, s7, 0
	s_and_b32 s12, s11, 28
	s_mov_b32 s13, 0
	s_mov_b64 s[4:5], s[6:7]
.LBB121_1120:                           ; =>This Inner Loop Header: Depth=1
	s_clause 0x1
	s_load_b256 s[16:23], s[4:5], 0x4
	s_load_b128 s[28:31], s[4:5], 0x24
	s_load_b256 s[36:43], s[2:3], 0x0
	s_add_u32 s4, s4, 48
	s_addc_u32 s5, s5, 0
	s_add_i32 s13, s13, 4
	s_add_u32 s2, s2, 32
	s_addc_u32 s3, s3, 0
	s_cmp_lg_u32 s12, s13
	s_waitcnt lgkmcnt(0)
	v_mul_hi_u32 v10, s17, v8
	s_delay_alu instid0(VALU_DEP_1) | instskip(NEXT) | instid1(VALU_DEP_1)
	v_add_nc_u32_e32 v10, v8, v10
	v_lshrrev_b32_e32 v10, s18, v10
	s_delay_alu instid0(VALU_DEP_1) | instskip(SKIP_1) | instid1(VALU_DEP_2)
	v_mul_hi_u32 v11, s20, v10
	v_mul_lo_u32 v13, v10, s16
	v_add_nc_u32_e32 v11, v10, v11
	s_delay_alu instid0(VALU_DEP_2) | instskip(NEXT) | instid1(VALU_DEP_2)
	v_sub_nc_u32_e32 v8, v8, v13
	v_lshrrev_b32_e32 v11, s21, v11
	s_delay_alu instid0(VALU_DEP_2) | instskip(SKIP_1) | instid1(VALU_DEP_3)
	v_mul_lo_u32 v13, v8, s36
	v_mul_lo_u32 v15, v8, s37
	v_mul_hi_u32 v12, s23, v11
	s_delay_alu instid0(VALU_DEP_1) | instskip(NEXT) | instid1(VALU_DEP_1)
	v_add_nc_u32_e32 v12, v11, v12
	v_lshrrev_b32_e32 v12, s28, v12
	s_delay_alu instid0(VALU_DEP_1) | instskip(SKIP_1) | instid1(VALU_DEP_2)
	v_mul_hi_u32 v14, s30, v12
	v_mul_lo_u32 v16, v12, s22
	v_add_nc_u32_e32 v8, v12, v14
	v_mul_lo_u32 v14, v11, s19
	s_delay_alu instid0(VALU_DEP_3) | instskip(NEXT) | instid1(VALU_DEP_3)
	v_sub_nc_u32_e32 v11, v11, v16
	v_lshrrev_b32_e32 v8, s31, v8
	s_delay_alu instid0(VALU_DEP_2) | instskip(SKIP_2) | instid1(VALU_DEP_4)
	v_mul_lo_u32 v16, v11, s40
	v_mul_lo_u32 v11, v11, s41
	v_sub_nc_u32_e32 v10, v10, v14
	v_mul_lo_u32 v17, v8, s29
	s_delay_alu instid0(VALU_DEP_2) | instskip(SKIP_1) | instid1(VALU_DEP_3)
	v_mul_lo_u32 v14, v10, s38
	v_mul_lo_u32 v10, v10, s39
	v_sub_nc_u32_e32 v12, v12, v17
	s_delay_alu instid0(VALU_DEP_3) | instskip(NEXT) | instid1(VALU_DEP_2)
	v_add3_u32 v0, v13, v0, v14
	v_mul_lo_u32 v17, v12, s42
	v_mul_lo_u32 v12, v12, s43
	v_add3_u32 v4, v15, v4, v10
	s_delay_alu instid0(VALU_DEP_3) | instskip(NEXT) | instid1(VALU_DEP_2)
	v_add3_u32 v0, v16, v0, v17
	v_add3_u32 v4, v11, v4, v12
	s_cbranch_scc1 .LBB121_1120
; %bb.1121:
	s_and_b32 s11, s11, 3
	s_delay_alu instid0(SALU_CYCLE_1)
	s_cmp_eq_u32 s11, 0
	s_cbranch_scc0 .LBB121_1124
	s_branch .LBB121_1126
.LBB121_1122:
	s_mov_b32 s10, -1
                                        ; implicit-def: $vgpr0
                                        ; implicit-def: $vgpr4
	s_branch .LBB121_1126
.LBB121_1123:
	v_mov_b32_e32 v8, v9
	v_mov_b32_e32 v4, 0
	s_and_b32 s11, s11, 3
	s_delay_alu instid0(SALU_CYCLE_1)
	s_cmp_eq_u32 s11, 0
	s_cbranch_scc1 .LBB121_1126
.LBB121_1124:
	s_lshl_b32 s2, s12, 3
	s_mul_i32 s4, s12, 12
	s_add_u32 s2, s2, s6
	s_addc_u32 s3, 0, s7
	s_add_u32 s2, s2, 0xc4
	s_addc_u32 s3, s3, 0
	;; [unrolled: 2-line block ×3, first 2 shown]
	.p2align	6
.LBB121_1125:                           ; =>This Inner Loop Header: Depth=1
	s_clause 0x1
	s_load_b64 s[12:13], s[4:5], 0x4
	s_load_b32 s16, s[4:5], 0xc
	s_load_b64 s[14:15], s[2:3], 0x0
	s_add_u32 s4, s4, 12
	s_addc_u32 s5, s5, 0
	s_add_u32 s2, s2, 8
	s_addc_u32 s3, s3, 0
	s_add_i32 s11, s11, -1
	s_delay_alu instid0(SALU_CYCLE_1) | instskip(SKIP_2) | instid1(VALU_DEP_1)
	s_cmp_lg_u32 s11, 0
	s_waitcnt lgkmcnt(0)
	v_mul_hi_u32 v10, s13, v8
	v_add_nc_u32_e32 v10, v8, v10
	s_delay_alu instid0(VALU_DEP_1) | instskip(NEXT) | instid1(VALU_DEP_1)
	v_lshrrev_b32_e32 v13, s16, v10
	v_mul_lo_u32 v10, v13, s12
	s_delay_alu instid0(VALU_DEP_1) | instskip(NEXT) | instid1(VALU_DEP_1)
	v_sub_nc_u32_e32 v8, v8, v10
	v_mad_u64_u32 v[10:11], null, v8, s14, v[0:1]
	v_mad_u64_u32 v[11:12], null, v8, s15, v[4:5]
	v_mov_b32_e32 v8, v13
	s_delay_alu instid0(VALU_DEP_3) | instskip(NEXT) | instid1(VALU_DEP_3)
	v_mov_b32_e32 v0, v10
	v_mov_b32_e32 v4, v11
	s_cbranch_scc1 .LBB121_1125
.LBB121_1126:
	s_and_not1_b32 vcc_lo, exec_lo, s10
	s_cbranch_vccnz .LBB121_1129
; %bb.1127:
	s_clause 0x1
	s_load_b128 s[12:15], s[6:7], 0x4
	s_load_b64 s[2:3], s[6:7], 0xc4
	s_cmp_lt_u32 s24, 2
	s_waitcnt lgkmcnt(0)
	v_mul_hi_u32 v0, s13, v9
	s_delay_alu instid0(VALU_DEP_1) | instskip(NEXT) | instid1(VALU_DEP_1)
	v_add_nc_u32_e32 v0, v9, v0
	v_lshrrev_b32_e32 v8, s14, v0
	s_delay_alu instid0(VALU_DEP_1) | instskip(NEXT) | instid1(VALU_DEP_1)
	v_mul_lo_u32 v0, v8, s12
	v_sub_nc_u32_e32 v4, v9, v0
	s_delay_alu instid0(VALU_DEP_1)
	v_mul_lo_u32 v0, v4, s2
	v_mul_lo_u32 v4, v4, s3
	s_cbranch_scc1 .LBB121_1129
; %bb.1128:
	s_clause 0x1
	s_load_b128 s[12:15], s[6:7], 0x10
	s_load_b64 s[2:3], s[6:7], 0xcc
	s_waitcnt lgkmcnt(0)
	v_mul_hi_u32 v9, s13, v8
	s_delay_alu instid0(VALU_DEP_1) | instskip(NEXT) | instid1(VALU_DEP_1)
	v_add_nc_u32_e32 v9, v8, v9
	v_lshrrev_b32_e32 v9, s14, v9
	s_delay_alu instid0(VALU_DEP_1) | instskip(NEXT) | instid1(VALU_DEP_1)
	v_mul_lo_u32 v9, v9, s12
	v_sub_nc_u32_e32 v11, v8, v9
	s_delay_alu instid0(VALU_DEP_1) | instskip(SKIP_1) | instid1(VALU_DEP_2)
	v_mad_u64_u32 v[8:9], null, v11, s2, v[0:1]
	v_mad_u64_u32 v[9:10], null, v11, s3, v[4:5]
	v_mov_b32_e32 v0, v8
	s_delay_alu instid0(VALU_DEP_2)
	v_mov_b32_e32 v4, v9
.LBB121_1129:
	s_clause 0x1
	s_load_b32 s0, s[0:1], 0x160
	s_load_b128 s[4:7], s[6:7], 0x148
	s_mov_b32 s10, 0
	s_waitcnt lgkmcnt(0)
	s_lshr_b32 s1, s0, 16
	s_delay_alu instid0(SALU_CYCLE_1) | instskip(SKIP_1) | instid1(VALU_DEP_1)
	v_and_b32_e64 v9, 0xff, s1
	v_add_co_u32 v7, s1, s6, v7
	v_add_co_ci_u32_e64 v8, null, s7, 0, s1
	s_delay_alu instid0(VALU_DEP_3)
	v_cmp_gt_i16_e32 vcc_lo, 11, v9
	s_cbranch_vccnz .LBB121_1136
; %bb.1130:
	v_cmp_lt_i16_e32 vcc_lo, 25, v9
	s_mov_b32 s2, 0
	s_cbranch_vccz .LBB121_1142
; %bb.1131:
	v_cmp_lt_i16_e32 vcc_lo, 28, v9
	s_cbranch_vccz .LBB121_1144
; %bb.1132:
	v_cmp_lt_i16_e32 vcc_lo, 43, v9
	;; [unrolled: 3-line block ×3, first 2 shown]
	s_cbranch_vccz .LBB121_1150
; %bb.1134:
	v_cmp_eq_u16_e32 vcc_lo, 46, v9
	s_mov_b32 s3, 0
	s_cbranch_vccz .LBB121_1192
; %bb.1135:
	global_load_b32 v10, v[7:8], off
	s_mov_b32 s1, 0
	s_mov_b32 s10, -1
	s_waitcnt vmcnt(0)
	v_lshlrev_b32_e32 v12, 16, v10
	s_branch .LBB121_1194
.LBB121_1136:
	s_mov_b32 s3, s8
                                        ; implicit-def: $vgpr12
	s_cbranch_execz .LBB121_1257
; %bb.1137:
	v_cmp_gt_i16_e32 vcc_lo, 5, v9
	s_cbranch_vccnz .LBB121_1143
; %bb.1138:
	v_cmp_gt_i16_e32 vcc_lo, 8, v9
	s_cbranch_vccnz .LBB121_1145
	;; [unrolled: 3-line block ×3, first 2 shown]
; %bb.1140:
	v_cmp_lt_i16_e32 vcc_lo, 9, v9
	s_cbranch_vccz .LBB121_1151
; %bb.1141:
	global_load_b64 v[10:11], v[7:8], off
	s_mov_b32 s1, 0
	s_waitcnt vmcnt(0)
	v_cvt_f32_f64_e32 v12, v[10:11]
	s_branch .LBB121_1152
.LBB121_1142:
	s_mov_b32 s1, 0
                                        ; implicit-def: $vgpr12
	s_cbranch_execnz .LBB121_1222
	s_branch .LBB121_1253
.LBB121_1143:
                                        ; implicit-def: $vgpr12
	s_branch .LBB121_1169
.LBB121_1144:
	s_mov_b32 s3, -1
	s_mov_b32 s1, 0
                                        ; implicit-def: $vgpr12
	s_branch .LBB121_1203
.LBB121_1145:
                                        ; implicit-def: $vgpr12
	s_branch .LBB121_1158
.LBB121_1146:
	s_mov_b32 s1, 0
                                        ; implicit-def: $vgpr12
	s_cbranch_execnz .LBB121_1199
	s_branch .LBB121_1202
.LBB121_1147:
	s_mov_b32 s1, -1
                                        ; implicit-def: $vgpr12
	s_branch .LBB121_1155
.LBB121_1148:
	s_cbranch_execnz .LBB121_1190
; %bb.1149:
	s_or_b32 s5, s5, exec_lo
	s_and_not1_b32 s4, s4, exec_lo
	s_or_b32 exec_lo, exec_lo, s2
	s_and_saveexec_b32 s2, s4
	s_delay_alu instid0(SALU_CYCLE_1)
	s_xor_b32 s2, exec_lo, s2
	s_cbranch_execnz .LBB121_1036
	s_branch .LBB121_1037
.LBB121_1150:
	s_mov_b32 s3, -1
	s_mov_b32 s1, 0
	s_branch .LBB121_1193
.LBB121_1151:
	s_mov_b32 s1, -1
                                        ; implicit-def: $vgpr12
.LBB121_1152:
	s_delay_alu instid0(SALU_CYCLE_1)
	s_and_not1_b32 vcc_lo, exec_lo, s1
	s_cbranch_vccnz .LBB121_1154
; %bb.1153:
	global_load_b32 v12, v[7:8], off
.LBB121_1154:
	s_mov_b32 s1, 0
.LBB121_1155:
	s_delay_alu instid0(SALU_CYCLE_1)
	s_and_not1_b32 vcc_lo, exec_lo, s1
	s_cbranch_vccnz .LBB121_1157
; %bb.1156:
	global_load_b32 v10, v[7:8], off
	s_waitcnt vmcnt(0)
	v_cvt_f32_f16_e32 v12, v10
.LBB121_1157:
	s_cbranch_execnz .LBB121_1168
.LBB121_1158:
	v_cmp_gt_i16_e32 vcc_lo, 6, v9
	s_cbranch_vccnz .LBB121_1161
; %bb.1159:
	v_cmp_lt_i16_e32 vcc_lo, 6, v9
	s_cbranch_vccz .LBB121_1162
; %bb.1160:
	global_load_b64 v[10:11], v[7:8], off
	s_mov_b32 s1, 0
	s_waitcnt vmcnt(0)
	v_cvt_f32_f64_e32 v12, v[10:11]
	s_branch .LBB121_1163
.LBB121_1161:
	s_mov_b32 s1, -1
                                        ; implicit-def: $vgpr12
	s_branch .LBB121_1166
.LBB121_1162:
	s_mov_b32 s1, -1
                                        ; implicit-def: $vgpr12
.LBB121_1163:
	s_delay_alu instid0(SALU_CYCLE_1)
	s_and_not1_b32 vcc_lo, exec_lo, s1
	s_cbranch_vccnz .LBB121_1165
; %bb.1164:
	global_load_b32 v12, v[7:8], off
.LBB121_1165:
	s_mov_b32 s1, 0
.LBB121_1166:
	s_delay_alu instid0(SALU_CYCLE_1)
	s_and_not1_b32 vcc_lo, exec_lo, s1
	s_cbranch_vccnz .LBB121_1168
; %bb.1167:
	global_load_u16 v10, v[7:8], off
	s_waitcnt vmcnt(0)
	v_cvt_f32_f16_e32 v12, v10
.LBB121_1168:
	s_cbranch_execnz .LBB121_1187
.LBB121_1169:
	v_cmp_gt_i16_e32 vcc_lo, 2, v9
	s_cbranch_vccnz .LBB121_1173
; %bb.1170:
	v_cmp_gt_i16_e32 vcc_lo, 3, v9
	s_cbranch_vccnz .LBB121_1174
; %bb.1171:
	v_cmp_lt_i16_e32 vcc_lo, 3, v9
	s_cbranch_vccz .LBB121_1175
; %bb.1172:
	global_load_b64 v[10:11], v[7:8], off
	s_mov_b32 s1, 0
	s_waitcnt vmcnt(0)
	v_xor_b32_e32 v12, v10, v11
	v_cls_i32_e32 v13, v11
	s_delay_alu instid0(VALU_DEP_2) | instskip(NEXT) | instid1(VALU_DEP_2)
	v_ashrrev_i32_e32 v12, 31, v12
	v_add_nc_u32_e32 v13, -1, v13
	s_delay_alu instid0(VALU_DEP_2) | instskip(NEXT) | instid1(VALU_DEP_1)
	v_add_nc_u32_e32 v12, 32, v12
	v_min_u32_e32 v12, v13, v12
	s_delay_alu instid0(VALU_DEP_1) | instskip(NEXT) | instid1(VALU_DEP_1)
	v_lshlrev_b64 v[10:11], v12, v[10:11]
	v_min_u32_e32 v10, 1, v10
	s_delay_alu instid0(VALU_DEP_1) | instskip(SKIP_1) | instid1(VALU_DEP_2)
	v_or_b32_e32 v10, v11, v10
	v_sub_nc_u32_e32 v11, 32, v12
	v_cvt_f32_i32_e32 v10, v10
	s_delay_alu instid0(VALU_DEP_1)
	v_ldexp_f32 v12, v10, v11
	s_branch .LBB121_1176
.LBB121_1173:
                                        ; implicit-def: $vgpr12
	s_branch .LBB121_1182
.LBB121_1174:
	s_mov_b32 s1, -1
                                        ; implicit-def: $vgpr12
	s_branch .LBB121_1179
.LBB121_1175:
	s_mov_b32 s1, -1
                                        ; implicit-def: $vgpr12
.LBB121_1176:
	s_delay_alu instid0(SALU_CYCLE_1)
	s_and_not1_b32 vcc_lo, exec_lo, s1
	s_cbranch_vccnz .LBB121_1178
; %bb.1177:
	global_load_b32 v10, v[7:8], off
	s_waitcnt vmcnt(0)
	v_cvt_f32_i32_e32 v12, v10
.LBB121_1178:
	s_mov_b32 s1, 0
.LBB121_1179:
	s_delay_alu instid0(SALU_CYCLE_1)
	s_and_not1_b32 vcc_lo, exec_lo, s1
	s_cbranch_vccnz .LBB121_1181
; %bb.1180:
	global_load_i16 v10, v[7:8], off
	s_waitcnt vmcnt(0)
	v_cvt_f32_i32_e32 v12, v10
.LBB121_1181:
	s_cbranch_execnz .LBB121_1187
.LBB121_1182:
	v_cmp_lt_i16_e32 vcc_lo, 0, v9
	s_mov_b32 s1, 0
	s_cbranch_vccz .LBB121_1184
; %bb.1183:
	global_load_i8 v10, v[7:8], off
	s_waitcnt vmcnt(0)
	v_cvt_f32_i32_e32 v12, v10
	s_branch .LBB121_1185
.LBB121_1184:
	s_mov_b32 s1, -1
                                        ; implicit-def: $vgpr12
.LBB121_1185:
	s_delay_alu instid0(SALU_CYCLE_1)
	s_and_not1_b32 vcc_lo, exec_lo, s1
	s_cbranch_vccnz .LBB121_1187
; %bb.1186:
	global_load_u8 v7, v[7:8], off
	s_waitcnt vmcnt(0)
	v_cvt_f32_ubyte0_e32 v12, v7
.LBB121_1187:
	s_branch .LBB121_1258
.LBB121_1188:
	s_trap 2
	s_sendmsg_rtn_b32 s0, sendmsg(MSG_RTN_GET_DOORBELL)
	s_mov_b32 ttmp2, m0
	s_waitcnt lgkmcnt(0)
	s_and_b32 s0, s0, 0x3ff
	s_delay_alu instid0(SALU_CYCLE_1) | instskip(NEXT) | instid1(SALU_CYCLE_1)
	s_bitset1_b32 s0, 10
	s_mov_b32 m0, s0
	s_sendmsg sendmsg(MSG_INTERRUPT)
	s_mov_b32 m0, ttmp2
.LBB121_1189:                           ; =>This Inner Loop Header: Depth=1
	s_sethalt 5
	s_branch .LBB121_1189
.LBB121_1190:
	s_trap 2
	s_sendmsg_rtn_b32 s0, sendmsg(MSG_RTN_GET_DOORBELL)
	s_mov_b32 ttmp2, m0
	s_waitcnt lgkmcnt(0)
	s_and_b32 s0, s0, 0x3ff
	s_delay_alu instid0(SALU_CYCLE_1) | instskip(NEXT) | instid1(SALU_CYCLE_1)
	s_bitset1_b32 s0, 10
	s_mov_b32 m0, s0
	s_sendmsg sendmsg(MSG_INTERRUPT)
	s_mov_b32 m0, ttmp2
.LBB121_1191:                           ; =>This Inner Loop Header: Depth=1
	s_sethalt 5
	s_branch .LBB121_1191
.LBB121_1192:
	s_mov_b32 s1, -1
.LBB121_1193:
                                        ; implicit-def: $vgpr12
.LBB121_1194:
	s_and_b32 vcc_lo, exec_lo, s3
	s_cbranch_vccz .LBB121_1197
; %bb.1195:
	v_cmp_eq_u16_e32 vcc_lo, 44, v9
	s_cbranch_vccz .LBB121_1198
; %bb.1196:
	global_load_u8 v10, v[7:8], off
	s_mov_b32 s1, 0
	s_mov_b32 s10, -1
	s_waitcnt vmcnt(0)
	v_lshlrev_b32_e32 v11, 23, v10
	v_cmp_ne_u32_e32 vcc_lo, 0xff, v10
	s_delay_alu instid0(VALU_DEP_2) | instskip(SKIP_1) | instid1(VALU_DEP_2)
	v_cndmask_b32_e32 v11, 0x7f800001, v11, vcc_lo
	v_cmp_ne_u32_e32 vcc_lo, 0, v10
	v_cndmask_b32_e32 v12, 0x400000, v11, vcc_lo
.LBB121_1197:
	s_branch .LBB121_1202
.LBB121_1198:
	s_mov_b32 s1, -1
                                        ; implicit-def: $vgpr12
	s_branch .LBB121_1202
.LBB121_1199:
	v_cmp_eq_u16_e32 vcc_lo, 29, v9
	s_cbranch_vccz .LBB121_1201
; %bb.1200:
	global_load_b64 v[10:11], v[7:8], off
	s_mov_b32 s1, 0
	s_mov_b32 s10, -1
	s_mov_b32 s3, 0
	s_waitcnt vmcnt(0)
	v_clz_i32_u32_e32 v12, v11
	s_delay_alu instid0(VALU_DEP_1) | instskip(NEXT) | instid1(VALU_DEP_1)
	v_min_u32_e32 v12, 32, v12
	v_lshlrev_b64 v[10:11], v12, v[10:11]
	s_delay_alu instid0(VALU_DEP_1) | instskip(NEXT) | instid1(VALU_DEP_1)
	v_min_u32_e32 v10, 1, v10
	v_or_b32_e32 v10, v11, v10
	v_sub_nc_u32_e32 v11, 32, v12
	s_delay_alu instid0(VALU_DEP_2) | instskip(NEXT) | instid1(VALU_DEP_1)
	v_cvt_f32_u32_e32 v10, v10
	v_ldexp_f32 v12, v10, v11
	s_branch .LBB121_1203
.LBB121_1201:
	s_mov_b32 s1, -1
                                        ; implicit-def: $vgpr12
.LBB121_1202:
	s_mov_b32 s3, 0
.LBB121_1203:
	s_delay_alu instid0(SALU_CYCLE_1)
	s_and_b32 vcc_lo, exec_lo, s3
	s_cbranch_vccz .LBB121_1221
; %bb.1204:
	v_cmp_gt_i16_e32 vcc_lo, 27, v9
	s_cbranch_vccnz .LBB121_1207
; %bb.1205:
	v_cmp_lt_i16_e32 vcc_lo, 27, v9
	s_cbranch_vccz .LBB121_1208
; %bb.1206:
	global_load_b32 v10, v[7:8], off
	s_mov_b32 s3, 0
	s_waitcnt vmcnt(0)
	v_cvt_f32_u32_e32 v12, v10
	s_branch .LBB121_1209
.LBB121_1207:
	s_mov_b32 s3, -1
                                        ; implicit-def: $vgpr12
	s_branch .LBB121_1212
.LBB121_1208:
	s_mov_b32 s3, -1
                                        ; implicit-def: $vgpr12
.LBB121_1209:
	s_delay_alu instid0(SALU_CYCLE_1)
	s_and_not1_b32 vcc_lo, exec_lo, s3
	s_cbranch_vccnz .LBB121_1211
; %bb.1210:
	global_load_u16 v10, v[7:8], off
	s_waitcnt vmcnt(0)
	v_cvt_f32_u32_e32 v12, v10
.LBB121_1211:
	s_mov_b32 s3, 0
.LBB121_1212:
	s_delay_alu instid0(SALU_CYCLE_1)
	s_and_not1_b32 vcc_lo, exec_lo, s3
	s_cbranch_vccnz .LBB121_1220
; %bb.1213:
	global_load_u8 v10, v[7:8], off
	s_mov_b32 s3, 0
	s_mov_b32 s11, exec_lo
                                        ; implicit-def: $sgpr10
	s_waitcnt vmcnt(0)
	v_cmpx_lt_i16_e32 0x7f, v10
	s_xor_b32 s11, exec_lo, s11
	s_cbranch_execz .LBB121_1233
; %bb.1214:
	s_mov_b32 s3, -1
	s_mov_b32 s12, exec_lo
                                        ; implicit-def: $sgpr10
	v_cmpx_eq_u16_e32 0x80, v10
; %bb.1215:
	s_mov_b32 s10, 0x7f800001
	s_xor_b32 s3, exec_lo, -1
; %bb.1216:
	s_or_b32 exec_lo, exec_lo, s12
	s_delay_alu instid0(SALU_CYCLE_1)
	s_and_b32 s3, s3, exec_lo
	s_or_saveexec_b32 s11, s11
	v_mov_b32_e32 v12, s10
	s_xor_b32 exec_lo, exec_lo, s11
	s_cbranch_execnz .LBB121_1234
.LBB121_1217:
	s_or_b32 exec_lo, exec_lo, s11
	s_and_saveexec_b32 s10, s3
	s_cbranch_execz .LBB121_1219
.LBB121_1218:
	v_and_b32_e32 v11, 0xffff, v10
	v_lshlrev_b32_e32 v10, 24, v10
	s_delay_alu instid0(VALU_DEP_2) | instskip(NEXT) | instid1(VALU_DEP_2)
	v_and_b32_e32 v12, 7, v11
	v_and_b32_e32 v10, 0x80000000, v10
	s_delay_alu instid0(VALU_DEP_2) | instskip(NEXT) | instid1(VALU_DEP_1)
	v_clz_i32_u32_e32 v13, v12
	v_min_u32_e32 v13, 32, v13
	s_delay_alu instid0(VALU_DEP_1) | instskip(SKIP_1) | instid1(VALU_DEP_2)
	v_subrev_nc_u32_e32 v14, 28, v13
	v_sub_nc_u32_e32 v13, 29, v13
	v_lshlrev_b32_e32 v14, v14, v11
	v_bfe_u32 v11, v11, 3, 4
	s_delay_alu instid0(VALU_DEP_2) | instskip(NEXT) | instid1(VALU_DEP_2)
	v_and_b32_e32 v14, 7, v14
	v_cmp_eq_u32_e32 vcc_lo, 0, v11
	s_delay_alu instid0(VALU_DEP_2) | instskip(NEXT) | instid1(VALU_DEP_1)
	v_dual_cndmask_b32 v11, v11, v13 :: v_dual_cndmask_b32 v12, v12, v14
	v_lshl_add_u32 v11, v11, 23, 0x3b800000
	s_delay_alu instid0(VALU_DEP_2) | instskip(NEXT) | instid1(VALU_DEP_1)
	v_lshlrev_b32_e32 v12, 20, v12
	v_or3_b32 v12, v10, v11, v12
.LBB121_1219:
	s_or_b32 exec_lo, exec_lo, s10
.LBB121_1220:
	s_mov_b32 s10, -1
.LBB121_1221:
	s_branch .LBB121_1253
.LBB121_1222:
	v_cmp_lt_i16_e32 vcc_lo, 22, v9
	s_cbranch_vccz .LBB121_1232
; %bb.1223:
	v_cmp_gt_i16_e32 vcc_lo, 24, v9
	s_cbranch_vccnz .LBB121_1235
; %bb.1224:
	v_cmp_lt_i16_e32 vcc_lo, 24, v9
	s_cbranch_vccz .LBB121_1236
; %bb.1225:
	global_load_u8 v10, v[7:8], off
	s_mov_b32 s10, exec_lo
                                        ; implicit-def: $sgpr3
	s_waitcnt vmcnt(0)
	v_cmpx_lt_i16_e32 0x7f, v10
	s_xor_b32 s10, exec_lo, s10
	s_cbranch_execz .LBB121_1247
; %bb.1226:
	s_mov_b32 s2, -1
	s_mov_b32 s11, exec_lo
                                        ; implicit-def: $sgpr3
	v_cmpx_eq_u16_e32 0x80, v10
; %bb.1227:
	s_mov_b32 s3, 0x7f800001
	s_xor_b32 s2, exec_lo, -1
; %bb.1228:
	s_or_b32 exec_lo, exec_lo, s11
	s_delay_alu instid0(SALU_CYCLE_1)
	s_and_b32 s2, s2, exec_lo
	s_or_saveexec_b32 s10, s10
	v_mov_b32_e32 v12, s3
	s_xor_b32 exec_lo, exec_lo, s10
	s_cbranch_execnz .LBB121_1248
.LBB121_1229:
	s_or_b32 exec_lo, exec_lo, s10
	s_and_saveexec_b32 s3, s2
	s_cbranch_execz .LBB121_1231
.LBB121_1230:
	v_and_b32_e32 v11, 0xffff, v10
	v_lshlrev_b32_e32 v10, 24, v10
	s_delay_alu instid0(VALU_DEP_2) | instskip(NEXT) | instid1(VALU_DEP_2)
	v_and_b32_e32 v12, 3, v11
	v_and_b32_e32 v10, 0x80000000, v10
	s_delay_alu instid0(VALU_DEP_2) | instskip(NEXT) | instid1(VALU_DEP_1)
	v_clz_i32_u32_e32 v13, v12
	v_min_u32_e32 v13, 32, v13
	s_delay_alu instid0(VALU_DEP_1) | instskip(SKIP_1) | instid1(VALU_DEP_2)
	v_subrev_nc_u32_e32 v14, 29, v13
	v_sub_nc_u32_e32 v13, 30, v13
	v_lshlrev_b32_e32 v14, v14, v11
	v_bfe_u32 v11, v11, 2, 5
	s_delay_alu instid0(VALU_DEP_2) | instskip(NEXT) | instid1(VALU_DEP_2)
	v_and_b32_e32 v14, 3, v14
	v_cmp_eq_u32_e32 vcc_lo, 0, v11
	s_delay_alu instid0(VALU_DEP_2) | instskip(NEXT) | instid1(VALU_DEP_1)
	v_dual_cndmask_b32 v11, v11, v13 :: v_dual_cndmask_b32 v12, v12, v14
	v_lshl_add_u32 v11, v11, 23, 0x37800000
	s_delay_alu instid0(VALU_DEP_2) | instskip(NEXT) | instid1(VALU_DEP_1)
	v_lshlrev_b32_e32 v12, 21, v12
	v_or3_b32 v12, v10, v11, v12
.LBB121_1231:
	s_or_b32 exec_lo, exec_lo, s3
	s_mov_b32 s2, 0
	s_branch .LBB121_1237
.LBB121_1232:
                                        ; implicit-def: $vgpr12
	s_mov_b32 s2, 0
	s_branch .LBB121_1243
.LBB121_1233:
	s_or_saveexec_b32 s11, s11
	v_mov_b32_e32 v12, s10
	s_xor_b32 exec_lo, exec_lo, s11
	s_cbranch_execz .LBB121_1217
.LBB121_1234:
	v_cmp_ne_u16_e32 vcc_lo, 0, v10
	v_mov_b32_e32 v12, 0
	s_and_not1_b32 s3, s3, exec_lo
	s_and_b32 s10, vcc_lo, exec_lo
	s_delay_alu instid0(SALU_CYCLE_1)
	s_or_b32 s3, s3, s10
	s_or_b32 exec_lo, exec_lo, s11
	s_and_saveexec_b32 s10, s3
	s_cbranch_execnz .LBB121_1218
	s_branch .LBB121_1219
.LBB121_1235:
	s_mov_b32 s2, -1
                                        ; implicit-def: $vgpr12
	s_branch .LBB121_1240
.LBB121_1236:
	s_mov_b32 s2, -1
                                        ; implicit-def: $vgpr12
.LBB121_1237:
	s_delay_alu instid0(SALU_CYCLE_1)
	s_and_b32 vcc_lo, exec_lo, s2
	s_cbranch_vccz .LBB121_1239
; %bb.1238:
	global_load_u8 v10, v[7:8], off
	s_waitcnt vmcnt(0)
	v_lshlrev_b32_e32 v10, 24, v10
	s_delay_alu instid0(VALU_DEP_1) | instskip(NEXT) | instid1(VALU_DEP_1)
	v_and_b32_e32 v11, 0x7f000000, v10
	v_clz_i32_u32_e32 v12, v11
	v_add_nc_u32_e32 v14, 0x1000000, v11
	v_cmp_ne_u32_e32 vcc_lo, 0, v11
	s_delay_alu instid0(VALU_DEP_3) | instskip(NEXT) | instid1(VALU_DEP_1)
	v_min_u32_e32 v12, 32, v12
	v_sub_nc_u32_e64 v12, v12, 4 clamp
	s_delay_alu instid0(VALU_DEP_1) | instskip(SKIP_1) | instid1(VALU_DEP_2)
	v_lshlrev_b32_e32 v13, v12, v11
	v_lshlrev_b32_e32 v12, 23, v12
	v_lshrrev_b32_e32 v13, 4, v13
	s_delay_alu instid0(VALU_DEP_1) | instskip(SKIP_1) | instid1(VALU_DEP_2)
	v_sub_nc_u32_e32 v12, v13, v12
	v_ashrrev_i32_e32 v13, 8, v14
	v_add_nc_u32_e32 v12, 0x3c000000, v12
	s_delay_alu instid0(VALU_DEP_1) | instskip(NEXT) | instid1(VALU_DEP_1)
	v_and_or_b32 v12, 0x7f800000, v13, v12
	v_cndmask_b32_e32 v11, 0, v12, vcc_lo
	s_delay_alu instid0(VALU_DEP_1)
	v_and_or_b32 v12, 0x80000000, v10, v11
.LBB121_1239:
	s_mov_b32 s2, 0
.LBB121_1240:
	s_delay_alu instid0(SALU_CYCLE_1)
	s_and_not1_b32 vcc_lo, exec_lo, s2
	s_cbranch_vccnz .LBB121_1242
; %bb.1241:
	global_load_u8 v10, v[7:8], off
	s_waitcnt vmcnt(0)
	v_lshlrev_b32_e32 v11, 25, v10
	v_lshlrev_b16 v10, 8, v10
	s_delay_alu instid0(VALU_DEP_2) | instskip(NEXT) | instid1(VALU_DEP_2)
	v_lshrrev_b32_e32 v12, 4, v11
	v_and_or_b32 v13, 0x7f00, v10, 0.5
	v_bfe_i32 v10, v10, 0, 16
	s_delay_alu instid0(VALU_DEP_3) | instskip(NEXT) | instid1(VALU_DEP_1)
	v_or_b32_e32 v12, 0x70000000, v12
	v_dual_add_f32 v13, -0.5, v13 :: v_dual_mul_f32 v12, 0x7800000, v12
	v_cmp_gt_u32_e32 vcc_lo, 0x8000000, v11
	s_delay_alu instid0(VALU_DEP_2) | instskip(NEXT) | instid1(VALU_DEP_1)
	v_cndmask_b32_e32 v11, v12, v13, vcc_lo
	v_and_or_b32 v12, 0x80000000, v10, v11
.LBB121_1242:
	s_mov_b32 s10, -1
	s_mov_b32 s2, 0
	s_cbranch_execnz .LBB121_1253
.LBB121_1243:
	v_cmp_lt_i16_e32 vcc_lo, 14, v9
	s_cbranch_vccz .LBB121_1246
; %bb.1244:
	v_cmp_eq_u16_e32 vcc_lo, 15, v9
	s_cbranch_vccz .LBB121_1249
; %bb.1245:
	global_load_u16 v10, v[7:8], off
	s_mov_b32 s1, 0
	s_mov_b32 s10, -1
	s_waitcnt vmcnt(0)
	v_lshlrev_b32_e32 v12, 16, v10
	s_branch .LBB121_1251
.LBB121_1246:
	s_mov_b32 s2, -1
	s_branch .LBB121_1250
.LBB121_1247:
	s_or_saveexec_b32 s10, s10
	v_mov_b32_e32 v12, s3
	s_xor_b32 exec_lo, exec_lo, s10
	s_cbranch_execz .LBB121_1229
.LBB121_1248:
	v_cmp_ne_u16_e32 vcc_lo, 0, v10
	v_mov_b32_e32 v12, 0
	s_and_not1_b32 s2, s2, exec_lo
	s_and_b32 s3, vcc_lo, exec_lo
	s_delay_alu instid0(SALU_CYCLE_1)
	s_or_b32 s2, s2, s3
	s_or_b32 exec_lo, exec_lo, s10
	s_and_saveexec_b32 s3, s2
	s_cbranch_execnz .LBB121_1230
	s_branch .LBB121_1231
.LBB121_1249:
	s_mov_b32 s1, -1
.LBB121_1250:
                                        ; implicit-def: $vgpr12
.LBB121_1251:
	s_and_b32 vcc_lo, exec_lo, s2
	s_mov_b32 s2, 0
	s_cbranch_vccz .LBB121_1253
; %bb.1252:
	v_cmp_ne_u16_e64 s1, 11, v9
	s_mov_b32 s2, -1
                                        ; implicit-def: $vgpr12
.LBB121_1253:
	s_delay_alu instid0(VALU_DEP_1)
	s_and_b32 vcc_lo, exec_lo, s1
	s_mov_b32 s3, s8
	s_cbranch_vccnz .LBB121_1277
; %bb.1254:
	s_and_not1_b32 vcc_lo, exec_lo, s2
	s_cbranch_vccnz .LBB121_1256
.LBB121_1255:
	global_load_u8 v10, v[7:8], off
	s_mov_b32 s10, -1
	s_waitcnt vmcnt(0)
	v_cmp_ne_u16_e32 vcc_lo, 0, v10
	v_cndmask_b32_e64 v12, 0, 1.0, vcc_lo
.LBB121_1256:
.LBB121_1257:
	s_and_not1_b32 vcc_lo, exec_lo, s10
	s_cbranch_vccnz .LBB121_2090
.LBB121_1258:
	v_cmp_gt_i16_e32 vcc_lo, 11, v9
	s_waitcnt vmcnt(0)
	v_add_co_u32 v6, s1, s6, v6
	s_delay_alu instid0(VALU_DEP_1)
	v_add_co_ci_u32_e64 v7, null, s7, 0, s1
	s_mov_b32 s10, 0
	s_cbranch_vccnz .LBB121_1265
; %bb.1259:
	v_cmp_lt_i16_e32 vcc_lo, 25, v9
	s_mov_b32 s2, 0
	s_cbranch_vccz .LBB121_1271
; %bb.1260:
	v_cmp_lt_i16_e32 vcc_lo, 28, v9
	s_cbranch_vccz .LBB121_1273
; %bb.1261:
	v_cmp_lt_i16_e32 vcc_lo, 43, v9
	;; [unrolled: 3-line block ×3, first 2 shown]
	s_cbranch_vccz .LBB121_1281
; %bb.1263:
	v_cmp_eq_u16_e32 vcc_lo, 46, v9
	s_mov_b32 s11, 0
	s_cbranch_vccz .LBB121_1325
; %bb.1264:
	global_load_b32 v8, v[6:7], off
	s_mov_b32 s1, 0
	s_mov_b32 s10, -1
	s_waitcnt vmcnt(0)
	v_lshlrev_b32_e32 v11, 16, v8
	s_branch .LBB121_1327
.LBB121_1265:
                                        ; implicit-def: $vgpr11
	s_cbranch_execz .LBB121_1392
; %bb.1266:
	v_cmp_gt_i16_e32 vcc_lo, 5, v9
	s_cbranch_vccnz .LBB121_1272
; %bb.1267:
	v_cmp_gt_i16_e32 vcc_lo, 8, v9
	s_cbranch_vccnz .LBB121_1274
	;; [unrolled: 3-line block ×3, first 2 shown]
; %bb.1269:
	v_cmp_lt_i16_e32 vcc_lo, 9, v9
	s_cbranch_vccz .LBB121_1282
; %bb.1270:
	global_load_b64 v[10:11], v[6:7], off
	s_mov_b32 s1, 0
	s_waitcnt vmcnt(0)
	v_cvt_f32_f64_e32 v11, v[10:11]
	s_branch .LBB121_1283
.LBB121_1271:
	s_mov_b32 s1, 0
                                        ; implicit-def: $vgpr11
	s_cbranch_execnz .LBB121_1356
	s_branch .LBB121_1388
.LBB121_1272:
                                        ; implicit-def: $vgpr11
	s_branch .LBB121_1301
.LBB121_1273:
	s_mov_b32 s11, -1
	s_mov_b32 s1, 0
                                        ; implicit-def: $vgpr11
	s_branch .LBB121_1337
.LBB121_1274:
	s_mov_b32 s1, -1
                                        ; implicit-def: $vgpr11
	s_branch .LBB121_1289
.LBB121_1275:
	s_mov_b32 s11, -1
	s_mov_b32 s1, 0
                                        ; implicit-def: $vgpr11
	s_branch .LBB121_1332
.LBB121_1276:
	s_mov_b32 s1, -1
                                        ; implicit-def: $vgpr11
	s_branch .LBB121_1286
.LBB121_1277:
	s_cbranch_execnz .LBB121_1321
; %bb.1278:
	s_or_b32 s3, s8, exec_lo
                                        ; implicit-def: $vgpr12
	s_cbranch_execz .LBB121_1255
	s_branch .LBB121_1256
.LBB121_1279:
	s_or_saveexec_b32 s11, s11
                                        ; implicit-def: $sgpr12
	s_delay_alu instid0(SALU_CYCLE_1)
	s_xor_b32 exec_lo, exec_lo, s11
	s_cbranch_execz .LBB121_987
.LBB121_1280:
	v_add_f32_e32 v0, 0x46000000, v6
	s_and_not1_b32 s9, s9, exec_lo
	s_mov_b32 s12, 0
	s_delay_alu instid0(VALU_DEP_1) | instskip(NEXT) | instid1(VALU_DEP_1)
	v_and_b32_e32 v0, 0xff, v0
	v_cmp_ne_u32_e32 vcc_lo, 0, v0
	s_and_b32 s13, vcc_lo, exec_lo
	s_delay_alu instid0(SALU_CYCLE_1)
	s_or_b32 s9, s9, s13
	s_or_b32 exec_lo, exec_lo, s11
	v_mov_b32_e32 v7, s12
	s_and_saveexec_b32 s11, s9
	s_cbranch_execnz .LBB121_988
	s_branch .LBB121_989
.LBB121_1281:
	s_mov_b32 s11, -1
	s_mov_b32 s1, 0
	s_branch .LBB121_1326
.LBB121_1282:
	s_mov_b32 s1, -1
                                        ; implicit-def: $vgpr11
.LBB121_1283:
	s_delay_alu instid0(SALU_CYCLE_1)
	s_and_not1_b32 vcc_lo, exec_lo, s1
	s_cbranch_vccnz .LBB121_1285
; %bb.1284:
	global_load_b32 v11, v[6:7], off
.LBB121_1285:
	s_mov_b32 s1, 0
.LBB121_1286:
	s_delay_alu instid0(SALU_CYCLE_1)
	s_and_not1_b32 vcc_lo, exec_lo, s1
	s_cbranch_vccnz .LBB121_1288
; %bb.1287:
	global_load_b32 v8, v[6:7], off
	s_waitcnt vmcnt(0)
	v_cvt_f32_f16_e32 v11, v8
.LBB121_1288:
	s_mov_b32 s1, 0
.LBB121_1289:
	s_delay_alu instid0(SALU_CYCLE_1)
	s_and_not1_b32 vcc_lo, exec_lo, s1
	s_cbranch_vccnz .LBB121_1300
; %bb.1290:
	v_cmp_gt_i16_e32 vcc_lo, 6, v9
	s_cbranch_vccnz .LBB121_1293
; %bb.1291:
	v_cmp_lt_i16_e32 vcc_lo, 6, v9
	s_cbranch_vccz .LBB121_1294
; %bb.1292:
	global_load_b64 v[10:11], v[6:7], off
	s_mov_b32 s1, 0
	s_waitcnt vmcnt(0)
	v_cvt_f32_f64_e32 v11, v[10:11]
	s_branch .LBB121_1295
.LBB121_1293:
	s_mov_b32 s1, -1
                                        ; implicit-def: $vgpr11
	s_branch .LBB121_1298
.LBB121_1294:
	s_mov_b32 s1, -1
                                        ; implicit-def: $vgpr11
.LBB121_1295:
	s_delay_alu instid0(SALU_CYCLE_1)
	s_and_not1_b32 vcc_lo, exec_lo, s1
	s_cbranch_vccnz .LBB121_1297
; %bb.1296:
	global_load_b32 v11, v[6:7], off
.LBB121_1297:
	s_mov_b32 s1, 0
.LBB121_1298:
	s_delay_alu instid0(SALU_CYCLE_1)
	s_and_not1_b32 vcc_lo, exec_lo, s1
	s_cbranch_vccnz .LBB121_1300
; %bb.1299:
	global_load_u16 v8, v[6:7], off
	s_waitcnt vmcnt(0)
	v_cvt_f32_f16_e32 v11, v8
.LBB121_1300:
	s_cbranch_execnz .LBB121_1320
.LBB121_1301:
	v_cmp_gt_i16_e32 vcc_lo, 2, v9
	s_cbranch_vccnz .LBB121_1305
; %bb.1302:
	v_cmp_gt_i16_e32 vcc_lo, 3, v9
	s_cbranch_vccnz .LBB121_1306
; %bb.1303:
	v_cmp_lt_i16_e32 vcc_lo, 3, v9
	s_cbranch_vccz .LBB121_1307
; %bb.1304:
	global_load_b64 v[10:11], v[6:7], off
	s_mov_b32 s1, 0
	s_waitcnt vmcnt(0)
	v_xor_b32_e32 v8, v10, v11
	v_cls_i32_e32 v13, v11
	s_delay_alu instid0(VALU_DEP_2) | instskip(NEXT) | instid1(VALU_DEP_2)
	v_ashrrev_i32_e32 v8, 31, v8
	v_add_nc_u32_e32 v13, -1, v13
	s_delay_alu instid0(VALU_DEP_2) | instskip(NEXT) | instid1(VALU_DEP_1)
	v_add_nc_u32_e32 v8, 32, v8
	v_min_u32_e32 v8, v13, v8
	s_delay_alu instid0(VALU_DEP_1) | instskip(SKIP_1) | instid1(VALU_DEP_2)
	v_lshlrev_b64 v[10:11], v8, v[10:11]
	v_sub_nc_u32_e32 v8, 32, v8
	v_min_u32_e32 v10, 1, v10
	s_delay_alu instid0(VALU_DEP_1) | instskip(NEXT) | instid1(VALU_DEP_1)
	v_or_b32_e32 v10, v11, v10
	v_cvt_f32_i32_e32 v10, v10
	s_delay_alu instid0(VALU_DEP_1)
	v_ldexp_f32 v11, v10, v8
	s_branch .LBB121_1308
.LBB121_1305:
	s_mov_b32 s1, -1
                                        ; implicit-def: $vgpr11
	s_branch .LBB121_1314
.LBB121_1306:
	s_mov_b32 s1, -1
                                        ; implicit-def: $vgpr11
	s_branch .LBB121_1311
.LBB121_1307:
	s_mov_b32 s1, -1
                                        ; implicit-def: $vgpr11
.LBB121_1308:
	s_delay_alu instid0(SALU_CYCLE_1)
	s_and_not1_b32 vcc_lo, exec_lo, s1
	s_cbranch_vccnz .LBB121_1310
; %bb.1309:
	global_load_b32 v8, v[6:7], off
	s_waitcnt vmcnt(0)
	v_cvt_f32_i32_e32 v11, v8
.LBB121_1310:
	s_mov_b32 s1, 0
.LBB121_1311:
	s_delay_alu instid0(SALU_CYCLE_1)
	s_and_not1_b32 vcc_lo, exec_lo, s1
	s_cbranch_vccnz .LBB121_1313
; %bb.1312:
	global_load_i16 v8, v[6:7], off
	s_waitcnt vmcnt(0)
	v_cvt_f32_i32_e32 v11, v8
.LBB121_1313:
	s_mov_b32 s1, 0
.LBB121_1314:
	s_delay_alu instid0(SALU_CYCLE_1)
	s_and_not1_b32 vcc_lo, exec_lo, s1
	s_cbranch_vccnz .LBB121_1320
; %bb.1315:
	v_cmp_lt_i16_e32 vcc_lo, 0, v9
	s_mov_b32 s1, 0
	s_cbranch_vccz .LBB121_1317
; %bb.1316:
	global_load_i8 v8, v[6:7], off
	s_waitcnt vmcnt(0)
	v_cvt_f32_i32_e32 v11, v8
	s_branch .LBB121_1318
.LBB121_1317:
	s_mov_b32 s1, -1
                                        ; implicit-def: $vgpr11
.LBB121_1318:
	s_delay_alu instid0(SALU_CYCLE_1)
	s_and_not1_b32 vcc_lo, exec_lo, s1
	s_cbranch_vccnz .LBB121_1320
; %bb.1319:
	global_load_u8 v6, v[6:7], off
	s_waitcnt vmcnt(0)
	v_cvt_f32_ubyte0_e32 v11, v6
.LBB121_1320:
	s_branch .LBB121_1393
.LBB121_1321:
	s_trap 2
	s_sendmsg_rtn_b32 s0, sendmsg(MSG_RTN_GET_DOORBELL)
	s_mov_b32 ttmp2, m0
	s_waitcnt lgkmcnt(0)
	s_and_b32 s0, s0, 0x3ff
	s_delay_alu instid0(SALU_CYCLE_1) | instskip(NEXT) | instid1(SALU_CYCLE_1)
	s_bitset1_b32 s0, 10
	s_mov_b32 m0, s0
	s_sendmsg sendmsg(MSG_INTERRUPT)
	s_mov_b32 m0, ttmp2
.LBB121_1322:                           ; =>This Inner Loop Header: Depth=1
	s_sethalt 5
	s_branch .LBB121_1322
.LBB121_1323:
	s_or_saveexec_b32 s12, s12
                                        ; implicit-def: $sgpr13
	s_delay_alu instid0(SALU_CYCLE_1)
	s_xor_b32 exec_lo, exec_lo, s12
	s_cbranch_execz .LBB121_999
.LBB121_1324:
	v_add_f32_e32 v0, 0x42800000, v6
	s_and_not1_b32 s11, s11, exec_lo
	s_mov_b32 s13, 0
	s_delay_alu instid0(VALU_DEP_1) | instskip(NEXT) | instid1(VALU_DEP_1)
	v_and_b32_e32 v0, 0xff, v0
	v_cmp_ne_u32_e32 vcc_lo, 0, v0
	s_and_b32 s14, vcc_lo, exec_lo
	s_delay_alu instid0(SALU_CYCLE_1)
	s_or_b32 s11, s11, s14
	s_or_b32 exec_lo, exec_lo, s12
	v_mov_b32_e32 v7, s13
	s_and_saveexec_b32 s12, s11
	s_cbranch_execnz .LBB121_1000
	s_branch .LBB121_1001
.LBB121_1325:
	s_mov_b32 s1, -1
.LBB121_1326:
                                        ; implicit-def: $vgpr11
.LBB121_1327:
	s_and_b32 vcc_lo, exec_lo, s11
	s_cbranch_vccz .LBB121_1331
; %bb.1328:
	v_cmp_eq_u16_e32 vcc_lo, 44, v9
	s_cbranch_vccz .LBB121_1330
; %bb.1329:
	global_load_u8 v8, v[6:7], off
	s_mov_b32 s1, 0
	s_mov_b32 s10, -1
	s_waitcnt vmcnt(0)
	v_lshlrev_b32_e32 v10, 23, v8
	v_cmp_ne_u32_e32 vcc_lo, 0xff, v8
	s_delay_alu instid0(VALU_DEP_2) | instskip(SKIP_1) | instid1(VALU_DEP_2)
	v_cndmask_b32_e32 v10, 0x7f800001, v10, vcc_lo
	v_cmp_ne_u32_e32 vcc_lo, 0, v8
	v_cndmask_b32_e32 v11, 0x400000, v10, vcc_lo
	s_branch .LBB121_1331
.LBB121_1330:
	s_mov_b32 s1, -1
                                        ; implicit-def: $vgpr11
.LBB121_1331:
	s_mov_b32 s11, 0
.LBB121_1332:
	s_delay_alu instid0(SALU_CYCLE_1)
	s_and_b32 vcc_lo, exec_lo, s11
	s_cbranch_vccz .LBB121_1336
; %bb.1333:
	v_cmp_eq_u16_e32 vcc_lo, 29, v9
	s_cbranch_vccz .LBB121_1335
; %bb.1334:
	global_load_b64 v[10:11], v[6:7], off
	s_mov_b32 s1, 0
	s_mov_b32 s10, -1
	s_mov_b32 s11, 0
	s_waitcnt vmcnt(0)
	v_clz_i32_u32_e32 v8, v11
	s_delay_alu instid0(VALU_DEP_1) | instskip(NEXT) | instid1(VALU_DEP_1)
	v_min_u32_e32 v8, 32, v8
	v_lshlrev_b64 v[10:11], v8, v[10:11]
	v_sub_nc_u32_e32 v8, 32, v8
	s_delay_alu instid0(VALU_DEP_2) | instskip(NEXT) | instid1(VALU_DEP_1)
	v_min_u32_e32 v10, 1, v10
	v_or_b32_e32 v10, v11, v10
	s_delay_alu instid0(VALU_DEP_1) | instskip(NEXT) | instid1(VALU_DEP_1)
	v_cvt_f32_u32_e32 v10, v10
	v_ldexp_f32 v11, v10, v8
	s_branch .LBB121_1337
.LBB121_1335:
	s_mov_b32 s1, -1
                                        ; implicit-def: $vgpr11
.LBB121_1336:
	s_mov_b32 s11, 0
.LBB121_1337:
	s_delay_alu instid0(SALU_CYCLE_1)
	s_and_b32 vcc_lo, exec_lo, s11
	s_cbranch_vccz .LBB121_1355
; %bb.1338:
	v_cmp_gt_i16_e32 vcc_lo, 27, v9
	s_cbranch_vccnz .LBB121_1341
; %bb.1339:
	v_cmp_lt_i16_e32 vcc_lo, 27, v9
	s_cbranch_vccz .LBB121_1342
; %bb.1340:
	global_load_b32 v8, v[6:7], off
	s_mov_b32 s10, 0
	s_waitcnt vmcnt(0)
	v_cvt_f32_u32_e32 v11, v8
	s_branch .LBB121_1343
.LBB121_1341:
	s_mov_b32 s10, -1
                                        ; implicit-def: $vgpr11
	s_branch .LBB121_1346
.LBB121_1342:
	s_mov_b32 s10, -1
                                        ; implicit-def: $vgpr11
.LBB121_1343:
	s_delay_alu instid0(SALU_CYCLE_1)
	s_and_not1_b32 vcc_lo, exec_lo, s10
	s_cbranch_vccnz .LBB121_1345
; %bb.1344:
	global_load_u16 v8, v[6:7], off
	s_waitcnt vmcnt(0)
	v_cvt_f32_u32_e32 v11, v8
.LBB121_1345:
	s_mov_b32 s10, 0
.LBB121_1346:
	s_delay_alu instid0(SALU_CYCLE_1)
	s_and_not1_b32 vcc_lo, exec_lo, s10
	s_cbranch_vccnz .LBB121_1354
; %bb.1347:
	global_load_u8 v8, v[6:7], off
	s_mov_b32 s10, 0
	s_mov_b32 s12, exec_lo
                                        ; implicit-def: $sgpr11
	s_waitcnt vmcnt(0)
	v_cmpx_lt_i16_e32 0x7f, v8
	s_xor_b32 s12, exec_lo, s12
	s_cbranch_execz .LBB121_1367
; %bb.1348:
	s_mov_b32 s10, -1
	s_mov_b32 s13, exec_lo
                                        ; implicit-def: $sgpr11
	v_cmpx_eq_u16_e32 0x80, v8
; %bb.1349:
	s_mov_b32 s11, 0x7f800001
	s_xor_b32 s10, exec_lo, -1
; %bb.1350:
	s_or_b32 exec_lo, exec_lo, s13
	s_delay_alu instid0(SALU_CYCLE_1)
	s_and_b32 s10, s10, exec_lo
	s_or_saveexec_b32 s12, s12
	v_mov_b32_e32 v11, s11
	s_xor_b32 exec_lo, exec_lo, s12
	s_cbranch_execnz .LBB121_1368
.LBB121_1351:
	s_or_b32 exec_lo, exec_lo, s12
	s_and_saveexec_b32 s11, s10
	s_cbranch_execz .LBB121_1353
.LBB121_1352:
	v_and_b32_e32 v10, 0xffff, v8
	v_lshlrev_b32_e32 v8, 24, v8
	s_delay_alu instid0(VALU_DEP_2) | instskip(NEXT) | instid1(VALU_DEP_2)
	v_and_b32_e32 v11, 7, v10
	v_and_b32_e32 v8, 0x80000000, v8
	s_delay_alu instid0(VALU_DEP_2) | instskip(NEXT) | instid1(VALU_DEP_1)
	v_clz_i32_u32_e32 v13, v11
	v_min_u32_e32 v13, 32, v13
	s_delay_alu instid0(VALU_DEP_1) | instskip(SKIP_1) | instid1(VALU_DEP_2)
	v_subrev_nc_u32_e32 v14, 28, v13
	v_sub_nc_u32_e32 v13, 29, v13
	v_lshlrev_b32_e32 v14, v14, v10
	v_bfe_u32 v10, v10, 3, 4
	s_delay_alu instid0(VALU_DEP_2) | instskip(NEXT) | instid1(VALU_DEP_2)
	v_and_b32_e32 v14, 7, v14
	v_cmp_eq_u32_e32 vcc_lo, 0, v10
	s_delay_alu instid0(VALU_DEP_2) | instskip(NEXT) | instid1(VALU_DEP_1)
	v_dual_cndmask_b32 v10, v10, v13 :: v_dual_cndmask_b32 v11, v11, v14
	v_lshl_add_u32 v10, v10, 23, 0x3b800000
	s_delay_alu instid0(VALU_DEP_2) | instskip(NEXT) | instid1(VALU_DEP_1)
	v_lshlrev_b32_e32 v11, 20, v11
	v_or3_b32 v11, v8, v10, v11
.LBB121_1353:
	s_or_b32 exec_lo, exec_lo, s11
.LBB121_1354:
	s_mov_b32 s10, -1
.LBB121_1355:
	s_branch .LBB121_1388
.LBB121_1356:
	v_cmp_lt_i16_e32 vcc_lo, 22, v9
	s_cbranch_vccz .LBB121_1366
; %bb.1357:
	v_cmp_gt_i16_e32 vcc_lo, 24, v9
	s_cbranch_vccnz .LBB121_1369
; %bb.1358:
	v_cmp_lt_i16_e32 vcc_lo, 24, v9
	s_cbranch_vccz .LBB121_1370
; %bb.1359:
	global_load_u8 v8, v[6:7], off
	s_mov_b32 s11, exec_lo
                                        ; implicit-def: $sgpr10
	s_waitcnt vmcnt(0)
	v_cmpx_lt_i16_e32 0x7f, v8
	s_xor_b32 s11, exec_lo, s11
	s_cbranch_execz .LBB121_1382
; %bb.1360:
	s_mov_b32 s2, -1
	s_mov_b32 s12, exec_lo
                                        ; implicit-def: $sgpr10
	v_cmpx_eq_u16_e32 0x80, v8
; %bb.1361:
	s_mov_b32 s10, 0x7f800001
	s_xor_b32 s2, exec_lo, -1
; %bb.1362:
	s_or_b32 exec_lo, exec_lo, s12
	s_delay_alu instid0(SALU_CYCLE_1)
	s_and_b32 s2, s2, exec_lo
	s_or_saveexec_b32 s11, s11
	v_mov_b32_e32 v11, s10
	s_xor_b32 exec_lo, exec_lo, s11
	s_cbranch_execnz .LBB121_1383
.LBB121_1363:
	s_or_b32 exec_lo, exec_lo, s11
	s_and_saveexec_b32 s10, s2
	s_cbranch_execz .LBB121_1365
.LBB121_1364:
	v_and_b32_e32 v10, 0xffff, v8
	v_lshlrev_b32_e32 v8, 24, v8
	s_delay_alu instid0(VALU_DEP_2) | instskip(NEXT) | instid1(VALU_DEP_2)
	v_and_b32_e32 v11, 3, v10
	v_and_b32_e32 v8, 0x80000000, v8
	s_delay_alu instid0(VALU_DEP_2) | instskip(NEXT) | instid1(VALU_DEP_1)
	v_clz_i32_u32_e32 v13, v11
	v_min_u32_e32 v13, 32, v13
	s_delay_alu instid0(VALU_DEP_1) | instskip(SKIP_1) | instid1(VALU_DEP_2)
	v_subrev_nc_u32_e32 v14, 29, v13
	v_sub_nc_u32_e32 v13, 30, v13
	v_lshlrev_b32_e32 v14, v14, v10
	v_bfe_u32 v10, v10, 2, 5
	s_delay_alu instid0(VALU_DEP_2) | instskip(NEXT) | instid1(VALU_DEP_2)
	v_and_b32_e32 v14, 3, v14
	v_cmp_eq_u32_e32 vcc_lo, 0, v10
	s_delay_alu instid0(VALU_DEP_2) | instskip(NEXT) | instid1(VALU_DEP_1)
	v_dual_cndmask_b32 v10, v10, v13 :: v_dual_cndmask_b32 v11, v11, v14
	v_lshl_add_u32 v10, v10, 23, 0x37800000
	s_delay_alu instid0(VALU_DEP_2) | instskip(NEXT) | instid1(VALU_DEP_1)
	v_lshlrev_b32_e32 v11, 21, v11
	v_or3_b32 v11, v8, v10, v11
.LBB121_1365:
	s_or_b32 exec_lo, exec_lo, s10
	s_mov_b32 s2, 0
	s_branch .LBB121_1371
.LBB121_1366:
	s_mov_b32 s2, -1
                                        ; implicit-def: $vgpr11
	s_branch .LBB121_1377
.LBB121_1367:
	s_or_saveexec_b32 s12, s12
	v_mov_b32_e32 v11, s11
	s_xor_b32 exec_lo, exec_lo, s12
	s_cbranch_execz .LBB121_1351
.LBB121_1368:
	v_cmp_ne_u16_e32 vcc_lo, 0, v8
	v_mov_b32_e32 v11, 0
	s_and_not1_b32 s10, s10, exec_lo
	s_and_b32 s11, vcc_lo, exec_lo
	s_delay_alu instid0(SALU_CYCLE_1)
	s_or_b32 s10, s10, s11
	s_or_b32 exec_lo, exec_lo, s12
	s_and_saveexec_b32 s11, s10
	s_cbranch_execnz .LBB121_1352
	s_branch .LBB121_1353
.LBB121_1369:
	s_mov_b32 s2, -1
                                        ; implicit-def: $vgpr11
	s_branch .LBB121_1374
.LBB121_1370:
	s_mov_b32 s2, -1
                                        ; implicit-def: $vgpr11
.LBB121_1371:
	s_delay_alu instid0(SALU_CYCLE_1)
	s_and_b32 vcc_lo, exec_lo, s2
	s_cbranch_vccz .LBB121_1373
; %bb.1372:
	global_load_u8 v8, v[6:7], off
	s_waitcnt vmcnt(0)
	v_lshlrev_b32_e32 v8, 24, v8
	s_delay_alu instid0(VALU_DEP_1) | instskip(NEXT) | instid1(VALU_DEP_1)
	v_and_b32_e32 v10, 0x7f000000, v8
	v_clz_i32_u32_e32 v11, v10
	v_cmp_ne_u32_e32 vcc_lo, 0, v10
	v_add_nc_u32_e32 v14, 0x1000000, v10
	s_delay_alu instid0(VALU_DEP_3) | instskip(NEXT) | instid1(VALU_DEP_1)
	v_min_u32_e32 v11, 32, v11
	v_sub_nc_u32_e64 v11, v11, 4 clamp
	s_delay_alu instid0(VALU_DEP_1) | instskip(SKIP_1) | instid1(VALU_DEP_2)
	v_lshlrev_b32_e32 v13, v11, v10
	v_lshlrev_b32_e32 v11, 23, v11
	v_lshrrev_b32_e32 v13, 4, v13
	s_delay_alu instid0(VALU_DEP_1) | instskip(SKIP_1) | instid1(VALU_DEP_2)
	v_sub_nc_u32_e32 v11, v13, v11
	v_ashrrev_i32_e32 v13, 8, v14
	v_add_nc_u32_e32 v11, 0x3c000000, v11
	s_delay_alu instid0(VALU_DEP_1) | instskip(NEXT) | instid1(VALU_DEP_1)
	v_and_or_b32 v11, 0x7f800000, v13, v11
	v_cndmask_b32_e32 v10, 0, v11, vcc_lo
	s_delay_alu instid0(VALU_DEP_1)
	v_and_or_b32 v11, 0x80000000, v8, v10
.LBB121_1373:
	s_mov_b32 s2, 0
.LBB121_1374:
	s_delay_alu instid0(SALU_CYCLE_1)
	s_and_not1_b32 vcc_lo, exec_lo, s2
	s_cbranch_vccnz .LBB121_1376
; %bb.1375:
	global_load_u8 v8, v[6:7], off
	s_waitcnt vmcnt(0)
	v_lshlrev_b32_e32 v10, 25, v8
	v_lshlrev_b16 v8, 8, v8
	s_delay_alu instid0(VALU_DEP_1) | instskip(SKIP_1) | instid1(VALU_DEP_2)
	v_and_or_b32 v13, 0x7f00, v8, 0.5
	v_bfe_i32 v8, v8, 0, 16
	v_add_f32_e32 v13, -0.5, v13
	v_lshrrev_b32_e32 v11, 4, v10
	v_cmp_gt_u32_e32 vcc_lo, 0x8000000, v10
	s_delay_alu instid0(VALU_DEP_2) | instskip(NEXT) | instid1(VALU_DEP_1)
	v_or_b32_e32 v11, 0x70000000, v11
	v_mul_f32_e32 v11, 0x7800000, v11
	s_delay_alu instid0(VALU_DEP_1) | instskip(NEXT) | instid1(VALU_DEP_1)
	v_cndmask_b32_e32 v10, v11, v13, vcc_lo
	v_and_or_b32 v11, 0x80000000, v8, v10
.LBB121_1376:
	s_mov_b32 s2, 0
	s_mov_b32 s10, -1
.LBB121_1377:
	s_and_not1_b32 vcc_lo, exec_lo, s2
	s_mov_b32 s2, 0
	s_cbranch_vccnz .LBB121_1388
; %bb.1378:
	v_cmp_lt_i16_e32 vcc_lo, 14, v9
	s_cbranch_vccz .LBB121_1381
; %bb.1379:
	v_cmp_eq_u16_e32 vcc_lo, 15, v9
	s_cbranch_vccz .LBB121_1384
; %bb.1380:
	global_load_u16 v8, v[6:7], off
	s_mov_b32 s1, 0
	s_mov_b32 s10, -1
	s_waitcnt vmcnt(0)
	v_lshlrev_b32_e32 v11, 16, v8
	s_branch .LBB121_1386
.LBB121_1381:
	s_mov_b32 s2, -1
	s_branch .LBB121_1385
.LBB121_1382:
	s_or_saveexec_b32 s11, s11
	v_mov_b32_e32 v11, s10
	s_xor_b32 exec_lo, exec_lo, s11
	s_cbranch_execz .LBB121_1363
.LBB121_1383:
	v_cmp_ne_u16_e32 vcc_lo, 0, v8
	v_mov_b32_e32 v11, 0
	s_and_not1_b32 s2, s2, exec_lo
	s_and_b32 s10, vcc_lo, exec_lo
	s_delay_alu instid0(SALU_CYCLE_1)
	s_or_b32 s2, s2, s10
	s_or_b32 exec_lo, exec_lo, s11
	s_and_saveexec_b32 s10, s2
	s_cbranch_execnz .LBB121_1364
	s_branch .LBB121_1365
.LBB121_1384:
	s_mov_b32 s1, -1
.LBB121_1385:
                                        ; implicit-def: $vgpr11
.LBB121_1386:
	s_and_b32 vcc_lo, exec_lo, s2
	s_mov_b32 s2, 0
	s_cbranch_vccz .LBB121_1388
; %bb.1387:
	v_cmp_ne_u16_e64 s1, 11, v9
	s_mov_b32 s2, -1
                                        ; implicit-def: $vgpr11
.LBB121_1388:
	s_delay_alu instid0(VALU_DEP_1)
	s_and_b32 vcc_lo, exec_lo, s1
	s_cbranch_vccnz .LBB121_1412
; %bb.1389:
	s_and_not1_b32 vcc_lo, exec_lo, s2
	s_cbranch_vccnz .LBB121_1391
.LBB121_1390:
	global_load_u8 v8, v[6:7], off
	s_mov_b32 s10, -1
	s_waitcnt vmcnt(0)
	v_cmp_ne_u16_e32 vcc_lo, 0, v8
	v_cndmask_b32_e64 v11, 0, 1.0, vcc_lo
.LBB121_1391:
.LBB121_1392:
	s_and_not1_b32 vcc_lo, exec_lo, s10
	s_cbranch_vccnz .LBB121_2090
.LBB121_1393:
	v_cmp_gt_i16_e32 vcc_lo, 11, v9
	v_add_co_u32 v5, s1, s6, v5
	s_delay_alu instid0(VALU_DEP_1)
	v_add_co_ci_u32_e64 v6, null, s7, 0, s1
	s_mov_b32 s10, 0
	s_cbranch_vccnz .LBB121_1400
; %bb.1394:
	v_cmp_lt_i16_e32 vcc_lo, 25, v9
	s_mov_b32 s2, 0
	s_cbranch_vccz .LBB121_1406
; %bb.1395:
	v_cmp_lt_i16_e32 vcc_lo, 28, v9
	s_cbranch_vccz .LBB121_1408
; %bb.1396:
	v_cmp_lt_i16_e32 vcc_lo, 43, v9
	;; [unrolled: 3-line block ×3, first 2 shown]
	s_cbranch_vccz .LBB121_1414
; %bb.1398:
	v_cmp_eq_u16_e32 vcc_lo, 46, v9
	s_mov_b32 s11, 0
	s_cbranch_vccz .LBB121_1457
; %bb.1399:
	global_load_b32 v7, v[5:6], off
	s_mov_b32 s1, 0
	s_mov_b32 s10, -1
	s_waitcnt vmcnt(0)
	v_lshlrev_b32_e32 v10, 16, v7
	s_branch .LBB121_1459
.LBB121_1400:
                                        ; implicit-def: $vgpr10
	s_cbranch_execz .LBB121_1525
; %bb.1401:
	v_cmp_gt_i16_e32 vcc_lo, 5, v9
	s_cbranch_vccnz .LBB121_1407
; %bb.1402:
	v_cmp_gt_i16_e32 vcc_lo, 8, v9
	s_cbranch_vccnz .LBB121_1409
	;; [unrolled: 3-line block ×3, first 2 shown]
; %bb.1404:
	v_cmp_lt_i16_e32 vcc_lo, 9, v9
	s_cbranch_vccz .LBB121_1415
; %bb.1405:
	global_load_b64 v[7:8], v[5:6], off
	s_mov_b32 s1, 0
	s_waitcnt vmcnt(0)
	v_cvt_f32_f64_e32 v10, v[7:8]
	s_branch .LBB121_1416
.LBB121_1406:
	s_mov_b32 s11, -1
	s_mov_b32 s1, 0
                                        ; implicit-def: $vgpr10
	s_branch .LBB121_1488
.LBB121_1407:
	s_mov_b32 s1, -1
                                        ; implicit-def: $vgpr10
	s_branch .LBB121_1434
.LBB121_1408:
	s_mov_b32 s11, -1
	s_mov_b32 s1, 0
                                        ; implicit-def: $vgpr10
	s_branch .LBB121_1469
.LBB121_1409:
	s_mov_b32 s1, -1
                                        ; implicit-def: $vgpr10
	s_branch .LBB121_1422
.LBB121_1410:
	s_mov_b32 s11, -1
	s_mov_b32 s1, 0
                                        ; implicit-def: $vgpr10
	s_branch .LBB121_1464
.LBB121_1411:
	s_mov_b32 s1, -1
                                        ; implicit-def: $vgpr10
	s_branch .LBB121_1419
.LBB121_1412:
	s_cbranch_execnz .LBB121_1455
; %bb.1413:
	s_or_b32 s3, s3, exec_lo
                                        ; implicit-def: $vgpr11
	s_cbranch_execz .LBB121_1390
	s_branch .LBB121_1391
.LBB121_1414:
	s_mov_b32 s11, -1
	s_mov_b32 s1, 0
	s_branch .LBB121_1458
.LBB121_1415:
	s_mov_b32 s1, -1
                                        ; implicit-def: $vgpr10
.LBB121_1416:
	s_delay_alu instid0(SALU_CYCLE_1)
	s_and_not1_b32 vcc_lo, exec_lo, s1
	s_cbranch_vccnz .LBB121_1418
; %bb.1417:
	global_load_b32 v10, v[5:6], off
.LBB121_1418:
	s_mov_b32 s1, 0
.LBB121_1419:
	s_delay_alu instid0(SALU_CYCLE_1)
	s_and_not1_b32 vcc_lo, exec_lo, s1
	s_cbranch_vccnz .LBB121_1421
; %bb.1420:
	global_load_b32 v7, v[5:6], off
	s_waitcnt vmcnt(0)
	v_cvt_f32_f16_e32 v10, v7
.LBB121_1421:
	s_mov_b32 s1, 0
.LBB121_1422:
	s_delay_alu instid0(SALU_CYCLE_1)
	s_and_not1_b32 vcc_lo, exec_lo, s1
	s_cbranch_vccnz .LBB121_1433
; %bb.1423:
	v_cmp_gt_i16_e32 vcc_lo, 6, v9
	s_cbranch_vccnz .LBB121_1426
; %bb.1424:
	v_cmp_lt_i16_e32 vcc_lo, 6, v9
	s_cbranch_vccz .LBB121_1427
; %bb.1425:
	global_load_b64 v[7:8], v[5:6], off
	s_mov_b32 s1, 0
	s_waitcnt vmcnt(0)
	v_cvt_f32_f64_e32 v10, v[7:8]
	s_branch .LBB121_1428
.LBB121_1426:
	s_mov_b32 s1, -1
                                        ; implicit-def: $vgpr10
	s_branch .LBB121_1431
.LBB121_1427:
	s_mov_b32 s1, -1
                                        ; implicit-def: $vgpr10
.LBB121_1428:
	s_delay_alu instid0(SALU_CYCLE_1)
	s_and_not1_b32 vcc_lo, exec_lo, s1
	s_cbranch_vccnz .LBB121_1430
; %bb.1429:
	global_load_b32 v10, v[5:6], off
.LBB121_1430:
	s_mov_b32 s1, 0
.LBB121_1431:
	s_delay_alu instid0(SALU_CYCLE_1)
	s_and_not1_b32 vcc_lo, exec_lo, s1
	s_cbranch_vccnz .LBB121_1433
; %bb.1432:
	global_load_u16 v7, v[5:6], off
	s_waitcnt vmcnt(0)
	v_cvt_f32_f16_e32 v10, v7
.LBB121_1433:
	s_mov_b32 s1, 0
.LBB121_1434:
	s_delay_alu instid0(SALU_CYCLE_1)
	s_and_not1_b32 vcc_lo, exec_lo, s1
	s_cbranch_vccnz .LBB121_1454
; %bb.1435:
	v_cmp_gt_i16_e32 vcc_lo, 2, v9
	s_cbranch_vccnz .LBB121_1439
; %bb.1436:
	v_cmp_gt_i16_e32 vcc_lo, 3, v9
	s_cbranch_vccnz .LBB121_1440
; %bb.1437:
	v_cmp_lt_i16_e32 vcc_lo, 3, v9
	s_cbranch_vccz .LBB121_1441
; %bb.1438:
	global_load_b64 v[7:8], v[5:6], off
	s_mov_b32 s1, 0
	s_waitcnt vmcnt(0)
	v_xor_b32_e32 v10, v7, v8
	v_cls_i32_e32 v13, v8
	s_delay_alu instid0(VALU_DEP_2) | instskip(NEXT) | instid1(VALU_DEP_2)
	v_ashrrev_i32_e32 v10, 31, v10
	v_add_nc_u32_e32 v13, -1, v13
	s_delay_alu instid0(VALU_DEP_2) | instskip(NEXT) | instid1(VALU_DEP_1)
	v_add_nc_u32_e32 v10, 32, v10
	v_min_u32_e32 v10, v13, v10
	s_delay_alu instid0(VALU_DEP_1) | instskip(NEXT) | instid1(VALU_DEP_1)
	v_lshlrev_b64 v[7:8], v10, v[7:8]
	v_min_u32_e32 v7, 1, v7
	s_delay_alu instid0(VALU_DEP_1) | instskip(SKIP_1) | instid1(VALU_DEP_2)
	v_or_b32_e32 v7, v8, v7
	v_sub_nc_u32_e32 v8, 32, v10
	v_cvt_f32_i32_e32 v7, v7
	s_delay_alu instid0(VALU_DEP_1)
	v_ldexp_f32 v10, v7, v8
	s_branch .LBB121_1442
.LBB121_1439:
	s_mov_b32 s1, -1
                                        ; implicit-def: $vgpr10
	s_branch .LBB121_1448
.LBB121_1440:
	s_mov_b32 s1, -1
                                        ; implicit-def: $vgpr10
	s_branch .LBB121_1445
.LBB121_1441:
	s_mov_b32 s1, -1
                                        ; implicit-def: $vgpr10
.LBB121_1442:
	s_delay_alu instid0(SALU_CYCLE_1)
	s_and_not1_b32 vcc_lo, exec_lo, s1
	s_cbranch_vccnz .LBB121_1444
; %bb.1443:
	global_load_b32 v7, v[5:6], off
	s_waitcnt vmcnt(0)
	v_cvt_f32_i32_e32 v10, v7
.LBB121_1444:
	s_mov_b32 s1, 0
.LBB121_1445:
	s_delay_alu instid0(SALU_CYCLE_1)
	s_and_not1_b32 vcc_lo, exec_lo, s1
	s_cbranch_vccnz .LBB121_1447
; %bb.1446:
	global_load_i16 v7, v[5:6], off
	s_waitcnt vmcnt(0)
	v_cvt_f32_i32_e32 v10, v7
.LBB121_1447:
	s_mov_b32 s1, 0
.LBB121_1448:
	s_delay_alu instid0(SALU_CYCLE_1)
	s_and_not1_b32 vcc_lo, exec_lo, s1
	s_cbranch_vccnz .LBB121_1454
; %bb.1449:
	v_cmp_lt_i16_e32 vcc_lo, 0, v9
	s_mov_b32 s1, 0
	s_cbranch_vccz .LBB121_1451
; %bb.1450:
	global_load_i8 v7, v[5:6], off
	s_waitcnt vmcnt(0)
	v_cvt_f32_i32_e32 v10, v7
	s_branch .LBB121_1452
.LBB121_1451:
	s_mov_b32 s1, -1
                                        ; implicit-def: $vgpr10
.LBB121_1452:
	s_delay_alu instid0(SALU_CYCLE_1)
	s_and_not1_b32 vcc_lo, exec_lo, s1
	s_cbranch_vccnz .LBB121_1454
; %bb.1453:
	global_load_u8 v5, v[5:6], off
	s_waitcnt vmcnt(0)
	v_cvt_f32_ubyte0_e32 v10, v5
.LBB121_1454:
	s_branch .LBB121_1526
.LBB121_1455:
	s_trap 2
	s_sendmsg_rtn_b32 s0, sendmsg(MSG_RTN_GET_DOORBELL)
	s_mov_b32 ttmp2, m0
	s_waitcnt lgkmcnt(0)
	s_and_b32 s0, s0, 0x3ff
	s_delay_alu instid0(SALU_CYCLE_1) | instskip(NEXT) | instid1(SALU_CYCLE_1)
	s_bitset1_b32 s0, 10
	s_mov_b32 m0, s0
	s_sendmsg sendmsg(MSG_INTERRUPT)
	s_mov_b32 m0, ttmp2
.LBB121_1456:                           ; =>This Inner Loop Header: Depth=1
	s_sethalt 5
	s_branch .LBB121_1456
.LBB121_1457:
	s_mov_b32 s1, -1
.LBB121_1458:
                                        ; implicit-def: $vgpr10
.LBB121_1459:
	s_and_b32 vcc_lo, exec_lo, s11
	s_cbranch_vccz .LBB121_1463
; %bb.1460:
	v_cmp_eq_u16_e32 vcc_lo, 44, v9
	s_cbranch_vccz .LBB121_1462
; %bb.1461:
	global_load_u8 v7, v[5:6], off
	s_mov_b32 s1, 0
	s_mov_b32 s10, -1
	s_waitcnt vmcnt(0)
	v_lshlrev_b32_e32 v8, 23, v7
	v_cmp_ne_u32_e32 vcc_lo, 0xff, v7
	s_delay_alu instid0(VALU_DEP_2) | instskip(SKIP_1) | instid1(VALU_DEP_2)
	v_cndmask_b32_e32 v8, 0x7f800001, v8, vcc_lo
	v_cmp_ne_u32_e32 vcc_lo, 0, v7
	v_cndmask_b32_e32 v10, 0x400000, v8, vcc_lo
	s_branch .LBB121_1463
.LBB121_1462:
	s_mov_b32 s1, -1
                                        ; implicit-def: $vgpr10
.LBB121_1463:
	s_mov_b32 s11, 0
.LBB121_1464:
	s_delay_alu instid0(SALU_CYCLE_1)
	s_and_b32 vcc_lo, exec_lo, s11
	s_cbranch_vccz .LBB121_1468
; %bb.1465:
	v_cmp_eq_u16_e32 vcc_lo, 29, v9
	s_cbranch_vccz .LBB121_1467
; %bb.1466:
	global_load_b64 v[7:8], v[5:6], off
	s_mov_b32 s1, 0
	s_mov_b32 s10, -1
	s_mov_b32 s11, 0
	s_waitcnt vmcnt(0)
	v_clz_i32_u32_e32 v10, v8
	s_delay_alu instid0(VALU_DEP_1) | instskip(NEXT) | instid1(VALU_DEP_1)
	v_min_u32_e32 v10, 32, v10
	v_lshlrev_b64 v[7:8], v10, v[7:8]
	s_delay_alu instid0(VALU_DEP_1) | instskip(NEXT) | instid1(VALU_DEP_1)
	v_min_u32_e32 v7, 1, v7
	v_or_b32_e32 v7, v8, v7
	v_sub_nc_u32_e32 v8, 32, v10
	s_delay_alu instid0(VALU_DEP_2) | instskip(NEXT) | instid1(VALU_DEP_1)
	v_cvt_f32_u32_e32 v7, v7
	v_ldexp_f32 v10, v7, v8
	s_branch .LBB121_1469
.LBB121_1467:
	s_mov_b32 s1, -1
                                        ; implicit-def: $vgpr10
.LBB121_1468:
	s_mov_b32 s11, 0
.LBB121_1469:
	s_delay_alu instid0(SALU_CYCLE_1)
	s_and_b32 vcc_lo, exec_lo, s11
	s_cbranch_vccz .LBB121_1487
; %bb.1470:
	v_cmp_gt_i16_e32 vcc_lo, 27, v9
	s_cbranch_vccnz .LBB121_1473
; %bb.1471:
	v_cmp_lt_i16_e32 vcc_lo, 27, v9
	s_cbranch_vccz .LBB121_1474
; %bb.1472:
	global_load_b32 v7, v[5:6], off
	s_mov_b32 s10, 0
	s_waitcnt vmcnt(0)
	v_cvt_f32_u32_e32 v10, v7
	s_branch .LBB121_1475
.LBB121_1473:
	s_mov_b32 s10, -1
                                        ; implicit-def: $vgpr10
	s_branch .LBB121_1478
.LBB121_1474:
	s_mov_b32 s10, -1
                                        ; implicit-def: $vgpr10
.LBB121_1475:
	s_delay_alu instid0(SALU_CYCLE_1)
	s_and_not1_b32 vcc_lo, exec_lo, s10
	s_cbranch_vccnz .LBB121_1477
; %bb.1476:
	global_load_u16 v7, v[5:6], off
	s_waitcnt vmcnt(0)
	v_cvt_f32_u32_e32 v10, v7
.LBB121_1477:
	s_mov_b32 s10, 0
.LBB121_1478:
	s_delay_alu instid0(SALU_CYCLE_1)
	s_and_not1_b32 vcc_lo, exec_lo, s10
	s_cbranch_vccnz .LBB121_1486
; %bb.1479:
	global_load_u8 v7, v[5:6], off
	s_mov_b32 s10, 0
	s_mov_b32 s12, exec_lo
                                        ; implicit-def: $sgpr11
	s_waitcnt vmcnt(0)
	v_cmpx_lt_i16_e32 0x7f, v7
	s_xor_b32 s12, exec_lo, s12
	s_cbranch_execz .LBB121_1500
; %bb.1480:
	s_mov_b32 s10, -1
	s_mov_b32 s13, exec_lo
                                        ; implicit-def: $sgpr11
	v_cmpx_eq_u16_e32 0x80, v7
; %bb.1481:
	s_mov_b32 s11, 0x7f800001
	s_xor_b32 s10, exec_lo, -1
; %bb.1482:
	s_or_b32 exec_lo, exec_lo, s13
	s_delay_alu instid0(SALU_CYCLE_1)
	s_and_b32 s10, s10, exec_lo
	s_or_saveexec_b32 s12, s12
	v_mov_b32_e32 v10, s11
	s_xor_b32 exec_lo, exec_lo, s12
	s_cbranch_execnz .LBB121_1501
.LBB121_1483:
	s_or_b32 exec_lo, exec_lo, s12
	s_and_saveexec_b32 s11, s10
	s_cbranch_execz .LBB121_1485
.LBB121_1484:
	v_and_b32_e32 v8, 0xffff, v7
	s_delay_alu instid0(VALU_DEP_1) | instskip(NEXT) | instid1(VALU_DEP_1)
	v_and_b32_e32 v10, 7, v8
	v_clz_i32_u32_e32 v13, v10
	s_delay_alu instid0(VALU_DEP_1) | instskip(NEXT) | instid1(VALU_DEP_1)
	v_min_u32_e32 v13, 32, v13
	v_subrev_nc_u32_e32 v14, 28, v13
	v_sub_nc_u32_e32 v13, 29, v13
	s_delay_alu instid0(VALU_DEP_2) | instskip(SKIP_1) | instid1(VALU_DEP_2)
	v_lshlrev_b32_e32 v14, v14, v8
	v_bfe_u32 v8, v8, 3, 4
	v_and_b32_e32 v14, 7, v14
	s_delay_alu instid0(VALU_DEP_2) | instskip(SKIP_1) | instid1(VALU_DEP_1)
	v_cmp_eq_u32_e32 vcc_lo, 0, v8
	v_dual_cndmask_b32 v8, v8, v13 :: v_dual_lshlrev_b32 v7, 24, v7
	v_dual_cndmask_b32 v10, v10, v14 :: v_dual_and_b32 v7, 0x80000000, v7
	s_delay_alu instid0(VALU_DEP_2) | instskip(NEXT) | instid1(VALU_DEP_2)
	v_lshl_add_u32 v8, v8, 23, 0x3b800000
	v_lshlrev_b32_e32 v10, 20, v10
	s_delay_alu instid0(VALU_DEP_1)
	v_or3_b32 v10, v7, v8, v10
.LBB121_1485:
	s_or_b32 exec_lo, exec_lo, s11
.LBB121_1486:
	s_mov_b32 s10, -1
.LBB121_1487:
	s_mov_b32 s11, 0
.LBB121_1488:
	s_delay_alu instid0(SALU_CYCLE_1)
	s_and_b32 vcc_lo, exec_lo, s11
	s_cbranch_vccz .LBB121_1521
; %bb.1489:
	v_cmp_lt_i16_e32 vcc_lo, 22, v9
	s_cbranch_vccz .LBB121_1499
; %bb.1490:
	v_cmp_gt_i16_e32 vcc_lo, 24, v9
	s_cbranch_vccnz .LBB121_1502
; %bb.1491:
	v_cmp_lt_i16_e32 vcc_lo, 24, v9
	s_cbranch_vccz .LBB121_1503
; %bb.1492:
	global_load_u8 v7, v[5:6], off
	s_mov_b32 s11, exec_lo
                                        ; implicit-def: $sgpr10
	s_waitcnt vmcnt(0)
	v_cmpx_lt_i16_e32 0x7f, v7
	s_xor_b32 s11, exec_lo, s11
	s_cbranch_execz .LBB121_1515
; %bb.1493:
	s_mov_b32 s2, -1
	s_mov_b32 s12, exec_lo
                                        ; implicit-def: $sgpr10
	v_cmpx_eq_u16_e32 0x80, v7
; %bb.1494:
	s_mov_b32 s10, 0x7f800001
	s_xor_b32 s2, exec_lo, -1
; %bb.1495:
	s_or_b32 exec_lo, exec_lo, s12
	s_delay_alu instid0(SALU_CYCLE_1)
	s_and_b32 s2, s2, exec_lo
	s_or_saveexec_b32 s11, s11
	v_mov_b32_e32 v10, s10
	s_xor_b32 exec_lo, exec_lo, s11
	s_cbranch_execnz .LBB121_1516
.LBB121_1496:
	s_or_b32 exec_lo, exec_lo, s11
	s_and_saveexec_b32 s10, s2
	s_cbranch_execz .LBB121_1498
.LBB121_1497:
	v_and_b32_e32 v8, 0xffff, v7
	s_delay_alu instid0(VALU_DEP_1) | instskip(NEXT) | instid1(VALU_DEP_1)
	v_and_b32_e32 v10, 3, v8
	v_clz_i32_u32_e32 v13, v10
	s_delay_alu instid0(VALU_DEP_1) | instskip(NEXT) | instid1(VALU_DEP_1)
	v_min_u32_e32 v13, 32, v13
	v_subrev_nc_u32_e32 v14, 29, v13
	v_sub_nc_u32_e32 v13, 30, v13
	s_delay_alu instid0(VALU_DEP_2) | instskip(SKIP_1) | instid1(VALU_DEP_2)
	v_lshlrev_b32_e32 v14, v14, v8
	v_bfe_u32 v8, v8, 2, 5
	v_and_b32_e32 v14, 3, v14
	s_delay_alu instid0(VALU_DEP_2) | instskip(SKIP_1) | instid1(VALU_DEP_1)
	v_cmp_eq_u32_e32 vcc_lo, 0, v8
	v_dual_cndmask_b32 v8, v8, v13 :: v_dual_lshlrev_b32 v7, 24, v7
	v_dual_cndmask_b32 v10, v10, v14 :: v_dual_and_b32 v7, 0x80000000, v7
	s_delay_alu instid0(VALU_DEP_2) | instskip(NEXT) | instid1(VALU_DEP_2)
	v_lshl_add_u32 v8, v8, 23, 0x37800000
	v_lshlrev_b32_e32 v10, 21, v10
	s_delay_alu instid0(VALU_DEP_1)
	v_or3_b32 v10, v7, v8, v10
.LBB121_1498:
	s_or_b32 exec_lo, exec_lo, s10
	s_mov_b32 s2, 0
	s_branch .LBB121_1504
.LBB121_1499:
	s_mov_b32 s2, -1
                                        ; implicit-def: $vgpr10
	s_branch .LBB121_1510
.LBB121_1500:
	s_or_saveexec_b32 s12, s12
	v_mov_b32_e32 v10, s11
	s_xor_b32 exec_lo, exec_lo, s12
	s_cbranch_execz .LBB121_1483
.LBB121_1501:
	v_cmp_ne_u16_e32 vcc_lo, 0, v7
	v_mov_b32_e32 v10, 0
	s_and_not1_b32 s10, s10, exec_lo
	s_and_b32 s11, vcc_lo, exec_lo
	s_delay_alu instid0(SALU_CYCLE_1)
	s_or_b32 s10, s10, s11
	s_or_b32 exec_lo, exec_lo, s12
	s_and_saveexec_b32 s11, s10
	s_cbranch_execnz .LBB121_1484
	s_branch .LBB121_1485
.LBB121_1502:
	s_mov_b32 s2, -1
                                        ; implicit-def: $vgpr10
	s_branch .LBB121_1507
.LBB121_1503:
	s_mov_b32 s2, -1
                                        ; implicit-def: $vgpr10
.LBB121_1504:
	s_delay_alu instid0(SALU_CYCLE_1)
	s_and_b32 vcc_lo, exec_lo, s2
	s_cbranch_vccz .LBB121_1506
; %bb.1505:
	global_load_u8 v7, v[5:6], off
	s_waitcnt vmcnt(0)
	v_lshlrev_b32_e32 v7, 24, v7
	s_delay_alu instid0(VALU_DEP_1) | instskip(NEXT) | instid1(VALU_DEP_1)
	v_and_b32_e32 v8, 0x7f000000, v7
	v_clz_i32_u32_e32 v10, v8
	v_add_nc_u32_e32 v14, 0x1000000, v8
	v_cmp_ne_u32_e32 vcc_lo, 0, v8
	s_delay_alu instid0(VALU_DEP_3) | instskip(NEXT) | instid1(VALU_DEP_1)
	v_min_u32_e32 v10, 32, v10
	v_sub_nc_u32_e64 v10, v10, 4 clamp
	s_delay_alu instid0(VALU_DEP_1) | instskip(SKIP_1) | instid1(VALU_DEP_2)
	v_lshlrev_b32_e32 v13, v10, v8
	v_lshlrev_b32_e32 v10, 23, v10
	v_lshrrev_b32_e32 v13, 4, v13
	s_delay_alu instid0(VALU_DEP_1) | instskip(SKIP_1) | instid1(VALU_DEP_2)
	v_sub_nc_u32_e32 v10, v13, v10
	v_ashrrev_i32_e32 v13, 8, v14
	v_add_nc_u32_e32 v10, 0x3c000000, v10
	s_delay_alu instid0(VALU_DEP_1) | instskip(NEXT) | instid1(VALU_DEP_1)
	v_and_or_b32 v10, 0x7f800000, v13, v10
	v_cndmask_b32_e32 v8, 0, v10, vcc_lo
	s_delay_alu instid0(VALU_DEP_1)
	v_and_or_b32 v10, 0x80000000, v7, v8
.LBB121_1506:
	s_mov_b32 s2, 0
.LBB121_1507:
	s_delay_alu instid0(SALU_CYCLE_1)
	s_and_not1_b32 vcc_lo, exec_lo, s2
	s_cbranch_vccnz .LBB121_1509
; %bb.1508:
	global_load_u8 v7, v[5:6], off
	s_waitcnt vmcnt(0)
	v_lshlrev_b32_e32 v8, 25, v7
	v_lshlrev_b16 v7, 8, v7
	s_delay_alu instid0(VALU_DEP_1) | instskip(SKIP_1) | instid1(VALU_DEP_2)
	v_and_or_b32 v13, 0x7f00, v7, 0.5
	v_bfe_i32 v7, v7, 0, 16
	v_add_f32_e32 v13, -0.5, v13
	v_lshrrev_b32_e32 v10, 4, v8
	v_cmp_gt_u32_e32 vcc_lo, 0x8000000, v8
	s_delay_alu instid0(VALU_DEP_2) | instskip(NEXT) | instid1(VALU_DEP_1)
	v_or_b32_e32 v10, 0x70000000, v10
	v_mul_f32_e32 v10, 0x7800000, v10
	s_delay_alu instid0(VALU_DEP_1) | instskip(NEXT) | instid1(VALU_DEP_1)
	v_cndmask_b32_e32 v8, v10, v13, vcc_lo
	v_and_or_b32 v10, 0x80000000, v7, v8
.LBB121_1509:
	s_mov_b32 s2, 0
	s_mov_b32 s10, -1
.LBB121_1510:
	s_and_not1_b32 vcc_lo, exec_lo, s2
	s_mov_b32 s2, 0
	s_cbranch_vccnz .LBB121_1521
; %bb.1511:
	v_cmp_lt_i16_e32 vcc_lo, 14, v9
	s_cbranch_vccz .LBB121_1514
; %bb.1512:
	v_cmp_eq_u16_e32 vcc_lo, 15, v9
	s_cbranch_vccz .LBB121_1517
; %bb.1513:
	global_load_u16 v7, v[5:6], off
	s_mov_b32 s1, 0
	s_mov_b32 s10, -1
	s_waitcnt vmcnt(0)
	v_lshlrev_b32_e32 v10, 16, v7
	s_branch .LBB121_1519
.LBB121_1514:
	s_mov_b32 s2, -1
	s_branch .LBB121_1518
.LBB121_1515:
	s_or_saveexec_b32 s11, s11
	v_mov_b32_e32 v10, s10
	s_xor_b32 exec_lo, exec_lo, s11
	s_cbranch_execz .LBB121_1496
.LBB121_1516:
	v_cmp_ne_u16_e32 vcc_lo, 0, v7
	v_mov_b32_e32 v10, 0
	s_and_not1_b32 s2, s2, exec_lo
	s_and_b32 s10, vcc_lo, exec_lo
	s_delay_alu instid0(SALU_CYCLE_1)
	s_or_b32 s2, s2, s10
	s_or_b32 exec_lo, exec_lo, s11
	s_and_saveexec_b32 s10, s2
	s_cbranch_execnz .LBB121_1497
	s_branch .LBB121_1498
.LBB121_1517:
	s_mov_b32 s1, -1
.LBB121_1518:
                                        ; implicit-def: $vgpr10
.LBB121_1519:
	s_and_b32 vcc_lo, exec_lo, s2
	s_mov_b32 s2, 0
	s_cbranch_vccz .LBB121_1521
; %bb.1520:
	v_cmp_ne_u16_e64 s1, 11, v9
	s_mov_b32 s2, -1
                                        ; implicit-def: $vgpr10
.LBB121_1521:
	s_delay_alu instid0(VALU_DEP_1)
	s_and_b32 vcc_lo, exec_lo, s1
	s_cbranch_vccnz .LBB121_1537
; %bb.1522:
	s_and_not1_b32 vcc_lo, exec_lo, s2
	s_cbranch_vccnz .LBB121_1524
.LBB121_1523:
	global_load_u8 v7, v[5:6], off
	s_mov_b32 s10, -1
	s_waitcnt vmcnt(0)
	v_cmp_ne_u16_e32 vcc_lo, 0, v7
	v_cndmask_b32_e64 v10, 0, 1.0, vcc_lo
.LBB121_1524:
.LBB121_1525:
	s_and_not1_b32 vcc_lo, exec_lo, s10
	s_cbranch_vccnz .LBB121_2090
.LBB121_1526:
	v_cmp_gt_i16_e32 vcc_lo, 11, v9
	v_add_co_u32 v4, s1, s6, v4
	s_delay_alu instid0(VALU_DEP_1)
	v_add_co_ci_u32_e64 v5, null, s7, 0, s1
	s_mov_b32 s6, 0
	s_cbranch_vccnz .LBB121_1533
; %bb.1527:
	v_cmp_lt_i16_e32 vcc_lo, 25, v9
	s_mov_b32 s2, 0
	s_cbranch_vccz .LBB121_1534
; %bb.1528:
	v_cmp_lt_i16_e32 vcc_lo, 28, v9
	s_cbranch_vccz .LBB121_1535
; %bb.1529:
	v_cmp_lt_i16_e32 vcc_lo, 43, v9
	;; [unrolled: 3-line block ×3, first 2 shown]
	s_cbranch_vccz .LBB121_1539
; %bb.1531:
	v_cmp_eq_u16_e32 vcc_lo, 46, v9
	s_mov_b32 s7, 0
	s_cbranch_vccz .LBB121_1542
; %bb.1532:
	global_load_b32 v6, v[4:5], off
	s_mov_b32 s1, 0
	s_mov_b32 s6, -1
	s_waitcnt vmcnt(0)
	v_lshlrev_b32_e32 v8, 16, v6
	s_branch .LBB121_1544
.LBB121_1533:
	s_mov_b32 s1, -1
                                        ; implicit-def: $vgpr8
	s_branch .LBB121_1610
.LBB121_1534:
	s_mov_b32 s7, -1
	s_mov_b32 s1, 0
                                        ; implicit-def: $vgpr8
	s_branch .LBB121_1573
.LBB121_1535:
	s_mov_b32 s7, -1
	s_mov_b32 s1, 0
                                        ; implicit-def: $vgpr8
	s_branch .LBB121_1554
.LBB121_1536:
	s_mov_b32 s7, -1
	s_mov_b32 s1, 0
                                        ; implicit-def: $vgpr8
	s_branch .LBB121_1549
.LBB121_1537:
	s_cbranch_execnz .LBB121_1540
; %bb.1538:
	s_or_b32 s3, s3, exec_lo
                                        ; implicit-def: $vgpr10
	s_cbranch_execz .LBB121_1523
	s_branch .LBB121_1524
.LBB121_1539:
	s_mov_b32 s7, -1
	s_mov_b32 s1, 0
	s_branch .LBB121_1543
.LBB121_1540:
	s_trap 2
	s_sendmsg_rtn_b32 s0, sendmsg(MSG_RTN_GET_DOORBELL)
	s_mov_b32 ttmp2, m0
	s_waitcnt lgkmcnt(0)
	s_and_b32 s0, s0, 0x3ff
	s_delay_alu instid0(SALU_CYCLE_1) | instskip(NEXT) | instid1(SALU_CYCLE_1)
	s_bitset1_b32 s0, 10
	s_mov_b32 m0, s0
	s_sendmsg sendmsg(MSG_INTERRUPT)
	s_mov_b32 m0, ttmp2
.LBB121_1541:                           ; =>This Inner Loop Header: Depth=1
	s_sethalt 5
	s_branch .LBB121_1541
.LBB121_1542:
	s_mov_b32 s1, -1
.LBB121_1543:
                                        ; implicit-def: $vgpr8
.LBB121_1544:
	s_and_b32 vcc_lo, exec_lo, s7
	s_cbranch_vccz .LBB121_1548
; %bb.1545:
	v_cmp_eq_u16_e32 vcc_lo, 44, v9
	s_cbranch_vccz .LBB121_1547
; %bb.1546:
	global_load_u8 v6, v[4:5], off
	s_mov_b32 s1, 0
	s_mov_b32 s6, -1
	s_waitcnt vmcnt(0)
	v_lshlrev_b32_e32 v7, 23, v6
	v_cmp_ne_u32_e32 vcc_lo, 0xff, v6
	s_delay_alu instid0(VALU_DEP_2) | instskip(SKIP_1) | instid1(VALU_DEP_2)
	v_cndmask_b32_e32 v7, 0x7f800001, v7, vcc_lo
	v_cmp_ne_u32_e32 vcc_lo, 0, v6
	v_cndmask_b32_e32 v8, 0x400000, v7, vcc_lo
	s_branch .LBB121_1548
.LBB121_1547:
	s_mov_b32 s1, -1
                                        ; implicit-def: $vgpr8
.LBB121_1548:
	s_mov_b32 s7, 0
.LBB121_1549:
	s_delay_alu instid0(SALU_CYCLE_1)
	s_and_b32 vcc_lo, exec_lo, s7
	s_cbranch_vccz .LBB121_1553
; %bb.1550:
	v_cmp_eq_u16_e32 vcc_lo, 29, v9
	s_cbranch_vccz .LBB121_1552
; %bb.1551:
	global_load_b64 v[6:7], v[4:5], off
	s_mov_b32 s1, 0
	s_mov_b32 s6, -1
	s_mov_b32 s7, 0
	s_waitcnt vmcnt(0)
	v_clz_i32_u32_e32 v8, v7
	s_delay_alu instid0(VALU_DEP_1) | instskip(NEXT) | instid1(VALU_DEP_1)
	v_min_u32_e32 v8, 32, v8
	v_lshlrev_b64 v[6:7], v8, v[6:7]
	s_delay_alu instid0(VALU_DEP_1) | instskip(NEXT) | instid1(VALU_DEP_1)
	v_min_u32_e32 v6, 1, v6
	v_or_b32_e32 v6, v7, v6
	v_sub_nc_u32_e32 v7, 32, v8
	s_delay_alu instid0(VALU_DEP_2) | instskip(NEXT) | instid1(VALU_DEP_1)
	v_cvt_f32_u32_e32 v6, v6
	v_ldexp_f32 v8, v6, v7
	s_branch .LBB121_1554
.LBB121_1552:
	s_mov_b32 s1, -1
                                        ; implicit-def: $vgpr8
.LBB121_1553:
	s_mov_b32 s7, 0
.LBB121_1554:
	s_delay_alu instid0(SALU_CYCLE_1)
	s_and_b32 vcc_lo, exec_lo, s7
	s_cbranch_vccz .LBB121_1572
; %bb.1555:
	v_cmp_gt_i16_e32 vcc_lo, 27, v9
	s_cbranch_vccnz .LBB121_1558
; %bb.1556:
	v_cmp_lt_i16_e32 vcc_lo, 27, v9
	s_cbranch_vccz .LBB121_1559
; %bb.1557:
	global_load_b32 v6, v[4:5], off
	s_mov_b32 s6, 0
	s_waitcnt vmcnt(0)
	v_cvt_f32_u32_e32 v8, v6
	s_branch .LBB121_1560
.LBB121_1558:
	s_mov_b32 s6, -1
                                        ; implicit-def: $vgpr8
	s_branch .LBB121_1563
.LBB121_1559:
	s_mov_b32 s6, -1
                                        ; implicit-def: $vgpr8
.LBB121_1560:
	s_delay_alu instid0(SALU_CYCLE_1)
	s_and_not1_b32 vcc_lo, exec_lo, s6
	s_cbranch_vccnz .LBB121_1562
; %bb.1561:
	global_load_u16 v6, v[4:5], off
	s_waitcnt vmcnt(0)
	v_cvt_f32_u32_e32 v8, v6
.LBB121_1562:
	s_mov_b32 s6, 0
.LBB121_1563:
	s_delay_alu instid0(SALU_CYCLE_1)
	s_and_not1_b32 vcc_lo, exec_lo, s6
	s_cbranch_vccnz .LBB121_1571
; %bb.1564:
	global_load_u8 v6, v[4:5], off
	s_mov_b32 s6, 0
	s_mov_b32 s10, exec_lo
                                        ; implicit-def: $sgpr7
	s_waitcnt vmcnt(0)
	v_cmpx_lt_i16_e32 0x7f, v6
	s_xor_b32 s10, exec_lo, s10
	s_cbranch_execz .LBB121_1585
; %bb.1565:
	s_mov_b32 s6, -1
	s_mov_b32 s11, exec_lo
                                        ; implicit-def: $sgpr7
	v_cmpx_eq_u16_e32 0x80, v6
; %bb.1566:
	s_mov_b32 s7, 0x7f800001
	s_xor_b32 s6, exec_lo, -1
; %bb.1567:
	s_or_b32 exec_lo, exec_lo, s11
	s_delay_alu instid0(SALU_CYCLE_1)
	s_and_b32 s6, s6, exec_lo
	s_or_saveexec_b32 s10, s10
	v_mov_b32_e32 v8, s7
	s_xor_b32 exec_lo, exec_lo, s10
	s_cbranch_execnz .LBB121_1586
.LBB121_1568:
	s_or_b32 exec_lo, exec_lo, s10
	s_and_saveexec_b32 s7, s6
	s_cbranch_execz .LBB121_1570
.LBB121_1569:
	v_and_b32_e32 v7, 0xffff, v6
	v_lshlrev_b32_e32 v6, 24, v6
	s_delay_alu instid0(VALU_DEP_2) | instskip(NEXT) | instid1(VALU_DEP_2)
	v_and_b32_e32 v8, 7, v7
	v_and_b32_e32 v6, 0x80000000, v6
	s_delay_alu instid0(VALU_DEP_2) | instskip(NEXT) | instid1(VALU_DEP_1)
	v_clz_i32_u32_e32 v13, v8
	v_min_u32_e32 v13, 32, v13
	s_delay_alu instid0(VALU_DEP_1) | instskip(SKIP_1) | instid1(VALU_DEP_2)
	v_subrev_nc_u32_e32 v14, 28, v13
	v_sub_nc_u32_e32 v13, 29, v13
	v_lshlrev_b32_e32 v14, v14, v7
	v_bfe_u32 v7, v7, 3, 4
	s_delay_alu instid0(VALU_DEP_2) | instskip(NEXT) | instid1(VALU_DEP_2)
	v_and_b32_e32 v14, 7, v14
	v_cmp_eq_u32_e32 vcc_lo, 0, v7
	s_delay_alu instid0(VALU_DEP_2) | instskip(NEXT) | instid1(VALU_DEP_1)
	v_dual_cndmask_b32 v7, v7, v13 :: v_dual_cndmask_b32 v8, v8, v14
	v_lshl_add_u32 v7, v7, 23, 0x3b800000
	s_delay_alu instid0(VALU_DEP_2) | instskip(NEXT) | instid1(VALU_DEP_1)
	v_lshlrev_b32_e32 v8, 20, v8
	v_or3_b32 v8, v6, v7, v8
.LBB121_1570:
	s_or_b32 exec_lo, exec_lo, s7
.LBB121_1571:
	s_mov_b32 s6, -1
.LBB121_1572:
	s_mov_b32 s7, 0
.LBB121_1573:
	s_delay_alu instid0(SALU_CYCLE_1)
	s_and_b32 vcc_lo, exec_lo, s7
	s_cbranch_vccz .LBB121_1606
; %bb.1574:
	v_cmp_lt_i16_e32 vcc_lo, 22, v9
	s_cbranch_vccz .LBB121_1584
; %bb.1575:
	v_cmp_gt_i16_e32 vcc_lo, 24, v9
	s_cbranch_vccnz .LBB121_1587
; %bb.1576:
	v_cmp_lt_i16_e32 vcc_lo, 24, v9
	s_cbranch_vccz .LBB121_1588
; %bb.1577:
	global_load_u8 v6, v[4:5], off
	s_mov_b32 s7, exec_lo
                                        ; implicit-def: $sgpr6
	s_waitcnt vmcnt(0)
	v_cmpx_lt_i16_e32 0x7f, v6
	s_xor_b32 s7, exec_lo, s7
	s_cbranch_execz .LBB121_1600
; %bb.1578:
	s_mov_b32 s2, -1
	s_mov_b32 s10, exec_lo
                                        ; implicit-def: $sgpr6
	v_cmpx_eq_u16_e32 0x80, v6
; %bb.1579:
	s_mov_b32 s6, 0x7f800001
	s_xor_b32 s2, exec_lo, -1
; %bb.1580:
	s_or_b32 exec_lo, exec_lo, s10
	s_delay_alu instid0(SALU_CYCLE_1)
	s_and_b32 s2, s2, exec_lo
	s_or_saveexec_b32 s7, s7
	v_mov_b32_e32 v8, s6
	s_xor_b32 exec_lo, exec_lo, s7
	s_cbranch_execnz .LBB121_1601
.LBB121_1581:
	s_or_b32 exec_lo, exec_lo, s7
	s_and_saveexec_b32 s6, s2
	s_cbranch_execz .LBB121_1583
.LBB121_1582:
	v_and_b32_e32 v7, 0xffff, v6
	v_lshlrev_b32_e32 v6, 24, v6
	s_delay_alu instid0(VALU_DEP_2) | instskip(NEXT) | instid1(VALU_DEP_2)
	v_and_b32_e32 v8, 3, v7
	v_and_b32_e32 v6, 0x80000000, v6
	s_delay_alu instid0(VALU_DEP_2) | instskip(NEXT) | instid1(VALU_DEP_1)
	v_clz_i32_u32_e32 v13, v8
	v_min_u32_e32 v13, 32, v13
	s_delay_alu instid0(VALU_DEP_1) | instskip(SKIP_1) | instid1(VALU_DEP_2)
	v_subrev_nc_u32_e32 v14, 29, v13
	v_sub_nc_u32_e32 v13, 30, v13
	v_lshlrev_b32_e32 v14, v14, v7
	v_bfe_u32 v7, v7, 2, 5
	s_delay_alu instid0(VALU_DEP_2) | instskip(NEXT) | instid1(VALU_DEP_2)
	v_and_b32_e32 v14, 3, v14
	v_cmp_eq_u32_e32 vcc_lo, 0, v7
	s_delay_alu instid0(VALU_DEP_2) | instskip(NEXT) | instid1(VALU_DEP_1)
	v_dual_cndmask_b32 v7, v7, v13 :: v_dual_cndmask_b32 v8, v8, v14
	v_lshl_add_u32 v7, v7, 23, 0x37800000
	s_delay_alu instid0(VALU_DEP_2) | instskip(NEXT) | instid1(VALU_DEP_1)
	v_lshlrev_b32_e32 v8, 21, v8
	v_or3_b32 v8, v6, v7, v8
.LBB121_1583:
	s_or_b32 exec_lo, exec_lo, s6
	s_mov_b32 s2, 0
	s_branch .LBB121_1589
.LBB121_1584:
	s_mov_b32 s2, -1
                                        ; implicit-def: $vgpr8
	s_branch .LBB121_1595
.LBB121_1585:
	s_or_saveexec_b32 s10, s10
	v_mov_b32_e32 v8, s7
	s_xor_b32 exec_lo, exec_lo, s10
	s_cbranch_execz .LBB121_1568
.LBB121_1586:
	v_cmp_ne_u16_e32 vcc_lo, 0, v6
	v_mov_b32_e32 v8, 0
	s_and_not1_b32 s6, s6, exec_lo
	s_and_b32 s7, vcc_lo, exec_lo
	s_delay_alu instid0(SALU_CYCLE_1)
	s_or_b32 s6, s6, s7
	s_or_b32 exec_lo, exec_lo, s10
	s_and_saveexec_b32 s7, s6
	s_cbranch_execnz .LBB121_1569
	s_branch .LBB121_1570
.LBB121_1587:
	s_mov_b32 s2, -1
                                        ; implicit-def: $vgpr8
	s_branch .LBB121_1592
.LBB121_1588:
	s_mov_b32 s2, -1
                                        ; implicit-def: $vgpr8
.LBB121_1589:
	s_delay_alu instid0(SALU_CYCLE_1)
	s_and_b32 vcc_lo, exec_lo, s2
	s_cbranch_vccz .LBB121_1591
; %bb.1590:
	global_load_u8 v6, v[4:5], off
	s_waitcnt vmcnt(0)
	v_lshlrev_b32_e32 v6, 24, v6
	s_delay_alu instid0(VALU_DEP_1) | instskip(NEXT) | instid1(VALU_DEP_1)
	v_and_b32_e32 v7, 0x7f000000, v6
	v_clz_i32_u32_e32 v8, v7
	v_add_nc_u32_e32 v14, 0x1000000, v7
	v_cmp_ne_u32_e32 vcc_lo, 0, v7
	s_delay_alu instid0(VALU_DEP_3) | instskip(NEXT) | instid1(VALU_DEP_1)
	v_min_u32_e32 v8, 32, v8
	v_sub_nc_u32_e64 v8, v8, 4 clamp
	s_delay_alu instid0(VALU_DEP_1) | instskip(SKIP_1) | instid1(VALU_DEP_2)
	v_lshlrev_b32_e32 v13, v8, v7
	v_lshlrev_b32_e32 v8, 23, v8
	v_lshrrev_b32_e32 v13, 4, v13
	s_delay_alu instid0(VALU_DEP_1) | instskip(SKIP_1) | instid1(VALU_DEP_2)
	v_sub_nc_u32_e32 v8, v13, v8
	v_ashrrev_i32_e32 v13, 8, v14
	v_add_nc_u32_e32 v8, 0x3c000000, v8
	s_delay_alu instid0(VALU_DEP_1) | instskip(NEXT) | instid1(VALU_DEP_1)
	v_and_or_b32 v8, 0x7f800000, v13, v8
	v_cndmask_b32_e32 v7, 0, v8, vcc_lo
	s_delay_alu instid0(VALU_DEP_1)
	v_and_or_b32 v8, 0x80000000, v6, v7
.LBB121_1591:
	s_mov_b32 s2, 0
.LBB121_1592:
	s_delay_alu instid0(SALU_CYCLE_1)
	s_and_not1_b32 vcc_lo, exec_lo, s2
	s_cbranch_vccnz .LBB121_1594
; %bb.1593:
	global_load_u8 v6, v[4:5], off
	s_waitcnt vmcnt(0)
	v_lshlrev_b32_e32 v7, 25, v6
	v_lshlrev_b16 v6, 8, v6
	s_delay_alu instid0(VALU_DEP_2) | instskip(NEXT) | instid1(VALU_DEP_2)
	v_lshrrev_b32_e32 v8, 4, v7
	v_and_or_b32 v13, 0x7f00, v6, 0.5
	v_bfe_i32 v6, v6, 0, 16
	s_delay_alu instid0(VALU_DEP_3) | instskip(NEXT) | instid1(VALU_DEP_1)
	v_or_b32_e32 v8, 0x70000000, v8
	v_dual_add_f32 v13, -0.5, v13 :: v_dual_mul_f32 v8, 0x7800000, v8
	v_cmp_gt_u32_e32 vcc_lo, 0x8000000, v7
	s_delay_alu instid0(VALU_DEP_2) | instskip(NEXT) | instid1(VALU_DEP_1)
	v_cndmask_b32_e32 v7, v8, v13, vcc_lo
	v_and_or_b32 v8, 0x80000000, v6, v7
.LBB121_1594:
	s_mov_b32 s2, 0
	s_mov_b32 s6, -1
.LBB121_1595:
	s_and_not1_b32 vcc_lo, exec_lo, s2
	s_mov_b32 s2, 0
	s_cbranch_vccnz .LBB121_1606
; %bb.1596:
	v_cmp_lt_i16_e32 vcc_lo, 14, v9
	s_cbranch_vccz .LBB121_1599
; %bb.1597:
	v_cmp_eq_u16_e32 vcc_lo, 15, v9
	s_cbranch_vccz .LBB121_1602
; %bb.1598:
	global_load_u16 v6, v[4:5], off
	s_mov_b32 s1, 0
	s_mov_b32 s6, -1
	s_waitcnt vmcnt(0)
	v_lshlrev_b32_e32 v8, 16, v6
	s_branch .LBB121_1604
.LBB121_1599:
	s_mov_b32 s2, -1
	s_branch .LBB121_1603
.LBB121_1600:
	s_or_saveexec_b32 s7, s7
	v_mov_b32_e32 v8, s6
	s_xor_b32 exec_lo, exec_lo, s7
	s_cbranch_execz .LBB121_1581
.LBB121_1601:
	v_cmp_ne_u16_e32 vcc_lo, 0, v6
	v_mov_b32_e32 v8, 0
	s_and_not1_b32 s2, s2, exec_lo
	s_and_b32 s6, vcc_lo, exec_lo
	s_delay_alu instid0(SALU_CYCLE_1)
	s_or_b32 s2, s2, s6
	s_or_b32 exec_lo, exec_lo, s7
	s_and_saveexec_b32 s6, s2
	s_cbranch_execnz .LBB121_1582
	s_branch .LBB121_1583
.LBB121_1602:
	s_mov_b32 s1, -1
.LBB121_1603:
                                        ; implicit-def: $vgpr8
.LBB121_1604:
	s_and_b32 vcc_lo, exec_lo, s2
	s_mov_b32 s2, 0
	s_cbranch_vccz .LBB121_1606
; %bb.1605:
	v_cmp_ne_u16_e64 s1, 11, v9
	s_mov_b32 s2, -1
                                        ; implicit-def: $vgpr8
.LBB121_1606:
	s_delay_alu instid0(VALU_DEP_1)
	s_and_b32 vcc_lo, exec_lo, s1
	s_cbranch_vccnz .LBB121_2135
; %bb.1607:
	s_and_not1_b32 vcc_lo, exec_lo, s2
	s_cbranch_vccnz .LBB121_1609
.LBB121_1608:
	global_load_u8 v6, v[4:5], off
	s_mov_b32 s6, -1
	s_waitcnt vmcnt(0)
	v_cmp_ne_u16_e32 vcc_lo, 0, v6
	v_cndmask_b32_e64 v8, 0, 1.0, vcc_lo
.LBB121_1609:
	s_mov_b32 s1, 0
.LBB121_1610:
	s_delay_alu instid0(SALU_CYCLE_1)
	s_and_b32 vcc_lo, exec_lo, s1
	s_cbranch_vccz .LBB121_1659
; %bb.1611:
	v_cmp_gt_i16_e32 vcc_lo, 5, v9
	s_cbranch_vccnz .LBB121_1616
; %bb.1612:
	v_cmp_gt_i16_e32 vcc_lo, 8, v9
	s_cbranch_vccnz .LBB121_1617
	;; [unrolled: 3-line block ×3, first 2 shown]
; %bb.1614:
	v_cmp_lt_i16_e32 vcc_lo, 9, v9
	s_cbranch_vccz .LBB121_1619
; %bb.1615:
	global_load_b64 v[6:7], v[4:5], off
	s_mov_b32 s1, 0
	s_waitcnt vmcnt(0)
	v_cvt_f32_f64_e32 v8, v[6:7]
	s_branch .LBB121_1620
.LBB121_1616:
	s_mov_b32 s1, -1
                                        ; implicit-def: $vgpr8
	s_branch .LBB121_1638
.LBB121_1617:
	s_mov_b32 s1, -1
                                        ; implicit-def: $vgpr8
	s_branch .LBB121_1626
.LBB121_1618:
	s_mov_b32 s1, -1
                                        ; implicit-def: $vgpr8
	s_branch .LBB121_1623
.LBB121_1619:
	s_mov_b32 s1, -1
                                        ; implicit-def: $vgpr8
.LBB121_1620:
	s_delay_alu instid0(SALU_CYCLE_1)
	s_and_not1_b32 vcc_lo, exec_lo, s1
	s_cbranch_vccnz .LBB121_1622
; %bb.1621:
	global_load_b32 v8, v[4:5], off
.LBB121_1622:
	s_mov_b32 s1, 0
.LBB121_1623:
	s_delay_alu instid0(SALU_CYCLE_1)
	s_and_not1_b32 vcc_lo, exec_lo, s1
	s_cbranch_vccnz .LBB121_1625
; %bb.1624:
	global_load_b32 v6, v[4:5], off
	s_waitcnt vmcnt(0)
	v_cvt_f32_f16_e32 v8, v6
.LBB121_1625:
	s_mov_b32 s1, 0
.LBB121_1626:
	s_delay_alu instid0(SALU_CYCLE_1)
	s_and_not1_b32 vcc_lo, exec_lo, s1
	s_cbranch_vccnz .LBB121_1637
; %bb.1627:
	v_cmp_gt_i16_e32 vcc_lo, 6, v9
	s_cbranch_vccnz .LBB121_1630
; %bb.1628:
	v_cmp_lt_i16_e32 vcc_lo, 6, v9
	s_cbranch_vccz .LBB121_1631
; %bb.1629:
	global_load_b64 v[6:7], v[4:5], off
	s_mov_b32 s1, 0
	s_waitcnt vmcnt(0)
	v_cvt_f32_f64_e32 v8, v[6:7]
	s_branch .LBB121_1632
.LBB121_1630:
	s_mov_b32 s1, -1
                                        ; implicit-def: $vgpr8
	s_branch .LBB121_1635
.LBB121_1631:
	s_mov_b32 s1, -1
                                        ; implicit-def: $vgpr8
.LBB121_1632:
	s_delay_alu instid0(SALU_CYCLE_1)
	s_and_not1_b32 vcc_lo, exec_lo, s1
	s_cbranch_vccnz .LBB121_1634
; %bb.1633:
	global_load_b32 v8, v[4:5], off
.LBB121_1634:
	s_mov_b32 s1, 0
.LBB121_1635:
	s_delay_alu instid0(SALU_CYCLE_1)
	s_and_not1_b32 vcc_lo, exec_lo, s1
	s_cbranch_vccnz .LBB121_1637
; %bb.1636:
	global_load_u16 v6, v[4:5], off
	s_waitcnt vmcnt(0)
	v_cvt_f32_f16_e32 v8, v6
.LBB121_1637:
	s_mov_b32 s1, 0
.LBB121_1638:
	s_delay_alu instid0(SALU_CYCLE_1)
	s_and_not1_b32 vcc_lo, exec_lo, s1
	s_cbranch_vccnz .LBB121_1658
; %bb.1639:
	v_cmp_gt_i16_e32 vcc_lo, 2, v9
	s_cbranch_vccnz .LBB121_1643
; %bb.1640:
	v_cmp_gt_i16_e32 vcc_lo, 3, v9
	s_cbranch_vccnz .LBB121_1644
; %bb.1641:
	v_cmp_lt_i16_e32 vcc_lo, 3, v9
	s_cbranch_vccz .LBB121_1645
; %bb.1642:
	global_load_b64 v[6:7], v[4:5], off
	s_mov_b32 s1, 0
	s_waitcnt vmcnt(0)
	v_xor_b32_e32 v8, v6, v7
	v_cls_i32_e32 v13, v7
	s_delay_alu instid0(VALU_DEP_2) | instskip(NEXT) | instid1(VALU_DEP_2)
	v_ashrrev_i32_e32 v8, 31, v8
	v_add_nc_u32_e32 v13, -1, v13
	s_delay_alu instid0(VALU_DEP_2) | instskip(NEXT) | instid1(VALU_DEP_1)
	v_add_nc_u32_e32 v8, 32, v8
	v_min_u32_e32 v8, v13, v8
	s_delay_alu instid0(VALU_DEP_1) | instskip(NEXT) | instid1(VALU_DEP_1)
	v_lshlrev_b64 v[6:7], v8, v[6:7]
	v_min_u32_e32 v6, 1, v6
	s_delay_alu instid0(VALU_DEP_1) | instskip(SKIP_1) | instid1(VALU_DEP_2)
	v_or_b32_e32 v6, v7, v6
	v_sub_nc_u32_e32 v7, 32, v8
	v_cvt_f32_i32_e32 v6, v6
	s_delay_alu instid0(VALU_DEP_1)
	v_ldexp_f32 v8, v6, v7
	s_branch .LBB121_1646
.LBB121_1643:
	s_mov_b32 s1, -1
                                        ; implicit-def: $vgpr8
	s_branch .LBB121_1652
.LBB121_1644:
	s_mov_b32 s1, -1
                                        ; implicit-def: $vgpr8
	s_branch .LBB121_1649
.LBB121_1645:
	s_mov_b32 s1, -1
                                        ; implicit-def: $vgpr8
.LBB121_1646:
	s_delay_alu instid0(SALU_CYCLE_1)
	s_and_not1_b32 vcc_lo, exec_lo, s1
	s_cbranch_vccnz .LBB121_1648
; %bb.1647:
	global_load_b32 v6, v[4:5], off
	s_waitcnt vmcnt(0)
	v_cvt_f32_i32_e32 v8, v6
.LBB121_1648:
	s_mov_b32 s1, 0
.LBB121_1649:
	s_delay_alu instid0(SALU_CYCLE_1)
	s_and_not1_b32 vcc_lo, exec_lo, s1
	s_cbranch_vccnz .LBB121_1651
; %bb.1650:
	global_load_i16 v6, v[4:5], off
	s_waitcnt vmcnt(0)
	v_cvt_f32_i32_e32 v8, v6
.LBB121_1651:
	s_mov_b32 s1, 0
.LBB121_1652:
	s_delay_alu instid0(SALU_CYCLE_1)
	s_and_not1_b32 vcc_lo, exec_lo, s1
	s_cbranch_vccnz .LBB121_1658
; %bb.1653:
	v_cmp_lt_i16_e32 vcc_lo, 0, v9
	s_mov_b32 s1, 0
	s_cbranch_vccz .LBB121_1655
; %bb.1654:
	global_load_i8 v6, v[4:5], off
	s_waitcnt vmcnt(0)
	v_cvt_f32_i32_e32 v8, v6
	s_branch .LBB121_1656
.LBB121_1655:
	s_mov_b32 s1, -1
                                        ; implicit-def: $vgpr8
.LBB121_1656:
	s_delay_alu instid0(SALU_CYCLE_1)
	s_and_not1_b32 vcc_lo, exec_lo, s1
	s_cbranch_vccnz .LBB121_1658
; %bb.1657:
	global_load_u8 v4, v[4:5], off
	s_waitcnt vmcnt(0)
	v_cvt_f32_ubyte0_e32 v8, v4
.LBB121_1658:
	s_mov_b32 s6, -1
.LBB121_1659:
	s_delay_alu instid0(SALU_CYCLE_1)
	s_and_not1_b32 vcc_lo, exec_lo, s6
	s_cbranch_vccnz .LBB121_2090
; %bb.1660:
	v_mul_f32_e32 v4, 0x3fb8aa3b, v12
	s_mov_b32 s1, 0x395133b1
	s_lshr_b32 s0, s0, 8
	s_mov_b32 s7, 0
	s_mov_b32 s2, -1
	v_rndne_f32_e32 v4, v4
	s_delay_alu instid0(VALU_DEP_1) | instskip(SKIP_2) | instid1(VALU_DEP_3)
	v_fmamk_f32 v5, v4, 0xbf317218, v12
	v_cvt_i32_f32_e32 v7, v4
	v_cmp_eq_f32_e32 vcc_lo, 0x43000000, v4
	v_fmamk_f32 v5, v4, 0x3102e308, v5
	s_delay_alu instid0(VALU_DEP_3) | instskip(SKIP_2) | instid1(VALU_DEP_3)
	v_cndmask_b32_e64 v4, v7, 0x7f, vcc_lo
	v_and_b32_e64 v7, 0xff, s0
	v_cmp_lt_f32_e64 s0, 0x42b17217, v12
	v_ldexp_f32 v4, 1.0, v4
	v_fmaak_f32 v6, s1, v5, 0x3ab69700
	v_add_co_u32 v3, s1, s4, v3
	s_delay_alu instid0(VALU_DEP_2) | instskip(NEXT) | instid1(VALU_DEP_1)
	v_dual_add_f32 v9, -1.0, v4 :: v_dual_fmaak_f32 v6, v5, v6, 0x3c0887f9
	v_fmaak_f32 v6, v5, v6, 0x3d2aaa81
	s_delay_alu instid0(VALU_DEP_1) | instskip(NEXT) | instid1(VALU_DEP_1)
	v_fmaak_f32 v6, v5, v6, 0x3e2aaaab
	v_fma_f32 v6, v5, v6, 0.5
	s_delay_alu instid0(VALU_DEP_1) | instskip(NEXT) | instid1(VALU_DEP_1)
	v_mul_f32_e32 v6, v5, v6
	v_fmac_f32_e32 v5, v5, v6
	s_delay_alu instid0(VALU_DEP_1) | instskip(NEXT) | instid1(VALU_DEP_1)
	v_fmac_f32_e32 v9, v4, v5
	v_add_f32_e32 v4, v9, v9
	s_delay_alu instid0(VALU_DEP_1) | instskip(SKIP_3) | instid1(VALU_DEP_4)
	v_cndmask_b32_e32 v6, v9, v4, vcc_lo
	v_add_co_ci_u32_e64 v4, null, s5, 0, s1
	v_cmp_gt_f32_e64 s1, 0xc1880000, v12
	v_cmp_gt_i16_e32 vcc_lo, 11, v7
	v_cndmask_b32_e64 v5, v6, 0x7f800000, s0
	s_delay_alu instid0(VALU_DEP_1)
	v_cndmask_b32_e64 v5, v5, -1.0, s1
	s_cbranch_vccnz .LBB121_1738
; %bb.1661:
	v_cmp_lt_i16_e32 vcc_lo, 25, v7
	s_mov_b32 s10, -1
	s_mov_b32 s6, 0
	s_mov_b32 s2, 0
	s_cbranch_vccz .LBB121_1694
; %bb.1662:
	v_cmp_lt_i16_e32 vcc_lo, 28, v7
	s_cbranch_vccz .LBB121_1677
; %bb.1663:
	v_cmp_lt_i16_e32 vcc_lo, 43, v7
	s_cbranch_vccz .LBB121_1673
; %bb.1664:
	v_cmp_lt_i16_e32 vcc_lo, 45, v7
	s_cbranch_vccz .LBB121_1667
; %bb.1665:
	v_cmp_eq_u16_e32 vcc_lo, 46, v7
	s_mov_b32 s2, -1
	s_mov_b32 s10, 0
	s_cbranch_vccz .LBB121_1667
; %bb.1666:
	v_bfe_u32 v9, v5, 16, 1
	v_cmp_o_f32_e32 vcc_lo, v5, v5
	s_mov_b32 s2, 0
	s_mov_b32 s7, -1
	s_delay_alu instid0(VALU_DEP_2) | instskip(NEXT) | instid1(VALU_DEP_1)
	v_add3_u32 v9, v5, v9, 0x7fff
	v_lshrrev_b32_e32 v9, 16, v9
	s_delay_alu instid0(VALU_DEP_1)
	v_cndmask_b32_e32 v9, 0x7fc0, v9, vcc_lo
	global_store_b32 v[3:4], v9, off
.LBB121_1667:
	s_and_b32 vcc_lo, exec_lo, s10
	s_cbranch_vccz .LBB121_1672
; %bb.1668:
	v_cmp_eq_u16_e32 vcc_lo, 44, v7
	s_mov_b32 s2, -1
	s_cbranch_vccz .LBB121_1672
; %bb.1669:
	v_bfe_u32 v12, v5, 23, 8
	v_mov_b32_e32 v9, 0xff
	s_mov_b32 s7, exec_lo
	s_delay_alu instid0(VALU_DEP_2)
	v_cmpx_ne_u32_e32 0xff, v12
; %bb.1670:
	v_and_b32_e32 v9, 0x400000, v5
	v_and_or_b32 v12, 0x3fffff, v5, v12
	s_delay_alu instid0(VALU_DEP_2) | instskip(NEXT) | instid1(VALU_DEP_2)
	v_cmp_ne_u32_e32 vcc_lo, 0, v9
	v_cmp_ne_u32_e64 s2, 0, v12
	v_lshrrev_b32_e32 v9, 23, v5
	s_delay_alu instid0(VALU_DEP_2) | instskip(NEXT) | instid1(SALU_CYCLE_1)
	s_and_b32 s2, vcc_lo, s2
	v_cndmask_b32_e64 v12, 0, 1, s2
	s_delay_alu instid0(VALU_DEP_1)
	v_add_nc_u32_e32 v9, v9, v12
; %bb.1671:
	s_or_b32 exec_lo, exec_lo, s7
	s_mov_b32 s2, 0
	s_mov_b32 s7, -1
	global_store_b8 v[3:4], v9, off
.LBB121_1672:
	s_mov_b32 s10, 0
.LBB121_1673:
	s_delay_alu instid0(SALU_CYCLE_1)
	s_and_b32 vcc_lo, exec_lo, s10
	s_cbranch_vccz .LBB121_1676
; %bb.1674:
	v_cmp_eq_u16_e32 vcc_lo, 29, v7
	s_mov_b32 s2, -1
	s_cbranch_vccz .LBB121_1676
; %bb.1675:
	v_trunc_f32_e32 v9, v5
	s_mov_b32 s2, 0
	s_mov_b32 s7, -1
	s_delay_alu instid0(VALU_DEP_1) | instskip(NEXT) | instid1(VALU_DEP_1)
	v_mul_f32_e32 v12, 0x2f800000, v9
	v_floor_f32_e32 v12, v12
	s_delay_alu instid0(VALU_DEP_1) | instskip(SKIP_1) | instid1(VALU_DEP_2)
	v_fmamk_f32 v9, v12, 0xcf800000, v9
	v_cvt_u32_f32_e32 v13, v12
	v_cvt_u32_f32_e32 v12, v9
	global_store_b64 v[3:4], v[12:13], off
.LBB121_1676:
	s_mov_b32 s10, 0
.LBB121_1677:
	s_delay_alu instid0(SALU_CYCLE_1)
	s_and_b32 vcc_lo, exec_lo, s10
	s_cbranch_vccz .LBB121_1693
; %bb.1678:
	v_cmp_gt_i16_e32 vcc_lo, 27, v7
	s_mov_b32 s7, -1
	s_cbranch_vccnz .LBB121_1684
; %bb.1679:
	v_cmp_lt_i16_e32 vcc_lo, 27, v7
	v_cvt_u32_f32_e32 v9, v5
	s_cbranch_vccz .LBB121_1681
; %bb.1680:
	s_mov_b32 s7, 0
	global_store_b32 v[3:4], v9, off
.LBB121_1681:
	s_and_not1_b32 vcc_lo, exec_lo, s7
	s_cbranch_vccnz .LBB121_1683
; %bb.1682:
	global_store_b16 v[3:4], v9, off
.LBB121_1683:
	s_mov_b32 s7, 0
.LBB121_1684:
	s_delay_alu instid0(SALU_CYCLE_1)
	s_and_not1_b32 vcc_lo, exec_lo, s7
	s_cbranch_vccnz .LBB121_1692
; %bb.1685:
	v_cndmask_b32_e64 v9, |v6|, 0x7f800000, s0
	v_mov_b32_e32 v13, 0x80
	s_mov_b32 s7, exec_lo
	s_delay_alu instid0(VALU_DEP_2) | instskip(NEXT) | instid1(VALU_DEP_1)
	v_cndmask_b32_e64 v12, v9, 1.0, s1
	v_cmpx_gt_u32_e32 0x43800000, v12
	s_cbranch_execz .LBB121_1691
; %bb.1686:
	s_mov_b32 s10, 0
	s_mov_b32 s11, exec_lo
                                        ; implicit-def: $vgpr9
	v_cmpx_lt_u32_e32 0x3bffffff, v12
	s_xor_b32 s11, exec_lo, s11
	s_cbranch_execz .LBB121_2137
; %bb.1687:
	v_bfe_u32 v9, v5, 20, 1
	s_mov_b32 s10, exec_lo
                                        ; implicit-def: $vgpr12
	s_delay_alu instid0(VALU_DEP_1) | instskip(NEXT) | instid1(VALU_DEP_1)
	v_add3_u32 v9, v5, v9, 0x487ffff
	v_lshrrev_b32_e32 v9, 20, v9
	s_or_saveexec_b32 s11, s11
                                        ; implicit-def: $sgpr12
	s_delay_alu instid0(SALU_CYCLE_1)
	s_xor_b32 exec_lo, exec_lo, s11
	s_cbranch_execnz .LBB121_2138
.LBB121_1688:
	s_or_b32 exec_lo, exec_lo, s11
	v_mov_b32_e32 v13, s12
	s_and_saveexec_b32 s11, s10
.LBB121_1689:
	v_lshrrev_b32_e32 v12, 24, v5
	s_delay_alu instid0(VALU_DEP_1)
	v_and_or_b32 v13, 0x80, v12, v9
.LBB121_1690:
	s_or_b32 exec_lo, exec_lo, s11
.LBB121_1691:
	s_delay_alu instid0(SALU_CYCLE_1)
	s_or_b32 exec_lo, exec_lo, s7
	global_store_b8 v[3:4], v13, off
.LBB121_1692:
	s_mov_b32 s7, -1
.LBB121_1693:
	s_mov_b32 s10, 0
.LBB121_1694:
	s_delay_alu instid0(SALU_CYCLE_1)
	s_and_b32 vcc_lo, exec_lo, s10
	s_cbranch_vccz .LBB121_1734
; %bb.1695:
	v_cmp_lt_i16_e32 vcc_lo, 22, v7
	s_mov_b32 s6, -1
	s_cbranch_vccz .LBB121_1727
; %bb.1696:
	v_cmp_gt_i16_e32 vcc_lo, 24, v7
	s_cbranch_vccnz .LBB121_1716
; %bb.1697:
	v_cmp_lt_i16_e32 vcc_lo, 24, v7
	s_cbranch_vccz .LBB121_1705
; %bb.1698:
	v_cndmask_b32_e64 v9, |v6|, 0x7f800000, s0
	v_mov_b32_e32 v13, 0x80
	s_mov_b32 s6, exec_lo
	s_delay_alu instid0(VALU_DEP_2) | instskip(NEXT) | instid1(VALU_DEP_1)
	v_cndmask_b32_e64 v12, v9, 1.0, s1
	v_cmpx_gt_u32_e32 0x47800000, v12
	s_cbranch_execz .LBB121_1704
; %bb.1699:
	s_mov_b32 s7, 0
	s_mov_b32 s10, exec_lo
                                        ; implicit-def: $vgpr9
	v_cmpx_lt_u32_e32 0x37ffffff, v12
	s_xor_b32 s10, exec_lo, s10
	s_cbranch_execz .LBB121_2143
; %bb.1700:
	v_bfe_u32 v9, v5, 21, 1
	s_mov_b32 s7, exec_lo
                                        ; implicit-def: $vgpr12
	s_delay_alu instid0(VALU_DEP_1) | instskip(NEXT) | instid1(VALU_DEP_1)
	v_add3_u32 v9, v5, v9, 0x88fffff
	v_lshrrev_b32_e32 v9, 21, v9
	s_or_saveexec_b32 s10, s10
                                        ; implicit-def: $sgpr11
	s_delay_alu instid0(SALU_CYCLE_1)
	s_xor_b32 exec_lo, exec_lo, s10
	s_cbranch_execnz .LBB121_2144
.LBB121_1701:
	s_or_b32 exec_lo, exec_lo, s10
	v_mov_b32_e32 v13, s11
	s_and_saveexec_b32 s10, s7
.LBB121_1702:
	v_lshrrev_b32_e32 v12, 24, v5
	s_delay_alu instid0(VALU_DEP_1)
	v_and_or_b32 v13, 0x80, v12, v9
.LBB121_1703:
	s_or_b32 exec_lo, exec_lo, s10
.LBB121_1704:
	s_delay_alu instid0(SALU_CYCLE_1)
	s_or_b32 exec_lo, exec_lo, s6
	s_mov_b32 s6, 0
	global_store_b8 v[3:4], v13, off
.LBB121_1705:
	s_and_b32 vcc_lo, exec_lo, s6
	s_cbranch_vccz .LBB121_1715
; %bb.1706:
	v_cndmask_b32_e64 v9, |v6|, 0x7f800000, s0
	s_mov_b32 s6, exec_lo
	s_delay_alu instid0(VALU_DEP_1) | instskip(NEXT) | instid1(VALU_DEP_1)
	v_cndmask_b32_e64 v12, v9, 1.0, s1
                                        ; implicit-def: $vgpr9
	v_cmpx_gt_u32_e32 0x43f00000, v12
	s_xor_b32 s6, exec_lo, s6
	s_cbranch_execz .LBB121_1712
; %bb.1707:
	s_mov_b32 s7, exec_lo
                                        ; implicit-def: $vgpr9
	v_cmpx_lt_u32_e32 0x3c7fffff, v12
	s_xor_b32 s7, exec_lo, s7
; %bb.1708:
	v_bfe_u32 v9, v5, 20, 1
	s_delay_alu instid0(VALU_DEP_1) | instskip(NEXT) | instid1(VALU_DEP_1)
	v_add3_u32 v9, v5, v9, 0x407ffff
	v_and_b32_e32 v12, 0xff00000, v9
	v_lshrrev_b32_e32 v9, 20, v9
	s_delay_alu instid0(VALU_DEP_2) | instskip(NEXT) | instid1(VALU_DEP_2)
	v_cmp_ne_u32_e32 vcc_lo, 0x7f00000, v12
                                        ; implicit-def: $vgpr12
	v_cndmask_b32_e32 v9, 0x7e, v9, vcc_lo
; %bb.1709:
	s_and_not1_saveexec_b32 s7, s7
; %bb.1710:
	v_add_f32_e32 v9, 0x46800000, v12
; %bb.1711:
	s_or_b32 exec_lo, exec_lo, s7
                                        ; implicit-def: $vgpr12
.LBB121_1712:
	s_and_not1_saveexec_b32 s6, s6
; %bb.1713:
	v_mov_b32_e32 v9, 0x7f
	v_cmp_lt_u32_e32 vcc_lo, 0x7f800000, v12
	s_delay_alu instid0(VALU_DEP_2)
	v_cndmask_b32_e32 v9, 0x7e, v9, vcc_lo
; %bb.1714:
	s_or_b32 exec_lo, exec_lo, s6
	v_lshrrev_b32_e32 v12, 24, v5
	s_delay_alu instid0(VALU_DEP_1)
	v_and_or_b32 v9, 0x80, v12, v9
	global_store_b8 v[3:4], v9, off
.LBB121_1715:
	s_mov_b32 s6, 0
.LBB121_1716:
	s_delay_alu instid0(SALU_CYCLE_1)
	s_and_not1_b32 vcc_lo, exec_lo, s6
	s_cbranch_vccnz .LBB121_1726
; %bb.1717:
	v_cndmask_b32_e64 v6, |v6|, 0x7f800000, s0
	s_mov_b32 s0, exec_lo
	s_delay_alu instid0(VALU_DEP_1) | instskip(NEXT) | instid1(VALU_DEP_1)
	v_cndmask_b32_e64 v9, v6, 1.0, s1
                                        ; implicit-def: $vgpr6
	v_cmpx_gt_u32_e32 0x47800000, v9
	s_xor_b32 s0, exec_lo, s0
	s_cbranch_execz .LBB121_1723
; %bb.1718:
	s_mov_b32 s1, exec_lo
                                        ; implicit-def: $vgpr6
	v_cmpx_lt_u32_e32 0x387fffff, v9
	s_xor_b32 s1, exec_lo, s1
; %bb.1719:
	v_bfe_u32 v6, v5, 21, 1
                                        ; implicit-def: $vgpr9
	s_delay_alu instid0(VALU_DEP_1) | instskip(NEXT) | instid1(VALU_DEP_1)
	v_add3_u32 v6, v5, v6, 0x80fffff
	v_lshrrev_b32_e32 v6, 21, v6
; %bb.1720:
	s_and_not1_saveexec_b32 s1, s1
; %bb.1721:
	v_add_f32_e32 v6, 0x43000000, v9
; %bb.1722:
	s_or_b32 exec_lo, exec_lo, s1
                                        ; implicit-def: $vgpr9
.LBB121_1723:
	s_and_not1_saveexec_b32 s0, s0
; %bb.1724:
	v_mov_b32_e32 v6, 0x7f
	v_cmp_lt_u32_e32 vcc_lo, 0x7f800000, v9
	s_delay_alu instid0(VALU_DEP_2)
	v_cndmask_b32_e32 v6, 0x7c, v6, vcc_lo
; %bb.1725:
	s_or_b32 exec_lo, exec_lo, s0
	v_lshrrev_b32_e32 v9, 24, v5
	s_delay_alu instid0(VALU_DEP_1)
	v_and_or_b32 v6, 0x80, v9, v6
	global_store_b8 v[3:4], v6, off
.LBB121_1726:
	s_mov_b32 s6, 0
	s_mov_b32 s7, -1
.LBB121_1727:
	s_and_not1_b32 vcc_lo, exec_lo, s6
	s_mov_b32 s6, 0
	s_cbranch_vccnz .LBB121_1734
; %bb.1728:
	v_cmp_lt_i16_e32 vcc_lo, 14, v7
	s_mov_b32 s0, -1
	s_cbranch_vccz .LBB121_1732
; %bb.1729:
	v_cmp_eq_u16_e32 vcc_lo, 15, v7
	s_mov_b32 s2, -1
	s_cbranch_vccz .LBB121_1731
; %bb.1730:
	v_bfe_u32 v6, v5, 16, 1
	v_cmp_o_f32_e32 vcc_lo, v5, v5
	s_mov_b32 s2, 0
	s_mov_b32 s7, -1
	s_delay_alu instid0(VALU_DEP_2) | instskip(NEXT) | instid1(VALU_DEP_1)
	v_add3_u32 v6, v5, v6, 0x7fff
	v_lshrrev_b32_e32 v6, 16, v6
	s_delay_alu instid0(VALU_DEP_1)
	v_cndmask_b32_e32 v6, 0x7fc0, v6, vcc_lo
	global_store_b16 v[3:4], v6, off
.LBB121_1731:
	s_mov_b32 s0, 0
.LBB121_1732:
	s_delay_alu instid0(SALU_CYCLE_1)
	s_and_b32 vcc_lo, exec_lo, s0
	s_cbranch_vccz .LBB121_1734
; %bb.1733:
	v_cmp_ne_u16_e64 s2, 11, v7
	s_mov_b32 s6, -1
.LBB121_1734:
	s_delay_alu instid0(VALU_DEP_1)
	s_and_b32 vcc_lo, exec_lo, s2
	s_cbranch_vccnz .LBB121_2141
; %bb.1735:
	s_and_not1_b32 vcc_lo, exec_lo, s6
	s_cbranch_vccnz .LBB121_1737
.LBB121_1736:
	v_cmp_neq_f32_e32 vcc_lo, 0, v5
	s_mov_b32 s7, -1
	v_cndmask_b32_e64 v6, 0, 1, vcc_lo
	global_store_b8 v[3:4], v6, off
.LBB121_1737:
	s_mov_b32 s2, 0
.LBB121_1738:
	s_delay_alu instid0(SALU_CYCLE_1)
	s_and_b32 vcc_lo, exec_lo, s2
	s_cbranch_vccz .LBB121_1777
; %bb.1739:
	v_cmp_gt_i16_e32 vcc_lo, 5, v7
	s_mov_b32 s0, -1
	s_cbranch_vccnz .LBB121_1760
; %bb.1740:
	v_cmp_gt_i16_e32 vcc_lo, 8, v7
	s_cbranch_vccnz .LBB121_1750
; %bb.1741:
	v_cmp_gt_i16_e32 vcc_lo, 9, v7
	s_cbranch_vccnz .LBB121_1747
; %bb.1742:
	v_cmp_lt_i16_e32 vcc_lo, 9, v7
	s_cbranch_vccz .LBB121_1744
; %bb.1743:
	v_cvt_f64_f32_e32 v[12:13], v5
	v_mov_b32_e32 v14, 0
	s_mov_b32 s0, 0
	s_delay_alu instid0(VALU_DEP_1)
	v_mov_b32_e32 v15, v14
	global_store_b128 v[3:4], v[12:15], off
.LBB121_1744:
	s_and_not1_b32 vcc_lo, exec_lo, s0
	s_cbranch_vccnz .LBB121_1746
; %bb.1745:
	v_mov_b32_e32 v6, 0
	global_store_b64 v[3:4], v[5:6], off
.LBB121_1746:
	s_mov_b32 s0, 0
.LBB121_1747:
	s_delay_alu instid0(SALU_CYCLE_1)
	s_and_not1_b32 vcc_lo, exec_lo, s0
	s_cbranch_vccnz .LBB121_1749
; %bb.1748:
	v_cvt_f16_f32_e32 v6, v5
	s_delay_alu instid0(VALU_DEP_1)
	v_and_b32_e32 v6, 0xffff, v6
	global_store_b32 v[3:4], v6, off
.LBB121_1749:
	s_mov_b32 s0, 0
.LBB121_1750:
	s_delay_alu instid0(SALU_CYCLE_1)
	s_and_not1_b32 vcc_lo, exec_lo, s0
	s_cbranch_vccnz .LBB121_1759
; %bb.1751:
	v_cmp_gt_i16_e32 vcc_lo, 6, v7
	s_mov_b32 s0, -1
	s_cbranch_vccnz .LBB121_1757
; %bb.1752:
	v_cmp_lt_i16_e32 vcc_lo, 6, v7
	s_cbranch_vccz .LBB121_1754
; %bb.1753:
	v_cvt_f64_f32_e32 v[12:13], v5
	s_mov_b32 s0, 0
	global_store_b64 v[3:4], v[12:13], off
.LBB121_1754:
	s_and_not1_b32 vcc_lo, exec_lo, s0
	s_cbranch_vccnz .LBB121_1756
; %bb.1755:
	global_store_b32 v[3:4], v5, off
.LBB121_1756:
	s_mov_b32 s0, 0
.LBB121_1757:
	s_delay_alu instid0(SALU_CYCLE_1)
	s_and_not1_b32 vcc_lo, exec_lo, s0
	s_cbranch_vccnz .LBB121_1759
; %bb.1758:
	v_cvt_f16_f32_e32 v6, v5
	global_store_b16 v[3:4], v6, off
.LBB121_1759:
	s_mov_b32 s0, 0
.LBB121_1760:
	s_delay_alu instid0(SALU_CYCLE_1)
	s_and_not1_b32 vcc_lo, exec_lo, s0
	s_cbranch_vccnz .LBB121_1776
; %bb.1761:
	v_cmp_gt_i16_e32 vcc_lo, 2, v7
	s_mov_b32 s0, -1
	s_cbranch_vccnz .LBB121_1771
; %bb.1762:
	v_cmp_gt_i16_e32 vcc_lo, 3, v7
	s_cbranch_vccnz .LBB121_1768
; %bb.1763:
	v_cmp_lt_i16_e32 vcc_lo, 3, v7
	s_cbranch_vccz .LBB121_1765
; %bb.1764:
	v_trunc_f32_e32 v6, v5
	s_mov_b32 s0, 0
	s_delay_alu instid0(VALU_DEP_1) | instskip(NEXT) | instid1(VALU_DEP_1)
	v_mul_f32_e64 v9, 0x2f800000, |v6|
	v_floor_f32_e32 v9, v9
	s_delay_alu instid0(VALU_DEP_1) | instskip(SKIP_2) | instid1(VALU_DEP_3)
	v_fma_f32 v12, 0xcf800000, v9, |v6|
	v_ashrrev_i32_e32 v6, 31, v6
	v_cvt_u32_f32_e32 v9, v9
	v_cvt_u32_f32_e32 v12, v12
	s_delay_alu instid0(VALU_DEP_2) | instskip(NEXT) | instid1(VALU_DEP_2)
	v_xor_b32_e32 v9, v9, v6
	v_xor_b32_e32 v12, v12, v6
	s_delay_alu instid0(VALU_DEP_1) | instskip(NEXT) | instid1(VALU_DEP_3)
	v_sub_co_u32 v12, vcc_lo, v12, v6
	v_sub_co_ci_u32_e32 v13, vcc_lo, v9, v6, vcc_lo
	global_store_b64 v[3:4], v[12:13], off
.LBB121_1765:
	s_and_not1_b32 vcc_lo, exec_lo, s0
	s_cbranch_vccnz .LBB121_1767
; %bb.1766:
	v_cvt_i32_f32_e32 v6, v5
	global_store_b32 v[3:4], v6, off
.LBB121_1767:
	s_mov_b32 s0, 0
.LBB121_1768:
	s_delay_alu instid0(SALU_CYCLE_1)
	s_and_not1_b32 vcc_lo, exec_lo, s0
	s_cbranch_vccnz .LBB121_1770
; %bb.1769:
	v_cvt_i32_f32_e32 v6, v5
	global_store_b16 v[3:4], v6, off
.LBB121_1770:
	s_mov_b32 s0, 0
.LBB121_1771:
	s_delay_alu instid0(SALU_CYCLE_1)
	s_and_not1_b32 vcc_lo, exec_lo, s0
	s_cbranch_vccnz .LBB121_1776
; %bb.1772:
	v_cmp_lt_i16_e32 vcc_lo, 0, v7
	s_mov_b32 s0, -1
	s_cbranch_vccz .LBB121_1774
; %bb.1773:
	v_cvt_i32_f32_e32 v6, v5
	s_mov_b32 s0, 0
	global_store_b8 v[3:4], v6, off
.LBB121_1774:
	s_and_not1_b32 vcc_lo, exec_lo, s0
	s_cbranch_vccnz .LBB121_1776
; %bb.1775:
	v_trunc_f32_e32 v5, v5
	s_delay_alu instid0(VALU_DEP_1) | instskip(NEXT) | instid1(VALU_DEP_1)
	v_mul_f32_e64 v6, 0x2f800000, |v5|
	v_floor_f32_e32 v6, v6
	s_delay_alu instid0(VALU_DEP_1) | instskip(SKIP_1) | instid1(VALU_DEP_2)
	v_fma_f32 v6, 0xcf800000, v6, |v5|
	v_ashrrev_i32_e32 v5, 31, v5
	v_cvt_u32_f32_e32 v6, v6
	s_delay_alu instid0(VALU_DEP_1) | instskip(NEXT) | instid1(VALU_DEP_1)
	v_xor_b32_e32 v6, v6, v5
	v_sub_nc_u32_e32 v5, v6, v5
	global_store_b8 v[3:4], v5, off
.LBB121_1776:
	s_mov_b32 s7, -1
.LBB121_1777:
	s_delay_alu instid0(SALU_CYCLE_1)
	s_and_not1_b32 vcc_lo, exec_lo, s7
	s_cbranch_vccnz .LBB121_2090
; %bb.1778:
	s_waitcnt vmcnt(0)
	v_mul_f32_e32 v3, 0x3fb8aa3b, v11
	s_mov_b32 s0, 0x395133b1
	v_add_co_u32 v2, s1, s4, v2
	s_mov_b32 s7, 0
	s_delay_alu instid0(VALU_DEP_2) | instskip(SKIP_1) | instid1(VALU_DEP_1)
	v_rndne_f32_e32 v3, v3
	s_mov_b32 s2, -1
	v_fmamk_f32 v4, v3, 0xbf317218, v11
	v_cvt_i32_f32_e32 v6, v3
	v_cmp_eq_f32_e32 vcc_lo, 0x43000000, v3
	s_delay_alu instid0(VALU_DEP_3) | instskip(NEXT) | instid1(VALU_DEP_3)
	v_fmamk_f32 v4, v3, 0x3102e308, v4
	v_cndmask_b32_e64 v3, v6, 0x7f, vcc_lo
	s_delay_alu instid0(VALU_DEP_1) | instskip(NEXT) | instid1(VALU_DEP_3)
	v_ldexp_f32 v3, 1.0, v3
	v_fmaak_f32 v5, s0, v4, 0x3ab69700
	v_cmp_lt_f32_e64 s0, 0x42b17217, v11
	s_delay_alu instid0(VALU_DEP_2) | instskip(NEXT) | instid1(VALU_DEP_1)
	v_dual_add_f32 v6, -1.0, v3 :: v_dual_fmaak_f32 v5, v4, v5, 0x3c0887f9
	v_fmaak_f32 v5, v4, v5, 0x3d2aaa81
	s_delay_alu instid0(VALU_DEP_1) | instskip(NEXT) | instid1(VALU_DEP_1)
	v_fmaak_f32 v5, v4, v5, 0x3e2aaaab
	v_fma_f32 v5, v4, v5, 0.5
	s_delay_alu instid0(VALU_DEP_1) | instskip(NEXT) | instid1(VALU_DEP_1)
	v_mul_f32_e32 v5, v4, v5
	v_fmac_f32_e32 v4, v4, v5
	s_delay_alu instid0(VALU_DEP_1) | instskip(NEXT) | instid1(VALU_DEP_1)
	v_fmac_f32_e32 v6, v3, v4
	v_add_f32_e32 v3, v6, v6
	s_delay_alu instid0(VALU_DEP_1) | instskip(SKIP_3) | instid1(VALU_DEP_4)
	v_cndmask_b32_e32 v5, v6, v3, vcc_lo
	v_add_co_ci_u32_e64 v3, null, s5, 0, s1
	v_cmp_gt_f32_e64 s1, 0xc1880000, v11
	v_cmp_gt_i16_e32 vcc_lo, 11, v7
	v_cndmask_b32_e64 v4, v5, 0x7f800000, s0
	s_delay_alu instid0(VALU_DEP_1)
	v_cndmask_b32_e64 v4, v4, -1.0, s1
	s_cbranch_vccnz .LBB121_1856
; %bb.1779:
	v_cmp_lt_i16_e32 vcc_lo, 25, v7
	s_mov_b32 s10, -1
	s_mov_b32 s6, 0
	s_mov_b32 s2, 0
	s_cbranch_vccz .LBB121_1812
; %bb.1780:
	v_cmp_lt_i16_e32 vcc_lo, 28, v7
	s_cbranch_vccz .LBB121_1795
; %bb.1781:
	v_cmp_lt_i16_e32 vcc_lo, 43, v7
	;; [unrolled: 3-line block ×3, first 2 shown]
	s_cbranch_vccz .LBB121_1785
; %bb.1783:
	v_cmp_eq_u16_e32 vcc_lo, 46, v7
	s_mov_b32 s2, -1
	s_mov_b32 s10, 0
	s_cbranch_vccz .LBB121_1785
; %bb.1784:
	v_bfe_u32 v6, v4, 16, 1
	v_cmp_o_f32_e32 vcc_lo, v4, v4
	s_mov_b32 s2, 0
	s_mov_b32 s7, -1
	s_delay_alu instid0(VALU_DEP_2) | instskip(NEXT) | instid1(VALU_DEP_1)
	v_add3_u32 v6, v4, v6, 0x7fff
	v_lshrrev_b32_e32 v6, 16, v6
	s_delay_alu instid0(VALU_DEP_1)
	v_cndmask_b32_e32 v6, 0x7fc0, v6, vcc_lo
	global_store_b32 v[2:3], v6, off
.LBB121_1785:
	s_and_b32 vcc_lo, exec_lo, s10
	s_cbranch_vccz .LBB121_1790
; %bb.1786:
	v_cmp_eq_u16_e32 vcc_lo, 44, v7
	s_mov_b32 s2, -1
	s_cbranch_vccz .LBB121_1790
; %bb.1787:
	v_bfe_u32 v9, v4, 23, 8
	v_mov_b32_e32 v6, 0xff
	s_mov_b32 s7, exec_lo
	s_delay_alu instid0(VALU_DEP_2)
	v_cmpx_ne_u32_e32 0xff, v9
; %bb.1788:
	v_and_b32_e32 v6, 0x400000, v4
	v_and_or_b32 v9, 0x3fffff, v4, v9
	s_delay_alu instid0(VALU_DEP_2) | instskip(NEXT) | instid1(VALU_DEP_2)
	v_cmp_ne_u32_e32 vcc_lo, 0, v6
	v_cmp_ne_u32_e64 s2, 0, v9
	v_lshrrev_b32_e32 v6, 23, v4
	s_delay_alu instid0(VALU_DEP_2) | instskip(NEXT) | instid1(SALU_CYCLE_1)
	s_and_b32 s2, vcc_lo, s2
	v_cndmask_b32_e64 v9, 0, 1, s2
	s_delay_alu instid0(VALU_DEP_1)
	v_add_nc_u32_e32 v6, v6, v9
; %bb.1789:
	s_or_b32 exec_lo, exec_lo, s7
	s_mov_b32 s2, 0
	s_mov_b32 s7, -1
	global_store_b8 v[2:3], v6, off
.LBB121_1790:
	s_mov_b32 s10, 0
.LBB121_1791:
	s_delay_alu instid0(SALU_CYCLE_1)
	s_and_b32 vcc_lo, exec_lo, s10
	s_cbranch_vccz .LBB121_1794
; %bb.1792:
	v_cmp_eq_u16_e32 vcc_lo, 29, v7
	s_mov_b32 s2, -1
	s_cbranch_vccz .LBB121_1794
; %bb.1793:
	v_trunc_f32_e32 v6, v4
	s_mov_b32 s2, 0
	s_mov_b32 s7, -1
	s_delay_alu instid0(VALU_DEP_1) | instskip(NEXT) | instid1(VALU_DEP_1)
	v_mul_f32_e32 v9, 0x2f800000, v6
	v_floor_f32_e32 v9, v9
	s_delay_alu instid0(VALU_DEP_1) | instskip(SKIP_1) | instid1(VALU_DEP_2)
	v_fmamk_f32 v6, v9, 0xcf800000, v6
	v_cvt_u32_f32_e32 v12, v9
	v_cvt_u32_f32_e32 v11, v6
	global_store_b64 v[2:3], v[11:12], off
.LBB121_1794:
	s_mov_b32 s10, 0
.LBB121_1795:
	s_delay_alu instid0(SALU_CYCLE_1)
	s_and_b32 vcc_lo, exec_lo, s10
	s_cbranch_vccz .LBB121_1811
; %bb.1796:
	v_cmp_gt_i16_e32 vcc_lo, 27, v7
	s_mov_b32 s7, -1
	s_cbranch_vccnz .LBB121_1802
; %bb.1797:
	v_cmp_lt_i16_e32 vcc_lo, 27, v7
	v_cvt_u32_f32_e32 v6, v4
	s_cbranch_vccz .LBB121_1799
; %bb.1798:
	s_mov_b32 s7, 0
	global_store_b32 v[2:3], v6, off
.LBB121_1799:
	s_and_not1_b32 vcc_lo, exec_lo, s7
	s_cbranch_vccnz .LBB121_1801
; %bb.1800:
	global_store_b16 v[2:3], v6, off
.LBB121_1801:
	s_mov_b32 s7, 0
.LBB121_1802:
	s_delay_alu instid0(SALU_CYCLE_1)
	s_and_not1_b32 vcc_lo, exec_lo, s7
	s_cbranch_vccnz .LBB121_1810
; %bb.1803:
	v_cndmask_b32_e64 v6, |v5|, 0x7f800000, s0
	v_mov_b32_e32 v11, 0x80
	s_mov_b32 s7, exec_lo
	s_delay_alu instid0(VALU_DEP_2) | instskip(NEXT) | instid1(VALU_DEP_1)
	v_cndmask_b32_e64 v9, v6, 1.0, s1
	v_cmpx_gt_u32_e32 0x43800000, v9
	s_cbranch_execz .LBB121_1809
; %bb.1804:
	s_mov_b32 s10, 0
	s_mov_b32 s11, exec_lo
                                        ; implicit-def: $vgpr6
	v_cmpx_lt_u32_e32 0x3bffffff, v9
	s_xor_b32 s11, exec_lo, s11
	s_cbranch_execz .LBB121_2145
; %bb.1805:
	v_bfe_u32 v6, v4, 20, 1
	s_mov_b32 s10, exec_lo
                                        ; implicit-def: $vgpr9
	s_delay_alu instid0(VALU_DEP_1) | instskip(NEXT) | instid1(VALU_DEP_1)
	v_add3_u32 v6, v4, v6, 0x487ffff
	v_lshrrev_b32_e32 v6, 20, v6
	s_or_saveexec_b32 s11, s11
                                        ; implicit-def: $sgpr12
	s_delay_alu instid0(SALU_CYCLE_1)
	s_xor_b32 exec_lo, exec_lo, s11
	s_cbranch_execnz .LBB121_2146
.LBB121_1806:
	s_or_b32 exec_lo, exec_lo, s11
	v_mov_b32_e32 v11, s12
	s_and_saveexec_b32 s11, s10
.LBB121_1807:
	v_lshrrev_b32_e32 v9, 24, v4
	s_delay_alu instid0(VALU_DEP_1)
	v_and_or_b32 v11, 0x80, v9, v6
.LBB121_1808:
	s_or_b32 exec_lo, exec_lo, s11
.LBB121_1809:
	s_delay_alu instid0(SALU_CYCLE_1)
	s_or_b32 exec_lo, exec_lo, s7
	global_store_b8 v[2:3], v11, off
.LBB121_1810:
	s_mov_b32 s7, -1
.LBB121_1811:
	s_mov_b32 s10, 0
.LBB121_1812:
	s_delay_alu instid0(SALU_CYCLE_1)
	s_and_b32 vcc_lo, exec_lo, s10
	s_cbranch_vccz .LBB121_1852
; %bb.1813:
	v_cmp_lt_i16_e32 vcc_lo, 22, v7
	s_mov_b32 s6, -1
	s_cbranch_vccz .LBB121_1845
; %bb.1814:
	v_cmp_gt_i16_e32 vcc_lo, 24, v7
	s_cbranch_vccnz .LBB121_1834
; %bb.1815:
	v_cmp_lt_i16_e32 vcc_lo, 24, v7
	s_cbranch_vccz .LBB121_1823
; %bb.1816:
	v_cndmask_b32_e64 v6, |v5|, 0x7f800000, s0
	v_mov_b32_e32 v11, 0x80
	s_mov_b32 s6, exec_lo
	s_delay_alu instid0(VALU_DEP_2) | instskip(NEXT) | instid1(VALU_DEP_1)
	v_cndmask_b32_e64 v9, v6, 1.0, s1
	v_cmpx_gt_u32_e32 0x47800000, v9
	s_cbranch_execz .LBB121_1822
; %bb.1817:
	s_mov_b32 s7, 0
	s_mov_b32 s10, exec_lo
                                        ; implicit-def: $vgpr6
	v_cmpx_lt_u32_e32 0x37ffffff, v9
	s_xor_b32 s10, exec_lo, s10
	s_cbranch_execz .LBB121_2151
; %bb.1818:
	v_bfe_u32 v6, v4, 21, 1
	s_mov_b32 s7, exec_lo
                                        ; implicit-def: $vgpr9
	s_delay_alu instid0(VALU_DEP_1) | instskip(NEXT) | instid1(VALU_DEP_1)
	v_add3_u32 v6, v4, v6, 0x88fffff
	v_lshrrev_b32_e32 v6, 21, v6
	s_or_saveexec_b32 s10, s10
                                        ; implicit-def: $sgpr11
	s_delay_alu instid0(SALU_CYCLE_1)
	s_xor_b32 exec_lo, exec_lo, s10
	s_cbranch_execnz .LBB121_2152
.LBB121_1819:
	s_or_b32 exec_lo, exec_lo, s10
	v_mov_b32_e32 v11, s11
	s_and_saveexec_b32 s10, s7
.LBB121_1820:
	v_lshrrev_b32_e32 v9, 24, v4
	s_delay_alu instid0(VALU_DEP_1)
	v_and_or_b32 v11, 0x80, v9, v6
.LBB121_1821:
	s_or_b32 exec_lo, exec_lo, s10
.LBB121_1822:
	s_delay_alu instid0(SALU_CYCLE_1)
	s_or_b32 exec_lo, exec_lo, s6
	s_mov_b32 s6, 0
	global_store_b8 v[2:3], v11, off
.LBB121_1823:
	s_and_b32 vcc_lo, exec_lo, s6
	s_cbranch_vccz .LBB121_1833
; %bb.1824:
	v_cndmask_b32_e64 v6, |v5|, 0x7f800000, s0
	s_mov_b32 s6, exec_lo
	s_delay_alu instid0(VALU_DEP_1) | instskip(NEXT) | instid1(VALU_DEP_1)
	v_cndmask_b32_e64 v9, v6, 1.0, s1
                                        ; implicit-def: $vgpr6
	v_cmpx_gt_u32_e32 0x43f00000, v9
	s_xor_b32 s6, exec_lo, s6
	s_cbranch_execz .LBB121_1830
; %bb.1825:
	s_mov_b32 s7, exec_lo
                                        ; implicit-def: $vgpr6
	v_cmpx_lt_u32_e32 0x3c7fffff, v9
	s_xor_b32 s7, exec_lo, s7
; %bb.1826:
	v_bfe_u32 v6, v4, 20, 1
	s_delay_alu instid0(VALU_DEP_1) | instskip(NEXT) | instid1(VALU_DEP_1)
	v_add3_u32 v6, v4, v6, 0x407ffff
	v_and_b32_e32 v9, 0xff00000, v6
	v_lshrrev_b32_e32 v6, 20, v6
	s_delay_alu instid0(VALU_DEP_2) | instskip(NEXT) | instid1(VALU_DEP_2)
	v_cmp_ne_u32_e32 vcc_lo, 0x7f00000, v9
                                        ; implicit-def: $vgpr9
	v_cndmask_b32_e32 v6, 0x7e, v6, vcc_lo
; %bb.1827:
	s_and_not1_saveexec_b32 s7, s7
; %bb.1828:
	v_add_f32_e32 v6, 0x46800000, v9
; %bb.1829:
	s_or_b32 exec_lo, exec_lo, s7
                                        ; implicit-def: $vgpr9
.LBB121_1830:
	s_and_not1_saveexec_b32 s6, s6
; %bb.1831:
	v_mov_b32_e32 v6, 0x7f
	v_cmp_lt_u32_e32 vcc_lo, 0x7f800000, v9
	s_delay_alu instid0(VALU_DEP_2)
	v_cndmask_b32_e32 v6, 0x7e, v6, vcc_lo
; %bb.1832:
	s_or_b32 exec_lo, exec_lo, s6
	v_lshrrev_b32_e32 v9, 24, v4
	s_delay_alu instid0(VALU_DEP_1)
	v_and_or_b32 v6, 0x80, v9, v6
	global_store_b8 v[2:3], v6, off
.LBB121_1833:
	s_mov_b32 s6, 0
.LBB121_1834:
	s_delay_alu instid0(SALU_CYCLE_1)
	s_and_not1_b32 vcc_lo, exec_lo, s6
	s_cbranch_vccnz .LBB121_1844
; %bb.1835:
	v_cndmask_b32_e64 v5, |v5|, 0x7f800000, s0
	s_mov_b32 s0, exec_lo
	s_delay_alu instid0(VALU_DEP_1) | instskip(NEXT) | instid1(VALU_DEP_1)
	v_cndmask_b32_e64 v6, v5, 1.0, s1
                                        ; implicit-def: $vgpr5
	v_cmpx_gt_u32_e32 0x47800000, v6
	s_xor_b32 s0, exec_lo, s0
	s_cbranch_execz .LBB121_1841
; %bb.1836:
	s_mov_b32 s1, exec_lo
                                        ; implicit-def: $vgpr5
	v_cmpx_lt_u32_e32 0x387fffff, v6
	s_xor_b32 s1, exec_lo, s1
; %bb.1837:
	v_bfe_u32 v5, v4, 21, 1
                                        ; implicit-def: $vgpr6
	s_delay_alu instid0(VALU_DEP_1) | instskip(NEXT) | instid1(VALU_DEP_1)
	v_add3_u32 v5, v4, v5, 0x80fffff
	v_lshrrev_b32_e32 v5, 21, v5
; %bb.1838:
	s_and_not1_saveexec_b32 s1, s1
; %bb.1839:
	v_add_f32_e32 v5, 0x43000000, v6
; %bb.1840:
	s_or_b32 exec_lo, exec_lo, s1
                                        ; implicit-def: $vgpr6
.LBB121_1841:
	s_and_not1_saveexec_b32 s0, s0
; %bb.1842:
	v_mov_b32_e32 v5, 0x7f
	v_cmp_lt_u32_e32 vcc_lo, 0x7f800000, v6
	s_delay_alu instid0(VALU_DEP_2)
	v_cndmask_b32_e32 v5, 0x7c, v5, vcc_lo
; %bb.1843:
	s_or_b32 exec_lo, exec_lo, s0
	v_lshrrev_b32_e32 v6, 24, v4
	s_delay_alu instid0(VALU_DEP_1)
	v_and_or_b32 v5, 0x80, v6, v5
	global_store_b8 v[2:3], v5, off
.LBB121_1844:
	s_mov_b32 s6, 0
	s_mov_b32 s7, -1
.LBB121_1845:
	s_and_not1_b32 vcc_lo, exec_lo, s6
	s_mov_b32 s6, 0
	s_cbranch_vccnz .LBB121_1852
; %bb.1846:
	v_cmp_lt_i16_e32 vcc_lo, 14, v7
	s_mov_b32 s0, -1
	s_cbranch_vccz .LBB121_1850
; %bb.1847:
	v_cmp_eq_u16_e32 vcc_lo, 15, v7
	s_mov_b32 s2, -1
	s_cbranch_vccz .LBB121_1849
; %bb.1848:
	v_bfe_u32 v5, v4, 16, 1
	v_cmp_o_f32_e32 vcc_lo, v4, v4
	s_mov_b32 s2, 0
	s_mov_b32 s7, -1
	s_delay_alu instid0(VALU_DEP_2) | instskip(NEXT) | instid1(VALU_DEP_1)
	v_add3_u32 v5, v4, v5, 0x7fff
	v_lshrrev_b32_e32 v5, 16, v5
	s_delay_alu instid0(VALU_DEP_1)
	v_cndmask_b32_e32 v5, 0x7fc0, v5, vcc_lo
	global_store_b16 v[2:3], v5, off
.LBB121_1849:
	s_mov_b32 s0, 0
.LBB121_1850:
	s_delay_alu instid0(SALU_CYCLE_1)
	s_and_b32 vcc_lo, exec_lo, s0
	s_cbranch_vccz .LBB121_1852
; %bb.1851:
	v_cmp_ne_u16_e64 s2, 11, v7
	s_mov_b32 s6, -1
.LBB121_1852:
	s_delay_alu instid0(VALU_DEP_1)
	s_and_b32 vcc_lo, exec_lo, s2
	s_cbranch_vccnz .LBB121_2149
; %bb.1853:
	s_and_not1_b32 vcc_lo, exec_lo, s6
	s_cbranch_vccnz .LBB121_1855
.LBB121_1854:
	v_cmp_neq_f32_e32 vcc_lo, 0, v4
	s_mov_b32 s7, -1
	v_cndmask_b32_e64 v5, 0, 1, vcc_lo
	global_store_b8 v[2:3], v5, off
.LBB121_1855:
	s_mov_b32 s2, 0
.LBB121_1856:
	s_delay_alu instid0(SALU_CYCLE_1)
	s_and_b32 vcc_lo, exec_lo, s2
	s_cbranch_vccz .LBB121_1895
; %bb.1857:
	v_cmp_gt_i16_e32 vcc_lo, 5, v7
	s_mov_b32 s0, -1
	s_cbranch_vccnz .LBB121_1878
; %bb.1858:
	v_cmp_gt_i16_e32 vcc_lo, 8, v7
	s_cbranch_vccnz .LBB121_1868
; %bb.1859:
	v_cmp_gt_i16_e32 vcc_lo, 9, v7
	s_cbranch_vccnz .LBB121_1865
; %bb.1860:
	v_cmp_lt_i16_e32 vcc_lo, 9, v7
	s_cbranch_vccz .LBB121_1862
; %bb.1861:
	v_cvt_f64_f32_e32 v[11:12], v4
	v_mov_b32_e32 v13, 0
	s_mov_b32 s0, 0
	s_delay_alu instid0(VALU_DEP_1)
	v_mov_b32_e32 v14, v13
	global_store_b128 v[2:3], v[11:14], off
.LBB121_1862:
	s_and_not1_b32 vcc_lo, exec_lo, s0
	s_cbranch_vccnz .LBB121_1864
; %bb.1863:
	v_mov_b32_e32 v5, 0
	global_store_b64 v[2:3], v[4:5], off
.LBB121_1864:
	s_mov_b32 s0, 0
.LBB121_1865:
	s_delay_alu instid0(SALU_CYCLE_1)
	s_and_not1_b32 vcc_lo, exec_lo, s0
	s_cbranch_vccnz .LBB121_1867
; %bb.1866:
	v_cvt_f16_f32_e32 v5, v4
	s_delay_alu instid0(VALU_DEP_1)
	v_and_b32_e32 v5, 0xffff, v5
	global_store_b32 v[2:3], v5, off
.LBB121_1867:
	s_mov_b32 s0, 0
.LBB121_1868:
	s_delay_alu instid0(SALU_CYCLE_1)
	s_and_not1_b32 vcc_lo, exec_lo, s0
	s_cbranch_vccnz .LBB121_1877
; %bb.1869:
	v_cmp_gt_i16_e32 vcc_lo, 6, v7
	s_mov_b32 s0, -1
	s_cbranch_vccnz .LBB121_1875
; %bb.1870:
	v_cmp_lt_i16_e32 vcc_lo, 6, v7
	s_cbranch_vccz .LBB121_1872
; %bb.1871:
	v_cvt_f64_f32_e32 v[5:6], v4
	s_mov_b32 s0, 0
	global_store_b64 v[2:3], v[5:6], off
.LBB121_1872:
	s_and_not1_b32 vcc_lo, exec_lo, s0
	s_cbranch_vccnz .LBB121_1874
; %bb.1873:
	global_store_b32 v[2:3], v4, off
.LBB121_1874:
	s_mov_b32 s0, 0
.LBB121_1875:
	s_delay_alu instid0(SALU_CYCLE_1)
	s_and_not1_b32 vcc_lo, exec_lo, s0
	s_cbranch_vccnz .LBB121_1877
; %bb.1876:
	v_cvt_f16_f32_e32 v5, v4
	global_store_b16 v[2:3], v5, off
.LBB121_1877:
	s_mov_b32 s0, 0
.LBB121_1878:
	s_delay_alu instid0(SALU_CYCLE_1)
	s_and_not1_b32 vcc_lo, exec_lo, s0
	s_cbranch_vccnz .LBB121_1894
; %bb.1879:
	v_cmp_gt_i16_e32 vcc_lo, 2, v7
	s_mov_b32 s0, -1
	s_cbranch_vccnz .LBB121_1889
; %bb.1880:
	v_cmp_gt_i16_e32 vcc_lo, 3, v7
	s_cbranch_vccnz .LBB121_1886
; %bb.1881:
	v_cmp_lt_i16_e32 vcc_lo, 3, v7
	s_cbranch_vccz .LBB121_1883
; %bb.1882:
	v_trunc_f32_e32 v5, v4
	s_mov_b32 s0, 0
	s_delay_alu instid0(VALU_DEP_1) | instskip(SKIP_1) | instid1(VALU_DEP_2)
	v_mul_f32_e64 v6, 0x2f800000, |v5|
	v_ashrrev_i32_e32 v11, 31, v5
	v_floor_f32_e32 v6, v6
	s_delay_alu instid0(VALU_DEP_1) | instskip(SKIP_1) | instid1(VALU_DEP_2)
	v_fma_f32 v9, 0xcf800000, v6, |v5|
	v_cvt_u32_f32_e32 v6, v6
	v_cvt_u32_f32_e32 v5, v9
	s_delay_alu instid0(VALU_DEP_2) | instskip(NEXT) | instid1(VALU_DEP_2)
	v_xor_b32_e32 v6, v6, v11
	v_xor_b32_e32 v5, v5, v11
	s_delay_alu instid0(VALU_DEP_1) | instskip(NEXT) | instid1(VALU_DEP_3)
	v_sub_co_u32 v5, vcc_lo, v5, v11
	v_sub_co_ci_u32_e32 v6, vcc_lo, v6, v11, vcc_lo
	global_store_b64 v[2:3], v[5:6], off
.LBB121_1883:
	s_and_not1_b32 vcc_lo, exec_lo, s0
	s_cbranch_vccnz .LBB121_1885
; %bb.1884:
	v_cvt_i32_f32_e32 v5, v4
	global_store_b32 v[2:3], v5, off
.LBB121_1885:
	s_mov_b32 s0, 0
.LBB121_1886:
	s_delay_alu instid0(SALU_CYCLE_1)
	s_and_not1_b32 vcc_lo, exec_lo, s0
	s_cbranch_vccnz .LBB121_1888
; %bb.1887:
	v_cvt_i32_f32_e32 v5, v4
	global_store_b16 v[2:3], v5, off
.LBB121_1888:
	s_mov_b32 s0, 0
.LBB121_1889:
	s_delay_alu instid0(SALU_CYCLE_1)
	s_and_not1_b32 vcc_lo, exec_lo, s0
	s_cbranch_vccnz .LBB121_1894
; %bb.1890:
	v_cmp_lt_i16_e32 vcc_lo, 0, v7
	s_mov_b32 s0, -1
	s_cbranch_vccz .LBB121_1892
; %bb.1891:
	v_cvt_i32_f32_e32 v5, v4
	s_mov_b32 s0, 0
	global_store_b8 v[2:3], v5, off
.LBB121_1892:
	s_and_not1_b32 vcc_lo, exec_lo, s0
	s_cbranch_vccnz .LBB121_1894
; %bb.1893:
	v_trunc_f32_e32 v4, v4
	s_delay_alu instid0(VALU_DEP_1) | instskip(NEXT) | instid1(VALU_DEP_1)
	v_mul_f32_e64 v5, 0x2f800000, |v4|
	v_floor_f32_e32 v5, v5
	s_delay_alu instid0(VALU_DEP_1) | instskip(SKIP_1) | instid1(VALU_DEP_2)
	v_fma_f32 v5, 0xcf800000, v5, |v4|
	v_ashrrev_i32_e32 v4, 31, v4
	v_cvt_u32_f32_e32 v5, v5
	s_delay_alu instid0(VALU_DEP_1) | instskip(NEXT) | instid1(VALU_DEP_1)
	v_xor_b32_e32 v5, v5, v4
	v_sub_nc_u32_e32 v4, v5, v4
	global_store_b8 v[2:3], v4, off
.LBB121_1894:
	s_mov_b32 s7, -1
.LBB121_1895:
	s_delay_alu instid0(SALU_CYCLE_1)
	s_and_not1_b32 vcc_lo, exec_lo, s7
	s_cbranch_vccnz .LBB121_2090
; %bb.1896:
	v_mul_f32_e32 v2, 0x3fb8aa3b, v10
	s_mov_b32 s0, 0x395133b1
	v_add_co_u32 v1, s1, s4, v1
	s_mov_b32 s7, 0
	s_delay_alu instid0(VALU_DEP_2) | instskip(SKIP_1) | instid1(VALU_DEP_1)
	v_rndne_f32_e32 v2, v2
	s_mov_b32 s2, -1
	v_fmamk_f32 v3, v2, 0xbf317218, v10
	v_cvt_i32_f32_e32 v5, v2
	v_cmp_eq_f32_e32 vcc_lo, 0x43000000, v2
	s_delay_alu instid0(VALU_DEP_3) | instskip(NEXT) | instid1(VALU_DEP_3)
	v_fmamk_f32 v3, v2, 0x3102e308, v3
	v_cndmask_b32_e64 v2, v5, 0x7f, vcc_lo
	s_delay_alu instid0(VALU_DEP_1) | instskip(NEXT) | instid1(VALU_DEP_3)
	v_ldexp_f32 v2, 1.0, v2
	v_fmaak_f32 v4, s0, v3, 0x3ab69700
	v_cmp_lt_f32_e64 s0, 0x42b17217, v10
	s_delay_alu instid0(VALU_DEP_2) | instskip(NEXT) | instid1(VALU_DEP_1)
	v_dual_add_f32 v5, -1.0, v2 :: v_dual_fmaak_f32 v4, v3, v4, 0x3c0887f9
	v_fmaak_f32 v4, v3, v4, 0x3d2aaa81
	s_delay_alu instid0(VALU_DEP_1) | instskip(NEXT) | instid1(VALU_DEP_1)
	v_fmaak_f32 v4, v3, v4, 0x3e2aaaab
	v_fma_f32 v4, v3, v4, 0.5
	s_delay_alu instid0(VALU_DEP_1) | instskip(NEXT) | instid1(VALU_DEP_1)
	v_mul_f32_e32 v4, v3, v4
	v_fmac_f32_e32 v3, v3, v4
	s_delay_alu instid0(VALU_DEP_1) | instskip(NEXT) | instid1(VALU_DEP_1)
	v_fmac_f32_e32 v5, v2, v3
	v_add_f32_e32 v2, v5, v5
	s_delay_alu instid0(VALU_DEP_1) | instskip(SKIP_3) | instid1(VALU_DEP_4)
	v_cndmask_b32_e32 v4, v5, v2, vcc_lo
	v_add_co_ci_u32_e64 v2, null, s5, 0, s1
	v_cmp_gt_f32_e64 s1, 0xc1880000, v10
	v_cmp_gt_i16_e32 vcc_lo, 11, v7
	v_cndmask_b32_e64 v3, v4, 0x7f800000, s0
	s_delay_alu instid0(VALU_DEP_1)
	v_cndmask_b32_e64 v3, v3, -1.0, s1
	s_cbranch_vccnz .LBB121_1974
; %bb.1897:
	v_cmp_lt_i16_e32 vcc_lo, 25, v7
	s_mov_b32 s10, -1
	s_mov_b32 s6, 0
	s_mov_b32 s2, 0
	s_cbranch_vccz .LBB121_1930
; %bb.1898:
	v_cmp_lt_i16_e32 vcc_lo, 28, v7
	s_cbranch_vccz .LBB121_1913
; %bb.1899:
	v_cmp_lt_i16_e32 vcc_lo, 43, v7
	;; [unrolled: 3-line block ×3, first 2 shown]
	s_cbranch_vccz .LBB121_1903
; %bb.1901:
	v_cmp_eq_u16_e32 vcc_lo, 46, v7
	s_mov_b32 s2, -1
	s_mov_b32 s10, 0
	s_cbranch_vccz .LBB121_1903
; %bb.1902:
	v_bfe_u32 v5, v3, 16, 1
	v_cmp_o_f32_e32 vcc_lo, v3, v3
	s_mov_b32 s2, 0
	s_mov_b32 s7, -1
	s_delay_alu instid0(VALU_DEP_2) | instskip(NEXT) | instid1(VALU_DEP_1)
	v_add3_u32 v5, v3, v5, 0x7fff
	v_lshrrev_b32_e32 v5, 16, v5
	s_delay_alu instid0(VALU_DEP_1)
	v_cndmask_b32_e32 v5, 0x7fc0, v5, vcc_lo
	global_store_b32 v[1:2], v5, off
.LBB121_1903:
	s_and_b32 vcc_lo, exec_lo, s10
	s_cbranch_vccz .LBB121_1908
; %bb.1904:
	v_cmp_eq_u16_e32 vcc_lo, 44, v7
	s_mov_b32 s2, -1
	s_cbranch_vccz .LBB121_1908
; %bb.1905:
	v_bfe_u32 v6, v3, 23, 8
	v_mov_b32_e32 v5, 0xff
	s_mov_b32 s7, exec_lo
	s_delay_alu instid0(VALU_DEP_2)
	v_cmpx_ne_u32_e32 0xff, v6
; %bb.1906:
	v_and_b32_e32 v5, 0x400000, v3
	v_and_or_b32 v6, 0x3fffff, v3, v6
	s_delay_alu instid0(VALU_DEP_2) | instskip(NEXT) | instid1(VALU_DEP_2)
	v_cmp_ne_u32_e32 vcc_lo, 0, v5
	v_cmp_ne_u32_e64 s2, 0, v6
	v_lshrrev_b32_e32 v5, 23, v3
	s_delay_alu instid0(VALU_DEP_2) | instskip(NEXT) | instid1(SALU_CYCLE_1)
	s_and_b32 s2, vcc_lo, s2
	v_cndmask_b32_e64 v6, 0, 1, s2
	s_delay_alu instid0(VALU_DEP_1)
	v_add_nc_u32_e32 v5, v5, v6
; %bb.1907:
	s_or_b32 exec_lo, exec_lo, s7
	s_mov_b32 s2, 0
	s_mov_b32 s7, -1
	global_store_b8 v[1:2], v5, off
.LBB121_1908:
	s_mov_b32 s10, 0
.LBB121_1909:
	s_delay_alu instid0(SALU_CYCLE_1)
	s_and_b32 vcc_lo, exec_lo, s10
	s_cbranch_vccz .LBB121_1912
; %bb.1910:
	v_cmp_eq_u16_e32 vcc_lo, 29, v7
	s_mov_b32 s2, -1
	s_cbranch_vccz .LBB121_1912
; %bb.1911:
	v_trunc_f32_e32 v5, v3
	s_mov_b32 s2, 0
	s_mov_b32 s7, -1
	s_delay_alu instid0(VALU_DEP_1) | instskip(NEXT) | instid1(VALU_DEP_1)
	v_mul_f32_e32 v6, 0x2f800000, v5
	v_floor_f32_e32 v6, v6
	s_delay_alu instid0(VALU_DEP_1) | instskip(SKIP_1) | instid1(VALU_DEP_2)
	v_fmamk_f32 v5, v6, 0xcf800000, v5
	v_cvt_u32_f32_e32 v6, v6
	v_cvt_u32_f32_e32 v5, v5
	global_store_b64 v[1:2], v[5:6], off
.LBB121_1912:
	s_mov_b32 s10, 0
.LBB121_1913:
	s_delay_alu instid0(SALU_CYCLE_1)
	s_and_b32 vcc_lo, exec_lo, s10
	s_cbranch_vccz .LBB121_1929
; %bb.1914:
	v_cmp_gt_i16_e32 vcc_lo, 27, v7
	s_mov_b32 s7, -1
	s_cbranch_vccnz .LBB121_1920
; %bb.1915:
	v_cmp_lt_i16_e32 vcc_lo, 27, v7
	v_cvt_u32_f32_e32 v5, v3
	s_cbranch_vccz .LBB121_1917
; %bb.1916:
	s_mov_b32 s7, 0
	global_store_b32 v[1:2], v5, off
.LBB121_1917:
	s_and_not1_b32 vcc_lo, exec_lo, s7
	s_cbranch_vccnz .LBB121_1919
; %bb.1918:
	global_store_b16 v[1:2], v5, off
.LBB121_1919:
	s_mov_b32 s7, 0
.LBB121_1920:
	s_delay_alu instid0(SALU_CYCLE_1)
	s_and_not1_b32 vcc_lo, exec_lo, s7
	s_cbranch_vccnz .LBB121_1928
; %bb.1921:
	v_cndmask_b32_e64 v5, |v4|, 0x7f800000, s0
	v_mov_b32_e32 v9, 0x80
	s_mov_b32 s7, exec_lo
	s_delay_alu instid0(VALU_DEP_2) | instskip(NEXT) | instid1(VALU_DEP_1)
	v_cndmask_b32_e64 v6, v5, 1.0, s1
	v_cmpx_gt_u32_e32 0x43800000, v6
	s_cbranch_execz .LBB121_1927
; %bb.1922:
	s_mov_b32 s10, 0
	s_mov_b32 s11, exec_lo
                                        ; implicit-def: $vgpr5
	v_cmpx_lt_u32_e32 0x3bffffff, v6
	s_xor_b32 s11, exec_lo, s11
	s_cbranch_execz .LBB121_2153
; %bb.1923:
	v_bfe_u32 v5, v3, 20, 1
	s_mov_b32 s10, exec_lo
                                        ; implicit-def: $vgpr6
	s_delay_alu instid0(VALU_DEP_1) | instskip(NEXT) | instid1(VALU_DEP_1)
	v_add3_u32 v5, v3, v5, 0x487ffff
	v_lshrrev_b32_e32 v5, 20, v5
	s_or_saveexec_b32 s11, s11
                                        ; implicit-def: $sgpr12
	s_delay_alu instid0(SALU_CYCLE_1)
	s_xor_b32 exec_lo, exec_lo, s11
	s_cbranch_execnz .LBB121_2154
.LBB121_1924:
	s_or_b32 exec_lo, exec_lo, s11
	v_mov_b32_e32 v9, s12
	s_and_saveexec_b32 s11, s10
.LBB121_1925:
	v_lshrrev_b32_e32 v6, 24, v3
	s_delay_alu instid0(VALU_DEP_1)
	v_and_or_b32 v9, 0x80, v6, v5
.LBB121_1926:
	s_or_b32 exec_lo, exec_lo, s11
.LBB121_1927:
	s_delay_alu instid0(SALU_CYCLE_1)
	s_or_b32 exec_lo, exec_lo, s7
	global_store_b8 v[1:2], v9, off
.LBB121_1928:
	s_mov_b32 s7, -1
.LBB121_1929:
	s_mov_b32 s10, 0
.LBB121_1930:
	s_delay_alu instid0(SALU_CYCLE_1)
	s_and_b32 vcc_lo, exec_lo, s10
	s_cbranch_vccz .LBB121_1970
; %bb.1931:
	v_cmp_lt_i16_e32 vcc_lo, 22, v7
	s_mov_b32 s6, -1
	s_cbranch_vccz .LBB121_1963
; %bb.1932:
	v_cmp_gt_i16_e32 vcc_lo, 24, v7
	s_cbranch_vccnz .LBB121_1952
; %bb.1933:
	v_cmp_lt_i16_e32 vcc_lo, 24, v7
	s_cbranch_vccz .LBB121_1941
; %bb.1934:
	v_cndmask_b32_e64 v5, |v4|, 0x7f800000, s0
	v_mov_b32_e32 v9, 0x80
	s_mov_b32 s6, exec_lo
	s_delay_alu instid0(VALU_DEP_2) | instskip(NEXT) | instid1(VALU_DEP_1)
	v_cndmask_b32_e64 v6, v5, 1.0, s1
	v_cmpx_gt_u32_e32 0x47800000, v6
	s_cbranch_execz .LBB121_1940
; %bb.1935:
	s_mov_b32 s7, 0
	s_mov_b32 s10, exec_lo
                                        ; implicit-def: $vgpr5
	v_cmpx_lt_u32_e32 0x37ffffff, v6
	s_xor_b32 s10, exec_lo, s10
	s_cbranch_execz .LBB121_2159
; %bb.1936:
	v_bfe_u32 v5, v3, 21, 1
	s_mov_b32 s7, exec_lo
                                        ; implicit-def: $vgpr6
	s_delay_alu instid0(VALU_DEP_1) | instskip(NEXT) | instid1(VALU_DEP_1)
	v_add3_u32 v5, v3, v5, 0x88fffff
	v_lshrrev_b32_e32 v5, 21, v5
	s_or_saveexec_b32 s10, s10
                                        ; implicit-def: $sgpr11
	s_delay_alu instid0(SALU_CYCLE_1)
	s_xor_b32 exec_lo, exec_lo, s10
	s_cbranch_execnz .LBB121_2160
.LBB121_1937:
	s_or_b32 exec_lo, exec_lo, s10
	v_mov_b32_e32 v9, s11
	s_and_saveexec_b32 s10, s7
.LBB121_1938:
	v_lshrrev_b32_e32 v6, 24, v3
	s_delay_alu instid0(VALU_DEP_1)
	v_and_or_b32 v9, 0x80, v6, v5
.LBB121_1939:
	s_or_b32 exec_lo, exec_lo, s10
.LBB121_1940:
	s_delay_alu instid0(SALU_CYCLE_1)
	s_or_b32 exec_lo, exec_lo, s6
	s_mov_b32 s6, 0
	global_store_b8 v[1:2], v9, off
.LBB121_1941:
	s_and_b32 vcc_lo, exec_lo, s6
	s_cbranch_vccz .LBB121_1951
; %bb.1942:
	v_cndmask_b32_e64 v5, |v4|, 0x7f800000, s0
	s_mov_b32 s6, exec_lo
	s_delay_alu instid0(VALU_DEP_1) | instskip(NEXT) | instid1(VALU_DEP_1)
	v_cndmask_b32_e64 v6, v5, 1.0, s1
                                        ; implicit-def: $vgpr5
	v_cmpx_gt_u32_e32 0x43f00000, v6
	s_xor_b32 s6, exec_lo, s6
	s_cbranch_execz .LBB121_1948
; %bb.1943:
	s_mov_b32 s7, exec_lo
                                        ; implicit-def: $vgpr5
	v_cmpx_lt_u32_e32 0x3c7fffff, v6
	s_xor_b32 s7, exec_lo, s7
; %bb.1944:
	v_bfe_u32 v5, v3, 20, 1
	s_delay_alu instid0(VALU_DEP_1) | instskip(NEXT) | instid1(VALU_DEP_1)
	v_add3_u32 v5, v3, v5, 0x407ffff
	v_and_b32_e32 v6, 0xff00000, v5
	v_lshrrev_b32_e32 v5, 20, v5
	s_delay_alu instid0(VALU_DEP_2) | instskip(NEXT) | instid1(VALU_DEP_2)
	v_cmp_ne_u32_e32 vcc_lo, 0x7f00000, v6
                                        ; implicit-def: $vgpr6
	v_cndmask_b32_e32 v5, 0x7e, v5, vcc_lo
; %bb.1945:
	s_and_not1_saveexec_b32 s7, s7
; %bb.1946:
	v_add_f32_e32 v5, 0x46800000, v6
; %bb.1947:
	s_or_b32 exec_lo, exec_lo, s7
                                        ; implicit-def: $vgpr6
.LBB121_1948:
	s_and_not1_saveexec_b32 s6, s6
; %bb.1949:
	v_mov_b32_e32 v5, 0x7f
	v_cmp_lt_u32_e32 vcc_lo, 0x7f800000, v6
	s_delay_alu instid0(VALU_DEP_2)
	v_cndmask_b32_e32 v5, 0x7e, v5, vcc_lo
; %bb.1950:
	s_or_b32 exec_lo, exec_lo, s6
	v_lshrrev_b32_e32 v6, 24, v3
	s_delay_alu instid0(VALU_DEP_1)
	v_and_or_b32 v5, 0x80, v6, v5
	global_store_b8 v[1:2], v5, off
.LBB121_1951:
	s_mov_b32 s6, 0
.LBB121_1952:
	s_delay_alu instid0(SALU_CYCLE_1)
	s_and_not1_b32 vcc_lo, exec_lo, s6
	s_cbranch_vccnz .LBB121_1962
; %bb.1953:
	v_cndmask_b32_e64 v4, |v4|, 0x7f800000, s0
	s_mov_b32 s0, exec_lo
	s_delay_alu instid0(VALU_DEP_1) | instskip(NEXT) | instid1(VALU_DEP_1)
	v_cndmask_b32_e64 v5, v4, 1.0, s1
                                        ; implicit-def: $vgpr4
	v_cmpx_gt_u32_e32 0x47800000, v5
	s_xor_b32 s0, exec_lo, s0
	s_cbranch_execz .LBB121_1959
; %bb.1954:
	s_mov_b32 s1, exec_lo
                                        ; implicit-def: $vgpr4
	v_cmpx_lt_u32_e32 0x387fffff, v5
	s_xor_b32 s1, exec_lo, s1
; %bb.1955:
	v_bfe_u32 v4, v3, 21, 1
                                        ; implicit-def: $vgpr5
	s_delay_alu instid0(VALU_DEP_1) | instskip(NEXT) | instid1(VALU_DEP_1)
	v_add3_u32 v4, v3, v4, 0x80fffff
	v_lshrrev_b32_e32 v4, 21, v4
; %bb.1956:
	s_and_not1_saveexec_b32 s1, s1
; %bb.1957:
	v_add_f32_e32 v4, 0x43000000, v5
; %bb.1958:
	s_or_b32 exec_lo, exec_lo, s1
                                        ; implicit-def: $vgpr5
.LBB121_1959:
	s_and_not1_saveexec_b32 s0, s0
; %bb.1960:
	v_mov_b32_e32 v4, 0x7f
	v_cmp_lt_u32_e32 vcc_lo, 0x7f800000, v5
	s_delay_alu instid0(VALU_DEP_2)
	v_cndmask_b32_e32 v4, 0x7c, v4, vcc_lo
; %bb.1961:
	s_or_b32 exec_lo, exec_lo, s0
	v_lshrrev_b32_e32 v5, 24, v3
	s_delay_alu instid0(VALU_DEP_1)
	v_and_or_b32 v4, 0x80, v5, v4
	global_store_b8 v[1:2], v4, off
.LBB121_1962:
	s_mov_b32 s6, 0
	s_mov_b32 s7, -1
.LBB121_1963:
	s_and_not1_b32 vcc_lo, exec_lo, s6
	s_mov_b32 s6, 0
	s_cbranch_vccnz .LBB121_1970
; %bb.1964:
	v_cmp_lt_i16_e32 vcc_lo, 14, v7
	s_mov_b32 s0, -1
	s_cbranch_vccz .LBB121_1968
; %bb.1965:
	v_cmp_eq_u16_e32 vcc_lo, 15, v7
	s_mov_b32 s2, -1
	s_cbranch_vccz .LBB121_1967
; %bb.1966:
	v_bfe_u32 v4, v3, 16, 1
	v_cmp_o_f32_e32 vcc_lo, v3, v3
	s_mov_b32 s2, 0
	s_mov_b32 s7, -1
	s_delay_alu instid0(VALU_DEP_2) | instskip(NEXT) | instid1(VALU_DEP_1)
	v_add3_u32 v4, v3, v4, 0x7fff
	v_lshrrev_b32_e32 v4, 16, v4
	s_delay_alu instid0(VALU_DEP_1)
	v_cndmask_b32_e32 v4, 0x7fc0, v4, vcc_lo
	global_store_b16 v[1:2], v4, off
.LBB121_1967:
	s_mov_b32 s0, 0
.LBB121_1968:
	s_delay_alu instid0(SALU_CYCLE_1)
	s_and_b32 vcc_lo, exec_lo, s0
	s_cbranch_vccz .LBB121_1970
; %bb.1969:
	v_cmp_ne_u16_e64 s2, 11, v7
	s_mov_b32 s6, -1
.LBB121_1970:
	s_delay_alu instid0(VALU_DEP_1)
	s_and_b32 vcc_lo, exec_lo, s2
	s_cbranch_vccnz .LBB121_2157
; %bb.1971:
	s_and_not1_b32 vcc_lo, exec_lo, s6
	s_cbranch_vccnz .LBB121_1973
.LBB121_1972:
	v_cmp_neq_f32_e32 vcc_lo, 0, v3
	s_mov_b32 s7, -1
	v_cndmask_b32_e64 v4, 0, 1, vcc_lo
	global_store_b8 v[1:2], v4, off
.LBB121_1973:
	s_mov_b32 s2, 0
.LBB121_1974:
	s_delay_alu instid0(SALU_CYCLE_1)
	s_and_b32 vcc_lo, exec_lo, s2
	s_cbranch_vccz .LBB121_2013
; %bb.1975:
	v_cmp_gt_i16_e32 vcc_lo, 5, v7
	s_mov_b32 s0, -1
	s_cbranch_vccnz .LBB121_1996
; %bb.1976:
	v_cmp_gt_i16_e32 vcc_lo, 8, v7
	s_cbranch_vccnz .LBB121_1986
; %bb.1977:
	v_cmp_gt_i16_e32 vcc_lo, 9, v7
	s_cbranch_vccnz .LBB121_1983
; %bb.1978:
	v_cmp_lt_i16_e32 vcc_lo, 9, v7
	s_cbranch_vccz .LBB121_1980
; %bb.1979:
	v_cvt_f64_f32_e32 v[9:10], v3
	v_mov_b32_e32 v11, 0
	s_mov_b32 s0, 0
	s_delay_alu instid0(VALU_DEP_1)
	v_mov_b32_e32 v12, v11
	global_store_b128 v[1:2], v[9:12], off
.LBB121_1980:
	s_and_not1_b32 vcc_lo, exec_lo, s0
	s_cbranch_vccnz .LBB121_1982
; %bb.1981:
	v_mov_b32_e32 v4, 0
	global_store_b64 v[1:2], v[3:4], off
.LBB121_1982:
	s_mov_b32 s0, 0
.LBB121_1983:
	s_delay_alu instid0(SALU_CYCLE_1)
	s_and_not1_b32 vcc_lo, exec_lo, s0
	s_cbranch_vccnz .LBB121_1985
; %bb.1984:
	v_cvt_f16_f32_e32 v4, v3
	s_delay_alu instid0(VALU_DEP_1)
	v_and_b32_e32 v4, 0xffff, v4
	global_store_b32 v[1:2], v4, off
.LBB121_1985:
	s_mov_b32 s0, 0
.LBB121_1986:
	s_delay_alu instid0(SALU_CYCLE_1)
	s_and_not1_b32 vcc_lo, exec_lo, s0
	s_cbranch_vccnz .LBB121_1995
; %bb.1987:
	v_cmp_gt_i16_e32 vcc_lo, 6, v7
	s_mov_b32 s0, -1
	s_cbranch_vccnz .LBB121_1993
; %bb.1988:
	v_cmp_lt_i16_e32 vcc_lo, 6, v7
	s_cbranch_vccz .LBB121_1990
; %bb.1989:
	v_cvt_f64_f32_e32 v[4:5], v3
	s_mov_b32 s0, 0
	global_store_b64 v[1:2], v[4:5], off
.LBB121_1990:
	s_and_not1_b32 vcc_lo, exec_lo, s0
	s_cbranch_vccnz .LBB121_1992
; %bb.1991:
	global_store_b32 v[1:2], v3, off
.LBB121_1992:
	s_mov_b32 s0, 0
.LBB121_1993:
	s_delay_alu instid0(SALU_CYCLE_1)
	s_and_not1_b32 vcc_lo, exec_lo, s0
	s_cbranch_vccnz .LBB121_1995
; %bb.1994:
	v_cvt_f16_f32_e32 v4, v3
	global_store_b16 v[1:2], v4, off
.LBB121_1995:
	s_mov_b32 s0, 0
.LBB121_1996:
	s_delay_alu instid0(SALU_CYCLE_1)
	s_and_not1_b32 vcc_lo, exec_lo, s0
	s_cbranch_vccnz .LBB121_2012
; %bb.1997:
	v_cmp_gt_i16_e32 vcc_lo, 2, v7
	s_mov_b32 s0, -1
	s_cbranch_vccnz .LBB121_2007
; %bb.1998:
	v_cmp_gt_i16_e32 vcc_lo, 3, v7
	s_cbranch_vccnz .LBB121_2004
; %bb.1999:
	v_cmp_lt_i16_e32 vcc_lo, 3, v7
	s_cbranch_vccz .LBB121_2001
; %bb.2000:
	v_trunc_f32_e32 v4, v3
	s_mov_b32 s0, 0
	s_delay_alu instid0(VALU_DEP_1) | instskip(SKIP_1) | instid1(VALU_DEP_2)
	v_mul_f32_e64 v5, 0x2f800000, |v4|
	v_ashrrev_i32_e32 v9, 31, v4
	v_floor_f32_e32 v5, v5
	s_delay_alu instid0(VALU_DEP_1) | instskip(SKIP_1) | instid1(VALU_DEP_2)
	v_fma_f32 v6, 0xcf800000, v5, |v4|
	v_cvt_u32_f32_e32 v5, v5
	v_cvt_u32_f32_e32 v4, v6
	s_delay_alu instid0(VALU_DEP_2) | instskip(NEXT) | instid1(VALU_DEP_2)
	v_xor_b32_e32 v5, v5, v9
	v_xor_b32_e32 v4, v4, v9
	s_delay_alu instid0(VALU_DEP_1) | instskip(NEXT) | instid1(VALU_DEP_3)
	v_sub_co_u32 v4, vcc_lo, v4, v9
	v_sub_co_ci_u32_e32 v5, vcc_lo, v5, v9, vcc_lo
	global_store_b64 v[1:2], v[4:5], off
.LBB121_2001:
	s_and_not1_b32 vcc_lo, exec_lo, s0
	s_cbranch_vccnz .LBB121_2003
; %bb.2002:
	v_cvt_i32_f32_e32 v4, v3
	global_store_b32 v[1:2], v4, off
.LBB121_2003:
	s_mov_b32 s0, 0
.LBB121_2004:
	s_delay_alu instid0(SALU_CYCLE_1)
	s_and_not1_b32 vcc_lo, exec_lo, s0
	s_cbranch_vccnz .LBB121_2006
; %bb.2005:
	v_cvt_i32_f32_e32 v4, v3
	global_store_b16 v[1:2], v4, off
.LBB121_2006:
	s_mov_b32 s0, 0
.LBB121_2007:
	s_delay_alu instid0(SALU_CYCLE_1)
	s_and_not1_b32 vcc_lo, exec_lo, s0
	s_cbranch_vccnz .LBB121_2012
; %bb.2008:
	v_cmp_lt_i16_e32 vcc_lo, 0, v7
	s_mov_b32 s0, -1
	s_cbranch_vccz .LBB121_2010
; %bb.2009:
	v_cvt_i32_f32_e32 v4, v3
	s_mov_b32 s0, 0
	global_store_b8 v[1:2], v4, off
.LBB121_2010:
	s_and_not1_b32 vcc_lo, exec_lo, s0
	s_cbranch_vccnz .LBB121_2012
; %bb.2011:
	v_trunc_f32_e32 v3, v3
	s_delay_alu instid0(VALU_DEP_1) | instskip(NEXT) | instid1(VALU_DEP_1)
	v_mul_f32_e64 v4, 0x2f800000, |v3|
	v_floor_f32_e32 v4, v4
	s_delay_alu instid0(VALU_DEP_1) | instskip(SKIP_1) | instid1(VALU_DEP_2)
	v_fma_f32 v4, 0xcf800000, v4, |v3|
	v_ashrrev_i32_e32 v3, 31, v3
	v_cvt_u32_f32_e32 v4, v4
	s_delay_alu instid0(VALU_DEP_1) | instskip(NEXT) | instid1(VALU_DEP_1)
	v_xor_b32_e32 v4, v4, v3
	v_sub_nc_u32_e32 v3, v4, v3
	global_store_b8 v[1:2], v3, off
.LBB121_2012:
	s_mov_b32 s7, -1
.LBB121_2013:
	s_delay_alu instid0(SALU_CYCLE_1)
	s_and_not1_b32 vcc_lo, exec_lo, s7
	s_cbranch_vccnz .LBB121_2090
; %bb.2014:
	v_mul_f32_e32 v1, 0x3fb8aa3b, v8
	s_mov_b32 s0, 0x395133b1
	v_add_co_u32 v0, s1, s4, v0
	s_mov_b32 s6, 0
	s_delay_alu instid0(VALU_DEP_2) | instskip(SKIP_1) | instid1(VALU_DEP_1)
	v_rndne_f32_e32 v1, v1
	s_mov_b32 s2, -1
	v_fmamk_f32 v2, v1, 0xbf317218, v8
	v_cvt_i32_f32_e32 v4, v1
	v_cmp_eq_f32_e32 vcc_lo, 0x43000000, v1
	s_delay_alu instid0(VALU_DEP_3) | instskip(NEXT) | instid1(VALU_DEP_3)
	v_fmamk_f32 v2, v1, 0x3102e308, v2
	v_cndmask_b32_e64 v1, v4, 0x7f, vcc_lo
	s_delay_alu instid0(VALU_DEP_1) | instskip(NEXT) | instid1(VALU_DEP_3)
	v_ldexp_f32 v1, 1.0, v1
	v_fmaak_f32 v3, s0, v2, 0x3ab69700
	v_cmp_lt_f32_e64 s0, 0x42b17217, v8
	s_delay_alu instid0(VALU_DEP_2) | instskip(NEXT) | instid1(VALU_DEP_1)
	v_dual_add_f32 v4, -1.0, v1 :: v_dual_fmaak_f32 v3, v2, v3, 0x3c0887f9
	v_fmaak_f32 v3, v2, v3, 0x3d2aaa81
	s_delay_alu instid0(VALU_DEP_1) | instskip(NEXT) | instid1(VALU_DEP_1)
	v_fmaak_f32 v3, v2, v3, 0x3e2aaaab
	v_fma_f32 v3, v2, v3, 0.5
	s_delay_alu instid0(VALU_DEP_1) | instskip(NEXT) | instid1(VALU_DEP_1)
	v_mul_f32_e32 v3, v2, v3
	v_fmac_f32_e32 v2, v2, v3
	s_delay_alu instid0(VALU_DEP_1) | instskip(NEXT) | instid1(VALU_DEP_1)
	v_fmac_f32_e32 v4, v1, v2
	v_add_f32_e32 v1, v4, v4
	s_delay_alu instid0(VALU_DEP_1) | instskip(SKIP_3) | instid1(VALU_DEP_4)
	v_cndmask_b32_e32 v3, v4, v1, vcc_lo
	v_add_co_ci_u32_e64 v1, null, s5, 0, s1
	v_cmp_gt_f32_e64 s1, 0xc1880000, v8
	v_cmp_gt_i16_e32 vcc_lo, 11, v7
	v_cndmask_b32_e64 v2, v3, 0x7f800000, s0
	s_delay_alu instid0(VALU_DEP_1)
	v_cndmask_b32_e64 v2, v2, -1.0, s1
	s_cbranch_vccnz .LBB121_2091
; %bb.2015:
	v_cmp_lt_i16_e32 vcc_lo, 25, v7
	s_mov_b32 s4, -1
	s_mov_b32 s2, 0
	s_cbranch_vccz .LBB121_2048
; %bb.2016:
	v_cmp_lt_i16_e32 vcc_lo, 28, v7
	s_cbranch_vccz .LBB121_2032
; %bb.2017:
	v_cmp_lt_i16_e32 vcc_lo, 43, v7
	;; [unrolled: 3-line block ×3, first 2 shown]
	s_cbranch_vccz .LBB121_2022
; %bb.2019:
	v_cmp_eq_u16_e32 vcc_lo, 46, v7
	s_mov_b32 s2, -1
	s_cbranch_vccz .LBB121_2021
; %bb.2020:
	v_bfe_u32 v4, v2, 16, 1
	v_cmp_o_f32_e32 vcc_lo, v2, v2
	s_mov_b32 s2, 0
	s_delay_alu instid0(VALU_DEP_2) | instskip(NEXT) | instid1(VALU_DEP_1)
	v_add3_u32 v4, v2, v4, 0x7fff
	v_lshrrev_b32_e32 v4, 16, v4
	s_delay_alu instid0(VALU_DEP_1)
	v_cndmask_b32_e32 v4, 0x7fc0, v4, vcc_lo
	global_store_b32 v[0:1], v4, off
.LBB121_2021:
	s_mov_b32 s4, 0
.LBB121_2022:
	s_delay_alu instid0(SALU_CYCLE_1)
	s_and_b32 vcc_lo, exec_lo, s4
	s_cbranch_vccz .LBB121_2027
; %bb.2023:
	v_cmp_eq_u16_e32 vcc_lo, 44, v7
	s_mov_b32 s2, -1
	s_cbranch_vccz .LBB121_2027
; %bb.2024:
	v_bfe_u32 v5, v2, 23, 8
	v_mov_b32_e32 v4, 0xff
	s_mov_b32 s4, exec_lo
	s_delay_alu instid0(VALU_DEP_2)
	v_cmpx_ne_u32_e32 0xff, v5
; %bb.2025:
	v_and_b32_e32 v4, 0x400000, v2
	v_and_or_b32 v5, 0x3fffff, v2, v5
	s_delay_alu instid0(VALU_DEP_2) | instskip(NEXT) | instid1(VALU_DEP_2)
	v_cmp_ne_u32_e32 vcc_lo, 0, v4
	v_cmp_ne_u32_e64 s2, 0, v5
	v_lshrrev_b32_e32 v4, 23, v2
	s_delay_alu instid0(VALU_DEP_2) | instskip(NEXT) | instid1(SALU_CYCLE_1)
	s_and_b32 s2, vcc_lo, s2
	v_cndmask_b32_e64 v5, 0, 1, s2
	s_delay_alu instid0(VALU_DEP_1)
	v_add_nc_u32_e32 v4, v4, v5
; %bb.2026:
	s_or_b32 exec_lo, exec_lo, s4
	s_mov_b32 s2, 0
	global_store_b8 v[0:1], v4, off
.LBB121_2027:
	s_mov_b32 s4, 0
.LBB121_2028:
	s_delay_alu instid0(SALU_CYCLE_1)
	s_and_b32 vcc_lo, exec_lo, s4
	s_cbranch_vccz .LBB121_2031
; %bb.2029:
	v_cmp_eq_u16_e32 vcc_lo, 29, v7
	s_mov_b32 s2, -1
	s_cbranch_vccz .LBB121_2031
; %bb.2030:
	v_trunc_f32_e32 v4, v2
	s_mov_b32 s2, 0
	s_delay_alu instid0(VALU_DEP_1) | instskip(NEXT) | instid1(VALU_DEP_1)
	v_mul_f32_e32 v5, 0x2f800000, v4
	v_floor_f32_e32 v5, v5
	s_delay_alu instid0(VALU_DEP_1) | instskip(SKIP_1) | instid1(VALU_DEP_2)
	v_fmamk_f32 v4, v5, 0xcf800000, v4
	v_cvt_u32_f32_e32 v5, v5
	v_cvt_u32_f32_e32 v4, v4
	global_store_b64 v[0:1], v[4:5], off
.LBB121_2031:
	s_mov_b32 s4, 0
.LBB121_2032:
	s_delay_alu instid0(SALU_CYCLE_1)
	s_and_b32 vcc_lo, exec_lo, s4
	s_cbranch_vccz .LBB121_2047
; %bb.2033:
	v_cmp_gt_i16_e32 vcc_lo, 27, v7
	s_mov_b32 s4, -1
	s_cbranch_vccnz .LBB121_2039
; %bb.2034:
	v_cmp_lt_i16_e32 vcc_lo, 27, v7
	v_cvt_u32_f32_e32 v4, v2
	s_cbranch_vccz .LBB121_2036
; %bb.2035:
	s_mov_b32 s4, 0
	global_store_b32 v[0:1], v4, off
.LBB121_2036:
	s_and_not1_b32 vcc_lo, exec_lo, s4
	s_cbranch_vccnz .LBB121_2038
; %bb.2037:
	global_store_b16 v[0:1], v4, off
.LBB121_2038:
	s_mov_b32 s4, 0
.LBB121_2039:
	s_delay_alu instid0(SALU_CYCLE_1)
	s_and_not1_b32 vcc_lo, exec_lo, s4
	s_cbranch_vccnz .LBB121_2047
; %bb.2040:
	v_cndmask_b32_e64 v4, |v3|, 0x7f800000, s0
	v_mov_b32_e32 v6, 0x80
	s_mov_b32 s4, exec_lo
	s_delay_alu instid0(VALU_DEP_2) | instskip(NEXT) | instid1(VALU_DEP_1)
	v_cndmask_b32_e64 v5, v4, 1.0, s1
	v_cmpx_gt_u32_e32 0x43800000, v5
	s_cbranch_execz .LBB121_2046
; %bb.2041:
	s_mov_b32 s5, 0
	s_mov_b32 s7, exec_lo
                                        ; implicit-def: $vgpr4
	v_cmpx_lt_u32_e32 0x3bffffff, v5
	s_xor_b32 s7, exec_lo, s7
	s_cbranch_execz .LBB121_2161
; %bb.2042:
	v_bfe_u32 v4, v2, 20, 1
	s_mov_b32 s5, exec_lo
                                        ; implicit-def: $vgpr5
	s_delay_alu instid0(VALU_DEP_1) | instskip(NEXT) | instid1(VALU_DEP_1)
	v_add3_u32 v4, v2, v4, 0x487ffff
	v_lshrrev_b32_e32 v4, 20, v4
	s_or_saveexec_b32 s7, s7
                                        ; implicit-def: $sgpr10
	s_delay_alu instid0(SALU_CYCLE_1)
	s_xor_b32 exec_lo, exec_lo, s7
	s_cbranch_execnz .LBB121_2162
.LBB121_2043:
	s_or_b32 exec_lo, exec_lo, s7
	v_mov_b32_e32 v6, s10
	s_and_saveexec_b32 s7, s5
.LBB121_2044:
	v_lshrrev_b32_e32 v5, 24, v2
	s_delay_alu instid0(VALU_DEP_1)
	v_and_or_b32 v6, 0x80, v5, v4
.LBB121_2045:
	s_or_b32 exec_lo, exec_lo, s7
.LBB121_2046:
	s_delay_alu instid0(SALU_CYCLE_1)
	s_or_b32 exec_lo, exec_lo, s4
	global_store_b8 v[0:1], v6, off
.LBB121_2047:
	s_mov_b32 s4, 0
.LBB121_2048:
	s_delay_alu instid0(SALU_CYCLE_1)
	s_and_b32 vcc_lo, exec_lo, s4
	s_cbranch_vccz .LBB121_2088
; %bb.2049:
	v_cmp_lt_i16_e32 vcc_lo, 22, v7
	s_mov_b32 s4, -1
	s_cbranch_vccz .LBB121_2081
; %bb.2050:
	v_cmp_gt_i16_e32 vcc_lo, 24, v7
	s_cbranch_vccnz .LBB121_2070
; %bb.2051:
	v_cmp_lt_i16_e32 vcc_lo, 24, v7
	s_cbranch_vccz .LBB121_2059
; %bb.2052:
	v_cndmask_b32_e64 v4, |v3|, 0x7f800000, s0
	v_mov_b32_e32 v6, 0x80
	s_mov_b32 s4, exec_lo
	s_delay_alu instid0(VALU_DEP_2) | instskip(NEXT) | instid1(VALU_DEP_1)
	v_cndmask_b32_e64 v5, v4, 1.0, s1
	v_cmpx_gt_u32_e32 0x47800000, v5
	s_cbranch_execz .LBB121_2058
; %bb.2053:
	s_mov_b32 s5, 0
	s_mov_b32 s6, exec_lo
                                        ; implicit-def: $vgpr4
	v_cmpx_lt_u32_e32 0x37ffffff, v5
	s_xor_b32 s6, exec_lo, s6
	s_cbranch_execz .LBB121_2167
; %bb.2054:
	v_bfe_u32 v4, v2, 21, 1
	s_mov_b32 s5, exec_lo
                                        ; implicit-def: $vgpr5
	s_delay_alu instid0(VALU_DEP_1) | instskip(NEXT) | instid1(VALU_DEP_1)
	v_add3_u32 v4, v2, v4, 0x88fffff
	v_lshrrev_b32_e32 v4, 21, v4
	s_or_saveexec_b32 s6, s6
                                        ; implicit-def: $sgpr7
	s_delay_alu instid0(SALU_CYCLE_1)
	s_xor_b32 exec_lo, exec_lo, s6
	s_cbranch_execnz .LBB121_2168
.LBB121_2055:
	s_or_b32 exec_lo, exec_lo, s6
	v_mov_b32_e32 v6, s7
	s_and_saveexec_b32 s6, s5
.LBB121_2056:
	v_lshrrev_b32_e32 v5, 24, v2
	s_delay_alu instid0(VALU_DEP_1)
	v_and_or_b32 v6, 0x80, v5, v4
.LBB121_2057:
	s_or_b32 exec_lo, exec_lo, s6
.LBB121_2058:
	s_delay_alu instid0(SALU_CYCLE_1)
	s_or_b32 exec_lo, exec_lo, s4
	s_mov_b32 s4, 0
	global_store_b8 v[0:1], v6, off
.LBB121_2059:
	s_and_b32 vcc_lo, exec_lo, s4
	s_cbranch_vccz .LBB121_2069
; %bb.2060:
	v_cndmask_b32_e64 v4, |v3|, 0x7f800000, s0
	s_mov_b32 s4, exec_lo
	s_delay_alu instid0(VALU_DEP_1) | instskip(NEXT) | instid1(VALU_DEP_1)
	v_cndmask_b32_e64 v5, v4, 1.0, s1
                                        ; implicit-def: $vgpr4
	v_cmpx_gt_u32_e32 0x43f00000, v5
	s_xor_b32 s4, exec_lo, s4
	s_cbranch_execz .LBB121_2066
; %bb.2061:
	s_mov_b32 s5, exec_lo
                                        ; implicit-def: $vgpr4
	v_cmpx_lt_u32_e32 0x3c7fffff, v5
	s_xor_b32 s5, exec_lo, s5
; %bb.2062:
	v_bfe_u32 v4, v2, 20, 1
	s_delay_alu instid0(VALU_DEP_1) | instskip(NEXT) | instid1(VALU_DEP_1)
	v_add3_u32 v4, v2, v4, 0x407ffff
	v_and_b32_e32 v5, 0xff00000, v4
	v_lshrrev_b32_e32 v4, 20, v4
	s_delay_alu instid0(VALU_DEP_2) | instskip(NEXT) | instid1(VALU_DEP_2)
	v_cmp_ne_u32_e32 vcc_lo, 0x7f00000, v5
                                        ; implicit-def: $vgpr5
	v_cndmask_b32_e32 v4, 0x7e, v4, vcc_lo
; %bb.2063:
	s_and_not1_saveexec_b32 s5, s5
; %bb.2064:
	v_add_f32_e32 v4, 0x46800000, v5
; %bb.2065:
	s_or_b32 exec_lo, exec_lo, s5
                                        ; implicit-def: $vgpr5
.LBB121_2066:
	s_and_not1_saveexec_b32 s4, s4
; %bb.2067:
	v_mov_b32_e32 v4, 0x7f
	v_cmp_lt_u32_e32 vcc_lo, 0x7f800000, v5
	s_delay_alu instid0(VALU_DEP_2)
	v_cndmask_b32_e32 v4, 0x7e, v4, vcc_lo
; %bb.2068:
	s_or_b32 exec_lo, exec_lo, s4
	v_lshrrev_b32_e32 v5, 24, v2
	s_delay_alu instid0(VALU_DEP_1)
	v_and_or_b32 v4, 0x80, v5, v4
	global_store_b8 v[0:1], v4, off
.LBB121_2069:
	s_mov_b32 s4, 0
.LBB121_2070:
	s_delay_alu instid0(SALU_CYCLE_1)
	s_and_not1_b32 vcc_lo, exec_lo, s4
	s_cbranch_vccnz .LBB121_2080
; %bb.2071:
	v_cndmask_b32_e64 v3, |v3|, 0x7f800000, s0
	s_mov_b32 s0, exec_lo
	s_delay_alu instid0(VALU_DEP_1) | instskip(NEXT) | instid1(VALU_DEP_1)
	v_cndmask_b32_e64 v4, v3, 1.0, s1
                                        ; implicit-def: $vgpr3
	v_cmpx_gt_u32_e32 0x47800000, v4
	s_xor_b32 s0, exec_lo, s0
	s_cbranch_execz .LBB121_2077
; %bb.2072:
	s_mov_b32 s1, exec_lo
                                        ; implicit-def: $vgpr3
	v_cmpx_lt_u32_e32 0x387fffff, v4
	s_xor_b32 s1, exec_lo, s1
; %bb.2073:
	v_bfe_u32 v3, v2, 21, 1
                                        ; implicit-def: $vgpr4
	s_delay_alu instid0(VALU_DEP_1) | instskip(NEXT) | instid1(VALU_DEP_1)
	v_add3_u32 v3, v2, v3, 0x80fffff
	v_lshrrev_b32_e32 v3, 21, v3
; %bb.2074:
	s_and_not1_saveexec_b32 s1, s1
; %bb.2075:
	v_add_f32_e32 v3, 0x43000000, v4
; %bb.2076:
	s_or_b32 exec_lo, exec_lo, s1
                                        ; implicit-def: $vgpr4
.LBB121_2077:
	s_and_not1_saveexec_b32 s0, s0
; %bb.2078:
	v_mov_b32_e32 v3, 0x7f
	v_cmp_lt_u32_e32 vcc_lo, 0x7f800000, v4
	s_delay_alu instid0(VALU_DEP_2)
	v_cndmask_b32_e32 v3, 0x7c, v3, vcc_lo
; %bb.2079:
	s_or_b32 exec_lo, exec_lo, s0
	v_lshrrev_b32_e32 v4, 24, v2
	s_delay_alu instid0(VALU_DEP_1)
	v_and_or_b32 v3, 0x80, v4, v3
	global_store_b8 v[0:1], v3, off
.LBB121_2080:
	s_mov_b32 s4, 0
.LBB121_2081:
	s_delay_alu instid0(SALU_CYCLE_1)
	s_and_not1_b32 vcc_lo, exec_lo, s4
	s_mov_b32 s6, 0
	s_cbranch_vccnz .LBB121_2088
; %bb.2082:
	v_cmp_lt_i16_e32 vcc_lo, 14, v7
	s_mov_b32 s0, -1
	s_cbranch_vccz .LBB121_2086
; %bb.2083:
	v_cmp_eq_u16_e32 vcc_lo, 15, v7
	s_mov_b32 s2, -1
	s_cbranch_vccz .LBB121_2085
; %bb.2084:
	v_bfe_u32 v3, v2, 16, 1
	v_cmp_o_f32_e32 vcc_lo, v2, v2
	s_mov_b32 s2, 0
	s_delay_alu instid0(VALU_DEP_2) | instskip(NEXT) | instid1(VALU_DEP_1)
	v_add3_u32 v3, v2, v3, 0x7fff
	v_lshrrev_b32_e32 v3, 16, v3
	s_delay_alu instid0(VALU_DEP_1)
	v_cndmask_b32_e32 v3, 0x7fc0, v3, vcc_lo
	global_store_b16 v[0:1], v3, off
.LBB121_2085:
	s_mov_b32 s0, 0
.LBB121_2086:
	s_delay_alu instid0(SALU_CYCLE_1)
	s_and_b32 vcc_lo, exec_lo, s0
	s_cbranch_vccz .LBB121_2088
; %bb.2087:
	v_cmp_ne_u16_e64 s2, 11, v7
	s_mov_b32 s6, -1
.LBB121_2088:
	s_delay_alu instid0(VALU_DEP_1)
	s_and_b32 vcc_lo, exec_lo, s2
	s_cbranch_vccnz .LBB121_2165
.LBB121_2089:
	s_mov_b32 s2, 0
	s_branch .LBB121_2091
.LBB121_2090:
	s_mov_b32 s2, 0
	s_mov_b32 s6, 0
                                        ; implicit-def: $vgpr0_vgpr1
                                        ; implicit-def: $vgpr7
                                        ; implicit-def: $vgpr2
.LBB121_2091:
	s_and_not1_b32 s0, s8, exec_lo
	s_and_b32 s1, s3, exec_lo
	s_and_b32 s2, s2, exec_lo
	;; [unrolled: 1-line block ×3, first 2 shown]
	s_or_b32 s8, s0, s1
.LBB121_2092:
	s_or_b32 exec_lo, exec_lo, s9
	s_and_saveexec_b32 s0, s8
	s_cbranch_execz .LBB121_2095
; %bb.2093:
	; divergent unreachable
	s_or_b32 exec_lo, exec_lo, s0
	s_and_saveexec_b32 s0, s26
	s_delay_alu instid0(SALU_CYCLE_1)
	s_xor_b32 s0, exec_lo, s0
	s_cbranch_execnz .LBB121_2096
.LBB121_2094:
	s_or_b32 exec_lo, exec_lo, s0
	s_and_saveexec_b32 s0, s2
	s_cbranch_execnz .LBB121_2097
	s_branch .LBB121_2134
.LBB121_2095:
	s_or_b32 exec_lo, exec_lo, s0
	s_and_saveexec_b32 s0, s26
	s_delay_alu instid0(SALU_CYCLE_1)
	s_xor_b32 s0, exec_lo, s0
	s_cbranch_execz .LBB121_2094
.LBB121_2096:
	v_cmp_neq_f32_e32 vcc_lo, 0, v2
	s_waitcnt vmcnt(0)
	v_cndmask_b32_e64 v3, 0, 1, vcc_lo
	global_store_b8 v[0:1], v3, off
	s_or_b32 exec_lo, exec_lo, s0
	s_and_saveexec_b32 s0, s2
	s_cbranch_execz .LBB121_2134
.LBB121_2097:
	v_cmp_gt_i16_e32 vcc_lo, 5, v7
	s_mov_b32 s0, -1
	s_cbranch_vccnz .LBB121_2118
; %bb.2098:
	v_cmp_gt_i16_e32 vcc_lo, 8, v7
	s_cbranch_vccnz .LBB121_2108
; %bb.2099:
	v_cmp_gt_i16_e32 vcc_lo, 9, v7
	s_cbranch_vccnz .LBB121_2105
; %bb.2100:
	v_cmp_lt_i16_e32 vcc_lo, 9, v7
	s_cbranch_vccz .LBB121_2102
; %bb.2101:
	s_waitcnt vmcnt(0)
	v_cvt_f64_f32_e32 v[3:4], v2
	v_mov_b32_e32 v5, 0
	s_mov_b32 s0, 0
	s_delay_alu instid0(VALU_DEP_1)
	v_mov_b32_e32 v6, v5
	global_store_b128 v[0:1], v[3:6], off
.LBB121_2102:
	s_and_not1_b32 vcc_lo, exec_lo, s0
	s_cbranch_vccnz .LBB121_2104
; %bb.2103:
	s_waitcnt vmcnt(0)
	v_mov_b32_e32 v3, 0
	global_store_b64 v[0:1], v[2:3], off
.LBB121_2104:
	s_mov_b32 s0, 0
.LBB121_2105:
	s_delay_alu instid0(SALU_CYCLE_1)
	s_and_not1_b32 vcc_lo, exec_lo, s0
	s_cbranch_vccnz .LBB121_2107
; %bb.2106:
	s_waitcnt vmcnt(0)
	v_cvt_f16_f32_e32 v3, v2
	s_delay_alu instid0(VALU_DEP_1)
	v_and_b32_e32 v3, 0xffff, v3
	global_store_b32 v[0:1], v3, off
.LBB121_2107:
	s_mov_b32 s0, 0
.LBB121_2108:
	s_delay_alu instid0(SALU_CYCLE_1)
	s_and_not1_b32 vcc_lo, exec_lo, s0
	s_cbranch_vccnz .LBB121_2117
; %bb.2109:
	v_cmp_gt_i16_e32 vcc_lo, 6, v7
	s_mov_b32 s0, -1
	s_cbranch_vccnz .LBB121_2115
; %bb.2110:
	v_cmp_lt_i16_e32 vcc_lo, 6, v7
	s_cbranch_vccz .LBB121_2112
; %bb.2111:
	s_waitcnt vmcnt(0)
	v_cvt_f64_f32_e32 v[3:4], v2
	s_mov_b32 s0, 0
	global_store_b64 v[0:1], v[3:4], off
.LBB121_2112:
	s_and_not1_b32 vcc_lo, exec_lo, s0
	s_cbranch_vccnz .LBB121_2114
; %bb.2113:
	global_store_b32 v[0:1], v2, off
.LBB121_2114:
	s_mov_b32 s0, 0
.LBB121_2115:
	s_delay_alu instid0(SALU_CYCLE_1)
	s_and_not1_b32 vcc_lo, exec_lo, s0
	s_cbranch_vccnz .LBB121_2117
; %bb.2116:
	s_waitcnt vmcnt(0)
	v_cvt_f16_f32_e32 v3, v2
	global_store_b16 v[0:1], v3, off
.LBB121_2117:
	s_mov_b32 s0, 0
.LBB121_2118:
	s_delay_alu instid0(SALU_CYCLE_1)
	s_and_not1_b32 vcc_lo, exec_lo, s0
	s_cbranch_vccnz .LBB121_2134
; %bb.2119:
	v_cmp_gt_i16_e32 vcc_lo, 2, v7
	s_mov_b32 s0, -1
	s_cbranch_vccnz .LBB121_2129
; %bb.2120:
	v_cmp_gt_i16_e32 vcc_lo, 3, v7
	s_cbranch_vccnz .LBB121_2126
; %bb.2121:
	v_cmp_lt_i16_e32 vcc_lo, 3, v7
	s_cbranch_vccz .LBB121_2123
; %bb.2122:
	s_waitcnt vmcnt(0)
	v_trunc_f32_e32 v3, v2
	s_mov_b32 s0, 0
	s_delay_alu instid0(VALU_DEP_1) | instskip(SKIP_1) | instid1(VALU_DEP_2)
	v_mul_f32_e64 v4, 0x2f800000, |v3|
	v_ashrrev_i32_e32 v6, 31, v3
	v_floor_f32_e32 v4, v4
	s_delay_alu instid0(VALU_DEP_1) | instskip(SKIP_1) | instid1(VALU_DEP_2)
	v_fma_f32 v5, 0xcf800000, v4, |v3|
	v_cvt_u32_f32_e32 v4, v4
	v_cvt_u32_f32_e32 v3, v5
	s_delay_alu instid0(VALU_DEP_2) | instskip(NEXT) | instid1(VALU_DEP_2)
	v_xor_b32_e32 v4, v4, v6
	v_xor_b32_e32 v3, v3, v6
	s_delay_alu instid0(VALU_DEP_1) | instskip(NEXT) | instid1(VALU_DEP_3)
	v_sub_co_u32 v3, vcc_lo, v3, v6
	v_sub_co_ci_u32_e32 v4, vcc_lo, v4, v6, vcc_lo
	global_store_b64 v[0:1], v[3:4], off
.LBB121_2123:
	s_and_not1_b32 vcc_lo, exec_lo, s0
	s_cbranch_vccnz .LBB121_2125
; %bb.2124:
	s_waitcnt vmcnt(0)
	v_cvt_i32_f32_e32 v3, v2
	global_store_b32 v[0:1], v3, off
.LBB121_2125:
	s_mov_b32 s0, 0
.LBB121_2126:
	s_delay_alu instid0(SALU_CYCLE_1)
	s_and_not1_b32 vcc_lo, exec_lo, s0
	s_cbranch_vccnz .LBB121_2128
; %bb.2127:
	s_waitcnt vmcnt(0)
	v_cvt_i32_f32_e32 v3, v2
	global_store_b16 v[0:1], v3, off
.LBB121_2128:
	s_mov_b32 s0, 0
.LBB121_2129:
	s_delay_alu instid0(SALU_CYCLE_1)
	s_and_not1_b32 vcc_lo, exec_lo, s0
	s_cbranch_vccnz .LBB121_2134
; %bb.2130:
	v_cmp_lt_i16_e32 vcc_lo, 0, v7
	s_mov_b32 s0, -1
	s_cbranch_vccz .LBB121_2132
; %bb.2131:
	s_waitcnt vmcnt(0)
	v_cvt_i32_f32_e32 v3, v2
	s_mov_b32 s0, 0
	global_store_b8 v[0:1], v3, off
.LBB121_2132:
	s_and_not1_b32 vcc_lo, exec_lo, s0
	s_cbranch_vccnz .LBB121_2134
; %bb.2133:
	v_trunc_f32_e32 v2, v2
	s_waitcnt vmcnt(0)
	s_delay_alu instid0(VALU_DEP_1) | instskip(NEXT) | instid1(VALU_DEP_1)
	v_mul_f32_e64 v3, 0x2f800000, |v2|
	v_floor_f32_e32 v3, v3
	s_delay_alu instid0(VALU_DEP_1) | instskip(SKIP_1) | instid1(VALU_DEP_2)
	v_fma_f32 v3, 0xcf800000, v3, |v2|
	v_ashrrev_i32_e32 v2, 31, v2
	v_cvt_u32_f32_e32 v3, v3
	s_delay_alu instid0(VALU_DEP_1) | instskip(NEXT) | instid1(VALU_DEP_1)
	v_xor_b32_e32 v3, v3, v2
	v_sub_nc_u32_e32 v2, v3, v2
	global_store_b8 v[0:1], v2, off
	s_nop 0
	s_sendmsg sendmsg(MSG_DEALLOC_VGPRS)
	s_endpgm
.LBB121_2134:
	s_nop 0
	s_sendmsg sendmsg(MSG_DEALLOC_VGPRS)
	s_endpgm
.LBB121_2135:
	s_cbranch_execnz .LBB121_2139
; %bb.2136:
	s_or_b32 s3, s3, exec_lo
                                        ; implicit-def: $vgpr8
	s_cbranch_execz .LBB121_1608
	s_branch .LBB121_1609
.LBB121_2137:
	s_or_saveexec_b32 s11, s11
                                        ; implicit-def: $sgpr12
	s_delay_alu instid0(SALU_CYCLE_1)
	s_xor_b32 exec_lo, exec_lo, s11
	s_cbranch_execz .LBB121_1688
.LBB121_2138:
	v_add_f32_e32 v9, 0x46000000, v12
	s_and_not1_b32 s10, s10, exec_lo
	s_mov_b32 s12, 0
	s_delay_alu instid0(VALU_DEP_1) | instskip(NEXT) | instid1(VALU_DEP_1)
	v_and_b32_e32 v9, 0xff, v9
	v_cmp_ne_u32_e32 vcc_lo, 0, v9
	s_and_b32 s13, vcc_lo, exec_lo
	s_delay_alu instid0(SALU_CYCLE_1)
	s_or_b32 s10, s10, s13
	s_or_b32 exec_lo, exec_lo, s11
	v_mov_b32_e32 v13, s12
	s_and_saveexec_b32 s11, s10
	s_cbranch_execnz .LBB121_1689
	s_branch .LBB121_1690
.LBB121_2139:
	s_trap 2
	s_sendmsg_rtn_b32 s0, sendmsg(MSG_RTN_GET_DOORBELL)
	s_mov_b32 ttmp2, m0
	s_waitcnt lgkmcnt(0)
	s_and_b32 s0, s0, 0x3ff
	s_delay_alu instid0(SALU_CYCLE_1) | instskip(NEXT) | instid1(SALU_CYCLE_1)
	s_bitset1_b32 s0, 10
	s_mov_b32 m0, s0
	s_sendmsg sendmsg(MSG_INTERRUPT)
	s_mov_b32 m0, ttmp2
.LBB121_2140:                           ; =>This Inner Loop Header: Depth=1
	s_sethalt 5
	s_branch .LBB121_2140
.LBB121_2141:
	s_cbranch_execnz .LBB121_2147
; %bb.2142:
	s_or_b32 s3, s3, exec_lo
	s_cbranch_execz .LBB121_1736
	s_branch .LBB121_1737
.LBB121_2143:
	s_or_saveexec_b32 s10, s10
                                        ; implicit-def: $sgpr11
	s_delay_alu instid0(SALU_CYCLE_1)
	s_xor_b32 exec_lo, exec_lo, s10
	s_cbranch_execz .LBB121_1701
.LBB121_2144:
	v_add_f32_e32 v9, 0x42800000, v12
	s_and_not1_b32 s7, s7, exec_lo
	s_mov_b32 s11, 0
	s_delay_alu instid0(VALU_DEP_1) | instskip(NEXT) | instid1(VALU_DEP_1)
	v_and_b32_e32 v9, 0xff, v9
	v_cmp_ne_u32_e32 vcc_lo, 0, v9
	s_and_b32 s12, vcc_lo, exec_lo
	s_delay_alu instid0(SALU_CYCLE_1)
	s_or_b32 s7, s7, s12
	s_or_b32 exec_lo, exec_lo, s10
	v_mov_b32_e32 v13, s11
	s_and_saveexec_b32 s10, s7
	s_cbranch_execnz .LBB121_1702
	s_branch .LBB121_1703
.LBB121_2145:
	s_or_saveexec_b32 s11, s11
                                        ; implicit-def: $sgpr12
	s_delay_alu instid0(SALU_CYCLE_1)
	s_xor_b32 exec_lo, exec_lo, s11
	s_cbranch_execz .LBB121_1806
.LBB121_2146:
	v_add_f32_e32 v6, 0x46000000, v9
	s_and_not1_b32 s10, s10, exec_lo
	s_mov_b32 s12, 0
	s_delay_alu instid0(VALU_DEP_1) | instskip(NEXT) | instid1(VALU_DEP_1)
	v_and_b32_e32 v6, 0xff, v6
	v_cmp_ne_u32_e32 vcc_lo, 0, v6
	s_and_b32 s13, vcc_lo, exec_lo
	s_delay_alu instid0(SALU_CYCLE_1)
	s_or_b32 s10, s10, s13
	s_or_b32 exec_lo, exec_lo, s11
	v_mov_b32_e32 v11, s12
	s_and_saveexec_b32 s11, s10
	s_cbranch_execnz .LBB121_1807
	s_branch .LBB121_1808
.LBB121_2147:
	s_trap 2
	s_sendmsg_rtn_b32 s0, sendmsg(MSG_RTN_GET_DOORBELL)
	s_mov_b32 ttmp2, m0
	s_waitcnt lgkmcnt(0)
	s_and_b32 s0, s0, 0x3ff
	s_delay_alu instid0(SALU_CYCLE_1) | instskip(NEXT) | instid1(SALU_CYCLE_1)
	s_bitset1_b32 s0, 10
	s_mov_b32 m0, s0
	s_sendmsg sendmsg(MSG_INTERRUPT)
	s_mov_b32 m0, ttmp2
.LBB121_2148:                           ; =>This Inner Loop Header: Depth=1
	s_sethalt 5
	s_branch .LBB121_2148
.LBB121_2149:
	s_cbranch_execnz .LBB121_2155
; %bb.2150:
	s_or_b32 s3, s3, exec_lo
	s_cbranch_execz .LBB121_1854
	s_branch .LBB121_1855
.LBB121_2151:
	s_or_saveexec_b32 s10, s10
                                        ; implicit-def: $sgpr11
	s_delay_alu instid0(SALU_CYCLE_1)
	s_xor_b32 exec_lo, exec_lo, s10
	s_cbranch_execz .LBB121_1819
.LBB121_2152:
	v_add_f32_e32 v6, 0x42800000, v9
	s_and_not1_b32 s7, s7, exec_lo
	s_mov_b32 s11, 0
	s_delay_alu instid0(VALU_DEP_1) | instskip(NEXT) | instid1(VALU_DEP_1)
	v_and_b32_e32 v6, 0xff, v6
	v_cmp_ne_u32_e32 vcc_lo, 0, v6
	s_and_b32 s12, vcc_lo, exec_lo
	s_delay_alu instid0(SALU_CYCLE_1)
	s_or_b32 s7, s7, s12
	s_or_b32 exec_lo, exec_lo, s10
	v_mov_b32_e32 v11, s11
	s_and_saveexec_b32 s10, s7
	s_cbranch_execnz .LBB121_1820
	s_branch .LBB121_1821
.LBB121_2153:
	s_or_saveexec_b32 s11, s11
                                        ; implicit-def: $sgpr12
	s_delay_alu instid0(SALU_CYCLE_1)
	s_xor_b32 exec_lo, exec_lo, s11
	s_cbranch_execz .LBB121_1924
.LBB121_2154:
	v_add_f32_e32 v5, 0x46000000, v6
	s_and_not1_b32 s10, s10, exec_lo
	s_mov_b32 s12, 0
	s_delay_alu instid0(VALU_DEP_1) | instskip(NEXT) | instid1(VALU_DEP_1)
	v_and_b32_e32 v5, 0xff, v5
	v_cmp_ne_u32_e32 vcc_lo, 0, v5
	s_and_b32 s13, vcc_lo, exec_lo
	s_delay_alu instid0(SALU_CYCLE_1)
	s_or_b32 s10, s10, s13
	s_or_b32 exec_lo, exec_lo, s11
	v_mov_b32_e32 v9, s12
	s_and_saveexec_b32 s11, s10
	s_cbranch_execnz .LBB121_1925
	s_branch .LBB121_1926
.LBB121_2155:
	s_trap 2
	s_sendmsg_rtn_b32 s0, sendmsg(MSG_RTN_GET_DOORBELL)
	s_mov_b32 ttmp2, m0
	s_waitcnt lgkmcnt(0)
	s_and_b32 s0, s0, 0x3ff
	s_delay_alu instid0(SALU_CYCLE_1) | instskip(NEXT) | instid1(SALU_CYCLE_1)
	s_bitset1_b32 s0, 10
	s_mov_b32 m0, s0
	s_sendmsg sendmsg(MSG_INTERRUPT)
	s_mov_b32 m0, ttmp2
.LBB121_2156:                           ; =>This Inner Loop Header: Depth=1
	s_sethalt 5
	s_branch .LBB121_2156
.LBB121_2157:
	s_cbranch_execnz .LBB121_2163
; %bb.2158:
	s_or_b32 s3, s3, exec_lo
	s_cbranch_execz .LBB121_1972
	s_branch .LBB121_1973
.LBB121_2159:
	s_or_saveexec_b32 s10, s10
                                        ; implicit-def: $sgpr11
	s_delay_alu instid0(SALU_CYCLE_1)
	s_xor_b32 exec_lo, exec_lo, s10
	s_cbranch_execz .LBB121_1937
.LBB121_2160:
	v_add_f32_e32 v5, 0x42800000, v6
	s_and_not1_b32 s7, s7, exec_lo
	s_mov_b32 s11, 0
	s_delay_alu instid0(VALU_DEP_1) | instskip(NEXT) | instid1(VALU_DEP_1)
	v_and_b32_e32 v5, 0xff, v5
	v_cmp_ne_u32_e32 vcc_lo, 0, v5
	s_and_b32 s12, vcc_lo, exec_lo
	s_delay_alu instid0(SALU_CYCLE_1)
	s_or_b32 s7, s7, s12
	s_or_b32 exec_lo, exec_lo, s10
	v_mov_b32_e32 v9, s11
	s_and_saveexec_b32 s10, s7
	s_cbranch_execnz .LBB121_1938
	s_branch .LBB121_1939
.LBB121_2161:
	s_or_saveexec_b32 s7, s7
                                        ; implicit-def: $sgpr10
	s_delay_alu instid0(SALU_CYCLE_1)
	s_xor_b32 exec_lo, exec_lo, s7
	s_cbranch_execz .LBB121_2043
.LBB121_2162:
	v_add_f32_e32 v4, 0x46000000, v5
	s_and_not1_b32 s5, s5, exec_lo
	s_mov_b32 s10, 0
	s_delay_alu instid0(VALU_DEP_1) | instskip(NEXT) | instid1(VALU_DEP_1)
	v_and_b32_e32 v4, 0xff, v4
	v_cmp_ne_u32_e32 vcc_lo, 0, v4
	s_and_b32 s11, vcc_lo, exec_lo
	s_delay_alu instid0(SALU_CYCLE_1)
	s_or_b32 s5, s5, s11
	s_or_b32 exec_lo, exec_lo, s7
	v_mov_b32_e32 v6, s10
	s_and_saveexec_b32 s7, s5
	s_cbranch_execnz .LBB121_2044
	s_branch .LBB121_2045
.LBB121_2163:
	s_trap 2
	s_sendmsg_rtn_b32 s0, sendmsg(MSG_RTN_GET_DOORBELL)
	s_mov_b32 ttmp2, m0
	s_waitcnt lgkmcnt(0)
	s_and_b32 s0, s0, 0x3ff
	s_delay_alu instid0(SALU_CYCLE_1) | instskip(NEXT) | instid1(SALU_CYCLE_1)
	s_bitset1_b32 s0, 10
	s_mov_b32 m0, s0
	s_sendmsg sendmsg(MSG_INTERRUPT)
	s_mov_b32 m0, ttmp2
.LBB121_2164:                           ; =>This Inner Loop Header: Depth=1
	s_sethalt 5
	s_branch .LBB121_2164
.LBB121_2165:
	s_cbranch_execnz .LBB121_2169
; %bb.2166:
	s_mov_b32 s6, 0
	s_or_b32 s3, s3, exec_lo
	s_branch .LBB121_2089
.LBB121_2167:
	s_or_saveexec_b32 s6, s6
                                        ; implicit-def: $sgpr7
	s_delay_alu instid0(SALU_CYCLE_1)
	s_xor_b32 exec_lo, exec_lo, s6
	s_cbranch_execz .LBB121_2055
.LBB121_2168:
	v_add_f32_e32 v4, 0x42800000, v5
	s_and_not1_b32 s5, s5, exec_lo
	s_mov_b32 s7, 0
	s_delay_alu instid0(VALU_DEP_1) | instskip(NEXT) | instid1(VALU_DEP_1)
	v_and_b32_e32 v4, 0xff, v4
	v_cmp_ne_u32_e32 vcc_lo, 0, v4
	s_and_b32 s10, vcc_lo, exec_lo
	s_delay_alu instid0(SALU_CYCLE_1)
	s_or_b32 s5, s5, s10
	s_or_b32 exec_lo, exec_lo, s6
	v_mov_b32_e32 v6, s7
	s_and_saveexec_b32 s6, s5
	s_cbranch_execnz .LBB121_2056
	s_branch .LBB121_2057
.LBB121_2169:
	s_trap 2
	s_sendmsg_rtn_b32 s0, sendmsg(MSG_RTN_GET_DOORBELL)
	s_mov_b32 ttmp2, m0
	s_waitcnt lgkmcnt(0)
	s_and_b32 s0, s0, 0x3ff
	s_delay_alu instid0(SALU_CYCLE_1) | instskip(NEXT) | instid1(SALU_CYCLE_1)
	s_bitset1_b32 s0, 10
	s_mov_b32 m0, s0
	s_sendmsg sendmsg(MSG_INTERRUPT)
	s_mov_b32 m0, ttmp2
.LBB121_2170:                           ; =>This Inner Loop Header: Depth=1
	s_sethalt 5
	s_branch .LBB121_2170
	.section	.rodata,"a",@progbits
	.p2align	6, 0x0
	.amdhsa_kernel _ZN2at6native32elementwise_kernel_manual_unrollILi128ELi4EZNS0_15gpu_kernel_implIZZZNS0_17expm1_kernel_cudaERNS_18TensorIteratorBaseEENKUlvE_clEvENKUlvE0_clEvEUlfE_EEvS4_RKT_EUlibE0_EEviT1_
		.amdhsa_group_segment_fixed_size 0
		.amdhsa_private_segment_fixed_size 0
		.amdhsa_kernarg_size 360
		.amdhsa_user_sgpr_count 15
		.amdhsa_user_sgpr_dispatch_ptr 0
		.amdhsa_user_sgpr_queue_ptr 0
		.amdhsa_user_sgpr_kernarg_segment_ptr 1
		.amdhsa_user_sgpr_dispatch_id 0
		.amdhsa_user_sgpr_private_segment_size 0
		.amdhsa_wavefront_size32 1
		.amdhsa_uses_dynamic_stack 0
		.amdhsa_enable_private_segment 0
		.amdhsa_system_sgpr_workgroup_id_x 1
		.amdhsa_system_sgpr_workgroup_id_y 0
		.amdhsa_system_sgpr_workgroup_id_z 0
		.amdhsa_system_sgpr_workgroup_info 0
		.amdhsa_system_vgpr_workitem_id 0
		.amdhsa_next_free_vgpr 18
		.amdhsa_next_free_sgpr 68
		.amdhsa_reserve_vcc 1
		.amdhsa_float_round_mode_32 0
		.amdhsa_float_round_mode_16_64 0
		.amdhsa_float_denorm_mode_32 3
		.amdhsa_float_denorm_mode_16_64 3
		.amdhsa_dx10_clamp 1
		.amdhsa_ieee_mode 1
		.amdhsa_fp16_overflow 0
		.amdhsa_workgroup_processor_mode 1
		.amdhsa_memory_ordered 1
		.amdhsa_forward_progress 0
		.amdhsa_shared_vgpr_count 0
		.amdhsa_exception_fp_ieee_invalid_op 0
		.amdhsa_exception_fp_denorm_src 0
		.amdhsa_exception_fp_ieee_div_zero 0
		.amdhsa_exception_fp_ieee_overflow 0
		.amdhsa_exception_fp_ieee_underflow 0
		.amdhsa_exception_fp_ieee_inexact 0
		.amdhsa_exception_int_div_zero 0
	.end_amdhsa_kernel
	.section	.text._ZN2at6native32elementwise_kernel_manual_unrollILi128ELi4EZNS0_15gpu_kernel_implIZZZNS0_17expm1_kernel_cudaERNS_18TensorIteratorBaseEENKUlvE_clEvENKUlvE0_clEvEUlfE_EEvS4_RKT_EUlibE0_EEviT1_,"axG",@progbits,_ZN2at6native32elementwise_kernel_manual_unrollILi128ELi4EZNS0_15gpu_kernel_implIZZZNS0_17expm1_kernel_cudaERNS_18TensorIteratorBaseEENKUlvE_clEvENKUlvE0_clEvEUlfE_EEvS4_RKT_EUlibE0_EEviT1_,comdat
.Lfunc_end121:
	.size	_ZN2at6native32elementwise_kernel_manual_unrollILi128ELi4EZNS0_15gpu_kernel_implIZZZNS0_17expm1_kernel_cudaERNS_18TensorIteratorBaseEENKUlvE_clEvENKUlvE0_clEvEUlfE_EEvS4_RKT_EUlibE0_EEviT1_, .Lfunc_end121-_ZN2at6native32elementwise_kernel_manual_unrollILi128ELi4EZNS0_15gpu_kernel_implIZZZNS0_17expm1_kernel_cudaERNS_18TensorIteratorBaseEENKUlvE_clEvENKUlvE0_clEvEUlfE_EEvS4_RKT_EUlibE0_EEviT1_
                                        ; -- End function
	.section	.AMDGPU.csdata,"",@progbits
; Kernel info:
; codeLenInByte = 43172
; NumSgprs: 70
; NumVgprs: 18
; ScratchSize: 0
; MemoryBound: 1
; FloatMode: 240
; IeeeMode: 1
; LDSByteSize: 0 bytes/workgroup (compile time only)
; SGPRBlocks: 8
; VGPRBlocks: 2
; NumSGPRsForWavesPerEU: 70
; NumVGPRsForWavesPerEU: 18
; Occupancy: 16
; WaveLimiterHint : 1
; COMPUTE_PGM_RSRC2:SCRATCH_EN: 0
; COMPUTE_PGM_RSRC2:USER_SGPR: 15
; COMPUTE_PGM_RSRC2:TRAP_HANDLER: 0
; COMPUTE_PGM_RSRC2:TGID_X_EN: 1
; COMPUTE_PGM_RSRC2:TGID_Y_EN: 0
; COMPUTE_PGM_RSRC2:TGID_Z_EN: 0
; COMPUTE_PGM_RSRC2:TIDIG_COMP_CNT: 0
	.text
	.p2align	2                               ; -- Begin function _ZN2at6native25elementwise_kernel_helperILb0EZZZNS0_17expm1_kernel_cudaERNS_18TensorIteratorBaseEENKUlvE_clEvENKUlvE1_clEvEUlN3c107complexIdEEE_NS0_6memory8policies11unroll_baseILi256ESt5arrayIPcLm2EE23TrivialOffsetCalculatorILi1EjESH_NSA_15LoadWithoutCastENSA_16StoreWithoutCastELi4ELi1EEEEEvT0_T1_
	.type	_ZN2at6native25elementwise_kernel_helperILb0EZZZNS0_17expm1_kernel_cudaERNS_18TensorIteratorBaseEENKUlvE_clEvENKUlvE1_clEvEUlN3c107complexIdEEE_NS0_6memory8policies11unroll_baseILi256ESt5arrayIPcLm2EE23TrivialOffsetCalculatorILi1EjESH_NSA_15LoadWithoutCastENSA_16StoreWithoutCastELi4ELi1EEEEEvT0_T1_,@function
_ZN2at6native25elementwise_kernel_helperILb0EZZZNS0_17expm1_kernel_cudaERNS_18TensorIteratorBaseEENKUlvE_clEvENKUlvE1_clEvEUlN3c107complexIdEEE_NS0_6memory8policies11unroll_baseILi256ESt5arrayIPcLm2EE23TrivialOffsetCalculatorILi1EjESH_NSA_15LoadWithoutCastENSA_16StoreWithoutCastELi4ELi1EEEEEvT0_T1_: ; @_ZN2at6native25elementwise_kernel_helperILb0EZZZNS0_17expm1_kernel_cudaERNS_18TensorIteratorBaseEENKUlvE_clEvENKUlvE1_clEvEUlN3c107complexIdEEE_NS0_6memory8policies11unroll_baseILi256ESt5arrayIPcLm2EE23TrivialOffsetCalculatorILi1EjESH_NSA_15LoadWithoutCastENSA_16StoreWithoutCastELi4ELi1EEEEEvT0_T1_
; %bb.0:
	s_waitcnt vmcnt(0) expcnt(0) lgkmcnt(0)
	v_dual_mov_b32 v17, 0 :: v_dual_and_b32 v50, 0x3ff, v31
	v_mov_b32_e32 v18, 0
	s_lshl_b32 s8, s12, 10
	s_delay_alu instid0(VALU_DEP_2)
	v_add_nc_u32_e32 v51, 0x100, v50
	v_cmp_lt_i32_e32 vcc_lo, v50, v4
	v_or_b32_e32 v25, s8, v50
	v_dual_mov_b32 v22, v18 :: v_dual_mov_b32 v21, v17
	v_dual_mov_b32 v24, v18 :: v_dual_mov_b32 v23, v17
	v_mov_b32_e32 v9, v50
	s_and_saveexec_b32 s1, vcc_lo
	s_cbranch_execz .LBB122_2
; %bb.1:
	v_dual_mov_b32 v26, 0 :: v_dual_add_nc_u32 v9, 0x100, v50
	s_delay_alu instid0(VALU_DEP_1) | instskip(NEXT) | instid1(VALU_DEP_1)
	v_lshlrev_b64 v[5:6], 4, v[25:26]
	v_add_co_u32 v5, s0, v2, v5
	s_delay_alu instid0(VALU_DEP_1)
	v_add_co_ci_u32_e64 v6, s0, v3, v6, s0
	flat_load_b128 v[21:24], v[5:6]
.LBB122_2:
	s_or_b32 exec_lo, exec_lo, s1
	v_dual_mov_b32 v20, v18 :: v_dual_mov_b32 v19, v17
	s_mov_b32 s1, exec_lo
	v_cmpx_lt_i32_e64 v9, v4
	s_cbranch_execz .LBB122_4
; %bb.3:
	v_dual_mov_b32 v6, 0 :: v_dual_add_nc_u32 v5, s8, v9
	v_add_nc_u32_e32 v9, 0x100, v9
	s_delay_alu instid0(VALU_DEP_2) | instskip(NEXT) | instid1(VALU_DEP_1)
	v_lshlrev_b64 v[5:6], 4, v[5:6]
	v_add_co_u32 v5, s0, v2, v5
	s_delay_alu instid0(VALU_DEP_1)
	v_add_co_ci_u32_e64 v6, s0, v3, v6, s0
	flat_load_b128 v[17:20], v[5:6]
.LBB122_4:
	s_or_b32 exec_lo, exec_lo, s1
	v_mov_b32_e32 v5, 0
	v_mov_b32_e32 v6, 0
	s_mov_b32 s1, exec_lo
	s_delay_alu instid0(VALU_DEP_1)
	v_dual_mov_b32 v14, v6 :: v_dual_mov_b32 v13, v5
	v_dual_mov_b32 v16, v6 :: v_dual_mov_b32 v15, v5
	v_cmpx_lt_i32_e64 v9, v4
	s_cbranch_execz .LBB122_6
; %bb.5:
	v_dual_mov_b32 v8, 0 :: v_dual_add_nc_u32 v7, s8, v9
	v_add_nc_u32_e32 v9, 0x100, v9
	s_delay_alu instid0(VALU_DEP_2) | instskip(NEXT) | instid1(VALU_DEP_1)
	v_lshlrev_b64 v[7:8], 4, v[7:8]
	v_add_co_u32 v7, s0, v2, v7
	s_delay_alu instid0(VALU_DEP_1)
	v_add_co_ci_u32_e64 v8, s0, v3, v8, s0
	flat_load_b128 v[13:16], v[7:8]
.LBB122_6:
	s_or_b32 exec_lo, exec_lo, s1
	v_dual_mov_b32 v8, v6 :: v_dual_mov_b32 v7, v5
	s_mov_b32 s1, exec_lo
	v_cmpx_lt_i32_e64 v9, v4
	s_cbranch_execz .LBB122_8
; %bb.7:
	v_dual_mov_b32 v6, 0 :: v_dual_add_nc_u32 v5, s8, v9
	s_delay_alu instid0(VALU_DEP_1) | instskip(NEXT) | instid1(VALU_DEP_1)
	v_lshlrev_b64 v[5:6], 4, v[5:6]
	v_add_co_u32 v2, s0, v2, v5
	s_delay_alu instid0(VALU_DEP_1)
	v_add_co_ci_u32_e64 v3, s0, v3, v6, s0
	flat_load_b128 v[5:8], v[2:3]
.LBB122_8:
	s_or_b32 exec_lo, exec_lo, s1
	v_mov_b32_e32 v9, 0
	v_mov_b32_e32 v10, 0
	s_delay_alu instid0(VALU_DEP_1)
	v_dual_mov_b32 v12, v10 :: v_dual_mov_b32 v11, v9
	s_and_saveexec_b32 s9, vcc_lo
	s_cbranch_execz .LBB122_22
; %bb.9:
	s_waitcnt vmcnt(0) lgkmcnt(0)
	v_mul_f64 v[2:3], v[23:24], 0.5
                                        ; implicit-def: $vgpr52
                                        ; implicit-def: $vgpr9_vgpr10
                                        ; implicit-def: $vgpr11_vgpr12
	s_mov_b32 s1, exec_lo
	s_delay_alu instid0(VALU_DEP_1)
	v_cmpx_ngt_f64_e64 0x41d00000, |v[2:3]|
	s_xor_b32 s2, exec_lo, s1
	s_cbranch_execz .LBB122_11
; %bb.10:
	v_ldexp_f64 v[9:10], |v[2:3]|, 0xffffff80
	v_cmp_le_f64_e64 s0, 0x7b000000, |v[2:3]|
	v_trig_preop_f64 v[11:12], |v[2:3]|, 0
	v_and_b32_e32 v26, 0x7fffffff, v3
	v_trig_preop_f64 v[36:37], |v[2:3]|, 2
	v_mov_b32_e32 v54, 0
	s_mov_b32 s4, 0x33145c07
	s_mov_b32 s5, 0x3c91a626
	v_cndmask_b32_e64 v10, v26, v10, s0
	v_cndmask_b32_e64 v9, v2, v9, s0
	v_trig_preop_f64 v[26:27], |v[2:3]|, 1
	s_delay_alu instid0(VALU_DEP_2) | instskip(SKIP_1) | instid1(VALU_DEP_3)
	v_mul_f64 v[28:29], v[11:12], v[9:10]
	v_mul_f64 v[52:53], v[36:37], v[9:10]
	;; [unrolled: 1-line block ×3, first 2 shown]
	s_delay_alu instid0(VALU_DEP_3) | instskip(NEXT) | instid1(VALU_DEP_2)
	v_fma_f64 v[11:12], v[11:12], v[9:10], -v[28:29]
	v_fma_f64 v[26:27], v[26:27], v[9:10], -v[30:31]
	s_delay_alu instid0(VALU_DEP_4) | instskip(NEXT) | instid1(VALU_DEP_3)
	v_fma_f64 v[9:10], v[36:37], v[9:10], -v[52:53]
	v_add_f64 v[32:33], v[30:31], v[11:12]
	s_delay_alu instid0(VALU_DEP_1) | instskip(SKIP_1) | instid1(VALU_DEP_2)
	v_add_f64 v[34:35], v[32:33], -v[30:31]
	v_add_f64 v[48:49], v[28:29], v[32:33]
	v_add_f64 v[38:39], v[32:33], -v[34:35]
	v_add_f64 v[11:12], v[11:12], -v[34:35]
	s_delay_alu instid0(VALU_DEP_3) | instskip(SKIP_1) | instid1(VALU_DEP_4)
	v_ldexp_f64 v[34:35], v[48:49], -2
	v_add_f64 v[28:29], v[48:49], -v[28:29]
	v_add_f64 v[30:31], v[30:31], -v[38:39]
	v_add_f64 v[38:39], v[52:53], v[26:27]
	s_delay_alu instid0(VALU_DEP_4) | instskip(NEXT) | instid1(VALU_DEP_4)
	v_cmp_neq_f64_e64 s0, 0x7ff00000, |v[34:35]|
	v_add_f64 v[28:29], v[32:33], -v[28:29]
	s_delay_alu instid0(VALU_DEP_4) | instskip(SKIP_1) | instid1(VALU_DEP_2)
	v_add_f64 v[11:12], v[11:12], v[30:31]
	v_fract_f64_e32 v[30:31], v[34:35]
	v_add_f64 v[32:33], v[38:39], v[11:12]
	s_delay_alu instid0(VALU_DEP_2) | instskip(NEXT) | instid1(VALU_DEP_3)
	v_cndmask_b32_e64 v31, 0, v31, s0
	v_cndmask_b32_e64 v30, 0, v30, s0
	s_delay_alu instid0(VALU_DEP_1) | instskip(NEXT) | instid1(VALU_DEP_4)
	v_ldexp_f64 v[30:31], v[30:31], 2
	v_add_f64 v[34:35], v[28:29], v[32:33]
	v_add_f64 v[64:65], v[32:33], -v[38:39]
	s_delay_alu instid0(VALU_DEP_2) | instskip(NEXT) | instid1(VALU_DEP_2)
	v_add_f64 v[48:49], v[34:35], v[30:31]
	v_add_f64 v[70:71], v[32:33], -v[64:65]
	v_add_f64 v[11:12], v[11:12], -v[64:65]
	;; [unrolled: 1-line block ×3, first 2 shown]
	s_delay_alu instid0(VALU_DEP_4) | instskip(SKIP_1) | instid1(VALU_DEP_3)
	v_cmp_gt_f64_e64 s0, 0, v[48:49]
	v_add_f64 v[48:49], v[38:39], -v[52:53]
	v_add_f64 v[28:29], v[32:33], -v[28:29]
	s_delay_alu instid0(VALU_DEP_3) | instskip(NEXT) | instid1(VALU_DEP_3)
	v_cndmask_b32_e64 v55, 0, 0x40100000, s0
	v_add_f64 v[68:69], v[38:39], -v[48:49]
	v_add_f64 v[26:27], v[26:27], -v[48:49]
	;; [unrolled: 1-line block ×3, first 2 shown]
	s_delay_alu instid0(VALU_DEP_4) | instskip(NEXT) | instid1(VALU_DEP_4)
	v_add_f64 v[30:31], v[30:31], v[54:55]
	v_add_f64 v[48:49], v[52:53], -v[68:69]
	s_delay_alu instid0(VALU_DEP_3) | instskip(NEXT) | instid1(VALU_DEP_3)
	v_add_f64 v[11:12], v[11:12], v[38:39]
	v_add_f64 v[66:67], v[34:35], v[30:31]
	s_delay_alu instid0(VALU_DEP_3) | instskip(NEXT) | instid1(VALU_DEP_2)
	v_add_f64 v[26:27], v[26:27], v[48:49]
	v_cvt_i32_f64_e32 v55, v[66:67]
	s_delay_alu instid0(VALU_DEP_2) | instskip(NEXT) | instid1(VALU_DEP_2)
	v_add_f64 v[11:12], v[26:27], v[11:12]
	v_cvt_f64_i32_e32 v[64:65], v55
	s_delay_alu instid0(VALU_DEP_2) | instskip(NEXT) | instid1(VALU_DEP_2)
	v_add_f64 v[9:10], v[9:10], v[11:12]
	v_add_f64 v[30:31], v[30:31], -v[64:65]
	s_delay_alu instid0(VALU_DEP_2) | instskip(NEXT) | instid1(VALU_DEP_2)
	v_add_f64 v[9:10], v[28:29], v[9:10]
	v_add_f64 v[26:27], v[34:35], v[30:31]
	s_delay_alu instid0(VALU_DEP_1) | instskip(SKIP_1) | instid1(VALU_DEP_2)
	v_add_f64 v[11:12], v[26:27], -v[30:31]
	v_cmp_le_f64_e64 s0, 0.5, v[26:27]
	v_add_f64 v[11:12], v[34:35], -v[11:12]
	s_delay_alu instid0(VALU_DEP_2) | instskip(SKIP_3) | instid1(VALU_DEP_3)
	v_add_co_ci_u32_e64 v52, s1, 0, v55, s0
	v_cndmask_b32_e64 v55, 0, 0x3ff00000, s0
	s_mov_b32 s0, 0x54442d18
	s_mov_b32 s1, 0x3ff921fb
	v_add_f64 v[9:10], v[9:10], v[11:12]
	s_delay_alu instid0(VALU_DEP_2) | instskip(NEXT) | instid1(VALU_DEP_1)
	v_add_f64 v[11:12], v[26:27], -v[54:55]
	v_add_f64 v[26:27], v[11:12], v[9:10]
	s_delay_alu instid0(VALU_DEP_1) | instskip(SKIP_1) | instid1(VALU_DEP_2)
	v_mul_f64 v[28:29], v[26:27], s[0:1]
	v_add_f64 v[11:12], v[26:27], -v[11:12]
	v_fma_f64 v[30:31], v[26:27], s[0:1], -v[28:29]
	s_delay_alu instid0(VALU_DEP_2) | instskip(NEXT) | instid1(VALU_DEP_2)
	v_add_f64 v[9:10], v[9:10], -v[11:12]
	v_fma_f64 v[11:12], v[26:27], s[4:5], v[30:31]
	s_delay_alu instid0(VALU_DEP_1) | instskip(NEXT) | instid1(VALU_DEP_1)
	v_fma_f64 v[11:12], v[9:10], s[0:1], v[11:12]
	v_add_f64 v[9:10], v[28:29], v[11:12]
	s_delay_alu instid0(VALU_DEP_1) | instskip(NEXT) | instid1(VALU_DEP_1)
	v_add_f64 v[26:27], v[9:10], -v[28:29]
	v_add_f64 v[11:12], v[11:12], -v[26:27]
.LBB122_11:
	s_and_not1_saveexec_b32 s0, s2
	s_cbranch_execz .LBB122_13
; %bb.12:
	s_mov_b32 s2, 0x6dc9c883
	s_mov_b32 s3, 0x3fe45f30
	;; [unrolled: 1-line block ×3, first 2 shown]
	v_mul_f64 v[9:10], |v[2:3]|, s[2:3]
	s_mov_b32 s2, 0x54442d18
	s_mov_b32 s3, 0xbff921fb
	;; [unrolled: 1-line block ×3, first 2 shown]
	s_delay_alu instid0(VALU_DEP_1) | instskip(NEXT) | instid1(VALU_DEP_1)
	v_rndne_f64_e32 v[26:27], v[9:10]
	v_fma_f64 v[9:10], v[26:27], s[2:3], |v[2:3]|
	v_mul_f64 v[11:12], v[26:27], s[4:5]
	s_mov_b32 s2, 0x252049c0
	s_mov_b32 s3, 0xb97b839a
	v_cvt_i32_f64_e32 v52, v[26:27]
	s_delay_alu instid0(VALU_DEP_3) | instskip(NEXT) | instid1(VALU_DEP_3)
	v_fma_f64 v[30:31], v[26:27], s[4:5], v[9:10]
	v_add_f64 v[28:29], v[9:10], v[11:12]
	s_mov_b32 s5, 0x3c91a626
	s_delay_alu instid0(VALU_DEP_1) | instskip(NEXT) | instid1(VALU_DEP_3)
	v_add_f64 v[9:10], v[9:10], -v[28:29]
	v_add_f64 v[28:29], v[28:29], -v[30:31]
	s_delay_alu instid0(VALU_DEP_2) | instskip(SKIP_1) | instid1(VALU_DEP_2)
	v_add_f64 v[9:10], v[9:10], v[11:12]
	v_fma_f64 v[11:12], v[26:27], s[4:5], v[11:12]
	v_add_f64 v[9:10], v[28:29], v[9:10]
	s_delay_alu instid0(VALU_DEP_1) | instskip(NEXT) | instid1(VALU_DEP_1)
	v_add_f64 v[9:10], v[9:10], -v[11:12]
	v_fma_f64 v[11:12], v[26:27], s[2:3], v[9:10]
	s_delay_alu instid0(VALU_DEP_1) | instskip(NEXT) | instid1(VALU_DEP_1)
	v_add_f64 v[9:10], v[30:31], v[11:12]
	v_add_f64 v[28:29], v[9:10], -v[30:31]
	s_delay_alu instid0(VALU_DEP_1)
	v_add_f64 v[11:12], v[11:12], -v[28:29]
.LBB122_13:
	s_or_b32 exec_lo, exec_lo, s0
	v_cmp_ngt_f64_e64 s2, 0x41d00000, |v[23:24]|
	v_trig_preop_f64 v[38:39], |v[23:24]|, 0
	v_trig_preop_f64 v[36:37], |v[23:24]|, 1
	v_ldexp_f64 v[48:49], |v[23:24]|, 0xffffff80
	v_trig_preop_f64 v[34:35], |v[23:24]|, 2
	v_and_b32_e32 v55, 0x7fffffff, v24
                                        ; implicit-def: $vgpr53
                                        ; implicit-def: $vgpr26_vgpr27
                                        ; implicit-def: $vgpr28_vgpr29
	s_and_saveexec_b32 s0, s2
	s_delay_alu instid0(SALU_CYCLE_1)
	s_xor_b32 s3, exec_lo, s0
	s_cbranch_execz .LBB122_15
; %bb.14:
	v_cmp_le_f64_e64 s0, 0x7b000000, |v[23:24]|
	v_mov_b32_e32 v82, 0
	s_mov_b32 s4, 0x33145c07
	s_mov_b32 s5, 0x3c91a626
	s_delay_alu instid0(VALU_DEP_2) | instskip(SKIP_1) | instid1(VALU_DEP_1)
	v_cndmask_b32_e64 v27, v55, v49, s0
	v_cndmask_b32_e64 v26, v23, v48, s0
	v_mul_f64 v[28:29], v[38:39], v[26:27]
	v_mul_f64 v[30:31], v[36:37], v[26:27]
	;; [unrolled: 1-line block ×3, first 2 shown]
	s_delay_alu instid0(VALU_DEP_3) | instskip(NEXT) | instid1(VALU_DEP_3)
	v_fma_f64 v[32:33], v[38:39], v[26:27], -v[28:29]
	v_fma_f64 v[80:81], v[36:37], v[26:27], -v[30:31]
	s_delay_alu instid0(VALU_DEP_3) | instskip(NEXT) | instid1(VALU_DEP_3)
	v_fma_f64 v[26:27], v[34:35], v[26:27], -v[70:71]
	v_add_f64 v[53:54], v[30:31], v[32:33]
	s_delay_alu instid0(VALU_DEP_1) | instskip(SKIP_1) | instid1(VALU_DEP_2)
	v_add_f64 v[64:65], v[53:54], -v[30:31]
	v_add_f64 v[68:69], v[28:29], v[53:54]
	v_add_f64 v[66:67], v[53:54], -v[64:65]
	v_add_f64 v[32:33], v[32:33], -v[64:65]
	s_delay_alu instid0(VALU_DEP_3) | instskip(SKIP_1) | instid1(VALU_DEP_4)
	v_ldexp_f64 v[64:65], v[68:69], -2
	v_add_f64 v[28:29], v[68:69], -v[28:29]
	v_add_f64 v[30:31], v[30:31], -v[66:67]
	v_add_f64 v[66:67], v[70:71], v[80:81]
	s_delay_alu instid0(VALU_DEP_4) | instskip(NEXT) | instid1(VALU_DEP_4)
	v_cmp_neq_f64_e64 s0, 0x7ff00000, |v[64:65]|
	v_add_f64 v[28:29], v[53:54], -v[28:29]
	s_delay_alu instid0(VALU_DEP_4) | instskip(SKIP_1) | instid1(VALU_DEP_2)
	v_add_f64 v[30:31], v[32:33], v[30:31]
	v_fract_f64_e32 v[32:33], v[64:65]
	v_add_f64 v[53:54], v[66:67], v[30:31]
	s_delay_alu instid0(VALU_DEP_2) | instskip(NEXT) | instid1(VALU_DEP_3)
	v_cndmask_b32_e64 v33, 0, v33, s0
	v_cndmask_b32_e64 v32, 0, v32, s0
	s_delay_alu instid0(VALU_DEP_1) | instskip(NEXT) | instid1(VALU_DEP_4)
	v_ldexp_f64 v[32:33], v[32:33], 2
	v_add_f64 v[64:65], v[28:29], v[53:54]
	s_delay_alu instid0(VALU_DEP_1) | instskip(SKIP_1) | instid1(VALU_DEP_2)
	v_add_f64 v[68:69], v[64:65], v[32:33]
	v_add_f64 v[28:29], v[64:65], -v[28:29]
	v_cmp_gt_f64_e64 s0, 0, v[68:69]
	v_add_f64 v[68:69], v[66:67], -v[70:71]
	s_delay_alu instid0(VALU_DEP_3) | instskip(NEXT) | instid1(VALU_DEP_3)
	v_add_f64 v[28:29], v[53:54], -v[28:29]
	v_cndmask_b32_e64 v83, 0, 0x40100000, s0
	s_delay_alu instid0(VALU_DEP_3) | instskip(SKIP_1) | instid1(VALU_DEP_3)
	v_add_f64 v[96:97], v[66:67], -v[68:69]
	v_add_f64 v[68:69], v[80:81], -v[68:69]
	v_add_f64 v[32:33], v[32:33], v[82:83]
	v_add_f64 v[83:84], v[53:54], -v[66:67]
	s_delay_alu instid0(VALU_DEP_4) | instskip(NEXT) | instid1(VALU_DEP_3)
	v_add_f64 v[80:81], v[70:71], -v[96:97]
	v_add_f64 v[85:86], v[64:65], v[32:33]
	s_delay_alu instid0(VALU_DEP_3) | instskip(SKIP_1) | instid1(VALU_DEP_4)
	v_add_f64 v[98:99], v[53:54], -v[83:84]
	v_add_f64 v[30:31], v[30:31], -v[83:84]
	v_add_f64 v[68:69], v[68:69], v[80:81]
	s_delay_alu instid0(VALU_DEP_4) | instskip(NEXT) | instid1(VALU_DEP_4)
	v_cvt_i32_f64_e32 v85, v[85:86]
	v_add_f64 v[66:67], v[66:67], -v[98:99]
	s_delay_alu instid0(VALU_DEP_2) | instskip(NEXT) | instid1(VALU_DEP_2)
	v_cvt_f64_i32_e32 v[83:84], v85
	v_add_f64 v[30:31], v[30:31], v[66:67]
	s_delay_alu instid0(VALU_DEP_2) | instskip(NEXT) | instid1(VALU_DEP_2)
	v_add_f64 v[32:33], v[32:33], -v[83:84]
	v_add_f64 v[30:31], v[68:69], v[30:31]
	s_delay_alu instid0(VALU_DEP_2) | instskip(NEXT) | instid1(VALU_DEP_2)
	v_add_f64 v[66:67], v[64:65], v[32:33]
	v_add_f64 v[26:27], v[26:27], v[30:31]
	s_delay_alu instid0(VALU_DEP_2) | instskip(SKIP_1) | instid1(VALU_DEP_3)
	v_add_f64 v[30:31], v[66:67], -v[32:33]
	v_cmp_le_f64_e64 s0, 0.5, v[66:67]
	v_add_f64 v[26:27], v[28:29], v[26:27]
	s_delay_alu instid0(VALU_DEP_3) | instskip(NEXT) | instid1(VALU_DEP_3)
	v_add_f64 v[28:29], v[64:65], -v[30:31]
	v_cndmask_b32_e64 v83, 0, 0x3ff00000, s0
	v_add_co_ci_u32_e64 v53, s1, 0, v85, s0
	s_mov_b32 s0, 0x54442d18
	s_mov_b32 s1, 0x3ff921fb
	s_delay_alu instid0(VALU_DEP_3) | instskip(SKIP_1) | instid1(VALU_DEP_1)
	v_add_f64 v[26:27], v[26:27], v[28:29]
	v_add_f64 v[28:29], v[66:67], -v[82:83]
	v_add_f64 v[30:31], v[28:29], v[26:27]
	s_delay_alu instid0(VALU_DEP_1) | instskip(SKIP_1) | instid1(VALU_DEP_2)
	v_mul_f64 v[32:33], v[30:31], s[0:1]
	v_add_f64 v[28:29], v[30:31], -v[28:29]
	v_fma_f64 v[64:65], v[30:31], s[0:1], -v[32:33]
	s_delay_alu instid0(VALU_DEP_2) | instskip(NEXT) | instid1(VALU_DEP_2)
	v_add_f64 v[26:27], v[26:27], -v[28:29]
	v_fma_f64 v[28:29], v[30:31], s[4:5], v[64:65]
	s_delay_alu instid0(VALU_DEP_1) | instskip(NEXT) | instid1(VALU_DEP_1)
	v_fma_f64 v[28:29], v[26:27], s[0:1], v[28:29]
	v_add_f64 v[26:27], v[32:33], v[28:29]
	s_delay_alu instid0(VALU_DEP_1) | instskip(NEXT) | instid1(VALU_DEP_1)
	v_add_f64 v[30:31], v[26:27], -v[32:33]
	v_add_f64 v[28:29], v[28:29], -v[30:31]
	s_and_not1_saveexec_b32 s0, s3
	s_cbranch_execz .LBB122_17
	s_branch .LBB122_16
.LBB122_15:
	s_and_not1_saveexec_b32 s0, s3
	s_cbranch_execz .LBB122_17
.LBB122_16:
	s_mov_b32 s4, 0x6dc9c883
	s_mov_b32 s5, 0x3fe45f30
	;; [unrolled: 1-line block ×3, first 2 shown]
	v_mul_f64 v[26:27], |v[23:24]|, s[4:5]
	s_mov_b32 s4, 0x54442d18
	s_mov_b32 s5, 0xbff921fb
	;; [unrolled: 1-line block ×3, first 2 shown]
	s_delay_alu instid0(VALU_DEP_1) | instskip(NEXT) | instid1(VALU_DEP_1)
	v_rndne_f64_e32 v[30:31], v[26:27]
	v_fma_f64 v[26:27], v[30:31], s[4:5], |v[23:24]|
	v_mul_f64 v[28:29], v[30:31], s[6:7]
	s_mov_b32 s4, 0x252049c0
	s_mov_b32 s5, 0xb97b839a
	s_delay_alu instid0(VALU_DEP_2) | instskip(NEXT) | instid1(VALU_DEP_2)
	v_fma_f64 v[53:54], v[30:31], s[6:7], v[26:27]
	v_add_f64 v[32:33], v[26:27], v[28:29]
	s_mov_b32 s7, 0x3c91a626
	s_delay_alu instid0(VALU_DEP_1) | instskip(NEXT) | instid1(VALU_DEP_3)
	v_add_f64 v[26:27], v[26:27], -v[32:33]
	v_add_f64 v[32:33], v[32:33], -v[53:54]
	s_delay_alu instid0(VALU_DEP_2) | instskip(SKIP_1) | instid1(VALU_DEP_2)
	v_add_f64 v[26:27], v[26:27], v[28:29]
	v_fma_f64 v[28:29], v[30:31], s[6:7], v[28:29]
	v_add_f64 v[26:27], v[32:33], v[26:27]
	s_delay_alu instid0(VALU_DEP_1) | instskip(NEXT) | instid1(VALU_DEP_1)
	v_add_f64 v[26:27], v[26:27], -v[28:29]
	v_fma_f64 v[28:29], v[30:31], s[4:5], v[26:27]
	s_delay_alu instid0(VALU_DEP_1) | instskip(NEXT) | instid1(VALU_DEP_1)
	v_add_f64 v[26:27], v[53:54], v[28:29]
	v_add_f64 v[32:33], v[26:27], -v[53:54]
	v_cvt_i32_f64_e32 v53, v[30:31]
	s_delay_alu instid0(VALU_DEP_2)
	v_add_f64 v[28:29], v[28:29], -v[32:33]
.LBB122_17:
	s_or_b32 exec_lo, exec_lo, s0
                                        ; implicit-def: $vgpr54
                                        ; implicit-def: $vgpr30_vgpr31
                                        ; implicit-def: $vgpr32_vgpr33
	s_and_saveexec_b32 s0, s2
	s_delay_alu instid0(SALU_CYCLE_1)
	s_xor_b32 s2, exec_lo, s0
	s_cbranch_execz .LBB122_19
; %bb.18:
	v_cmp_le_f64_e64 s0, 0x7b000000, |v[23:24]|
	v_mov_b32_e32 v80, 0
	s_mov_b32 s4, 0x33145c07
	s_mov_b32 s5, 0x3c91a626
	s_delay_alu instid0(VALU_DEP_2) | instskip(SKIP_1) | instid1(VALU_DEP_1)
	v_cndmask_b32_e64 v31, v55, v49, s0
	v_cndmask_b32_e64 v30, v23, v48, s0
	v_mul_f64 v[32:33], v[38:39], v[30:31]
	v_mul_f64 v[48:49], v[36:37], v[30:31]
	;; [unrolled: 1-line block ×3, first 2 shown]
	s_delay_alu instid0(VALU_DEP_3) | instskip(NEXT) | instid1(VALU_DEP_3)
	v_fma_f64 v[38:39], v[38:39], v[30:31], -v[32:33]
	v_fma_f64 v[36:37], v[36:37], v[30:31], -v[48:49]
	s_delay_alu instid0(VALU_DEP_3) | instskip(NEXT) | instid1(VALU_DEP_3)
	v_fma_f64 v[30:31], v[34:35], v[30:31], -v[70:71]
	v_add_f64 v[54:55], v[48:49], v[38:39]
	s_delay_alu instid0(VALU_DEP_1) | instskip(SKIP_1) | instid1(VALU_DEP_2)
	v_add_f64 v[64:65], v[54:55], -v[48:49]
	v_add_f64 v[68:69], v[32:33], v[54:55]
	v_add_f64 v[66:67], v[54:55], -v[64:65]
	v_add_f64 v[38:39], v[38:39], -v[64:65]
	s_delay_alu instid0(VALU_DEP_3) | instskip(SKIP_1) | instid1(VALU_DEP_4)
	v_ldexp_f64 v[64:65], v[68:69], -2
	v_add_f64 v[32:33], v[68:69], -v[32:33]
	v_add_f64 v[48:49], v[48:49], -v[66:67]
	v_add_f64 v[66:67], v[70:71], v[36:37]
	s_delay_alu instid0(VALU_DEP_4) | instskip(NEXT) | instid1(VALU_DEP_4)
	v_cmp_neq_f64_e64 s0, 0x7ff00000, |v[64:65]|
	v_add_f64 v[32:33], v[54:55], -v[32:33]
	s_delay_alu instid0(VALU_DEP_4) | instskip(SKIP_1) | instid1(VALU_DEP_2)
	v_add_f64 v[38:39], v[38:39], v[48:49]
	v_fract_f64_e32 v[48:49], v[64:65]
	v_add_f64 v[54:55], v[66:67], v[38:39]
	s_delay_alu instid0(VALU_DEP_2) | instskip(NEXT) | instid1(VALU_DEP_3)
	v_cndmask_b32_e64 v49, 0, v49, s0
	v_cndmask_b32_e64 v48, 0, v48, s0
	s_delay_alu instid0(VALU_DEP_1) | instskip(NEXT) | instid1(VALU_DEP_4)
	v_ldexp_f64 v[48:49], v[48:49], 2
	v_add_f64 v[64:65], v[32:33], v[54:55]
	s_delay_alu instid0(VALU_DEP_1) | instskip(SKIP_1) | instid1(VALU_DEP_2)
	v_add_f64 v[68:69], v[64:65], v[48:49]
	v_add_f64 v[32:33], v[64:65], -v[32:33]
	v_cmp_gt_f64_e64 s0, 0, v[68:69]
	v_add_f64 v[68:69], v[66:67], -v[70:71]
	s_delay_alu instid0(VALU_DEP_3) | instskip(NEXT) | instid1(VALU_DEP_3)
	v_add_f64 v[32:33], v[54:55], -v[32:33]
	v_cndmask_b32_e64 v81, 0, 0x40100000, s0
	s_delay_alu instid0(VALU_DEP_3) | instskip(SKIP_1) | instid1(VALU_DEP_3)
	v_add_f64 v[85:86], v[66:67], -v[68:69]
	v_add_f64 v[36:37], v[36:37], -v[68:69]
	v_add_f64 v[48:49], v[48:49], v[80:81]
	v_add_f64 v[81:82], v[54:55], -v[66:67]
	s_delay_alu instid0(VALU_DEP_4) | instskip(NEXT) | instid1(VALU_DEP_3)
	v_add_f64 v[68:69], v[70:71], -v[85:86]
	v_add_f64 v[83:84], v[64:65], v[48:49]
	s_delay_alu instid0(VALU_DEP_3) | instskip(SKIP_1) | instid1(VALU_DEP_4)
	v_add_f64 v[96:97], v[54:55], -v[81:82]
	v_add_f64 v[38:39], v[38:39], -v[81:82]
	v_add_f64 v[36:37], v[36:37], v[68:69]
	s_delay_alu instid0(VALU_DEP_4) | instskip(NEXT) | instid1(VALU_DEP_4)
	v_cvt_i32_f64_e32 v83, v[83:84]
	v_add_f64 v[66:67], v[66:67], -v[96:97]
	s_delay_alu instid0(VALU_DEP_2) | instskip(NEXT) | instid1(VALU_DEP_2)
	v_cvt_f64_i32_e32 v[81:82], v83
	v_add_f64 v[38:39], v[38:39], v[66:67]
	s_delay_alu instid0(VALU_DEP_2) | instskip(NEXT) | instid1(VALU_DEP_2)
	v_add_f64 v[48:49], v[48:49], -v[81:82]
	v_add_f64 v[34:35], v[36:37], v[38:39]
	s_delay_alu instid0(VALU_DEP_2) | instskip(NEXT) | instid1(VALU_DEP_2)
	v_add_f64 v[36:37], v[64:65], v[48:49]
	v_add_f64 v[30:31], v[30:31], v[34:35]
	s_delay_alu instid0(VALU_DEP_2) | instskip(SKIP_1) | instid1(VALU_DEP_3)
	v_add_f64 v[34:35], v[36:37], -v[48:49]
	v_cmp_le_f64_e64 s0, 0.5, v[36:37]
	v_add_f64 v[30:31], v[32:33], v[30:31]
	s_delay_alu instid0(VALU_DEP_3) | instskip(NEXT) | instid1(VALU_DEP_3)
	v_add_f64 v[32:33], v[64:65], -v[34:35]
	v_cndmask_b32_e64 v81, 0, 0x3ff00000, s0
	v_add_co_ci_u32_e64 v54, s1, 0, v83, s0
	s_mov_b32 s0, 0x54442d18
	s_mov_b32 s1, 0x3ff921fb
	s_delay_alu instid0(VALU_DEP_3) | instskip(SKIP_1) | instid1(VALU_DEP_1)
	v_add_f64 v[30:31], v[30:31], v[32:33]
	v_add_f64 v[32:33], v[36:37], -v[80:81]
	v_add_f64 v[34:35], v[32:33], v[30:31]
	s_delay_alu instid0(VALU_DEP_1) | instskip(SKIP_1) | instid1(VALU_DEP_2)
	v_mul_f64 v[36:37], v[34:35], s[0:1]
	v_add_f64 v[32:33], v[34:35], -v[32:33]
	v_fma_f64 v[38:39], v[34:35], s[0:1], -v[36:37]
	s_delay_alu instid0(VALU_DEP_2) | instskip(NEXT) | instid1(VALU_DEP_2)
	v_add_f64 v[30:31], v[30:31], -v[32:33]
	v_fma_f64 v[32:33], v[34:35], s[4:5], v[38:39]
	s_delay_alu instid0(VALU_DEP_1) | instskip(NEXT) | instid1(VALU_DEP_1)
	v_fma_f64 v[32:33], v[30:31], s[0:1], v[32:33]
	v_add_f64 v[30:31], v[36:37], v[32:33]
	s_delay_alu instid0(VALU_DEP_1) | instskip(NEXT) | instid1(VALU_DEP_1)
	v_add_f64 v[34:35], v[30:31], -v[36:37]
	v_add_f64 v[32:33], v[32:33], -v[34:35]
	s_and_not1_saveexec_b32 s0, s2
	s_cbranch_execnz .LBB122_20
	s_branch .LBB122_21
.LBB122_19:
	s_and_not1_saveexec_b32 s0, s2
	s_cbranch_execz .LBB122_21
.LBB122_20:
	s_mov_b32 s2, 0x6dc9c883
	s_mov_b32 s3, 0x3fe45f30
	;; [unrolled: 1-line block ×3, first 2 shown]
	v_mul_f64 v[30:31], |v[23:24]|, s[2:3]
	s_mov_b32 s2, 0x54442d18
	s_mov_b32 s3, 0xbff921fb
	;; [unrolled: 1-line block ×3, first 2 shown]
	s_delay_alu instid0(VALU_DEP_1) | instskip(NEXT) | instid1(VALU_DEP_1)
	v_rndne_f64_e32 v[34:35], v[30:31]
	v_fma_f64 v[30:31], v[34:35], s[2:3], |v[23:24]|
	v_mul_f64 v[32:33], v[34:35], s[4:5]
	s_mov_b32 s2, 0x252049c0
	s_mov_b32 s3, 0xb97b839a
	v_cvt_i32_f64_e32 v54, v[34:35]
	s_delay_alu instid0(VALU_DEP_3) | instskip(NEXT) | instid1(VALU_DEP_3)
	v_fma_f64 v[38:39], v[34:35], s[4:5], v[30:31]
	v_add_f64 v[36:37], v[30:31], v[32:33]
	s_mov_b32 s5, 0x3c91a626
	s_delay_alu instid0(VALU_DEP_1) | instskip(NEXT) | instid1(VALU_DEP_3)
	v_add_f64 v[30:31], v[30:31], -v[36:37]
	v_add_f64 v[36:37], v[36:37], -v[38:39]
	s_delay_alu instid0(VALU_DEP_2) | instskip(SKIP_1) | instid1(VALU_DEP_2)
	v_add_f64 v[30:31], v[30:31], v[32:33]
	v_fma_f64 v[32:33], v[34:35], s[4:5], v[32:33]
	v_add_f64 v[30:31], v[36:37], v[30:31]
	s_delay_alu instid0(VALU_DEP_1) | instskip(NEXT) | instid1(VALU_DEP_1)
	v_add_f64 v[30:31], v[30:31], -v[32:33]
	v_fma_f64 v[32:33], v[34:35], s[2:3], v[30:31]
	s_delay_alu instid0(VALU_DEP_1) | instskip(NEXT) | instid1(VALU_DEP_1)
	v_add_f64 v[30:31], v[38:39], v[32:33]
	v_add_f64 v[36:37], v[30:31], -v[38:39]
	s_delay_alu instid0(VALU_DEP_1)
	v_add_f64 v[32:33], v[32:33], -v[36:37]
.LBB122_21:
	s_or_b32 exec_lo, exec_lo, s0
	s_mov_b32 s0, 0x652b82fe
	s_mov_b32 s1, 0x3ff71547
	;; [unrolled: 1-line block ×3, first 2 shown]
	v_mul_f64 v[34:35], v[21:22], s[0:1]
	s_mov_b32 s4, 0xfefa39ef
	s_mov_b32 s0, 0x3b39803f
	;; [unrolled: 1-line block ×5, first 2 shown]
	v_mul_f64 v[64:65], v[9:10], v[9:10]
	s_mov_b32 s6, 0xf9a43bb8
	s_mov_b32 s7, 0x3de5e0b2
	v_mul_f64 v[68:69], v[26:27], v[26:27]
	s_mov_b32 s11, 0x3f56c16c
	s_mov_b32 s10, 0x1852b7b0
	;; [unrolled: 1-line block ×6, first 2 shown]
	v_mul_f64 v[82:83], v[30:31], v[30:31]
	s_mov_b32 s17, 0x3f811111
	s_mov_b32 s16, 0x11122322
	s_mov_b32 s18, 0xa17f65f6
	s_mov_b32 s20, 0x19e83e5c
	s_mov_b32 s19, 0xbe927e4f
	s_mov_b32 s21, 0xbf2a01a0
	s_mov_b32 s23, 0x3fa55555
	s_mov_b32 s22, 0x555502a1
	v_mul_f64 v[102:103], v[11:12], 0.5
	v_rndne_f64_e32 v[34:35], v[34:35]
	v_mul_f64 v[70:71], v[64:65], 0.5
	v_mul_f64 v[112:113], v[9:10], -v[64:65]
	v_mul_f64 v[134:135], v[64:65], v[64:65]
	v_mul_f64 v[98:99], v[68:69], 0.5
	v_mul_f64 v[130:131], v[26:27], -v[68:69]
	v_mul_f64 v[116:117], v[82:83], 0.5
	v_fma_f64 v[36:37], v[34:35], s[4:5], v[21:22]
	v_cvt_i32_f64_e32 v55, v[34:35]
	s_mov_b32 s5, 0x40862e42
	v_add_f64 v[86:87], -v[70:71], 1.0
	v_add_f64 v[128:129], -v[98:99], 1.0
	s_delay_alu instid0(VALU_DEP_4) | instskip(SKIP_2) | instid1(VALU_DEP_3)
	v_fma_f64 v[36:37], v[34:35], s[0:1], v[36:37]
	s_mov_b32 s0, 0x2a1b768b
	s_mov_b32 s1, 0x3e5af4eb
	v_add_f64 v[114:115], -v[86:87], 1.0
	s_delay_alu instid0(VALU_DEP_3) | instskip(NEXT) | instid1(VALU_DEP_3)
	v_add_f64 v[132:133], -v[128:129], 1.0
	v_fma_f64 v[38:39], v[36:37], s[2:3], s[0:1]
	s_mov_b32 s0, 0xfca7ab0c
	s_mov_b32 s2, 0x6a5dcb37
	;; [unrolled: 1-line block ×4, first 2 shown]
	s_delay_alu instid0(SALU_CYCLE_1) | instskip(SKIP_4) | instid1(VALU_DEP_4)
	v_fma_f64 v[48:49], v[36:37], s[2:3], s[0:1]
	s_mov_b32 s0, 0xe0ac05b
	s_mov_b32 s1, 0x3e927e50
	;; [unrolled: 1-line block ×4, first 2 shown]
	v_add_f64 v[70:71], v[114:115], -v[70:71]
	s_delay_alu instid0(VALU_DEP_3)
	v_fma_f64 v[38:39], v[36:37], v[38:39], s[0:1]
	s_mov_b32 s0, 0x623fde64
	s_mov_b32 s1, 0x3ec71dee
	s_delay_alu instid0(VALU_DEP_3) | instid1(SALU_CYCLE_1)
	v_fma_f64 v[48:49], v[36:37], v[48:49], s[0:1]
	s_mov_b32 s0, 0x1b889c29
	s_mov_b32 s1, 0x3ec71de0
	s_delay_alu instid0(VALU_DEP_3) | instskip(NEXT) | instid1(VALU_DEP_3)
	v_fma_f64 v[70:71], v[9:10], -v[11:12], v[70:71]
	v_fma_f64 v[38:39], v[36:37], v[38:39], s[0:1]
	s_mov_b32 s1, 0x3efa01a0
	s_mov_b32 s0, 0x197bcfd8
	s_delay_alu instid0(VALU_DEP_3) | instskip(SKIP_2) | instid1(VALU_DEP_2)
	v_fma_f64 v[48:49], v[36:37], v[48:49], s[2:3]
	s_mov_b32 s3, 0x3f2a01a0
	s_mov_b32 s2, 0x14761f6e
	v_fma_f64 v[38:39], v[36:37], v[38:39], s[0:1]
	s_mov_b32 s0, 0x19f4ec90
	s_delay_alu instid0(VALU_DEP_2)
	v_fma_f64 v[48:49], v[36:37], v[48:49], s[2:3]
	s_mov_b32 s2, 0x1ac1a723
	s_delay_alu instid0(VALU_DEP_2) | instid1(SALU_CYCLE_1)
	v_fma_f64 v[38:39], v[36:37], v[38:39], s[2:3]
	s_mov_b32 s2, 0xb42fdfa7
	s_mov_b32 s3, 0xbe5ae600
	s_delay_alu instid0(SALU_CYCLE_1) | instskip(SKIP_1) | instid1(VALU_DEP_4)
	v_fma_f64 v[66:67], v[64:65], s[6:7], s[2:3]
	v_fma_f64 v[84:85], v[68:69], s[6:7], s[2:3]
	;; [unrolled: 1-line block ×3, first 2 shown]
	s_mov_b32 s10, 0x16c18931
	v_fma_f64 v[96:97], v[82:83], s[6:7], s[2:3]
	s_mov_b32 s3, 0x3fc55555
	s_mov_b32 s2, 0x55555511
	;; [unrolled: 1-line block ×4, first 2 shown]
	v_fma_f64 v[38:39], v[36:37], v[38:39], s[10:11]
	s_mov_b32 s10, 0x9037ab78
	s_mov_b32 s11, 0x3e21eeb6
	s_delay_alu instid0(SALU_CYCLE_1)
	v_fma_f64 v[80:81], v[64:65], s[12:13], s[10:11]
	v_fma_f64 v[66:67], v[64:65], v[66:67], s[14:15]
	;; [unrolled: 1-line block ×3, first 2 shown]
	s_mov_b32 s16, 0x11110056
	v_fma_f64 v[84:85], v[68:69], v[84:85], s[14:15]
	v_fma_f64 v[100:101], v[68:69], s[12:13], s[10:11]
	;; [unrolled: 1-line block ×4, first 2 shown]
	s_mov_b32 s11, 0xbfc55555
	v_fma_f64 v[38:39], v[36:37], v[38:39], s[16:17]
	s_mov_b32 s16, 0x11110bb3
	v_fma_f64 v[80:81], v[64:65], v[80:81], s[18:19]
	v_fma_f64 v[66:67], v[64:65], v[66:67], s[20:21]
	;; [unrolled: 1-line block ×3, first 2 shown]
	s_mov_b32 s22, 0x55555552
	v_fma_f64 v[84:85], v[68:69], v[84:85], s[20:21]
	v_fma_f64 v[100:101], v[68:69], v[100:101], s[18:19]
	;; [unrolled: 1-line block ×4, first 2 shown]
	v_mul_f64 v[118:119], v[28:29], 0.5
	v_fma_f64 v[38:39], v[36:37], v[38:39], s[22:23]
	s_mov_b32 s22, 0x55555555
	s_delay_alu instid0(SALU_CYCLE_1)
	s_mov_b32 s10, s22
	v_fma_f64 v[80:81], v[64:65], v[80:81], s[0:1]
	v_fma_f64 v[66:67], v[64:65], v[66:67], s[16:17]
	;; [unrolled: 1-line block ×3, first 2 shown]
	s_mov_b32 s2, 0x55555557
	v_fma_f64 v[84:85], v[68:69], v[84:85], s[16:17]
	v_fma_f64 v[100:101], v[68:69], v[100:101], s[0:1]
	;; [unrolled: 1-line block ×3, first 2 shown]
	v_cmp_eq_f64_e64 s0, 0x40900000, v[34:35]
	v_fma_f64 v[96:97], v[82:83], v[96:97], s[16:17]
	v_add_f64 v[34:35], v[132:133], -v[98:99]
	v_fma_f64 v[38:39], v[36:37], v[38:39], s[2:3]
	s_mov_b32 s2, 0x16c16967
	s_mov_b32 s3, 0xbf56c16c
	s_delay_alu instid0(SALU_CYCLE_1)
	v_fma_f64 v[80:81], v[64:65], v[80:81], s[2:3]
	v_fma_f64 v[66:67], v[112:113], v[66:67], v[102:103]
	v_add_f64 v[102:103], -v[116:117], 1.0
	v_fma_f64 v[48:49], v[36:37], v[48:49], s[6:7]
	v_fma_f64 v[84:85], v[130:131], v[84:85], v[118:119]
	;; [unrolled: 1-line block ×3, first 2 shown]
	v_cmp_ngt_f64_e64 s6, 0xc090cc00, v[21:22]
	v_cndmask_b32_e64 v146, v55, 0x3ff, s0
	v_fma_f64 v[34:35], v[26:27], -v[28:29], v[34:35]
	s_delay_alu instid0(VALU_DEP_2)
	v_ldexp_f64 v[100:101], 1.0, v146
	v_fma_f64 v[38:39], v[36:37], v[38:39], 0.5
	v_fma_f64 v[80:81], v[64:65], v[80:81], s[22:23]
	v_fma_f64 v[11:12], v[64:65], v[66:67], -v[11:12]
	v_mul_f64 v[64:65], v[32:33], 0.5
	v_mul_f64 v[66:67], v[30:31], -v[82:83]
	v_add_f64 v[144:145], -v[102:103], 1.0
	v_fma_f64 v[28:29], v[68:69], v[84:85], -v[28:29]
	v_fma_f64 v[98:99], v[68:69], v[98:99], s[22:23]
	v_fma_f64 v[48:49], v[36:37], v[48:49], 1.0
	v_mul_f64 v[38:39], v[36:37], v[38:39]
	v_fma_f64 v[70:71], v[134:135], v[80:81], v[70:71]
	v_fma_f64 v[11:12], v[112:113], s[10:11], v[11:12]
	;; [unrolled: 1-line block ×4, first 2 shown]
	v_add_f64 v[80:81], v[144:145], -v[116:117]
	v_mul_f64 v[96:97], v[68:69], v[68:69]
	v_add_f64 v[68:69], v[100:101], -1.0
	v_fma_f64 v[28:29], v[130:131], s[10:11], v[28:29]
	v_cmp_class_f64_e64 s2, v[2:3], 0x1f8
	v_lshlrev_b32_e32 v2, 30, v52
	v_cmp_nlt_f64_e64 s3, s[4:5], v[21:22]
	v_cmp_nlt_f64_e64 s5, 0x40900000, v[21:22]
	v_cmp_ngt_f64_e64 s4, 0xc0428000, v[21:22]
	v_fma_f64 v[38:39], v[36:37], v[38:39], v[36:37]
	v_fma_f64 v[36:37], v[36:37], v[48:49], 1.0
	v_add_f64 v[70:71], v[86:87], v[70:71]
	v_add_f64 v[9:10], v[9:10], -v[11:12]
	v_mul_f64 v[11:12], v[82:83], v[82:83]
	v_fma_f64 v[84:85], v[82:83], v[112:113], s[22:23]
	v_fma_f64 v[80:81], v[30:31], -v[32:33], v[80:81]
	v_fma_f64 v[32:33], v[82:83], v[64:65], -v[32:33]
	v_fma_f64 v[34:35], v[96:97], v[98:99], v[34:35]
	v_and_b32_e32 v64, 1, v52
	v_add_f64 v[26:27], v[26:27], -v[28:29]
	s_delay_alu instid0(VALU_DEP_2) | instskip(SKIP_1) | instid1(VALU_DEP_2)
	v_cmp_eq_u32_e64 s1, 0, v64
	v_fma_f64 v[38:39], v[100:101], v[38:39], v[68:69]
	v_cndmask_b32_e64 v48, v70, v9, s1
	v_xor_b32_e32 v9, v2, v3
	v_cndmask_b32_e64 v28, v71, v10, s1
	v_fma_f64 v[2:3], v[11:12], v[84:85], v[80:81]
	v_fma_f64 v[11:12], v[66:67], s[10:11], v[32:33]
	v_add_f64 v[32:33], v[128:129], v[34:35]
	v_and_b32_e32 v49, 0x80000000, v9
	v_cndmask_b32_e64 v34, 0, v48, s2
	v_and_b32_e32 v48, 1, v53
	v_xor_b32_e32 v27, 0x80000000, v27
	s_delay_alu instid0(VALU_DEP_4) | instskip(SKIP_1) | instid1(VALU_DEP_4)
	v_xor_b32_e32 v35, v28, v49
	v_ldexp_f64 v[28:29], v[36:37], v55
	v_cmp_eq_u32_e64 s1, 0, v48
	s_delay_alu instid0(VALU_DEP_3) | instskip(SKIP_1) | instid1(VALU_DEP_2)
	v_cndmask_b32_e64 v35, 0x7ff80000, v35, s2
	v_cmp_class_f64_e64 s2, v[23:24], 0x1f8
	v_add_f64 v[36:37], v[34:35], v[34:35]
	v_add_f64 v[9:10], v[38:39], v[38:39]
	;; [unrolled: 1-line block ×3, first 2 shown]
	v_add_f64 v[11:12], v[30:31], -v[11:12]
	v_and_b32_e32 v30, 1, v54
	v_lshlrev_b32_e32 v31, 30, v53
	v_cndmask_b32_e64 v27, v27, v33, s1
	v_cndmask_b32_e64 v26, v26, v32, s1
	s_delay_alu instid0(VALU_DEP_4) | instskip(SKIP_2) | instid1(VALU_DEP_1)
	v_cmp_eq_u32_e64 s7, 0, v30
	v_cndmask_b32_e64 v23, 0x7ff00000, v29, s5
	v_lshlrev_b32_e32 v29, 30, v54
	v_xor_b32_e32 v24, v29, v24
	v_and_b32_e32 v29, 0x80000000, v31
	v_mul_f64 v[21:22], v[36:37], v[34:35]
	s_delay_alu instid0(VALU_DEP_3) | instskip(SKIP_3) | instid1(VALU_DEP_2)
	v_and_b32_e32 v24, 0x80000000, v24
	v_cndmask_b32_e64 v10, v39, v10, s0
	v_cndmask_b32_e64 v9, v38, v9, s0
	s_and_b32 s0, s4, s3
	v_cndmask_b32_e64 v10, 0x7ff00000, v10, s3
	s_delay_alu instid0(VALU_DEP_2)
	v_cndmask_b32_e64 v9, 0, v9, s0
	s_and_b32 s0, s6, s5
	v_cndmask_b32_e64 v11, v2, v11, s7
	v_cndmask_b32_e64 v2, v3, v12, s7
	v_xor_b32_e32 v3, v27, v29
	v_cndmask_b32_e64 v10, 0xbff00000, v10, s4
	s_delay_alu instid0(VALU_DEP_4) | instskip(NEXT) | instid1(VALU_DEP_4)
	v_cndmask_b32_e64 v11, 0, v11, s2
	v_xor_b32_e32 v12, v2, v24
	v_cndmask_b32_e64 v2, 0, v26, s2
	v_cndmask_b32_e64 v3, 0x7ff80000, v3, s2
	;; [unrolled: 1-line block ×5, first 2 shown]
	s_delay_alu instid0(VALU_DEP_1)
	v_mul_f64 v[11:12], v[23:24], v[11:12]
	v_fma_f64 v[9:10], v[9:10], v[2:3], -v[21:22]
.LBB122_22:
	s_or_b32 exec_lo, exec_lo, s9
	s_waitcnt vmcnt(0) lgkmcnt(0)
	v_mov_b32_e32 v21, 0
	v_mov_b32_e32 v22, 0
	s_mov_b32 s9, exec_lo
	s_delay_alu instid0(VALU_DEP_1)
	v_dual_mov_b32 v24, v22 :: v_dual_mov_b32 v23, v21
	v_cmpx_lt_i32_e64 v51, v4
	s_cbranch_execz .LBB122_36
; %bb.23:
	v_mul_f64 v[2:3], v[19:20], 0.5
                                        ; implicit-def: $vgpr52
                                        ; implicit-def: $vgpr21_vgpr22
                                        ; implicit-def: $vgpr23_vgpr24
	s_mov_b32 s1, exec_lo
	s_delay_alu instid0(VALU_DEP_1)
	v_cmpx_ngt_f64_e64 0x41d00000, |v[2:3]|
	s_xor_b32 s2, exec_lo, s1
	s_cbranch_execz .LBB122_25
; %bb.24:
	v_ldexp_f64 v[21:22], |v[2:3]|, 0xffffff80
	v_cmp_le_f64_e64 s0, 0x7b000000, |v[2:3]|
	v_trig_preop_f64 v[23:24], |v[2:3]|, 0
	v_and_b32_e32 v26, 0x7fffffff, v3
	v_trig_preop_f64 v[36:37], |v[2:3]|, 2
	v_mov_b32_e32 v54, 0
	s_mov_b32 s4, 0x33145c07
	s_mov_b32 s5, 0x3c91a626
	v_cndmask_b32_e64 v22, v26, v22, s0
	v_cndmask_b32_e64 v21, v2, v21, s0
	v_trig_preop_f64 v[26:27], |v[2:3]|, 1
	s_delay_alu instid0(VALU_DEP_2) | instskip(SKIP_1) | instid1(VALU_DEP_3)
	v_mul_f64 v[28:29], v[23:24], v[21:22]
	v_mul_f64 v[52:53], v[36:37], v[21:22]
	;; [unrolled: 1-line block ×3, first 2 shown]
	s_delay_alu instid0(VALU_DEP_3) | instskip(NEXT) | instid1(VALU_DEP_2)
	v_fma_f64 v[23:24], v[23:24], v[21:22], -v[28:29]
	v_fma_f64 v[26:27], v[26:27], v[21:22], -v[30:31]
	s_delay_alu instid0(VALU_DEP_4) | instskip(NEXT) | instid1(VALU_DEP_3)
	v_fma_f64 v[21:22], v[36:37], v[21:22], -v[52:53]
	v_add_f64 v[32:33], v[30:31], v[23:24]
	s_delay_alu instid0(VALU_DEP_1) | instskip(SKIP_1) | instid1(VALU_DEP_2)
	v_add_f64 v[34:35], v[32:33], -v[30:31]
	v_add_f64 v[48:49], v[28:29], v[32:33]
	v_add_f64 v[38:39], v[32:33], -v[34:35]
	v_add_f64 v[23:24], v[23:24], -v[34:35]
	s_delay_alu instid0(VALU_DEP_3) | instskip(SKIP_1) | instid1(VALU_DEP_4)
	v_ldexp_f64 v[34:35], v[48:49], -2
	v_add_f64 v[28:29], v[48:49], -v[28:29]
	v_add_f64 v[30:31], v[30:31], -v[38:39]
	v_add_f64 v[38:39], v[52:53], v[26:27]
	s_delay_alu instid0(VALU_DEP_4) | instskip(NEXT) | instid1(VALU_DEP_4)
	v_cmp_neq_f64_e64 s0, 0x7ff00000, |v[34:35]|
	v_add_f64 v[28:29], v[32:33], -v[28:29]
	s_delay_alu instid0(VALU_DEP_4) | instskip(SKIP_1) | instid1(VALU_DEP_2)
	v_add_f64 v[23:24], v[23:24], v[30:31]
	v_fract_f64_e32 v[30:31], v[34:35]
	v_add_f64 v[32:33], v[38:39], v[23:24]
	s_delay_alu instid0(VALU_DEP_2) | instskip(NEXT) | instid1(VALU_DEP_3)
	v_cndmask_b32_e64 v31, 0, v31, s0
	v_cndmask_b32_e64 v30, 0, v30, s0
	s_delay_alu instid0(VALU_DEP_1) | instskip(NEXT) | instid1(VALU_DEP_4)
	v_ldexp_f64 v[30:31], v[30:31], 2
	v_add_f64 v[34:35], v[28:29], v[32:33]
	v_add_f64 v[64:65], v[32:33], -v[38:39]
	s_delay_alu instid0(VALU_DEP_2) | instskip(NEXT) | instid1(VALU_DEP_2)
	v_add_f64 v[48:49], v[34:35], v[30:31]
	v_add_f64 v[70:71], v[32:33], -v[64:65]
	v_add_f64 v[23:24], v[23:24], -v[64:65]
	;; [unrolled: 1-line block ×3, first 2 shown]
	s_delay_alu instid0(VALU_DEP_4) | instskip(SKIP_1) | instid1(VALU_DEP_3)
	v_cmp_gt_f64_e64 s0, 0, v[48:49]
	v_add_f64 v[48:49], v[38:39], -v[52:53]
	v_add_f64 v[28:29], v[32:33], -v[28:29]
	s_delay_alu instid0(VALU_DEP_3) | instskip(NEXT) | instid1(VALU_DEP_3)
	v_cndmask_b32_e64 v55, 0, 0x40100000, s0
	v_add_f64 v[68:69], v[38:39], -v[48:49]
	v_add_f64 v[26:27], v[26:27], -v[48:49]
	;; [unrolled: 1-line block ×3, first 2 shown]
	s_delay_alu instid0(VALU_DEP_4) | instskip(NEXT) | instid1(VALU_DEP_4)
	v_add_f64 v[30:31], v[30:31], v[54:55]
	v_add_f64 v[48:49], v[52:53], -v[68:69]
	s_delay_alu instid0(VALU_DEP_3) | instskip(NEXT) | instid1(VALU_DEP_3)
	v_add_f64 v[23:24], v[23:24], v[38:39]
	v_add_f64 v[66:67], v[34:35], v[30:31]
	s_delay_alu instid0(VALU_DEP_3) | instskip(NEXT) | instid1(VALU_DEP_2)
	v_add_f64 v[26:27], v[26:27], v[48:49]
	v_cvt_i32_f64_e32 v55, v[66:67]
	s_delay_alu instid0(VALU_DEP_2) | instskip(NEXT) | instid1(VALU_DEP_2)
	v_add_f64 v[23:24], v[26:27], v[23:24]
	v_cvt_f64_i32_e32 v[64:65], v55
	s_delay_alu instid0(VALU_DEP_2) | instskip(NEXT) | instid1(VALU_DEP_2)
	v_add_f64 v[21:22], v[21:22], v[23:24]
	v_add_f64 v[30:31], v[30:31], -v[64:65]
	s_delay_alu instid0(VALU_DEP_2) | instskip(NEXT) | instid1(VALU_DEP_2)
	v_add_f64 v[21:22], v[28:29], v[21:22]
	v_add_f64 v[26:27], v[34:35], v[30:31]
	s_delay_alu instid0(VALU_DEP_1) | instskip(SKIP_1) | instid1(VALU_DEP_2)
	v_add_f64 v[23:24], v[26:27], -v[30:31]
	v_cmp_le_f64_e64 s0, 0.5, v[26:27]
	v_add_f64 v[23:24], v[34:35], -v[23:24]
	s_delay_alu instid0(VALU_DEP_2) | instskip(SKIP_3) | instid1(VALU_DEP_3)
	v_add_co_ci_u32_e64 v52, s1, 0, v55, s0
	v_cndmask_b32_e64 v55, 0, 0x3ff00000, s0
	s_mov_b32 s0, 0x54442d18
	s_mov_b32 s1, 0x3ff921fb
	v_add_f64 v[21:22], v[21:22], v[23:24]
	s_delay_alu instid0(VALU_DEP_2) | instskip(NEXT) | instid1(VALU_DEP_1)
	v_add_f64 v[23:24], v[26:27], -v[54:55]
	v_add_f64 v[26:27], v[23:24], v[21:22]
	s_delay_alu instid0(VALU_DEP_1) | instskip(SKIP_1) | instid1(VALU_DEP_2)
	v_mul_f64 v[28:29], v[26:27], s[0:1]
	v_add_f64 v[23:24], v[26:27], -v[23:24]
	v_fma_f64 v[30:31], v[26:27], s[0:1], -v[28:29]
	s_delay_alu instid0(VALU_DEP_2) | instskip(NEXT) | instid1(VALU_DEP_2)
	v_add_f64 v[21:22], v[21:22], -v[23:24]
	v_fma_f64 v[23:24], v[26:27], s[4:5], v[30:31]
	s_delay_alu instid0(VALU_DEP_1) | instskip(NEXT) | instid1(VALU_DEP_1)
	v_fma_f64 v[23:24], v[21:22], s[0:1], v[23:24]
	v_add_f64 v[21:22], v[28:29], v[23:24]
	s_delay_alu instid0(VALU_DEP_1) | instskip(NEXT) | instid1(VALU_DEP_1)
	v_add_f64 v[26:27], v[21:22], -v[28:29]
	v_add_f64 v[23:24], v[23:24], -v[26:27]
.LBB122_25:
	s_and_not1_saveexec_b32 s0, s2
	s_cbranch_execz .LBB122_27
; %bb.26:
	s_mov_b32 s2, 0x6dc9c883
	s_mov_b32 s3, 0x3fe45f30
	;; [unrolled: 1-line block ×3, first 2 shown]
	v_mul_f64 v[21:22], |v[2:3]|, s[2:3]
	s_mov_b32 s2, 0x54442d18
	s_mov_b32 s3, 0xbff921fb
	;; [unrolled: 1-line block ×3, first 2 shown]
	s_delay_alu instid0(VALU_DEP_1) | instskip(NEXT) | instid1(VALU_DEP_1)
	v_rndne_f64_e32 v[26:27], v[21:22]
	v_fma_f64 v[21:22], v[26:27], s[2:3], |v[2:3]|
	v_mul_f64 v[23:24], v[26:27], s[4:5]
	s_mov_b32 s2, 0x252049c0
	s_mov_b32 s3, 0xb97b839a
	v_cvt_i32_f64_e32 v52, v[26:27]
	s_delay_alu instid0(VALU_DEP_3) | instskip(NEXT) | instid1(VALU_DEP_3)
	v_fma_f64 v[30:31], v[26:27], s[4:5], v[21:22]
	v_add_f64 v[28:29], v[21:22], v[23:24]
	s_mov_b32 s5, 0x3c91a626
	s_delay_alu instid0(VALU_DEP_1) | instskip(NEXT) | instid1(VALU_DEP_3)
	v_add_f64 v[21:22], v[21:22], -v[28:29]
	v_add_f64 v[28:29], v[28:29], -v[30:31]
	s_delay_alu instid0(VALU_DEP_2) | instskip(SKIP_1) | instid1(VALU_DEP_2)
	v_add_f64 v[21:22], v[21:22], v[23:24]
	v_fma_f64 v[23:24], v[26:27], s[4:5], v[23:24]
	v_add_f64 v[21:22], v[28:29], v[21:22]
	s_delay_alu instid0(VALU_DEP_1) | instskip(NEXT) | instid1(VALU_DEP_1)
	v_add_f64 v[21:22], v[21:22], -v[23:24]
	v_fma_f64 v[23:24], v[26:27], s[2:3], v[21:22]
	s_delay_alu instid0(VALU_DEP_1) | instskip(NEXT) | instid1(VALU_DEP_1)
	v_add_f64 v[21:22], v[30:31], v[23:24]
	v_add_f64 v[28:29], v[21:22], -v[30:31]
	s_delay_alu instid0(VALU_DEP_1)
	v_add_f64 v[23:24], v[23:24], -v[28:29]
.LBB122_27:
	s_or_b32 exec_lo, exec_lo, s0
	v_cmp_ngt_f64_e64 s2, 0x41d00000, |v[19:20]|
	v_trig_preop_f64 v[38:39], |v[19:20]|, 0
	v_trig_preop_f64 v[36:37], |v[19:20]|, 1
	v_ldexp_f64 v[48:49], |v[19:20]|, 0xffffff80
	v_trig_preop_f64 v[34:35], |v[19:20]|, 2
	v_and_b32_e32 v55, 0x7fffffff, v20
                                        ; implicit-def: $vgpr53
                                        ; implicit-def: $vgpr26_vgpr27
                                        ; implicit-def: $vgpr28_vgpr29
	s_and_saveexec_b32 s0, s2
	s_delay_alu instid0(SALU_CYCLE_1)
	s_xor_b32 s3, exec_lo, s0
	s_cbranch_execz .LBB122_29
; %bb.28:
	v_cmp_le_f64_e64 s0, 0x7b000000, |v[19:20]|
	v_mov_b32_e32 v82, 0
	s_mov_b32 s4, 0x33145c07
	s_mov_b32 s5, 0x3c91a626
	s_delay_alu instid0(VALU_DEP_2) | instskip(SKIP_1) | instid1(VALU_DEP_1)
	v_cndmask_b32_e64 v27, v55, v49, s0
	v_cndmask_b32_e64 v26, v19, v48, s0
	v_mul_f64 v[28:29], v[38:39], v[26:27]
	v_mul_f64 v[30:31], v[36:37], v[26:27]
	;; [unrolled: 1-line block ×3, first 2 shown]
	s_delay_alu instid0(VALU_DEP_3) | instskip(NEXT) | instid1(VALU_DEP_3)
	v_fma_f64 v[32:33], v[38:39], v[26:27], -v[28:29]
	v_fma_f64 v[80:81], v[36:37], v[26:27], -v[30:31]
	s_delay_alu instid0(VALU_DEP_3) | instskip(NEXT) | instid1(VALU_DEP_3)
	v_fma_f64 v[26:27], v[34:35], v[26:27], -v[70:71]
	v_add_f64 v[53:54], v[30:31], v[32:33]
	s_delay_alu instid0(VALU_DEP_1) | instskip(SKIP_1) | instid1(VALU_DEP_2)
	v_add_f64 v[64:65], v[53:54], -v[30:31]
	v_add_f64 v[68:69], v[28:29], v[53:54]
	v_add_f64 v[66:67], v[53:54], -v[64:65]
	v_add_f64 v[32:33], v[32:33], -v[64:65]
	s_delay_alu instid0(VALU_DEP_3) | instskip(SKIP_1) | instid1(VALU_DEP_4)
	v_ldexp_f64 v[64:65], v[68:69], -2
	v_add_f64 v[28:29], v[68:69], -v[28:29]
	v_add_f64 v[30:31], v[30:31], -v[66:67]
	v_add_f64 v[66:67], v[70:71], v[80:81]
	s_delay_alu instid0(VALU_DEP_4) | instskip(NEXT) | instid1(VALU_DEP_4)
	v_cmp_neq_f64_e64 s0, 0x7ff00000, |v[64:65]|
	v_add_f64 v[28:29], v[53:54], -v[28:29]
	s_delay_alu instid0(VALU_DEP_4) | instskip(SKIP_1) | instid1(VALU_DEP_2)
	v_add_f64 v[30:31], v[32:33], v[30:31]
	v_fract_f64_e32 v[32:33], v[64:65]
	v_add_f64 v[53:54], v[66:67], v[30:31]
	s_delay_alu instid0(VALU_DEP_2) | instskip(NEXT) | instid1(VALU_DEP_3)
	v_cndmask_b32_e64 v33, 0, v33, s0
	v_cndmask_b32_e64 v32, 0, v32, s0
	s_delay_alu instid0(VALU_DEP_1) | instskip(NEXT) | instid1(VALU_DEP_4)
	v_ldexp_f64 v[32:33], v[32:33], 2
	v_add_f64 v[64:65], v[28:29], v[53:54]
	s_delay_alu instid0(VALU_DEP_1) | instskip(SKIP_1) | instid1(VALU_DEP_2)
	v_add_f64 v[68:69], v[64:65], v[32:33]
	v_add_f64 v[28:29], v[64:65], -v[28:29]
	v_cmp_gt_f64_e64 s0, 0, v[68:69]
	v_add_f64 v[68:69], v[66:67], -v[70:71]
	s_delay_alu instid0(VALU_DEP_3) | instskip(NEXT) | instid1(VALU_DEP_3)
	v_add_f64 v[28:29], v[53:54], -v[28:29]
	v_cndmask_b32_e64 v83, 0, 0x40100000, s0
	s_delay_alu instid0(VALU_DEP_3) | instskip(SKIP_1) | instid1(VALU_DEP_3)
	v_add_f64 v[96:97], v[66:67], -v[68:69]
	v_add_f64 v[68:69], v[80:81], -v[68:69]
	v_add_f64 v[32:33], v[32:33], v[82:83]
	v_add_f64 v[83:84], v[53:54], -v[66:67]
	s_delay_alu instid0(VALU_DEP_4) | instskip(NEXT) | instid1(VALU_DEP_3)
	v_add_f64 v[80:81], v[70:71], -v[96:97]
	v_add_f64 v[85:86], v[64:65], v[32:33]
	s_delay_alu instid0(VALU_DEP_3) | instskip(SKIP_1) | instid1(VALU_DEP_4)
	v_add_f64 v[98:99], v[53:54], -v[83:84]
	v_add_f64 v[30:31], v[30:31], -v[83:84]
	v_add_f64 v[68:69], v[68:69], v[80:81]
	s_delay_alu instid0(VALU_DEP_4) | instskip(NEXT) | instid1(VALU_DEP_4)
	v_cvt_i32_f64_e32 v85, v[85:86]
	v_add_f64 v[66:67], v[66:67], -v[98:99]
	s_delay_alu instid0(VALU_DEP_2) | instskip(NEXT) | instid1(VALU_DEP_2)
	v_cvt_f64_i32_e32 v[83:84], v85
	v_add_f64 v[30:31], v[30:31], v[66:67]
	s_delay_alu instid0(VALU_DEP_2) | instskip(NEXT) | instid1(VALU_DEP_2)
	v_add_f64 v[32:33], v[32:33], -v[83:84]
	v_add_f64 v[30:31], v[68:69], v[30:31]
	s_delay_alu instid0(VALU_DEP_2) | instskip(NEXT) | instid1(VALU_DEP_2)
	v_add_f64 v[66:67], v[64:65], v[32:33]
	v_add_f64 v[26:27], v[26:27], v[30:31]
	s_delay_alu instid0(VALU_DEP_2) | instskip(SKIP_1) | instid1(VALU_DEP_3)
	v_add_f64 v[30:31], v[66:67], -v[32:33]
	v_cmp_le_f64_e64 s0, 0.5, v[66:67]
	v_add_f64 v[26:27], v[28:29], v[26:27]
	s_delay_alu instid0(VALU_DEP_3) | instskip(NEXT) | instid1(VALU_DEP_3)
	v_add_f64 v[28:29], v[64:65], -v[30:31]
	v_cndmask_b32_e64 v83, 0, 0x3ff00000, s0
	v_add_co_ci_u32_e64 v53, s1, 0, v85, s0
	s_mov_b32 s0, 0x54442d18
	s_mov_b32 s1, 0x3ff921fb
	s_delay_alu instid0(VALU_DEP_3) | instskip(SKIP_1) | instid1(VALU_DEP_1)
	v_add_f64 v[26:27], v[26:27], v[28:29]
	v_add_f64 v[28:29], v[66:67], -v[82:83]
	v_add_f64 v[30:31], v[28:29], v[26:27]
	s_delay_alu instid0(VALU_DEP_1) | instskip(SKIP_1) | instid1(VALU_DEP_2)
	v_mul_f64 v[32:33], v[30:31], s[0:1]
	v_add_f64 v[28:29], v[30:31], -v[28:29]
	v_fma_f64 v[64:65], v[30:31], s[0:1], -v[32:33]
	s_delay_alu instid0(VALU_DEP_2) | instskip(NEXT) | instid1(VALU_DEP_2)
	v_add_f64 v[26:27], v[26:27], -v[28:29]
	v_fma_f64 v[28:29], v[30:31], s[4:5], v[64:65]
	s_delay_alu instid0(VALU_DEP_1) | instskip(NEXT) | instid1(VALU_DEP_1)
	v_fma_f64 v[28:29], v[26:27], s[0:1], v[28:29]
	v_add_f64 v[26:27], v[32:33], v[28:29]
	s_delay_alu instid0(VALU_DEP_1) | instskip(NEXT) | instid1(VALU_DEP_1)
	v_add_f64 v[30:31], v[26:27], -v[32:33]
	v_add_f64 v[28:29], v[28:29], -v[30:31]
	s_and_not1_saveexec_b32 s0, s3
	s_cbranch_execz .LBB122_31
	s_branch .LBB122_30
.LBB122_29:
	s_and_not1_saveexec_b32 s0, s3
	s_cbranch_execz .LBB122_31
.LBB122_30:
	s_mov_b32 s4, 0x6dc9c883
	s_mov_b32 s5, 0x3fe45f30
	;; [unrolled: 1-line block ×3, first 2 shown]
	v_mul_f64 v[26:27], |v[19:20]|, s[4:5]
	s_mov_b32 s4, 0x54442d18
	s_mov_b32 s5, 0xbff921fb
	;; [unrolled: 1-line block ×3, first 2 shown]
	s_delay_alu instid0(VALU_DEP_1) | instskip(NEXT) | instid1(VALU_DEP_1)
	v_rndne_f64_e32 v[30:31], v[26:27]
	v_fma_f64 v[26:27], v[30:31], s[4:5], |v[19:20]|
	v_mul_f64 v[28:29], v[30:31], s[6:7]
	s_mov_b32 s4, 0x252049c0
	s_mov_b32 s5, 0xb97b839a
	s_delay_alu instid0(VALU_DEP_2) | instskip(NEXT) | instid1(VALU_DEP_2)
	v_fma_f64 v[53:54], v[30:31], s[6:7], v[26:27]
	v_add_f64 v[32:33], v[26:27], v[28:29]
	s_mov_b32 s7, 0x3c91a626
	s_delay_alu instid0(VALU_DEP_1) | instskip(NEXT) | instid1(VALU_DEP_3)
	v_add_f64 v[26:27], v[26:27], -v[32:33]
	v_add_f64 v[32:33], v[32:33], -v[53:54]
	s_delay_alu instid0(VALU_DEP_2) | instskip(SKIP_1) | instid1(VALU_DEP_2)
	v_add_f64 v[26:27], v[26:27], v[28:29]
	v_fma_f64 v[28:29], v[30:31], s[6:7], v[28:29]
	v_add_f64 v[26:27], v[32:33], v[26:27]
	s_delay_alu instid0(VALU_DEP_1) | instskip(NEXT) | instid1(VALU_DEP_1)
	v_add_f64 v[26:27], v[26:27], -v[28:29]
	v_fma_f64 v[28:29], v[30:31], s[4:5], v[26:27]
	s_delay_alu instid0(VALU_DEP_1) | instskip(NEXT) | instid1(VALU_DEP_1)
	v_add_f64 v[26:27], v[53:54], v[28:29]
	v_add_f64 v[32:33], v[26:27], -v[53:54]
	v_cvt_i32_f64_e32 v53, v[30:31]
	s_delay_alu instid0(VALU_DEP_2)
	v_add_f64 v[28:29], v[28:29], -v[32:33]
.LBB122_31:
	s_or_b32 exec_lo, exec_lo, s0
                                        ; implicit-def: $vgpr54
                                        ; implicit-def: $vgpr30_vgpr31
                                        ; implicit-def: $vgpr32_vgpr33
	s_and_saveexec_b32 s0, s2
	s_delay_alu instid0(SALU_CYCLE_1)
	s_xor_b32 s2, exec_lo, s0
	s_cbranch_execz .LBB122_33
; %bb.32:
	v_cmp_le_f64_e64 s0, 0x7b000000, |v[19:20]|
	v_mov_b32_e32 v80, 0
	s_mov_b32 s4, 0x33145c07
	s_mov_b32 s5, 0x3c91a626
	s_delay_alu instid0(VALU_DEP_2) | instskip(SKIP_1) | instid1(VALU_DEP_1)
	v_cndmask_b32_e64 v31, v55, v49, s0
	v_cndmask_b32_e64 v30, v19, v48, s0
	v_mul_f64 v[32:33], v[38:39], v[30:31]
	v_mul_f64 v[48:49], v[36:37], v[30:31]
	;; [unrolled: 1-line block ×3, first 2 shown]
	s_delay_alu instid0(VALU_DEP_3) | instskip(NEXT) | instid1(VALU_DEP_3)
	v_fma_f64 v[38:39], v[38:39], v[30:31], -v[32:33]
	v_fma_f64 v[36:37], v[36:37], v[30:31], -v[48:49]
	s_delay_alu instid0(VALU_DEP_3) | instskip(NEXT) | instid1(VALU_DEP_3)
	v_fma_f64 v[30:31], v[34:35], v[30:31], -v[70:71]
	v_add_f64 v[54:55], v[48:49], v[38:39]
	s_delay_alu instid0(VALU_DEP_1) | instskip(SKIP_1) | instid1(VALU_DEP_2)
	v_add_f64 v[64:65], v[54:55], -v[48:49]
	v_add_f64 v[68:69], v[32:33], v[54:55]
	v_add_f64 v[66:67], v[54:55], -v[64:65]
	v_add_f64 v[38:39], v[38:39], -v[64:65]
	s_delay_alu instid0(VALU_DEP_3) | instskip(SKIP_1) | instid1(VALU_DEP_4)
	v_ldexp_f64 v[64:65], v[68:69], -2
	v_add_f64 v[32:33], v[68:69], -v[32:33]
	v_add_f64 v[48:49], v[48:49], -v[66:67]
	v_add_f64 v[66:67], v[70:71], v[36:37]
	s_delay_alu instid0(VALU_DEP_4) | instskip(NEXT) | instid1(VALU_DEP_4)
	v_cmp_neq_f64_e64 s0, 0x7ff00000, |v[64:65]|
	v_add_f64 v[32:33], v[54:55], -v[32:33]
	s_delay_alu instid0(VALU_DEP_4) | instskip(SKIP_1) | instid1(VALU_DEP_2)
	v_add_f64 v[38:39], v[38:39], v[48:49]
	v_fract_f64_e32 v[48:49], v[64:65]
	v_add_f64 v[54:55], v[66:67], v[38:39]
	s_delay_alu instid0(VALU_DEP_2) | instskip(NEXT) | instid1(VALU_DEP_3)
	v_cndmask_b32_e64 v49, 0, v49, s0
	v_cndmask_b32_e64 v48, 0, v48, s0
	s_delay_alu instid0(VALU_DEP_1) | instskip(NEXT) | instid1(VALU_DEP_4)
	v_ldexp_f64 v[48:49], v[48:49], 2
	v_add_f64 v[64:65], v[32:33], v[54:55]
	s_delay_alu instid0(VALU_DEP_1) | instskip(SKIP_1) | instid1(VALU_DEP_2)
	v_add_f64 v[68:69], v[64:65], v[48:49]
	v_add_f64 v[32:33], v[64:65], -v[32:33]
	v_cmp_gt_f64_e64 s0, 0, v[68:69]
	v_add_f64 v[68:69], v[66:67], -v[70:71]
	s_delay_alu instid0(VALU_DEP_3) | instskip(NEXT) | instid1(VALU_DEP_3)
	v_add_f64 v[32:33], v[54:55], -v[32:33]
	v_cndmask_b32_e64 v81, 0, 0x40100000, s0
	s_delay_alu instid0(VALU_DEP_3) | instskip(SKIP_1) | instid1(VALU_DEP_3)
	v_add_f64 v[85:86], v[66:67], -v[68:69]
	v_add_f64 v[36:37], v[36:37], -v[68:69]
	v_add_f64 v[48:49], v[48:49], v[80:81]
	v_add_f64 v[81:82], v[54:55], -v[66:67]
	s_delay_alu instid0(VALU_DEP_4) | instskip(NEXT) | instid1(VALU_DEP_3)
	v_add_f64 v[68:69], v[70:71], -v[85:86]
	v_add_f64 v[83:84], v[64:65], v[48:49]
	s_delay_alu instid0(VALU_DEP_3) | instskip(SKIP_1) | instid1(VALU_DEP_4)
	v_add_f64 v[96:97], v[54:55], -v[81:82]
	v_add_f64 v[38:39], v[38:39], -v[81:82]
	v_add_f64 v[36:37], v[36:37], v[68:69]
	s_delay_alu instid0(VALU_DEP_4) | instskip(NEXT) | instid1(VALU_DEP_4)
	v_cvt_i32_f64_e32 v83, v[83:84]
	v_add_f64 v[66:67], v[66:67], -v[96:97]
	s_delay_alu instid0(VALU_DEP_2) | instskip(NEXT) | instid1(VALU_DEP_2)
	v_cvt_f64_i32_e32 v[81:82], v83
	v_add_f64 v[38:39], v[38:39], v[66:67]
	s_delay_alu instid0(VALU_DEP_2) | instskip(NEXT) | instid1(VALU_DEP_2)
	v_add_f64 v[48:49], v[48:49], -v[81:82]
	v_add_f64 v[34:35], v[36:37], v[38:39]
	s_delay_alu instid0(VALU_DEP_2) | instskip(NEXT) | instid1(VALU_DEP_2)
	v_add_f64 v[36:37], v[64:65], v[48:49]
	v_add_f64 v[30:31], v[30:31], v[34:35]
	s_delay_alu instid0(VALU_DEP_2) | instskip(SKIP_1) | instid1(VALU_DEP_3)
	v_add_f64 v[34:35], v[36:37], -v[48:49]
	v_cmp_le_f64_e64 s0, 0.5, v[36:37]
	v_add_f64 v[30:31], v[32:33], v[30:31]
	s_delay_alu instid0(VALU_DEP_3) | instskip(NEXT) | instid1(VALU_DEP_3)
	v_add_f64 v[32:33], v[64:65], -v[34:35]
	v_cndmask_b32_e64 v81, 0, 0x3ff00000, s0
	v_add_co_ci_u32_e64 v54, s1, 0, v83, s0
	s_mov_b32 s0, 0x54442d18
	s_mov_b32 s1, 0x3ff921fb
	s_delay_alu instid0(VALU_DEP_3) | instskip(SKIP_1) | instid1(VALU_DEP_1)
	v_add_f64 v[30:31], v[30:31], v[32:33]
	v_add_f64 v[32:33], v[36:37], -v[80:81]
	v_add_f64 v[34:35], v[32:33], v[30:31]
	s_delay_alu instid0(VALU_DEP_1) | instskip(SKIP_1) | instid1(VALU_DEP_2)
	v_mul_f64 v[36:37], v[34:35], s[0:1]
	v_add_f64 v[32:33], v[34:35], -v[32:33]
	v_fma_f64 v[38:39], v[34:35], s[0:1], -v[36:37]
	s_delay_alu instid0(VALU_DEP_2) | instskip(NEXT) | instid1(VALU_DEP_2)
	v_add_f64 v[30:31], v[30:31], -v[32:33]
	v_fma_f64 v[32:33], v[34:35], s[4:5], v[38:39]
	s_delay_alu instid0(VALU_DEP_1) | instskip(NEXT) | instid1(VALU_DEP_1)
	v_fma_f64 v[32:33], v[30:31], s[0:1], v[32:33]
	v_add_f64 v[30:31], v[36:37], v[32:33]
	s_delay_alu instid0(VALU_DEP_1) | instskip(NEXT) | instid1(VALU_DEP_1)
	v_add_f64 v[34:35], v[30:31], -v[36:37]
	v_add_f64 v[32:33], v[32:33], -v[34:35]
	s_and_not1_saveexec_b32 s0, s2
	s_cbranch_execnz .LBB122_34
	s_branch .LBB122_35
.LBB122_33:
	s_and_not1_saveexec_b32 s0, s2
	s_cbranch_execz .LBB122_35
.LBB122_34:
	s_mov_b32 s2, 0x6dc9c883
	s_mov_b32 s3, 0x3fe45f30
	;; [unrolled: 1-line block ×3, first 2 shown]
	v_mul_f64 v[30:31], |v[19:20]|, s[2:3]
	s_mov_b32 s2, 0x54442d18
	s_mov_b32 s3, 0xbff921fb
	s_mov_b32 s4, 0x33145c00
	s_delay_alu instid0(VALU_DEP_1) | instskip(NEXT) | instid1(VALU_DEP_1)
	v_rndne_f64_e32 v[34:35], v[30:31]
	v_fma_f64 v[30:31], v[34:35], s[2:3], |v[19:20]|
	v_mul_f64 v[32:33], v[34:35], s[4:5]
	s_mov_b32 s2, 0x252049c0
	s_mov_b32 s3, 0xb97b839a
	v_cvt_i32_f64_e32 v54, v[34:35]
	s_delay_alu instid0(VALU_DEP_3) | instskip(NEXT) | instid1(VALU_DEP_3)
	v_fma_f64 v[38:39], v[34:35], s[4:5], v[30:31]
	v_add_f64 v[36:37], v[30:31], v[32:33]
	s_mov_b32 s5, 0x3c91a626
	s_delay_alu instid0(VALU_DEP_1) | instskip(NEXT) | instid1(VALU_DEP_3)
	v_add_f64 v[30:31], v[30:31], -v[36:37]
	v_add_f64 v[36:37], v[36:37], -v[38:39]
	s_delay_alu instid0(VALU_DEP_2) | instskip(SKIP_1) | instid1(VALU_DEP_2)
	v_add_f64 v[30:31], v[30:31], v[32:33]
	v_fma_f64 v[32:33], v[34:35], s[4:5], v[32:33]
	v_add_f64 v[30:31], v[36:37], v[30:31]
	s_delay_alu instid0(VALU_DEP_1) | instskip(NEXT) | instid1(VALU_DEP_1)
	v_add_f64 v[30:31], v[30:31], -v[32:33]
	v_fma_f64 v[32:33], v[34:35], s[2:3], v[30:31]
	s_delay_alu instid0(VALU_DEP_1) | instskip(NEXT) | instid1(VALU_DEP_1)
	v_add_f64 v[30:31], v[38:39], v[32:33]
	v_add_f64 v[36:37], v[30:31], -v[38:39]
	s_delay_alu instid0(VALU_DEP_1)
	v_add_f64 v[32:33], v[32:33], -v[36:37]
.LBB122_35:
	s_or_b32 exec_lo, exec_lo, s0
	s_mov_b32 s0, 0x652b82fe
	s_mov_b32 s1, 0x3ff71547
	;; [unrolled: 1-line block ×3, first 2 shown]
	v_mul_f64 v[34:35], v[17:18], s[0:1]
	s_mov_b32 s4, 0xfefa39ef
	s_mov_b32 s0, 0x3b39803f
	;; [unrolled: 1-line block ×5, first 2 shown]
	v_mul_f64 v[64:65], v[21:22], v[21:22]
	s_mov_b32 s6, 0xf9a43bb8
	s_mov_b32 s7, 0x3de5e0b2
	v_mul_f64 v[68:69], v[26:27], v[26:27]
	s_mov_b32 s11, 0x3f56c16c
	s_mov_b32 s10, 0x1852b7b0
	;; [unrolled: 1-line block ×6, first 2 shown]
	v_mul_f64 v[82:83], v[30:31], v[30:31]
	s_mov_b32 s17, 0x3f811111
	s_mov_b32 s16, 0x11122322
	s_mov_b32 s18, 0xa17f65f6
	s_mov_b32 s20, 0x19e83e5c
	s_mov_b32 s19, 0xbe927e4f
	s_mov_b32 s21, 0xbf2a01a0
	s_mov_b32 s23, 0x3fa55555
	s_mov_b32 s22, 0x555502a1
	v_mul_f64 v[102:103], v[23:24], 0.5
	v_rndne_f64_e32 v[34:35], v[34:35]
	v_mul_f64 v[70:71], v[64:65], 0.5
	v_mul_f64 v[112:113], v[21:22], -v[64:65]
	v_mul_f64 v[134:135], v[64:65], v[64:65]
	v_mul_f64 v[98:99], v[68:69], 0.5
	v_mul_f64 v[130:131], v[26:27], -v[68:69]
	v_mul_f64 v[116:117], v[82:83], 0.5
	v_fma_f64 v[36:37], v[34:35], s[4:5], v[17:18]
	v_cvt_i32_f64_e32 v55, v[34:35]
	s_mov_b32 s5, 0x40862e42
	v_add_f64 v[86:87], -v[70:71], 1.0
	v_add_f64 v[128:129], -v[98:99], 1.0
	s_delay_alu instid0(VALU_DEP_4) | instskip(SKIP_2) | instid1(VALU_DEP_3)
	v_fma_f64 v[36:37], v[34:35], s[0:1], v[36:37]
	s_mov_b32 s0, 0x2a1b768b
	s_mov_b32 s1, 0x3e5af4eb
	v_add_f64 v[114:115], -v[86:87], 1.0
	s_delay_alu instid0(VALU_DEP_3) | instskip(NEXT) | instid1(VALU_DEP_3)
	v_add_f64 v[132:133], -v[128:129], 1.0
	v_fma_f64 v[38:39], v[36:37], s[2:3], s[0:1]
	s_mov_b32 s0, 0xfca7ab0c
	s_mov_b32 s2, 0x6a5dcb37
	;; [unrolled: 1-line block ×4, first 2 shown]
	s_delay_alu instid0(SALU_CYCLE_1) | instskip(SKIP_4) | instid1(VALU_DEP_4)
	v_fma_f64 v[48:49], v[36:37], s[2:3], s[0:1]
	s_mov_b32 s0, 0xe0ac05b
	s_mov_b32 s1, 0x3e927e50
	;; [unrolled: 1-line block ×4, first 2 shown]
	v_add_f64 v[70:71], v[114:115], -v[70:71]
	s_delay_alu instid0(VALU_DEP_3)
	v_fma_f64 v[38:39], v[36:37], v[38:39], s[0:1]
	s_mov_b32 s0, 0x623fde64
	s_mov_b32 s1, 0x3ec71dee
	s_delay_alu instid0(VALU_DEP_3) | instid1(SALU_CYCLE_1)
	v_fma_f64 v[48:49], v[36:37], v[48:49], s[0:1]
	s_mov_b32 s0, 0x1b889c29
	s_mov_b32 s1, 0x3ec71de0
	s_delay_alu instid0(VALU_DEP_3) | instskip(NEXT) | instid1(VALU_DEP_3)
	v_fma_f64 v[70:71], v[21:22], -v[23:24], v[70:71]
	v_fma_f64 v[38:39], v[36:37], v[38:39], s[0:1]
	s_mov_b32 s1, 0x3efa01a0
	s_mov_b32 s0, 0x197bcfd8
	s_delay_alu instid0(VALU_DEP_3) | instskip(SKIP_2) | instid1(VALU_DEP_2)
	v_fma_f64 v[48:49], v[36:37], v[48:49], s[2:3]
	s_mov_b32 s3, 0x3f2a01a0
	s_mov_b32 s2, 0x14761f6e
	v_fma_f64 v[38:39], v[36:37], v[38:39], s[0:1]
	s_mov_b32 s0, 0x19f4ec90
	s_delay_alu instid0(VALU_DEP_2)
	v_fma_f64 v[48:49], v[36:37], v[48:49], s[2:3]
	s_mov_b32 s2, 0x1ac1a723
	s_delay_alu instid0(VALU_DEP_2) | instid1(SALU_CYCLE_1)
	v_fma_f64 v[38:39], v[36:37], v[38:39], s[2:3]
	s_mov_b32 s2, 0xb42fdfa7
	s_mov_b32 s3, 0xbe5ae600
	s_delay_alu instid0(SALU_CYCLE_1) | instskip(SKIP_1) | instid1(VALU_DEP_4)
	v_fma_f64 v[66:67], v[64:65], s[6:7], s[2:3]
	v_fma_f64 v[84:85], v[68:69], s[6:7], s[2:3]
	;; [unrolled: 1-line block ×3, first 2 shown]
	s_mov_b32 s10, 0x16c18931
	v_fma_f64 v[96:97], v[82:83], s[6:7], s[2:3]
	s_mov_b32 s3, 0x3fc55555
	s_mov_b32 s2, 0x55555511
	;; [unrolled: 1-line block ×4, first 2 shown]
	v_fma_f64 v[38:39], v[36:37], v[38:39], s[10:11]
	s_mov_b32 s10, 0x9037ab78
	s_mov_b32 s11, 0x3e21eeb6
	s_delay_alu instid0(SALU_CYCLE_1)
	v_fma_f64 v[80:81], v[64:65], s[12:13], s[10:11]
	v_fma_f64 v[66:67], v[64:65], v[66:67], s[14:15]
	;; [unrolled: 1-line block ×3, first 2 shown]
	s_mov_b32 s16, 0x11110056
	v_fma_f64 v[84:85], v[68:69], v[84:85], s[14:15]
	v_fma_f64 v[100:101], v[68:69], s[12:13], s[10:11]
	v_fma_f64 v[118:119], v[82:83], s[12:13], s[10:11]
	v_fma_f64 v[96:97], v[82:83], v[96:97], s[14:15]
	s_mov_b32 s11, 0xbfc55555
	v_fma_f64 v[38:39], v[36:37], v[38:39], s[16:17]
	s_mov_b32 s16, 0x11110bb3
	v_fma_f64 v[80:81], v[64:65], v[80:81], s[18:19]
	v_fma_f64 v[66:67], v[64:65], v[66:67], s[20:21]
	;; [unrolled: 1-line block ×3, first 2 shown]
	s_mov_b32 s22, 0x55555552
	v_fma_f64 v[84:85], v[68:69], v[84:85], s[20:21]
	v_fma_f64 v[100:101], v[68:69], v[100:101], s[18:19]
	;; [unrolled: 1-line block ×4, first 2 shown]
	v_mul_f64 v[118:119], v[28:29], 0.5
	v_fma_f64 v[38:39], v[36:37], v[38:39], s[22:23]
	s_mov_b32 s22, 0x55555555
	s_delay_alu instid0(SALU_CYCLE_1)
	s_mov_b32 s10, s22
	v_fma_f64 v[80:81], v[64:65], v[80:81], s[0:1]
	v_fma_f64 v[66:67], v[64:65], v[66:67], s[16:17]
	;; [unrolled: 1-line block ×3, first 2 shown]
	s_mov_b32 s2, 0x55555557
	v_fma_f64 v[84:85], v[68:69], v[84:85], s[16:17]
	v_fma_f64 v[100:101], v[68:69], v[100:101], s[0:1]
	;; [unrolled: 1-line block ×3, first 2 shown]
	v_cmp_eq_f64_e64 s0, 0x40900000, v[34:35]
	v_fma_f64 v[96:97], v[82:83], v[96:97], s[16:17]
	v_add_f64 v[34:35], v[132:133], -v[98:99]
	v_fma_f64 v[38:39], v[36:37], v[38:39], s[2:3]
	s_mov_b32 s2, 0x16c16967
	s_mov_b32 s3, 0xbf56c16c
	s_delay_alu instid0(SALU_CYCLE_1)
	v_fma_f64 v[80:81], v[64:65], v[80:81], s[2:3]
	v_fma_f64 v[66:67], v[112:113], v[66:67], v[102:103]
	v_add_f64 v[102:103], -v[116:117], 1.0
	v_fma_f64 v[48:49], v[36:37], v[48:49], s[6:7]
	v_fma_f64 v[84:85], v[130:131], v[84:85], v[118:119]
	;; [unrolled: 1-line block ×3, first 2 shown]
	v_cmp_ngt_f64_e64 s6, 0xc090cc00, v[17:18]
	v_cndmask_b32_e64 v146, v55, 0x3ff, s0
	v_fma_f64 v[34:35], v[26:27], -v[28:29], v[34:35]
	s_delay_alu instid0(VALU_DEP_2)
	v_ldexp_f64 v[100:101], 1.0, v146
	v_fma_f64 v[38:39], v[36:37], v[38:39], 0.5
	v_fma_f64 v[80:81], v[64:65], v[80:81], s[22:23]
	v_fma_f64 v[23:24], v[64:65], v[66:67], -v[23:24]
	v_mul_f64 v[64:65], v[32:33], 0.5
	v_mul_f64 v[66:67], v[30:31], -v[82:83]
	v_add_f64 v[144:145], -v[102:103], 1.0
	v_fma_f64 v[28:29], v[68:69], v[84:85], -v[28:29]
	v_fma_f64 v[98:99], v[68:69], v[98:99], s[22:23]
	v_fma_f64 v[48:49], v[36:37], v[48:49], 1.0
	v_mul_f64 v[38:39], v[36:37], v[38:39]
	v_fma_f64 v[70:71], v[134:135], v[80:81], v[70:71]
	v_fma_f64 v[23:24], v[112:113], s[10:11], v[23:24]
	;; [unrolled: 1-line block ×4, first 2 shown]
	v_add_f64 v[80:81], v[144:145], -v[116:117]
	v_mul_f64 v[96:97], v[68:69], v[68:69]
	v_add_f64 v[68:69], v[100:101], -1.0
	v_fma_f64 v[28:29], v[130:131], s[10:11], v[28:29]
	v_cmp_class_f64_e64 s2, v[2:3], 0x1f8
	v_lshlrev_b32_e32 v2, 30, v52
	v_cmp_nlt_f64_e64 s3, s[4:5], v[17:18]
	v_cmp_nlt_f64_e64 s5, 0x40900000, v[17:18]
	v_cmp_ngt_f64_e64 s4, 0xc0428000, v[17:18]
	v_fma_f64 v[38:39], v[36:37], v[38:39], v[36:37]
	v_fma_f64 v[36:37], v[36:37], v[48:49], 1.0
	v_add_f64 v[70:71], v[86:87], v[70:71]
	v_add_f64 v[21:22], v[21:22], -v[23:24]
	v_mul_f64 v[23:24], v[82:83], v[82:83]
	v_fma_f64 v[84:85], v[82:83], v[112:113], s[22:23]
	v_fma_f64 v[80:81], v[30:31], -v[32:33], v[80:81]
	v_fma_f64 v[32:33], v[82:83], v[64:65], -v[32:33]
	v_fma_f64 v[34:35], v[96:97], v[98:99], v[34:35]
	v_and_b32_e32 v64, 1, v52
	v_add_f64 v[26:27], v[26:27], -v[28:29]
	s_delay_alu instid0(VALU_DEP_2) | instskip(SKIP_1) | instid1(VALU_DEP_2)
	v_cmp_eq_u32_e64 s1, 0, v64
	v_fma_f64 v[38:39], v[100:101], v[38:39], v[68:69]
	v_cndmask_b32_e64 v48, v70, v21, s1
	v_xor_b32_e32 v21, v2, v3
	v_cndmask_b32_e64 v28, v71, v22, s1
	v_fma_f64 v[2:3], v[23:24], v[84:85], v[80:81]
	v_fma_f64 v[23:24], v[66:67], s[10:11], v[32:33]
	v_add_f64 v[32:33], v[128:129], v[34:35]
	v_and_b32_e32 v49, 0x80000000, v21
	v_cndmask_b32_e64 v34, 0, v48, s2
	v_and_b32_e32 v48, 1, v53
	v_xor_b32_e32 v27, 0x80000000, v27
	s_delay_alu instid0(VALU_DEP_4) | instskip(SKIP_1) | instid1(VALU_DEP_4)
	v_xor_b32_e32 v35, v28, v49
	v_ldexp_f64 v[28:29], v[36:37], v55
	v_cmp_eq_u32_e64 s1, 0, v48
	s_delay_alu instid0(VALU_DEP_3) | instskip(SKIP_2) | instid1(VALU_DEP_3)
	v_cndmask_b32_e64 v35, 0x7ff80000, v35, s2
	v_cmp_class_f64_e64 s2, v[19:20], 0x1f8
	v_lshlrev_b32_e32 v19, 30, v54
	v_add_f64 v[36:37], v[34:35], v[34:35]
	s_delay_alu instid0(VALU_DEP_2) | instskip(NEXT) | instid1(VALU_DEP_1)
	v_xor_b32_e32 v19, v19, v20
	v_and_b32_e32 v19, 0x80000000, v19
	v_add_f64 v[21:22], v[38:39], v[38:39]
	v_add_f64 v[2:3], v[102:103], v[2:3]
	v_add_f64 v[23:24], v[30:31], -v[23:24]
	v_and_b32_e32 v30, 1, v54
	v_lshlrev_b32_e32 v31, 30, v53
	v_cndmask_b32_e64 v27, v27, v33, s1
	v_cndmask_b32_e64 v26, v26, v32, s1
	s_delay_alu instid0(VALU_DEP_4) | instskip(NEXT) | instid1(VALU_DEP_4)
	v_cmp_eq_u32_e64 s7, 0, v30
	v_and_b32_e32 v20, 0x80000000, v31
	v_cndmask_b32_e64 v29, 0x7ff00000, v29, s5
	v_mul_f64 v[17:18], v[36:37], v[34:35]
	v_cndmask_b32_e64 v22, v39, v22, s0
	v_cndmask_b32_e64 v21, v38, v21, s0
	s_and_b32 s0, s4, s3
	s_delay_alu instid0(VALU_DEP_2) | instskip(NEXT) | instid1(VALU_DEP_2)
	v_cndmask_b32_e64 v22, 0x7ff00000, v22, s3
	v_cndmask_b32_e64 v21, 0, v21, s0
	s_and_b32 s0, s6, s5
	v_cndmask_b32_e64 v23, v2, v23, s7
	v_cndmask_b32_e64 v2, v3, v24, s7
	v_xor_b32_e32 v3, v27, v20
	v_cndmask_b32_e64 v24, 0, v29, s6
	v_cndmask_b32_e64 v22, 0xbff00000, v22, s4
	s_delay_alu instid0(VALU_DEP_4)
	v_xor_b32_e32 v20, v2, v19
	v_cndmask_b32_e64 v2, 0, v26, s2
	v_cndmask_b32_e64 v3, 0x7ff80000, v3, s2
	v_cndmask_b32_e64 v19, 0, v23, s2
	v_cndmask_b32_e64 v23, 0, v28, s0
	v_cndmask_b32_e64 v20, 0x7ff80000, v20, s2
	s_delay_alu instid0(VALU_DEP_1)
	v_mul_f64 v[23:24], v[23:24], v[19:20]
	v_fma_f64 v[21:22], v[21:22], v[2:3], -v[17:18]
.LBB122_36:
	s_or_b32 exec_lo, exec_lo, s9
	v_dual_mov_b32 v17, 0 :: v_dual_add_nc_u32 v2, 0x200, v50
	v_mov_b32_e32 v18, 0
	s_mov_b32 s9, exec_lo
	s_delay_alu instid0(VALU_DEP_1) | instskip(NEXT) | instid1(VALU_DEP_3)
	v_dual_mov_b32 v20, v18 :: v_dual_mov_b32 v19, v17
	v_cmpx_lt_i32_e64 v2, v4
	s_cbranch_execz .LBB122_50
; %bb.37:
	v_mul_f64 v[2:3], v[15:16], 0.5
                                        ; implicit-def: $vgpr52
                                        ; implicit-def: $vgpr17_vgpr18
                                        ; implicit-def: $vgpr19_vgpr20
	s_mov_b32 s1, exec_lo
	s_delay_alu instid0(VALU_DEP_1)
	v_cmpx_ngt_f64_e64 0x41d00000, |v[2:3]|
	s_xor_b32 s2, exec_lo, s1
	s_cbranch_execz .LBB122_39
; %bb.38:
	v_ldexp_f64 v[17:18], |v[2:3]|, 0xffffff80
	v_cmp_le_f64_e64 s0, 0x7b000000, |v[2:3]|
	v_trig_preop_f64 v[19:20], |v[2:3]|, 0
	v_and_b32_e32 v26, 0x7fffffff, v3
	v_trig_preop_f64 v[36:37], |v[2:3]|, 2
	v_mov_b32_e32 v54, 0
	s_mov_b32 s4, 0x33145c07
	s_mov_b32 s5, 0x3c91a626
	v_cndmask_b32_e64 v18, v26, v18, s0
	v_cndmask_b32_e64 v17, v2, v17, s0
	v_trig_preop_f64 v[26:27], |v[2:3]|, 1
	s_delay_alu instid0(VALU_DEP_2) | instskip(SKIP_1) | instid1(VALU_DEP_3)
	v_mul_f64 v[28:29], v[19:20], v[17:18]
	v_mul_f64 v[52:53], v[36:37], v[17:18]
	;; [unrolled: 1-line block ×3, first 2 shown]
	s_delay_alu instid0(VALU_DEP_3) | instskip(NEXT) | instid1(VALU_DEP_2)
	v_fma_f64 v[19:20], v[19:20], v[17:18], -v[28:29]
	v_fma_f64 v[26:27], v[26:27], v[17:18], -v[30:31]
	s_delay_alu instid0(VALU_DEP_4) | instskip(NEXT) | instid1(VALU_DEP_3)
	v_fma_f64 v[17:18], v[36:37], v[17:18], -v[52:53]
	v_add_f64 v[32:33], v[30:31], v[19:20]
	s_delay_alu instid0(VALU_DEP_1) | instskip(SKIP_1) | instid1(VALU_DEP_2)
	v_add_f64 v[34:35], v[32:33], -v[30:31]
	v_add_f64 v[48:49], v[28:29], v[32:33]
	v_add_f64 v[38:39], v[32:33], -v[34:35]
	v_add_f64 v[19:20], v[19:20], -v[34:35]
	s_delay_alu instid0(VALU_DEP_3) | instskip(SKIP_1) | instid1(VALU_DEP_4)
	v_ldexp_f64 v[34:35], v[48:49], -2
	v_add_f64 v[28:29], v[48:49], -v[28:29]
	v_add_f64 v[30:31], v[30:31], -v[38:39]
	v_add_f64 v[38:39], v[52:53], v[26:27]
	s_delay_alu instid0(VALU_DEP_4) | instskip(NEXT) | instid1(VALU_DEP_4)
	v_cmp_neq_f64_e64 s0, 0x7ff00000, |v[34:35]|
	v_add_f64 v[28:29], v[32:33], -v[28:29]
	s_delay_alu instid0(VALU_DEP_4) | instskip(SKIP_1) | instid1(VALU_DEP_2)
	v_add_f64 v[19:20], v[19:20], v[30:31]
	v_fract_f64_e32 v[30:31], v[34:35]
	v_add_f64 v[32:33], v[38:39], v[19:20]
	s_delay_alu instid0(VALU_DEP_2) | instskip(NEXT) | instid1(VALU_DEP_3)
	v_cndmask_b32_e64 v31, 0, v31, s0
	v_cndmask_b32_e64 v30, 0, v30, s0
	s_delay_alu instid0(VALU_DEP_1) | instskip(NEXT) | instid1(VALU_DEP_4)
	v_ldexp_f64 v[30:31], v[30:31], 2
	v_add_f64 v[34:35], v[28:29], v[32:33]
	v_add_f64 v[64:65], v[32:33], -v[38:39]
	s_delay_alu instid0(VALU_DEP_2) | instskip(NEXT) | instid1(VALU_DEP_2)
	v_add_f64 v[48:49], v[34:35], v[30:31]
	v_add_f64 v[70:71], v[32:33], -v[64:65]
	v_add_f64 v[19:20], v[19:20], -v[64:65]
	;; [unrolled: 1-line block ×3, first 2 shown]
	s_delay_alu instid0(VALU_DEP_4) | instskip(SKIP_1) | instid1(VALU_DEP_3)
	v_cmp_gt_f64_e64 s0, 0, v[48:49]
	v_add_f64 v[48:49], v[38:39], -v[52:53]
	v_add_f64 v[28:29], v[32:33], -v[28:29]
	s_delay_alu instid0(VALU_DEP_3) | instskip(NEXT) | instid1(VALU_DEP_3)
	v_cndmask_b32_e64 v55, 0, 0x40100000, s0
	v_add_f64 v[68:69], v[38:39], -v[48:49]
	v_add_f64 v[26:27], v[26:27], -v[48:49]
	;; [unrolled: 1-line block ×3, first 2 shown]
	s_delay_alu instid0(VALU_DEP_4) | instskip(NEXT) | instid1(VALU_DEP_4)
	v_add_f64 v[30:31], v[30:31], v[54:55]
	v_add_f64 v[48:49], v[52:53], -v[68:69]
	s_delay_alu instid0(VALU_DEP_3) | instskip(NEXT) | instid1(VALU_DEP_3)
	v_add_f64 v[19:20], v[19:20], v[38:39]
	v_add_f64 v[66:67], v[34:35], v[30:31]
	s_delay_alu instid0(VALU_DEP_3) | instskip(NEXT) | instid1(VALU_DEP_2)
	v_add_f64 v[26:27], v[26:27], v[48:49]
	v_cvt_i32_f64_e32 v55, v[66:67]
	s_delay_alu instid0(VALU_DEP_2) | instskip(NEXT) | instid1(VALU_DEP_2)
	v_add_f64 v[19:20], v[26:27], v[19:20]
	v_cvt_f64_i32_e32 v[64:65], v55
	s_delay_alu instid0(VALU_DEP_2) | instskip(NEXT) | instid1(VALU_DEP_2)
	v_add_f64 v[17:18], v[17:18], v[19:20]
	v_add_f64 v[30:31], v[30:31], -v[64:65]
	s_delay_alu instid0(VALU_DEP_2) | instskip(NEXT) | instid1(VALU_DEP_2)
	v_add_f64 v[17:18], v[28:29], v[17:18]
	v_add_f64 v[26:27], v[34:35], v[30:31]
	s_delay_alu instid0(VALU_DEP_1) | instskip(SKIP_1) | instid1(VALU_DEP_2)
	v_add_f64 v[19:20], v[26:27], -v[30:31]
	v_cmp_le_f64_e64 s0, 0.5, v[26:27]
	v_add_f64 v[19:20], v[34:35], -v[19:20]
	s_delay_alu instid0(VALU_DEP_2) | instskip(SKIP_3) | instid1(VALU_DEP_3)
	v_add_co_ci_u32_e64 v52, s1, 0, v55, s0
	v_cndmask_b32_e64 v55, 0, 0x3ff00000, s0
	s_mov_b32 s0, 0x54442d18
	s_mov_b32 s1, 0x3ff921fb
	v_add_f64 v[17:18], v[17:18], v[19:20]
	s_delay_alu instid0(VALU_DEP_2) | instskip(NEXT) | instid1(VALU_DEP_1)
	v_add_f64 v[19:20], v[26:27], -v[54:55]
	v_add_f64 v[26:27], v[19:20], v[17:18]
	s_delay_alu instid0(VALU_DEP_1) | instskip(SKIP_1) | instid1(VALU_DEP_2)
	v_mul_f64 v[28:29], v[26:27], s[0:1]
	v_add_f64 v[19:20], v[26:27], -v[19:20]
	v_fma_f64 v[30:31], v[26:27], s[0:1], -v[28:29]
	s_delay_alu instid0(VALU_DEP_2) | instskip(NEXT) | instid1(VALU_DEP_2)
	v_add_f64 v[17:18], v[17:18], -v[19:20]
	v_fma_f64 v[19:20], v[26:27], s[4:5], v[30:31]
	s_delay_alu instid0(VALU_DEP_1) | instskip(NEXT) | instid1(VALU_DEP_1)
	v_fma_f64 v[19:20], v[17:18], s[0:1], v[19:20]
	v_add_f64 v[17:18], v[28:29], v[19:20]
	s_delay_alu instid0(VALU_DEP_1) | instskip(NEXT) | instid1(VALU_DEP_1)
	v_add_f64 v[26:27], v[17:18], -v[28:29]
	v_add_f64 v[19:20], v[19:20], -v[26:27]
.LBB122_39:
	s_and_not1_saveexec_b32 s0, s2
	s_cbranch_execz .LBB122_41
; %bb.40:
	s_mov_b32 s2, 0x6dc9c883
	s_mov_b32 s3, 0x3fe45f30
	;; [unrolled: 1-line block ×3, first 2 shown]
	v_mul_f64 v[17:18], |v[2:3]|, s[2:3]
	s_mov_b32 s2, 0x54442d18
	s_mov_b32 s3, 0xbff921fb
	s_mov_b32 s4, 0x33145c00
	s_delay_alu instid0(VALU_DEP_1) | instskip(NEXT) | instid1(VALU_DEP_1)
	v_rndne_f64_e32 v[26:27], v[17:18]
	v_fma_f64 v[17:18], v[26:27], s[2:3], |v[2:3]|
	v_mul_f64 v[19:20], v[26:27], s[4:5]
	s_mov_b32 s2, 0x252049c0
	s_mov_b32 s3, 0xb97b839a
	v_cvt_i32_f64_e32 v52, v[26:27]
	s_delay_alu instid0(VALU_DEP_3) | instskip(NEXT) | instid1(VALU_DEP_3)
	v_fma_f64 v[30:31], v[26:27], s[4:5], v[17:18]
	v_add_f64 v[28:29], v[17:18], v[19:20]
	s_mov_b32 s5, 0x3c91a626
	s_delay_alu instid0(VALU_DEP_1) | instskip(NEXT) | instid1(VALU_DEP_3)
	v_add_f64 v[17:18], v[17:18], -v[28:29]
	v_add_f64 v[28:29], v[28:29], -v[30:31]
	s_delay_alu instid0(VALU_DEP_2) | instskip(SKIP_1) | instid1(VALU_DEP_2)
	v_add_f64 v[17:18], v[17:18], v[19:20]
	v_fma_f64 v[19:20], v[26:27], s[4:5], v[19:20]
	v_add_f64 v[17:18], v[28:29], v[17:18]
	s_delay_alu instid0(VALU_DEP_1) | instskip(NEXT) | instid1(VALU_DEP_1)
	v_add_f64 v[17:18], v[17:18], -v[19:20]
	v_fma_f64 v[19:20], v[26:27], s[2:3], v[17:18]
	s_delay_alu instid0(VALU_DEP_1) | instskip(NEXT) | instid1(VALU_DEP_1)
	v_add_f64 v[17:18], v[30:31], v[19:20]
	v_add_f64 v[28:29], v[17:18], -v[30:31]
	s_delay_alu instid0(VALU_DEP_1)
	v_add_f64 v[19:20], v[19:20], -v[28:29]
.LBB122_41:
	s_or_b32 exec_lo, exec_lo, s0
	v_cmp_ngt_f64_e64 s2, 0x41d00000, |v[15:16]|
	v_trig_preop_f64 v[38:39], |v[15:16]|, 0
	v_trig_preop_f64 v[36:37], |v[15:16]|, 1
	v_ldexp_f64 v[48:49], |v[15:16]|, 0xffffff80
	v_trig_preop_f64 v[34:35], |v[15:16]|, 2
	v_and_b32_e32 v55, 0x7fffffff, v16
                                        ; implicit-def: $vgpr53
                                        ; implicit-def: $vgpr26_vgpr27
                                        ; implicit-def: $vgpr28_vgpr29
	s_and_saveexec_b32 s0, s2
	s_delay_alu instid0(SALU_CYCLE_1)
	s_xor_b32 s3, exec_lo, s0
	s_cbranch_execz .LBB122_43
; %bb.42:
	v_cmp_le_f64_e64 s0, 0x7b000000, |v[15:16]|
	v_mov_b32_e32 v82, 0
	s_mov_b32 s4, 0x33145c07
	s_mov_b32 s5, 0x3c91a626
	s_delay_alu instid0(VALU_DEP_2) | instskip(SKIP_1) | instid1(VALU_DEP_1)
	v_cndmask_b32_e64 v27, v55, v49, s0
	v_cndmask_b32_e64 v26, v15, v48, s0
	v_mul_f64 v[28:29], v[38:39], v[26:27]
	v_mul_f64 v[30:31], v[36:37], v[26:27]
	;; [unrolled: 1-line block ×3, first 2 shown]
	s_delay_alu instid0(VALU_DEP_3) | instskip(NEXT) | instid1(VALU_DEP_3)
	v_fma_f64 v[32:33], v[38:39], v[26:27], -v[28:29]
	v_fma_f64 v[80:81], v[36:37], v[26:27], -v[30:31]
	s_delay_alu instid0(VALU_DEP_3) | instskip(NEXT) | instid1(VALU_DEP_3)
	v_fma_f64 v[26:27], v[34:35], v[26:27], -v[70:71]
	v_add_f64 v[53:54], v[30:31], v[32:33]
	s_delay_alu instid0(VALU_DEP_1) | instskip(SKIP_1) | instid1(VALU_DEP_2)
	v_add_f64 v[64:65], v[53:54], -v[30:31]
	v_add_f64 v[68:69], v[28:29], v[53:54]
	v_add_f64 v[66:67], v[53:54], -v[64:65]
	v_add_f64 v[32:33], v[32:33], -v[64:65]
	s_delay_alu instid0(VALU_DEP_3) | instskip(SKIP_1) | instid1(VALU_DEP_4)
	v_ldexp_f64 v[64:65], v[68:69], -2
	v_add_f64 v[28:29], v[68:69], -v[28:29]
	v_add_f64 v[30:31], v[30:31], -v[66:67]
	v_add_f64 v[66:67], v[70:71], v[80:81]
	s_delay_alu instid0(VALU_DEP_4) | instskip(NEXT) | instid1(VALU_DEP_4)
	v_cmp_neq_f64_e64 s0, 0x7ff00000, |v[64:65]|
	v_add_f64 v[28:29], v[53:54], -v[28:29]
	s_delay_alu instid0(VALU_DEP_4) | instskip(SKIP_1) | instid1(VALU_DEP_2)
	v_add_f64 v[30:31], v[32:33], v[30:31]
	v_fract_f64_e32 v[32:33], v[64:65]
	v_add_f64 v[53:54], v[66:67], v[30:31]
	s_delay_alu instid0(VALU_DEP_2) | instskip(NEXT) | instid1(VALU_DEP_3)
	v_cndmask_b32_e64 v33, 0, v33, s0
	v_cndmask_b32_e64 v32, 0, v32, s0
	s_delay_alu instid0(VALU_DEP_1) | instskip(NEXT) | instid1(VALU_DEP_4)
	v_ldexp_f64 v[32:33], v[32:33], 2
	v_add_f64 v[64:65], v[28:29], v[53:54]
	s_delay_alu instid0(VALU_DEP_1) | instskip(SKIP_1) | instid1(VALU_DEP_2)
	v_add_f64 v[68:69], v[64:65], v[32:33]
	v_add_f64 v[28:29], v[64:65], -v[28:29]
	v_cmp_gt_f64_e64 s0, 0, v[68:69]
	v_add_f64 v[68:69], v[66:67], -v[70:71]
	s_delay_alu instid0(VALU_DEP_3) | instskip(NEXT) | instid1(VALU_DEP_3)
	v_add_f64 v[28:29], v[53:54], -v[28:29]
	v_cndmask_b32_e64 v83, 0, 0x40100000, s0
	s_delay_alu instid0(VALU_DEP_3) | instskip(SKIP_1) | instid1(VALU_DEP_3)
	v_add_f64 v[96:97], v[66:67], -v[68:69]
	v_add_f64 v[68:69], v[80:81], -v[68:69]
	v_add_f64 v[32:33], v[32:33], v[82:83]
	v_add_f64 v[83:84], v[53:54], -v[66:67]
	s_delay_alu instid0(VALU_DEP_4) | instskip(NEXT) | instid1(VALU_DEP_3)
	v_add_f64 v[80:81], v[70:71], -v[96:97]
	v_add_f64 v[85:86], v[64:65], v[32:33]
	s_delay_alu instid0(VALU_DEP_3) | instskip(SKIP_1) | instid1(VALU_DEP_4)
	v_add_f64 v[98:99], v[53:54], -v[83:84]
	v_add_f64 v[30:31], v[30:31], -v[83:84]
	v_add_f64 v[68:69], v[68:69], v[80:81]
	s_delay_alu instid0(VALU_DEP_4) | instskip(NEXT) | instid1(VALU_DEP_4)
	v_cvt_i32_f64_e32 v85, v[85:86]
	v_add_f64 v[66:67], v[66:67], -v[98:99]
	s_delay_alu instid0(VALU_DEP_2) | instskip(NEXT) | instid1(VALU_DEP_2)
	v_cvt_f64_i32_e32 v[83:84], v85
	v_add_f64 v[30:31], v[30:31], v[66:67]
	s_delay_alu instid0(VALU_DEP_2) | instskip(NEXT) | instid1(VALU_DEP_2)
	v_add_f64 v[32:33], v[32:33], -v[83:84]
	v_add_f64 v[30:31], v[68:69], v[30:31]
	s_delay_alu instid0(VALU_DEP_2) | instskip(NEXT) | instid1(VALU_DEP_2)
	v_add_f64 v[66:67], v[64:65], v[32:33]
	v_add_f64 v[26:27], v[26:27], v[30:31]
	s_delay_alu instid0(VALU_DEP_2) | instskip(SKIP_1) | instid1(VALU_DEP_3)
	v_add_f64 v[30:31], v[66:67], -v[32:33]
	v_cmp_le_f64_e64 s0, 0.5, v[66:67]
	v_add_f64 v[26:27], v[28:29], v[26:27]
	s_delay_alu instid0(VALU_DEP_3) | instskip(NEXT) | instid1(VALU_DEP_3)
	v_add_f64 v[28:29], v[64:65], -v[30:31]
	v_cndmask_b32_e64 v83, 0, 0x3ff00000, s0
	v_add_co_ci_u32_e64 v53, s1, 0, v85, s0
	s_mov_b32 s0, 0x54442d18
	s_mov_b32 s1, 0x3ff921fb
	s_delay_alu instid0(VALU_DEP_3) | instskip(SKIP_1) | instid1(VALU_DEP_1)
	v_add_f64 v[26:27], v[26:27], v[28:29]
	v_add_f64 v[28:29], v[66:67], -v[82:83]
	v_add_f64 v[30:31], v[28:29], v[26:27]
	s_delay_alu instid0(VALU_DEP_1) | instskip(SKIP_1) | instid1(VALU_DEP_2)
	v_mul_f64 v[32:33], v[30:31], s[0:1]
	v_add_f64 v[28:29], v[30:31], -v[28:29]
	v_fma_f64 v[64:65], v[30:31], s[0:1], -v[32:33]
	s_delay_alu instid0(VALU_DEP_2) | instskip(NEXT) | instid1(VALU_DEP_2)
	v_add_f64 v[26:27], v[26:27], -v[28:29]
	v_fma_f64 v[28:29], v[30:31], s[4:5], v[64:65]
	s_delay_alu instid0(VALU_DEP_1) | instskip(NEXT) | instid1(VALU_DEP_1)
	v_fma_f64 v[28:29], v[26:27], s[0:1], v[28:29]
	v_add_f64 v[26:27], v[32:33], v[28:29]
	s_delay_alu instid0(VALU_DEP_1) | instskip(NEXT) | instid1(VALU_DEP_1)
	v_add_f64 v[30:31], v[26:27], -v[32:33]
	v_add_f64 v[28:29], v[28:29], -v[30:31]
	s_and_not1_saveexec_b32 s0, s3
	s_cbranch_execz .LBB122_45
	s_branch .LBB122_44
.LBB122_43:
	s_and_not1_saveexec_b32 s0, s3
	s_cbranch_execz .LBB122_45
.LBB122_44:
	s_mov_b32 s4, 0x6dc9c883
	s_mov_b32 s5, 0x3fe45f30
	;; [unrolled: 1-line block ×3, first 2 shown]
	v_mul_f64 v[26:27], |v[15:16]|, s[4:5]
	s_mov_b32 s4, 0x54442d18
	s_mov_b32 s5, 0xbff921fb
	;; [unrolled: 1-line block ×3, first 2 shown]
	s_delay_alu instid0(VALU_DEP_1) | instskip(NEXT) | instid1(VALU_DEP_1)
	v_rndne_f64_e32 v[30:31], v[26:27]
	v_fma_f64 v[26:27], v[30:31], s[4:5], |v[15:16]|
	v_mul_f64 v[28:29], v[30:31], s[6:7]
	s_mov_b32 s4, 0x252049c0
	s_mov_b32 s5, 0xb97b839a
	s_delay_alu instid0(VALU_DEP_2) | instskip(NEXT) | instid1(VALU_DEP_2)
	v_fma_f64 v[53:54], v[30:31], s[6:7], v[26:27]
	v_add_f64 v[32:33], v[26:27], v[28:29]
	s_mov_b32 s7, 0x3c91a626
	s_delay_alu instid0(VALU_DEP_1) | instskip(NEXT) | instid1(VALU_DEP_3)
	v_add_f64 v[26:27], v[26:27], -v[32:33]
	v_add_f64 v[32:33], v[32:33], -v[53:54]
	s_delay_alu instid0(VALU_DEP_2) | instskip(SKIP_1) | instid1(VALU_DEP_2)
	v_add_f64 v[26:27], v[26:27], v[28:29]
	v_fma_f64 v[28:29], v[30:31], s[6:7], v[28:29]
	v_add_f64 v[26:27], v[32:33], v[26:27]
	s_delay_alu instid0(VALU_DEP_1) | instskip(NEXT) | instid1(VALU_DEP_1)
	v_add_f64 v[26:27], v[26:27], -v[28:29]
	v_fma_f64 v[28:29], v[30:31], s[4:5], v[26:27]
	s_delay_alu instid0(VALU_DEP_1) | instskip(NEXT) | instid1(VALU_DEP_1)
	v_add_f64 v[26:27], v[53:54], v[28:29]
	v_add_f64 v[32:33], v[26:27], -v[53:54]
	v_cvt_i32_f64_e32 v53, v[30:31]
	s_delay_alu instid0(VALU_DEP_2)
	v_add_f64 v[28:29], v[28:29], -v[32:33]
.LBB122_45:
	s_or_b32 exec_lo, exec_lo, s0
                                        ; implicit-def: $vgpr54
                                        ; implicit-def: $vgpr30_vgpr31
                                        ; implicit-def: $vgpr32_vgpr33
	s_and_saveexec_b32 s0, s2
	s_delay_alu instid0(SALU_CYCLE_1)
	s_xor_b32 s2, exec_lo, s0
	s_cbranch_execz .LBB122_47
; %bb.46:
	v_cmp_le_f64_e64 s0, 0x7b000000, |v[15:16]|
	v_mov_b32_e32 v80, 0
	s_mov_b32 s4, 0x33145c07
	s_mov_b32 s5, 0x3c91a626
	s_delay_alu instid0(VALU_DEP_2) | instskip(SKIP_1) | instid1(VALU_DEP_1)
	v_cndmask_b32_e64 v31, v55, v49, s0
	v_cndmask_b32_e64 v30, v15, v48, s0
	v_mul_f64 v[32:33], v[38:39], v[30:31]
	v_mul_f64 v[48:49], v[36:37], v[30:31]
	;; [unrolled: 1-line block ×3, first 2 shown]
	s_delay_alu instid0(VALU_DEP_3) | instskip(NEXT) | instid1(VALU_DEP_3)
	v_fma_f64 v[38:39], v[38:39], v[30:31], -v[32:33]
	v_fma_f64 v[36:37], v[36:37], v[30:31], -v[48:49]
	s_delay_alu instid0(VALU_DEP_3) | instskip(NEXT) | instid1(VALU_DEP_3)
	v_fma_f64 v[30:31], v[34:35], v[30:31], -v[70:71]
	v_add_f64 v[54:55], v[48:49], v[38:39]
	s_delay_alu instid0(VALU_DEP_1) | instskip(SKIP_1) | instid1(VALU_DEP_2)
	v_add_f64 v[64:65], v[54:55], -v[48:49]
	v_add_f64 v[68:69], v[32:33], v[54:55]
	v_add_f64 v[66:67], v[54:55], -v[64:65]
	v_add_f64 v[38:39], v[38:39], -v[64:65]
	s_delay_alu instid0(VALU_DEP_3) | instskip(SKIP_1) | instid1(VALU_DEP_4)
	v_ldexp_f64 v[64:65], v[68:69], -2
	v_add_f64 v[32:33], v[68:69], -v[32:33]
	v_add_f64 v[48:49], v[48:49], -v[66:67]
	v_add_f64 v[66:67], v[70:71], v[36:37]
	s_delay_alu instid0(VALU_DEP_4) | instskip(NEXT) | instid1(VALU_DEP_4)
	v_cmp_neq_f64_e64 s0, 0x7ff00000, |v[64:65]|
	v_add_f64 v[32:33], v[54:55], -v[32:33]
	s_delay_alu instid0(VALU_DEP_4) | instskip(SKIP_1) | instid1(VALU_DEP_2)
	v_add_f64 v[38:39], v[38:39], v[48:49]
	v_fract_f64_e32 v[48:49], v[64:65]
	v_add_f64 v[54:55], v[66:67], v[38:39]
	s_delay_alu instid0(VALU_DEP_2) | instskip(NEXT) | instid1(VALU_DEP_3)
	v_cndmask_b32_e64 v49, 0, v49, s0
	v_cndmask_b32_e64 v48, 0, v48, s0
	s_delay_alu instid0(VALU_DEP_1) | instskip(NEXT) | instid1(VALU_DEP_4)
	v_ldexp_f64 v[48:49], v[48:49], 2
	v_add_f64 v[64:65], v[32:33], v[54:55]
	s_delay_alu instid0(VALU_DEP_1) | instskip(SKIP_1) | instid1(VALU_DEP_2)
	v_add_f64 v[68:69], v[64:65], v[48:49]
	v_add_f64 v[32:33], v[64:65], -v[32:33]
	v_cmp_gt_f64_e64 s0, 0, v[68:69]
	v_add_f64 v[68:69], v[66:67], -v[70:71]
	s_delay_alu instid0(VALU_DEP_3) | instskip(NEXT) | instid1(VALU_DEP_3)
	v_add_f64 v[32:33], v[54:55], -v[32:33]
	v_cndmask_b32_e64 v81, 0, 0x40100000, s0
	s_delay_alu instid0(VALU_DEP_3) | instskip(SKIP_1) | instid1(VALU_DEP_3)
	v_add_f64 v[85:86], v[66:67], -v[68:69]
	v_add_f64 v[36:37], v[36:37], -v[68:69]
	v_add_f64 v[48:49], v[48:49], v[80:81]
	v_add_f64 v[81:82], v[54:55], -v[66:67]
	s_delay_alu instid0(VALU_DEP_4) | instskip(NEXT) | instid1(VALU_DEP_3)
	v_add_f64 v[68:69], v[70:71], -v[85:86]
	v_add_f64 v[83:84], v[64:65], v[48:49]
	s_delay_alu instid0(VALU_DEP_3) | instskip(SKIP_1) | instid1(VALU_DEP_4)
	v_add_f64 v[96:97], v[54:55], -v[81:82]
	v_add_f64 v[38:39], v[38:39], -v[81:82]
	v_add_f64 v[36:37], v[36:37], v[68:69]
	s_delay_alu instid0(VALU_DEP_4) | instskip(NEXT) | instid1(VALU_DEP_4)
	v_cvt_i32_f64_e32 v83, v[83:84]
	v_add_f64 v[66:67], v[66:67], -v[96:97]
	s_delay_alu instid0(VALU_DEP_2) | instskip(NEXT) | instid1(VALU_DEP_2)
	v_cvt_f64_i32_e32 v[81:82], v83
	v_add_f64 v[38:39], v[38:39], v[66:67]
	s_delay_alu instid0(VALU_DEP_2) | instskip(NEXT) | instid1(VALU_DEP_2)
	v_add_f64 v[48:49], v[48:49], -v[81:82]
	v_add_f64 v[34:35], v[36:37], v[38:39]
	s_delay_alu instid0(VALU_DEP_2) | instskip(NEXT) | instid1(VALU_DEP_2)
	v_add_f64 v[36:37], v[64:65], v[48:49]
	v_add_f64 v[30:31], v[30:31], v[34:35]
	s_delay_alu instid0(VALU_DEP_2) | instskip(SKIP_1) | instid1(VALU_DEP_3)
	v_add_f64 v[34:35], v[36:37], -v[48:49]
	v_cmp_le_f64_e64 s0, 0.5, v[36:37]
	v_add_f64 v[30:31], v[32:33], v[30:31]
	s_delay_alu instid0(VALU_DEP_3) | instskip(NEXT) | instid1(VALU_DEP_3)
	v_add_f64 v[32:33], v[64:65], -v[34:35]
	v_cndmask_b32_e64 v81, 0, 0x3ff00000, s0
	v_add_co_ci_u32_e64 v54, s1, 0, v83, s0
	s_mov_b32 s0, 0x54442d18
	s_mov_b32 s1, 0x3ff921fb
	s_delay_alu instid0(VALU_DEP_3) | instskip(SKIP_1) | instid1(VALU_DEP_1)
	v_add_f64 v[30:31], v[30:31], v[32:33]
	v_add_f64 v[32:33], v[36:37], -v[80:81]
	v_add_f64 v[34:35], v[32:33], v[30:31]
	s_delay_alu instid0(VALU_DEP_1) | instskip(SKIP_1) | instid1(VALU_DEP_2)
	v_mul_f64 v[36:37], v[34:35], s[0:1]
	v_add_f64 v[32:33], v[34:35], -v[32:33]
	v_fma_f64 v[38:39], v[34:35], s[0:1], -v[36:37]
	s_delay_alu instid0(VALU_DEP_2) | instskip(NEXT) | instid1(VALU_DEP_2)
	v_add_f64 v[30:31], v[30:31], -v[32:33]
	v_fma_f64 v[32:33], v[34:35], s[4:5], v[38:39]
	s_delay_alu instid0(VALU_DEP_1) | instskip(NEXT) | instid1(VALU_DEP_1)
	v_fma_f64 v[32:33], v[30:31], s[0:1], v[32:33]
	v_add_f64 v[30:31], v[36:37], v[32:33]
	s_delay_alu instid0(VALU_DEP_1) | instskip(NEXT) | instid1(VALU_DEP_1)
	v_add_f64 v[34:35], v[30:31], -v[36:37]
	v_add_f64 v[32:33], v[32:33], -v[34:35]
	s_and_not1_saveexec_b32 s0, s2
	s_cbranch_execnz .LBB122_48
	s_branch .LBB122_49
.LBB122_47:
	s_and_not1_saveexec_b32 s0, s2
	s_cbranch_execz .LBB122_49
.LBB122_48:
	s_mov_b32 s2, 0x6dc9c883
	s_mov_b32 s3, 0x3fe45f30
	;; [unrolled: 1-line block ×3, first 2 shown]
	v_mul_f64 v[30:31], |v[15:16]|, s[2:3]
	s_mov_b32 s2, 0x54442d18
	s_mov_b32 s3, 0xbff921fb
	;; [unrolled: 1-line block ×3, first 2 shown]
	s_delay_alu instid0(VALU_DEP_1) | instskip(NEXT) | instid1(VALU_DEP_1)
	v_rndne_f64_e32 v[34:35], v[30:31]
	v_fma_f64 v[30:31], v[34:35], s[2:3], |v[15:16]|
	v_mul_f64 v[32:33], v[34:35], s[4:5]
	s_mov_b32 s2, 0x252049c0
	s_mov_b32 s3, 0xb97b839a
	v_cvt_i32_f64_e32 v54, v[34:35]
	s_delay_alu instid0(VALU_DEP_3) | instskip(NEXT) | instid1(VALU_DEP_3)
	v_fma_f64 v[38:39], v[34:35], s[4:5], v[30:31]
	v_add_f64 v[36:37], v[30:31], v[32:33]
	s_mov_b32 s5, 0x3c91a626
	s_delay_alu instid0(VALU_DEP_1) | instskip(NEXT) | instid1(VALU_DEP_3)
	v_add_f64 v[30:31], v[30:31], -v[36:37]
	v_add_f64 v[36:37], v[36:37], -v[38:39]
	s_delay_alu instid0(VALU_DEP_2) | instskip(SKIP_1) | instid1(VALU_DEP_2)
	v_add_f64 v[30:31], v[30:31], v[32:33]
	v_fma_f64 v[32:33], v[34:35], s[4:5], v[32:33]
	v_add_f64 v[30:31], v[36:37], v[30:31]
	s_delay_alu instid0(VALU_DEP_1) | instskip(NEXT) | instid1(VALU_DEP_1)
	v_add_f64 v[30:31], v[30:31], -v[32:33]
	v_fma_f64 v[32:33], v[34:35], s[2:3], v[30:31]
	s_delay_alu instid0(VALU_DEP_1) | instskip(NEXT) | instid1(VALU_DEP_1)
	v_add_f64 v[30:31], v[38:39], v[32:33]
	v_add_f64 v[36:37], v[30:31], -v[38:39]
	s_delay_alu instid0(VALU_DEP_1)
	v_add_f64 v[32:33], v[32:33], -v[36:37]
.LBB122_49:
	s_or_b32 exec_lo, exec_lo, s0
	s_mov_b32 s0, 0x652b82fe
	s_mov_b32 s1, 0x3ff71547
	;; [unrolled: 1-line block ×3, first 2 shown]
	v_mul_f64 v[34:35], v[13:14], s[0:1]
	s_mov_b32 s4, 0xfefa39ef
	s_mov_b32 s0, 0x3b39803f
	;; [unrolled: 1-line block ×5, first 2 shown]
	v_mul_f64 v[64:65], v[17:18], v[17:18]
	s_mov_b32 s6, 0xf9a43bb8
	s_mov_b32 s7, 0x3de5e0b2
	v_mul_f64 v[68:69], v[26:27], v[26:27]
	s_mov_b32 s11, 0x3f56c16c
	s_mov_b32 s10, 0x1852b7b0
	s_mov_b32 s12, 0x46cc5e42
	s_mov_b32 s14, 0x796cde01
	s_mov_b32 s13, 0xbda907db
	s_mov_b32 s15, 0x3ec71de3
	v_mul_f64 v[82:83], v[30:31], v[30:31]
	s_mov_b32 s17, 0x3f811111
	s_mov_b32 s16, 0x11122322
	;; [unrolled: 1-line block ×8, first 2 shown]
	v_mul_f64 v[102:103], v[19:20], 0.5
	v_rndne_f64_e32 v[34:35], v[34:35]
	v_mul_f64 v[70:71], v[64:65], 0.5
	v_mul_f64 v[112:113], v[17:18], -v[64:65]
	v_mul_f64 v[134:135], v[64:65], v[64:65]
	v_mul_f64 v[98:99], v[68:69], 0.5
	v_mul_f64 v[130:131], v[26:27], -v[68:69]
	v_mul_f64 v[116:117], v[82:83], 0.5
	v_fma_f64 v[36:37], v[34:35], s[4:5], v[13:14]
	v_cvt_i32_f64_e32 v55, v[34:35]
	s_mov_b32 s5, 0x40862e42
	v_add_f64 v[86:87], -v[70:71], 1.0
	v_add_f64 v[128:129], -v[98:99], 1.0
	s_delay_alu instid0(VALU_DEP_4) | instskip(SKIP_2) | instid1(VALU_DEP_3)
	v_fma_f64 v[36:37], v[34:35], s[0:1], v[36:37]
	s_mov_b32 s0, 0x2a1b768b
	s_mov_b32 s1, 0x3e5af4eb
	v_add_f64 v[114:115], -v[86:87], 1.0
	s_delay_alu instid0(VALU_DEP_3) | instskip(NEXT) | instid1(VALU_DEP_3)
	v_add_f64 v[132:133], -v[128:129], 1.0
	v_fma_f64 v[38:39], v[36:37], s[2:3], s[0:1]
	s_mov_b32 s0, 0xfca7ab0c
	s_mov_b32 s2, 0x6a5dcb37
	;; [unrolled: 1-line block ×4, first 2 shown]
	s_delay_alu instid0(SALU_CYCLE_1) | instskip(SKIP_4) | instid1(VALU_DEP_4)
	v_fma_f64 v[48:49], v[36:37], s[2:3], s[0:1]
	s_mov_b32 s0, 0xe0ac05b
	s_mov_b32 s1, 0x3e927e50
	s_mov_b32 s2, 0x7c89e6b0
	s_mov_b32 s3, 0x3efa0199
	v_add_f64 v[70:71], v[114:115], -v[70:71]
	s_delay_alu instid0(VALU_DEP_3)
	v_fma_f64 v[38:39], v[36:37], v[38:39], s[0:1]
	s_mov_b32 s0, 0x623fde64
	s_mov_b32 s1, 0x3ec71dee
	s_delay_alu instid0(VALU_DEP_3) | instid1(SALU_CYCLE_1)
	v_fma_f64 v[48:49], v[36:37], v[48:49], s[0:1]
	s_mov_b32 s0, 0x1b889c29
	s_mov_b32 s1, 0x3ec71de0
	s_delay_alu instid0(VALU_DEP_3) | instskip(NEXT) | instid1(VALU_DEP_3)
	v_fma_f64 v[70:71], v[17:18], -v[19:20], v[70:71]
	v_fma_f64 v[38:39], v[36:37], v[38:39], s[0:1]
	s_mov_b32 s1, 0x3efa01a0
	s_mov_b32 s0, 0x197bcfd8
	s_delay_alu instid0(VALU_DEP_3) | instskip(SKIP_2) | instid1(VALU_DEP_2)
	v_fma_f64 v[48:49], v[36:37], v[48:49], s[2:3]
	s_mov_b32 s3, 0x3f2a01a0
	s_mov_b32 s2, 0x14761f6e
	v_fma_f64 v[38:39], v[36:37], v[38:39], s[0:1]
	s_mov_b32 s0, 0x19f4ec90
	s_delay_alu instid0(VALU_DEP_2)
	v_fma_f64 v[48:49], v[36:37], v[48:49], s[2:3]
	s_mov_b32 s2, 0x1ac1a723
	s_delay_alu instid0(VALU_DEP_2) | instid1(SALU_CYCLE_1)
	v_fma_f64 v[38:39], v[36:37], v[38:39], s[2:3]
	s_mov_b32 s2, 0xb42fdfa7
	s_mov_b32 s3, 0xbe5ae600
	s_delay_alu instid0(SALU_CYCLE_1) | instskip(SKIP_1) | instid1(VALU_DEP_4)
	v_fma_f64 v[66:67], v[64:65], s[6:7], s[2:3]
	v_fma_f64 v[84:85], v[68:69], s[6:7], s[2:3]
	v_fma_f64 v[48:49], v[36:37], v[48:49], s[10:11]
	s_mov_b32 s10, 0x16c18931
	v_fma_f64 v[96:97], v[82:83], s[6:7], s[2:3]
	s_mov_b32 s3, 0x3fc55555
	s_mov_b32 s2, 0x55555511
	s_mov_b32 s6, 11
	s_mov_b32 s7, 0x3fe00000
	v_fma_f64 v[38:39], v[36:37], v[38:39], s[10:11]
	s_mov_b32 s10, 0x9037ab78
	s_mov_b32 s11, 0x3e21eeb6
	s_delay_alu instid0(SALU_CYCLE_1)
	v_fma_f64 v[80:81], v[64:65], s[12:13], s[10:11]
	v_fma_f64 v[66:67], v[64:65], v[66:67], s[14:15]
	;; [unrolled: 1-line block ×3, first 2 shown]
	s_mov_b32 s16, 0x11110056
	v_fma_f64 v[84:85], v[68:69], v[84:85], s[14:15]
	v_fma_f64 v[100:101], v[68:69], s[12:13], s[10:11]
	;; [unrolled: 1-line block ×4, first 2 shown]
	s_mov_b32 s11, 0xbfc55555
	v_fma_f64 v[38:39], v[36:37], v[38:39], s[16:17]
	s_mov_b32 s16, 0x11110bb3
	v_fma_f64 v[80:81], v[64:65], v[80:81], s[18:19]
	v_fma_f64 v[66:67], v[64:65], v[66:67], s[20:21]
	;; [unrolled: 1-line block ×3, first 2 shown]
	s_mov_b32 s22, 0x55555552
	v_fma_f64 v[84:85], v[68:69], v[84:85], s[20:21]
	v_fma_f64 v[100:101], v[68:69], v[100:101], s[18:19]
	;; [unrolled: 1-line block ×4, first 2 shown]
	v_mul_f64 v[118:119], v[28:29], 0.5
	v_fma_f64 v[38:39], v[36:37], v[38:39], s[22:23]
	s_mov_b32 s22, 0x55555555
	s_delay_alu instid0(SALU_CYCLE_1)
	s_mov_b32 s10, s22
	v_fma_f64 v[80:81], v[64:65], v[80:81], s[0:1]
	v_fma_f64 v[66:67], v[64:65], v[66:67], s[16:17]
	;; [unrolled: 1-line block ×3, first 2 shown]
	s_mov_b32 s2, 0x55555557
	v_fma_f64 v[84:85], v[68:69], v[84:85], s[16:17]
	v_fma_f64 v[100:101], v[68:69], v[100:101], s[0:1]
	;; [unrolled: 1-line block ×3, first 2 shown]
	v_cmp_eq_f64_e64 s0, 0x40900000, v[34:35]
	v_fma_f64 v[96:97], v[82:83], v[96:97], s[16:17]
	v_add_f64 v[34:35], v[132:133], -v[98:99]
	v_fma_f64 v[38:39], v[36:37], v[38:39], s[2:3]
	s_mov_b32 s2, 0x16c16967
	s_mov_b32 s3, 0xbf56c16c
	s_delay_alu instid0(SALU_CYCLE_1)
	v_fma_f64 v[80:81], v[64:65], v[80:81], s[2:3]
	v_fma_f64 v[66:67], v[112:113], v[66:67], v[102:103]
	v_add_f64 v[102:103], -v[116:117], 1.0
	v_fma_f64 v[48:49], v[36:37], v[48:49], s[6:7]
	v_fma_f64 v[84:85], v[130:131], v[84:85], v[118:119]
	;; [unrolled: 1-line block ×3, first 2 shown]
	v_cmp_ngt_f64_e64 s6, 0xc090cc00, v[13:14]
	v_cndmask_b32_e64 v146, v55, 0x3ff, s0
	v_fma_f64 v[34:35], v[26:27], -v[28:29], v[34:35]
	s_delay_alu instid0(VALU_DEP_2)
	v_ldexp_f64 v[100:101], 1.0, v146
	v_fma_f64 v[38:39], v[36:37], v[38:39], 0.5
	v_fma_f64 v[80:81], v[64:65], v[80:81], s[22:23]
	v_fma_f64 v[19:20], v[64:65], v[66:67], -v[19:20]
	v_mul_f64 v[64:65], v[32:33], 0.5
	v_mul_f64 v[66:67], v[30:31], -v[82:83]
	v_add_f64 v[144:145], -v[102:103], 1.0
	v_fma_f64 v[28:29], v[68:69], v[84:85], -v[28:29]
	v_fma_f64 v[98:99], v[68:69], v[98:99], s[22:23]
	v_fma_f64 v[48:49], v[36:37], v[48:49], 1.0
	v_mul_f64 v[38:39], v[36:37], v[38:39]
	v_fma_f64 v[70:71], v[134:135], v[80:81], v[70:71]
	v_fma_f64 v[19:20], v[112:113], s[10:11], v[19:20]
	;; [unrolled: 1-line block ×4, first 2 shown]
	v_add_f64 v[80:81], v[144:145], -v[116:117]
	v_mul_f64 v[96:97], v[68:69], v[68:69]
	v_add_f64 v[68:69], v[100:101], -1.0
	v_fma_f64 v[28:29], v[130:131], s[10:11], v[28:29]
	v_cmp_class_f64_e64 s2, v[2:3], 0x1f8
	v_lshlrev_b32_e32 v2, 30, v52
	v_cmp_nlt_f64_e64 s3, s[4:5], v[13:14]
	v_cmp_nlt_f64_e64 s5, 0x40900000, v[13:14]
	v_cmp_ngt_f64_e64 s4, 0xc0428000, v[13:14]
	v_fma_f64 v[38:39], v[36:37], v[38:39], v[36:37]
	v_fma_f64 v[36:37], v[36:37], v[48:49], 1.0
	v_add_f64 v[70:71], v[86:87], v[70:71]
	v_add_f64 v[17:18], v[17:18], -v[19:20]
	v_mul_f64 v[19:20], v[82:83], v[82:83]
	v_fma_f64 v[84:85], v[82:83], v[112:113], s[22:23]
	v_fma_f64 v[80:81], v[30:31], -v[32:33], v[80:81]
	v_fma_f64 v[32:33], v[82:83], v[64:65], -v[32:33]
	v_fma_f64 v[34:35], v[96:97], v[98:99], v[34:35]
	v_and_b32_e32 v64, 1, v52
	v_add_f64 v[26:27], v[26:27], -v[28:29]
	s_delay_alu instid0(VALU_DEP_2) | instskip(SKIP_1) | instid1(VALU_DEP_2)
	v_cmp_eq_u32_e64 s1, 0, v64
	v_fma_f64 v[38:39], v[100:101], v[38:39], v[68:69]
	v_cndmask_b32_e64 v48, v70, v17, s1
	v_xor_b32_e32 v17, v2, v3
	v_cndmask_b32_e64 v28, v71, v18, s1
	v_fma_f64 v[2:3], v[19:20], v[84:85], v[80:81]
	v_fma_f64 v[19:20], v[66:67], s[10:11], v[32:33]
	v_add_f64 v[32:33], v[128:129], v[34:35]
	v_and_b32_e32 v49, 0x80000000, v17
	v_cndmask_b32_e64 v34, 0, v48, s2
	v_and_b32_e32 v48, 1, v53
	v_xor_b32_e32 v27, 0x80000000, v27
	s_delay_alu instid0(VALU_DEP_4) | instskip(SKIP_1) | instid1(VALU_DEP_4)
	v_xor_b32_e32 v35, v28, v49
	v_ldexp_f64 v[28:29], v[36:37], v55
	v_cmp_eq_u32_e64 s1, 0, v48
	s_delay_alu instid0(VALU_DEP_3) | instskip(SKIP_2) | instid1(VALU_DEP_3)
	v_cndmask_b32_e64 v35, 0x7ff80000, v35, s2
	v_cmp_class_f64_e64 s2, v[15:16], 0x1f8
	v_lshlrev_b32_e32 v15, 30, v54
	v_add_f64 v[36:37], v[34:35], v[34:35]
	s_delay_alu instid0(VALU_DEP_2) | instskip(NEXT) | instid1(VALU_DEP_1)
	v_xor_b32_e32 v15, v15, v16
	v_and_b32_e32 v15, 0x80000000, v15
	v_add_f64 v[17:18], v[38:39], v[38:39]
	v_add_f64 v[2:3], v[102:103], v[2:3]
	v_add_f64 v[19:20], v[30:31], -v[19:20]
	v_and_b32_e32 v30, 1, v54
	v_lshlrev_b32_e32 v31, 30, v53
	v_cndmask_b32_e64 v27, v27, v33, s1
	v_cndmask_b32_e64 v26, v26, v32, s1
	s_delay_alu instid0(VALU_DEP_4) | instskip(NEXT) | instid1(VALU_DEP_4)
	v_cmp_eq_u32_e64 s7, 0, v30
	v_and_b32_e32 v16, 0x80000000, v31
	v_cndmask_b32_e64 v29, 0x7ff00000, v29, s5
	v_mul_f64 v[13:14], v[36:37], v[34:35]
	v_cndmask_b32_e64 v18, v39, v18, s0
	v_cndmask_b32_e64 v17, v38, v17, s0
	s_and_b32 s0, s4, s3
	s_delay_alu instid0(VALU_DEP_2) | instskip(NEXT) | instid1(VALU_DEP_2)
	v_cndmask_b32_e64 v18, 0x7ff00000, v18, s3
	v_cndmask_b32_e64 v17, 0, v17, s0
	s_and_b32 s0, s6, s5
	v_cndmask_b32_e64 v19, v2, v19, s7
	v_cndmask_b32_e64 v2, v3, v20, s7
	v_xor_b32_e32 v3, v27, v16
	v_cndmask_b32_e64 v20, 0, v29, s6
	v_cndmask_b32_e64 v18, 0xbff00000, v18, s4
	s_delay_alu instid0(VALU_DEP_4)
	v_xor_b32_e32 v16, v2, v15
	v_cndmask_b32_e64 v2, 0, v26, s2
	v_cndmask_b32_e64 v3, 0x7ff80000, v3, s2
	;; [unrolled: 1-line block ×5, first 2 shown]
	s_delay_alu instid0(VALU_DEP_1)
	v_mul_f64 v[19:20], v[19:20], v[15:16]
	v_fma_f64 v[17:18], v[17:18], v[2:3], -v[13:14]
.LBB122_50:
	s_or_b32 exec_lo, exec_lo, s9
	v_dual_mov_b32 v13, 0 :: v_dual_add_nc_u32 v2, 0x300, v50
	v_mov_b32_e32 v14, 0
	s_mov_b32 s9, exec_lo
	s_delay_alu instid0(VALU_DEP_1) | instskip(NEXT) | instid1(VALU_DEP_3)
	v_dual_mov_b32 v16, v14 :: v_dual_mov_b32 v15, v13
	v_cmpx_lt_i32_e64 v2, v4
	s_cbranch_execz .LBB122_57
; %bb.51:
	v_mul_f64 v[2:3], v[7:8], 0.5
                                        ; implicit-def: $vgpr52
                                        ; implicit-def: $vgpr13_vgpr14
                                        ; implicit-def: $vgpr15_vgpr16
	s_mov_b32 s1, exec_lo
	s_delay_alu instid0(VALU_DEP_1)
	v_cmpx_ngt_f64_e64 0x41d00000, |v[2:3]|
	s_xor_b32 s2, exec_lo, s1
	s_cbranch_execz .LBB122_53
; %bb.52:
	v_ldexp_f64 v[13:14], |v[2:3]|, 0xffffff80
	v_cmp_le_f64_e64 s0, 0x7b000000, |v[2:3]|
	v_trig_preop_f64 v[15:16], |v[2:3]|, 0
	v_and_b32_e32 v26, 0x7fffffff, v3
	v_trig_preop_f64 v[36:37], |v[2:3]|, 2
	v_mov_b32_e32 v54, 0
	s_mov_b32 s4, 0x33145c07
	s_mov_b32 s5, 0x3c91a626
	v_cndmask_b32_e64 v14, v26, v14, s0
	v_cndmask_b32_e64 v13, v2, v13, s0
	v_trig_preop_f64 v[26:27], |v[2:3]|, 1
	s_delay_alu instid0(VALU_DEP_2) | instskip(SKIP_1) | instid1(VALU_DEP_3)
	v_mul_f64 v[28:29], v[15:16], v[13:14]
	v_mul_f64 v[52:53], v[36:37], v[13:14]
	;; [unrolled: 1-line block ×3, first 2 shown]
	s_delay_alu instid0(VALU_DEP_3) | instskip(NEXT) | instid1(VALU_DEP_2)
	v_fma_f64 v[15:16], v[15:16], v[13:14], -v[28:29]
	v_fma_f64 v[26:27], v[26:27], v[13:14], -v[30:31]
	s_delay_alu instid0(VALU_DEP_4) | instskip(NEXT) | instid1(VALU_DEP_3)
	v_fma_f64 v[13:14], v[36:37], v[13:14], -v[52:53]
	v_add_f64 v[32:33], v[30:31], v[15:16]
	s_delay_alu instid0(VALU_DEP_1) | instskip(SKIP_1) | instid1(VALU_DEP_2)
	v_add_f64 v[34:35], v[32:33], -v[30:31]
	v_add_f64 v[48:49], v[28:29], v[32:33]
	v_add_f64 v[38:39], v[32:33], -v[34:35]
	v_add_f64 v[15:16], v[15:16], -v[34:35]
	s_delay_alu instid0(VALU_DEP_3) | instskip(SKIP_1) | instid1(VALU_DEP_4)
	v_ldexp_f64 v[34:35], v[48:49], -2
	v_add_f64 v[28:29], v[48:49], -v[28:29]
	v_add_f64 v[30:31], v[30:31], -v[38:39]
	v_add_f64 v[38:39], v[52:53], v[26:27]
	s_delay_alu instid0(VALU_DEP_4) | instskip(NEXT) | instid1(VALU_DEP_4)
	v_cmp_neq_f64_e64 s0, 0x7ff00000, |v[34:35]|
	v_add_f64 v[28:29], v[32:33], -v[28:29]
	s_delay_alu instid0(VALU_DEP_4) | instskip(SKIP_1) | instid1(VALU_DEP_2)
	v_add_f64 v[15:16], v[15:16], v[30:31]
	v_fract_f64_e32 v[30:31], v[34:35]
	v_add_f64 v[32:33], v[38:39], v[15:16]
	s_delay_alu instid0(VALU_DEP_2) | instskip(NEXT) | instid1(VALU_DEP_3)
	v_cndmask_b32_e64 v31, 0, v31, s0
	v_cndmask_b32_e64 v30, 0, v30, s0
	s_delay_alu instid0(VALU_DEP_1) | instskip(NEXT) | instid1(VALU_DEP_4)
	v_ldexp_f64 v[30:31], v[30:31], 2
	v_add_f64 v[34:35], v[28:29], v[32:33]
	v_add_f64 v[64:65], v[32:33], -v[38:39]
	s_delay_alu instid0(VALU_DEP_2) | instskip(NEXT) | instid1(VALU_DEP_2)
	v_add_f64 v[48:49], v[34:35], v[30:31]
	v_add_f64 v[70:71], v[32:33], -v[64:65]
	v_add_f64 v[15:16], v[15:16], -v[64:65]
	;; [unrolled: 1-line block ×3, first 2 shown]
	s_delay_alu instid0(VALU_DEP_4) | instskip(SKIP_1) | instid1(VALU_DEP_3)
	v_cmp_gt_f64_e64 s0, 0, v[48:49]
	v_add_f64 v[48:49], v[38:39], -v[52:53]
	v_add_f64 v[28:29], v[32:33], -v[28:29]
	s_delay_alu instid0(VALU_DEP_3) | instskip(NEXT) | instid1(VALU_DEP_3)
	v_cndmask_b32_e64 v55, 0, 0x40100000, s0
	v_add_f64 v[68:69], v[38:39], -v[48:49]
	v_add_f64 v[26:27], v[26:27], -v[48:49]
	;; [unrolled: 1-line block ×3, first 2 shown]
	s_delay_alu instid0(VALU_DEP_4) | instskip(NEXT) | instid1(VALU_DEP_4)
	v_add_f64 v[30:31], v[30:31], v[54:55]
	v_add_f64 v[48:49], v[52:53], -v[68:69]
	s_delay_alu instid0(VALU_DEP_3) | instskip(NEXT) | instid1(VALU_DEP_3)
	v_add_f64 v[15:16], v[15:16], v[38:39]
	v_add_f64 v[66:67], v[34:35], v[30:31]
	s_delay_alu instid0(VALU_DEP_3) | instskip(NEXT) | instid1(VALU_DEP_2)
	v_add_f64 v[26:27], v[26:27], v[48:49]
	v_cvt_i32_f64_e32 v55, v[66:67]
	s_delay_alu instid0(VALU_DEP_2) | instskip(NEXT) | instid1(VALU_DEP_2)
	v_add_f64 v[15:16], v[26:27], v[15:16]
	v_cvt_f64_i32_e32 v[64:65], v55
	s_delay_alu instid0(VALU_DEP_2) | instskip(NEXT) | instid1(VALU_DEP_2)
	v_add_f64 v[13:14], v[13:14], v[15:16]
	v_add_f64 v[30:31], v[30:31], -v[64:65]
	s_delay_alu instid0(VALU_DEP_2) | instskip(NEXT) | instid1(VALU_DEP_2)
	v_add_f64 v[13:14], v[28:29], v[13:14]
	v_add_f64 v[26:27], v[34:35], v[30:31]
	s_delay_alu instid0(VALU_DEP_1) | instskip(SKIP_1) | instid1(VALU_DEP_2)
	v_add_f64 v[15:16], v[26:27], -v[30:31]
	v_cmp_le_f64_e64 s0, 0.5, v[26:27]
	v_add_f64 v[15:16], v[34:35], -v[15:16]
	s_delay_alu instid0(VALU_DEP_2) | instskip(SKIP_3) | instid1(VALU_DEP_3)
	v_add_co_ci_u32_e64 v52, s1, 0, v55, s0
	v_cndmask_b32_e64 v55, 0, 0x3ff00000, s0
	s_mov_b32 s0, 0x54442d18
	s_mov_b32 s1, 0x3ff921fb
	v_add_f64 v[13:14], v[13:14], v[15:16]
	s_delay_alu instid0(VALU_DEP_2) | instskip(NEXT) | instid1(VALU_DEP_1)
	v_add_f64 v[15:16], v[26:27], -v[54:55]
	v_add_f64 v[26:27], v[15:16], v[13:14]
	s_delay_alu instid0(VALU_DEP_1) | instskip(SKIP_1) | instid1(VALU_DEP_2)
	v_mul_f64 v[28:29], v[26:27], s[0:1]
	v_add_f64 v[15:16], v[26:27], -v[15:16]
	v_fma_f64 v[30:31], v[26:27], s[0:1], -v[28:29]
	s_delay_alu instid0(VALU_DEP_2) | instskip(NEXT) | instid1(VALU_DEP_2)
	v_add_f64 v[13:14], v[13:14], -v[15:16]
	v_fma_f64 v[15:16], v[26:27], s[4:5], v[30:31]
	s_delay_alu instid0(VALU_DEP_1) | instskip(NEXT) | instid1(VALU_DEP_1)
	v_fma_f64 v[15:16], v[13:14], s[0:1], v[15:16]
	v_add_f64 v[13:14], v[28:29], v[15:16]
	s_delay_alu instid0(VALU_DEP_1) | instskip(NEXT) | instid1(VALU_DEP_1)
	v_add_f64 v[26:27], v[13:14], -v[28:29]
	v_add_f64 v[15:16], v[15:16], -v[26:27]
.LBB122_53:
	s_and_not1_saveexec_b32 s0, s2
	s_cbranch_execz .LBB122_55
; %bb.54:
	s_mov_b32 s2, 0x6dc9c883
	s_mov_b32 s3, 0x3fe45f30
	;; [unrolled: 1-line block ×3, first 2 shown]
	v_mul_f64 v[13:14], |v[2:3]|, s[2:3]
	s_mov_b32 s2, 0x54442d18
	s_mov_b32 s3, 0xbff921fb
	;; [unrolled: 1-line block ×3, first 2 shown]
	s_delay_alu instid0(VALU_DEP_1) | instskip(NEXT) | instid1(VALU_DEP_1)
	v_rndne_f64_e32 v[26:27], v[13:14]
	v_fma_f64 v[13:14], v[26:27], s[2:3], |v[2:3]|
	v_mul_f64 v[15:16], v[26:27], s[4:5]
	s_mov_b32 s2, 0x252049c0
	s_mov_b32 s3, 0xb97b839a
	v_cvt_i32_f64_e32 v52, v[26:27]
	s_delay_alu instid0(VALU_DEP_3) | instskip(NEXT) | instid1(VALU_DEP_3)
	v_fma_f64 v[30:31], v[26:27], s[4:5], v[13:14]
	v_add_f64 v[28:29], v[13:14], v[15:16]
	s_mov_b32 s5, 0x3c91a626
	s_delay_alu instid0(VALU_DEP_1) | instskip(NEXT) | instid1(VALU_DEP_3)
	v_add_f64 v[13:14], v[13:14], -v[28:29]
	v_add_f64 v[28:29], v[28:29], -v[30:31]
	s_delay_alu instid0(VALU_DEP_2) | instskip(SKIP_1) | instid1(VALU_DEP_2)
	v_add_f64 v[13:14], v[13:14], v[15:16]
	v_fma_f64 v[15:16], v[26:27], s[4:5], v[15:16]
	v_add_f64 v[13:14], v[28:29], v[13:14]
	s_delay_alu instid0(VALU_DEP_1) | instskip(NEXT) | instid1(VALU_DEP_1)
	v_add_f64 v[13:14], v[13:14], -v[15:16]
	v_fma_f64 v[15:16], v[26:27], s[2:3], v[13:14]
	s_delay_alu instid0(VALU_DEP_1) | instskip(NEXT) | instid1(VALU_DEP_1)
	v_add_f64 v[13:14], v[30:31], v[15:16]
	v_add_f64 v[28:29], v[13:14], -v[30:31]
	s_delay_alu instid0(VALU_DEP_1)
	v_add_f64 v[15:16], v[15:16], -v[28:29]
.LBB122_55:
	s_or_b32 exec_lo, exec_lo, s0
	v_cmp_ngt_f64_e64 s2, 0x41d00000, |v[7:8]|
	v_trig_preop_f64 v[38:39], |v[7:8]|, 0
	v_trig_preop_f64 v[36:37], |v[7:8]|, 1
	v_ldexp_f64 v[48:49], |v[7:8]|, 0xffffff80
	v_trig_preop_f64 v[34:35], |v[7:8]|, 2
	v_and_b32_e32 v55, 0x7fffffff, v8
                                        ; implicit-def: $vgpr53
                                        ; implicit-def: $vgpr26_vgpr27
                                        ; implicit-def: $vgpr28_vgpr29
	s_and_saveexec_b32 s0, s2
	s_delay_alu instid0(SALU_CYCLE_1)
	s_xor_b32 s3, exec_lo, s0
	s_cbranch_execz .LBB122_62
; %bb.56:
	v_cmp_le_f64_e64 s0, 0x7b000000, |v[7:8]|
	v_mov_b32_e32 v82, 0
	s_mov_b32 s4, 0x33145c07
	s_mov_b32 s5, 0x3c91a626
	s_delay_alu instid0(VALU_DEP_2) | instskip(SKIP_1) | instid1(VALU_DEP_1)
	v_cndmask_b32_e64 v27, v55, v49, s0
	v_cndmask_b32_e64 v26, v7, v48, s0
	v_mul_f64 v[28:29], v[38:39], v[26:27]
	v_mul_f64 v[30:31], v[36:37], v[26:27]
	v_mul_f64 v[70:71], v[34:35], v[26:27]
	s_delay_alu instid0(VALU_DEP_3) | instskip(NEXT) | instid1(VALU_DEP_3)
	v_fma_f64 v[32:33], v[38:39], v[26:27], -v[28:29]
	v_fma_f64 v[80:81], v[36:37], v[26:27], -v[30:31]
	s_delay_alu instid0(VALU_DEP_3) | instskip(NEXT) | instid1(VALU_DEP_3)
	v_fma_f64 v[26:27], v[34:35], v[26:27], -v[70:71]
	v_add_f64 v[53:54], v[30:31], v[32:33]
	s_delay_alu instid0(VALU_DEP_1) | instskip(SKIP_1) | instid1(VALU_DEP_2)
	v_add_f64 v[64:65], v[53:54], -v[30:31]
	v_add_f64 v[68:69], v[28:29], v[53:54]
	v_add_f64 v[66:67], v[53:54], -v[64:65]
	v_add_f64 v[32:33], v[32:33], -v[64:65]
	s_delay_alu instid0(VALU_DEP_3) | instskip(SKIP_1) | instid1(VALU_DEP_4)
	v_ldexp_f64 v[64:65], v[68:69], -2
	v_add_f64 v[28:29], v[68:69], -v[28:29]
	v_add_f64 v[30:31], v[30:31], -v[66:67]
	v_add_f64 v[66:67], v[70:71], v[80:81]
	s_delay_alu instid0(VALU_DEP_4) | instskip(NEXT) | instid1(VALU_DEP_4)
	v_cmp_neq_f64_e64 s0, 0x7ff00000, |v[64:65]|
	v_add_f64 v[28:29], v[53:54], -v[28:29]
	s_delay_alu instid0(VALU_DEP_4) | instskip(SKIP_1) | instid1(VALU_DEP_2)
	v_add_f64 v[30:31], v[32:33], v[30:31]
	v_fract_f64_e32 v[32:33], v[64:65]
	v_add_f64 v[53:54], v[66:67], v[30:31]
	s_delay_alu instid0(VALU_DEP_2) | instskip(NEXT) | instid1(VALU_DEP_3)
	v_cndmask_b32_e64 v33, 0, v33, s0
	v_cndmask_b32_e64 v32, 0, v32, s0
	s_delay_alu instid0(VALU_DEP_1) | instskip(NEXT) | instid1(VALU_DEP_4)
	v_ldexp_f64 v[32:33], v[32:33], 2
	v_add_f64 v[64:65], v[28:29], v[53:54]
	s_delay_alu instid0(VALU_DEP_1) | instskip(SKIP_1) | instid1(VALU_DEP_2)
	v_add_f64 v[68:69], v[64:65], v[32:33]
	v_add_f64 v[28:29], v[64:65], -v[28:29]
	v_cmp_gt_f64_e64 s0, 0, v[68:69]
	v_add_f64 v[68:69], v[66:67], -v[70:71]
	s_delay_alu instid0(VALU_DEP_3) | instskip(NEXT) | instid1(VALU_DEP_3)
	v_add_f64 v[28:29], v[53:54], -v[28:29]
	v_cndmask_b32_e64 v83, 0, 0x40100000, s0
	s_delay_alu instid0(VALU_DEP_3) | instskip(SKIP_1) | instid1(VALU_DEP_3)
	v_add_f64 v[96:97], v[66:67], -v[68:69]
	v_add_f64 v[68:69], v[80:81], -v[68:69]
	v_add_f64 v[32:33], v[32:33], v[82:83]
	v_add_f64 v[83:84], v[53:54], -v[66:67]
	s_delay_alu instid0(VALU_DEP_4) | instskip(NEXT) | instid1(VALU_DEP_3)
	v_add_f64 v[80:81], v[70:71], -v[96:97]
	v_add_f64 v[85:86], v[64:65], v[32:33]
	s_delay_alu instid0(VALU_DEP_3) | instskip(SKIP_1) | instid1(VALU_DEP_4)
	v_add_f64 v[98:99], v[53:54], -v[83:84]
	v_add_f64 v[30:31], v[30:31], -v[83:84]
	v_add_f64 v[68:69], v[68:69], v[80:81]
	s_delay_alu instid0(VALU_DEP_4) | instskip(NEXT) | instid1(VALU_DEP_4)
	v_cvt_i32_f64_e32 v85, v[85:86]
	v_add_f64 v[66:67], v[66:67], -v[98:99]
	s_delay_alu instid0(VALU_DEP_2) | instskip(NEXT) | instid1(VALU_DEP_2)
	v_cvt_f64_i32_e32 v[83:84], v85
	v_add_f64 v[30:31], v[30:31], v[66:67]
	s_delay_alu instid0(VALU_DEP_2) | instskip(NEXT) | instid1(VALU_DEP_2)
	v_add_f64 v[32:33], v[32:33], -v[83:84]
	v_add_f64 v[30:31], v[68:69], v[30:31]
	s_delay_alu instid0(VALU_DEP_2) | instskip(NEXT) | instid1(VALU_DEP_2)
	v_add_f64 v[66:67], v[64:65], v[32:33]
	v_add_f64 v[26:27], v[26:27], v[30:31]
	s_delay_alu instid0(VALU_DEP_2) | instskip(SKIP_1) | instid1(VALU_DEP_3)
	v_add_f64 v[30:31], v[66:67], -v[32:33]
	v_cmp_le_f64_e64 s0, 0.5, v[66:67]
	v_add_f64 v[26:27], v[28:29], v[26:27]
	s_delay_alu instid0(VALU_DEP_3) | instskip(NEXT) | instid1(VALU_DEP_3)
	v_add_f64 v[28:29], v[64:65], -v[30:31]
	v_cndmask_b32_e64 v83, 0, 0x3ff00000, s0
	v_add_co_ci_u32_e64 v53, s1, 0, v85, s0
	s_mov_b32 s0, 0x54442d18
	s_mov_b32 s1, 0x3ff921fb
	s_delay_alu instid0(VALU_DEP_3) | instskip(SKIP_1) | instid1(VALU_DEP_1)
	v_add_f64 v[26:27], v[26:27], v[28:29]
	v_add_f64 v[28:29], v[66:67], -v[82:83]
	v_add_f64 v[30:31], v[28:29], v[26:27]
	s_delay_alu instid0(VALU_DEP_1) | instskip(SKIP_1) | instid1(VALU_DEP_2)
	v_mul_f64 v[32:33], v[30:31], s[0:1]
	v_add_f64 v[28:29], v[30:31], -v[28:29]
	v_fma_f64 v[64:65], v[30:31], s[0:1], -v[32:33]
	s_delay_alu instid0(VALU_DEP_2) | instskip(NEXT) | instid1(VALU_DEP_2)
	v_add_f64 v[26:27], v[26:27], -v[28:29]
	v_fma_f64 v[28:29], v[30:31], s[4:5], v[64:65]
	s_delay_alu instid0(VALU_DEP_1) | instskip(NEXT) | instid1(VALU_DEP_1)
	v_fma_f64 v[28:29], v[26:27], s[0:1], v[28:29]
	v_add_f64 v[26:27], v[32:33], v[28:29]
	s_delay_alu instid0(VALU_DEP_1) | instskip(NEXT) | instid1(VALU_DEP_1)
	v_add_f64 v[30:31], v[26:27], -v[32:33]
	v_add_f64 v[28:29], v[28:29], -v[30:31]
	s_and_not1_saveexec_b32 s0, s3
	s_cbranch_execz .LBB122_64
	s_branch .LBB122_63
.LBB122_57:
	s_or_b32 exec_lo, exec_lo, s9
	s_and_saveexec_b32 s0, vcc_lo
	s_delay_alu instid0(SALU_CYCLE_1)
	s_xor_b32 s0, exec_lo, s0
	s_cbranch_execz .LBB122_69
.LBB122_58:
	v_mov_b32_e32 v26, 0
	v_mov_b32_e32 v50, v51
	s_delay_alu instid0(VALU_DEP_2) | instskip(NEXT) | instid1(VALU_DEP_1)
	v_lshlrev_b64 v[2:3], 4, v[25:26]
	v_add_co_u32 v2, vcc_lo, v0, v2
	s_delay_alu instid0(VALU_DEP_2) | instskip(SKIP_2) | instid1(SALU_CYCLE_1)
	v_add_co_ci_u32_e32 v3, vcc_lo, v1, v3, vcc_lo
	flat_store_b128 v[2:3], v[9:12]
	s_or_b32 exec_lo, exec_lo, s0
	s_mov_b32 s0, exec_lo
	v_cmpx_lt_i32_e64 v50, v4
	s_cbranch_execnz .LBB122_70
.LBB122_59:
	s_or_b32 exec_lo, exec_lo, s0
	s_delay_alu instid0(SALU_CYCLE_1)
	s_mov_b32 s0, exec_lo
	v_cmpx_lt_i32_e64 v50, v4
	s_cbranch_execz .LBB122_71
.LBB122_60:
	v_dual_mov_b32 v3, 0 :: v_dual_add_nc_u32 v2, s8, v50
	v_add_nc_u32_e32 v50, 0x100, v50
	s_delay_alu instid0(VALU_DEP_2) | instskip(NEXT) | instid1(VALU_DEP_1)
	v_lshlrev_b64 v[2:3], 4, v[2:3]
	v_add_co_u32 v2, vcc_lo, v0, v2
	s_delay_alu instid0(VALU_DEP_2) | instskip(SKIP_2) | instid1(SALU_CYCLE_1)
	v_add_co_ci_u32_e32 v3, vcc_lo, v1, v3, vcc_lo
	flat_store_b128 v[2:3], v[17:20]
	s_or_b32 exec_lo, exec_lo, s0
	s_mov_b32 s0, exec_lo
	v_cmpx_lt_i32_e64 v50, v4
	s_cbranch_execnz .LBB122_72
.LBB122_61:
	s_or_b32 exec_lo, exec_lo, s0
	s_waitcnt lgkmcnt(0)
	s_setpc_b64 s[30:31]
.LBB122_62:
	s_and_not1_saveexec_b32 s0, s3
	s_cbranch_execz .LBB122_64
.LBB122_63:
	s_mov_b32 s4, 0x6dc9c883
	s_mov_b32 s5, 0x3fe45f30
	;; [unrolled: 1-line block ×3, first 2 shown]
	v_mul_f64 v[26:27], |v[7:8]|, s[4:5]
	s_mov_b32 s4, 0x54442d18
	s_mov_b32 s5, 0xbff921fb
	;; [unrolled: 1-line block ×3, first 2 shown]
	s_delay_alu instid0(VALU_DEP_1) | instskip(NEXT) | instid1(VALU_DEP_1)
	v_rndne_f64_e32 v[30:31], v[26:27]
	v_fma_f64 v[26:27], v[30:31], s[4:5], |v[7:8]|
	v_mul_f64 v[28:29], v[30:31], s[6:7]
	s_mov_b32 s4, 0x252049c0
	s_mov_b32 s5, 0xb97b839a
	s_delay_alu instid0(VALU_DEP_2) | instskip(NEXT) | instid1(VALU_DEP_2)
	v_fma_f64 v[53:54], v[30:31], s[6:7], v[26:27]
	v_add_f64 v[32:33], v[26:27], v[28:29]
	s_mov_b32 s7, 0x3c91a626
	s_delay_alu instid0(VALU_DEP_1) | instskip(NEXT) | instid1(VALU_DEP_3)
	v_add_f64 v[26:27], v[26:27], -v[32:33]
	v_add_f64 v[32:33], v[32:33], -v[53:54]
	s_delay_alu instid0(VALU_DEP_2) | instskip(SKIP_1) | instid1(VALU_DEP_2)
	v_add_f64 v[26:27], v[26:27], v[28:29]
	v_fma_f64 v[28:29], v[30:31], s[6:7], v[28:29]
	v_add_f64 v[26:27], v[32:33], v[26:27]
	s_delay_alu instid0(VALU_DEP_1) | instskip(NEXT) | instid1(VALU_DEP_1)
	v_add_f64 v[26:27], v[26:27], -v[28:29]
	v_fma_f64 v[28:29], v[30:31], s[4:5], v[26:27]
	s_delay_alu instid0(VALU_DEP_1) | instskip(NEXT) | instid1(VALU_DEP_1)
	v_add_f64 v[26:27], v[53:54], v[28:29]
	v_add_f64 v[32:33], v[26:27], -v[53:54]
	v_cvt_i32_f64_e32 v53, v[30:31]
	s_delay_alu instid0(VALU_DEP_2)
	v_add_f64 v[28:29], v[28:29], -v[32:33]
.LBB122_64:
	s_or_b32 exec_lo, exec_lo, s0
                                        ; implicit-def: $vgpr54
                                        ; implicit-def: $vgpr30_vgpr31
                                        ; implicit-def: $vgpr32_vgpr33
	s_and_saveexec_b32 s0, s2
	s_delay_alu instid0(SALU_CYCLE_1)
	s_xor_b32 s2, exec_lo, s0
	s_cbranch_execz .LBB122_66
; %bb.65:
	v_cmp_le_f64_e64 s0, 0x7b000000, |v[7:8]|
	v_mov_b32_e32 v80, 0
	s_mov_b32 s4, 0x33145c07
	s_mov_b32 s5, 0x3c91a626
	s_delay_alu instid0(VALU_DEP_2) | instskip(SKIP_1) | instid1(VALU_DEP_1)
	v_cndmask_b32_e64 v31, v55, v49, s0
	v_cndmask_b32_e64 v30, v7, v48, s0
	v_mul_f64 v[32:33], v[38:39], v[30:31]
	v_mul_f64 v[48:49], v[36:37], v[30:31]
	;; [unrolled: 1-line block ×3, first 2 shown]
	s_delay_alu instid0(VALU_DEP_3) | instskip(NEXT) | instid1(VALU_DEP_3)
	v_fma_f64 v[38:39], v[38:39], v[30:31], -v[32:33]
	v_fma_f64 v[36:37], v[36:37], v[30:31], -v[48:49]
	s_delay_alu instid0(VALU_DEP_3) | instskip(NEXT) | instid1(VALU_DEP_3)
	v_fma_f64 v[30:31], v[34:35], v[30:31], -v[70:71]
	v_add_f64 v[54:55], v[48:49], v[38:39]
	s_delay_alu instid0(VALU_DEP_1) | instskip(SKIP_1) | instid1(VALU_DEP_2)
	v_add_f64 v[64:65], v[54:55], -v[48:49]
	v_add_f64 v[68:69], v[32:33], v[54:55]
	v_add_f64 v[66:67], v[54:55], -v[64:65]
	v_add_f64 v[38:39], v[38:39], -v[64:65]
	s_delay_alu instid0(VALU_DEP_3) | instskip(SKIP_1) | instid1(VALU_DEP_4)
	v_ldexp_f64 v[64:65], v[68:69], -2
	v_add_f64 v[32:33], v[68:69], -v[32:33]
	v_add_f64 v[48:49], v[48:49], -v[66:67]
	v_add_f64 v[66:67], v[70:71], v[36:37]
	s_delay_alu instid0(VALU_DEP_4) | instskip(NEXT) | instid1(VALU_DEP_4)
	v_cmp_neq_f64_e64 s0, 0x7ff00000, |v[64:65]|
	v_add_f64 v[32:33], v[54:55], -v[32:33]
	s_delay_alu instid0(VALU_DEP_4) | instskip(SKIP_1) | instid1(VALU_DEP_2)
	v_add_f64 v[38:39], v[38:39], v[48:49]
	v_fract_f64_e32 v[48:49], v[64:65]
	v_add_f64 v[54:55], v[66:67], v[38:39]
	s_delay_alu instid0(VALU_DEP_2) | instskip(NEXT) | instid1(VALU_DEP_3)
	v_cndmask_b32_e64 v49, 0, v49, s0
	v_cndmask_b32_e64 v48, 0, v48, s0
	s_delay_alu instid0(VALU_DEP_1) | instskip(NEXT) | instid1(VALU_DEP_4)
	v_ldexp_f64 v[48:49], v[48:49], 2
	v_add_f64 v[64:65], v[32:33], v[54:55]
	s_delay_alu instid0(VALU_DEP_1) | instskip(SKIP_1) | instid1(VALU_DEP_2)
	v_add_f64 v[68:69], v[64:65], v[48:49]
	v_add_f64 v[32:33], v[64:65], -v[32:33]
	v_cmp_gt_f64_e64 s0, 0, v[68:69]
	v_add_f64 v[68:69], v[66:67], -v[70:71]
	s_delay_alu instid0(VALU_DEP_3) | instskip(NEXT) | instid1(VALU_DEP_3)
	v_add_f64 v[32:33], v[54:55], -v[32:33]
	v_cndmask_b32_e64 v81, 0, 0x40100000, s0
	s_delay_alu instid0(VALU_DEP_3) | instskip(SKIP_1) | instid1(VALU_DEP_3)
	v_add_f64 v[85:86], v[66:67], -v[68:69]
	v_add_f64 v[36:37], v[36:37], -v[68:69]
	v_add_f64 v[48:49], v[48:49], v[80:81]
	v_add_f64 v[81:82], v[54:55], -v[66:67]
	s_delay_alu instid0(VALU_DEP_4) | instskip(NEXT) | instid1(VALU_DEP_3)
	v_add_f64 v[68:69], v[70:71], -v[85:86]
	v_add_f64 v[83:84], v[64:65], v[48:49]
	s_delay_alu instid0(VALU_DEP_3) | instskip(SKIP_1) | instid1(VALU_DEP_4)
	v_add_f64 v[96:97], v[54:55], -v[81:82]
	v_add_f64 v[38:39], v[38:39], -v[81:82]
	v_add_f64 v[36:37], v[36:37], v[68:69]
	s_delay_alu instid0(VALU_DEP_4) | instskip(NEXT) | instid1(VALU_DEP_4)
	v_cvt_i32_f64_e32 v83, v[83:84]
	v_add_f64 v[66:67], v[66:67], -v[96:97]
	s_delay_alu instid0(VALU_DEP_2) | instskip(NEXT) | instid1(VALU_DEP_2)
	v_cvt_f64_i32_e32 v[81:82], v83
	v_add_f64 v[38:39], v[38:39], v[66:67]
	s_delay_alu instid0(VALU_DEP_2) | instskip(NEXT) | instid1(VALU_DEP_2)
	v_add_f64 v[48:49], v[48:49], -v[81:82]
	v_add_f64 v[34:35], v[36:37], v[38:39]
	s_delay_alu instid0(VALU_DEP_2) | instskip(NEXT) | instid1(VALU_DEP_2)
	v_add_f64 v[36:37], v[64:65], v[48:49]
	v_add_f64 v[30:31], v[30:31], v[34:35]
	s_delay_alu instid0(VALU_DEP_2) | instskip(SKIP_1) | instid1(VALU_DEP_3)
	v_add_f64 v[34:35], v[36:37], -v[48:49]
	v_cmp_le_f64_e64 s0, 0.5, v[36:37]
	v_add_f64 v[30:31], v[32:33], v[30:31]
	s_delay_alu instid0(VALU_DEP_3) | instskip(NEXT) | instid1(VALU_DEP_3)
	v_add_f64 v[32:33], v[64:65], -v[34:35]
	v_cndmask_b32_e64 v81, 0, 0x3ff00000, s0
	v_add_co_ci_u32_e64 v54, s1, 0, v83, s0
	s_mov_b32 s0, 0x54442d18
	s_mov_b32 s1, 0x3ff921fb
	s_delay_alu instid0(VALU_DEP_3) | instskip(SKIP_1) | instid1(VALU_DEP_1)
	v_add_f64 v[30:31], v[30:31], v[32:33]
	v_add_f64 v[32:33], v[36:37], -v[80:81]
	v_add_f64 v[34:35], v[32:33], v[30:31]
	s_delay_alu instid0(VALU_DEP_1) | instskip(SKIP_1) | instid1(VALU_DEP_2)
	v_mul_f64 v[36:37], v[34:35], s[0:1]
	v_add_f64 v[32:33], v[34:35], -v[32:33]
	v_fma_f64 v[38:39], v[34:35], s[0:1], -v[36:37]
	s_delay_alu instid0(VALU_DEP_2) | instskip(NEXT) | instid1(VALU_DEP_2)
	v_add_f64 v[30:31], v[30:31], -v[32:33]
	v_fma_f64 v[32:33], v[34:35], s[4:5], v[38:39]
	s_delay_alu instid0(VALU_DEP_1) | instskip(NEXT) | instid1(VALU_DEP_1)
	v_fma_f64 v[32:33], v[30:31], s[0:1], v[32:33]
	v_add_f64 v[30:31], v[36:37], v[32:33]
	s_delay_alu instid0(VALU_DEP_1) | instskip(NEXT) | instid1(VALU_DEP_1)
	v_add_f64 v[34:35], v[30:31], -v[36:37]
	v_add_f64 v[32:33], v[32:33], -v[34:35]
	s_and_not1_saveexec_b32 s0, s2
	s_cbranch_execnz .LBB122_67
	s_branch .LBB122_68
.LBB122_66:
	s_and_not1_saveexec_b32 s0, s2
	s_cbranch_execz .LBB122_68
.LBB122_67:
	s_mov_b32 s2, 0x6dc9c883
	s_mov_b32 s3, 0x3fe45f30
	;; [unrolled: 1-line block ×3, first 2 shown]
	v_mul_f64 v[30:31], |v[7:8]|, s[2:3]
	s_mov_b32 s2, 0x54442d18
	s_mov_b32 s3, 0xbff921fb
	;; [unrolled: 1-line block ×3, first 2 shown]
	s_delay_alu instid0(VALU_DEP_1) | instskip(NEXT) | instid1(VALU_DEP_1)
	v_rndne_f64_e32 v[34:35], v[30:31]
	v_fma_f64 v[30:31], v[34:35], s[2:3], |v[7:8]|
	v_mul_f64 v[32:33], v[34:35], s[4:5]
	s_mov_b32 s2, 0x252049c0
	s_mov_b32 s3, 0xb97b839a
	v_cvt_i32_f64_e32 v54, v[34:35]
	s_delay_alu instid0(VALU_DEP_3) | instskip(NEXT) | instid1(VALU_DEP_3)
	v_fma_f64 v[38:39], v[34:35], s[4:5], v[30:31]
	v_add_f64 v[36:37], v[30:31], v[32:33]
	s_mov_b32 s5, 0x3c91a626
	s_delay_alu instid0(VALU_DEP_1) | instskip(NEXT) | instid1(VALU_DEP_3)
	v_add_f64 v[30:31], v[30:31], -v[36:37]
	v_add_f64 v[36:37], v[36:37], -v[38:39]
	s_delay_alu instid0(VALU_DEP_2) | instskip(SKIP_1) | instid1(VALU_DEP_2)
	v_add_f64 v[30:31], v[30:31], v[32:33]
	v_fma_f64 v[32:33], v[34:35], s[4:5], v[32:33]
	v_add_f64 v[30:31], v[36:37], v[30:31]
	s_delay_alu instid0(VALU_DEP_1) | instskip(NEXT) | instid1(VALU_DEP_1)
	v_add_f64 v[30:31], v[30:31], -v[32:33]
	v_fma_f64 v[32:33], v[34:35], s[2:3], v[30:31]
	s_delay_alu instid0(VALU_DEP_1) | instskip(NEXT) | instid1(VALU_DEP_1)
	v_add_f64 v[30:31], v[38:39], v[32:33]
	v_add_f64 v[36:37], v[30:31], -v[38:39]
	s_delay_alu instid0(VALU_DEP_1)
	v_add_f64 v[32:33], v[32:33], -v[36:37]
.LBB122_68:
	s_or_b32 exec_lo, exec_lo, s0
	s_mov_b32 s0, 0x652b82fe
	s_mov_b32 s1, 0x3ff71547
	;; [unrolled: 1-line block ×3, first 2 shown]
	v_mul_f64 v[34:35], v[5:6], s[0:1]
	s_mov_b32 s4, 0xfefa39ef
	s_mov_b32 s0, 0x3b39803f
	;; [unrolled: 1-line block ×5, first 2 shown]
	v_mul_f64 v[64:65], v[13:14], v[13:14]
	s_mov_b32 s6, 0xf9a43bb8
	s_mov_b32 s7, 0x3de5e0b2
	v_mul_f64 v[68:69], v[26:27], v[26:27]
	s_mov_b32 s11, 0x3f56c16c
	s_mov_b32 s10, 0x1852b7b0
	;; [unrolled: 1-line block ×6, first 2 shown]
	v_mul_f64 v[82:83], v[30:31], v[30:31]
	s_mov_b32 s17, 0x3f811111
	s_mov_b32 s16, 0x11122322
	;; [unrolled: 1-line block ×8, first 2 shown]
	v_mul_f64 v[102:103], v[15:16], 0.5
	v_rndne_f64_e32 v[34:35], v[34:35]
	v_mul_f64 v[70:71], v[64:65], 0.5
	v_mul_f64 v[112:113], v[13:14], -v[64:65]
	v_mul_f64 v[134:135], v[64:65], v[64:65]
	v_mul_f64 v[98:99], v[68:69], 0.5
	v_mul_f64 v[130:131], v[26:27], -v[68:69]
	v_mul_f64 v[116:117], v[82:83], 0.5
	v_fma_f64 v[36:37], v[34:35], s[4:5], v[5:6]
	v_cvt_i32_f64_e32 v55, v[34:35]
	s_mov_b32 s5, 0x40862e42
	v_add_f64 v[86:87], -v[70:71], 1.0
	v_add_f64 v[128:129], -v[98:99], 1.0
	s_delay_alu instid0(VALU_DEP_4) | instskip(SKIP_2) | instid1(VALU_DEP_3)
	v_fma_f64 v[36:37], v[34:35], s[0:1], v[36:37]
	s_mov_b32 s0, 0x2a1b768b
	s_mov_b32 s1, 0x3e5af4eb
	v_add_f64 v[114:115], -v[86:87], 1.0
	s_delay_alu instid0(VALU_DEP_3) | instskip(NEXT) | instid1(VALU_DEP_3)
	v_add_f64 v[132:133], -v[128:129], 1.0
	v_fma_f64 v[38:39], v[36:37], s[2:3], s[0:1]
	s_mov_b32 s0, 0xfca7ab0c
	s_mov_b32 s2, 0x6a5dcb37
	;; [unrolled: 1-line block ×4, first 2 shown]
	s_delay_alu instid0(SALU_CYCLE_1) | instskip(SKIP_4) | instid1(VALU_DEP_4)
	v_fma_f64 v[48:49], v[36:37], s[2:3], s[0:1]
	s_mov_b32 s0, 0xe0ac05b
	s_mov_b32 s1, 0x3e927e50
	;; [unrolled: 1-line block ×4, first 2 shown]
	v_add_f64 v[70:71], v[114:115], -v[70:71]
	s_delay_alu instid0(VALU_DEP_3)
	v_fma_f64 v[38:39], v[36:37], v[38:39], s[0:1]
	s_mov_b32 s0, 0x623fde64
	s_mov_b32 s1, 0x3ec71dee
	s_delay_alu instid0(VALU_DEP_3) | instid1(SALU_CYCLE_1)
	v_fma_f64 v[48:49], v[36:37], v[48:49], s[0:1]
	s_mov_b32 s0, 0x1b889c29
	s_mov_b32 s1, 0x3ec71de0
	s_delay_alu instid0(VALU_DEP_3) | instskip(NEXT) | instid1(VALU_DEP_3)
	v_fma_f64 v[70:71], v[13:14], -v[15:16], v[70:71]
	v_fma_f64 v[38:39], v[36:37], v[38:39], s[0:1]
	s_mov_b32 s1, 0x3efa01a0
	s_mov_b32 s0, 0x197bcfd8
	s_delay_alu instid0(VALU_DEP_3) | instskip(SKIP_2) | instid1(VALU_DEP_2)
	v_fma_f64 v[48:49], v[36:37], v[48:49], s[2:3]
	s_mov_b32 s3, 0x3f2a01a0
	s_mov_b32 s2, 0x14761f6e
	v_fma_f64 v[38:39], v[36:37], v[38:39], s[0:1]
	s_mov_b32 s0, 0x19f4ec90
	s_delay_alu instid0(VALU_DEP_2)
	v_fma_f64 v[48:49], v[36:37], v[48:49], s[2:3]
	s_mov_b32 s2, 0x1ac1a723
	s_delay_alu instid0(VALU_DEP_2) | instid1(SALU_CYCLE_1)
	v_fma_f64 v[38:39], v[36:37], v[38:39], s[2:3]
	s_mov_b32 s2, 0xb42fdfa7
	s_mov_b32 s3, 0xbe5ae600
	s_delay_alu instid0(SALU_CYCLE_1) | instskip(SKIP_1) | instid1(VALU_DEP_4)
	v_fma_f64 v[66:67], v[64:65], s[6:7], s[2:3]
	v_fma_f64 v[84:85], v[68:69], s[6:7], s[2:3]
	;; [unrolled: 1-line block ×3, first 2 shown]
	s_mov_b32 s10, 0x16c18931
	v_fma_f64 v[96:97], v[82:83], s[6:7], s[2:3]
	s_mov_b32 s3, 0x3fc55555
	s_mov_b32 s2, 0x55555511
	;; [unrolled: 1-line block ×4, first 2 shown]
	v_fma_f64 v[38:39], v[36:37], v[38:39], s[10:11]
	s_mov_b32 s10, 0x9037ab78
	s_mov_b32 s11, 0x3e21eeb6
	s_delay_alu instid0(SALU_CYCLE_1)
	v_fma_f64 v[80:81], v[64:65], s[12:13], s[10:11]
	v_fma_f64 v[66:67], v[64:65], v[66:67], s[14:15]
	;; [unrolled: 1-line block ×3, first 2 shown]
	s_mov_b32 s16, 0x11110056
	v_fma_f64 v[84:85], v[68:69], v[84:85], s[14:15]
	v_fma_f64 v[100:101], v[68:69], s[12:13], s[10:11]
	;; [unrolled: 1-line block ×4, first 2 shown]
	s_mov_b32 s11, 0xbfc55555
	v_fma_f64 v[38:39], v[36:37], v[38:39], s[16:17]
	s_mov_b32 s16, 0x11110bb3
	v_fma_f64 v[80:81], v[64:65], v[80:81], s[18:19]
	v_fma_f64 v[66:67], v[64:65], v[66:67], s[20:21]
	;; [unrolled: 1-line block ×3, first 2 shown]
	s_mov_b32 s22, 0x55555552
	v_fma_f64 v[84:85], v[68:69], v[84:85], s[20:21]
	v_fma_f64 v[100:101], v[68:69], v[100:101], s[18:19]
	;; [unrolled: 1-line block ×4, first 2 shown]
	v_mul_f64 v[118:119], v[28:29], 0.5
	v_fma_f64 v[38:39], v[36:37], v[38:39], s[22:23]
	s_mov_b32 s22, 0x55555555
	s_delay_alu instid0(SALU_CYCLE_1)
	s_mov_b32 s10, s22
	v_fma_f64 v[80:81], v[64:65], v[80:81], s[0:1]
	v_fma_f64 v[66:67], v[64:65], v[66:67], s[16:17]
	;; [unrolled: 1-line block ×3, first 2 shown]
	s_mov_b32 s2, 0x55555557
	v_fma_f64 v[84:85], v[68:69], v[84:85], s[16:17]
	v_fma_f64 v[100:101], v[68:69], v[100:101], s[0:1]
	;; [unrolled: 1-line block ×3, first 2 shown]
	v_cmp_eq_f64_e64 s0, 0x40900000, v[34:35]
	v_fma_f64 v[96:97], v[82:83], v[96:97], s[16:17]
	v_add_f64 v[34:35], v[132:133], -v[98:99]
	v_fma_f64 v[38:39], v[36:37], v[38:39], s[2:3]
	s_mov_b32 s2, 0x16c16967
	s_mov_b32 s3, 0xbf56c16c
	s_delay_alu instid0(SALU_CYCLE_1)
	v_fma_f64 v[80:81], v[64:65], v[80:81], s[2:3]
	v_fma_f64 v[66:67], v[112:113], v[66:67], v[102:103]
	v_add_f64 v[102:103], -v[116:117], 1.0
	v_fma_f64 v[48:49], v[36:37], v[48:49], s[6:7]
	v_fma_f64 v[84:85], v[130:131], v[84:85], v[118:119]
	v_fma_f64 v[98:99], v[68:69], v[100:101], s[2:3]
	v_cmp_ngt_f64_e64 s6, 0xc090cc00, v[5:6]
	v_cndmask_b32_e64 v146, v55, 0x3ff, s0
	v_fma_f64 v[34:35], v[26:27], -v[28:29], v[34:35]
	s_delay_alu instid0(VALU_DEP_2)
	v_ldexp_f64 v[100:101], 1.0, v146
	v_fma_f64 v[38:39], v[36:37], v[38:39], 0.5
	v_fma_f64 v[80:81], v[64:65], v[80:81], s[22:23]
	v_fma_f64 v[15:16], v[64:65], v[66:67], -v[15:16]
	v_mul_f64 v[64:65], v[32:33], 0.5
	v_mul_f64 v[66:67], v[30:31], -v[82:83]
	v_add_f64 v[144:145], -v[102:103], 1.0
	v_fma_f64 v[28:29], v[68:69], v[84:85], -v[28:29]
	v_fma_f64 v[98:99], v[68:69], v[98:99], s[22:23]
	v_fma_f64 v[48:49], v[36:37], v[48:49], 1.0
	v_mul_f64 v[38:39], v[36:37], v[38:39]
	v_fma_f64 v[70:71], v[134:135], v[80:81], v[70:71]
	v_fma_f64 v[15:16], v[112:113], s[10:11], v[15:16]
	;; [unrolled: 1-line block ×4, first 2 shown]
	v_add_f64 v[80:81], v[144:145], -v[116:117]
	v_mul_f64 v[96:97], v[68:69], v[68:69]
	v_add_f64 v[68:69], v[100:101], -1.0
	v_fma_f64 v[28:29], v[130:131], s[10:11], v[28:29]
	v_cmp_class_f64_e64 s2, v[2:3], 0x1f8
	v_lshlrev_b32_e32 v2, 30, v52
	v_cmp_nlt_f64_e64 s3, s[4:5], v[5:6]
	v_cmp_nlt_f64_e64 s5, 0x40900000, v[5:6]
	v_cmp_ngt_f64_e64 s4, 0xc0428000, v[5:6]
	v_fma_f64 v[38:39], v[36:37], v[38:39], v[36:37]
	v_fma_f64 v[36:37], v[36:37], v[48:49], 1.0
	v_add_f64 v[70:71], v[86:87], v[70:71]
	v_add_f64 v[13:14], v[13:14], -v[15:16]
	v_mul_f64 v[15:16], v[82:83], v[82:83]
	v_fma_f64 v[84:85], v[82:83], v[112:113], s[22:23]
	v_fma_f64 v[80:81], v[30:31], -v[32:33], v[80:81]
	v_fma_f64 v[32:33], v[82:83], v[64:65], -v[32:33]
	v_fma_f64 v[34:35], v[96:97], v[98:99], v[34:35]
	v_and_b32_e32 v64, 1, v52
	v_add_f64 v[26:27], v[26:27], -v[28:29]
	s_delay_alu instid0(VALU_DEP_2) | instskip(SKIP_1) | instid1(VALU_DEP_2)
	v_cmp_eq_u32_e64 s1, 0, v64
	v_fma_f64 v[38:39], v[100:101], v[38:39], v[68:69]
	v_cndmask_b32_e64 v48, v70, v13, s1
	v_xor_b32_e32 v13, v2, v3
	v_cndmask_b32_e64 v28, v71, v14, s1
	v_fma_f64 v[2:3], v[15:16], v[84:85], v[80:81]
	v_fma_f64 v[15:16], v[66:67], s[10:11], v[32:33]
	v_add_f64 v[32:33], v[128:129], v[34:35]
	v_and_b32_e32 v49, 0x80000000, v13
	v_cndmask_b32_e64 v34, 0, v48, s2
	v_and_b32_e32 v48, 1, v53
	v_xor_b32_e32 v27, 0x80000000, v27
	s_delay_alu instid0(VALU_DEP_4) | instskip(SKIP_1) | instid1(VALU_DEP_4)
	v_xor_b32_e32 v35, v28, v49
	v_ldexp_f64 v[28:29], v[36:37], v55
	v_cmp_eq_u32_e64 s1, 0, v48
	s_delay_alu instid0(VALU_DEP_3) | instskip(SKIP_2) | instid1(VALU_DEP_3)
	v_cndmask_b32_e64 v35, 0x7ff80000, v35, s2
	v_cmp_class_f64_e64 s2, v[7:8], 0x1f8
	v_lshlrev_b32_e32 v7, 30, v54
	v_add_f64 v[36:37], v[34:35], v[34:35]
	s_delay_alu instid0(VALU_DEP_2) | instskip(NEXT) | instid1(VALU_DEP_1)
	v_xor_b32_e32 v7, v7, v8
	v_and_b32_e32 v7, 0x80000000, v7
	v_add_f64 v[13:14], v[38:39], v[38:39]
	v_add_f64 v[2:3], v[102:103], v[2:3]
	v_add_f64 v[15:16], v[30:31], -v[15:16]
	v_and_b32_e32 v30, 1, v54
	v_lshlrev_b32_e32 v31, 30, v53
	v_cndmask_b32_e64 v27, v27, v33, s1
	v_cndmask_b32_e64 v26, v26, v32, s1
	s_delay_alu instid0(VALU_DEP_4) | instskip(NEXT) | instid1(VALU_DEP_4)
	v_cmp_eq_u32_e64 s7, 0, v30
	v_and_b32_e32 v8, 0x80000000, v31
	v_cndmask_b32_e64 v29, 0x7ff00000, v29, s5
	v_mul_f64 v[5:6], v[36:37], v[34:35]
	v_cndmask_b32_e64 v14, v39, v14, s0
	v_cndmask_b32_e64 v13, v38, v13, s0
	s_and_b32 s0, s4, s3
	s_delay_alu instid0(VALU_DEP_2) | instskip(NEXT) | instid1(VALU_DEP_2)
	v_cndmask_b32_e64 v14, 0x7ff00000, v14, s3
	v_cndmask_b32_e64 v13, 0, v13, s0
	s_and_b32 s0, s6, s5
	v_cndmask_b32_e64 v15, v2, v15, s7
	v_cndmask_b32_e64 v2, v3, v16, s7
	v_xor_b32_e32 v3, v27, v8
	v_cndmask_b32_e64 v16, 0, v29, s6
	v_cndmask_b32_e64 v14, 0xbff00000, v14, s4
	s_delay_alu instid0(VALU_DEP_4)
	v_xor_b32_e32 v8, v2, v7
	v_cndmask_b32_e64 v2, 0, v26, s2
	v_cndmask_b32_e64 v3, 0x7ff80000, v3, s2
	;; [unrolled: 1-line block ×5, first 2 shown]
	s_delay_alu instid0(VALU_DEP_1) | instskip(SKIP_3) | instid1(SALU_CYCLE_1)
	v_mul_f64 v[15:16], v[15:16], v[7:8]
	v_fma_f64 v[13:14], v[13:14], v[2:3], -v[5:6]
	s_or_b32 exec_lo, exec_lo, s9
	s_and_saveexec_b32 s0, vcc_lo
	s_xor_b32 s0, exec_lo, s0
	s_cbranch_execnz .LBB122_58
.LBB122_69:
	s_or_b32 exec_lo, exec_lo, s0
	s_delay_alu instid0(SALU_CYCLE_1)
	s_mov_b32 s0, exec_lo
	v_cmpx_lt_i32_e64 v50, v4
	s_cbranch_execz .LBB122_59
.LBB122_70:
	v_dual_mov_b32 v3, 0 :: v_dual_add_nc_u32 v2, s8, v50
	v_add_nc_u32_e32 v50, 0x100, v50
	s_delay_alu instid0(VALU_DEP_2) | instskip(NEXT) | instid1(VALU_DEP_1)
	v_lshlrev_b64 v[2:3], 4, v[2:3]
	v_add_co_u32 v2, vcc_lo, v0, v2
	s_delay_alu instid0(VALU_DEP_2) | instskip(SKIP_2) | instid1(SALU_CYCLE_1)
	v_add_co_ci_u32_e32 v3, vcc_lo, v1, v3, vcc_lo
	flat_store_b128 v[2:3], v[21:24]
	s_or_b32 exec_lo, exec_lo, s0
	s_mov_b32 s0, exec_lo
	v_cmpx_lt_i32_e64 v50, v4
	s_cbranch_execnz .LBB122_60
.LBB122_71:
	s_or_b32 exec_lo, exec_lo, s0
	s_delay_alu instid0(SALU_CYCLE_1)
	s_mov_b32 s0, exec_lo
	v_cmpx_lt_i32_e64 v50, v4
	s_cbranch_execz .LBB122_61
.LBB122_72:
	v_dual_mov_b32 v3, 0 :: v_dual_add_nc_u32 v2, s8, v50
	s_delay_alu instid0(VALU_DEP_1) | instskip(NEXT) | instid1(VALU_DEP_1)
	v_lshlrev_b64 v[2:3], 4, v[2:3]
	v_add_co_u32 v0, vcc_lo, v0, v2
	s_delay_alu instid0(VALU_DEP_2)
	v_add_co_ci_u32_e32 v1, vcc_lo, v1, v3, vcc_lo
	flat_store_b128 v[0:1], v[13:16]
	s_or_b32 exec_lo, exec_lo, s0
	s_waitcnt lgkmcnt(0)
	s_setpc_b64 s[30:31]
.Lfunc_end122:
	.size	_ZN2at6native25elementwise_kernel_helperILb0EZZZNS0_17expm1_kernel_cudaERNS_18TensorIteratorBaseEENKUlvE_clEvENKUlvE1_clEvEUlN3c107complexIdEEE_NS0_6memory8policies11unroll_baseILi256ESt5arrayIPcLm2EE23TrivialOffsetCalculatorILi1EjESH_NSA_15LoadWithoutCastENSA_16StoreWithoutCastELi4ELi1EEEEEvT0_T1_, .Lfunc_end122-_ZN2at6native25elementwise_kernel_helperILb0EZZZNS0_17expm1_kernel_cudaERNS_18TensorIteratorBaseEENKUlvE_clEvENKUlvE1_clEvEUlN3c107complexIdEEE_NS0_6memory8policies11unroll_baseILi256ESt5arrayIPcLm2EE23TrivialOffsetCalculatorILi1EjESH_NSA_15LoadWithoutCastENSA_16StoreWithoutCastELi4ELi1EEEEEvT0_T1_
                                        ; -- End function
	.section	.AMDGPU.csdata,"",@progbits
; Function info:
; codeLenInByte = 20132
; NumSgprs: 34
; NumVgprs: 147
; ScratchSize: 0
; MemoryBound: 1
	.text
	.p2align	2                               ; -- Begin function _ZN2at6native25elementwise_kernel_helperILb0EZZZNS0_17expm1_kernel_cudaERNS_18TensorIteratorBaseEENKUlvE_clEvENKUlvE1_clEvEUlN3c107complexIdEEE_NS0_6memory8policies10vectorizedILi4ESt5arrayIPcLm2EELi4EEEEEvT0_T1_
	.type	_ZN2at6native25elementwise_kernel_helperILb0EZZZNS0_17expm1_kernel_cudaERNS_18TensorIteratorBaseEENKUlvE_clEvENKUlvE1_clEvEUlN3c107complexIdEEE_NS0_6memory8policies10vectorizedILi4ESt5arrayIPcLm2EELi4EEEEEvT0_T1_,@function
_ZN2at6native25elementwise_kernel_helperILb0EZZZNS0_17expm1_kernel_cudaERNS_18TensorIteratorBaseEENKUlvE_clEvENKUlvE1_clEvEUlN3c107complexIdEEE_NS0_6memory8policies10vectorizedILi4ESt5arrayIPcLm2EELi4EEEEEvT0_T1_: ; @_ZN2at6native25elementwise_kernel_helperILb0EZZZNS0_17expm1_kernel_cudaERNS_18TensorIteratorBaseEENKUlvE_clEvENKUlvE1_clEvEUlN3c107complexIdEEE_NS0_6memory8policies10vectorizedILi4ESt5arrayIPcLm2EELi4EEEEEvT0_T1_
; %bb.0:
	s_waitcnt vmcnt(0) expcnt(0) lgkmcnt(0)
	s_or_saveexec_b32 s0, -1
	s_clause 0x1
	scratch_store_b32 off, v40, s32
	; meta instruction
	scratch_store_b32 off, v41, s32 offset:4
	s_mov_b32 exec_lo, s0
	v_writelane_b32 v40, s34, 0
	v_writelane_b32 v40, s35, 1
	;; [unrolled: 1-line block ×46, first 2 shown]
	s_lshl_b32 s0, s12, 10
	v_and_b32_e32 v4, 0x3ff, v31
	s_ashr_i32 s1, s0, 31
                                        ; implicit-def: $vgpr131
                                        ; implicit-def: $vgpr20_vgpr21
                                        ; implicit-def: $vgpr22_vgpr23
	s_delay_alu instid0(SALU_CYCLE_1) | instskip(SKIP_1) | instid1(VALU_DEP_1)
	s_lshl_b64 s[2:3], s[0:1], 4
	s_mov_b32 s1, exec_lo
	v_lshlrev_b32_e32 v130, 6, v4
	v_add_co_u32 v2, vcc_lo, v2, s2
	v_add_co_ci_u32_e32 v3, vcc_lo, s3, v3, vcc_lo
	s_delay_alu instid0(VALU_DEP_2) | instskip(NEXT) | instid1(VALU_DEP_2)
	v_add_co_u32 v2, vcc_lo, v2, v130
	v_add_co_ci_u32_e32 v3, vcc_lo, 0, v3, vcc_lo
	s_clause 0x3
	flat_load_b128 v[6:9], v[2:3]
	flat_load_b128 v[10:13], v[2:3] offset:16
	flat_load_b128 v[14:17], v[2:3] offset:32
	;; [unrolled: 1-line block ×3, first 2 shown]
	s_waitcnt vmcnt(3) lgkmcnt(3)
	v_mul_f64 v[18:19], v[8:9], 0.5
	s_delay_alu instid0(VALU_DEP_1)
	v_cmpx_ngt_f64_e64 0x41d00000, |v[18:19]|
	s_xor_b32 s1, exec_lo, s1
	s_cbranch_execz .LBB123_2
; %bb.1:
	v_ldexp_f64 v[20:21], |v[18:19]|, 0xffffff80
	v_cmp_le_f64_e64 vcc_lo, 0x7b000000, |v[18:19]|
	v_trig_preop_f64 v[22:23], |v[18:19]|, 0
	v_and_b32_e32 v24, 0x7fffffff, v19
	v_trig_preop_f64 v[34:35], |v[18:19]|, 2
	v_mov_b32_e32 v50, 0
	s_mov_b32 s4, 0x54442d18
	s_mov_b32 s5, 0x3ff921fb
	;; [unrolled: 1-line block ×4, first 2 shown]
	v_dual_cndmask_b32 v21, v24, v21 :: v_dual_cndmask_b32 v20, v18, v20
	v_trig_preop_f64 v[24:25], |v[18:19]|, 1
	s_delay_alu instid0(VALU_DEP_2) | instskip(SKIP_1) | instid1(VALU_DEP_3)
	v_mul_f64 v[26:27], v[22:23], v[20:21]
	v_mul_f64 v[48:49], v[34:35], v[20:21]
	;; [unrolled: 1-line block ×3, first 2 shown]
	s_delay_alu instid0(VALU_DEP_3) | instskip(NEXT) | instid1(VALU_DEP_2)
	v_fma_f64 v[22:23], v[22:23], v[20:21], -v[26:27]
	v_fma_f64 v[24:25], v[24:25], v[20:21], -v[28:29]
	s_delay_alu instid0(VALU_DEP_4) | instskip(NEXT) | instid1(VALU_DEP_3)
	v_fma_f64 v[20:21], v[34:35], v[20:21], -v[48:49]
	v_add_f64 v[30:31], v[28:29], v[22:23]
	s_delay_alu instid0(VALU_DEP_1) | instskip(SKIP_1) | instid1(VALU_DEP_2)
	v_add_f64 v[32:33], v[30:31], -v[28:29]
	v_add_f64 v[38:39], v[26:27], v[30:31]
	v_add_f64 v[36:37], v[30:31], -v[32:33]
	v_add_f64 v[22:23], v[22:23], -v[32:33]
	s_delay_alu instid0(VALU_DEP_3) | instskip(SKIP_1) | instid1(VALU_DEP_4)
	v_ldexp_f64 v[32:33], v[38:39], -2
	v_add_f64 v[26:27], v[38:39], -v[26:27]
	v_add_f64 v[28:29], v[28:29], -v[36:37]
	v_add_f64 v[36:37], v[48:49], v[24:25]
	s_delay_alu instid0(VALU_DEP_4) | instskip(NEXT) | instid1(VALU_DEP_4)
	v_cmp_neq_f64_e64 vcc_lo, 0x7ff00000, |v[32:33]|
	v_add_f64 v[26:27], v[30:31], -v[26:27]
	s_delay_alu instid0(VALU_DEP_4) | instskip(SKIP_1) | instid1(VALU_DEP_2)
	v_add_f64 v[22:23], v[22:23], v[28:29]
	v_fract_f64_e32 v[28:29], v[32:33]
	v_add_f64 v[30:31], v[36:37], v[22:23]
	s_delay_alu instid0(VALU_DEP_2) | instskip(NEXT) | instid1(VALU_DEP_1)
	v_dual_cndmask_b32 v29, 0, v29 :: v_dual_cndmask_b32 v28, 0, v28
	v_ldexp_f64 v[28:29], v[28:29], 2
	s_delay_alu instid0(VALU_DEP_3) | instskip(NEXT) | instid1(VALU_DEP_1)
	v_add_f64 v[32:33], v[26:27], v[30:31]
	v_add_f64 v[38:39], v[32:33], v[28:29]
	v_add_f64 v[26:27], v[32:33], -v[26:27]
	s_delay_alu instid0(VALU_DEP_2) | instskip(SKIP_1) | instid1(VALU_DEP_3)
	v_cmp_gt_f64_e32 vcc_lo, 0, v[38:39]
	v_add_f64 v[38:39], v[36:37], -v[48:49]
	v_add_f64 v[26:27], v[30:31], -v[26:27]
	v_cndmask_b32_e64 v51, 0, 0x40100000, vcc_lo
	s_delay_alu instid0(VALU_DEP_3) | instskip(SKIP_1) | instid1(VALU_DEP_3)
	v_add_f64 v[64:65], v[36:37], -v[38:39]
	v_add_f64 v[24:25], v[24:25], -v[38:39]
	v_add_f64 v[28:29], v[28:29], v[50:51]
	v_add_f64 v[51:52], v[30:31], -v[36:37]
	s_delay_alu instid0(VALU_DEP_4) | instskip(NEXT) | instid1(VALU_DEP_3)
	v_add_f64 v[38:39], v[48:49], -v[64:65]
	v_add_f64 v[53:54], v[32:33], v[28:29]
	s_delay_alu instid0(VALU_DEP_3) | instskip(SKIP_1) | instid1(VALU_DEP_4)
	v_add_f64 v[66:67], v[30:31], -v[51:52]
	v_add_f64 v[22:23], v[22:23], -v[51:52]
	v_add_f64 v[24:25], v[24:25], v[38:39]
	s_delay_alu instid0(VALU_DEP_4) | instskip(NEXT) | instid1(VALU_DEP_4)
	v_cvt_i32_f64_e32 v53, v[53:54]
	v_add_f64 v[36:37], v[36:37], -v[66:67]
	s_delay_alu instid0(VALU_DEP_2) | instskip(NEXT) | instid1(VALU_DEP_2)
	v_cvt_f64_i32_e32 v[51:52], v53
	v_add_f64 v[22:23], v[22:23], v[36:37]
	s_delay_alu instid0(VALU_DEP_2) | instskip(NEXT) | instid1(VALU_DEP_2)
	v_add_f64 v[28:29], v[28:29], -v[51:52]
	v_add_f64 v[22:23], v[24:25], v[22:23]
	s_delay_alu instid0(VALU_DEP_2) | instskip(NEXT) | instid1(VALU_DEP_2)
	v_add_f64 v[24:25], v[32:33], v[28:29]
	v_add_f64 v[20:21], v[20:21], v[22:23]
	s_delay_alu instid0(VALU_DEP_2) | instskip(SKIP_1) | instid1(VALU_DEP_3)
	v_add_f64 v[22:23], v[24:25], -v[28:29]
	v_cmp_le_f64_e32 vcc_lo, 0.5, v[24:25]
	v_add_f64 v[20:21], v[26:27], v[20:21]
	s_delay_alu instid0(VALU_DEP_3) | instskip(SKIP_2) | instid1(VALU_DEP_3)
	v_add_f64 v[22:23], v[32:33], -v[22:23]
	v_cndmask_b32_e64 v51, 0, 0x3ff00000, vcc_lo
	v_add_co_ci_u32_e64 v131, s0, 0, v53, vcc_lo
	v_add_f64 v[20:21], v[20:21], v[22:23]
	s_delay_alu instid0(VALU_DEP_3) | instskip(NEXT) | instid1(VALU_DEP_1)
	v_add_f64 v[22:23], v[24:25], -v[50:51]
	v_add_f64 v[24:25], v[22:23], v[20:21]
	s_delay_alu instid0(VALU_DEP_1) | instskip(SKIP_1) | instid1(VALU_DEP_2)
	v_mul_f64 v[26:27], v[24:25], s[4:5]
	v_add_f64 v[22:23], v[24:25], -v[22:23]
	v_fma_f64 v[28:29], v[24:25], s[4:5], -v[26:27]
	s_delay_alu instid0(VALU_DEP_2) | instskip(NEXT) | instid1(VALU_DEP_2)
	v_add_f64 v[20:21], v[20:21], -v[22:23]
	v_fma_f64 v[22:23], v[24:25], s[6:7], v[28:29]
	s_delay_alu instid0(VALU_DEP_1) | instskip(NEXT) | instid1(VALU_DEP_1)
	v_fma_f64 v[22:23], v[20:21], s[4:5], v[22:23]
	v_add_f64 v[20:21], v[26:27], v[22:23]
	s_delay_alu instid0(VALU_DEP_1) | instskip(NEXT) | instid1(VALU_DEP_1)
	v_add_f64 v[24:25], v[20:21], -v[26:27]
	v_add_f64 v[22:23], v[22:23], -v[24:25]
.LBB123_2:
	s_and_not1_saveexec_b32 s0, s1
	s_cbranch_execz .LBB123_4
; %bb.3:
	s_mov_b32 s4, 0x6dc9c883
	s_mov_b32 s5, 0x3fe45f30
	;; [unrolled: 1-line block ×3, first 2 shown]
	v_mul_f64 v[20:21], |v[18:19]|, s[4:5]
	s_mov_b32 s4, 0x54442d18
	s_mov_b32 s5, 0xbff921fb
	s_mov_b32 s6, 0x33145c00
	s_delay_alu instid0(VALU_DEP_1) | instskip(NEXT) | instid1(VALU_DEP_1)
	v_rndne_f64_e32 v[24:25], v[20:21]
	v_fma_f64 v[20:21], v[24:25], s[4:5], |v[18:19]|
	v_mul_f64 v[22:23], v[24:25], s[6:7]
	s_mov_b32 s4, 0x252049c0
	s_mov_b32 s5, 0xb97b839a
	v_cvt_i32_f64_e32 v131, v[24:25]
	s_delay_alu instid0(VALU_DEP_3) | instskip(NEXT) | instid1(VALU_DEP_3)
	v_fma_f64 v[28:29], v[24:25], s[6:7], v[20:21]
	v_add_f64 v[26:27], v[20:21], v[22:23]
	s_mov_b32 s7, 0x3c91a626
	s_delay_alu instid0(VALU_DEP_1) | instskip(NEXT) | instid1(VALU_DEP_3)
	v_add_f64 v[20:21], v[20:21], -v[26:27]
	v_add_f64 v[26:27], v[26:27], -v[28:29]
	s_delay_alu instid0(VALU_DEP_2) | instskip(SKIP_1) | instid1(VALU_DEP_2)
	v_add_f64 v[20:21], v[20:21], v[22:23]
	v_fma_f64 v[22:23], v[24:25], s[6:7], v[22:23]
	v_add_f64 v[20:21], v[26:27], v[20:21]
	s_delay_alu instid0(VALU_DEP_1) | instskip(NEXT) | instid1(VALU_DEP_1)
	v_add_f64 v[20:21], v[20:21], -v[22:23]
	v_fma_f64 v[22:23], v[24:25], s[4:5], v[20:21]
	s_delay_alu instid0(VALU_DEP_1) | instskip(NEXT) | instid1(VALU_DEP_1)
	v_add_f64 v[20:21], v[28:29], v[22:23]
	v_add_f64 v[26:27], v[20:21], -v[28:29]
	s_delay_alu instid0(VALU_DEP_1)
	v_add_f64 v[22:23], v[22:23], -v[26:27]
.LBB123_4:
	s_or_b32 exec_lo, exec_lo, s0
	v_cmp_ngt_f64_e64 s1, 0x41d00000, |v[8:9]|
	v_trig_preop_f64 v[36:37], |v[8:9]|, 0
	v_trig_preop_f64 v[34:35], |v[8:9]|, 1
	v_ldexp_f64 v[38:39], |v[8:9]|, 0xffffff80
	v_trig_preop_f64 v[32:33], |v[8:9]|, 2
	v_and_b32_e32 v48, 0x7fffffff, v9
                                        ; implicit-def: $vgpr132
                                        ; implicit-def: $vgpr24_vgpr25
                                        ; implicit-def: $vgpr26_vgpr27
	s_and_saveexec_b32 s0, s1
	s_delay_alu instid0(SALU_CYCLE_1)
	s_xor_b32 s4, exec_lo, s0
	s_cbranch_execz .LBB123_6
; %bb.5:
	v_cmp_le_f64_e64 vcc_lo, 0x7b000000, |v[8:9]|
	v_mov_b32_e32 v70, 0
	s_mov_b32 s6, 0x54442d18
	s_mov_b32 s7, 0x3ff921fb
	;; [unrolled: 1-line block ×4, first 2 shown]
	v_cndmask_b32_e32 v25, v48, v39, vcc_lo
	v_cndmask_b32_e32 v24, v8, v38, vcc_lo
	s_delay_alu instid0(VALU_DEP_1) | instskip(SKIP_1) | instid1(VALU_DEP_2)
	v_mul_f64 v[26:27], v[36:37], v[24:25]
	v_mul_f64 v[28:29], v[34:35], v[24:25]
	v_fma_f64 v[30:31], v[36:37], v[24:25], -v[26:27]
	s_delay_alu instid0(VALU_DEP_2) | instskip(NEXT) | instid1(VALU_DEP_2)
	v_fma_f64 v[68:69], v[34:35], v[24:25], -v[28:29]
	v_add_f64 v[49:50], v[28:29], v[30:31]
	s_delay_alu instid0(VALU_DEP_1) | instskip(SKIP_1) | instid1(VALU_DEP_2)
	v_add_f64 v[51:52], v[49:50], -v[28:29]
	v_add_f64 v[64:65], v[26:27], v[49:50]
	v_add_f64 v[53:54], v[49:50], -v[51:52]
	v_add_f64 v[30:31], v[30:31], -v[51:52]
	s_delay_alu instid0(VALU_DEP_3) | instskip(SKIP_1) | instid1(VALU_DEP_4)
	v_ldexp_f64 v[51:52], v[64:65], -2
	v_add_f64 v[26:27], v[64:65], -v[26:27]
	v_add_f64 v[28:29], v[28:29], -v[53:54]
	s_delay_alu instid0(VALU_DEP_3) | instskip(NEXT) | instid1(VALU_DEP_3)
	v_cmp_neq_f64_e64 vcc_lo, 0x7ff00000, |v[51:52]|
	v_add_f64 v[26:27], v[49:50], -v[26:27]
	s_delay_alu instid0(VALU_DEP_3) | instskip(SKIP_1) | instid1(VALU_DEP_1)
	v_add_f64 v[28:29], v[30:31], v[28:29]
	v_fract_f64_e32 v[30:31], v[51:52]
	v_dual_cndmask_b32 v31, 0, v31 :: v_dual_cndmask_b32 v30, 0, v30
	v_mul_f64 v[66:67], v[32:33], v[24:25]
	s_delay_alu instid0(VALU_DEP_2) | instskip(NEXT) | instid1(VALU_DEP_2)
	v_ldexp_f64 v[30:31], v[30:31], 2
	v_add_f64 v[53:54], v[66:67], v[68:69]
	v_fma_f64 v[24:25], v[32:33], v[24:25], -v[66:67]
	s_delay_alu instid0(VALU_DEP_2) | instskip(NEXT) | instid1(VALU_DEP_1)
	v_add_f64 v[49:50], v[53:54], v[28:29]
	v_add_f64 v[51:52], v[26:27], v[49:50]
	v_add_f64 v[80:81], v[49:50], -v[53:54]
	s_delay_alu instid0(VALU_DEP_2) | instskip(NEXT) | instid1(VALU_DEP_2)
	v_add_f64 v[64:65], v[51:52], v[30:31]
	v_add_f64 v[86:87], v[49:50], -v[80:81]
	v_add_f64 v[28:29], v[28:29], -v[80:81]
	;; [unrolled: 1-line block ×3, first 2 shown]
	s_delay_alu instid0(VALU_DEP_4) | instskip(SKIP_1) | instid1(VALU_DEP_3)
	v_cmp_gt_f64_e32 vcc_lo, 0, v[64:65]
	v_add_f64 v[64:65], v[53:54], -v[66:67]
	v_add_f64 v[26:27], v[49:50], -v[26:27]
	v_cndmask_b32_e64 v71, 0, 0x40100000, vcc_lo
	s_delay_alu instid0(VALU_DEP_3) | instskip(SKIP_2) | instid1(VALU_DEP_4)
	v_add_f64 v[84:85], v[53:54], -v[64:65]
	v_add_f64 v[64:65], v[68:69], -v[64:65]
	;; [unrolled: 1-line block ×3, first 2 shown]
	v_add_f64 v[30:31], v[30:31], v[70:71]
	s_delay_alu instid0(VALU_DEP_4) | instskip(NEXT) | instid1(VALU_DEP_3)
	v_add_f64 v[68:69], v[66:67], -v[84:85]
	v_add_f64 v[28:29], v[28:29], v[53:54]
	s_delay_alu instid0(VALU_DEP_3) | instskip(NEXT) | instid1(VALU_DEP_3)
	v_add_f64 v[82:83], v[51:52], v[30:31]
	v_add_f64 v[64:65], v[64:65], v[68:69]
	s_delay_alu instid0(VALU_DEP_2) | instskip(NEXT) | instid1(VALU_DEP_2)
	v_cvt_i32_f64_e32 v55, v[82:83]
	v_add_f64 v[28:29], v[64:65], v[28:29]
	s_delay_alu instid0(VALU_DEP_2) | instskip(NEXT) | instid1(VALU_DEP_2)
	v_cvt_f64_i32_e32 v[80:81], v55
	v_add_f64 v[24:25], v[24:25], v[28:29]
	s_delay_alu instid0(VALU_DEP_2) | instskip(NEXT) | instid1(VALU_DEP_2)
	v_add_f64 v[30:31], v[30:31], -v[80:81]
	v_add_f64 v[24:25], v[26:27], v[24:25]
	s_delay_alu instid0(VALU_DEP_2) | instskip(NEXT) | instid1(VALU_DEP_1)
	v_add_f64 v[53:54], v[51:52], v[30:31]
	v_add_f64 v[28:29], v[53:54], -v[30:31]
	v_cmp_le_f64_e32 vcc_lo, 0.5, v[53:54]
	s_delay_alu instid0(VALU_DEP_2) | instskip(SKIP_2) | instid1(VALU_DEP_3)
	v_add_f64 v[26:27], v[51:52], -v[28:29]
	v_cndmask_b32_e64 v71, 0, 0x3ff00000, vcc_lo
	v_add_co_ci_u32_e64 v132, s0, 0, v55, vcc_lo
	v_add_f64 v[24:25], v[24:25], v[26:27]
	s_delay_alu instid0(VALU_DEP_3) | instskip(NEXT) | instid1(VALU_DEP_1)
	v_add_f64 v[26:27], v[53:54], -v[70:71]
	v_add_f64 v[28:29], v[26:27], v[24:25]
	s_delay_alu instid0(VALU_DEP_1) | instskip(SKIP_1) | instid1(VALU_DEP_2)
	v_mul_f64 v[30:31], v[28:29], s[6:7]
	v_add_f64 v[26:27], v[28:29], -v[26:27]
	v_fma_f64 v[49:50], v[28:29], s[6:7], -v[30:31]
	s_delay_alu instid0(VALU_DEP_2) | instskip(NEXT) | instid1(VALU_DEP_2)
	v_add_f64 v[24:25], v[24:25], -v[26:27]
	v_fma_f64 v[26:27], v[28:29], s[8:9], v[49:50]
	s_delay_alu instid0(VALU_DEP_1) | instskip(NEXT) | instid1(VALU_DEP_1)
	v_fma_f64 v[26:27], v[24:25], s[6:7], v[26:27]
	v_add_f64 v[24:25], v[30:31], v[26:27]
	s_delay_alu instid0(VALU_DEP_1) | instskip(NEXT) | instid1(VALU_DEP_1)
	v_add_f64 v[28:29], v[24:25], -v[30:31]
	v_add_f64 v[26:27], v[26:27], -v[28:29]
	s_and_not1_saveexec_b32 s0, s4
	s_cbranch_execz .LBB123_8
	s_branch .LBB123_7
.LBB123_6:
	s_and_not1_saveexec_b32 s0, s4
	s_cbranch_execz .LBB123_8
.LBB123_7:
	s_mov_b32 s4, 0x6dc9c883
	s_mov_b32 s5, 0x3fe45f30
	;; [unrolled: 1-line block ×3, first 2 shown]
	v_mul_f64 v[24:25], |v[8:9]|, s[4:5]
	s_mov_b32 s4, 0x54442d18
	s_mov_b32 s5, 0xbff921fb
	s_mov_b32 s6, 0x33145c00
	s_delay_alu instid0(VALU_DEP_1) | instskip(NEXT) | instid1(VALU_DEP_1)
	v_rndne_f64_e32 v[28:29], v[24:25]
	v_fma_f64 v[24:25], v[28:29], s[4:5], |v[8:9]|
	v_mul_f64 v[26:27], v[28:29], s[6:7]
	s_mov_b32 s4, 0x252049c0
	s_mov_b32 s5, 0xb97b839a
	v_cvt_i32_f64_e32 v132, v[28:29]
	s_delay_alu instid0(VALU_DEP_3) | instskip(NEXT) | instid1(VALU_DEP_3)
	v_fma_f64 v[49:50], v[28:29], s[6:7], v[24:25]
	v_add_f64 v[30:31], v[24:25], v[26:27]
	s_mov_b32 s7, 0x3c91a626
	s_delay_alu instid0(VALU_DEP_1) | instskip(NEXT) | instid1(VALU_DEP_3)
	v_add_f64 v[24:25], v[24:25], -v[30:31]
	v_add_f64 v[30:31], v[30:31], -v[49:50]
	s_delay_alu instid0(VALU_DEP_2) | instskip(SKIP_1) | instid1(VALU_DEP_2)
	v_add_f64 v[24:25], v[24:25], v[26:27]
	v_fma_f64 v[26:27], v[28:29], s[6:7], v[26:27]
	v_add_f64 v[24:25], v[30:31], v[24:25]
	s_delay_alu instid0(VALU_DEP_1) | instskip(NEXT) | instid1(VALU_DEP_1)
	v_add_f64 v[24:25], v[24:25], -v[26:27]
	v_fma_f64 v[26:27], v[28:29], s[4:5], v[24:25]
	s_delay_alu instid0(VALU_DEP_1) | instskip(NEXT) | instid1(VALU_DEP_1)
	v_add_f64 v[24:25], v[49:50], v[26:27]
	v_add_f64 v[30:31], v[24:25], -v[49:50]
	s_delay_alu instid0(VALU_DEP_1)
	v_add_f64 v[26:27], v[26:27], -v[30:31]
.LBB123_8:
	s_or_b32 exec_lo, exec_lo, s0
                                        ; implicit-def: $vgpr133
                                        ; implicit-def: $vgpr28_vgpr29
                                        ; implicit-def: $vgpr30_vgpr31
	s_and_saveexec_b32 s0, s1
	s_delay_alu instid0(SALU_CYCLE_1)
	s_xor_b32 s1, exec_lo, s0
	s_cbranch_execz .LBB123_10
; %bb.9:
	v_cmp_le_f64_e64 vcc_lo, 0x7b000000, |v[8:9]|
	v_mov_b32_e32 v66, 0
	s_mov_b32 s4, 0x54442d18
	s_mov_b32 s5, 0x3ff921fb
	;; [unrolled: 1-line block ×4, first 2 shown]
	v_cndmask_b32_e32 v29, v48, v39, vcc_lo
	v_cndmask_b32_e32 v28, v8, v38, vcc_lo
	s_delay_alu instid0(VALU_DEP_1) | instskip(SKIP_1) | instid1(VALU_DEP_2)
	v_mul_f64 v[30:31], v[36:37], v[28:29]
	v_mul_f64 v[38:39], v[34:35], v[28:29]
	v_fma_f64 v[36:37], v[36:37], v[28:29], -v[30:31]
	s_delay_alu instid0(VALU_DEP_2) | instskip(NEXT) | instid1(VALU_DEP_2)
	v_fma_f64 v[34:35], v[34:35], v[28:29], -v[38:39]
	v_add_f64 v[48:49], v[38:39], v[36:37]
	s_delay_alu instid0(VALU_DEP_1) | instskip(SKIP_1) | instid1(VALU_DEP_2)
	v_add_f64 v[50:51], v[48:49], -v[38:39]
	v_add_f64 v[54:55], v[30:31], v[48:49]
	v_add_f64 v[52:53], v[48:49], -v[50:51]
	v_add_f64 v[36:37], v[36:37], -v[50:51]
	s_delay_alu instid0(VALU_DEP_3) | instskip(SKIP_1) | instid1(VALU_DEP_4)
	v_ldexp_f64 v[50:51], v[54:55], -2
	v_add_f64 v[30:31], v[54:55], -v[30:31]
	v_add_f64 v[38:39], v[38:39], -v[52:53]
	s_delay_alu instid0(VALU_DEP_3) | instskip(NEXT) | instid1(VALU_DEP_3)
	v_cmp_neq_f64_e64 vcc_lo, 0x7ff00000, |v[50:51]|
	v_add_f64 v[30:31], v[48:49], -v[30:31]
	s_delay_alu instid0(VALU_DEP_3) | instskip(SKIP_1) | instid1(VALU_DEP_1)
	v_add_f64 v[36:37], v[36:37], v[38:39]
	v_fract_f64_e32 v[38:39], v[50:51]
	v_dual_cndmask_b32 v39, 0, v39 :: v_dual_cndmask_b32 v38, 0, v38
	v_mul_f64 v[64:65], v[32:33], v[28:29]
	s_delay_alu instid0(VALU_DEP_2) | instskip(NEXT) | instid1(VALU_DEP_2)
	v_ldexp_f64 v[38:39], v[38:39], 2
	v_add_f64 v[52:53], v[64:65], v[34:35]
	v_fma_f64 v[28:29], v[32:33], v[28:29], -v[64:65]
	s_delay_alu instid0(VALU_DEP_2) | instskip(NEXT) | instid1(VALU_DEP_1)
	v_add_f64 v[48:49], v[52:53], v[36:37]
	v_add_f64 v[50:51], v[30:31], v[48:49]
	s_delay_alu instid0(VALU_DEP_1) | instskip(SKIP_1) | instid1(VALU_DEP_2)
	v_add_f64 v[54:55], v[50:51], v[38:39]
	v_add_f64 v[30:31], v[50:51], -v[30:31]
	v_cmp_gt_f64_e32 vcc_lo, 0, v[54:55]
	v_add_f64 v[54:55], v[52:53], -v[64:65]
	s_delay_alu instid0(VALU_DEP_3) | instskip(SKIP_1) | instid1(VALU_DEP_3)
	v_add_f64 v[30:31], v[48:49], -v[30:31]
	v_cndmask_b32_e64 v67, 0, 0x40100000, vcc_lo
	v_add_f64 v[80:81], v[52:53], -v[54:55]
	v_add_f64 v[34:35], v[34:35], -v[54:55]
	s_delay_alu instid0(VALU_DEP_3) | instskip(SKIP_1) | instid1(VALU_DEP_4)
	v_add_f64 v[38:39], v[38:39], v[66:67]
	v_add_f64 v[67:68], v[48:49], -v[52:53]
	v_add_f64 v[54:55], v[64:65], -v[80:81]
	s_delay_alu instid0(VALU_DEP_3) | instskip(NEXT) | instid1(VALU_DEP_3)
	v_add_f64 v[69:70], v[50:51], v[38:39]
	v_add_f64 v[82:83], v[48:49], -v[67:68]
	v_add_f64 v[36:37], v[36:37], -v[67:68]
	s_delay_alu instid0(VALU_DEP_4) | instskip(NEXT) | instid1(VALU_DEP_4)
	v_add_f64 v[34:35], v[34:35], v[54:55]
	v_cvt_i32_f64_e32 v69, v[69:70]
	s_delay_alu instid0(VALU_DEP_4) | instskip(NEXT) | instid1(VALU_DEP_2)
	v_add_f64 v[52:53], v[52:53], -v[82:83]
	v_cvt_f64_i32_e32 v[67:68], v69
	s_delay_alu instid0(VALU_DEP_2) | instskip(NEXT) | instid1(VALU_DEP_2)
	v_add_f64 v[36:37], v[36:37], v[52:53]
	v_add_f64 v[38:39], v[38:39], -v[67:68]
	s_delay_alu instid0(VALU_DEP_2) | instskip(NEXT) | instid1(VALU_DEP_2)
	v_add_f64 v[32:33], v[34:35], v[36:37]
	v_add_f64 v[34:35], v[50:51], v[38:39]
	s_delay_alu instid0(VALU_DEP_2) | instskip(NEXT) | instid1(VALU_DEP_2)
	v_add_f64 v[28:29], v[28:29], v[32:33]
	v_add_f64 v[32:33], v[34:35], -v[38:39]
	v_cmp_le_f64_e32 vcc_lo, 0.5, v[34:35]
	s_delay_alu instid0(VALU_DEP_3) | instskip(NEXT) | instid1(VALU_DEP_3)
	v_add_f64 v[28:29], v[30:31], v[28:29]
	v_add_f64 v[30:31], v[50:51], -v[32:33]
	v_cndmask_b32_e64 v67, 0, 0x3ff00000, vcc_lo
	v_add_co_ci_u32_e64 v133, s0, 0, v69, vcc_lo
	s_delay_alu instid0(VALU_DEP_3) | instskip(NEXT) | instid1(VALU_DEP_3)
	v_add_f64 v[28:29], v[28:29], v[30:31]
	v_add_f64 v[30:31], v[34:35], -v[66:67]
	s_delay_alu instid0(VALU_DEP_1) | instskip(NEXT) | instid1(VALU_DEP_1)
	v_add_f64 v[32:33], v[30:31], v[28:29]
	v_mul_f64 v[34:35], v[32:33], s[4:5]
	v_add_f64 v[30:31], v[32:33], -v[30:31]
	s_delay_alu instid0(VALU_DEP_2) | instskip(NEXT) | instid1(VALU_DEP_2)
	v_fma_f64 v[36:37], v[32:33], s[4:5], -v[34:35]
	v_add_f64 v[28:29], v[28:29], -v[30:31]
	s_delay_alu instid0(VALU_DEP_2) | instskip(NEXT) | instid1(VALU_DEP_1)
	v_fma_f64 v[30:31], v[32:33], s[6:7], v[36:37]
	v_fma_f64 v[30:31], v[28:29], s[4:5], v[30:31]
	s_delay_alu instid0(VALU_DEP_1) | instskip(NEXT) | instid1(VALU_DEP_1)
	v_add_f64 v[28:29], v[34:35], v[30:31]
	v_add_f64 v[32:33], v[28:29], -v[34:35]
	s_delay_alu instid0(VALU_DEP_1)
	v_add_f64 v[30:31], v[30:31], -v[32:33]
	s_and_not1_saveexec_b32 s0, s1
	s_cbranch_execnz .LBB123_11
	s_branch .LBB123_12
.LBB123_10:
	s_and_not1_saveexec_b32 s0, s1
	s_cbranch_execz .LBB123_12
.LBB123_11:
	s_mov_b32 s4, 0x6dc9c883
	s_mov_b32 s5, 0x3fe45f30
	;; [unrolled: 1-line block ×3, first 2 shown]
	v_mul_f64 v[28:29], |v[8:9]|, s[4:5]
	s_mov_b32 s4, 0x54442d18
	s_mov_b32 s5, 0xbff921fb
	;; [unrolled: 1-line block ×3, first 2 shown]
	s_delay_alu instid0(VALU_DEP_1) | instskip(NEXT) | instid1(VALU_DEP_1)
	v_rndne_f64_e32 v[32:33], v[28:29]
	v_fma_f64 v[28:29], v[32:33], s[4:5], |v[8:9]|
	v_mul_f64 v[30:31], v[32:33], s[6:7]
	s_mov_b32 s4, 0x252049c0
	s_mov_b32 s5, 0xb97b839a
	v_cvt_i32_f64_e32 v133, v[32:33]
	s_delay_alu instid0(VALU_DEP_3) | instskip(NEXT) | instid1(VALU_DEP_3)
	v_fma_f64 v[36:37], v[32:33], s[6:7], v[28:29]
	v_add_f64 v[34:35], v[28:29], v[30:31]
	s_mov_b32 s7, 0x3c91a626
	s_delay_alu instid0(VALU_DEP_1) | instskip(NEXT) | instid1(VALU_DEP_3)
	v_add_f64 v[28:29], v[28:29], -v[34:35]
	v_add_f64 v[34:35], v[34:35], -v[36:37]
	s_delay_alu instid0(VALU_DEP_2) | instskip(SKIP_1) | instid1(VALU_DEP_2)
	v_add_f64 v[28:29], v[28:29], v[30:31]
	v_fma_f64 v[30:31], v[32:33], s[6:7], v[30:31]
	v_add_f64 v[28:29], v[34:35], v[28:29]
	s_delay_alu instid0(VALU_DEP_1) | instskip(NEXT) | instid1(VALU_DEP_1)
	v_add_f64 v[28:29], v[28:29], -v[30:31]
	v_fma_f64 v[30:31], v[32:33], s[4:5], v[28:29]
	s_delay_alu instid0(VALU_DEP_1) | instskip(NEXT) | instid1(VALU_DEP_1)
	v_add_f64 v[28:29], v[36:37], v[30:31]
	v_add_f64 v[34:35], v[28:29], -v[36:37]
	s_delay_alu instid0(VALU_DEP_1)
	v_add_f64 v[30:31], v[30:31], -v[34:35]
.LBB123_12:
	s_or_b32 exec_lo, exec_lo, s0
	s_waitcnt vmcnt(2) lgkmcnt(2)
	v_mul_f64 v[32:33], v[12:13], 0.5
	s_mov_b32 s1, exec_lo
                                        ; implicit-def: $vgpr134
                                        ; implicit-def: $vgpr34_vgpr35
                                        ; implicit-def: $vgpr36_vgpr37
	s_delay_alu instid0(VALU_DEP_1)
	v_cmpx_ngt_f64_e64 0x41d00000, |v[32:33]|
	s_xor_b32 s1, exec_lo, s1
	s_cbranch_execz .LBB123_14
; %bb.13:
	v_ldexp_f64 v[34:35], |v[32:33]|, 0xffffff80
	v_cmp_le_f64_e64 vcc_lo, 0x7b000000, |v[32:33]|
	v_trig_preop_f64 v[36:37], |v[32:33]|, 0
	v_and_b32_e32 v38, 0x7fffffff, v33
	v_trig_preop_f64 v[64:65], |v[32:33]|, 2
	v_mov_b32_e32 v80, 0
	s_mov_b32 s4, 0x54442d18
	s_mov_b32 s5, 0x3ff921fb
	;; [unrolled: 1-line block ×4, first 2 shown]
	v_dual_cndmask_b32 v35, v38, v35 :: v_dual_cndmask_b32 v34, v32, v34
	v_trig_preop_f64 v[38:39], |v[32:33]|, 1
	s_delay_alu instid0(VALU_DEP_2) | instskip(SKIP_1) | instid1(VALU_DEP_3)
	v_mul_f64 v[48:49], v[36:37], v[34:35]
	v_mul_f64 v[70:71], v[64:65], v[34:35]
	;; [unrolled: 1-line block ×3, first 2 shown]
	s_delay_alu instid0(VALU_DEP_3) | instskip(NEXT) | instid1(VALU_DEP_2)
	v_fma_f64 v[36:37], v[36:37], v[34:35], -v[48:49]
	v_fma_f64 v[38:39], v[38:39], v[34:35], -v[50:51]
	s_delay_alu instid0(VALU_DEP_4) | instskip(NEXT) | instid1(VALU_DEP_3)
	v_fma_f64 v[34:35], v[64:65], v[34:35], -v[70:71]
	v_add_f64 v[52:53], v[50:51], v[36:37]
	s_delay_alu instid0(VALU_DEP_1) | instskip(SKIP_1) | instid1(VALU_DEP_2)
	v_add_f64 v[54:55], v[52:53], -v[50:51]
	v_add_f64 v[68:69], v[48:49], v[52:53]
	v_add_f64 v[66:67], v[52:53], -v[54:55]
	v_add_f64 v[36:37], v[36:37], -v[54:55]
	s_delay_alu instid0(VALU_DEP_3) | instskip(SKIP_1) | instid1(VALU_DEP_4)
	v_ldexp_f64 v[54:55], v[68:69], -2
	v_add_f64 v[48:49], v[68:69], -v[48:49]
	v_add_f64 v[50:51], v[50:51], -v[66:67]
	v_add_f64 v[66:67], v[70:71], v[38:39]
	s_delay_alu instid0(VALU_DEP_4) | instskip(NEXT) | instid1(VALU_DEP_4)
	v_cmp_neq_f64_e64 vcc_lo, 0x7ff00000, |v[54:55]|
	v_add_f64 v[48:49], v[52:53], -v[48:49]
	s_delay_alu instid0(VALU_DEP_4) | instskip(SKIP_1) | instid1(VALU_DEP_2)
	v_add_f64 v[36:37], v[36:37], v[50:51]
	v_fract_f64_e32 v[50:51], v[54:55]
	v_add_f64 v[52:53], v[66:67], v[36:37]
	s_delay_alu instid0(VALU_DEP_2) | instskip(NEXT) | instid1(VALU_DEP_1)
	v_dual_cndmask_b32 v51, 0, v51 :: v_dual_cndmask_b32 v50, 0, v50
	v_ldexp_f64 v[50:51], v[50:51], 2
	s_delay_alu instid0(VALU_DEP_3) | instskip(NEXT) | instid1(VALU_DEP_1)
	v_add_f64 v[54:55], v[48:49], v[52:53]
	v_add_f64 v[68:69], v[54:55], v[50:51]
	v_add_f64 v[48:49], v[54:55], -v[48:49]
	s_delay_alu instid0(VALU_DEP_2) | instskip(SKIP_1) | instid1(VALU_DEP_3)
	v_cmp_gt_f64_e32 vcc_lo, 0, v[68:69]
	v_add_f64 v[68:69], v[66:67], -v[70:71]
	v_add_f64 v[48:49], v[52:53], -v[48:49]
	v_cndmask_b32_e64 v81, 0, 0x40100000, vcc_lo
	s_delay_alu instid0(VALU_DEP_3) | instskip(SKIP_1) | instid1(VALU_DEP_3)
	v_add_f64 v[85:86], v[66:67], -v[68:69]
	v_add_f64 v[38:39], v[38:39], -v[68:69]
	v_add_f64 v[50:51], v[50:51], v[80:81]
	v_add_f64 v[81:82], v[52:53], -v[66:67]
	s_delay_alu instid0(VALU_DEP_4) | instskip(NEXT) | instid1(VALU_DEP_3)
	v_add_f64 v[68:69], v[70:71], -v[85:86]
	v_add_f64 v[83:84], v[54:55], v[50:51]
	s_delay_alu instid0(VALU_DEP_3) | instskip(SKIP_1) | instid1(VALU_DEP_4)
	v_add_f64 v[96:97], v[52:53], -v[81:82]
	v_add_f64 v[36:37], v[36:37], -v[81:82]
	v_add_f64 v[38:39], v[38:39], v[68:69]
	s_delay_alu instid0(VALU_DEP_4) | instskip(NEXT) | instid1(VALU_DEP_4)
	v_cvt_i32_f64_e32 v83, v[83:84]
	v_add_f64 v[66:67], v[66:67], -v[96:97]
	s_delay_alu instid0(VALU_DEP_2) | instskip(NEXT) | instid1(VALU_DEP_2)
	v_cvt_f64_i32_e32 v[81:82], v83
	v_add_f64 v[36:37], v[36:37], v[66:67]
	s_delay_alu instid0(VALU_DEP_2) | instskip(NEXT) | instid1(VALU_DEP_2)
	v_add_f64 v[50:51], v[50:51], -v[81:82]
	v_add_f64 v[36:37], v[38:39], v[36:37]
	s_delay_alu instid0(VALU_DEP_2) | instskip(NEXT) | instid1(VALU_DEP_2)
	v_add_f64 v[38:39], v[54:55], v[50:51]
	v_add_f64 v[34:35], v[34:35], v[36:37]
	s_delay_alu instid0(VALU_DEP_2) | instskip(SKIP_1) | instid1(VALU_DEP_3)
	v_add_f64 v[36:37], v[38:39], -v[50:51]
	v_cmp_le_f64_e32 vcc_lo, 0.5, v[38:39]
	v_add_f64 v[34:35], v[48:49], v[34:35]
	s_delay_alu instid0(VALU_DEP_3) | instskip(SKIP_2) | instid1(VALU_DEP_3)
	v_add_f64 v[36:37], v[54:55], -v[36:37]
	v_cndmask_b32_e64 v81, 0, 0x3ff00000, vcc_lo
	v_add_co_ci_u32_e64 v134, s0, 0, v83, vcc_lo
	v_add_f64 v[34:35], v[34:35], v[36:37]
	s_delay_alu instid0(VALU_DEP_3) | instskip(NEXT) | instid1(VALU_DEP_1)
	v_add_f64 v[36:37], v[38:39], -v[80:81]
	v_add_f64 v[38:39], v[36:37], v[34:35]
	s_delay_alu instid0(VALU_DEP_1) | instskip(SKIP_1) | instid1(VALU_DEP_2)
	v_mul_f64 v[48:49], v[38:39], s[4:5]
	v_add_f64 v[36:37], v[38:39], -v[36:37]
	v_fma_f64 v[50:51], v[38:39], s[4:5], -v[48:49]
	s_delay_alu instid0(VALU_DEP_2) | instskip(NEXT) | instid1(VALU_DEP_2)
	v_add_f64 v[34:35], v[34:35], -v[36:37]
	v_fma_f64 v[36:37], v[38:39], s[6:7], v[50:51]
	s_delay_alu instid0(VALU_DEP_1) | instskip(NEXT) | instid1(VALU_DEP_1)
	v_fma_f64 v[36:37], v[34:35], s[4:5], v[36:37]
	v_add_f64 v[34:35], v[48:49], v[36:37]
	s_delay_alu instid0(VALU_DEP_1) | instskip(NEXT) | instid1(VALU_DEP_1)
	v_add_f64 v[38:39], v[34:35], -v[48:49]
	v_add_f64 v[36:37], v[36:37], -v[38:39]
.LBB123_14:
	s_and_not1_saveexec_b32 s0, s1
	s_cbranch_execz .LBB123_16
; %bb.15:
	s_mov_b32 s4, 0x6dc9c883
	s_mov_b32 s5, 0x3fe45f30
	;; [unrolled: 1-line block ×3, first 2 shown]
	v_mul_f64 v[34:35], |v[32:33]|, s[4:5]
	s_mov_b32 s4, 0x54442d18
	s_mov_b32 s5, 0xbff921fb
	;; [unrolled: 1-line block ×3, first 2 shown]
	s_delay_alu instid0(VALU_DEP_1) | instskip(NEXT) | instid1(VALU_DEP_1)
	v_rndne_f64_e32 v[38:39], v[34:35]
	v_fma_f64 v[34:35], v[38:39], s[4:5], |v[32:33]|
	v_mul_f64 v[36:37], v[38:39], s[6:7]
	s_mov_b32 s4, 0x252049c0
	s_mov_b32 s5, 0xb97b839a
	v_cvt_i32_f64_e32 v134, v[38:39]
	s_delay_alu instid0(VALU_DEP_3) | instskip(NEXT) | instid1(VALU_DEP_3)
	v_fma_f64 v[50:51], v[38:39], s[6:7], v[34:35]
	v_add_f64 v[48:49], v[34:35], v[36:37]
	s_mov_b32 s7, 0x3c91a626
	s_delay_alu instid0(VALU_DEP_1) | instskip(NEXT) | instid1(VALU_DEP_3)
	v_add_f64 v[34:35], v[34:35], -v[48:49]
	v_add_f64 v[48:49], v[48:49], -v[50:51]
	s_delay_alu instid0(VALU_DEP_2) | instskip(SKIP_1) | instid1(VALU_DEP_2)
	v_add_f64 v[34:35], v[34:35], v[36:37]
	v_fma_f64 v[36:37], v[38:39], s[6:7], v[36:37]
	v_add_f64 v[34:35], v[48:49], v[34:35]
	s_delay_alu instid0(VALU_DEP_1) | instskip(NEXT) | instid1(VALU_DEP_1)
	v_add_f64 v[34:35], v[34:35], -v[36:37]
	v_fma_f64 v[36:37], v[38:39], s[4:5], v[34:35]
	s_delay_alu instid0(VALU_DEP_1) | instskip(NEXT) | instid1(VALU_DEP_1)
	v_add_f64 v[34:35], v[50:51], v[36:37]
	v_add_f64 v[48:49], v[34:35], -v[50:51]
	s_delay_alu instid0(VALU_DEP_1)
	v_add_f64 v[36:37], v[36:37], -v[48:49]
.LBB123_16:
	s_or_b32 exec_lo, exec_lo, s0
	v_cmp_ngt_f64_e64 s1, 0x41d00000, |v[12:13]|
	v_trig_preop_f64 v[54:55], |v[12:13]|, 0
	v_trig_preop_f64 v[52:53], |v[12:13]|, 1
	v_ldexp_f64 v[64:65], |v[12:13]|, 0xffffff80
	v_trig_preop_f64 v[38:39], |v[12:13]|, 2
	v_and_b32_e32 v70, 0x7fffffff, v13
                                        ; implicit-def: $vgpr135
                                        ; implicit-def: $vgpr48_vgpr49
                                        ; implicit-def: $vgpr50_vgpr51
	s_and_saveexec_b32 s0, s1
	s_delay_alu instid0(SALU_CYCLE_1)
	s_xor_b32 s4, exec_lo, s0
	s_cbranch_execz .LBB123_18
; %bb.17:
	v_cmp_le_f64_e64 vcc_lo, 0x7b000000, |v[12:13]|
	v_mov_b32_e32 v100, 0
	s_mov_b32 s6, 0x54442d18
	s_mov_b32 s7, 0x3ff921fb
	;; [unrolled: 1-line block ×4, first 2 shown]
	v_dual_cndmask_b32 v49, v70, v65 :: v_dual_cndmask_b32 v48, v12, v64
	s_delay_alu instid0(VALU_DEP_1) | instskip(SKIP_2) | instid1(VALU_DEP_3)
	v_mul_f64 v[50:51], v[54:55], v[48:49]
	v_mul_f64 v[66:67], v[52:53], v[48:49]
	;; [unrolled: 1-line block ×3, first 2 shown]
	v_fma_f64 v[68:69], v[54:55], v[48:49], -v[50:51]
	s_delay_alu instid0(VALU_DEP_3) | instskip(NEXT) | instid1(VALU_DEP_3)
	v_fma_f64 v[98:99], v[52:53], v[48:49], -v[66:67]
	v_fma_f64 v[48:49], v[38:39], v[48:49], -v[96:97]
	s_delay_alu instid0(VALU_DEP_3) | instskip(NEXT) | instid1(VALU_DEP_1)
	v_add_f64 v[80:81], v[66:67], v[68:69]
	v_add_f64 v[82:83], v[80:81], -v[66:67]
	v_add_f64 v[86:87], v[50:51], v[80:81]
	s_delay_alu instid0(VALU_DEP_2) | instskip(SKIP_1) | instid1(VALU_DEP_3)
	v_add_f64 v[84:85], v[80:81], -v[82:83]
	v_add_f64 v[68:69], v[68:69], -v[82:83]
	v_ldexp_f64 v[82:83], v[86:87], -2
	v_add_f64 v[50:51], v[86:87], -v[50:51]
	s_delay_alu instid0(VALU_DEP_4) | instskip(SKIP_1) | instid1(VALU_DEP_4)
	v_add_f64 v[66:67], v[66:67], -v[84:85]
	v_add_f64 v[84:85], v[96:97], v[98:99]
	v_cmp_neq_f64_e64 vcc_lo, 0x7ff00000, |v[82:83]|
	s_delay_alu instid0(VALU_DEP_4) | instskip(NEXT) | instid1(VALU_DEP_4)
	v_add_f64 v[50:51], v[80:81], -v[50:51]
	v_add_f64 v[66:67], v[68:69], v[66:67]
	v_fract_f64_e32 v[68:69], v[82:83]
	s_delay_alu instid0(VALU_DEP_2) | instskip(NEXT) | instid1(VALU_DEP_2)
	v_add_f64 v[80:81], v[84:85], v[66:67]
	v_dual_cndmask_b32 v69, 0, v69 :: v_dual_cndmask_b32 v68, 0, v68
	s_delay_alu instid0(VALU_DEP_1) | instskip(NEXT) | instid1(VALU_DEP_3)
	v_ldexp_f64 v[68:69], v[68:69], 2
	v_add_f64 v[82:83], v[50:51], v[80:81]
	s_delay_alu instid0(VALU_DEP_1) | instskip(SKIP_1) | instid1(VALU_DEP_2)
	v_add_f64 v[86:87], v[82:83], v[68:69]
	v_add_f64 v[50:51], v[82:83], -v[50:51]
	v_cmp_gt_f64_e32 vcc_lo, 0, v[86:87]
	v_add_f64 v[86:87], v[84:85], -v[96:97]
	s_delay_alu instid0(VALU_DEP_3) | instskip(SKIP_1) | instid1(VALU_DEP_3)
	v_add_f64 v[50:51], v[80:81], -v[50:51]
	v_cndmask_b32_e64 v101, 0, 0x40100000, vcc_lo
	v_add_f64 v[114:115], v[84:85], -v[86:87]
	v_add_f64 v[86:87], v[98:99], -v[86:87]
	s_delay_alu instid0(VALU_DEP_3) | instskip(SKIP_1) | instid1(VALU_DEP_4)
	v_add_f64 v[68:69], v[68:69], v[100:101]
	v_add_f64 v[101:102], v[80:81], -v[84:85]
	v_add_f64 v[98:99], v[96:97], -v[114:115]
	s_delay_alu instid0(VALU_DEP_3) | instskip(NEXT) | instid1(VALU_DEP_3)
	v_add_f64 v[112:113], v[82:83], v[68:69]
	v_add_f64 v[116:117], v[80:81], -v[101:102]
	v_add_f64 v[66:67], v[66:67], -v[101:102]
	s_delay_alu instid0(VALU_DEP_4) | instskip(NEXT) | instid1(VALU_DEP_4)
	v_add_f64 v[86:87], v[86:87], v[98:99]
	v_cvt_i32_f64_e32 v71, v[112:113]
	s_delay_alu instid0(VALU_DEP_4) | instskip(NEXT) | instid1(VALU_DEP_2)
	v_add_f64 v[84:85], v[84:85], -v[116:117]
	v_cvt_f64_i32_e32 v[101:102], v71
	s_delay_alu instid0(VALU_DEP_2) | instskip(NEXT) | instid1(VALU_DEP_2)
	v_add_f64 v[66:67], v[66:67], v[84:85]
	v_add_f64 v[68:69], v[68:69], -v[101:102]
	s_delay_alu instid0(VALU_DEP_2) | instskip(NEXT) | instid1(VALU_DEP_2)
	v_add_f64 v[66:67], v[86:87], v[66:67]
	v_add_f64 v[84:85], v[82:83], v[68:69]
	s_delay_alu instid0(VALU_DEP_2) | instskip(NEXT) | instid1(VALU_DEP_2)
	v_add_f64 v[48:49], v[48:49], v[66:67]
	v_add_f64 v[66:67], v[84:85], -v[68:69]
	v_cmp_le_f64_e32 vcc_lo, 0.5, v[84:85]
	s_delay_alu instid0(VALU_DEP_3) | instskip(NEXT) | instid1(VALU_DEP_3)
	v_add_f64 v[48:49], v[50:51], v[48:49]
	v_add_f64 v[50:51], v[82:83], -v[66:67]
	v_cndmask_b32_e64 v101, 0, 0x3ff00000, vcc_lo
	v_add_co_ci_u32_e64 v135, s0, 0, v71, vcc_lo
	s_delay_alu instid0(VALU_DEP_3) | instskip(NEXT) | instid1(VALU_DEP_3)
	v_add_f64 v[48:49], v[48:49], v[50:51]
	v_add_f64 v[50:51], v[84:85], -v[100:101]
	s_delay_alu instid0(VALU_DEP_1) | instskip(NEXT) | instid1(VALU_DEP_1)
	v_add_f64 v[66:67], v[50:51], v[48:49]
	v_mul_f64 v[68:69], v[66:67], s[6:7]
	v_add_f64 v[50:51], v[66:67], -v[50:51]
	s_delay_alu instid0(VALU_DEP_2) | instskip(NEXT) | instid1(VALU_DEP_2)
	v_fma_f64 v[80:81], v[66:67], s[6:7], -v[68:69]
	v_add_f64 v[48:49], v[48:49], -v[50:51]
	s_delay_alu instid0(VALU_DEP_2) | instskip(NEXT) | instid1(VALU_DEP_1)
	v_fma_f64 v[50:51], v[66:67], s[8:9], v[80:81]
	v_fma_f64 v[50:51], v[48:49], s[6:7], v[50:51]
	s_delay_alu instid0(VALU_DEP_1) | instskip(NEXT) | instid1(VALU_DEP_1)
	v_add_f64 v[48:49], v[68:69], v[50:51]
	v_add_f64 v[66:67], v[48:49], -v[68:69]
	s_delay_alu instid0(VALU_DEP_1)
	v_add_f64 v[50:51], v[50:51], -v[66:67]
	s_and_not1_saveexec_b32 s0, s4
	s_cbranch_execz .LBB123_20
	s_branch .LBB123_19
.LBB123_18:
	s_and_not1_saveexec_b32 s0, s4
	s_cbranch_execz .LBB123_20
.LBB123_19:
	s_mov_b32 s4, 0x6dc9c883
	s_mov_b32 s5, 0x3fe45f30
	;; [unrolled: 1-line block ×3, first 2 shown]
	v_mul_f64 v[48:49], |v[12:13]|, s[4:5]
	s_mov_b32 s4, 0x54442d18
	s_mov_b32 s5, 0xbff921fb
	;; [unrolled: 1-line block ×3, first 2 shown]
	s_delay_alu instid0(VALU_DEP_1) | instskip(NEXT) | instid1(VALU_DEP_1)
	v_rndne_f64_e32 v[66:67], v[48:49]
	v_fma_f64 v[48:49], v[66:67], s[4:5], |v[12:13]|
	v_mul_f64 v[50:51], v[66:67], s[6:7]
	s_mov_b32 s4, 0x252049c0
	s_mov_b32 s5, 0xb97b839a
	v_cvt_i32_f64_e32 v135, v[66:67]
	s_delay_alu instid0(VALU_DEP_3) | instskip(NEXT) | instid1(VALU_DEP_3)
	v_fma_f64 v[80:81], v[66:67], s[6:7], v[48:49]
	v_add_f64 v[68:69], v[48:49], v[50:51]
	s_mov_b32 s7, 0x3c91a626
	s_delay_alu instid0(VALU_DEP_1) | instskip(NEXT) | instid1(VALU_DEP_3)
	v_add_f64 v[48:49], v[48:49], -v[68:69]
	v_add_f64 v[68:69], v[68:69], -v[80:81]
	s_delay_alu instid0(VALU_DEP_2) | instskip(SKIP_1) | instid1(VALU_DEP_2)
	v_add_f64 v[48:49], v[48:49], v[50:51]
	v_fma_f64 v[50:51], v[66:67], s[6:7], v[50:51]
	v_add_f64 v[48:49], v[68:69], v[48:49]
	s_delay_alu instid0(VALU_DEP_1) | instskip(NEXT) | instid1(VALU_DEP_1)
	v_add_f64 v[48:49], v[48:49], -v[50:51]
	v_fma_f64 v[50:51], v[66:67], s[4:5], v[48:49]
	s_delay_alu instid0(VALU_DEP_1) | instskip(NEXT) | instid1(VALU_DEP_1)
	v_add_f64 v[48:49], v[80:81], v[50:51]
	v_add_f64 v[68:69], v[48:49], -v[80:81]
	s_delay_alu instid0(VALU_DEP_1)
	v_add_f64 v[50:51], v[50:51], -v[68:69]
.LBB123_20:
	s_or_b32 exec_lo, exec_lo, s0
                                        ; implicit-def: $vgpr146
                                        ; implicit-def: $vgpr66_vgpr67
                                        ; implicit-def: $vgpr68_vgpr69
	s_and_saveexec_b32 s0, s1
	s_delay_alu instid0(SALU_CYCLE_1)
	s_xor_b32 s1, exec_lo, s0
	s_cbranch_execz .LBB123_22
; %bb.21:
	v_cmp_le_f64_e64 vcc_lo, 0x7b000000, |v[12:13]|
	v_mov_b32_e32 v96, 0
	s_mov_b32 s4, 0x54442d18
	s_mov_b32 s5, 0x3ff921fb
	;; [unrolled: 1-line block ×4, first 2 shown]
	v_dual_cndmask_b32 v65, v70, v65 :: v_dual_cndmask_b32 v64, v12, v64
	s_delay_alu instid0(VALU_DEP_1) | instskip(SKIP_2) | instid1(VALU_DEP_3)
	v_mul_f64 v[66:67], v[54:55], v[64:65]
	v_mul_f64 v[68:69], v[52:53], v[64:65]
	;; [unrolled: 1-line block ×3, first 2 shown]
	v_fma_f64 v[54:55], v[54:55], v[64:65], -v[66:67]
	s_delay_alu instid0(VALU_DEP_3) | instskip(NEXT) | instid1(VALU_DEP_3)
	v_fma_f64 v[52:53], v[52:53], v[64:65], -v[68:69]
	v_fma_f64 v[38:39], v[38:39], v[64:65], -v[86:87]
	s_delay_alu instid0(VALU_DEP_3) | instskip(NEXT) | instid1(VALU_DEP_1)
	v_add_f64 v[70:71], v[68:69], v[54:55]
	v_add_f64 v[80:81], v[70:71], -v[68:69]
	v_add_f64 v[84:85], v[66:67], v[70:71]
	s_delay_alu instid0(VALU_DEP_2) | instskip(SKIP_1) | instid1(VALU_DEP_3)
	v_add_f64 v[82:83], v[70:71], -v[80:81]
	v_add_f64 v[54:55], v[54:55], -v[80:81]
	v_ldexp_f64 v[80:81], v[84:85], -2
	v_add_f64 v[66:67], v[84:85], -v[66:67]
	s_delay_alu instid0(VALU_DEP_4) | instskip(SKIP_1) | instid1(VALU_DEP_4)
	v_add_f64 v[68:69], v[68:69], -v[82:83]
	v_add_f64 v[82:83], v[86:87], v[52:53]
	v_cmp_neq_f64_e64 vcc_lo, 0x7ff00000, |v[80:81]|
	s_delay_alu instid0(VALU_DEP_4) | instskip(NEXT) | instid1(VALU_DEP_4)
	v_add_f64 v[66:67], v[70:71], -v[66:67]
	v_add_f64 v[54:55], v[54:55], v[68:69]
	v_fract_f64_e32 v[68:69], v[80:81]
	s_delay_alu instid0(VALU_DEP_2) | instskip(NEXT) | instid1(VALU_DEP_2)
	v_add_f64 v[70:71], v[82:83], v[54:55]
	v_dual_cndmask_b32 v69, 0, v69 :: v_dual_cndmask_b32 v68, 0, v68
	s_delay_alu instid0(VALU_DEP_1) | instskip(NEXT) | instid1(VALU_DEP_3)
	v_ldexp_f64 v[68:69], v[68:69], 2
	v_add_f64 v[80:81], v[66:67], v[70:71]
	s_delay_alu instid0(VALU_DEP_1) | instskip(SKIP_1) | instid1(VALU_DEP_2)
	v_add_f64 v[84:85], v[80:81], v[68:69]
	v_add_f64 v[64:65], v[80:81], -v[66:67]
	v_cmp_gt_f64_e32 vcc_lo, 0, v[84:85]
	v_add_f64 v[84:85], v[82:83], -v[86:87]
	s_delay_alu instid0(VALU_DEP_3) | instskip(SKIP_1) | instid1(VALU_DEP_3)
	v_add_f64 v[64:65], v[70:71], -v[64:65]
	v_cndmask_b32_e64 v97, 0, 0x40100000, vcc_lo
	v_add_f64 v[101:102], v[82:83], -v[84:85]
	v_add_f64 v[52:53], v[52:53], -v[84:85]
	s_delay_alu instid0(VALU_DEP_3) | instskip(SKIP_1) | instid1(VALU_DEP_4)
	v_add_f64 v[68:69], v[68:69], v[96:97]
	v_add_f64 v[97:98], v[70:71], -v[82:83]
	v_add_f64 v[84:85], v[86:87], -v[101:102]
	s_delay_alu instid0(VALU_DEP_3) | instskip(NEXT) | instid1(VALU_DEP_3)
	v_add_f64 v[99:100], v[80:81], v[68:69]
	v_add_f64 v[112:113], v[70:71], -v[97:98]
	v_add_f64 v[54:55], v[54:55], -v[97:98]
	s_delay_alu instid0(VALU_DEP_4) | instskip(NEXT) | instid1(VALU_DEP_4)
	v_add_f64 v[52:53], v[52:53], v[84:85]
	v_cvt_i32_f64_e32 v99, v[99:100]
	s_delay_alu instid0(VALU_DEP_4) | instskip(NEXT) | instid1(VALU_DEP_2)
	v_add_f64 v[82:83], v[82:83], -v[112:113]
	v_cvt_f64_i32_e32 v[97:98], v99
	s_delay_alu instid0(VALU_DEP_2) | instskip(NEXT) | instid1(VALU_DEP_2)
	v_add_f64 v[54:55], v[54:55], v[82:83]
	v_add_f64 v[68:69], v[68:69], -v[97:98]
	s_delay_alu instid0(VALU_DEP_2) | instskip(NEXT) | instid1(VALU_DEP_2)
	v_add_f64 v[52:53], v[52:53], v[54:55]
	v_add_f64 v[54:55], v[80:81], v[68:69]
	s_delay_alu instid0(VALU_DEP_2) | instskip(NEXT) | instid1(VALU_DEP_2)
	v_add_f64 v[38:39], v[38:39], v[52:53]
	v_add_f64 v[52:53], v[54:55], -v[68:69]
	v_cmp_le_f64_e32 vcc_lo, 0.5, v[54:55]
	s_delay_alu instid0(VALU_DEP_3) | instskip(NEXT) | instid1(VALU_DEP_3)
	v_add_f64 v[38:39], v[64:65], v[38:39]
	v_add_f64 v[52:53], v[80:81], -v[52:53]
	v_cndmask_b32_e64 v97, 0, 0x3ff00000, vcc_lo
	v_add_co_ci_u32_e64 v146, s0, 0, v99, vcc_lo
	s_delay_alu instid0(VALU_DEP_3) | instskip(NEXT) | instid1(VALU_DEP_3)
	v_add_f64 v[38:39], v[38:39], v[52:53]
	v_add_f64 v[52:53], v[54:55], -v[96:97]
	s_delay_alu instid0(VALU_DEP_1) | instskip(NEXT) | instid1(VALU_DEP_1)
	v_add_f64 v[54:55], v[52:53], v[38:39]
	v_mul_f64 v[64:65], v[54:55], s[4:5]
	v_add_f64 v[52:53], v[54:55], -v[52:53]
	s_delay_alu instid0(VALU_DEP_2) | instskip(NEXT) | instid1(VALU_DEP_2)
	v_fma_f64 v[66:67], v[54:55], s[4:5], -v[64:65]
	v_add_f64 v[38:39], v[38:39], -v[52:53]
	s_delay_alu instid0(VALU_DEP_2) | instskip(NEXT) | instid1(VALU_DEP_1)
	v_fma_f64 v[52:53], v[54:55], s[6:7], v[66:67]
	v_fma_f64 v[38:39], v[38:39], s[4:5], v[52:53]
	s_delay_alu instid0(VALU_DEP_1) | instskip(NEXT) | instid1(VALU_DEP_1)
	v_add_f64 v[66:67], v[64:65], v[38:39]
	v_add_f64 v[52:53], v[66:67], -v[64:65]
	s_delay_alu instid0(VALU_DEP_1)
	v_add_f64 v[68:69], v[38:39], -v[52:53]
	s_and_not1_saveexec_b32 s0, s1
	s_cbranch_execnz .LBB123_23
	s_branch .LBB123_24
.LBB123_22:
	s_and_not1_saveexec_b32 s0, s1
	s_cbranch_execz .LBB123_24
.LBB123_23:
	s_mov_b32 s4, 0x6dc9c883
	s_mov_b32 s5, 0x3fe45f30
	;; [unrolled: 1-line block ×3, first 2 shown]
	v_mul_f64 v[38:39], |v[12:13]|, s[4:5]
	s_mov_b32 s4, 0x54442d18
	s_mov_b32 s5, 0xbff921fb
	s_mov_b32 s6, 0x33145c00
	s_delay_alu instid0(VALU_DEP_1) | instskip(NEXT) | instid1(VALU_DEP_1)
	v_rndne_f64_e32 v[38:39], v[38:39]
	v_fma_f64 v[52:53], v[38:39], s[4:5], |v[12:13]|
	v_mul_f64 v[54:55], v[38:39], s[6:7]
	s_mov_b32 s4, 0x252049c0
	s_mov_b32 s5, 0xb97b839a
	v_cvt_i32_f64_e32 v146, v[38:39]
	s_delay_alu instid0(VALU_DEP_3) | instskip(NEXT) | instid1(VALU_DEP_3)
	v_fma_f64 v[68:69], v[38:39], s[6:7], v[52:53]
	v_add_f64 v[64:65], v[52:53], v[54:55]
	s_mov_b32 s7, 0x3c91a626
	s_delay_alu instid0(VALU_DEP_1) | instskip(NEXT) | instid1(VALU_DEP_3)
	v_add_f64 v[52:53], v[52:53], -v[64:65]
	v_add_f64 v[64:65], v[64:65], -v[68:69]
	s_delay_alu instid0(VALU_DEP_2) | instskip(SKIP_1) | instid1(VALU_DEP_2)
	v_add_f64 v[52:53], v[52:53], v[54:55]
	v_fma_f64 v[54:55], v[38:39], s[6:7], v[54:55]
	v_add_f64 v[52:53], v[64:65], v[52:53]
	s_delay_alu instid0(VALU_DEP_1) | instskip(NEXT) | instid1(VALU_DEP_1)
	v_add_f64 v[52:53], v[52:53], -v[54:55]
	v_fma_f64 v[52:53], v[38:39], s[4:5], v[52:53]
	s_delay_alu instid0(VALU_DEP_1) | instskip(NEXT) | instid1(VALU_DEP_1)
	v_add_f64 v[66:67], v[68:69], v[52:53]
	v_add_f64 v[54:55], v[66:67], -v[68:69]
	s_delay_alu instid0(VALU_DEP_1)
	v_add_f64 v[68:69], v[52:53], -v[54:55]
.LBB123_24:
	s_or_b32 exec_lo, exec_lo, s0
	s_waitcnt vmcnt(1) lgkmcnt(1)
	v_mul_f64 v[84:85], v[16:17], 0.5
	s_mov_b32 s1, exec_lo
                                        ; implicit-def: $vgpr148
                                        ; implicit-def: $vgpr86_vgpr87
                                        ; implicit-def: $vgpr96_vgpr97
	s_delay_alu instid0(VALU_DEP_1)
	v_cmpx_ngt_f64_e64 0x41d00000, |v[84:85]|
	s_xor_b32 s1, exec_lo, s1
	s_cbranch_execz .LBB123_26
; %bb.25:
	v_ldexp_f64 v[38:39], |v[84:85]|, 0xffffff80
	v_cmp_le_f64_e64 vcc_lo, 0x7b000000, |v[84:85]|
	v_trig_preop_f64 v[52:53], |v[84:85]|, 0
	v_and_b32_e32 v54, 0x7fffffff, v85
	v_trig_preop_f64 v[86:87], |v[84:85]|, 2
	v_mov_b32_e32 v102, 0
	s_mov_b32 s4, 0x54442d18
	s_mov_b32 s5, 0x3ff921fb
	;; [unrolled: 1-line block ×4, first 2 shown]
	v_dual_cndmask_b32 v39, v54, v39 :: v_dual_cndmask_b32 v38, v84, v38
	v_trig_preop_f64 v[54:55], |v[84:85]|, 1
	s_delay_alu instid0(VALU_DEP_2) | instskip(SKIP_1) | instid1(VALU_DEP_3)
	v_mul_f64 v[64:65], v[52:53], v[38:39]
	v_mul_f64 v[100:101], v[86:87], v[38:39]
	;; [unrolled: 1-line block ×3, first 2 shown]
	s_delay_alu instid0(VALU_DEP_3) | instskip(NEXT) | instid1(VALU_DEP_2)
	v_fma_f64 v[52:53], v[52:53], v[38:39], -v[64:65]
	v_fma_f64 v[54:55], v[54:55], v[38:39], -v[70:71]
	s_delay_alu instid0(VALU_DEP_4) | instskip(NEXT) | instid1(VALU_DEP_3)
	v_fma_f64 v[38:39], v[86:87], v[38:39], -v[100:101]
	v_add_f64 v[80:81], v[70:71], v[52:53]
	s_delay_alu instid0(VALU_DEP_1) | instskip(SKIP_1) | instid1(VALU_DEP_2)
	v_add_f64 v[82:83], v[80:81], -v[70:71]
	v_add_f64 v[98:99], v[64:65], v[80:81]
	v_add_f64 v[96:97], v[80:81], -v[82:83]
	v_add_f64 v[52:53], v[52:53], -v[82:83]
	s_delay_alu instid0(VALU_DEP_3) | instskip(SKIP_1) | instid1(VALU_DEP_4)
	v_ldexp_f64 v[82:83], v[98:99], -2
	v_add_f64 v[64:65], v[98:99], -v[64:65]
	v_add_f64 v[70:71], v[70:71], -v[96:97]
	v_add_f64 v[96:97], v[100:101], v[54:55]
	s_delay_alu instid0(VALU_DEP_4) | instskip(NEXT) | instid1(VALU_DEP_4)
	v_cmp_neq_f64_e64 vcc_lo, 0x7ff00000, |v[82:83]|
	v_add_f64 v[64:65], v[80:81], -v[64:65]
	s_delay_alu instid0(VALU_DEP_4) | instskip(SKIP_1) | instid1(VALU_DEP_2)
	v_add_f64 v[52:53], v[52:53], v[70:71]
	v_fract_f64_e32 v[70:71], v[82:83]
	v_add_f64 v[80:81], v[96:97], v[52:53]
	s_delay_alu instid0(VALU_DEP_2) | instskip(NEXT) | instid1(VALU_DEP_1)
	v_dual_cndmask_b32 v71, 0, v71 :: v_dual_cndmask_b32 v70, 0, v70
	v_ldexp_f64 v[70:71], v[70:71], 2
	s_delay_alu instid0(VALU_DEP_3) | instskip(SKIP_1) | instid1(VALU_DEP_2)
	v_add_f64 v[82:83], v[64:65], v[80:81]
	v_add_f64 v[112:113], v[80:81], -v[96:97]
	v_add_f64 v[98:99], v[82:83], v[70:71]
	s_delay_alu instid0(VALU_DEP_2) | instskip(SKIP_2) | instid1(VALU_DEP_4)
	v_add_f64 v[118:119], v[80:81], -v[112:113]
	v_add_f64 v[52:53], v[52:53], -v[112:113]
	v_add_f64 v[64:65], v[82:83], -v[64:65]
	v_cmp_gt_f64_e32 vcc_lo, 0, v[98:99]
	v_add_f64 v[98:99], v[96:97], -v[100:101]
	s_delay_alu instid0(VALU_DEP_3) | instskip(SKIP_1) | instid1(VALU_DEP_3)
	v_add_f64 v[64:65], v[80:81], -v[64:65]
	v_cndmask_b32_e64 v103, 0, 0x40100000, vcc_lo
	v_add_f64 v[116:117], v[96:97], -v[98:99]
	v_add_f64 v[54:55], v[54:55], -v[98:99]
	;; [unrolled: 1-line block ×3, first 2 shown]
	s_delay_alu instid0(VALU_DEP_4) | instskip(NEXT) | instid1(VALU_DEP_4)
	v_add_f64 v[70:71], v[70:71], v[102:103]
	v_add_f64 v[98:99], v[100:101], -v[116:117]
	s_delay_alu instid0(VALU_DEP_3) | instskip(NEXT) | instid1(VALU_DEP_3)
	v_add_f64 v[52:53], v[52:53], v[96:97]
	v_add_f64 v[114:115], v[82:83], v[70:71]
	s_delay_alu instid0(VALU_DEP_3) | instskip(NEXT) | instid1(VALU_DEP_2)
	v_add_f64 v[54:55], v[54:55], v[98:99]
	v_cvt_i32_f64_e32 v103, v[114:115]
	s_delay_alu instid0(VALU_DEP_2) | instskip(NEXT) | instid1(VALU_DEP_2)
	v_add_f64 v[52:53], v[54:55], v[52:53]
	v_cvt_f64_i32_e32 v[112:113], v103
	s_delay_alu instid0(VALU_DEP_2) | instskip(NEXT) | instid1(VALU_DEP_2)
	v_add_f64 v[38:39], v[38:39], v[52:53]
	v_add_f64 v[70:71], v[70:71], -v[112:113]
	s_delay_alu instid0(VALU_DEP_2) | instskip(NEXT) | instid1(VALU_DEP_2)
	v_add_f64 v[38:39], v[64:65], v[38:39]
	v_add_f64 v[54:55], v[82:83], v[70:71]
	s_delay_alu instid0(VALU_DEP_1) | instskip(SKIP_1) | instid1(VALU_DEP_2)
	v_add_f64 v[52:53], v[54:55], -v[70:71]
	v_cmp_le_f64_e32 vcc_lo, 0.5, v[54:55]
	v_add_f64 v[52:53], v[82:83], -v[52:53]
	v_add_co_ci_u32_e64 v148, s0, 0, v103, vcc_lo
	v_cndmask_b32_e64 v103, 0, 0x3ff00000, vcc_lo
	s_delay_alu instid0(VALU_DEP_3) | instskip(NEXT) | instid1(VALU_DEP_2)
	v_add_f64 v[38:39], v[38:39], v[52:53]
	v_add_f64 v[52:53], v[54:55], -v[102:103]
	s_delay_alu instid0(VALU_DEP_1) | instskip(NEXT) | instid1(VALU_DEP_1)
	v_add_f64 v[54:55], v[52:53], v[38:39]
	v_mul_f64 v[64:65], v[54:55], s[4:5]
	v_add_f64 v[52:53], v[54:55], -v[52:53]
	s_delay_alu instid0(VALU_DEP_2) | instskip(NEXT) | instid1(VALU_DEP_2)
	v_fma_f64 v[70:71], v[54:55], s[4:5], -v[64:65]
	v_add_f64 v[38:39], v[38:39], -v[52:53]
	s_delay_alu instid0(VALU_DEP_2) | instskip(NEXT) | instid1(VALU_DEP_1)
	v_fma_f64 v[52:53], v[54:55], s[6:7], v[70:71]
	v_fma_f64 v[38:39], v[38:39], s[4:5], v[52:53]
	s_delay_alu instid0(VALU_DEP_1) | instskip(NEXT) | instid1(VALU_DEP_1)
	v_add_f64 v[86:87], v[64:65], v[38:39]
	v_add_f64 v[52:53], v[86:87], -v[64:65]
	s_delay_alu instid0(VALU_DEP_1)
	v_add_f64 v[96:97], v[38:39], -v[52:53]
.LBB123_26:
	s_and_not1_saveexec_b32 s0, s1
	s_cbranch_execz .LBB123_28
; %bb.27:
	s_mov_b32 s4, 0x6dc9c883
	s_mov_b32 s5, 0x3fe45f30
	;; [unrolled: 1-line block ×3, first 2 shown]
	v_mul_f64 v[38:39], |v[84:85]|, s[4:5]
	s_mov_b32 s4, 0x54442d18
	s_mov_b32 s5, 0xbff921fb
	;; [unrolled: 1-line block ×3, first 2 shown]
	s_delay_alu instid0(VALU_DEP_1) | instskip(NEXT) | instid1(VALU_DEP_1)
	v_rndne_f64_e32 v[38:39], v[38:39]
	v_fma_f64 v[52:53], v[38:39], s[4:5], |v[84:85]|
	v_mul_f64 v[54:55], v[38:39], s[6:7]
	s_mov_b32 s4, 0x252049c0
	s_mov_b32 s5, 0xb97b839a
	v_cvt_i32_f64_e32 v148, v[38:39]
	s_delay_alu instid0(VALU_DEP_3) | instskip(NEXT) | instid1(VALU_DEP_3)
	v_fma_f64 v[70:71], v[38:39], s[6:7], v[52:53]
	v_add_f64 v[64:65], v[52:53], v[54:55]
	s_mov_b32 s7, 0x3c91a626
	s_delay_alu instid0(VALU_DEP_1) | instskip(NEXT) | instid1(VALU_DEP_3)
	v_add_f64 v[52:53], v[52:53], -v[64:65]
	v_add_f64 v[64:65], v[64:65], -v[70:71]
	s_delay_alu instid0(VALU_DEP_2) | instskip(SKIP_1) | instid1(VALU_DEP_2)
	v_add_f64 v[52:53], v[52:53], v[54:55]
	v_fma_f64 v[54:55], v[38:39], s[6:7], v[54:55]
	v_add_f64 v[52:53], v[64:65], v[52:53]
	s_delay_alu instid0(VALU_DEP_1) | instskip(NEXT) | instid1(VALU_DEP_1)
	v_add_f64 v[52:53], v[52:53], -v[54:55]
	v_fma_f64 v[52:53], v[38:39], s[4:5], v[52:53]
	s_delay_alu instid0(VALU_DEP_1) | instskip(NEXT) | instid1(VALU_DEP_1)
	v_add_f64 v[86:87], v[70:71], v[52:53]
	v_add_f64 v[54:55], v[86:87], -v[70:71]
	s_delay_alu instid0(VALU_DEP_1)
	v_add_f64 v[96:97], v[52:53], -v[54:55]
.LBB123_28:
	s_or_b32 exec_lo, exec_lo, s0
	v_cmp_ngt_f64_e64 s1, 0x41d00000, |v[16:17]|
	v_trig_preop_f64 v[54:55], |v[16:17]|, 0
	v_trig_preop_f64 v[52:53], |v[16:17]|, 1
	v_ldexp_f64 v[64:65], |v[16:17]|, 0xffffff80
	v_trig_preop_f64 v[38:39], |v[16:17]|, 2
	v_and_b32_e32 v70, 0x7fffffff, v17
                                        ; implicit-def: $vgpr149
                                        ; implicit-def: $vgpr98_vgpr99
                                        ; implicit-def: $vgpr100_vgpr101
	s_and_saveexec_b32 s0, s1
	s_delay_alu instid0(SALU_CYCLE_1)
	s_xor_b32 s4, exec_lo, s0
	s_cbranch_execz .LBB123_30
; %bb.29:
	v_cmp_le_f64_e64 vcc_lo, 0x7b000000, |v[16:17]|
	s_mov_b32 s6, 0x54442d18
	s_mov_b32 s7, 0x3ff921fb
	;; [unrolled: 1-line block ×4, first 2 shown]
	s_delay_alu instid0(VALU_DEP_4) | instskip(NEXT) | instid1(VALU_DEP_1)
	v_dual_cndmask_b32 v81, v70, v65 :: v_dual_cndmask_b32 v80, v16, v64
	v_mul_f64 v[98:99], v[54:55], v[80:81]
	v_mul_f64 v[82:83], v[52:53], v[80:81]
	s_delay_alu instid0(VALU_DEP_2) | instskip(NEXT) | instid1(VALU_DEP_1)
	v_fma_f64 v[100:101], v[54:55], v[80:81], -v[98:99]
	v_add_f64 v[102:103], v[82:83], v[100:101]
	s_delay_alu instid0(VALU_DEP_1) | instskip(NEXT) | instid1(VALU_DEP_1)
	v_add_f64 v[112:113], v[98:99], v[102:103]
	v_ldexp_f64 v[114:115], v[112:113], -2
	v_add_f64 v[98:99], v[112:113], -v[98:99]
	s_delay_alu instid0(VALU_DEP_2) | instskip(SKIP_1) | instid1(VALU_DEP_3)
	v_fract_f64_e32 v[116:117], v[114:115]
	v_cmp_neq_f64_e64 vcc_lo, 0x7ff00000, |v[114:115]|
	v_add_f64 v[98:99], v[102:103], -v[98:99]
	s_delay_alu instid0(VALU_DEP_3) | instskip(SKIP_1) | instid1(VALU_DEP_1)
	v_dual_cndmask_b32 v115, 0, v117 :: v_dual_cndmask_b32 v114, 0, v116
	v_add_f64 v[116:117], v[102:103], -v[82:83]
	v_add_f64 v[100:101], v[100:101], -v[116:117]
	;; [unrolled: 1-line block ×3, first 2 shown]
	s_delay_alu instid0(VALU_DEP_1) | instskip(SKIP_1) | instid1(VALU_DEP_2)
	v_add_f64 v[116:117], v[82:83], -v[116:117]
	v_fma_f64 v[82:83], v[52:53], v[80:81], -v[82:83]
	v_add_f64 v[100:101], v[100:101], v[116:117]
	v_mul_f64 v[116:117], v[38:39], v[80:81]
	s_delay_alu instid0(VALU_DEP_1) | instskip(SKIP_1) | instid1(VALU_DEP_2)
	v_add_f64 v[118:119], v[116:117], v[82:83]
	v_fma_f64 v[80:81], v[38:39], v[80:81], -v[116:117]
	v_add_f64 v[128:129], v[118:119], v[100:101]
	s_delay_alu instid0(VALU_DEP_1) | instskip(SKIP_1) | instid1(VALU_DEP_2)
	v_add_f64 v[112:113], v[128:129], -v[118:119]
	v_add_f64 v[102:103], v[98:99], v[128:129]
	v_add_f64 v[100:101], v[100:101], -v[112:113]
	v_add_f64 v[112:113], v[128:129], -v[112:113]
	s_delay_alu instid0(VALU_DEP_3) | instskip(NEXT) | instid1(VALU_DEP_2)
	v_add_f64 v[98:99], v[102:103], -v[98:99]
	v_add_f64 v[112:113], v[118:119], -v[112:113]
	s_delay_alu instid0(VALU_DEP_2) | instskip(NEXT) | instid1(VALU_DEP_2)
	v_add_f64 v[98:99], v[128:129], -v[98:99]
	v_add_f64 v[100:101], v[100:101], v[112:113]
	v_add_f64 v[112:113], v[118:119], -v[116:117]
	s_delay_alu instid0(VALU_DEP_1) | instskip(SKIP_1) | instid1(VALU_DEP_1)
	v_add_f64 v[82:83], v[82:83], -v[112:113]
	v_add_f64 v[112:113], v[118:119], -v[112:113]
	;; [unrolled: 1-line block ×3, first 2 shown]
	s_delay_alu instid0(VALU_DEP_1) | instskip(NEXT) | instid1(VALU_DEP_1)
	v_add_f64 v[82:83], v[82:83], v[112:113]
	v_add_f64 v[82:83], v[82:83], v[100:101]
	s_delay_alu instid0(VALU_DEP_1) | instskip(SKIP_1) | instid1(VALU_DEP_2)
	v_add_f64 v[80:81], v[80:81], v[82:83]
	v_ldexp_f64 v[82:83], v[114:115], 2
	v_add_f64 v[80:81], v[98:99], v[80:81]
	s_delay_alu instid0(VALU_DEP_2) | instskip(NEXT) | instid1(VALU_DEP_1)
	v_add_f64 v[98:99], v[102:103], v[82:83]
	v_cmp_gt_f64_e32 vcc_lo, 0, v[98:99]
	v_mov_b32_e32 v98, 0
	v_cndmask_b32_e64 v99, 0, 0x40100000, vcc_lo
	s_delay_alu instid0(VALU_DEP_1) | instskip(NEXT) | instid1(VALU_DEP_1)
	v_add_f64 v[82:83], v[82:83], v[98:99]
	v_add_f64 v[99:100], v[102:103], v[82:83]
	s_delay_alu instid0(VALU_DEP_1) | instskip(NEXT) | instid1(VALU_DEP_1)
	v_cvt_i32_f64_e32 v71, v[99:100]
	v_cvt_f64_i32_e32 v[99:100], v71
	s_delay_alu instid0(VALU_DEP_1) | instskip(NEXT) | instid1(VALU_DEP_1)
	v_add_f64 v[82:83], v[82:83], -v[99:100]
	v_add_f64 v[100:101], v[102:103], v[82:83]
	s_delay_alu instid0(VALU_DEP_1) | instskip(SKIP_1) | instid1(VALU_DEP_2)
	v_add_f64 v[82:83], v[100:101], -v[82:83]
	v_cmp_le_f64_e32 vcc_lo, 0.5, v[100:101]
	v_add_f64 v[82:83], v[102:103], -v[82:83]
	v_cndmask_b32_e64 v99, 0, 0x3ff00000, vcc_lo
	v_add_co_ci_u32_e64 v149, s0, 0, v71, vcc_lo
	s_delay_alu instid0(VALU_DEP_3) | instskip(NEXT) | instid1(VALU_DEP_3)
	v_add_f64 v[80:81], v[80:81], v[82:83]
	v_add_f64 v[82:83], v[100:101], -v[98:99]
	s_delay_alu instid0(VALU_DEP_1) | instskip(NEXT) | instid1(VALU_DEP_1)
	v_add_f64 v[98:99], v[82:83], v[80:81]
	v_add_f64 v[82:83], v[98:99], -v[82:83]
	s_delay_alu instid0(VALU_DEP_1) | instskip(SKIP_1) | instid1(VALU_DEP_1)
	v_add_f64 v[80:81], v[80:81], -v[82:83]
	v_mul_f64 v[82:83], v[98:99], s[6:7]
	v_fma_f64 v[100:101], v[98:99], s[6:7], -v[82:83]
	s_delay_alu instid0(VALU_DEP_1) | instskip(NEXT) | instid1(VALU_DEP_1)
	v_fma_f64 v[98:99], v[98:99], s[8:9], v[100:101]
	v_fma_f64 v[80:81], v[80:81], s[6:7], v[98:99]
	s_delay_alu instid0(VALU_DEP_1) | instskip(NEXT) | instid1(VALU_DEP_1)
	v_add_f64 v[98:99], v[82:83], v[80:81]
	v_add_f64 v[82:83], v[98:99], -v[82:83]
	s_delay_alu instid0(VALU_DEP_1)
	v_add_f64 v[100:101], v[80:81], -v[82:83]
	s_and_not1_saveexec_b32 s0, s4
	s_cbranch_execz .LBB123_32
	s_branch .LBB123_31
.LBB123_30:
	s_and_not1_saveexec_b32 s0, s4
	s_cbranch_execz .LBB123_32
.LBB123_31:
	s_mov_b32 s4, 0x6dc9c883
	s_mov_b32 s5, 0x3fe45f30
	;; [unrolled: 1-line block ×3, first 2 shown]
	v_mul_f64 v[80:81], |v[16:17]|, s[4:5]
	s_mov_b32 s4, 0x54442d18
	s_mov_b32 s5, 0xbff921fb
	;; [unrolled: 1-line block ×3, first 2 shown]
	s_delay_alu instid0(VALU_DEP_1) | instskip(NEXT) | instid1(VALU_DEP_1)
	v_rndne_f64_e32 v[80:81], v[80:81]
	v_fma_f64 v[82:83], v[80:81], s[4:5], |v[16:17]|
	v_mul_f64 v[98:99], v[80:81], s[6:7]
	s_mov_b32 s4, 0x252049c0
	s_mov_b32 s5, 0xb97b839a
	v_cvt_i32_f64_e32 v149, v[80:81]
	s_delay_alu instid0(VALU_DEP_3) | instskip(NEXT) | instid1(VALU_DEP_3)
	v_fma_f64 v[102:103], v[80:81], s[6:7], v[82:83]
	v_add_f64 v[100:101], v[82:83], v[98:99]
	s_mov_b32 s7, 0x3c91a626
	s_delay_alu instid0(VALU_DEP_1) | instskip(NEXT) | instid1(VALU_DEP_3)
	v_add_f64 v[82:83], v[82:83], -v[100:101]
	v_add_f64 v[100:101], v[100:101], -v[102:103]
	s_delay_alu instid0(VALU_DEP_2) | instskip(SKIP_1) | instid1(VALU_DEP_2)
	v_add_f64 v[82:83], v[82:83], v[98:99]
	v_fma_f64 v[98:99], v[80:81], s[6:7], v[98:99]
	v_add_f64 v[82:83], v[100:101], v[82:83]
	s_delay_alu instid0(VALU_DEP_1) | instskip(NEXT) | instid1(VALU_DEP_1)
	v_add_f64 v[82:83], v[82:83], -v[98:99]
	v_fma_f64 v[82:83], v[80:81], s[4:5], v[82:83]
	s_delay_alu instid0(VALU_DEP_1) | instskip(NEXT) | instid1(VALU_DEP_1)
	v_add_f64 v[98:99], v[102:103], v[82:83]
	v_add_f64 v[100:101], v[98:99], -v[102:103]
	s_delay_alu instid0(VALU_DEP_1)
	v_add_f64 v[100:101], v[82:83], -v[100:101]
.LBB123_32:
	s_or_b32 exec_lo, exec_lo, s0
                                        ; implicit-def: $vgpr150
                                        ; implicit-def: $vgpr102_vgpr103
                                        ; implicit-def: $vgpr112_vgpr113
	s_and_saveexec_b32 s0, s1
	s_delay_alu instid0(SALU_CYCLE_1)
	s_xor_b32 s1, exec_lo, s0
	s_cbranch_execz .LBB123_34
; %bb.33:
	v_cmp_le_f64_e64 vcc_lo, 0x7b000000, |v[16:17]|
	s_mov_b32 s4, 0x54442d18
	s_mov_b32 s5, 0x3ff921fb
	;; [unrolled: 1-line block ×4, first 2 shown]
	s_delay_alu instid0(VALU_DEP_4) | instskip(NEXT) | instid1(VALU_DEP_1)
	v_dual_cndmask_b32 v65, v70, v65 :: v_dual_cndmask_b32 v64, v16, v64
	v_mul_f64 v[80:81], v[54:55], v[64:65]
	v_mul_f64 v[70:71], v[52:53], v[64:65]
	s_delay_alu instid0(VALU_DEP_2) | instskip(NEXT) | instid1(VALU_DEP_2)
	v_fma_f64 v[54:55], v[54:55], v[64:65], -v[80:81]
	v_fma_f64 v[52:53], v[52:53], v[64:65], -v[70:71]
	s_delay_alu instid0(VALU_DEP_2) | instskip(NEXT) | instid1(VALU_DEP_1)
	v_add_f64 v[82:83], v[70:71], v[54:55]
	v_add_f64 v[102:103], v[80:81], v[82:83]
	s_delay_alu instid0(VALU_DEP_1) | instskip(SKIP_1) | instid1(VALU_DEP_2)
	v_ldexp_f64 v[112:113], v[102:103], -2
	v_add_f64 v[80:81], v[102:103], -v[80:81]
	v_fract_f64_e32 v[114:115], v[112:113]
	v_cmp_neq_f64_e64 vcc_lo, 0x7ff00000, |v[112:113]|
	s_delay_alu instid0(VALU_DEP_3) | instskip(NEXT) | instid1(VALU_DEP_3)
	v_add_f64 v[80:81], v[82:83], -v[80:81]
	v_dual_cndmask_b32 v113, 0, v115 :: v_dual_cndmask_b32 v112, 0, v114
	v_add_f64 v[114:115], v[82:83], -v[70:71]
	s_delay_alu instid0(VALU_DEP_1) | instskip(SKIP_1) | instid1(VALU_DEP_1)
	v_add_f64 v[54:55], v[54:55], -v[114:115]
	v_add_f64 v[114:115], v[82:83], -v[114:115]
	;; [unrolled: 1-line block ×3, first 2 shown]
	v_mul_f64 v[70:71], v[38:39], v[64:65]
	s_delay_alu instid0(VALU_DEP_2) | instskip(NEXT) | instid1(VALU_DEP_2)
	v_add_f64 v[54:55], v[54:55], v[114:115]
	v_add_f64 v[114:115], v[70:71], v[52:53]
	v_fma_f64 v[38:39], v[38:39], v[64:65], -v[70:71]
	s_delay_alu instid0(VALU_DEP_2) | instskip(NEXT) | instid1(VALU_DEP_1)
	v_add_f64 v[116:117], v[114:115], v[54:55]
	v_add_f64 v[102:103], v[116:117], -v[114:115]
	v_add_f64 v[82:83], v[80:81], v[116:117]
	s_delay_alu instid0(VALU_DEP_2) | instskip(SKIP_1) | instid1(VALU_DEP_3)
	v_add_f64 v[54:55], v[54:55], -v[102:103]
	v_add_f64 v[102:103], v[116:117], -v[102:103]
	;; [unrolled: 1-line block ×3, first 2 shown]
	s_delay_alu instid0(VALU_DEP_2) | instskip(NEXT) | instid1(VALU_DEP_2)
	v_add_f64 v[102:103], v[114:115], -v[102:103]
	v_add_f64 v[80:81], v[116:117], -v[80:81]
	s_delay_alu instid0(VALU_DEP_2) | instskip(SKIP_1) | instid1(VALU_DEP_1)
	v_add_f64 v[54:55], v[54:55], v[102:103]
	v_add_f64 v[102:103], v[114:115], -v[70:71]
	v_add_f64 v[52:53], v[52:53], -v[102:103]
	;; [unrolled: 1-line block ×3, first 2 shown]
	s_delay_alu instid0(VALU_DEP_1) | instskip(NEXT) | instid1(VALU_DEP_1)
	v_add_f64 v[102:103], v[70:71], -v[102:103]
	v_add_f64 v[52:53], v[52:53], v[102:103]
	s_delay_alu instid0(VALU_DEP_1) | instskip(NEXT) | instid1(VALU_DEP_1)
	v_add_f64 v[52:53], v[52:53], v[54:55]
	v_add_f64 v[38:39], v[38:39], v[52:53]
	v_ldexp_f64 v[52:53], v[112:113], 2
	s_delay_alu instid0(VALU_DEP_2) | instskip(NEXT) | instid1(VALU_DEP_2)
	v_add_f64 v[38:39], v[80:81], v[38:39]
	v_add_f64 v[54:55], v[82:83], v[52:53]
	s_delay_alu instid0(VALU_DEP_1) | instskip(SKIP_2) | instid1(VALU_DEP_1)
	v_cmp_gt_f64_e32 vcc_lo, 0, v[54:55]
	v_mov_b32_e32 v54, 0
	v_cndmask_b32_e64 v55, 0, 0x40100000, vcc_lo
	v_add_f64 v[52:53], v[52:53], v[54:55]
	s_delay_alu instid0(VALU_DEP_1) | instskip(NEXT) | instid1(VALU_DEP_1)
	v_add_f64 v[64:65], v[82:83], v[52:53]
	v_cvt_i32_f64_e32 v55, v[64:65]
	s_delay_alu instid0(VALU_DEP_1) | instskip(NEXT) | instid1(VALU_DEP_1)
	v_cvt_f64_i32_e32 v[64:65], v55
	v_add_f64 v[52:53], v[52:53], -v[64:65]
	s_delay_alu instid0(VALU_DEP_1) | instskip(NEXT) | instid1(VALU_DEP_1)
	v_add_f64 v[64:65], v[82:83], v[52:53]
	v_add_f64 v[52:53], v[64:65], -v[52:53]
	v_cmp_le_f64_e32 vcc_lo, 0.5, v[64:65]
	s_delay_alu instid0(VALU_DEP_2) | instskip(SKIP_2) | instid1(VALU_DEP_3)
	v_add_f64 v[52:53], v[82:83], -v[52:53]
	v_add_co_ci_u32_e64 v150, s0, 0, v55, vcc_lo
	v_cndmask_b32_e64 v55, 0, 0x3ff00000, vcc_lo
	v_add_f64 v[38:39], v[38:39], v[52:53]
	s_delay_alu instid0(VALU_DEP_2) | instskip(NEXT) | instid1(VALU_DEP_1)
	v_add_f64 v[52:53], v[64:65], -v[54:55]
	v_add_f64 v[54:55], v[52:53], v[38:39]
	s_delay_alu instid0(VALU_DEP_1) | instskip(NEXT) | instid1(VALU_DEP_1)
	v_add_f64 v[52:53], v[54:55], -v[52:53]
	v_add_f64 v[38:39], v[38:39], -v[52:53]
	v_mul_f64 v[52:53], v[54:55], s[4:5]
	s_delay_alu instid0(VALU_DEP_1) | instskip(NEXT) | instid1(VALU_DEP_1)
	v_fma_f64 v[64:65], v[54:55], s[4:5], -v[52:53]
	v_fma_f64 v[54:55], v[54:55], s[6:7], v[64:65]
	s_delay_alu instid0(VALU_DEP_1) | instskip(NEXT) | instid1(VALU_DEP_1)
	v_fma_f64 v[38:39], v[38:39], s[4:5], v[54:55]
	v_add_f64 v[102:103], v[52:53], v[38:39]
	s_delay_alu instid0(VALU_DEP_1) | instskip(NEXT) | instid1(VALU_DEP_1)
	v_add_f64 v[52:53], v[102:103], -v[52:53]
	v_add_f64 v[112:113], v[38:39], -v[52:53]
	s_and_not1_saveexec_b32 s0, s1
	s_cbranch_execnz .LBB123_35
	s_branch .LBB123_36
.LBB123_34:
	s_and_not1_saveexec_b32 s0, s1
	s_cbranch_execz .LBB123_36
.LBB123_35:
	s_mov_b32 s4, 0x6dc9c883
	s_mov_b32 s5, 0x3fe45f30
	;; [unrolled: 1-line block ×3, first 2 shown]
	v_mul_f64 v[38:39], |v[16:17]|, s[4:5]
	s_mov_b32 s4, 0x54442d18
	s_mov_b32 s5, 0xbff921fb
	;; [unrolled: 1-line block ×3, first 2 shown]
	s_delay_alu instid0(VALU_DEP_1) | instskip(NEXT) | instid1(VALU_DEP_1)
	v_rndne_f64_e32 v[38:39], v[38:39]
	v_fma_f64 v[52:53], v[38:39], s[4:5], |v[16:17]|
	v_mul_f64 v[54:55], v[38:39], s[6:7]
	s_mov_b32 s4, 0x252049c0
	s_mov_b32 s5, 0xb97b839a
	v_cvt_i32_f64_e32 v150, v[38:39]
	s_delay_alu instid0(VALU_DEP_3) | instskip(NEXT) | instid1(VALU_DEP_3)
	v_fma_f64 v[70:71], v[38:39], s[6:7], v[52:53]
	v_add_f64 v[64:65], v[52:53], v[54:55]
	s_mov_b32 s7, 0x3c91a626
	s_delay_alu instid0(VALU_DEP_1) | instskip(NEXT) | instid1(VALU_DEP_3)
	v_add_f64 v[52:53], v[52:53], -v[64:65]
	v_add_f64 v[64:65], v[64:65], -v[70:71]
	s_delay_alu instid0(VALU_DEP_2) | instskip(SKIP_1) | instid1(VALU_DEP_2)
	v_add_f64 v[52:53], v[52:53], v[54:55]
	v_fma_f64 v[54:55], v[38:39], s[6:7], v[54:55]
	v_add_f64 v[52:53], v[64:65], v[52:53]
	s_delay_alu instid0(VALU_DEP_1) | instskip(NEXT) | instid1(VALU_DEP_1)
	v_add_f64 v[52:53], v[52:53], -v[54:55]
	v_fma_f64 v[52:53], v[38:39], s[4:5], v[52:53]
	s_delay_alu instid0(VALU_DEP_1) | instskip(NEXT) | instid1(VALU_DEP_1)
	v_add_f64 v[102:103], v[70:71], v[52:53]
	v_add_f64 v[54:55], v[102:103], -v[70:71]
	s_delay_alu instid0(VALU_DEP_1)
	v_add_f64 v[112:113], v[52:53], -v[54:55]
.LBB123_36:
	s_or_b32 exec_lo, exec_lo, s0
	s_waitcnt vmcnt(0) lgkmcnt(0)
	v_mul_f64 v[38:39], v[4:5], 0.5
	s_mov_b32 s1, exec_lo
                                        ; implicit-def: $vgpr145
                                        ; implicit-def: $vgpr54_vgpr55
                                        ; implicit-def: $vgpr64_vgpr65
	s_delay_alu instid0(VALU_DEP_1)
	v_cmpx_ngt_f64_e64 0x41d00000, |v[38:39]|
	s_xor_b32 s1, exec_lo, s1
	s_cbranch_execz .LBB123_38
; %bb.37:
	v_cmp_le_f64_e64 vcc_lo, 0x7b000000, |v[38:39]|
	v_ldexp_f64 v[64:65], |v[38:39]|, 0xffffff80
	v_trig_preop_f64 v[52:53], |v[38:39]|, 0
	v_and_b32_e32 v70, 0x7fffffff, v39
	v_trig_preop_f64 v[54:55], |v[38:39]|, 1
	s_mov_b32 s4, 0x54442d18
	s_mov_b32 s5, 0x3ff921fb
	;; [unrolled: 1-line block ×4, first 2 shown]
	s_delay_alu instid0(VALU_DEP_4) | instskip(SKIP_1) | instid1(VALU_DEP_1)
	v_cndmask_b32_e32 v65, v70, v65, vcc_lo
	v_cndmask_b32_e32 v64, v38, v64, vcc_lo
	v_mul_f64 v[80:81], v[52:53], v[64:65]
	s_delay_alu instid0(VALU_DEP_4) | instskip(NEXT) | instid1(VALU_DEP_2)
	v_mul_f64 v[70:71], v[54:55], v[64:65]
	v_fma_f64 v[52:53], v[52:53], v[64:65], -v[80:81]
	s_delay_alu instid0(VALU_DEP_1) | instskip(NEXT) | instid1(VALU_DEP_1)
	v_add_f64 v[82:83], v[70:71], v[52:53]
	v_add_f64 v[114:115], v[80:81], v[82:83]
	s_delay_alu instid0(VALU_DEP_1) | instskip(SKIP_1) | instid1(VALU_DEP_2)
	v_ldexp_f64 v[116:117], v[114:115], -2
	v_add_f64 v[80:81], v[114:115], -v[80:81]
	v_fract_f64_e32 v[118:119], v[116:117]
	v_cmp_neq_f64_e64 vcc_lo, 0x7ff00000, |v[116:117]|
	s_delay_alu instid0(VALU_DEP_3) | instskip(NEXT) | instid1(VALU_DEP_3)
	v_add_f64 v[80:81], v[82:83], -v[80:81]
	v_dual_cndmask_b32 v117, 0, v119 :: v_dual_cndmask_b32 v116, 0, v118
	v_add_f64 v[118:119], v[82:83], -v[70:71]
	v_fma_f64 v[54:55], v[54:55], v[64:65], -v[70:71]
	s_delay_alu instid0(VALU_DEP_2) | instskip(SKIP_1) | instid1(VALU_DEP_1)
	v_add_f64 v[52:53], v[52:53], -v[118:119]
	v_add_f64 v[118:119], v[82:83], -v[118:119]
	;; [unrolled: 1-line block ×3, first 2 shown]
	v_trig_preop_f64 v[70:71], |v[38:39]|, 2
	s_delay_alu instid0(VALU_DEP_2) | instskip(NEXT) | instid1(VALU_DEP_2)
	v_add_f64 v[52:53], v[52:53], v[118:119]
	v_mul_f64 v[118:119], v[70:71], v[64:65]
	s_delay_alu instid0(VALU_DEP_1) | instskip(NEXT) | instid1(VALU_DEP_1)
	v_add_f64 v[128:129], v[118:119], v[54:55]
	v_add_f64 v[144:145], v[128:129], v[52:53]
	s_delay_alu instid0(VALU_DEP_1) | instskip(SKIP_1) | instid1(VALU_DEP_2)
	v_add_f64 v[114:115], v[144:145], -v[128:129]
	v_add_f64 v[82:83], v[80:81], v[144:145]
	v_add_f64 v[52:53], v[52:53], -v[114:115]
	v_add_f64 v[114:115], v[144:145], -v[114:115]
	s_delay_alu instid0(VALU_DEP_3) | instskip(NEXT) | instid1(VALU_DEP_2)
	v_add_f64 v[80:81], v[82:83], -v[80:81]
	v_add_f64 v[114:115], v[128:129], -v[114:115]
	s_delay_alu instid0(VALU_DEP_2) | instskip(NEXT) | instid1(VALU_DEP_2)
	v_add_f64 v[80:81], v[144:145], -v[80:81]
	v_add_f64 v[52:53], v[52:53], v[114:115]
	v_add_f64 v[114:115], v[128:129], -v[118:119]
	s_delay_alu instid0(VALU_DEP_1) | instskip(SKIP_1) | instid1(VALU_DEP_1)
	v_add_f64 v[54:55], v[54:55], -v[114:115]
	v_add_f64 v[114:115], v[128:129], -v[114:115]
	;; [unrolled: 1-line block ×3, first 2 shown]
	s_delay_alu instid0(VALU_DEP_1) | instskip(NEXT) | instid1(VALU_DEP_1)
	v_add_f64 v[54:55], v[54:55], v[114:115]
	v_add_f64 v[52:53], v[54:55], v[52:53]
	v_fma_f64 v[54:55], v[70:71], v[64:65], -v[118:119]
	s_delay_alu instid0(VALU_DEP_1) | instskip(SKIP_1) | instid1(VALU_DEP_2)
	v_add_f64 v[52:53], v[54:55], v[52:53]
	v_ldexp_f64 v[54:55], v[116:117], 2
	v_add_f64 v[52:53], v[80:81], v[52:53]
	s_delay_alu instid0(VALU_DEP_2) | instskip(NEXT) | instid1(VALU_DEP_1)
	v_add_f64 v[64:65], v[82:83], v[54:55]
	v_cmp_gt_f64_e32 vcc_lo, 0, v[64:65]
	v_mov_b32_e32 v64, 0
	v_cndmask_b32_e64 v65, 0, 0x40100000, vcc_lo
	s_delay_alu instid0(VALU_DEP_1) | instskip(NEXT) | instid1(VALU_DEP_1)
	v_add_f64 v[54:55], v[54:55], v[64:65]
	v_add_f64 v[70:71], v[82:83], v[54:55]
	s_delay_alu instid0(VALU_DEP_1) | instskip(NEXT) | instid1(VALU_DEP_1)
	v_cvt_i32_f64_e32 v65, v[70:71]
	v_cvt_f64_i32_e32 v[70:71], v65
	s_delay_alu instid0(VALU_DEP_1) | instskip(NEXT) | instid1(VALU_DEP_1)
	v_add_f64 v[54:55], v[54:55], -v[70:71]
	v_add_f64 v[70:71], v[82:83], v[54:55]
	s_delay_alu instid0(VALU_DEP_1) | instskip(SKIP_1) | instid1(VALU_DEP_2)
	v_add_f64 v[54:55], v[70:71], -v[54:55]
	v_cmp_le_f64_e32 vcc_lo, 0.5, v[70:71]
	v_add_f64 v[54:55], v[82:83], -v[54:55]
	v_add_co_ci_u32_e64 v145, s0, 0, v65, vcc_lo
	v_cndmask_b32_e64 v65, 0, 0x3ff00000, vcc_lo
	s_delay_alu instid0(VALU_DEP_3) | instskip(NEXT) | instid1(VALU_DEP_2)
	v_add_f64 v[52:53], v[52:53], v[54:55]
	v_add_f64 v[54:55], v[70:71], -v[64:65]
	s_delay_alu instid0(VALU_DEP_1) | instskip(NEXT) | instid1(VALU_DEP_1)
	v_add_f64 v[64:65], v[54:55], v[52:53]
	v_add_f64 v[54:55], v[64:65], -v[54:55]
	v_mul_f64 v[70:71], v[64:65], s[4:5]
	s_delay_alu instid0(VALU_DEP_2) | instskip(NEXT) | instid1(VALU_DEP_2)
	v_add_f64 v[52:53], v[52:53], -v[54:55]
	v_fma_f64 v[54:55], v[64:65], s[4:5], -v[70:71]
	s_delay_alu instid0(VALU_DEP_1) | instskip(NEXT) | instid1(VALU_DEP_1)
	v_fma_f64 v[54:55], v[64:65], s[6:7], v[54:55]
	v_fma_f64 v[52:53], v[52:53], s[4:5], v[54:55]
	s_delay_alu instid0(VALU_DEP_1) | instskip(NEXT) | instid1(VALU_DEP_1)
	v_add_f64 v[54:55], v[70:71], v[52:53]
	v_add_f64 v[64:65], v[54:55], -v[70:71]
	s_delay_alu instid0(VALU_DEP_1)
	v_add_f64 v[64:65], v[52:53], -v[64:65]
.LBB123_38:
	s_and_not1_saveexec_b32 s0, s1
	s_cbranch_execz .LBB123_40
; %bb.39:
	s_mov_b32 s4, 0x6dc9c883
	s_mov_b32 s5, 0x3fe45f30
	;; [unrolled: 1-line block ×3, first 2 shown]
	v_mul_f64 v[52:53], |v[38:39]|, s[4:5]
	s_mov_b32 s4, 0x54442d18
	s_mov_b32 s5, 0xbff921fb
	;; [unrolled: 1-line block ×3, first 2 shown]
	s_delay_alu instid0(VALU_DEP_1) | instskip(NEXT) | instid1(VALU_DEP_1)
	v_rndne_f64_e32 v[52:53], v[52:53]
	v_fma_f64 v[54:55], v[52:53], s[4:5], |v[38:39]|
	v_mul_f64 v[64:65], v[52:53], s[6:7]
	s_mov_b32 s4, 0x252049c0
	s_mov_b32 s5, 0xb97b839a
	v_cvt_i32_f64_e32 v145, v[52:53]
	s_delay_alu instid0(VALU_DEP_3) | instskip(NEXT) | instid1(VALU_DEP_3)
	v_fma_f64 v[80:81], v[52:53], s[6:7], v[54:55]
	v_add_f64 v[70:71], v[54:55], v[64:65]
	s_mov_b32 s7, 0x3c91a626
	s_delay_alu instid0(VALU_DEP_1) | instskip(NEXT) | instid1(VALU_DEP_3)
	v_add_f64 v[54:55], v[54:55], -v[70:71]
	v_add_f64 v[70:71], v[70:71], -v[80:81]
	s_delay_alu instid0(VALU_DEP_2) | instskip(SKIP_1) | instid1(VALU_DEP_2)
	v_add_f64 v[54:55], v[54:55], v[64:65]
	v_fma_f64 v[64:65], v[52:53], s[6:7], v[64:65]
	v_add_f64 v[54:55], v[70:71], v[54:55]
	s_delay_alu instid0(VALU_DEP_1) | instskip(NEXT) | instid1(VALU_DEP_1)
	v_add_f64 v[54:55], v[54:55], -v[64:65]
	v_fma_f64 v[64:65], v[52:53], s[4:5], v[54:55]
	s_delay_alu instid0(VALU_DEP_1) | instskip(NEXT) | instid1(VALU_DEP_1)
	v_add_f64 v[54:55], v[80:81], v[64:65]
	v_add_f64 v[70:71], v[54:55], -v[80:81]
	s_delay_alu instid0(VALU_DEP_1)
	v_add_f64 v[64:65], v[64:65], -v[70:71]
.LBB123_40:
	s_or_b32 exec_lo, exec_lo, s0
	v_cmp_ngt_f64_e64 s0, 0x41d00000, |v[4:5]|
	v_trig_preop_f64 v[118:119], |v[4:5]|, 0
	v_trig_preop_f64 v[116:117], |v[4:5]|, 1
	v_ldexp_f64 v[128:129], |v[4:5]|, 0xffffff80
	v_trig_preop_f64 v[114:115], |v[4:5]|, 2
	v_and_b32_e32 v151, 0x7fffffff, v5
                                        ; implicit-def: $vgpr147
                                        ; implicit-def: $vgpr70_vgpr71
                                        ; implicit-def: $vgpr80_vgpr81
	s_and_saveexec_b32 s1, s0
	s_delay_alu instid0(SALU_CYCLE_1)
	s_xor_b32 s1, exec_lo, s1
	s_cbranch_execz .LBB123_42
; %bb.41:
	v_cmp_le_f64_e64 vcc_lo, 0x7b000000, |v[4:5]|
	s_mov_b32 s4, 0x54442d18
	s_mov_b32 s5, 0x3ff921fb
	;; [unrolled: 1-line block ×4, first 2 shown]
	s_delay_alu instid0(VALU_DEP_4) | instskip(NEXT) | instid1(VALU_DEP_1)
	v_dual_cndmask_b32 v53, v151, v129 :: v_dual_cndmask_b32 v52, v4, v128
	v_mul_f64 v[70:71], v[118:119], v[52:53]
	v_mul_f64 v[80:81], v[116:117], v[52:53]
	;; [unrolled: 1-line block ×3, first 2 shown]
	s_delay_alu instid0(VALU_DEP_3) | instskip(NEXT) | instid1(VALU_DEP_3)
	v_fma_f64 v[82:83], v[118:119], v[52:53], -v[70:71]
	v_fma_f64 v[178:179], v[116:117], v[52:53], -v[80:81]
	s_delay_alu instid0(VALU_DEP_3) | instskip(NEXT) | instid1(VALU_DEP_3)
	v_fma_f64 v[52:53], v[114:115], v[52:53], -v[176:177]
	v_add_f64 v[160:161], v[80:81], v[82:83]
	s_delay_alu instid0(VALU_DEP_1) | instskip(SKIP_1) | instid1(VALU_DEP_2)
	v_add_f64 v[162:163], v[160:161], -v[80:81]
	v_add_f64 v[166:167], v[70:71], v[160:161]
	v_add_f64 v[164:165], v[160:161], -v[162:163]
	v_add_f64 v[82:83], v[82:83], -v[162:163]
	s_delay_alu instid0(VALU_DEP_3) | instskip(SKIP_1) | instid1(VALU_DEP_4)
	v_ldexp_f64 v[162:163], v[166:167], -2
	v_add_f64 v[70:71], v[166:167], -v[70:71]
	v_add_f64 v[80:81], v[80:81], -v[164:165]
	v_add_f64 v[164:165], v[176:177], v[178:179]
	s_delay_alu instid0(VALU_DEP_4) | instskip(NEXT) | instid1(VALU_DEP_4)
	v_cmp_neq_f64_e64 vcc_lo, 0x7ff00000, |v[162:163]|
	v_add_f64 v[70:71], v[160:161], -v[70:71]
	s_delay_alu instid0(VALU_DEP_4) | instskip(SKIP_2) | instid1(VALU_DEP_3)
	v_add_f64 v[80:81], v[82:83], v[80:81]
	v_fract_f64_e32 v[82:83], v[162:163]
	v_add_f64 v[180:181], v[164:165], -v[176:177]
	v_add_f64 v[160:161], v[164:165], v[80:81]
	s_delay_alu instid0(VALU_DEP_3) | instskip(NEXT) | instid1(VALU_DEP_3)
	v_dual_cndmask_b32 v83, 0, v83 :: v_dual_cndmask_b32 v82, 0, v82
	v_add_f64 v[194:195], v[164:165], -v[180:181]
	v_add_f64 v[178:179], v[178:179], -v[180:181]
	s_delay_alu instid0(VALU_DEP_3) | instskip(SKIP_3) | instid1(VALU_DEP_3)
	v_ldexp_f64 v[82:83], v[82:83], 2
	v_add_f64 v[162:163], v[70:71], v[160:161]
	v_add_f64 v[182:183], v[160:161], -v[164:165]
	v_add_f64 v[180:181], v[176:177], -v[194:195]
	v_add_f64 v[166:167], v[162:163], v[82:83]
	s_delay_alu instid0(VALU_DEP_3) | instskip(SKIP_1) | instid1(VALU_DEP_4)
	v_add_f64 v[196:197], v[160:161], -v[182:183]
	v_add_f64 v[80:81], v[80:81], -v[182:183]
	v_add_f64 v[178:179], v[178:179], v[180:181]
	v_add_f64 v[70:71], v[162:163], -v[70:71]
	v_cmp_gt_f64_e32 vcc_lo, 0, v[166:167]
	v_mov_b32_e32 v166, 0
	v_add_f64 v[164:165], v[164:165], -v[196:197]
	s_delay_alu instid0(VALU_DEP_4) | instskip(SKIP_1) | instid1(VALU_DEP_3)
	v_add_f64 v[70:71], v[160:161], -v[70:71]
	v_cndmask_b32_e64 v167, 0, 0x40100000, vcc_lo
	v_add_f64 v[80:81], v[80:81], v[164:165]
	s_delay_alu instid0(VALU_DEP_2) | instskip(NEXT) | instid1(VALU_DEP_2)
	v_add_f64 v[82:83], v[82:83], v[166:167]
	v_add_f64 v[80:81], v[178:179], v[80:81]
	s_delay_alu instid0(VALU_DEP_2) | instskip(NEXT) | instid1(VALU_DEP_2)
	v_add_f64 v[192:193], v[162:163], v[82:83]
	v_add_f64 v[52:53], v[52:53], v[80:81]
	s_delay_alu instid0(VALU_DEP_2) | instskip(NEXT) | instid1(VALU_DEP_2)
	v_cvt_i32_f64_e32 v144, v[192:193]
	v_add_f64 v[52:53], v[70:71], v[52:53]
	s_delay_alu instid0(VALU_DEP_2) | instskip(NEXT) | instid1(VALU_DEP_1)
	v_cvt_f64_i32_e32 v[182:183], v144
	v_add_f64 v[82:83], v[82:83], -v[182:183]
	s_delay_alu instid0(VALU_DEP_1) | instskip(NEXT) | instid1(VALU_DEP_1)
	v_add_f64 v[164:165], v[162:163], v[82:83]
	v_add_f64 v[80:81], v[164:165], -v[82:83]
	v_cmp_le_f64_e32 vcc_lo, 0.5, v[164:165]
	s_delay_alu instid0(VALU_DEP_2) | instskip(SKIP_2) | instid1(VALU_DEP_3)
	v_add_f64 v[70:71], v[162:163], -v[80:81]
	v_cndmask_b32_e64 v167, 0, 0x3ff00000, vcc_lo
	v_add_co_ci_u32_e32 v147, vcc_lo, 0, v144, vcc_lo
	v_add_f64 v[52:53], v[52:53], v[70:71]
	s_delay_alu instid0(VALU_DEP_3) | instskip(NEXT) | instid1(VALU_DEP_1)
	v_add_f64 v[70:71], v[164:165], -v[166:167]
	v_add_f64 v[80:81], v[70:71], v[52:53]
	s_delay_alu instid0(VALU_DEP_1) | instskip(SKIP_1) | instid1(VALU_DEP_2)
	v_mul_f64 v[82:83], v[80:81], s[4:5]
	v_add_f64 v[70:71], v[80:81], -v[70:71]
	v_fma_f64 v[160:161], v[80:81], s[4:5], -v[82:83]
	s_delay_alu instid0(VALU_DEP_2) | instskip(NEXT) | instid1(VALU_DEP_2)
	v_add_f64 v[52:53], v[52:53], -v[70:71]
	v_fma_f64 v[70:71], v[80:81], s[6:7], v[160:161]
	s_delay_alu instid0(VALU_DEP_1) | instskip(NEXT) | instid1(VALU_DEP_1)
	v_fma_f64 v[52:53], v[52:53], s[4:5], v[70:71]
	v_add_f64 v[70:71], v[82:83], v[52:53]
	s_delay_alu instid0(VALU_DEP_1) | instskip(NEXT) | instid1(VALU_DEP_1)
	v_add_f64 v[80:81], v[70:71], -v[82:83]
	v_add_f64 v[80:81], v[52:53], -v[80:81]
	s_and_not1_saveexec_b32 s1, s1
	s_cbranch_execz .LBB123_44
	s_branch .LBB123_43
.LBB123_42:
	s_and_not1_saveexec_b32 s1, s1
	s_cbranch_execz .LBB123_44
.LBB123_43:
	s_mov_b32 s4, 0x6dc9c883
	s_mov_b32 s5, 0x3fe45f30
	;; [unrolled: 1-line block ×3, first 2 shown]
	v_mul_f64 v[52:53], |v[4:5]|, s[4:5]
	s_mov_b32 s4, 0x54442d18
	s_mov_b32 s5, 0xbff921fb
	;; [unrolled: 1-line block ×3, first 2 shown]
	s_delay_alu instid0(VALU_DEP_1) | instskip(NEXT) | instid1(VALU_DEP_1)
	v_rndne_f64_e32 v[52:53], v[52:53]
	v_fma_f64 v[70:71], v[52:53], s[4:5], |v[4:5]|
	v_mul_f64 v[80:81], v[52:53], s[6:7]
	s_mov_b32 s4, 0x252049c0
	s_mov_b32 s5, 0xb97b839a
	v_cvt_i32_f64_e32 v147, v[52:53]
	s_delay_alu instid0(VALU_DEP_3) | instskip(NEXT) | instid1(VALU_DEP_3)
	v_fma_f64 v[160:161], v[52:53], s[6:7], v[70:71]
	v_add_f64 v[82:83], v[70:71], v[80:81]
	s_mov_b32 s7, 0x3c91a626
	s_delay_alu instid0(VALU_DEP_1) | instskip(NEXT) | instid1(VALU_DEP_3)
	v_add_f64 v[70:71], v[70:71], -v[82:83]
	v_add_f64 v[82:83], v[82:83], -v[160:161]
	s_delay_alu instid0(VALU_DEP_2) | instskip(SKIP_1) | instid1(VALU_DEP_2)
	v_add_f64 v[70:71], v[70:71], v[80:81]
	v_fma_f64 v[80:81], v[52:53], s[6:7], v[80:81]
	v_add_f64 v[70:71], v[82:83], v[70:71]
	s_delay_alu instid0(VALU_DEP_1) | instskip(NEXT) | instid1(VALU_DEP_1)
	v_add_f64 v[70:71], v[70:71], -v[80:81]
	v_fma_f64 v[80:81], v[52:53], s[4:5], v[70:71]
	s_delay_alu instid0(VALU_DEP_1) | instskip(NEXT) | instid1(VALU_DEP_1)
	v_add_f64 v[70:71], v[160:161], v[80:81]
	v_add_f64 v[82:83], v[70:71], -v[160:161]
	s_delay_alu instid0(VALU_DEP_1)
	v_add_f64 v[80:81], v[80:81], -v[82:83]
.LBB123_44:
	s_or_b32 exec_lo, exec_lo, s1
                                        ; implicit-def: $vgpr144
                                        ; implicit-def: $vgpr52_vgpr53
                                        ; implicit-def: $vgpr82_vgpr83
	s_and_saveexec_b32 s1, s0
	s_delay_alu instid0(SALU_CYCLE_1)
	s_xor_b32 s1, exec_lo, s1
	s_cbranch_execz .LBB123_46
; %bb.45:
	v_cmp_le_f64_e64 vcc_lo, 0x7b000000, |v[4:5]|
	v_mov_b32_e32 v178, 0
	s_mov_b32 s4, 0x54442d18
	s_mov_b32 s5, 0x3ff921fb
	;; [unrolled: 1-line block ×4, first 2 shown]
	v_dual_cndmask_b32 v53, v151, v129 :: v_dual_cndmask_b32 v52, v4, v128
	s_delay_alu instid0(VALU_DEP_1) | instskip(SKIP_2) | instid1(VALU_DEP_3)
	v_mul_f64 v[82:83], v[118:119], v[52:53]
	v_mul_f64 v[128:129], v[116:117], v[52:53]
	;; [unrolled: 1-line block ×3, first 2 shown]
	v_fma_f64 v[118:119], v[118:119], v[52:53], -v[82:83]
	s_delay_alu instid0(VALU_DEP_3) | instskip(NEXT) | instid1(VALU_DEP_3)
	v_fma_f64 v[116:117], v[116:117], v[52:53], -v[128:129]
	v_fma_f64 v[52:53], v[114:115], v[52:53], -v[176:177]
	s_delay_alu instid0(VALU_DEP_3) | instskip(NEXT) | instid1(VALU_DEP_1)
	v_add_f64 v[160:161], v[128:129], v[118:119]
	v_add_f64 v[162:163], v[160:161], -v[128:129]
	v_add_f64 v[166:167], v[82:83], v[160:161]
	s_delay_alu instid0(VALU_DEP_2) | instskip(SKIP_1) | instid1(VALU_DEP_3)
	v_add_f64 v[164:165], v[160:161], -v[162:163]
	v_add_f64 v[118:119], v[118:119], -v[162:163]
	v_ldexp_f64 v[162:163], v[166:167], -2
	v_add_f64 v[82:83], v[166:167], -v[82:83]
	s_delay_alu instid0(VALU_DEP_4) | instskip(SKIP_1) | instid1(VALU_DEP_4)
	v_add_f64 v[128:129], v[128:129], -v[164:165]
	v_add_f64 v[164:165], v[176:177], v[116:117]
	v_cmp_neq_f64_e64 vcc_lo, 0x7ff00000, |v[162:163]|
	s_delay_alu instid0(VALU_DEP_4) | instskip(NEXT) | instid1(VALU_DEP_4)
	v_add_f64 v[82:83], v[160:161], -v[82:83]
	v_add_f64 v[118:119], v[118:119], v[128:129]
	v_fract_f64_e32 v[128:129], v[162:163]
	s_delay_alu instid0(VALU_DEP_2) | instskip(NEXT) | instid1(VALU_DEP_2)
	v_add_f64 v[160:161], v[164:165], v[118:119]
	v_dual_cndmask_b32 v129, 0, v129 :: v_dual_cndmask_b32 v128, 0, v128
	s_delay_alu instid0(VALU_DEP_1) | instskip(NEXT) | instid1(VALU_DEP_3)
	v_ldexp_f64 v[128:129], v[128:129], 2
	v_add_f64 v[162:163], v[82:83], v[160:161]
	s_delay_alu instid0(VALU_DEP_1) | instskip(SKIP_1) | instid1(VALU_DEP_2)
	v_add_f64 v[166:167], v[162:163], v[128:129]
	v_add_f64 v[82:83], v[162:163], -v[82:83]
	v_cmp_gt_f64_e32 vcc_lo, 0, v[166:167]
	v_add_f64 v[166:167], v[164:165], -v[176:177]
	s_delay_alu instid0(VALU_DEP_3) | instskip(SKIP_1) | instid1(VALU_DEP_3)
	v_add_f64 v[82:83], v[160:161], -v[82:83]
	v_cndmask_b32_e64 v179, 0, 0x40100000, vcc_lo
	v_add_f64 v[192:193], v[164:165], -v[166:167]
	v_add_f64 v[116:117], v[116:117], -v[166:167]
	s_delay_alu instid0(VALU_DEP_3) | instskip(SKIP_1) | instid1(VALU_DEP_4)
	v_add_f64 v[128:129], v[128:129], v[178:179]
	v_add_f64 v[179:180], v[160:161], -v[164:165]
	v_add_f64 v[166:167], v[176:177], -v[192:193]
	s_delay_alu instid0(VALU_DEP_3) | instskip(NEXT) | instid1(VALU_DEP_3)
	v_add_f64 v[181:182], v[162:163], v[128:129]
	v_add_f64 v[194:195], v[160:161], -v[179:180]
	v_add_f64 v[118:119], v[118:119], -v[179:180]
	s_delay_alu instid0(VALU_DEP_4) | instskip(NEXT) | instid1(VALU_DEP_4)
	v_add_f64 v[116:117], v[116:117], v[166:167]
	v_cvt_i32_f64_e32 v144, v[181:182]
	s_delay_alu instid0(VALU_DEP_4) | instskip(NEXT) | instid1(VALU_DEP_2)
	v_add_f64 v[164:165], v[164:165], -v[194:195]
	v_cvt_f64_i32_e32 v[179:180], v144
	s_delay_alu instid0(VALU_DEP_2) | instskip(NEXT) | instid1(VALU_DEP_2)
	v_add_f64 v[118:119], v[118:119], v[164:165]
	v_add_f64 v[128:129], v[128:129], -v[179:180]
	s_delay_alu instid0(VALU_DEP_2) | instskip(NEXT) | instid1(VALU_DEP_2)
	v_add_f64 v[114:115], v[116:117], v[118:119]
	v_add_f64 v[116:117], v[162:163], v[128:129]
	s_delay_alu instid0(VALU_DEP_2) | instskip(NEXT) | instid1(VALU_DEP_2)
	v_add_f64 v[52:53], v[52:53], v[114:115]
	v_add_f64 v[114:115], v[116:117], -v[128:129]
	v_cmp_le_f64_e32 vcc_lo, 0.5, v[116:117]
	s_delay_alu instid0(VALU_DEP_3) | instskip(NEXT) | instid1(VALU_DEP_3)
	v_add_f64 v[52:53], v[82:83], v[52:53]
	v_add_f64 v[82:83], v[162:163], -v[114:115]
	v_cndmask_b32_e64 v179, 0, 0x3ff00000, vcc_lo
	v_add_co_ci_u32_e64 v144, s0, 0, v144, vcc_lo
	s_delay_alu instid0(VALU_DEP_3) | instskip(NEXT) | instid1(VALU_DEP_3)
	v_add_f64 v[52:53], v[52:53], v[82:83]
	v_add_f64 v[82:83], v[116:117], -v[178:179]
	s_delay_alu instid0(VALU_DEP_1) | instskip(NEXT) | instid1(VALU_DEP_1)
	v_add_f64 v[114:115], v[82:83], v[52:53]
	v_mul_f64 v[116:117], v[114:115], s[4:5]
	v_add_f64 v[82:83], v[114:115], -v[82:83]
	s_delay_alu instid0(VALU_DEP_2) | instskip(NEXT) | instid1(VALU_DEP_2)
	v_fma_f64 v[118:119], v[114:115], s[4:5], -v[116:117]
	v_add_f64 v[52:53], v[52:53], -v[82:83]
	s_delay_alu instid0(VALU_DEP_2) | instskip(NEXT) | instid1(VALU_DEP_1)
	v_fma_f64 v[82:83], v[114:115], s[6:7], v[118:119]
	v_fma_f64 v[82:83], v[52:53], s[4:5], v[82:83]
	s_delay_alu instid0(VALU_DEP_1) | instskip(NEXT) | instid1(VALU_DEP_1)
	v_add_f64 v[52:53], v[116:117], v[82:83]
	v_add_f64 v[114:115], v[52:53], -v[116:117]
	s_delay_alu instid0(VALU_DEP_1)
	v_add_f64 v[82:83], v[82:83], -v[114:115]
	s_and_not1_saveexec_b32 s0, s1
	s_cbranch_execnz .LBB123_47
	s_branch .LBB123_48
.LBB123_46:
	s_and_not1_saveexec_b32 s0, s1
	s_cbranch_execz .LBB123_48
.LBB123_47:
	s_mov_b32 s4, 0x6dc9c883
	s_mov_b32 s5, 0x3fe45f30
	s_mov_b32 s7, 0xbc91a626
	v_mul_f64 v[52:53], |v[4:5]|, s[4:5]
	s_mov_b32 s4, 0x54442d18
	s_mov_b32 s5, 0xbff921fb
	;; [unrolled: 1-line block ×3, first 2 shown]
	s_delay_alu instid0(VALU_DEP_1) | instskip(NEXT) | instid1(VALU_DEP_1)
	v_rndne_f64_e32 v[114:115], v[52:53]
	v_fma_f64 v[52:53], v[114:115], s[4:5], |v[4:5]|
	v_mul_f64 v[82:83], v[114:115], s[6:7]
	s_mov_b32 s4, 0x252049c0
	s_mov_b32 s5, 0xb97b839a
	v_cvt_i32_f64_e32 v144, v[114:115]
	s_delay_alu instid0(VALU_DEP_3) | instskip(NEXT) | instid1(VALU_DEP_3)
	v_fma_f64 v[118:119], v[114:115], s[6:7], v[52:53]
	v_add_f64 v[116:117], v[52:53], v[82:83]
	s_mov_b32 s7, 0x3c91a626
	s_delay_alu instid0(VALU_DEP_1) | instskip(NEXT) | instid1(VALU_DEP_3)
	v_add_f64 v[52:53], v[52:53], -v[116:117]
	v_add_f64 v[116:117], v[116:117], -v[118:119]
	s_delay_alu instid0(VALU_DEP_2) | instskip(SKIP_1) | instid1(VALU_DEP_2)
	v_add_f64 v[52:53], v[52:53], v[82:83]
	v_fma_f64 v[82:83], v[114:115], s[6:7], v[82:83]
	v_add_f64 v[52:53], v[116:117], v[52:53]
	s_delay_alu instid0(VALU_DEP_1) | instskip(NEXT) | instid1(VALU_DEP_1)
	v_add_f64 v[52:53], v[52:53], -v[82:83]
	v_fma_f64 v[82:83], v[114:115], s[4:5], v[52:53]
	s_delay_alu instid0(VALU_DEP_1) | instskip(NEXT) | instid1(VALU_DEP_1)
	v_add_f64 v[52:53], v[118:119], v[82:83]
	v_add_f64 v[116:117], v[52:53], -v[118:119]
	s_delay_alu instid0(VALU_DEP_1)
	v_add_f64 v[82:83], v[82:83], -v[116:117]
.LBB123_48:
	s_or_b32 exec_lo, exec_lo, s0
	v_mul_f64 v[128:129], v[102:103], v[102:103]
	s_mov_b32 s6, 0xb42fdfa7
	s_mov_b32 s8, 0xf9a43bb8
	;; [unrolled: 1-line block ×11, first 2 shown]
	v_mul_f64 v[114:115], v[14:15], s[28:29]
	s_mov_b32 s49, 0x3f811111
	s_mov_b32 s14, 0x11110bb3
	;; [unrolled: 1-line block ×3, first 2 shown]
	v_mul_f64 v[164:165], v[112:113], 0.5
	s_mov_b32 s16, 0x9037ab78
	s_mov_b32 s18, 0x46cc5e42
	;; [unrolled: 1-line block ×21, first 2 shown]
	v_fma_f64 v[162:163], v[128:129], s[8:9], s[6:7]
	v_mul_f64 v[160:161], v[102:103], -v[128:129]
	v_fma_f64 v[176:177], v[128:129], s[18:19], s[16:17]
	s_mov_b32 s41, 0x3ec71dee
	s_mov_b32 s50, 0x555502a1
	;; [unrolled: 1-line block ×5, first 2 shown]
	v_mul_f64 v[166:167], v[128:129], v[128:129]
	s_mov_b32 s42, 0x7c89e6b0
	s_mov_b32 s43, 0x3efa0199
	;; [unrolled: 1-line block ×3, first 2 shown]
	v_rndne_f64_e32 v[114:115], v[114:115]
	s_mov_b32 s45, 0x3f2a01a0
	s_mov_b32 s56, 0x2a1b768b
	;; [unrolled: 1-line block ×25, first 2 shown]
	v_fma_f64 v[162:163], v[128:129], v[162:163], s[10:11]
	v_cmp_nlt_f64_e32 vcc_lo, 0x40900000, v[14:15]
	v_fma_f64 v[176:177], v[128:129], v[176:177], s[20:21]
	v_cmp_ngt_f64_e64 s0, 0xc090cc00, v[14:15]
	s_mov_b32 s74, 0x55555557
	s_mov_b32 s75, s53
	s_mov_b32 s77, 0x40862e42
	s_mov_b32 s76, s30
	v_cmp_ngt_f64_e64 s1, 0xc0428000, v[14:15]
	v_fma_f64 v[116:117], v[114:115], s[30:31], v[14:15]
	v_cvt_i32_f64_e32 v151, v[114:115]
	v_fma_f64 v[162:163], v[128:129], v[162:163], s[12:13]
	v_fma_f64 v[176:177], v[128:129], v[176:177], s[22:23]
	s_delay_alu instid0(VALU_DEP_4) | instskip(NEXT) | instid1(VALU_DEP_3)
	v_fma_f64 v[116:117], v[114:115], s[34:35], v[116:117]
	v_fma_f64 v[162:163], v[128:129], v[162:163], s[14:15]
	s_delay_alu instid0(VALU_DEP_3) | instskip(NEXT) | instid1(VALU_DEP_3)
	v_fma_f64 v[176:177], v[128:129], v[176:177], s[24:25]
	v_fma_f64 v[118:119], v[116:117], s[38:39], s[36:37]
	s_delay_alu instid0(VALU_DEP_3) | instskip(NEXT) | instid1(VALU_DEP_2)
	v_fma_f64 v[162:163], v[160:161], v[162:163], v[164:165]
	v_fma_f64 v[118:119], v[116:117], v[118:119], s[40:41]
	s_delay_alu instid0(VALU_DEP_2) | instskip(NEXT) | instid1(VALU_DEP_2)
	v_fma_f64 v[162:163], v[128:129], v[162:163], -v[112:113]
	v_fma_f64 v[118:119], v[116:117], v[118:119], s[42:43]
	s_delay_alu instid0(VALU_DEP_2) | instskip(SKIP_2) | instid1(VALU_DEP_4)
	v_fma_f64 v[160:161], v[160:161], s[4:5], v[162:163]
	v_mul_f64 v[162:163], v[128:129], 0.5
	v_fma_f64 v[128:129], v[128:129], v[176:177], s[26:27]
	v_fma_f64 v[118:119], v[116:117], v[118:119], s[44:45]
	s_delay_alu instid0(VALU_DEP_4) | instskip(NEXT) | instid1(VALU_DEP_4)
	v_add_f64 v[160:161], v[102:103], -v[160:161]
	v_add_f64 v[164:165], -v[162:163], 1.0
	s_delay_alu instid0(VALU_DEP_3) | instskip(NEXT) | instid1(VALU_DEP_2)
	v_fma_f64 v[118:119], v[116:117], v[118:119], s[46:47]
	v_add_f64 v[176:177], -v[164:165], 1.0
	s_delay_alu instid0(VALU_DEP_2) | instskip(NEXT) | instid1(VALU_DEP_2)
	v_fma_f64 v[118:119], v[116:117], v[118:119], s[48:49]
	v_add_f64 v[162:163], v[176:177], -v[162:163]
	s_delay_alu instid0(VALU_DEP_2) | instskip(NEXT) | instid1(VALU_DEP_2)
	v_fma_f64 v[118:119], v[116:117], v[118:119], s[50:51]
	v_fma_f64 v[102:103], v[102:103], -v[112:113], v[162:163]
	v_fma_f64 v[112:113], v[116:117], s[58:59], s[56:57]
	s_delay_alu instid0(VALU_DEP_3) | instskip(NEXT) | instid1(VALU_DEP_3)
	v_fma_f64 v[118:119], v[116:117], v[118:119], s[52:53]
	v_fma_f64 v[102:103], v[166:167], v[128:129], v[102:103]
	s_delay_alu instid0(VALU_DEP_3) | instskip(NEXT) | instid1(VALU_DEP_3)
	v_fma_f64 v[112:113], v[116:117], v[112:113], s[60:61]
	v_fma_f64 v[118:119], v[116:117], v[118:119], s[54:55]
	s_delay_alu instid0(VALU_DEP_3) | instskip(NEXT) | instid1(VALU_DEP_3)
	v_add_f64 v[102:103], v[164:165], v[102:103]
	v_fma_f64 v[112:113], v[116:117], v[112:113], s[62:63]
	s_delay_alu instid0(VALU_DEP_3) | instskip(NEXT) | instid1(VALU_DEP_2)
	v_fma_f64 v[118:119], v[116:117], v[118:119], 1.0
	v_fma_f64 v[112:113], v[116:117], v[112:113], s[64:65]
	s_delay_alu instid0(VALU_DEP_2) | instskip(NEXT) | instid1(VALU_DEP_2)
	v_fma_f64 v[118:119], v[116:117], v[118:119], 1.0
	v_fma_f64 v[112:113], v[116:117], v[112:113], s[66:67]
	s_delay_alu instid0(VALU_DEP_2) | instskip(NEXT) | instid1(VALU_DEP_2)
	v_ldexp_f64 v[118:119], v[118:119], v151
	v_fma_f64 v[112:113], v[116:117], v[112:113], s[68:69]
	s_delay_alu instid0(VALU_DEP_2) | instskip(SKIP_1) | instid1(VALU_DEP_3)
	v_cndmask_b32_e32 v119, 0x7ff00000, v119, vcc_lo
	s_and_b32 vcc_lo, s0, vcc_lo
	v_cndmask_b32_e32 v118, 0, v118, vcc_lo
	v_cmp_class_f64_e64 vcc_lo, v[16:17], 0x1f8
	v_and_b32_e32 v16, 1, v150
	v_cndmask_b32_e64 v119, 0, v119, s0
	s_delay_alu instid0(VALU_DEP_2) | instskip(NEXT) | instid1(VALU_DEP_1)
	v_cmp_eq_u32_e64 s0, 0, v16
	v_cndmask_b32_e64 v16, v102, v160, s0
	v_cndmask_b32_e64 v102, v103, v161, s0
	v_cmp_eq_f64_e64 s0, 0x40900000, v[114:115]
	v_lshlrev_b32_e32 v103, 30, v150
	v_fma_f64 v[112:113], v[116:117], v[112:113], s[70:71]
	v_cndmask_b32_e32 v16, 0, v16, vcc_lo
	s_delay_alu instid0(VALU_DEP_3) | instskip(NEXT) | instid1(VALU_DEP_1)
	v_xor_b32_e32 v17, v103, v17
	v_and_b32_e32 v17, 0x80000000, v17
	s_delay_alu instid0(VALU_DEP_1) | instskip(SKIP_1) | instid1(VALU_DEP_2)
	v_xor_b32_e32 v17, v102, v17
	v_cndmask_b32_e64 v102, v151, 0x3ff, s0
	v_cndmask_b32_e32 v17, 0x7ff80000, v17, vcc_lo
	s_delay_alu instid0(VALU_DEP_2) | instskip(NEXT) | instid1(VALU_DEP_2)
	v_ldexp_f64 v[102:103], 1.0, v102
	v_mul_f64 v[16:17], v[118:119], v[16:17]
	v_fma_f64 v[112:113], v[116:117], v[112:113], s[72:73]
	s_delay_alu instid0(VALU_DEP_3) | instskip(NEXT) | instid1(VALU_DEP_2)
	v_add_f64 v[114:115], v[102:103], -1.0
	v_fma_f64 v[112:113], v[116:117], v[112:113], s[74:75]
	s_delay_alu instid0(VALU_DEP_1) | instskip(NEXT) | instid1(VALU_DEP_1)
	v_fma_f64 v[112:113], v[116:117], v[112:113], 0.5
	v_mul_f64 v[112:113], v[116:117], v[112:113]
	s_delay_alu instid0(VALU_DEP_1) | instskip(NEXT) | instid1(VALU_DEP_1)
	v_fma_f64 v[112:113], v[116:117], v[112:113], v[116:117]
	v_fma_f64 v[102:103], v[102:103], v[112:113], v[114:115]
	s_delay_alu instid0(VALU_DEP_1) | instskip(NEXT) | instid1(VALU_DEP_1)
	v_add_f64 v[112:113], v[102:103], v[102:103]
	v_cndmask_b32_e64 v102, v102, v112, s0
	s_delay_alu instid0(VALU_DEP_2) | instskip(SKIP_1) | instid1(VALU_DEP_1)
	v_cndmask_b32_e64 v103, v103, v113, s0
	v_cmp_nlt_f64_e64 s0, s[76:77], v[14:15]
	v_cndmask_b32_e64 v103, 0x7ff00000, v103, s0
	s_and_b32 s0, s1, s0
	s_delay_alu instid0(SALU_CYCLE_1) | instskip(SKIP_1) | instid1(VALU_DEP_3)
	v_cndmask_b32_e64 v14, 0, v102, s0
	v_and_b32_e32 v102, 1, v149
	v_cndmask_b32_e64 v15, 0xbff00000, v103, s1
	v_cmp_ngt_f64_e64 s1, 0xc0428000, v[10:11]
	s_delay_alu instid0(VALU_DEP_3) | instskip(SKIP_1) | instid1(VALU_DEP_1)
	v_cmp_eq_u32_e64 s0, 0, v102
	v_mul_f64 v[102:103], v[98:99], v[98:99]
	v_mul_f64 v[112:113], v[102:103], 0.5
	v_fma_f64 v[118:119], v[102:103], s[18:19], s[16:17]
	v_mul_f64 v[116:117], v[102:103], v[102:103]
	s_delay_alu instid0(VALU_DEP_3) | instskip(NEXT) | instid1(VALU_DEP_3)
	v_add_f64 v[114:115], -v[112:113], 1.0
	v_fma_f64 v[118:119], v[102:103], v[118:119], s[20:21]
	s_delay_alu instid0(VALU_DEP_2) | instskip(NEXT) | instid1(VALU_DEP_2)
	v_add_f64 v[128:129], -v[114:115], 1.0
	v_fma_f64 v[118:119], v[102:103], v[118:119], s[22:23]
	s_delay_alu instid0(VALU_DEP_2) | instskip(NEXT) | instid1(VALU_DEP_2)
	v_add_f64 v[112:113], v[128:129], -v[112:113]
	v_fma_f64 v[118:119], v[102:103], v[118:119], s[24:25]
	s_delay_alu instid0(VALU_DEP_2) | instskip(NEXT) | instid1(VALU_DEP_2)
	v_fma_f64 v[112:113], v[98:99], -v[100:101], v[112:113]
	v_fma_f64 v[118:119], v[102:103], v[118:119], s[26:27]
	s_delay_alu instid0(VALU_DEP_1) | instskip(SKIP_2) | instid1(VALU_DEP_3)
	v_fma_f64 v[112:113], v[116:117], v[118:119], v[112:113]
	v_fma_f64 v[116:117], v[102:103], s[8:9], s[6:7]
	v_mul_f64 v[118:119], v[100:101], 0.5
	v_add_f64 v[112:113], v[114:115], v[112:113]
	s_delay_alu instid0(VALU_DEP_3) | instskip(SKIP_1) | instid1(VALU_DEP_2)
	v_fma_f64 v[116:117], v[102:103], v[116:117], s[10:11]
	v_mul_f64 v[114:115], v[98:99], -v[102:103]
	v_fma_f64 v[116:117], v[102:103], v[116:117], s[12:13]
	s_delay_alu instid0(VALU_DEP_1) | instskip(NEXT) | instid1(VALU_DEP_1)
	v_fma_f64 v[116:117], v[102:103], v[116:117], s[14:15]
	v_fma_f64 v[116:117], v[114:115], v[116:117], v[118:119]
	s_delay_alu instid0(VALU_DEP_1) | instskip(NEXT) | instid1(VALU_DEP_1)
	v_fma_f64 v[100:101], v[102:103], v[116:117], -v[100:101]
	v_fma_f64 v[100:101], v[114:115], s[4:5], v[100:101]
	v_mul_f64 v[114:115], v[96:97], 0.5
	s_delay_alu instid0(VALU_DEP_2) | instskip(SKIP_1) | instid1(VALU_DEP_1)
	v_add_f64 v[98:99], v[98:99], -v[100:101]
	v_lshlrev_b32_e32 v100, 30, v149
	v_and_b32_e32 v100, 0x80000000, v100
	s_delay_alu instid0(VALU_DEP_3) | instskip(NEXT) | instid1(VALU_DEP_4)
	v_xor_b32_e32 v99, 0x80000000, v99
	v_cndmask_b32_e64 v98, v98, v112, s0
	s_delay_alu instid0(VALU_DEP_2) | instskip(NEXT) | instid1(VALU_DEP_2)
	v_cndmask_b32_e64 v99, v99, v113, s0
	v_cndmask_b32_e32 v98, 0, v98, vcc_lo
	s_delay_alu instid0(VALU_DEP_2) | instskip(SKIP_1) | instid1(VALU_DEP_2)
	v_xor_b32_e32 v99, v99, v100
	v_mul_f64 v[100:101], v[86:87], v[86:87]
	v_cndmask_b32_e32 v99, 0x7ff80000, v99, vcc_lo
	v_cmp_class_f64_e64 vcc_lo, v[84:85], 0x1f8
	v_and_b32_e32 v84, 1, v148
	s_delay_alu instid0(VALU_DEP_1) | instskip(SKIP_4) | instid1(VALU_DEP_4)
	v_cmp_eq_u32_e64 s0, 0, v84
	v_fma_f64 v[112:113], v[100:101], s[8:9], s[6:7]
	v_mul_f64 v[102:103], v[86:87], -v[100:101]
	v_fma_f64 v[118:119], v[100:101], s[18:19], s[16:17]
	v_mul_f64 v[116:117], v[100:101], v[100:101]
	v_fma_f64 v[112:113], v[100:101], v[112:113], s[10:11]
	s_delay_alu instid0(VALU_DEP_3) | instskip(NEXT) | instid1(VALU_DEP_2)
	v_fma_f64 v[118:119], v[100:101], v[118:119], s[20:21]
	v_fma_f64 v[112:113], v[100:101], v[112:113], s[12:13]
	s_delay_alu instid0(VALU_DEP_2) | instskip(NEXT) | instid1(VALU_DEP_2)
	v_fma_f64 v[118:119], v[100:101], v[118:119], s[22:23]
	v_fma_f64 v[112:113], v[100:101], v[112:113], s[14:15]
	s_delay_alu instid0(VALU_DEP_2) | instskip(NEXT) | instid1(VALU_DEP_2)
	v_fma_f64 v[118:119], v[100:101], v[118:119], s[24:25]
	v_fma_f64 v[112:113], v[102:103], v[112:113], v[114:115]
	s_delay_alu instid0(VALU_DEP_1) | instskip(NEXT) | instid1(VALU_DEP_1)
	v_fma_f64 v[112:113], v[100:101], v[112:113], -v[96:97]
	v_fma_f64 v[102:103], v[102:103], s[4:5], v[112:113]
	v_mul_f64 v[112:113], v[100:101], 0.5
	v_fma_f64 v[100:101], v[100:101], v[118:119], s[26:27]
	s_delay_alu instid0(VALU_DEP_3) | instskip(NEXT) | instid1(VALU_DEP_3)
	v_add_f64 v[102:103], v[86:87], -v[102:103]
	v_add_f64 v[114:115], -v[112:113], 1.0
	s_delay_alu instid0(VALU_DEP_1) | instskip(NEXT) | instid1(VALU_DEP_1)
	v_add_f64 v[118:119], -v[114:115], 1.0
	v_add_f64 v[112:113], v[118:119], -v[112:113]
	s_delay_alu instid0(VALU_DEP_1) | instskip(SKIP_1) | instid1(VALU_DEP_2)
	v_fma_f64 v[86:87], v[86:87], -v[96:97], v[112:113]
	v_mul_f64 v[112:113], v[68:69], 0.5
	v_fma_f64 v[86:87], v[116:117], v[100:101], v[86:87]
	s_delay_alu instid0(VALU_DEP_1) | instskip(NEXT) | instid1(VALU_DEP_1)
	v_add_f64 v[86:87], v[114:115], v[86:87]
	v_cndmask_b32_e64 v84, v86, v102, s0
	s_delay_alu instid0(VALU_DEP_2) | instskip(SKIP_2) | instid1(VALU_DEP_4)
	v_cndmask_b32_e64 v86, v87, v103, s0
	v_lshlrev_b32_e32 v87, 30, v148
	v_cmp_ngt_f64_e64 s0, 0xc090cc00, v[10:11]
	v_cndmask_b32_e32 v84, 0, v84, vcc_lo
	s_delay_alu instid0(VALU_DEP_3) | instskip(NEXT) | instid1(VALU_DEP_1)
	v_xor_b32_e32 v85, v87, v85
	v_and_b32_e32 v85, 0x80000000, v85
	s_delay_alu instid0(VALU_DEP_1) | instskip(NEXT) | instid1(VALU_DEP_1)
	v_xor_b32_e32 v85, v86, v85
	v_cndmask_b32_e32 v85, 0x7ff80000, v85, vcc_lo
	v_cmp_nlt_f64_e32 vcc_lo, 0x40900000, v[10:11]
	s_delay_alu instid0(VALU_DEP_2) | instskip(NEXT) | instid1(VALU_DEP_1)
	v_add_f64 v[86:87], v[84:85], v[84:85]
	v_mul_f64 v[84:85], v[86:87], v[84:85]
	s_delay_alu instid0(VALU_DEP_1) | instskip(SKIP_2) | instid1(VALU_DEP_2)
	v_fma_f64 v[14:15], v[14:15], v[98:99], -v[84:85]
	v_mul_f64 v[98:99], v[66:67], v[66:67]
	v_mul_f64 v[84:85], v[10:11], s[28:29]
	v_fma_f64 v[102:103], v[98:99], s[8:9], s[6:7]
	v_mul_f64 v[100:101], v[66:67], -v[98:99]
	s_delay_alu instid0(VALU_DEP_3) | instskip(SKIP_3) | instid1(VALU_DEP_4)
	v_rndne_f64_e32 v[84:85], v[84:85]
	v_fma_f64 v[116:117], v[98:99], s[18:19], s[16:17]
	v_mul_f64 v[114:115], v[98:99], v[98:99]
	v_fma_f64 v[102:103], v[98:99], v[102:103], s[10:11]
	v_fma_f64 v[86:87], v[84:85], s[30:31], v[10:11]
	s_delay_alu instid0(VALU_DEP_4) | instskip(SKIP_1) | instid1(VALU_DEP_4)
	v_fma_f64 v[116:117], v[98:99], v[116:117], s[20:21]
	v_cvt_i32_f64_e32 v118, v[84:85]
	v_fma_f64 v[102:103], v[98:99], v[102:103], s[12:13]
	s_delay_alu instid0(VALU_DEP_4) | instskip(NEXT) | instid1(VALU_DEP_4)
	v_fma_f64 v[86:87], v[84:85], s[34:35], v[86:87]
	v_fma_f64 v[116:117], v[98:99], v[116:117], s[22:23]
	s_delay_alu instid0(VALU_DEP_3) | instskip(NEXT) | instid1(VALU_DEP_3)
	v_fma_f64 v[102:103], v[98:99], v[102:103], s[14:15]
	v_fma_f64 v[96:97], v[86:87], s[38:39], s[36:37]
	s_delay_alu instid0(VALU_DEP_3) | instskip(NEXT) | instid1(VALU_DEP_3)
	v_fma_f64 v[116:117], v[98:99], v[116:117], s[24:25]
	v_fma_f64 v[102:103], v[100:101], v[102:103], v[112:113]
	s_delay_alu instid0(VALU_DEP_3) | instskip(NEXT) | instid1(VALU_DEP_2)
	v_fma_f64 v[96:97], v[86:87], v[96:97], s[40:41]
	v_fma_f64 v[102:103], v[98:99], v[102:103], -v[68:69]
	s_delay_alu instid0(VALU_DEP_2) | instskip(NEXT) | instid1(VALU_DEP_2)
	v_fma_f64 v[96:97], v[86:87], v[96:97], s[42:43]
	v_fma_f64 v[100:101], v[100:101], s[4:5], v[102:103]
	v_mul_f64 v[102:103], v[98:99], 0.5
	v_fma_f64 v[98:99], v[98:99], v[116:117], s[26:27]
	s_delay_alu instid0(VALU_DEP_4) | instskip(NEXT) | instid1(VALU_DEP_4)
	v_fma_f64 v[96:97], v[86:87], v[96:97], s[44:45]
	v_add_f64 v[100:101], v[66:67], -v[100:101]
	s_delay_alu instid0(VALU_DEP_4) | instskip(NEXT) | instid1(VALU_DEP_3)
	v_add_f64 v[112:113], -v[102:103], 1.0
	v_fma_f64 v[96:97], v[86:87], v[96:97], s[46:47]
	s_delay_alu instid0(VALU_DEP_2) | instskip(NEXT) | instid1(VALU_DEP_2)
	v_add_f64 v[116:117], -v[112:113], 1.0
	v_fma_f64 v[96:97], v[86:87], v[96:97], s[48:49]
	s_delay_alu instid0(VALU_DEP_2) | instskip(NEXT) | instid1(VALU_DEP_2)
	v_add_f64 v[102:103], v[116:117], -v[102:103]
	v_fma_f64 v[96:97], v[86:87], v[96:97], s[50:51]
	s_delay_alu instid0(VALU_DEP_2) | instskip(SKIP_1) | instid1(VALU_DEP_3)
	v_fma_f64 v[66:67], v[66:67], -v[68:69], v[102:103]
	v_fma_f64 v[68:69], v[86:87], s[58:59], s[56:57]
	v_fma_f64 v[96:97], v[86:87], v[96:97], s[52:53]
	s_delay_alu instid0(VALU_DEP_3) | instskip(NEXT) | instid1(VALU_DEP_3)
	v_fma_f64 v[66:67], v[114:115], v[98:99], v[66:67]
	v_fma_f64 v[68:69], v[86:87], v[68:69], s[60:61]
	s_delay_alu instid0(VALU_DEP_3) | instskip(NEXT) | instid1(VALU_DEP_3)
	v_fma_f64 v[96:97], v[86:87], v[96:97], s[54:55]
	v_add_f64 v[66:67], v[112:113], v[66:67]
	s_delay_alu instid0(VALU_DEP_3) | instskip(NEXT) | instid1(VALU_DEP_3)
	v_fma_f64 v[68:69], v[86:87], v[68:69], s[62:63]
	v_fma_f64 v[96:97], v[86:87], v[96:97], 1.0
	s_delay_alu instid0(VALU_DEP_2) | instskip(NEXT) | instid1(VALU_DEP_2)
	v_fma_f64 v[68:69], v[86:87], v[68:69], s[64:65]
	v_fma_f64 v[96:97], v[86:87], v[96:97], 1.0
	s_delay_alu instid0(VALU_DEP_2) | instskip(NEXT) | instid1(VALU_DEP_2)
	v_fma_f64 v[68:69], v[86:87], v[68:69], s[66:67]
	v_ldexp_f64 v[96:97], v[96:97], v118
	s_delay_alu instid0(VALU_DEP_2) | instskip(NEXT) | instid1(VALU_DEP_2)
	v_fma_f64 v[68:69], v[86:87], v[68:69], s[68:69]
	v_cndmask_b32_e32 v97, 0x7ff00000, v97, vcc_lo
	s_and_b32 vcc_lo, s0, vcc_lo
	s_delay_alu instid0(VALU_DEP_3) | instskip(SKIP_3) | instid1(VALU_DEP_2)
	v_cndmask_b32_e32 v96, 0, v96, vcc_lo
	v_cmp_class_f64_e64 vcc_lo, v[12:13], 0x1f8
	v_and_b32_e32 v12, 1, v146
	v_cndmask_b32_e64 v97, 0, v97, s0
	v_cmp_eq_u32_e64 s0, 0, v12
	s_delay_alu instid0(VALU_DEP_1) | instskip(SKIP_3) | instid1(VALU_DEP_2)
	v_cndmask_b32_e64 v12, v66, v100, s0
	v_cndmask_b32_e64 v66, v67, v101, s0
	v_lshlrev_b32_e32 v67, 30, v146
	v_cmp_eq_f64_e64 s0, 0x40900000, v[84:85]
	v_xor_b32_e32 v13, v67, v13
	s_delay_alu instid0(VALU_DEP_1) | instskip(SKIP_2) | instid1(VALU_DEP_3)
	v_and_b32_e32 v13, 0x80000000, v13
	v_fma_f64 v[68:69], v[86:87], v[68:69], s[70:71]
	v_cndmask_b32_e32 v12, 0, v12, vcc_lo
	v_xor_b32_e32 v13, v66, v13
	s_delay_alu instid0(VALU_DEP_1) | instskip(NEXT) | instid1(VALU_DEP_1)
	v_cndmask_b32_e32 v13, 0x7ff80000, v13, vcc_lo
	v_mul_f64 v[12:13], v[96:97], v[12:13]
	v_cndmask_b32_e64 v66, v118, 0x3ff, s0
	s_delay_alu instid0(VALU_DEP_1) | instskip(SKIP_1) | instid1(VALU_DEP_2)
	v_ldexp_f64 v[66:67], 1.0, v66
	v_fma_f64 v[68:69], v[86:87], v[68:69], s[72:73]
	v_add_f64 v[84:85], v[66:67], -1.0
	s_delay_alu instid0(VALU_DEP_2) | instskip(NEXT) | instid1(VALU_DEP_1)
	v_fma_f64 v[68:69], v[86:87], v[68:69], s[74:75]
	v_fma_f64 v[68:69], v[86:87], v[68:69], 0.5
	s_delay_alu instid0(VALU_DEP_1) | instskip(NEXT) | instid1(VALU_DEP_1)
	v_mul_f64 v[68:69], v[86:87], v[68:69]
	v_fma_f64 v[68:69], v[86:87], v[68:69], v[86:87]
	s_delay_alu instid0(VALU_DEP_1) | instskip(NEXT) | instid1(VALU_DEP_1)
	v_fma_f64 v[66:67], v[66:67], v[68:69], v[84:85]
	v_add_f64 v[68:69], v[66:67], v[66:67]
	s_delay_alu instid0(VALU_DEP_1) | instskip(NEXT) | instid1(VALU_DEP_2)
	v_cndmask_b32_e64 v66, v66, v68, s0
	v_cndmask_b32_e64 v67, v67, v69, s0
	v_cmp_nlt_f64_e64 s0, s[76:77], v[10:11]
	s_delay_alu instid0(VALU_DEP_1) | instskip(SKIP_1) | instid1(SALU_CYCLE_1)
	v_cndmask_b32_e64 v67, 0x7ff00000, v67, s0
	s_and_b32 s0, s1, s0
	v_cndmask_b32_e64 v10, 0, v66, s0
	v_and_b32_e32 v66, 1, v135
	s_delay_alu instid0(VALU_DEP_3) | instskip(SKIP_1) | instid1(VALU_DEP_3)
	v_cndmask_b32_e64 v11, 0xbff00000, v67, s1
	v_cmp_ngt_f64_e64 s1, 0xc0428000, v[6:7]
	v_cmp_eq_u32_e64 s0, 0, v66
	v_mul_f64 v[66:67], v[48:49], v[48:49]
	s_delay_alu instid0(VALU_DEP_1) | instskip(SKIP_2) | instid1(VALU_DEP_3)
	v_mul_f64 v[68:69], v[66:67], 0.5
	v_fma_f64 v[96:97], v[66:67], s[18:19], s[16:17]
	v_mul_f64 v[86:87], v[66:67], v[66:67]
	v_add_f64 v[84:85], -v[68:69], 1.0
	s_delay_alu instid0(VALU_DEP_3) | instskip(NEXT) | instid1(VALU_DEP_2)
	v_fma_f64 v[96:97], v[66:67], v[96:97], s[20:21]
	v_add_f64 v[98:99], -v[84:85], 1.0
	s_delay_alu instid0(VALU_DEP_2) | instskip(NEXT) | instid1(VALU_DEP_2)
	v_fma_f64 v[96:97], v[66:67], v[96:97], s[22:23]
	v_add_f64 v[68:69], v[98:99], -v[68:69]
	s_delay_alu instid0(VALU_DEP_2) | instskip(NEXT) | instid1(VALU_DEP_2)
	v_fma_f64 v[96:97], v[66:67], v[96:97], s[24:25]
	v_fma_f64 v[68:69], v[48:49], -v[50:51], v[68:69]
	s_delay_alu instid0(VALU_DEP_2) | instskip(NEXT) | instid1(VALU_DEP_1)
	v_fma_f64 v[96:97], v[66:67], v[96:97], s[26:27]
	v_fma_f64 v[68:69], v[86:87], v[96:97], v[68:69]
	;; [unrolled: 1-line block ×3, first 2 shown]
	v_mul_f64 v[96:97], v[50:51], 0.5
	s_delay_alu instid0(VALU_DEP_3) | instskip(NEXT) | instid1(VALU_DEP_3)
	v_add_f64 v[68:69], v[84:85], v[68:69]
	v_fma_f64 v[86:87], v[66:67], v[86:87], s[10:11]
	v_mul_f64 v[84:85], v[48:49], -v[66:67]
	s_delay_alu instid0(VALU_DEP_2) | instskip(NEXT) | instid1(VALU_DEP_1)
	v_fma_f64 v[86:87], v[66:67], v[86:87], s[12:13]
	v_fma_f64 v[86:87], v[66:67], v[86:87], s[14:15]
	s_delay_alu instid0(VALU_DEP_1) | instskip(NEXT) | instid1(VALU_DEP_1)
	v_fma_f64 v[86:87], v[84:85], v[86:87], v[96:97]
	v_fma_f64 v[50:51], v[66:67], v[86:87], -v[50:51]
	s_delay_alu instid0(VALU_DEP_1) | instskip(SKIP_1) | instid1(VALU_DEP_2)
	v_fma_f64 v[50:51], v[84:85], s[4:5], v[50:51]
	v_mul_f64 v[84:85], v[36:37], 0.5
	v_add_f64 v[48:49], v[48:49], -v[50:51]
	v_lshlrev_b32_e32 v50, 30, v135
	s_delay_alu instid0(VALU_DEP_1) | instskip(NEXT) | instid1(VALU_DEP_3)
	v_and_b32_e32 v50, 0x80000000, v50
	v_xor_b32_e32 v49, 0x80000000, v49
	s_delay_alu instid0(VALU_DEP_4) | instskip(NEXT) | instid1(VALU_DEP_2)
	v_cndmask_b32_e64 v48, v48, v68, s0
	v_cndmask_b32_e64 v49, v49, v69, s0
	s_delay_alu instid0(VALU_DEP_2) | instskip(NEXT) | instid1(VALU_DEP_2)
	v_cndmask_b32_e32 v48, 0, v48, vcc_lo
	v_xor_b32_e32 v49, v49, v50
	v_mul_f64 v[50:51], v[34:35], v[34:35]
	s_delay_alu instid0(VALU_DEP_2) | instskip(SKIP_2) | instid1(VALU_DEP_1)
	v_cndmask_b32_e32 v49, 0x7ff80000, v49, vcc_lo
	v_cmp_class_f64_e64 vcc_lo, v[32:33], 0x1f8
	v_and_b32_e32 v32, 1, v134
	v_cmp_eq_u32_e64 s0, 0, v32
	v_fma_f64 v[68:69], v[50:51], s[8:9], s[6:7]
	v_mul_f64 v[66:67], v[34:35], -v[50:51]
	v_fma_f64 v[96:97], v[50:51], s[18:19], s[16:17]
	v_mul_f64 v[86:87], v[50:51], v[50:51]
	s_delay_alu instid0(VALU_DEP_4) | instskip(NEXT) | instid1(VALU_DEP_3)
	v_fma_f64 v[68:69], v[50:51], v[68:69], s[10:11]
	v_fma_f64 v[96:97], v[50:51], v[96:97], s[20:21]
	s_delay_alu instid0(VALU_DEP_2) | instskip(NEXT) | instid1(VALU_DEP_2)
	v_fma_f64 v[68:69], v[50:51], v[68:69], s[12:13]
	v_fma_f64 v[96:97], v[50:51], v[96:97], s[22:23]
	s_delay_alu instid0(VALU_DEP_2) | instskip(NEXT) | instid1(VALU_DEP_2)
	v_fma_f64 v[68:69], v[50:51], v[68:69], s[14:15]
	v_fma_f64 v[96:97], v[50:51], v[96:97], s[24:25]
	s_delay_alu instid0(VALU_DEP_2) | instskip(NEXT) | instid1(VALU_DEP_1)
	v_fma_f64 v[68:69], v[66:67], v[68:69], v[84:85]
	v_fma_f64 v[68:69], v[50:51], v[68:69], -v[36:37]
	s_delay_alu instid0(VALU_DEP_1) | instskip(SKIP_2) | instid1(VALU_DEP_3)
	v_fma_f64 v[66:67], v[66:67], s[4:5], v[68:69]
	v_mul_f64 v[68:69], v[50:51], 0.5
	v_fma_f64 v[50:51], v[50:51], v[96:97], s[26:27]
	v_add_f64 v[66:67], v[34:35], -v[66:67]
	s_delay_alu instid0(VALU_DEP_3) | instskip(NEXT) | instid1(VALU_DEP_1)
	v_add_f64 v[84:85], -v[68:69], 1.0
	v_add_f64 v[96:97], -v[84:85], 1.0
	s_delay_alu instid0(VALU_DEP_1) | instskip(NEXT) | instid1(VALU_DEP_1)
	v_add_f64 v[68:69], v[96:97], -v[68:69]
	v_fma_f64 v[34:35], v[34:35], -v[36:37], v[68:69]
	v_mul_f64 v[68:69], v[30:31], 0.5
	s_delay_alu instid0(VALU_DEP_2) | instskip(NEXT) | instid1(VALU_DEP_1)
	v_fma_f64 v[34:35], v[86:87], v[50:51], v[34:35]
	v_add_f64 v[34:35], v[84:85], v[34:35]
	s_delay_alu instid0(VALU_DEP_1) | instskip(NEXT) | instid1(VALU_DEP_2)
	v_cndmask_b32_e64 v32, v34, v66, s0
	v_cndmask_b32_e64 v34, v35, v67, s0
	v_lshlrev_b32_e32 v35, 30, v134
	v_cmp_ngt_f64_e64 s0, 0xc090cc00, v[6:7]
	s_delay_alu instid0(VALU_DEP_4) | instskip(NEXT) | instid1(VALU_DEP_3)
	v_cndmask_b32_e32 v32, 0, v32, vcc_lo
	v_xor_b32_e32 v33, v35, v33
	s_delay_alu instid0(VALU_DEP_1) | instskip(NEXT) | instid1(VALU_DEP_1)
	v_and_b32_e32 v33, 0x80000000, v33
	v_xor_b32_e32 v33, v34, v33
	s_delay_alu instid0(VALU_DEP_1) | instskip(SKIP_1) | instid1(VALU_DEP_2)
	v_cndmask_b32_e32 v33, 0x7ff80000, v33, vcc_lo
	v_cmp_nlt_f64_e32 vcc_lo, 0x40900000, v[6:7]
	v_add_f64 v[34:35], v[32:33], v[32:33]
	s_delay_alu instid0(VALU_DEP_1) | instskip(NEXT) | instid1(VALU_DEP_1)
	v_mul_f64 v[32:33], v[34:35], v[32:33]
	v_fma_f64 v[10:11], v[10:11], v[48:49], -v[32:33]
	v_mul_f64 v[48:49], v[28:29], v[28:29]
	v_mul_f64 v[32:33], v[6:7], s[28:29]
	s_delay_alu instid0(VALU_DEP_2) | instskip(SKIP_1) | instid1(VALU_DEP_3)
	v_fma_f64 v[66:67], v[48:49], s[8:9], s[6:7]
	v_mul_f64 v[50:51], v[28:29], -v[48:49]
	v_rndne_f64_e32 v[32:33], v[32:33]
	v_fma_f64 v[86:87], v[48:49], s[18:19], s[16:17]
	v_mul_f64 v[84:85], v[48:49], v[48:49]
	v_fma_f64 v[66:67], v[48:49], v[66:67], s[10:11]
	s_delay_alu instid0(VALU_DEP_4) | instskip(NEXT) | instid1(VALU_DEP_4)
	v_fma_f64 v[34:35], v[32:33], s[30:31], v[6:7]
	v_fma_f64 v[86:87], v[48:49], v[86:87], s[20:21]
	v_cvt_i32_f64_e32 v96, v[32:33]
	s_delay_alu instid0(VALU_DEP_4) | instskip(NEXT) | instid1(VALU_DEP_4)
	v_fma_f64 v[66:67], v[48:49], v[66:67], s[12:13]
	v_fma_f64 v[34:35], v[32:33], s[34:35], v[34:35]
	s_delay_alu instid0(VALU_DEP_4) | instskip(NEXT) | instid1(VALU_DEP_3)
	v_fma_f64 v[86:87], v[48:49], v[86:87], s[22:23]
	v_fma_f64 v[66:67], v[48:49], v[66:67], s[14:15]
	s_delay_alu instid0(VALU_DEP_3) | instskip(NEXT) | instid1(VALU_DEP_3)
	v_fma_f64 v[36:37], v[34:35], s[38:39], s[36:37]
	v_fma_f64 v[86:87], v[48:49], v[86:87], s[24:25]
	s_delay_alu instid0(VALU_DEP_3) | instskip(NEXT) | instid1(VALU_DEP_3)
	v_fma_f64 v[66:67], v[50:51], v[66:67], v[68:69]
	v_fma_f64 v[36:37], v[34:35], v[36:37], s[40:41]
	s_delay_alu instid0(VALU_DEP_2) | instskip(NEXT) | instid1(VALU_DEP_2)
	v_fma_f64 v[66:67], v[48:49], v[66:67], -v[30:31]
	v_fma_f64 v[36:37], v[34:35], v[36:37], s[42:43]
	s_delay_alu instid0(VALU_DEP_2) | instskip(SKIP_2) | instid1(VALU_DEP_4)
	v_fma_f64 v[50:51], v[50:51], s[4:5], v[66:67]
	v_mul_f64 v[66:67], v[48:49], 0.5
	v_fma_f64 v[48:49], v[48:49], v[86:87], s[26:27]
	v_fma_f64 v[36:37], v[34:35], v[36:37], s[44:45]
	s_delay_alu instid0(VALU_DEP_4) | instskip(NEXT) | instid1(VALU_DEP_4)
	v_add_f64 v[50:51], v[28:29], -v[50:51]
	v_add_f64 v[68:69], -v[66:67], 1.0
	s_delay_alu instid0(VALU_DEP_3) | instskip(NEXT) | instid1(VALU_DEP_2)
	v_fma_f64 v[36:37], v[34:35], v[36:37], s[46:47]
	v_add_f64 v[86:87], -v[68:69], 1.0
	s_delay_alu instid0(VALU_DEP_2) | instskip(NEXT) | instid1(VALU_DEP_2)
	v_fma_f64 v[36:37], v[34:35], v[36:37], s[48:49]
	v_add_f64 v[66:67], v[86:87], -v[66:67]
	s_delay_alu instid0(VALU_DEP_2) | instskip(NEXT) | instid1(VALU_DEP_2)
	v_fma_f64 v[36:37], v[34:35], v[36:37], s[50:51]
	v_fma_f64 v[28:29], v[28:29], -v[30:31], v[66:67]
	v_fma_f64 v[30:31], v[34:35], s[58:59], s[56:57]
	s_delay_alu instid0(VALU_DEP_3) | instskip(NEXT) | instid1(VALU_DEP_3)
	v_fma_f64 v[36:37], v[34:35], v[36:37], s[52:53]
	v_fma_f64 v[28:29], v[84:85], v[48:49], v[28:29]
	s_delay_alu instid0(VALU_DEP_3) | instskip(NEXT) | instid1(VALU_DEP_3)
	v_fma_f64 v[30:31], v[34:35], v[30:31], s[60:61]
	v_fma_f64 v[36:37], v[34:35], v[36:37], s[54:55]
	s_delay_alu instid0(VALU_DEP_3) | instskip(NEXT) | instid1(VALU_DEP_3)
	v_add_f64 v[28:29], v[68:69], v[28:29]
	v_fma_f64 v[30:31], v[34:35], v[30:31], s[62:63]
	s_delay_alu instid0(VALU_DEP_3) | instskip(NEXT) | instid1(VALU_DEP_2)
	v_fma_f64 v[36:37], v[34:35], v[36:37], 1.0
	v_fma_f64 v[30:31], v[34:35], v[30:31], s[64:65]
	s_delay_alu instid0(VALU_DEP_2) | instskip(NEXT) | instid1(VALU_DEP_2)
	v_fma_f64 v[36:37], v[34:35], v[36:37], 1.0
	v_fma_f64 v[30:31], v[34:35], v[30:31], s[66:67]
	s_delay_alu instid0(VALU_DEP_2) | instskip(NEXT) | instid1(VALU_DEP_2)
	v_ldexp_f64 v[36:37], v[36:37], v96
	v_fma_f64 v[30:31], v[34:35], v[30:31], s[68:69]
	s_delay_alu instid0(VALU_DEP_2) | instskip(SKIP_1) | instid1(VALU_DEP_3)
	v_cndmask_b32_e32 v37, 0x7ff00000, v37, vcc_lo
	s_and_b32 vcc_lo, s0, vcc_lo
	v_cndmask_b32_e32 v36, 0, v36, vcc_lo
	v_cmp_class_f64_e64 vcc_lo, v[8:9], 0x1f8
	v_and_b32_e32 v8, 1, v133
	v_cndmask_b32_e64 v37, 0, v37, s0
	s_delay_alu instid0(VALU_DEP_2) | instskip(NEXT) | instid1(VALU_DEP_1)
	v_cmp_eq_u32_e64 s0, 0, v8
	v_cndmask_b32_e64 v8, v28, v50, s0
	v_cndmask_b32_e64 v28, v29, v51, s0
	v_cmp_eq_f64_e64 s0, 0x40900000, v[32:33]
	v_lshlrev_b32_e32 v29, 30, v133
	s_delay_alu instid0(VALU_DEP_1) | instskip(NEXT) | instid1(VALU_DEP_1)
	v_xor_b32_e32 v9, v29, v9
	v_and_b32_e32 v9, 0x80000000, v9
	v_fma_f64 v[30:31], v[34:35], v[30:31], s[70:71]
	v_cndmask_b32_e32 v8, 0, v8, vcc_lo
	s_delay_alu instid0(VALU_DEP_3) | instskip(NEXT) | instid1(VALU_DEP_1)
	v_xor_b32_e32 v9, v28, v9
	v_cndmask_b32_e32 v9, 0x7ff80000, v9, vcc_lo
	s_delay_alu instid0(VALU_DEP_1) | instskip(SKIP_1) | instid1(VALU_DEP_1)
	v_mul_f64 v[8:9], v[36:37], v[8:9]
	v_cndmask_b32_e64 v28, v96, 0x3ff, s0
	v_ldexp_f64 v[28:29], 1.0, v28
	v_fma_f64 v[30:31], v[34:35], v[30:31], s[72:73]
	s_delay_alu instid0(VALU_DEP_2) | instskip(NEXT) | instid1(VALU_DEP_2)
	v_add_f64 v[32:33], v[28:29], -1.0
	v_fma_f64 v[30:31], v[34:35], v[30:31], s[74:75]
	s_delay_alu instid0(VALU_DEP_1) | instskip(NEXT) | instid1(VALU_DEP_1)
	v_fma_f64 v[30:31], v[34:35], v[30:31], 0.5
	v_mul_f64 v[30:31], v[34:35], v[30:31]
	s_delay_alu instid0(VALU_DEP_1) | instskip(NEXT) | instid1(VALU_DEP_1)
	v_fma_f64 v[30:31], v[34:35], v[30:31], v[34:35]
	v_fma_f64 v[28:29], v[28:29], v[30:31], v[32:33]
	s_delay_alu instid0(VALU_DEP_1) | instskip(NEXT) | instid1(VALU_DEP_1)
	v_add_f64 v[30:31], v[28:29], v[28:29]
	v_cndmask_b32_e64 v28, v28, v30, s0
	s_delay_alu instid0(VALU_DEP_2) | instskip(SKIP_1) | instid1(VALU_DEP_1)
	v_cndmask_b32_e64 v29, v29, v31, s0
	v_cmp_nlt_f64_e64 s0, s[76:77], v[6:7]
	v_cndmask_b32_e64 v29, 0x7ff00000, v29, s0
	s_and_b32 s0, s1, s0
	s_delay_alu instid0(SALU_CYCLE_1) | instskip(SKIP_1) | instid1(VALU_DEP_3)
	v_cndmask_b32_e64 v6, 0, v28, s0
	v_and_b32_e32 v28, 1, v132
	v_cndmask_b32_e64 v7, 0xbff00000, v29, s1
	s_delay_alu instid0(VALU_DEP_2) | instskip(SKIP_1) | instid1(VALU_DEP_1)
	v_cmp_eq_u32_e64 s0, 0, v28
	v_mul_f64 v[28:29], v[24:25], v[24:25]
	v_mul_f64 v[30:31], v[28:29], 0.5
	v_fma_f64 v[36:37], v[28:29], s[18:19], s[16:17]
	v_mul_f64 v[34:35], v[28:29], v[28:29]
	s_delay_alu instid0(VALU_DEP_3) | instskip(NEXT) | instid1(VALU_DEP_3)
	v_add_f64 v[32:33], -v[30:31], 1.0
	v_fma_f64 v[36:37], v[28:29], v[36:37], s[20:21]
	s_delay_alu instid0(VALU_DEP_2) | instskip(NEXT) | instid1(VALU_DEP_2)
	v_add_f64 v[48:49], -v[32:33], 1.0
	v_fma_f64 v[36:37], v[28:29], v[36:37], s[22:23]
	s_delay_alu instid0(VALU_DEP_2) | instskip(NEXT) | instid1(VALU_DEP_2)
	v_add_f64 v[30:31], v[48:49], -v[30:31]
	v_fma_f64 v[36:37], v[28:29], v[36:37], s[24:25]
	s_delay_alu instid0(VALU_DEP_2) | instskip(NEXT) | instid1(VALU_DEP_2)
	v_fma_f64 v[30:31], v[24:25], -v[26:27], v[30:31]
	v_fma_f64 v[36:37], v[28:29], v[36:37], s[26:27]
	s_delay_alu instid0(VALU_DEP_1) | instskip(SKIP_2) | instid1(VALU_DEP_3)
	v_fma_f64 v[30:31], v[34:35], v[36:37], v[30:31]
	v_fma_f64 v[34:35], v[28:29], s[8:9], s[6:7]
	v_mul_f64 v[36:37], v[26:27], 0.5
	v_add_f64 v[30:31], v[32:33], v[30:31]
	s_delay_alu instid0(VALU_DEP_3) | instskip(SKIP_1) | instid1(VALU_DEP_2)
	v_fma_f64 v[34:35], v[28:29], v[34:35], s[10:11]
	v_mul_f64 v[32:33], v[24:25], -v[28:29]
	v_fma_f64 v[34:35], v[28:29], v[34:35], s[12:13]
	s_delay_alu instid0(VALU_DEP_1) | instskip(NEXT) | instid1(VALU_DEP_1)
	v_fma_f64 v[34:35], v[28:29], v[34:35], s[14:15]
	v_fma_f64 v[34:35], v[32:33], v[34:35], v[36:37]
	s_delay_alu instid0(VALU_DEP_1) | instskip(NEXT) | instid1(VALU_DEP_1)
	v_fma_f64 v[26:27], v[28:29], v[34:35], -v[26:27]
	v_fma_f64 v[26:27], v[32:33], s[4:5], v[26:27]
	v_mul_f64 v[32:33], v[22:23], 0.5
	s_delay_alu instid0(VALU_DEP_2) | instskip(SKIP_1) | instid1(VALU_DEP_1)
	v_add_f64 v[24:25], v[24:25], -v[26:27]
	v_lshlrev_b32_e32 v26, 30, v132
	v_and_b32_e32 v26, 0x80000000, v26
	s_delay_alu instid0(VALU_DEP_3) | instskip(NEXT) | instid1(VALU_DEP_4)
	v_xor_b32_e32 v25, 0x80000000, v25
	v_cndmask_b32_e64 v24, v24, v30, s0
	s_delay_alu instid0(VALU_DEP_2) | instskip(NEXT) | instid1(VALU_DEP_2)
	v_cndmask_b32_e64 v25, v25, v31, s0
	v_cndmask_b32_e32 v24, 0, v24, vcc_lo
	s_delay_alu instid0(VALU_DEP_2) | instskip(SKIP_1) | instid1(VALU_DEP_2)
	v_xor_b32_e32 v25, v25, v26
	v_mul_f64 v[26:27], v[20:21], v[20:21]
	v_cndmask_b32_e32 v25, 0x7ff80000, v25, vcc_lo
	v_cmp_class_f64_e64 vcc_lo, v[18:19], 0x1f8
	v_and_b32_e32 v18, 1, v131
	s_delay_alu instid0(VALU_DEP_1) | instskip(SKIP_4) | instid1(VALU_DEP_4)
	v_cmp_eq_u32_e64 s0, 0, v18
	v_fma_f64 v[30:31], v[26:27], s[8:9], s[6:7]
	v_mul_f64 v[28:29], v[20:21], -v[26:27]
	v_fma_f64 v[36:37], v[26:27], s[18:19], s[16:17]
	v_mul_f64 v[34:35], v[26:27], v[26:27]
	v_fma_f64 v[30:31], v[26:27], v[30:31], s[10:11]
	s_delay_alu instid0(VALU_DEP_3) | instskip(NEXT) | instid1(VALU_DEP_2)
	v_fma_f64 v[36:37], v[26:27], v[36:37], s[20:21]
	v_fma_f64 v[30:31], v[26:27], v[30:31], s[12:13]
	s_delay_alu instid0(VALU_DEP_2) | instskip(NEXT) | instid1(VALU_DEP_2)
	v_fma_f64 v[36:37], v[26:27], v[36:37], s[22:23]
	v_fma_f64 v[30:31], v[26:27], v[30:31], s[14:15]
	s_delay_alu instid0(VALU_DEP_2) | instskip(NEXT) | instid1(VALU_DEP_2)
	v_fma_f64 v[36:37], v[26:27], v[36:37], s[24:25]
	v_fma_f64 v[30:31], v[28:29], v[30:31], v[32:33]
	s_delay_alu instid0(VALU_DEP_1) | instskip(NEXT) | instid1(VALU_DEP_1)
	v_fma_f64 v[30:31], v[26:27], v[30:31], -v[22:23]
	v_fma_f64 v[28:29], v[28:29], s[4:5], v[30:31]
	v_mul_f64 v[30:31], v[26:27], 0.5
	v_fma_f64 v[26:27], v[26:27], v[36:37], s[26:27]
	s_delay_alu instid0(VALU_DEP_3) | instskip(NEXT) | instid1(VALU_DEP_3)
	v_add_f64 v[28:29], v[20:21], -v[28:29]
	v_add_f64 v[32:33], -v[30:31], 1.0
	s_delay_alu instid0(VALU_DEP_1) | instskip(NEXT) | instid1(VALU_DEP_1)
	v_add_f64 v[36:37], -v[32:33], 1.0
	v_add_f64 v[30:31], v[36:37], -v[30:31]
	s_delay_alu instid0(VALU_DEP_1) | instskip(NEXT) | instid1(VALU_DEP_1)
	v_fma_f64 v[20:21], v[20:21], -v[22:23], v[30:31]
	v_fma_f64 v[20:21], v[34:35], v[26:27], v[20:21]
	s_delay_alu instid0(VALU_DEP_1) | instskip(NEXT) | instid1(VALU_DEP_1)
	v_add_f64 v[20:21], v[32:33], v[20:21]
	v_cndmask_b32_e64 v18, v20, v28, s0
	s_delay_alu instid0(VALU_DEP_2) | instskip(SKIP_2) | instid1(VALU_DEP_4)
	v_cndmask_b32_e64 v20, v21, v29, s0
	v_lshlrev_b32_e32 v21, 30, v131
	v_cmp_ngt_f64_e64 s0, 0xc090cc00, v[2:3]
	v_cndmask_b32_e32 v18, 0, v18, vcc_lo
	s_delay_alu instid0(VALU_DEP_3) | instskip(NEXT) | instid1(VALU_DEP_1)
	v_xor_b32_e32 v19, v21, v19
	v_and_b32_e32 v19, 0x80000000, v19
	s_delay_alu instid0(VALU_DEP_1) | instskip(NEXT) | instid1(VALU_DEP_1)
	v_xor_b32_e32 v19, v20, v19
	v_cndmask_b32_e32 v19, 0x7ff80000, v19, vcc_lo
	v_cmp_nlt_f64_e32 vcc_lo, 0x40900000, v[2:3]
	s_delay_alu instid0(VALU_DEP_2) | instskip(NEXT) | instid1(VALU_DEP_1)
	v_add_f64 v[20:21], v[18:19], v[18:19]
	v_mul_f64 v[18:19], v[20:21], v[18:19]
	s_delay_alu instid0(VALU_DEP_1) | instskip(SKIP_1) | instid1(VALU_DEP_1)
	v_fma_f64 v[6:7], v[6:7], v[24:25], -v[18:19]
	v_mul_f64 v[18:19], v[2:3], s[28:29]
	v_rndne_f64_e32 v[20:21], v[18:19]
	s_delay_alu instid0(VALU_DEP_1) | instskip(SKIP_3) | instid1(VALU_DEP_4)
	v_fma_f64 v[18:19], v[20:21], s[30:31], v[2:3]
	v_cvt_i32_f64_e32 v24, v[20:21]
	v_readlane_b32 s30, v41, 12
	v_readlane_b32 s31, v41, 13
	v_fma_f64 v[22:23], v[20:21], s[34:35], v[18:19]
	v_readlane_b32 s35, v40, 1
	v_readlane_b32 s34, v40, 0
	s_delay_alu instid0(VALU_DEP_3)
	v_fma_f64 v[18:19], v[22:23], s[38:39], s[36:37]
	v_readlane_b32 s39, v40, 5
	v_readlane_b32 s38, v40, 4
	;; [unrolled: 1-line block ×4, first 2 shown]
	v_fma_f64 v[18:19], v[22:23], v[18:19], s[40:41]
	v_readlane_b32 s41, v40, 7
	v_readlane_b32 s40, v40, 6
	s_delay_alu instid0(VALU_DEP_3) | instskip(SKIP_2) | instid1(VALU_DEP_3)
	v_fma_f64 v[18:19], v[22:23], v[18:19], s[42:43]
	v_readlane_b32 s43, v40, 9
	v_readlane_b32 s42, v40, 8
	v_fma_f64 v[18:19], v[22:23], v[18:19], s[44:45]
	v_readlane_b32 s45, v40, 11
	v_readlane_b32 s44, v40, 10
	s_delay_alu instid0(VALU_DEP_3) | instskip(SKIP_2) | instid1(VALU_DEP_3)
	v_fma_f64 v[18:19], v[22:23], v[18:19], s[46:47]
	v_readlane_b32 s47, v40, 13
	v_readlane_b32 s46, v40, 12
	;; [unrolled: 7-line block ×4, first 2 shown]
	v_fma_f64 v[18:19], v[22:23], v[18:19], 1.0
	s_delay_alu instid0(VALU_DEP_1) | instskip(NEXT) | instid1(VALU_DEP_1)
	v_fma_f64 v[18:19], v[22:23], v[18:19], 1.0
	v_ldexp_f64 v[18:19], v[18:19], v24
	s_delay_alu instid0(VALU_DEP_1) | instskip(SKIP_1) | instid1(VALU_DEP_2)
	v_cndmask_b32_e32 v19, 0x7ff00000, v19, vcc_lo
	s_and_b32 vcc_lo, s0, vcc_lo
	v_cndmask_b32_e32 v18, 0, v18, vcc_lo
	v_cmp_eq_f64_e32 vcc_lo, 0x40900000, v[20:21]
	s_delay_alu instid0(VALU_DEP_3)
	v_cndmask_b32_e64 v19, 0, v19, s0
	v_cmp_ngt_f64_e64 s0, 0xc0428000, v[2:3]
	v_cndmask_b32_e64 v20, v24, 0x3ff, vcc_lo
	v_fma_f64 v[24:25], v[22:23], s[58:59], s[56:57]
	v_readlane_b32 s59, v40, 25
	v_readlane_b32 s58, v40, 24
	;; [unrolled: 1-line block ×3, first 2 shown]
	v_ldexp_f64 v[20:21], 1.0, v20
	v_readlane_b32 s56, v40, 22
	v_fma_f64 v[24:25], v[22:23], v[24:25], s[60:61]
	v_readlane_b32 s61, v40, 27
	v_readlane_b32 s60, v40, 26
	s_delay_alu instid0(VALU_DEP_3) | instskip(SKIP_2) | instid1(VALU_DEP_3)
	v_fma_f64 v[24:25], v[22:23], v[24:25], s[62:63]
	v_readlane_b32 s63, v40, 29
	v_readlane_b32 s62, v40, 28
	v_fma_f64 v[24:25], v[22:23], v[24:25], s[64:65]
	v_readlane_b32 s65, v40, 31
	v_readlane_b32 s64, v40, 30
	s_delay_alu instid0(VALU_DEP_3) | instskip(SKIP_2) | instid1(VALU_DEP_3)
	v_fma_f64 v[24:25], v[22:23], v[24:25], s[66:67]
	v_readlane_b32 s67, v41, 1
	;; [unrolled: 7-line block ×4, first 2 shown]
	v_readlane_b32 s74, v41, 8
	v_fma_f64 v[24:25], v[22:23], v[24:25], 0.5
	s_delay_alu instid0(VALU_DEP_1) | instskip(NEXT) | instid1(VALU_DEP_1)
	v_mul_f64 v[24:25], v[22:23], v[24:25]
	v_fma_f64 v[22:23], v[22:23], v[24:25], v[22:23]
	v_add_f64 v[24:25], v[20:21], -1.0
	s_delay_alu instid0(VALU_DEP_1) | instskip(NEXT) | instid1(VALU_DEP_1)
	v_fma_f64 v[20:21], v[20:21], v[22:23], v[24:25]
	v_add_f64 v[22:23], v[20:21], v[20:21]
	s_delay_alu instid0(VALU_DEP_1) | instskip(SKIP_3) | instid1(VALU_DEP_4)
	v_dual_cndmask_b32 v20, v20, v22 :: v_dual_cndmask_b32 v21, v21, v23
	v_cmp_nlt_f64_e32 vcc_lo, s[76:77], v[2:3]
	v_readlane_b32 s77, v41, 11
	v_readlane_b32 s76, v41, 10
	v_cndmask_b32_e32 v21, 0x7ff00000, v21, vcc_lo
	s_and_b32 vcc_lo, s0, vcc_lo
	v_cndmask_b32_e32 v2, 0, v20, vcc_lo
	v_cmp_class_f64_e64 vcc_lo, v[4:5], 0x1f8
	s_delay_alu instid0(VALU_DEP_3) | instskip(SKIP_2) | instid1(VALU_DEP_1)
	v_cndmask_b32_e64 v3, 0xbff00000, v21, s0
	v_mul_f64 v[20:21], v[70:71], v[70:71]
	v_and_b32_e32 v4, 1, v147
	v_cmp_eq_u32_e64 s0, 0, v4
	s_delay_alu instid0(VALU_DEP_3) | instskip(SKIP_2) | instid1(VALU_DEP_3)
	v_mul_f64 v[22:23], v[20:21], 0.5
	v_fma_f64 v[28:29], v[20:21], s[18:19], s[16:17]
	v_mul_f64 v[26:27], v[20:21], v[20:21]
	v_add_f64 v[24:25], -v[22:23], 1.0
	s_delay_alu instid0(VALU_DEP_3) | instskip(NEXT) | instid1(VALU_DEP_2)
	v_fma_f64 v[28:29], v[20:21], v[28:29], s[20:21]
	v_add_f64 v[30:31], -v[24:25], 1.0
	s_delay_alu instid0(VALU_DEP_2) | instskip(NEXT) | instid1(VALU_DEP_2)
	v_fma_f64 v[28:29], v[20:21], v[28:29], s[22:23]
	v_add_f64 v[22:23], v[30:31], -v[22:23]
	s_delay_alu instid0(VALU_DEP_2) | instskip(NEXT) | instid1(VALU_DEP_2)
	v_fma_f64 v[28:29], v[20:21], v[28:29], s[24:25]
	v_fma_f64 v[22:23], v[70:71], -v[80:81], v[22:23]
	s_delay_alu instid0(VALU_DEP_2) | instskip(NEXT) | instid1(VALU_DEP_1)
	v_fma_f64 v[28:29], v[20:21], v[28:29], s[26:27]
	v_fma_f64 v[22:23], v[26:27], v[28:29], v[22:23]
	;; [unrolled: 1-line block ×3, first 2 shown]
	v_mul_f64 v[28:29], v[80:81], 0.5
	s_delay_alu instid0(VALU_DEP_3) | instskip(NEXT) | instid1(VALU_DEP_3)
	v_add_f64 v[22:23], v[24:25], v[22:23]
	v_fma_f64 v[26:27], v[20:21], v[26:27], s[10:11]
	v_mul_f64 v[24:25], v[70:71], -v[20:21]
	s_delay_alu instid0(VALU_DEP_2) | instskip(NEXT) | instid1(VALU_DEP_1)
	v_fma_f64 v[26:27], v[20:21], v[26:27], s[12:13]
	v_fma_f64 v[26:27], v[20:21], v[26:27], s[14:15]
	s_delay_alu instid0(VALU_DEP_1) | instskip(SKIP_1) | instid1(VALU_DEP_2)
	v_fma_f64 v[26:27], v[24:25], v[26:27], v[28:29]
	v_mul_f64 v[28:29], v[64:65], 0.5
	v_fma_f64 v[20:21], v[20:21], v[26:27], -v[80:81]
	s_delay_alu instid0(VALU_DEP_1) | instskip(NEXT) | instid1(VALU_DEP_1)
	v_fma_f64 v[20:21], v[24:25], s[4:5], v[20:21]
	v_add_f64 v[20:21], v[70:71], -v[20:21]
	s_delay_alu instid0(VALU_DEP_1) | instskip(NEXT) | instid1(VALU_DEP_2)
	v_xor_b32_e32 v4, 0x80000000, v21
	v_cndmask_b32_e64 v20, v20, v22, s0
	v_lshlrev_b32_e32 v21, 30, v147
	s_delay_alu instid0(VALU_DEP_3) | instskip(SKIP_1) | instid1(VALU_DEP_3)
	v_cndmask_b32_e64 v4, v4, v23, s0
	v_mul_f64 v[22:23], v[54:55], v[54:55]
	v_and_b32_e32 v21, 0x80000000, v21
	v_cmp_class_f64_e64 s0, v[38:39], 0x1f8
	s_delay_alu instid0(VALU_DEP_2) | instskip(NEXT) | instid1(VALU_DEP_1)
	v_xor_b32_e32 v4, v4, v21
	v_dual_cndmask_b32 v21, 0x7ff80000, v4 :: v_dual_and_b32 v4, 1, v145
	s_delay_alu instid0(VALU_DEP_1) | instskip(SKIP_4) | instid1(VALU_DEP_4)
	v_cmp_eq_u32_e64 s1, 0, v4
	v_fma_f64 v[26:27], v[22:23], s[8:9], s[6:7]
	v_mul_f64 v[24:25], v[54:55], -v[22:23]
	v_fma_f64 v[32:33], v[22:23], s[18:19], s[16:17]
	v_mul_f64 v[30:31], v[22:23], v[22:23]
	v_fma_f64 v[26:27], v[22:23], v[26:27], s[10:11]
	s_delay_alu instid0(VALU_DEP_3) | instskip(NEXT) | instid1(VALU_DEP_2)
	v_fma_f64 v[32:33], v[22:23], v[32:33], s[20:21]
	v_fma_f64 v[26:27], v[22:23], v[26:27], s[12:13]
	s_delay_alu instid0(VALU_DEP_2) | instskip(NEXT) | instid1(VALU_DEP_2)
	v_fma_f64 v[32:33], v[22:23], v[32:33], s[22:23]
	v_fma_f64 v[26:27], v[22:23], v[26:27], s[14:15]
	s_delay_alu instid0(VALU_DEP_2) | instskip(NEXT) | instid1(VALU_DEP_2)
	v_fma_f64 v[32:33], v[22:23], v[32:33], s[24:25]
	v_fma_f64 v[26:27], v[24:25], v[26:27], v[28:29]
	s_delay_alu instid0(VALU_DEP_1) | instskip(NEXT) | instid1(VALU_DEP_1)
	v_fma_f64 v[26:27], v[22:23], v[26:27], -v[64:65]
	v_fma_f64 v[24:25], v[24:25], s[4:5], v[26:27]
	v_mul_f64 v[26:27], v[22:23], 0.5
	v_fma_f64 v[22:23], v[22:23], v[32:33], s[26:27]
	s_delay_alu instid0(VALU_DEP_3) | instskip(NEXT) | instid1(VALU_DEP_3)
	v_add_f64 v[24:25], v[54:55], -v[24:25]
	v_add_f64 v[28:29], -v[26:27], 1.0
	s_delay_alu instid0(VALU_DEP_1) | instskip(NEXT) | instid1(VALU_DEP_1)
	v_add_f64 v[32:33], -v[28:29], 1.0
	v_add_f64 v[26:27], v[32:33], -v[26:27]
	s_delay_alu instid0(VALU_DEP_1) | instskip(NEXT) | instid1(VALU_DEP_1)
	v_fma_f64 v[26:27], v[54:55], -v[64:65], v[26:27]
	v_fma_f64 v[22:23], v[30:31], v[22:23], v[26:27]
	s_delay_alu instid0(VALU_DEP_1) | instskip(NEXT) | instid1(VALU_DEP_1)
	v_add_f64 v[22:23], v[28:29], v[22:23]
	v_cndmask_b32_e64 v4, v22, v24, s1
	s_delay_alu instid0(VALU_DEP_2) | instskip(SKIP_1) | instid1(VALU_DEP_1)
	v_cndmask_b32_e64 v22, v23, v25, s1
	v_lshlrev_b32_e32 v23, 30, v145
	v_xor_b32_e32 v23, v23, v39
	s_delay_alu instid0(VALU_DEP_1) | instskip(NEXT) | instid1(VALU_DEP_1)
	v_dual_cndmask_b32 v20, 0, v20 :: v_dual_and_b32 v23, 0x80000000, v23
	v_xor_b32_e32 v23, v22, v23
	v_cndmask_b32_e64 v22, 0, v4, s0
	v_and_b32_e32 v4, 1, v144
	s_delay_alu instid0(VALU_DEP_3) | instskip(NEXT) | instid1(VALU_DEP_2)
	v_cndmask_b32_e64 v23, 0x7ff80000, v23, s0
	v_cmp_eq_u32_e64 s0, 0, v4
	s_delay_alu instid0(VALU_DEP_2) | instskip(NEXT) | instid1(VALU_DEP_1)
	v_add_f64 v[24:25], v[22:23], v[22:23]
	v_mul_f64 v[22:23], v[24:25], v[22:23]
	s_delay_alu instid0(VALU_DEP_1) | instskip(SKIP_1) | instid1(VALU_DEP_1)
	v_fma_f64 v[2:3], v[2:3], v[20:21], -v[22:23]
	v_mul_f64 v[20:21], v[52:53], v[52:53]
	v_mul_f64 v[22:23], v[20:21], 0.5
	v_fma_f64 v[28:29], v[20:21], s[18:19], s[16:17]
	s_delay_alu instid0(VALU_DEP_2) | instskip(NEXT) | instid1(VALU_DEP_2)
	v_add_f64 v[24:25], -v[22:23], 1.0
	v_fma_f64 v[28:29], v[20:21], v[28:29], s[20:21]
	s_delay_alu instid0(VALU_DEP_2) | instskip(NEXT) | instid1(VALU_DEP_2)
	v_add_f64 v[26:27], -v[24:25], 1.0
	v_fma_f64 v[28:29], v[20:21], v[28:29], s[22:23]
	s_delay_alu instid0(VALU_DEP_2) | instskip(NEXT) | instid1(VALU_DEP_2)
	v_add_f64 v[22:23], v[26:27], -v[22:23]
	v_fma_f64 v[28:29], v[20:21], v[28:29], s[24:25]
	v_mul_f64 v[26:27], v[20:21], v[20:21]
	s_delay_alu instid0(VALU_DEP_3) | instskip(NEXT) | instid1(VALU_DEP_3)
	v_fma_f64 v[22:23], v[52:53], -v[82:83], v[22:23]
	v_fma_f64 v[28:29], v[20:21], v[28:29], s[26:27]
	s_delay_alu instid0(VALU_DEP_1) | instskip(SKIP_2) | instid1(VALU_DEP_3)
	v_fma_f64 v[22:23], v[26:27], v[28:29], v[22:23]
	v_mul_f64 v[26:27], v[52:53], -v[20:21]
	v_mul_f64 v[28:29], v[82:83], 0.5
	v_add_f64 v[22:23], v[24:25], v[22:23]
	v_fma_f64 v[24:25], v[20:21], s[8:9], s[6:7]
	s_delay_alu instid0(VALU_DEP_1) | instskip(NEXT) | instid1(VALU_DEP_1)
	v_fma_f64 v[24:25], v[20:21], v[24:25], s[10:11]
	v_fma_f64 v[24:25], v[20:21], v[24:25], s[12:13]
	s_delay_alu instid0(VALU_DEP_1) | instskip(NEXT) | instid1(VALU_DEP_1)
	v_fma_f64 v[24:25], v[20:21], v[24:25], s[14:15]
	v_fma_f64 v[24:25], v[26:27], v[24:25], v[28:29]
	s_delay_alu instid0(VALU_DEP_1) | instskip(NEXT) | instid1(VALU_DEP_1)
	v_fma_f64 v[20:21], v[20:21], v[24:25], -v[82:83]
	v_fma_f64 v[20:21], v[26:27], s[4:5], v[20:21]
	s_delay_alu instid0(VALU_DEP_1) | instskip(NEXT) | instid1(VALU_DEP_1)
	v_add_f64 v[20:21], v[52:53], -v[20:21]
	v_cndmask_b32_e64 v4, v22, v20, s0
	s_delay_alu instid0(VALU_DEP_2) | instskip(SKIP_1) | instid1(VALU_DEP_3)
	v_cndmask_b32_e64 v20, v23, v21, s0
	v_lshlrev_b32_e32 v21, 30, v144
	v_cndmask_b32_e32 v4, 0, v4, vcc_lo
	s_delay_alu instid0(VALU_DEP_2) | instskip(NEXT) | instid1(VALU_DEP_1)
	v_xor_b32_e32 v5, v21, v5
	v_and_b32_e32 v5, 0x80000000, v5
	s_delay_alu instid0(VALU_DEP_1) | instskip(NEXT) | instid1(VALU_DEP_1)
	v_xor_b32_e32 v5, v20, v5
	v_cndmask_b32_e32 v5, 0x7ff80000, v5, vcc_lo
	v_add_co_u32 v0, vcc_lo, v0, s2
	v_add_co_ci_u32_e32 v1, vcc_lo, s3, v1, vcc_lo
	s_delay_alu instid0(VALU_DEP_3) | instskip(NEXT) | instid1(VALU_DEP_3)
	v_mul_f64 v[4:5], v[18:19], v[4:5]
	v_add_co_u32 v0, vcc_lo, v0, v130
	s_delay_alu instid0(VALU_DEP_3)
	v_add_co_ci_u32_e32 v1, vcc_lo, 0, v1, vcc_lo
	s_clause 0x3
	flat_store_b128 v[0:1], v[6:9]
	flat_store_b128 v[0:1], v[10:13] offset:16
	flat_store_b128 v[0:1], v[14:17] offset:32
	;; [unrolled: 1-line block ×3, first 2 shown]
	s_or_saveexec_b32 s0, -1
	s_clause 0x1
	scratch_load_b32 v40, off, s32
	scratch_load_b32 v41, off, s32 offset:4
	s_mov_b32 exec_lo, s0
	s_waitcnt vmcnt(0) lgkmcnt(0)
	s_setpc_b64 s[30:31]
.Lfunc_end123:
	.size	_ZN2at6native25elementwise_kernel_helperILb0EZZZNS0_17expm1_kernel_cudaERNS_18TensorIteratorBaseEENKUlvE_clEvENKUlvE1_clEvEUlN3c107complexIdEEE_NS0_6memory8policies10vectorizedILi4ESt5arrayIPcLm2EELi4EEEEEvT0_T1_, .Lfunc_end123-_ZN2at6native25elementwise_kernel_helperILb0EZZZNS0_17expm1_kernel_cudaERNS_18TensorIteratorBaseEENKUlvE_clEvENKUlvE1_clEvEUlN3c107complexIdEEE_NS0_6memory8policies10vectorizedILi4ESt5arrayIPcLm2EELi4EEEEEvT0_T1_
                                        ; -- End function
	.section	.AMDGPU.csdata,"",@progbits
; Function info:
; codeLenInByte = 18728
; NumSgprs: 80
; NumVgprs: 198
; ScratchSize: 12
; MemoryBound: 0
	.section	.text._ZN2at6native29vectorized_elementwise_kernelILi16EZZZNS0_17expm1_kernel_cudaERNS_18TensorIteratorBaseEENKUlvE_clEvENKUlvE1_clEvEUlN3c107complexIdEEE_St5arrayIPcLm2EEEEviT0_T1_,"axG",@progbits,_ZN2at6native29vectorized_elementwise_kernelILi16EZZZNS0_17expm1_kernel_cudaERNS_18TensorIteratorBaseEENKUlvE_clEvENKUlvE1_clEvEUlN3c107complexIdEEE_St5arrayIPcLm2EEEEviT0_T1_,comdat
	.globl	_ZN2at6native29vectorized_elementwise_kernelILi16EZZZNS0_17expm1_kernel_cudaERNS_18TensorIteratorBaseEENKUlvE_clEvENKUlvE1_clEvEUlN3c107complexIdEEE_St5arrayIPcLm2EEEEviT0_T1_ ; -- Begin function _ZN2at6native29vectorized_elementwise_kernelILi16EZZZNS0_17expm1_kernel_cudaERNS_18TensorIteratorBaseEENKUlvE_clEvENKUlvE1_clEvEUlN3c107complexIdEEE_St5arrayIPcLm2EEEEviT0_T1_
	.p2align	8
	.type	_ZN2at6native29vectorized_elementwise_kernelILi16EZZZNS0_17expm1_kernel_cudaERNS_18TensorIteratorBaseEENKUlvE_clEvENKUlvE1_clEvEUlN3c107complexIdEEE_St5arrayIPcLm2EEEEviT0_T1_,@function
_ZN2at6native29vectorized_elementwise_kernelILi16EZZZNS0_17expm1_kernel_cudaERNS_18TensorIteratorBaseEENKUlvE_clEvENKUlvE1_clEvEUlN3c107complexIdEEE_St5arrayIPcLm2EEEEviT0_T1_: ; @_ZN2at6native29vectorized_elementwise_kernelILi16EZZZNS0_17expm1_kernel_cudaERNS_18TensorIteratorBaseEENKUlvE_clEvENKUlvE1_clEvEUlN3c107complexIdEEE_St5arrayIPcLm2EEEEviT0_T1_
; %bb.0:
	s_clause 0x1
	s_load_b32 s2, s[0:1], 0x0
	s_load_b128 s[80:83], s[0:1], 0x8
	s_lshl_b32 s0, s15, 10
	v_mov_b32_e32 v42, v0
	s_mov_b32 s33, s15
	s_mov_b32 s32, 0
	s_waitcnt lgkmcnt(0)
	s_sub_i32 s78, s2, s0
	s_mov_b32 s0, -1
	s_cmpk_gt_i32 s78, 0x3ff
	s_cbranch_scc1 .LBB124_3
; %bb.1:
	s_and_not1_b32 vcc_lo, exec_lo, s0
	s_cbranch_vccz .LBB124_4
.LBB124_2:
	s_endpgm
.LBB124_3:
	v_dual_mov_b32 v31, v42 :: v_dual_mov_b32 v0, s80
	v_dual_mov_b32 v1, s81 :: v_dual_mov_b32 v2, s82
	v_mov_b32_e32 v3, s83
	s_mov_b32 s12, s33
	s_getpc_b64 s[0:1]
	s_add_u32 s0, s0, _ZN2at6native25elementwise_kernel_helperILb0EZZZNS0_17expm1_kernel_cudaERNS_18TensorIteratorBaseEENKUlvE_clEvENKUlvE1_clEvEUlN3c107complexIdEEE_NS0_6memory8policies10vectorizedILi4ESt5arrayIPcLm2EELi4EEEEEvT0_T1_@rel32@lo+4
	s_addc_u32 s1, s1, _ZN2at6native25elementwise_kernel_helperILb0EZZZNS0_17expm1_kernel_cudaERNS_18TensorIteratorBaseEENKUlvE_clEvENKUlvE1_clEvEUlN3c107complexIdEEE_NS0_6memory8policies10vectorizedILi4ESt5arrayIPcLm2EELi4EEEEEvT0_T1_@rel32@hi+12
	s_delay_alu instid0(SALU_CYCLE_1)
	s_swappc_b64 s[30:31], s[0:1]
	s_cbranch_execnz .LBB124_2
.LBB124_4:
	v_dual_mov_b32 v31, v42 :: v_dual_mov_b32 v0, s80
	v_dual_mov_b32 v1, s81 :: v_dual_mov_b32 v2, s82
	v_dual_mov_b32 v3, s83 :: v_dual_mov_b32 v4, s78
	s_mov_b32 s12, s33
	s_getpc_b64 s[0:1]
	s_add_u32 s0, s0, _ZN2at6native25elementwise_kernel_helperILb0EZZZNS0_17expm1_kernel_cudaERNS_18TensorIteratorBaseEENKUlvE_clEvENKUlvE1_clEvEUlN3c107complexIdEEE_NS0_6memory8policies11unroll_baseILi256ESt5arrayIPcLm2EE23TrivialOffsetCalculatorILi1EjESH_NSA_15LoadWithoutCastENSA_16StoreWithoutCastELi4ELi1EEEEEvT0_T1_@rel32@lo+4
	s_addc_u32 s1, s1, _ZN2at6native25elementwise_kernel_helperILb0EZZZNS0_17expm1_kernel_cudaERNS_18TensorIteratorBaseEENKUlvE_clEvENKUlvE1_clEvEUlN3c107complexIdEEE_NS0_6memory8policies11unroll_baseILi256ESt5arrayIPcLm2EE23TrivialOffsetCalculatorILi1EjESH_NSA_15LoadWithoutCastENSA_16StoreWithoutCastELi4ELi1EEEEEvT0_T1_@rel32@hi+12
	s_delay_alu instid0(SALU_CYCLE_1)
	s_swappc_b64 s[30:31], s[0:1]
	s_endpgm
	.section	.rodata,"a",@progbits
	.p2align	6, 0x0
	.amdhsa_kernel _ZN2at6native29vectorized_elementwise_kernelILi16EZZZNS0_17expm1_kernel_cudaERNS_18TensorIteratorBaseEENKUlvE_clEvENKUlvE1_clEvEUlN3c107complexIdEEE_St5arrayIPcLm2EEEEviT0_T1_
		.amdhsa_group_segment_fixed_size 0
		.amdhsa_private_segment_fixed_size 12
		.amdhsa_kernarg_size 24
		.amdhsa_user_sgpr_count 15
		.amdhsa_user_sgpr_dispatch_ptr 0
		.amdhsa_user_sgpr_queue_ptr 0
		.amdhsa_user_sgpr_kernarg_segment_ptr 1
		.amdhsa_user_sgpr_dispatch_id 0
		.amdhsa_user_sgpr_private_segment_size 0
		.amdhsa_wavefront_size32 1
		.amdhsa_uses_dynamic_stack 0
		.amdhsa_enable_private_segment 1
		.amdhsa_system_sgpr_workgroup_id_x 1
		.amdhsa_system_sgpr_workgroup_id_y 0
		.amdhsa_system_sgpr_workgroup_id_z 0
		.amdhsa_system_sgpr_workgroup_info 0
		.amdhsa_system_vgpr_workitem_id 0
		.amdhsa_next_free_vgpr 198
		.amdhsa_next_free_sgpr 84
		.amdhsa_reserve_vcc 1
		.amdhsa_float_round_mode_32 0
		.amdhsa_float_round_mode_16_64 0
		.amdhsa_float_denorm_mode_32 3
		.amdhsa_float_denorm_mode_16_64 3
		.amdhsa_dx10_clamp 1
		.amdhsa_ieee_mode 1
		.amdhsa_fp16_overflow 0
		.amdhsa_workgroup_processor_mode 1
		.amdhsa_memory_ordered 1
		.amdhsa_forward_progress 0
		.amdhsa_shared_vgpr_count 0
		.amdhsa_exception_fp_ieee_invalid_op 0
		.amdhsa_exception_fp_denorm_src 0
		.amdhsa_exception_fp_ieee_div_zero 0
		.amdhsa_exception_fp_ieee_overflow 0
		.amdhsa_exception_fp_ieee_underflow 0
		.amdhsa_exception_fp_ieee_inexact 0
		.amdhsa_exception_int_div_zero 0
	.end_amdhsa_kernel
	.section	.text._ZN2at6native29vectorized_elementwise_kernelILi16EZZZNS0_17expm1_kernel_cudaERNS_18TensorIteratorBaseEENKUlvE_clEvENKUlvE1_clEvEUlN3c107complexIdEEE_St5arrayIPcLm2EEEEviT0_T1_,"axG",@progbits,_ZN2at6native29vectorized_elementwise_kernelILi16EZZZNS0_17expm1_kernel_cudaERNS_18TensorIteratorBaseEENKUlvE_clEvENKUlvE1_clEvEUlN3c107complexIdEEE_St5arrayIPcLm2EEEEviT0_T1_,comdat
.Lfunc_end124:
	.size	_ZN2at6native29vectorized_elementwise_kernelILi16EZZZNS0_17expm1_kernel_cudaERNS_18TensorIteratorBaseEENKUlvE_clEvENKUlvE1_clEvEUlN3c107complexIdEEE_St5arrayIPcLm2EEEEviT0_T1_, .Lfunc_end124-_ZN2at6native29vectorized_elementwise_kernelILi16EZZZNS0_17expm1_kernel_cudaERNS_18TensorIteratorBaseEENKUlvE_clEvENKUlvE1_clEvEUlN3c107complexIdEEE_St5arrayIPcLm2EEEEviT0_T1_
                                        ; -- End function
	.section	.AMDGPU.csdata,"",@progbits
; Kernel info:
; codeLenInByte = 184
; NumSgprs: 86
; NumVgprs: 198
; ScratchSize: 12
; MemoryBound: 0
; FloatMode: 240
; IeeeMode: 1
; LDSByteSize: 0 bytes/workgroup (compile time only)
; SGPRBlocks: 10
; VGPRBlocks: 24
; NumSGPRsForWavesPerEU: 86
; NumVGPRsForWavesPerEU: 198
; Occupancy: 7
; WaveLimiterHint : 0
; COMPUTE_PGM_RSRC2:SCRATCH_EN: 1
; COMPUTE_PGM_RSRC2:USER_SGPR: 15
; COMPUTE_PGM_RSRC2:TRAP_HANDLER: 0
; COMPUTE_PGM_RSRC2:TGID_X_EN: 1
; COMPUTE_PGM_RSRC2:TGID_Y_EN: 0
; COMPUTE_PGM_RSRC2:TGID_Z_EN: 0
; COMPUTE_PGM_RSRC2:TIDIG_COMP_CNT: 0
	.section	.text._ZN2at6native29vectorized_elementwise_kernelILi8EZZZNS0_17expm1_kernel_cudaERNS_18TensorIteratorBaseEENKUlvE_clEvENKUlvE1_clEvEUlN3c107complexIdEEE_St5arrayIPcLm2EEEEviT0_T1_,"axG",@progbits,_ZN2at6native29vectorized_elementwise_kernelILi8EZZZNS0_17expm1_kernel_cudaERNS_18TensorIteratorBaseEENKUlvE_clEvENKUlvE1_clEvEUlN3c107complexIdEEE_St5arrayIPcLm2EEEEviT0_T1_,comdat
	.globl	_ZN2at6native29vectorized_elementwise_kernelILi8EZZZNS0_17expm1_kernel_cudaERNS_18TensorIteratorBaseEENKUlvE_clEvENKUlvE1_clEvEUlN3c107complexIdEEE_St5arrayIPcLm2EEEEviT0_T1_ ; -- Begin function _ZN2at6native29vectorized_elementwise_kernelILi8EZZZNS0_17expm1_kernel_cudaERNS_18TensorIteratorBaseEENKUlvE_clEvENKUlvE1_clEvEUlN3c107complexIdEEE_St5arrayIPcLm2EEEEviT0_T1_
	.p2align	8
	.type	_ZN2at6native29vectorized_elementwise_kernelILi8EZZZNS0_17expm1_kernel_cudaERNS_18TensorIteratorBaseEENKUlvE_clEvENKUlvE1_clEvEUlN3c107complexIdEEE_St5arrayIPcLm2EEEEviT0_T1_,@function
_ZN2at6native29vectorized_elementwise_kernelILi8EZZZNS0_17expm1_kernel_cudaERNS_18TensorIteratorBaseEENKUlvE_clEvENKUlvE1_clEvEUlN3c107complexIdEEE_St5arrayIPcLm2EEEEviT0_T1_: ; @_ZN2at6native29vectorized_elementwise_kernelILi8EZZZNS0_17expm1_kernel_cudaERNS_18TensorIteratorBaseEENKUlvE_clEvENKUlvE1_clEvEUlN3c107complexIdEEE_St5arrayIPcLm2EEEEviT0_T1_
; %bb.0:
	s_clause 0x1
	s_load_b32 s2, s[0:1], 0x0
	s_load_b128 s[80:83], s[0:1], 0x8
	s_lshl_b32 s0, s15, 10
	v_mov_b32_e32 v42, v0
	s_mov_b32 s33, s15
	s_mov_b32 s32, 0
	s_waitcnt lgkmcnt(0)
	s_sub_i32 s78, s2, s0
	s_mov_b32 s0, -1
	s_cmpk_gt_i32 s78, 0x3ff
	s_cbranch_scc1 .LBB125_3
; %bb.1:
	s_and_not1_b32 vcc_lo, exec_lo, s0
	s_cbranch_vccz .LBB125_4
.LBB125_2:
	s_endpgm
.LBB125_3:
	v_dual_mov_b32 v31, v42 :: v_dual_mov_b32 v0, s80
	v_dual_mov_b32 v1, s81 :: v_dual_mov_b32 v2, s82
	v_mov_b32_e32 v3, s83
	s_mov_b32 s12, s33
	s_getpc_b64 s[0:1]
	s_add_u32 s0, s0, _ZN2at6native25elementwise_kernel_helperILb0EZZZNS0_17expm1_kernel_cudaERNS_18TensorIteratorBaseEENKUlvE_clEvENKUlvE1_clEvEUlN3c107complexIdEEE_NS0_6memory8policies10vectorizedILi4ESt5arrayIPcLm2EELi4EEEEEvT0_T1_@rel32@lo+4
	s_addc_u32 s1, s1, _ZN2at6native25elementwise_kernel_helperILb0EZZZNS0_17expm1_kernel_cudaERNS_18TensorIteratorBaseEENKUlvE_clEvENKUlvE1_clEvEUlN3c107complexIdEEE_NS0_6memory8policies10vectorizedILi4ESt5arrayIPcLm2EELi4EEEEEvT0_T1_@rel32@hi+12
	s_delay_alu instid0(SALU_CYCLE_1)
	s_swappc_b64 s[30:31], s[0:1]
	s_cbranch_execnz .LBB125_2
.LBB125_4:
	v_dual_mov_b32 v31, v42 :: v_dual_mov_b32 v0, s80
	v_dual_mov_b32 v1, s81 :: v_dual_mov_b32 v2, s82
	;; [unrolled: 1-line block ×3, first 2 shown]
	s_mov_b32 s12, s33
	s_getpc_b64 s[0:1]
	s_add_u32 s0, s0, _ZN2at6native25elementwise_kernel_helperILb0EZZZNS0_17expm1_kernel_cudaERNS_18TensorIteratorBaseEENKUlvE_clEvENKUlvE1_clEvEUlN3c107complexIdEEE_NS0_6memory8policies11unroll_baseILi256ESt5arrayIPcLm2EE23TrivialOffsetCalculatorILi1EjESH_NSA_15LoadWithoutCastENSA_16StoreWithoutCastELi4ELi1EEEEEvT0_T1_@rel32@lo+4
	s_addc_u32 s1, s1, _ZN2at6native25elementwise_kernel_helperILb0EZZZNS0_17expm1_kernel_cudaERNS_18TensorIteratorBaseEENKUlvE_clEvENKUlvE1_clEvEUlN3c107complexIdEEE_NS0_6memory8policies11unroll_baseILi256ESt5arrayIPcLm2EE23TrivialOffsetCalculatorILi1EjESH_NSA_15LoadWithoutCastENSA_16StoreWithoutCastELi4ELi1EEEEEvT0_T1_@rel32@hi+12
	s_delay_alu instid0(SALU_CYCLE_1)
	s_swappc_b64 s[30:31], s[0:1]
	s_endpgm
	.section	.rodata,"a",@progbits
	.p2align	6, 0x0
	.amdhsa_kernel _ZN2at6native29vectorized_elementwise_kernelILi8EZZZNS0_17expm1_kernel_cudaERNS_18TensorIteratorBaseEENKUlvE_clEvENKUlvE1_clEvEUlN3c107complexIdEEE_St5arrayIPcLm2EEEEviT0_T1_
		.amdhsa_group_segment_fixed_size 0
		.amdhsa_private_segment_fixed_size 12
		.amdhsa_kernarg_size 24
		.amdhsa_user_sgpr_count 15
		.amdhsa_user_sgpr_dispatch_ptr 0
		.amdhsa_user_sgpr_queue_ptr 0
		.amdhsa_user_sgpr_kernarg_segment_ptr 1
		.amdhsa_user_sgpr_dispatch_id 0
		.amdhsa_user_sgpr_private_segment_size 0
		.amdhsa_wavefront_size32 1
		.amdhsa_uses_dynamic_stack 0
		.amdhsa_enable_private_segment 1
		.amdhsa_system_sgpr_workgroup_id_x 1
		.amdhsa_system_sgpr_workgroup_id_y 0
		.amdhsa_system_sgpr_workgroup_id_z 0
		.amdhsa_system_sgpr_workgroup_info 0
		.amdhsa_system_vgpr_workitem_id 0
		.amdhsa_next_free_vgpr 198
		.amdhsa_next_free_sgpr 84
		.amdhsa_reserve_vcc 1
		.amdhsa_float_round_mode_32 0
		.amdhsa_float_round_mode_16_64 0
		.amdhsa_float_denorm_mode_32 3
		.amdhsa_float_denorm_mode_16_64 3
		.amdhsa_dx10_clamp 1
		.amdhsa_ieee_mode 1
		.amdhsa_fp16_overflow 0
		.amdhsa_workgroup_processor_mode 1
		.amdhsa_memory_ordered 1
		.amdhsa_forward_progress 0
		.amdhsa_shared_vgpr_count 0
		.amdhsa_exception_fp_ieee_invalid_op 0
		.amdhsa_exception_fp_denorm_src 0
		.amdhsa_exception_fp_ieee_div_zero 0
		.amdhsa_exception_fp_ieee_overflow 0
		.amdhsa_exception_fp_ieee_underflow 0
		.amdhsa_exception_fp_ieee_inexact 0
		.amdhsa_exception_int_div_zero 0
	.end_amdhsa_kernel
	.section	.text._ZN2at6native29vectorized_elementwise_kernelILi8EZZZNS0_17expm1_kernel_cudaERNS_18TensorIteratorBaseEENKUlvE_clEvENKUlvE1_clEvEUlN3c107complexIdEEE_St5arrayIPcLm2EEEEviT0_T1_,"axG",@progbits,_ZN2at6native29vectorized_elementwise_kernelILi8EZZZNS0_17expm1_kernel_cudaERNS_18TensorIteratorBaseEENKUlvE_clEvENKUlvE1_clEvEUlN3c107complexIdEEE_St5arrayIPcLm2EEEEviT0_T1_,comdat
.Lfunc_end125:
	.size	_ZN2at6native29vectorized_elementwise_kernelILi8EZZZNS0_17expm1_kernel_cudaERNS_18TensorIteratorBaseEENKUlvE_clEvENKUlvE1_clEvEUlN3c107complexIdEEE_St5arrayIPcLm2EEEEviT0_T1_, .Lfunc_end125-_ZN2at6native29vectorized_elementwise_kernelILi8EZZZNS0_17expm1_kernel_cudaERNS_18TensorIteratorBaseEENKUlvE_clEvENKUlvE1_clEvEUlN3c107complexIdEEE_St5arrayIPcLm2EEEEviT0_T1_
                                        ; -- End function
	.section	.AMDGPU.csdata,"",@progbits
; Kernel info:
; codeLenInByte = 184
; NumSgprs: 86
; NumVgprs: 198
; ScratchSize: 12
; MemoryBound: 0
; FloatMode: 240
; IeeeMode: 1
; LDSByteSize: 0 bytes/workgroup (compile time only)
; SGPRBlocks: 10
; VGPRBlocks: 24
; NumSGPRsForWavesPerEU: 86
; NumVGPRsForWavesPerEU: 198
; Occupancy: 7
; WaveLimiterHint : 0
; COMPUTE_PGM_RSRC2:SCRATCH_EN: 1
; COMPUTE_PGM_RSRC2:USER_SGPR: 15
; COMPUTE_PGM_RSRC2:TRAP_HANDLER: 0
; COMPUTE_PGM_RSRC2:TGID_X_EN: 1
; COMPUTE_PGM_RSRC2:TGID_Y_EN: 0
; COMPUTE_PGM_RSRC2:TGID_Z_EN: 0
; COMPUTE_PGM_RSRC2:TIDIG_COMP_CNT: 0
	.section	.text._ZN2at6native29vectorized_elementwise_kernelILi4EZZZNS0_17expm1_kernel_cudaERNS_18TensorIteratorBaseEENKUlvE_clEvENKUlvE1_clEvEUlN3c107complexIdEEE_St5arrayIPcLm2EEEEviT0_T1_,"axG",@progbits,_ZN2at6native29vectorized_elementwise_kernelILi4EZZZNS0_17expm1_kernel_cudaERNS_18TensorIteratorBaseEENKUlvE_clEvENKUlvE1_clEvEUlN3c107complexIdEEE_St5arrayIPcLm2EEEEviT0_T1_,comdat
	.globl	_ZN2at6native29vectorized_elementwise_kernelILi4EZZZNS0_17expm1_kernel_cudaERNS_18TensorIteratorBaseEENKUlvE_clEvENKUlvE1_clEvEUlN3c107complexIdEEE_St5arrayIPcLm2EEEEviT0_T1_ ; -- Begin function _ZN2at6native29vectorized_elementwise_kernelILi4EZZZNS0_17expm1_kernel_cudaERNS_18TensorIteratorBaseEENKUlvE_clEvENKUlvE1_clEvEUlN3c107complexIdEEE_St5arrayIPcLm2EEEEviT0_T1_
	.p2align	8
	.type	_ZN2at6native29vectorized_elementwise_kernelILi4EZZZNS0_17expm1_kernel_cudaERNS_18TensorIteratorBaseEENKUlvE_clEvENKUlvE1_clEvEUlN3c107complexIdEEE_St5arrayIPcLm2EEEEviT0_T1_,@function
_ZN2at6native29vectorized_elementwise_kernelILi4EZZZNS0_17expm1_kernel_cudaERNS_18TensorIteratorBaseEENKUlvE_clEvENKUlvE1_clEvEUlN3c107complexIdEEE_St5arrayIPcLm2EEEEviT0_T1_: ; @_ZN2at6native29vectorized_elementwise_kernelILi4EZZZNS0_17expm1_kernel_cudaERNS_18TensorIteratorBaseEENKUlvE_clEvENKUlvE1_clEvEUlN3c107complexIdEEE_St5arrayIPcLm2EEEEviT0_T1_
; %bb.0:
	s_clause 0x1
	s_load_b32 s2, s[0:1], 0x0
	s_load_b128 s[80:83], s[0:1], 0x8
	s_lshl_b32 s0, s15, 10
	v_mov_b32_e32 v42, v0
	s_mov_b32 s33, s15
	s_mov_b32 s32, 0
	s_waitcnt lgkmcnt(0)
	s_sub_i32 s78, s2, s0
	s_mov_b32 s0, -1
	s_cmpk_gt_i32 s78, 0x3ff
	s_cbranch_scc1 .LBB126_3
; %bb.1:
	s_and_not1_b32 vcc_lo, exec_lo, s0
	s_cbranch_vccz .LBB126_4
.LBB126_2:
	s_endpgm
.LBB126_3:
	v_dual_mov_b32 v31, v42 :: v_dual_mov_b32 v0, s80
	v_dual_mov_b32 v1, s81 :: v_dual_mov_b32 v2, s82
	v_mov_b32_e32 v3, s83
	s_mov_b32 s12, s33
	s_getpc_b64 s[0:1]
	s_add_u32 s0, s0, _ZN2at6native25elementwise_kernel_helperILb0EZZZNS0_17expm1_kernel_cudaERNS_18TensorIteratorBaseEENKUlvE_clEvENKUlvE1_clEvEUlN3c107complexIdEEE_NS0_6memory8policies10vectorizedILi4ESt5arrayIPcLm2EELi4EEEEEvT0_T1_@rel32@lo+4
	s_addc_u32 s1, s1, _ZN2at6native25elementwise_kernel_helperILb0EZZZNS0_17expm1_kernel_cudaERNS_18TensorIteratorBaseEENKUlvE_clEvENKUlvE1_clEvEUlN3c107complexIdEEE_NS0_6memory8policies10vectorizedILi4ESt5arrayIPcLm2EELi4EEEEEvT0_T1_@rel32@hi+12
	s_delay_alu instid0(SALU_CYCLE_1)
	s_swappc_b64 s[30:31], s[0:1]
	s_cbranch_execnz .LBB126_2
.LBB126_4:
	v_dual_mov_b32 v31, v42 :: v_dual_mov_b32 v0, s80
	v_dual_mov_b32 v1, s81 :: v_dual_mov_b32 v2, s82
	;; [unrolled: 1-line block ×3, first 2 shown]
	s_mov_b32 s12, s33
	s_getpc_b64 s[0:1]
	s_add_u32 s0, s0, _ZN2at6native25elementwise_kernel_helperILb0EZZZNS0_17expm1_kernel_cudaERNS_18TensorIteratorBaseEENKUlvE_clEvENKUlvE1_clEvEUlN3c107complexIdEEE_NS0_6memory8policies11unroll_baseILi256ESt5arrayIPcLm2EE23TrivialOffsetCalculatorILi1EjESH_NSA_15LoadWithoutCastENSA_16StoreWithoutCastELi4ELi1EEEEEvT0_T1_@rel32@lo+4
	s_addc_u32 s1, s1, _ZN2at6native25elementwise_kernel_helperILb0EZZZNS0_17expm1_kernel_cudaERNS_18TensorIteratorBaseEENKUlvE_clEvENKUlvE1_clEvEUlN3c107complexIdEEE_NS0_6memory8policies11unroll_baseILi256ESt5arrayIPcLm2EE23TrivialOffsetCalculatorILi1EjESH_NSA_15LoadWithoutCastENSA_16StoreWithoutCastELi4ELi1EEEEEvT0_T1_@rel32@hi+12
	s_delay_alu instid0(SALU_CYCLE_1)
	s_swappc_b64 s[30:31], s[0:1]
	s_endpgm
	.section	.rodata,"a",@progbits
	.p2align	6, 0x0
	.amdhsa_kernel _ZN2at6native29vectorized_elementwise_kernelILi4EZZZNS0_17expm1_kernel_cudaERNS_18TensorIteratorBaseEENKUlvE_clEvENKUlvE1_clEvEUlN3c107complexIdEEE_St5arrayIPcLm2EEEEviT0_T1_
		.amdhsa_group_segment_fixed_size 0
		.amdhsa_private_segment_fixed_size 12
		.amdhsa_kernarg_size 24
		.amdhsa_user_sgpr_count 15
		.amdhsa_user_sgpr_dispatch_ptr 0
		.amdhsa_user_sgpr_queue_ptr 0
		.amdhsa_user_sgpr_kernarg_segment_ptr 1
		.amdhsa_user_sgpr_dispatch_id 0
		.amdhsa_user_sgpr_private_segment_size 0
		.amdhsa_wavefront_size32 1
		.amdhsa_uses_dynamic_stack 0
		.amdhsa_enable_private_segment 1
		.amdhsa_system_sgpr_workgroup_id_x 1
		.amdhsa_system_sgpr_workgroup_id_y 0
		.amdhsa_system_sgpr_workgroup_id_z 0
		.amdhsa_system_sgpr_workgroup_info 0
		.amdhsa_system_vgpr_workitem_id 0
		.amdhsa_next_free_vgpr 198
		.amdhsa_next_free_sgpr 84
		.amdhsa_reserve_vcc 1
		.amdhsa_float_round_mode_32 0
		.amdhsa_float_round_mode_16_64 0
		.amdhsa_float_denorm_mode_32 3
		.amdhsa_float_denorm_mode_16_64 3
		.amdhsa_dx10_clamp 1
		.amdhsa_ieee_mode 1
		.amdhsa_fp16_overflow 0
		.amdhsa_workgroup_processor_mode 1
		.amdhsa_memory_ordered 1
		.amdhsa_forward_progress 0
		.amdhsa_shared_vgpr_count 0
		.amdhsa_exception_fp_ieee_invalid_op 0
		.amdhsa_exception_fp_denorm_src 0
		.amdhsa_exception_fp_ieee_div_zero 0
		.amdhsa_exception_fp_ieee_overflow 0
		.amdhsa_exception_fp_ieee_underflow 0
		.amdhsa_exception_fp_ieee_inexact 0
		.amdhsa_exception_int_div_zero 0
	.end_amdhsa_kernel
	.section	.text._ZN2at6native29vectorized_elementwise_kernelILi4EZZZNS0_17expm1_kernel_cudaERNS_18TensorIteratorBaseEENKUlvE_clEvENKUlvE1_clEvEUlN3c107complexIdEEE_St5arrayIPcLm2EEEEviT0_T1_,"axG",@progbits,_ZN2at6native29vectorized_elementwise_kernelILi4EZZZNS0_17expm1_kernel_cudaERNS_18TensorIteratorBaseEENKUlvE_clEvENKUlvE1_clEvEUlN3c107complexIdEEE_St5arrayIPcLm2EEEEviT0_T1_,comdat
.Lfunc_end126:
	.size	_ZN2at6native29vectorized_elementwise_kernelILi4EZZZNS0_17expm1_kernel_cudaERNS_18TensorIteratorBaseEENKUlvE_clEvENKUlvE1_clEvEUlN3c107complexIdEEE_St5arrayIPcLm2EEEEviT0_T1_, .Lfunc_end126-_ZN2at6native29vectorized_elementwise_kernelILi4EZZZNS0_17expm1_kernel_cudaERNS_18TensorIteratorBaseEENKUlvE_clEvENKUlvE1_clEvEUlN3c107complexIdEEE_St5arrayIPcLm2EEEEviT0_T1_
                                        ; -- End function
	.section	.AMDGPU.csdata,"",@progbits
; Kernel info:
; codeLenInByte = 184
; NumSgprs: 86
; NumVgprs: 198
; ScratchSize: 12
; MemoryBound: 0
; FloatMode: 240
; IeeeMode: 1
; LDSByteSize: 0 bytes/workgroup (compile time only)
; SGPRBlocks: 10
; VGPRBlocks: 24
; NumSGPRsForWavesPerEU: 86
; NumVGPRsForWavesPerEU: 198
; Occupancy: 7
; WaveLimiterHint : 0
; COMPUTE_PGM_RSRC2:SCRATCH_EN: 1
; COMPUTE_PGM_RSRC2:USER_SGPR: 15
; COMPUTE_PGM_RSRC2:TRAP_HANDLER: 0
; COMPUTE_PGM_RSRC2:TGID_X_EN: 1
; COMPUTE_PGM_RSRC2:TGID_Y_EN: 0
; COMPUTE_PGM_RSRC2:TGID_Z_EN: 0
; COMPUTE_PGM_RSRC2:TIDIG_COMP_CNT: 0
	.section	.text._ZN2at6native29vectorized_elementwise_kernelILi2EZZZNS0_17expm1_kernel_cudaERNS_18TensorIteratorBaseEENKUlvE_clEvENKUlvE1_clEvEUlN3c107complexIdEEE_St5arrayIPcLm2EEEEviT0_T1_,"axG",@progbits,_ZN2at6native29vectorized_elementwise_kernelILi2EZZZNS0_17expm1_kernel_cudaERNS_18TensorIteratorBaseEENKUlvE_clEvENKUlvE1_clEvEUlN3c107complexIdEEE_St5arrayIPcLm2EEEEviT0_T1_,comdat
	.globl	_ZN2at6native29vectorized_elementwise_kernelILi2EZZZNS0_17expm1_kernel_cudaERNS_18TensorIteratorBaseEENKUlvE_clEvENKUlvE1_clEvEUlN3c107complexIdEEE_St5arrayIPcLm2EEEEviT0_T1_ ; -- Begin function _ZN2at6native29vectorized_elementwise_kernelILi2EZZZNS0_17expm1_kernel_cudaERNS_18TensorIteratorBaseEENKUlvE_clEvENKUlvE1_clEvEUlN3c107complexIdEEE_St5arrayIPcLm2EEEEviT0_T1_
	.p2align	8
	.type	_ZN2at6native29vectorized_elementwise_kernelILi2EZZZNS0_17expm1_kernel_cudaERNS_18TensorIteratorBaseEENKUlvE_clEvENKUlvE1_clEvEUlN3c107complexIdEEE_St5arrayIPcLm2EEEEviT0_T1_,@function
_ZN2at6native29vectorized_elementwise_kernelILi2EZZZNS0_17expm1_kernel_cudaERNS_18TensorIteratorBaseEENKUlvE_clEvENKUlvE1_clEvEUlN3c107complexIdEEE_St5arrayIPcLm2EEEEviT0_T1_: ; @_ZN2at6native29vectorized_elementwise_kernelILi2EZZZNS0_17expm1_kernel_cudaERNS_18TensorIteratorBaseEENKUlvE_clEvENKUlvE1_clEvEUlN3c107complexIdEEE_St5arrayIPcLm2EEEEviT0_T1_
; %bb.0:
	s_clause 0x1
	s_load_b32 s2, s[0:1], 0x0
	s_load_b128 s[24:27], s[0:1], 0x8
	s_lshl_b32 s0, s15, 10
	s_mov_b32 s1, -1
	s_mov_b32 s32, 0
	s_waitcnt lgkmcnt(0)
	s_sub_i32 s33, s2, s0
	s_delay_alu instid0(SALU_CYCLE_1)
	s_cmpk_gt_i32 s33, 0x3ff
	s_cbranch_scc0 .LBB127_7
; %bb.1:
	s_ashr_i32 s1, s0, 31
	v_lshlrev_b32_e32 v145, 5, v0
	s_lshl_b64 s[28:29], s[0:1], 4
                                        ; implicit-def: $vgpr146
                                        ; implicit-def: $vgpr19_vgpr20
                                        ; implicit-def: $vgpr31_vgpr32
	s_delay_alu instid0(SALU_CYCLE_1) | instskip(SKIP_1) | instid1(VALU_DEP_1)
	s_add_u32 s0, s26, s28
	s_addc_u32 s1, s27, s29
	v_add_co_u32 v5, s2, s0, v145
	global_load_b128 v[1:4], v145, s[0:1]
	v_add_co_ci_u32_e64 v6, null, s1, 0, s2
	v_add_co_u32 v9, vcc_lo, 0x2000, v5
	s_delay_alu instid0(VALU_DEP_2)
	v_add_co_ci_u32_e32 v10, vcc_lo, 0, v6, vcc_lo
	s_clause 0x2
	global_load_b128 v[5:8], v145, s[0:1] offset:16
	global_load_b128 v[13:16], v[9:10], off
	global_load_b128 v[9:12], v[9:10], off offset:16
	s_mov_b32 s1, exec_lo
	s_waitcnt vmcnt(3)
	v_mul_f64 v[17:18], v[3:4], 0.5
	s_delay_alu instid0(VALU_DEP_1)
	v_cmpx_ngt_f64_e64 0x41d00000, |v[17:18]|
	s_xor_b32 s1, exec_lo, s1
	s_cbranch_execz .LBB127_3
; %bb.2:
	v_ldexp_f64 v[19:20], |v[17:18]|, 0xffffff80
	v_cmp_le_f64_e64 vcc_lo, 0x7b000000, |v[17:18]|
	v_trig_preop_f64 v[21:22], |v[17:18]|, 0
	v_and_b32_e32 v23, 0x7fffffff, v18
	v_trig_preop_f64 v[33:34], |v[17:18]|, 2
	v_mov_b32_e32 v41, 0
	s_mov_b32 s2, 0x54442d18
	s_mov_b32 s3, 0x3ff921fb
	;; [unrolled: 1-line block ×4, first 2 shown]
	v_dual_cndmask_b32 v20, v23, v20 :: v_dual_cndmask_b32 v19, v17, v19
	v_trig_preop_f64 v[23:24], |v[17:18]|, 1
	s_delay_alu instid0(VALU_DEP_2) | instskip(SKIP_1) | instid1(VALU_DEP_3)
	v_mul_f64 v[25:26], v[21:22], v[19:20]
	v_mul_f64 v[39:40], v[33:34], v[19:20]
	;; [unrolled: 1-line block ×3, first 2 shown]
	s_delay_alu instid0(VALU_DEP_3) | instskip(NEXT) | instid1(VALU_DEP_2)
	v_fma_f64 v[21:22], v[21:22], v[19:20], -v[25:26]
	v_fma_f64 v[23:24], v[23:24], v[19:20], -v[27:28]
	s_delay_alu instid0(VALU_DEP_4) | instskip(NEXT) | instid1(VALU_DEP_3)
	v_fma_f64 v[19:20], v[33:34], v[19:20], -v[39:40]
	v_add_f64 v[29:30], v[27:28], v[21:22]
	s_delay_alu instid0(VALU_DEP_1) | instskip(SKIP_1) | instid1(VALU_DEP_2)
	v_add_f64 v[31:32], v[29:30], -v[27:28]
	v_add_f64 v[37:38], v[25:26], v[29:30]
	v_add_f64 v[35:36], v[29:30], -v[31:32]
	v_add_f64 v[21:22], v[21:22], -v[31:32]
	s_delay_alu instid0(VALU_DEP_3) | instskip(SKIP_1) | instid1(VALU_DEP_4)
	v_ldexp_f64 v[31:32], v[37:38], -2
	v_add_f64 v[25:26], v[37:38], -v[25:26]
	v_add_f64 v[27:28], v[27:28], -v[35:36]
	v_add_f64 v[35:36], v[39:40], v[23:24]
	s_delay_alu instid0(VALU_DEP_4) | instskip(NEXT) | instid1(VALU_DEP_4)
	v_cmp_neq_f64_e64 vcc_lo, 0x7ff00000, |v[31:32]|
	v_add_f64 v[25:26], v[29:30], -v[25:26]
	s_delay_alu instid0(VALU_DEP_4) | instskip(SKIP_1) | instid1(VALU_DEP_2)
	v_add_f64 v[21:22], v[21:22], v[27:28]
	v_fract_f64_e32 v[27:28], v[31:32]
	v_add_f64 v[29:30], v[35:36], v[21:22]
	s_delay_alu instid0(VALU_DEP_2) | instskip(NEXT) | instid1(VALU_DEP_1)
	v_dual_cndmask_b32 v28, 0, v28 :: v_dual_cndmask_b32 v27, 0, v27
	v_ldexp_f64 v[27:28], v[27:28], 2
	s_delay_alu instid0(VALU_DEP_3) | instskip(NEXT) | instid1(VALU_DEP_1)
	v_add_f64 v[31:32], v[25:26], v[29:30]
	v_add_f64 v[37:38], v[31:32], v[27:28]
	v_add_f64 v[25:26], v[31:32], -v[25:26]
	s_delay_alu instid0(VALU_DEP_2) | instskip(SKIP_1) | instid1(VALU_DEP_3)
	v_cmp_gt_f64_e32 vcc_lo, 0, v[37:38]
	v_add_f64 v[37:38], v[35:36], -v[39:40]
	v_add_f64 v[25:26], v[29:30], -v[25:26]
	v_cndmask_b32_e64 v42, 0, 0x40100000, vcc_lo
	s_delay_alu instid0(VALU_DEP_3) | instskip(SKIP_1) | instid1(VALU_DEP_3)
	v_add_f64 v[46:47], v[35:36], -v[37:38]
	v_add_f64 v[23:24], v[23:24], -v[37:38]
	v_add_f64 v[27:28], v[27:28], v[41:42]
	v_add_f64 v[42:43], v[29:30], -v[35:36]
	s_delay_alu instid0(VALU_DEP_4) | instskip(NEXT) | instid1(VALU_DEP_3)
	v_add_f64 v[37:38], v[39:40], -v[46:47]
	v_add_f64 v[44:45], v[31:32], v[27:28]
	s_delay_alu instid0(VALU_DEP_3) | instskip(SKIP_1) | instid1(VALU_DEP_4)
	v_add_f64 v[48:49], v[29:30], -v[42:43]
	v_add_f64 v[21:22], v[21:22], -v[42:43]
	v_add_f64 v[23:24], v[23:24], v[37:38]
	s_delay_alu instid0(VALU_DEP_4) | instskip(NEXT) | instid1(VALU_DEP_4)
	v_cvt_i32_f64_e32 v44, v[44:45]
	v_add_f64 v[35:36], v[35:36], -v[48:49]
	s_delay_alu instid0(VALU_DEP_2) | instskip(NEXT) | instid1(VALU_DEP_2)
	v_cvt_f64_i32_e32 v[42:43], v44
	v_add_f64 v[21:22], v[21:22], v[35:36]
	s_delay_alu instid0(VALU_DEP_2) | instskip(NEXT) | instid1(VALU_DEP_2)
	v_add_f64 v[27:28], v[27:28], -v[42:43]
	v_add_f64 v[21:22], v[23:24], v[21:22]
	s_delay_alu instid0(VALU_DEP_2) | instskip(NEXT) | instid1(VALU_DEP_2)
	v_add_f64 v[23:24], v[31:32], v[27:28]
	v_add_f64 v[19:20], v[19:20], v[21:22]
	s_delay_alu instid0(VALU_DEP_2) | instskip(SKIP_1) | instid1(VALU_DEP_3)
	v_add_f64 v[21:22], v[23:24], -v[27:28]
	v_cmp_le_f64_e32 vcc_lo, 0.5, v[23:24]
	v_add_f64 v[19:20], v[25:26], v[19:20]
	s_delay_alu instid0(VALU_DEP_3) | instskip(SKIP_2) | instid1(VALU_DEP_3)
	v_add_f64 v[21:22], v[31:32], -v[21:22]
	v_cndmask_b32_e64 v42, 0, 0x3ff00000, vcc_lo
	v_add_co_ci_u32_e64 v146, s0, 0, v44, vcc_lo
	v_add_f64 v[19:20], v[19:20], v[21:22]
	s_delay_alu instid0(VALU_DEP_3) | instskip(NEXT) | instid1(VALU_DEP_1)
	v_add_f64 v[21:22], v[23:24], -v[41:42]
	v_add_f64 v[23:24], v[21:22], v[19:20]
	s_delay_alu instid0(VALU_DEP_1) | instskip(SKIP_1) | instid1(VALU_DEP_2)
	v_mul_f64 v[25:26], v[23:24], s[2:3]
	v_add_f64 v[21:22], v[23:24], -v[21:22]
	v_fma_f64 v[27:28], v[23:24], s[2:3], -v[25:26]
	s_delay_alu instid0(VALU_DEP_2) | instskip(NEXT) | instid1(VALU_DEP_2)
	v_add_f64 v[19:20], v[19:20], -v[21:22]
	v_fma_f64 v[21:22], v[23:24], s[4:5], v[27:28]
	s_delay_alu instid0(VALU_DEP_1) | instskip(NEXT) | instid1(VALU_DEP_1)
	v_fma_f64 v[21:22], v[19:20], s[2:3], v[21:22]
	v_add_f64 v[19:20], v[25:26], v[21:22]
	s_delay_alu instid0(VALU_DEP_1) | instskip(NEXT) | instid1(VALU_DEP_1)
	v_add_f64 v[23:24], v[19:20], -v[25:26]
	v_add_f64 v[31:32], v[21:22], -v[23:24]
.LBB127_3:
	s_and_not1_saveexec_b32 s0, s1
	s_cbranch_execz .LBB127_5
; %bb.4:
	s_mov_b32 s2, 0x6dc9c883
	s_mov_b32 s3, 0x3fe45f30
	;; [unrolled: 1-line block ×3, first 2 shown]
	v_mul_f64 v[19:20], |v[17:18]|, s[2:3]
	s_mov_b32 s2, 0x54442d18
	s_mov_b32 s3, 0xbff921fb
	;; [unrolled: 1-line block ×3, first 2 shown]
	s_delay_alu instid0(VALU_DEP_1) | instskip(NEXT) | instid1(VALU_DEP_1)
	v_rndne_f64_e32 v[21:22], v[19:20]
	v_fma_f64 v[19:20], v[21:22], s[2:3], |v[17:18]|
	v_mul_f64 v[23:24], v[21:22], s[4:5]
	s_mov_b32 s2, 0x252049c0
	s_mov_b32 s3, 0xb97b839a
	v_cvt_i32_f64_e32 v146, v[21:22]
	s_delay_alu instid0(VALU_DEP_3) | instskip(NEXT) | instid1(VALU_DEP_3)
	v_fma_f64 v[27:28], v[21:22], s[4:5], v[19:20]
	v_add_f64 v[25:26], v[19:20], v[23:24]
	s_mov_b32 s5, 0x3c91a626
	s_delay_alu instid0(VALU_DEP_1) | instskip(NEXT) | instid1(VALU_DEP_3)
	v_add_f64 v[19:20], v[19:20], -v[25:26]
	v_add_f64 v[25:26], v[25:26], -v[27:28]
	s_delay_alu instid0(VALU_DEP_2) | instskip(SKIP_1) | instid1(VALU_DEP_2)
	v_add_f64 v[19:20], v[19:20], v[23:24]
	v_fma_f64 v[23:24], v[21:22], s[4:5], v[23:24]
	v_add_f64 v[19:20], v[25:26], v[19:20]
	s_delay_alu instid0(VALU_DEP_1) | instskip(NEXT) | instid1(VALU_DEP_1)
	v_add_f64 v[19:20], v[19:20], -v[23:24]
	v_fma_f64 v[23:24], v[21:22], s[2:3], v[19:20]
	s_delay_alu instid0(VALU_DEP_1) | instskip(NEXT) | instid1(VALU_DEP_1)
	v_add_f64 v[19:20], v[27:28], v[23:24]
	v_add_f64 v[25:26], v[19:20], -v[27:28]
	s_delay_alu instid0(VALU_DEP_1)
	v_add_f64 v[31:32], v[23:24], -v[25:26]
.LBB127_5:
	s_or_b32 exec_lo, exec_lo, s0
	v_cmp_ngt_f64_e64 s1, 0x41d00000, |v[3:4]|
	v_trig_preop_f64 v[29:30], |v[3:4]|, 0
	v_trig_preop_f64 v[27:28], |v[3:4]|, 1
	v_ldexp_f64 v[33:34], |v[3:4]|, 0xffffff80
	v_trig_preop_f64 v[23:24], |v[3:4]|, 2
	v_and_b32_e32 v37, 0x7fffffff, v4
                                        ; implicit-def: $vgpr147
                                        ; implicit-def: $vgpr21_vgpr22
                                        ; implicit-def: $vgpr35_vgpr36
	s_and_saveexec_b32 s0, s1
	s_delay_alu instid0(SALU_CYCLE_1)
	s_xor_b32 s2, exec_lo, s0
	s_cbranch_execz .LBB127_9
; %bb.6:
	v_cmp_le_f64_e64 vcc_lo, 0x7b000000, |v[3:4]|
	v_mov_b32_e32 v52, 0
	s_mov_b32 s4, 0x54442d18
	s_mov_b32 s5, 0x3ff921fb
	;; [unrolled: 1-line block ×4, first 2 shown]
	v_dual_cndmask_b32 v22, v37, v34 :: v_dual_cndmask_b32 v21, v3, v33
	s_delay_alu instid0(VALU_DEP_1) | instskip(SKIP_2) | instid1(VALU_DEP_3)
	v_mul_f64 v[25:26], v[29:30], v[21:22]
	v_mul_f64 v[35:36], v[27:28], v[21:22]
	;; [unrolled: 1-line block ×3, first 2 shown]
	v_fma_f64 v[38:39], v[29:30], v[21:22], -v[25:26]
	s_delay_alu instid0(VALU_DEP_3) | instskip(NEXT) | instid1(VALU_DEP_3)
	v_fma_f64 v[50:51], v[27:28], v[21:22], -v[35:36]
	v_fma_f64 v[21:22], v[23:24], v[21:22], -v[48:49]
	s_delay_alu instid0(VALU_DEP_3) | instskip(NEXT) | instid1(VALU_DEP_1)
	v_add_f64 v[40:41], v[35:36], v[38:39]
	v_add_f64 v[42:43], v[40:41], -v[35:36]
	v_add_f64 v[46:47], v[25:26], v[40:41]
	s_delay_alu instid0(VALU_DEP_2) | instskip(SKIP_1) | instid1(VALU_DEP_3)
	v_add_f64 v[44:45], v[40:41], -v[42:43]
	v_add_f64 v[38:39], v[38:39], -v[42:43]
	v_ldexp_f64 v[42:43], v[46:47], -2
	v_add_f64 v[25:26], v[46:47], -v[25:26]
	s_delay_alu instid0(VALU_DEP_4) | instskip(SKIP_1) | instid1(VALU_DEP_4)
	v_add_f64 v[35:36], v[35:36], -v[44:45]
	v_add_f64 v[44:45], v[48:49], v[50:51]
	v_cmp_neq_f64_e64 vcc_lo, 0x7ff00000, |v[42:43]|
	s_delay_alu instid0(VALU_DEP_4) | instskip(NEXT) | instid1(VALU_DEP_4)
	v_add_f64 v[25:26], v[40:41], -v[25:26]
	v_add_f64 v[35:36], v[38:39], v[35:36]
	v_fract_f64_e32 v[38:39], v[42:43]
	s_delay_alu instid0(VALU_DEP_2) | instskip(NEXT) | instid1(VALU_DEP_2)
	v_add_f64 v[40:41], v[44:45], v[35:36]
	v_dual_cndmask_b32 v39, 0, v39 :: v_dual_cndmask_b32 v38, 0, v38
	s_delay_alu instid0(VALU_DEP_1) | instskip(NEXT) | instid1(VALU_DEP_3)
	v_ldexp_f64 v[38:39], v[38:39], 2
	v_add_f64 v[42:43], v[25:26], v[40:41]
	s_delay_alu instid0(VALU_DEP_1) | instskip(SKIP_1) | instid1(VALU_DEP_2)
	v_add_f64 v[46:47], v[42:43], v[38:39]
	v_add_f64 v[25:26], v[42:43], -v[25:26]
	v_cmp_gt_f64_e32 vcc_lo, 0, v[46:47]
	v_add_f64 v[46:47], v[44:45], -v[48:49]
	s_delay_alu instid0(VALU_DEP_3) | instskip(SKIP_1) | instid1(VALU_DEP_3)
	v_add_f64 v[25:26], v[40:41], -v[25:26]
	v_cndmask_b32_e64 v53, 0, 0x40100000, vcc_lo
	v_add_f64 v[57:58], v[44:45], -v[46:47]
	v_add_f64 v[46:47], v[50:51], -v[46:47]
	s_delay_alu instid0(VALU_DEP_3) | instskip(SKIP_1) | instid1(VALU_DEP_4)
	v_add_f64 v[38:39], v[38:39], v[52:53]
	v_add_f64 v[53:54], v[40:41], -v[44:45]
	v_add_f64 v[50:51], v[48:49], -v[57:58]
	s_delay_alu instid0(VALU_DEP_3) | instskip(NEXT) | instid1(VALU_DEP_3)
	v_add_f64 v[55:56], v[42:43], v[38:39]
	v_add_f64 v[59:60], v[40:41], -v[53:54]
	v_add_f64 v[35:36], v[35:36], -v[53:54]
	s_delay_alu instid0(VALU_DEP_4) | instskip(NEXT) | instid1(VALU_DEP_4)
	v_add_f64 v[46:47], v[46:47], v[50:51]
	v_cvt_i32_f64_e32 v55, v[55:56]
	s_delay_alu instid0(VALU_DEP_4) | instskip(NEXT) | instid1(VALU_DEP_2)
	v_add_f64 v[44:45], v[44:45], -v[59:60]
	v_cvt_f64_i32_e32 v[53:54], v55
	s_delay_alu instid0(VALU_DEP_2) | instskip(NEXT) | instid1(VALU_DEP_2)
	v_add_f64 v[35:36], v[35:36], v[44:45]
	v_add_f64 v[38:39], v[38:39], -v[53:54]
	s_delay_alu instid0(VALU_DEP_2) | instskip(NEXT) | instid1(VALU_DEP_2)
	v_add_f64 v[35:36], v[46:47], v[35:36]
	v_add_f64 v[44:45], v[42:43], v[38:39]
	s_delay_alu instid0(VALU_DEP_2) | instskip(NEXT) | instid1(VALU_DEP_2)
	v_add_f64 v[21:22], v[21:22], v[35:36]
	v_add_f64 v[35:36], v[44:45], -v[38:39]
	v_cmp_le_f64_e32 vcc_lo, 0.5, v[44:45]
	s_delay_alu instid0(VALU_DEP_3) | instskip(NEXT) | instid1(VALU_DEP_3)
	v_add_f64 v[21:22], v[25:26], v[21:22]
	v_add_f64 v[25:26], v[42:43], -v[35:36]
	v_cndmask_b32_e64 v53, 0, 0x3ff00000, vcc_lo
	v_add_co_ci_u32_e64 v147, s0, 0, v55, vcc_lo
	s_delay_alu instid0(VALU_DEP_3) | instskip(NEXT) | instid1(VALU_DEP_3)
	v_add_f64 v[21:22], v[21:22], v[25:26]
	v_add_f64 v[25:26], v[44:45], -v[52:53]
	s_delay_alu instid0(VALU_DEP_1) | instskip(NEXT) | instid1(VALU_DEP_1)
	v_add_f64 v[35:36], v[25:26], v[21:22]
	v_mul_f64 v[38:39], v[35:36], s[4:5]
	v_add_f64 v[25:26], v[35:36], -v[25:26]
	s_delay_alu instid0(VALU_DEP_2) | instskip(NEXT) | instid1(VALU_DEP_2)
	v_fma_f64 v[40:41], v[35:36], s[4:5], -v[38:39]
	v_add_f64 v[21:22], v[21:22], -v[25:26]
	s_delay_alu instid0(VALU_DEP_2) | instskip(NEXT) | instid1(VALU_DEP_1)
	v_fma_f64 v[25:26], v[35:36], s[6:7], v[40:41]
	v_fma_f64 v[25:26], v[21:22], s[4:5], v[25:26]
	s_delay_alu instid0(VALU_DEP_1) | instskip(NEXT) | instid1(VALU_DEP_1)
	v_add_f64 v[21:22], v[38:39], v[25:26]
	v_add_f64 v[35:36], v[21:22], -v[38:39]
	s_delay_alu instid0(VALU_DEP_1)
	v_add_f64 v[35:36], v[25:26], -v[35:36]
	s_and_not1_saveexec_b32 s0, s2
	s_cbranch_execz .LBB127_11
	s_branch .LBB127_10
.LBB127_7:
	s_and_b32 vcc_lo, exec_lo, s1
	s_cbranch_vccz .LBB127_52
; %bb.8:
	v_dual_mov_b32 v31, v0 :: v_dual_mov_b32 v0, s24
	v_dual_mov_b32 v1, s25 :: v_dual_mov_b32 v2, s26
	;; [unrolled: 1-line block ×3, first 2 shown]
	s_mov_b32 s12, s15
	s_getpc_b64 s[0:1]
	s_add_u32 s0, s0, _ZN2at6native25elementwise_kernel_helperILb0EZZZNS0_17expm1_kernel_cudaERNS_18TensorIteratorBaseEENKUlvE_clEvENKUlvE1_clEvEUlN3c107complexIdEEE_NS0_6memory8policies11unroll_baseILi256ESt5arrayIPcLm2EE23TrivialOffsetCalculatorILi1EjESH_NSA_15LoadWithoutCastENSA_16StoreWithoutCastELi4ELi1EEEEEvT0_T1_@rel32@lo+4
	s_addc_u32 s1, s1, _ZN2at6native25elementwise_kernel_helperILb0EZZZNS0_17expm1_kernel_cudaERNS_18TensorIteratorBaseEENKUlvE_clEvENKUlvE1_clEvEUlN3c107complexIdEEE_NS0_6memory8policies11unroll_baseILi256ESt5arrayIPcLm2EE23TrivialOffsetCalculatorILi1EjESH_NSA_15LoadWithoutCastENSA_16StoreWithoutCastELi4ELi1EEEEEvT0_T1_@rel32@hi+12
	s_delay_alu instid0(SALU_CYCLE_1)
	s_swappc_b64 s[30:31], s[0:1]
	s_endpgm
.LBB127_9:
	s_and_not1_saveexec_b32 s0, s2
	s_cbranch_execz .LBB127_11
.LBB127_10:
	s_mov_b32 s2, 0x6dc9c883
	s_mov_b32 s3, 0x3fe45f30
	;; [unrolled: 1-line block ×3, first 2 shown]
	v_mul_f64 v[21:22], |v[3:4]|, s[2:3]
	s_mov_b32 s2, 0x54442d18
	s_mov_b32 s3, 0xbff921fb
	;; [unrolled: 1-line block ×3, first 2 shown]
	s_delay_alu instid0(VALU_DEP_1) | instskip(NEXT) | instid1(VALU_DEP_1)
	v_rndne_f64_e32 v[25:26], v[21:22]
	v_fma_f64 v[21:22], v[25:26], s[2:3], |v[3:4]|
	v_mul_f64 v[35:36], v[25:26], s[4:5]
	s_mov_b32 s2, 0x252049c0
	s_mov_b32 s3, 0xb97b839a
	v_cvt_i32_f64_e32 v147, v[25:26]
	s_delay_alu instid0(VALU_DEP_3) | instskip(NEXT) | instid1(VALU_DEP_3)
	v_fma_f64 v[40:41], v[25:26], s[4:5], v[21:22]
	v_add_f64 v[38:39], v[21:22], v[35:36]
	s_mov_b32 s5, 0x3c91a626
	s_delay_alu instid0(VALU_DEP_1) | instskip(NEXT) | instid1(VALU_DEP_3)
	v_add_f64 v[21:22], v[21:22], -v[38:39]
	v_add_f64 v[38:39], v[38:39], -v[40:41]
	s_delay_alu instid0(VALU_DEP_2) | instskip(SKIP_1) | instid1(VALU_DEP_2)
	v_add_f64 v[21:22], v[21:22], v[35:36]
	v_fma_f64 v[35:36], v[25:26], s[4:5], v[35:36]
	v_add_f64 v[21:22], v[38:39], v[21:22]
	s_delay_alu instid0(VALU_DEP_1) | instskip(NEXT) | instid1(VALU_DEP_1)
	v_add_f64 v[21:22], v[21:22], -v[35:36]
	v_fma_f64 v[35:36], v[25:26], s[2:3], v[21:22]
	s_delay_alu instid0(VALU_DEP_1) | instskip(NEXT) | instid1(VALU_DEP_1)
	v_add_f64 v[21:22], v[40:41], v[35:36]
	v_add_f64 v[38:39], v[21:22], -v[40:41]
	s_delay_alu instid0(VALU_DEP_1)
	v_add_f64 v[35:36], v[35:36], -v[38:39]
.LBB127_11:
	s_or_b32 exec_lo, exec_lo, s0
                                        ; implicit-def: $vgpr148
                                        ; implicit-def: $vgpr25_vgpr26
                                        ; implicit-def: $vgpr41_vgpr42
	s_and_saveexec_b32 s0, s1
	s_delay_alu instid0(SALU_CYCLE_1)
	s_xor_b32 s1, exec_lo, s0
	s_cbranch_execz .LBB127_13
; %bb.12:
	v_cmp_le_f64_e64 vcc_lo, 0x7b000000, |v[3:4]|
	v_mov_b32_e32 v49, 0
	s_mov_b32 s2, 0x54442d18
	s_mov_b32 s3, 0x3ff921fb
	;; [unrolled: 1-line block ×4, first 2 shown]
	v_dual_cndmask_b32 v26, v37, v34 :: v_dual_cndmask_b32 v25, v3, v33
	s_delay_alu instid0(VALU_DEP_1) | instskip(SKIP_2) | instid1(VALU_DEP_3)
	v_mul_f64 v[33:34], v[29:30], v[25:26]
	v_mul_f64 v[37:38], v[27:28], v[25:26]
	;; [unrolled: 1-line block ×3, first 2 shown]
	v_fma_f64 v[29:30], v[29:30], v[25:26], -v[33:34]
	s_delay_alu instid0(VALU_DEP_3) | instskip(NEXT) | instid1(VALU_DEP_3)
	v_fma_f64 v[27:28], v[27:28], v[25:26], -v[37:38]
	v_fma_f64 v[23:24], v[23:24], v[25:26], -v[47:48]
	s_delay_alu instid0(VALU_DEP_3) | instskip(NEXT) | instid1(VALU_DEP_1)
	v_add_f64 v[39:40], v[37:38], v[29:30]
	v_add_f64 v[41:42], v[39:40], -v[37:38]
	v_add_f64 v[45:46], v[33:34], v[39:40]
	s_delay_alu instid0(VALU_DEP_2) | instskip(SKIP_1) | instid1(VALU_DEP_3)
	v_add_f64 v[43:44], v[39:40], -v[41:42]
	v_add_f64 v[29:30], v[29:30], -v[41:42]
	v_ldexp_f64 v[41:42], v[45:46], -2
	v_add_f64 v[33:34], v[45:46], -v[33:34]
	s_delay_alu instid0(VALU_DEP_4) | instskip(SKIP_1) | instid1(VALU_DEP_4)
	v_add_f64 v[37:38], v[37:38], -v[43:44]
	v_add_f64 v[43:44], v[47:48], v[27:28]
	v_cmp_neq_f64_e64 vcc_lo, 0x7ff00000, |v[41:42]|
	s_delay_alu instid0(VALU_DEP_4) | instskip(NEXT) | instid1(VALU_DEP_4)
	v_add_f64 v[33:34], v[39:40], -v[33:34]
	v_add_f64 v[29:30], v[29:30], v[37:38]
	v_fract_f64_e32 v[37:38], v[41:42]
	s_delay_alu instid0(VALU_DEP_2) | instskip(NEXT) | instid1(VALU_DEP_2)
	v_add_f64 v[39:40], v[43:44], v[29:30]
	v_dual_cndmask_b32 v38, 0, v38 :: v_dual_cndmask_b32 v37, 0, v37
	s_delay_alu instid0(VALU_DEP_1) | instskip(NEXT) | instid1(VALU_DEP_3)
	v_ldexp_f64 v[37:38], v[37:38], 2
	v_add_f64 v[41:42], v[33:34], v[39:40]
	s_delay_alu instid0(VALU_DEP_1) | instskip(SKIP_1) | instid1(VALU_DEP_2)
	v_add_f64 v[45:46], v[41:42], v[37:38]
	v_add_f64 v[25:26], v[41:42], -v[33:34]
	v_cmp_gt_f64_e32 vcc_lo, 0, v[45:46]
	v_add_f64 v[45:46], v[43:44], -v[47:48]
	s_delay_alu instid0(VALU_DEP_3) | instskip(SKIP_1) | instid1(VALU_DEP_3)
	v_add_f64 v[25:26], v[39:40], -v[25:26]
	v_cndmask_b32_e64 v50, 0, 0x40100000, vcc_lo
	v_add_f64 v[54:55], v[43:44], -v[45:46]
	v_add_f64 v[27:28], v[27:28], -v[45:46]
	s_delay_alu instid0(VALU_DEP_3) | instskip(SKIP_1) | instid1(VALU_DEP_4)
	v_add_f64 v[37:38], v[37:38], v[49:50]
	v_add_f64 v[50:51], v[39:40], -v[43:44]
	v_add_f64 v[45:46], v[47:48], -v[54:55]
	s_delay_alu instid0(VALU_DEP_3) | instskip(NEXT) | instid1(VALU_DEP_3)
	v_add_f64 v[52:53], v[41:42], v[37:38]
	v_add_f64 v[56:57], v[39:40], -v[50:51]
	v_add_f64 v[29:30], v[29:30], -v[50:51]
	s_delay_alu instid0(VALU_DEP_4) | instskip(NEXT) | instid1(VALU_DEP_4)
	v_add_f64 v[27:28], v[27:28], v[45:46]
	v_cvt_i32_f64_e32 v52, v[52:53]
	s_delay_alu instid0(VALU_DEP_4) | instskip(NEXT) | instid1(VALU_DEP_2)
	v_add_f64 v[43:44], v[43:44], -v[56:57]
	v_cvt_f64_i32_e32 v[50:51], v52
	s_delay_alu instid0(VALU_DEP_2) | instskip(NEXT) | instid1(VALU_DEP_2)
	v_add_f64 v[29:30], v[29:30], v[43:44]
	v_add_f64 v[37:38], v[37:38], -v[50:51]
	s_delay_alu instid0(VALU_DEP_2) | instskip(NEXT) | instid1(VALU_DEP_2)
	v_add_f64 v[27:28], v[27:28], v[29:30]
	v_add_f64 v[29:30], v[41:42], v[37:38]
	s_delay_alu instid0(VALU_DEP_2) | instskip(NEXT) | instid1(VALU_DEP_2)
	v_add_f64 v[23:24], v[23:24], v[27:28]
	v_add_f64 v[27:28], v[29:30], -v[37:38]
	v_cmp_le_f64_e32 vcc_lo, 0.5, v[29:30]
	s_delay_alu instid0(VALU_DEP_3) | instskip(NEXT) | instid1(VALU_DEP_3)
	v_add_f64 v[23:24], v[25:26], v[23:24]
	v_add_f64 v[25:26], v[41:42], -v[27:28]
	v_cndmask_b32_e64 v50, 0, 0x3ff00000, vcc_lo
	v_add_co_ci_u32_e64 v148, s0, 0, v52, vcc_lo
	s_delay_alu instid0(VALU_DEP_3) | instskip(NEXT) | instid1(VALU_DEP_3)
	v_add_f64 v[23:24], v[23:24], v[25:26]
	v_add_f64 v[25:26], v[29:30], -v[49:50]
	s_delay_alu instid0(VALU_DEP_1) | instskip(NEXT) | instid1(VALU_DEP_1)
	v_add_f64 v[27:28], v[25:26], v[23:24]
	v_mul_f64 v[29:30], v[27:28], s[2:3]
	v_add_f64 v[25:26], v[27:28], -v[25:26]
	s_delay_alu instid0(VALU_DEP_2) | instskip(NEXT) | instid1(VALU_DEP_2)
	v_fma_f64 v[33:34], v[27:28], s[2:3], -v[29:30]
	v_add_f64 v[23:24], v[23:24], -v[25:26]
	s_delay_alu instid0(VALU_DEP_2) | instskip(NEXT) | instid1(VALU_DEP_1)
	v_fma_f64 v[25:26], v[27:28], s[4:5], v[33:34]
	v_fma_f64 v[23:24], v[23:24], s[2:3], v[25:26]
	s_delay_alu instid0(VALU_DEP_1) | instskip(NEXT) | instid1(VALU_DEP_1)
	v_add_f64 v[25:26], v[29:30], v[23:24]
	v_add_f64 v[27:28], v[25:26], -v[29:30]
	s_delay_alu instid0(VALU_DEP_1)
	v_add_f64 v[41:42], v[23:24], -v[27:28]
	s_and_not1_saveexec_b32 s0, s1
	s_cbranch_execnz .LBB127_14
	s_branch .LBB127_15
.LBB127_13:
	s_and_not1_saveexec_b32 s0, s1
	s_cbranch_execz .LBB127_15
.LBB127_14:
	s_mov_b32 s2, 0x6dc9c883
	s_mov_b32 s3, 0x3fe45f30
	s_mov_b32 s5, 0xbc91a626
	v_mul_f64 v[23:24], |v[3:4]|, s[2:3]
	s_mov_b32 s2, 0x54442d18
	s_mov_b32 s3, 0xbff921fb
	;; [unrolled: 1-line block ×3, first 2 shown]
	s_delay_alu instid0(VALU_DEP_1) | instskip(NEXT) | instid1(VALU_DEP_1)
	v_rndne_f64_e32 v[23:24], v[23:24]
	v_fma_f64 v[25:26], v[23:24], s[2:3], |v[3:4]|
	v_mul_f64 v[27:28], v[23:24], s[4:5]
	s_mov_b32 s2, 0x252049c0
	s_mov_b32 s3, 0xb97b839a
	v_cvt_i32_f64_e32 v148, v[23:24]
	s_delay_alu instid0(VALU_DEP_3) | instskip(NEXT) | instid1(VALU_DEP_3)
	v_fma_f64 v[33:34], v[23:24], s[4:5], v[25:26]
	v_add_f64 v[29:30], v[25:26], v[27:28]
	s_mov_b32 s5, 0x3c91a626
	s_delay_alu instid0(VALU_DEP_1) | instskip(NEXT) | instid1(VALU_DEP_3)
	v_add_f64 v[25:26], v[25:26], -v[29:30]
	v_add_f64 v[29:30], v[29:30], -v[33:34]
	s_delay_alu instid0(VALU_DEP_2) | instskip(SKIP_1) | instid1(VALU_DEP_2)
	v_add_f64 v[25:26], v[25:26], v[27:28]
	v_fma_f64 v[27:28], v[23:24], s[4:5], v[27:28]
	v_add_f64 v[25:26], v[29:30], v[25:26]
	s_delay_alu instid0(VALU_DEP_1) | instskip(NEXT) | instid1(VALU_DEP_1)
	v_add_f64 v[25:26], v[25:26], -v[27:28]
	v_fma_f64 v[27:28], v[23:24], s[2:3], v[25:26]
	s_delay_alu instid0(VALU_DEP_1) | instskip(NEXT) | instid1(VALU_DEP_1)
	v_add_f64 v[25:26], v[33:34], v[27:28]
	v_add_f64 v[29:30], v[25:26], -v[33:34]
	s_delay_alu instid0(VALU_DEP_1)
	v_add_f64 v[41:42], v[27:28], -v[29:30]
.LBB127_15:
	s_or_b32 exec_lo, exec_lo, s0
	s_waitcnt vmcnt(2)
	v_mul_f64 v[23:24], v[7:8], 0.5
	s_mov_b32 s1, exec_lo
                                        ; implicit-def: $vgpr149
                                        ; implicit-def: $vgpr27_vgpr28
                                        ; implicit-def: $vgpr45_vgpr46
	s_delay_alu instid0(VALU_DEP_1)
	v_cmpx_ngt_f64_e64 0x41d00000, |v[23:24]|
	s_xor_b32 s1, exec_lo, s1
	s_cbranch_execz .LBB127_17
; %bb.16:
	v_ldexp_f64 v[27:28], |v[23:24]|, 0xffffff80
	v_cmp_le_f64_e64 vcc_lo, 0x7b000000, |v[23:24]|
	v_trig_preop_f64 v[29:30], |v[23:24]|, 0
	v_and_b32_e32 v33, 0x7fffffff, v24
	v_trig_preop_f64 v[47:48], |v[23:24]|, 2
	v_mov_b32_e32 v55, 0
	s_mov_b32 s2, 0x54442d18
	s_mov_b32 s3, 0x3ff921fb
	;; [unrolled: 1-line block ×4, first 2 shown]
	v_dual_cndmask_b32 v28, v33, v28 :: v_dual_cndmask_b32 v27, v23, v27
	v_trig_preop_f64 v[33:34], |v[23:24]|, 1
	s_delay_alu instid0(VALU_DEP_2) | instskip(SKIP_1) | instid1(VALU_DEP_3)
	v_mul_f64 v[37:38], v[29:30], v[27:28]
	v_mul_f64 v[53:54], v[47:48], v[27:28]
	;; [unrolled: 1-line block ×3, first 2 shown]
	s_delay_alu instid0(VALU_DEP_3) | instskip(NEXT) | instid1(VALU_DEP_2)
	v_fma_f64 v[29:30], v[29:30], v[27:28], -v[37:38]
	v_fma_f64 v[33:34], v[33:34], v[27:28], -v[39:40]
	s_delay_alu instid0(VALU_DEP_4) | instskip(NEXT) | instid1(VALU_DEP_3)
	v_fma_f64 v[27:28], v[47:48], v[27:28], -v[53:54]
	v_add_f64 v[43:44], v[39:40], v[29:30]
	s_delay_alu instid0(VALU_DEP_1) | instskip(SKIP_1) | instid1(VALU_DEP_2)
	v_add_f64 v[45:46], v[43:44], -v[39:40]
	v_add_f64 v[51:52], v[37:38], v[43:44]
	v_add_f64 v[49:50], v[43:44], -v[45:46]
	v_add_f64 v[29:30], v[29:30], -v[45:46]
	s_delay_alu instid0(VALU_DEP_3) | instskip(SKIP_1) | instid1(VALU_DEP_4)
	v_ldexp_f64 v[45:46], v[51:52], -2
	v_add_f64 v[37:38], v[51:52], -v[37:38]
	v_add_f64 v[39:40], v[39:40], -v[49:50]
	v_add_f64 v[49:50], v[53:54], v[33:34]
	s_delay_alu instid0(VALU_DEP_4) | instskip(NEXT) | instid1(VALU_DEP_4)
	v_cmp_neq_f64_e64 vcc_lo, 0x7ff00000, |v[45:46]|
	v_add_f64 v[37:38], v[43:44], -v[37:38]
	s_delay_alu instid0(VALU_DEP_4) | instskip(SKIP_1) | instid1(VALU_DEP_2)
	v_add_f64 v[29:30], v[29:30], v[39:40]
	v_fract_f64_e32 v[39:40], v[45:46]
	v_add_f64 v[43:44], v[49:50], v[29:30]
	s_delay_alu instid0(VALU_DEP_2) | instskip(NEXT) | instid1(VALU_DEP_1)
	v_dual_cndmask_b32 v40, 0, v40 :: v_dual_cndmask_b32 v39, 0, v39
	v_ldexp_f64 v[39:40], v[39:40], 2
	s_delay_alu instid0(VALU_DEP_3) | instskip(NEXT) | instid1(VALU_DEP_1)
	v_add_f64 v[45:46], v[37:38], v[43:44]
	v_add_f64 v[51:52], v[45:46], v[39:40]
	v_add_f64 v[37:38], v[45:46], -v[37:38]
	s_delay_alu instid0(VALU_DEP_2) | instskip(SKIP_1) | instid1(VALU_DEP_3)
	v_cmp_gt_f64_e32 vcc_lo, 0, v[51:52]
	v_add_f64 v[51:52], v[49:50], -v[53:54]
	v_add_f64 v[37:38], v[43:44], -v[37:38]
	v_cndmask_b32_e64 v56, 0, 0x40100000, vcc_lo
	s_delay_alu instid0(VALU_DEP_3) | instskip(SKIP_1) | instid1(VALU_DEP_3)
	v_add_f64 v[60:61], v[49:50], -v[51:52]
	v_add_f64 v[33:34], v[33:34], -v[51:52]
	v_add_f64 v[39:40], v[39:40], v[55:56]
	v_add_f64 v[56:57], v[43:44], -v[49:50]
	s_delay_alu instid0(VALU_DEP_4) | instskip(NEXT) | instid1(VALU_DEP_3)
	v_add_f64 v[51:52], v[53:54], -v[60:61]
	v_add_f64 v[58:59], v[45:46], v[39:40]
	s_delay_alu instid0(VALU_DEP_3) | instskip(SKIP_1) | instid1(VALU_DEP_4)
	v_add_f64 v[62:63], v[43:44], -v[56:57]
	v_add_f64 v[29:30], v[29:30], -v[56:57]
	v_add_f64 v[33:34], v[33:34], v[51:52]
	s_delay_alu instid0(VALU_DEP_4) | instskip(NEXT) | instid1(VALU_DEP_4)
	v_cvt_i32_f64_e32 v58, v[58:59]
	v_add_f64 v[49:50], v[49:50], -v[62:63]
	s_delay_alu instid0(VALU_DEP_2) | instskip(NEXT) | instid1(VALU_DEP_2)
	v_cvt_f64_i32_e32 v[56:57], v58
	v_add_f64 v[29:30], v[29:30], v[49:50]
	s_delay_alu instid0(VALU_DEP_2) | instskip(NEXT) | instid1(VALU_DEP_2)
	v_add_f64 v[39:40], v[39:40], -v[56:57]
	v_add_f64 v[29:30], v[33:34], v[29:30]
	s_delay_alu instid0(VALU_DEP_2) | instskip(NEXT) | instid1(VALU_DEP_2)
	v_add_f64 v[33:34], v[45:46], v[39:40]
	v_add_f64 v[27:28], v[27:28], v[29:30]
	s_delay_alu instid0(VALU_DEP_2) | instskip(SKIP_1) | instid1(VALU_DEP_3)
	v_add_f64 v[29:30], v[33:34], -v[39:40]
	v_cmp_le_f64_e32 vcc_lo, 0.5, v[33:34]
	v_add_f64 v[27:28], v[37:38], v[27:28]
	s_delay_alu instid0(VALU_DEP_3) | instskip(SKIP_2) | instid1(VALU_DEP_3)
	v_add_f64 v[29:30], v[45:46], -v[29:30]
	v_cndmask_b32_e64 v56, 0, 0x3ff00000, vcc_lo
	v_add_co_ci_u32_e64 v149, s0, 0, v58, vcc_lo
	v_add_f64 v[27:28], v[27:28], v[29:30]
	s_delay_alu instid0(VALU_DEP_3) | instskip(NEXT) | instid1(VALU_DEP_1)
	v_add_f64 v[29:30], v[33:34], -v[55:56]
	v_add_f64 v[33:34], v[29:30], v[27:28]
	s_delay_alu instid0(VALU_DEP_1) | instskip(SKIP_1) | instid1(VALU_DEP_2)
	v_mul_f64 v[37:38], v[33:34], s[2:3]
	v_add_f64 v[29:30], v[33:34], -v[29:30]
	v_fma_f64 v[39:40], v[33:34], s[2:3], -v[37:38]
	s_delay_alu instid0(VALU_DEP_2) | instskip(NEXT) | instid1(VALU_DEP_2)
	v_add_f64 v[27:28], v[27:28], -v[29:30]
	v_fma_f64 v[29:30], v[33:34], s[4:5], v[39:40]
	s_delay_alu instid0(VALU_DEP_1) | instskip(NEXT) | instid1(VALU_DEP_1)
	v_fma_f64 v[29:30], v[27:28], s[2:3], v[29:30]
	v_add_f64 v[27:28], v[37:38], v[29:30]
	s_delay_alu instid0(VALU_DEP_1) | instskip(NEXT) | instid1(VALU_DEP_1)
	v_add_f64 v[33:34], v[27:28], -v[37:38]
	v_add_f64 v[45:46], v[29:30], -v[33:34]
.LBB127_17:
	s_and_not1_saveexec_b32 s0, s1
	s_cbranch_execz .LBB127_19
; %bb.18:
	s_mov_b32 s2, 0x6dc9c883
	s_mov_b32 s3, 0x3fe45f30
	;; [unrolled: 1-line block ×3, first 2 shown]
	v_mul_f64 v[27:28], |v[23:24]|, s[2:3]
	s_mov_b32 s2, 0x54442d18
	s_mov_b32 s3, 0xbff921fb
	;; [unrolled: 1-line block ×3, first 2 shown]
	s_delay_alu instid0(VALU_DEP_1) | instskip(NEXT) | instid1(VALU_DEP_1)
	v_rndne_f64_e32 v[29:30], v[27:28]
	v_fma_f64 v[27:28], v[29:30], s[2:3], |v[23:24]|
	v_mul_f64 v[33:34], v[29:30], s[4:5]
	s_mov_b32 s2, 0x252049c0
	s_mov_b32 s3, 0xb97b839a
	v_cvt_i32_f64_e32 v149, v[29:30]
	s_delay_alu instid0(VALU_DEP_3) | instskip(NEXT) | instid1(VALU_DEP_3)
	v_fma_f64 v[39:40], v[29:30], s[4:5], v[27:28]
	v_add_f64 v[37:38], v[27:28], v[33:34]
	s_mov_b32 s5, 0x3c91a626
	s_delay_alu instid0(VALU_DEP_1) | instskip(NEXT) | instid1(VALU_DEP_3)
	v_add_f64 v[27:28], v[27:28], -v[37:38]
	v_add_f64 v[37:38], v[37:38], -v[39:40]
	s_delay_alu instid0(VALU_DEP_2) | instskip(SKIP_1) | instid1(VALU_DEP_2)
	v_add_f64 v[27:28], v[27:28], v[33:34]
	v_fma_f64 v[33:34], v[29:30], s[4:5], v[33:34]
	v_add_f64 v[27:28], v[37:38], v[27:28]
	s_delay_alu instid0(VALU_DEP_1) | instskip(NEXT) | instid1(VALU_DEP_1)
	v_add_f64 v[27:28], v[27:28], -v[33:34]
	v_fma_f64 v[33:34], v[29:30], s[2:3], v[27:28]
	s_delay_alu instid0(VALU_DEP_1) | instskip(NEXT) | instid1(VALU_DEP_1)
	v_add_f64 v[27:28], v[39:40], v[33:34]
	v_add_f64 v[37:38], v[27:28], -v[39:40]
	s_delay_alu instid0(VALU_DEP_1)
	v_add_f64 v[45:46], v[33:34], -v[37:38]
.LBB127_19:
	s_or_b32 exec_lo, exec_lo, s0
	v_cmp_ngt_f64_e64 s1, 0x41d00000, |v[7:8]|
	v_trig_preop_f64 v[43:44], |v[7:8]|, 0
	v_trig_preop_f64 v[39:40], |v[7:8]|, 1
	v_ldexp_f64 v[47:48], |v[7:8]|, 0xffffff80
	v_trig_preop_f64 v[33:34], |v[7:8]|, 2
	v_and_b32_e32 v49, 0x7fffffff, v8
                                        ; implicit-def: $vgpr150
                                        ; implicit-def: $vgpr29_vgpr30
                                        ; implicit-def: $vgpr51_vgpr52
	s_and_saveexec_b32 s0, s1
	s_delay_alu instid0(SALU_CYCLE_1)
	s_xor_b32 s2, exec_lo, s0
	s_cbranch_execz .LBB127_21
; %bb.20:
	v_cmp_le_f64_e64 vcc_lo, 0x7b000000, |v[7:8]|
	v_mov_b32_e32 v66, 0
	s_mov_b32 s4, 0x54442d18
	s_mov_b32 s5, 0x3ff921fb
	;; [unrolled: 1-line block ×4, first 2 shown]
	v_dual_cndmask_b32 v30, v49, v48 :: v_dual_cndmask_b32 v29, v7, v47
	s_delay_alu instid0(VALU_DEP_1) | instskip(SKIP_2) | instid1(VALU_DEP_3)
	v_mul_f64 v[37:38], v[43:44], v[29:30]
	v_mul_f64 v[50:51], v[39:40], v[29:30]
	;; [unrolled: 1-line block ×3, first 2 shown]
	v_fma_f64 v[52:53], v[43:44], v[29:30], -v[37:38]
	s_delay_alu instid0(VALU_DEP_3) | instskip(NEXT) | instid1(VALU_DEP_3)
	v_fma_f64 v[64:65], v[39:40], v[29:30], -v[50:51]
	v_fma_f64 v[29:30], v[33:34], v[29:30], -v[62:63]
	s_delay_alu instid0(VALU_DEP_3) | instskip(NEXT) | instid1(VALU_DEP_1)
	v_add_f64 v[54:55], v[50:51], v[52:53]
	v_add_f64 v[56:57], v[54:55], -v[50:51]
	v_add_f64 v[60:61], v[37:38], v[54:55]
	s_delay_alu instid0(VALU_DEP_2) | instskip(SKIP_1) | instid1(VALU_DEP_3)
	v_add_f64 v[58:59], v[54:55], -v[56:57]
	v_add_f64 v[52:53], v[52:53], -v[56:57]
	v_ldexp_f64 v[56:57], v[60:61], -2
	v_add_f64 v[37:38], v[60:61], -v[37:38]
	s_delay_alu instid0(VALU_DEP_4) | instskip(SKIP_1) | instid1(VALU_DEP_4)
	v_add_f64 v[50:51], v[50:51], -v[58:59]
	v_add_f64 v[58:59], v[62:63], v[64:65]
	v_cmp_neq_f64_e64 vcc_lo, 0x7ff00000, |v[56:57]|
	s_delay_alu instid0(VALU_DEP_4) | instskip(NEXT) | instid1(VALU_DEP_4)
	v_add_f64 v[37:38], v[54:55], -v[37:38]
	v_add_f64 v[50:51], v[52:53], v[50:51]
	v_fract_f64_e32 v[52:53], v[56:57]
	s_delay_alu instid0(VALU_DEP_2) | instskip(NEXT) | instid1(VALU_DEP_2)
	v_add_f64 v[54:55], v[58:59], v[50:51]
	v_dual_cndmask_b32 v53, 0, v53 :: v_dual_cndmask_b32 v52, 0, v52
	s_delay_alu instid0(VALU_DEP_1) | instskip(NEXT) | instid1(VALU_DEP_3)
	v_ldexp_f64 v[52:53], v[52:53], 2
	v_add_f64 v[56:57], v[37:38], v[54:55]
	s_delay_alu instid0(VALU_DEP_1) | instskip(SKIP_1) | instid1(VALU_DEP_2)
	v_add_f64 v[60:61], v[56:57], v[52:53]
	v_add_f64 v[37:38], v[56:57], -v[37:38]
	v_cmp_gt_f64_e32 vcc_lo, 0, v[60:61]
	v_add_f64 v[60:61], v[58:59], -v[62:63]
	s_delay_alu instid0(VALU_DEP_3) | instskip(SKIP_1) | instid1(VALU_DEP_3)
	v_add_f64 v[37:38], v[54:55], -v[37:38]
	v_cndmask_b32_e64 v67, 0, 0x40100000, vcc_lo
	v_add_f64 v[71:72], v[58:59], -v[60:61]
	v_add_f64 v[60:61], v[64:65], -v[60:61]
	s_delay_alu instid0(VALU_DEP_3) | instskip(SKIP_1) | instid1(VALU_DEP_4)
	v_add_f64 v[52:53], v[52:53], v[66:67]
	v_add_f64 v[67:68], v[54:55], -v[58:59]
	v_add_f64 v[64:65], v[62:63], -v[71:72]
	s_delay_alu instid0(VALU_DEP_3) | instskip(NEXT) | instid1(VALU_DEP_3)
	v_add_f64 v[69:70], v[56:57], v[52:53]
	v_add_f64 v[73:74], v[54:55], -v[67:68]
	v_add_f64 v[50:51], v[50:51], -v[67:68]
	s_delay_alu instid0(VALU_DEP_4) | instskip(NEXT) | instid1(VALU_DEP_4)
	v_add_f64 v[60:61], v[60:61], v[64:65]
	v_cvt_i32_f64_e32 v69, v[69:70]
	s_delay_alu instid0(VALU_DEP_4) | instskip(NEXT) | instid1(VALU_DEP_2)
	v_add_f64 v[58:59], v[58:59], -v[73:74]
	v_cvt_f64_i32_e32 v[67:68], v69
	s_delay_alu instid0(VALU_DEP_2) | instskip(NEXT) | instid1(VALU_DEP_2)
	v_add_f64 v[50:51], v[50:51], v[58:59]
	v_add_f64 v[52:53], v[52:53], -v[67:68]
	s_delay_alu instid0(VALU_DEP_2) | instskip(NEXT) | instid1(VALU_DEP_2)
	v_add_f64 v[50:51], v[60:61], v[50:51]
	v_add_f64 v[58:59], v[56:57], v[52:53]
	s_delay_alu instid0(VALU_DEP_2) | instskip(NEXT) | instid1(VALU_DEP_2)
	v_add_f64 v[29:30], v[29:30], v[50:51]
	v_add_f64 v[50:51], v[58:59], -v[52:53]
	v_cmp_le_f64_e32 vcc_lo, 0.5, v[58:59]
	s_delay_alu instid0(VALU_DEP_3) | instskip(NEXT) | instid1(VALU_DEP_3)
	v_add_f64 v[29:30], v[37:38], v[29:30]
	v_add_f64 v[37:38], v[56:57], -v[50:51]
	v_cndmask_b32_e64 v67, 0, 0x3ff00000, vcc_lo
	v_add_co_ci_u32_e64 v150, s0, 0, v69, vcc_lo
	s_delay_alu instid0(VALU_DEP_3) | instskip(NEXT) | instid1(VALU_DEP_3)
	v_add_f64 v[29:30], v[29:30], v[37:38]
	v_add_f64 v[37:38], v[58:59], -v[66:67]
	s_delay_alu instid0(VALU_DEP_1) | instskip(NEXT) | instid1(VALU_DEP_1)
	v_add_f64 v[50:51], v[37:38], v[29:30]
	v_mul_f64 v[52:53], v[50:51], s[4:5]
	v_add_f64 v[37:38], v[50:51], -v[37:38]
	s_delay_alu instid0(VALU_DEP_2) | instskip(NEXT) | instid1(VALU_DEP_2)
	v_fma_f64 v[54:55], v[50:51], s[4:5], -v[52:53]
	v_add_f64 v[29:30], v[29:30], -v[37:38]
	s_delay_alu instid0(VALU_DEP_2) | instskip(NEXT) | instid1(VALU_DEP_1)
	v_fma_f64 v[37:38], v[50:51], s[6:7], v[54:55]
	v_fma_f64 v[37:38], v[29:30], s[4:5], v[37:38]
	s_delay_alu instid0(VALU_DEP_1) | instskip(NEXT) | instid1(VALU_DEP_1)
	v_add_f64 v[29:30], v[52:53], v[37:38]
	v_add_f64 v[50:51], v[29:30], -v[52:53]
	s_delay_alu instid0(VALU_DEP_1)
	v_add_f64 v[51:52], v[37:38], -v[50:51]
	s_and_not1_saveexec_b32 s0, s2
	s_cbranch_execz .LBB127_23
	s_branch .LBB127_22
.LBB127_21:
	s_and_not1_saveexec_b32 s0, s2
	s_cbranch_execz .LBB127_23
.LBB127_22:
	s_mov_b32 s2, 0x6dc9c883
	s_mov_b32 s3, 0x3fe45f30
	;; [unrolled: 1-line block ×3, first 2 shown]
	v_mul_f64 v[29:30], |v[7:8]|, s[2:3]
	s_mov_b32 s2, 0x54442d18
	s_mov_b32 s3, 0xbff921fb
	;; [unrolled: 1-line block ×3, first 2 shown]
	s_delay_alu instid0(VALU_DEP_1) | instskip(NEXT) | instid1(VALU_DEP_1)
	v_rndne_f64_e32 v[37:38], v[29:30]
	v_fma_f64 v[29:30], v[37:38], s[2:3], |v[7:8]|
	v_mul_f64 v[50:51], v[37:38], s[4:5]
	s_mov_b32 s2, 0x252049c0
	s_mov_b32 s3, 0xb97b839a
	v_cvt_i32_f64_e32 v150, v[37:38]
	s_delay_alu instid0(VALU_DEP_3) | instskip(NEXT) | instid1(VALU_DEP_3)
	v_fma_f64 v[54:55], v[37:38], s[4:5], v[29:30]
	v_add_f64 v[52:53], v[29:30], v[50:51]
	s_mov_b32 s5, 0x3c91a626
	s_delay_alu instid0(VALU_DEP_1) | instskip(NEXT) | instid1(VALU_DEP_3)
	v_add_f64 v[29:30], v[29:30], -v[52:53]
	v_add_f64 v[52:53], v[52:53], -v[54:55]
	s_delay_alu instid0(VALU_DEP_2) | instskip(SKIP_1) | instid1(VALU_DEP_2)
	v_add_f64 v[29:30], v[29:30], v[50:51]
	v_fma_f64 v[50:51], v[37:38], s[4:5], v[50:51]
	v_add_f64 v[29:30], v[52:53], v[29:30]
	s_delay_alu instid0(VALU_DEP_1) | instskip(NEXT) | instid1(VALU_DEP_1)
	v_add_f64 v[29:30], v[29:30], -v[50:51]
	v_fma_f64 v[50:51], v[37:38], s[2:3], v[29:30]
	s_delay_alu instid0(VALU_DEP_1) | instskip(NEXT) | instid1(VALU_DEP_1)
	v_add_f64 v[29:30], v[54:55], v[50:51]
	v_add_f64 v[52:53], v[29:30], -v[54:55]
	s_delay_alu instid0(VALU_DEP_1)
	v_add_f64 v[51:52], v[50:51], -v[52:53]
.LBB127_23:
	s_or_b32 exec_lo, exec_lo, s0
                                        ; implicit-def: $vgpr151
                                        ; implicit-def: $vgpr37_vgpr38
                                        ; implicit-def: $vgpr57_vgpr58
	s_and_saveexec_b32 s0, s1
	s_delay_alu instid0(SALU_CYCLE_1)
	s_xor_b32 s1, exec_lo, s0
	s_cbranch_execz .LBB127_25
; %bb.24:
	v_cmp_le_f64_e64 vcc_lo, 0x7b000000, |v[7:8]|
	v_mov_b32_e32 v63, 0
	s_mov_b32 s2, 0x54442d18
	s_mov_b32 s3, 0x3ff921fb
	s_mov_b32 s4, 0x33145c07
	s_mov_b32 s5, 0x3c91a626
	v_dual_cndmask_b32 v38, v49, v48 :: v_dual_cndmask_b32 v37, v7, v47
	s_delay_alu instid0(VALU_DEP_1) | instskip(SKIP_2) | instid1(VALU_DEP_3)
	v_mul_f64 v[47:48], v[43:44], v[37:38]
	v_mul_f64 v[49:50], v[39:40], v[37:38]
	;; [unrolled: 1-line block ×3, first 2 shown]
	v_fma_f64 v[43:44], v[43:44], v[37:38], -v[47:48]
	s_delay_alu instid0(VALU_DEP_3) | instskip(NEXT) | instid1(VALU_DEP_3)
	v_fma_f64 v[39:40], v[39:40], v[37:38], -v[49:50]
	v_fma_f64 v[33:34], v[33:34], v[37:38], -v[61:62]
	s_delay_alu instid0(VALU_DEP_3) | instskip(NEXT) | instid1(VALU_DEP_1)
	v_add_f64 v[53:54], v[49:50], v[43:44]
	v_add_f64 v[55:56], v[53:54], -v[49:50]
	v_add_f64 v[59:60], v[47:48], v[53:54]
	s_delay_alu instid0(VALU_DEP_2) | instskip(SKIP_1) | instid1(VALU_DEP_3)
	v_add_f64 v[57:58], v[53:54], -v[55:56]
	v_add_f64 v[43:44], v[43:44], -v[55:56]
	v_ldexp_f64 v[55:56], v[59:60], -2
	v_add_f64 v[47:48], v[59:60], -v[47:48]
	s_delay_alu instid0(VALU_DEP_4) | instskip(SKIP_1) | instid1(VALU_DEP_4)
	v_add_f64 v[49:50], v[49:50], -v[57:58]
	v_add_f64 v[57:58], v[61:62], v[39:40]
	v_cmp_neq_f64_e64 vcc_lo, 0x7ff00000, |v[55:56]|
	s_delay_alu instid0(VALU_DEP_4) | instskip(NEXT) | instid1(VALU_DEP_4)
	v_add_f64 v[47:48], v[53:54], -v[47:48]
	v_add_f64 v[43:44], v[43:44], v[49:50]
	v_fract_f64_e32 v[49:50], v[55:56]
	s_delay_alu instid0(VALU_DEP_2) | instskip(NEXT) | instid1(VALU_DEP_2)
	v_add_f64 v[53:54], v[57:58], v[43:44]
	v_dual_cndmask_b32 v50, 0, v50 :: v_dual_cndmask_b32 v49, 0, v49
	s_delay_alu instid0(VALU_DEP_1) | instskip(NEXT) | instid1(VALU_DEP_3)
	v_ldexp_f64 v[49:50], v[49:50], 2
	v_add_f64 v[55:56], v[47:48], v[53:54]
	s_delay_alu instid0(VALU_DEP_1) | instskip(SKIP_1) | instid1(VALU_DEP_2)
	v_add_f64 v[59:60], v[55:56], v[49:50]
	v_add_f64 v[37:38], v[55:56], -v[47:48]
	v_cmp_gt_f64_e32 vcc_lo, 0, v[59:60]
	v_add_f64 v[59:60], v[57:58], -v[61:62]
	s_delay_alu instid0(VALU_DEP_3) | instskip(SKIP_1) | instid1(VALU_DEP_3)
	v_add_f64 v[37:38], v[53:54], -v[37:38]
	v_cndmask_b32_e64 v64, 0, 0x40100000, vcc_lo
	v_add_f64 v[68:69], v[57:58], -v[59:60]
	v_add_f64 v[39:40], v[39:40], -v[59:60]
	s_delay_alu instid0(VALU_DEP_3) | instskip(SKIP_1) | instid1(VALU_DEP_4)
	v_add_f64 v[49:50], v[49:50], v[63:64]
	v_add_f64 v[64:65], v[53:54], -v[57:58]
	v_add_f64 v[59:60], v[61:62], -v[68:69]
	s_delay_alu instid0(VALU_DEP_3) | instskip(NEXT) | instid1(VALU_DEP_3)
	v_add_f64 v[66:67], v[55:56], v[49:50]
	v_add_f64 v[70:71], v[53:54], -v[64:65]
	v_add_f64 v[43:44], v[43:44], -v[64:65]
	s_delay_alu instid0(VALU_DEP_4) | instskip(NEXT) | instid1(VALU_DEP_4)
	v_add_f64 v[39:40], v[39:40], v[59:60]
	v_cvt_i32_f64_e32 v66, v[66:67]
	s_delay_alu instid0(VALU_DEP_4) | instskip(NEXT) | instid1(VALU_DEP_2)
	v_add_f64 v[57:58], v[57:58], -v[70:71]
	v_cvt_f64_i32_e32 v[64:65], v66
	s_delay_alu instid0(VALU_DEP_2) | instskip(NEXT) | instid1(VALU_DEP_2)
	v_add_f64 v[43:44], v[43:44], v[57:58]
	v_add_f64 v[49:50], v[49:50], -v[64:65]
	s_delay_alu instid0(VALU_DEP_2) | instskip(NEXT) | instid1(VALU_DEP_2)
	v_add_f64 v[39:40], v[39:40], v[43:44]
	v_add_f64 v[43:44], v[55:56], v[49:50]
	s_delay_alu instid0(VALU_DEP_2) | instskip(NEXT) | instid1(VALU_DEP_2)
	v_add_f64 v[33:34], v[33:34], v[39:40]
	v_add_f64 v[39:40], v[43:44], -v[49:50]
	v_cmp_le_f64_e32 vcc_lo, 0.5, v[43:44]
	s_delay_alu instid0(VALU_DEP_3) | instskip(NEXT) | instid1(VALU_DEP_3)
	v_add_f64 v[33:34], v[37:38], v[33:34]
	v_add_f64 v[37:38], v[55:56], -v[39:40]
	v_cndmask_b32_e64 v64, 0, 0x3ff00000, vcc_lo
	v_add_co_ci_u32_e64 v151, s0, 0, v66, vcc_lo
	s_delay_alu instid0(VALU_DEP_3) | instskip(NEXT) | instid1(VALU_DEP_3)
	v_add_f64 v[33:34], v[33:34], v[37:38]
	v_add_f64 v[37:38], v[43:44], -v[63:64]
	s_delay_alu instid0(VALU_DEP_1) | instskip(NEXT) | instid1(VALU_DEP_1)
	v_add_f64 v[39:40], v[37:38], v[33:34]
	v_mul_f64 v[43:44], v[39:40], s[2:3]
	v_add_f64 v[37:38], v[39:40], -v[37:38]
	s_delay_alu instid0(VALU_DEP_2) | instskip(NEXT) | instid1(VALU_DEP_2)
	v_fma_f64 v[47:48], v[39:40], s[2:3], -v[43:44]
	v_add_f64 v[33:34], v[33:34], -v[37:38]
	s_delay_alu instid0(VALU_DEP_2) | instskip(NEXT) | instid1(VALU_DEP_1)
	v_fma_f64 v[37:38], v[39:40], s[4:5], v[47:48]
	v_fma_f64 v[33:34], v[33:34], s[2:3], v[37:38]
	s_delay_alu instid0(VALU_DEP_1) | instskip(NEXT) | instid1(VALU_DEP_1)
	v_add_f64 v[37:38], v[43:44], v[33:34]
	v_add_f64 v[39:40], v[37:38], -v[43:44]
	s_delay_alu instid0(VALU_DEP_1)
	v_add_f64 v[57:58], v[33:34], -v[39:40]
	s_and_not1_saveexec_b32 s0, s1
	s_cbranch_execnz .LBB127_26
	s_branch .LBB127_27
.LBB127_25:
	s_and_not1_saveexec_b32 s0, s1
	s_cbranch_execz .LBB127_27
.LBB127_26:
	s_mov_b32 s2, 0x6dc9c883
	s_mov_b32 s3, 0x3fe45f30
	;; [unrolled: 1-line block ×3, first 2 shown]
	v_mul_f64 v[33:34], |v[7:8]|, s[2:3]
	s_mov_b32 s2, 0x54442d18
	s_mov_b32 s3, 0xbff921fb
	;; [unrolled: 1-line block ×3, first 2 shown]
	s_delay_alu instid0(VALU_DEP_1) | instskip(NEXT) | instid1(VALU_DEP_1)
	v_rndne_f64_e32 v[33:34], v[33:34]
	v_fma_f64 v[37:38], v[33:34], s[2:3], |v[7:8]|
	v_mul_f64 v[39:40], v[33:34], s[4:5]
	s_mov_b32 s2, 0x252049c0
	s_mov_b32 s3, 0xb97b839a
	v_cvt_i32_f64_e32 v151, v[33:34]
	s_delay_alu instid0(VALU_DEP_3) | instskip(NEXT) | instid1(VALU_DEP_3)
	v_fma_f64 v[47:48], v[33:34], s[4:5], v[37:38]
	v_add_f64 v[43:44], v[37:38], v[39:40]
	s_mov_b32 s5, 0x3c91a626
	s_delay_alu instid0(VALU_DEP_1) | instskip(NEXT) | instid1(VALU_DEP_3)
	v_add_f64 v[37:38], v[37:38], -v[43:44]
	v_add_f64 v[43:44], v[43:44], -v[47:48]
	s_delay_alu instid0(VALU_DEP_2) | instskip(SKIP_1) | instid1(VALU_DEP_2)
	v_add_f64 v[37:38], v[37:38], v[39:40]
	v_fma_f64 v[39:40], v[33:34], s[4:5], v[39:40]
	v_add_f64 v[37:38], v[43:44], v[37:38]
	s_delay_alu instid0(VALU_DEP_1) | instskip(NEXT) | instid1(VALU_DEP_1)
	v_add_f64 v[37:38], v[37:38], -v[39:40]
	v_fma_f64 v[39:40], v[33:34], s[2:3], v[37:38]
	s_delay_alu instid0(VALU_DEP_1) | instskip(NEXT) | instid1(VALU_DEP_1)
	v_add_f64 v[37:38], v[47:48], v[39:40]
	v_add_f64 v[43:44], v[37:38], -v[47:48]
	s_delay_alu instid0(VALU_DEP_1)
	v_add_f64 v[57:58], v[39:40], -v[43:44]
.LBB127_27:
	s_or_b32 exec_lo, exec_lo, s0
	s_waitcnt vmcnt(1)
	v_mul_f64 v[33:34], v[15:16], 0.5
	s_mov_b32 s1, exec_lo
                                        ; implicit-def: $vgpr152
                                        ; implicit-def: $vgpr39_vgpr40
                                        ; implicit-def: $vgpr61_vgpr62
	s_delay_alu instid0(VALU_DEP_1)
	v_cmpx_ngt_f64_e64 0x41d00000, |v[33:34]|
	s_xor_b32 s1, exec_lo, s1
	s_cbranch_execz .LBB127_29
; %bb.28:
	v_ldexp_f64 v[39:40], |v[33:34]|, 0xffffff80
	v_cmp_le_f64_e64 vcc_lo, 0x7b000000, |v[33:34]|
	v_trig_preop_f64 v[43:44], |v[33:34]|, 0
	v_and_b32_e32 v47, 0x7fffffff, v34
	v_trig_preop_f64 v[61:62], |v[33:34]|, 2
	v_mov_b32_e32 v69, 0
	s_mov_b32 s2, 0x54442d18
	s_mov_b32 s3, 0x3ff921fb
	;; [unrolled: 1-line block ×4, first 2 shown]
	v_dual_cndmask_b32 v40, v47, v40 :: v_dual_cndmask_b32 v39, v33, v39
	v_trig_preop_f64 v[47:48], |v[33:34]|, 1
	s_delay_alu instid0(VALU_DEP_2) | instskip(SKIP_1) | instid1(VALU_DEP_3)
	v_mul_f64 v[49:50], v[43:44], v[39:40]
	v_mul_f64 v[67:68], v[61:62], v[39:40]
	v_mul_f64 v[53:54], v[47:48], v[39:40]
	s_delay_alu instid0(VALU_DEP_3) | instskip(NEXT) | instid1(VALU_DEP_2)
	v_fma_f64 v[43:44], v[43:44], v[39:40], -v[49:50]
	v_fma_f64 v[47:48], v[47:48], v[39:40], -v[53:54]
	s_delay_alu instid0(VALU_DEP_4) | instskip(NEXT) | instid1(VALU_DEP_3)
	v_fma_f64 v[39:40], v[61:62], v[39:40], -v[67:68]
	v_add_f64 v[55:56], v[53:54], v[43:44]
	s_delay_alu instid0(VALU_DEP_1) | instskip(SKIP_1) | instid1(VALU_DEP_2)
	v_add_f64 v[59:60], v[55:56], -v[53:54]
	v_add_f64 v[65:66], v[49:50], v[55:56]
	v_add_f64 v[63:64], v[55:56], -v[59:60]
	v_add_f64 v[43:44], v[43:44], -v[59:60]
	s_delay_alu instid0(VALU_DEP_3) | instskip(SKIP_1) | instid1(VALU_DEP_4)
	v_ldexp_f64 v[59:60], v[65:66], -2
	v_add_f64 v[49:50], v[65:66], -v[49:50]
	v_add_f64 v[53:54], v[53:54], -v[63:64]
	v_add_f64 v[63:64], v[67:68], v[47:48]
	s_delay_alu instid0(VALU_DEP_4) | instskip(NEXT) | instid1(VALU_DEP_4)
	v_cmp_neq_f64_e64 vcc_lo, 0x7ff00000, |v[59:60]|
	v_add_f64 v[49:50], v[55:56], -v[49:50]
	s_delay_alu instid0(VALU_DEP_4) | instskip(SKIP_1) | instid1(VALU_DEP_2)
	v_add_f64 v[43:44], v[43:44], v[53:54]
	v_fract_f64_e32 v[53:54], v[59:60]
	v_add_f64 v[55:56], v[63:64], v[43:44]
	s_delay_alu instid0(VALU_DEP_2) | instskip(NEXT) | instid1(VALU_DEP_1)
	v_dual_cndmask_b32 v54, 0, v54 :: v_dual_cndmask_b32 v53, 0, v53
	v_ldexp_f64 v[53:54], v[53:54], 2
	s_delay_alu instid0(VALU_DEP_3) | instskip(NEXT) | instid1(VALU_DEP_1)
	v_add_f64 v[59:60], v[49:50], v[55:56]
	v_add_f64 v[65:66], v[59:60], v[53:54]
	v_add_f64 v[49:50], v[59:60], -v[49:50]
	s_delay_alu instid0(VALU_DEP_2) | instskip(SKIP_1) | instid1(VALU_DEP_3)
	v_cmp_gt_f64_e32 vcc_lo, 0, v[65:66]
	v_add_f64 v[65:66], v[63:64], -v[67:68]
	v_add_f64 v[49:50], v[55:56], -v[49:50]
	v_cndmask_b32_e64 v70, 0, 0x40100000, vcc_lo
	s_delay_alu instid0(VALU_DEP_3) | instskip(SKIP_1) | instid1(VALU_DEP_3)
	v_add_f64 v[74:75], v[63:64], -v[65:66]
	v_add_f64 v[47:48], v[47:48], -v[65:66]
	v_add_f64 v[53:54], v[53:54], v[69:70]
	v_add_f64 v[70:71], v[55:56], -v[63:64]
	s_delay_alu instid0(VALU_DEP_4) | instskip(NEXT) | instid1(VALU_DEP_3)
	v_add_f64 v[65:66], v[67:68], -v[74:75]
	v_add_f64 v[72:73], v[59:60], v[53:54]
	s_delay_alu instid0(VALU_DEP_3) | instskip(SKIP_1) | instid1(VALU_DEP_4)
	v_add_f64 v[76:77], v[55:56], -v[70:71]
	v_add_f64 v[43:44], v[43:44], -v[70:71]
	v_add_f64 v[47:48], v[47:48], v[65:66]
	s_delay_alu instid0(VALU_DEP_4) | instskip(NEXT) | instid1(VALU_DEP_4)
	v_cvt_i32_f64_e32 v72, v[72:73]
	v_add_f64 v[63:64], v[63:64], -v[76:77]
	s_delay_alu instid0(VALU_DEP_2) | instskip(NEXT) | instid1(VALU_DEP_2)
	v_cvt_f64_i32_e32 v[70:71], v72
	v_add_f64 v[43:44], v[43:44], v[63:64]
	s_delay_alu instid0(VALU_DEP_2) | instskip(NEXT) | instid1(VALU_DEP_2)
	v_add_f64 v[53:54], v[53:54], -v[70:71]
	v_add_f64 v[43:44], v[47:48], v[43:44]
	s_delay_alu instid0(VALU_DEP_2) | instskip(NEXT) | instid1(VALU_DEP_2)
	v_add_f64 v[47:48], v[59:60], v[53:54]
	v_add_f64 v[39:40], v[39:40], v[43:44]
	s_delay_alu instid0(VALU_DEP_2) | instskip(SKIP_1) | instid1(VALU_DEP_3)
	v_add_f64 v[43:44], v[47:48], -v[53:54]
	v_cmp_le_f64_e32 vcc_lo, 0.5, v[47:48]
	v_add_f64 v[39:40], v[49:50], v[39:40]
	s_delay_alu instid0(VALU_DEP_3) | instskip(SKIP_2) | instid1(VALU_DEP_3)
	v_add_f64 v[43:44], v[59:60], -v[43:44]
	v_cndmask_b32_e64 v70, 0, 0x3ff00000, vcc_lo
	v_add_co_ci_u32_e64 v152, s0, 0, v72, vcc_lo
	v_add_f64 v[39:40], v[39:40], v[43:44]
	s_delay_alu instid0(VALU_DEP_3) | instskip(NEXT) | instid1(VALU_DEP_1)
	v_add_f64 v[43:44], v[47:48], -v[69:70]
	v_add_f64 v[47:48], v[43:44], v[39:40]
	s_delay_alu instid0(VALU_DEP_1) | instskip(SKIP_1) | instid1(VALU_DEP_2)
	v_mul_f64 v[49:50], v[47:48], s[2:3]
	v_add_f64 v[43:44], v[47:48], -v[43:44]
	v_fma_f64 v[53:54], v[47:48], s[2:3], -v[49:50]
	s_delay_alu instid0(VALU_DEP_2) | instskip(NEXT) | instid1(VALU_DEP_2)
	v_add_f64 v[39:40], v[39:40], -v[43:44]
	v_fma_f64 v[43:44], v[47:48], s[4:5], v[53:54]
	s_delay_alu instid0(VALU_DEP_1) | instskip(NEXT) | instid1(VALU_DEP_1)
	v_fma_f64 v[43:44], v[39:40], s[2:3], v[43:44]
	v_add_f64 v[39:40], v[49:50], v[43:44]
	s_delay_alu instid0(VALU_DEP_1) | instskip(NEXT) | instid1(VALU_DEP_1)
	v_add_f64 v[47:48], v[39:40], -v[49:50]
	v_add_f64 v[61:62], v[43:44], -v[47:48]
.LBB127_29:
	s_and_not1_saveexec_b32 s0, s1
	s_cbranch_execz .LBB127_31
; %bb.30:
	s_mov_b32 s2, 0x6dc9c883
	s_mov_b32 s3, 0x3fe45f30
	;; [unrolled: 1-line block ×3, first 2 shown]
	v_mul_f64 v[39:40], |v[33:34]|, s[2:3]
	s_mov_b32 s2, 0x54442d18
	s_mov_b32 s3, 0xbff921fb
	;; [unrolled: 1-line block ×3, first 2 shown]
	s_delay_alu instid0(VALU_DEP_1) | instskip(NEXT) | instid1(VALU_DEP_1)
	v_rndne_f64_e32 v[43:44], v[39:40]
	v_fma_f64 v[39:40], v[43:44], s[2:3], |v[33:34]|
	v_mul_f64 v[47:48], v[43:44], s[4:5]
	s_mov_b32 s2, 0x252049c0
	s_mov_b32 s3, 0xb97b839a
	v_cvt_i32_f64_e32 v152, v[43:44]
	s_delay_alu instid0(VALU_DEP_3) | instskip(NEXT) | instid1(VALU_DEP_3)
	v_fma_f64 v[53:54], v[43:44], s[4:5], v[39:40]
	v_add_f64 v[49:50], v[39:40], v[47:48]
	s_mov_b32 s5, 0x3c91a626
	s_delay_alu instid0(VALU_DEP_1) | instskip(NEXT) | instid1(VALU_DEP_3)
	v_add_f64 v[39:40], v[39:40], -v[49:50]
	v_add_f64 v[49:50], v[49:50], -v[53:54]
	s_delay_alu instid0(VALU_DEP_2) | instskip(SKIP_1) | instid1(VALU_DEP_2)
	v_add_f64 v[39:40], v[39:40], v[47:48]
	v_fma_f64 v[47:48], v[43:44], s[4:5], v[47:48]
	v_add_f64 v[39:40], v[49:50], v[39:40]
	s_delay_alu instid0(VALU_DEP_1) | instskip(NEXT) | instid1(VALU_DEP_1)
	v_add_f64 v[39:40], v[39:40], -v[47:48]
	v_fma_f64 v[47:48], v[43:44], s[2:3], v[39:40]
	s_delay_alu instid0(VALU_DEP_1) | instskip(NEXT) | instid1(VALU_DEP_1)
	v_add_f64 v[39:40], v[53:54], v[47:48]
	v_add_f64 v[49:50], v[39:40], -v[53:54]
	s_delay_alu instid0(VALU_DEP_1)
	v_add_f64 v[61:62], v[47:48], -v[49:50]
.LBB127_31:
	s_or_b32 exec_lo, exec_lo, s0
	v_cmp_ngt_f64_e64 s1, 0x41d00000, |v[15:16]|
	v_trig_preop_f64 v[55:56], |v[15:16]|, 0
	v_trig_preop_f64 v[53:54], |v[15:16]|, 1
	v_ldexp_f64 v[59:60], |v[15:16]|, 0xffffff80
	v_trig_preop_f64 v[47:48], |v[15:16]|, 2
	v_and_b32_e32 v65, 0x7fffffff, v16
                                        ; implicit-def: $vgpr153
                                        ; implicit-def: $vgpr43_vgpr44
                                        ; implicit-def: $vgpr63_vgpr64
	s_and_saveexec_b32 s0, s1
	s_delay_alu instid0(SALU_CYCLE_1)
	s_xor_b32 s2, exec_lo, s0
	s_cbranch_execz .LBB127_33
; %bb.32:
	v_cmp_le_f64_e64 vcc_lo, 0x7b000000, |v[15:16]|
	v_mov_b32_e32 v80, 0
	s_mov_b32 s4, 0x54442d18
	s_mov_b32 s5, 0x3ff921fb
	;; [unrolled: 1-line block ×4, first 2 shown]
	v_dual_cndmask_b32 v44, v65, v60 :: v_dual_cndmask_b32 v43, v15, v59
	s_delay_alu instid0(VALU_DEP_1) | instskip(SKIP_2) | instid1(VALU_DEP_3)
	v_mul_f64 v[49:50], v[55:56], v[43:44]
	v_mul_f64 v[63:64], v[53:54], v[43:44]
	;; [unrolled: 1-line block ×3, first 2 shown]
	v_fma_f64 v[66:67], v[55:56], v[43:44], -v[49:50]
	s_delay_alu instid0(VALU_DEP_3) | instskip(NEXT) | instid1(VALU_DEP_3)
	v_fma_f64 v[78:79], v[53:54], v[43:44], -v[63:64]
	v_fma_f64 v[43:44], v[47:48], v[43:44], -v[76:77]
	s_delay_alu instid0(VALU_DEP_3) | instskip(NEXT) | instid1(VALU_DEP_1)
	v_add_f64 v[68:69], v[63:64], v[66:67]
	v_add_f64 v[70:71], v[68:69], -v[63:64]
	v_add_f64 v[74:75], v[49:50], v[68:69]
	s_delay_alu instid0(VALU_DEP_2) | instskip(SKIP_1) | instid1(VALU_DEP_3)
	v_add_f64 v[72:73], v[68:69], -v[70:71]
	v_add_f64 v[66:67], v[66:67], -v[70:71]
	v_ldexp_f64 v[70:71], v[74:75], -2
	v_add_f64 v[49:50], v[74:75], -v[49:50]
	s_delay_alu instid0(VALU_DEP_4) | instskip(SKIP_1) | instid1(VALU_DEP_4)
	v_add_f64 v[63:64], v[63:64], -v[72:73]
	v_add_f64 v[72:73], v[76:77], v[78:79]
	v_cmp_neq_f64_e64 vcc_lo, 0x7ff00000, |v[70:71]|
	s_delay_alu instid0(VALU_DEP_4) | instskip(NEXT) | instid1(VALU_DEP_4)
	v_add_f64 v[49:50], v[68:69], -v[49:50]
	v_add_f64 v[63:64], v[66:67], v[63:64]
	v_fract_f64_e32 v[66:67], v[70:71]
	s_delay_alu instid0(VALU_DEP_2) | instskip(NEXT) | instid1(VALU_DEP_2)
	v_add_f64 v[68:69], v[72:73], v[63:64]
	v_dual_cndmask_b32 v67, 0, v67 :: v_dual_cndmask_b32 v66, 0, v66
	s_delay_alu instid0(VALU_DEP_1) | instskip(NEXT) | instid1(VALU_DEP_3)
	v_ldexp_f64 v[66:67], v[66:67], 2
	v_add_f64 v[70:71], v[49:50], v[68:69]
	s_delay_alu instid0(VALU_DEP_1) | instskip(SKIP_1) | instid1(VALU_DEP_2)
	v_add_f64 v[74:75], v[70:71], v[66:67]
	v_add_f64 v[49:50], v[70:71], -v[49:50]
	v_cmp_gt_f64_e32 vcc_lo, 0, v[74:75]
	v_add_f64 v[74:75], v[72:73], -v[76:77]
	s_delay_alu instid0(VALU_DEP_3) | instskip(SKIP_1) | instid1(VALU_DEP_3)
	v_add_f64 v[49:50], v[68:69], -v[49:50]
	v_cndmask_b32_e64 v81, 0, 0x40100000, vcc_lo
	v_add_f64 v[85:86], v[72:73], -v[74:75]
	v_add_f64 v[74:75], v[78:79], -v[74:75]
	s_delay_alu instid0(VALU_DEP_3) | instskip(SKIP_1) | instid1(VALU_DEP_4)
	v_add_f64 v[66:67], v[66:67], v[80:81]
	v_add_f64 v[81:82], v[68:69], -v[72:73]
	v_add_f64 v[78:79], v[76:77], -v[85:86]
	s_delay_alu instid0(VALU_DEP_3) | instskip(NEXT) | instid1(VALU_DEP_3)
	v_add_f64 v[83:84], v[70:71], v[66:67]
	v_add_f64 v[87:88], v[68:69], -v[81:82]
	v_add_f64 v[63:64], v[63:64], -v[81:82]
	s_delay_alu instid0(VALU_DEP_4) | instskip(NEXT) | instid1(VALU_DEP_4)
	v_add_f64 v[74:75], v[74:75], v[78:79]
	v_cvt_i32_f64_e32 v83, v[83:84]
	s_delay_alu instid0(VALU_DEP_4) | instskip(NEXT) | instid1(VALU_DEP_2)
	v_add_f64 v[72:73], v[72:73], -v[87:88]
	v_cvt_f64_i32_e32 v[81:82], v83
	s_delay_alu instid0(VALU_DEP_2) | instskip(NEXT) | instid1(VALU_DEP_2)
	v_add_f64 v[63:64], v[63:64], v[72:73]
	v_add_f64 v[66:67], v[66:67], -v[81:82]
	s_delay_alu instid0(VALU_DEP_2) | instskip(NEXT) | instid1(VALU_DEP_2)
	v_add_f64 v[63:64], v[74:75], v[63:64]
	v_add_f64 v[72:73], v[70:71], v[66:67]
	s_delay_alu instid0(VALU_DEP_2) | instskip(NEXT) | instid1(VALU_DEP_2)
	v_add_f64 v[43:44], v[43:44], v[63:64]
	v_add_f64 v[63:64], v[72:73], -v[66:67]
	v_cmp_le_f64_e32 vcc_lo, 0.5, v[72:73]
	s_delay_alu instid0(VALU_DEP_3) | instskip(NEXT) | instid1(VALU_DEP_3)
	v_add_f64 v[43:44], v[49:50], v[43:44]
	v_add_f64 v[49:50], v[70:71], -v[63:64]
	v_cndmask_b32_e64 v81, 0, 0x3ff00000, vcc_lo
	v_add_co_ci_u32_e64 v153, s0, 0, v83, vcc_lo
	s_delay_alu instid0(VALU_DEP_3) | instskip(NEXT) | instid1(VALU_DEP_3)
	v_add_f64 v[43:44], v[43:44], v[49:50]
	v_add_f64 v[49:50], v[72:73], -v[80:81]
	s_delay_alu instid0(VALU_DEP_1) | instskip(NEXT) | instid1(VALU_DEP_1)
	v_add_f64 v[63:64], v[49:50], v[43:44]
	v_mul_f64 v[66:67], v[63:64], s[4:5]
	v_add_f64 v[49:50], v[63:64], -v[49:50]
	s_delay_alu instid0(VALU_DEP_2) | instskip(NEXT) | instid1(VALU_DEP_2)
	v_fma_f64 v[68:69], v[63:64], s[4:5], -v[66:67]
	v_add_f64 v[43:44], v[43:44], -v[49:50]
	s_delay_alu instid0(VALU_DEP_2) | instskip(NEXT) | instid1(VALU_DEP_1)
	v_fma_f64 v[49:50], v[63:64], s[6:7], v[68:69]
	v_fma_f64 v[49:50], v[43:44], s[4:5], v[49:50]
	s_delay_alu instid0(VALU_DEP_1) | instskip(NEXT) | instid1(VALU_DEP_1)
	v_add_f64 v[43:44], v[66:67], v[49:50]
	v_add_f64 v[63:64], v[43:44], -v[66:67]
	s_delay_alu instid0(VALU_DEP_1)
	v_add_f64 v[63:64], v[49:50], -v[63:64]
	s_and_not1_saveexec_b32 s0, s2
	s_cbranch_execz .LBB127_35
	s_branch .LBB127_34
.LBB127_33:
	s_and_not1_saveexec_b32 s0, s2
	s_cbranch_execz .LBB127_35
.LBB127_34:
	s_mov_b32 s2, 0x6dc9c883
	s_mov_b32 s3, 0x3fe45f30
	;; [unrolled: 1-line block ×3, first 2 shown]
	v_mul_f64 v[43:44], |v[15:16]|, s[2:3]
	s_mov_b32 s2, 0x54442d18
	s_mov_b32 s3, 0xbff921fb
	;; [unrolled: 1-line block ×3, first 2 shown]
	s_delay_alu instid0(VALU_DEP_1) | instskip(NEXT) | instid1(VALU_DEP_1)
	v_rndne_f64_e32 v[49:50], v[43:44]
	v_fma_f64 v[43:44], v[49:50], s[2:3], |v[15:16]|
	v_mul_f64 v[63:64], v[49:50], s[4:5]
	s_mov_b32 s2, 0x252049c0
	s_mov_b32 s3, 0xb97b839a
	v_cvt_i32_f64_e32 v153, v[49:50]
	s_delay_alu instid0(VALU_DEP_3) | instskip(NEXT) | instid1(VALU_DEP_3)
	v_fma_f64 v[68:69], v[49:50], s[4:5], v[43:44]
	v_add_f64 v[66:67], v[43:44], v[63:64]
	s_mov_b32 s5, 0x3c91a626
	s_delay_alu instid0(VALU_DEP_1) | instskip(NEXT) | instid1(VALU_DEP_3)
	v_add_f64 v[43:44], v[43:44], -v[66:67]
	v_add_f64 v[66:67], v[66:67], -v[68:69]
	s_delay_alu instid0(VALU_DEP_2) | instskip(SKIP_1) | instid1(VALU_DEP_2)
	v_add_f64 v[43:44], v[43:44], v[63:64]
	v_fma_f64 v[63:64], v[49:50], s[4:5], v[63:64]
	v_add_f64 v[43:44], v[66:67], v[43:44]
	s_delay_alu instid0(VALU_DEP_1) | instskip(NEXT) | instid1(VALU_DEP_1)
	v_add_f64 v[43:44], v[43:44], -v[63:64]
	v_fma_f64 v[63:64], v[49:50], s[2:3], v[43:44]
	s_delay_alu instid0(VALU_DEP_1) | instskip(NEXT) | instid1(VALU_DEP_1)
	v_add_f64 v[43:44], v[68:69], v[63:64]
	v_add_f64 v[66:67], v[43:44], -v[68:69]
	s_delay_alu instid0(VALU_DEP_1)
	v_add_f64 v[63:64], v[63:64], -v[66:67]
.LBB127_35:
	s_or_b32 exec_lo, exec_lo, s0
                                        ; implicit-def: $vgpr154
                                        ; implicit-def: $vgpr49_vgpr50
                                        ; implicit-def: $vgpr69_vgpr70
	s_and_saveexec_b32 s0, s1
	s_delay_alu instid0(SALU_CYCLE_1)
	s_xor_b32 s1, exec_lo, s0
	s_cbranch_execz .LBB127_37
; %bb.36:
	v_cmp_le_f64_e64 vcc_lo, 0x7b000000, |v[15:16]|
	v_mov_b32_e32 v77, 0
	s_mov_b32 s2, 0x54442d18
	s_mov_b32 s3, 0x3ff921fb
	;; [unrolled: 1-line block ×4, first 2 shown]
	v_dual_cndmask_b32 v50, v65, v60 :: v_dual_cndmask_b32 v49, v15, v59
	s_delay_alu instid0(VALU_DEP_1) | instskip(SKIP_2) | instid1(VALU_DEP_3)
	v_mul_f64 v[59:60], v[55:56], v[49:50]
	v_mul_f64 v[65:66], v[53:54], v[49:50]
	;; [unrolled: 1-line block ×3, first 2 shown]
	v_fma_f64 v[55:56], v[55:56], v[49:50], -v[59:60]
	s_delay_alu instid0(VALU_DEP_3) | instskip(NEXT) | instid1(VALU_DEP_3)
	v_fma_f64 v[53:54], v[53:54], v[49:50], -v[65:66]
	v_fma_f64 v[47:48], v[47:48], v[49:50], -v[75:76]
	s_delay_alu instid0(VALU_DEP_3) | instskip(NEXT) | instid1(VALU_DEP_1)
	v_add_f64 v[67:68], v[65:66], v[55:56]
	v_add_f64 v[69:70], v[67:68], -v[65:66]
	v_add_f64 v[73:74], v[59:60], v[67:68]
	s_delay_alu instid0(VALU_DEP_2) | instskip(SKIP_1) | instid1(VALU_DEP_3)
	v_add_f64 v[71:72], v[67:68], -v[69:70]
	v_add_f64 v[55:56], v[55:56], -v[69:70]
	v_ldexp_f64 v[69:70], v[73:74], -2
	v_add_f64 v[59:60], v[73:74], -v[59:60]
	s_delay_alu instid0(VALU_DEP_4) | instskip(SKIP_1) | instid1(VALU_DEP_4)
	v_add_f64 v[65:66], v[65:66], -v[71:72]
	v_add_f64 v[71:72], v[75:76], v[53:54]
	v_cmp_neq_f64_e64 vcc_lo, 0x7ff00000, |v[69:70]|
	s_delay_alu instid0(VALU_DEP_4) | instskip(NEXT) | instid1(VALU_DEP_4)
	v_add_f64 v[59:60], v[67:68], -v[59:60]
	v_add_f64 v[55:56], v[55:56], v[65:66]
	v_fract_f64_e32 v[65:66], v[69:70]
	s_delay_alu instid0(VALU_DEP_2) | instskip(NEXT) | instid1(VALU_DEP_2)
	v_add_f64 v[67:68], v[71:72], v[55:56]
	v_dual_cndmask_b32 v66, 0, v66 :: v_dual_cndmask_b32 v65, 0, v65
	s_delay_alu instid0(VALU_DEP_1) | instskip(NEXT) | instid1(VALU_DEP_3)
	v_ldexp_f64 v[65:66], v[65:66], 2
	v_add_f64 v[69:70], v[59:60], v[67:68]
	s_delay_alu instid0(VALU_DEP_1) | instskip(SKIP_1) | instid1(VALU_DEP_2)
	v_add_f64 v[73:74], v[69:70], v[65:66]
	v_add_f64 v[49:50], v[69:70], -v[59:60]
	v_cmp_gt_f64_e32 vcc_lo, 0, v[73:74]
	v_add_f64 v[73:74], v[71:72], -v[75:76]
	s_delay_alu instid0(VALU_DEP_3) | instskip(SKIP_1) | instid1(VALU_DEP_3)
	v_add_f64 v[49:50], v[67:68], -v[49:50]
	v_cndmask_b32_e64 v78, 0, 0x40100000, vcc_lo
	v_add_f64 v[82:83], v[71:72], -v[73:74]
	v_add_f64 v[53:54], v[53:54], -v[73:74]
	s_delay_alu instid0(VALU_DEP_3) | instskip(SKIP_1) | instid1(VALU_DEP_4)
	v_add_f64 v[65:66], v[65:66], v[77:78]
	v_add_f64 v[78:79], v[67:68], -v[71:72]
	v_add_f64 v[73:74], v[75:76], -v[82:83]
	s_delay_alu instid0(VALU_DEP_3) | instskip(NEXT) | instid1(VALU_DEP_3)
	v_add_f64 v[80:81], v[69:70], v[65:66]
	v_add_f64 v[84:85], v[67:68], -v[78:79]
	v_add_f64 v[55:56], v[55:56], -v[78:79]
	s_delay_alu instid0(VALU_DEP_4) | instskip(NEXT) | instid1(VALU_DEP_4)
	v_add_f64 v[53:54], v[53:54], v[73:74]
	v_cvt_i32_f64_e32 v80, v[80:81]
	s_delay_alu instid0(VALU_DEP_4) | instskip(NEXT) | instid1(VALU_DEP_2)
	v_add_f64 v[71:72], v[71:72], -v[84:85]
	v_cvt_f64_i32_e32 v[78:79], v80
	s_delay_alu instid0(VALU_DEP_2) | instskip(NEXT) | instid1(VALU_DEP_2)
	v_add_f64 v[55:56], v[55:56], v[71:72]
	v_add_f64 v[65:66], v[65:66], -v[78:79]
	s_delay_alu instid0(VALU_DEP_2) | instskip(NEXT) | instid1(VALU_DEP_2)
	v_add_f64 v[53:54], v[53:54], v[55:56]
	v_add_f64 v[55:56], v[69:70], v[65:66]
	s_delay_alu instid0(VALU_DEP_2) | instskip(NEXT) | instid1(VALU_DEP_2)
	v_add_f64 v[47:48], v[47:48], v[53:54]
	v_add_f64 v[53:54], v[55:56], -v[65:66]
	v_cmp_le_f64_e32 vcc_lo, 0.5, v[55:56]
	s_delay_alu instid0(VALU_DEP_3) | instskip(NEXT) | instid1(VALU_DEP_3)
	v_add_f64 v[47:48], v[49:50], v[47:48]
	v_add_f64 v[49:50], v[69:70], -v[53:54]
	v_cndmask_b32_e64 v78, 0, 0x3ff00000, vcc_lo
	v_add_co_ci_u32_e64 v154, s0, 0, v80, vcc_lo
	s_delay_alu instid0(VALU_DEP_3) | instskip(NEXT) | instid1(VALU_DEP_3)
	v_add_f64 v[47:48], v[47:48], v[49:50]
	v_add_f64 v[49:50], v[55:56], -v[77:78]
	s_delay_alu instid0(VALU_DEP_1) | instskip(NEXT) | instid1(VALU_DEP_1)
	v_add_f64 v[53:54], v[49:50], v[47:48]
	v_mul_f64 v[55:56], v[53:54], s[2:3]
	v_add_f64 v[49:50], v[53:54], -v[49:50]
	s_delay_alu instid0(VALU_DEP_2) | instskip(NEXT) | instid1(VALU_DEP_2)
	v_fma_f64 v[59:60], v[53:54], s[2:3], -v[55:56]
	v_add_f64 v[47:48], v[47:48], -v[49:50]
	s_delay_alu instid0(VALU_DEP_2) | instskip(NEXT) | instid1(VALU_DEP_1)
	v_fma_f64 v[49:50], v[53:54], s[4:5], v[59:60]
	v_fma_f64 v[47:48], v[47:48], s[2:3], v[49:50]
	s_delay_alu instid0(VALU_DEP_1) | instskip(NEXT) | instid1(VALU_DEP_1)
	v_add_f64 v[49:50], v[55:56], v[47:48]
	v_add_f64 v[53:54], v[49:50], -v[55:56]
	s_delay_alu instid0(VALU_DEP_1)
	v_add_f64 v[69:70], v[47:48], -v[53:54]
	s_and_not1_saveexec_b32 s0, s1
	s_cbranch_execnz .LBB127_38
	s_branch .LBB127_39
.LBB127_37:
	s_and_not1_saveexec_b32 s0, s1
	s_cbranch_execz .LBB127_39
.LBB127_38:
	s_mov_b32 s2, 0x6dc9c883
	s_mov_b32 s3, 0x3fe45f30
	;; [unrolled: 1-line block ×3, first 2 shown]
	v_mul_f64 v[47:48], |v[15:16]|, s[2:3]
	s_mov_b32 s2, 0x54442d18
	s_mov_b32 s3, 0xbff921fb
	;; [unrolled: 1-line block ×3, first 2 shown]
	s_delay_alu instid0(VALU_DEP_1) | instskip(NEXT) | instid1(VALU_DEP_1)
	v_rndne_f64_e32 v[47:48], v[47:48]
	v_fma_f64 v[49:50], v[47:48], s[2:3], |v[15:16]|
	v_mul_f64 v[53:54], v[47:48], s[4:5]
	s_mov_b32 s2, 0x252049c0
	s_mov_b32 s3, 0xb97b839a
	v_cvt_i32_f64_e32 v154, v[47:48]
	s_delay_alu instid0(VALU_DEP_3) | instskip(NEXT) | instid1(VALU_DEP_3)
	v_fma_f64 v[59:60], v[47:48], s[4:5], v[49:50]
	v_add_f64 v[55:56], v[49:50], v[53:54]
	s_mov_b32 s5, 0x3c91a626
	s_delay_alu instid0(VALU_DEP_1) | instskip(NEXT) | instid1(VALU_DEP_3)
	v_add_f64 v[49:50], v[49:50], -v[55:56]
	v_add_f64 v[55:56], v[55:56], -v[59:60]
	s_delay_alu instid0(VALU_DEP_2) | instskip(SKIP_1) | instid1(VALU_DEP_2)
	v_add_f64 v[49:50], v[49:50], v[53:54]
	v_fma_f64 v[53:54], v[47:48], s[4:5], v[53:54]
	v_add_f64 v[49:50], v[55:56], v[49:50]
	s_delay_alu instid0(VALU_DEP_1) | instskip(NEXT) | instid1(VALU_DEP_1)
	v_add_f64 v[49:50], v[49:50], -v[53:54]
	v_fma_f64 v[53:54], v[47:48], s[2:3], v[49:50]
	s_delay_alu instid0(VALU_DEP_1) | instskip(NEXT) | instid1(VALU_DEP_1)
	v_add_f64 v[49:50], v[59:60], v[53:54]
	v_add_f64 v[55:56], v[49:50], -v[59:60]
	s_delay_alu instid0(VALU_DEP_1)
	v_add_f64 v[69:70], v[53:54], -v[55:56]
.LBB127_39:
	s_or_b32 exec_lo, exec_lo, s0
	s_waitcnt vmcnt(0)
	v_mul_f64 v[47:48], v[11:12], 0.5
	s_mov_b32 s1, exec_lo
                                        ; implicit-def: $vgpr155
                                        ; implicit-def: $vgpr53_vgpr54
                                        ; implicit-def: $vgpr65_vgpr66
	s_delay_alu instid0(VALU_DEP_1)
	v_cmpx_ngt_f64_e64 0x41d00000, |v[47:48]|
	s_xor_b32 s1, exec_lo, s1
	s_cbranch_execz .LBB127_41
; %bb.40:
	v_ldexp_f64 v[53:54], |v[47:48]|, 0xffffff80
	v_cmp_le_f64_e64 vcc_lo, 0x7b000000, |v[47:48]|
	v_trig_preop_f64 v[55:56], |v[47:48]|, 0
	v_and_b32_e32 v59, 0x7fffffff, v48
	v_trig_preop_f64 v[75:76], |v[47:48]|, 2
	v_mov_b32_e32 v83, 0
	s_mov_b32 s2, 0x54442d18
	s_mov_b32 s3, 0x3ff921fb
	;; [unrolled: 1-line block ×4, first 2 shown]
	v_cndmask_b32_e32 v54, v59, v54, vcc_lo
	v_cndmask_b32_e32 v53, v47, v53, vcc_lo
	v_trig_preop_f64 v[59:60], |v[47:48]|, 1
	s_delay_alu instid0(VALU_DEP_2) | instskip(NEXT) | instid1(VALU_DEP_2)
	v_mul_f64 v[65:66], v[55:56], v[53:54]
	v_mul_f64 v[67:68], v[59:60], v[53:54]
	s_delay_alu instid0(VALU_DEP_2) | instskip(NEXT) | instid1(VALU_DEP_2)
	v_fma_f64 v[55:56], v[55:56], v[53:54], -v[65:66]
	v_fma_f64 v[59:60], v[59:60], v[53:54], -v[67:68]
	s_delay_alu instid0(VALU_DEP_2) | instskip(NEXT) | instid1(VALU_DEP_1)
	v_add_f64 v[71:72], v[67:68], v[55:56]
	v_add_f64 v[73:74], v[71:72], -v[67:68]
	v_add_f64 v[79:80], v[65:66], v[71:72]
	s_delay_alu instid0(VALU_DEP_2) | instskip(SKIP_1) | instid1(VALU_DEP_3)
	v_add_f64 v[77:78], v[71:72], -v[73:74]
	v_add_f64 v[55:56], v[55:56], -v[73:74]
	v_ldexp_f64 v[73:74], v[79:80], -2
	v_add_f64 v[65:66], v[79:80], -v[65:66]
	s_delay_alu instid0(VALU_DEP_4) | instskip(NEXT) | instid1(VALU_DEP_3)
	v_add_f64 v[67:68], v[67:68], -v[77:78]
	v_cmp_neq_f64_e64 vcc_lo, 0x7ff00000, |v[73:74]|
	s_delay_alu instid0(VALU_DEP_3) | instskip(NEXT) | instid1(VALU_DEP_3)
	v_add_f64 v[65:66], v[71:72], -v[65:66]
	v_add_f64 v[55:56], v[55:56], v[67:68]
	v_fract_f64_e32 v[67:68], v[73:74]
	s_delay_alu instid0(VALU_DEP_1) | instskip(SKIP_1) | instid1(VALU_DEP_2)
	v_dual_cndmask_b32 v68, 0, v68 :: v_dual_cndmask_b32 v67, 0, v67
	v_mul_f64 v[81:82], v[75:76], v[53:54]
	v_ldexp_f64 v[67:68], v[67:68], 2
	s_delay_alu instid0(VALU_DEP_2) | instskip(SKIP_1) | instid1(VALU_DEP_2)
	v_add_f64 v[77:78], v[81:82], v[59:60]
	v_fma_f64 v[53:54], v[75:76], v[53:54], -v[81:82]
	v_add_f64 v[71:72], v[77:78], v[55:56]
	s_delay_alu instid0(VALU_DEP_1) | instskip(NEXT) | instid1(VALU_DEP_1)
	v_add_f64 v[73:74], v[65:66], v[71:72]
	v_add_f64 v[79:80], v[73:74], v[67:68]
	v_add_f64 v[65:66], v[73:74], -v[65:66]
	s_delay_alu instid0(VALU_DEP_2) | instskip(SKIP_1) | instid1(VALU_DEP_3)
	v_cmp_gt_f64_e32 vcc_lo, 0, v[79:80]
	v_add_f64 v[79:80], v[77:78], -v[81:82]
	v_add_f64 v[65:66], v[71:72], -v[65:66]
	v_cndmask_b32_e64 v84, 0, 0x40100000, vcc_lo
	s_delay_alu instid0(VALU_DEP_3) | instskip(SKIP_1) | instid1(VALU_DEP_3)
	v_add_f64 v[88:89], v[77:78], -v[79:80]
	v_add_f64 v[59:60], v[59:60], -v[79:80]
	v_add_f64 v[67:68], v[67:68], v[83:84]
	v_add_f64 v[84:85], v[71:72], -v[77:78]
	s_delay_alu instid0(VALU_DEP_4) | instskip(NEXT) | instid1(VALU_DEP_3)
	v_add_f64 v[79:80], v[81:82], -v[88:89]
	v_add_f64 v[86:87], v[73:74], v[67:68]
	s_delay_alu instid0(VALU_DEP_3) | instskip(SKIP_1) | instid1(VALU_DEP_4)
	v_add_f64 v[90:91], v[71:72], -v[84:85]
	v_add_f64 v[55:56], v[55:56], -v[84:85]
	v_add_f64 v[59:60], v[59:60], v[79:80]
	s_delay_alu instid0(VALU_DEP_4) | instskip(NEXT) | instid1(VALU_DEP_4)
	v_cvt_i32_f64_e32 v86, v[86:87]
	v_add_f64 v[77:78], v[77:78], -v[90:91]
	s_delay_alu instid0(VALU_DEP_2) | instskip(NEXT) | instid1(VALU_DEP_2)
	v_cvt_f64_i32_e32 v[84:85], v86
	v_add_f64 v[55:56], v[55:56], v[77:78]
	s_delay_alu instid0(VALU_DEP_2) | instskip(NEXT) | instid1(VALU_DEP_2)
	v_add_f64 v[67:68], v[67:68], -v[84:85]
	v_add_f64 v[55:56], v[59:60], v[55:56]
	s_delay_alu instid0(VALU_DEP_2) | instskip(NEXT) | instid1(VALU_DEP_2)
	v_add_f64 v[59:60], v[73:74], v[67:68]
	v_add_f64 v[53:54], v[53:54], v[55:56]
	s_delay_alu instid0(VALU_DEP_2) | instskip(SKIP_1) | instid1(VALU_DEP_3)
	v_add_f64 v[55:56], v[59:60], -v[67:68]
	v_cmp_le_f64_e32 vcc_lo, 0.5, v[59:60]
	v_add_f64 v[53:54], v[65:66], v[53:54]
	s_delay_alu instid0(VALU_DEP_3) | instskip(SKIP_2) | instid1(VALU_DEP_3)
	v_add_f64 v[55:56], v[73:74], -v[55:56]
	v_cndmask_b32_e64 v84, 0, 0x3ff00000, vcc_lo
	v_add_co_ci_u32_e64 v155, s0, 0, v86, vcc_lo
	v_add_f64 v[53:54], v[53:54], v[55:56]
	s_delay_alu instid0(VALU_DEP_3) | instskip(NEXT) | instid1(VALU_DEP_1)
	v_add_f64 v[55:56], v[59:60], -v[83:84]
	v_add_f64 v[59:60], v[55:56], v[53:54]
	s_delay_alu instid0(VALU_DEP_1) | instskip(SKIP_1) | instid1(VALU_DEP_2)
	v_mul_f64 v[65:66], v[59:60], s[2:3]
	v_add_f64 v[55:56], v[59:60], -v[55:56]
	v_fma_f64 v[67:68], v[59:60], s[2:3], -v[65:66]
	s_delay_alu instid0(VALU_DEP_2) | instskip(NEXT) | instid1(VALU_DEP_2)
	v_add_f64 v[53:54], v[53:54], -v[55:56]
	v_fma_f64 v[55:56], v[59:60], s[4:5], v[67:68]
	s_delay_alu instid0(VALU_DEP_1) | instskip(NEXT) | instid1(VALU_DEP_1)
	v_fma_f64 v[55:56], v[53:54], s[2:3], v[55:56]
	v_add_f64 v[53:54], v[65:66], v[55:56]
	s_delay_alu instid0(VALU_DEP_1) | instskip(NEXT) | instid1(VALU_DEP_1)
	v_add_f64 v[59:60], v[53:54], -v[65:66]
	v_add_f64 v[65:66], v[55:56], -v[59:60]
.LBB127_41:
	s_and_not1_saveexec_b32 s0, s1
	s_cbranch_execz .LBB127_43
; %bb.42:
	s_mov_b32 s2, 0x6dc9c883
	s_mov_b32 s3, 0x3fe45f30
	;; [unrolled: 1-line block ×3, first 2 shown]
	v_mul_f64 v[53:54], |v[47:48]|, s[2:3]
	s_mov_b32 s2, 0x54442d18
	s_mov_b32 s3, 0xbff921fb
	;; [unrolled: 1-line block ×3, first 2 shown]
	s_delay_alu instid0(VALU_DEP_1) | instskip(NEXT) | instid1(VALU_DEP_1)
	v_rndne_f64_e32 v[55:56], v[53:54]
	v_fma_f64 v[53:54], v[55:56], s[2:3], |v[47:48]|
	v_mul_f64 v[59:60], v[55:56], s[4:5]
	s_mov_b32 s2, 0x252049c0
	s_mov_b32 s3, 0xb97b839a
	v_cvt_i32_f64_e32 v155, v[55:56]
	s_delay_alu instid0(VALU_DEP_3) | instskip(NEXT) | instid1(VALU_DEP_3)
	v_fma_f64 v[67:68], v[55:56], s[4:5], v[53:54]
	v_add_f64 v[65:66], v[53:54], v[59:60]
	s_mov_b32 s5, 0x3c91a626
	s_delay_alu instid0(VALU_DEP_1) | instskip(NEXT) | instid1(VALU_DEP_3)
	v_add_f64 v[53:54], v[53:54], -v[65:66]
	v_add_f64 v[65:66], v[65:66], -v[67:68]
	s_delay_alu instid0(VALU_DEP_2) | instskip(SKIP_1) | instid1(VALU_DEP_2)
	v_add_f64 v[53:54], v[53:54], v[59:60]
	v_fma_f64 v[59:60], v[55:56], s[4:5], v[59:60]
	v_add_f64 v[53:54], v[65:66], v[53:54]
	s_delay_alu instid0(VALU_DEP_1) | instskip(NEXT) | instid1(VALU_DEP_1)
	v_add_f64 v[53:54], v[53:54], -v[59:60]
	v_fma_f64 v[59:60], v[55:56], s[2:3], v[53:54]
	s_delay_alu instid0(VALU_DEP_1) | instskip(NEXT) | instid1(VALU_DEP_1)
	v_add_f64 v[53:54], v[67:68], v[59:60]
	v_add_f64 v[65:66], v[53:54], -v[67:68]
	s_delay_alu instid0(VALU_DEP_1)
	v_add_f64 v[65:66], v[59:60], -v[65:66]
.LBB127_43:
	s_or_b32 exec_lo, exec_lo, s0
	v_cmp_ngt_f64_e64 s1, 0x41d00000, |v[11:12]|
	v_trig_preop_f64 v[75:76], |v[11:12]|, 0
	v_trig_preop_f64 v[73:74], |v[11:12]|, 1
	v_ldexp_f64 v[77:78], |v[11:12]|, 0xffffff80
	v_trig_preop_f64 v[67:68], |v[11:12]|, 2
	v_and_b32_e32 v81, 0x7fffffff, v12
                                        ; implicit-def: $vgpr156
                                        ; implicit-def: $vgpr55_vgpr56
                                        ; implicit-def: $vgpr71_vgpr72
	s_and_saveexec_b32 s0, s1
	s_delay_alu instid0(SALU_CYCLE_1)
	s_xor_b32 s2, exec_lo, s0
	s_cbranch_execz .LBB127_45
; %bb.44:
	v_cmp_le_f64_e64 vcc_lo, 0x7b000000, |v[11:12]|
	v_mov_b32_e32 v94, 0
	s_mov_b32 s4, 0x54442d18
	s_mov_b32 s5, 0x3ff921fb
	;; [unrolled: 1-line block ×4, first 2 shown]
	v_dual_cndmask_b32 v56, v81, v78 :: v_dual_cndmask_b32 v55, v11, v77
	s_delay_alu instid0(VALU_DEP_1) | instskip(SKIP_2) | instid1(VALU_DEP_3)
	v_mul_f64 v[59:60], v[75:76], v[55:56]
	v_mul_f64 v[71:72], v[73:74], v[55:56]
	;; [unrolled: 1-line block ×3, first 2 shown]
	v_fma_f64 v[79:80], v[75:76], v[55:56], -v[59:60]
	s_delay_alu instid0(VALU_DEP_3) | instskip(NEXT) | instid1(VALU_DEP_3)
	v_fma_f64 v[92:93], v[73:74], v[55:56], -v[71:72]
	v_fma_f64 v[55:56], v[67:68], v[55:56], -v[90:91]
	s_delay_alu instid0(VALU_DEP_3) | instskip(NEXT) | instid1(VALU_DEP_1)
	v_add_f64 v[82:83], v[71:72], v[79:80]
	v_add_f64 v[84:85], v[82:83], -v[71:72]
	v_add_f64 v[88:89], v[59:60], v[82:83]
	s_delay_alu instid0(VALU_DEP_2) | instskip(SKIP_1) | instid1(VALU_DEP_3)
	v_add_f64 v[86:87], v[82:83], -v[84:85]
	v_add_f64 v[79:80], v[79:80], -v[84:85]
	v_ldexp_f64 v[84:85], v[88:89], -2
	v_add_f64 v[59:60], v[88:89], -v[59:60]
	s_delay_alu instid0(VALU_DEP_4) | instskip(SKIP_1) | instid1(VALU_DEP_4)
	v_add_f64 v[71:72], v[71:72], -v[86:87]
	v_add_f64 v[86:87], v[90:91], v[92:93]
	v_cmp_neq_f64_e64 vcc_lo, 0x7ff00000, |v[84:85]|
	s_delay_alu instid0(VALU_DEP_4) | instskip(NEXT) | instid1(VALU_DEP_4)
	v_add_f64 v[59:60], v[82:83], -v[59:60]
	v_add_f64 v[71:72], v[79:80], v[71:72]
	v_fract_f64_e32 v[79:80], v[84:85]
	s_delay_alu instid0(VALU_DEP_2) | instskip(NEXT) | instid1(VALU_DEP_2)
	v_add_f64 v[82:83], v[86:87], v[71:72]
	v_dual_cndmask_b32 v80, 0, v80 :: v_dual_cndmask_b32 v79, 0, v79
	s_delay_alu instid0(VALU_DEP_1) | instskip(NEXT) | instid1(VALU_DEP_3)
	v_ldexp_f64 v[79:80], v[79:80], 2
	v_add_f64 v[84:85], v[59:60], v[82:83]
	s_delay_alu instid0(VALU_DEP_1) | instskip(SKIP_1) | instid1(VALU_DEP_2)
	v_add_f64 v[88:89], v[84:85], v[79:80]
	v_add_f64 v[59:60], v[84:85], -v[59:60]
	v_cmp_gt_f64_e32 vcc_lo, 0, v[88:89]
	v_add_f64 v[88:89], v[86:87], -v[90:91]
	s_delay_alu instid0(VALU_DEP_3) | instskip(SKIP_1) | instid1(VALU_DEP_3)
	v_add_f64 v[59:60], v[82:83], -v[59:60]
	v_cndmask_b32_e64 v95, 0, 0x40100000, vcc_lo
	v_add_f64 v[99:100], v[86:87], -v[88:89]
	v_add_f64 v[88:89], v[92:93], -v[88:89]
	s_delay_alu instid0(VALU_DEP_3) | instskip(SKIP_1) | instid1(VALU_DEP_4)
	v_add_f64 v[79:80], v[79:80], v[94:95]
	v_add_f64 v[95:96], v[82:83], -v[86:87]
	v_add_f64 v[92:93], v[90:91], -v[99:100]
	s_delay_alu instid0(VALU_DEP_3) | instskip(NEXT) | instid1(VALU_DEP_3)
	v_add_f64 v[97:98], v[84:85], v[79:80]
	v_add_f64 v[101:102], v[82:83], -v[95:96]
	v_add_f64 v[71:72], v[71:72], -v[95:96]
	s_delay_alu instid0(VALU_DEP_4) | instskip(NEXT) | instid1(VALU_DEP_4)
	v_add_f64 v[88:89], v[88:89], v[92:93]
	v_cvt_i32_f64_e32 v97, v[97:98]
	s_delay_alu instid0(VALU_DEP_4) | instskip(NEXT) | instid1(VALU_DEP_2)
	v_add_f64 v[86:87], v[86:87], -v[101:102]
	v_cvt_f64_i32_e32 v[95:96], v97
	s_delay_alu instid0(VALU_DEP_2) | instskip(NEXT) | instid1(VALU_DEP_2)
	v_add_f64 v[71:72], v[71:72], v[86:87]
	v_add_f64 v[79:80], v[79:80], -v[95:96]
	s_delay_alu instid0(VALU_DEP_2) | instskip(NEXT) | instid1(VALU_DEP_2)
	v_add_f64 v[71:72], v[88:89], v[71:72]
	v_add_f64 v[86:87], v[84:85], v[79:80]
	s_delay_alu instid0(VALU_DEP_2) | instskip(NEXT) | instid1(VALU_DEP_2)
	v_add_f64 v[55:56], v[55:56], v[71:72]
	v_add_f64 v[71:72], v[86:87], -v[79:80]
	v_cmp_le_f64_e32 vcc_lo, 0.5, v[86:87]
	s_delay_alu instid0(VALU_DEP_3) | instskip(NEXT) | instid1(VALU_DEP_3)
	v_add_f64 v[55:56], v[59:60], v[55:56]
	v_add_f64 v[59:60], v[84:85], -v[71:72]
	v_cndmask_b32_e64 v95, 0, 0x3ff00000, vcc_lo
	v_add_co_ci_u32_e64 v156, s0, 0, v97, vcc_lo
	s_delay_alu instid0(VALU_DEP_3) | instskip(NEXT) | instid1(VALU_DEP_3)
	v_add_f64 v[55:56], v[55:56], v[59:60]
	v_add_f64 v[59:60], v[86:87], -v[94:95]
	s_delay_alu instid0(VALU_DEP_1) | instskip(NEXT) | instid1(VALU_DEP_1)
	v_add_f64 v[71:72], v[59:60], v[55:56]
	v_mul_f64 v[79:80], v[71:72], s[4:5]
	v_add_f64 v[59:60], v[71:72], -v[59:60]
	s_delay_alu instid0(VALU_DEP_2) | instskip(NEXT) | instid1(VALU_DEP_2)
	v_fma_f64 v[82:83], v[71:72], s[4:5], -v[79:80]
	v_add_f64 v[55:56], v[55:56], -v[59:60]
	s_delay_alu instid0(VALU_DEP_2) | instskip(NEXT) | instid1(VALU_DEP_1)
	v_fma_f64 v[59:60], v[71:72], s[6:7], v[82:83]
	v_fma_f64 v[59:60], v[55:56], s[4:5], v[59:60]
	s_delay_alu instid0(VALU_DEP_1) | instskip(NEXT) | instid1(VALU_DEP_1)
	v_add_f64 v[55:56], v[79:80], v[59:60]
	v_add_f64 v[71:72], v[55:56], -v[79:80]
	s_delay_alu instid0(VALU_DEP_1)
	v_add_f64 v[71:72], v[59:60], -v[71:72]
	s_and_not1_saveexec_b32 s0, s2
	s_cbranch_execz .LBB127_47
	s_branch .LBB127_46
.LBB127_45:
	s_and_not1_saveexec_b32 s0, s2
	s_cbranch_execz .LBB127_47
.LBB127_46:
	s_mov_b32 s2, 0x6dc9c883
	s_mov_b32 s3, 0x3fe45f30
	;; [unrolled: 1-line block ×3, first 2 shown]
	v_mul_f64 v[55:56], |v[11:12]|, s[2:3]
	s_mov_b32 s2, 0x54442d18
	s_mov_b32 s3, 0xbff921fb
	;; [unrolled: 1-line block ×3, first 2 shown]
	s_delay_alu instid0(VALU_DEP_1) | instskip(NEXT) | instid1(VALU_DEP_1)
	v_rndne_f64_e32 v[59:60], v[55:56]
	v_fma_f64 v[55:56], v[59:60], s[2:3], |v[11:12]|
	v_mul_f64 v[71:72], v[59:60], s[4:5]
	s_mov_b32 s2, 0x252049c0
	s_mov_b32 s3, 0xb97b839a
	v_cvt_i32_f64_e32 v156, v[59:60]
	s_delay_alu instid0(VALU_DEP_3) | instskip(NEXT) | instid1(VALU_DEP_3)
	v_fma_f64 v[82:83], v[59:60], s[4:5], v[55:56]
	v_add_f64 v[79:80], v[55:56], v[71:72]
	s_mov_b32 s5, 0x3c91a626
	s_delay_alu instid0(VALU_DEP_1) | instskip(NEXT) | instid1(VALU_DEP_3)
	v_add_f64 v[55:56], v[55:56], -v[79:80]
	v_add_f64 v[79:80], v[79:80], -v[82:83]
	s_delay_alu instid0(VALU_DEP_2) | instskip(SKIP_1) | instid1(VALU_DEP_2)
	v_add_f64 v[55:56], v[55:56], v[71:72]
	v_fma_f64 v[71:72], v[59:60], s[4:5], v[71:72]
	v_add_f64 v[55:56], v[79:80], v[55:56]
	s_delay_alu instid0(VALU_DEP_1) | instskip(NEXT) | instid1(VALU_DEP_1)
	v_add_f64 v[55:56], v[55:56], -v[71:72]
	v_fma_f64 v[71:72], v[59:60], s[2:3], v[55:56]
	s_delay_alu instid0(VALU_DEP_1) | instskip(NEXT) | instid1(VALU_DEP_1)
	v_add_f64 v[55:56], v[82:83], v[71:72]
	v_add_f64 v[79:80], v[55:56], -v[82:83]
	s_delay_alu instid0(VALU_DEP_1)
	v_add_f64 v[71:72], v[71:72], -v[79:80]
.LBB127_47:
	s_or_b32 exec_lo, exec_lo, s0
                                        ; implicit-def: $vgpr157
                                        ; implicit-def: $vgpr59_vgpr60
                                        ; implicit-def: $vgpr79_vgpr80
	s_and_saveexec_b32 s0, s1
	s_delay_alu instid0(SALU_CYCLE_1)
	s_xor_b32 s1, exec_lo, s0
	s_cbranch_execz .LBB127_49
; %bb.48:
	v_cmp_le_f64_e64 vcc_lo, 0x7b000000, |v[11:12]|
	v_mov_b32_e32 v91, 0
	s_mov_b32 s2, 0x54442d18
	s_mov_b32 s3, 0x3ff921fb
	;; [unrolled: 1-line block ×4, first 2 shown]
	v_dual_cndmask_b32 v60, v81, v78 :: v_dual_cndmask_b32 v59, v11, v77
	s_delay_alu instid0(VALU_DEP_1) | instskip(SKIP_2) | instid1(VALU_DEP_3)
	v_mul_f64 v[77:78], v[75:76], v[59:60]
	v_mul_f64 v[79:80], v[73:74], v[59:60]
	;; [unrolled: 1-line block ×3, first 2 shown]
	v_fma_f64 v[75:76], v[75:76], v[59:60], -v[77:78]
	s_delay_alu instid0(VALU_DEP_3) | instskip(NEXT) | instid1(VALU_DEP_3)
	v_fma_f64 v[73:74], v[73:74], v[59:60], -v[79:80]
	v_fma_f64 v[59:60], v[67:68], v[59:60], -v[89:90]
	s_delay_alu instid0(VALU_DEP_3) | instskip(NEXT) | instid1(VALU_DEP_1)
	v_add_f64 v[81:82], v[79:80], v[75:76]
	v_add_f64 v[83:84], v[81:82], -v[79:80]
	v_add_f64 v[87:88], v[77:78], v[81:82]
	s_delay_alu instid0(VALU_DEP_2) | instskip(SKIP_1) | instid1(VALU_DEP_3)
	v_add_f64 v[85:86], v[81:82], -v[83:84]
	v_add_f64 v[75:76], v[75:76], -v[83:84]
	v_ldexp_f64 v[83:84], v[87:88], -2
	v_add_f64 v[77:78], v[87:88], -v[77:78]
	s_delay_alu instid0(VALU_DEP_4) | instskip(SKIP_1) | instid1(VALU_DEP_4)
	v_add_f64 v[79:80], v[79:80], -v[85:86]
	v_add_f64 v[85:86], v[89:90], v[73:74]
	v_cmp_neq_f64_e64 vcc_lo, 0x7ff00000, |v[83:84]|
	s_delay_alu instid0(VALU_DEP_4) | instskip(NEXT) | instid1(VALU_DEP_4)
	v_add_f64 v[77:78], v[81:82], -v[77:78]
	v_add_f64 v[75:76], v[75:76], v[79:80]
	v_fract_f64_e32 v[79:80], v[83:84]
	s_delay_alu instid0(VALU_DEP_2) | instskip(NEXT) | instid1(VALU_DEP_2)
	v_add_f64 v[81:82], v[85:86], v[75:76]
	v_dual_cndmask_b32 v80, 0, v80 :: v_dual_cndmask_b32 v79, 0, v79
	s_delay_alu instid0(VALU_DEP_1) | instskip(NEXT) | instid1(VALU_DEP_3)
	v_ldexp_f64 v[79:80], v[79:80], 2
	v_add_f64 v[83:84], v[77:78], v[81:82]
	s_delay_alu instid0(VALU_DEP_1) | instskip(SKIP_1) | instid1(VALU_DEP_2)
	v_add_f64 v[87:88], v[83:84], v[79:80]
	v_add_f64 v[67:68], v[83:84], -v[77:78]
	v_cmp_gt_f64_e32 vcc_lo, 0, v[87:88]
	v_add_f64 v[87:88], v[85:86], -v[89:90]
	s_delay_alu instid0(VALU_DEP_3) | instskip(SKIP_1) | instid1(VALU_DEP_3)
	v_add_f64 v[67:68], v[81:82], -v[67:68]
	v_cndmask_b32_e64 v92, 0, 0x40100000, vcc_lo
	v_add_f64 v[96:97], v[85:86], -v[87:88]
	v_add_f64 v[73:74], v[73:74], -v[87:88]
	s_delay_alu instid0(VALU_DEP_3) | instskip(SKIP_1) | instid1(VALU_DEP_4)
	v_add_f64 v[79:80], v[79:80], v[91:92]
	v_add_f64 v[92:93], v[81:82], -v[85:86]
	v_add_f64 v[87:88], v[89:90], -v[96:97]
	s_delay_alu instid0(VALU_DEP_3) | instskip(NEXT) | instid1(VALU_DEP_3)
	v_add_f64 v[94:95], v[83:84], v[79:80]
	v_add_f64 v[98:99], v[81:82], -v[92:93]
	v_add_f64 v[75:76], v[75:76], -v[92:93]
	s_delay_alu instid0(VALU_DEP_4) | instskip(NEXT) | instid1(VALU_DEP_4)
	v_add_f64 v[73:74], v[73:74], v[87:88]
	v_cvt_i32_f64_e32 v94, v[94:95]
	s_delay_alu instid0(VALU_DEP_4) | instskip(NEXT) | instid1(VALU_DEP_2)
	v_add_f64 v[85:86], v[85:86], -v[98:99]
	v_cvt_f64_i32_e32 v[92:93], v94
	s_delay_alu instid0(VALU_DEP_2) | instskip(NEXT) | instid1(VALU_DEP_2)
	v_add_f64 v[75:76], v[75:76], v[85:86]
	v_add_f64 v[79:80], v[79:80], -v[92:93]
	s_delay_alu instid0(VALU_DEP_2) | instskip(NEXT) | instid1(VALU_DEP_2)
	v_add_f64 v[73:74], v[73:74], v[75:76]
	v_add_f64 v[75:76], v[83:84], v[79:80]
	s_delay_alu instid0(VALU_DEP_2) | instskip(NEXT) | instid1(VALU_DEP_2)
	v_add_f64 v[59:60], v[59:60], v[73:74]
	v_add_f64 v[73:74], v[75:76], -v[79:80]
	v_cmp_le_f64_e32 vcc_lo, 0.5, v[75:76]
	s_delay_alu instid0(VALU_DEP_3) | instskip(NEXT) | instid1(VALU_DEP_3)
	v_add_f64 v[59:60], v[67:68], v[59:60]
	v_add_f64 v[67:68], v[83:84], -v[73:74]
	v_cndmask_b32_e64 v92, 0, 0x3ff00000, vcc_lo
	v_add_co_ci_u32_e64 v157, s0, 0, v94, vcc_lo
	s_delay_alu instid0(VALU_DEP_3) | instskip(NEXT) | instid1(VALU_DEP_3)
	v_add_f64 v[59:60], v[59:60], v[67:68]
	v_add_f64 v[67:68], v[75:76], -v[91:92]
	s_delay_alu instid0(VALU_DEP_1) | instskip(NEXT) | instid1(VALU_DEP_1)
	v_add_f64 v[73:74], v[67:68], v[59:60]
	v_mul_f64 v[75:76], v[73:74], s[2:3]
	v_add_f64 v[67:68], v[73:74], -v[67:68]
	s_delay_alu instid0(VALU_DEP_2) | instskip(NEXT) | instid1(VALU_DEP_2)
	v_fma_f64 v[77:78], v[73:74], s[2:3], -v[75:76]
	v_add_f64 v[59:60], v[59:60], -v[67:68]
	s_delay_alu instid0(VALU_DEP_2) | instskip(NEXT) | instid1(VALU_DEP_1)
	v_fma_f64 v[67:68], v[73:74], s[4:5], v[77:78]
	v_fma_f64 v[67:68], v[59:60], s[2:3], v[67:68]
	s_delay_alu instid0(VALU_DEP_1) | instskip(NEXT) | instid1(VALU_DEP_1)
	v_add_f64 v[59:60], v[75:76], v[67:68]
	v_add_f64 v[73:74], v[59:60], -v[75:76]
	s_delay_alu instid0(VALU_DEP_1)
	v_add_f64 v[79:80], v[67:68], -v[73:74]
	s_and_not1_saveexec_b32 s0, s1
	s_cbranch_execnz .LBB127_50
	s_branch .LBB127_51
.LBB127_49:
	s_and_not1_saveexec_b32 s0, s1
	s_cbranch_execz .LBB127_51
.LBB127_50:
	s_mov_b32 s2, 0x6dc9c883
	s_mov_b32 s3, 0x3fe45f30
	;; [unrolled: 1-line block ×3, first 2 shown]
	v_mul_f64 v[59:60], |v[11:12]|, s[2:3]
	s_mov_b32 s2, 0x54442d18
	s_mov_b32 s3, 0xbff921fb
	;; [unrolled: 1-line block ×3, first 2 shown]
	s_delay_alu instid0(VALU_DEP_1) | instskip(NEXT) | instid1(VALU_DEP_1)
	v_rndne_f64_e32 v[67:68], v[59:60]
	v_fma_f64 v[59:60], v[67:68], s[2:3], |v[11:12]|
	v_mul_f64 v[73:74], v[67:68], s[4:5]
	s_mov_b32 s2, 0x252049c0
	s_mov_b32 s3, 0xb97b839a
	v_cvt_i32_f64_e32 v157, v[67:68]
	s_delay_alu instid0(VALU_DEP_3) | instskip(NEXT) | instid1(VALU_DEP_3)
	v_fma_f64 v[77:78], v[67:68], s[4:5], v[59:60]
	v_add_f64 v[75:76], v[59:60], v[73:74]
	s_mov_b32 s5, 0x3c91a626
	s_delay_alu instid0(VALU_DEP_1) | instskip(NEXT) | instid1(VALU_DEP_3)
	v_add_f64 v[59:60], v[59:60], -v[75:76]
	v_add_f64 v[75:76], v[75:76], -v[77:78]
	s_delay_alu instid0(VALU_DEP_2) | instskip(SKIP_1) | instid1(VALU_DEP_2)
	v_add_f64 v[59:60], v[59:60], v[73:74]
	v_fma_f64 v[73:74], v[67:68], s[4:5], v[73:74]
	v_add_f64 v[59:60], v[75:76], v[59:60]
	s_delay_alu instid0(VALU_DEP_1) | instskip(NEXT) | instid1(VALU_DEP_1)
	v_add_f64 v[59:60], v[59:60], -v[73:74]
	v_fma_f64 v[73:74], v[67:68], s[2:3], v[59:60]
	s_delay_alu instid0(VALU_DEP_1) | instskip(NEXT) | instid1(VALU_DEP_1)
	v_add_f64 v[59:60], v[77:78], v[73:74]
	v_add_f64 v[75:76], v[59:60], -v[77:78]
	s_delay_alu instid0(VALU_DEP_1)
	v_add_f64 v[79:80], v[73:74], -v[75:76]
.LBB127_51:
	s_or_b32 exec_lo, exec_lo, s0
	v_mul_f64 v[87:88], v[49:50], v[49:50]
	s_mov_b32 s8, 0xb42fdfa7
	s_mov_b32 s10, 0xf9a43bb8
	;; [unrolled: 1-line block ×4, first 2 shown]
	v_mul_f64 v[89:90], v[43:44], v[43:44]
	s_mov_b32 s12, 0x9037ab78
	s_mov_b32 s16, 0x46cc5e42
	;; [unrolled: 1-line block ×6, first 2 shown]
	v_mul_f64 v[93:94], v[39:40], v[39:40]
	s_mov_b32 s20, 0xa17f65f6
	s_mov_b32 s22, 0x19e83e5c
	;; [unrolled: 1-line block ×4, first 2 shown]
	v_mul_f64 v[99:100], v[37:38], v[37:38]
	v_mul_f64 v[105:106], v[29:30], v[29:30]
	s_mov_b32 s0, 0x11122322
	s_mov_b32 s1, 0x3f811111
	;; [unrolled: 1-line block ×6, first 2 shown]
	v_mul_f64 v[115:116], v[69:70], 0.5
	s_mov_b32 s34, 0x16c16967
	s_mov_b32 s35, 0xbf56c16c
	v_mul_f64 v[127:128], v[27:28], v[27:28]
	s_mov_b32 s6, 0x555502a1
	s_mov_b32 s7, 0x3fa55555
	s_mov_b32 s4, 0x55555555
	s_mov_b32 s5, 0xbfc55555
	s_mov_b32 s36, s4
	s_mov_b32 s37, s7
	v_mul_f64 v[133:134], v[63:64], 0.5
	v_mul_f64 v[135:136], v[61:62], 0.5
	v_mul_f64 v[137:138], v[25:26], v[25:26]
	v_fma_f64 v[67:68], v[87:88], s[10:11], s[8:9]
	v_fma_f64 v[73:74], v[87:88], s[16:17], s[12:13]
	v_mul_f64 v[75:76], v[87:88], 0.5
	v_mul_f64 v[101:102], v[49:50], -v[87:88]
	v_mul_f64 v[139:140], v[87:88], v[87:88]
	v_fma_f64 v[81:82], v[89:90], s[16:17], s[12:13]
	v_mul_f64 v[83:84], v[89:90], 0.5
	v_fma_f64 v[91:92], v[89:90], s[10:11], s[8:9]
	v_mul_f64 v[141:142], v[89:90], v[89:90]
	v_mul_f64 v[166:167], v[21:22], v[21:22]
	v_cmp_class_f64_e64 s14, v[17:18], 0x1f8
	v_fma_f64 v[95:96], v[93:94], s[10:11], s[8:9]
	v_mul_f64 v[97:98], v[93:94], 0.5
	v_fma_f64 v[103:104], v[93:94], s[16:17], s[12:13]
	v_fma_f64 v[111:112], v[99:100], s[10:11], s[8:9]
	v_mul_f64 v[117:118], v[99:100], 0.5
	v_fma_f64 v[119:120], v[99:100], s[16:17], s[12:13]
	v_mul_f64 v[121:122], v[105:106], 0.5
	v_fma_f64 v[123:124], v[105:106], s[16:17], s[12:13]
	v_fma_f64 v[125:126], v[105:106], s[10:11], s[8:9]
	;; [unrolled: 1-line block ×3, first 2 shown]
	v_mul_f64 v[160:161], v[127:128], 0.5
	v_fma_f64 v[162:163], v[127:128], s[16:17], s[12:13]
	v_fma_f64 v[85:86], v[87:88], v[67:68], s[18:19]
	;; [unrolled: 1-line block ×3, first 2 shown]
	v_add_f64 v[77:78], -v[75:76], 1.0
	v_fma_f64 v[81:82], v[89:90], v[81:82], s[20:21]
	v_add_f64 v[67:68], -v[83:84], 1.0
	v_fma_f64 v[91:92], v[89:90], v[91:92], s[18:19]
	v_fma_f64 v[95:96], v[93:94], v[95:96], s[18:19]
	;; [unrolled: 1-line block ×9, first 2 shown]
	v_add_f64 v[109:110], -v[77:78], 1.0
	v_add_f64 v[73:74], -v[97:98], 1.0
	v_fma_f64 v[81:82], v[89:90], v[81:82], s[2:3]
	v_add_f64 v[113:114], -v[67:68], 1.0
	v_fma_f64 v[91:92], v[89:90], v[91:92], s[22:23]
	v_fma_f64 v[95:96], v[93:94], v[95:96], s[22:23]
	;; [unrolled: 1-line block ×8, first 2 shown]
	v_add_f64 v[109:110], v[109:110], -v[75:76]
	v_add_f64 v[131:132], -v[73:74], 1.0
	v_add_f64 v[75:76], -v[121:122], 1.0
	v_fma_f64 v[129:130], v[89:90], v[81:82], s[34:35]
	v_add_f64 v[113:114], v[113:114], -v[83:84]
	v_add_f64 v[81:82], -v[117:118], 1.0
	v_mul_f64 v[83:84], v[43:44], -v[89:90]
	v_fma_f64 v[91:92], v[89:90], v[91:92], s[30:31]
	v_fma_f64 v[158:159], v[93:94], v[95:96], s[30:31]
	v_mul_f64 v[95:96], v[37:38], -v[99:100]
	v_fma_f64 v[103:104], v[93:94], v[103:104], s[34:35]
	v_fma_f64 v[111:112], v[99:100], v[111:112], s[30:31]
	;; [unrolled: 1-line block ×6, first 2 shown]
	v_fma_f64 v[109:110], v[49:50], -v[69:70], v[109:110]
	v_mul_f64 v[85:86], v[39:40], -v[93:94]
	v_add_f64 v[131:132], v[131:132], -v[97:98]
	v_fma_f64 v[129:130], v[89:90], v[129:130], s[36:37]
	v_fma_f64 v[113:114], v[43:44], -v[63:64], v[113:114]
	v_add_f64 v[164:165], -v[81:82], 1.0
	v_fma_f64 v[133:134], v[83:84], v[91:92], v[133:134]
	v_add_f64 v[91:92], -v[160:161], 1.0
	v_fma_f64 v[119:120], v[99:100], v[119:120], s[36:37]
	v_fma_f64 v[168:169], v[87:88], v[115:116], -v[69:70]
	v_add_f64 v[87:88], -v[75:76], 1.0
	v_fma_f64 v[115:116], v[105:106], v[123:124], s[2:3]
	v_mul_f64 v[123:124], v[57:58], 0.5
	v_fma_f64 v[97:98], v[139:140], v[107:108], v[109:110]
	v_mul_f64 v[107:108], v[93:94], v[93:94]
	v_mul_f64 v[109:110], v[137:138], 0.5
	v_fma_f64 v[139:140], v[127:128], v[143:144], s[18:19]
	v_fma_f64 v[135:136], v[85:86], v[158:159], v[135:136]
	;; [unrolled: 1-line block ×6, first 2 shown]
	v_add_f64 v[117:118], v[164:165], -v[117:118]
	v_fma_f64 v[131:132], v[39:40], -v[61:62], v[131:132]
	v_fma_f64 v[141:142], v[93:94], v[103:104], s[36:37]
	v_fma_f64 v[158:159], v[166:167], s[16:17], s[12:13]
	v_mul_f64 v[162:163], v[166:167], 0.5
	v_mul_f64 v[164:165], v[99:100], v[99:100]
	v_add_f64 v[121:122], v[87:88], -v[121:122]
	v_fma_f64 v[115:116], v[105:106], v[115:116], s[34:35]
	v_fma_f64 v[87:88], v[89:90], v[133:134], -v[63:64]
	v_mul_f64 v[133:134], v[51:52], 0.5
	v_fma_f64 v[111:112], v[95:96], v[111:112], v[123:124]
	v_mul_f64 v[89:90], v[29:30], -v[105:106]
	v_fma_f64 v[123:124], v[127:128], v[139:140], s[22:23]
	v_fma_f64 v[103:104], v[93:94], v[135:136], -v[61:62]
	v_add_f64 v[93:94], -v[109:110], 1.0
	v_fma_f64 v[135:136], v[137:138], v[143:144], s[18:19]
	v_fma_f64 v[113:114], v[137:138], v[113:114], s[20:21]
	v_add_f64 v[139:140], -v[91:92], 1.0
	v_fma_f64 v[129:130], v[127:128], v[129:130], s[2:3]
	v_fma_f64 v[117:118], v[37:38], -v[57:58], v[117:118]
	v_fma_f64 v[63:64], v[107:108], v[141:142], v[131:132]
	v_mul_f64 v[131:132], v[105:106], v[105:106]
	v_fma_f64 v[141:142], v[166:167], v[158:159], s[20:21]
	v_add_f64 v[61:62], -v[162:163], 1.0
	v_mul_f64 v[143:144], v[45:46], 0.5
	v_mul_f64 v[158:159], v[19:20], v[19:20]
	v_add_f64 v[77:78], v[77:78], v[97:98]
	v_add_f64 v[67:68], v[67:68], v[69:70]
	v_fma_f64 v[121:122], v[29:30], -v[51:52], v[121:122]
	v_fma_f64 v[115:116], v[105:106], v[115:116], s[36:37]
	v_fma_f64 v[83:84], v[83:84], s[4:5], v[87:88]
	v_fma_f64 v[107:108], v[99:100], v[111:112], -v[57:58]
	v_mul_f64 v[99:100], v[27:28], -v[127:128]
	v_fma_f64 v[123:124], v[127:128], v[123:124], s[30:31]
	v_fma_f64 v[125:126], v[89:90], v[125:126], v[133:134]
	;; [unrolled: 1-line block ×5, first 2 shown]
	v_add_f64 v[135:136], v[139:140], -v[160:161]
	v_add_f64 v[139:140], -v[93:94], 1.0
	v_fma_f64 v[129:130], v[127:128], v[129:130], s[34:35]
	v_fma_f64 v[111:112], v[164:165], v[119:120], v[117:118]
	v_mul_f64 v[160:161], v[55:56], v[55:56]
	v_fma_f64 v[119:120], v[166:167], v[141:142], s[2:3]
	v_add_f64 v[141:142], -v[61:62], 1.0
	v_add_f64 v[63:64], v[73:74], v[63:64]
	v_fma_f64 v[57:58], v[131:132], v[115:116], v[121:122]
	v_fma_f64 v[115:116], v[166:167], s[10:11], s[8:9]
	v_mul_f64 v[121:122], v[41:42], 0.5
	v_mul_f64 v[131:132], v[127:128], v[127:128]
	v_fma_f64 v[95:96], v[95:96], s[4:5], v[107:108]
	v_fma_f64 v[123:124], v[99:100], v[123:124], v[143:144]
	v_fma_f64 v[117:118], v[105:106], v[125:126], -v[51:52]
	v_mul_f64 v[125:126], v[25:26], -v[137:138]
	v_mul_f64 v[105:106], v[158:159], 0.5
	v_fma_f64 v[51:52], v[137:138], v[133:134], s[30:31]
	v_fma_f64 v[113:114], v[137:138], v[113:114], s[34:35]
	v_add_f64 v[109:110], v[139:140], -v[109:110]
	v_fma_f64 v[133:134], v[27:28], -v[45:46], v[135:136]
	v_fma_f64 v[129:130], v[127:128], v[129:130], s[36:37]
	v_mul_f64 v[143:144], v[166:167], v[166:167]
	v_fma_f64 v[119:120], v[166:167], v[119:120], s[34:35]
	v_add_f64 v[139:140], v[141:142], -v[162:163]
	v_fma_f64 v[141:142], v[158:159], s[10:11], s[8:9]
	v_mul_f64 v[135:136], v[160:161], 0.5
	v_add_f64 v[81:82], v[81:82], v[111:112]
	v_add_f64 v[39:40], v[39:40], -v[85:86]
	v_add_f64 v[43:44], v[43:44], -v[83:84]
	v_add_f64 v[57:58], v[75:76], v[57:58]
	v_fma_f64 v[115:116], v[166:167], v[115:116], s[18:19]
	v_add_f64 v[37:38], v[37:38], -v[95:96]
	v_fma_f64 v[127:128], v[127:128], v[123:124], -v[45:46]
	v_mul_f64 v[123:124], v[137:138], v[137:138]
	v_fma_f64 v[89:90], v[89:90], s[4:5], v[117:118]
	v_add_f64 v[45:46], -v[105:106], 1.0
	v_fma_f64 v[121:122], v[125:126], v[51:52], v[121:122]
	v_fma_f64 v[113:114], v[137:138], v[113:114], s[36:37]
	v_fma_f64 v[109:110], v[25:26], -v[41:42], v[109:110]
	v_fma_f64 v[129:130], v[131:132], v[129:130], v[133:134]
	v_fma_f64 v[119:120], v[166:167], v[119:120], s[36:37]
	v_fma_f64 v[131:132], v[21:22], -v[35:36], v[139:140]
	v_fma_f64 v[139:140], v[158:159], v[141:142], s[18:19]
	v_fma_f64 v[141:142], v[158:159], s[16:17], s[12:13]
	v_add_f64 v[51:52], -v[135:136], 1.0
	v_xor_b32_e32 v44, 0x80000000, v44
	v_fma_f64 v[115:116], v[166:167], v[115:116], s[22:23]
	v_fma_f64 v[99:100], v[99:100], s[4:5], v[127:128]
	v_add_f64 v[29:30], v[29:30], -v[89:90]
	v_add_f64 v[162:163], -v[45:46], 1.0
	v_fma_f64 v[137:138], v[137:138], v[121:122], -v[41:42]
	v_mul_f64 v[121:122], v[35:36], 0.5
	v_fma_f64 v[133:134], v[123:124], v[113:114], v[109:110]
	v_fma_f64 v[109:110], v[160:161], s[16:17], s[12:13]
	v_mul_f64 v[123:124], v[21:22], -v[166:167]
	v_mul_f64 v[113:114], v[19:20], -v[158:159]
	v_add_f64 v[91:92], v[91:92], v[129:130]
	v_fma_f64 v[41:42], v[143:144], v[119:120], v[131:132]
	v_fma_f64 v[119:120], v[158:159], v[139:140], s[22:23]
	;; [unrolled: 1-line block ×3, first 2 shown]
	v_mul_f64 v[139:140], v[31:32], 0.5
	v_add_f64 v[164:165], -v[51:52], 1.0
	v_fma_f64 v[141:142], v[160:161], s[10:11], s[8:9]
	v_fma_f64 v[115:116], v[166:167], v[115:116], s[30:31]
	v_add_f64 v[27:28], v[27:28], -v[99:100]
	v_xor_b32_e32 v30, 0x80000000, v30
	v_add_f64 v[105:106], v[162:163], -v[105:106]
	v_mul_f64 v[162:163], v[53:54], v[53:54]
	v_fma_f64 v[125:126], v[125:126], s[4:5], v[137:138]
	v_add_f64 v[93:94], v[93:94], v[133:134]
	v_fma_f64 v[109:110], v[160:161], v[109:110], s[20:21]
	v_add_f64 v[41:42], v[61:62], v[41:42]
	v_fma_f64 v[119:120], v[158:159], v[119:120], s[30:31]
	v_add_f64 v[135:136], v[164:165], -v[135:136]
	v_fma_f64 v[115:116], v[123:124], v[115:116], v[121:122]
	v_fma_f64 v[121:122], v[158:159], v[131:132], s[2:3]
	;; [unrolled: 1-line block ×3, first 2 shown]
	v_mul_f64 v[141:142], v[160:161], v[160:161]
	v_fma_f64 v[105:106], v[19:20], -v[31:32], v[105:106]
	v_add_f64 v[25:26], v[25:26], -v[125:126]
	v_fma_f64 v[109:110], v[160:161], v[109:110], s[2:3]
	v_fma_f64 v[119:120], v[113:114], v[119:120], v[139:140]
	;; [unrolled: 1-line block ×3, first 2 shown]
	v_fma_f64 v[135:136], v[55:56], -v[71:72], v[135:136]
	v_fma_f64 v[143:144], v[166:167], v[115:116], -v[35:36]
	v_fma_f64 v[121:122], v[158:159], v[121:122], s[34:35]
	v_mul_f64 v[35:36], v[158:159], v[158:159]
	v_fma_f64 v[131:132], v[160:161], v[131:132], s[22:23]
	v_mul_f64 v[115:116], v[55:56], -v[160:161]
	v_lshlrev_b32_e32 v167, 30, v155
	v_and_b32_e32 v155, 1, v155
	v_fma_f64 v[109:110], v[160:161], v[109:110], s[34:35]
	v_fma_f64 v[119:120], v[158:159], v[119:120], -v[31:32]
	v_fma_f64 v[139:140], v[162:163], v[139:140], s[18:19]
	v_fma_f64 v[123:124], v[123:124], s[4:5], v[143:144]
	;; [unrolled: 1-line block ×3, first 2 shown]
	v_mul_f64 v[158:159], v[71:72], 0.5
	v_fma_f64 v[131:132], v[160:161], v[131:132], s[30:31]
	v_fma_f64 v[109:110], v[160:161], v[109:110], s[36:37]
	;; [unrolled: 1-line block ×4, first 2 shown]
	v_add_f64 v[21:22], v[21:22], -v[123:124]
	v_fma_f64 v[31:32], v[35:36], v[121:122], v[105:106]
	v_mul_f64 v[105:106], v[162:163], 0.5
	v_mul_f64 v[121:122], v[53:54], -v[162:163]
	v_fma_f64 v[131:132], v[115:116], v[131:132], v[158:159]
	v_fma_f64 v[109:110], v[141:142], v[109:110], v[135:136]
	;; [unrolled: 1-line block ×3, first 2 shown]
	v_add_f64 v[19:20], v[19:20], -v[113:114]
	v_fma_f64 v[135:136], v[162:163], v[139:140], s[30:31]
	v_mul_f64 v[139:140], v[65:66], 0.5
	v_xor_b32_e32 v22, 0x80000000, v22
	v_add_f64 v[31:32], v[45:46], v[31:32]
	v_add_f64 v[35:36], -v[105:106], 1.0
	v_fma_f64 v[131:132], v[160:161], v[131:132], -v[71:72]
	v_add_f64 v[51:52], v[51:52], v[109:110]
	v_fma_f64 v[135:136], v[121:122], v[135:136], v[139:140]
	v_fma_f64 v[139:140], v[162:163], v[141:142], s[20:21]
	v_add_f64 v[141:142], -v[35:36], 1.0
	v_fma_f64 v[115:116], v[115:116], s[4:5], v[131:132]
	s_delay_alu instid0(VALU_DEP_3) | instskip(NEXT) | instid1(VALU_DEP_3)
	v_fma_f64 v[139:140], v[162:163], v[139:140], s[2:3]
	v_add_f64 v[105:106], v[141:142], -v[105:106]
	v_mul_f64 v[141:142], v[59:60], v[59:60]
	s_delay_alu instid0(VALU_DEP_4) | instskip(NEXT) | instid1(VALU_DEP_4)
	v_add_f64 v[55:56], v[55:56], -v[115:116]
	v_fma_f64 v[158:159], v[162:163], v[139:140], s[34:35]
	v_fma_f64 v[139:140], v[162:163], v[135:136], -v[65:66]
	v_fma_f64 v[105:106], v[53:54], -v[65:66], v[105:106]
	v_fma_f64 v[71:72], v[141:142], s[16:17], s[12:13]
	v_mul_f64 v[160:161], v[141:142], 0.5
	v_cmp_class_f64_e64 s12, v[23:24], 0x1f8
	v_cmp_class_f64_e64 s17, v[47:48], 0x1f8
	v_cmp_eq_u32_e64 s16, 0, v155
	v_fma_f64 v[135:136], v[162:163], v[158:159], s[36:37]
	v_mul_f64 v[158:159], v[162:163], v[162:163]
	v_fma_f64 v[121:122], v[121:122], s[4:5], v[139:140]
	v_lshlrev_b32_e32 v140, 30, v157
	v_and_b32_e32 v157, 1, v157
	s_delay_alu instid0(VALU_DEP_2) | instskip(NEXT) | instid1(VALU_DEP_1)
	v_xor_b32_e32 v140, v140, v12
	v_and_b32_e32 v140, 0x80000000, v140
	v_fma_f64 v[162:163], v[141:142], v[71:72], s[20:21]
	v_add_f64 v[65:66], -v[160:161], 1.0
	v_cmp_ngt_f64_e64 s21, 0xc0428000, v[5:6]
	v_fma_f64 v[71:72], v[158:159], v[135:136], v[105:106]
	v_fma_f64 v[158:159], v[141:142], s[10:11], s[8:9]
	s_mov_b32 s8, 0x652b82fe
	s_mov_b32 s9, 0x3ff71547
	;; [unrolled: 1-line block ×4, first 2 shown]
	v_add_f64 v[53:54], v[53:54], -v[121:122]
	v_fma_f64 v[105:106], v[141:142], v[162:163], s[2:3]
	v_add_f64 v[135:136], -v[65:66], 1.0
	v_mul_f64 v[162:163], v[9:10], s[8:9]
	s_mov_b32 s2, 0x197bcfd8
	v_add_f64 v[35:36], v[35:36], v[71:72]
	v_fma_f64 v[158:159], v[141:142], v[158:159], s[18:19]
	v_cmp_class_f64_e64 s19, v[33:34], 0x1f8
	v_fma_f64 v[105:106], v[141:142], v[105:106], s[34:35]
	v_add_f64 v[135:136], v[135:136], -v[160:161]
	v_mul_f64 v[160:161], v[141:142], v[141:142]
	v_rndne_f64_e32 v[162:163], v[162:163]
	v_cndmask_b32_e64 v36, v36, v54, s16
	v_fma_f64 v[158:159], v[141:142], v[158:159], s[22:23]
	s_mov_b32 s22, 0xfefa39ef
	s_mov_b32 s23, 0xbfe62e42
	v_cndmask_b32_e64 v35, v35, v53, s16
	v_fma_f64 v[105:106], v[141:142], v[105:106], s[36:37]
	v_fma_f64 v[135:136], v[59:60], -v[79:80], v[135:136]
	v_fma_f64 v[111:112], v[162:163], s[22:23], v[9:10]
	v_fma_f64 v[158:159], v[141:142], v[158:159], s[30:31]
	s_delay_alu instid0(VALU_DEP_3) | instskip(SKIP_2) | instid1(VALU_DEP_3)
	v_fma_f64 v[105:106], v[160:161], v[105:106], v[135:136]
	v_mul_f64 v[135:136], v[59:60], -v[141:142]
	v_mul_f64 v[160:161], v[79:80], 0.5
	v_add_f64 v[61:62], v[65:66], v[105:106]
	s_delay_alu instid0(VALU_DEP_2) | instskip(SKIP_1) | instid1(VALU_DEP_2)
	v_fma_f64 v[158:159], v[135:136], v[158:159], v[160:161]
	v_mul_f64 v[160:161], v[5:6], s[8:9]
	v_fma_f64 v[141:142], v[141:142], v[158:159], -v[79:80]
	v_fma_f64 v[79:80], v[101:102], s[4:5], v[168:169]
	v_mul_f64 v[101:102], v[1:2], s[8:9]
	v_mul_f64 v[158:159], v[13:14], s[8:9]
	v_rndne_f64_e32 v[160:161], v[160:161]
	s_mov_b32 s8, 0x3b39803f
	s_mov_b32 s9, 0xbc7abc9e
	v_and_b32_e32 v168, 1, v153
	v_fma_f64 v[111:112], v[162:163], s[8:9], v[111:112]
	v_lshlrev_b32_e32 v153, 30, v153
	s_delay_alu instid0(VALU_DEP_1)
	v_and_b32_e32 v153, 0x80000000, v153
	v_fma_f64 v[131:132], v[135:136], s[4:5], v[141:142]
	v_add_f64 v[49:50], v[49:50], -v[79:80]
	v_rndne_f64_e32 v[101:102], v[101:102]
	v_rndne_f64_e32 v[158:159], v[158:159]
	v_fma_f64 v[107:108], v[160:161], s[22:23], v[5:6]
	v_cvt_i32_f64_e32 v139, v[160:161]
	s_mov_b32 s4, 11
	s_mov_b32 s5, 0x3fe00000
	v_cvt_i32_f64_e32 v135, v[162:163]
	v_and_b32_e32 v136, 1, v154
	v_and_b32_e32 v141, 1, v152
	;; [unrolled: 1-line block ×3, first 2 shown]
	v_lshlrev_b32_e32 v152, 30, v152
	s_delay_alu instid0(VALU_DEP_3) | instskip(NEXT) | instid1(VALU_DEP_2)
	v_cmp_eq_u32_e64 s18, 0, v141
	v_xor_b32_e32 v152, v152, v34
	s_delay_alu instid0(VALU_DEP_2) | instskip(NEXT) | instid1(VALU_DEP_2)
	v_cndmask_b32_e64 v34, v64, v40, s18
	v_and_b32_e32 v152, 0x80000000, v152
	s_delay_alu instid0(VALU_DEP_1)
	v_xor_b32_e32 v34, v34, v152
	v_add_f64 v[59:60], v[59:60], -v[131:132]
	v_fma_f64 v[97:98], v[101:102], s[22:23], v[1:2]
	v_fma_f64 v[103:104], v[158:159], s[22:23], v[13:14]
	;; [unrolled: 1-line block ×3, first 2 shown]
	v_cvt_i32_f64_e32 v164, v[101:102]
	v_cmp_eq_f64_e32 vcc_lo, 0x40900000, v[101:102]
	v_cvt_i32_f64_e32 v166, v[158:159]
	s_mov_b32 s23, 0x40862e42
	s_delay_alu instid0(SALU_CYCLE_1)
	v_cmp_nlt_f64_e64 s16, s[22:23], v[1:2]
	v_cmp_nlt_f64_e64 s20, s[22:23], v[5:6]
	v_fma_f64 v[97:98], v[101:102], s[8:9], v[97:98]
	v_fma_f64 v[103:104], v[158:159], s[8:9], v[103:104]
	s_mov_b32 s8, 0x2a1b768b
	s_mov_b32 s9, 0x3e5af4eb
	s_delay_alu instid0(SALU_CYCLE_1) | instskip(SKIP_1) | instid1(VALU_DEP_4)
	v_fma_f64 v[133:134], v[107:108], s[10:11], s[8:9]
	v_fma_f64 v[137:138], v[111:112], s[10:11], s[8:9]
	;; [unrolled: 1-line block ×3, first 2 shown]
	s_delay_alu instid0(VALU_DEP_4) | instskip(SKIP_3) | instid1(VALU_DEP_4)
	v_fma_f64 v[129:130], v[103:104], s[10:11], s[8:9]
	s_mov_b32 s8, 0xe0ac05b
	s_mov_b32 s9, 0x3e927e50
	;; [unrolled: 1-line block ×3, first 2 shown]
	v_fma_f64 v[133:134], v[107:108], v[133:134], s[8:9]
	s_delay_alu instid0(VALU_DEP_4) | instskip(SKIP_1) | instid1(VALU_DEP_4)
	v_fma_f64 v[137:138], v[111:112], v[137:138], s[8:9]
	s_mov_b32 s11, 0x3e5ade15
	v_fma_f64 v[127:128], v[97:98], v[127:128], s[8:9]
	s_delay_alu instid0(VALU_DEP_4) | instskip(SKIP_2) | instid1(SALU_CYCLE_1)
	v_fma_f64 v[129:130], v[103:104], v[129:130], s[8:9]
	s_mov_b32 s8, 0xfca7ab0c
	s_mov_b32 s9, 0x3e928af3
	v_fma_f64 v[87:88], v[103:104], s[10:11], s[8:9]
	v_fma_f64 v[117:118], v[107:108], s[10:11], s[8:9]
	;; [unrolled: 1-line block ×4, first 2 shown]
	s_mov_b32 s8, 0x1b889c29
	s_mov_b32 s9, 0x3ec71de0
	v_cmp_class_f64_e64 s10, v[11:12], 0x1f8
	v_fma_f64 v[133:134], v[107:108], v[133:134], s[8:9]
	v_fma_f64 v[137:138], v[111:112], v[137:138], s[8:9]
	;; [unrolled: 1-line block ×4, first 2 shown]
	s_mov_b32 s8, 0x623fde64
	s_mov_b32 s9, 0x3ec71dee
	s_delay_alu instid0(SALU_CYCLE_1)
	v_fma_f64 v[87:88], v[103:104], v[87:88], s[8:9]
	v_fma_f64 v[117:118], v[107:108], v[117:118], s[8:9]
	;; [unrolled: 1-line block ×4, first 2 shown]
	s_mov_b32 s8, 0x1ac1a723
	v_fma_f64 v[133:134], v[107:108], v[133:134], s[2:3]
	v_fma_f64 v[137:138], v[111:112], v[137:138], s[2:3]
	v_fma_f64 v[127:128], v[97:98], v[127:128], s[2:3]
	v_fma_f64 v[129:130], v[103:104], v[129:130], s[2:3]
	s_mov_b32 s2, 0x7c89e6b0
	s_mov_b32 s3, 0x3efa0199
	s_delay_alu instid0(SALU_CYCLE_1)
	v_fma_f64 v[87:88], v[103:104], v[87:88], s[2:3]
	v_fma_f64 v[117:118], v[107:108], v[117:118], s[2:3]
	;; [unrolled: 1-line block ×4, first 2 shown]
	s_mov_b32 s2, 0x14761f6e
	s_mov_b32 s3, 0x3f2a01a0
	s_delay_alu instid0(SALU_CYCLE_1) | instskip(NEXT) | instid1(SALU_CYCLE_1)
	s_mov_b32 s9, s3
	v_fma_f64 v[133:134], v[107:108], v[133:134], s[8:9]
	v_fma_f64 v[137:138], v[111:112], v[137:138], s[8:9]
	;; [unrolled: 1-line block ×4, first 2 shown]
	s_mov_b32 s8, 0x16c18931
	v_fma_f64 v[87:88], v[103:104], v[87:88], s[2:3]
	v_fma_f64 v[117:118], v[107:108], v[117:118], s[2:3]
	;; [unrolled: 1-line block ×4, first 2 shown]
	s_mov_b32 s2, 0x1852b7b0
	s_mov_b32 s3, 0x3f56c16c
	s_delay_alu instid0(SALU_CYCLE_1) | instskip(NEXT) | instid1(SALU_CYCLE_1)
	s_mov_b32 s9, s3
	v_fma_f64 v[133:134], v[107:108], v[133:134], s[8:9]
	v_fma_f64 v[137:138], v[111:112], v[137:138], s[8:9]
	;; [unrolled: 1-line block ×4, first 2 shown]
	v_cmp_class_f64_e64 s8, v[7:8], 0x1f8
	v_fma_f64 v[87:88], v[103:104], v[87:88], s[2:3]
	v_fma_f64 v[117:118], v[107:108], v[117:118], s[2:3]
	;; [unrolled: 1-line block ×4, first 2 shown]
	s_mov_b32 s2, 0x11110056
	s_mov_b32 s3, s1
	s_delay_alu instid0(SALU_CYCLE_1)
	v_fma_f64 v[133:134], v[107:108], v[133:134], s[2:3]
	v_fma_f64 v[137:138], v[111:112], v[137:138], s[2:3]
	;; [unrolled: 1-line block ×4, first 2 shown]
	s_mov_b32 s2, 0x55555557
	v_fma_f64 v[87:88], v[103:104], v[87:88], s[0:1]
	v_fma_f64 v[117:118], v[107:108], v[117:118], s[0:1]
	;; [unrolled: 1-line block ×4, first 2 shown]
	s_mov_b32 s0, 0x55555552
	s_mov_b32 s1, s7
	s_delay_alu instid0(SALU_CYCLE_1)
	v_fma_f64 v[133:134], v[107:108], v[133:134], s[0:1]
	v_fma_f64 v[137:138], v[111:112], v[137:138], s[0:1]
	;; [unrolled: 1-line block ×4, first 2 shown]
	s_mov_b32 s0, 0x55555511
	s_mov_b32 s1, 0x3fc55555
	v_fma_f64 v[87:88], v[103:104], v[87:88], s[6:7]
	v_fma_f64 v[117:118], v[107:108], v[117:118], s[6:7]
	;; [unrolled: 1-line block ×4, first 2 shown]
	s_mov_b32 s3, s1
	v_cmp_class_f64_e64 s6, v[15:16], 0x1f8
	v_cmp_eq_u32_e64 s7, 0, v142
	s_delay_alu instid0(VALU_DEP_1)
	v_cndmask_b32_e64 v37, v81, v37, s7
	v_cndmask_b32_e64 v38, v82, v38, s7
	v_fma_f64 v[119:120], v[97:98], v[127:128], s[2:3]
	v_fma_f64 v[127:128], v[103:104], v[129:130], s[2:3]
	;; [unrolled: 1-line block ×4, first 2 shown]
	v_cmp_eq_f64_e64 s2, 0x40900000, v[162:163]
	v_fma_f64 v[79:80], v[103:104], v[87:88], s[0:1]
	v_fma_f64 v[87:88], v[107:108], v[117:118], s[0:1]
	;; [unrolled: 1-line block ×4, first 2 shown]
	v_cmp_eq_f64_e64 s1, 0x40900000, v[160:161]
	v_cmp_eq_f64_e64 s0, 0x40900000, v[158:159]
	v_lshlrev_b32_e32 v138, 30, v154
	v_lshlrev_b32_e32 v154, 30, v146
	;; [unrolled: 1-line block ×3, first 2 shown]
	v_and_b32_e32 v148, 1, v148
	v_and_b32_e32 v146, 1, v146
	;; [unrolled: 1-line block ×3, first 2 shown]
	v_xor_b32_e32 v154, v154, v18
	v_xor_b32_e32 v137, v137, v4
	v_cmp_eq_u32_e64 s3, 0, v148
	v_cmp_eq_u32_e64 s13, 0, v146
	v_and_b32_e32 v158, 1, v156
	v_and_b32_e32 v144, 1, v147
	;; [unrolled: 1-line block ×3, first 2 shown]
	v_cndmask_b32_e64 v40, v94, v26, s3
	v_cndmask_b32_e64 v31, v31, v19, s13
	v_cndmask_b32_e64 v19, v63, v39, s18
	v_xor_b32_e32 v160, v167, v48
	v_cmp_eq_u32_e64 s9, 0, v158
	v_lshlrev_b32_e32 v150, 30, v150
	v_and_b32_e32 v154, 0x80000000, v154
	v_cndmask_b32_e64 v20, v32, v20, s13
	v_lshlrev_b32_e32 v147, 30, v147
	v_cndmask_b32_e64 v89, v93, v25, s3
	v_cmp_eq_u32_e64 s7, 0, v144
	v_lshlrev_b32_e32 v156, 30, v156
	v_and_b32_e32 v160, 0x80000000, v160
	v_cndmask_b32_e64 v51, v55, v51, s9
	v_fma_f64 v[101:102], v[97:98], v[119:120], 0.5
	v_fma_f64 v[117:118], v[103:104], v[127:128], 0.5
	;; [unrolled: 1-line block ×4, first 2 shown]
	v_cndmask_b32_e64 v134, v164, 0x3ff, vcc_lo
	v_fma_f64 v[79:80], v[103:104], v[79:80], s[4:5]
	v_fma_f64 v[87:88], v[107:108], v[87:88], s[4:5]
	;; [unrolled: 1-line block ×3, first 2 shown]
	v_cndmask_b32_e64 v159, v135, 0x3ff, s2
	v_cndmask_b32_e64 v133, v139, 0x3ff, s1
	;; [unrolled: 1-line block ×3, first 2 shown]
	v_fma_f64 v[95:96], v[111:112], v[95:96], s[4:5]
	v_cmp_eq_u32_e64 s5, 0, v136
	v_ldexp_f64 v[115:116], 1.0, v159
	v_ldexp_f64 v[125:126], 1.0, v133
	;; [unrolled: 1-line block ×4, first 2 shown]
	v_cndmask_b32_e64 v49, v77, v49, s5
	v_cndmask_b32_e64 v33, v78, v50, s5
	v_cmp_eq_u32_e64 s5, 0, v143
	v_cmp_class_f64_e64 s4, v[3:4], 0x1f8
	v_xor_b32_e32 v32, 0x80000000, v56
	v_and_b32_e32 v150, 0x80000000, v150
	v_cmp_eq_u32_e64 s3, 0, v168
	v_cndmask_b32_e64 v50, v29, v57, s5
	v_xor_b32_e32 v20, v20, v154
	v_cndmask_b32_e64 v30, v30, v58, s5
	v_and_b32_e32 v147, 0x80000000, v147
	v_cndmask_b32_e64 v22, v22, v42, s7
	v_and_b32_e32 v156, 0x80000000, v156
	v_xor_b32_e32 v36, v36, v160
	v_cndmask_b32_e64 v32, v32, v52, s9
	v_cndmask_b32_e64 v29, 0, v31, s14
	;; [unrolled: 1-line block ×6, first 2 shown]
	v_cmp_ngt_f64_e64 s5, 0xc090cc00, v[13:14]
	v_mul_f64 v[101:102], v[97:98], v[101:102]
	v_mul_f64 v[117:118], v[103:104], v[117:118]
	;; [unrolled: 1-line block ×4, first 2 shown]
	v_cmp_nlt_f64_e64 s7, 0x40900000, v[5:6]
	v_fma_f64 v[73:74], v[103:104], v[79:80], 1.0
	v_fma_f64 v[69:70], v[107:108], v[87:88], 1.0
	;; [unrolled: 1-line block ×3, first 2 shown]
	v_cmp_ngt_f64_e64 s9, 0xc090cc00, v[5:6]
	v_cmp_nlt_f64_e64 s18, s[22:23], v[13:14]
	v_cmp_nlt_f64_e64 s13, 0x40900000, v[9:10]
	v_fma_f64 v[75:76], v[111:112], v[95:96], 1.0
	v_cmp_nlt_f64_e64 s22, s[22:23], v[9:10]
	v_add_f64 v[71:72], v[115:116], -1.0
	v_add_f64 v[99:100], v[125:126], -1.0
	;; [unrolled: 1-line block ×4, first 2 shown]
	v_cmp_ngt_f64_e64 s23, 0xc0428000, v[9:10]
	v_cndmask_b32_e64 v35, 0, v37, s8
	v_cndmask_b32_e64 v47, 0, v51, s10
	;; [unrolled: 1-line block ×5, first 2 shown]
	v_fma_f64 v[79:80], v[97:98], v[101:102], v[97:98]
	v_fma_f64 v[83:84], v[103:104], v[117:118], v[103:104]
	;; [unrolled: 1-line block ×4, first 2 shown]
	v_fma_f64 v[3:4], v[103:104], v[73:74], 1.0
	v_fma_f64 v[11:12], v[97:98], v[65:66], 1.0
	v_xor_b32_e32 v66, v40, v137
	v_fma_f64 v[17:18], v[133:134], v[79:80], v[113:114]
	v_lshlrev_b32_e32 v165, 30, v151
	v_and_b32_e32 v151, 1, v149
	v_lshlrev_b32_e32 v149, 30, v149
	v_fma_f64 v[25:26], v[125:126], v[85:86], v[99:100]
	v_ldexp_f64 v[3:4], v[3:4], v166
	s_delay_alu instid0(VALU_DEP_4) | instskip(NEXT) | instid1(VALU_DEP_4)
	v_cmp_eq_u32_e64 s11, 0, v151
	v_xor_b32_e32 v149, v149, v24
	v_fma_f64 v[23:24], v[129:130], v[83:84], v[45:46]
	v_ldexp_f64 v[11:12], v[11:12], v164
	s_delay_alu instid0(VALU_DEP_4) | instskip(NEXT) | instid1(VALU_DEP_4)
	v_cndmask_b32_e64 v39, v92, v28, s11
	v_and_b32_e32 v149, 0x80000000, v149
	v_cndmask_b32_e64 v55, v91, v27, s11
	v_fma_f64 v[27:28], v[115:116], v[87:88], v[71:72]
	v_cmp_eq_u32_e64 s11, 0, v157
	s_delay_alu instid0(VALU_DEP_4) | instskip(NEXT) | instid1(VALU_DEP_4)
	v_xor_b32_e32 v57, v39, v149
	v_cndmask_b32_e64 v21, 0, v55, s12
	s_delay_alu instid0(VALU_DEP_3) | instskip(SKIP_2) | instid1(VALU_DEP_3)
	v_cndmask_b32_e64 v54, v61, v59, s11
	v_cndmask_b32_e64 v56, v62, v60, s11
	v_cmp_nlt_f64_e64 s11, 0x40900000, v[1:2]
	v_cndmask_b32_e64 v55, 0, v54, s10
	s_delay_alu instid0(VALU_DEP_3) | instskip(NEXT) | instid1(VALU_DEP_1)
	v_xor_b32_e32 v52, v56, v140
	v_cndmask_b32_e64 v56, 0x7ff80000, v52, s10
	v_add_f64 v[39:40], v[17:18], v[17:18]
	v_add_f64 v[41:42], v[23:24], v[23:24]
	;; [unrolled: 1-line block ×3, first 2 shown]
	v_cndmask_b32_e64 v12, 0x7ff00000, v12, s11
	s_delay_alu instid0(VALU_DEP_4)
	v_cndmask_b32_e32 v18, v18, v40, vcc_lo
	v_xor_b32_e32 v159, v165, v8
	v_fma_f64 v[7:8], v[107:108], v[69:70], 1.0
	v_cndmask_b32_e32 v17, v17, v39, vcc_lo
	v_xor_b32_e32 v138, v138, v16
	v_fma_f64 v[15:16], v[111:112], v[75:76], 1.0
	v_xor_b32_e32 v69, v22, v147
	v_cndmask_b32_e64 v22, 0x7ff80000, v57, s12
	v_xor_b32_e32 v70, v32, v156
	v_and_b32_e32 v138, 0x80000000, v138
	v_cndmask_b32_e64 v32, 0x7ff80000, v36, s17
	v_cmp_ngt_f64_e64 s12, 0xc090cc00, v[1:2]
	v_add_f64 v[59:60], v[21:22], v[21:22]
	v_cmp_ngt_f64_e64 s17, 0xc0428000, v[1:2]
	v_xor_b32_e32 v65, v33, v138
	v_cndmask_b32_e64 v33, 0, v49, s6
	v_cndmask_b32_e64 v49, v44, v68, s3
	v_xor_b32_e32 v68, v30, v150
	v_cndmask_b32_e64 v30, 0x7ff80000, v20, s14
	v_cndmask_b32_e64 v20, 0x7ff80000, v34, s19
	v_add_f64 v[63:64], v[31:32], v[31:32]
	v_cmp_nlt_f64_e64 s3, 0x40900000, v[13:14]
	v_add_f64 v[43:44], v[25:26], v[25:26]
	v_add_f64 v[57:58], v[29:30], v[29:30]
	;; [unrolled: 1-line block ×3, first 2 shown]
	v_cmp_ngt_f64_e64 s19, 0xc0428000, v[13:14]
	v_cmp_ngt_f64_e64 s14, 0xc090cc00, v[9:10]
	v_cndmask_b32_e64 v40, 0x7ff00000, v18, s16
	v_and_b32_e32 v159, 0x80000000, v159
	v_cndmask_b32_e64 v24, v24, v42, s0
	v_cndmask_b32_e64 v28, v28, v46, s2
	v_xor_b32_e32 v67, v49, v153
	v_cndmask_b32_e64 v27, v27, v45, s2
	v_xor_b32_e32 v38, v38, v159
	v_cndmask_b32_e64 v24, 0x7ff00000, v24, s18
	v_cndmask_b32_e64 v28, 0x7ff00000, v28, s22
	;; [unrolled: 1-line block ×6, first 2 shown]
	v_ldexp_f64 v[7:8], v[7:8], v139
	v_cndmask_b32_e64 v49, 0, v48, s6
	v_cndmask_b32_e64 v34, 0x7ff80000, v65, s6
	v_ldexp_f64 v[15:16], v[15:16], v135
	v_cndmask_b32_e64 v50, 0x7ff80000, v67, s6
	v_cndmask_b32_e64 v48, 0x7ff80000, v70, s10
	;; [unrolled: 1-line block ×3, first 2 shown]
	v_mul_f64 v[5:6], v[59:60], v[21:22]
	v_cndmask_b32_e64 v4, 0x7ff00000, v4, s3
	s_and_b32 s3, s5, s3
	v_mul_f64 v[1:2], v[57:58], v[29:30]
	v_mul_f64 v[13:14], v[61:62], v[19:20]
	;; [unrolled: 1-line block ×3, first 2 shown]
	v_cndmask_b32_e64 v3, 0, v3, s3
	s_and_b32 s3, s9, s7
	v_cndmask_b32_e64 v26, v26, v44, s1
	s_and_b32 vcc_lo, s19, s18
	v_cndmask_b32_e64 v20, v25, v43, s1
	v_cndmask_b32_e64 v4, 0, v4, s5
	;; [unrolled: 1-line block ×4, first 2 shown]
	s_delay_alu instid0(VALU_DEP_3) | instskip(NEXT) | instid1(VALU_DEP_2)
	v_mul_f64 v[3:4], v[3:4], v[33:34]
	v_cndmask_b32_e64 v21, 0xbff00000, v26, s21
	v_cndmask_b32_e64 v7, 0, v7, s3
	s_and_b32 s3, s12, s11
	v_cndmask_b32_e64 v8, 0x7ff00000, v8, s7
	v_cndmask_b32_e64 v9, 0, v11, s3
	;; [unrolled: 1-line block ×3, first 2 shown]
	s_and_b32 s3, s14, s13
	s_delay_alu instid0(VALU_DEP_3) | instskip(NEXT) | instid1(VALU_DEP_3)
	v_cndmask_b32_e64 v8, 0, v8, s9
	v_mul_f64 v[11:12], v[9:10], v[37:38]
	v_cndmask_b32_e64 v9, v23, v41, s0
	v_cndmask_b32_e64 v10, 0xbff00000, v40, s17
	;; [unrolled: 1-line block ×5, first 2 shown]
	v_cndmask_b32_e32 v22, 0, v9, vcc_lo
	s_and_b32 vcc_lo, s17, s16
	v_mul_f64 v[7:8], v[7:8], v[35:36]
	v_cndmask_b32_e32 v9, 0, v17, vcc_lo
	s_and_b32 vcc_lo, s21, s20
	v_mul_f64 v[15:16], v[15:16], v[55:56]
	v_cndmask_b32_e32 v20, 0, v20, vcc_lo
	s_and_b32 vcc_lo, s23, s22
	v_fma_f64 v[9:10], v[9:10], v[53:54], -v[1:2]
	v_cndmask_b32_e32 v24, 0, v27, vcc_lo
	v_fma_f64 v[1:2], v[22:23], v[49:50], -v[13:14]
	v_fma_f64 v[5:6], v[20:21], v[51:52], -v[5:6]
	s_add_u32 s2, s24, s28
	s_addc_u32 s3, s25, s29
	v_fma_f64 v[13:14], v[24:25], v[47:48], -v[18:19]
	v_add_co_u32 v17, s0, s2, v145
	s_delay_alu instid0(VALU_DEP_1) | instskip(NEXT) | instid1(VALU_DEP_2)
	v_add_co_ci_u32_e64 v18, null, s3, 0, s0
	v_add_co_u32 v17, vcc_lo, 0x2000, v17
	s_delay_alu instid0(VALU_DEP_2)
	v_add_co_ci_u32_e32 v18, vcc_lo, 0, v18, vcc_lo
	s_clause 0x3
	global_store_b128 v145, v[9:12], s[2:3]
	global_store_b128 v145, v[5:8], s[2:3] offset:16
	global_store_b128 v[17:18], v[1:4], off
	global_store_b128 v[17:18], v[13:16], off offset:16
.LBB127_52:
	s_nop 0
	s_sendmsg sendmsg(MSG_DEALLOC_VGPRS)
	s_endpgm
	.section	.rodata,"a",@progbits
	.p2align	6, 0x0
	.amdhsa_kernel _ZN2at6native29vectorized_elementwise_kernelILi2EZZZNS0_17expm1_kernel_cudaERNS_18TensorIteratorBaseEENKUlvE_clEvENKUlvE1_clEvEUlN3c107complexIdEEE_St5arrayIPcLm2EEEEviT0_T1_
		.amdhsa_group_segment_fixed_size 0
		.amdhsa_private_segment_fixed_size 0
		.amdhsa_kernarg_size 24
		.amdhsa_user_sgpr_count 15
		.amdhsa_user_sgpr_dispatch_ptr 0
		.amdhsa_user_sgpr_queue_ptr 0
		.amdhsa_user_sgpr_kernarg_segment_ptr 1
		.amdhsa_user_sgpr_dispatch_id 0
		.amdhsa_user_sgpr_private_segment_size 0
		.amdhsa_wavefront_size32 1
		.amdhsa_uses_dynamic_stack 0
		.amdhsa_enable_private_segment 0
		.amdhsa_system_sgpr_workgroup_id_x 1
		.amdhsa_system_sgpr_workgroup_id_y 0
		.amdhsa_system_sgpr_workgroup_id_z 0
		.amdhsa_system_sgpr_workgroup_info 0
		.amdhsa_system_vgpr_workitem_id 0
		.amdhsa_next_free_vgpr 170
		.amdhsa_next_free_sgpr 38
		.amdhsa_reserve_vcc 1
		.amdhsa_float_round_mode_32 0
		.amdhsa_float_round_mode_16_64 0
		.amdhsa_float_denorm_mode_32 3
		.amdhsa_float_denorm_mode_16_64 3
		.amdhsa_dx10_clamp 1
		.amdhsa_ieee_mode 1
		.amdhsa_fp16_overflow 0
		.amdhsa_workgroup_processor_mode 1
		.amdhsa_memory_ordered 1
		.amdhsa_forward_progress 0
		.amdhsa_shared_vgpr_count 0
		.amdhsa_exception_fp_ieee_invalid_op 0
		.amdhsa_exception_fp_denorm_src 0
		.amdhsa_exception_fp_ieee_div_zero 0
		.amdhsa_exception_fp_ieee_overflow 0
		.amdhsa_exception_fp_ieee_underflow 0
		.amdhsa_exception_fp_ieee_inexact 0
		.amdhsa_exception_int_div_zero 0
	.end_amdhsa_kernel
	.section	.text._ZN2at6native29vectorized_elementwise_kernelILi2EZZZNS0_17expm1_kernel_cudaERNS_18TensorIteratorBaseEENKUlvE_clEvENKUlvE1_clEvEUlN3c107complexIdEEE_St5arrayIPcLm2EEEEviT0_T1_,"axG",@progbits,_ZN2at6native29vectorized_elementwise_kernelILi2EZZZNS0_17expm1_kernel_cudaERNS_18TensorIteratorBaseEENKUlvE_clEvENKUlvE1_clEvEUlN3c107complexIdEEE_St5arrayIPcLm2EEEEviT0_T1_,comdat
.Lfunc_end127:
	.size	_ZN2at6native29vectorized_elementwise_kernelILi2EZZZNS0_17expm1_kernel_cudaERNS_18TensorIteratorBaseEENKUlvE_clEvENKUlvE1_clEvEUlN3c107complexIdEEE_St5arrayIPcLm2EEEEviT0_T1_, .Lfunc_end127-_ZN2at6native29vectorized_elementwise_kernelILi2EZZZNS0_17expm1_kernel_cudaERNS_18TensorIteratorBaseEENKUlvE_clEvENKUlvE1_clEvEUlN3c107complexIdEEE_St5arrayIPcLm2EEEEviT0_T1_
                                        ; -- End function
	.section	.AMDGPU.csdata,"",@progbits
; Kernel info:
; codeLenInByte = 17452
; NumSgprs: 40
; NumVgprs: 170
; ScratchSize: 0
; MemoryBound: 0
; FloatMode: 240
; IeeeMode: 1
; LDSByteSize: 0 bytes/workgroup (compile time only)
; SGPRBlocks: 4
; VGPRBlocks: 21
; NumSGPRsForWavesPerEU: 40
; NumVGPRsForWavesPerEU: 170
; Occupancy: 8
; WaveLimiterHint : 1
; COMPUTE_PGM_RSRC2:SCRATCH_EN: 0
; COMPUTE_PGM_RSRC2:USER_SGPR: 15
; COMPUTE_PGM_RSRC2:TRAP_HANDLER: 0
; COMPUTE_PGM_RSRC2:TGID_X_EN: 1
; COMPUTE_PGM_RSRC2:TGID_Y_EN: 0
; COMPUTE_PGM_RSRC2:TGID_Z_EN: 0
; COMPUTE_PGM_RSRC2:TIDIG_COMP_CNT: 0
	.section	.text._ZN2at6native27unrolled_elementwise_kernelIZZZNS0_17expm1_kernel_cudaERNS_18TensorIteratorBaseEENKUlvE_clEvENKUlvE1_clEvEUlN3c107complexIdEEE_St5arrayIPcLm2EELi4E23TrivialOffsetCalculatorILi1EjESE_NS0_6memory15LoadWithoutCastENSF_16StoreWithoutCastEEEviT_T0_T2_T3_T4_T5_,"axG",@progbits,_ZN2at6native27unrolled_elementwise_kernelIZZZNS0_17expm1_kernel_cudaERNS_18TensorIteratorBaseEENKUlvE_clEvENKUlvE1_clEvEUlN3c107complexIdEEE_St5arrayIPcLm2EELi4E23TrivialOffsetCalculatorILi1EjESE_NS0_6memory15LoadWithoutCastENSF_16StoreWithoutCastEEEviT_T0_T2_T3_T4_T5_,comdat
	.globl	_ZN2at6native27unrolled_elementwise_kernelIZZZNS0_17expm1_kernel_cudaERNS_18TensorIteratorBaseEENKUlvE_clEvENKUlvE1_clEvEUlN3c107complexIdEEE_St5arrayIPcLm2EELi4E23TrivialOffsetCalculatorILi1EjESE_NS0_6memory15LoadWithoutCastENSF_16StoreWithoutCastEEEviT_T0_T2_T3_T4_T5_ ; -- Begin function _ZN2at6native27unrolled_elementwise_kernelIZZZNS0_17expm1_kernel_cudaERNS_18TensorIteratorBaseEENKUlvE_clEvENKUlvE1_clEvEUlN3c107complexIdEEE_St5arrayIPcLm2EELi4E23TrivialOffsetCalculatorILi1EjESE_NS0_6memory15LoadWithoutCastENSF_16StoreWithoutCastEEEviT_T0_T2_T3_T4_T5_
	.p2align	8
	.type	_ZN2at6native27unrolled_elementwise_kernelIZZZNS0_17expm1_kernel_cudaERNS_18TensorIteratorBaseEENKUlvE_clEvENKUlvE1_clEvEUlN3c107complexIdEEE_St5arrayIPcLm2EELi4E23TrivialOffsetCalculatorILi1EjESE_NS0_6memory15LoadWithoutCastENSF_16StoreWithoutCastEEEviT_T0_T2_T3_T4_T5_,@function
_ZN2at6native27unrolled_elementwise_kernelIZZZNS0_17expm1_kernel_cudaERNS_18TensorIteratorBaseEENKUlvE_clEvENKUlvE1_clEvEUlN3c107complexIdEEE_St5arrayIPcLm2EELi4E23TrivialOffsetCalculatorILi1EjESE_NS0_6memory15LoadWithoutCastENSF_16StoreWithoutCastEEEviT_T0_T2_T3_T4_T5_: ; @_ZN2at6native27unrolled_elementwise_kernelIZZZNS0_17expm1_kernel_cudaERNS_18TensorIteratorBaseEENKUlvE_clEvENKUlvE1_clEvEUlN3c107complexIdEEE_St5arrayIPcLm2EELi4E23TrivialOffsetCalculatorILi1EjESE_NS0_6memory15LoadWithoutCastENSF_16StoreWithoutCastEEEviT_T0_T2_T3_T4_T5_
; %bb.0:
	s_clause 0x1
	s_load_b32 s6, s[0:1], 0x0
	s_load_b128 s[0:3], s[0:1], 0x8
	s_lshl_b32 s7, s15, 10
	s_getpc_b64 s[4:5]
	s_add_u32 s4, s4, _ZN2at6native25elementwise_kernel_helperILb0EZZZNS0_17expm1_kernel_cudaERNS_18TensorIteratorBaseEENKUlvE_clEvENKUlvE1_clEvEUlN3c107complexIdEEE_NS0_6memory8policies11unroll_baseILi256ESt5arrayIPcLm2EE23TrivialOffsetCalculatorILi1EjESH_NSA_15LoadWithoutCastENSA_16StoreWithoutCastELi4ELi1EEEEEvT0_T1_@rel32@lo+4
	s_addc_u32 s5, s5, _ZN2at6native25elementwise_kernel_helperILb0EZZZNS0_17expm1_kernel_cudaERNS_18TensorIteratorBaseEENKUlvE_clEvENKUlvE1_clEvEUlN3c107complexIdEEE_NS0_6memory8policies11unroll_baseILi256ESt5arrayIPcLm2EE23TrivialOffsetCalculatorILi1EjESH_NSA_15LoadWithoutCastENSA_16StoreWithoutCastELi4ELi1EEEEEvT0_T1_@rel32@hi+12
	v_mov_b32_e32 v31, v0
	s_mov_b32 s12, s15
	s_mov_b32 s32, 0
	s_waitcnt lgkmcnt(0)
	s_sub_i32 s6, s6, s7
	v_dual_mov_b32 v0, s0 :: v_dual_mov_b32 v1, s1
	v_dual_mov_b32 v2, s2 :: v_dual_mov_b32 v3, s3
	v_mov_b32_e32 v4, s6
	s_swappc_b64 s[30:31], s[4:5]
	s_endpgm
	.section	.rodata,"a",@progbits
	.p2align	6, 0x0
	.amdhsa_kernel _ZN2at6native27unrolled_elementwise_kernelIZZZNS0_17expm1_kernel_cudaERNS_18TensorIteratorBaseEENKUlvE_clEvENKUlvE1_clEvEUlN3c107complexIdEEE_St5arrayIPcLm2EELi4E23TrivialOffsetCalculatorILi1EjESE_NS0_6memory15LoadWithoutCastENSF_16StoreWithoutCastEEEviT_T0_T2_T3_T4_T5_
		.amdhsa_group_segment_fixed_size 0
		.amdhsa_private_segment_fixed_size 0
		.amdhsa_kernarg_size 28
		.amdhsa_user_sgpr_count 15
		.amdhsa_user_sgpr_dispatch_ptr 0
		.amdhsa_user_sgpr_queue_ptr 0
		.amdhsa_user_sgpr_kernarg_segment_ptr 1
		.amdhsa_user_sgpr_dispatch_id 0
		.amdhsa_user_sgpr_private_segment_size 0
		.amdhsa_wavefront_size32 1
		.amdhsa_uses_dynamic_stack 0
		.amdhsa_enable_private_segment 0
		.amdhsa_system_sgpr_workgroup_id_x 1
		.amdhsa_system_sgpr_workgroup_id_y 0
		.amdhsa_system_sgpr_workgroup_id_z 0
		.amdhsa_system_sgpr_workgroup_info 0
		.amdhsa_system_vgpr_workitem_id 0
		.amdhsa_next_free_vgpr 147
		.amdhsa_next_free_sgpr 33
		.amdhsa_reserve_vcc 1
		.amdhsa_float_round_mode_32 0
		.amdhsa_float_round_mode_16_64 0
		.amdhsa_float_denorm_mode_32 3
		.amdhsa_float_denorm_mode_16_64 3
		.amdhsa_dx10_clamp 1
		.amdhsa_ieee_mode 1
		.amdhsa_fp16_overflow 0
		.amdhsa_workgroup_processor_mode 1
		.amdhsa_memory_ordered 1
		.amdhsa_forward_progress 0
		.amdhsa_shared_vgpr_count 0
		.amdhsa_exception_fp_ieee_invalid_op 0
		.amdhsa_exception_fp_denorm_src 0
		.amdhsa_exception_fp_ieee_div_zero 0
		.amdhsa_exception_fp_ieee_overflow 0
		.amdhsa_exception_fp_ieee_underflow 0
		.amdhsa_exception_fp_ieee_inexact 0
		.amdhsa_exception_int_div_zero 0
	.end_amdhsa_kernel
	.section	.text._ZN2at6native27unrolled_elementwise_kernelIZZZNS0_17expm1_kernel_cudaERNS_18TensorIteratorBaseEENKUlvE_clEvENKUlvE1_clEvEUlN3c107complexIdEEE_St5arrayIPcLm2EELi4E23TrivialOffsetCalculatorILi1EjESE_NS0_6memory15LoadWithoutCastENSF_16StoreWithoutCastEEEviT_T0_T2_T3_T4_T5_,"axG",@progbits,_ZN2at6native27unrolled_elementwise_kernelIZZZNS0_17expm1_kernel_cudaERNS_18TensorIteratorBaseEENKUlvE_clEvENKUlvE1_clEvEUlN3c107complexIdEEE_St5arrayIPcLm2EELi4E23TrivialOffsetCalculatorILi1EjESE_NS0_6memory15LoadWithoutCastENSF_16StoreWithoutCastEEEviT_T0_T2_T3_T4_T5_,comdat
.Lfunc_end128:
	.size	_ZN2at6native27unrolled_elementwise_kernelIZZZNS0_17expm1_kernel_cudaERNS_18TensorIteratorBaseEENKUlvE_clEvENKUlvE1_clEvEUlN3c107complexIdEEE_St5arrayIPcLm2EELi4E23TrivialOffsetCalculatorILi1EjESE_NS0_6memory15LoadWithoutCastENSF_16StoreWithoutCastEEEviT_T0_T2_T3_T4_T5_, .Lfunc_end128-_ZN2at6native27unrolled_elementwise_kernelIZZZNS0_17expm1_kernel_cudaERNS_18TensorIteratorBaseEENKUlvE_clEvENKUlvE1_clEvEUlN3c107complexIdEEE_St5arrayIPcLm2EELi4E23TrivialOffsetCalculatorILi1EjESE_NS0_6memory15LoadWithoutCastENSF_16StoreWithoutCastEEEviT_T0_T2_T3_T4_T5_
                                        ; -- End function
	.section	.AMDGPU.csdata,"",@progbits
; Kernel info:
; codeLenInByte = 92
; NumSgprs: 35
; NumVgprs: 147
; ScratchSize: 0
; MemoryBound: 0
; FloatMode: 240
; IeeeMode: 1
; LDSByteSize: 0 bytes/workgroup (compile time only)
; SGPRBlocks: 4
; VGPRBlocks: 18
; NumSGPRsForWavesPerEU: 35
; NumVGPRsForWavesPerEU: 147
; Occupancy: 9
; WaveLimiterHint : 0
; COMPUTE_PGM_RSRC2:SCRATCH_EN: 0
; COMPUTE_PGM_RSRC2:USER_SGPR: 15
; COMPUTE_PGM_RSRC2:TRAP_HANDLER: 0
; COMPUTE_PGM_RSRC2:TGID_X_EN: 1
; COMPUTE_PGM_RSRC2:TGID_Y_EN: 0
; COMPUTE_PGM_RSRC2:TGID_Z_EN: 0
; COMPUTE_PGM_RSRC2:TIDIG_COMP_CNT: 0
	.section	.text._ZN2at6native32elementwise_kernel_manual_unrollILi128ELi4EZNS0_22gpu_kernel_impl_nocastIZZZNS0_17expm1_kernel_cudaERNS_18TensorIteratorBaseEENKUlvE_clEvENKUlvE1_clEvEUlN3c107complexIdEEE_EEvS4_RKT_EUlibE_EEviT1_,"axG",@progbits,_ZN2at6native32elementwise_kernel_manual_unrollILi128ELi4EZNS0_22gpu_kernel_impl_nocastIZZZNS0_17expm1_kernel_cudaERNS_18TensorIteratorBaseEENKUlvE_clEvENKUlvE1_clEvEUlN3c107complexIdEEE_EEvS4_RKT_EUlibE_EEviT1_,comdat
	.globl	_ZN2at6native32elementwise_kernel_manual_unrollILi128ELi4EZNS0_22gpu_kernel_impl_nocastIZZZNS0_17expm1_kernel_cudaERNS_18TensorIteratorBaseEENKUlvE_clEvENKUlvE1_clEvEUlN3c107complexIdEEE_EEvS4_RKT_EUlibE_EEviT1_ ; -- Begin function _ZN2at6native32elementwise_kernel_manual_unrollILi128ELi4EZNS0_22gpu_kernel_impl_nocastIZZZNS0_17expm1_kernel_cudaERNS_18TensorIteratorBaseEENKUlvE_clEvENKUlvE1_clEvEUlN3c107complexIdEEE_EEvS4_RKT_EUlibE_EEviT1_
	.p2align	8
	.type	_ZN2at6native32elementwise_kernel_manual_unrollILi128ELi4EZNS0_22gpu_kernel_impl_nocastIZZZNS0_17expm1_kernel_cudaERNS_18TensorIteratorBaseEENKUlvE_clEvENKUlvE1_clEvEUlN3c107complexIdEEE_EEvS4_RKT_EUlibE_EEviT1_,@function
_ZN2at6native32elementwise_kernel_manual_unrollILi128ELi4EZNS0_22gpu_kernel_impl_nocastIZZZNS0_17expm1_kernel_cudaERNS_18TensorIteratorBaseEENKUlvE_clEvENKUlvE1_clEvEUlN3c107complexIdEEE_EEvS4_RKT_EUlibE_EEviT1_: ; @_ZN2at6native32elementwise_kernel_manual_unrollILi128ELi4EZNS0_22gpu_kernel_impl_nocastIZZZNS0_17expm1_kernel_cudaERNS_18TensorIteratorBaseEENKUlvE_clEvENKUlvE1_clEvEUlN3c107complexIdEEE_EEvS4_RKT_EUlibE_EEviT1_
; %bb.0:
	s_clause 0x1
	s_load_b32 s9, s[0:1], 0x8
	s_load_b32 s31, s[0:1], 0x0
	v_lshl_or_b32 v27, s15, 9, v0
	s_or_b32 s0, s0, 8
	s_mov_b32 s30, 0
                                        ; implicit-def: $vgpr0_vgpr1
                                        ; implicit-def: $vgpr2_vgpr3
	s_mov_b32 s2, exec_lo
	s_delay_alu instid0(VALU_DEP_1) | instskip(SKIP_2) | instid1(SALU_CYCLE_1)
	v_or_b32_e32 v5, 0x180, v27
	s_waitcnt lgkmcnt(0)
	s_add_i32 s26, s9, -1
	s_cmp_gt_u32 s26, 1
	s_cselect_b32 s27, -1, 0
	v_cmpx_le_i32_e64 s31, v5
	s_xor_b32 s28, exec_lo, s2
	s_cbranch_execz .LBB129_7
; %bb.1:
	s_clause 0x3
	s_load_b128 s[20:23], s[0:1], 0x4
	s_load_b64 s[10:11], s[0:1], 0x14
	s_load_b128 s[16:19], s[0:1], 0xc4
	s_load_b128 s[12:15], s[0:1], 0x148
	s_cmp_lg_u32 s9, 0
	s_mov_b32 s34, exec_lo
	s_cselect_b32 s33, -1, 0
	s_add_u32 s24, s0, 0xc4
	s_addc_u32 s25, s1, 0
	s_min_u32 s30, s26, 15
	s_cmp_gt_u32 s9, 1
	s_cselect_b32 s29, -1, 0
	v_cmpx_gt_i32_e64 s31, v27
	s_cbranch_execz .LBB129_14
; %bb.2:
	s_and_not1_b32 vcc_lo, exec_lo, s27
	s_cbranch_vccnz .LBB129_21
; %bb.3:
	v_mov_b32_e32 v4, 0
	v_mov_b32_e32 v0, 0
	s_and_not1_b32 vcc_lo, exec_lo, s33
	s_mov_b32 s6, 0
	s_cbranch_vccnz .LBB129_122
; %bb.4:
	v_mov_b32_e32 v4, 0
	s_add_i32 s8, s30, 1
	s_cmp_eq_u32 s26, 2
	s_mov_b32 s7, 0
	s_cbranch_scc1 .LBB129_118
; %bb.5:
	v_dual_mov_b32 v0, 0 :: v_dual_mov_b32 v1, v27
	v_mov_b32_e32 v4, 0
	s_and_b32 s7, s8, 28
	s_mov_b32 s35, 0
	s_mov_b64 s[2:3], s[24:25]
	s_mov_b64 s[4:5], s[0:1]
.LBB129_6:                              ; =>This Inner Loop Header: Depth=1
	s_clause 0x1
	s_load_b256 s[36:43], s[4:5], 0x4
	s_load_b128 s[52:55], s[4:5], 0x24
	s_load_b256 s[44:51], s[2:3], 0x0
	s_add_u32 s4, s4, 48
	s_addc_u32 s5, s5, 0
	s_add_i32 s35, s35, 4
	s_add_u32 s2, s2, 32
	s_addc_u32 s3, s3, 0
	s_cmp_lg_u32 s7, s35
	s_waitcnt lgkmcnt(0)
	v_mul_hi_u32 v2, s37, v1
	s_delay_alu instid0(VALU_DEP_1) | instskip(NEXT) | instid1(VALU_DEP_1)
	v_add_nc_u32_e32 v2, v1, v2
	v_lshrrev_b32_e32 v2, s38, v2
	s_delay_alu instid0(VALU_DEP_1) | instskip(SKIP_1) | instid1(VALU_DEP_2)
	v_mul_hi_u32 v3, s40, v2
	v_mul_lo_u32 v6, v2, s36
	v_add_nc_u32_e32 v3, v2, v3
	s_delay_alu instid0(VALU_DEP_2) | instskip(NEXT) | instid1(VALU_DEP_2)
	v_sub_nc_u32_e32 v1, v1, v6
	v_lshrrev_b32_e32 v3, s41, v3
	s_delay_alu instid0(VALU_DEP_2) | instskip(SKIP_1) | instid1(VALU_DEP_3)
	v_mul_lo_u32 v6, v1, s44
	v_mul_lo_u32 v8, v1, s45
	v_mul_hi_u32 v5, s43, v3
	s_delay_alu instid0(VALU_DEP_1) | instskip(NEXT) | instid1(VALU_DEP_1)
	v_add_nc_u32_e32 v5, v3, v5
	v_lshrrev_b32_e32 v5, s52, v5
	s_delay_alu instid0(VALU_DEP_1) | instskip(SKIP_1) | instid1(VALU_DEP_2)
	v_mul_hi_u32 v7, s54, v5
	v_mul_lo_u32 v9, v5, s42
	v_add_nc_u32_e32 v1, v5, v7
	v_mul_lo_u32 v7, v3, s39
	s_delay_alu instid0(VALU_DEP_3) | instskip(NEXT) | instid1(VALU_DEP_3)
	v_sub_nc_u32_e32 v3, v3, v9
	v_lshrrev_b32_e32 v1, s55, v1
	s_delay_alu instid0(VALU_DEP_2) | instskip(SKIP_2) | instid1(VALU_DEP_4)
	v_mul_lo_u32 v9, v3, s48
	v_mul_lo_u32 v3, v3, s49
	v_sub_nc_u32_e32 v2, v2, v7
	v_mul_lo_u32 v10, v1, s53
	s_delay_alu instid0(VALU_DEP_2) | instskip(SKIP_1) | instid1(VALU_DEP_3)
	v_mul_lo_u32 v7, v2, s46
	v_mul_lo_u32 v2, v2, s47
	v_sub_nc_u32_e32 v5, v5, v10
	s_delay_alu instid0(VALU_DEP_3) | instskip(NEXT) | instid1(VALU_DEP_2)
	v_add3_u32 v4, v6, v4, v7
	v_mul_lo_u32 v10, v5, s50
	v_mul_lo_u32 v5, v5, s51
	v_add3_u32 v0, v8, v0, v2
	s_delay_alu instid0(VALU_DEP_3) | instskip(NEXT) | instid1(VALU_DEP_2)
	v_add3_u32 v4, v9, v4, v10
	v_add3_u32 v0, v3, v0, v5
	s_cbranch_scc1 .LBB129_6
	s_branch .LBB129_119
.LBB129_7:
	s_and_not1_saveexec_b32 s31, s28
	s_cbranch_execz .LBB129_213
.LBB129_8:
	v_cndmask_b32_e64 v1, 0, 1, s27
	s_and_not1_b32 vcc_lo, exec_lo, s27
	s_cbranch_vccnz .LBB129_20
; %bb.9:
	v_mov_b32_e32 v16, 0
	v_mov_b32_e32 v0, 0
	s_cmp_lg_u32 s9, 0
	s_mov_b32 s6, 0
	s_cbranch_scc0 .LBB129_26
; %bb.10:
	s_min_u32 s7, s26, 15
	v_mov_b32_e32 v16, 0
	s_add_i32 s7, s7, 1
	s_cmp_eq_u32 s26, 2
	s_mov_b32 s8, 0
	s_cbranch_scc1 .LBB129_23
; %bb.11:
	v_mov_b32_e32 v0, 0
	v_mov_b32_e32 v16, 0
	;; [unrolled: 1-line block ×3, first 2 shown]
	s_add_u32 s2, s0, 0xc4
	s_addc_u32 s3, s1, 0
	s_and_b32 s8, s7, 28
	s_waitcnt lgkmcnt(0)
	s_mov_b32 s10, 0
	s_mov_b64 s[4:5], s[0:1]
.LBB129_12:                             ; =>This Inner Loop Header: Depth=1
	s_clause 0x1
	s_load_b256 s[12:19], s[4:5], 0x4
	s_load_b128 s[20:23], s[4:5], 0x24
	s_load_b256 s[36:43], s[2:3], 0x0
	s_add_u32 s4, s4, 48
	s_addc_u32 s5, s5, 0
	s_add_i32 s10, s10, 4
	s_add_u32 s2, s2, 32
	s_addc_u32 s3, s3, 0
	s_cmp_lg_u32 s8, s10
	s_waitcnt lgkmcnt(0)
	v_mul_hi_u32 v3, s13, v2
	s_delay_alu instid0(VALU_DEP_1) | instskip(NEXT) | instid1(VALU_DEP_1)
	v_add_nc_u32_e32 v3, v2, v3
	v_lshrrev_b32_e32 v3, s14, v3
	s_delay_alu instid0(VALU_DEP_1) | instskip(SKIP_1) | instid1(VALU_DEP_2)
	v_mul_hi_u32 v4, s16, v3
	v_mul_lo_u32 v7, v3, s12
	v_add_nc_u32_e32 v4, v3, v4
	s_delay_alu instid0(VALU_DEP_2) | instskip(NEXT) | instid1(VALU_DEP_2)
	v_sub_nc_u32_e32 v2, v2, v7
	v_lshrrev_b32_e32 v4, s17, v4
	s_delay_alu instid0(VALU_DEP_2) | instskip(SKIP_1) | instid1(VALU_DEP_3)
	v_mul_lo_u32 v7, v2, s36
	v_mul_lo_u32 v9, v2, s37
	v_mul_hi_u32 v6, s19, v4
	s_delay_alu instid0(VALU_DEP_1) | instskip(NEXT) | instid1(VALU_DEP_1)
	v_add_nc_u32_e32 v6, v4, v6
	v_lshrrev_b32_e32 v6, s20, v6
	s_delay_alu instid0(VALU_DEP_1) | instskip(SKIP_1) | instid1(VALU_DEP_2)
	v_mul_hi_u32 v8, s22, v6
	v_mul_lo_u32 v10, v6, s18
	v_add_nc_u32_e32 v2, v6, v8
	v_mul_lo_u32 v8, v4, s15
	s_delay_alu instid0(VALU_DEP_3) | instskip(NEXT) | instid1(VALU_DEP_3)
	v_sub_nc_u32_e32 v4, v4, v10
	v_lshrrev_b32_e32 v2, s23, v2
	s_delay_alu instid0(VALU_DEP_2) | instskip(SKIP_2) | instid1(VALU_DEP_4)
	v_mul_lo_u32 v10, v4, s40
	v_mul_lo_u32 v4, v4, s41
	v_sub_nc_u32_e32 v3, v3, v8
	v_mul_lo_u32 v11, v2, s21
	s_delay_alu instid0(VALU_DEP_2) | instskip(SKIP_1) | instid1(VALU_DEP_3)
	v_mul_lo_u32 v8, v3, s38
	v_mul_lo_u32 v3, v3, s39
	v_sub_nc_u32_e32 v6, v6, v11
	s_delay_alu instid0(VALU_DEP_3) | instskip(NEXT) | instid1(VALU_DEP_2)
	v_add3_u32 v7, v7, v16, v8
	v_mul_lo_u32 v11, v6, s42
	v_mul_lo_u32 v6, v6, s43
	v_add3_u32 v0, v9, v0, v3
	s_delay_alu instid0(VALU_DEP_3) | instskip(NEXT) | instid1(VALU_DEP_2)
	v_add3_u32 v16, v10, v7, v11
	v_add3_u32 v0, v4, v0, v6
	s_cbranch_scc1 .LBB129_12
; %bb.13:
	s_and_b32 s7, s7, 3
	s_delay_alu instid0(SALU_CYCLE_1)
	s_cmp_eq_u32 s7, 0
	s_cbranch_scc0 .LBB129_24
	s_branch .LBB129_26
.LBB129_14:
	s_or_b32 exec_lo, exec_lo, s34
	s_delay_alu instid0(SALU_CYCLE_1)
	s_mov_b32 s34, exec_lo
	v_cmpx_gt_i32_e64 s31, v27
	s_cbranch_execz .LBB129_138
.LBB129_15:
	s_and_not1_b32 vcc_lo, exec_lo, s27
	s_cbranch_vccnz .LBB129_22
; %bb.16:
	v_mov_b32_e32 v4, 0
	v_mov_b32_e32 v0, 0
	s_and_not1_b32 vcc_lo, exec_lo, s33
	s_mov_b32 s6, 0
	s_cbranch_vccnz .LBB129_143
; %bb.17:
	v_mov_b32_e32 v4, 0
	s_add_i32 s8, s30, 1
	s_cmp_eq_u32 s26, 2
	s_mov_b32 s7, 0
	s_cbranch_scc1 .LBB129_139
; %bb.18:
	v_dual_mov_b32 v0, 0 :: v_dual_mov_b32 v1, v27
	v_mov_b32_e32 v4, 0
	s_and_b32 s7, s8, 28
	s_mov_b32 s35, 0
	s_mov_b64 s[2:3], s[24:25]
	s_mov_b64 s[4:5], s[0:1]
.LBB129_19:                             ; =>This Inner Loop Header: Depth=1
	s_clause 0x1
	s_load_b256 s[36:43], s[4:5], 0x4
	s_load_b128 s[52:55], s[4:5], 0x24
	s_load_b256 s[44:51], s[2:3], 0x0
	s_add_u32 s4, s4, 48
	s_addc_u32 s5, s5, 0
	s_add_i32 s35, s35, 4
	s_add_u32 s2, s2, 32
	s_addc_u32 s3, s3, 0
	s_cmp_eq_u32 s7, s35
	s_waitcnt lgkmcnt(0)
	v_mul_hi_u32 v2, s37, v1
	s_delay_alu instid0(VALU_DEP_1) | instskip(NEXT) | instid1(VALU_DEP_1)
	v_add_nc_u32_e32 v2, v1, v2
	v_lshrrev_b32_e32 v2, s38, v2
	s_delay_alu instid0(VALU_DEP_1) | instskip(SKIP_1) | instid1(VALU_DEP_2)
	v_mul_hi_u32 v3, s40, v2
	v_mul_lo_u32 v6, v2, s36
	v_add_nc_u32_e32 v3, v2, v3
	s_delay_alu instid0(VALU_DEP_2) | instskip(NEXT) | instid1(VALU_DEP_2)
	v_sub_nc_u32_e32 v1, v1, v6
	v_lshrrev_b32_e32 v3, s41, v3
	s_delay_alu instid0(VALU_DEP_2) | instskip(SKIP_1) | instid1(VALU_DEP_3)
	v_mul_lo_u32 v6, v1, s44
	v_mul_lo_u32 v8, v1, s45
	v_mul_hi_u32 v5, s43, v3
	s_delay_alu instid0(VALU_DEP_1) | instskip(NEXT) | instid1(VALU_DEP_1)
	v_add_nc_u32_e32 v5, v3, v5
	v_lshrrev_b32_e32 v5, s52, v5
	s_delay_alu instid0(VALU_DEP_1) | instskip(SKIP_1) | instid1(VALU_DEP_2)
	v_mul_hi_u32 v7, s54, v5
	v_mul_lo_u32 v9, v5, s42
	v_add_nc_u32_e32 v1, v5, v7
	v_mul_lo_u32 v7, v3, s39
	s_delay_alu instid0(VALU_DEP_3) | instskip(NEXT) | instid1(VALU_DEP_3)
	v_sub_nc_u32_e32 v3, v3, v9
	v_lshrrev_b32_e32 v1, s55, v1
	s_delay_alu instid0(VALU_DEP_2) | instskip(SKIP_2) | instid1(VALU_DEP_4)
	v_mul_lo_u32 v9, v3, s48
	v_mul_lo_u32 v3, v3, s49
	v_sub_nc_u32_e32 v2, v2, v7
	v_mul_lo_u32 v10, v1, s53
	s_delay_alu instid0(VALU_DEP_2) | instskip(SKIP_1) | instid1(VALU_DEP_3)
	v_mul_lo_u32 v7, v2, s46
	v_mul_lo_u32 v2, v2, s47
	v_sub_nc_u32_e32 v5, v5, v10
	s_delay_alu instid0(VALU_DEP_3) | instskip(NEXT) | instid1(VALU_DEP_2)
	v_add3_u32 v4, v6, v4, v7
	v_mul_lo_u32 v10, v5, s50
	v_mul_lo_u32 v5, v5, s51
	v_add3_u32 v0, v8, v0, v2
	s_delay_alu instid0(VALU_DEP_3) | instskip(NEXT) | instid1(VALU_DEP_2)
	v_add3_u32 v4, v9, v4, v10
	v_add3_u32 v0, v3, v0, v5
	s_cbranch_scc0 .LBB129_19
	s_branch .LBB129_140
.LBB129_20:
	s_mov_b32 s6, -1
                                        ; implicit-def: $vgpr16
                                        ; implicit-def: $vgpr0
	s_branch .LBB129_26
.LBB129_21:
	s_mov_b32 s6, -1
                                        ; implicit-def: $vgpr4
                                        ; implicit-def: $vgpr0
	s_branch .LBB129_122
.LBB129_22:
	s_mov_b32 s6, -1
                                        ; implicit-def: $vgpr4
                                        ; implicit-def: $vgpr0
	s_branch .LBB129_143
.LBB129_23:
	v_mov_b32_e32 v2, v27
	v_mov_b32_e32 v0, 0
	s_and_b32 s7, s7, 3
	s_delay_alu instid0(SALU_CYCLE_1)
	s_cmp_eq_u32 s7, 0
	s_cbranch_scc1 .LBB129_26
.LBB129_24:
	s_lshl_b32 s2, s8, 3
	s_mul_i32 s4, s8, 12
	s_add_u32 s2, s2, s0
	s_addc_u32 s3, 0, s1
	s_add_u32 s2, s2, 0xc4
	s_addc_u32 s3, s3, 0
	;; [unrolled: 2-line block ×3, first 2 shown]
	.p2align	6
.LBB129_25:                             ; =>This Inner Loop Header: Depth=1
	s_waitcnt lgkmcnt(0)
	s_clause 0x1
	s_load_b64 s[10:11], s[4:5], 0x4
	s_load_b32 s8, s[4:5], 0xc
	s_load_b64 s[12:13], s[2:3], 0x0
	s_add_u32 s4, s4, 12
	s_addc_u32 s5, s5, 0
	s_add_u32 s2, s2, 8
	s_addc_u32 s3, s3, 0
	s_add_i32 s7, s7, -1
	s_delay_alu instid0(SALU_CYCLE_1) | instskip(SKIP_2) | instid1(VALU_DEP_1)
	s_cmp_lg_u32 s7, 0
	s_waitcnt lgkmcnt(0)
	v_mul_hi_u32 v3, s11, v2
	v_add_nc_u32_e32 v3, v2, v3
	s_delay_alu instid0(VALU_DEP_1) | instskip(NEXT) | instid1(VALU_DEP_1)
	v_lshrrev_b32_e32 v8, s8, v3
	v_mul_lo_u32 v3, v8, s10
	s_delay_alu instid0(VALU_DEP_1) | instskip(NEXT) | instid1(VALU_DEP_1)
	v_sub_nc_u32_e32 v2, v2, v3
	v_mad_u64_u32 v[3:4], null, v2, s12, v[16:17]
	v_mad_u64_u32 v[6:7], null, v2, s13, v[0:1]
	v_mov_b32_e32 v2, v8
	s_delay_alu instid0(VALU_DEP_3) | instskip(NEXT) | instid1(VALU_DEP_3)
	v_mov_b32_e32 v16, v3
	v_mov_b32_e32 v0, v6
	s_cbranch_scc1 .LBB129_25
.LBB129_26:
	s_and_not1_b32 vcc_lo, exec_lo, s6
	s_cbranch_vccnz .LBB129_29
; %bb.27:
	s_clause 0x1
	s_load_b128 s[4:7], s[0:1], 0x4
	s_load_b64 s[2:3], s[0:1], 0xc4
	s_cmp_lt_u32 s9, 2
	s_waitcnt lgkmcnt(0)
	v_mul_hi_u32 v0, s5, v27
	s_delay_alu instid0(VALU_DEP_1) | instskip(NEXT) | instid1(VALU_DEP_1)
	v_add_nc_u32_e32 v0, v27, v0
	v_lshrrev_b32_e32 v2, s6, v0
	s_delay_alu instid0(VALU_DEP_1) | instskip(NEXT) | instid1(VALU_DEP_1)
	v_mul_lo_u32 v0, v2, s4
	v_sub_nc_u32_e32 v0, v27, v0
	s_delay_alu instid0(VALU_DEP_1)
	v_mul_lo_u32 v16, v0, s2
	v_mul_lo_u32 v0, v0, s3
	s_cbranch_scc1 .LBB129_29
; %bb.28:
	s_clause 0x1
	s_load_b128 s[4:7], s[0:1], 0x10
	s_load_b64 s[2:3], s[0:1], 0xcc
	s_waitcnt lgkmcnt(0)
	v_mul_hi_u32 v3, s5, v2
	s_delay_alu instid0(VALU_DEP_1) | instskip(NEXT) | instid1(VALU_DEP_1)
	v_add_nc_u32_e32 v3, v2, v3
	v_lshrrev_b32_e32 v3, s6, v3
	s_delay_alu instid0(VALU_DEP_1) | instskip(NEXT) | instid1(VALU_DEP_1)
	v_mul_lo_u32 v3, v3, s4
	v_sub_nc_u32_e32 v6, v2, v3
	s_delay_alu instid0(VALU_DEP_1) | instskip(SKIP_1) | instid1(VALU_DEP_2)
	v_mad_u64_u32 v[2:3], null, v6, s2, v[16:17]
	v_mad_u64_u32 v[3:4], null, v6, s3, v[0:1]
	v_mov_b32_e32 v16, v2
	s_delay_alu instid0(VALU_DEP_2)
	v_mov_b32_e32 v0, v3
.LBB129_29:
	v_cmp_ne_u32_e32 vcc_lo, 1, v1
	v_add_nc_u32_e32 v2, 0x80, v27
	s_cbranch_vccnz .LBB129_35
; %bb.30:
	v_dual_mov_b32 v17, 0 :: v_dual_mov_b32 v4, 0
	s_cmp_lg_u32 s9, 0
	s_mov_b32 s6, 0
	s_cbranch_scc0 .LBB129_39
; %bb.31:
	s_min_u32 s7, s26, 15
	v_mov_b32_e32 v17, 0
	s_add_i32 s7, s7, 1
	s_cmp_eq_u32 s26, 2
	s_mov_b32 s8, 0
	s_cbranch_scc1 .LBB129_36
; %bb.32:
	v_dual_mov_b32 v4, 0 :: v_dual_mov_b32 v17, 0
	v_mov_b32_e32 v3, v2
	s_add_u32 s2, s0, 0xc4
	s_addc_u32 s3, s1, 0
	s_and_b32 s8, s7, 28
	s_waitcnt lgkmcnt(0)
	s_mov_b32 s10, 0
	s_mov_b64 s[4:5], s[0:1]
.LBB129_33:                             ; =>This Inner Loop Header: Depth=1
	s_clause 0x1
	s_load_b256 s[12:19], s[4:5], 0x4
	s_load_b128 s[20:23], s[4:5], 0x24
	s_load_b256 s[36:43], s[2:3], 0x0
	s_add_u32 s4, s4, 48
	s_addc_u32 s5, s5, 0
	s_add_i32 s10, s10, 4
	s_add_u32 s2, s2, 32
	s_addc_u32 s3, s3, 0
	s_cmp_lg_u32 s8, s10
	s_waitcnt lgkmcnt(0)
	v_mul_hi_u32 v6, s13, v3
	s_delay_alu instid0(VALU_DEP_1) | instskip(NEXT) | instid1(VALU_DEP_1)
	v_add_nc_u32_e32 v6, v3, v6
	v_lshrrev_b32_e32 v6, s14, v6
	s_delay_alu instid0(VALU_DEP_1) | instskip(SKIP_1) | instid1(VALU_DEP_2)
	v_mul_hi_u32 v7, s16, v6
	v_mul_lo_u32 v9, v6, s12
	v_add_nc_u32_e32 v7, v6, v7
	s_delay_alu instid0(VALU_DEP_2) | instskip(NEXT) | instid1(VALU_DEP_2)
	v_sub_nc_u32_e32 v3, v3, v9
	v_lshrrev_b32_e32 v7, s17, v7
	s_delay_alu instid0(VALU_DEP_2) | instskip(SKIP_1) | instid1(VALU_DEP_3)
	v_mul_lo_u32 v9, v3, s36
	v_mul_lo_u32 v11, v3, s37
	v_mul_hi_u32 v8, s19, v7
	s_delay_alu instid0(VALU_DEP_1) | instskip(NEXT) | instid1(VALU_DEP_1)
	v_add_nc_u32_e32 v8, v7, v8
	v_lshrrev_b32_e32 v8, s20, v8
	s_delay_alu instid0(VALU_DEP_1) | instskip(SKIP_1) | instid1(VALU_DEP_2)
	v_mul_hi_u32 v10, s22, v8
	v_mul_lo_u32 v12, v8, s18
	v_add_nc_u32_e32 v3, v8, v10
	v_mul_lo_u32 v10, v7, s15
	s_delay_alu instid0(VALU_DEP_3) | instskip(NEXT) | instid1(VALU_DEP_3)
	v_sub_nc_u32_e32 v7, v7, v12
	v_lshrrev_b32_e32 v3, s23, v3
	s_delay_alu instid0(VALU_DEP_2) | instskip(SKIP_2) | instid1(VALU_DEP_4)
	v_mul_lo_u32 v12, v7, s40
	v_mul_lo_u32 v7, v7, s41
	v_sub_nc_u32_e32 v6, v6, v10
	v_mul_lo_u32 v13, v3, s21
	s_delay_alu instid0(VALU_DEP_2) | instskip(SKIP_1) | instid1(VALU_DEP_3)
	v_mul_lo_u32 v10, v6, s38
	v_mul_lo_u32 v6, v6, s39
	v_sub_nc_u32_e32 v8, v8, v13
	s_delay_alu instid0(VALU_DEP_3) | instskip(NEXT) | instid1(VALU_DEP_2)
	v_add3_u32 v9, v9, v17, v10
	v_mul_lo_u32 v13, v8, s42
	v_mul_lo_u32 v8, v8, s43
	v_add3_u32 v4, v11, v4, v6
	s_delay_alu instid0(VALU_DEP_3) | instskip(NEXT) | instid1(VALU_DEP_2)
	v_add3_u32 v17, v12, v9, v13
	v_add3_u32 v4, v7, v4, v8
	s_cbranch_scc1 .LBB129_33
; %bb.34:
	s_and_b32 s7, s7, 3
	s_delay_alu instid0(SALU_CYCLE_1)
	s_cmp_eq_u32 s7, 0
	s_cbranch_scc0 .LBB129_37
	s_branch .LBB129_39
.LBB129_35:
	s_mov_b32 s6, -1
                                        ; implicit-def: $vgpr17
                                        ; implicit-def: $vgpr4
	s_branch .LBB129_39
.LBB129_36:
	v_dual_mov_b32 v3, v2 :: v_dual_mov_b32 v4, 0
	s_and_b32 s7, s7, 3
	s_delay_alu instid0(SALU_CYCLE_1)
	s_cmp_eq_u32 s7, 0
	s_cbranch_scc1 .LBB129_39
.LBB129_37:
	s_lshl_b32 s2, s8, 3
	s_mul_i32 s4, s8, 12
	s_add_u32 s2, s2, s0
	s_addc_u32 s3, 0, s1
	s_add_u32 s2, s2, 0xc4
	s_addc_u32 s3, s3, 0
	;; [unrolled: 2-line block ×3, first 2 shown]
	.p2align	6
.LBB129_38:                             ; =>This Inner Loop Header: Depth=1
	s_waitcnt lgkmcnt(0)
	s_clause 0x1
	s_load_b64 s[10:11], s[4:5], 0x4
	s_load_b32 s8, s[4:5], 0xc
	s_load_b64 s[12:13], s[2:3], 0x0
	s_add_u32 s4, s4, 12
	s_addc_u32 s5, s5, 0
	s_add_u32 s2, s2, 8
	s_addc_u32 s3, s3, 0
	s_add_i32 s7, s7, -1
	s_delay_alu instid0(SALU_CYCLE_1) | instskip(SKIP_2) | instid1(VALU_DEP_1)
	s_cmp_lg_u32 s7, 0
	s_waitcnt lgkmcnt(0)
	v_mul_hi_u32 v6, s11, v3
	v_add_nc_u32_e32 v6, v3, v6
	s_delay_alu instid0(VALU_DEP_1) | instskip(NEXT) | instid1(VALU_DEP_1)
	v_lshrrev_b32_e32 v9, s8, v6
	v_mul_lo_u32 v6, v9, s10
	s_delay_alu instid0(VALU_DEP_1) | instskip(NEXT) | instid1(VALU_DEP_1)
	v_sub_nc_u32_e32 v3, v3, v6
	v_mad_u64_u32 v[6:7], null, v3, s12, v[17:18]
	v_mad_u64_u32 v[7:8], null, v3, s13, v[4:5]
	v_mov_b32_e32 v3, v9
	s_delay_alu instid0(VALU_DEP_2)
	v_dual_mov_b32 v17, v6 :: v_dual_mov_b32 v4, v7
	s_cbranch_scc1 .LBB129_38
.LBB129_39:
	s_and_not1_b32 vcc_lo, exec_lo, s6
	s_cbranch_vccnz .LBB129_42
; %bb.40:
	s_clause 0x1
	s_load_b128 s[4:7], s[0:1], 0x4
	s_load_b64 s[2:3], s[0:1], 0xc4
	s_cmp_lt_u32 s9, 2
	s_waitcnt lgkmcnt(0)
	v_mul_hi_u32 v3, s5, v2
	s_delay_alu instid0(VALU_DEP_1) | instskip(NEXT) | instid1(VALU_DEP_1)
	v_add_nc_u32_e32 v3, v2, v3
	v_lshrrev_b32_e32 v3, s6, v3
	s_delay_alu instid0(VALU_DEP_1) | instskip(NEXT) | instid1(VALU_DEP_1)
	v_mul_lo_u32 v4, v3, s4
	v_sub_nc_u32_e32 v2, v2, v4
	s_delay_alu instid0(VALU_DEP_1)
	v_mul_lo_u32 v17, v2, s2
	v_mul_lo_u32 v4, v2, s3
	s_cbranch_scc1 .LBB129_42
; %bb.41:
	s_clause 0x1
	s_load_b128 s[4:7], s[0:1], 0x10
	s_load_b64 s[2:3], s[0:1], 0xcc
	s_waitcnt lgkmcnt(0)
	v_mul_hi_u32 v2, s5, v3
	s_delay_alu instid0(VALU_DEP_1) | instskip(NEXT) | instid1(VALU_DEP_1)
	v_add_nc_u32_e32 v2, v3, v2
	v_lshrrev_b32_e32 v2, s6, v2
	s_delay_alu instid0(VALU_DEP_1) | instskip(NEXT) | instid1(VALU_DEP_1)
	v_mul_lo_u32 v2, v2, s4
	v_sub_nc_u32_e32 v8, v3, v2
	s_delay_alu instid0(VALU_DEP_1) | instskip(SKIP_1) | instid1(VALU_DEP_2)
	v_mad_u64_u32 v[2:3], null, v8, s2, v[17:18]
	v_mad_u64_u32 v[6:7], null, v8, s3, v[4:5]
	v_mov_b32_e32 v17, v2
	s_delay_alu instid0(VALU_DEP_2)
	v_mov_b32_e32 v4, v6
.LBB129_42:
	v_cmp_ne_u32_e32 vcc_lo, 1, v1
	v_add_nc_u32_e32 v2, 0x100, v27
	s_cbranch_vccnz .LBB129_48
; %bb.43:
	v_mov_b32_e32 v18, 0
	v_mov_b32_e32 v8, 0
	s_cmp_lg_u32 s9, 0
	s_mov_b32 s6, 0
	s_cbranch_scc0 .LBB129_52
; %bb.44:
	s_min_u32 s7, s26, 15
	v_mov_b32_e32 v18, 0
	s_add_i32 s7, s7, 1
	s_cmp_eq_u32 s26, 2
	s_mov_b32 s8, 0
	s_cbranch_scc1 .LBB129_49
; %bb.45:
	v_dual_mov_b32 v8, 0 :: v_dual_mov_b32 v3, v2
	v_mov_b32_e32 v18, 0
	s_add_u32 s2, s0, 0xc4
	s_addc_u32 s3, s1, 0
	s_and_b32 s8, s7, 28
	s_waitcnt lgkmcnt(0)
	s_mov_b32 s10, 0
	s_mov_b64 s[4:5], s[0:1]
.LBB129_46:                             ; =>This Inner Loop Header: Depth=1
	s_clause 0x1
	s_load_b256 s[12:19], s[4:5], 0x4
	s_load_b128 s[20:23], s[4:5], 0x24
	s_load_b256 s[36:43], s[2:3], 0x0
	s_add_u32 s4, s4, 48
	s_addc_u32 s5, s5, 0
	s_add_i32 s10, s10, 4
	s_add_u32 s2, s2, 32
	s_addc_u32 s3, s3, 0
	s_cmp_lg_u32 s8, s10
	s_waitcnt lgkmcnt(0)
	v_mul_hi_u32 v6, s13, v3
	s_delay_alu instid0(VALU_DEP_1) | instskip(NEXT) | instid1(VALU_DEP_1)
	v_add_nc_u32_e32 v6, v3, v6
	v_lshrrev_b32_e32 v6, s14, v6
	s_delay_alu instid0(VALU_DEP_1) | instskip(SKIP_1) | instid1(VALU_DEP_2)
	v_mul_hi_u32 v7, s16, v6
	v_mul_lo_u32 v10, v6, s12
	v_add_nc_u32_e32 v7, v6, v7
	s_delay_alu instid0(VALU_DEP_2) | instskip(NEXT) | instid1(VALU_DEP_2)
	v_sub_nc_u32_e32 v3, v3, v10
	v_lshrrev_b32_e32 v7, s17, v7
	s_delay_alu instid0(VALU_DEP_2) | instskip(SKIP_1) | instid1(VALU_DEP_3)
	v_mul_lo_u32 v10, v3, s36
	v_mul_lo_u32 v12, v3, s37
	v_mul_hi_u32 v9, s19, v7
	s_delay_alu instid0(VALU_DEP_1) | instskip(NEXT) | instid1(VALU_DEP_1)
	v_add_nc_u32_e32 v9, v7, v9
	v_lshrrev_b32_e32 v9, s20, v9
	s_delay_alu instid0(VALU_DEP_1) | instskip(SKIP_1) | instid1(VALU_DEP_2)
	v_mul_hi_u32 v11, s22, v9
	v_mul_lo_u32 v13, v9, s18
	v_add_nc_u32_e32 v3, v9, v11
	v_mul_lo_u32 v11, v7, s15
	s_delay_alu instid0(VALU_DEP_3) | instskip(NEXT) | instid1(VALU_DEP_3)
	v_sub_nc_u32_e32 v7, v7, v13
	v_lshrrev_b32_e32 v3, s23, v3
	s_delay_alu instid0(VALU_DEP_2) | instskip(SKIP_2) | instid1(VALU_DEP_4)
	v_mul_lo_u32 v13, v7, s40
	v_mul_lo_u32 v7, v7, s41
	v_sub_nc_u32_e32 v6, v6, v11
	v_mul_lo_u32 v14, v3, s21
	s_delay_alu instid0(VALU_DEP_2) | instskip(SKIP_1) | instid1(VALU_DEP_3)
	v_mul_lo_u32 v11, v6, s38
	v_mul_lo_u32 v6, v6, s39
	v_sub_nc_u32_e32 v9, v9, v14
	s_delay_alu instid0(VALU_DEP_3) | instskip(NEXT) | instid1(VALU_DEP_2)
	v_add3_u32 v10, v10, v18, v11
	v_mul_lo_u32 v14, v9, s42
	v_mul_lo_u32 v9, v9, s43
	v_add3_u32 v6, v12, v8, v6
	s_delay_alu instid0(VALU_DEP_3) | instskip(NEXT) | instid1(VALU_DEP_2)
	v_add3_u32 v18, v13, v10, v14
	v_add3_u32 v8, v7, v6, v9
	s_cbranch_scc1 .LBB129_46
; %bb.47:
	s_and_b32 s7, s7, 3
	s_delay_alu instid0(SALU_CYCLE_1)
	s_cmp_eq_u32 s7, 0
	s_cbranch_scc0 .LBB129_50
	s_branch .LBB129_52
.LBB129_48:
	s_mov_b32 s6, -1
                                        ; implicit-def: $vgpr18
                                        ; implicit-def: $vgpr8
	s_branch .LBB129_52
.LBB129_49:
	v_dual_mov_b32 v3, v2 :: v_dual_mov_b32 v8, 0
	s_and_b32 s7, s7, 3
	s_delay_alu instid0(SALU_CYCLE_1)
	s_cmp_eq_u32 s7, 0
	s_cbranch_scc1 .LBB129_52
.LBB129_50:
	s_lshl_b32 s2, s8, 3
	s_mul_i32 s4, s8, 12
	s_add_u32 s2, s2, s0
	s_addc_u32 s3, 0, s1
	s_add_u32 s2, s2, 0xc4
	s_addc_u32 s3, s3, 0
	;; [unrolled: 2-line block ×3, first 2 shown]
	.p2align	6
.LBB129_51:                             ; =>This Inner Loop Header: Depth=1
	s_waitcnt lgkmcnt(0)
	s_clause 0x1
	s_load_b64 s[10:11], s[4:5], 0x4
	s_load_b32 s8, s[4:5], 0xc
	s_load_b64 s[12:13], s[2:3], 0x0
	s_add_u32 s4, s4, 12
	s_addc_u32 s5, s5, 0
	s_add_u32 s2, s2, 8
	s_addc_u32 s3, s3, 0
	s_add_i32 s7, s7, -1
	s_delay_alu instid0(SALU_CYCLE_1) | instskip(SKIP_2) | instid1(VALU_DEP_1)
	s_cmp_lg_u32 s7, 0
	s_waitcnt lgkmcnt(0)
	v_mul_hi_u32 v6, s11, v3
	v_add_nc_u32_e32 v6, v3, v6
	s_delay_alu instid0(VALU_DEP_1) | instskip(NEXT) | instid1(VALU_DEP_1)
	v_lshrrev_b32_e32 v11, s8, v6
	v_mul_lo_u32 v6, v11, s10
	s_delay_alu instid0(VALU_DEP_1) | instskip(NEXT) | instid1(VALU_DEP_1)
	v_sub_nc_u32_e32 v3, v3, v6
	v_mad_u64_u32 v[6:7], null, v3, s12, v[18:19]
	v_mad_u64_u32 v[9:10], null, v3, s13, v[8:9]
	s_delay_alu instid0(VALU_DEP_2) | instskip(NEXT) | instid1(VALU_DEP_2)
	v_dual_mov_b32 v3, v11 :: v_dual_mov_b32 v18, v6
	v_mov_b32_e32 v8, v9
	s_cbranch_scc1 .LBB129_51
.LBB129_52:
	s_and_not1_b32 vcc_lo, exec_lo, s6
	s_cbranch_vccnz .LBB129_55
; %bb.53:
	s_clause 0x1
	s_load_b128 s[4:7], s[0:1], 0x4
	s_load_b64 s[2:3], s[0:1], 0xc4
	s_cmp_lt_u32 s9, 2
	s_waitcnt lgkmcnt(0)
	v_mul_hi_u32 v3, s5, v2
	s_delay_alu instid0(VALU_DEP_1) | instskip(NEXT) | instid1(VALU_DEP_1)
	v_add_nc_u32_e32 v3, v2, v3
	v_lshrrev_b32_e32 v3, s6, v3
	s_delay_alu instid0(VALU_DEP_1) | instskip(NEXT) | instid1(VALU_DEP_1)
	v_mul_lo_u32 v6, v3, s4
	v_sub_nc_u32_e32 v2, v2, v6
	s_delay_alu instid0(VALU_DEP_1)
	v_mul_lo_u32 v18, v2, s2
	v_mul_lo_u32 v8, v2, s3
	s_cbranch_scc1 .LBB129_55
; %bb.54:
	s_clause 0x1
	s_load_b128 s[4:7], s[0:1], 0x10
	s_load_b64 s[2:3], s[0:1], 0xcc
	s_waitcnt lgkmcnt(0)
	v_mul_hi_u32 v2, s5, v3
	s_delay_alu instid0(VALU_DEP_1) | instskip(NEXT) | instid1(VALU_DEP_1)
	v_add_nc_u32_e32 v2, v3, v2
	v_lshrrev_b32_e32 v2, s6, v2
	s_delay_alu instid0(VALU_DEP_1) | instskip(NEXT) | instid1(VALU_DEP_1)
	v_mul_lo_u32 v2, v2, s4
	v_sub_nc_u32_e32 v9, v3, v2
	s_delay_alu instid0(VALU_DEP_1) | instskip(SKIP_1) | instid1(VALU_DEP_2)
	v_mad_u64_u32 v[2:3], null, v9, s2, v[18:19]
	v_mad_u64_u32 v[6:7], null, v9, s3, v[8:9]
	v_mov_b32_e32 v18, v2
	s_delay_alu instid0(VALU_DEP_2)
	v_mov_b32_e32 v8, v6
.LBB129_55:
	v_cmp_ne_u32_e32 vcc_lo, 1, v1
	s_cbranch_vccnz .LBB129_61
; %bb.56:
	v_dual_mov_b32 v19, 0 :: v_dual_mov_b32 v12, 0
	s_cmp_lg_u32 s9, 0
	s_mov_b32 s6, 0
	s_cbranch_scc0 .LBB129_65
; %bb.57:
	s_min_u32 s7, s26, 15
	v_mov_b32_e32 v19, 0
	s_add_i32 s7, s7, 1
	s_cmp_eq_u32 s26, 2
	s_mov_b32 s8, 0
	s_cbranch_scc1 .LBB129_62
; %bb.58:
	v_dual_mov_b32 v12, 0 :: v_dual_mov_b32 v19, 0
	v_mov_b32_e32 v1, v5
	s_add_u32 s2, s0, 0xc4
	s_addc_u32 s3, s1, 0
	s_and_b32 s8, s7, 28
	s_waitcnt lgkmcnt(0)
	s_mov_b32 s10, 0
	s_mov_b64 s[4:5], s[0:1]
.LBB129_59:                             ; =>This Inner Loop Header: Depth=1
	s_clause 0x1
	s_load_b256 s[12:19], s[4:5], 0x4
	s_load_b128 s[36:39], s[4:5], 0x24
	s_load_b256 s[20:27], s[2:3], 0x0
	s_add_u32 s4, s4, 48
	s_addc_u32 s5, s5, 0
	s_add_i32 s10, s10, 4
	s_add_u32 s2, s2, 32
	s_addc_u32 s3, s3, 0
	s_cmp_lg_u32 s8, s10
	s_waitcnt lgkmcnt(0)
	v_mul_hi_u32 v2, s13, v1
	s_delay_alu instid0(VALU_DEP_1) | instskip(NEXT) | instid1(VALU_DEP_1)
	v_add_nc_u32_e32 v2, v1, v2
	v_lshrrev_b32_e32 v2, s14, v2
	s_delay_alu instid0(VALU_DEP_1) | instskip(SKIP_1) | instid1(VALU_DEP_2)
	v_mul_hi_u32 v3, s16, v2
	v_mul_lo_u32 v7, v2, s12
	v_add_nc_u32_e32 v3, v2, v3
	s_delay_alu instid0(VALU_DEP_2) | instskip(NEXT) | instid1(VALU_DEP_2)
	v_sub_nc_u32_e32 v1, v1, v7
	v_lshrrev_b32_e32 v3, s17, v3
	s_delay_alu instid0(VALU_DEP_2) | instskip(SKIP_1) | instid1(VALU_DEP_3)
	v_mul_lo_u32 v7, v1, s20
	v_mul_lo_u32 v10, v1, s21
	v_mul_hi_u32 v6, s19, v3
	s_delay_alu instid0(VALU_DEP_1) | instskip(NEXT) | instid1(VALU_DEP_1)
	v_add_nc_u32_e32 v6, v3, v6
	v_lshrrev_b32_e32 v6, s36, v6
	s_delay_alu instid0(VALU_DEP_1) | instskip(SKIP_1) | instid1(VALU_DEP_2)
	v_mul_hi_u32 v9, s38, v6
	v_mul_lo_u32 v11, v6, s18
	v_add_nc_u32_e32 v1, v6, v9
	v_mul_lo_u32 v9, v3, s15
	s_delay_alu instid0(VALU_DEP_3) | instskip(NEXT) | instid1(VALU_DEP_3)
	v_sub_nc_u32_e32 v3, v3, v11
	v_lshrrev_b32_e32 v1, s39, v1
	s_delay_alu instid0(VALU_DEP_2) | instskip(SKIP_2) | instid1(VALU_DEP_4)
	v_mul_lo_u32 v11, v3, s24
	v_mul_lo_u32 v3, v3, s25
	v_sub_nc_u32_e32 v2, v2, v9
	v_mul_lo_u32 v13, v1, s37
	s_delay_alu instid0(VALU_DEP_2) | instskip(SKIP_1) | instid1(VALU_DEP_3)
	v_mul_lo_u32 v9, v2, s22
	v_mul_lo_u32 v2, v2, s23
	v_sub_nc_u32_e32 v6, v6, v13
	s_delay_alu instid0(VALU_DEP_3) | instskip(NEXT) | instid1(VALU_DEP_2)
	v_add3_u32 v7, v7, v19, v9
	v_mul_lo_u32 v13, v6, s26
	v_mul_lo_u32 v6, v6, s27
	v_add3_u32 v2, v10, v12, v2
	s_delay_alu instid0(VALU_DEP_3) | instskip(NEXT) | instid1(VALU_DEP_2)
	v_add3_u32 v19, v11, v7, v13
	v_add3_u32 v12, v3, v2, v6
	s_cbranch_scc1 .LBB129_59
; %bb.60:
	s_and_b32 s7, s7, 3
	s_delay_alu instid0(SALU_CYCLE_1)
	s_cmp_eq_u32 s7, 0
	s_cbranch_scc0 .LBB129_63
	s_branch .LBB129_65
.LBB129_61:
	s_mov_b32 s6, -1
                                        ; implicit-def: $vgpr19
                                        ; implicit-def: $vgpr12
	s_branch .LBB129_65
.LBB129_62:
	v_dual_mov_b32 v1, v5 :: v_dual_mov_b32 v12, 0
	s_and_b32 s7, s7, 3
	s_delay_alu instid0(SALU_CYCLE_1)
	s_cmp_eq_u32 s7, 0
	s_cbranch_scc1 .LBB129_65
.LBB129_63:
	s_lshl_b32 s2, s8, 3
	s_mul_i32 s4, s8, 12
	s_add_u32 s2, s2, s0
	s_addc_u32 s3, 0, s1
	s_add_u32 s2, s2, 0xc4
	s_addc_u32 s3, s3, 0
	;; [unrolled: 2-line block ×3, first 2 shown]
	.p2align	6
.LBB129_64:                             ; =>This Inner Loop Header: Depth=1
	s_waitcnt lgkmcnt(0)
	s_clause 0x1
	s_load_b64 s[10:11], s[4:5], 0x4
	s_load_b32 s8, s[4:5], 0xc
	s_load_b64 s[12:13], s[2:3], 0x0
	s_add_u32 s4, s4, 12
	s_addc_u32 s5, s5, 0
	s_add_u32 s2, s2, 8
	s_addc_u32 s3, s3, 0
	s_add_i32 s7, s7, -1
	s_delay_alu instid0(SALU_CYCLE_1) | instskip(SKIP_2) | instid1(VALU_DEP_1)
	s_cmp_lg_u32 s7, 0
	s_waitcnt lgkmcnt(0)
	v_mul_hi_u32 v2, s11, v1
	v_add_nc_u32_e32 v2, v1, v2
	s_delay_alu instid0(VALU_DEP_1) | instskip(NEXT) | instid1(VALU_DEP_1)
	v_lshrrev_b32_e32 v9, s8, v2
	v_mul_lo_u32 v2, v9, s10
	s_delay_alu instid0(VALU_DEP_1) | instskip(NEXT) | instid1(VALU_DEP_1)
	v_sub_nc_u32_e32 v1, v1, v2
	v_mad_u64_u32 v[2:3], null, v1, s12, v[19:20]
	v_mad_u64_u32 v[6:7], null, v1, s13, v[12:13]
	v_mov_b32_e32 v1, v9
	s_delay_alu instid0(VALU_DEP_3) | instskip(NEXT) | instid1(VALU_DEP_3)
	v_mov_b32_e32 v19, v2
	v_mov_b32_e32 v12, v6
	s_cbranch_scc1 .LBB129_64
.LBB129_65:
	s_and_not1_b32 vcc_lo, exec_lo, s6
	s_cbranch_vccnz .LBB129_68
; %bb.66:
	s_clause 0x1
	s_load_b128 s[4:7], s[0:1], 0x4
	s_load_b64 s[2:3], s[0:1], 0xc4
	s_cmp_lt_u32 s9, 2
	s_waitcnt lgkmcnt(0)
	v_mul_hi_u32 v1, s5, v5
	s_delay_alu instid0(VALU_DEP_1) | instskip(NEXT) | instid1(VALU_DEP_1)
	v_add_nc_u32_e32 v1, v5, v1
	v_lshrrev_b32_e32 v1, s6, v1
	s_delay_alu instid0(VALU_DEP_1) | instskip(NEXT) | instid1(VALU_DEP_1)
	v_mul_lo_u32 v2, v1, s4
	v_sub_nc_u32_e32 v2, v5, v2
	s_delay_alu instid0(VALU_DEP_1)
	v_mul_lo_u32 v19, v2, s2
	v_mul_lo_u32 v12, v2, s3
	s_cbranch_scc1 .LBB129_68
; %bb.67:
	s_clause 0x1
	s_load_b128 s[4:7], s[0:1], 0x10
	s_load_b64 s[2:3], s[0:1], 0xcc
	s_waitcnt lgkmcnt(0)
	v_mul_hi_u32 v2, s5, v1
	s_delay_alu instid0(VALU_DEP_1) | instskip(NEXT) | instid1(VALU_DEP_1)
	v_add_nc_u32_e32 v2, v1, v2
	v_lshrrev_b32_e32 v2, s6, v2
	s_delay_alu instid0(VALU_DEP_1) | instskip(NEXT) | instid1(VALU_DEP_1)
	v_mul_lo_u32 v2, v2, s4
	v_sub_nc_u32_e32 v5, v1, v2
	s_delay_alu instid0(VALU_DEP_1) | instskip(SKIP_1) | instid1(VALU_DEP_1)
	v_mad_u64_u32 v[1:2], null, v5, s2, v[19:20]
	v_mad_u64_u32 v[2:3], null, v5, s3, v[12:13]
	v_dual_mov_b32 v19, v1 :: v_dual_mov_b32 v12, v2
.LBB129_68:
	s_load_b128 s[24:27], s[0:1], 0x148
	s_mov_b32 s1, exec_lo
                                        ; implicit-def: $vgpr142
                                        ; implicit-def: $vgpr22_vgpr23
                                        ; implicit-def: $vgpr32_vgpr33
	s_waitcnt lgkmcnt(0)
	global_load_b128 v[0:3], v0, s[26:27]
	s_waitcnt vmcnt(0)
	v_mul_f64 v[20:21], v[2:3], 0.5
	s_delay_alu instid0(VALU_DEP_1)
	v_cmpx_ngt_f64_e64 0x41d00000, |v[20:21]|
	s_xor_b32 s1, exec_lo, s1
	s_cbranch_execz .LBB129_70
; %bb.69:
	v_ldexp_f64 v[5:6], |v[20:21]|, 0xffffff80
	v_cmp_le_f64_e64 vcc_lo, 0x7b000000, |v[20:21]|
	v_trig_preop_f64 v[9:10], |v[20:21]|, 0
	v_and_b32_e32 v7, 0x7fffffff, v21
	v_trig_preop_f64 v[13:14], |v[20:21]|, 1
	v_trig_preop_f64 v[30:31], |v[20:21]|, 2
	s_mov_b32 s2, 0x54442d18
	s_mov_b32 s3, 0x3ff921fb
	;; [unrolled: 1-line block ×4, first 2 shown]
	v_mov_b32_e32 v38, 0
	v_dual_cndmask_b32 v6, v7, v6 :: v_dual_cndmask_b32 v5, v20, v5
	s_delay_alu instid0(VALU_DEP_1) | instskip(SKIP_2) | instid1(VALU_DEP_3)
	v_mul_f64 v[22:23], v[9:10], v[5:6]
	v_mul_f64 v[24:25], v[13:14], v[5:6]
	;; [unrolled: 1-line block ×3, first 2 shown]
	v_fma_f64 v[9:10], v[9:10], v[5:6], -v[22:23]
	s_delay_alu instid0(VALU_DEP_3) | instskip(NEXT) | instid1(VALU_DEP_3)
	v_fma_f64 v[13:14], v[13:14], v[5:6], -v[24:25]
	v_fma_f64 v[5:6], v[30:31], v[5:6], -v[36:37]
	s_delay_alu instid0(VALU_DEP_3) | instskip(NEXT) | instid1(VALU_DEP_1)
	v_add_f64 v[26:27], v[24:25], v[9:10]
	v_add_f64 v[28:29], v[26:27], -v[24:25]
	v_add_f64 v[34:35], v[22:23], v[26:27]
	s_delay_alu instid0(VALU_DEP_2) | instskip(SKIP_1) | instid1(VALU_DEP_3)
	v_add_f64 v[32:33], v[26:27], -v[28:29]
	v_add_f64 v[9:10], v[9:10], -v[28:29]
	v_ldexp_f64 v[28:29], v[34:35], -2
	v_add_f64 v[22:23], v[34:35], -v[22:23]
	s_delay_alu instid0(VALU_DEP_4) | instskip(SKIP_1) | instid1(VALU_DEP_4)
	v_add_f64 v[24:25], v[24:25], -v[32:33]
	v_add_f64 v[32:33], v[36:37], v[13:14]
	v_cmp_neq_f64_e64 vcc_lo, 0x7ff00000, |v[28:29]|
	s_delay_alu instid0(VALU_DEP_4) | instskip(NEXT) | instid1(VALU_DEP_4)
	v_add_f64 v[22:23], v[26:27], -v[22:23]
	v_add_f64 v[9:10], v[9:10], v[24:25]
	v_fract_f64_e32 v[24:25], v[28:29]
	s_delay_alu instid0(VALU_DEP_2) | instskip(NEXT) | instid1(VALU_DEP_2)
	v_add_f64 v[26:27], v[32:33], v[9:10]
	v_dual_cndmask_b32 v25, 0, v25 :: v_dual_cndmask_b32 v24, 0, v24
	s_delay_alu instid0(VALU_DEP_1) | instskip(NEXT) | instid1(VALU_DEP_3)
	v_ldexp_f64 v[24:25], v[24:25], 2
	v_add_f64 v[28:29], v[22:23], v[26:27]
	s_delay_alu instid0(VALU_DEP_1) | instskip(SKIP_1) | instid1(VALU_DEP_2)
	v_add_f64 v[34:35], v[28:29], v[24:25]
	v_add_f64 v[22:23], v[28:29], -v[22:23]
	v_cmp_gt_f64_e32 vcc_lo, 0, v[34:35]
	v_add_f64 v[34:35], v[32:33], -v[36:37]
	s_delay_alu instid0(VALU_DEP_3) | instskip(SKIP_1) | instid1(VALU_DEP_3)
	v_add_f64 v[22:23], v[26:27], -v[22:23]
	v_cndmask_b32_e64 v39, 0, 0x40100000, vcc_lo
	v_add_f64 v[43:44], v[32:33], -v[34:35]
	v_add_f64 v[13:14], v[13:14], -v[34:35]
	s_delay_alu instid0(VALU_DEP_3) | instskip(SKIP_1) | instid1(VALU_DEP_4)
	v_add_f64 v[24:25], v[24:25], v[38:39]
	v_add_f64 v[39:40], v[26:27], -v[32:33]
	v_add_f64 v[34:35], v[36:37], -v[43:44]
	s_delay_alu instid0(VALU_DEP_3) | instskip(NEXT) | instid1(VALU_DEP_3)
	v_add_f64 v[41:42], v[28:29], v[24:25]
	v_add_f64 v[45:46], v[26:27], -v[39:40]
	v_add_f64 v[9:10], v[9:10], -v[39:40]
	s_delay_alu instid0(VALU_DEP_4) | instskip(NEXT) | instid1(VALU_DEP_4)
	v_add_f64 v[13:14], v[13:14], v[34:35]
	v_cvt_i32_f64_e32 v7, v[41:42]
	s_delay_alu instid0(VALU_DEP_4) | instskip(NEXT) | instid1(VALU_DEP_2)
	v_add_f64 v[32:33], v[32:33], -v[45:46]
	v_cvt_f64_i32_e32 v[39:40], v7
	s_delay_alu instid0(VALU_DEP_2) | instskip(NEXT) | instid1(VALU_DEP_2)
	v_add_f64 v[9:10], v[9:10], v[32:33]
	v_add_f64 v[24:25], v[24:25], -v[39:40]
	s_delay_alu instid0(VALU_DEP_2) | instskip(NEXT) | instid1(VALU_DEP_2)
	v_add_f64 v[9:10], v[13:14], v[9:10]
	v_add_f64 v[13:14], v[28:29], v[24:25]
	s_delay_alu instid0(VALU_DEP_2) | instskip(NEXT) | instid1(VALU_DEP_2)
	v_add_f64 v[5:6], v[5:6], v[9:10]
	v_add_f64 v[9:10], v[13:14], -v[24:25]
	v_cmp_le_f64_e32 vcc_lo, 0.5, v[13:14]
	s_delay_alu instid0(VALU_DEP_3) | instskip(NEXT) | instid1(VALU_DEP_3)
	v_add_f64 v[5:6], v[22:23], v[5:6]
	v_add_f64 v[9:10], v[28:29], -v[9:10]
	v_cndmask_b32_e64 v39, 0, 0x3ff00000, vcc_lo
	v_add_co_ci_u32_e64 v142, s0, 0, v7, vcc_lo
	s_delay_alu instid0(VALU_DEP_3) | instskip(NEXT) | instid1(VALU_DEP_3)
	v_add_f64 v[5:6], v[5:6], v[9:10]
	v_add_f64 v[9:10], v[13:14], -v[38:39]
	s_delay_alu instid0(VALU_DEP_1) | instskip(NEXT) | instid1(VALU_DEP_1)
	v_add_f64 v[13:14], v[9:10], v[5:6]
	v_mul_f64 v[24:25], v[13:14], s[2:3]
	v_add_f64 v[9:10], v[13:14], -v[9:10]
	s_delay_alu instid0(VALU_DEP_2) | instskip(NEXT) | instid1(VALU_DEP_2)
	v_fma_f64 v[22:23], v[13:14], s[2:3], -v[24:25]
	v_add_f64 v[5:6], v[5:6], -v[9:10]
	s_delay_alu instid0(VALU_DEP_2) | instskip(NEXT) | instid1(VALU_DEP_1)
	v_fma_f64 v[9:10], v[13:14], s[4:5], v[22:23]
	v_fma_f64 v[5:6], v[5:6], s[2:3], v[9:10]
	s_delay_alu instid0(VALU_DEP_1) | instskip(NEXT) | instid1(VALU_DEP_1)
	v_add_f64 v[22:23], v[24:25], v[5:6]
	v_add_f64 v[9:10], v[22:23], -v[24:25]
	s_delay_alu instid0(VALU_DEP_1)
	v_add_f64 v[32:33], v[5:6], -v[9:10]
.LBB129_70:
	s_and_not1_saveexec_b32 s0, s1
	s_cbranch_execz .LBB129_72
; %bb.71:
	s_mov_b32 s2, 0x6dc9c883
	s_mov_b32 s3, 0x3fe45f30
	;; [unrolled: 1-line block ×3, first 2 shown]
	v_mul_f64 v[5:6], |v[20:21]|, s[2:3]
	s_mov_b32 s2, 0x54442d18
	s_mov_b32 s3, 0xbff921fb
	;; [unrolled: 1-line block ×3, first 2 shown]
	s_delay_alu instid0(VALU_DEP_1) | instskip(NEXT) | instid1(VALU_DEP_1)
	v_rndne_f64_e32 v[5:6], v[5:6]
	v_fma_f64 v[9:10], v[5:6], s[2:3], |v[20:21]|
	v_mul_f64 v[13:14], v[5:6], s[4:5]
	s_mov_b32 s2, 0x252049c0
	s_mov_b32 s3, 0xb97b839a
	v_cvt_i32_f64_e32 v142, v[5:6]
	s_delay_alu instid0(VALU_DEP_3) | instskip(NEXT) | instid1(VALU_DEP_3)
	v_fma_f64 v[24:25], v[5:6], s[4:5], v[9:10]
	v_add_f64 v[22:23], v[9:10], v[13:14]
	s_mov_b32 s5, 0x3c91a626
	s_delay_alu instid0(VALU_DEP_1) | instskip(NEXT) | instid1(VALU_DEP_3)
	v_add_f64 v[9:10], v[9:10], -v[22:23]
	v_add_f64 v[22:23], v[22:23], -v[24:25]
	s_delay_alu instid0(VALU_DEP_2) | instskip(SKIP_1) | instid1(VALU_DEP_2)
	v_add_f64 v[9:10], v[9:10], v[13:14]
	v_fma_f64 v[13:14], v[5:6], s[4:5], v[13:14]
	v_add_f64 v[9:10], v[22:23], v[9:10]
	s_delay_alu instid0(VALU_DEP_1) | instskip(NEXT) | instid1(VALU_DEP_1)
	v_add_f64 v[9:10], v[9:10], -v[13:14]
	v_fma_f64 v[9:10], v[5:6], s[2:3], v[9:10]
	s_delay_alu instid0(VALU_DEP_1) | instskip(NEXT) | instid1(VALU_DEP_1)
	v_add_f64 v[22:23], v[24:25], v[9:10]
	v_add_f64 v[13:14], v[22:23], -v[24:25]
	s_delay_alu instid0(VALU_DEP_1)
	v_add_f64 v[32:33], v[9:10], -v[13:14]
.LBB129_72:
	s_or_b32 exec_lo, exec_lo, s0
	v_cmp_ngt_f64_e64 s1, 0x41d00000, |v[2:3]|
                                        ; implicit-def: $vgpr143
                                        ; implicit-def: $vgpr24_vgpr25
                                        ; implicit-def: $vgpr40_vgpr41
	s_delay_alu instid0(VALU_DEP_1) | instskip(NEXT) | instid1(SALU_CYCLE_1)
	s_and_saveexec_b32 s0, s1
	s_xor_b32 s2, exec_lo, s0
	s_cbranch_execz .LBB129_74
; %bb.73:
	v_ldexp_f64 v[5:6], |v[2:3]|, 0xffffff80
	v_cmp_le_f64_e64 vcc_lo, 0x7b000000, |v[2:3]|
	v_trig_preop_f64 v[9:10], |v[2:3]|, 0
	v_and_b32_e32 v7, 0x7fffffff, v3
	v_trig_preop_f64 v[13:14], |v[2:3]|, 1
	v_trig_preop_f64 v[34:35], |v[2:3]|, 2
	s_mov_b32 s4, 0x54442d18
	s_mov_b32 s5, 0x3ff921fb
	;; [unrolled: 1-line block ×4, first 2 shown]
	v_mov_b32_e32 v42, 0
	v_dual_cndmask_b32 v6, v7, v6 :: v_dual_cndmask_b32 v5, v2, v5
	s_delay_alu instid0(VALU_DEP_1) | instskip(SKIP_2) | instid1(VALU_DEP_3)
	v_mul_f64 v[24:25], v[9:10], v[5:6]
	v_mul_f64 v[26:27], v[13:14], v[5:6]
	;; [unrolled: 1-line block ×3, first 2 shown]
	v_fma_f64 v[9:10], v[9:10], v[5:6], -v[24:25]
	s_delay_alu instid0(VALU_DEP_3) | instskip(NEXT) | instid1(VALU_DEP_3)
	v_fma_f64 v[13:14], v[13:14], v[5:6], -v[26:27]
	v_fma_f64 v[5:6], v[34:35], v[5:6], -v[40:41]
	s_delay_alu instid0(VALU_DEP_3) | instskip(NEXT) | instid1(VALU_DEP_1)
	v_add_f64 v[28:29], v[26:27], v[9:10]
	v_add_f64 v[30:31], v[28:29], -v[26:27]
	v_add_f64 v[38:39], v[24:25], v[28:29]
	s_delay_alu instid0(VALU_DEP_2) | instskip(SKIP_1) | instid1(VALU_DEP_3)
	v_add_f64 v[36:37], v[28:29], -v[30:31]
	v_add_f64 v[9:10], v[9:10], -v[30:31]
	v_ldexp_f64 v[30:31], v[38:39], -2
	v_add_f64 v[24:25], v[38:39], -v[24:25]
	s_delay_alu instid0(VALU_DEP_4) | instskip(SKIP_1) | instid1(VALU_DEP_4)
	v_add_f64 v[26:27], v[26:27], -v[36:37]
	v_add_f64 v[36:37], v[40:41], v[13:14]
	v_cmp_neq_f64_e64 vcc_lo, 0x7ff00000, |v[30:31]|
	s_delay_alu instid0(VALU_DEP_4) | instskip(NEXT) | instid1(VALU_DEP_4)
	v_add_f64 v[24:25], v[28:29], -v[24:25]
	v_add_f64 v[9:10], v[9:10], v[26:27]
	v_fract_f64_e32 v[26:27], v[30:31]
	s_delay_alu instid0(VALU_DEP_2) | instskip(NEXT) | instid1(VALU_DEP_2)
	v_add_f64 v[28:29], v[36:37], v[9:10]
	v_dual_cndmask_b32 v27, 0, v27 :: v_dual_cndmask_b32 v26, 0, v26
	s_delay_alu instid0(VALU_DEP_1) | instskip(NEXT) | instid1(VALU_DEP_3)
	v_ldexp_f64 v[26:27], v[26:27], 2
	v_add_f64 v[30:31], v[24:25], v[28:29]
	s_delay_alu instid0(VALU_DEP_1) | instskip(SKIP_1) | instid1(VALU_DEP_2)
	v_add_f64 v[38:39], v[30:31], v[26:27]
	v_add_f64 v[24:25], v[30:31], -v[24:25]
	v_cmp_gt_f64_e32 vcc_lo, 0, v[38:39]
	v_add_f64 v[38:39], v[36:37], -v[40:41]
	s_delay_alu instid0(VALU_DEP_3) | instskip(SKIP_1) | instid1(VALU_DEP_3)
	v_add_f64 v[24:25], v[28:29], -v[24:25]
	v_cndmask_b32_e64 v43, 0, 0x40100000, vcc_lo
	v_add_f64 v[47:48], v[36:37], -v[38:39]
	v_add_f64 v[13:14], v[13:14], -v[38:39]
	s_delay_alu instid0(VALU_DEP_3) | instskip(SKIP_1) | instid1(VALU_DEP_4)
	v_add_f64 v[26:27], v[26:27], v[42:43]
	v_add_f64 v[43:44], v[28:29], -v[36:37]
	v_add_f64 v[38:39], v[40:41], -v[47:48]
	s_delay_alu instid0(VALU_DEP_3) | instskip(NEXT) | instid1(VALU_DEP_3)
	v_add_f64 v[45:46], v[30:31], v[26:27]
	v_add_f64 v[49:50], v[28:29], -v[43:44]
	v_add_f64 v[9:10], v[9:10], -v[43:44]
	s_delay_alu instid0(VALU_DEP_4) | instskip(NEXT) | instid1(VALU_DEP_4)
	v_add_f64 v[13:14], v[13:14], v[38:39]
	v_cvt_i32_f64_e32 v7, v[45:46]
	s_delay_alu instid0(VALU_DEP_4) | instskip(NEXT) | instid1(VALU_DEP_2)
	v_add_f64 v[36:37], v[36:37], -v[49:50]
	v_cvt_f64_i32_e32 v[43:44], v7
	s_delay_alu instid0(VALU_DEP_2) | instskip(NEXT) | instid1(VALU_DEP_2)
	v_add_f64 v[9:10], v[9:10], v[36:37]
	v_add_f64 v[26:27], v[26:27], -v[43:44]
	s_delay_alu instid0(VALU_DEP_2) | instskip(NEXT) | instid1(VALU_DEP_2)
	v_add_f64 v[9:10], v[13:14], v[9:10]
	v_add_f64 v[13:14], v[30:31], v[26:27]
	s_delay_alu instid0(VALU_DEP_2) | instskip(NEXT) | instid1(VALU_DEP_2)
	v_add_f64 v[5:6], v[5:6], v[9:10]
	v_add_f64 v[9:10], v[13:14], -v[26:27]
	v_cmp_le_f64_e32 vcc_lo, 0.5, v[13:14]
	s_delay_alu instid0(VALU_DEP_3) | instskip(NEXT) | instid1(VALU_DEP_3)
	v_add_f64 v[5:6], v[24:25], v[5:6]
	v_add_f64 v[9:10], v[30:31], -v[9:10]
	v_cndmask_b32_e64 v43, 0, 0x3ff00000, vcc_lo
	v_add_co_ci_u32_e64 v143, s0, 0, v7, vcc_lo
	s_delay_alu instid0(VALU_DEP_3) | instskip(NEXT) | instid1(VALU_DEP_3)
	v_add_f64 v[5:6], v[5:6], v[9:10]
	v_add_f64 v[9:10], v[13:14], -v[42:43]
	s_delay_alu instid0(VALU_DEP_1) | instskip(NEXT) | instid1(VALU_DEP_1)
	v_add_f64 v[13:14], v[9:10], v[5:6]
	v_mul_f64 v[26:27], v[13:14], s[4:5]
	v_add_f64 v[9:10], v[13:14], -v[9:10]
	s_delay_alu instid0(VALU_DEP_2) | instskip(NEXT) | instid1(VALU_DEP_2)
	v_fma_f64 v[24:25], v[13:14], s[4:5], -v[26:27]
	v_add_f64 v[5:6], v[5:6], -v[9:10]
	s_delay_alu instid0(VALU_DEP_2) | instskip(NEXT) | instid1(VALU_DEP_1)
	v_fma_f64 v[9:10], v[13:14], s[6:7], v[24:25]
	v_fma_f64 v[5:6], v[5:6], s[4:5], v[9:10]
	s_delay_alu instid0(VALU_DEP_1) | instskip(NEXT) | instid1(VALU_DEP_1)
	v_add_f64 v[24:25], v[26:27], v[5:6]
	v_add_f64 v[9:10], v[24:25], -v[26:27]
	s_delay_alu instid0(VALU_DEP_1)
	v_add_f64 v[40:41], v[5:6], -v[9:10]
	s_and_not1_saveexec_b32 s0, s2
	s_cbranch_execz .LBB129_76
	s_branch .LBB129_75
.LBB129_74:
	s_and_not1_saveexec_b32 s0, s2
	s_cbranch_execz .LBB129_76
.LBB129_75:
	s_mov_b32 s2, 0x6dc9c883
	s_mov_b32 s3, 0x3fe45f30
	;; [unrolled: 1-line block ×3, first 2 shown]
	v_mul_f64 v[5:6], |v[2:3]|, s[2:3]
	s_mov_b32 s2, 0x54442d18
	s_mov_b32 s3, 0xbff921fb
	;; [unrolled: 1-line block ×3, first 2 shown]
	s_delay_alu instid0(VALU_DEP_1) | instskip(NEXT) | instid1(VALU_DEP_1)
	v_rndne_f64_e32 v[5:6], v[5:6]
	v_fma_f64 v[9:10], v[5:6], s[2:3], |v[2:3]|
	v_mul_f64 v[13:14], v[5:6], s[4:5]
	s_mov_b32 s2, 0x252049c0
	s_mov_b32 s3, 0xb97b839a
	v_cvt_i32_f64_e32 v143, v[5:6]
	s_delay_alu instid0(VALU_DEP_3) | instskip(NEXT) | instid1(VALU_DEP_3)
	v_fma_f64 v[26:27], v[5:6], s[4:5], v[9:10]
	v_add_f64 v[24:25], v[9:10], v[13:14]
	s_mov_b32 s5, 0x3c91a626
	s_delay_alu instid0(VALU_DEP_1) | instskip(NEXT) | instid1(VALU_DEP_3)
	v_add_f64 v[9:10], v[9:10], -v[24:25]
	v_add_f64 v[24:25], v[24:25], -v[26:27]
	s_delay_alu instid0(VALU_DEP_2) | instskip(SKIP_1) | instid1(VALU_DEP_2)
	v_add_f64 v[9:10], v[9:10], v[13:14]
	v_fma_f64 v[13:14], v[5:6], s[4:5], v[13:14]
	v_add_f64 v[9:10], v[24:25], v[9:10]
	s_delay_alu instid0(VALU_DEP_1) | instskip(NEXT) | instid1(VALU_DEP_1)
	v_add_f64 v[9:10], v[9:10], -v[13:14]
	v_fma_f64 v[9:10], v[5:6], s[2:3], v[9:10]
	s_delay_alu instid0(VALU_DEP_1) | instskip(NEXT) | instid1(VALU_DEP_1)
	v_add_f64 v[24:25], v[26:27], v[9:10]
	v_add_f64 v[13:14], v[24:25], -v[26:27]
	s_delay_alu instid0(VALU_DEP_1)
	v_add_f64 v[40:41], v[9:10], -v[13:14]
.LBB129_76:
	s_or_b32 exec_lo, exec_lo, s0
                                        ; implicit-def: $vgpr144
                                        ; implicit-def: $vgpr28_vgpr29
                                        ; implicit-def: $vgpr42_vgpr43
	s_and_saveexec_b32 s0, s1
	s_delay_alu instid0(SALU_CYCLE_1)
	s_xor_b32 s1, exec_lo, s0
	s_cbranch_execz .LBB129_78
; %bb.77:
	v_ldexp_f64 v[5:6], |v[2:3]|, 0xffffff80
	v_cmp_le_f64_e64 vcc_lo, 0x7b000000, |v[2:3]|
	v_trig_preop_f64 v[9:10], |v[2:3]|, 0
	v_and_b32_e32 v7, 0x7fffffff, v3
	v_trig_preop_f64 v[13:14], |v[2:3]|, 1
	v_trig_preop_f64 v[36:37], |v[2:3]|, 2
	s_mov_b32 s2, 0x54442d18
	s_mov_b32 s3, 0x3ff921fb
	;; [unrolled: 1-line block ×4, first 2 shown]
	v_mov_b32_e32 v46, 0
	v_dual_cndmask_b32 v6, v7, v6 :: v_dual_cndmask_b32 v5, v2, v5
	s_delay_alu instid0(VALU_DEP_1) | instskip(SKIP_2) | instid1(VALU_DEP_3)
	v_mul_f64 v[26:27], v[9:10], v[5:6]
	v_mul_f64 v[28:29], v[13:14], v[5:6]
	;; [unrolled: 1-line block ×3, first 2 shown]
	v_fma_f64 v[9:10], v[9:10], v[5:6], -v[26:27]
	s_delay_alu instid0(VALU_DEP_3) | instskip(NEXT) | instid1(VALU_DEP_3)
	v_fma_f64 v[13:14], v[13:14], v[5:6], -v[28:29]
	v_fma_f64 v[5:6], v[36:37], v[5:6], -v[44:45]
	s_delay_alu instid0(VALU_DEP_3) | instskip(NEXT) | instid1(VALU_DEP_1)
	v_add_f64 v[30:31], v[28:29], v[9:10]
	v_add_f64 v[34:35], v[30:31], -v[28:29]
	v_add_f64 v[42:43], v[26:27], v[30:31]
	s_delay_alu instid0(VALU_DEP_2) | instskip(SKIP_1) | instid1(VALU_DEP_3)
	v_add_f64 v[38:39], v[30:31], -v[34:35]
	v_add_f64 v[9:10], v[9:10], -v[34:35]
	v_ldexp_f64 v[34:35], v[42:43], -2
	v_add_f64 v[26:27], v[42:43], -v[26:27]
	s_delay_alu instid0(VALU_DEP_4) | instskip(SKIP_1) | instid1(VALU_DEP_4)
	v_add_f64 v[28:29], v[28:29], -v[38:39]
	v_add_f64 v[38:39], v[44:45], v[13:14]
	v_cmp_neq_f64_e64 vcc_lo, 0x7ff00000, |v[34:35]|
	s_delay_alu instid0(VALU_DEP_4) | instskip(NEXT) | instid1(VALU_DEP_4)
	v_add_f64 v[26:27], v[30:31], -v[26:27]
	v_add_f64 v[9:10], v[9:10], v[28:29]
	v_fract_f64_e32 v[28:29], v[34:35]
	s_delay_alu instid0(VALU_DEP_2) | instskip(NEXT) | instid1(VALU_DEP_2)
	v_add_f64 v[30:31], v[38:39], v[9:10]
	v_dual_cndmask_b32 v29, 0, v29 :: v_dual_cndmask_b32 v28, 0, v28
	s_delay_alu instid0(VALU_DEP_1) | instskip(NEXT) | instid1(VALU_DEP_3)
	v_ldexp_f64 v[28:29], v[28:29], 2
	v_add_f64 v[34:35], v[26:27], v[30:31]
	s_delay_alu instid0(VALU_DEP_1) | instskip(SKIP_1) | instid1(VALU_DEP_2)
	v_add_f64 v[42:43], v[34:35], v[28:29]
	v_add_f64 v[26:27], v[34:35], -v[26:27]
	v_cmp_gt_f64_e32 vcc_lo, 0, v[42:43]
	v_add_f64 v[42:43], v[38:39], -v[44:45]
	s_delay_alu instid0(VALU_DEP_3) | instskip(SKIP_1) | instid1(VALU_DEP_3)
	v_add_f64 v[26:27], v[30:31], -v[26:27]
	v_cndmask_b32_e64 v47, 0, 0x40100000, vcc_lo
	v_add_f64 v[51:52], v[38:39], -v[42:43]
	v_add_f64 v[13:14], v[13:14], -v[42:43]
	s_delay_alu instid0(VALU_DEP_3) | instskip(SKIP_1) | instid1(VALU_DEP_4)
	v_add_f64 v[28:29], v[28:29], v[46:47]
	v_add_f64 v[47:48], v[30:31], -v[38:39]
	v_add_f64 v[42:43], v[44:45], -v[51:52]
	s_delay_alu instid0(VALU_DEP_3) | instskip(NEXT) | instid1(VALU_DEP_3)
	v_add_f64 v[49:50], v[34:35], v[28:29]
	v_add_f64 v[53:54], v[30:31], -v[47:48]
	v_add_f64 v[9:10], v[9:10], -v[47:48]
	s_delay_alu instid0(VALU_DEP_4) | instskip(NEXT) | instid1(VALU_DEP_4)
	v_add_f64 v[13:14], v[13:14], v[42:43]
	v_cvt_i32_f64_e32 v7, v[49:50]
	s_delay_alu instid0(VALU_DEP_4) | instskip(NEXT) | instid1(VALU_DEP_2)
	v_add_f64 v[38:39], v[38:39], -v[53:54]
	v_cvt_f64_i32_e32 v[47:48], v7
	s_delay_alu instid0(VALU_DEP_2) | instskip(NEXT) | instid1(VALU_DEP_2)
	v_add_f64 v[9:10], v[9:10], v[38:39]
	v_add_f64 v[28:29], v[28:29], -v[47:48]
	s_delay_alu instid0(VALU_DEP_2) | instskip(NEXT) | instid1(VALU_DEP_2)
	v_add_f64 v[9:10], v[13:14], v[9:10]
	v_add_f64 v[13:14], v[34:35], v[28:29]
	s_delay_alu instid0(VALU_DEP_2) | instskip(NEXT) | instid1(VALU_DEP_2)
	v_add_f64 v[5:6], v[5:6], v[9:10]
	v_add_f64 v[9:10], v[13:14], -v[28:29]
	v_cmp_le_f64_e32 vcc_lo, 0.5, v[13:14]
	s_delay_alu instid0(VALU_DEP_3) | instskip(NEXT) | instid1(VALU_DEP_3)
	v_add_f64 v[5:6], v[26:27], v[5:6]
	v_add_f64 v[9:10], v[34:35], -v[9:10]
	v_cndmask_b32_e64 v47, 0, 0x3ff00000, vcc_lo
	v_add_co_ci_u32_e64 v144, s0, 0, v7, vcc_lo
	s_delay_alu instid0(VALU_DEP_3) | instskip(NEXT) | instid1(VALU_DEP_3)
	v_add_f64 v[5:6], v[5:6], v[9:10]
	v_add_f64 v[9:10], v[13:14], -v[46:47]
	s_delay_alu instid0(VALU_DEP_1) | instskip(NEXT) | instid1(VALU_DEP_1)
	v_add_f64 v[13:14], v[9:10], v[5:6]
	v_mul_f64 v[26:27], v[13:14], s[2:3]
	v_add_f64 v[9:10], v[13:14], -v[9:10]
	s_delay_alu instid0(VALU_DEP_2) | instskip(NEXT) | instid1(VALU_DEP_2)
	v_fma_f64 v[28:29], v[13:14], s[2:3], -v[26:27]
	v_add_f64 v[5:6], v[5:6], -v[9:10]
	s_delay_alu instid0(VALU_DEP_2) | instskip(NEXT) | instid1(VALU_DEP_1)
	v_fma_f64 v[9:10], v[13:14], s[4:5], v[28:29]
	v_fma_f64 v[5:6], v[5:6], s[2:3], v[9:10]
	s_delay_alu instid0(VALU_DEP_1) | instskip(NEXT) | instid1(VALU_DEP_1)
	v_add_f64 v[28:29], v[26:27], v[5:6]
	v_add_f64 v[9:10], v[28:29], -v[26:27]
	s_delay_alu instid0(VALU_DEP_1)
	v_add_f64 v[42:43], v[5:6], -v[9:10]
	s_and_not1_saveexec_b32 s0, s1
	s_cbranch_execnz .LBB129_79
	s_branch .LBB129_80
.LBB129_78:
	s_and_not1_saveexec_b32 s0, s1
	s_cbranch_execz .LBB129_80
.LBB129_79:
	s_mov_b32 s2, 0x6dc9c883
	s_mov_b32 s3, 0x3fe45f30
	;; [unrolled: 1-line block ×3, first 2 shown]
	v_mul_f64 v[5:6], |v[2:3]|, s[2:3]
	s_mov_b32 s2, 0x54442d18
	s_mov_b32 s3, 0xbff921fb
	;; [unrolled: 1-line block ×3, first 2 shown]
	s_delay_alu instid0(VALU_DEP_1) | instskip(NEXT) | instid1(VALU_DEP_1)
	v_rndne_f64_e32 v[5:6], v[5:6]
	v_fma_f64 v[9:10], v[5:6], s[2:3], |v[2:3]|
	v_mul_f64 v[13:14], v[5:6], s[4:5]
	s_mov_b32 s2, 0x252049c0
	s_mov_b32 s3, 0xb97b839a
	v_cvt_i32_f64_e32 v144, v[5:6]
	s_delay_alu instid0(VALU_DEP_3) | instskip(NEXT) | instid1(VALU_DEP_3)
	v_fma_f64 v[30:31], v[5:6], s[4:5], v[9:10]
	v_add_f64 v[26:27], v[9:10], v[13:14]
	s_mov_b32 s5, 0x3c91a626
	s_delay_alu instid0(VALU_DEP_1) | instskip(NEXT) | instid1(VALU_DEP_3)
	v_add_f64 v[9:10], v[9:10], -v[26:27]
	v_add_f64 v[26:27], v[26:27], -v[30:31]
	s_delay_alu instid0(VALU_DEP_2) | instskip(SKIP_1) | instid1(VALU_DEP_2)
	v_add_f64 v[9:10], v[9:10], v[13:14]
	v_fma_f64 v[13:14], v[5:6], s[4:5], v[13:14]
	v_add_f64 v[9:10], v[26:27], v[9:10]
	s_delay_alu instid0(VALU_DEP_1) | instskip(NEXT) | instid1(VALU_DEP_1)
	v_add_f64 v[9:10], v[9:10], -v[13:14]
	v_fma_f64 v[9:10], v[5:6], s[2:3], v[9:10]
	s_delay_alu instid0(VALU_DEP_1) | instskip(NEXT) | instid1(VALU_DEP_1)
	v_add_f64 v[28:29], v[30:31], v[9:10]
	v_add_f64 v[13:14], v[28:29], -v[30:31]
	s_delay_alu instid0(VALU_DEP_1)
	v_add_f64 v[42:43], v[9:10], -v[13:14]
.LBB129_80:
	s_or_b32 exec_lo, exec_lo, s0
	global_load_b128 v[4:7], v4, s[26:27]
	s_mov_b32 s1, exec_lo
                                        ; implicit-def: $vgpr145
                                        ; implicit-def: $vgpr30_vgpr31
                                        ; implicit-def: $vgpr50_vgpr51
	s_waitcnt vmcnt(0)
	v_mul_f64 v[26:27], v[6:7], 0.5
	s_delay_alu instid0(VALU_DEP_1)
	v_cmpx_ngt_f64_e64 0x41d00000, |v[26:27]|
	s_xor_b32 s1, exec_lo, s1
	s_cbranch_execz .LBB129_82
; %bb.81:
	v_ldexp_f64 v[9:10], |v[26:27]|, 0xffffff80
	v_cmp_le_f64_e64 vcc_lo, 0x7b000000, |v[26:27]|
	v_trig_preop_f64 v[13:14], |v[26:27]|, 0
	v_and_b32_e32 v11, 0x7fffffff, v27
	v_trig_preop_f64 v[30:31], |v[26:27]|, 1
	v_trig_preop_f64 v[46:47], |v[26:27]|, 2
	s_mov_b32 s2, 0x54442d18
	s_mov_b32 s3, 0x3ff921fb
	;; [unrolled: 1-line block ×4, first 2 shown]
	v_mov_b32_e32 v54, 0
	v_dual_cndmask_b32 v10, v11, v10 :: v_dual_cndmask_b32 v9, v26, v9
	s_delay_alu instid0(VALU_DEP_1) | instskip(SKIP_2) | instid1(VALU_DEP_3)
	v_mul_f64 v[34:35], v[13:14], v[9:10]
	v_mul_f64 v[36:37], v[30:31], v[9:10]
	;; [unrolled: 1-line block ×3, first 2 shown]
	v_fma_f64 v[13:14], v[13:14], v[9:10], -v[34:35]
	s_delay_alu instid0(VALU_DEP_3) | instskip(NEXT) | instid1(VALU_DEP_3)
	v_fma_f64 v[30:31], v[30:31], v[9:10], -v[36:37]
	v_fma_f64 v[9:10], v[46:47], v[9:10], -v[52:53]
	s_delay_alu instid0(VALU_DEP_3) | instskip(NEXT) | instid1(VALU_DEP_1)
	v_add_f64 v[38:39], v[36:37], v[13:14]
	v_add_f64 v[44:45], v[38:39], -v[36:37]
	v_add_f64 v[50:51], v[34:35], v[38:39]
	s_delay_alu instid0(VALU_DEP_2) | instskip(SKIP_1) | instid1(VALU_DEP_3)
	v_add_f64 v[48:49], v[38:39], -v[44:45]
	v_add_f64 v[13:14], v[13:14], -v[44:45]
	v_ldexp_f64 v[44:45], v[50:51], -2
	v_add_f64 v[34:35], v[50:51], -v[34:35]
	s_delay_alu instid0(VALU_DEP_4) | instskip(SKIP_1) | instid1(VALU_DEP_4)
	v_add_f64 v[36:37], v[36:37], -v[48:49]
	v_add_f64 v[48:49], v[52:53], v[30:31]
	v_cmp_neq_f64_e64 vcc_lo, 0x7ff00000, |v[44:45]|
	s_delay_alu instid0(VALU_DEP_4) | instskip(NEXT) | instid1(VALU_DEP_4)
	v_add_f64 v[34:35], v[38:39], -v[34:35]
	v_add_f64 v[13:14], v[13:14], v[36:37]
	v_fract_f64_e32 v[36:37], v[44:45]
	s_delay_alu instid0(VALU_DEP_2) | instskip(NEXT) | instid1(VALU_DEP_2)
	v_add_f64 v[38:39], v[48:49], v[13:14]
	v_dual_cndmask_b32 v37, 0, v37 :: v_dual_cndmask_b32 v36, 0, v36
	s_delay_alu instid0(VALU_DEP_1) | instskip(NEXT) | instid1(VALU_DEP_3)
	v_ldexp_f64 v[36:37], v[36:37], 2
	v_add_f64 v[44:45], v[34:35], v[38:39]
	s_delay_alu instid0(VALU_DEP_1) | instskip(SKIP_1) | instid1(VALU_DEP_2)
	v_add_f64 v[50:51], v[44:45], v[36:37]
	v_add_f64 v[34:35], v[44:45], -v[34:35]
	v_cmp_gt_f64_e32 vcc_lo, 0, v[50:51]
	v_add_f64 v[50:51], v[48:49], -v[52:53]
	s_delay_alu instid0(VALU_DEP_3) | instskip(SKIP_1) | instid1(VALU_DEP_3)
	v_add_f64 v[34:35], v[38:39], -v[34:35]
	v_cndmask_b32_e64 v55, 0, 0x40100000, vcc_lo
	v_add_f64 v[59:60], v[48:49], -v[50:51]
	v_add_f64 v[30:31], v[30:31], -v[50:51]
	s_delay_alu instid0(VALU_DEP_3) | instskip(SKIP_1) | instid1(VALU_DEP_4)
	v_add_f64 v[36:37], v[36:37], v[54:55]
	v_add_f64 v[55:56], v[38:39], -v[48:49]
	v_add_f64 v[50:51], v[52:53], -v[59:60]
	s_delay_alu instid0(VALU_DEP_3) | instskip(NEXT) | instid1(VALU_DEP_3)
	v_add_f64 v[57:58], v[44:45], v[36:37]
	v_add_f64 v[61:62], v[38:39], -v[55:56]
	v_add_f64 v[13:14], v[13:14], -v[55:56]
	s_delay_alu instid0(VALU_DEP_4) | instskip(NEXT) | instid1(VALU_DEP_4)
	v_add_f64 v[30:31], v[30:31], v[50:51]
	v_cvt_i32_f64_e32 v11, v[57:58]
	s_delay_alu instid0(VALU_DEP_4) | instskip(NEXT) | instid1(VALU_DEP_2)
	v_add_f64 v[48:49], v[48:49], -v[61:62]
	v_cvt_f64_i32_e32 v[55:56], v11
	s_delay_alu instid0(VALU_DEP_2) | instskip(NEXT) | instid1(VALU_DEP_2)
	v_add_f64 v[13:14], v[13:14], v[48:49]
	v_add_f64 v[36:37], v[36:37], -v[55:56]
	s_delay_alu instid0(VALU_DEP_2) | instskip(NEXT) | instid1(VALU_DEP_2)
	v_add_f64 v[13:14], v[30:31], v[13:14]
	v_add_f64 v[30:31], v[44:45], v[36:37]
	s_delay_alu instid0(VALU_DEP_2) | instskip(NEXT) | instid1(VALU_DEP_2)
	v_add_f64 v[9:10], v[9:10], v[13:14]
	v_add_f64 v[13:14], v[30:31], -v[36:37]
	v_cmp_le_f64_e32 vcc_lo, 0.5, v[30:31]
	s_delay_alu instid0(VALU_DEP_3) | instskip(NEXT) | instid1(VALU_DEP_3)
	v_add_f64 v[9:10], v[34:35], v[9:10]
	v_add_f64 v[13:14], v[44:45], -v[13:14]
	v_cndmask_b32_e64 v55, 0, 0x3ff00000, vcc_lo
	v_add_co_ci_u32_e64 v145, s0, 0, v11, vcc_lo
	s_delay_alu instid0(VALU_DEP_3) | instskip(NEXT) | instid1(VALU_DEP_3)
	v_add_f64 v[9:10], v[9:10], v[13:14]
	v_add_f64 v[13:14], v[30:31], -v[54:55]
	s_delay_alu instid0(VALU_DEP_1) | instskip(NEXT) | instid1(VALU_DEP_1)
	v_add_f64 v[30:31], v[13:14], v[9:10]
	v_mul_f64 v[34:35], v[30:31], s[2:3]
	v_add_f64 v[13:14], v[30:31], -v[13:14]
	s_delay_alu instid0(VALU_DEP_2) | instskip(NEXT) | instid1(VALU_DEP_2)
	v_fma_f64 v[36:37], v[30:31], s[2:3], -v[34:35]
	v_add_f64 v[9:10], v[9:10], -v[13:14]
	s_delay_alu instid0(VALU_DEP_2) | instskip(NEXT) | instid1(VALU_DEP_1)
	v_fma_f64 v[13:14], v[30:31], s[4:5], v[36:37]
	v_fma_f64 v[9:10], v[9:10], s[2:3], v[13:14]
	s_delay_alu instid0(VALU_DEP_1) | instskip(NEXT) | instid1(VALU_DEP_1)
	v_add_f64 v[30:31], v[34:35], v[9:10]
	v_add_f64 v[13:14], v[30:31], -v[34:35]
	s_delay_alu instid0(VALU_DEP_1)
	v_add_f64 v[50:51], v[9:10], -v[13:14]
.LBB129_82:
	s_and_not1_saveexec_b32 s0, s1
	s_cbranch_execz .LBB129_84
; %bb.83:
	s_mov_b32 s2, 0x6dc9c883
	s_mov_b32 s3, 0x3fe45f30
	;; [unrolled: 1-line block ×3, first 2 shown]
	v_mul_f64 v[9:10], |v[26:27]|, s[2:3]
	s_mov_b32 s2, 0x54442d18
	s_mov_b32 s3, 0xbff921fb
	s_mov_b32 s4, 0x33145c00
	s_delay_alu instid0(VALU_DEP_1) | instskip(NEXT) | instid1(VALU_DEP_1)
	v_rndne_f64_e32 v[9:10], v[9:10]
	v_fma_f64 v[13:14], v[9:10], s[2:3], |v[26:27]|
	v_mul_f64 v[30:31], v[9:10], s[4:5]
	s_mov_b32 s2, 0x252049c0
	s_mov_b32 s3, 0xb97b839a
	v_cvt_i32_f64_e32 v145, v[9:10]
	s_delay_alu instid0(VALU_DEP_3) | instskip(NEXT) | instid1(VALU_DEP_3)
	v_fma_f64 v[36:37], v[9:10], s[4:5], v[13:14]
	v_add_f64 v[34:35], v[13:14], v[30:31]
	s_mov_b32 s5, 0x3c91a626
	s_delay_alu instid0(VALU_DEP_1) | instskip(NEXT) | instid1(VALU_DEP_3)
	v_add_f64 v[13:14], v[13:14], -v[34:35]
	v_add_f64 v[34:35], v[34:35], -v[36:37]
	s_delay_alu instid0(VALU_DEP_2) | instskip(SKIP_1) | instid1(VALU_DEP_2)
	v_add_f64 v[13:14], v[13:14], v[30:31]
	v_fma_f64 v[30:31], v[9:10], s[4:5], v[30:31]
	v_add_f64 v[13:14], v[34:35], v[13:14]
	s_delay_alu instid0(VALU_DEP_1) | instskip(NEXT) | instid1(VALU_DEP_1)
	v_add_f64 v[13:14], v[13:14], -v[30:31]
	v_fma_f64 v[13:14], v[9:10], s[2:3], v[13:14]
	s_delay_alu instid0(VALU_DEP_1) | instskip(NEXT) | instid1(VALU_DEP_1)
	v_add_f64 v[30:31], v[36:37], v[13:14]
	v_add_f64 v[34:35], v[30:31], -v[36:37]
	s_delay_alu instid0(VALU_DEP_1)
	v_add_f64 v[50:51], v[13:14], -v[34:35]
.LBB129_84:
	s_or_b32 exec_lo, exec_lo, s0
	v_cmp_ngt_f64_e64 s1, 0x41d00000, |v[6:7]|
                                        ; implicit-def: $vgpr146
                                        ; implicit-def: $vgpr34_vgpr35
                                        ; implicit-def: $vgpr54_vgpr55
	s_delay_alu instid0(VALU_DEP_1) | instskip(NEXT) | instid1(SALU_CYCLE_1)
	s_and_saveexec_b32 s0, s1
	s_xor_b32 s2, exec_lo, s0
	s_cbranch_execz .LBB129_86
; %bb.85:
	v_ldexp_f64 v[9:10], |v[6:7]|, 0xffffff80
	v_cmp_le_f64_e64 vcc_lo, 0x7b000000, |v[6:7]|
	v_trig_preop_f64 v[13:14], |v[6:7]|, 0
	v_and_b32_e32 v11, 0x7fffffff, v7
	v_trig_preop_f64 v[34:35], |v[6:7]|, 1
	v_trig_preop_f64 v[48:49], |v[6:7]|, 2
	s_mov_b32 s4, 0x54442d18
	s_mov_b32 s5, 0x3ff921fb
	;; [unrolled: 1-line block ×4, first 2 shown]
	v_mov_b32_e32 v58, 0
	v_dual_cndmask_b32 v10, v11, v10 :: v_dual_cndmask_b32 v9, v6, v9
	s_delay_alu instid0(VALU_DEP_1) | instskip(SKIP_2) | instid1(VALU_DEP_3)
	v_mul_f64 v[36:37], v[13:14], v[9:10]
	v_mul_f64 v[38:39], v[34:35], v[9:10]
	v_mul_f64 v[56:57], v[48:49], v[9:10]
	v_fma_f64 v[13:14], v[13:14], v[9:10], -v[36:37]
	s_delay_alu instid0(VALU_DEP_3) | instskip(NEXT) | instid1(VALU_DEP_3)
	v_fma_f64 v[34:35], v[34:35], v[9:10], -v[38:39]
	v_fma_f64 v[9:10], v[48:49], v[9:10], -v[56:57]
	s_delay_alu instid0(VALU_DEP_3) | instskip(NEXT) | instid1(VALU_DEP_1)
	v_add_f64 v[44:45], v[38:39], v[13:14]
	v_add_f64 v[46:47], v[44:45], -v[38:39]
	v_add_f64 v[54:55], v[36:37], v[44:45]
	s_delay_alu instid0(VALU_DEP_2) | instskip(SKIP_1) | instid1(VALU_DEP_3)
	v_add_f64 v[52:53], v[44:45], -v[46:47]
	v_add_f64 v[13:14], v[13:14], -v[46:47]
	v_ldexp_f64 v[46:47], v[54:55], -2
	v_add_f64 v[36:37], v[54:55], -v[36:37]
	s_delay_alu instid0(VALU_DEP_4) | instskip(SKIP_1) | instid1(VALU_DEP_4)
	v_add_f64 v[38:39], v[38:39], -v[52:53]
	v_add_f64 v[52:53], v[56:57], v[34:35]
	v_cmp_neq_f64_e64 vcc_lo, 0x7ff00000, |v[46:47]|
	s_delay_alu instid0(VALU_DEP_4) | instskip(NEXT) | instid1(VALU_DEP_4)
	v_add_f64 v[36:37], v[44:45], -v[36:37]
	v_add_f64 v[13:14], v[13:14], v[38:39]
	v_fract_f64_e32 v[38:39], v[46:47]
	s_delay_alu instid0(VALU_DEP_2) | instskip(NEXT) | instid1(VALU_DEP_2)
	v_add_f64 v[44:45], v[52:53], v[13:14]
	v_dual_cndmask_b32 v39, 0, v39 :: v_dual_cndmask_b32 v38, 0, v38
	s_delay_alu instid0(VALU_DEP_1) | instskip(NEXT) | instid1(VALU_DEP_3)
	v_ldexp_f64 v[38:39], v[38:39], 2
	v_add_f64 v[46:47], v[36:37], v[44:45]
	s_delay_alu instid0(VALU_DEP_1) | instskip(SKIP_1) | instid1(VALU_DEP_2)
	v_add_f64 v[54:55], v[46:47], v[38:39]
	v_add_f64 v[36:37], v[46:47], -v[36:37]
	v_cmp_gt_f64_e32 vcc_lo, 0, v[54:55]
	v_add_f64 v[54:55], v[52:53], -v[56:57]
	s_delay_alu instid0(VALU_DEP_3) | instskip(SKIP_1) | instid1(VALU_DEP_3)
	v_add_f64 v[36:37], v[44:45], -v[36:37]
	v_cndmask_b32_e64 v59, 0, 0x40100000, vcc_lo
	v_add_f64 v[63:64], v[52:53], -v[54:55]
	v_add_f64 v[34:35], v[34:35], -v[54:55]
	s_delay_alu instid0(VALU_DEP_3) | instskip(SKIP_1) | instid1(VALU_DEP_4)
	v_add_f64 v[38:39], v[38:39], v[58:59]
	v_add_f64 v[59:60], v[44:45], -v[52:53]
	v_add_f64 v[54:55], v[56:57], -v[63:64]
	s_delay_alu instid0(VALU_DEP_3) | instskip(NEXT) | instid1(VALU_DEP_3)
	v_add_f64 v[61:62], v[46:47], v[38:39]
	v_add_f64 v[65:66], v[44:45], -v[59:60]
	v_add_f64 v[13:14], v[13:14], -v[59:60]
	s_delay_alu instid0(VALU_DEP_4) | instskip(NEXT) | instid1(VALU_DEP_4)
	v_add_f64 v[34:35], v[34:35], v[54:55]
	v_cvt_i32_f64_e32 v11, v[61:62]
	s_delay_alu instid0(VALU_DEP_4) | instskip(NEXT) | instid1(VALU_DEP_2)
	v_add_f64 v[52:53], v[52:53], -v[65:66]
	v_cvt_f64_i32_e32 v[59:60], v11
	s_delay_alu instid0(VALU_DEP_2) | instskip(NEXT) | instid1(VALU_DEP_2)
	v_add_f64 v[13:14], v[13:14], v[52:53]
	v_add_f64 v[38:39], v[38:39], -v[59:60]
	s_delay_alu instid0(VALU_DEP_2) | instskip(NEXT) | instid1(VALU_DEP_2)
	v_add_f64 v[13:14], v[34:35], v[13:14]
	v_add_f64 v[34:35], v[46:47], v[38:39]
	s_delay_alu instid0(VALU_DEP_2) | instskip(NEXT) | instid1(VALU_DEP_2)
	v_add_f64 v[9:10], v[9:10], v[13:14]
	v_add_f64 v[13:14], v[34:35], -v[38:39]
	v_cmp_le_f64_e32 vcc_lo, 0.5, v[34:35]
	s_delay_alu instid0(VALU_DEP_3) | instskip(NEXT) | instid1(VALU_DEP_3)
	v_add_f64 v[9:10], v[36:37], v[9:10]
	v_add_f64 v[13:14], v[46:47], -v[13:14]
	v_cndmask_b32_e64 v59, 0, 0x3ff00000, vcc_lo
	v_add_co_ci_u32_e64 v146, s0, 0, v11, vcc_lo
	s_delay_alu instid0(VALU_DEP_3) | instskip(NEXT) | instid1(VALU_DEP_3)
	v_add_f64 v[9:10], v[9:10], v[13:14]
	v_add_f64 v[13:14], v[34:35], -v[58:59]
	s_delay_alu instid0(VALU_DEP_1) | instskip(NEXT) | instid1(VALU_DEP_1)
	v_add_f64 v[34:35], v[13:14], v[9:10]
	v_mul_f64 v[36:37], v[34:35], s[4:5]
	v_add_f64 v[13:14], v[34:35], -v[13:14]
	s_delay_alu instid0(VALU_DEP_2) | instskip(NEXT) | instid1(VALU_DEP_2)
	v_fma_f64 v[38:39], v[34:35], s[4:5], -v[36:37]
	v_add_f64 v[9:10], v[9:10], -v[13:14]
	s_delay_alu instid0(VALU_DEP_2) | instskip(NEXT) | instid1(VALU_DEP_1)
	v_fma_f64 v[13:14], v[34:35], s[6:7], v[38:39]
	v_fma_f64 v[9:10], v[9:10], s[4:5], v[13:14]
	s_delay_alu instid0(VALU_DEP_1) | instskip(NEXT) | instid1(VALU_DEP_1)
	v_add_f64 v[34:35], v[36:37], v[9:10]
	v_add_f64 v[13:14], v[34:35], -v[36:37]
	s_delay_alu instid0(VALU_DEP_1)
	v_add_f64 v[54:55], v[9:10], -v[13:14]
	s_and_not1_saveexec_b32 s0, s2
	s_cbranch_execz .LBB129_88
	s_branch .LBB129_87
.LBB129_86:
	s_and_not1_saveexec_b32 s0, s2
	s_cbranch_execz .LBB129_88
.LBB129_87:
	s_mov_b32 s2, 0x6dc9c883
	s_mov_b32 s3, 0x3fe45f30
	;; [unrolled: 1-line block ×3, first 2 shown]
	v_mul_f64 v[9:10], |v[6:7]|, s[2:3]
	s_mov_b32 s2, 0x54442d18
	s_mov_b32 s3, 0xbff921fb
	s_mov_b32 s4, 0x33145c00
	s_delay_alu instid0(VALU_DEP_1) | instskip(NEXT) | instid1(VALU_DEP_1)
	v_rndne_f64_e32 v[9:10], v[9:10]
	v_fma_f64 v[13:14], v[9:10], s[2:3], |v[6:7]|
	v_mul_f64 v[34:35], v[9:10], s[4:5]
	s_mov_b32 s2, 0x252049c0
	s_mov_b32 s3, 0xb97b839a
	v_cvt_i32_f64_e32 v146, v[9:10]
	s_delay_alu instid0(VALU_DEP_3) | instskip(NEXT) | instid1(VALU_DEP_3)
	v_fma_f64 v[38:39], v[9:10], s[4:5], v[13:14]
	v_add_f64 v[36:37], v[13:14], v[34:35]
	s_mov_b32 s5, 0x3c91a626
	s_delay_alu instid0(VALU_DEP_1) | instskip(NEXT) | instid1(VALU_DEP_3)
	v_add_f64 v[13:14], v[13:14], -v[36:37]
	v_add_f64 v[36:37], v[36:37], -v[38:39]
	s_delay_alu instid0(VALU_DEP_2) | instskip(SKIP_1) | instid1(VALU_DEP_2)
	v_add_f64 v[13:14], v[13:14], v[34:35]
	v_fma_f64 v[34:35], v[9:10], s[4:5], v[34:35]
	v_add_f64 v[13:14], v[36:37], v[13:14]
	s_delay_alu instid0(VALU_DEP_1) | instskip(NEXT) | instid1(VALU_DEP_1)
	v_add_f64 v[13:14], v[13:14], -v[34:35]
	v_fma_f64 v[13:14], v[9:10], s[2:3], v[13:14]
	s_delay_alu instid0(VALU_DEP_1) | instskip(NEXT) | instid1(VALU_DEP_1)
	v_add_f64 v[34:35], v[38:39], v[13:14]
	v_add_f64 v[36:37], v[34:35], -v[38:39]
	s_delay_alu instid0(VALU_DEP_1)
	v_add_f64 v[54:55], v[13:14], -v[36:37]
.LBB129_88:
	s_or_b32 exec_lo, exec_lo, s0
                                        ; implicit-def: $vgpr147
                                        ; implicit-def: $vgpr38_vgpr39
                                        ; implicit-def: $vgpr58_vgpr59
	s_and_saveexec_b32 s0, s1
	s_delay_alu instid0(SALU_CYCLE_1)
	s_xor_b32 s1, exec_lo, s0
	s_cbranch_execz .LBB129_90
; %bb.89:
	v_ldexp_f64 v[9:10], |v[6:7]|, 0xffffff80
	v_cmp_le_f64_e64 vcc_lo, 0x7b000000, |v[6:7]|
	v_trig_preop_f64 v[13:14], |v[6:7]|, 0
	v_and_b32_e32 v11, 0x7fffffff, v7
	v_trig_preop_f64 v[36:37], |v[6:7]|, 1
	v_trig_preop_f64 v[52:53], |v[6:7]|, 2
	s_mov_b32 s2, 0x54442d18
	s_mov_b32 s3, 0x3ff921fb
	;; [unrolled: 1-line block ×4, first 2 shown]
	v_mov_b32_e32 v62, 0
	v_dual_cndmask_b32 v10, v11, v10 :: v_dual_cndmask_b32 v9, v6, v9
	s_delay_alu instid0(VALU_DEP_1) | instskip(SKIP_2) | instid1(VALU_DEP_3)
	v_mul_f64 v[38:39], v[13:14], v[9:10]
	v_mul_f64 v[44:45], v[36:37], v[9:10]
	;; [unrolled: 1-line block ×3, first 2 shown]
	v_fma_f64 v[13:14], v[13:14], v[9:10], -v[38:39]
	s_delay_alu instid0(VALU_DEP_3) | instskip(NEXT) | instid1(VALU_DEP_3)
	v_fma_f64 v[36:37], v[36:37], v[9:10], -v[44:45]
	v_fma_f64 v[9:10], v[52:53], v[9:10], -v[60:61]
	s_delay_alu instid0(VALU_DEP_3) | instskip(NEXT) | instid1(VALU_DEP_1)
	v_add_f64 v[46:47], v[44:45], v[13:14]
	v_add_f64 v[48:49], v[46:47], -v[44:45]
	v_add_f64 v[58:59], v[38:39], v[46:47]
	s_delay_alu instid0(VALU_DEP_2) | instskip(SKIP_1) | instid1(VALU_DEP_3)
	v_add_f64 v[56:57], v[46:47], -v[48:49]
	v_add_f64 v[13:14], v[13:14], -v[48:49]
	v_ldexp_f64 v[48:49], v[58:59], -2
	v_add_f64 v[38:39], v[58:59], -v[38:39]
	s_delay_alu instid0(VALU_DEP_4) | instskip(SKIP_1) | instid1(VALU_DEP_4)
	v_add_f64 v[44:45], v[44:45], -v[56:57]
	v_add_f64 v[56:57], v[60:61], v[36:37]
	v_cmp_neq_f64_e64 vcc_lo, 0x7ff00000, |v[48:49]|
	s_delay_alu instid0(VALU_DEP_4) | instskip(NEXT) | instid1(VALU_DEP_4)
	v_add_f64 v[38:39], v[46:47], -v[38:39]
	v_add_f64 v[13:14], v[13:14], v[44:45]
	v_fract_f64_e32 v[44:45], v[48:49]
	s_delay_alu instid0(VALU_DEP_2) | instskip(NEXT) | instid1(VALU_DEP_2)
	v_add_f64 v[46:47], v[56:57], v[13:14]
	v_dual_cndmask_b32 v45, 0, v45 :: v_dual_cndmask_b32 v44, 0, v44
	s_delay_alu instid0(VALU_DEP_1) | instskip(NEXT) | instid1(VALU_DEP_3)
	v_ldexp_f64 v[44:45], v[44:45], 2
	v_add_f64 v[48:49], v[38:39], v[46:47]
	s_delay_alu instid0(VALU_DEP_1) | instskip(SKIP_1) | instid1(VALU_DEP_2)
	v_add_f64 v[58:59], v[48:49], v[44:45]
	v_add_f64 v[38:39], v[48:49], -v[38:39]
	v_cmp_gt_f64_e32 vcc_lo, 0, v[58:59]
	v_add_f64 v[58:59], v[56:57], -v[60:61]
	s_delay_alu instid0(VALU_DEP_3) | instskip(SKIP_1) | instid1(VALU_DEP_3)
	v_add_f64 v[38:39], v[46:47], -v[38:39]
	v_cndmask_b32_e64 v63, 0, 0x40100000, vcc_lo
	v_add_f64 v[67:68], v[56:57], -v[58:59]
	v_add_f64 v[36:37], v[36:37], -v[58:59]
	s_delay_alu instid0(VALU_DEP_3) | instskip(SKIP_1) | instid1(VALU_DEP_4)
	v_add_f64 v[44:45], v[44:45], v[62:63]
	v_add_f64 v[63:64], v[46:47], -v[56:57]
	v_add_f64 v[58:59], v[60:61], -v[67:68]
	s_delay_alu instid0(VALU_DEP_3) | instskip(NEXT) | instid1(VALU_DEP_3)
	v_add_f64 v[65:66], v[48:49], v[44:45]
	v_add_f64 v[69:70], v[46:47], -v[63:64]
	v_add_f64 v[13:14], v[13:14], -v[63:64]
	s_delay_alu instid0(VALU_DEP_4) | instskip(NEXT) | instid1(VALU_DEP_4)
	v_add_f64 v[36:37], v[36:37], v[58:59]
	v_cvt_i32_f64_e32 v11, v[65:66]
	s_delay_alu instid0(VALU_DEP_4) | instskip(NEXT) | instid1(VALU_DEP_2)
	v_add_f64 v[56:57], v[56:57], -v[69:70]
	v_cvt_f64_i32_e32 v[63:64], v11
	s_delay_alu instid0(VALU_DEP_2) | instskip(NEXT) | instid1(VALU_DEP_2)
	v_add_f64 v[13:14], v[13:14], v[56:57]
	v_add_f64 v[44:45], v[44:45], -v[63:64]
	s_delay_alu instid0(VALU_DEP_2) | instskip(NEXT) | instid1(VALU_DEP_2)
	v_add_f64 v[13:14], v[36:37], v[13:14]
	v_add_f64 v[36:37], v[48:49], v[44:45]
	s_delay_alu instid0(VALU_DEP_2) | instskip(NEXT) | instid1(VALU_DEP_2)
	v_add_f64 v[9:10], v[9:10], v[13:14]
	v_add_f64 v[13:14], v[36:37], -v[44:45]
	v_cmp_le_f64_e32 vcc_lo, 0.5, v[36:37]
	s_delay_alu instid0(VALU_DEP_3) | instskip(NEXT) | instid1(VALU_DEP_3)
	v_add_f64 v[9:10], v[38:39], v[9:10]
	v_add_f64 v[13:14], v[48:49], -v[13:14]
	v_cndmask_b32_e64 v63, 0, 0x3ff00000, vcc_lo
	v_add_co_ci_u32_e64 v147, s0, 0, v11, vcc_lo
	s_delay_alu instid0(VALU_DEP_3) | instskip(NEXT) | instid1(VALU_DEP_3)
	v_add_f64 v[9:10], v[9:10], v[13:14]
	v_add_f64 v[13:14], v[36:37], -v[62:63]
	s_delay_alu instid0(VALU_DEP_1) | instskip(NEXT) | instid1(VALU_DEP_1)
	v_add_f64 v[36:37], v[13:14], v[9:10]
	v_mul_f64 v[44:45], v[36:37], s[2:3]
	v_add_f64 v[13:14], v[36:37], -v[13:14]
	s_delay_alu instid0(VALU_DEP_2) | instskip(NEXT) | instid1(VALU_DEP_2)
	v_fma_f64 v[38:39], v[36:37], s[2:3], -v[44:45]
	v_add_f64 v[9:10], v[9:10], -v[13:14]
	s_delay_alu instid0(VALU_DEP_2) | instskip(NEXT) | instid1(VALU_DEP_1)
	v_fma_f64 v[13:14], v[36:37], s[4:5], v[38:39]
	v_fma_f64 v[9:10], v[9:10], s[2:3], v[13:14]
	s_delay_alu instid0(VALU_DEP_1) | instskip(NEXT) | instid1(VALU_DEP_1)
	v_add_f64 v[38:39], v[44:45], v[9:10]
	v_add_f64 v[13:14], v[38:39], -v[44:45]
	s_delay_alu instid0(VALU_DEP_1)
	v_add_f64 v[58:59], v[9:10], -v[13:14]
	s_and_not1_saveexec_b32 s0, s1
	s_cbranch_execnz .LBB129_91
	s_branch .LBB129_92
.LBB129_90:
	s_and_not1_saveexec_b32 s0, s1
	s_cbranch_execz .LBB129_92
.LBB129_91:
	s_mov_b32 s2, 0x6dc9c883
	s_mov_b32 s3, 0x3fe45f30
	;; [unrolled: 1-line block ×3, first 2 shown]
	v_mul_f64 v[9:10], |v[6:7]|, s[2:3]
	s_mov_b32 s2, 0x54442d18
	s_mov_b32 s3, 0xbff921fb
	;; [unrolled: 1-line block ×3, first 2 shown]
	s_delay_alu instid0(VALU_DEP_1) | instskip(NEXT) | instid1(VALU_DEP_1)
	v_rndne_f64_e32 v[9:10], v[9:10]
	v_fma_f64 v[13:14], v[9:10], s[2:3], |v[6:7]|
	v_mul_f64 v[36:37], v[9:10], s[4:5]
	s_mov_b32 s2, 0x252049c0
	s_mov_b32 s3, 0xb97b839a
	v_cvt_i32_f64_e32 v147, v[9:10]
	s_delay_alu instid0(VALU_DEP_3) | instskip(NEXT) | instid1(VALU_DEP_3)
	v_fma_f64 v[44:45], v[9:10], s[4:5], v[13:14]
	v_add_f64 v[38:39], v[13:14], v[36:37]
	s_mov_b32 s5, 0x3c91a626
	s_delay_alu instid0(VALU_DEP_1) | instskip(NEXT) | instid1(VALU_DEP_3)
	v_add_f64 v[13:14], v[13:14], -v[38:39]
	v_add_f64 v[38:39], v[38:39], -v[44:45]
	s_delay_alu instid0(VALU_DEP_2) | instskip(SKIP_1) | instid1(VALU_DEP_2)
	v_add_f64 v[13:14], v[13:14], v[36:37]
	v_fma_f64 v[36:37], v[9:10], s[4:5], v[36:37]
	v_add_f64 v[13:14], v[38:39], v[13:14]
	s_delay_alu instid0(VALU_DEP_1) | instskip(NEXT) | instid1(VALU_DEP_1)
	v_add_f64 v[13:14], v[13:14], -v[36:37]
	v_fma_f64 v[13:14], v[9:10], s[2:3], v[13:14]
	s_delay_alu instid0(VALU_DEP_1) | instskip(NEXT) | instid1(VALU_DEP_1)
	v_add_f64 v[38:39], v[44:45], v[13:14]
	v_add_f64 v[36:37], v[38:39], -v[44:45]
	s_delay_alu instid0(VALU_DEP_1)
	v_add_f64 v[58:59], v[13:14], -v[36:37]
.LBB129_92:
	s_or_b32 exec_lo, exec_lo, s0
	global_load_b128 v[8:11], v8, s[26:27]
	s_mov_b32 s1, exec_lo
                                        ; implicit-def: $vgpr148
                                        ; implicit-def: $vgpr44_vgpr45
                                        ; implicit-def: $vgpr64_vgpr65
	s_waitcnt vmcnt(0)
	v_mul_f64 v[36:37], v[10:11], 0.5
	s_delay_alu instid0(VALU_DEP_1)
	v_cmpx_ngt_f64_e64 0x41d00000, |v[36:37]|
	s_xor_b32 s1, exec_lo, s1
	s_cbranch_execz .LBB129_94
; %bb.93:
	v_ldexp_f64 v[13:14], |v[36:37]|, 0xffffff80
	v_cmp_le_f64_e64 vcc_lo, 0x7b000000, |v[36:37]|
	v_trig_preop_f64 v[44:45], |v[36:37]|, 0
	v_and_b32_e32 v15, 0x7fffffff, v37
	v_trig_preop_f64 v[46:47], |v[36:37]|, 1
	v_trig_preop_f64 v[62:63], |v[36:37]|, 2
	s_mov_b32 s2, 0x54442d18
	s_mov_b32 s3, 0x3ff921fb
	;; [unrolled: 1-line block ×4, first 2 shown]
	v_mov_b32_e32 v70, 0
	v_dual_cndmask_b32 v14, v15, v14 :: v_dual_cndmask_b32 v13, v36, v13
	s_delay_alu instid0(VALU_DEP_1) | instskip(SKIP_2) | instid1(VALU_DEP_3)
	v_mul_f64 v[48:49], v[44:45], v[13:14]
	v_mul_f64 v[52:53], v[46:47], v[13:14]
	;; [unrolled: 1-line block ×3, first 2 shown]
	v_fma_f64 v[44:45], v[44:45], v[13:14], -v[48:49]
	s_delay_alu instid0(VALU_DEP_3) | instskip(NEXT) | instid1(VALU_DEP_3)
	v_fma_f64 v[46:47], v[46:47], v[13:14], -v[52:53]
	v_fma_f64 v[13:14], v[62:63], v[13:14], -v[68:69]
	s_delay_alu instid0(VALU_DEP_3) | instskip(NEXT) | instid1(VALU_DEP_1)
	v_add_f64 v[56:57], v[52:53], v[44:45]
	v_add_f64 v[60:61], v[56:57], -v[52:53]
	v_add_f64 v[66:67], v[48:49], v[56:57]
	s_delay_alu instid0(VALU_DEP_2) | instskip(SKIP_1) | instid1(VALU_DEP_3)
	v_add_f64 v[64:65], v[56:57], -v[60:61]
	v_add_f64 v[44:45], v[44:45], -v[60:61]
	v_ldexp_f64 v[60:61], v[66:67], -2
	v_add_f64 v[48:49], v[66:67], -v[48:49]
	s_delay_alu instid0(VALU_DEP_4) | instskip(SKIP_1) | instid1(VALU_DEP_4)
	v_add_f64 v[52:53], v[52:53], -v[64:65]
	v_add_f64 v[64:65], v[68:69], v[46:47]
	v_cmp_neq_f64_e64 vcc_lo, 0x7ff00000, |v[60:61]|
	s_delay_alu instid0(VALU_DEP_4) | instskip(NEXT) | instid1(VALU_DEP_4)
	v_add_f64 v[48:49], v[56:57], -v[48:49]
	v_add_f64 v[44:45], v[44:45], v[52:53]
	v_fract_f64_e32 v[52:53], v[60:61]
	s_delay_alu instid0(VALU_DEP_2) | instskip(NEXT) | instid1(VALU_DEP_2)
	v_add_f64 v[56:57], v[64:65], v[44:45]
	v_dual_cndmask_b32 v53, 0, v53 :: v_dual_cndmask_b32 v52, 0, v52
	s_delay_alu instid0(VALU_DEP_1) | instskip(NEXT) | instid1(VALU_DEP_3)
	v_ldexp_f64 v[52:53], v[52:53], 2
	v_add_f64 v[60:61], v[48:49], v[56:57]
	s_delay_alu instid0(VALU_DEP_1) | instskip(SKIP_1) | instid1(VALU_DEP_2)
	v_add_f64 v[66:67], v[60:61], v[52:53]
	v_add_f64 v[48:49], v[60:61], -v[48:49]
	v_cmp_gt_f64_e32 vcc_lo, 0, v[66:67]
	v_add_f64 v[66:67], v[64:65], -v[68:69]
	s_delay_alu instid0(VALU_DEP_3) | instskip(SKIP_1) | instid1(VALU_DEP_3)
	v_add_f64 v[48:49], v[56:57], -v[48:49]
	v_cndmask_b32_e64 v71, 0, 0x40100000, vcc_lo
	v_add_f64 v[75:76], v[64:65], -v[66:67]
	v_add_f64 v[46:47], v[46:47], -v[66:67]
	s_delay_alu instid0(VALU_DEP_3) | instskip(SKIP_1) | instid1(VALU_DEP_4)
	v_add_f64 v[52:53], v[52:53], v[70:71]
	v_add_f64 v[71:72], v[56:57], -v[64:65]
	v_add_f64 v[66:67], v[68:69], -v[75:76]
	s_delay_alu instid0(VALU_DEP_3) | instskip(NEXT) | instid1(VALU_DEP_3)
	v_add_f64 v[73:74], v[60:61], v[52:53]
	v_add_f64 v[77:78], v[56:57], -v[71:72]
	v_add_f64 v[44:45], v[44:45], -v[71:72]
	s_delay_alu instid0(VALU_DEP_4) | instskip(NEXT) | instid1(VALU_DEP_4)
	v_add_f64 v[46:47], v[46:47], v[66:67]
	v_cvt_i32_f64_e32 v15, v[73:74]
	s_delay_alu instid0(VALU_DEP_4) | instskip(NEXT) | instid1(VALU_DEP_2)
	v_add_f64 v[64:65], v[64:65], -v[77:78]
	v_cvt_f64_i32_e32 v[71:72], v15
	s_delay_alu instid0(VALU_DEP_2) | instskip(NEXT) | instid1(VALU_DEP_2)
	v_add_f64 v[44:45], v[44:45], v[64:65]
	v_add_f64 v[52:53], v[52:53], -v[71:72]
	s_delay_alu instid0(VALU_DEP_2) | instskip(NEXT) | instid1(VALU_DEP_2)
	v_add_f64 v[44:45], v[46:47], v[44:45]
	v_add_f64 v[46:47], v[60:61], v[52:53]
	s_delay_alu instid0(VALU_DEP_2) | instskip(NEXT) | instid1(VALU_DEP_2)
	v_add_f64 v[13:14], v[13:14], v[44:45]
	v_add_f64 v[44:45], v[46:47], -v[52:53]
	v_cmp_le_f64_e32 vcc_lo, 0.5, v[46:47]
	s_delay_alu instid0(VALU_DEP_3) | instskip(NEXT) | instid1(VALU_DEP_3)
	v_add_f64 v[13:14], v[48:49], v[13:14]
	v_add_f64 v[44:45], v[60:61], -v[44:45]
	v_cndmask_b32_e64 v71, 0, 0x3ff00000, vcc_lo
	v_add_co_ci_u32_e64 v148, s0, 0, v15, vcc_lo
	s_delay_alu instid0(VALU_DEP_3) | instskip(NEXT) | instid1(VALU_DEP_3)
	v_add_f64 v[13:14], v[13:14], v[44:45]
	v_add_f64 v[44:45], v[46:47], -v[70:71]
	s_delay_alu instid0(VALU_DEP_1) | instskip(NEXT) | instid1(VALU_DEP_1)
	v_add_f64 v[46:47], v[44:45], v[13:14]
	v_mul_f64 v[48:49], v[46:47], s[2:3]
	v_add_f64 v[44:45], v[46:47], -v[44:45]
	s_delay_alu instid0(VALU_DEP_2) | instskip(NEXT) | instid1(VALU_DEP_2)
	v_fma_f64 v[52:53], v[46:47], s[2:3], -v[48:49]
	v_add_f64 v[13:14], v[13:14], -v[44:45]
	s_delay_alu instid0(VALU_DEP_2) | instskip(NEXT) | instid1(VALU_DEP_1)
	v_fma_f64 v[44:45], v[46:47], s[4:5], v[52:53]
	v_fma_f64 v[13:14], v[13:14], s[2:3], v[44:45]
	s_delay_alu instid0(VALU_DEP_1) | instskip(NEXT) | instid1(VALU_DEP_1)
	v_add_f64 v[44:45], v[48:49], v[13:14]
	v_add_f64 v[46:47], v[44:45], -v[48:49]
	s_delay_alu instid0(VALU_DEP_1)
	v_add_f64 v[64:65], v[13:14], -v[46:47]
.LBB129_94:
	s_and_not1_saveexec_b32 s0, s1
	s_cbranch_execz .LBB129_96
; %bb.95:
	s_mov_b32 s2, 0x6dc9c883
	s_mov_b32 s3, 0x3fe45f30
	;; [unrolled: 1-line block ×3, first 2 shown]
	v_mul_f64 v[13:14], |v[36:37]|, s[2:3]
	s_mov_b32 s2, 0x54442d18
	s_mov_b32 s3, 0xbff921fb
	;; [unrolled: 1-line block ×3, first 2 shown]
	s_delay_alu instid0(VALU_DEP_1) | instskip(NEXT) | instid1(VALU_DEP_1)
	v_rndne_f64_e32 v[13:14], v[13:14]
	v_fma_f64 v[44:45], v[13:14], s[2:3], |v[36:37]|
	v_mul_f64 v[46:47], v[13:14], s[4:5]
	s_mov_b32 s2, 0x252049c0
	s_mov_b32 s3, 0xb97b839a
	v_cvt_i32_f64_e32 v148, v[13:14]
	s_delay_alu instid0(VALU_DEP_3) | instskip(NEXT) | instid1(VALU_DEP_3)
	v_fma_f64 v[52:53], v[13:14], s[4:5], v[44:45]
	v_add_f64 v[48:49], v[44:45], v[46:47]
	s_mov_b32 s5, 0x3c91a626
	s_delay_alu instid0(VALU_DEP_1) | instskip(NEXT) | instid1(VALU_DEP_3)
	v_add_f64 v[44:45], v[44:45], -v[48:49]
	v_add_f64 v[48:49], v[48:49], -v[52:53]
	s_delay_alu instid0(VALU_DEP_2) | instskip(SKIP_1) | instid1(VALU_DEP_2)
	v_add_f64 v[44:45], v[44:45], v[46:47]
	v_fma_f64 v[46:47], v[13:14], s[4:5], v[46:47]
	v_add_f64 v[44:45], v[48:49], v[44:45]
	s_delay_alu instid0(VALU_DEP_1) | instskip(NEXT) | instid1(VALU_DEP_1)
	v_add_f64 v[44:45], v[44:45], -v[46:47]
	v_fma_f64 v[46:47], v[13:14], s[2:3], v[44:45]
	s_delay_alu instid0(VALU_DEP_1) | instskip(NEXT) | instid1(VALU_DEP_1)
	v_add_f64 v[44:45], v[52:53], v[46:47]
	v_add_f64 v[48:49], v[44:45], -v[52:53]
	s_delay_alu instid0(VALU_DEP_1)
	v_add_f64 v[64:65], v[46:47], -v[48:49]
.LBB129_96:
	s_or_b32 exec_lo, exec_lo, s0
	v_cmp_ngt_f64_e64 s1, 0x41d00000, |v[10:11]|
                                        ; implicit-def: $vgpr149
                                        ; implicit-def: $vgpr46_vgpr47
                                        ; implicit-def: $vgpr66_vgpr67
	s_delay_alu instid0(VALU_DEP_1) | instskip(NEXT) | instid1(SALU_CYCLE_1)
	s_and_saveexec_b32 s0, s1
	s_xor_b32 s2, exec_lo, s0
	s_cbranch_execz .LBB129_98
; %bb.97:
	v_ldexp_f64 v[13:14], |v[10:11]|, 0xffffff80
	v_cmp_le_f64_e64 vcc_lo, 0x7b000000, |v[10:11]|
	v_trig_preop_f64 v[46:47], |v[10:11]|, 0
	v_and_b32_e32 v15, 0x7fffffff, v11
	v_trig_preop_f64 v[48:49], |v[10:11]|, 1
	v_trig_preop_f64 v[66:67], |v[10:11]|, 2
	s_mov_b32 s4, 0x54442d18
	s_mov_b32 s5, 0x3ff921fb
	;; [unrolled: 1-line block ×4, first 2 shown]
	v_mov_b32_e32 v74, 0
	v_dual_cndmask_b32 v14, v15, v14 :: v_dual_cndmask_b32 v13, v10, v13
	s_delay_alu instid0(VALU_DEP_1) | instskip(SKIP_2) | instid1(VALU_DEP_3)
	v_mul_f64 v[52:53], v[46:47], v[13:14]
	v_mul_f64 v[56:57], v[48:49], v[13:14]
	;; [unrolled: 1-line block ×3, first 2 shown]
	v_fma_f64 v[46:47], v[46:47], v[13:14], -v[52:53]
	s_delay_alu instid0(VALU_DEP_3) | instskip(NEXT) | instid1(VALU_DEP_3)
	v_fma_f64 v[48:49], v[48:49], v[13:14], -v[56:57]
	v_fma_f64 v[13:14], v[66:67], v[13:14], -v[72:73]
	s_delay_alu instid0(VALU_DEP_3) | instskip(NEXT) | instid1(VALU_DEP_1)
	v_add_f64 v[60:61], v[56:57], v[46:47]
	v_add_f64 v[62:63], v[60:61], -v[56:57]
	v_add_f64 v[70:71], v[52:53], v[60:61]
	s_delay_alu instid0(VALU_DEP_2) | instskip(SKIP_1) | instid1(VALU_DEP_3)
	v_add_f64 v[68:69], v[60:61], -v[62:63]
	v_add_f64 v[46:47], v[46:47], -v[62:63]
	v_ldexp_f64 v[62:63], v[70:71], -2
	v_add_f64 v[52:53], v[70:71], -v[52:53]
	s_delay_alu instid0(VALU_DEP_4) | instskip(SKIP_1) | instid1(VALU_DEP_4)
	v_add_f64 v[56:57], v[56:57], -v[68:69]
	v_add_f64 v[68:69], v[72:73], v[48:49]
	v_cmp_neq_f64_e64 vcc_lo, 0x7ff00000, |v[62:63]|
	s_delay_alu instid0(VALU_DEP_4) | instskip(NEXT) | instid1(VALU_DEP_4)
	v_add_f64 v[52:53], v[60:61], -v[52:53]
	v_add_f64 v[46:47], v[46:47], v[56:57]
	v_fract_f64_e32 v[56:57], v[62:63]
	s_delay_alu instid0(VALU_DEP_2) | instskip(NEXT) | instid1(VALU_DEP_2)
	v_add_f64 v[60:61], v[68:69], v[46:47]
	v_dual_cndmask_b32 v57, 0, v57 :: v_dual_cndmask_b32 v56, 0, v56
	s_delay_alu instid0(VALU_DEP_1) | instskip(NEXT) | instid1(VALU_DEP_3)
	v_ldexp_f64 v[56:57], v[56:57], 2
	v_add_f64 v[62:63], v[52:53], v[60:61]
	s_delay_alu instid0(VALU_DEP_1) | instskip(SKIP_1) | instid1(VALU_DEP_2)
	v_add_f64 v[70:71], v[62:63], v[56:57]
	v_add_f64 v[52:53], v[62:63], -v[52:53]
	v_cmp_gt_f64_e32 vcc_lo, 0, v[70:71]
	v_add_f64 v[70:71], v[68:69], -v[72:73]
	s_delay_alu instid0(VALU_DEP_3) | instskip(SKIP_1) | instid1(VALU_DEP_3)
	v_add_f64 v[52:53], v[60:61], -v[52:53]
	v_cndmask_b32_e64 v75, 0, 0x40100000, vcc_lo
	v_add_f64 v[79:80], v[68:69], -v[70:71]
	v_add_f64 v[48:49], v[48:49], -v[70:71]
	s_delay_alu instid0(VALU_DEP_3) | instskip(SKIP_1) | instid1(VALU_DEP_4)
	v_add_f64 v[56:57], v[56:57], v[74:75]
	v_add_f64 v[75:76], v[60:61], -v[68:69]
	v_add_f64 v[70:71], v[72:73], -v[79:80]
	s_delay_alu instid0(VALU_DEP_3) | instskip(NEXT) | instid1(VALU_DEP_3)
	v_add_f64 v[77:78], v[62:63], v[56:57]
	v_add_f64 v[81:82], v[60:61], -v[75:76]
	v_add_f64 v[46:47], v[46:47], -v[75:76]
	s_delay_alu instid0(VALU_DEP_4) | instskip(NEXT) | instid1(VALU_DEP_4)
	v_add_f64 v[48:49], v[48:49], v[70:71]
	v_cvt_i32_f64_e32 v15, v[77:78]
	s_delay_alu instid0(VALU_DEP_4) | instskip(NEXT) | instid1(VALU_DEP_2)
	v_add_f64 v[68:69], v[68:69], -v[81:82]
	v_cvt_f64_i32_e32 v[75:76], v15
	s_delay_alu instid0(VALU_DEP_2) | instskip(NEXT) | instid1(VALU_DEP_2)
	v_add_f64 v[46:47], v[46:47], v[68:69]
	v_add_f64 v[56:57], v[56:57], -v[75:76]
	s_delay_alu instid0(VALU_DEP_2) | instskip(NEXT) | instid1(VALU_DEP_2)
	v_add_f64 v[46:47], v[48:49], v[46:47]
	v_add_f64 v[48:49], v[62:63], v[56:57]
	s_delay_alu instid0(VALU_DEP_2) | instskip(NEXT) | instid1(VALU_DEP_2)
	v_add_f64 v[13:14], v[13:14], v[46:47]
	v_add_f64 v[46:47], v[48:49], -v[56:57]
	v_cmp_le_f64_e32 vcc_lo, 0.5, v[48:49]
	s_delay_alu instid0(VALU_DEP_3) | instskip(NEXT) | instid1(VALU_DEP_3)
	v_add_f64 v[13:14], v[52:53], v[13:14]
	v_add_f64 v[46:47], v[62:63], -v[46:47]
	v_cndmask_b32_e64 v75, 0, 0x3ff00000, vcc_lo
	v_add_co_ci_u32_e64 v149, s0, 0, v15, vcc_lo
	s_delay_alu instid0(VALU_DEP_3) | instskip(NEXT) | instid1(VALU_DEP_3)
	v_add_f64 v[13:14], v[13:14], v[46:47]
	v_add_f64 v[46:47], v[48:49], -v[74:75]
	s_delay_alu instid0(VALU_DEP_1) | instskip(NEXT) | instid1(VALU_DEP_1)
	v_add_f64 v[48:49], v[46:47], v[13:14]
	v_mul_f64 v[52:53], v[48:49], s[4:5]
	v_add_f64 v[46:47], v[48:49], -v[46:47]
	s_delay_alu instid0(VALU_DEP_2) | instskip(NEXT) | instid1(VALU_DEP_2)
	v_fma_f64 v[56:57], v[48:49], s[4:5], -v[52:53]
	v_add_f64 v[13:14], v[13:14], -v[46:47]
	s_delay_alu instid0(VALU_DEP_2) | instskip(NEXT) | instid1(VALU_DEP_1)
	v_fma_f64 v[46:47], v[48:49], s[6:7], v[56:57]
	v_fma_f64 v[13:14], v[13:14], s[4:5], v[46:47]
	s_delay_alu instid0(VALU_DEP_1) | instskip(NEXT) | instid1(VALU_DEP_1)
	v_add_f64 v[46:47], v[52:53], v[13:14]
	v_add_f64 v[48:49], v[46:47], -v[52:53]
	s_delay_alu instid0(VALU_DEP_1)
	v_add_f64 v[66:67], v[13:14], -v[48:49]
	s_and_not1_saveexec_b32 s0, s2
	s_cbranch_execz .LBB129_100
	s_branch .LBB129_99
.LBB129_98:
	s_and_not1_saveexec_b32 s0, s2
	s_cbranch_execz .LBB129_100
.LBB129_99:
	s_mov_b32 s2, 0x6dc9c883
	s_mov_b32 s3, 0x3fe45f30
	;; [unrolled: 1-line block ×3, first 2 shown]
	v_mul_f64 v[13:14], |v[10:11]|, s[2:3]
	s_mov_b32 s2, 0x54442d18
	s_mov_b32 s3, 0xbff921fb
	;; [unrolled: 1-line block ×3, first 2 shown]
	s_delay_alu instid0(VALU_DEP_1) | instskip(NEXT) | instid1(VALU_DEP_1)
	v_rndne_f64_e32 v[13:14], v[13:14]
	v_fma_f64 v[46:47], v[13:14], s[2:3], |v[10:11]|
	v_mul_f64 v[48:49], v[13:14], s[4:5]
	s_mov_b32 s2, 0x252049c0
	s_mov_b32 s3, 0xb97b839a
	v_cvt_i32_f64_e32 v149, v[13:14]
	s_delay_alu instid0(VALU_DEP_3) | instskip(NEXT) | instid1(VALU_DEP_3)
	v_fma_f64 v[56:57], v[13:14], s[4:5], v[46:47]
	v_add_f64 v[52:53], v[46:47], v[48:49]
	s_mov_b32 s5, 0x3c91a626
	s_delay_alu instid0(VALU_DEP_1) | instskip(NEXT) | instid1(VALU_DEP_3)
	v_add_f64 v[46:47], v[46:47], -v[52:53]
	v_add_f64 v[52:53], v[52:53], -v[56:57]
	s_delay_alu instid0(VALU_DEP_2) | instskip(SKIP_1) | instid1(VALU_DEP_2)
	v_add_f64 v[46:47], v[46:47], v[48:49]
	v_fma_f64 v[48:49], v[13:14], s[4:5], v[48:49]
	v_add_f64 v[46:47], v[52:53], v[46:47]
	s_delay_alu instid0(VALU_DEP_1) | instskip(NEXT) | instid1(VALU_DEP_1)
	v_add_f64 v[46:47], v[46:47], -v[48:49]
	v_fma_f64 v[48:49], v[13:14], s[2:3], v[46:47]
	s_delay_alu instid0(VALU_DEP_1) | instskip(NEXT) | instid1(VALU_DEP_1)
	v_add_f64 v[46:47], v[56:57], v[48:49]
	v_add_f64 v[52:53], v[46:47], -v[56:57]
	s_delay_alu instid0(VALU_DEP_1)
	v_add_f64 v[66:67], v[48:49], -v[52:53]
.LBB129_100:
	s_or_b32 exec_lo, exec_lo, s0
                                        ; implicit-def: $vgpr150
                                        ; implicit-def: $vgpr52_vgpr53
                                        ; implicit-def: $vgpr70_vgpr71
	s_and_saveexec_b32 s0, s1
	s_delay_alu instid0(SALU_CYCLE_1)
	s_xor_b32 s1, exec_lo, s0
	s_cbranch_execz .LBB129_102
; %bb.101:
	v_ldexp_f64 v[13:14], |v[10:11]|, 0xffffff80
	v_cmp_le_f64_e64 vcc_lo, 0x7b000000, |v[10:11]|
	v_trig_preop_f64 v[48:49], |v[10:11]|, 0
	v_and_b32_e32 v15, 0x7fffffff, v11
	v_trig_preop_f64 v[52:53], |v[10:11]|, 1
	v_trig_preop_f64 v[70:71], |v[10:11]|, 2
	s_mov_b32 s2, 0x54442d18
	s_mov_b32 s3, 0x3ff921fb
	;; [unrolled: 1-line block ×4, first 2 shown]
	v_mov_b32_e32 v78, 0
	v_dual_cndmask_b32 v14, v15, v14 :: v_dual_cndmask_b32 v13, v10, v13
	s_delay_alu instid0(VALU_DEP_1) | instskip(SKIP_2) | instid1(VALU_DEP_3)
	v_mul_f64 v[56:57], v[48:49], v[13:14]
	v_mul_f64 v[60:61], v[52:53], v[13:14]
	;; [unrolled: 1-line block ×3, first 2 shown]
	v_fma_f64 v[48:49], v[48:49], v[13:14], -v[56:57]
	s_delay_alu instid0(VALU_DEP_3) | instskip(NEXT) | instid1(VALU_DEP_3)
	v_fma_f64 v[52:53], v[52:53], v[13:14], -v[60:61]
	v_fma_f64 v[13:14], v[70:71], v[13:14], -v[76:77]
	s_delay_alu instid0(VALU_DEP_3) | instskip(NEXT) | instid1(VALU_DEP_1)
	v_add_f64 v[62:63], v[60:61], v[48:49]
	v_add_f64 v[68:69], v[62:63], -v[60:61]
	v_add_f64 v[74:75], v[56:57], v[62:63]
	s_delay_alu instid0(VALU_DEP_2) | instskip(SKIP_1) | instid1(VALU_DEP_3)
	v_add_f64 v[72:73], v[62:63], -v[68:69]
	v_add_f64 v[48:49], v[48:49], -v[68:69]
	v_ldexp_f64 v[68:69], v[74:75], -2
	v_add_f64 v[56:57], v[74:75], -v[56:57]
	s_delay_alu instid0(VALU_DEP_4) | instskip(SKIP_1) | instid1(VALU_DEP_4)
	v_add_f64 v[60:61], v[60:61], -v[72:73]
	v_add_f64 v[72:73], v[76:77], v[52:53]
	v_cmp_neq_f64_e64 vcc_lo, 0x7ff00000, |v[68:69]|
	s_delay_alu instid0(VALU_DEP_4) | instskip(NEXT) | instid1(VALU_DEP_4)
	v_add_f64 v[56:57], v[62:63], -v[56:57]
	v_add_f64 v[48:49], v[48:49], v[60:61]
	v_fract_f64_e32 v[60:61], v[68:69]
	s_delay_alu instid0(VALU_DEP_2) | instskip(NEXT) | instid1(VALU_DEP_2)
	v_add_f64 v[62:63], v[72:73], v[48:49]
	v_dual_cndmask_b32 v61, 0, v61 :: v_dual_cndmask_b32 v60, 0, v60
	s_delay_alu instid0(VALU_DEP_1) | instskip(NEXT) | instid1(VALU_DEP_3)
	v_ldexp_f64 v[60:61], v[60:61], 2
	v_add_f64 v[68:69], v[56:57], v[62:63]
	s_delay_alu instid0(VALU_DEP_1) | instskip(SKIP_1) | instid1(VALU_DEP_2)
	v_add_f64 v[74:75], v[68:69], v[60:61]
	v_add_f64 v[56:57], v[68:69], -v[56:57]
	v_cmp_gt_f64_e32 vcc_lo, 0, v[74:75]
	v_add_f64 v[74:75], v[72:73], -v[76:77]
	s_delay_alu instid0(VALU_DEP_3) | instskip(SKIP_1) | instid1(VALU_DEP_3)
	v_add_f64 v[56:57], v[62:63], -v[56:57]
	v_cndmask_b32_e64 v79, 0, 0x40100000, vcc_lo
	v_add_f64 v[83:84], v[72:73], -v[74:75]
	v_add_f64 v[52:53], v[52:53], -v[74:75]
	s_delay_alu instid0(VALU_DEP_3) | instskip(SKIP_1) | instid1(VALU_DEP_4)
	v_add_f64 v[60:61], v[60:61], v[78:79]
	v_add_f64 v[79:80], v[62:63], -v[72:73]
	v_add_f64 v[74:75], v[76:77], -v[83:84]
	s_delay_alu instid0(VALU_DEP_3) | instskip(NEXT) | instid1(VALU_DEP_3)
	v_add_f64 v[81:82], v[68:69], v[60:61]
	v_add_f64 v[85:86], v[62:63], -v[79:80]
	v_add_f64 v[48:49], v[48:49], -v[79:80]
	s_delay_alu instid0(VALU_DEP_4) | instskip(NEXT) | instid1(VALU_DEP_4)
	v_add_f64 v[52:53], v[52:53], v[74:75]
	v_cvt_i32_f64_e32 v15, v[81:82]
	s_delay_alu instid0(VALU_DEP_4) | instskip(NEXT) | instid1(VALU_DEP_2)
	v_add_f64 v[72:73], v[72:73], -v[85:86]
	v_cvt_f64_i32_e32 v[79:80], v15
	s_delay_alu instid0(VALU_DEP_2) | instskip(NEXT) | instid1(VALU_DEP_2)
	v_add_f64 v[48:49], v[48:49], v[72:73]
	v_add_f64 v[60:61], v[60:61], -v[79:80]
	s_delay_alu instid0(VALU_DEP_2) | instskip(NEXT) | instid1(VALU_DEP_2)
	v_add_f64 v[48:49], v[52:53], v[48:49]
	v_add_f64 v[52:53], v[68:69], v[60:61]
	s_delay_alu instid0(VALU_DEP_2) | instskip(NEXT) | instid1(VALU_DEP_2)
	v_add_f64 v[13:14], v[13:14], v[48:49]
	v_add_f64 v[48:49], v[52:53], -v[60:61]
	v_cmp_le_f64_e32 vcc_lo, 0.5, v[52:53]
	s_delay_alu instid0(VALU_DEP_3) | instskip(NEXT) | instid1(VALU_DEP_3)
	v_add_f64 v[13:14], v[56:57], v[13:14]
	v_add_f64 v[48:49], v[68:69], -v[48:49]
	v_cndmask_b32_e64 v79, 0, 0x3ff00000, vcc_lo
	v_add_co_ci_u32_e64 v150, s0, 0, v15, vcc_lo
	s_delay_alu instid0(VALU_DEP_3) | instskip(NEXT) | instid1(VALU_DEP_3)
	v_add_f64 v[13:14], v[13:14], v[48:49]
	v_add_f64 v[48:49], v[52:53], -v[78:79]
	s_delay_alu instid0(VALU_DEP_1) | instskip(NEXT) | instid1(VALU_DEP_1)
	v_add_f64 v[52:53], v[48:49], v[13:14]
	v_mul_f64 v[56:57], v[52:53], s[2:3]
	v_add_f64 v[48:49], v[52:53], -v[48:49]
	s_delay_alu instid0(VALU_DEP_2) | instskip(NEXT) | instid1(VALU_DEP_2)
	v_fma_f64 v[60:61], v[52:53], s[2:3], -v[56:57]
	v_add_f64 v[13:14], v[13:14], -v[48:49]
	s_delay_alu instid0(VALU_DEP_2) | instskip(NEXT) | instid1(VALU_DEP_1)
	v_fma_f64 v[48:49], v[52:53], s[4:5], v[60:61]
	v_fma_f64 v[13:14], v[13:14], s[2:3], v[48:49]
	s_delay_alu instid0(VALU_DEP_1) | instskip(NEXT) | instid1(VALU_DEP_1)
	v_add_f64 v[52:53], v[56:57], v[13:14]
	v_add_f64 v[48:49], v[52:53], -v[56:57]
	s_delay_alu instid0(VALU_DEP_1)
	v_add_f64 v[70:71], v[13:14], -v[48:49]
	s_and_not1_saveexec_b32 s0, s1
	s_cbranch_execnz .LBB129_103
	s_branch .LBB129_104
.LBB129_102:
	s_and_not1_saveexec_b32 s0, s1
	s_cbranch_execz .LBB129_104
.LBB129_103:
	s_mov_b32 s2, 0x6dc9c883
	s_mov_b32 s3, 0x3fe45f30
	;; [unrolled: 1-line block ×3, first 2 shown]
	v_mul_f64 v[13:14], |v[10:11]|, s[2:3]
	s_mov_b32 s2, 0x54442d18
	s_mov_b32 s3, 0xbff921fb
	;; [unrolled: 1-line block ×3, first 2 shown]
	s_delay_alu instid0(VALU_DEP_1) | instskip(NEXT) | instid1(VALU_DEP_1)
	v_rndne_f64_e32 v[13:14], v[13:14]
	v_fma_f64 v[48:49], v[13:14], s[2:3], |v[10:11]|
	v_mul_f64 v[52:53], v[13:14], s[4:5]
	s_mov_b32 s2, 0x252049c0
	s_mov_b32 s3, 0xb97b839a
	v_cvt_i32_f64_e32 v150, v[13:14]
	s_delay_alu instid0(VALU_DEP_3) | instskip(NEXT) | instid1(VALU_DEP_3)
	v_fma_f64 v[60:61], v[13:14], s[4:5], v[48:49]
	v_add_f64 v[56:57], v[48:49], v[52:53]
	s_mov_b32 s5, 0x3c91a626
	s_delay_alu instid0(VALU_DEP_1) | instskip(NEXT) | instid1(VALU_DEP_3)
	v_add_f64 v[48:49], v[48:49], -v[56:57]
	v_add_f64 v[56:57], v[56:57], -v[60:61]
	s_delay_alu instid0(VALU_DEP_2) | instskip(SKIP_1) | instid1(VALU_DEP_2)
	v_add_f64 v[48:49], v[48:49], v[52:53]
	v_fma_f64 v[52:53], v[13:14], s[4:5], v[52:53]
	v_add_f64 v[48:49], v[56:57], v[48:49]
	s_delay_alu instid0(VALU_DEP_1) | instskip(NEXT) | instid1(VALU_DEP_1)
	v_add_f64 v[48:49], v[48:49], -v[52:53]
	v_fma_f64 v[48:49], v[13:14], s[2:3], v[48:49]
	s_delay_alu instid0(VALU_DEP_1) | instskip(NEXT) | instid1(VALU_DEP_1)
	v_add_f64 v[52:53], v[60:61], v[48:49]
	v_add_f64 v[56:57], v[52:53], -v[60:61]
	s_delay_alu instid0(VALU_DEP_1)
	v_add_f64 v[70:71], v[48:49], -v[56:57]
.LBB129_104:
	s_or_b32 exec_lo, exec_lo, s0
	global_load_b128 v[12:15], v12, s[26:27]
	s_mov_b32 s1, exec_lo
                                        ; implicit-def: $vgpr151
                                        ; implicit-def: $vgpr56_vgpr57
                                        ; implicit-def: $vgpr68_vgpr69
	s_waitcnt vmcnt(0)
	v_mul_f64 v[48:49], v[14:15], 0.5
	s_delay_alu instid0(VALU_DEP_1)
	v_cmpx_ngt_f64_e64 0x41d00000, |v[48:49]|
	s_xor_b32 s1, exec_lo, s1
	s_cbranch_execz .LBB129_106
; %bb.105:
	v_ldexp_f64 v[56:57], |v[48:49]|, 0xffffff80
	v_cmp_le_f64_e64 vcc_lo, 0x7b000000, |v[48:49]|
	v_trig_preop_f64 v[60:61], |v[48:49]|, 0
	v_and_b32_e32 v62, 0x7fffffff, v49
	v_trig_preop_f64 v[78:79], |v[48:49]|, 2
	v_mov_b32_e32 v86, 0
	s_mov_b32 s2, 0x54442d18
	s_mov_b32 s3, 0x3ff921fb
	;; [unrolled: 1-line block ×4, first 2 shown]
	v_dual_cndmask_b32 v57, v62, v57 :: v_dual_cndmask_b32 v56, v48, v56
	v_trig_preop_f64 v[62:63], |v[48:49]|, 1
	s_delay_alu instid0(VALU_DEP_2) | instskip(SKIP_1) | instid1(VALU_DEP_3)
	v_mul_f64 v[68:69], v[60:61], v[56:57]
	v_mul_f64 v[84:85], v[78:79], v[56:57]
	;; [unrolled: 1-line block ×3, first 2 shown]
	s_delay_alu instid0(VALU_DEP_3) | instskip(NEXT) | instid1(VALU_DEP_2)
	v_fma_f64 v[60:61], v[60:61], v[56:57], -v[68:69]
	v_fma_f64 v[62:63], v[62:63], v[56:57], -v[72:73]
	s_delay_alu instid0(VALU_DEP_4) | instskip(NEXT) | instid1(VALU_DEP_3)
	v_fma_f64 v[56:57], v[78:79], v[56:57], -v[84:85]
	v_add_f64 v[74:75], v[72:73], v[60:61]
	s_delay_alu instid0(VALU_DEP_1) | instskip(SKIP_1) | instid1(VALU_DEP_2)
	v_add_f64 v[76:77], v[74:75], -v[72:73]
	v_add_f64 v[82:83], v[68:69], v[74:75]
	v_add_f64 v[80:81], v[74:75], -v[76:77]
	v_add_f64 v[60:61], v[60:61], -v[76:77]
	s_delay_alu instid0(VALU_DEP_3) | instskip(SKIP_1) | instid1(VALU_DEP_4)
	v_ldexp_f64 v[76:77], v[82:83], -2
	v_add_f64 v[68:69], v[82:83], -v[68:69]
	v_add_f64 v[72:73], v[72:73], -v[80:81]
	v_add_f64 v[80:81], v[84:85], v[62:63]
	s_delay_alu instid0(VALU_DEP_4) | instskip(NEXT) | instid1(VALU_DEP_4)
	v_cmp_neq_f64_e64 vcc_lo, 0x7ff00000, |v[76:77]|
	v_add_f64 v[68:69], v[74:75], -v[68:69]
	s_delay_alu instid0(VALU_DEP_4) | instskip(SKIP_1) | instid1(VALU_DEP_2)
	v_add_f64 v[60:61], v[60:61], v[72:73]
	v_fract_f64_e32 v[72:73], v[76:77]
	v_add_f64 v[74:75], v[80:81], v[60:61]
	s_delay_alu instid0(VALU_DEP_2) | instskip(NEXT) | instid1(VALU_DEP_1)
	v_dual_cndmask_b32 v73, 0, v73 :: v_dual_cndmask_b32 v72, 0, v72
	v_ldexp_f64 v[72:73], v[72:73], 2
	s_delay_alu instid0(VALU_DEP_3) | instskip(NEXT) | instid1(VALU_DEP_1)
	v_add_f64 v[76:77], v[68:69], v[74:75]
	v_add_f64 v[82:83], v[76:77], v[72:73]
	v_add_f64 v[68:69], v[76:77], -v[68:69]
	s_delay_alu instid0(VALU_DEP_2) | instskip(SKIP_1) | instid1(VALU_DEP_3)
	v_cmp_gt_f64_e32 vcc_lo, 0, v[82:83]
	v_add_f64 v[82:83], v[80:81], -v[84:85]
	v_add_f64 v[68:69], v[74:75], -v[68:69]
	v_cndmask_b32_e64 v87, 0, 0x40100000, vcc_lo
	s_delay_alu instid0(VALU_DEP_3) | instskip(SKIP_1) | instid1(VALU_DEP_3)
	v_add_f64 v[91:92], v[80:81], -v[82:83]
	v_add_f64 v[62:63], v[62:63], -v[82:83]
	v_add_f64 v[72:73], v[72:73], v[86:87]
	v_add_f64 v[87:88], v[74:75], -v[80:81]
	s_delay_alu instid0(VALU_DEP_4) | instskip(NEXT) | instid1(VALU_DEP_3)
	v_add_f64 v[82:83], v[84:85], -v[91:92]
	v_add_f64 v[89:90], v[76:77], v[72:73]
	s_delay_alu instid0(VALU_DEP_3) | instskip(SKIP_1) | instid1(VALU_DEP_4)
	v_add_f64 v[93:94], v[74:75], -v[87:88]
	v_add_f64 v[60:61], v[60:61], -v[87:88]
	v_add_f64 v[62:63], v[62:63], v[82:83]
	s_delay_alu instid0(VALU_DEP_4) | instskip(NEXT) | instid1(VALU_DEP_4)
	v_cvt_i32_f64_e32 v89, v[89:90]
	v_add_f64 v[80:81], v[80:81], -v[93:94]
	s_delay_alu instid0(VALU_DEP_2) | instskip(NEXT) | instid1(VALU_DEP_2)
	v_cvt_f64_i32_e32 v[87:88], v89
	v_add_f64 v[60:61], v[60:61], v[80:81]
	s_delay_alu instid0(VALU_DEP_2) | instskip(NEXT) | instid1(VALU_DEP_2)
	v_add_f64 v[72:73], v[72:73], -v[87:88]
	v_add_f64 v[60:61], v[62:63], v[60:61]
	s_delay_alu instid0(VALU_DEP_2) | instskip(NEXT) | instid1(VALU_DEP_2)
	v_add_f64 v[62:63], v[76:77], v[72:73]
	v_add_f64 v[56:57], v[56:57], v[60:61]
	s_delay_alu instid0(VALU_DEP_2) | instskip(SKIP_1) | instid1(VALU_DEP_3)
	v_add_f64 v[60:61], v[62:63], -v[72:73]
	v_cmp_le_f64_e32 vcc_lo, 0.5, v[62:63]
	v_add_f64 v[56:57], v[68:69], v[56:57]
	s_delay_alu instid0(VALU_DEP_3) | instskip(SKIP_2) | instid1(VALU_DEP_3)
	v_add_f64 v[60:61], v[76:77], -v[60:61]
	v_cndmask_b32_e64 v87, 0, 0x3ff00000, vcc_lo
	v_add_co_ci_u32_e64 v151, s0, 0, v89, vcc_lo
	v_add_f64 v[56:57], v[56:57], v[60:61]
	s_delay_alu instid0(VALU_DEP_3) | instskip(NEXT) | instid1(VALU_DEP_1)
	v_add_f64 v[60:61], v[62:63], -v[86:87]
	v_add_f64 v[62:63], v[60:61], v[56:57]
	s_delay_alu instid0(VALU_DEP_1) | instskip(SKIP_1) | instid1(VALU_DEP_2)
	v_mul_f64 v[68:69], v[62:63], s[2:3]
	v_add_f64 v[60:61], v[62:63], -v[60:61]
	v_fma_f64 v[72:73], v[62:63], s[2:3], -v[68:69]
	s_delay_alu instid0(VALU_DEP_2) | instskip(NEXT) | instid1(VALU_DEP_2)
	v_add_f64 v[56:57], v[56:57], -v[60:61]
	v_fma_f64 v[60:61], v[62:63], s[4:5], v[72:73]
	s_delay_alu instid0(VALU_DEP_1) | instskip(NEXT) | instid1(VALU_DEP_1)
	v_fma_f64 v[60:61], v[56:57], s[2:3], v[60:61]
	v_add_f64 v[56:57], v[68:69], v[60:61]
	s_delay_alu instid0(VALU_DEP_1) | instskip(NEXT) | instid1(VALU_DEP_1)
	v_add_f64 v[62:63], v[56:57], -v[68:69]
	v_add_f64 v[68:69], v[60:61], -v[62:63]
.LBB129_106:
	s_and_not1_saveexec_b32 s0, s1
	s_cbranch_execz .LBB129_108
; %bb.107:
	s_mov_b32 s2, 0x6dc9c883
	s_mov_b32 s3, 0x3fe45f30
	;; [unrolled: 1-line block ×3, first 2 shown]
	v_mul_f64 v[56:57], |v[48:49]|, s[2:3]
	s_mov_b32 s2, 0x54442d18
	s_mov_b32 s3, 0xbff921fb
	;; [unrolled: 1-line block ×3, first 2 shown]
	s_delay_alu instid0(VALU_DEP_1) | instskip(NEXT) | instid1(VALU_DEP_1)
	v_rndne_f64_e32 v[60:61], v[56:57]
	v_fma_f64 v[56:57], v[60:61], s[2:3], |v[48:49]|
	v_mul_f64 v[62:63], v[60:61], s[4:5]
	s_mov_b32 s2, 0x252049c0
	s_mov_b32 s3, 0xb97b839a
	v_cvt_i32_f64_e32 v151, v[60:61]
	s_delay_alu instid0(VALU_DEP_3) | instskip(NEXT) | instid1(VALU_DEP_3)
	v_fma_f64 v[72:73], v[60:61], s[4:5], v[56:57]
	v_add_f64 v[68:69], v[56:57], v[62:63]
	s_mov_b32 s5, 0x3c91a626
	s_delay_alu instid0(VALU_DEP_1) | instskip(NEXT) | instid1(VALU_DEP_3)
	v_add_f64 v[56:57], v[56:57], -v[68:69]
	v_add_f64 v[68:69], v[68:69], -v[72:73]
	s_delay_alu instid0(VALU_DEP_2) | instskip(SKIP_1) | instid1(VALU_DEP_2)
	v_add_f64 v[56:57], v[56:57], v[62:63]
	v_fma_f64 v[62:63], v[60:61], s[4:5], v[62:63]
	v_add_f64 v[56:57], v[68:69], v[56:57]
	s_delay_alu instid0(VALU_DEP_1) | instskip(NEXT) | instid1(VALU_DEP_1)
	v_add_f64 v[56:57], v[56:57], -v[62:63]
	v_fma_f64 v[62:63], v[60:61], s[2:3], v[56:57]
	s_delay_alu instid0(VALU_DEP_1) | instskip(NEXT) | instid1(VALU_DEP_1)
	v_add_f64 v[56:57], v[72:73], v[62:63]
	v_add_f64 v[68:69], v[56:57], -v[72:73]
	s_delay_alu instid0(VALU_DEP_1)
	v_add_f64 v[68:69], v[62:63], -v[68:69]
.LBB129_108:
	s_or_b32 exec_lo, exec_lo, s0
	v_cmp_ngt_f64_e64 s1, 0x41d00000, |v[14:15]|
                                        ; implicit-def: $vgpr152
                                        ; implicit-def: $vgpr60_vgpr61
                                        ; implicit-def: $vgpr72_vgpr73
	s_delay_alu instid0(VALU_DEP_1) | instskip(NEXT) | instid1(SALU_CYCLE_1)
	s_and_saveexec_b32 s0, s1
	s_xor_b32 s2, exec_lo, s0
	s_cbranch_execz .LBB129_110
; %bb.109:
	v_ldexp_f64 v[60:61], |v[14:15]|, 0xffffff80
	v_cmp_le_f64_e64 vcc_lo, 0x7b000000, |v[14:15]|
	v_trig_preop_f64 v[62:63], |v[14:15]|, 0
	v_and_b32_e32 v72, 0x7fffffff, v15
	v_trig_preop_f64 v[82:83], |v[14:15]|, 2
	v_mov_b32_e32 v90, 0
	s_mov_b32 s4, 0x54442d18
	s_mov_b32 s5, 0x3ff921fb
	;; [unrolled: 1-line block ×4, first 2 shown]
	v_dual_cndmask_b32 v61, v72, v61 :: v_dual_cndmask_b32 v60, v14, v60
	v_trig_preop_f64 v[72:73], |v[14:15]|, 1
	s_delay_alu instid0(VALU_DEP_2) | instskip(SKIP_1) | instid1(VALU_DEP_3)
	v_mul_f64 v[74:75], v[62:63], v[60:61]
	v_mul_f64 v[88:89], v[82:83], v[60:61]
	;; [unrolled: 1-line block ×3, first 2 shown]
	s_delay_alu instid0(VALU_DEP_3) | instskip(NEXT) | instid1(VALU_DEP_2)
	v_fma_f64 v[62:63], v[62:63], v[60:61], -v[74:75]
	v_fma_f64 v[72:73], v[72:73], v[60:61], -v[76:77]
	s_delay_alu instid0(VALU_DEP_4) | instskip(NEXT) | instid1(VALU_DEP_3)
	v_fma_f64 v[60:61], v[82:83], v[60:61], -v[88:89]
	v_add_f64 v[78:79], v[76:77], v[62:63]
	s_delay_alu instid0(VALU_DEP_1) | instskip(SKIP_1) | instid1(VALU_DEP_2)
	v_add_f64 v[80:81], v[78:79], -v[76:77]
	v_add_f64 v[86:87], v[74:75], v[78:79]
	v_add_f64 v[84:85], v[78:79], -v[80:81]
	v_add_f64 v[62:63], v[62:63], -v[80:81]
	s_delay_alu instid0(VALU_DEP_3) | instskip(SKIP_1) | instid1(VALU_DEP_4)
	v_ldexp_f64 v[80:81], v[86:87], -2
	v_add_f64 v[74:75], v[86:87], -v[74:75]
	v_add_f64 v[76:77], v[76:77], -v[84:85]
	v_add_f64 v[84:85], v[88:89], v[72:73]
	s_delay_alu instid0(VALU_DEP_4) | instskip(NEXT) | instid1(VALU_DEP_4)
	v_cmp_neq_f64_e64 vcc_lo, 0x7ff00000, |v[80:81]|
	v_add_f64 v[74:75], v[78:79], -v[74:75]
	s_delay_alu instid0(VALU_DEP_4) | instskip(SKIP_1) | instid1(VALU_DEP_2)
	v_add_f64 v[62:63], v[62:63], v[76:77]
	v_fract_f64_e32 v[76:77], v[80:81]
	v_add_f64 v[78:79], v[84:85], v[62:63]
	s_delay_alu instid0(VALU_DEP_2) | instskip(NEXT) | instid1(VALU_DEP_1)
	v_dual_cndmask_b32 v77, 0, v77 :: v_dual_cndmask_b32 v76, 0, v76
	v_ldexp_f64 v[76:77], v[76:77], 2
	s_delay_alu instid0(VALU_DEP_3) | instskip(NEXT) | instid1(VALU_DEP_1)
	v_add_f64 v[80:81], v[74:75], v[78:79]
	v_add_f64 v[86:87], v[80:81], v[76:77]
	v_add_f64 v[74:75], v[80:81], -v[74:75]
	s_delay_alu instid0(VALU_DEP_2) | instskip(SKIP_1) | instid1(VALU_DEP_3)
	v_cmp_gt_f64_e32 vcc_lo, 0, v[86:87]
	v_add_f64 v[86:87], v[84:85], -v[88:89]
	v_add_f64 v[74:75], v[78:79], -v[74:75]
	v_cndmask_b32_e64 v91, 0, 0x40100000, vcc_lo
	s_delay_alu instid0(VALU_DEP_3) | instskip(SKIP_1) | instid1(VALU_DEP_3)
	v_add_f64 v[95:96], v[84:85], -v[86:87]
	v_add_f64 v[72:73], v[72:73], -v[86:87]
	v_add_f64 v[76:77], v[76:77], v[90:91]
	v_add_f64 v[91:92], v[78:79], -v[84:85]
	s_delay_alu instid0(VALU_DEP_4) | instskip(NEXT) | instid1(VALU_DEP_3)
	v_add_f64 v[86:87], v[88:89], -v[95:96]
	v_add_f64 v[93:94], v[80:81], v[76:77]
	s_delay_alu instid0(VALU_DEP_3) | instskip(SKIP_1) | instid1(VALU_DEP_4)
	v_add_f64 v[97:98], v[78:79], -v[91:92]
	v_add_f64 v[62:63], v[62:63], -v[91:92]
	v_add_f64 v[72:73], v[72:73], v[86:87]
	s_delay_alu instid0(VALU_DEP_4) | instskip(NEXT) | instid1(VALU_DEP_4)
	v_cvt_i32_f64_e32 v93, v[93:94]
	v_add_f64 v[84:85], v[84:85], -v[97:98]
	s_delay_alu instid0(VALU_DEP_2) | instskip(NEXT) | instid1(VALU_DEP_2)
	v_cvt_f64_i32_e32 v[91:92], v93
	v_add_f64 v[62:63], v[62:63], v[84:85]
	s_delay_alu instid0(VALU_DEP_2) | instskip(NEXT) | instid1(VALU_DEP_2)
	v_add_f64 v[76:77], v[76:77], -v[91:92]
	v_add_f64 v[62:63], v[72:73], v[62:63]
	s_delay_alu instid0(VALU_DEP_2) | instskip(NEXT) | instid1(VALU_DEP_2)
	v_add_f64 v[72:73], v[80:81], v[76:77]
	v_add_f64 v[60:61], v[60:61], v[62:63]
	s_delay_alu instid0(VALU_DEP_2) | instskip(SKIP_1) | instid1(VALU_DEP_3)
	v_add_f64 v[62:63], v[72:73], -v[76:77]
	v_cmp_le_f64_e32 vcc_lo, 0.5, v[72:73]
	v_add_f64 v[60:61], v[74:75], v[60:61]
	s_delay_alu instid0(VALU_DEP_3) | instskip(SKIP_2) | instid1(VALU_DEP_3)
	v_add_f64 v[62:63], v[80:81], -v[62:63]
	v_cndmask_b32_e64 v91, 0, 0x3ff00000, vcc_lo
	v_add_co_ci_u32_e64 v152, s0, 0, v93, vcc_lo
	v_add_f64 v[60:61], v[60:61], v[62:63]
	s_delay_alu instid0(VALU_DEP_3) | instskip(NEXT) | instid1(VALU_DEP_1)
	v_add_f64 v[62:63], v[72:73], -v[90:91]
	v_add_f64 v[72:73], v[62:63], v[60:61]
	s_delay_alu instid0(VALU_DEP_1) | instskip(SKIP_1) | instid1(VALU_DEP_2)
	v_mul_f64 v[74:75], v[72:73], s[4:5]
	v_add_f64 v[62:63], v[72:73], -v[62:63]
	v_fma_f64 v[76:77], v[72:73], s[4:5], -v[74:75]
	s_delay_alu instid0(VALU_DEP_2) | instskip(NEXT) | instid1(VALU_DEP_2)
	v_add_f64 v[60:61], v[60:61], -v[62:63]
	v_fma_f64 v[62:63], v[72:73], s[6:7], v[76:77]
	s_delay_alu instid0(VALU_DEP_1) | instskip(NEXT) | instid1(VALU_DEP_1)
	v_fma_f64 v[62:63], v[60:61], s[4:5], v[62:63]
	v_add_f64 v[60:61], v[74:75], v[62:63]
	s_delay_alu instid0(VALU_DEP_1) | instskip(NEXT) | instid1(VALU_DEP_1)
	v_add_f64 v[72:73], v[60:61], -v[74:75]
	v_add_f64 v[72:73], v[62:63], -v[72:73]
	s_and_not1_saveexec_b32 s0, s2
	s_cbranch_execz .LBB129_112
	s_branch .LBB129_111
.LBB129_110:
	s_and_not1_saveexec_b32 s0, s2
	s_cbranch_execz .LBB129_112
.LBB129_111:
	s_mov_b32 s2, 0x6dc9c883
	s_mov_b32 s3, 0x3fe45f30
	;; [unrolled: 1-line block ×3, first 2 shown]
	v_mul_f64 v[60:61], |v[14:15]|, s[2:3]
	s_mov_b32 s2, 0x54442d18
	s_mov_b32 s3, 0xbff921fb
	;; [unrolled: 1-line block ×3, first 2 shown]
	s_delay_alu instid0(VALU_DEP_1) | instskip(NEXT) | instid1(VALU_DEP_1)
	v_rndne_f64_e32 v[62:63], v[60:61]
	v_fma_f64 v[60:61], v[62:63], s[2:3], |v[14:15]|
	v_mul_f64 v[72:73], v[62:63], s[4:5]
	s_mov_b32 s2, 0x252049c0
	s_mov_b32 s3, 0xb97b839a
	v_cvt_i32_f64_e32 v152, v[62:63]
	s_delay_alu instid0(VALU_DEP_3) | instskip(NEXT) | instid1(VALU_DEP_3)
	v_fma_f64 v[76:77], v[62:63], s[4:5], v[60:61]
	v_add_f64 v[74:75], v[60:61], v[72:73]
	s_mov_b32 s5, 0x3c91a626
	s_delay_alu instid0(VALU_DEP_1) | instskip(NEXT) | instid1(VALU_DEP_3)
	v_add_f64 v[60:61], v[60:61], -v[74:75]
	v_add_f64 v[74:75], v[74:75], -v[76:77]
	s_delay_alu instid0(VALU_DEP_2) | instskip(SKIP_1) | instid1(VALU_DEP_2)
	v_add_f64 v[60:61], v[60:61], v[72:73]
	v_fma_f64 v[72:73], v[62:63], s[4:5], v[72:73]
	v_add_f64 v[60:61], v[74:75], v[60:61]
	s_delay_alu instid0(VALU_DEP_1) | instskip(NEXT) | instid1(VALU_DEP_1)
	v_add_f64 v[60:61], v[60:61], -v[72:73]
	v_fma_f64 v[72:73], v[62:63], s[2:3], v[60:61]
	s_delay_alu instid0(VALU_DEP_1) | instskip(NEXT) | instid1(VALU_DEP_1)
	v_add_f64 v[60:61], v[76:77], v[72:73]
	v_add_f64 v[74:75], v[60:61], -v[76:77]
	s_delay_alu instid0(VALU_DEP_1)
	v_add_f64 v[72:73], v[72:73], -v[74:75]
.LBB129_112:
	s_or_b32 exec_lo, exec_lo, s0
                                        ; implicit-def: $vgpr153
                                        ; implicit-def: $vgpr62_vgpr63
                                        ; implicit-def: $vgpr76_vgpr77
	s_and_saveexec_b32 s0, s1
	s_delay_alu instid0(SALU_CYCLE_1)
	s_xor_b32 s1, exec_lo, s0
	s_cbranch_execz .LBB129_114
; %bb.113:
	v_ldexp_f64 v[62:63], |v[14:15]|, 0xffffff80
	v_cmp_le_f64_e64 vcc_lo, 0x7b000000, |v[14:15]|
	v_trig_preop_f64 v[74:75], |v[14:15]|, 0
	v_and_b32_e32 v76, 0x7fffffff, v15
	v_trig_preop_f64 v[86:87], |v[14:15]|, 2
	v_mov_b32_e32 v94, 0
	s_mov_b32 s2, 0x54442d18
	s_mov_b32 s3, 0x3ff921fb
	;; [unrolled: 1-line block ×4, first 2 shown]
	v_dual_cndmask_b32 v63, v76, v63 :: v_dual_cndmask_b32 v62, v14, v62
	v_trig_preop_f64 v[76:77], |v[14:15]|, 1
	s_delay_alu instid0(VALU_DEP_2) | instskip(SKIP_1) | instid1(VALU_DEP_3)
	v_mul_f64 v[78:79], v[74:75], v[62:63]
	v_mul_f64 v[92:93], v[86:87], v[62:63]
	v_mul_f64 v[80:81], v[76:77], v[62:63]
	s_delay_alu instid0(VALU_DEP_3) | instskip(NEXT) | instid1(VALU_DEP_2)
	v_fma_f64 v[74:75], v[74:75], v[62:63], -v[78:79]
	v_fma_f64 v[76:77], v[76:77], v[62:63], -v[80:81]
	s_delay_alu instid0(VALU_DEP_4) | instskip(NEXT) | instid1(VALU_DEP_3)
	v_fma_f64 v[62:63], v[86:87], v[62:63], -v[92:93]
	v_add_f64 v[82:83], v[80:81], v[74:75]
	s_delay_alu instid0(VALU_DEP_1) | instskip(SKIP_1) | instid1(VALU_DEP_2)
	v_add_f64 v[84:85], v[82:83], -v[80:81]
	v_add_f64 v[90:91], v[78:79], v[82:83]
	v_add_f64 v[88:89], v[82:83], -v[84:85]
	v_add_f64 v[74:75], v[74:75], -v[84:85]
	s_delay_alu instid0(VALU_DEP_3) | instskip(SKIP_1) | instid1(VALU_DEP_4)
	v_ldexp_f64 v[84:85], v[90:91], -2
	v_add_f64 v[78:79], v[90:91], -v[78:79]
	v_add_f64 v[80:81], v[80:81], -v[88:89]
	v_add_f64 v[88:89], v[92:93], v[76:77]
	s_delay_alu instid0(VALU_DEP_4) | instskip(NEXT) | instid1(VALU_DEP_4)
	v_cmp_neq_f64_e64 vcc_lo, 0x7ff00000, |v[84:85]|
	v_add_f64 v[78:79], v[82:83], -v[78:79]
	s_delay_alu instid0(VALU_DEP_4) | instskip(SKIP_1) | instid1(VALU_DEP_2)
	v_add_f64 v[74:75], v[74:75], v[80:81]
	v_fract_f64_e32 v[80:81], v[84:85]
	v_add_f64 v[82:83], v[88:89], v[74:75]
	s_delay_alu instid0(VALU_DEP_2) | instskip(NEXT) | instid1(VALU_DEP_1)
	v_dual_cndmask_b32 v81, 0, v81 :: v_dual_cndmask_b32 v80, 0, v80
	v_ldexp_f64 v[80:81], v[80:81], 2
	s_delay_alu instid0(VALU_DEP_3) | instskip(NEXT) | instid1(VALU_DEP_1)
	v_add_f64 v[84:85], v[78:79], v[82:83]
	v_add_f64 v[90:91], v[84:85], v[80:81]
	v_add_f64 v[78:79], v[84:85], -v[78:79]
	s_delay_alu instid0(VALU_DEP_2) | instskip(SKIP_1) | instid1(VALU_DEP_3)
	v_cmp_gt_f64_e32 vcc_lo, 0, v[90:91]
	v_add_f64 v[90:91], v[88:89], -v[92:93]
	v_add_f64 v[78:79], v[82:83], -v[78:79]
	v_cndmask_b32_e64 v95, 0, 0x40100000, vcc_lo
	s_delay_alu instid0(VALU_DEP_3) | instskip(SKIP_1) | instid1(VALU_DEP_3)
	v_add_f64 v[99:100], v[88:89], -v[90:91]
	v_add_f64 v[76:77], v[76:77], -v[90:91]
	v_add_f64 v[80:81], v[80:81], v[94:95]
	v_add_f64 v[95:96], v[82:83], -v[88:89]
	s_delay_alu instid0(VALU_DEP_4) | instskip(NEXT) | instid1(VALU_DEP_3)
	v_add_f64 v[90:91], v[92:93], -v[99:100]
	v_add_f64 v[97:98], v[84:85], v[80:81]
	s_delay_alu instid0(VALU_DEP_3) | instskip(SKIP_1) | instid1(VALU_DEP_4)
	v_add_f64 v[101:102], v[82:83], -v[95:96]
	v_add_f64 v[74:75], v[74:75], -v[95:96]
	v_add_f64 v[76:77], v[76:77], v[90:91]
	s_delay_alu instid0(VALU_DEP_4) | instskip(NEXT) | instid1(VALU_DEP_4)
	v_cvt_i32_f64_e32 v97, v[97:98]
	v_add_f64 v[88:89], v[88:89], -v[101:102]
	s_delay_alu instid0(VALU_DEP_2) | instskip(NEXT) | instid1(VALU_DEP_2)
	v_cvt_f64_i32_e32 v[95:96], v97
	v_add_f64 v[74:75], v[74:75], v[88:89]
	s_delay_alu instid0(VALU_DEP_2) | instskip(NEXT) | instid1(VALU_DEP_2)
	v_add_f64 v[80:81], v[80:81], -v[95:96]
	v_add_f64 v[74:75], v[76:77], v[74:75]
	s_delay_alu instid0(VALU_DEP_2) | instskip(NEXT) | instid1(VALU_DEP_2)
	v_add_f64 v[76:77], v[84:85], v[80:81]
	v_add_f64 v[62:63], v[62:63], v[74:75]
	s_delay_alu instid0(VALU_DEP_2) | instskip(SKIP_1) | instid1(VALU_DEP_3)
	v_add_f64 v[74:75], v[76:77], -v[80:81]
	v_cmp_le_f64_e32 vcc_lo, 0.5, v[76:77]
	v_add_f64 v[62:63], v[78:79], v[62:63]
	s_delay_alu instid0(VALU_DEP_3) | instskip(SKIP_2) | instid1(VALU_DEP_3)
	v_add_f64 v[74:75], v[84:85], -v[74:75]
	v_cndmask_b32_e64 v95, 0, 0x3ff00000, vcc_lo
	v_add_co_ci_u32_e64 v153, s0, 0, v97, vcc_lo
	v_add_f64 v[62:63], v[62:63], v[74:75]
	s_delay_alu instid0(VALU_DEP_3) | instskip(NEXT) | instid1(VALU_DEP_1)
	v_add_f64 v[74:75], v[76:77], -v[94:95]
	v_add_f64 v[76:77], v[74:75], v[62:63]
	s_delay_alu instid0(VALU_DEP_1) | instskip(SKIP_1) | instid1(VALU_DEP_2)
	v_mul_f64 v[78:79], v[76:77], s[2:3]
	v_add_f64 v[74:75], v[76:77], -v[74:75]
	v_fma_f64 v[80:81], v[76:77], s[2:3], -v[78:79]
	s_delay_alu instid0(VALU_DEP_2) | instskip(NEXT) | instid1(VALU_DEP_2)
	v_add_f64 v[62:63], v[62:63], -v[74:75]
	v_fma_f64 v[74:75], v[76:77], s[4:5], v[80:81]
	s_delay_alu instid0(VALU_DEP_1) | instskip(NEXT) | instid1(VALU_DEP_1)
	v_fma_f64 v[74:75], v[62:63], s[2:3], v[74:75]
	v_add_f64 v[62:63], v[78:79], v[74:75]
	s_delay_alu instid0(VALU_DEP_1) | instskip(NEXT) | instid1(VALU_DEP_1)
	v_add_f64 v[76:77], v[62:63], -v[78:79]
	v_add_f64 v[76:77], v[74:75], -v[76:77]
	s_and_not1_saveexec_b32 s0, s1
	s_cbranch_execnz .LBB129_115
	s_branch .LBB129_116
.LBB129_114:
	s_and_not1_saveexec_b32 s0, s1
	s_cbranch_execz .LBB129_116
.LBB129_115:
	s_mov_b32 s2, 0x6dc9c883
	s_mov_b32 s3, 0x3fe45f30
	;; [unrolled: 1-line block ×3, first 2 shown]
	v_mul_f64 v[62:63], |v[14:15]|, s[2:3]
	s_mov_b32 s2, 0x54442d18
	s_mov_b32 s3, 0xbff921fb
	;; [unrolled: 1-line block ×3, first 2 shown]
	s_delay_alu instid0(VALU_DEP_1) | instskip(NEXT) | instid1(VALU_DEP_1)
	v_rndne_f64_e32 v[74:75], v[62:63]
	v_fma_f64 v[62:63], v[74:75], s[2:3], |v[14:15]|
	v_mul_f64 v[76:77], v[74:75], s[4:5]
	s_mov_b32 s2, 0x252049c0
	s_mov_b32 s3, 0xb97b839a
	v_cvt_i32_f64_e32 v153, v[74:75]
	s_delay_alu instid0(VALU_DEP_3) | instskip(NEXT) | instid1(VALU_DEP_3)
	v_fma_f64 v[80:81], v[74:75], s[4:5], v[62:63]
	v_add_f64 v[78:79], v[62:63], v[76:77]
	s_mov_b32 s5, 0x3c91a626
	s_delay_alu instid0(VALU_DEP_1) | instskip(NEXT) | instid1(VALU_DEP_3)
	v_add_f64 v[62:63], v[62:63], -v[78:79]
	v_add_f64 v[78:79], v[78:79], -v[80:81]
	s_delay_alu instid0(VALU_DEP_2) | instskip(SKIP_1) | instid1(VALU_DEP_2)
	v_add_f64 v[62:63], v[62:63], v[76:77]
	v_fma_f64 v[76:77], v[74:75], s[4:5], v[76:77]
	v_add_f64 v[62:63], v[78:79], v[62:63]
	s_delay_alu instid0(VALU_DEP_1) | instskip(NEXT) | instid1(VALU_DEP_1)
	v_add_f64 v[62:63], v[62:63], -v[76:77]
	v_fma_f64 v[76:77], v[74:75], s[2:3], v[62:63]
	s_delay_alu instid0(VALU_DEP_1) | instskip(NEXT) | instid1(VALU_DEP_1)
	v_add_f64 v[62:63], v[80:81], v[76:77]
	v_add_f64 v[78:79], v[62:63], -v[80:81]
	s_delay_alu instid0(VALU_DEP_1)
	v_add_f64 v[76:77], v[76:77], -v[78:79]
.LBB129_116:
	s_or_b32 exec_lo, exec_lo, s0
	v_mul_f64 v[84:85], v[46:47], v[46:47]
	v_mul_f64 v[86:87], v[44:45], v[44:45]
	s_mov_b32 s10, 0x9037ab78
	s_mov_b32 s12, 0x46cc5e42
	;; [unrolled: 1-line block ×8, first 2 shown]
	v_mul_f64 v[90:91], v[52:53], v[52:53]
	s_mov_b32 s16, 0xa17f65f6
	s_mov_b32 s14, 0x796cde01
	;; [unrolled: 1-line block ×4, first 2 shown]
	v_mul_f64 v[100:101], v[34:35], v[34:35]
	s_mov_b32 s0, 0x197bcfd8
	s_mov_b32 s1, 0x3efa01a0
	;; [unrolled: 1-line block ×6, first 2 shown]
	v_mul_f64 v[116:117], v[30:31], v[30:31]
	s_mov_b32 s2, 0x11122322
	s_mov_b32 s3, 0x3f811111
	;; [unrolled: 1-line block ×6, first 2 shown]
	v_mul_f64 v[120:121], v[66:67], 0.5
	v_mul_f64 v[126:127], v[64:65], 0.5
	v_mul_f64 v[130:131], v[38:39], v[38:39]
	s_mov_b32 s4, 0x555502a1
	s_mov_b32 s5, 0x3fa55555
	;; [unrolled: 1-line block ×4, first 2 shown]
	s_or_b32 s30, s30, exec_lo
	v_fma_f64 v[74:75], v[84:85], s[12:13], s[10:11]
	v_mul_f64 v[78:79], v[84:85], 0.5
	v_fma_f64 v[80:81], v[84:85], s[8:9], s[6:7]
	v_fma_f64 v[82:83], v[86:87], s[8:9], s[6:7]
	;; [unrolled: 1-line block ×3, first 2 shown]
	v_mul_f64 v[98:99], v[86:87], 0.5
	v_mul_f64 v[122:123], v[44:45], -v[86:87]
	v_mul_f64 v[138:139], v[84:85], v[84:85]
	v_fma_f64 v[94:95], v[90:91], s[12:13], s[10:11]
	v_mul_f64 v[102:103], v[90:91], 0.5
	v_fma_f64 v[104:105], v[90:91], s[8:9], s[6:7]
	v_mul_f64 v[158:159], v[52:53], -v[90:91]
	v_mul_f64 v[110:111], v[100:101], 0.5
	v_fma_f64 v[112:113], v[100:101], s[12:13], s[10:11]
	v_fma_f64 v[118:119], v[100:101], s[8:9], s[6:7]
	v_mul_f64 v[132:133], v[116:117], 0.5
	v_fma_f64 v[134:135], v[116:117], s[8:9], s[6:7]
	v_fma_f64 v[136:137], v[116:117], s[12:13], s[10:11]
	;; [unrolled: 3-line block ×3, first 2 shown]
	v_add_f64 v[74:75], -v[78:79], 1.0
	v_fma_f64 v[80:81], v[84:85], v[80:81], s[14:15]
	v_fma_f64 v[82:83], v[86:87], v[82:83], s[14:15]
	;; [unrolled: 1-line block ×3, first 2 shown]
	v_add_f64 v[96:97], -v[98:99], 1.0
	v_fma_f64 v[114:115], v[90:91], v[94:95], s[16:17]
	v_add_f64 v[94:95], -v[102:103], 1.0
	v_fma_f64 v[104:105], v[90:91], v[104:105], s[14:15]
	v_fma_f64 v[112:113], v[100:101], v[112:113], s[16:17]
	;; [unrolled: 1-line block ×6, first 2 shown]
	v_add_f64 v[106:107], -v[74:75], 1.0
	v_fma_f64 v[108:109], v[84:85], v[80:81], s[18:19]
	v_fma_f64 v[82:83], v[86:87], v[82:83], s[18:19]
	v_mul_f64 v[80:81], v[46:47], -v[84:85]
	v_fma_f64 v[92:93], v[86:87], v[92:93], s[20:21]
	v_add_f64 v[124:125], -v[96:97], 1.0
	v_fma_f64 v[114:115], v[90:91], v[114:115], s[20:21]
	v_add_f64 v[128:129], -v[94:95], 1.0
	v_fma_f64 v[104:105], v[90:91], v[104:105], s[18:19]
	v_fma_f64 v[112:113], v[100:101], v[112:113], s[20:21]
	;; [unrolled: 1-line block ×6, first 2 shown]
	v_add_f64 v[106:107], v[106:107], -v[78:79]
	v_fma_f64 v[108:109], v[84:85], v[108:109], s[22:23]
	v_add_f64 v[78:79], -v[110:111], 1.0
	v_fma_f64 v[82:83], v[86:87], v[82:83], s[22:23]
	v_fma_f64 v[92:93], v[86:87], v[92:93], s[26:27]
	v_add_f64 v[98:99], v[124:125], -v[98:99]
	v_mul_f64 v[124:125], v[24:25], v[24:25]
	v_fma_f64 v[114:115], v[90:91], v[114:115], s[26:27]
	v_add_f64 v[102:103], v[128:129], -v[102:103]
	v_fma_f64 v[128:129], v[130:131], s[12:13], s[10:11]
	v_fma_f64 v[104:105], v[90:91], v[104:105], s[22:23]
	;; [unrolled: 1-line block ×5, first 2 shown]
	v_fma_f64 v[106:107], v[46:47], -v[66:67], v[106:107]
	v_fma_f64 v[108:109], v[80:81], v[108:109], v[120:121]
	v_mul_f64 v[120:121], v[70:71], 0.5
	v_add_f64 v[154:155], -v[78:79], 1.0
	v_fma_f64 v[126:127], v[122:123], v[82:83], v[126:127]
	v_add_f64 v[88:89], -v[132:133], 1.0
	v_fma_f64 v[92:93], v[86:87], v[92:93], s[28:29]
	v_fma_f64 v[98:99], v[44:45], -v[64:65], v[98:99]
	v_fma_f64 v[162:163], v[124:125], s[12:13], s[10:11]
	v_fma_f64 v[114:115], v[90:91], v[114:115], s[28:29]
	v_fma_f64 v[102:103], v[52:53], -v[70:71], v[102:103]
	v_fma_f64 v[128:129], v[130:131], v[128:129], s[16:17]
	v_fma_f64 v[112:113], v[100:101], v[112:113], s[28:29]
	;; [unrolled: 1-line block ×3, first 2 shown]
	v_mul_f64 v[106:107], v[54:55], 0.5
	v_mul_f64 v[138:139], v[86:87], v[86:87]
	v_fma_f64 v[84:85], v[84:85], v[108:109], -v[66:67]
	v_mul_f64 v[108:109], v[90:91], v[90:91]
	v_mul_f64 v[140:141], v[124:125], 0.5
	v_add_f64 v[110:111], v[154:155], -v[110:111]
	v_add_f64 v[66:67], -v[156:157], 1.0
	v_fma_f64 v[154:155], v[86:87], v[126:127], -v[64:65]
	v_add_f64 v[126:127], -v[88:89], 1.0
	v_fma_f64 v[104:105], v[158:159], v[104:105], v[120:121]
	v_mul_f64 v[86:87], v[34:35], -v[100:101]
	v_fma_f64 v[120:121], v[130:131], v[160:161], s[14:15]
	v_add_f64 v[74:75], v[74:75], v[82:83]
	v_fma_f64 v[160:161], v[138:139], v[92:93], v[98:99]
	v_mul_f64 v[98:99], v[50:51], 0.5
	v_mul_f64 v[138:139], v[100:101], v[100:101]
	v_fma_f64 v[164:165], v[108:109], v[114:115], v[102:103]
	v_fma_f64 v[110:111], v[34:35], -v[54:55], v[110:111]
	v_add_f64 v[64:65], -v[140:141], 1.0
	v_fma_f64 v[102:103], v[130:131], v[128:129], s[20:21]
	v_add_f64 v[108:109], -v[66:67], 1.0
	v_add_f64 v[114:115], v[126:127], -v[132:133]
	v_mul_f64 v[92:93], v[30:31], -v[116:117]
	v_fma_f64 v[126:127], v[124:125], v[162:163], s[16:17]
	v_fma_f64 v[128:129], v[116:117], v[134:135], s[22:23]
	;; [unrolled: 1-line block ×3, first 2 shown]
	v_mul_f64 v[132:133], v[22:23], v[22:23]
	v_fma_f64 v[118:119], v[130:131], v[120:121], s[18:19]
	v_fma_f64 v[120:121], v[116:117], v[136:137], s[26:27]
	v_fma_f64 v[162:163], v[90:91], v[104:105], -v[70:71]
	v_fma_f64 v[70:71], v[124:125], s[8:9], s[6:7]
	v_mul_f64 v[104:105], v[58:59], 0.5
	v_mul_f64 v[134:135], v[28:29], v[28:29]
	v_mul_f64 v[136:137], v[116:117], v[116:117]
	v_fma_f64 v[90:91], v[138:139], v[112:113], v[110:111]
	v_add_f64 v[112:113], -v[64:65], 1.0
	v_fma_f64 v[102:103], v[130:131], v[102:103], s[26:27]
	v_add_f64 v[108:109], v[108:109], -v[156:157]
	v_mul_f64 v[110:111], v[38:39], -v[130:131]
	v_mul_f64 v[138:139], v[130:131], v[130:131]
	v_fma_f64 v[126:127], v[124:125], v[126:127], s[20:21]
	v_fma_f64 v[98:99], v[92:93], v[128:129], v[98:99]
	v_fma_f64 v[106:107], v[100:101], v[106:107], -v[54:55]
	v_mul_f64 v[100:101], v[132:133], 0.5
	v_fma_f64 v[54:55], v[130:131], v[118:119], s[22:23]
	v_fma_f64 v[118:119], v[30:31], -v[50:51], v[114:115]
	v_fma_f64 v[120:121], v[116:117], v[120:121], s[28:29]
	v_fma_f64 v[128:129], v[132:133], s[8:9], s[6:7]
	;; [unrolled: 1-line block ×3, first 2 shown]
	v_mul_f64 v[156:157], v[40:41], 0.5
	v_add_f64 v[78:79], v[78:79], v[90:91]
	v_add_f64 v[112:113], v[112:113], -v[140:141]
	v_fma_f64 v[102:103], v[130:131], v[102:103], s[28:29]
	v_fma_f64 v[108:109], v[38:39], -v[58:59], v[108:109]
	v_mul_f64 v[140:141], v[134:135], 0.5
	v_fma_f64 v[126:127], v[124:125], v[126:127], s[26:27]
	v_fma_f64 v[114:115], v[116:117], v[98:99], -v[50:51]
	v_fma_f64 v[98:99], v[132:133], s[12:13], s[10:11]
	v_fma_f64 v[104:105], v[110:111], v[54:55], v[104:105]
	v_add_f64 v[54:55], -v[100:101], 1.0
	v_fma_f64 v[116:117], v[136:137], v[120:121], v[118:119]
	v_fma_f64 v[120:121], v[134:135], s[12:13], s[10:11]
	;; [unrolled: 1-line block ×5, first 2 shown]
	v_mul_f64 v[102:103], v[124:125], v[124:125]
	v_add_f64 v[70:71], -v[140:141], 1.0
	v_fma_f64 v[108:109], v[124:125], v[126:127], s[28:29]
	v_fma_f64 v[126:127], v[24:25], -v[40:41], v[112:113]
	v_fma_f64 v[98:99], v[132:133], v[98:99], s[16:17]
	v_mul_f64 v[112:113], v[24:25], -v[124:125]
	v_fma_f64 v[118:119], v[130:131], v[104:105], -v[58:59]
	v_add_f64 v[104:105], -v[54:55], 1.0
	v_mul_f64 v[138:139], v[60:61], v[60:61]
	v_fma_f64 v[130:131], v[134:135], v[120:121], s[16:17]
	v_fma_f64 v[128:129], v[132:133], v[128:129], s[18:19]
	;; [unrolled: 1-line block ×3, first 2 shown]
	v_mul_f64 v[120:121], v[22:23], -v[132:133]
	v_add_f64 v[88:89], v[88:89], v[116:117]
	v_add_f64 v[50:51], v[66:67], v[50:51]
	v_fma_f64 v[58:59], v[102:103], v[108:109], v[126:127]
	v_mul_f64 v[102:103], v[32:33], 0.5
	v_fma_f64 v[98:99], v[132:133], v[98:99], s[20:21]
	v_add_f64 v[108:109], -v[70:71], 1.0
	v_add_f64 v[100:101], v[104:105], -v[100:101]
	v_fma_f64 v[104:105], v[134:135], v[130:131], s[20:21]
	v_fma_f64 v[130:131], v[134:135], s[8:9], s[6:7]
	;; [unrolled: 1-line block ×4, first 2 shown]
	v_add_f64 v[58:59], v[64:65], v[58:59]
	v_fma_f64 v[98:99], v[132:133], v[98:99], s[26:27]
	v_add_f64 v[108:109], v[108:109], -v[140:141]
	v_mul_f64 v[140:141], v[134:135], v[134:135]
	v_fma_f64 v[104:105], v[134:135], v[104:105], s[26:27]
	v_fma_f64 v[130:131], v[134:135], v[130:131], s[14:15]
	;; [unrolled: 1-line block ×3, first 2 shown]
	v_mul_f64 v[128:129], v[132:133], v[132:133]
	v_fma_f64 v[124:125], v[124:125], v[126:127], -v[40:41]
	v_fma_f64 v[40:41], v[22:23], -v[32:33], v[100:101]
	v_mul_f64 v[100:101], v[138:139], 0.5
	v_mul_f64 v[126:127], v[28:29], -v[134:135]
	v_fma_f64 v[98:99], v[132:133], v[98:99], s[28:29]
	v_fma_f64 v[108:109], v[28:29], -v[42:43], v[108:109]
	v_fma_f64 v[104:105], v[134:135], v[104:105], s[28:29]
	v_fma_f64 v[130:131], v[134:135], v[130:131], s[18:19]
	v_fma_f64 v[136:137], v[132:133], v[102:103], -v[32:33]
	v_fma_f64 v[102:103], v[138:139], s[12:13], s[10:11]
	v_fma_f64 v[132:133], v[138:139], s[8:9], s[6:7]
	;; [unrolled: 1-line block ×3, first 2 shown]
	v_mul_f64 v[128:129], v[42:43], 0.5
	v_add_f64 v[98:99], -v[100:101], 1.0
	v_fma_f64 v[32:33], v[140:141], v[104:105], v[108:109]
	v_fma_f64 v[104:105], v[134:135], v[130:131], s[22:23]
	;; [unrolled: 1-line block ×4, first 2 shown]
	v_mul_f64 v[132:133], v[60:61], -v[138:139]
	v_add_f64 v[40:41], v[54:55], v[40:41]
	v_add_f64 v[130:131], -v[98:99], 1.0
	v_add_f64 v[32:33], v[70:71], v[32:33]
	v_fma_f64 v[104:105], v[126:127], v[104:105], v[128:129]
	v_mul_f64 v[128:129], v[56:57], v[56:57]
	v_fma_f64 v[102:103], v[138:139], v[102:103], s[20:21]
	v_fma_f64 v[108:109], v[138:139], v[108:109], s[18:19]
	v_add_f64 v[100:101], v[130:131], -v[100:101]
	v_mul_f64 v[130:131], v[62:63], v[62:63]
	v_fma_f64 v[134:135], v[134:135], v[104:105], -v[42:43]
	v_fma_f64 v[104:105], v[128:129], s[8:9], s[6:7]
	v_fma_f64 v[42:43], v[138:139], v[102:103], s[26:27]
	;; [unrolled: 1-line block ×3, first 2 shown]
	v_mul_f64 v[108:109], v[72:73], 0.5
	v_mul_f64 v[140:141], v[56:57], -v[128:129]
	v_fma_f64 v[100:101], v[60:61], -v[72:73], v[100:101]
	v_fma_f64 v[104:105], v[128:129], v[104:105], s[14:15]
	v_fma_f64 v[42:43], v[138:139], v[42:43], s[28:29]
	;; [unrolled: 1-line block ×3, first 2 shown]
	v_mul_f64 v[108:109], v[138:139], v[138:139]
	s_delay_alu instid0(VALU_DEP_4) | instskip(NEXT) | instid1(VALU_DEP_3)
	v_fma_f64 v[104:105], v[128:129], v[104:105], s[18:19]
	v_fma_f64 v[138:139], v[138:139], v[102:103], -v[72:73]
	s_delay_alu instid0(VALU_DEP_3)
	v_fma_f64 v[108:109], v[108:109], v[42:43], v[100:101]
	v_mul_f64 v[42:43], v[128:129], 0.5
	v_mul_f64 v[102:103], v[68:69], 0.5
	v_fma_f64 v[100:101], v[128:129], v[104:105], s[22:23]
	v_mul_f64 v[104:105], v[130:131], v[130:131]
	v_add_f64 v[64:65], v[98:99], v[108:109]
	v_add_f64 v[72:73], -v[42:43], 1.0
	s_delay_alu instid0(VALU_DEP_4) | instskip(NEXT) | instid1(VALU_DEP_2)
	v_fma_f64 v[100:101], v[140:141], v[100:101], v[102:103]
	v_add_f64 v[102:103], -v[72:73], 1.0
	s_delay_alu instid0(VALU_DEP_2) | instskip(SKIP_1) | instid1(VALU_DEP_3)
	v_fma_f64 v[156:157], v[128:129], v[100:101], -v[68:69]
	v_mul_f64 v[100:101], v[128:129], v[128:129]
	v_add_f64 v[42:43], v[102:103], -v[42:43]
	v_fma_f64 v[102:103], v[128:129], s[12:13], s[10:11]
	s_delay_alu instid0(VALU_DEP_2) | instskip(NEXT) | instid1(VALU_DEP_2)
	v_fma_f64 v[42:43], v[56:57], -v[68:69], v[42:43]
	v_fma_f64 v[102:103], v[128:129], v[102:103], s[16:17]
	s_delay_alu instid0(VALU_DEP_1) | instskip(NEXT) | instid1(VALU_DEP_1)
	v_fma_f64 v[102:103], v[128:129], v[102:103], s[20:21]
	v_fma_f64 v[102:103], v[128:129], v[102:103], s[26:27]
	s_delay_alu instid0(VALU_DEP_1) | instskip(SKIP_1) | instid1(VALU_DEP_2)
	v_fma_f64 v[68:69], v[128:129], v[102:103], s[28:29]
	v_mul_f64 v[128:129], v[62:63], -v[130:131]
	v_fma_f64 v[102:103], v[100:101], v[68:69], v[42:43]
	v_mul_f64 v[42:43], v[130:131], 0.5
	s_delay_alu instid0(VALU_DEP_2) | instskip(NEXT) | instid1(VALU_DEP_2)
	v_add_f64 v[72:73], v[72:73], v[102:103]
	v_add_f64 v[100:101], -v[42:43], 1.0
	s_delay_alu instid0(VALU_DEP_1) | instskip(NEXT) | instid1(VALU_DEP_1)
	v_add_f64 v[68:69], -v[100:101], 1.0
	v_add_f64 v[42:43], v[68:69], -v[42:43]
	v_fma_f64 v[68:69], v[130:131], s[12:13], s[10:11]
	v_cmp_class_f64_e64 s12, v[36:37], 0x1f8
	v_cmp_class_f64_e64 s10, v[14:15], 0x1f8
	s_delay_alu instid0(VALU_DEP_4) | instskip(NEXT) | instid1(VALU_DEP_4)
	v_fma_f64 v[42:43], v[62:63], -v[76:77], v[42:43]
	v_fma_f64 v[68:69], v[130:131], v[68:69], s[16:17]
	v_cmp_class_f64_e64 s16, v[20:21], 0x1f8
	s_delay_alu instid0(VALU_DEP_2) | instskip(SKIP_1) | instid1(VALU_DEP_2)
	v_fma_f64 v[68:69], v[130:131], v[68:69], s[20:21]
	v_cmp_ngt_f64_e64 s20, 0xc0428000, v[4:5]
	v_fma_f64 v[68:69], v[130:131], v[68:69], s[26:27]
	s_delay_alu instid0(VALU_DEP_1) | instskip(SKIP_1) | instid1(SALU_CYCLE_1)
	v_fma_f64 v[68:69], v[130:131], v[68:69], s[28:29]
	s_mov_b32 s29, 0xbfc55555
	v_fma_f64 v[122:123], v[122:123], s[28:29], v[154:155]
	v_fma_f64 v[110:111], v[110:111], s[28:29], v[118:119]
	;; [unrolled: 1-line block ×12, first 2 shown]
	v_mul_f64 v[68:69], v[76:77], 0.5
	s_mov_b32 s6, 0x652b82fe
	s_mov_b32 s7, 0x3ff71547
	;; [unrolled: 1-line block ×3, first 2 shown]
	v_mul_f64 v[154:155], v[0:1], s[6:7]
	s_mov_b32 s9, 0x3e21f32e
	v_add_f64 v[44:45], v[44:45], -v[122:123]
	v_add_f64 v[46:47], v[46:47], -v[80:81]
	;; [unrolled: 1-line block ×10, first 2 shown]
	v_and_b32_e32 v132, 1, v152
	v_lshlrev_b32_e32 v133, 30, v152
	s_delay_alu instid0(VALU_DEP_1)
	v_and_b32_e32 v133, 0x80000000, v133
	v_add_f64 v[66:67], v[100:101], v[104:105]
	v_fma_f64 v[42:43], v[130:131], v[42:43], s[14:15]
	v_cmp_class_f64_e64 s14, v[26:27], 0x1f8
	v_rndne_f64_e32 v[154:155], v[154:155]
	v_xor_b32_e32 v35, 0x80000000, v35
	v_xor_b32_e32 v25, 0x80000000, v25
	v_fma_f64 v[42:43], v[130:131], v[42:43], s[18:19]
	v_cmp_class_f64_e64 s19, v[48:49], 0x1f8
	v_cvt_i32_f64_e32 v156, v[154:155]
	v_cmp_eq_f64_e32 vcc_lo, 0x40900000, v[154:155]
	s_delay_alu instid0(VALU_DEP_4) | instskip(SKIP_2) | instid1(SALU_CYCLE_1)
	v_fma_f64 v[42:43], v[130:131], v[42:43], s[22:23]
	s_mov_b32 s22, 0xfefa39ef
	s_mov_b32 s23, 0xbfe62e42
	v_fma_f64 v[120:121], v[154:155], s[22:23], v[0:1]
	s_delay_alu instid0(VALU_DEP_2) | instskip(SKIP_4) | instid1(VALU_DEP_2)
	v_fma_f64 v[42:43], v[128:129], v[42:43], v[68:69]
	v_add_f64 v[68:69], v[94:95], v[164:165]
	v_mul_f64 v[94:95], v[8:9], s[6:7]
	v_and_b32_e32 v164, 1, v148
	v_and_b32_e32 v165, 1, v145
	v_cmp_eq_u32_e64 s11, 0, v164
	s_delay_alu instid0(VALU_DEP_2)
	v_cmp_eq_u32_e64 s13, 0, v165
	v_fma_f64 v[130:131], v[130:131], v[42:43], -v[76:77]
	v_add_f64 v[42:43], v[96:97], v[160:161]
	v_mul_f64 v[96:97], v[4:5], s[6:7]
	v_fma_f64 v[76:77], v[158:159], s[28:29], v[162:163]
	v_mul_f64 v[158:159], v[12:13], s[6:7]
	v_rndne_f64_e32 v[94:95], v[94:95]
	s_mov_b32 s6, 0x3b39803f
	s_mov_b32 s7, 0xbc7abc9e
	v_lshlrev_b32_e32 v160, 30, v144
	v_fma_f64 v[120:121], v[154:155], s[6:7], v[120:121]
	v_lshlrev_b32_e32 v162, 30, v153
	v_and_b32_e32 v144, 1, v144
	v_fma_f64 v[128:129], v[128:129], s[28:29], v[130:131]
	v_rndne_f64_e32 v[96:97], v[96:97]
	v_add_f64 v[52:53], v[52:53], -v[76:77]
	v_rndne_f64_e32 v[158:159], v[158:159]
	v_fma_f64 v[116:117], v[94:95], s[22:23], v[8:9]
	v_cvt_i32_f64_e32 v131, v[94:95]
	v_add_f64 v[62:63], v[62:63], -v[128:129]
	v_fma_f64 v[118:119], v[96:97], s[22:23], v[4:5]
	v_cvt_i32_f64_e32 v161, v[96:97]
	v_fma_f64 v[136:137], v[158:159], s[22:23], v[12:13]
	v_fma_f64 v[116:117], v[94:95], s[6:7], v[116:117]
	v_cvt_i32_f64_e32 v163, v[158:159]
	s_mov_b32 s23, 0x40862e42
	s_delay_alu instid0(SALU_CYCLE_1) | instskip(SKIP_4) | instid1(SALU_CYCLE_1)
	v_cmp_nlt_f64_e64 s21, s[22:23], v[12:13]
	v_fma_f64 v[118:119], v[96:97], s[6:7], v[118:119]
	v_fma_f64 v[136:137], v[158:159], s[6:7], v[136:137]
	s_mov_b32 s6, 0x2a1b768b
	s_mov_b32 s7, 0x3e5af4eb
	v_fma_f64 v[82:83], v[116:117], s[8:9], s[6:7]
	v_fma_f64 v[112:113], v[120:121], s[8:9], s[6:7]
	s_delay_alu instid0(VALU_DEP_4) | instskip(NEXT) | instid1(VALU_DEP_4)
	v_fma_f64 v[106:107], v[118:119], s[8:9], s[6:7]
	v_fma_f64 v[124:125], v[136:137], s[8:9], s[6:7]
	s_mov_b32 s6, 0xe0ac05b
	s_mov_b32 s7, 0x3e927e50
	;; [unrolled: 1-line block ×3, first 2 shown]
	s_delay_alu instid0(VALU_DEP_4) | instskip(NEXT) | instid1(VALU_DEP_4)
	v_fma_f64 v[82:83], v[116:117], v[82:83], s[6:7]
	v_fma_f64 v[112:113], v[120:121], v[112:113], s[6:7]
	s_mov_b32 s9, 0x3e5ade15
	s_delay_alu instid0(VALU_DEP_4) | instskip(NEXT) | instid1(VALU_DEP_4)
	v_fma_f64 v[106:107], v[118:119], v[106:107], s[6:7]
	v_fma_f64 v[124:125], v[136:137], v[124:125], s[6:7]
	s_mov_b32 s6, 0xfca7ab0c
	s_mov_b32 s7, 0x3e928af3
	s_delay_alu instid0(SALU_CYCLE_1)
	v_fma_f64 v[126:127], v[118:119], s[8:9], s[6:7]
	v_fma_f64 v[138:139], v[116:117], s[8:9], s[6:7]
	;; [unrolled: 1-line block ×4, first 2 shown]
	s_mov_b32 s6, 0x1b889c29
	s_mov_b32 s7, 0x3ec71de0
	v_cmp_class_f64_e64 s8, v[2:3], 0x1f8
	v_fma_f64 v[82:83], v[116:117], v[82:83], s[6:7]
	v_fma_f64 v[112:113], v[120:121], v[112:113], s[6:7]
	v_cmp_eq_u32_e64 s9, 0, v132
	v_fma_f64 v[106:107], v[118:119], v[106:107], s[6:7]
	v_fma_f64 v[124:125], v[136:137], v[124:125], s[6:7]
	s_mov_b32 s6, 0x623fde64
	s_mov_b32 s7, 0x3ec71dee
	s_delay_alu instid0(SALU_CYCLE_1)
	v_fma_f64 v[126:127], v[118:119], v[126:127], s[6:7]
	v_fma_f64 v[138:139], v[116:117], v[138:139], s[6:7]
	;; [unrolled: 1-line block ×4, first 2 shown]
	s_mov_b32 s6, 0x1ac1a723
	v_fma_f64 v[82:83], v[116:117], v[82:83], s[0:1]
	v_fma_f64 v[112:113], v[120:121], v[112:113], s[0:1]
	;; [unrolled: 1-line block ×4, first 2 shown]
	s_mov_b32 s0, 0x7c89e6b0
	s_mov_b32 s1, 0x3efa0199
	s_delay_alu instid0(SALU_CYCLE_1)
	v_fma_f64 v[126:127], v[118:119], v[126:127], s[0:1]
	v_fma_f64 v[138:139], v[116:117], v[138:139], s[0:1]
	;; [unrolled: 1-line block ×4, first 2 shown]
	s_mov_b32 s0, 0x14761f6e
	s_mov_b32 s1, 0x3f2a01a0
	s_delay_alu instid0(SALU_CYCLE_1) | instskip(NEXT) | instid1(SALU_CYCLE_1)
	s_mov_b32 s7, s1
	v_fma_f64 v[82:83], v[116:117], v[82:83], s[6:7]
	v_fma_f64 v[112:113], v[120:121], v[112:113], s[6:7]
	;; [unrolled: 1-line block ×4, first 2 shown]
	s_mov_b32 s6, 0x16c18931
	v_fma_f64 v[126:127], v[118:119], v[126:127], s[0:1]
	v_fma_f64 v[138:139], v[116:117], v[138:139], s[0:1]
	;; [unrolled: 1-line block ×4, first 2 shown]
	s_mov_b32 s0, 0x1852b7b0
	s_mov_b32 s1, 0x3f56c16c
	s_delay_alu instid0(SALU_CYCLE_1) | instskip(NEXT) | instid1(SALU_CYCLE_1)
	s_mov_b32 s7, s1
	v_fma_f64 v[82:83], v[116:117], v[82:83], s[6:7]
	v_fma_f64 v[112:113], v[120:121], v[112:113], s[6:7]
	;; [unrolled: 1-line block ×4, first 2 shown]
	v_cmp_class_f64_e64 s6, v[10:11], 0x1f8
	v_fma_f64 v[126:127], v[118:119], v[126:127], s[0:1]
	v_fma_f64 v[138:139], v[116:117], v[138:139], s[0:1]
	;; [unrolled: 1-line block ×4, first 2 shown]
	s_mov_b32 s0, 0x11110056
	s_mov_b32 s1, s3
	s_delay_alu instid0(SALU_CYCLE_1)
	v_fma_f64 v[82:83], v[116:117], v[82:83], s[0:1]
	v_fma_f64 v[112:113], v[120:121], v[112:113], s[0:1]
	;; [unrolled: 1-line block ×4, first 2 shown]
	s_mov_b32 s0, 0x55555552
	s_mov_b32 s1, s5
	v_fma_f64 v[126:127], v[118:119], v[126:127], s[2:3]
	v_fma_f64 v[138:139], v[116:117], v[138:139], s[2:3]
	;; [unrolled: 1-line block ×4, first 2 shown]
	s_mov_b32 s2, 0x55555557
	v_fma_f64 v[82:83], v[116:117], v[82:83], s[0:1]
	v_fma_f64 v[112:113], v[120:121], v[112:113], s[0:1]
	v_fma_f64 v[106:107], v[118:119], v[106:107], s[0:1]
	v_fma_f64 v[124:125], v[136:137], v[124:125], s[0:1]
	s_mov_b32 s0, 0x55555511
	s_mov_b32 s1, 0x3fc55555
	v_fma_f64 v[126:127], v[118:119], v[126:127], s[4:5]
	v_fma_f64 v[138:139], v[116:117], v[138:139], s[4:5]
	;; [unrolled: 1-line block ×4, first 2 shown]
	s_mov_b32 s3, s1
	s_mov_b32 s4, 11
	;; [unrolled: 1-line block ×3, first 2 shown]
	v_fma_f64 v[82:83], v[116:117], v[82:83], s[2:3]
	v_fma_f64 v[112:113], v[120:121], v[112:113], s[2:3]
	;; [unrolled: 1-line block ×4, first 2 shown]
	v_cmp_eq_f64_e64 s2, 0x40900000, v[158:159]
	v_fma_f64 v[80:81], v[118:119], v[126:127], s[0:1]
	v_fma_f64 v[98:99], v[116:117], v[138:139], s[0:1]
	;; [unrolled: 1-line block ×4, first 2 shown]
	v_cmp_eq_f64_e64 s0, 0x40900000, v[94:95]
	v_cmp_eq_f64_e64 s1, 0x40900000, v[96:97]
	v_cndmask_b32_e64 v97, v156, 0x3ff, vcc_lo
	v_and_b32_e32 v126, 1, v142
	v_lshlrev_b32_e32 v127, 30, v148
	v_fma_f64 v[82:83], v[116:117], v[82:83], 0.5
	v_lshlrev_b32_e32 v138, 30, v145
	v_lshlrev_b32_e32 v139, 30, v142
	;; [unrolled: 1-line block ×3, first 2 shown]
	v_and_b32_e32 v140, 1, v151
	v_and_b32_e32 v145, 1, v149
	v_and_b32_e32 v148, 1, v146
	v_and_b32_e32 v151, 1, v143
	v_and_b32_e32 v141, 1, v153
	v_xor_b32_e32 v153, v160, v3
	v_xor_b32_e32 v139, v139, v21
	v_cmp_eq_u32_e64 s3, 0, v148
	v_cmp_eq_u32_e64 s7, 0, v151
	;; [unrolled: 1-line block ×3, first 2 shown]
	v_xor_b32_e32 v138, v138, v27
	v_xor_b32_e32 v127, v127, v37
	v_cndmask_b32_e64 v78, v34, v78, s3
	v_xor_b32_e32 v142, v142, v49
	v_cndmask_b32_e64 v40, v40, v22, s15
	v_cndmask_b32_e64 v22, v43, v45, s11
	;; [unrolled: 1-line block ×3, first 2 shown]
	v_cmp_eq_u32_e64 s17, 0, v140
	v_and_b32_e32 v139, 0x80000000, v139
	v_fma_f64 v[84:85], v[118:119], v[106:107], 0.5
	v_fma_f64 v[106:107], v[120:121], v[112:113], 0.5
	;; [unrolled: 1-line block ×3, first 2 shown]
	v_cndmask_b32_e64 v124, v163, 0x3ff, s2
	v_and_b32_e32 v153, 0x80000000, v153
	v_cndmask_b32_e64 v23, v41, v23, s15
	v_fma_f64 v[80:81], v[118:119], v[80:81], s[4:5]
	v_fma_f64 v[98:99], v[116:117], v[98:99], s[4:5]
	v_ldexp_f64 v[124:125], 1.0, v124
	v_fma_f64 v[108:109], v[120:121], v[108:109], s[4:5]
	v_cndmask_b32_e64 v94, v131, 0x3ff, s0
	v_cndmask_b32_e64 v96, v161, 0x3ff, s1
	v_fma_f64 v[122:123], v[136:137], v[122:123], s[4:5]
	v_cmp_eq_u32_e64 s5, 0, v145
	v_lshlrev_b32_e32 v143, 30, v143
	v_ldexp_f64 v[94:95], 1.0, v94
	v_mul_f64 v[82:83], v[116:117], v[82:83]
	v_ldexp_f64 v[86:87], 1.0, v96
	v_ldexp_f64 v[96:97], 1.0, v97
	v_cndmask_b32_e64 v34, v46, v74, s5
	v_cndmask_b32_e64 v46, v24, v58, s7
	;; [unrolled: 1-line block ×4, first 2 shown]
	v_and_b32_e32 v138, 0x80000000, v138
	v_and_b32_e32 v127, 0x80000000, v127
	v_xor_b32_e32 v154, v162, v15
	v_and_b32_e32 v142, 0x80000000, v142
	v_xor_b32_e32 v23, v23, v139
	v_and_b32_e32 v143, 0x80000000, v143
	v_cmp_eq_u32_e64 s13, 0, v141
	v_cndmask_b32_e64 v25, v25, v59, s7
	v_cmp_class_f64_e64 s4, v[6:7], 0x1f8
	v_cndmask_b32_e64 v44, v72, v56, s17
	v_xor_b32_e32 v56, v22, v127
	v_cndmask_b32_e64 v58, v60, v64, s9
	v_cndmask_b32_e64 v22, 0, v24, s12
	;; [unrolled: 1-line block ×4, first 2 shown]
	v_mul_f64 v[84:85], v[118:119], v[84:85]
	v_mul_f64 v[106:107], v[120:121], v[106:107]
	;; [unrolled: 1-line block ×3, first 2 shown]
	v_xor_b32_e32 v72, v25, v143
	v_cmp_nlt_f64_e64 s3, 0x40900000, v[4:5]
	v_cmp_nlt_f64_e64 s15, s[22:23], v[8:9]
	v_fma_f64 v[80:81], v[118:119], v[80:81], 1.0
	v_fma_f64 v[98:99], v[116:117], v[98:99], 1.0
	v_add_f64 v[102:103], v[124:125], -1.0
	v_fma_f64 v[70:71], v[120:121], v[108:109], 1.0
	v_cmp_nlt_f64_e64 s7, 0x40900000, v[8:9]
	v_lshlrev_b32_e32 v149, 30, v149
	v_fma_f64 v[76:77], v[136:137], v[122:123], 1.0
	v_and_b32_e32 v154, 0x80000000, v154
	v_lshlrev_b32_e32 v146, 30, v146
	v_add_f64 v[54:55], v[94:95], -1.0
	v_fma_f64 v[82:83], v[116:117], v[82:83], v[116:117]
	v_add_f64 v[92:93], v[86:87], -1.0
	v_add_f64 v[114:115], v[96:97], -1.0
	v_and_b32_e32 v149, 0x80000000, v149
	v_and_b32_e32 v146, 0x80000000, v146
	v_cndmask_b32_e64 v34, 0, v34, s6
	v_fma_f64 v[84:85], v[118:119], v[84:85], v[118:119]
	v_fma_f64 v[90:91], v[120:121], v[106:107], v[120:121]
	;; [unrolled: 1-line block ×3, first 2 shown]
	v_fma_f64 v[2:3], v[118:119], v[80:81], 1.0
	v_fma_f64 v[14:15], v[136:137], v[76:77], 1.0
	v_fma_f64 v[20:21], v[94:95], v[82:83], v[54:55]
	v_cndmask_b32_e64 v54, v67, v63, s13
	v_fma_f64 v[26:27], v[86:87], v[84:85], v[92:93]
	v_fma_f64 v[30:31], v[96:97], v[90:91], v[114:115]
	v_fma_f64 v[36:37], v[124:125], v[100:101], v[102:103]
	v_lshlrev_b32_e32 v157, 30, v147
	v_lshlrev_b32_e32 v130, 30, v150
	v_and_b32_e32 v150, 1, v150
	v_and_b32_e32 v147, 1, v147
	v_ldexp_f64 v[2:3], v[2:3], v161
	v_xor_b32_e32 v152, v157, v7
	v_xor_b32_e32 v130, v130, v11
	v_cmp_eq_u32_e64 s18, 0, v150
	v_cmp_eq_u32_e64 s11, 0, v147
	v_fma_f64 v[10:11], v[120:121], v[70:71], 1.0
	v_fma_f64 v[6:7], v[116:117], v[98:99], 1.0
	v_and_b32_e32 v130, 0x80000000, v130
	v_cndmask_b32_e64 v43, v69, v53, s18
	v_cndmask_b32_e64 v53, v50, v38, s11
	;; [unrolled: 1-line block ×3, first 2 shown]
	v_cmp_eq_u32_e64 s11, 0, v144
	v_cndmask_b32_e64 v52, v68, v52, s18
	v_xor_b32_e32 v67, v43, v130
	v_add_f64 v[42:43], v[20:21], v[20:21]
	v_cndmask_b32_e64 v50, 0, v58, s10
	v_cndmask_b32_e64 v29, v33, v29, s11
	v_xor_b32_e32 v33, 0x80000000, v61
	v_cndmask_b32_e64 v41, v32, v28, s11
	v_cndmask_b32_e64 v32, v73, v57, s17
	v_xor_b32_e32 v57, v45, v138
	v_xor_b32_e32 v68, v29, v153
	v_cndmask_b32_e64 v29, v33, v65, s9
	v_cndmask_b32_e64 v28, 0, v40, s16
	v_xor_b32_e32 v60, v32, v142
	v_cndmask_b32_e64 v25, 0x7ff80000, v57, s14
	v_cndmask_b32_e64 v32, 0, v44, s19
	;; [unrolled: 3-line block ×3, first 2 shown]
	v_cndmask_b32_e64 v33, 0x7ff80000, v60, s19
	v_add_f64 v[44:45], v[26:27], v[26:27]
	v_xor_b32_e32 v38, 0x80000000, v47
	v_add_f64 v[58:59], v[28:29], v[28:29]
	v_cndmask_b32_e64 v40, 0, v46, s8
	v_add_f64 v[46:47], v[30:31], v[30:31]
	v_add_f64 v[48:49], v[36:37], v[36:37]
	;; [unrolled: 1-line block ×3, first 2 shown]
	v_cndmask_b32_e64 v51, v66, v62, s13
	v_add_f64 v[62:63], v[22:23], v[22:23]
	v_cmp_nlt_f64_e64 s19, s[22:23], v[4:5]
	v_add_f64 v[64:65], v[32:33], v[32:33]
	v_cndmask_b32_e64 v55, v38, v75, s5
	v_cmp_ngt_f64_e64 s5, 0xc090cc00, v[4:5]
	v_ldexp_f64 v[10:11], v[10:11], v156
	v_cmp_nlt_f64_e64 s11, 0x40900000, v[0:1]
	v_cmp_ngt_f64_e64 s12, 0xc090cc00, v[0:1]
	v_ldexp_f64 v[14:15], v[14:15], v163
	v_cmp_nlt_f64_e64 s13, 0x40900000, v[12:13]
	v_cmp_ngt_f64_e64 s14, 0xc090cc00, v[12:13]
	v_cmp_ngt_f64_e64 s16, 0xc0428000, v[8:9]
	v_cmp_nlt_f64_e64 s17, s[22:23], v[0:1]
	v_ldexp_f64 v[6:7], v[6:7], v131
	v_cmp_ngt_f64_e64 s18, 0xc0428000, v[0:1]
	v_cmp_ngt_f64_e64 s9, 0xc090cc00, v[8:9]
	v_cndmask_b32_e64 v74, 0x7ff00000, v3, s3
	v_cndmask_b32_e64 v3, v21, v43, s0
	v_cmp_ngt_f64_e64 s22, 0xc0428000, v[12:13]
	v_and_b32_e32 v152, 0x80000000, v152
	v_xor_b32_e32 v69, v54, v154
	v_xor_b32_e32 v70, v55, v149
	v_cndmask_b32_e64 v54, 0, v53, s4
	v_xor_b32_e32 v71, v35, v146
	v_xor_b32_e32 v39, v39, v152
	v_cndmask_b32_e64 v38, 0, v78, s4
	v_cndmask_b32_e64 v56, 0, v41, s8
	;; [unrolled: 1-line block ×7, first 2 shown]
	v_mul_f64 v[0:1], v[58:59], v[28:29]
	v_cndmask_b32_e64 v67, 0x7ff80000, v69, s10
	v_cndmask_b32_e32 v27, v31, v47, vcc_lo
	v_cndmask_b32_e64 v31, v37, v49, s2
	v_cndmask_b32_e64 v37, 0x7ff00000, v3, s15
	v_mul_f64 v[3:4], v[60:61], v[24:25]
	v_cndmask_b32_e64 v39, 0x7ff80000, v71, s4
	v_cndmask_b32_e64 v45, 0x7ff00000, v21, s19
	v_mul_f64 v[21:22], v[62:63], v[22:23]
	v_mul_f64 v[23:24], v[64:65], v[32:33]
	s_and_b32 s3, s5, s3
	v_cndmask_b32_e64 v9, 0, v74, s5
	v_cndmask_b32_e64 v11, 0x7ff00000, v11, s11
	v_cndmask_b32_e64 v8, 0, v2, s3
	s_and_b32 s3, s12, s11
	v_cndmask_b32_e64 v2, v20, v42, s0
	v_cndmask_b32_e64 v15, 0x7ff00000, v15, s13
	;; [unrolled: 1-line block ×4, first 2 shown]
	s_and_b32 s3, s14, s13
	v_mul_f64 v[10:11], v[8:9], v[54:55]
	v_cndmask_b32_e32 v8, v30, v46, vcc_lo
	v_cndmask_b32_e64 v43, 0x7ff00000, v27, s17
	s_and_b32 vcc_lo, s16, s15
	v_cndmask_b32_e64 v27, 0, v14, s3
	v_cndmask_b32_e64 v14, v26, v44, s1
	;; [unrolled: 1-line block ×3, first 2 shown]
	v_cndmask_b32_e32 v29, 0, v2, vcc_lo
	s_and_b32 vcc_lo, s18, s17
	v_cndmask_b32_e64 v5, 0x7ff00000, v31, s21
	v_cndmask_b32_e64 v28, 0, v15, s14
	v_cndmask_b32_e64 v15, v36, v48, s2
	v_cndmask_b32_e32 v8, 0, v8, vcc_lo
	s_and_b32 vcc_lo, s20, s19
	v_cndmask_b32_e64 v41, 0x7ff80000, v72, s8
	s_and_b32 s4, s9, s7
	v_cndmask_b32_e64 v9, 0xbff00000, v43, s18
	v_cndmask_b32_e64 v26, 0xbff00000, v45, s20
	v_cndmask_b32_e32 v25, 0, v14, vcc_lo
	s_and_b32 vcc_lo, s22, s21
	v_cndmask_b32_e64 v52, 0, v52, s6
	v_cndmask_b32_e64 v35, 0x7ff80000, v70, s6
	v_cndmask_b32_e64 v7, 0, v7, s9
	v_cndmask_b32_e64 v6, 0, v6, s4
	v_cndmask_b32_e64 v30, 0xbff00000, v37, s16
	v_cndmask_b32_e64 v51, 0x7ff80000, v73, s10
	v_cndmask_b32_e64 v32, 0xbff00000, v5, s22
	v_cndmask_b32_e32 v31, 0, v15, vcc_lo
	v_mul_f64 v[14:15], v[12:13], v[56:57]
	v_fma_f64 v[12:13], v[8:9], v[40:41], -v[0:1]
	v_mul_f64 v[0:1], v[27:28], v[66:67]
	v_fma_f64 v[8:9], v[25:26], v[38:39], -v[3:4]
	;; [unrolled: 2-line block ×3, first 2 shown]
	v_fma_f64 v[20:21], v[31:32], v[50:51], -v[23:24]
	v_add_co_u32 v2, s0, s24, v19
	s_delay_alu instid0(VALU_DEP_1)
	v_add_co_ci_u32_e64 v3, null, s25, 0, s0
	s_clause 0x3
	global_store_b128 v16, v[12:15], s[24:25]
	global_store_b128 v17, v[8:11], s[24:25]
	;; [unrolled: 1-line block ×3, first 2 shown]
	global_store_b64 v19, v[20:21], s[24:25]
	s_or_b32 exec_lo, exec_lo, s31
	s_and_saveexec_b32 s0, s30
	s_cbranch_execnz .LBB129_214
.LBB129_117:
	s_nop 0
	s_sendmsg sendmsg(MSG_DEALLOC_VGPRS)
	s_endpgm
.LBB129_118:
	v_dual_mov_b32 v1, v27 :: v_dual_mov_b32 v0, 0
.LBB129_119:
	s_and_b32 s8, s8, 3
	s_delay_alu instid0(SALU_CYCLE_1)
	s_cmp_eq_u32 s8, 0
	s_cbranch_scc1 .LBB129_122
; %bb.120:
	s_lshl_b32 s2, s7, 3
	s_mul_i32 s4, s7, 12
	s_add_u32 s2, s2, s0
	s_addc_u32 s3, s1, 0
	s_add_u32 s2, s2, 0xc4
	s_addc_u32 s3, s3, 0
	;; [unrolled: 2-line block ×3, first 2 shown]
	.p2align	6
.LBB129_121:                            ; =>This Inner Loop Header: Depth=1
	s_clause 0x1
	s_load_b64 s[36:37], s[4:5], 0x4
	s_load_b32 s7, s[4:5], 0xc
	s_load_b64 s[38:39], s[2:3], 0x0
	s_add_u32 s4, s4, 12
	s_addc_u32 s5, s5, 0
	s_add_u32 s2, s2, 8
	s_addc_u32 s3, s3, 0
	s_add_i32 s8, s8, -1
	s_delay_alu instid0(SALU_CYCLE_1) | instskip(SKIP_2) | instid1(VALU_DEP_1)
	s_cmp_lg_u32 s8, 0
	s_waitcnt lgkmcnt(0)
	v_mul_hi_u32 v2, s37, v1
	v_add_nc_u32_e32 v2, v1, v2
	s_delay_alu instid0(VALU_DEP_1) | instskip(NEXT) | instid1(VALU_DEP_1)
	v_lshrrev_b32_e32 v5, s7, v2
	v_mul_lo_u32 v2, v5, s36
	s_delay_alu instid0(VALU_DEP_1) | instskip(NEXT) | instid1(VALU_DEP_1)
	v_sub_nc_u32_e32 v1, v1, v2
	v_mad_u64_u32 v[2:3], null, v1, s38, v[4:5]
	v_mad_u64_u32 v[3:4], null, v1, s39, v[0:1]
	s_delay_alu instid0(VALU_DEP_2) | instskip(NEXT) | instid1(VALU_DEP_2)
	v_dual_mov_b32 v1, v5 :: v_dual_mov_b32 v4, v2
	v_mov_b32_e32 v0, v3
	s_cbranch_scc1 .LBB129_121
.LBB129_122:
	s_and_not1_b32 vcc_lo, exec_lo, s6
	s_cbranch_vccnz .LBB129_125
; %bb.123:
	s_waitcnt lgkmcnt(0)
	v_mul_hi_u32 v0, s21, v27
	s_and_not1_b32 vcc_lo, exec_lo, s29
	s_delay_alu instid0(VALU_DEP_1) | instskip(NEXT) | instid1(VALU_DEP_1)
	v_add_nc_u32_e32 v0, v27, v0
	v_lshrrev_b32_e32 v1, s22, v0
	s_delay_alu instid0(VALU_DEP_1) | instskip(NEXT) | instid1(VALU_DEP_1)
	v_mul_lo_u32 v0, v1, s20
	v_sub_nc_u32_e32 v0, v27, v0
	s_delay_alu instid0(VALU_DEP_1)
	v_mul_lo_u32 v4, v0, s16
	v_mul_lo_u32 v0, v0, s17
	s_cbranch_vccnz .LBB129_125
; %bb.124:
	v_mul_hi_u32 v2, s10, v1
	s_delay_alu instid0(VALU_DEP_1) | instskip(NEXT) | instid1(VALU_DEP_1)
	v_add_nc_u32_e32 v2, v1, v2
	v_lshrrev_b32_e32 v2, s11, v2
	s_delay_alu instid0(VALU_DEP_1) | instskip(NEXT) | instid1(VALU_DEP_1)
	v_mul_lo_u32 v2, v2, s23
	v_sub_nc_u32_e32 v5, v1, v2
	s_delay_alu instid0(VALU_DEP_1) | instskip(NEXT) | instid1(VALU_DEP_1)
	v_mad_u64_u32 v[1:2], null, v5, s18, v[4:5]
	v_mad_u64_u32 v[2:3], null, v5, s19, v[0:1]
	v_mov_b32_e32 v4, v1
	s_delay_alu instid0(VALU_DEP_2)
	v_mov_b32_e32 v0, v2
.LBB129_125:
	s_waitcnt lgkmcnt(0)
	global_load_b128 v[0:3], v0, s[14:15]
	s_mov_b32 s3, exec_lo
                                        ; implicit-def: $vgpr28
                                        ; implicit-def: $vgpr7_vgpr8
                                        ; implicit-def: $vgpr9_vgpr10
	s_waitcnt vmcnt(0)
	v_mul_f64 v[5:6], v[2:3], 0.5
	s_delay_alu instid0(VALU_DEP_1)
	v_cmpx_ngt_f64_e64 0x41d00000, |v[5:6]|
	s_xor_b32 s3, exec_lo, s3
	s_cbranch_execz .LBB129_127
; %bb.126:
	v_ldexp_f64 v[7:8], |v[5:6]|, 0xffffff80
	v_cmp_le_f64_e64 vcc_lo, 0x7b000000, |v[5:6]|
	v_trig_preop_f64 v[9:10], |v[5:6]|, 0
	v_and_b32_e32 v11, 0x7fffffff, v6
	v_trig_preop_f64 v[21:22], |v[5:6]|, 2
	s_mov_b32 s4, 0x54442d18
	s_mov_b32 s5, 0x3ff921fb
	;; [unrolled: 1-line block ×4, first 2 shown]
	v_mov_b32_e32 v30, 0
	v_dual_cndmask_b32 v8, v11, v8 :: v_dual_cndmask_b32 v7, v5, v7
	v_trig_preop_f64 v[11:12], |v[5:6]|, 1
	s_delay_alu instid0(VALU_DEP_2) | instskip(SKIP_1) | instid1(VALU_DEP_3)
	v_mul_f64 v[13:14], v[9:10], v[7:8]
	v_mul_f64 v[28:29], v[21:22], v[7:8]
	;; [unrolled: 1-line block ×3, first 2 shown]
	s_delay_alu instid0(VALU_DEP_3) | instskip(NEXT) | instid1(VALU_DEP_2)
	v_fma_f64 v[9:10], v[9:10], v[7:8], -v[13:14]
	v_fma_f64 v[11:12], v[11:12], v[7:8], -v[15:16]
	s_delay_alu instid0(VALU_DEP_4) | instskip(NEXT) | instid1(VALU_DEP_3)
	v_fma_f64 v[7:8], v[21:22], v[7:8], -v[28:29]
	v_add_f64 v[17:18], v[15:16], v[9:10]
	s_delay_alu instid0(VALU_DEP_1) | instskip(SKIP_1) | instid1(VALU_DEP_2)
	v_add_f64 v[19:20], v[17:18], -v[15:16]
	v_add_f64 v[25:26], v[13:14], v[17:18]
	v_add_f64 v[23:24], v[17:18], -v[19:20]
	v_add_f64 v[9:10], v[9:10], -v[19:20]
	s_delay_alu instid0(VALU_DEP_3) | instskip(SKIP_1) | instid1(VALU_DEP_4)
	v_ldexp_f64 v[19:20], v[25:26], -2
	v_add_f64 v[13:14], v[25:26], -v[13:14]
	v_add_f64 v[15:16], v[15:16], -v[23:24]
	v_add_f64 v[23:24], v[28:29], v[11:12]
	s_delay_alu instid0(VALU_DEP_4) | instskip(NEXT) | instid1(VALU_DEP_4)
	v_cmp_neq_f64_e64 vcc_lo, 0x7ff00000, |v[19:20]|
	v_add_f64 v[13:14], v[17:18], -v[13:14]
	s_delay_alu instid0(VALU_DEP_4) | instskip(SKIP_1) | instid1(VALU_DEP_2)
	v_add_f64 v[9:10], v[9:10], v[15:16]
	v_fract_f64_e32 v[15:16], v[19:20]
	v_add_f64 v[17:18], v[23:24], v[9:10]
	s_delay_alu instid0(VALU_DEP_2) | instskip(NEXT) | instid1(VALU_DEP_1)
	v_dual_cndmask_b32 v16, 0, v16 :: v_dual_cndmask_b32 v15, 0, v15
	v_ldexp_f64 v[15:16], v[15:16], 2
	s_delay_alu instid0(VALU_DEP_3) | instskip(NEXT) | instid1(VALU_DEP_1)
	v_add_f64 v[19:20], v[13:14], v[17:18]
	v_add_f64 v[25:26], v[19:20], v[15:16]
	v_add_f64 v[13:14], v[19:20], -v[13:14]
	s_delay_alu instid0(VALU_DEP_2) | instskip(SKIP_1) | instid1(VALU_DEP_3)
	v_cmp_gt_f64_e32 vcc_lo, 0, v[25:26]
	v_add_f64 v[25:26], v[23:24], -v[28:29]
	v_add_f64 v[13:14], v[17:18], -v[13:14]
	v_cndmask_b32_e64 v31, 0, 0x40100000, vcc_lo
	s_delay_alu instid0(VALU_DEP_3) | instskip(SKIP_1) | instid1(VALU_DEP_3)
	v_add_f64 v[35:36], v[23:24], -v[25:26]
	v_add_f64 v[11:12], v[11:12], -v[25:26]
	v_add_f64 v[15:16], v[15:16], v[30:31]
	v_add_f64 v[31:32], v[17:18], -v[23:24]
	s_delay_alu instid0(VALU_DEP_4) | instskip(NEXT) | instid1(VALU_DEP_3)
	v_add_f64 v[25:26], v[28:29], -v[35:36]
	v_add_f64 v[33:34], v[19:20], v[15:16]
	s_delay_alu instid0(VALU_DEP_3) | instskip(SKIP_1) | instid1(VALU_DEP_4)
	v_add_f64 v[37:38], v[17:18], -v[31:32]
	v_add_f64 v[9:10], v[9:10], -v[31:32]
	v_add_f64 v[11:12], v[11:12], v[25:26]
	s_delay_alu instid0(VALU_DEP_4) | instskip(NEXT) | instid1(VALU_DEP_4)
	v_cvt_i32_f64_e32 v33, v[33:34]
	v_add_f64 v[23:24], v[23:24], -v[37:38]
	s_delay_alu instid0(VALU_DEP_2) | instskip(NEXT) | instid1(VALU_DEP_2)
	v_cvt_f64_i32_e32 v[31:32], v33
	v_add_f64 v[9:10], v[9:10], v[23:24]
	s_delay_alu instid0(VALU_DEP_2) | instskip(NEXT) | instid1(VALU_DEP_2)
	v_add_f64 v[15:16], v[15:16], -v[31:32]
	v_add_f64 v[9:10], v[11:12], v[9:10]
	s_delay_alu instid0(VALU_DEP_2) | instskip(NEXT) | instid1(VALU_DEP_2)
	v_add_f64 v[11:12], v[19:20], v[15:16]
	v_add_f64 v[7:8], v[7:8], v[9:10]
	s_delay_alu instid0(VALU_DEP_2) | instskip(SKIP_1) | instid1(VALU_DEP_3)
	v_add_f64 v[9:10], v[11:12], -v[15:16]
	v_cmp_le_f64_e32 vcc_lo, 0.5, v[11:12]
	v_add_f64 v[7:8], v[13:14], v[7:8]
	s_delay_alu instid0(VALU_DEP_3) | instskip(SKIP_2) | instid1(VALU_DEP_3)
	v_add_f64 v[9:10], v[19:20], -v[9:10]
	v_cndmask_b32_e64 v31, 0, 0x3ff00000, vcc_lo
	v_add_co_ci_u32_e64 v28, s2, 0, v33, vcc_lo
	v_add_f64 v[7:8], v[7:8], v[9:10]
	s_delay_alu instid0(VALU_DEP_3) | instskip(NEXT) | instid1(VALU_DEP_1)
	v_add_f64 v[9:10], v[11:12], -v[30:31]
	v_add_f64 v[11:12], v[9:10], v[7:8]
	s_delay_alu instid0(VALU_DEP_1) | instskip(SKIP_1) | instid1(VALU_DEP_2)
	v_mul_f64 v[13:14], v[11:12], s[4:5]
	v_add_f64 v[9:10], v[11:12], -v[9:10]
	v_fma_f64 v[15:16], v[11:12], s[4:5], -v[13:14]
	s_delay_alu instid0(VALU_DEP_2) | instskip(NEXT) | instid1(VALU_DEP_2)
	v_add_f64 v[7:8], v[7:8], -v[9:10]
	v_fma_f64 v[9:10], v[11:12], s[6:7], v[15:16]
	s_delay_alu instid0(VALU_DEP_1) | instskip(NEXT) | instid1(VALU_DEP_1)
	v_fma_f64 v[9:10], v[7:8], s[4:5], v[9:10]
	v_add_f64 v[7:8], v[13:14], v[9:10]
	s_delay_alu instid0(VALU_DEP_1) | instskip(NEXT) | instid1(VALU_DEP_1)
	v_add_f64 v[11:12], v[7:8], -v[13:14]
	v_add_f64 v[9:10], v[9:10], -v[11:12]
.LBB129_127:
	s_and_not1_saveexec_b32 s2, s3
	s_cbranch_execz .LBB129_129
; %bb.128:
	s_mov_b32 s4, 0x6dc9c883
	s_mov_b32 s5, 0x3fe45f30
	;; [unrolled: 1-line block ×3, first 2 shown]
	v_mul_f64 v[7:8], |v[5:6]|, s[4:5]
	s_mov_b32 s4, 0x54442d18
	s_mov_b32 s5, 0xbff921fb
	;; [unrolled: 1-line block ×3, first 2 shown]
	s_delay_alu instid0(VALU_DEP_1) | instskip(NEXT) | instid1(VALU_DEP_1)
	v_rndne_f64_e32 v[11:12], v[7:8]
	v_fma_f64 v[7:8], v[11:12], s[4:5], |v[5:6]|
	v_mul_f64 v[9:10], v[11:12], s[6:7]
	s_mov_b32 s4, 0x252049c0
	s_mov_b32 s5, 0xb97b839a
	v_cvt_i32_f64_e32 v28, v[11:12]
	s_delay_alu instid0(VALU_DEP_3) | instskip(NEXT) | instid1(VALU_DEP_3)
	v_fma_f64 v[15:16], v[11:12], s[6:7], v[7:8]
	v_add_f64 v[13:14], v[7:8], v[9:10]
	s_mov_b32 s7, 0x3c91a626
	s_delay_alu instid0(VALU_DEP_1) | instskip(NEXT) | instid1(VALU_DEP_3)
	v_add_f64 v[7:8], v[7:8], -v[13:14]
	v_add_f64 v[13:14], v[13:14], -v[15:16]
	s_delay_alu instid0(VALU_DEP_2) | instskip(SKIP_1) | instid1(VALU_DEP_2)
	v_add_f64 v[7:8], v[7:8], v[9:10]
	v_fma_f64 v[9:10], v[11:12], s[6:7], v[9:10]
	v_add_f64 v[7:8], v[13:14], v[7:8]
	s_delay_alu instid0(VALU_DEP_1) | instskip(NEXT) | instid1(VALU_DEP_1)
	v_add_f64 v[7:8], v[7:8], -v[9:10]
	v_fma_f64 v[9:10], v[11:12], s[4:5], v[7:8]
	s_delay_alu instid0(VALU_DEP_1) | instskip(NEXT) | instid1(VALU_DEP_1)
	v_add_f64 v[7:8], v[15:16], v[9:10]
	v_add_f64 v[13:14], v[7:8], -v[15:16]
	s_delay_alu instid0(VALU_DEP_1)
	v_add_f64 v[9:10], v[9:10], -v[13:14]
.LBB129_129:
	s_or_b32 exec_lo, exec_lo, s2
	v_cmp_ngt_f64_e64 s3, 0x41d00000, |v[2:3]|
	v_trig_preop_f64 v[23:24], |v[2:3]|, 0
	v_trig_preop_f64 v[21:22], |v[2:3]|, 1
	v_ldexp_f64 v[25:26], |v[2:3]|, 0xffffff80
	v_trig_preop_f64 v[19:20], |v[2:3]|, 2
	v_and_b32_e32 v31, 0x7fffffff, v3
                                        ; implicit-def: $vgpr29
                                        ; implicit-def: $vgpr11_vgpr12
                                        ; implicit-def: $vgpr13_vgpr14
	s_and_saveexec_b32 s2, s3
	s_delay_alu instid0(SALU_CYCLE_1)
	s_xor_b32 s4, exec_lo, s2
	s_cbranch_execz .LBB129_131
; %bb.130:
	v_cmp_le_f64_e64 vcc_lo, 0x7b000000, |v[2:3]|
	v_mov_b32_e32 v42, 0
	s_mov_b32 s6, 0x54442d18
	s_mov_b32 s7, 0x3ff921fb
	;; [unrolled: 1-line block ×4, first 2 shown]
	v_dual_cndmask_b32 v12, v31, v26 :: v_dual_cndmask_b32 v11, v2, v25
	s_delay_alu instid0(VALU_DEP_1) | instskip(SKIP_2) | instid1(VALU_DEP_3)
	v_mul_f64 v[13:14], v[23:24], v[11:12]
	v_mul_f64 v[15:16], v[21:22], v[11:12]
	;; [unrolled: 1-line block ×3, first 2 shown]
	v_fma_f64 v[17:18], v[23:24], v[11:12], -v[13:14]
	s_delay_alu instid0(VALU_DEP_3) | instskip(NEXT) | instid1(VALU_DEP_3)
	v_fma_f64 v[40:41], v[21:22], v[11:12], -v[15:16]
	v_fma_f64 v[11:12], v[19:20], v[11:12], -v[38:39]
	s_delay_alu instid0(VALU_DEP_3) | instskip(NEXT) | instid1(VALU_DEP_1)
	v_add_f64 v[29:30], v[15:16], v[17:18]
	v_add_f64 v[32:33], v[29:30], -v[15:16]
	v_add_f64 v[36:37], v[13:14], v[29:30]
	s_delay_alu instid0(VALU_DEP_2) | instskip(SKIP_1) | instid1(VALU_DEP_3)
	v_add_f64 v[34:35], v[29:30], -v[32:33]
	v_add_f64 v[17:18], v[17:18], -v[32:33]
	v_ldexp_f64 v[32:33], v[36:37], -2
	v_add_f64 v[13:14], v[36:37], -v[13:14]
	s_delay_alu instid0(VALU_DEP_4) | instskip(SKIP_1) | instid1(VALU_DEP_4)
	v_add_f64 v[15:16], v[15:16], -v[34:35]
	v_add_f64 v[34:35], v[38:39], v[40:41]
	v_cmp_neq_f64_e64 vcc_lo, 0x7ff00000, |v[32:33]|
	s_delay_alu instid0(VALU_DEP_4) | instskip(NEXT) | instid1(VALU_DEP_4)
	v_add_f64 v[13:14], v[29:30], -v[13:14]
	v_add_f64 v[15:16], v[17:18], v[15:16]
	v_fract_f64_e32 v[17:18], v[32:33]
	s_delay_alu instid0(VALU_DEP_2) | instskip(NEXT) | instid1(VALU_DEP_2)
	v_add_f64 v[29:30], v[34:35], v[15:16]
	v_dual_cndmask_b32 v18, 0, v18 :: v_dual_cndmask_b32 v17, 0, v17
	s_delay_alu instid0(VALU_DEP_1) | instskip(NEXT) | instid1(VALU_DEP_3)
	v_ldexp_f64 v[17:18], v[17:18], 2
	v_add_f64 v[32:33], v[13:14], v[29:30]
	s_delay_alu instid0(VALU_DEP_1) | instskip(SKIP_1) | instid1(VALU_DEP_2)
	v_add_f64 v[36:37], v[32:33], v[17:18]
	v_add_f64 v[13:14], v[32:33], -v[13:14]
	v_cmp_gt_f64_e32 vcc_lo, 0, v[36:37]
	v_add_f64 v[36:37], v[34:35], -v[38:39]
	s_delay_alu instid0(VALU_DEP_3) | instskip(SKIP_1) | instid1(VALU_DEP_3)
	v_add_f64 v[13:14], v[29:30], -v[13:14]
	v_cndmask_b32_e64 v43, 0, 0x40100000, vcc_lo
	v_add_f64 v[47:48], v[34:35], -v[36:37]
	v_add_f64 v[36:37], v[40:41], -v[36:37]
	s_delay_alu instid0(VALU_DEP_3) | instskip(SKIP_1) | instid1(VALU_DEP_4)
	v_add_f64 v[17:18], v[17:18], v[42:43]
	v_add_f64 v[43:44], v[29:30], -v[34:35]
	v_add_f64 v[40:41], v[38:39], -v[47:48]
	s_delay_alu instid0(VALU_DEP_3) | instskip(NEXT) | instid1(VALU_DEP_3)
	v_add_f64 v[45:46], v[32:33], v[17:18]
	v_add_f64 v[49:50], v[29:30], -v[43:44]
	v_add_f64 v[15:16], v[15:16], -v[43:44]
	s_delay_alu instid0(VALU_DEP_4) | instskip(NEXT) | instid1(VALU_DEP_4)
	v_add_f64 v[36:37], v[36:37], v[40:41]
	v_cvt_i32_f64_e32 v45, v[45:46]
	s_delay_alu instid0(VALU_DEP_4) | instskip(NEXT) | instid1(VALU_DEP_2)
	v_add_f64 v[34:35], v[34:35], -v[49:50]
	v_cvt_f64_i32_e32 v[43:44], v45
	s_delay_alu instid0(VALU_DEP_2) | instskip(NEXT) | instid1(VALU_DEP_2)
	v_add_f64 v[15:16], v[15:16], v[34:35]
	v_add_f64 v[17:18], v[17:18], -v[43:44]
	s_delay_alu instid0(VALU_DEP_2) | instskip(NEXT) | instid1(VALU_DEP_2)
	v_add_f64 v[15:16], v[36:37], v[15:16]
	v_add_f64 v[34:35], v[32:33], v[17:18]
	s_delay_alu instid0(VALU_DEP_2) | instskip(NEXT) | instid1(VALU_DEP_2)
	v_add_f64 v[11:12], v[11:12], v[15:16]
	v_add_f64 v[15:16], v[34:35], -v[17:18]
	v_cmp_le_f64_e32 vcc_lo, 0.5, v[34:35]
	s_delay_alu instid0(VALU_DEP_3) | instskip(NEXT) | instid1(VALU_DEP_3)
	v_add_f64 v[11:12], v[13:14], v[11:12]
	v_add_f64 v[13:14], v[32:33], -v[15:16]
	v_cndmask_b32_e64 v43, 0, 0x3ff00000, vcc_lo
	v_add_co_ci_u32_e64 v29, s2, 0, v45, vcc_lo
	s_delay_alu instid0(VALU_DEP_3) | instskip(NEXT) | instid1(VALU_DEP_3)
	v_add_f64 v[11:12], v[11:12], v[13:14]
	v_add_f64 v[13:14], v[34:35], -v[42:43]
	s_delay_alu instid0(VALU_DEP_1) | instskip(NEXT) | instid1(VALU_DEP_1)
	v_add_f64 v[15:16], v[13:14], v[11:12]
	v_mul_f64 v[17:18], v[15:16], s[6:7]
	v_add_f64 v[13:14], v[15:16], -v[13:14]
	s_delay_alu instid0(VALU_DEP_2) | instskip(NEXT) | instid1(VALU_DEP_2)
	v_fma_f64 v[32:33], v[15:16], s[6:7], -v[17:18]
	v_add_f64 v[11:12], v[11:12], -v[13:14]
	s_delay_alu instid0(VALU_DEP_2) | instskip(NEXT) | instid1(VALU_DEP_1)
	v_fma_f64 v[13:14], v[15:16], s[36:37], v[32:33]
	v_fma_f64 v[13:14], v[11:12], s[6:7], v[13:14]
	s_delay_alu instid0(VALU_DEP_1) | instskip(NEXT) | instid1(VALU_DEP_1)
	v_add_f64 v[11:12], v[17:18], v[13:14]
	v_add_f64 v[15:16], v[11:12], -v[17:18]
	s_delay_alu instid0(VALU_DEP_1)
	v_add_f64 v[13:14], v[13:14], -v[15:16]
	s_and_not1_saveexec_b32 s2, s4
	s_cbranch_execz .LBB129_133
	s_branch .LBB129_132
.LBB129_131:
	s_and_not1_saveexec_b32 s2, s4
	s_cbranch_execz .LBB129_133
.LBB129_132:
	s_mov_b32 s4, 0x6dc9c883
	s_mov_b32 s5, 0x3fe45f30
	;; [unrolled: 1-line block ×3, first 2 shown]
	v_mul_f64 v[11:12], |v[2:3]|, s[4:5]
	s_mov_b32 s4, 0x54442d18
	s_mov_b32 s5, 0xbff921fb
	;; [unrolled: 1-line block ×3, first 2 shown]
	s_delay_alu instid0(VALU_DEP_1) | instskip(NEXT) | instid1(VALU_DEP_1)
	v_rndne_f64_e32 v[15:16], v[11:12]
	v_fma_f64 v[11:12], v[15:16], s[4:5], |v[2:3]|
	v_mul_f64 v[13:14], v[15:16], s[6:7]
	s_mov_b32 s4, 0x252049c0
	s_mov_b32 s5, 0xb97b839a
	s_delay_alu instid0(VALU_DEP_2) | instskip(NEXT) | instid1(VALU_DEP_2)
	v_fma_f64 v[29:30], v[15:16], s[6:7], v[11:12]
	v_add_f64 v[17:18], v[11:12], v[13:14]
	s_mov_b32 s7, 0x3c91a626
	s_delay_alu instid0(VALU_DEP_1) | instskip(NEXT) | instid1(VALU_DEP_3)
	v_add_f64 v[11:12], v[11:12], -v[17:18]
	v_add_f64 v[17:18], v[17:18], -v[29:30]
	s_delay_alu instid0(VALU_DEP_2) | instskip(SKIP_1) | instid1(VALU_DEP_2)
	v_add_f64 v[11:12], v[11:12], v[13:14]
	v_fma_f64 v[13:14], v[15:16], s[6:7], v[13:14]
	v_add_f64 v[11:12], v[17:18], v[11:12]
	s_delay_alu instid0(VALU_DEP_1) | instskip(NEXT) | instid1(VALU_DEP_1)
	v_add_f64 v[11:12], v[11:12], -v[13:14]
	v_fma_f64 v[13:14], v[15:16], s[4:5], v[11:12]
	s_delay_alu instid0(VALU_DEP_1) | instskip(NEXT) | instid1(VALU_DEP_1)
	v_add_f64 v[11:12], v[29:30], v[13:14]
	v_add_f64 v[17:18], v[11:12], -v[29:30]
	v_cvt_i32_f64_e32 v29, v[15:16]
	s_delay_alu instid0(VALU_DEP_2)
	v_add_f64 v[13:14], v[13:14], -v[17:18]
.LBB129_133:
	s_or_b32 exec_lo, exec_lo, s2
                                        ; implicit-def: $vgpr30
                                        ; implicit-def: $vgpr15_vgpr16
                                        ; implicit-def: $vgpr17_vgpr18
	s_and_saveexec_b32 s2, s3
	s_delay_alu instid0(SALU_CYCLE_1)
	s_xor_b32 s3, exec_lo, s2
	s_cbranch_execz .LBB129_135
; %bb.134:
	v_cmp_le_f64_e64 vcc_lo, 0x7b000000, |v[2:3]|
	v_mov_b32_e32 v40, 0
	s_mov_b32 s4, 0x54442d18
	s_mov_b32 s5, 0x3ff921fb
	s_mov_b32 s6, 0x33145c07
	s_mov_b32 s7, 0x3c91a626
	v_dual_cndmask_b32 v16, v31, v26 :: v_dual_cndmask_b32 v15, v2, v25
	s_delay_alu instid0(VALU_DEP_1) | instskip(SKIP_2) | instid1(VALU_DEP_3)
	v_mul_f64 v[17:18], v[23:24], v[15:16]
	v_mul_f64 v[25:26], v[21:22], v[15:16]
	;; [unrolled: 1-line block ×3, first 2 shown]
	v_fma_f64 v[23:24], v[23:24], v[15:16], -v[17:18]
	s_delay_alu instid0(VALU_DEP_3) | instskip(NEXT) | instid1(VALU_DEP_3)
	v_fma_f64 v[21:22], v[21:22], v[15:16], -v[25:26]
	v_fma_f64 v[15:16], v[19:20], v[15:16], -v[38:39]
	s_delay_alu instid0(VALU_DEP_3) | instskip(NEXT) | instid1(VALU_DEP_1)
	v_add_f64 v[30:31], v[25:26], v[23:24]
	v_add_f64 v[32:33], v[30:31], -v[25:26]
	v_add_f64 v[36:37], v[17:18], v[30:31]
	s_delay_alu instid0(VALU_DEP_2) | instskip(SKIP_1) | instid1(VALU_DEP_3)
	v_add_f64 v[34:35], v[30:31], -v[32:33]
	v_add_f64 v[23:24], v[23:24], -v[32:33]
	v_ldexp_f64 v[32:33], v[36:37], -2
	v_add_f64 v[17:18], v[36:37], -v[17:18]
	s_delay_alu instid0(VALU_DEP_4) | instskip(SKIP_1) | instid1(VALU_DEP_4)
	v_add_f64 v[25:26], v[25:26], -v[34:35]
	v_add_f64 v[34:35], v[38:39], v[21:22]
	v_cmp_neq_f64_e64 vcc_lo, 0x7ff00000, |v[32:33]|
	s_delay_alu instid0(VALU_DEP_4) | instskip(NEXT) | instid1(VALU_DEP_4)
	v_add_f64 v[17:18], v[30:31], -v[17:18]
	v_add_f64 v[23:24], v[23:24], v[25:26]
	v_fract_f64_e32 v[25:26], v[32:33]
	s_delay_alu instid0(VALU_DEP_2) | instskip(NEXT) | instid1(VALU_DEP_2)
	v_add_f64 v[30:31], v[34:35], v[23:24]
	v_dual_cndmask_b32 v26, 0, v26 :: v_dual_cndmask_b32 v25, 0, v25
	s_delay_alu instid0(VALU_DEP_1) | instskip(NEXT) | instid1(VALU_DEP_3)
	v_ldexp_f64 v[25:26], v[25:26], 2
	v_add_f64 v[32:33], v[17:18], v[30:31]
	s_delay_alu instid0(VALU_DEP_1) | instskip(SKIP_1) | instid1(VALU_DEP_2)
	v_add_f64 v[36:37], v[32:33], v[25:26]
	v_add_f64 v[17:18], v[32:33], -v[17:18]
	v_cmp_gt_f64_e32 vcc_lo, 0, v[36:37]
	v_add_f64 v[36:37], v[34:35], -v[38:39]
	s_delay_alu instid0(VALU_DEP_3) | instskip(SKIP_1) | instid1(VALU_DEP_3)
	v_add_f64 v[17:18], v[30:31], -v[17:18]
	v_cndmask_b32_e64 v41, 0, 0x40100000, vcc_lo
	v_add_f64 v[45:46], v[34:35], -v[36:37]
	v_add_f64 v[21:22], v[21:22], -v[36:37]
	s_delay_alu instid0(VALU_DEP_3) | instskip(SKIP_1) | instid1(VALU_DEP_4)
	v_add_f64 v[25:26], v[25:26], v[40:41]
	v_add_f64 v[41:42], v[30:31], -v[34:35]
	v_add_f64 v[36:37], v[38:39], -v[45:46]
	s_delay_alu instid0(VALU_DEP_3) | instskip(NEXT) | instid1(VALU_DEP_3)
	v_add_f64 v[43:44], v[32:33], v[25:26]
	v_add_f64 v[47:48], v[30:31], -v[41:42]
	v_add_f64 v[23:24], v[23:24], -v[41:42]
	s_delay_alu instid0(VALU_DEP_4) | instskip(NEXT) | instid1(VALU_DEP_4)
	v_add_f64 v[21:22], v[21:22], v[36:37]
	v_cvt_i32_f64_e32 v43, v[43:44]
	s_delay_alu instid0(VALU_DEP_4) | instskip(NEXT) | instid1(VALU_DEP_2)
	v_add_f64 v[34:35], v[34:35], -v[47:48]
	v_cvt_f64_i32_e32 v[41:42], v43
	s_delay_alu instid0(VALU_DEP_2) | instskip(NEXT) | instid1(VALU_DEP_2)
	v_add_f64 v[23:24], v[23:24], v[34:35]
	v_add_f64 v[25:26], v[25:26], -v[41:42]
	s_delay_alu instid0(VALU_DEP_2) | instskip(NEXT) | instid1(VALU_DEP_2)
	v_add_f64 v[19:20], v[21:22], v[23:24]
	v_add_f64 v[21:22], v[32:33], v[25:26]
	s_delay_alu instid0(VALU_DEP_2) | instskip(NEXT) | instid1(VALU_DEP_2)
	v_add_f64 v[15:16], v[15:16], v[19:20]
	v_add_f64 v[19:20], v[21:22], -v[25:26]
	v_cmp_le_f64_e32 vcc_lo, 0.5, v[21:22]
	s_delay_alu instid0(VALU_DEP_3) | instskip(NEXT) | instid1(VALU_DEP_3)
	v_add_f64 v[15:16], v[17:18], v[15:16]
	v_add_f64 v[17:18], v[32:33], -v[19:20]
	v_cndmask_b32_e64 v41, 0, 0x3ff00000, vcc_lo
	v_add_co_ci_u32_e64 v30, s2, 0, v43, vcc_lo
	s_delay_alu instid0(VALU_DEP_3) | instskip(NEXT) | instid1(VALU_DEP_3)
	v_add_f64 v[15:16], v[15:16], v[17:18]
	v_add_f64 v[17:18], v[21:22], -v[40:41]
	s_delay_alu instid0(VALU_DEP_1) | instskip(NEXT) | instid1(VALU_DEP_1)
	v_add_f64 v[19:20], v[17:18], v[15:16]
	v_mul_f64 v[21:22], v[19:20], s[4:5]
	v_add_f64 v[17:18], v[19:20], -v[17:18]
	s_delay_alu instid0(VALU_DEP_2) | instskip(NEXT) | instid1(VALU_DEP_2)
	v_fma_f64 v[23:24], v[19:20], s[4:5], -v[21:22]
	v_add_f64 v[15:16], v[15:16], -v[17:18]
	s_delay_alu instid0(VALU_DEP_2) | instskip(NEXT) | instid1(VALU_DEP_1)
	v_fma_f64 v[17:18], v[19:20], s[6:7], v[23:24]
	v_fma_f64 v[17:18], v[15:16], s[4:5], v[17:18]
	s_delay_alu instid0(VALU_DEP_1) | instskip(NEXT) | instid1(VALU_DEP_1)
	v_add_f64 v[15:16], v[21:22], v[17:18]
	v_add_f64 v[19:20], v[15:16], -v[21:22]
	s_delay_alu instid0(VALU_DEP_1)
	v_add_f64 v[17:18], v[17:18], -v[19:20]
	s_and_not1_saveexec_b32 s2, s3
	s_cbranch_execnz .LBB129_136
	s_branch .LBB129_137
.LBB129_135:
	s_and_not1_saveexec_b32 s2, s3
	s_cbranch_execz .LBB129_137
.LBB129_136:
	s_mov_b32 s4, 0x6dc9c883
	s_mov_b32 s5, 0x3fe45f30
	;; [unrolled: 1-line block ×3, first 2 shown]
	v_mul_f64 v[15:16], |v[2:3]|, s[4:5]
	s_mov_b32 s4, 0x54442d18
	s_mov_b32 s5, 0xbff921fb
	;; [unrolled: 1-line block ×3, first 2 shown]
	s_delay_alu instid0(VALU_DEP_1) | instskip(NEXT) | instid1(VALU_DEP_1)
	v_rndne_f64_e32 v[19:20], v[15:16]
	v_fma_f64 v[15:16], v[19:20], s[4:5], |v[2:3]|
	v_mul_f64 v[17:18], v[19:20], s[6:7]
	s_mov_b32 s4, 0x252049c0
	s_mov_b32 s5, 0xb97b839a
	v_cvt_i32_f64_e32 v30, v[19:20]
	s_delay_alu instid0(VALU_DEP_3) | instskip(NEXT) | instid1(VALU_DEP_3)
	v_fma_f64 v[23:24], v[19:20], s[6:7], v[15:16]
	v_add_f64 v[21:22], v[15:16], v[17:18]
	s_mov_b32 s7, 0x3c91a626
	s_delay_alu instid0(VALU_DEP_1) | instskip(NEXT) | instid1(VALU_DEP_3)
	v_add_f64 v[15:16], v[15:16], -v[21:22]
	v_add_f64 v[21:22], v[21:22], -v[23:24]
	s_delay_alu instid0(VALU_DEP_2) | instskip(SKIP_1) | instid1(VALU_DEP_2)
	v_add_f64 v[15:16], v[15:16], v[17:18]
	v_fma_f64 v[17:18], v[19:20], s[6:7], v[17:18]
	v_add_f64 v[15:16], v[21:22], v[15:16]
	s_delay_alu instid0(VALU_DEP_1) | instskip(NEXT) | instid1(VALU_DEP_1)
	v_add_f64 v[15:16], v[15:16], -v[17:18]
	v_fma_f64 v[17:18], v[19:20], s[4:5], v[15:16]
	s_delay_alu instid0(VALU_DEP_1) | instskip(NEXT) | instid1(VALU_DEP_1)
	v_add_f64 v[15:16], v[23:24], v[17:18]
	v_add_f64 v[21:22], v[15:16], -v[23:24]
	s_delay_alu instid0(VALU_DEP_1)
	v_add_f64 v[17:18], v[17:18], -v[21:22]
.LBB129_137:
	s_or_b32 exec_lo, exec_lo, s2
	s_mov_b32 s2, 0x652b82fe
	s_mov_b32 s3, 0x3ff71547
	;; [unrolled: 1-line block ×3, first 2 shown]
	v_mul_f64 v[19:20], v[0:1], s[2:3]
	s_mov_b32 s4, 0xfefa39ef
	s_mov_b32 s2, 0x3b39803f
	;; [unrolled: 1-line block ×5, first 2 shown]
	v_mul_f64 v[31:32], v[7:8], v[7:8]
	s_mov_b32 s36, 0xf9a43bb8
	s_mov_b32 s37, 0x3de5e0b2
	v_mul_f64 v[35:36], v[11:12], v[11:12]
	s_mov_b32 s39, 0x3f56c16c
	s_mov_b32 s38, 0x1852b7b0
	;; [unrolled: 1-line block ×6, first 2 shown]
	v_mul_f64 v[41:42], v[15:16], v[15:16]
	s_mov_b32 s45, 0x3f811111
	s_mov_b32 s44, 0x11122322
	;; [unrolled: 1-line block ×8, first 2 shown]
	v_mul_f64 v[53:54], v[9:10], 0.5
	v_add_nc_u32_e32 v27, 0x80, v27
	v_rndne_f64_e32 v[19:20], v[19:20]
	v_mul_f64 v[37:38], v[31:32], 0.5
	v_mul_f64 v[55:56], v[7:8], -v[31:32]
	v_mul_f64 v[69:70], v[31:32], v[31:32]
	v_mul_f64 v[49:50], v[35:36], 0.5
	v_mul_f64 v[65:66], v[11:12], -v[35:36]
	v_mul_f64 v[59:60], v[41:42], 0.5
	v_fma_f64 v[21:22], v[19:20], s[4:5], v[0:1]
	v_cvt_i32_f64_e32 v73, v[19:20]
	v_cmp_eq_f64_e32 vcc_lo, 0x40900000, v[19:20]
	s_mov_b32 s5, 0x40862e42
	s_delay_alu instid0(SALU_CYCLE_1)
	v_cmp_nlt_f64_e64 s4, s[4:5], v[0:1]
	v_add_f64 v[45:46], -v[37:38], 1.0
	v_cmp_ngt_f64_e64 s5, 0xc0428000, v[0:1]
	v_add_f64 v[63:64], -v[49:50], 1.0
	v_fma_f64 v[21:22], v[19:20], s[2:3], v[21:22]
	s_mov_b32 s2, 0x2a1b768b
	s_mov_b32 s3, 0x3e5af4eb
	v_cndmask_b32_e64 v74, v73, 0x3ff, vcc_lo
	v_add_f64 v[57:58], -v[45:46], 1.0
	s_delay_alu instid0(VALU_DEP_4) | instskip(NEXT) | instid1(VALU_DEP_4)
	v_add_f64 v[67:68], -v[63:64], 1.0
	v_fma_f64 v[23:24], v[21:22], s[6:7], s[2:3]
	s_mov_b32 s2, 0xfca7ab0c
	s_mov_b32 s6, 0x6a5dcb37
	;; [unrolled: 1-line block ×4, first 2 shown]
	s_delay_alu instid0(SALU_CYCLE_1) | instskip(SKIP_4) | instid1(VALU_DEP_4)
	v_fma_f64 v[25:26], v[21:22], s[6:7], s[2:3]
	s_mov_b32 s2, 0xe0ac05b
	s_mov_b32 s3, 0x3e927e50
	;; [unrolled: 1-line block ×4, first 2 shown]
	v_add_f64 v[37:38], v[57:58], -v[37:38]
	s_delay_alu instid0(VALU_DEP_4) | instskip(NEXT) | instid1(VALU_DEP_4)
	v_add_f64 v[19:20], v[67:68], -v[49:50]
	v_fma_f64 v[23:24], v[21:22], v[23:24], s[2:3]
	s_mov_b32 s2, 0x623fde64
	s_mov_b32 s3, 0x3ec71dee
	s_delay_alu instid0(VALU_DEP_4) | instid1(SALU_CYCLE_1)
	v_fma_f64 v[25:26], v[21:22], v[25:26], s[2:3]
	s_mov_b32 s2, 0x1b889c29
	s_mov_b32 s3, 0x3ec71de0
	s_delay_alu instid0(VALU_DEP_4) | instskip(NEXT) | instid1(VALU_DEP_4)
	v_fma_f64 v[37:38], v[7:8], -v[9:10], v[37:38]
	v_fma_f64 v[19:20], v[11:12], -v[13:14], v[19:20]
	s_delay_alu instid0(VALU_DEP_4) | instskip(SKIP_2) | instid1(VALU_DEP_4)
	v_fma_f64 v[23:24], v[21:22], v[23:24], s[2:3]
	s_mov_b32 s3, 0x3efa01a0
	s_mov_b32 s2, 0x197bcfd8
	v_fma_f64 v[25:26], v[21:22], v[25:26], s[6:7]
	s_mov_b32 s7, 0x3f2a01a0
	s_mov_b32 s6, 0x14761f6e
	s_delay_alu instid0(VALU_DEP_2) | instskip(SKIP_1) | instid1(VALU_DEP_2)
	v_fma_f64 v[23:24], v[21:22], v[23:24], s[2:3]
	s_mov_b32 s2, 0x19f4ec90
	v_fma_f64 v[25:26], v[21:22], v[25:26], s[6:7]
	s_mov_b32 s6, 0x1ac1a723
	s_delay_alu instid0(VALU_DEP_2) | instid1(SALU_CYCLE_1)
	v_fma_f64 v[23:24], v[21:22], v[23:24], s[6:7]
	s_mov_b32 s6, 0xb42fdfa7
	s_mov_b32 s7, 0xbe5ae600
	s_delay_alu instid0(SALU_CYCLE_1) | instskip(SKIP_1) | instid1(VALU_DEP_4)
	v_fma_f64 v[33:34], v[31:32], s[36:37], s[6:7]
	v_fma_f64 v[43:44], v[35:36], s[36:37], s[6:7]
	;; [unrolled: 1-line block ×3, first 2 shown]
	s_mov_b32 s38, 0x16c18931
	v_fma_f64 v[47:48], v[41:42], s[36:37], s[6:7]
	s_mov_b32 s7, 0x3fc55555
	s_mov_b32 s6, 0x55555511
	;; [unrolled: 1-line block ×3, first 2 shown]
	v_fma_f64 v[23:24], v[21:22], v[23:24], s[38:39]
	s_mov_b32 s38, 0x9037ab78
	s_mov_b32 s39, 0x3e21eeb6
	s_delay_alu instid0(SALU_CYCLE_1)
	v_fma_f64 v[39:40], v[31:32], s[40:41], s[38:39]
	v_fma_f64 v[33:34], v[31:32], v[33:34], s[42:43]
	;; [unrolled: 1-line block ×3, first 2 shown]
	s_mov_b32 s44, 0x11110056
	v_fma_f64 v[43:44], v[35:36], v[43:44], s[42:43]
	v_fma_f64 v[51:52], v[35:36], s[40:41], s[38:39]
	;; [unrolled: 1-line block ×5, first 2 shown]
	s_mov_b32 s44, 0x11110bb3
	v_fma_f64 v[39:40], v[31:32], v[39:40], s[46:47]
	v_fma_f64 v[33:34], v[31:32], v[33:34], s[48:49]
	;; [unrolled: 1-line block ×3, first 2 shown]
	s_mov_b32 s50, 0x55555552
	v_fma_f64 v[43:44], v[35:36], v[43:44], s[48:49]
	v_fma_f64 v[51:52], v[35:36], v[51:52], s[46:47]
	v_fma_f64 v[57:58], v[41:42], v[61:62], s[46:47]
	v_fma_f64 v[47:48], v[41:42], v[47:48], s[48:49]
	v_mul_f64 v[61:62], v[13:14], 0.5
	v_fma_f64 v[23:24], v[21:22], v[23:24], s[50:51]
	s_mov_b32 s50, 0x55555555
	s_delay_alu instid0(SALU_CYCLE_1)
	s_mov_b32 s36, s50
	v_fma_f64 v[39:40], v[31:32], v[39:40], s[2:3]
	v_fma_f64 v[33:34], v[31:32], v[33:34], s[44:45]
	;; [unrolled: 1-line block ×3, first 2 shown]
	s_mov_b32 s6, 0x55555557
	v_fma_f64 v[43:44], v[35:36], v[43:44], s[44:45]
	v_fma_f64 v[51:52], v[35:36], v[51:52], s[2:3]
	;; [unrolled: 1-line block ×4, first 2 shown]
	s_mov_b32 s2, 11
	s_mov_b32 s3, 0x3fe00000
	v_fma_f64 v[23:24], v[21:22], v[23:24], s[6:7]
	s_mov_b32 s6, 0x16c16967
	s_mov_b32 s7, 0xbf56c16c
	s_delay_alu instid0(SALU_CYCLE_1)
	v_fma_f64 v[39:40], v[31:32], v[39:40], s[6:7]
	v_fma_f64 v[33:34], v[55:56], v[33:34], v[53:54]
	v_add_f64 v[53:54], -v[59:60], 1.0
	v_fma_f64 v[25:26], v[21:22], v[25:26], s[2:3]
	v_fma_f64 v[43:44], v[65:66], v[43:44], v[61:62]
	;; [unrolled: 1-line block ×3, first 2 shown]
	v_ldexp_f64 v[51:52], 1.0, v74
	v_cmp_class_f64_e64 s3, v[5:6], 0x1f8
	v_lshlrev_b32_e32 v5, 30, v28
	v_fma_f64 v[23:24], v[21:22], v[23:24], 0.5
	v_fma_f64 v[39:40], v[31:32], v[39:40], s[50:51]
	v_fma_f64 v[9:10], v[31:32], v[33:34], -v[9:10]
	v_mul_f64 v[31:32], v[17:18], 0.5
	v_mul_f64 v[33:34], v[15:16], -v[41:42]
	v_add_f64 v[71:72], -v[53:54], 1.0
	v_fma_f64 v[13:14], v[35:36], v[43:44], -v[13:14]
	v_fma_f64 v[49:50], v[35:36], v[49:50], s[50:51]
	v_fma_f64 v[25:26], v[21:22], v[25:26], 1.0
	v_mul_f64 v[23:24], v[21:22], v[23:24]
	v_fma_f64 v[37:38], v[69:70], v[39:40], v[37:38]
	v_fma_f64 v[9:10], v[55:56], s[36:37], v[9:10]
	;; [unrolled: 1-line block ×4, first 2 shown]
	v_add_f64 v[39:40], v[71:72], -v[59:60]
	v_mul_f64 v[47:48], v[35:36], v[35:36]
	v_add_f64 v[35:36], v[51:52], -1.0
	v_fma_f64 v[13:14], v[65:66], s[36:37], v[13:14]
	v_cmp_nlt_f64_e64 s6, 0x40900000, v[0:1]
	v_cmp_ngt_f64_e64 s7, 0xc090cc00, v[0:1]
	v_fma_f64 v[23:24], v[21:22], v[23:24], v[21:22]
	v_fma_f64 v[21:22], v[21:22], v[25:26], 1.0
	v_add_f64 v[37:38], v[45:46], v[37:38]
	v_add_f64 v[7:8], v[7:8], -v[9:10]
	v_mul_f64 v[9:10], v[41:42], v[41:42]
	v_fma_f64 v[43:44], v[41:42], v[55:56], s[50:51]
	v_fma_f64 v[39:40], v[15:16], -v[17:18], v[39:40]
	v_fma_f64 v[17:18], v[41:42], v[31:32], -v[17:18]
	v_fma_f64 v[19:20], v[47:48], v[49:50], v[19:20]
	v_and_b32_e32 v31, 1, v28
	v_add_f64 v[11:12], v[11:12], -v[13:14]
	s_delay_alu instid0(VALU_DEP_2) | instskip(SKIP_1) | instid1(VALU_DEP_2)
	v_cmp_eq_u32_e64 s2, 0, v31
	v_fma_f64 v[23:24], v[51:52], v[23:24], v[35:36]
	v_cndmask_b32_e64 v25, v37, v7, s2
	v_xor_b32_e32 v7, v5, v6
	v_cndmask_b32_e64 v13, v38, v8, s2
	v_fma_f64 v[5:6], v[9:10], v[43:44], v[39:40]
	v_fma_f64 v[9:10], v[33:34], s[36:37], v[17:18]
	v_add_f64 v[17:18], v[63:64], v[19:20]
	v_and_b32_e32 v26, 0x80000000, v7
	v_cndmask_b32_e64 v19, 0, v25, s3
	v_xor_b32_e32 v12, 0x80000000, v12
	s_delay_alu instid0(VALU_DEP_3) | instskip(SKIP_1) | instid1(VALU_DEP_2)
	v_xor_b32_e32 v20, v13, v26
	v_ldexp_f64 v[13:14], v[21:22], v73
	v_cndmask_b32_e64 v20, 0x7ff80000, v20, s3
	v_cmp_class_f64_e64 s3, v[2:3], 0x1f8
	s_delay_alu instid0(VALU_DEP_2)
	v_add_f64 v[21:22], v[19:20], v[19:20]
	v_add_f64 v[7:8], v[23:24], v[23:24]
	v_and_b32_e32 v25, 1, v29
	v_lshlrev_b32_e32 v2, 30, v30
	v_add_f64 v[5:6], v[53:54], v[5:6]
	v_add_f64 v[9:10], v[15:16], -v[9:10]
	v_lshlrev_b32_e32 v16, 30, v29
	v_mul_f64 v[0:1], v[21:22], v[19:20]
	v_dual_cndmask_b32 v7, v23, v7 :: v_dual_cndmask_b32 v8, v24, v8
	s_and_b32 vcc_lo, s5, s4
	v_cmp_eq_u32_e64 s2, 0, v25
	v_xor_b32_e32 v2, v2, v3
	v_and_b32_e32 v3, 0x80000000, v16
	v_cndmask_b32_e64 v15, 0x7ff00000, v8, s4
	v_cndmask_b32_e64 v8, 0x7ff00000, v14, s6
	v_and_b32_e32 v14, 1, v30
	v_cndmask_b32_e64 v12, v12, v18, s2
	v_and_b32_e32 v2, 0x80000000, v2
	v_cndmask_b32_e64 v11, v11, v17, s2
	v_cndmask_b32_e64 v8, 0, v8, s7
	v_cmp_eq_u32_e64 s8, 0, v14
	v_xor_b32_e32 v3, v12, v3
	s_delay_alu instid0(VALU_DEP_2)
	v_cndmask_b32_e64 v6, v6, v10, s8
	v_cndmask_b32_e64 v5, v5, v9, s8
	v_cndmask_b32_e32 v9, 0, v7, vcc_lo
	s_and_b32 vcc_lo, s7, s6
	v_cndmask_b32_e64 v3, 0x7ff80000, v3, s3
	v_xor_b32_e32 v6, v6, v2
	v_cndmask_b32_e64 v2, 0, v11, s3
	v_cndmask_b32_e64 v5, 0, v5, s3
	;; [unrolled: 1-line block ×3, first 2 shown]
	v_cndmask_b32_e32 v7, 0, v13, vcc_lo
	v_cndmask_b32_e64 v6, 0x7ff80000, v6, s3
	s_delay_alu instid0(VALU_DEP_3) | instskip(NEXT) | instid1(VALU_DEP_2)
	v_fma_f64 v[0:1], v[9:10], v[2:3], -v[0:1]
	v_mul_f64 v[2:3], v[7:8], v[5:6]
	global_store_b128 v4, v[0:3], s[12:13]
	s_or_b32 exec_lo, exec_lo, s34
	s_delay_alu instid0(SALU_CYCLE_1)
	s_mov_b32 s34, exec_lo
	v_cmpx_gt_i32_e64 s31, v27
	s_cbranch_execnz .LBB129_15
.LBB129_138:
	s_or_b32 exec_lo, exec_lo, s34
	s_delay_alu instid0(SALU_CYCLE_1)
	s_mov_b32 s34, exec_lo
	v_cmpx_gt_i32_e64 s31, v27
	s_cbranch_execnz .LBB129_159
	s_branch .LBB129_185
.LBB129_139:
	v_dual_mov_b32 v1, v27 :: v_dual_mov_b32 v0, 0
.LBB129_140:
	s_and_b32 s8, s8, 3
	s_delay_alu instid0(SALU_CYCLE_1)
	s_cmp_eq_u32 s8, 0
	s_cbranch_scc1 .LBB129_143
; %bb.141:
	s_lshl_b32 s2, s7, 3
	s_mul_i32 s4, s7, 12
	s_add_u32 s2, s2, s0
	s_addc_u32 s3, s1, 0
	s_add_u32 s2, s2, 0xc4
	s_addc_u32 s3, s3, 0
	;; [unrolled: 2-line block ×3, first 2 shown]
	.p2align	6
.LBB129_142:                            ; =>This Inner Loop Header: Depth=1
	s_clause 0x1
	s_load_b64 s[36:37], s[4:5], 0x4
	s_load_b32 s7, s[4:5], 0xc
	s_load_b64 s[38:39], s[2:3], 0x0
	s_add_u32 s4, s4, 12
	s_addc_u32 s5, s5, 0
	s_add_u32 s2, s2, 8
	s_addc_u32 s3, s3, 0
	s_add_i32 s8, s8, -1
	s_delay_alu instid0(SALU_CYCLE_1) | instskip(SKIP_2) | instid1(VALU_DEP_1)
	s_cmp_lg_u32 s8, 0
	s_waitcnt lgkmcnt(0)
	v_mul_hi_u32 v2, s37, v1
	v_add_nc_u32_e32 v2, v1, v2
	s_delay_alu instid0(VALU_DEP_1) | instskip(NEXT) | instid1(VALU_DEP_1)
	v_lshrrev_b32_e32 v5, s7, v2
	v_mul_lo_u32 v2, v5, s36
	s_delay_alu instid0(VALU_DEP_1) | instskip(NEXT) | instid1(VALU_DEP_1)
	v_sub_nc_u32_e32 v1, v1, v2
	v_mad_u64_u32 v[2:3], null, v1, s38, v[4:5]
	v_mad_u64_u32 v[3:4], null, v1, s39, v[0:1]
	s_delay_alu instid0(VALU_DEP_2) | instskip(NEXT) | instid1(VALU_DEP_2)
	v_dual_mov_b32 v1, v5 :: v_dual_mov_b32 v4, v2
	v_mov_b32_e32 v0, v3
	s_cbranch_scc1 .LBB129_142
.LBB129_143:
	s_and_not1_b32 vcc_lo, exec_lo, s6
	s_cbranch_vccnz .LBB129_146
; %bb.144:
	s_waitcnt lgkmcnt(0)
	v_mul_hi_u32 v0, s21, v27
	s_and_not1_b32 vcc_lo, exec_lo, s29
	s_delay_alu instid0(VALU_DEP_1) | instskip(NEXT) | instid1(VALU_DEP_1)
	v_add_nc_u32_e32 v0, v27, v0
	v_lshrrev_b32_e32 v1, s22, v0
	s_delay_alu instid0(VALU_DEP_1) | instskip(NEXT) | instid1(VALU_DEP_1)
	v_mul_lo_u32 v0, v1, s20
	v_sub_nc_u32_e32 v0, v27, v0
	s_delay_alu instid0(VALU_DEP_1)
	v_mul_lo_u32 v4, v0, s16
	v_mul_lo_u32 v0, v0, s17
	s_cbranch_vccnz .LBB129_146
; %bb.145:
	v_mul_hi_u32 v2, s10, v1
	s_delay_alu instid0(VALU_DEP_1) | instskip(NEXT) | instid1(VALU_DEP_1)
	v_add_nc_u32_e32 v2, v1, v2
	v_lshrrev_b32_e32 v2, s11, v2
	s_delay_alu instid0(VALU_DEP_1) | instskip(NEXT) | instid1(VALU_DEP_1)
	v_mul_lo_u32 v2, v2, s23
	v_sub_nc_u32_e32 v5, v1, v2
	s_delay_alu instid0(VALU_DEP_1) | instskip(NEXT) | instid1(VALU_DEP_1)
	v_mad_u64_u32 v[1:2], null, v5, s18, v[4:5]
	v_mad_u64_u32 v[2:3], null, v5, s19, v[0:1]
	v_mov_b32_e32 v4, v1
	s_delay_alu instid0(VALU_DEP_2)
	v_mov_b32_e32 v0, v2
.LBB129_146:
	s_waitcnt lgkmcnt(0)
	global_load_b128 v[0:3], v0, s[14:15]
	s_mov_b32 s3, exec_lo
                                        ; implicit-def: $vgpr28
                                        ; implicit-def: $vgpr7_vgpr8
                                        ; implicit-def: $vgpr9_vgpr10
	s_waitcnt vmcnt(0)
	v_mul_f64 v[5:6], v[2:3], 0.5
	s_delay_alu instid0(VALU_DEP_1)
	v_cmpx_ngt_f64_e64 0x41d00000, |v[5:6]|
	s_xor_b32 s3, exec_lo, s3
	s_cbranch_execz .LBB129_148
; %bb.147:
	v_ldexp_f64 v[7:8], |v[5:6]|, 0xffffff80
	v_cmp_le_f64_e64 vcc_lo, 0x7b000000, |v[5:6]|
	v_trig_preop_f64 v[9:10], |v[5:6]|, 0
	v_and_b32_e32 v11, 0x7fffffff, v6
	v_trig_preop_f64 v[21:22], |v[5:6]|, 2
	s_mov_b32 s4, 0x54442d18
	s_mov_b32 s5, 0x3ff921fb
	;; [unrolled: 1-line block ×4, first 2 shown]
	v_mov_b32_e32 v30, 0
	v_dual_cndmask_b32 v8, v11, v8 :: v_dual_cndmask_b32 v7, v5, v7
	v_trig_preop_f64 v[11:12], |v[5:6]|, 1
	s_delay_alu instid0(VALU_DEP_2) | instskip(SKIP_1) | instid1(VALU_DEP_3)
	v_mul_f64 v[13:14], v[9:10], v[7:8]
	v_mul_f64 v[28:29], v[21:22], v[7:8]
	;; [unrolled: 1-line block ×3, first 2 shown]
	s_delay_alu instid0(VALU_DEP_3) | instskip(NEXT) | instid1(VALU_DEP_2)
	v_fma_f64 v[9:10], v[9:10], v[7:8], -v[13:14]
	v_fma_f64 v[11:12], v[11:12], v[7:8], -v[15:16]
	s_delay_alu instid0(VALU_DEP_4) | instskip(NEXT) | instid1(VALU_DEP_3)
	v_fma_f64 v[7:8], v[21:22], v[7:8], -v[28:29]
	v_add_f64 v[17:18], v[15:16], v[9:10]
	s_delay_alu instid0(VALU_DEP_1) | instskip(SKIP_1) | instid1(VALU_DEP_2)
	v_add_f64 v[19:20], v[17:18], -v[15:16]
	v_add_f64 v[25:26], v[13:14], v[17:18]
	v_add_f64 v[23:24], v[17:18], -v[19:20]
	v_add_f64 v[9:10], v[9:10], -v[19:20]
	s_delay_alu instid0(VALU_DEP_3) | instskip(SKIP_1) | instid1(VALU_DEP_4)
	v_ldexp_f64 v[19:20], v[25:26], -2
	v_add_f64 v[13:14], v[25:26], -v[13:14]
	v_add_f64 v[15:16], v[15:16], -v[23:24]
	v_add_f64 v[23:24], v[28:29], v[11:12]
	s_delay_alu instid0(VALU_DEP_4) | instskip(NEXT) | instid1(VALU_DEP_4)
	v_cmp_neq_f64_e64 vcc_lo, 0x7ff00000, |v[19:20]|
	v_add_f64 v[13:14], v[17:18], -v[13:14]
	s_delay_alu instid0(VALU_DEP_4) | instskip(SKIP_1) | instid1(VALU_DEP_2)
	v_add_f64 v[9:10], v[9:10], v[15:16]
	v_fract_f64_e32 v[15:16], v[19:20]
	v_add_f64 v[17:18], v[23:24], v[9:10]
	s_delay_alu instid0(VALU_DEP_2) | instskip(NEXT) | instid1(VALU_DEP_1)
	v_dual_cndmask_b32 v16, 0, v16 :: v_dual_cndmask_b32 v15, 0, v15
	v_ldexp_f64 v[15:16], v[15:16], 2
	s_delay_alu instid0(VALU_DEP_3) | instskip(NEXT) | instid1(VALU_DEP_1)
	v_add_f64 v[19:20], v[13:14], v[17:18]
	v_add_f64 v[25:26], v[19:20], v[15:16]
	v_add_f64 v[13:14], v[19:20], -v[13:14]
	s_delay_alu instid0(VALU_DEP_2) | instskip(SKIP_1) | instid1(VALU_DEP_3)
	v_cmp_gt_f64_e32 vcc_lo, 0, v[25:26]
	v_add_f64 v[25:26], v[23:24], -v[28:29]
	v_add_f64 v[13:14], v[17:18], -v[13:14]
	v_cndmask_b32_e64 v31, 0, 0x40100000, vcc_lo
	s_delay_alu instid0(VALU_DEP_3) | instskip(SKIP_1) | instid1(VALU_DEP_3)
	v_add_f64 v[35:36], v[23:24], -v[25:26]
	v_add_f64 v[11:12], v[11:12], -v[25:26]
	v_add_f64 v[15:16], v[15:16], v[30:31]
	v_add_f64 v[31:32], v[17:18], -v[23:24]
	s_delay_alu instid0(VALU_DEP_4) | instskip(NEXT) | instid1(VALU_DEP_3)
	v_add_f64 v[25:26], v[28:29], -v[35:36]
	v_add_f64 v[33:34], v[19:20], v[15:16]
	s_delay_alu instid0(VALU_DEP_3) | instskip(SKIP_1) | instid1(VALU_DEP_4)
	v_add_f64 v[37:38], v[17:18], -v[31:32]
	v_add_f64 v[9:10], v[9:10], -v[31:32]
	v_add_f64 v[11:12], v[11:12], v[25:26]
	s_delay_alu instid0(VALU_DEP_4) | instskip(NEXT) | instid1(VALU_DEP_4)
	v_cvt_i32_f64_e32 v33, v[33:34]
	v_add_f64 v[23:24], v[23:24], -v[37:38]
	s_delay_alu instid0(VALU_DEP_2) | instskip(NEXT) | instid1(VALU_DEP_2)
	v_cvt_f64_i32_e32 v[31:32], v33
	v_add_f64 v[9:10], v[9:10], v[23:24]
	s_delay_alu instid0(VALU_DEP_2) | instskip(NEXT) | instid1(VALU_DEP_2)
	v_add_f64 v[15:16], v[15:16], -v[31:32]
	v_add_f64 v[9:10], v[11:12], v[9:10]
	s_delay_alu instid0(VALU_DEP_2) | instskip(NEXT) | instid1(VALU_DEP_2)
	v_add_f64 v[11:12], v[19:20], v[15:16]
	v_add_f64 v[7:8], v[7:8], v[9:10]
	s_delay_alu instid0(VALU_DEP_2) | instskip(SKIP_1) | instid1(VALU_DEP_3)
	v_add_f64 v[9:10], v[11:12], -v[15:16]
	v_cmp_le_f64_e32 vcc_lo, 0.5, v[11:12]
	v_add_f64 v[7:8], v[13:14], v[7:8]
	s_delay_alu instid0(VALU_DEP_3) | instskip(SKIP_2) | instid1(VALU_DEP_3)
	v_add_f64 v[9:10], v[19:20], -v[9:10]
	v_cndmask_b32_e64 v31, 0, 0x3ff00000, vcc_lo
	v_add_co_ci_u32_e64 v28, s2, 0, v33, vcc_lo
	v_add_f64 v[7:8], v[7:8], v[9:10]
	s_delay_alu instid0(VALU_DEP_3) | instskip(NEXT) | instid1(VALU_DEP_1)
	v_add_f64 v[9:10], v[11:12], -v[30:31]
	v_add_f64 v[11:12], v[9:10], v[7:8]
	s_delay_alu instid0(VALU_DEP_1) | instskip(SKIP_1) | instid1(VALU_DEP_2)
	v_mul_f64 v[13:14], v[11:12], s[4:5]
	v_add_f64 v[9:10], v[11:12], -v[9:10]
	v_fma_f64 v[15:16], v[11:12], s[4:5], -v[13:14]
	s_delay_alu instid0(VALU_DEP_2) | instskip(NEXT) | instid1(VALU_DEP_2)
	v_add_f64 v[7:8], v[7:8], -v[9:10]
	v_fma_f64 v[9:10], v[11:12], s[6:7], v[15:16]
	s_delay_alu instid0(VALU_DEP_1) | instskip(NEXT) | instid1(VALU_DEP_1)
	v_fma_f64 v[9:10], v[7:8], s[4:5], v[9:10]
	v_add_f64 v[7:8], v[13:14], v[9:10]
	s_delay_alu instid0(VALU_DEP_1) | instskip(NEXT) | instid1(VALU_DEP_1)
	v_add_f64 v[11:12], v[7:8], -v[13:14]
	v_add_f64 v[9:10], v[9:10], -v[11:12]
.LBB129_148:
	s_and_not1_saveexec_b32 s2, s3
	s_cbranch_execz .LBB129_150
; %bb.149:
	s_mov_b32 s4, 0x6dc9c883
	s_mov_b32 s5, 0x3fe45f30
	s_mov_b32 s7, 0xbc91a626
	v_mul_f64 v[7:8], |v[5:6]|, s[4:5]
	s_mov_b32 s4, 0x54442d18
	s_mov_b32 s5, 0xbff921fb
	;; [unrolled: 1-line block ×3, first 2 shown]
	s_delay_alu instid0(VALU_DEP_1) | instskip(NEXT) | instid1(VALU_DEP_1)
	v_rndne_f64_e32 v[11:12], v[7:8]
	v_fma_f64 v[7:8], v[11:12], s[4:5], |v[5:6]|
	v_mul_f64 v[9:10], v[11:12], s[6:7]
	s_mov_b32 s4, 0x252049c0
	s_mov_b32 s5, 0xb97b839a
	v_cvt_i32_f64_e32 v28, v[11:12]
	s_delay_alu instid0(VALU_DEP_3) | instskip(NEXT) | instid1(VALU_DEP_3)
	v_fma_f64 v[15:16], v[11:12], s[6:7], v[7:8]
	v_add_f64 v[13:14], v[7:8], v[9:10]
	s_mov_b32 s7, 0x3c91a626
	s_delay_alu instid0(VALU_DEP_1) | instskip(NEXT) | instid1(VALU_DEP_3)
	v_add_f64 v[7:8], v[7:8], -v[13:14]
	v_add_f64 v[13:14], v[13:14], -v[15:16]
	s_delay_alu instid0(VALU_DEP_2) | instskip(SKIP_1) | instid1(VALU_DEP_2)
	v_add_f64 v[7:8], v[7:8], v[9:10]
	v_fma_f64 v[9:10], v[11:12], s[6:7], v[9:10]
	v_add_f64 v[7:8], v[13:14], v[7:8]
	s_delay_alu instid0(VALU_DEP_1) | instskip(NEXT) | instid1(VALU_DEP_1)
	v_add_f64 v[7:8], v[7:8], -v[9:10]
	v_fma_f64 v[9:10], v[11:12], s[4:5], v[7:8]
	s_delay_alu instid0(VALU_DEP_1) | instskip(NEXT) | instid1(VALU_DEP_1)
	v_add_f64 v[7:8], v[15:16], v[9:10]
	v_add_f64 v[13:14], v[7:8], -v[15:16]
	s_delay_alu instid0(VALU_DEP_1)
	v_add_f64 v[9:10], v[9:10], -v[13:14]
.LBB129_150:
	s_or_b32 exec_lo, exec_lo, s2
	v_cmp_ngt_f64_e64 s3, 0x41d00000, |v[2:3]|
	v_trig_preop_f64 v[23:24], |v[2:3]|, 0
	v_trig_preop_f64 v[21:22], |v[2:3]|, 1
	v_ldexp_f64 v[25:26], |v[2:3]|, 0xffffff80
	v_trig_preop_f64 v[19:20], |v[2:3]|, 2
	v_and_b32_e32 v31, 0x7fffffff, v3
                                        ; implicit-def: $vgpr29
                                        ; implicit-def: $vgpr11_vgpr12
                                        ; implicit-def: $vgpr13_vgpr14
	s_and_saveexec_b32 s2, s3
	s_delay_alu instid0(SALU_CYCLE_1)
	s_xor_b32 s4, exec_lo, s2
	s_cbranch_execz .LBB129_152
; %bb.151:
	v_cmp_le_f64_e64 vcc_lo, 0x7b000000, |v[2:3]|
	v_mov_b32_e32 v42, 0
	s_mov_b32 s6, 0x54442d18
	s_mov_b32 s7, 0x3ff921fb
	;; [unrolled: 1-line block ×4, first 2 shown]
	v_dual_cndmask_b32 v12, v31, v26 :: v_dual_cndmask_b32 v11, v2, v25
	s_delay_alu instid0(VALU_DEP_1) | instskip(SKIP_2) | instid1(VALU_DEP_3)
	v_mul_f64 v[13:14], v[23:24], v[11:12]
	v_mul_f64 v[15:16], v[21:22], v[11:12]
	;; [unrolled: 1-line block ×3, first 2 shown]
	v_fma_f64 v[17:18], v[23:24], v[11:12], -v[13:14]
	s_delay_alu instid0(VALU_DEP_3) | instskip(NEXT) | instid1(VALU_DEP_3)
	v_fma_f64 v[40:41], v[21:22], v[11:12], -v[15:16]
	v_fma_f64 v[11:12], v[19:20], v[11:12], -v[38:39]
	s_delay_alu instid0(VALU_DEP_3) | instskip(NEXT) | instid1(VALU_DEP_1)
	v_add_f64 v[29:30], v[15:16], v[17:18]
	v_add_f64 v[32:33], v[29:30], -v[15:16]
	v_add_f64 v[36:37], v[13:14], v[29:30]
	s_delay_alu instid0(VALU_DEP_2) | instskip(SKIP_1) | instid1(VALU_DEP_3)
	v_add_f64 v[34:35], v[29:30], -v[32:33]
	v_add_f64 v[17:18], v[17:18], -v[32:33]
	v_ldexp_f64 v[32:33], v[36:37], -2
	v_add_f64 v[13:14], v[36:37], -v[13:14]
	s_delay_alu instid0(VALU_DEP_4) | instskip(SKIP_1) | instid1(VALU_DEP_4)
	v_add_f64 v[15:16], v[15:16], -v[34:35]
	v_add_f64 v[34:35], v[38:39], v[40:41]
	v_cmp_neq_f64_e64 vcc_lo, 0x7ff00000, |v[32:33]|
	s_delay_alu instid0(VALU_DEP_4) | instskip(NEXT) | instid1(VALU_DEP_4)
	v_add_f64 v[13:14], v[29:30], -v[13:14]
	v_add_f64 v[15:16], v[17:18], v[15:16]
	v_fract_f64_e32 v[17:18], v[32:33]
	s_delay_alu instid0(VALU_DEP_2) | instskip(NEXT) | instid1(VALU_DEP_2)
	v_add_f64 v[29:30], v[34:35], v[15:16]
	v_dual_cndmask_b32 v18, 0, v18 :: v_dual_cndmask_b32 v17, 0, v17
	s_delay_alu instid0(VALU_DEP_1) | instskip(NEXT) | instid1(VALU_DEP_3)
	v_ldexp_f64 v[17:18], v[17:18], 2
	v_add_f64 v[32:33], v[13:14], v[29:30]
	s_delay_alu instid0(VALU_DEP_1) | instskip(SKIP_1) | instid1(VALU_DEP_2)
	v_add_f64 v[36:37], v[32:33], v[17:18]
	v_add_f64 v[13:14], v[32:33], -v[13:14]
	v_cmp_gt_f64_e32 vcc_lo, 0, v[36:37]
	v_add_f64 v[36:37], v[34:35], -v[38:39]
	s_delay_alu instid0(VALU_DEP_3) | instskip(SKIP_1) | instid1(VALU_DEP_3)
	v_add_f64 v[13:14], v[29:30], -v[13:14]
	v_cndmask_b32_e64 v43, 0, 0x40100000, vcc_lo
	v_add_f64 v[47:48], v[34:35], -v[36:37]
	v_add_f64 v[36:37], v[40:41], -v[36:37]
	s_delay_alu instid0(VALU_DEP_3) | instskip(SKIP_1) | instid1(VALU_DEP_4)
	v_add_f64 v[17:18], v[17:18], v[42:43]
	v_add_f64 v[43:44], v[29:30], -v[34:35]
	v_add_f64 v[40:41], v[38:39], -v[47:48]
	s_delay_alu instid0(VALU_DEP_3) | instskip(NEXT) | instid1(VALU_DEP_3)
	v_add_f64 v[45:46], v[32:33], v[17:18]
	v_add_f64 v[49:50], v[29:30], -v[43:44]
	v_add_f64 v[15:16], v[15:16], -v[43:44]
	s_delay_alu instid0(VALU_DEP_4) | instskip(NEXT) | instid1(VALU_DEP_4)
	v_add_f64 v[36:37], v[36:37], v[40:41]
	v_cvt_i32_f64_e32 v45, v[45:46]
	s_delay_alu instid0(VALU_DEP_4) | instskip(NEXT) | instid1(VALU_DEP_2)
	v_add_f64 v[34:35], v[34:35], -v[49:50]
	v_cvt_f64_i32_e32 v[43:44], v45
	s_delay_alu instid0(VALU_DEP_2) | instskip(NEXT) | instid1(VALU_DEP_2)
	v_add_f64 v[15:16], v[15:16], v[34:35]
	v_add_f64 v[17:18], v[17:18], -v[43:44]
	s_delay_alu instid0(VALU_DEP_2) | instskip(NEXT) | instid1(VALU_DEP_2)
	v_add_f64 v[15:16], v[36:37], v[15:16]
	v_add_f64 v[34:35], v[32:33], v[17:18]
	s_delay_alu instid0(VALU_DEP_2) | instskip(NEXT) | instid1(VALU_DEP_2)
	v_add_f64 v[11:12], v[11:12], v[15:16]
	v_add_f64 v[15:16], v[34:35], -v[17:18]
	v_cmp_le_f64_e32 vcc_lo, 0.5, v[34:35]
	s_delay_alu instid0(VALU_DEP_3) | instskip(NEXT) | instid1(VALU_DEP_3)
	v_add_f64 v[11:12], v[13:14], v[11:12]
	v_add_f64 v[13:14], v[32:33], -v[15:16]
	v_cndmask_b32_e64 v43, 0, 0x3ff00000, vcc_lo
	v_add_co_ci_u32_e64 v29, s2, 0, v45, vcc_lo
	s_delay_alu instid0(VALU_DEP_3) | instskip(NEXT) | instid1(VALU_DEP_3)
	v_add_f64 v[11:12], v[11:12], v[13:14]
	v_add_f64 v[13:14], v[34:35], -v[42:43]
	s_delay_alu instid0(VALU_DEP_1) | instskip(NEXT) | instid1(VALU_DEP_1)
	v_add_f64 v[15:16], v[13:14], v[11:12]
	v_mul_f64 v[17:18], v[15:16], s[6:7]
	v_add_f64 v[13:14], v[15:16], -v[13:14]
	s_delay_alu instid0(VALU_DEP_2) | instskip(NEXT) | instid1(VALU_DEP_2)
	v_fma_f64 v[32:33], v[15:16], s[6:7], -v[17:18]
	v_add_f64 v[11:12], v[11:12], -v[13:14]
	s_delay_alu instid0(VALU_DEP_2) | instskip(NEXT) | instid1(VALU_DEP_1)
	v_fma_f64 v[13:14], v[15:16], s[36:37], v[32:33]
	v_fma_f64 v[13:14], v[11:12], s[6:7], v[13:14]
	s_delay_alu instid0(VALU_DEP_1) | instskip(NEXT) | instid1(VALU_DEP_1)
	v_add_f64 v[11:12], v[17:18], v[13:14]
	v_add_f64 v[15:16], v[11:12], -v[17:18]
	s_delay_alu instid0(VALU_DEP_1)
	v_add_f64 v[13:14], v[13:14], -v[15:16]
	s_and_not1_saveexec_b32 s2, s4
	s_cbranch_execz .LBB129_154
	s_branch .LBB129_153
.LBB129_152:
	s_and_not1_saveexec_b32 s2, s4
	s_cbranch_execz .LBB129_154
.LBB129_153:
	s_mov_b32 s4, 0x6dc9c883
	s_mov_b32 s5, 0x3fe45f30
	;; [unrolled: 1-line block ×3, first 2 shown]
	v_mul_f64 v[11:12], |v[2:3]|, s[4:5]
	s_mov_b32 s4, 0x54442d18
	s_mov_b32 s5, 0xbff921fb
	;; [unrolled: 1-line block ×3, first 2 shown]
	s_delay_alu instid0(VALU_DEP_1) | instskip(NEXT) | instid1(VALU_DEP_1)
	v_rndne_f64_e32 v[15:16], v[11:12]
	v_fma_f64 v[11:12], v[15:16], s[4:5], |v[2:3]|
	v_mul_f64 v[13:14], v[15:16], s[6:7]
	s_mov_b32 s4, 0x252049c0
	s_mov_b32 s5, 0xb97b839a
	s_delay_alu instid0(VALU_DEP_2) | instskip(NEXT) | instid1(VALU_DEP_2)
	v_fma_f64 v[29:30], v[15:16], s[6:7], v[11:12]
	v_add_f64 v[17:18], v[11:12], v[13:14]
	s_mov_b32 s7, 0x3c91a626
	s_delay_alu instid0(VALU_DEP_1) | instskip(NEXT) | instid1(VALU_DEP_3)
	v_add_f64 v[11:12], v[11:12], -v[17:18]
	v_add_f64 v[17:18], v[17:18], -v[29:30]
	s_delay_alu instid0(VALU_DEP_2) | instskip(SKIP_1) | instid1(VALU_DEP_2)
	v_add_f64 v[11:12], v[11:12], v[13:14]
	v_fma_f64 v[13:14], v[15:16], s[6:7], v[13:14]
	v_add_f64 v[11:12], v[17:18], v[11:12]
	s_delay_alu instid0(VALU_DEP_1) | instskip(NEXT) | instid1(VALU_DEP_1)
	v_add_f64 v[11:12], v[11:12], -v[13:14]
	v_fma_f64 v[13:14], v[15:16], s[4:5], v[11:12]
	s_delay_alu instid0(VALU_DEP_1) | instskip(NEXT) | instid1(VALU_DEP_1)
	v_add_f64 v[11:12], v[29:30], v[13:14]
	v_add_f64 v[17:18], v[11:12], -v[29:30]
	v_cvt_i32_f64_e32 v29, v[15:16]
	s_delay_alu instid0(VALU_DEP_2)
	v_add_f64 v[13:14], v[13:14], -v[17:18]
.LBB129_154:
	s_or_b32 exec_lo, exec_lo, s2
                                        ; implicit-def: $vgpr30
                                        ; implicit-def: $vgpr15_vgpr16
                                        ; implicit-def: $vgpr17_vgpr18
	s_and_saveexec_b32 s2, s3
	s_delay_alu instid0(SALU_CYCLE_1)
	s_xor_b32 s3, exec_lo, s2
	s_cbranch_execz .LBB129_156
; %bb.155:
	v_cmp_le_f64_e64 vcc_lo, 0x7b000000, |v[2:3]|
	v_mov_b32_e32 v40, 0
	s_mov_b32 s4, 0x54442d18
	s_mov_b32 s5, 0x3ff921fb
	s_mov_b32 s6, 0x33145c07
	s_mov_b32 s7, 0x3c91a626
	v_dual_cndmask_b32 v16, v31, v26 :: v_dual_cndmask_b32 v15, v2, v25
	s_delay_alu instid0(VALU_DEP_1) | instskip(SKIP_2) | instid1(VALU_DEP_3)
	v_mul_f64 v[17:18], v[23:24], v[15:16]
	v_mul_f64 v[25:26], v[21:22], v[15:16]
	;; [unrolled: 1-line block ×3, first 2 shown]
	v_fma_f64 v[23:24], v[23:24], v[15:16], -v[17:18]
	s_delay_alu instid0(VALU_DEP_3) | instskip(NEXT) | instid1(VALU_DEP_3)
	v_fma_f64 v[21:22], v[21:22], v[15:16], -v[25:26]
	v_fma_f64 v[15:16], v[19:20], v[15:16], -v[38:39]
	s_delay_alu instid0(VALU_DEP_3) | instskip(NEXT) | instid1(VALU_DEP_1)
	v_add_f64 v[30:31], v[25:26], v[23:24]
	v_add_f64 v[32:33], v[30:31], -v[25:26]
	v_add_f64 v[36:37], v[17:18], v[30:31]
	s_delay_alu instid0(VALU_DEP_2) | instskip(SKIP_1) | instid1(VALU_DEP_3)
	v_add_f64 v[34:35], v[30:31], -v[32:33]
	v_add_f64 v[23:24], v[23:24], -v[32:33]
	v_ldexp_f64 v[32:33], v[36:37], -2
	v_add_f64 v[17:18], v[36:37], -v[17:18]
	s_delay_alu instid0(VALU_DEP_4) | instskip(SKIP_1) | instid1(VALU_DEP_4)
	v_add_f64 v[25:26], v[25:26], -v[34:35]
	v_add_f64 v[34:35], v[38:39], v[21:22]
	v_cmp_neq_f64_e64 vcc_lo, 0x7ff00000, |v[32:33]|
	s_delay_alu instid0(VALU_DEP_4) | instskip(NEXT) | instid1(VALU_DEP_4)
	v_add_f64 v[17:18], v[30:31], -v[17:18]
	v_add_f64 v[23:24], v[23:24], v[25:26]
	v_fract_f64_e32 v[25:26], v[32:33]
	s_delay_alu instid0(VALU_DEP_2) | instskip(NEXT) | instid1(VALU_DEP_2)
	v_add_f64 v[30:31], v[34:35], v[23:24]
	v_dual_cndmask_b32 v26, 0, v26 :: v_dual_cndmask_b32 v25, 0, v25
	s_delay_alu instid0(VALU_DEP_1) | instskip(NEXT) | instid1(VALU_DEP_3)
	v_ldexp_f64 v[25:26], v[25:26], 2
	v_add_f64 v[32:33], v[17:18], v[30:31]
	s_delay_alu instid0(VALU_DEP_1) | instskip(SKIP_1) | instid1(VALU_DEP_2)
	v_add_f64 v[36:37], v[32:33], v[25:26]
	v_add_f64 v[17:18], v[32:33], -v[17:18]
	v_cmp_gt_f64_e32 vcc_lo, 0, v[36:37]
	v_add_f64 v[36:37], v[34:35], -v[38:39]
	s_delay_alu instid0(VALU_DEP_3) | instskip(SKIP_1) | instid1(VALU_DEP_3)
	v_add_f64 v[17:18], v[30:31], -v[17:18]
	v_cndmask_b32_e64 v41, 0, 0x40100000, vcc_lo
	v_add_f64 v[45:46], v[34:35], -v[36:37]
	v_add_f64 v[21:22], v[21:22], -v[36:37]
	s_delay_alu instid0(VALU_DEP_3) | instskip(SKIP_1) | instid1(VALU_DEP_4)
	v_add_f64 v[25:26], v[25:26], v[40:41]
	v_add_f64 v[41:42], v[30:31], -v[34:35]
	v_add_f64 v[36:37], v[38:39], -v[45:46]
	s_delay_alu instid0(VALU_DEP_3) | instskip(NEXT) | instid1(VALU_DEP_3)
	v_add_f64 v[43:44], v[32:33], v[25:26]
	v_add_f64 v[47:48], v[30:31], -v[41:42]
	v_add_f64 v[23:24], v[23:24], -v[41:42]
	s_delay_alu instid0(VALU_DEP_4) | instskip(NEXT) | instid1(VALU_DEP_4)
	v_add_f64 v[21:22], v[21:22], v[36:37]
	v_cvt_i32_f64_e32 v43, v[43:44]
	s_delay_alu instid0(VALU_DEP_4) | instskip(NEXT) | instid1(VALU_DEP_2)
	v_add_f64 v[34:35], v[34:35], -v[47:48]
	v_cvt_f64_i32_e32 v[41:42], v43
	s_delay_alu instid0(VALU_DEP_2) | instskip(NEXT) | instid1(VALU_DEP_2)
	v_add_f64 v[23:24], v[23:24], v[34:35]
	v_add_f64 v[25:26], v[25:26], -v[41:42]
	s_delay_alu instid0(VALU_DEP_2) | instskip(NEXT) | instid1(VALU_DEP_2)
	v_add_f64 v[19:20], v[21:22], v[23:24]
	v_add_f64 v[21:22], v[32:33], v[25:26]
	s_delay_alu instid0(VALU_DEP_2) | instskip(NEXT) | instid1(VALU_DEP_2)
	v_add_f64 v[15:16], v[15:16], v[19:20]
	v_add_f64 v[19:20], v[21:22], -v[25:26]
	v_cmp_le_f64_e32 vcc_lo, 0.5, v[21:22]
	s_delay_alu instid0(VALU_DEP_3) | instskip(NEXT) | instid1(VALU_DEP_3)
	v_add_f64 v[15:16], v[17:18], v[15:16]
	v_add_f64 v[17:18], v[32:33], -v[19:20]
	v_cndmask_b32_e64 v41, 0, 0x3ff00000, vcc_lo
	v_add_co_ci_u32_e64 v30, s2, 0, v43, vcc_lo
	s_delay_alu instid0(VALU_DEP_3) | instskip(NEXT) | instid1(VALU_DEP_3)
	v_add_f64 v[15:16], v[15:16], v[17:18]
	v_add_f64 v[17:18], v[21:22], -v[40:41]
	s_delay_alu instid0(VALU_DEP_1) | instskip(NEXT) | instid1(VALU_DEP_1)
	v_add_f64 v[19:20], v[17:18], v[15:16]
	v_mul_f64 v[21:22], v[19:20], s[4:5]
	v_add_f64 v[17:18], v[19:20], -v[17:18]
	s_delay_alu instid0(VALU_DEP_2) | instskip(NEXT) | instid1(VALU_DEP_2)
	v_fma_f64 v[23:24], v[19:20], s[4:5], -v[21:22]
	v_add_f64 v[15:16], v[15:16], -v[17:18]
	s_delay_alu instid0(VALU_DEP_2) | instskip(NEXT) | instid1(VALU_DEP_1)
	v_fma_f64 v[17:18], v[19:20], s[6:7], v[23:24]
	v_fma_f64 v[17:18], v[15:16], s[4:5], v[17:18]
	s_delay_alu instid0(VALU_DEP_1) | instskip(NEXT) | instid1(VALU_DEP_1)
	v_add_f64 v[15:16], v[21:22], v[17:18]
	v_add_f64 v[19:20], v[15:16], -v[21:22]
	s_delay_alu instid0(VALU_DEP_1)
	v_add_f64 v[17:18], v[17:18], -v[19:20]
	s_and_not1_saveexec_b32 s2, s3
	s_cbranch_execnz .LBB129_157
	s_branch .LBB129_158
.LBB129_156:
	s_and_not1_saveexec_b32 s2, s3
	s_cbranch_execz .LBB129_158
.LBB129_157:
	s_mov_b32 s4, 0x6dc9c883
	s_mov_b32 s5, 0x3fe45f30
	;; [unrolled: 1-line block ×3, first 2 shown]
	v_mul_f64 v[15:16], |v[2:3]|, s[4:5]
	s_mov_b32 s4, 0x54442d18
	s_mov_b32 s5, 0xbff921fb
	;; [unrolled: 1-line block ×3, first 2 shown]
	s_delay_alu instid0(VALU_DEP_1) | instskip(NEXT) | instid1(VALU_DEP_1)
	v_rndne_f64_e32 v[19:20], v[15:16]
	v_fma_f64 v[15:16], v[19:20], s[4:5], |v[2:3]|
	v_mul_f64 v[17:18], v[19:20], s[6:7]
	s_mov_b32 s4, 0x252049c0
	s_mov_b32 s5, 0xb97b839a
	v_cvt_i32_f64_e32 v30, v[19:20]
	s_delay_alu instid0(VALU_DEP_3) | instskip(NEXT) | instid1(VALU_DEP_3)
	v_fma_f64 v[23:24], v[19:20], s[6:7], v[15:16]
	v_add_f64 v[21:22], v[15:16], v[17:18]
	s_mov_b32 s7, 0x3c91a626
	s_delay_alu instid0(VALU_DEP_1) | instskip(NEXT) | instid1(VALU_DEP_3)
	v_add_f64 v[15:16], v[15:16], -v[21:22]
	v_add_f64 v[21:22], v[21:22], -v[23:24]
	s_delay_alu instid0(VALU_DEP_2) | instskip(SKIP_1) | instid1(VALU_DEP_2)
	v_add_f64 v[15:16], v[15:16], v[17:18]
	v_fma_f64 v[17:18], v[19:20], s[6:7], v[17:18]
	v_add_f64 v[15:16], v[21:22], v[15:16]
	s_delay_alu instid0(VALU_DEP_1) | instskip(NEXT) | instid1(VALU_DEP_1)
	v_add_f64 v[15:16], v[15:16], -v[17:18]
	v_fma_f64 v[17:18], v[19:20], s[4:5], v[15:16]
	s_delay_alu instid0(VALU_DEP_1) | instskip(NEXT) | instid1(VALU_DEP_1)
	v_add_f64 v[15:16], v[23:24], v[17:18]
	v_add_f64 v[21:22], v[15:16], -v[23:24]
	s_delay_alu instid0(VALU_DEP_1)
	v_add_f64 v[17:18], v[17:18], -v[21:22]
.LBB129_158:
	s_or_b32 exec_lo, exec_lo, s2
	s_mov_b32 s2, 0x652b82fe
	s_mov_b32 s3, 0x3ff71547
	;; [unrolled: 1-line block ×3, first 2 shown]
	v_mul_f64 v[19:20], v[0:1], s[2:3]
	s_mov_b32 s4, 0xfefa39ef
	s_mov_b32 s2, 0x3b39803f
	s_mov_b32 s3, 0xbc7abc9e
	s_mov_b32 s6, 0xa9d67f34
	s_mov_b32 s7, 0x3e21f32e
	v_mul_f64 v[31:32], v[7:8], v[7:8]
	s_mov_b32 s36, 0xf9a43bb8
	s_mov_b32 s37, 0x3de5e0b2
	v_mul_f64 v[35:36], v[11:12], v[11:12]
	s_mov_b32 s39, 0x3f56c16c
	s_mov_b32 s38, 0x1852b7b0
	;; [unrolled: 1-line block ×6, first 2 shown]
	v_mul_f64 v[41:42], v[15:16], v[15:16]
	s_mov_b32 s45, 0x3f811111
	s_mov_b32 s44, 0x11122322
	;; [unrolled: 1-line block ×8, first 2 shown]
	v_mul_f64 v[53:54], v[9:10], 0.5
	v_add_nc_u32_e32 v27, 0x80, v27
	v_rndne_f64_e32 v[19:20], v[19:20]
	v_mul_f64 v[37:38], v[31:32], 0.5
	v_mul_f64 v[55:56], v[7:8], -v[31:32]
	v_mul_f64 v[69:70], v[31:32], v[31:32]
	v_mul_f64 v[49:50], v[35:36], 0.5
	v_mul_f64 v[65:66], v[11:12], -v[35:36]
	v_mul_f64 v[59:60], v[41:42], 0.5
	v_fma_f64 v[21:22], v[19:20], s[4:5], v[0:1]
	v_cvt_i32_f64_e32 v73, v[19:20]
	v_cmp_eq_f64_e32 vcc_lo, 0x40900000, v[19:20]
	s_mov_b32 s5, 0x40862e42
	s_delay_alu instid0(SALU_CYCLE_1)
	v_cmp_nlt_f64_e64 s4, s[4:5], v[0:1]
	v_add_f64 v[45:46], -v[37:38], 1.0
	v_cmp_ngt_f64_e64 s5, 0xc0428000, v[0:1]
	v_add_f64 v[63:64], -v[49:50], 1.0
	v_fma_f64 v[21:22], v[19:20], s[2:3], v[21:22]
	s_mov_b32 s2, 0x2a1b768b
	s_mov_b32 s3, 0x3e5af4eb
	v_cndmask_b32_e64 v74, v73, 0x3ff, vcc_lo
	v_add_f64 v[57:58], -v[45:46], 1.0
	s_delay_alu instid0(VALU_DEP_4) | instskip(NEXT) | instid1(VALU_DEP_4)
	v_add_f64 v[67:68], -v[63:64], 1.0
	v_fma_f64 v[23:24], v[21:22], s[6:7], s[2:3]
	s_mov_b32 s2, 0xfca7ab0c
	s_mov_b32 s6, 0x6a5dcb37
	;; [unrolled: 1-line block ×4, first 2 shown]
	s_delay_alu instid0(SALU_CYCLE_1) | instskip(SKIP_4) | instid1(VALU_DEP_4)
	v_fma_f64 v[25:26], v[21:22], s[6:7], s[2:3]
	s_mov_b32 s2, 0xe0ac05b
	s_mov_b32 s3, 0x3e927e50
	;; [unrolled: 1-line block ×4, first 2 shown]
	v_add_f64 v[37:38], v[57:58], -v[37:38]
	s_delay_alu instid0(VALU_DEP_4) | instskip(NEXT) | instid1(VALU_DEP_4)
	v_add_f64 v[19:20], v[67:68], -v[49:50]
	v_fma_f64 v[23:24], v[21:22], v[23:24], s[2:3]
	s_mov_b32 s2, 0x623fde64
	s_mov_b32 s3, 0x3ec71dee
	s_delay_alu instid0(VALU_DEP_4) | instid1(SALU_CYCLE_1)
	v_fma_f64 v[25:26], v[21:22], v[25:26], s[2:3]
	s_mov_b32 s2, 0x1b889c29
	s_mov_b32 s3, 0x3ec71de0
	s_delay_alu instid0(VALU_DEP_4) | instskip(NEXT) | instid1(VALU_DEP_4)
	v_fma_f64 v[37:38], v[7:8], -v[9:10], v[37:38]
	v_fma_f64 v[19:20], v[11:12], -v[13:14], v[19:20]
	s_delay_alu instid0(VALU_DEP_4) | instskip(SKIP_2) | instid1(VALU_DEP_4)
	v_fma_f64 v[23:24], v[21:22], v[23:24], s[2:3]
	s_mov_b32 s3, 0x3efa01a0
	s_mov_b32 s2, 0x197bcfd8
	v_fma_f64 v[25:26], v[21:22], v[25:26], s[6:7]
	s_mov_b32 s7, 0x3f2a01a0
	s_mov_b32 s6, 0x14761f6e
	s_delay_alu instid0(VALU_DEP_2) | instskip(SKIP_1) | instid1(VALU_DEP_2)
	v_fma_f64 v[23:24], v[21:22], v[23:24], s[2:3]
	s_mov_b32 s2, 0x19f4ec90
	v_fma_f64 v[25:26], v[21:22], v[25:26], s[6:7]
	s_mov_b32 s6, 0x1ac1a723
	s_delay_alu instid0(VALU_DEP_2) | instid1(SALU_CYCLE_1)
	v_fma_f64 v[23:24], v[21:22], v[23:24], s[6:7]
	s_mov_b32 s6, 0xb42fdfa7
	s_mov_b32 s7, 0xbe5ae600
	s_delay_alu instid0(SALU_CYCLE_1) | instskip(SKIP_1) | instid1(VALU_DEP_4)
	v_fma_f64 v[33:34], v[31:32], s[36:37], s[6:7]
	v_fma_f64 v[43:44], v[35:36], s[36:37], s[6:7]
	;; [unrolled: 1-line block ×3, first 2 shown]
	s_mov_b32 s38, 0x16c18931
	v_fma_f64 v[47:48], v[41:42], s[36:37], s[6:7]
	s_mov_b32 s7, 0x3fc55555
	s_mov_b32 s6, 0x55555511
	;; [unrolled: 1-line block ×3, first 2 shown]
	v_fma_f64 v[23:24], v[21:22], v[23:24], s[38:39]
	s_mov_b32 s38, 0x9037ab78
	s_mov_b32 s39, 0x3e21eeb6
	s_delay_alu instid0(SALU_CYCLE_1)
	v_fma_f64 v[39:40], v[31:32], s[40:41], s[38:39]
	v_fma_f64 v[33:34], v[31:32], v[33:34], s[42:43]
	;; [unrolled: 1-line block ×3, first 2 shown]
	s_mov_b32 s44, 0x11110056
	v_fma_f64 v[43:44], v[35:36], v[43:44], s[42:43]
	v_fma_f64 v[51:52], v[35:36], s[40:41], s[38:39]
	v_fma_f64 v[61:62], v[41:42], s[40:41], s[38:39]
	v_fma_f64 v[47:48], v[41:42], v[47:48], s[42:43]
	v_fma_f64 v[23:24], v[21:22], v[23:24], s[44:45]
	s_mov_b32 s44, 0x11110bb3
	v_fma_f64 v[39:40], v[31:32], v[39:40], s[46:47]
	v_fma_f64 v[33:34], v[31:32], v[33:34], s[48:49]
	;; [unrolled: 1-line block ×3, first 2 shown]
	s_mov_b32 s50, 0x55555552
	v_fma_f64 v[43:44], v[35:36], v[43:44], s[48:49]
	v_fma_f64 v[51:52], v[35:36], v[51:52], s[46:47]
	;; [unrolled: 1-line block ×4, first 2 shown]
	v_mul_f64 v[61:62], v[13:14], 0.5
	v_fma_f64 v[23:24], v[21:22], v[23:24], s[50:51]
	s_mov_b32 s50, 0x55555555
	s_delay_alu instid0(SALU_CYCLE_1)
	s_mov_b32 s36, s50
	v_fma_f64 v[39:40], v[31:32], v[39:40], s[2:3]
	v_fma_f64 v[33:34], v[31:32], v[33:34], s[44:45]
	;; [unrolled: 1-line block ×3, first 2 shown]
	s_mov_b32 s6, 0x55555557
	v_fma_f64 v[43:44], v[35:36], v[43:44], s[44:45]
	v_fma_f64 v[51:52], v[35:36], v[51:52], s[2:3]
	;; [unrolled: 1-line block ×4, first 2 shown]
	s_mov_b32 s2, 11
	s_mov_b32 s3, 0x3fe00000
	v_fma_f64 v[23:24], v[21:22], v[23:24], s[6:7]
	s_mov_b32 s6, 0x16c16967
	s_mov_b32 s7, 0xbf56c16c
	s_delay_alu instid0(SALU_CYCLE_1)
	v_fma_f64 v[39:40], v[31:32], v[39:40], s[6:7]
	v_fma_f64 v[33:34], v[55:56], v[33:34], v[53:54]
	v_add_f64 v[53:54], -v[59:60], 1.0
	v_fma_f64 v[25:26], v[21:22], v[25:26], s[2:3]
	v_fma_f64 v[43:44], v[65:66], v[43:44], v[61:62]
	;; [unrolled: 1-line block ×3, first 2 shown]
	v_ldexp_f64 v[51:52], 1.0, v74
	v_cmp_class_f64_e64 s3, v[5:6], 0x1f8
	v_lshlrev_b32_e32 v5, 30, v28
	v_fma_f64 v[23:24], v[21:22], v[23:24], 0.5
	v_fma_f64 v[39:40], v[31:32], v[39:40], s[50:51]
	v_fma_f64 v[9:10], v[31:32], v[33:34], -v[9:10]
	v_mul_f64 v[31:32], v[17:18], 0.5
	v_mul_f64 v[33:34], v[15:16], -v[41:42]
	v_add_f64 v[71:72], -v[53:54], 1.0
	v_fma_f64 v[13:14], v[35:36], v[43:44], -v[13:14]
	v_fma_f64 v[49:50], v[35:36], v[49:50], s[50:51]
	v_fma_f64 v[25:26], v[21:22], v[25:26], 1.0
	v_mul_f64 v[23:24], v[21:22], v[23:24]
	v_fma_f64 v[37:38], v[69:70], v[39:40], v[37:38]
	v_fma_f64 v[9:10], v[55:56], s[36:37], v[9:10]
	;; [unrolled: 1-line block ×4, first 2 shown]
	v_add_f64 v[39:40], v[71:72], -v[59:60]
	v_mul_f64 v[47:48], v[35:36], v[35:36]
	v_add_f64 v[35:36], v[51:52], -1.0
	v_fma_f64 v[13:14], v[65:66], s[36:37], v[13:14]
	v_cmp_nlt_f64_e64 s6, 0x40900000, v[0:1]
	v_cmp_ngt_f64_e64 s7, 0xc090cc00, v[0:1]
	v_fma_f64 v[23:24], v[21:22], v[23:24], v[21:22]
	v_fma_f64 v[21:22], v[21:22], v[25:26], 1.0
	v_add_f64 v[37:38], v[45:46], v[37:38]
	v_add_f64 v[7:8], v[7:8], -v[9:10]
	v_mul_f64 v[9:10], v[41:42], v[41:42]
	v_fma_f64 v[43:44], v[41:42], v[55:56], s[50:51]
	v_fma_f64 v[39:40], v[15:16], -v[17:18], v[39:40]
	v_fma_f64 v[17:18], v[41:42], v[31:32], -v[17:18]
	v_fma_f64 v[19:20], v[47:48], v[49:50], v[19:20]
	v_and_b32_e32 v31, 1, v28
	v_add_f64 v[11:12], v[11:12], -v[13:14]
	s_delay_alu instid0(VALU_DEP_2) | instskip(SKIP_1) | instid1(VALU_DEP_2)
	v_cmp_eq_u32_e64 s2, 0, v31
	v_fma_f64 v[23:24], v[51:52], v[23:24], v[35:36]
	v_cndmask_b32_e64 v25, v37, v7, s2
	v_xor_b32_e32 v7, v5, v6
	v_cndmask_b32_e64 v13, v38, v8, s2
	v_fma_f64 v[5:6], v[9:10], v[43:44], v[39:40]
	v_fma_f64 v[9:10], v[33:34], s[36:37], v[17:18]
	v_add_f64 v[17:18], v[63:64], v[19:20]
	v_and_b32_e32 v26, 0x80000000, v7
	v_cndmask_b32_e64 v19, 0, v25, s3
	v_xor_b32_e32 v12, 0x80000000, v12
	s_delay_alu instid0(VALU_DEP_3) | instskip(SKIP_1) | instid1(VALU_DEP_2)
	v_xor_b32_e32 v20, v13, v26
	v_ldexp_f64 v[13:14], v[21:22], v73
	v_cndmask_b32_e64 v20, 0x7ff80000, v20, s3
	v_cmp_class_f64_e64 s3, v[2:3], 0x1f8
	s_delay_alu instid0(VALU_DEP_2)
	v_add_f64 v[21:22], v[19:20], v[19:20]
	v_add_f64 v[7:8], v[23:24], v[23:24]
	v_and_b32_e32 v25, 1, v29
	v_lshlrev_b32_e32 v2, 30, v30
	v_add_f64 v[5:6], v[53:54], v[5:6]
	v_add_f64 v[9:10], v[15:16], -v[9:10]
	v_lshlrev_b32_e32 v16, 30, v29
	v_mul_f64 v[0:1], v[21:22], v[19:20]
	v_dual_cndmask_b32 v7, v23, v7 :: v_dual_cndmask_b32 v8, v24, v8
	s_and_b32 vcc_lo, s5, s4
	v_cmp_eq_u32_e64 s2, 0, v25
	v_xor_b32_e32 v2, v2, v3
	v_and_b32_e32 v3, 0x80000000, v16
	v_cndmask_b32_e64 v15, 0x7ff00000, v8, s4
	v_cndmask_b32_e64 v8, 0x7ff00000, v14, s6
	v_and_b32_e32 v14, 1, v30
	v_cndmask_b32_e64 v12, v12, v18, s2
	v_and_b32_e32 v2, 0x80000000, v2
	v_cndmask_b32_e64 v11, v11, v17, s2
	v_cndmask_b32_e64 v8, 0, v8, s7
	v_cmp_eq_u32_e64 s8, 0, v14
	v_xor_b32_e32 v3, v12, v3
	s_delay_alu instid0(VALU_DEP_2)
	v_cndmask_b32_e64 v6, v6, v10, s8
	v_cndmask_b32_e64 v5, v5, v9, s8
	v_cndmask_b32_e32 v9, 0, v7, vcc_lo
	s_and_b32 vcc_lo, s7, s6
	v_cndmask_b32_e64 v3, 0x7ff80000, v3, s3
	v_xor_b32_e32 v6, v6, v2
	v_cndmask_b32_e64 v2, 0, v11, s3
	v_cndmask_b32_e64 v5, 0, v5, s3
	;; [unrolled: 1-line block ×3, first 2 shown]
	v_cndmask_b32_e32 v7, 0, v13, vcc_lo
	v_cndmask_b32_e64 v6, 0x7ff80000, v6, s3
	s_delay_alu instid0(VALU_DEP_3) | instskip(NEXT) | instid1(VALU_DEP_2)
	v_fma_f64 v[0:1], v[9:10], v[2:3], -v[0:1]
	v_mul_f64 v[2:3], v[7:8], v[5:6]
	global_store_b128 v4, v[0:3], s[12:13]
	s_or_b32 exec_lo, exec_lo, s34
	s_delay_alu instid0(SALU_CYCLE_1)
	s_mov_b32 s34, exec_lo
	v_cmpx_gt_i32_e64 s31, v27
	s_cbranch_execz .LBB129_185
.LBB129_159:
	s_and_not1_b32 vcc_lo, exec_lo, s27
	s_cbranch_vccnz .LBB129_164
; %bb.160:
	v_mov_b32_e32 v4, 0
	v_mov_b32_e32 v0, 0
	s_and_not1_b32 vcc_lo, exec_lo, s33
	s_mov_b32 s6, 0
	s_cbranch_vccnz .LBB129_169
; %bb.161:
	v_mov_b32_e32 v4, 0
	s_add_i32 s8, s30, 1
	s_cmp_eq_u32 s26, 2
	s_mov_b32 s7, 0
	s_cbranch_scc1 .LBB129_165
; %bb.162:
	v_dual_mov_b32 v0, 0 :: v_dual_mov_b32 v1, v27
	v_mov_b32_e32 v4, 0
	s_and_b32 s7, s8, 28
	s_mov_b32 s35, 0
	s_mov_b64 s[2:3], s[24:25]
	s_mov_b64 s[4:5], s[0:1]
.LBB129_163:                            ; =>This Inner Loop Header: Depth=1
	s_clause 0x1
	s_load_b256 s[36:43], s[4:5], 0x4
	s_load_b128 s[52:55], s[4:5], 0x24
	s_load_b256 s[44:51], s[2:3], 0x0
	s_add_u32 s4, s4, 48
	s_addc_u32 s5, s5, 0
	s_add_i32 s35, s35, 4
	s_add_u32 s2, s2, 32
	s_addc_u32 s3, s3, 0
	s_cmp_eq_u32 s7, s35
	s_waitcnt lgkmcnt(0)
	v_mul_hi_u32 v2, s37, v1
	s_delay_alu instid0(VALU_DEP_1) | instskip(NEXT) | instid1(VALU_DEP_1)
	v_add_nc_u32_e32 v2, v1, v2
	v_lshrrev_b32_e32 v2, s38, v2
	s_delay_alu instid0(VALU_DEP_1) | instskip(SKIP_1) | instid1(VALU_DEP_2)
	v_mul_hi_u32 v3, s40, v2
	v_mul_lo_u32 v6, v2, s36
	v_add_nc_u32_e32 v3, v2, v3
	s_delay_alu instid0(VALU_DEP_2) | instskip(NEXT) | instid1(VALU_DEP_2)
	v_sub_nc_u32_e32 v1, v1, v6
	v_lshrrev_b32_e32 v3, s41, v3
	s_delay_alu instid0(VALU_DEP_2) | instskip(SKIP_1) | instid1(VALU_DEP_3)
	v_mul_lo_u32 v6, v1, s44
	v_mul_lo_u32 v8, v1, s45
	v_mul_hi_u32 v5, s43, v3
	s_delay_alu instid0(VALU_DEP_1) | instskip(NEXT) | instid1(VALU_DEP_1)
	v_add_nc_u32_e32 v5, v3, v5
	v_lshrrev_b32_e32 v5, s52, v5
	s_delay_alu instid0(VALU_DEP_1) | instskip(SKIP_1) | instid1(VALU_DEP_2)
	v_mul_hi_u32 v7, s54, v5
	v_mul_lo_u32 v9, v5, s42
	v_add_nc_u32_e32 v1, v5, v7
	v_mul_lo_u32 v7, v3, s39
	s_delay_alu instid0(VALU_DEP_3) | instskip(NEXT) | instid1(VALU_DEP_3)
	v_sub_nc_u32_e32 v3, v3, v9
	v_lshrrev_b32_e32 v1, s55, v1
	s_delay_alu instid0(VALU_DEP_2) | instskip(SKIP_2) | instid1(VALU_DEP_4)
	v_mul_lo_u32 v9, v3, s48
	v_mul_lo_u32 v3, v3, s49
	v_sub_nc_u32_e32 v2, v2, v7
	v_mul_lo_u32 v10, v1, s53
	s_delay_alu instid0(VALU_DEP_2) | instskip(SKIP_1) | instid1(VALU_DEP_3)
	v_mul_lo_u32 v7, v2, s46
	v_mul_lo_u32 v2, v2, s47
	v_sub_nc_u32_e32 v5, v5, v10
	s_delay_alu instid0(VALU_DEP_3) | instskip(NEXT) | instid1(VALU_DEP_2)
	v_add3_u32 v4, v6, v4, v7
	v_mul_lo_u32 v10, v5, s50
	v_mul_lo_u32 v5, v5, s51
	v_add3_u32 v0, v8, v0, v2
	s_delay_alu instid0(VALU_DEP_3) | instskip(NEXT) | instid1(VALU_DEP_2)
	v_add3_u32 v4, v9, v4, v10
	v_add3_u32 v0, v3, v0, v5
	s_cbranch_scc0 .LBB129_163
	s_branch .LBB129_166
.LBB129_164:
	s_mov_b32 s6, -1
                                        ; implicit-def: $vgpr4
                                        ; implicit-def: $vgpr0
	s_branch .LBB129_169
.LBB129_165:
	v_dual_mov_b32 v1, v27 :: v_dual_mov_b32 v0, 0
.LBB129_166:
	s_and_b32 s8, s8, 3
	s_delay_alu instid0(SALU_CYCLE_1)
	s_cmp_eq_u32 s8, 0
	s_cbranch_scc1 .LBB129_169
; %bb.167:
	s_lshl_b32 s2, s7, 3
	s_mul_i32 s4, s7, 12
	s_add_u32 s2, s2, s0
	s_addc_u32 s3, s1, 0
	s_add_u32 s2, s2, 0xc4
	s_addc_u32 s3, s3, 0
	;; [unrolled: 2-line block ×3, first 2 shown]
	.p2align	6
.LBB129_168:                            ; =>This Inner Loop Header: Depth=1
	s_clause 0x1
	s_load_b64 s[36:37], s[4:5], 0x4
	s_load_b32 s7, s[4:5], 0xc
	s_load_b64 s[38:39], s[2:3], 0x0
	s_add_u32 s4, s4, 12
	s_addc_u32 s5, s5, 0
	s_add_u32 s2, s2, 8
	s_addc_u32 s3, s3, 0
	s_add_i32 s8, s8, -1
	s_delay_alu instid0(SALU_CYCLE_1) | instskip(SKIP_2) | instid1(VALU_DEP_1)
	s_cmp_lg_u32 s8, 0
	s_waitcnt lgkmcnt(0)
	v_mul_hi_u32 v2, s37, v1
	v_add_nc_u32_e32 v2, v1, v2
	s_delay_alu instid0(VALU_DEP_1) | instskip(NEXT) | instid1(VALU_DEP_1)
	v_lshrrev_b32_e32 v5, s7, v2
	v_mul_lo_u32 v2, v5, s36
	s_delay_alu instid0(VALU_DEP_1) | instskip(NEXT) | instid1(VALU_DEP_1)
	v_sub_nc_u32_e32 v1, v1, v2
	v_mad_u64_u32 v[2:3], null, v1, s38, v[4:5]
	v_mad_u64_u32 v[3:4], null, v1, s39, v[0:1]
	s_delay_alu instid0(VALU_DEP_2) | instskip(NEXT) | instid1(VALU_DEP_2)
	v_dual_mov_b32 v1, v5 :: v_dual_mov_b32 v4, v2
	v_mov_b32_e32 v0, v3
	s_cbranch_scc1 .LBB129_168
.LBB129_169:
	s_and_not1_b32 vcc_lo, exec_lo, s6
	s_cbranch_vccnz .LBB129_172
; %bb.170:
	s_waitcnt lgkmcnt(0)
	v_mul_hi_u32 v0, s21, v27
	s_and_not1_b32 vcc_lo, exec_lo, s29
	s_delay_alu instid0(VALU_DEP_1) | instskip(NEXT) | instid1(VALU_DEP_1)
	v_add_nc_u32_e32 v0, v27, v0
	v_lshrrev_b32_e32 v1, s22, v0
	s_delay_alu instid0(VALU_DEP_1) | instskip(NEXT) | instid1(VALU_DEP_1)
	v_mul_lo_u32 v0, v1, s20
	v_sub_nc_u32_e32 v0, v27, v0
	s_delay_alu instid0(VALU_DEP_1)
	v_mul_lo_u32 v4, v0, s16
	v_mul_lo_u32 v0, v0, s17
	s_cbranch_vccnz .LBB129_172
; %bb.171:
	v_mul_hi_u32 v2, s10, v1
	s_delay_alu instid0(VALU_DEP_1) | instskip(NEXT) | instid1(VALU_DEP_1)
	v_add_nc_u32_e32 v2, v1, v2
	v_lshrrev_b32_e32 v2, s11, v2
	s_delay_alu instid0(VALU_DEP_1) | instskip(NEXT) | instid1(VALU_DEP_1)
	v_mul_lo_u32 v2, v2, s23
	v_sub_nc_u32_e32 v5, v1, v2
	s_delay_alu instid0(VALU_DEP_1) | instskip(NEXT) | instid1(VALU_DEP_1)
	v_mad_u64_u32 v[1:2], null, v5, s18, v[4:5]
	v_mad_u64_u32 v[2:3], null, v5, s19, v[0:1]
	v_mov_b32_e32 v4, v1
	s_delay_alu instid0(VALU_DEP_2)
	v_mov_b32_e32 v0, v2
.LBB129_172:
	s_waitcnt lgkmcnt(0)
	global_load_b128 v[0:3], v0, s[14:15]
	s_mov_b32 s3, exec_lo
                                        ; implicit-def: $vgpr28
                                        ; implicit-def: $vgpr7_vgpr8
                                        ; implicit-def: $vgpr9_vgpr10
	s_waitcnt vmcnt(0)
	v_mul_f64 v[5:6], v[2:3], 0.5
	s_delay_alu instid0(VALU_DEP_1)
	v_cmpx_ngt_f64_e64 0x41d00000, |v[5:6]|
	s_xor_b32 s3, exec_lo, s3
	s_cbranch_execz .LBB129_174
; %bb.173:
	v_ldexp_f64 v[7:8], |v[5:6]|, 0xffffff80
	v_cmp_le_f64_e64 vcc_lo, 0x7b000000, |v[5:6]|
	v_trig_preop_f64 v[9:10], |v[5:6]|, 0
	v_and_b32_e32 v11, 0x7fffffff, v6
	v_trig_preop_f64 v[21:22], |v[5:6]|, 2
	s_mov_b32 s4, 0x54442d18
	s_mov_b32 s5, 0x3ff921fb
	;; [unrolled: 1-line block ×4, first 2 shown]
	v_mov_b32_e32 v30, 0
	v_dual_cndmask_b32 v8, v11, v8 :: v_dual_cndmask_b32 v7, v5, v7
	v_trig_preop_f64 v[11:12], |v[5:6]|, 1
	s_delay_alu instid0(VALU_DEP_2) | instskip(SKIP_1) | instid1(VALU_DEP_3)
	v_mul_f64 v[13:14], v[9:10], v[7:8]
	v_mul_f64 v[28:29], v[21:22], v[7:8]
	;; [unrolled: 1-line block ×3, first 2 shown]
	s_delay_alu instid0(VALU_DEP_3) | instskip(NEXT) | instid1(VALU_DEP_2)
	v_fma_f64 v[9:10], v[9:10], v[7:8], -v[13:14]
	v_fma_f64 v[11:12], v[11:12], v[7:8], -v[15:16]
	s_delay_alu instid0(VALU_DEP_4) | instskip(NEXT) | instid1(VALU_DEP_3)
	v_fma_f64 v[7:8], v[21:22], v[7:8], -v[28:29]
	v_add_f64 v[17:18], v[15:16], v[9:10]
	s_delay_alu instid0(VALU_DEP_1) | instskip(SKIP_1) | instid1(VALU_DEP_2)
	v_add_f64 v[19:20], v[17:18], -v[15:16]
	v_add_f64 v[25:26], v[13:14], v[17:18]
	v_add_f64 v[23:24], v[17:18], -v[19:20]
	v_add_f64 v[9:10], v[9:10], -v[19:20]
	s_delay_alu instid0(VALU_DEP_3) | instskip(SKIP_1) | instid1(VALU_DEP_4)
	v_ldexp_f64 v[19:20], v[25:26], -2
	v_add_f64 v[13:14], v[25:26], -v[13:14]
	v_add_f64 v[15:16], v[15:16], -v[23:24]
	v_add_f64 v[23:24], v[28:29], v[11:12]
	s_delay_alu instid0(VALU_DEP_4) | instskip(NEXT) | instid1(VALU_DEP_4)
	v_cmp_neq_f64_e64 vcc_lo, 0x7ff00000, |v[19:20]|
	v_add_f64 v[13:14], v[17:18], -v[13:14]
	s_delay_alu instid0(VALU_DEP_4) | instskip(SKIP_1) | instid1(VALU_DEP_2)
	v_add_f64 v[9:10], v[9:10], v[15:16]
	v_fract_f64_e32 v[15:16], v[19:20]
	v_add_f64 v[17:18], v[23:24], v[9:10]
	s_delay_alu instid0(VALU_DEP_2) | instskip(NEXT) | instid1(VALU_DEP_1)
	v_dual_cndmask_b32 v16, 0, v16 :: v_dual_cndmask_b32 v15, 0, v15
	v_ldexp_f64 v[15:16], v[15:16], 2
	s_delay_alu instid0(VALU_DEP_3) | instskip(NEXT) | instid1(VALU_DEP_1)
	v_add_f64 v[19:20], v[13:14], v[17:18]
	v_add_f64 v[25:26], v[19:20], v[15:16]
	v_add_f64 v[13:14], v[19:20], -v[13:14]
	s_delay_alu instid0(VALU_DEP_2) | instskip(SKIP_1) | instid1(VALU_DEP_3)
	v_cmp_gt_f64_e32 vcc_lo, 0, v[25:26]
	v_add_f64 v[25:26], v[23:24], -v[28:29]
	v_add_f64 v[13:14], v[17:18], -v[13:14]
	v_cndmask_b32_e64 v31, 0, 0x40100000, vcc_lo
	s_delay_alu instid0(VALU_DEP_3) | instskip(SKIP_1) | instid1(VALU_DEP_3)
	v_add_f64 v[35:36], v[23:24], -v[25:26]
	v_add_f64 v[11:12], v[11:12], -v[25:26]
	v_add_f64 v[15:16], v[15:16], v[30:31]
	v_add_f64 v[31:32], v[17:18], -v[23:24]
	s_delay_alu instid0(VALU_DEP_4) | instskip(NEXT) | instid1(VALU_DEP_3)
	v_add_f64 v[25:26], v[28:29], -v[35:36]
	v_add_f64 v[33:34], v[19:20], v[15:16]
	s_delay_alu instid0(VALU_DEP_3) | instskip(SKIP_1) | instid1(VALU_DEP_4)
	v_add_f64 v[37:38], v[17:18], -v[31:32]
	v_add_f64 v[9:10], v[9:10], -v[31:32]
	v_add_f64 v[11:12], v[11:12], v[25:26]
	s_delay_alu instid0(VALU_DEP_4) | instskip(NEXT) | instid1(VALU_DEP_4)
	v_cvt_i32_f64_e32 v33, v[33:34]
	v_add_f64 v[23:24], v[23:24], -v[37:38]
	s_delay_alu instid0(VALU_DEP_2) | instskip(NEXT) | instid1(VALU_DEP_2)
	v_cvt_f64_i32_e32 v[31:32], v33
	v_add_f64 v[9:10], v[9:10], v[23:24]
	s_delay_alu instid0(VALU_DEP_2) | instskip(NEXT) | instid1(VALU_DEP_2)
	v_add_f64 v[15:16], v[15:16], -v[31:32]
	v_add_f64 v[9:10], v[11:12], v[9:10]
	s_delay_alu instid0(VALU_DEP_2) | instskip(NEXT) | instid1(VALU_DEP_2)
	v_add_f64 v[11:12], v[19:20], v[15:16]
	v_add_f64 v[7:8], v[7:8], v[9:10]
	s_delay_alu instid0(VALU_DEP_2) | instskip(SKIP_1) | instid1(VALU_DEP_3)
	v_add_f64 v[9:10], v[11:12], -v[15:16]
	v_cmp_le_f64_e32 vcc_lo, 0.5, v[11:12]
	v_add_f64 v[7:8], v[13:14], v[7:8]
	s_delay_alu instid0(VALU_DEP_3) | instskip(SKIP_2) | instid1(VALU_DEP_3)
	v_add_f64 v[9:10], v[19:20], -v[9:10]
	v_cndmask_b32_e64 v31, 0, 0x3ff00000, vcc_lo
	v_add_co_ci_u32_e64 v28, s2, 0, v33, vcc_lo
	v_add_f64 v[7:8], v[7:8], v[9:10]
	s_delay_alu instid0(VALU_DEP_3) | instskip(NEXT) | instid1(VALU_DEP_1)
	v_add_f64 v[9:10], v[11:12], -v[30:31]
	v_add_f64 v[11:12], v[9:10], v[7:8]
	s_delay_alu instid0(VALU_DEP_1) | instskip(SKIP_1) | instid1(VALU_DEP_2)
	v_mul_f64 v[13:14], v[11:12], s[4:5]
	v_add_f64 v[9:10], v[11:12], -v[9:10]
	v_fma_f64 v[15:16], v[11:12], s[4:5], -v[13:14]
	s_delay_alu instid0(VALU_DEP_2) | instskip(NEXT) | instid1(VALU_DEP_2)
	v_add_f64 v[7:8], v[7:8], -v[9:10]
	v_fma_f64 v[9:10], v[11:12], s[6:7], v[15:16]
	s_delay_alu instid0(VALU_DEP_1) | instskip(NEXT) | instid1(VALU_DEP_1)
	v_fma_f64 v[9:10], v[7:8], s[4:5], v[9:10]
	v_add_f64 v[7:8], v[13:14], v[9:10]
	s_delay_alu instid0(VALU_DEP_1) | instskip(NEXT) | instid1(VALU_DEP_1)
	v_add_f64 v[11:12], v[7:8], -v[13:14]
	v_add_f64 v[9:10], v[9:10], -v[11:12]
.LBB129_174:
	s_and_not1_saveexec_b32 s2, s3
	s_cbranch_execz .LBB129_176
; %bb.175:
	s_mov_b32 s4, 0x6dc9c883
	s_mov_b32 s5, 0x3fe45f30
	;; [unrolled: 1-line block ×3, first 2 shown]
	v_mul_f64 v[7:8], |v[5:6]|, s[4:5]
	s_mov_b32 s4, 0x54442d18
	s_mov_b32 s5, 0xbff921fb
	;; [unrolled: 1-line block ×3, first 2 shown]
	s_delay_alu instid0(VALU_DEP_1) | instskip(NEXT) | instid1(VALU_DEP_1)
	v_rndne_f64_e32 v[11:12], v[7:8]
	v_fma_f64 v[7:8], v[11:12], s[4:5], |v[5:6]|
	v_mul_f64 v[9:10], v[11:12], s[6:7]
	s_mov_b32 s4, 0x252049c0
	s_mov_b32 s5, 0xb97b839a
	v_cvt_i32_f64_e32 v28, v[11:12]
	s_delay_alu instid0(VALU_DEP_3) | instskip(NEXT) | instid1(VALU_DEP_3)
	v_fma_f64 v[15:16], v[11:12], s[6:7], v[7:8]
	v_add_f64 v[13:14], v[7:8], v[9:10]
	s_mov_b32 s7, 0x3c91a626
	s_delay_alu instid0(VALU_DEP_1) | instskip(NEXT) | instid1(VALU_DEP_3)
	v_add_f64 v[7:8], v[7:8], -v[13:14]
	v_add_f64 v[13:14], v[13:14], -v[15:16]
	s_delay_alu instid0(VALU_DEP_2) | instskip(SKIP_1) | instid1(VALU_DEP_2)
	v_add_f64 v[7:8], v[7:8], v[9:10]
	v_fma_f64 v[9:10], v[11:12], s[6:7], v[9:10]
	v_add_f64 v[7:8], v[13:14], v[7:8]
	s_delay_alu instid0(VALU_DEP_1) | instskip(NEXT) | instid1(VALU_DEP_1)
	v_add_f64 v[7:8], v[7:8], -v[9:10]
	v_fma_f64 v[9:10], v[11:12], s[4:5], v[7:8]
	s_delay_alu instid0(VALU_DEP_1) | instskip(NEXT) | instid1(VALU_DEP_1)
	v_add_f64 v[7:8], v[15:16], v[9:10]
	v_add_f64 v[13:14], v[7:8], -v[15:16]
	s_delay_alu instid0(VALU_DEP_1)
	v_add_f64 v[9:10], v[9:10], -v[13:14]
.LBB129_176:
	s_or_b32 exec_lo, exec_lo, s2
	v_cmp_ngt_f64_e64 s3, 0x41d00000, |v[2:3]|
	v_trig_preop_f64 v[23:24], |v[2:3]|, 0
	v_trig_preop_f64 v[21:22], |v[2:3]|, 1
	v_ldexp_f64 v[25:26], |v[2:3]|, 0xffffff80
	v_trig_preop_f64 v[19:20], |v[2:3]|, 2
	v_and_b32_e32 v31, 0x7fffffff, v3
                                        ; implicit-def: $vgpr29
                                        ; implicit-def: $vgpr11_vgpr12
                                        ; implicit-def: $vgpr13_vgpr14
	s_and_saveexec_b32 s2, s3
	s_delay_alu instid0(SALU_CYCLE_1)
	s_xor_b32 s4, exec_lo, s2
	s_cbranch_execz .LBB129_178
; %bb.177:
	v_cmp_le_f64_e64 vcc_lo, 0x7b000000, |v[2:3]|
	v_mov_b32_e32 v42, 0
	s_mov_b32 s6, 0x54442d18
	s_mov_b32 s7, 0x3ff921fb
	;; [unrolled: 1-line block ×4, first 2 shown]
	v_dual_cndmask_b32 v12, v31, v26 :: v_dual_cndmask_b32 v11, v2, v25
	s_delay_alu instid0(VALU_DEP_1) | instskip(SKIP_2) | instid1(VALU_DEP_3)
	v_mul_f64 v[13:14], v[23:24], v[11:12]
	v_mul_f64 v[15:16], v[21:22], v[11:12]
	;; [unrolled: 1-line block ×3, first 2 shown]
	v_fma_f64 v[17:18], v[23:24], v[11:12], -v[13:14]
	s_delay_alu instid0(VALU_DEP_3) | instskip(NEXT) | instid1(VALU_DEP_3)
	v_fma_f64 v[40:41], v[21:22], v[11:12], -v[15:16]
	v_fma_f64 v[11:12], v[19:20], v[11:12], -v[38:39]
	s_delay_alu instid0(VALU_DEP_3) | instskip(NEXT) | instid1(VALU_DEP_1)
	v_add_f64 v[29:30], v[15:16], v[17:18]
	v_add_f64 v[32:33], v[29:30], -v[15:16]
	v_add_f64 v[36:37], v[13:14], v[29:30]
	s_delay_alu instid0(VALU_DEP_2) | instskip(SKIP_1) | instid1(VALU_DEP_3)
	v_add_f64 v[34:35], v[29:30], -v[32:33]
	v_add_f64 v[17:18], v[17:18], -v[32:33]
	v_ldexp_f64 v[32:33], v[36:37], -2
	v_add_f64 v[13:14], v[36:37], -v[13:14]
	s_delay_alu instid0(VALU_DEP_4) | instskip(SKIP_1) | instid1(VALU_DEP_4)
	v_add_f64 v[15:16], v[15:16], -v[34:35]
	v_add_f64 v[34:35], v[38:39], v[40:41]
	v_cmp_neq_f64_e64 vcc_lo, 0x7ff00000, |v[32:33]|
	s_delay_alu instid0(VALU_DEP_4) | instskip(NEXT) | instid1(VALU_DEP_4)
	v_add_f64 v[13:14], v[29:30], -v[13:14]
	v_add_f64 v[15:16], v[17:18], v[15:16]
	v_fract_f64_e32 v[17:18], v[32:33]
	s_delay_alu instid0(VALU_DEP_2) | instskip(NEXT) | instid1(VALU_DEP_2)
	v_add_f64 v[29:30], v[34:35], v[15:16]
	v_dual_cndmask_b32 v18, 0, v18 :: v_dual_cndmask_b32 v17, 0, v17
	s_delay_alu instid0(VALU_DEP_1) | instskip(NEXT) | instid1(VALU_DEP_3)
	v_ldexp_f64 v[17:18], v[17:18], 2
	v_add_f64 v[32:33], v[13:14], v[29:30]
	s_delay_alu instid0(VALU_DEP_1) | instskip(SKIP_1) | instid1(VALU_DEP_2)
	v_add_f64 v[36:37], v[32:33], v[17:18]
	v_add_f64 v[13:14], v[32:33], -v[13:14]
	v_cmp_gt_f64_e32 vcc_lo, 0, v[36:37]
	v_add_f64 v[36:37], v[34:35], -v[38:39]
	s_delay_alu instid0(VALU_DEP_3) | instskip(SKIP_1) | instid1(VALU_DEP_3)
	v_add_f64 v[13:14], v[29:30], -v[13:14]
	v_cndmask_b32_e64 v43, 0, 0x40100000, vcc_lo
	v_add_f64 v[47:48], v[34:35], -v[36:37]
	v_add_f64 v[36:37], v[40:41], -v[36:37]
	s_delay_alu instid0(VALU_DEP_3) | instskip(SKIP_1) | instid1(VALU_DEP_4)
	v_add_f64 v[17:18], v[17:18], v[42:43]
	v_add_f64 v[43:44], v[29:30], -v[34:35]
	v_add_f64 v[40:41], v[38:39], -v[47:48]
	s_delay_alu instid0(VALU_DEP_3) | instskip(NEXT) | instid1(VALU_DEP_3)
	v_add_f64 v[45:46], v[32:33], v[17:18]
	v_add_f64 v[49:50], v[29:30], -v[43:44]
	v_add_f64 v[15:16], v[15:16], -v[43:44]
	s_delay_alu instid0(VALU_DEP_4) | instskip(NEXT) | instid1(VALU_DEP_4)
	v_add_f64 v[36:37], v[36:37], v[40:41]
	v_cvt_i32_f64_e32 v45, v[45:46]
	s_delay_alu instid0(VALU_DEP_4) | instskip(NEXT) | instid1(VALU_DEP_2)
	v_add_f64 v[34:35], v[34:35], -v[49:50]
	v_cvt_f64_i32_e32 v[43:44], v45
	s_delay_alu instid0(VALU_DEP_2) | instskip(NEXT) | instid1(VALU_DEP_2)
	v_add_f64 v[15:16], v[15:16], v[34:35]
	v_add_f64 v[17:18], v[17:18], -v[43:44]
	s_delay_alu instid0(VALU_DEP_2) | instskip(NEXT) | instid1(VALU_DEP_2)
	v_add_f64 v[15:16], v[36:37], v[15:16]
	v_add_f64 v[34:35], v[32:33], v[17:18]
	s_delay_alu instid0(VALU_DEP_2) | instskip(NEXT) | instid1(VALU_DEP_2)
	v_add_f64 v[11:12], v[11:12], v[15:16]
	v_add_f64 v[15:16], v[34:35], -v[17:18]
	v_cmp_le_f64_e32 vcc_lo, 0.5, v[34:35]
	s_delay_alu instid0(VALU_DEP_3) | instskip(NEXT) | instid1(VALU_DEP_3)
	v_add_f64 v[11:12], v[13:14], v[11:12]
	v_add_f64 v[13:14], v[32:33], -v[15:16]
	v_cndmask_b32_e64 v43, 0, 0x3ff00000, vcc_lo
	v_add_co_ci_u32_e64 v29, s2, 0, v45, vcc_lo
	s_delay_alu instid0(VALU_DEP_3) | instskip(NEXT) | instid1(VALU_DEP_3)
	v_add_f64 v[11:12], v[11:12], v[13:14]
	v_add_f64 v[13:14], v[34:35], -v[42:43]
	s_delay_alu instid0(VALU_DEP_1) | instskip(NEXT) | instid1(VALU_DEP_1)
	v_add_f64 v[15:16], v[13:14], v[11:12]
	v_mul_f64 v[17:18], v[15:16], s[6:7]
	v_add_f64 v[13:14], v[15:16], -v[13:14]
	s_delay_alu instid0(VALU_DEP_2) | instskip(NEXT) | instid1(VALU_DEP_2)
	v_fma_f64 v[32:33], v[15:16], s[6:7], -v[17:18]
	v_add_f64 v[11:12], v[11:12], -v[13:14]
	s_delay_alu instid0(VALU_DEP_2) | instskip(NEXT) | instid1(VALU_DEP_1)
	v_fma_f64 v[13:14], v[15:16], s[36:37], v[32:33]
	v_fma_f64 v[13:14], v[11:12], s[6:7], v[13:14]
	s_delay_alu instid0(VALU_DEP_1) | instskip(NEXT) | instid1(VALU_DEP_1)
	v_add_f64 v[11:12], v[17:18], v[13:14]
	v_add_f64 v[15:16], v[11:12], -v[17:18]
	s_delay_alu instid0(VALU_DEP_1)
	v_add_f64 v[13:14], v[13:14], -v[15:16]
	s_and_not1_saveexec_b32 s2, s4
	s_cbranch_execz .LBB129_180
	s_branch .LBB129_179
.LBB129_178:
	s_and_not1_saveexec_b32 s2, s4
	s_cbranch_execz .LBB129_180
.LBB129_179:
	s_mov_b32 s4, 0x6dc9c883
	s_mov_b32 s5, 0x3fe45f30
	;; [unrolled: 1-line block ×3, first 2 shown]
	v_mul_f64 v[11:12], |v[2:3]|, s[4:5]
	s_mov_b32 s4, 0x54442d18
	s_mov_b32 s5, 0xbff921fb
	;; [unrolled: 1-line block ×3, first 2 shown]
	s_delay_alu instid0(VALU_DEP_1) | instskip(NEXT) | instid1(VALU_DEP_1)
	v_rndne_f64_e32 v[15:16], v[11:12]
	v_fma_f64 v[11:12], v[15:16], s[4:5], |v[2:3]|
	v_mul_f64 v[13:14], v[15:16], s[6:7]
	s_mov_b32 s4, 0x252049c0
	s_mov_b32 s5, 0xb97b839a
	s_delay_alu instid0(VALU_DEP_2) | instskip(NEXT) | instid1(VALU_DEP_2)
	v_fma_f64 v[29:30], v[15:16], s[6:7], v[11:12]
	v_add_f64 v[17:18], v[11:12], v[13:14]
	s_mov_b32 s7, 0x3c91a626
	s_delay_alu instid0(VALU_DEP_1) | instskip(NEXT) | instid1(VALU_DEP_3)
	v_add_f64 v[11:12], v[11:12], -v[17:18]
	v_add_f64 v[17:18], v[17:18], -v[29:30]
	s_delay_alu instid0(VALU_DEP_2) | instskip(SKIP_1) | instid1(VALU_DEP_2)
	v_add_f64 v[11:12], v[11:12], v[13:14]
	v_fma_f64 v[13:14], v[15:16], s[6:7], v[13:14]
	v_add_f64 v[11:12], v[17:18], v[11:12]
	s_delay_alu instid0(VALU_DEP_1) | instskip(NEXT) | instid1(VALU_DEP_1)
	v_add_f64 v[11:12], v[11:12], -v[13:14]
	v_fma_f64 v[13:14], v[15:16], s[4:5], v[11:12]
	s_delay_alu instid0(VALU_DEP_1) | instskip(NEXT) | instid1(VALU_DEP_1)
	v_add_f64 v[11:12], v[29:30], v[13:14]
	v_add_f64 v[17:18], v[11:12], -v[29:30]
	v_cvt_i32_f64_e32 v29, v[15:16]
	s_delay_alu instid0(VALU_DEP_2)
	v_add_f64 v[13:14], v[13:14], -v[17:18]
.LBB129_180:
	s_or_b32 exec_lo, exec_lo, s2
                                        ; implicit-def: $vgpr30
                                        ; implicit-def: $vgpr15_vgpr16
                                        ; implicit-def: $vgpr17_vgpr18
	s_and_saveexec_b32 s2, s3
	s_delay_alu instid0(SALU_CYCLE_1)
	s_xor_b32 s3, exec_lo, s2
	s_cbranch_execz .LBB129_182
; %bb.181:
	v_cmp_le_f64_e64 vcc_lo, 0x7b000000, |v[2:3]|
	v_mov_b32_e32 v40, 0
	s_mov_b32 s4, 0x54442d18
	s_mov_b32 s5, 0x3ff921fb
	;; [unrolled: 1-line block ×4, first 2 shown]
	v_dual_cndmask_b32 v16, v31, v26 :: v_dual_cndmask_b32 v15, v2, v25
	s_delay_alu instid0(VALU_DEP_1) | instskip(SKIP_2) | instid1(VALU_DEP_3)
	v_mul_f64 v[17:18], v[23:24], v[15:16]
	v_mul_f64 v[25:26], v[21:22], v[15:16]
	;; [unrolled: 1-line block ×3, first 2 shown]
	v_fma_f64 v[23:24], v[23:24], v[15:16], -v[17:18]
	s_delay_alu instid0(VALU_DEP_3) | instskip(NEXT) | instid1(VALU_DEP_3)
	v_fma_f64 v[21:22], v[21:22], v[15:16], -v[25:26]
	v_fma_f64 v[15:16], v[19:20], v[15:16], -v[38:39]
	s_delay_alu instid0(VALU_DEP_3) | instskip(NEXT) | instid1(VALU_DEP_1)
	v_add_f64 v[30:31], v[25:26], v[23:24]
	v_add_f64 v[32:33], v[30:31], -v[25:26]
	v_add_f64 v[36:37], v[17:18], v[30:31]
	s_delay_alu instid0(VALU_DEP_2) | instskip(SKIP_1) | instid1(VALU_DEP_3)
	v_add_f64 v[34:35], v[30:31], -v[32:33]
	v_add_f64 v[23:24], v[23:24], -v[32:33]
	v_ldexp_f64 v[32:33], v[36:37], -2
	v_add_f64 v[17:18], v[36:37], -v[17:18]
	s_delay_alu instid0(VALU_DEP_4) | instskip(SKIP_1) | instid1(VALU_DEP_4)
	v_add_f64 v[25:26], v[25:26], -v[34:35]
	v_add_f64 v[34:35], v[38:39], v[21:22]
	v_cmp_neq_f64_e64 vcc_lo, 0x7ff00000, |v[32:33]|
	s_delay_alu instid0(VALU_DEP_4) | instskip(NEXT) | instid1(VALU_DEP_4)
	v_add_f64 v[17:18], v[30:31], -v[17:18]
	v_add_f64 v[23:24], v[23:24], v[25:26]
	v_fract_f64_e32 v[25:26], v[32:33]
	s_delay_alu instid0(VALU_DEP_2) | instskip(NEXT) | instid1(VALU_DEP_2)
	v_add_f64 v[30:31], v[34:35], v[23:24]
	v_dual_cndmask_b32 v26, 0, v26 :: v_dual_cndmask_b32 v25, 0, v25
	s_delay_alu instid0(VALU_DEP_1) | instskip(NEXT) | instid1(VALU_DEP_3)
	v_ldexp_f64 v[25:26], v[25:26], 2
	v_add_f64 v[32:33], v[17:18], v[30:31]
	s_delay_alu instid0(VALU_DEP_1) | instskip(SKIP_1) | instid1(VALU_DEP_2)
	v_add_f64 v[36:37], v[32:33], v[25:26]
	v_add_f64 v[17:18], v[32:33], -v[17:18]
	v_cmp_gt_f64_e32 vcc_lo, 0, v[36:37]
	v_add_f64 v[36:37], v[34:35], -v[38:39]
	s_delay_alu instid0(VALU_DEP_3) | instskip(SKIP_1) | instid1(VALU_DEP_3)
	v_add_f64 v[17:18], v[30:31], -v[17:18]
	v_cndmask_b32_e64 v41, 0, 0x40100000, vcc_lo
	v_add_f64 v[45:46], v[34:35], -v[36:37]
	v_add_f64 v[21:22], v[21:22], -v[36:37]
	s_delay_alu instid0(VALU_DEP_3) | instskip(SKIP_1) | instid1(VALU_DEP_4)
	v_add_f64 v[25:26], v[25:26], v[40:41]
	v_add_f64 v[41:42], v[30:31], -v[34:35]
	v_add_f64 v[36:37], v[38:39], -v[45:46]
	s_delay_alu instid0(VALU_DEP_3) | instskip(NEXT) | instid1(VALU_DEP_3)
	v_add_f64 v[43:44], v[32:33], v[25:26]
	v_add_f64 v[47:48], v[30:31], -v[41:42]
	v_add_f64 v[23:24], v[23:24], -v[41:42]
	s_delay_alu instid0(VALU_DEP_4) | instskip(NEXT) | instid1(VALU_DEP_4)
	v_add_f64 v[21:22], v[21:22], v[36:37]
	v_cvt_i32_f64_e32 v43, v[43:44]
	s_delay_alu instid0(VALU_DEP_4) | instskip(NEXT) | instid1(VALU_DEP_2)
	v_add_f64 v[34:35], v[34:35], -v[47:48]
	v_cvt_f64_i32_e32 v[41:42], v43
	s_delay_alu instid0(VALU_DEP_2) | instskip(NEXT) | instid1(VALU_DEP_2)
	v_add_f64 v[23:24], v[23:24], v[34:35]
	v_add_f64 v[25:26], v[25:26], -v[41:42]
	s_delay_alu instid0(VALU_DEP_2) | instskip(NEXT) | instid1(VALU_DEP_2)
	v_add_f64 v[19:20], v[21:22], v[23:24]
	v_add_f64 v[21:22], v[32:33], v[25:26]
	s_delay_alu instid0(VALU_DEP_2) | instskip(NEXT) | instid1(VALU_DEP_2)
	v_add_f64 v[15:16], v[15:16], v[19:20]
	v_add_f64 v[19:20], v[21:22], -v[25:26]
	v_cmp_le_f64_e32 vcc_lo, 0.5, v[21:22]
	s_delay_alu instid0(VALU_DEP_3) | instskip(NEXT) | instid1(VALU_DEP_3)
	v_add_f64 v[15:16], v[17:18], v[15:16]
	v_add_f64 v[17:18], v[32:33], -v[19:20]
	v_cndmask_b32_e64 v41, 0, 0x3ff00000, vcc_lo
	v_add_co_ci_u32_e64 v30, s2, 0, v43, vcc_lo
	s_delay_alu instid0(VALU_DEP_3) | instskip(NEXT) | instid1(VALU_DEP_3)
	v_add_f64 v[15:16], v[15:16], v[17:18]
	v_add_f64 v[17:18], v[21:22], -v[40:41]
	s_delay_alu instid0(VALU_DEP_1) | instskip(NEXT) | instid1(VALU_DEP_1)
	v_add_f64 v[19:20], v[17:18], v[15:16]
	v_mul_f64 v[21:22], v[19:20], s[4:5]
	v_add_f64 v[17:18], v[19:20], -v[17:18]
	s_delay_alu instid0(VALU_DEP_2) | instskip(NEXT) | instid1(VALU_DEP_2)
	v_fma_f64 v[23:24], v[19:20], s[4:5], -v[21:22]
	v_add_f64 v[15:16], v[15:16], -v[17:18]
	s_delay_alu instid0(VALU_DEP_2) | instskip(NEXT) | instid1(VALU_DEP_1)
	v_fma_f64 v[17:18], v[19:20], s[6:7], v[23:24]
	v_fma_f64 v[17:18], v[15:16], s[4:5], v[17:18]
	s_delay_alu instid0(VALU_DEP_1) | instskip(NEXT) | instid1(VALU_DEP_1)
	v_add_f64 v[15:16], v[21:22], v[17:18]
	v_add_f64 v[19:20], v[15:16], -v[21:22]
	s_delay_alu instid0(VALU_DEP_1)
	v_add_f64 v[17:18], v[17:18], -v[19:20]
	s_and_not1_saveexec_b32 s2, s3
	s_cbranch_execnz .LBB129_183
	s_branch .LBB129_184
.LBB129_182:
	s_and_not1_saveexec_b32 s2, s3
	s_cbranch_execz .LBB129_184
.LBB129_183:
	s_mov_b32 s4, 0x6dc9c883
	s_mov_b32 s5, 0x3fe45f30
	;; [unrolled: 1-line block ×3, first 2 shown]
	v_mul_f64 v[15:16], |v[2:3]|, s[4:5]
	s_mov_b32 s4, 0x54442d18
	s_mov_b32 s5, 0xbff921fb
	;; [unrolled: 1-line block ×3, first 2 shown]
	s_delay_alu instid0(VALU_DEP_1) | instskip(NEXT) | instid1(VALU_DEP_1)
	v_rndne_f64_e32 v[19:20], v[15:16]
	v_fma_f64 v[15:16], v[19:20], s[4:5], |v[2:3]|
	v_mul_f64 v[17:18], v[19:20], s[6:7]
	s_mov_b32 s4, 0x252049c0
	s_mov_b32 s5, 0xb97b839a
	v_cvt_i32_f64_e32 v30, v[19:20]
	s_delay_alu instid0(VALU_DEP_3) | instskip(NEXT) | instid1(VALU_DEP_3)
	v_fma_f64 v[23:24], v[19:20], s[6:7], v[15:16]
	v_add_f64 v[21:22], v[15:16], v[17:18]
	s_mov_b32 s7, 0x3c91a626
	s_delay_alu instid0(VALU_DEP_1) | instskip(NEXT) | instid1(VALU_DEP_3)
	v_add_f64 v[15:16], v[15:16], -v[21:22]
	v_add_f64 v[21:22], v[21:22], -v[23:24]
	s_delay_alu instid0(VALU_DEP_2) | instskip(SKIP_1) | instid1(VALU_DEP_2)
	v_add_f64 v[15:16], v[15:16], v[17:18]
	v_fma_f64 v[17:18], v[19:20], s[6:7], v[17:18]
	v_add_f64 v[15:16], v[21:22], v[15:16]
	s_delay_alu instid0(VALU_DEP_1) | instskip(NEXT) | instid1(VALU_DEP_1)
	v_add_f64 v[15:16], v[15:16], -v[17:18]
	v_fma_f64 v[17:18], v[19:20], s[4:5], v[15:16]
	s_delay_alu instid0(VALU_DEP_1) | instskip(NEXT) | instid1(VALU_DEP_1)
	v_add_f64 v[15:16], v[23:24], v[17:18]
	v_add_f64 v[21:22], v[15:16], -v[23:24]
	s_delay_alu instid0(VALU_DEP_1)
	v_add_f64 v[17:18], v[17:18], -v[21:22]
.LBB129_184:
	s_or_b32 exec_lo, exec_lo, s2
	s_mov_b32 s2, 0x652b82fe
	s_mov_b32 s3, 0x3ff71547
	;; [unrolled: 1-line block ×3, first 2 shown]
	v_mul_f64 v[19:20], v[0:1], s[2:3]
	s_mov_b32 s4, 0xfefa39ef
	s_mov_b32 s2, 0x3b39803f
	s_mov_b32 s3, 0xbc7abc9e
	s_mov_b32 s6, 0xa9d67f34
	s_mov_b32 s7, 0x3e21f32e
	v_mul_f64 v[31:32], v[7:8], v[7:8]
	s_mov_b32 s36, 0xf9a43bb8
	s_mov_b32 s37, 0x3de5e0b2
	v_mul_f64 v[35:36], v[11:12], v[11:12]
	s_mov_b32 s39, 0x3f56c16c
	s_mov_b32 s38, 0x1852b7b0
	;; [unrolled: 1-line block ×6, first 2 shown]
	v_mul_f64 v[41:42], v[15:16], v[15:16]
	s_mov_b32 s45, 0x3f811111
	s_mov_b32 s44, 0x11122322
	;; [unrolled: 1-line block ×8, first 2 shown]
	v_mul_f64 v[53:54], v[9:10], 0.5
	v_add_nc_u32_e32 v27, 0x80, v27
	v_rndne_f64_e32 v[19:20], v[19:20]
	v_mul_f64 v[37:38], v[31:32], 0.5
	v_mul_f64 v[55:56], v[7:8], -v[31:32]
	v_mul_f64 v[69:70], v[31:32], v[31:32]
	v_mul_f64 v[49:50], v[35:36], 0.5
	v_mul_f64 v[65:66], v[11:12], -v[35:36]
	v_mul_f64 v[59:60], v[41:42], 0.5
	v_fma_f64 v[21:22], v[19:20], s[4:5], v[0:1]
	v_cvt_i32_f64_e32 v73, v[19:20]
	v_cmp_eq_f64_e32 vcc_lo, 0x40900000, v[19:20]
	s_mov_b32 s5, 0x40862e42
	s_delay_alu instid0(SALU_CYCLE_1)
	v_cmp_nlt_f64_e64 s4, s[4:5], v[0:1]
	v_add_f64 v[45:46], -v[37:38], 1.0
	v_cmp_ngt_f64_e64 s5, 0xc0428000, v[0:1]
	v_add_f64 v[63:64], -v[49:50], 1.0
	v_fma_f64 v[21:22], v[19:20], s[2:3], v[21:22]
	s_mov_b32 s2, 0x2a1b768b
	s_mov_b32 s3, 0x3e5af4eb
	v_cndmask_b32_e64 v74, v73, 0x3ff, vcc_lo
	v_add_f64 v[57:58], -v[45:46], 1.0
	s_delay_alu instid0(VALU_DEP_4) | instskip(NEXT) | instid1(VALU_DEP_4)
	v_add_f64 v[67:68], -v[63:64], 1.0
	v_fma_f64 v[23:24], v[21:22], s[6:7], s[2:3]
	s_mov_b32 s2, 0xfca7ab0c
	s_mov_b32 s6, 0x6a5dcb37
	;; [unrolled: 1-line block ×4, first 2 shown]
	s_delay_alu instid0(SALU_CYCLE_1) | instskip(SKIP_4) | instid1(VALU_DEP_4)
	v_fma_f64 v[25:26], v[21:22], s[6:7], s[2:3]
	s_mov_b32 s2, 0xe0ac05b
	s_mov_b32 s3, 0x3e927e50
	;; [unrolled: 1-line block ×4, first 2 shown]
	v_add_f64 v[37:38], v[57:58], -v[37:38]
	s_delay_alu instid0(VALU_DEP_4) | instskip(NEXT) | instid1(VALU_DEP_4)
	v_add_f64 v[19:20], v[67:68], -v[49:50]
	v_fma_f64 v[23:24], v[21:22], v[23:24], s[2:3]
	s_mov_b32 s2, 0x623fde64
	s_mov_b32 s3, 0x3ec71dee
	s_delay_alu instid0(VALU_DEP_4) | instid1(SALU_CYCLE_1)
	v_fma_f64 v[25:26], v[21:22], v[25:26], s[2:3]
	s_mov_b32 s2, 0x1b889c29
	s_mov_b32 s3, 0x3ec71de0
	s_delay_alu instid0(VALU_DEP_4) | instskip(NEXT) | instid1(VALU_DEP_4)
	v_fma_f64 v[37:38], v[7:8], -v[9:10], v[37:38]
	v_fma_f64 v[19:20], v[11:12], -v[13:14], v[19:20]
	s_delay_alu instid0(VALU_DEP_4) | instskip(SKIP_2) | instid1(VALU_DEP_4)
	v_fma_f64 v[23:24], v[21:22], v[23:24], s[2:3]
	s_mov_b32 s3, 0x3efa01a0
	s_mov_b32 s2, 0x197bcfd8
	v_fma_f64 v[25:26], v[21:22], v[25:26], s[6:7]
	s_mov_b32 s7, 0x3f2a01a0
	s_mov_b32 s6, 0x14761f6e
	s_delay_alu instid0(VALU_DEP_2) | instskip(SKIP_1) | instid1(VALU_DEP_2)
	v_fma_f64 v[23:24], v[21:22], v[23:24], s[2:3]
	s_mov_b32 s2, 0x19f4ec90
	v_fma_f64 v[25:26], v[21:22], v[25:26], s[6:7]
	s_mov_b32 s6, 0x1ac1a723
	s_delay_alu instid0(VALU_DEP_2) | instid1(SALU_CYCLE_1)
	v_fma_f64 v[23:24], v[21:22], v[23:24], s[6:7]
	s_mov_b32 s6, 0xb42fdfa7
	s_mov_b32 s7, 0xbe5ae600
	s_delay_alu instid0(SALU_CYCLE_1) | instskip(SKIP_1) | instid1(VALU_DEP_4)
	v_fma_f64 v[33:34], v[31:32], s[36:37], s[6:7]
	v_fma_f64 v[43:44], v[35:36], s[36:37], s[6:7]
	;; [unrolled: 1-line block ×3, first 2 shown]
	s_mov_b32 s38, 0x16c18931
	v_fma_f64 v[47:48], v[41:42], s[36:37], s[6:7]
	s_mov_b32 s7, 0x3fc55555
	s_mov_b32 s6, 0x55555511
	;; [unrolled: 1-line block ×3, first 2 shown]
	v_fma_f64 v[23:24], v[21:22], v[23:24], s[38:39]
	s_mov_b32 s38, 0x9037ab78
	s_mov_b32 s39, 0x3e21eeb6
	s_delay_alu instid0(SALU_CYCLE_1)
	v_fma_f64 v[39:40], v[31:32], s[40:41], s[38:39]
	v_fma_f64 v[33:34], v[31:32], v[33:34], s[42:43]
	;; [unrolled: 1-line block ×3, first 2 shown]
	s_mov_b32 s44, 0x11110056
	v_fma_f64 v[43:44], v[35:36], v[43:44], s[42:43]
	v_fma_f64 v[51:52], v[35:36], s[40:41], s[38:39]
	;; [unrolled: 1-line block ×5, first 2 shown]
	s_mov_b32 s44, 0x11110bb3
	v_fma_f64 v[39:40], v[31:32], v[39:40], s[46:47]
	v_fma_f64 v[33:34], v[31:32], v[33:34], s[48:49]
	;; [unrolled: 1-line block ×3, first 2 shown]
	s_mov_b32 s50, 0x55555552
	v_fma_f64 v[43:44], v[35:36], v[43:44], s[48:49]
	v_fma_f64 v[51:52], v[35:36], v[51:52], s[46:47]
	v_fma_f64 v[57:58], v[41:42], v[61:62], s[46:47]
	v_fma_f64 v[47:48], v[41:42], v[47:48], s[48:49]
	v_mul_f64 v[61:62], v[13:14], 0.5
	v_fma_f64 v[23:24], v[21:22], v[23:24], s[50:51]
	s_mov_b32 s50, 0x55555555
	s_delay_alu instid0(SALU_CYCLE_1)
	s_mov_b32 s36, s50
	v_fma_f64 v[39:40], v[31:32], v[39:40], s[2:3]
	v_fma_f64 v[33:34], v[31:32], v[33:34], s[44:45]
	;; [unrolled: 1-line block ×3, first 2 shown]
	s_mov_b32 s6, 0x55555557
	v_fma_f64 v[43:44], v[35:36], v[43:44], s[44:45]
	v_fma_f64 v[51:52], v[35:36], v[51:52], s[2:3]
	;; [unrolled: 1-line block ×4, first 2 shown]
	s_mov_b32 s2, 11
	s_mov_b32 s3, 0x3fe00000
	v_fma_f64 v[23:24], v[21:22], v[23:24], s[6:7]
	s_mov_b32 s6, 0x16c16967
	s_mov_b32 s7, 0xbf56c16c
	s_delay_alu instid0(SALU_CYCLE_1)
	v_fma_f64 v[39:40], v[31:32], v[39:40], s[6:7]
	v_fma_f64 v[33:34], v[55:56], v[33:34], v[53:54]
	v_add_f64 v[53:54], -v[59:60], 1.0
	v_fma_f64 v[25:26], v[21:22], v[25:26], s[2:3]
	v_fma_f64 v[43:44], v[65:66], v[43:44], v[61:62]
	;; [unrolled: 1-line block ×3, first 2 shown]
	v_ldexp_f64 v[51:52], 1.0, v74
	v_cmp_class_f64_e64 s3, v[5:6], 0x1f8
	v_lshlrev_b32_e32 v5, 30, v28
	v_fma_f64 v[23:24], v[21:22], v[23:24], 0.5
	v_fma_f64 v[39:40], v[31:32], v[39:40], s[50:51]
	v_fma_f64 v[9:10], v[31:32], v[33:34], -v[9:10]
	v_mul_f64 v[31:32], v[17:18], 0.5
	v_mul_f64 v[33:34], v[15:16], -v[41:42]
	v_add_f64 v[71:72], -v[53:54], 1.0
	v_fma_f64 v[13:14], v[35:36], v[43:44], -v[13:14]
	v_fma_f64 v[49:50], v[35:36], v[49:50], s[50:51]
	v_fma_f64 v[25:26], v[21:22], v[25:26], 1.0
	v_mul_f64 v[23:24], v[21:22], v[23:24]
	v_fma_f64 v[37:38], v[69:70], v[39:40], v[37:38]
	v_fma_f64 v[9:10], v[55:56], s[36:37], v[9:10]
	;; [unrolled: 1-line block ×4, first 2 shown]
	v_add_f64 v[39:40], v[71:72], -v[59:60]
	v_mul_f64 v[47:48], v[35:36], v[35:36]
	v_add_f64 v[35:36], v[51:52], -1.0
	v_fma_f64 v[13:14], v[65:66], s[36:37], v[13:14]
	v_cmp_nlt_f64_e64 s6, 0x40900000, v[0:1]
	v_cmp_ngt_f64_e64 s7, 0xc090cc00, v[0:1]
	v_fma_f64 v[23:24], v[21:22], v[23:24], v[21:22]
	v_fma_f64 v[21:22], v[21:22], v[25:26], 1.0
	v_add_f64 v[37:38], v[45:46], v[37:38]
	v_add_f64 v[7:8], v[7:8], -v[9:10]
	v_mul_f64 v[9:10], v[41:42], v[41:42]
	v_fma_f64 v[43:44], v[41:42], v[55:56], s[50:51]
	v_fma_f64 v[39:40], v[15:16], -v[17:18], v[39:40]
	v_fma_f64 v[17:18], v[41:42], v[31:32], -v[17:18]
	v_fma_f64 v[19:20], v[47:48], v[49:50], v[19:20]
	v_and_b32_e32 v31, 1, v28
	v_add_f64 v[11:12], v[11:12], -v[13:14]
	s_delay_alu instid0(VALU_DEP_2) | instskip(SKIP_1) | instid1(VALU_DEP_2)
	v_cmp_eq_u32_e64 s2, 0, v31
	v_fma_f64 v[23:24], v[51:52], v[23:24], v[35:36]
	v_cndmask_b32_e64 v25, v37, v7, s2
	v_xor_b32_e32 v7, v5, v6
	v_cndmask_b32_e64 v13, v38, v8, s2
	v_fma_f64 v[5:6], v[9:10], v[43:44], v[39:40]
	v_fma_f64 v[9:10], v[33:34], s[36:37], v[17:18]
	v_add_f64 v[17:18], v[63:64], v[19:20]
	v_and_b32_e32 v26, 0x80000000, v7
	v_cndmask_b32_e64 v19, 0, v25, s3
	v_xor_b32_e32 v12, 0x80000000, v12
	s_delay_alu instid0(VALU_DEP_3) | instskip(SKIP_1) | instid1(VALU_DEP_2)
	v_xor_b32_e32 v20, v13, v26
	v_ldexp_f64 v[13:14], v[21:22], v73
	v_cndmask_b32_e64 v20, 0x7ff80000, v20, s3
	v_cmp_class_f64_e64 s3, v[2:3], 0x1f8
	s_delay_alu instid0(VALU_DEP_2)
	v_add_f64 v[21:22], v[19:20], v[19:20]
	v_add_f64 v[7:8], v[23:24], v[23:24]
	v_and_b32_e32 v25, 1, v29
	v_lshlrev_b32_e32 v2, 30, v30
	v_add_f64 v[5:6], v[53:54], v[5:6]
	v_add_f64 v[9:10], v[15:16], -v[9:10]
	v_lshlrev_b32_e32 v16, 30, v29
	v_mul_f64 v[0:1], v[21:22], v[19:20]
	v_dual_cndmask_b32 v7, v23, v7 :: v_dual_cndmask_b32 v8, v24, v8
	s_and_b32 vcc_lo, s5, s4
	v_cmp_eq_u32_e64 s2, 0, v25
	v_xor_b32_e32 v2, v2, v3
	v_and_b32_e32 v3, 0x80000000, v16
	v_cndmask_b32_e64 v15, 0x7ff00000, v8, s4
	v_cndmask_b32_e64 v8, 0x7ff00000, v14, s6
	v_and_b32_e32 v14, 1, v30
	v_cndmask_b32_e64 v12, v12, v18, s2
	v_and_b32_e32 v2, 0x80000000, v2
	v_cndmask_b32_e64 v11, v11, v17, s2
	v_cndmask_b32_e64 v8, 0, v8, s7
	v_cmp_eq_u32_e64 s8, 0, v14
	v_xor_b32_e32 v3, v12, v3
	s_delay_alu instid0(VALU_DEP_2)
	v_cndmask_b32_e64 v6, v6, v10, s8
	v_cndmask_b32_e64 v5, v5, v9, s8
	v_cndmask_b32_e32 v9, 0, v7, vcc_lo
	s_and_b32 vcc_lo, s7, s6
	v_cndmask_b32_e64 v3, 0x7ff80000, v3, s3
	v_xor_b32_e32 v6, v6, v2
	v_cndmask_b32_e64 v2, 0, v11, s3
	v_cndmask_b32_e64 v5, 0, v5, s3
	;; [unrolled: 1-line block ×3, first 2 shown]
	v_cndmask_b32_e32 v7, 0, v13, vcc_lo
	v_cndmask_b32_e64 v6, 0x7ff80000, v6, s3
	s_delay_alu instid0(VALU_DEP_3) | instskip(NEXT) | instid1(VALU_DEP_2)
	v_fma_f64 v[0:1], v[9:10], v[2:3], -v[0:1]
	v_mul_f64 v[2:3], v[7:8], v[5:6]
	global_store_b128 v4, v[0:3], s[12:13]
.LBB129_185:
	s_or_b32 exec_lo, exec_lo, s34
	v_cmp_gt_i32_e32 vcc_lo, s31, v27
	s_mov_b32 s34, 0
                                        ; implicit-def: $vgpr0_vgpr1
                                        ; implicit-def: $vgpr2_vgpr3
	s_and_saveexec_b32 s31, vcc_lo
	s_cbranch_execz .LBB129_212
; %bb.186:
	s_and_not1_b32 vcc_lo, exec_lo, s27
	s_cbranch_vccnz .LBB129_191
; %bb.187:
	v_mov_b32_e32 v4, 0
	v_mov_b32_e32 v0, 0
	s_and_not1_b32 vcc_lo, exec_lo, s33
	s_mov_b32 s6, 0
	s_cbranch_vccnz .LBB129_196
; %bb.188:
	v_mov_b32_e32 v4, 0
	s_add_i32 s30, s30, 1
	s_cmp_eq_u32 s26, 2
	s_mov_b32 s4, 0
	s_cbranch_scc1 .LBB129_192
; %bb.189:
	v_dual_mov_b32 v0, 0 :: v_dual_mov_b32 v1, v27
	v_mov_b32_e32 v4, 0
	s_and_b32 s4, s30, 28
	s_mov_b32 s5, 0
	s_mov_b64 s[2:3], s[0:1]
.LBB129_190:                            ; =>This Inner Loop Header: Depth=1
	s_clause 0x1
	s_load_b256 s[36:43], s[2:3], 0x4
	s_load_b128 s[52:55], s[2:3], 0x24
	s_load_b256 s[44:51], s[24:25], 0x0
	s_add_u32 s2, s2, 48
	s_addc_u32 s3, s3, 0
	s_add_i32 s5, s5, 4
	s_add_u32 s24, s24, 32
	s_addc_u32 s25, s25, 0
	s_cmp_eq_u32 s4, s5
	s_waitcnt lgkmcnt(0)
	v_mul_hi_u32 v2, s37, v1
	s_delay_alu instid0(VALU_DEP_1) | instskip(NEXT) | instid1(VALU_DEP_1)
	v_add_nc_u32_e32 v2, v1, v2
	v_lshrrev_b32_e32 v2, s38, v2
	s_delay_alu instid0(VALU_DEP_1) | instskip(SKIP_1) | instid1(VALU_DEP_2)
	v_mul_hi_u32 v3, s40, v2
	v_mul_lo_u32 v6, v2, s36
	v_add_nc_u32_e32 v3, v2, v3
	s_delay_alu instid0(VALU_DEP_2) | instskip(NEXT) | instid1(VALU_DEP_2)
	v_sub_nc_u32_e32 v1, v1, v6
	v_lshrrev_b32_e32 v3, s41, v3
	s_delay_alu instid0(VALU_DEP_2) | instskip(SKIP_1) | instid1(VALU_DEP_3)
	v_mul_lo_u32 v6, v1, s44
	v_mul_lo_u32 v8, v1, s45
	v_mul_hi_u32 v5, s43, v3
	s_delay_alu instid0(VALU_DEP_1) | instskip(NEXT) | instid1(VALU_DEP_1)
	v_add_nc_u32_e32 v5, v3, v5
	v_lshrrev_b32_e32 v5, s52, v5
	s_delay_alu instid0(VALU_DEP_1) | instskip(SKIP_1) | instid1(VALU_DEP_2)
	v_mul_hi_u32 v7, s54, v5
	v_mul_lo_u32 v9, v5, s42
	v_add_nc_u32_e32 v1, v5, v7
	v_mul_lo_u32 v7, v3, s39
	s_delay_alu instid0(VALU_DEP_3) | instskip(NEXT) | instid1(VALU_DEP_3)
	v_sub_nc_u32_e32 v3, v3, v9
	v_lshrrev_b32_e32 v1, s55, v1
	s_delay_alu instid0(VALU_DEP_2) | instskip(SKIP_2) | instid1(VALU_DEP_4)
	v_mul_lo_u32 v9, v3, s48
	v_mul_lo_u32 v3, v3, s49
	v_sub_nc_u32_e32 v2, v2, v7
	v_mul_lo_u32 v10, v1, s53
	s_delay_alu instid0(VALU_DEP_2) | instskip(SKIP_1) | instid1(VALU_DEP_3)
	v_mul_lo_u32 v7, v2, s46
	v_mul_lo_u32 v2, v2, s47
	v_sub_nc_u32_e32 v5, v5, v10
	s_delay_alu instid0(VALU_DEP_3) | instskip(NEXT) | instid1(VALU_DEP_2)
	v_add3_u32 v4, v6, v4, v7
	v_mul_lo_u32 v10, v5, s50
	v_mul_lo_u32 v5, v5, s51
	v_add3_u32 v0, v8, v0, v2
	s_delay_alu instid0(VALU_DEP_3) | instskip(NEXT) | instid1(VALU_DEP_2)
	v_add3_u32 v4, v9, v4, v10
	v_add3_u32 v0, v3, v0, v5
	s_cbranch_scc0 .LBB129_190
	s_branch .LBB129_193
.LBB129_191:
	s_mov_b32 s6, -1
                                        ; implicit-def: $vgpr4
                                        ; implicit-def: $vgpr0
	s_branch .LBB129_196
.LBB129_192:
	v_dual_mov_b32 v1, v27 :: v_dual_mov_b32 v0, 0
.LBB129_193:
	s_and_b32 s7, s30, 3
	s_delay_alu instid0(SALU_CYCLE_1)
	s_cmp_eq_u32 s7, 0
	s_cbranch_scc1 .LBB129_196
; %bb.194:
	s_lshl_b32 s2, s4, 3
	s_mul_i32 s4, s4, 12
	s_add_u32 s2, s2, s0
	s_addc_u32 s3, s1, 0
	s_add_u32 s2, s2, 0xc4
	s_addc_u32 s3, s3, 0
	;; [unrolled: 2-line block ×3, first 2 shown]
	.p2align	6
.LBB129_195:                            ; =>This Inner Loop Header: Depth=1
	s_clause 0x1
	s_load_b64 s[24:25], s[4:5], 0x4
	s_load_b32 s8, s[4:5], 0xc
	s_load_b64 s[34:35], s[2:3], 0x0
	s_add_u32 s4, s4, 12
	s_addc_u32 s5, s5, 0
	s_add_u32 s2, s2, 8
	s_addc_u32 s3, s3, 0
	s_add_i32 s7, s7, -1
	s_delay_alu instid0(SALU_CYCLE_1) | instskip(SKIP_2) | instid1(VALU_DEP_1)
	s_cmp_lg_u32 s7, 0
	s_waitcnt lgkmcnt(0)
	v_mul_hi_u32 v2, s25, v1
	v_add_nc_u32_e32 v2, v1, v2
	s_delay_alu instid0(VALU_DEP_1) | instskip(NEXT) | instid1(VALU_DEP_1)
	v_lshrrev_b32_e32 v5, s8, v2
	v_mul_lo_u32 v2, v5, s24
	s_delay_alu instid0(VALU_DEP_1) | instskip(NEXT) | instid1(VALU_DEP_1)
	v_sub_nc_u32_e32 v1, v1, v2
	v_mad_u64_u32 v[2:3], null, v1, s34, v[4:5]
	v_mad_u64_u32 v[3:4], null, v1, s35, v[0:1]
	s_delay_alu instid0(VALU_DEP_2) | instskip(NEXT) | instid1(VALU_DEP_2)
	v_dual_mov_b32 v1, v5 :: v_dual_mov_b32 v4, v2
	v_mov_b32_e32 v0, v3
	s_cbranch_scc1 .LBB129_195
.LBB129_196:
	s_and_not1_b32 vcc_lo, exec_lo, s6
	s_cbranch_vccnz .LBB129_199
; %bb.197:
	s_waitcnt lgkmcnt(0)
	v_mul_hi_u32 v0, s21, v27
	s_and_not1_b32 vcc_lo, exec_lo, s29
	s_delay_alu instid0(VALU_DEP_1) | instskip(NEXT) | instid1(VALU_DEP_1)
	v_add_nc_u32_e32 v0, v27, v0
	v_lshrrev_b32_e32 v1, s22, v0
	s_delay_alu instid0(VALU_DEP_1) | instskip(NEXT) | instid1(VALU_DEP_1)
	v_mul_lo_u32 v0, v1, s20
	v_sub_nc_u32_e32 v0, v27, v0
	s_delay_alu instid0(VALU_DEP_1)
	v_mul_lo_u32 v4, v0, s16
	v_mul_lo_u32 v0, v0, s17
	s_cbranch_vccnz .LBB129_199
; %bb.198:
	v_mul_hi_u32 v2, s10, v1
	s_delay_alu instid0(VALU_DEP_1) | instskip(NEXT) | instid1(VALU_DEP_1)
	v_add_nc_u32_e32 v2, v1, v2
	v_lshrrev_b32_e32 v2, s11, v2
	s_delay_alu instid0(VALU_DEP_1) | instskip(NEXT) | instid1(VALU_DEP_1)
	v_mul_lo_u32 v2, v2, s23
	v_sub_nc_u32_e32 v5, v1, v2
	s_delay_alu instid0(VALU_DEP_1) | instskip(NEXT) | instid1(VALU_DEP_1)
	v_mad_u64_u32 v[1:2], null, v5, s18, v[4:5]
	v_mad_u64_u32 v[2:3], null, v5, s19, v[0:1]
	v_mov_b32_e32 v4, v1
	s_delay_alu instid0(VALU_DEP_2)
	v_mov_b32_e32 v0, v2
.LBB129_199:
	s_waitcnt lgkmcnt(0)
	global_load_b128 v[0:3], v0, s[14:15]
	s_mov_b32 s3, exec_lo
                                        ; implicit-def: $vgpr27
                                        ; implicit-def: $vgpr7_vgpr8
                                        ; implicit-def: $vgpr9_vgpr10
	s_waitcnt vmcnt(0)
	v_mul_f64 v[5:6], v[2:3], 0.5
	s_delay_alu instid0(VALU_DEP_1)
	v_cmpx_ngt_f64_e64 0x41d00000, |v[5:6]|
	s_xor_b32 s3, exec_lo, s3
	s_cbranch_execz .LBB129_201
; %bb.200:
	v_ldexp_f64 v[7:8], |v[5:6]|, 0xffffff80
	v_cmp_le_f64_e64 vcc_lo, 0x7b000000, |v[5:6]|
	v_trig_preop_f64 v[9:10], |v[5:6]|, 0
	v_and_b32_e32 v11, 0x7fffffff, v6
	v_trig_preop_f64 v[21:22], |v[5:6]|, 2
	v_mov_b32_e32 v29, 0
	s_mov_b32 s4, 0x54442d18
	s_mov_b32 s5, 0x3ff921fb
	;; [unrolled: 1-line block ×4, first 2 shown]
	v_dual_cndmask_b32 v8, v11, v8 :: v_dual_cndmask_b32 v7, v5, v7
	v_trig_preop_f64 v[11:12], |v[5:6]|, 1
	s_delay_alu instid0(VALU_DEP_2) | instskip(SKIP_1) | instid1(VALU_DEP_3)
	v_mul_f64 v[13:14], v[9:10], v[7:8]
	v_mul_f64 v[27:28], v[21:22], v[7:8]
	;; [unrolled: 1-line block ×3, first 2 shown]
	s_delay_alu instid0(VALU_DEP_3) | instskip(NEXT) | instid1(VALU_DEP_2)
	v_fma_f64 v[9:10], v[9:10], v[7:8], -v[13:14]
	v_fma_f64 v[11:12], v[11:12], v[7:8], -v[15:16]
	s_delay_alu instid0(VALU_DEP_4) | instskip(NEXT) | instid1(VALU_DEP_3)
	v_fma_f64 v[7:8], v[21:22], v[7:8], -v[27:28]
	v_add_f64 v[17:18], v[15:16], v[9:10]
	s_delay_alu instid0(VALU_DEP_1) | instskip(SKIP_1) | instid1(VALU_DEP_2)
	v_add_f64 v[19:20], v[17:18], -v[15:16]
	v_add_f64 v[25:26], v[13:14], v[17:18]
	v_add_f64 v[23:24], v[17:18], -v[19:20]
	v_add_f64 v[9:10], v[9:10], -v[19:20]
	s_delay_alu instid0(VALU_DEP_3) | instskip(SKIP_1) | instid1(VALU_DEP_4)
	v_ldexp_f64 v[19:20], v[25:26], -2
	v_add_f64 v[13:14], v[25:26], -v[13:14]
	v_add_f64 v[15:16], v[15:16], -v[23:24]
	v_add_f64 v[23:24], v[27:28], v[11:12]
	s_delay_alu instid0(VALU_DEP_4) | instskip(NEXT) | instid1(VALU_DEP_4)
	v_cmp_neq_f64_e64 vcc_lo, 0x7ff00000, |v[19:20]|
	v_add_f64 v[13:14], v[17:18], -v[13:14]
	s_delay_alu instid0(VALU_DEP_4) | instskip(SKIP_1) | instid1(VALU_DEP_2)
	v_add_f64 v[9:10], v[9:10], v[15:16]
	v_fract_f64_e32 v[15:16], v[19:20]
	v_add_f64 v[17:18], v[23:24], v[9:10]
	s_delay_alu instid0(VALU_DEP_2) | instskip(NEXT) | instid1(VALU_DEP_1)
	v_dual_cndmask_b32 v16, 0, v16 :: v_dual_cndmask_b32 v15, 0, v15
	v_ldexp_f64 v[15:16], v[15:16], 2
	s_delay_alu instid0(VALU_DEP_3) | instskip(NEXT) | instid1(VALU_DEP_1)
	v_add_f64 v[19:20], v[13:14], v[17:18]
	v_add_f64 v[25:26], v[19:20], v[15:16]
	v_add_f64 v[13:14], v[19:20], -v[13:14]
	s_delay_alu instid0(VALU_DEP_2) | instskip(SKIP_1) | instid1(VALU_DEP_3)
	v_cmp_gt_f64_e32 vcc_lo, 0, v[25:26]
	v_add_f64 v[25:26], v[23:24], -v[27:28]
	v_add_f64 v[13:14], v[17:18], -v[13:14]
	v_cndmask_b32_e64 v30, 0, 0x40100000, vcc_lo
	s_delay_alu instid0(VALU_DEP_3) | instskip(SKIP_1) | instid1(VALU_DEP_3)
	v_add_f64 v[34:35], v[23:24], -v[25:26]
	v_add_f64 v[11:12], v[11:12], -v[25:26]
	v_add_f64 v[15:16], v[15:16], v[29:30]
	v_add_f64 v[30:31], v[17:18], -v[23:24]
	s_delay_alu instid0(VALU_DEP_4) | instskip(NEXT) | instid1(VALU_DEP_3)
	v_add_f64 v[25:26], v[27:28], -v[34:35]
	v_add_f64 v[32:33], v[19:20], v[15:16]
	s_delay_alu instid0(VALU_DEP_3) | instskip(SKIP_1) | instid1(VALU_DEP_4)
	v_add_f64 v[36:37], v[17:18], -v[30:31]
	v_add_f64 v[9:10], v[9:10], -v[30:31]
	v_add_f64 v[11:12], v[11:12], v[25:26]
	s_delay_alu instid0(VALU_DEP_4) | instskip(NEXT) | instid1(VALU_DEP_4)
	v_cvt_i32_f64_e32 v32, v[32:33]
	v_add_f64 v[23:24], v[23:24], -v[36:37]
	s_delay_alu instid0(VALU_DEP_2) | instskip(NEXT) | instid1(VALU_DEP_2)
	v_cvt_f64_i32_e32 v[30:31], v32
	v_add_f64 v[9:10], v[9:10], v[23:24]
	s_delay_alu instid0(VALU_DEP_2) | instskip(NEXT) | instid1(VALU_DEP_2)
	v_add_f64 v[15:16], v[15:16], -v[30:31]
	v_add_f64 v[9:10], v[11:12], v[9:10]
	s_delay_alu instid0(VALU_DEP_2) | instskip(NEXT) | instid1(VALU_DEP_2)
	v_add_f64 v[11:12], v[19:20], v[15:16]
	v_add_f64 v[7:8], v[7:8], v[9:10]
	s_delay_alu instid0(VALU_DEP_2) | instskip(SKIP_1) | instid1(VALU_DEP_3)
	v_add_f64 v[9:10], v[11:12], -v[15:16]
	v_cmp_le_f64_e32 vcc_lo, 0.5, v[11:12]
	v_add_f64 v[7:8], v[13:14], v[7:8]
	s_delay_alu instid0(VALU_DEP_3) | instskip(SKIP_2) | instid1(VALU_DEP_3)
	v_add_f64 v[9:10], v[19:20], -v[9:10]
	v_cndmask_b32_e64 v30, 0, 0x3ff00000, vcc_lo
	v_add_co_ci_u32_e64 v27, s2, 0, v32, vcc_lo
	v_add_f64 v[7:8], v[7:8], v[9:10]
	s_delay_alu instid0(VALU_DEP_3) | instskip(NEXT) | instid1(VALU_DEP_1)
	v_add_f64 v[9:10], v[11:12], -v[29:30]
	v_add_f64 v[11:12], v[9:10], v[7:8]
	s_delay_alu instid0(VALU_DEP_1) | instskip(SKIP_1) | instid1(VALU_DEP_2)
	v_mul_f64 v[13:14], v[11:12], s[4:5]
	v_add_f64 v[9:10], v[11:12], -v[9:10]
	v_fma_f64 v[15:16], v[11:12], s[4:5], -v[13:14]
	s_delay_alu instid0(VALU_DEP_2) | instskip(NEXT) | instid1(VALU_DEP_2)
	v_add_f64 v[7:8], v[7:8], -v[9:10]
	v_fma_f64 v[9:10], v[11:12], s[6:7], v[15:16]
	s_delay_alu instid0(VALU_DEP_1) | instskip(NEXT) | instid1(VALU_DEP_1)
	v_fma_f64 v[9:10], v[7:8], s[4:5], v[9:10]
	v_add_f64 v[7:8], v[13:14], v[9:10]
	s_delay_alu instid0(VALU_DEP_1) | instskip(NEXT) | instid1(VALU_DEP_1)
	v_add_f64 v[11:12], v[7:8], -v[13:14]
	v_add_f64 v[9:10], v[9:10], -v[11:12]
.LBB129_201:
	s_and_not1_saveexec_b32 s2, s3
	s_cbranch_execz .LBB129_203
; %bb.202:
	s_mov_b32 s4, 0x6dc9c883
	s_mov_b32 s5, 0x3fe45f30
	s_mov_b32 s7, 0xbc91a626
	v_mul_f64 v[7:8], |v[5:6]|, s[4:5]
	s_mov_b32 s4, 0x54442d18
	s_mov_b32 s5, 0xbff921fb
	;; [unrolled: 1-line block ×3, first 2 shown]
	s_delay_alu instid0(VALU_DEP_1) | instskip(NEXT) | instid1(VALU_DEP_1)
	v_rndne_f64_e32 v[11:12], v[7:8]
	v_fma_f64 v[7:8], v[11:12], s[4:5], |v[5:6]|
	v_mul_f64 v[9:10], v[11:12], s[6:7]
	s_mov_b32 s4, 0x252049c0
	s_mov_b32 s5, 0xb97b839a
	v_cvt_i32_f64_e32 v27, v[11:12]
	s_delay_alu instid0(VALU_DEP_3) | instskip(NEXT) | instid1(VALU_DEP_3)
	v_fma_f64 v[15:16], v[11:12], s[6:7], v[7:8]
	v_add_f64 v[13:14], v[7:8], v[9:10]
	s_mov_b32 s7, 0x3c91a626
	s_delay_alu instid0(VALU_DEP_1) | instskip(NEXT) | instid1(VALU_DEP_3)
	v_add_f64 v[7:8], v[7:8], -v[13:14]
	v_add_f64 v[13:14], v[13:14], -v[15:16]
	s_delay_alu instid0(VALU_DEP_2) | instskip(SKIP_1) | instid1(VALU_DEP_2)
	v_add_f64 v[7:8], v[7:8], v[9:10]
	v_fma_f64 v[9:10], v[11:12], s[6:7], v[9:10]
	v_add_f64 v[7:8], v[13:14], v[7:8]
	s_delay_alu instid0(VALU_DEP_1) | instskip(NEXT) | instid1(VALU_DEP_1)
	v_add_f64 v[7:8], v[7:8], -v[9:10]
	v_fma_f64 v[9:10], v[11:12], s[4:5], v[7:8]
	s_delay_alu instid0(VALU_DEP_1) | instskip(NEXT) | instid1(VALU_DEP_1)
	v_add_f64 v[7:8], v[15:16], v[9:10]
	v_add_f64 v[13:14], v[7:8], -v[15:16]
	s_delay_alu instid0(VALU_DEP_1)
	v_add_f64 v[9:10], v[9:10], -v[13:14]
.LBB129_203:
	s_or_b32 exec_lo, exec_lo, s2
	v_cmp_ngt_f64_e64 s3, 0x41d00000, |v[2:3]|
	v_trig_preop_f64 v[23:24], |v[2:3]|, 0
	v_trig_preop_f64 v[21:22], |v[2:3]|, 1
	v_ldexp_f64 v[25:26], |v[2:3]|, 0xffffff80
	v_trig_preop_f64 v[19:20], |v[2:3]|, 2
	v_and_b32_e32 v30, 0x7fffffff, v3
                                        ; implicit-def: $vgpr28
                                        ; implicit-def: $vgpr11_vgpr12
                                        ; implicit-def: $vgpr13_vgpr14
	s_and_saveexec_b32 s2, s3
	s_delay_alu instid0(SALU_CYCLE_1)
	s_xor_b32 s4, exec_lo, s2
	s_cbranch_execz .LBB129_205
; %bb.204:
	v_cmp_le_f64_e64 vcc_lo, 0x7b000000, |v[2:3]|
	v_mov_b32_e32 v41, 0
	s_mov_b32 s6, 0x54442d18
	s_mov_b32 s7, 0x3ff921fb
	;; [unrolled: 1-line block ×4, first 2 shown]
	v_cndmask_b32_e32 v12, v30, v26, vcc_lo
	v_cndmask_b32_e32 v11, v2, v25, vcc_lo
	s_delay_alu instid0(VALU_DEP_1) | instskip(SKIP_1) | instid1(VALU_DEP_2)
	v_mul_f64 v[13:14], v[23:24], v[11:12]
	v_mul_f64 v[15:16], v[21:22], v[11:12]
	v_fma_f64 v[17:18], v[23:24], v[11:12], -v[13:14]
	s_delay_alu instid0(VALU_DEP_2) | instskip(NEXT) | instid1(VALU_DEP_2)
	v_fma_f64 v[39:40], v[21:22], v[11:12], -v[15:16]
	v_add_f64 v[28:29], v[15:16], v[17:18]
	s_delay_alu instid0(VALU_DEP_1) | instskip(SKIP_1) | instid1(VALU_DEP_2)
	v_add_f64 v[31:32], v[28:29], -v[15:16]
	v_add_f64 v[35:36], v[13:14], v[28:29]
	v_add_f64 v[33:34], v[28:29], -v[31:32]
	v_add_f64 v[17:18], v[17:18], -v[31:32]
	s_delay_alu instid0(VALU_DEP_3) | instskip(SKIP_1) | instid1(VALU_DEP_4)
	v_ldexp_f64 v[31:32], v[35:36], -2
	v_add_f64 v[13:14], v[35:36], -v[13:14]
	v_add_f64 v[15:16], v[15:16], -v[33:34]
	s_delay_alu instid0(VALU_DEP_3) | instskip(NEXT) | instid1(VALU_DEP_3)
	v_cmp_neq_f64_e64 vcc_lo, 0x7ff00000, |v[31:32]|
	v_add_f64 v[13:14], v[28:29], -v[13:14]
	s_delay_alu instid0(VALU_DEP_3) | instskip(SKIP_1) | instid1(VALU_DEP_1)
	v_add_f64 v[15:16], v[17:18], v[15:16]
	v_fract_f64_e32 v[17:18], v[31:32]
	v_dual_cndmask_b32 v18, 0, v18 :: v_dual_cndmask_b32 v17, 0, v17
	v_mul_f64 v[37:38], v[19:20], v[11:12]
	s_delay_alu instid0(VALU_DEP_2) | instskip(NEXT) | instid1(VALU_DEP_2)
	v_ldexp_f64 v[17:18], v[17:18], 2
	v_add_f64 v[33:34], v[37:38], v[39:40]
	v_fma_f64 v[11:12], v[19:20], v[11:12], -v[37:38]
	s_delay_alu instid0(VALU_DEP_2) | instskip(NEXT) | instid1(VALU_DEP_1)
	v_add_f64 v[28:29], v[33:34], v[15:16]
	v_add_f64 v[31:32], v[13:14], v[28:29]
	s_delay_alu instid0(VALU_DEP_1) | instskip(SKIP_1) | instid1(VALU_DEP_2)
	v_add_f64 v[35:36], v[31:32], v[17:18]
	v_add_f64 v[13:14], v[31:32], -v[13:14]
	v_cmp_gt_f64_e32 vcc_lo, 0, v[35:36]
	v_add_f64 v[35:36], v[33:34], -v[37:38]
	s_delay_alu instid0(VALU_DEP_3) | instskip(SKIP_1) | instid1(VALU_DEP_3)
	v_add_f64 v[13:14], v[28:29], -v[13:14]
	v_cndmask_b32_e64 v42, 0, 0x40100000, vcc_lo
	v_add_f64 v[46:47], v[33:34], -v[35:36]
	v_add_f64 v[35:36], v[39:40], -v[35:36]
	s_delay_alu instid0(VALU_DEP_3) | instskip(SKIP_1) | instid1(VALU_DEP_4)
	v_add_f64 v[17:18], v[17:18], v[41:42]
	v_add_f64 v[42:43], v[28:29], -v[33:34]
	v_add_f64 v[39:40], v[37:38], -v[46:47]
	s_delay_alu instid0(VALU_DEP_3) | instskip(NEXT) | instid1(VALU_DEP_3)
	v_add_f64 v[44:45], v[31:32], v[17:18]
	v_add_f64 v[48:49], v[28:29], -v[42:43]
	v_add_f64 v[15:16], v[15:16], -v[42:43]
	s_delay_alu instid0(VALU_DEP_4) | instskip(NEXT) | instid1(VALU_DEP_4)
	v_add_f64 v[35:36], v[35:36], v[39:40]
	v_cvt_i32_f64_e32 v44, v[44:45]
	s_delay_alu instid0(VALU_DEP_4) | instskip(NEXT) | instid1(VALU_DEP_2)
	v_add_f64 v[33:34], v[33:34], -v[48:49]
	v_cvt_f64_i32_e32 v[42:43], v44
	s_delay_alu instid0(VALU_DEP_2) | instskip(NEXT) | instid1(VALU_DEP_2)
	v_add_f64 v[15:16], v[15:16], v[33:34]
	v_add_f64 v[17:18], v[17:18], -v[42:43]
	s_delay_alu instid0(VALU_DEP_2) | instskip(NEXT) | instid1(VALU_DEP_2)
	v_add_f64 v[15:16], v[35:36], v[15:16]
	v_add_f64 v[33:34], v[31:32], v[17:18]
	s_delay_alu instid0(VALU_DEP_2) | instskip(NEXT) | instid1(VALU_DEP_2)
	v_add_f64 v[11:12], v[11:12], v[15:16]
	v_add_f64 v[15:16], v[33:34], -v[17:18]
	v_cmp_le_f64_e32 vcc_lo, 0.5, v[33:34]
	s_delay_alu instid0(VALU_DEP_3) | instskip(NEXT) | instid1(VALU_DEP_3)
	v_add_f64 v[11:12], v[13:14], v[11:12]
	v_add_f64 v[13:14], v[31:32], -v[15:16]
	v_cndmask_b32_e64 v42, 0, 0x3ff00000, vcc_lo
	v_add_co_ci_u32_e64 v28, s2, 0, v44, vcc_lo
	s_delay_alu instid0(VALU_DEP_3) | instskip(NEXT) | instid1(VALU_DEP_3)
	v_add_f64 v[11:12], v[11:12], v[13:14]
	v_add_f64 v[13:14], v[33:34], -v[41:42]
	s_delay_alu instid0(VALU_DEP_1) | instskip(NEXT) | instid1(VALU_DEP_1)
	v_add_f64 v[15:16], v[13:14], v[11:12]
	v_mul_f64 v[17:18], v[15:16], s[6:7]
	v_add_f64 v[13:14], v[15:16], -v[13:14]
	s_delay_alu instid0(VALU_DEP_2) | instskip(NEXT) | instid1(VALU_DEP_2)
	v_fma_f64 v[31:32], v[15:16], s[6:7], -v[17:18]
	v_add_f64 v[11:12], v[11:12], -v[13:14]
	s_delay_alu instid0(VALU_DEP_2) | instskip(NEXT) | instid1(VALU_DEP_1)
	v_fma_f64 v[13:14], v[15:16], s[10:11], v[31:32]
	v_fma_f64 v[13:14], v[11:12], s[6:7], v[13:14]
	s_delay_alu instid0(VALU_DEP_1) | instskip(NEXT) | instid1(VALU_DEP_1)
	v_add_f64 v[11:12], v[17:18], v[13:14]
	v_add_f64 v[15:16], v[11:12], -v[17:18]
	s_delay_alu instid0(VALU_DEP_1)
	v_add_f64 v[13:14], v[13:14], -v[15:16]
	s_and_not1_saveexec_b32 s2, s4
	s_cbranch_execz .LBB129_207
	s_branch .LBB129_206
.LBB129_205:
	s_and_not1_saveexec_b32 s2, s4
	s_cbranch_execz .LBB129_207
.LBB129_206:
	s_mov_b32 s4, 0x6dc9c883
	s_mov_b32 s5, 0x3fe45f30
	;; [unrolled: 1-line block ×3, first 2 shown]
	v_mul_f64 v[11:12], |v[2:3]|, s[4:5]
	s_mov_b32 s4, 0x54442d18
	s_mov_b32 s5, 0xbff921fb
	;; [unrolled: 1-line block ×3, first 2 shown]
	s_delay_alu instid0(VALU_DEP_1) | instskip(NEXT) | instid1(VALU_DEP_1)
	v_rndne_f64_e32 v[15:16], v[11:12]
	v_fma_f64 v[11:12], v[15:16], s[4:5], |v[2:3]|
	v_mul_f64 v[13:14], v[15:16], s[6:7]
	s_mov_b32 s4, 0x252049c0
	s_mov_b32 s5, 0xb97b839a
	s_delay_alu instid0(VALU_DEP_2) | instskip(NEXT) | instid1(VALU_DEP_2)
	v_fma_f64 v[28:29], v[15:16], s[6:7], v[11:12]
	v_add_f64 v[17:18], v[11:12], v[13:14]
	s_mov_b32 s7, 0x3c91a626
	s_delay_alu instid0(VALU_DEP_1) | instskip(NEXT) | instid1(VALU_DEP_3)
	v_add_f64 v[11:12], v[11:12], -v[17:18]
	v_add_f64 v[17:18], v[17:18], -v[28:29]
	s_delay_alu instid0(VALU_DEP_2) | instskip(SKIP_1) | instid1(VALU_DEP_2)
	v_add_f64 v[11:12], v[11:12], v[13:14]
	v_fma_f64 v[13:14], v[15:16], s[6:7], v[13:14]
	v_add_f64 v[11:12], v[17:18], v[11:12]
	s_delay_alu instid0(VALU_DEP_1) | instskip(NEXT) | instid1(VALU_DEP_1)
	v_add_f64 v[11:12], v[11:12], -v[13:14]
	v_fma_f64 v[13:14], v[15:16], s[4:5], v[11:12]
	s_delay_alu instid0(VALU_DEP_1) | instskip(NEXT) | instid1(VALU_DEP_1)
	v_add_f64 v[11:12], v[28:29], v[13:14]
	v_add_f64 v[17:18], v[11:12], -v[28:29]
	v_cvt_i32_f64_e32 v28, v[15:16]
	s_delay_alu instid0(VALU_DEP_2)
	v_add_f64 v[13:14], v[13:14], -v[17:18]
.LBB129_207:
	s_or_b32 exec_lo, exec_lo, s2
                                        ; implicit-def: $vgpr29
                                        ; implicit-def: $vgpr15_vgpr16
                                        ; implicit-def: $vgpr17_vgpr18
	s_and_saveexec_b32 s2, s3
	s_delay_alu instid0(SALU_CYCLE_1)
	s_xor_b32 s3, exec_lo, s2
	s_cbranch_execz .LBB129_209
; %bb.208:
	v_cmp_le_f64_e64 vcc_lo, 0x7b000000, |v[2:3]|
	v_mov_b32_e32 v39, 0
	s_mov_b32 s4, 0x54442d18
	s_mov_b32 s5, 0x3ff921fb
	;; [unrolled: 1-line block ×4, first 2 shown]
	v_cndmask_b32_e32 v16, v30, v26, vcc_lo
	v_cndmask_b32_e32 v15, v2, v25, vcc_lo
	s_delay_alu instid0(VALU_DEP_1) | instskip(SKIP_1) | instid1(VALU_DEP_2)
	v_mul_f64 v[17:18], v[23:24], v[15:16]
	v_mul_f64 v[25:26], v[21:22], v[15:16]
	v_fma_f64 v[23:24], v[23:24], v[15:16], -v[17:18]
	s_delay_alu instid0(VALU_DEP_2) | instskip(NEXT) | instid1(VALU_DEP_2)
	v_fma_f64 v[21:22], v[21:22], v[15:16], -v[25:26]
	v_add_f64 v[29:30], v[25:26], v[23:24]
	s_delay_alu instid0(VALU_DEP_1) | instskip(SKIP_1) | instid1(VALU_DEP_2)
	v_add_f64 v[31:32], v[29:30], -v[25:26]
	v_add_f64 v[35:36], v[17:18], v[29:30]
	v_add_f64 v[33:34], v[29:30], -v[31:32]
	v_add_f64 v[23:24], v[23:24], -v[31:32]
	s_delay_alu instid0(VALU_DEP_3) | instskip(SKIP_1) | instid1(VALU_DEP_4)
	v_ldexp_f64 v[31:32], v[35:36], -2
	v_add_f64 v[17:18], v[35:36], -v[17:18]
	v_add_f64 v[25:26], v[25:26], -v[33:34]
	s_delay_alu instid0(VALU_DEP_3) | instskip(NEXT) | instid1(VALU_DEP_3)
	v_cmp_neq_f64_e64 vcc_lo, 0x7ff00000, |v[31:32]|
	v_add_f64 v[17:18], v[29:30], -v[17:18]
	s_delay_alu instid0(VALU_DEP_3) | instskip(SKIP_1) | instid1(VALU_DEP_1)
	v_add_f64 v[23:24], v[23:24], v[25:26]
	v_fract_f64_e32 v[25:26], v[31:32]
	v_dual_cndmask_b32 v26, 0, v26 :: v_dual_cndmask_b32 v25, 0, v25
	v_mul_f64 v[37:38], v[19:20], v[15:16]
	s_delay_alu instid0(VALU_DEP_2) | instskip(NEXT) | instid1(VALU_DEP_2)
	v_ldexp_f64 v[25:26], v[25:26], 2
	v_add_f64 v[33:34], v[37:38], v[21:22]
	v_fma_f64 v[15:16], v[19:20], v[15:16], -v[37:38]
	s_delay_alu instid0(VALU_DEP_2) | instskip(NEXT) | instid1(VALU_DEP_1)
	v_add_f64 v[29:30], v[33:34], v[23:24]
	v_add_f64 v[31:32], v[17:18], v[29:30]
	s_delay_alu instid0(VALU_DEP_1) | instskip(SKIP_1) | instid1(VALU_DEP_2)
	v_add_f64 v[35:36], v[31:32], v[25:26]
	v_add_f64 v[17:18], v[31:32], -v[17:18]
	v_cmp_gt_f64_e32 vcc_lo, 0, v[35:36]
	v_add_f64 v[35:36], v[33:34], -v[37:38]
	s_delay_alu instid0(VALU_DEP_3) | instskip(SKIP_1) | instid1(VALU_DEP_3)
	v_add_f64 v[17:18], v[29:30], -v[17:18]
	v_cndmask_b32_e64 v40, 0, 0x40100000, vcc_lo
	v_add_f64 v[44:45], v[33:34], -v[35:36]
	v_add_f64 v[21:22], v[21:22], -v[35:36]
	s_delay_alu instid0(VALU_DEP_3) | instskip(SKIP_1) | instid1(VALU_DEP_4)
	v_add_f64 v[25:26], v[25:26], v[39:40]
	v_add_f64 v[40:41], v[29:30], -v[33:34]
	v_add_f64 v[35:36], v[37:38], -v[44:45]
	s_delay_alu instid0(VALU_DEP_3) | instskip(NEXT) | instid1(VALU_DEP_3)
	v_add_f64 v[42:43], v[31:32], v[25:26]
	v_add_f64 v[46:47], v[29:30], -v[40:41]
	v_add_f64 v[23:24], v[23:24], -v[40:41]
	s_delay_alu instid0(VALU_DEP_4) | instskip(NEXT) | instid1(VALU_DEP_4)
	v_add_f64 v[21:22], v[21:22], v[35:36]
	v_cvt_i32_f64_e32 v42, v[42:43]
	s_delay_alu instid0(VALU_DEP_4) | instskip(NEXT) | instid1(VALU_DEP_2)
	v_add_f64 v[33:34], v[33:34], -v[46:47]
	v_cvt_f64_i32_e32 v[40:41], v42
	s_delay_alu instid0(VALU_DEP_2) | instskip(NEXT) | instid1(VALU_DEP_2)
	v_add_f64 v[23:24], v[23:24], v[33:34]
	v_add_f64 v[25:26], v[25:26], -v[40:41]
	s_delay_alu instid0(VALU_DEP_2) | instskip(NEXT) | instid1(VALU_DEP_2)
	v_add_f64 v[19:20], v[21:22], v[23:24]
	v_add_f64 v[21:22], v[31:32], v[25:26]
	s_delay_alu instid0(VALU_DEP_2) | instskip(NEXT) | instid1(VALU_DEP_2)
	v_add_f64 v[15:16], v[15:16], v[19:20]
	v_add_f64 v[19:20], v[21:22], -v[25:26]
	v_cmp_le_f64_e32 vcc_lo, 0.5, v[21:22]
	s_delay_alu instid0(VALU_DEP_3) | instskip(NEXT) | instid1(VALU_DEP_3)
	v_add_f64 v[15:16], v[17:18], v[15:16]
	v_add_f64 v[17:18], v[31:32], -v[19:20]
	v_cndmask_b32_e64 v40, 0, 0x3ff00000, vcc_lo
	v_add_co_ci_u32_e64 v29, s2, 0, v42, vcc_lo
	s_delay_alu instid0(VALU_DEP_3) | instskip(NEXT) | instid1(VALU_DEP_3)
	v_add_f64 v[15:16], v[15:16], v[17:18]
	v_add_f64 v[17:18], v[21:22], -v[39:40]
	s_delay_alu instid0(VALU_DEP_1) | instskip(NEXT) | instid1(VALU_DEP_1)
	v_add_f64 v[19:20], v[17:18], v[15:16]
	v_mul_f64 v[21:22], v[19:20], s[4:5]
	v_add_f64 v[17:18], v[19:20], -v[17:18]
	s_delay_alu instid0(VALU_DEP_2) | instskip(NEXT) | instid1(VALU_DEP_2)
	v_fma_f64 v[23:24], v[19:20], s[4:5], -v[21:22]
	v_add_f64 v[15:16], v[15:16], -v[17:18]
	s_delay_alu instid0(VALU_DEP_2) | instskip(NEXT) | instid1(VALU_DEP_1)
	v_fma_f64 v[17:18], v[19:20], s[6:7], v[23:24]
	v_fma_f64 v[17:18], v[15:16], s[4:5], v[17:18]
	s_delay_alu instid0(VALU_DEP_1) | instskip(NEXT) | instid1(VALU_DEP_1)
	v_add_f64 v[15:16], v[21:22], v[17:18]
	v_add_f64 v[19:20], v[15:16], -v[21:22]
	s_delay_alu instid0(VALU_DEP_1)
	v_add_f64 v[17:18], v[17:18], -v[19:20]
	s_and_not1_saveexec_b32 s2, s3
	s_cbranch_execnz .LBB129_210
	s_branch .LBB129_211
.LBB129_209:
	s_and_not1_saveexec_b32 s2, s3
	s_cbranch_execz .LBB129_211
.LBB129_210:
	s_mov_b32 s4, 0x6dc9c883
	s_mov_b32 s5, 0x3fe45f30
	;; [unrolled: 1-line block ×3, first 2 shown]
	v_mul_f64 v[15:16], |v[2:3]|, s[4:5]
	s_mov_b32 s4, 0x54442d18
	s_mov_b32 s5, 0xbff921fb
	;; [unrolled: 1-line block ×3, first 2 shown]
	s_delay_alu instid0(VALU_DEP_1) | instskip(NEXT) | instid1(VALU_DEP_1)
	v_rndne_f64_e32 v[19:20], v[15:16]
	v_fma_f64 v[15:16], v[19:20], s[4:5], |v[2:3]|
	v_mul_f64 v[17:18], v[19:20], s[6:7]
	s_mov_b32 s4, 0x252049c0
	s_mov_b32 s5, 0xb97b839a
	v_cvt_i32_f64_e32 v29, v[19:20]
	s_delay_alu instid0(VALU_DEP_3) | instskip(NEXT) | instid1(VALU_DEP_3)
	v_fma_f64 v[23:24], v[19:20], s[6:7], v[15:16]
	v_add_f64 v[21:22], v[15:16], v[17:18]
	s_mov_b32 s7, 0x3c91a626
	s_delay_alu instid0(VALU_DEP_1) | instskip(NEXT) | instid1(VALU_DEP_3)
	v_add_f64 v[15:16], v[15:16], -v[21:22]
	v_add_f64 v[21:22], v[21:22], -v[23:24]
	s_delay_alu instid0(VALU_DEP_2) | instskip(SKIP_1) | instid1(VALU_DEP_2)
	v_add_f64 v[15:16], v[15:16], v[17:18]
	v_fma_f64 v[17:18], v[19:20], s[6:7], v[17:18]
	v_add_f64 v[15:16], v[21:22], v[15:16]
	s_delay_alu instid0(VALU_DEP_1) | instskip(NEXT) | instid1(VALU_DEP_1)
	v_add_f64 v[15:16], v[15:16], -v[17:18]
	v_fma_f64 v[17:18], v[19:20], s[4:5], v[15:16]
	s_delay_alu instid0(VALU_DEP_1) | instskip(NEXT) | instid1(VALU_DEP_1)
	v_add_f64 v[15:16], v[23:24], v[17:18]
	v_add_f64 v[21:22], v[15:16], -v[23:24]
	s_delay_alu instid0(VALU_DEP_1)
	v_add_f64 v[17:18], v[17:18], -v[21:22]
.LBB129_211:
	s_or_b32 exec_lo, exec_lo, s2
	s_mov_b32 s2, 0x652b82fe
	s_mov_b32 s3, 0x3ff71547
	;; [unrolled: 1-line block ×3, first 2 shown]
	v_mul_f64 v[19:20], v[0:1], s[2:3]
	s_mov_b32 s6, 0xfefa39ef
	s_mov_b32 s2, 0x3b39803f
	;; [unrolled: 1-line block ×5, first 2 shown]
	v_mul_f64 v[30:31], v[7:8], v[7:8]
	s_mov_b32 s10, 0xf9a43bb8
	s_mov_b32 s11, 0x3de5e0b2
	s_mov_b32 s15, 0x3f56c16c
	s_mov_b32 s14, 0x1852b7b0
	v_mul_f64 v[34:35], v[11:12], v[11:12]
	s_mov_b32 s16, 0x9037ab78
	s_mov_b32 s18, 0x796cde01
	s_mov_b32 s17, 0x3e21eeb6
	s_mov_b32 s19, 0x3ec71de3
	;; [unrolled: 5-line block ×3, first 2 shown]
	s_mov_b32 s23, 0xbe927e4f
	s_mov_b32 s25, 0xbf2a01a0
	;; [unrolled: 1-line block ×4, first 2 shown]
	v_mul_f64 v[52:53], v[9:10], 0.5
	v_mul_f64 v[64:65], v[13:14], 0.5
	s_mov_b32 s34, exec_lo
	v_rndne_f64_e32 v[19:20], v[19:20]
	v_mul_f64 v[36:37], v[30:31], 0.5
	v_mul_f64 v[54:55], v[7:8], -v[30:31]
	v_mul_f64 v[68:69], v[30:31], v[30:31]
	v_mul_f64 v[48:49], v[34:35], 0.5
	v_mul_f64 v[66:67], v[11:12], -v[34:35]
	v_mul_f64 v[58:59], v[40:41], 0.5
	v_fma_f64 v[21:22], v[19:20], s[6:7], v[0:1]
	v_cvt_i32_f64_e32 v72, v[19:20]
	v_cmp_eq_f64_e32 vcc_lo, 0x40900000, v[19:20]
	s_mov_b32 s7, 0x40862e42
	s_delay_alu instid0(SALU_CYCLE_1)
	v_cmp_nlt_f64_e64 s6, s[6:7], v[0:1]
	v_add_f64 v[44:45], -v[36:37], 1.0
	v_cmp_ngt_f64_e64 s7, 0xc0428000, v[0:1]
	v_add_f64 v[62:63], -v[48:49], 1.0
	v_fma_f64 v[21:22], v[19:20], s[2:3], v[21:22]
	s_mov_b32 s2, 0x2a1b768b
	s_mov_b32 s3, 0x3e5af4eb
	v_cndmask_b32_e64 v73, v72, 0x3ff, vcc_lo
	v_add_f64 v[56:57], -v[44:45], 1.0
	s_delay_alu instid0(VALU_DEP_3) | instskip(SKIP_4) | instid1(SALU_CYCLE_1)
	v_fma_f64 v[23:24], v[21:22], s[4:5], s[2:3]
	s_mov_b32 s2, 0xfca7ab0c
	s_mov_b32 s4, 0x6a5dcb37
	;; [unrolled: 1-line block ×4, first 2 shown]
	v_fma_f64 v[25:26], v[21:22], s[4:5], s[2:3]
	s_mov_b32 s2, 0xe0ac05b
	s_mov_b32 s3, 0x3e927e50
	;; [unrolled: 1-line block ×4, first 2 shown]
	s_delay_alu instid0(VALU_DEP_3) | instskip(NEXT) | instid1(VALU_DEP_3)
	v_add_f64 v[36:37], v[56:57], -v[36:37]
	v_fma_f64 v[23:24], v[21:22], v[23:24], s[2:3]
	s_mov_b32 s2, 0x623fde64
	s_mov_b32 s3, 0x3ec71dee
	s_delay_alu instid0(VALU_DEP_3) | instid1(SALU_CYCLE_1)
	v_fma_f64 v[25:26], v[21:22], v[25:26], s[2:3]
	s_mov_b32 s2, 0x1b889c29
	s_mov_b32 s3, 0x3ec71de0
	s_delay_alu instid0(VALU_DEP_3) | instskip(NEXT) | instid1(VALU_DEP_3)
	v_fma_f64 v[36:37], v[7:8], -v[9:10], v[36:37]
	v_fma_f64 v[23:24], v[21:22], v[23:24], s[2:3]
	s_mov_b32 s2, 0x7c89e6b0
	s_mov_b32 s3, 0x3efa0199
	s_delay_alu instid0(VALU_DEP_3) | instid1(SALU_CYCLE_1)
	v_fma_f64 v[25:26], v[21:22], v[25:26], s[2:3]
	s_mov_b32 s3, 0x3efa01a0
	s_mov_b32 s2, 0x197bcfd8
	s_delay_alu instid0(VALU_DEP_2) | instid1(SALU_CYCLE_1)
	v_fma_f64 v[23:24], v[21:22], v[23:24], s[2:3]
	s_mov_b32 s2, 0x19f4ec90
	s_delay_alu instid0(VALU_DEP_2)
	v_fma_f64 v[25:26], v[21:22], v[25:26], s[4:5]
	s_mov_b32 s4, 0x1ac1a723
	s_delay_alu instid0(VALU_DEP_2) | instid1(SALU_CYCLE_1)
	v_fma_f64 v[23:24], v[21:22], v[23:24], s[4:5]
	s_mov_b32 s4, 0xb42fdfa7
	s_mov_b32 s5, 0xbe5ae600
	s_delay_alu instid0(SALU_CYCLE_1) | instskip(SKIP_1) | instid1(VALU_DEP_4)
	v_fma_f64 v[32:33], v[30:31], s[10:11], s[4:5]
	v_fma_f64 v[42:43], v[34:35], s[10:11], s[4:5]
	;; [unrolled: 1-line block ×3, first 2 shown]
	s_mov_b32 s14, 0x16c18931
	v_fma_f64 v[46:47], v[40:41], s[10:11], s[4:5]
	s_mov_b32 s5, 0x3fc55555
	s_mov_b32 s4, 0x55555511
	;; [unrolled: 1-line block ×3, first 2 shown]
	v_fma_f64 v[23:24], v[21:22], v[23:24], s[14:15]
	s_mov_b32 s14, 0x46cc5e42
	s_mov_b32 s15, 0xbda907db
	s_delay_alu instid0(SALU_CYCLE_1)
	v_fma_f64 v[38:39], v[30:31], s[14:15], s[16:17]
	v_fma_f64 v[32:33], v[30:31], v[32:33], s[18:19]
	;; [unrolled: 1-line block ×3, first 2 shown]
	s_mov_b32 s20, 0x11110056
	v_fma_f64 v[50:51], v[34:35], s[14:15], s[16:17]
	v_fma_f64 v[42:43], v[34:35], v[42:43], s[18:19]
	;; [unrolled: 1-line block ×5, first 2 shown]
	s_mov_b32 s20, 0x11110bb3
	v_fma_f64 v[38:39], v[30:31], v[38:39], s[22:23]
	v_fma_f64 v[32:33], v[30:31], v[32:33], s[24:25]
	;; [unrolled: 1-line block ×3, first 2 shown]
	s_mov_b32 s36, 0x55555552
	v_fma_f64 v[50:51], v[34:35], v[50:51], s[22:23]
	v_fma_f64 v[42:43], v[34:35], v[42:43], s[24:25]
	;; [unrolled: 1-line block ×4, first 2 shown]
	v_add_f64 v[60:61], -v[62:63], 1.0
	v_fma_f64 v[23:24], v[21:22], v[23:24], s[36:37]
	s_mov_b32 s36, 0x55555555
	s_delay_alu instid0(SALU_CYCLE_1)
	s_mov_b32 s10, s36
	v_fma_f64 v[38:39], v[30:31], v[38:39], s[2:3]
	v_fma_f64 v[32:33], v[30:31], v[32:33], s[20:21]
	;; [unrolled: 1-line block ×3, first 2 shown]
	s_mov_b32 s4, 0x55555557
	v_fma_f64 v[50:51], v[34:35], v[50:51], s[2:3]
	v_fma_f64 v[42:43], v[34:35], v[42:43], s[20:21]
	;; [unrolled: 1-line block ×4, first 2 shown]
	s_mov_b32 s2, 11
	v_add_f64 v[48:49], v[60:61], -v[48:49]
	s_mov_b32 s3, 0x3fe00000
	v_ldexp_f64 v[56:57], 1.0, v73
	v_fma_f64 v[23:24], v[21:22], v[23:24], s[4:5]
	s_mov_b32 s4, 0x16c16967
	s_mov_b32 s5, 0xbf56c16c
	s_delay_alu instid0(SALU_CYCLE_1)
	v_fma_f64 v[38:39], v[30:31], v[38:39], s[4:5]
	v_fma_f64 v[32:33], v[54:55], v[32:33], v[52:53]
	v_add_f64 v[52:53], -v[58:59], 1.0
	v_fma_f64 v[25:26], v[21:22], v[25:26], s[2:3]
	v_fma_f64 v[50:51], v[34:35], v[50:51], s[4:5]
	;; [unrolled: 1-line block ×4, first 2 shown]
	v_cmp_class_f64_e64 s3, v[5:6], 0x1f8
	v_cmp_nlt_f64_e64 s4, 0x40900000, v[0:1]
	v_fma_f64 v[48:49], v[11:12], -v[13:14], v[48:49]
	v_cmp_ngt_f64_e64 s5, 0xc090cc00, v[0:1]
	v_fma_f64 v[23:24], v[21:22], v[23:24], 0.5
	v_fma_f64 v[38:39], v[30:31], v[38:39], s[36:37]
	v_fma_f64 v[9:10], v[30:31], v[32:33], -v[9:10]
	v_mul_f64 v[30:31], v[17:18], 0.5
	v_mul_f64 v[32:33], v[15:16], -v[40:41]
	v_add_f64 v[70:71], -v[52:53], 1.0
	v_fma_f64 v[50:51], v[34:35], v[50:51], s[36:37]
	v_fma_f64 v[13:14], v[34:35], v[42:43], -v[13:14]
	v_fma_f64 v[25:26], v[21:22], v[25:26], 1.0
	v_fma_f64 v[19:20], v[40:41], v[19:20], s[36:37]
	v_mul_f64 v[23:24], v[21:22], v[23:24]
	v_fma_f64 v[36:37], v[68:69], v[38:39], v[36:37]
	v_fma_f64 v[9:10], v[54:55], s[10:11], v[9:10]
	v_fma_f64 v[30:31], v[32:33], v[46:47], v[30:31]
	v_add_f64 v[38:39], v[70:71], -v[58:59]
	v_mul_f64 v[46:47], v[34:35], v[34:35]
	v_add_f64 v[34:35], v[56:57], -1.0
	v_fma_f64 v[13:14], v[66:67], s[10:11], v[13:14]
	v_fma_f64 v[23:24], v[21:22], v[23:24], v[21:22]
	v_fma_f64 v[21:22], v[21:22], v[25:26], 1.0
	v_add_f64 v[36:37], v[44:45], v[36:37]
	v_add_f64 v[7:8], v[7:8], -v[9:10]
	v_mul_f64 v[9:10], v[40:41], v[40:41]
	v_fma_f64 v[38:39], v[15:16], -v[17:18], v[38:39]
	v_fma_f64 v[17:18], v[40:41], v[30:31], -v[17:18]
	v_fma_f64 v[30:31], v[46:47], v[50:51], v[48:49]
	v_fma_f64 v[23:24], v[56:57], v[23:24], v[34:35]
	v_and_b32_e32 v34, 1, v27
	v_lshlrev_b32_e32 v5, 30, v27
	s_delay_alu instid0(VALU_DEP_2) | instskip(NEXT) | instid1(VALU_DEP_1)
	v_cmp_eq_u32_e64 s2, 0, v34
	v_cndmask_b32_e64 v25, v36, v7, s2
	s_delay_alu instid0(VALU_DEP_3)
	v_xor_b32_e32 v7, v5, v6
	v_fma_f64 v[5:6], v[9:10], v[19:20], v[38:39]
	v_fma_f64 v[9:10], v[32:33], s[10:11], v[17:18]
	v_cndmask_b32_e64 v20, v37, v8, s2
	v_add_f64 v[17:18], v[62:63], v[30:31]
	v_and_b32_e32 v19, 0x80000000, v7
	v_add_f64 v[7:8], v[11:12], -v[13:14]
	v_ldexp_f64 v[13:14], v[21:22], v72
	s_delay_alu instid0(VALU_DEP_3) | instskip(SKIP_2) | instid1(VALU_DEP_3)
	v_xor_b32_e32 v20, v20, v19
	v_cndmask_b32_e64 v19, 0, v25, s3
	v_and_b32_e32 v25, 1, v28
	v_cndmask_b32_e64 v20, 0x7ff80000, v20, s3
	v_cmp_class_f64_e64 s3, v[2:3], 0x1f8
	s_delay_alu instid0(VALU_DEP_3) | instskip(NEXT) | instid1(VALU_DEP_3)
	v_cmp_eq_u32_e64 s2, 0, v25
	v_add_f64 v[21:22], v[19:20], v[19:20]
	v_add_f64 v[11:12], v[23:24], v[23:24]
	;; [unrolled: 1-line block ×3, first 2 shown]
	v_add_f64 v[9:10], v[15:16], -v[9:10]
	v_lshlrev_b32_e32 v15, 30, v28
	v_cndmask_b32_e64 v7, v7, v17, s2
	v_xor_b32_e32 v8, 0x80000000, v8
	s_delay_alu instid0(VALU_DEP_1) | instskip(SKIP_3) | instid1(VALU_DEP_2)
	v_cndmask_b32_e64 v8, v8, v18, s2
	v_mul_f64 v[0:1], v[21:22], v[19:20]
	v_cndmask_b32_e32 v2, v24, v12, vcc_lo
	v_cndmask_b32_e64 v12, 0x7ff00000, v14, s4
	v_cndmask_b32_e64 v14, 0x7ff00000, v2, s6
	v_lshlrev_b32_e32 v2, 30, v29
	s_delay_alu instid0(VALU_DEP_1) | instskip(SKIP_1) | instid1(VALU_DEP_2)
	v_xor_b32_e32 v2, v2, v3
	v_and_b32_e32 v3, 0x80000000, v15
	v_and_b32_e32 v15, 0x80000000, v2
	v_cndmask_b32_e64 v2, 0, v7, s3
	v_dual_cndmask_b32 v7, v23, v11 :: v_dual_and_b32 v16, 1, v29
	s_delay_alu instid0(VALU_DEP_4) | instskip(SKIP_2) | instid1(VALU_DEP_3)
	v_xor_b32_e32 v3, v8, v3
	s_and_b32 vcc_lo, s5, s4
	v_cndmask_b32_e64 v8, 0xbff00000, v14, s7
	v_cmp_eq_u32_e64 s8, 0, v16
	s_delay_alu instid0(VALU_DEP_3) | instskip(NEXT) | instid1(VALU_DEP_2)
	v_cndmask_b32_e64 v3, 0x7ff80000, v3, s3
	v_cndmask_b32_e64 v9, v5, v9, s8
	;; [unrolled: 1-line block ×4, first 2 shown]
	s_delay_alu instid0(VALU_DEP_3) | instskip(NEXT) | instid1(VALU_DEP_3)
	v_cndmask_b32_e64 v9, 0, v9, s3
	v_xor_b32_e32 v10, v5, v15
	v_cndmask_b32_e32 v5, 0, v13, vcc_lo
	s_and_b32 vcc_lo, s7, s6
	v_cndmask_b32_e32 v7, 0, v7, vcc_lo
	s_delay_alu instid0(VALU_DEP_3) | instskip(NEXT) | instid1(VALU_DEP_2)
	v_cndmask_b32_e64 v10, 0x7ff80000, v10, s3
	v_fma_f64 v[7:8], v[7:8], v[2:3], -v[0:1]
	s_delay_alu instid0(VALU_DEP_2) | instskip(SKIP_1) | instid1(VALU_DEP_1)
	v_mul_f64 v[0:1], v[5:6], v[9:10]
	v_add_co_u32 v2, s2, s12, v4
	v_add_co_ci_u32_e64 v3, null, s13, 0, s2
	global_store_b64 v4, v[7:8], s[12:13]
.LBB129_212:
	s_or_b32 exec_lo, exec_lo, s31
	s_delay_alu instid0(SALU_CYCLE_1)
	s_and_b32 s30, s34, exec_lo
                                        ; implicit-def: $vgpr5
                                        ; implicit-def: $vgpr27
	s_and_not1_saveexec_b32 s31, s28
	s_cbranch_execnz .LBB129_8
.LBB129_213:
	s_or_b32 exec_lo, exec_lo, s31
	s_and_saveexec_b32 s0, s30
	s_cbranch_execz .LBB129_117
.LBB129_214:
	global_store_b64 v[2:3], v[0:1], off offset:8
	s_nop 0
	s_sendmsg sendmsg(MSG_DEALLOC_VGPRS)
	s_endpgm
	.section	.rodata,"a",@progbits
	.p2align	6, 0x0
	.amdhsa_kernel _ZN2at6native32elementwise_kernel_manual_unrollILi128ELi4EZNS0_22gpu_kernel_impl_nocastIZZZNS0_17expm1_kernel_cudaERNS_18TensorIteratorBaseEENKUlvE_clEvENKUlvE1_clEvEUlN3c107complexIdEEE_EEvS4_RKT_EUlibE_EEviT1_
		.amdhsa_group_segment_fixed_size 0
		.amdhsa_private_segment_fixed_size 0
		.amdhsa_kernarg_size 360
		.amdhsa_user_sgpr_count 15
		.amdhsa_user_sgpr_dispatch_ptr 0
		.amdhsa_user_sgpr_queue_ptr 0
		.amdhsa_user_sgpr_kernarg_segment_ptr 1
		.amdhsa_user_sgpr_dispatch_id 0
		.amdhsa_user_sgpr_private_segment_size 0
		.amdhsa_wavefront_size32 1
		.amdhsa_uses_dynamic_stack 0
		.amdhsa_enable_private_segment 0
		.amdhsa_system_sgpr_workgroup_id_x 1
		.amdhsa_system_sgpr_workgroup_id_y 0
		.amdhsa_system_sgpr_workgroup_id_z 0
		.amdhsa_system_sgpr_workgroup_info 0
		.amdhsa_system_vgpr_workitem_id 0
		.amdhsa_next_free_vgpr 166
		.amdhsa_next_free_sgpr 56
		.amdhsa_reserve_vcc 1
		.amdhsa_float_round_mode_32 0
		.amdhsa_float_round_mode_16_64 0
		.amdhsa_float_denorm_mode_32 3
		.amdhsa_float_denorm_mode_16_64 3
		.amdhsa_dx10_clamp 1
		.amdhsa_ieee_mode 1
		.amdhsa_fp16_overflow 0
		.amdhsa_workgroup_processor_mode 1
		.amdhsa_memory_ordered 1
		.amdhsa_forward_progress 0
		.amdhsa_shared_vgpr_count 0
		.amdhsa_exception_fp_ieee_invalid_op 0
		.amdhsa_exception_fp_denorm_src 0
		.amdhsa_exception_fp_ieee_div_zero 0
		.amdhsa_exception_fp_ieee_overflow 0
		.amdhsa_exception_fp_ieee_underflow 0
		.amdhsa_exception_fp_ieee_inexact 0
		.amdhsa_exception_int_div_zero 0
	.end_amdhsa_kernel
	.section	.text._ZN2at6native32elementwise_kernel_manual_unrollILi128ELi4EZNS0_22gpu_kernel_impl_nocastIZZZNS0_17expm1_kernel_cudaERNS_18TensorIteratorBaseEENKUlvE_clEvENKUlvE1_clEvEUlN3c107complexIdEEE_EEvS4_RKT_EUlibE_EEviT1_,"axG",@progbits,_ZN2at6native32elementwise_kernel_manual_unrollILi128ELi4EZNS0_22gpu_kernel_impl_nocastIZZZNS0_17expm1_kernel_cudaERNS_18TensorIteratorBaseEENKUlvE_clEvENKUlvE1_clEvEUlN3c107complexIdEEE_EEvS4_RKT_EUlibE_EEviT1_,comdat
.Lfunc_end129:
	.size	_ZN2at6native32elementwise_kernel_manual_unrollILi128ELi4EZNS0_22gpu_kernel_impl_nocastIZZZNS0_17expm1_kernel_cudaERNS_18TensorIteratorBaseEENKUlvE_clEvENKUlvE1_clEvEUlN3c107complexIdEEE_EEvS4_RKT_EUlibE_EEviT1_, .Lfunc_end129-_ZN2at6native32elementwise_kernel_manual_unrollILi128ELi4EZNS0_22gpu_kernel_impl_nocastIZZZNS0_17expm1_kernel_cudaERNS_18TensorIteratorBaseEENKUlvE_clEvENKUlvE1_clEvEUlN3c107complexIdEEE_EEvS4_RKT_EUlibE_EEviT1_
                                        ; -- End function
	.section	.AMDGPU.csdata,"",@progbits
; Kernel info:
; codeLenInByte = 42872
; NumSgprs: 58
; NumVgprs: 166
; ScratchSize: 0
; MemoryBound: 0
; FloatMode: 240
; IeeeMode: 1
; LDSByteSize: 0 bytes/workgroup (compile time only)
; SGPRBlocks: 7
; VGPRBlocks: 20
; NumSGPRsForWavesPerEU: 58
; NumVGPRsForWavesPerEU: 166
; Occupancy: 9
; WaveLimiterHint : 1
; COMPUTE_PGM_RSRC2:SCRATCH_EN: 0
; COMPUTE_PGM_RSRC2:USER_SGPR: 15
; COMPUTE_PGM_RSRC2:TRAP_HANDLER: 0
; COMPUTE_PGM_RSRC2:TGID_X_EN: 1
; COMPUTE_PGM_RSRC2:TGID_Y_EN: 0
; COMPUTE_PGM_RSRC2:TGID_Z_EN: 0
; COMPUTE_PGM_RSRC2:TIDIG_COMP_CNT: 0
	.text
	.p2align	2                               ; -- Begin function _ZN2at6native6invokeIZZZNS0_17expm1_kernel_cudaERNS_18TensorIteratorBaseEENKUlvE_clEvENKUlvE1_clEvEUlN3c107complexIdEEE_i15function_traitsIS9_EEENT1_11result_typeERKT_PrKPcPKT0_PKNS6_10ScalarTypeEi
	.type	_ZN2at6native6invokeIZZZNS0_17expm1_kernel_cudaERNS_18TensorIteratorBaseEENKUlvE_clEvENKUlvE1_clEvEUlN3c107complexIdEEE_i15function_traitsIS9_EEENT1_11result_typeERKT_PrKPcPKT0_PKNS6_10ScalarTypeEi,@function
_ZN2at6native6invokeIZZZNS0_17expm1_kernel_cudaERNS_18TensorIteratorBaseEENKUlvE_clEvENKUlvE1_clEvEUlN3c107complexIdEEE_i15function_traitsIS9_EEENT1_11result_typeERKT_PrKPcPKT0_PKNS6_10ScalarTypeEi: ; @_ZN2at6native6invokeIZZZNS0_17expm1_kernel_cudaERNS_18TensorIteratorBaseEENKUlvE_clEvENKUlvE1_clEvEUlN3c107complexIdEEE_i15function_traitsIS9_EEENT1_11result_typeERKT_PrKPcPKT0_PKNS6_10ScalarTypeEi
; %bb.0:
	s_waitcnt vmcnt(0) expcnt(0) lgkmcnt(0)
	v_mul_lo_u32 v4, v4, v2
	v_and_b32_e32 v2, 0xff, v3
	s_mov_b32 s2, 0
                                        ; implicit-def: $vgpr6_vgpr7
	s_mov_b32 s0, exec_lo
	s_delay_alu instid0(VALU_DEP_2) | instskip(SKIP_1) | instid1(VALU_DEP_2)
	v_ashrrev_i32_e32 v5, 31, v4
	v_add_co_u32 v0, vcc_lo, v0, v4
	v_add_co_ci_u32_e32 v1, vcc_lo, v1, v5, vcc_lo
	v_cmpx_lt_i16_e32 10, v2
	s_xor_b32 s4, exec_lo, s0
	s_cbranch_execz .LBB130_41
; %bb.1:
	s_mov_b32 s5, 0
	s_mov_b32 s8, 0
	;; [unrolled: 1-line block ×3, first 2 shown]
                                        ; implicit-def: $vgpr6_vgpr7
	s_mov_b32 s0, exec_lo
	v_cmpx_lt_i16_e32 25, v2
	s_xor_b32 s7, exec_lo, s0
	s_cbranch_execz .LBB130_91
; %bb.2:
                                        ; implicit-def: $vgpr6_vgpr7
	s_mov_b32 s0, exec_lo
	v_cmpx_lt_i16_e32 28, v2
	s_xor_b32 s2, exec_lo, s0
	s_cbranch_execz .LBB130_18
; %bb.3:
	s_mov_b32 s9, 0
                                        ; implicit-def: $vgpr6_vgpr7
	s_mov_b32 s0, exec_lo
	v_cmpx_lt_i16_e32 43, v2
	s_xor_b32 s3, exec_lo, s0
	s_cbranch_execz .LBB130_13
; %bb.4:
	s_mov_b32 s0, exec_lo
                                        ; implicit-def: $vgpr6_vgpr7
	v_cmpx_lt_i16_e32 45, v2
	s_xor_b32 s0, exec_lo, s0
	s_cbranch_execz .LBB130_8
; %bb.5:
	s_mov_b32 s6, -1
	s_mov_b32 s1, 0
	s_mov_b32 s8, exec_lo
                                        ; implicit-def: $vgpr6_vgpr7
	v_cmpx_eq_u16_e32 46, v2
	s_cbranch_execz .LBB130_7
; %bb.6:
	flat_load_b32 v2, v[0:1]
	s_mov_b32 s1, exec_lo
	s_xor_b32 s6, exec_lo, -1
	s_waitcnt vmcnt(0) lgkmcnt(0)
	v_lshlrev_b32_e32 v3, 16, v2
	v_and_b32_e32 v2, 0xffff0000, v2
	s_delay_alu instid0(VALU_DEP_2) | instskip(NEXT) | instid1(VALU_DEP_2)
	v_cvt_f64_f32_e32 v[4:5], v3
	v_cvt_f64_f32_e32 v[6:7], v2
.LBB130_7:
	s_or_b32 exec_lo, exec_lo, s8
	s_delay_alu instid0(SALU_CYCLE_1)
	s_and_b32 s8, s1, exec_lo
	s_and_b32 s6, s6, exec_lo
                                        ; implicit-def: $vgpr2
.LBB130_8:
	s_and_not1_saveexec_b32 s9, s0
	s_cbranch_execz .LBB130_12
; %bb.9:
	s_mov_b32 s11, -1
	s_mov_b32 s12, s8
	s_mov_b32 s10, exec_lo
                                        ; implicit-def: $sgpr0_sgpr1
                                        ; implicit-def: $vgpr4_vgpr5
	v_cmpx_eq_u16_e32 44, v2
	s_cbranch_execz .LBB130_11
; %bb.10:
	flat_load_u8 v4, v[0:1]
	s_mov_b64 s[0:1], 0
	s_or_b32 s12, s8, exec_lo
	s_xor_b32 s11, exec_lo, -1
	s_waitcnt vmcnt(0) lgkmcnt(0)
	v_cmp_ne_u32_e32 vcc_lo, 0xff, v4
	v_lshlrev_b32_e32 v2, 23, v4
	s_delay_alu instid0(VALU_DEP_1) | instskip(NEXT) | instid1(VALU_DEP_1)
	v_cvt_f64_f32_e32 v[2:3], v2
	v_cndmask_b32_e32 v3, 0x7ff80000, v3, vcc_lo
	s_delay_alu instid0(VALU_DEP_2) | instskip(SKIP_1) | instid1(VALU_DEP_3)
	v_cndmask_b32_e32 v2, 0x20000000, v2, vcc_lo
	v_cmp_ne_u32_e32 vcc_lo, 0, v4
	v_cndmask_b32_e32 v5, 0x38000000, v3, vcc_lo
	s_delay_alu instid0(VALU_DEP_3)
	v_cndmask_b32_e32 v4, 0, v2, vcc_lo
.LBB130_11:
	s_or_b32 exec_lo, exec_lo, s10
	v_dual_mov_b32 v7, s1 :: v_dual_mov_b32 v6, s0
	s_and_not1_b32 s0, s8, exec_lo
	s_and_b32 s1, s12, exec_lo
	s_and_not1_b32 s6, s6, exec_lo
	s_and_b32 s10, s11, exec_lo
	s_or_b32 s8, s0, s1
	s_or_b32 s6, s6, s10
.LBB130_12:
	s_or_b32 exec_lo, exec_lo, s9
	s_delay_alu instid0(SALU_CYCLE_1)
	s_and_b32 s9, s8, exec_lo
	s_and_b32 s8, s6, exec_lo
                                        ; implicit-def: $vgpr2
.LBB130_13:
	s_and_not1_saveexec_b32 s3, s3
	s_cbranch_execz .LBB130_17
; %bb.14:
	s_mov_b32 s6, -1
	s_mov_b32 s10, s9
	s_mov_b32 s11, exec_lo
                                        ; implicit-def: $sgpr0_sgpr1
                                        ; implicit-def: $vgpr4_vgpr5
	v_cmpx_eq_u16_e32 29, v2
	s_cbranch_execz .LBB130_16
; %bb.15:
	flat_load_b64 v[2:3], v[0:1]
	s_mov_b64 s[0:1], 0
	s_or_b32 s10, s9, exec_lo
	s_xor_b32 s6, exec_lo, -1
	s_waitcnt vmcnt(0) lgkmcnt(0)
	v_cvt_f64_u32_e32 v[3:4], v3
	v_cvt_f64_u32_e32 v[5:6], v2
	s_delay_alu instid0(VALU_DEP_2) | instskip(NEXT) | instid1(VALU_DEP_1)
	v_ldexp_f64 v[3:4], v[3:4], 32
	v_add_f64 v[4:5], v[3:4], v[5:6]
.LBB130_16:
	s_or_b32 exec_lo, exec_lo, s11
	v_dual_mov_b32 v7, s1 :: v_dual_mov_b32 v6, s0
	s_and_not1_b32 s0, s9, exec_lo
	s_and_b32 s1, s10, exec_lo
	s_and_not1_b32 s8, s8, exec_lo
	s_and_b32 s6, s6, exec_lo
	s_or_b32 s9, s0, s1
	s_or_b32 s8, s8, s6
.LBB130_17:
	s_or_b32 exec_lo, exec_lo, s3
	s_delay_alu instid0(SALU_CYCLE_1)
	s_and_b32 s6, s9, exec_lo
	s_and_b32 s8, s8, exec_lo
                                        ; implicit-def: $vgpr2
.LBB130_18:
	s_and_not1_saveexec_b32 s9, s2
	s_cbranch_execz .LBB130_36
; %bb.19:
                                        ; implicit-def: $vgpr6_vgpr7
	s_mov_b32 s0, exec_lo
	v_cmpx_lt_i16_e32 26, v2
	s_xor_b32 s2, exec_lo, s0
	s_cbranch_execz .LBB130_25
; %bb.20:
	s_mov_b32 s3, exec_lo
                                        ; implicit-def: $sgpr0_sgpr1
                                        ; implicit-def: $vgpr4_vgpr5
	v_cmpx_lt_i16_e32 27, v2
	s_xor_b32 s3, exec_lo, s3
	s_cbranch_execz .LBB130_22
; %bb.21:
	flat_load_b32 v2, v[0:1]
	s_mov_b64 s[0:1], 0
	s_waitcnt vmcnt(0) lgkmcnt(0)
	v_cvt_f64_u32_e32 v[4:5], v2
.LBB130_22:
	s_or_saveexec_b32 s3, s3
	v_dual_mov_b32 v7, s1 :: v_dual_mov_b32 v6, s0
	s_xor_b32 exec_lo, exec_lo, s3
	s_cbranch_execz .LBB130_24
; %bb.23:
	flat_load_u16 v2, v[0:1]
	v_mov_b32_e32 v6, 0
	v_mov_b32_e32 v7, 0
	s_waitcnt vmcnt(0) lgkmcnt(0)
	v_cvt_f64_u32_e32 v[4:5], v2
.LBB130_24:
	s_or_b32 exec_lo, exec_lo, s3
.LBB130_25:
	s_and_not1_saveexec_b32 s10, s2
	s_cbranch_execz .LBB130_35
; %bb.26:
	flat_load_u8 v2, v[0:1]
	s_mov_b32 s11, 0
	s_mov_b32 s12, exec_lo
                                        ; implicit-def: $sgpr0_sgpr1
                                        ; implicit-def: $sgpr2_sgpr3
	s_waitcnt vmcnt(0) lgkmcnt(0)
	v_cmpx_lt_i16_e32 0x7f, v2
	s_xor_b32 s12, exec_lo, s12
	s_cbranch_execz .LBB130_30
; %bb.27:
	s_mov_b32 s11, -1
	s_mov_b32 s13, exec_lo
                                        ; implicit-def: $sgpr0_sgpr1
                                        ; implicit-def: $sgpr2_sgpr3
	v_cmpx_eq_u16_e32 0x80, v2
; %bb.28:
	s_mov_b64 s[0:1], 0
	s_mov_b32 s3, 0x7ff80000
	s_brev_b32 s2, 4
	s_xor_b32 s11, exec_lo, -1
; %bb.29:
	s_or_b32 exec_lo, exec_lo, s13
	s_delay_alu instid0(SALU_CYCLE_1)
	s_and_b32 s11, s11, exec_lo
.LBB130_30:
	s_or_saveexec_b32 s12, s12
	v_dual_mov_b32 v7, s1 :: v_dual_mov_b32 v6, s0
	v_dual_mov_b32 v5, s3 :: v_dual_mov_b32 v4, s2
	s_xor_b32 exec_lo, exec_lo, s12
; %bb.31:
	v_mov_b32_e32 v6, 0
	v_mov_b32_e32 v7, 0
	v_cmp_ne_u16_e32 vcc_lo, 0, v2
	s_delay_alu instid0(VALU_DEP_3) | instskip(SKIP_1) | instid1(VALU_DEP_3)
	v_mov_b32_e32 v4, v6
	s_and_not1_b32 s0, s11, exec_lo
	v_mov_b32_e32 v5, v7
	s_and_b32 s1, vcc_lo, exec_lo
	s_delay_alu instid0(SALU_CYCLE_1)
	s_or_b32 s11, s0, s1
; %bb.32:
	s_or_b32 exec_lo, exec_lo, s12
	s_and_saveexec_b32 s0, s11
	s_cbranch_execz .LBB130_34
; %bb.33:
	v_and_b32_e32 v3, 0xffff, v2
	v_lshlrev_b32_e32 v2, 24, v2
	s_delay_alu instid0(VALU_DEP_2) | instskip(NEXT) | instid1(VALU_DEP_1)
	v_and_b32_e32 v4, 7, v3
	v_clz_i32_u32_e32 v5, v4
	s_delay_alu instid0(VALU_DEP_1) | instskip(NEXT) | instid1(VALU_DEP_1)
	v_min_u32_e32 v5, 32, v5
	v_subrev_nc_u32_e32 v6, 28, v5
	v_sub_nc_u32_e32 v5, 29, v5
	s_delay_alu instid0(VALU_DEP_2) | instskip(SKIP_1) | instid1(VALU_DEP_2)
	v_lshlrev_b32_e32 v6, v6, v3
	v_bfe_u32 v3, v3, 3, 4
	v_and_b32_e32 v6, 7, v6
	s_delay_alu instid0(VALU_DEP_2) | instskip(NEXT) | instid1(VALU_DEP_2)
	v_cmp_eq_u32_e32 vcc_lo, 0, v3
	v_dual_cndmask_b32 v3, v3, v5 :: v_dual_cndmask_b32 v4, v4, v6
	v_mov_b32_e32 v6, 0
	v_dual_mov_b32 v7, 0 :: v_dual_and_b32 v2, 0x80000000, v2
	s_delay_alu instid0(VALU_DEP_3) | instskip(NEXT) | instid1(VALU_DEP_4)
	v_lshl_add_u32 v3, v3, 23, 0x3b800000
	v_lshlrev_b32_e32 v4, 20, v4
	s_delay_alu instid0(VALU_DEP_1) | instskip(NEXT) | instid1(VALU_DEP_1)
	v_or3_b32 v2, v2, v3, v4
	v_cvt_f64_f32_e32 v[4:5], v2
.LBB130_34:
	s_or_b32 exec_lo, exec_lo, s0
.LBB130_35:
	s_delay_alu instid0(SALU_CYCLE_1) | instskip(NEXT) | instid1(SALU_CYCLE_1)
	s_or_b32 exec_lo, exec_lo, s10
	s_or_b32 s6, s6, exec_lo
.LBB130_36:
	s_or_b32 exec_lo, exec_lo, s9
	s_delay_alu instid0(SALU_CYCLE_1)
	s_and_b32 s6, s6, exec_lo
	s_and_b32 s8, s8, exec_lo
                                        ; implicit-def: $vgpr2
	s_and_not1_saveexec_b32 s7, s7
	s_cbranch_execnz .LBB130_92
.LBB130_37:
	s_or_b32 exec_lo, exec_lo, s7
	s_and_saveexec_b32 s0, s8
	s_cbranch_execnz .LBB130_119
.LBB130_38:
	s_or_b32 exec_lo, exec_lo, s0
	s_and_saveexec_b32 s0, s5
	s_delay_alu instid0(SALU_CYCLE_1)
	s_xor_b32 s0, exec_lo, s0
	s_cbranch_execz .LBB130_40
.LBB130_39:
	flat_load_u8 v0, v[0:1]
	v_mov_b32_e32 v6, 0
	v_dual_mov_b32 v7, 0 :: v_dual_mov_b32 v4, 0
	s_or_b32 s6, s6, exec_lo
	s_waitcnt vmcnt(0) lgkmcnt(0)
	v_cmp_ne_u16_e32 vcc_lo, 0, v0
	v_cndmask_b32_e64 v5, 0, 0x3ff00000, vcc_lo
.LBB130_40:
	s_or_b32 exec_lo, exec_lo, s0
	s_delay_alu instid0(SALU_CYCLE_1)
	s_and_b32 s2, s6, exec_lo
                                        ; implicit-def: $vgpr2
                                        ; implicit-def: $vgpr0_vgpr1
.LBB130_41:
	s_and_not1_saveexec_b32 s3, s4
	s_cbranch_execz .LBB130_83
; %bb.42:
                                        ; implicit-def: $vgpr6_vgpr7
	s_mov_b32 s0, exec_lo
	v_cmpx_lt_i16_e32 4, v2
	s_xor_b32 s4, exec_lo, s0
	s_cbranch_execz .LBB130_64
; %bb.43:
	s_mov_b32 s0, exec_lo
                                        ; implicit-def: $vgpr6_vgpr7
	v_cmpx_lt_i16_e32 7, v2
	s_xor_b32 s0, exec_lo, s0
	s_cbranch_execz .LBB130_53
; %bb.44:
	s_mov_b32 s1, exec_lo
                                        ; implicit-def: $vgpr6_vgpr7
	;; [unrolled: 6-line block ×3, first 2 shown]
	v_cmpx_lt_i16_e32 9, v2
	s_xor_b32 s5, exec_lo, s5
	s_cbranch_execz .LBB130_47
; %bb.46:
	flat_load_b128 v[4:7], v[0:1]
                                        ; implicit-def: $vgpr0_vgpr1
.LBB130_47:
	s_and_not1_saveexec_b32 s5, s5
	s_cbranch_execz .LBB130_49
; %bb.48:
	flat_load_b64 v[0:1], v[0:1]
	s_waitcnt vmcnt(0) lgkmcnt(0)
	v_cvt_f64_f32_e32 v[4:5], v0
	v_cvt_f64_f32_e32 v[6:7], v1
.LBB130_49:
	s_or_b32 exec_lo, exec_lo, s5
                                        ; implicit-def: $vgpr0_vgpr1
.LBB130_50:
	s_and_not1_saveexec_b32 s1, s1
	s_cbranch_execz .LBB130_52
; %bb.51:
	flat_load_b32 v0, v[0:1]
	s_waitcnt vmcnt(0) lgkmcnt(0)
	v_lshrrev_b32_e32 v1, 16, v0
	v_cvt_f32_f16_e32 v0, v0
	s_delay_alu instid0(VALU_DEP_2) | instskip(NEXT) | instid1(VALU_DEP_2)
	v_cvt_f32_f16_e32 v1, v1
	v_cvt_f64_f32_e32 v[4:5], v0
	s_delay_alu instid0(VALU_DEP_2)
	v_cvt_f64_f32_e32 v[6:7], v1
.LBB130_52:
	s_or_b32 exec_lo, exec_lo, s1
                                        ; implicit-def: $vgpr0_vgpr1
                                        ; implicit-def: $vgpr2
.LBB130_53:
	s_and_not1_saveexec_b32 s5, s0
	s_cbranch_execz .LBB130_63
; %bb.54:
                                        ; implicit-def: $vgpr6_vgpr7
	s_mov_b32 s0, exec_lo
	v_cmpx_lt_i16_e32 5, v2
	s_xor_b32 s6, exec_lo, s0
	s_cbranch_execz .LBB130_60
; %bb.55:
	s_mov_b32 s7, exec_lo
                                        ; implicit-def: $sgpr0_sgpr1
                                        ; implicit-def: $vgpr4_vgpr5
	v_cmpx_lt_i16_e32 6, v2
	s_xor_b32 s7, exec_lo, s7
	s_cbranch_execz .LBB130_57
; %bb.56:
	s_waitcnt vmcnt(0) lgkmcnt(0)
	flat_load_b64 v[4:5], v[0:1]
	s_mov_b64 s[0:1], 0
                                        ; implicit-def: $vgpr0_vgpr1
.LBB130_57:
	s_or_saveexec_b32 s7, s7
	s_waitcnt vmcnt(0) lgkmcnt(0)
	v_dual_mov_b32 v7, s1 :: v_dual_mov_b32 v6, s0
	s_xor_b32 exec_lo, exec_lo, s7
	s_cbranch_execz .LBB130_59
; %bb.58:
	flat_load_b32 v0, v[0:1]
	v_mov_b32_e32 v6, 0
	v_mov_b32_e32 v7, 0
	s_waitcnt vmcnt(0) lgkmcnt(0)
	v_cvt_f64_f32_e32 v[4:5], v0
.LBB130_59:
	s_or_b32 exec_lo, exec_lo, s7
                                        ; implicit-def: $vgpr0_vgpr1
.LBB130_60:
	s_and_not1_saveexec_b32 s0, s6
	s_cbranch_execz .LBB130_62
; %bb.61:
	flat_load_u16 v0, v[0:1]
	s_waitcnt vmcnt(1) lgkmcnt(1)
	v_mov_b32_e32 v6, 0
	v_mov_b32_e32 v7, 0
	s_waitcnt vmcnt(0) lgkmcnt(0)
	v_cvt_f32_f16_e32 v0, v0
	s_delay_alu instid0(VALU_DEP_1)
	v_cvt_f64_f32_e32 v[4:5], v0
.LBB130_62:
	s_or_b32 exec_lo, exec_lo, s0
.LBB130_63:
	s_delay_alu instid0(SALU_CYCLE_1)
	s_or_b32 exec_lo, exec_lo, s5
                                        ; implicit-def: $vgpr2
                                        ; implicit-def: $vgpr0_vgpr1
.LBB130_64:
	s_and_not1_saveexec_b32 s4, s4
	s_cbranch_execz .LBB130_82
; %bb.65:
                                        ; implicit-def: $vgpr6_vgpr7
	s_mov_b32 s0, exec_lo
	v_cmpx_lt_i16_e32 1, v2
	s_xor_b32 s5, exec_lo, s0
	s_cbranch_execz .LBB130_75
; %bb.66:
                                        ; implicit-def: $vgpr6_vgpr7
	s_mov_b32 s0, exec_lo
	v_cmpx_lt_i16_e32 2, v2
	s_xor_b32 s6, exec_lo, s0
	s_cbranch_execz .LBB130_72
; %bb.67:
	s_mov_b32 s7, exec_lo
                                        ; implicit-def: $sgpr0_sgpr1
                                        ; implicit-def: $vgpr4_vgpr5
	v_cmpx_lt_i16_e32 3, v2
	s_xor_b32 s7, exec_lo, s7
	s_cbranch_execz .LBB130_69
; %bb.68:
	flat_load_b64 v[0:1], v[0:1]
	s_mov_b64 s[0:1], 0
	s_waitcnt vmcnt(0) lgkmcnt(0)
	v_cvt_f64_i32_e32 v[1:2], v1
	v_cvt_f64_u32_e32 v[3:4], v0
	s_delay_alu instid0(VALU_DEP_2) | instskip(NEXT) | instid1(VALU_DEP_1)
	v_ldexp_f64 v[1:2], v[1:2], 32
	v_add_f64 v[4:5], v[1:2], v[3:4]
                                        ; implicit-def: $vgpr0_vgpr1
.LBB130_69:
	s_or_saveexec_b32 s7, s7
	s_waitcnt vmcnt(0) lgkmcnt(0)
	v_dual_mov_b32 v7, s1 :: v_dual_mov_b32 v6, s0
	s_xor_b32 exec_lo, exec_lo, s7
	s_cbranch_execz .LBB130_71
; %bb.70:
	flat_load_b32 v0, v[0:1]
	v_mov_b32_e32 v6, 0
	v_mov_b32_e32 v7, 0
	s_waitcnt vmcnt(0) lgkmcnt(0)
	v_cvt_f64_i32_e32 v[4:5], v0
.LBB130_71:
	s_or_b32 exec_lo, exec_lo, s7
                                        ; implicit-def: $vgpr0_vgpr1
.LBB130_72:
	s_and_not1_saveexec_b32 s0, s6
	s_cbranch_execz .LBB130_74
; %bb.73:
	flat_load_i16 v0, v[0:1]
	s_waitcnt vmcnt(1) lgkmcnt(1)
	v_mov_b32_e32 v6, 0
	v_mov_b32_e32 v7, 0
	s_waitcnt vmcnt(0) lgkmcnt(0)
	v_cvt_f64_i32_e32 v[4:5], v0
.LBB130_74:
	s_or_b32 exec_lo, exec_lo, s0
                                        ; implicit-def: $vgpr0_vgpr1
                                        ; implicit-def: $vgpr2
.LBB130_75:
	s_and_not1_saveexec_b32 s5, s5
	s_cbranch_execz .LBB130_81
; %bb.76:
	s_mov_b32 s6, exec_lo
                                        ; implicit-def: $sgpr0_sgpr1
                                        ; implicit-def: $vgpr4_vgpr5
	v_cmpx_lt_i16_e32 0, v2
	s_xor_b32 s6, exec_lo, s6
	s_cbranch_execz .LBB130_78
; %bb.77:
	flat_load_i8 v0, v[0:1]
	s_mov_b64 s[0:1], 0
	s_waitcnt vmcnt(0) lgkmcnt(0)
	v_cvt_f64_i32_e32 v[4:5], v0
                                        ; implicit-def: $vgpr0_vgpr1
.LBB130_78:
	s_or_saveexec_b32 s6, s6
	s_waitcnt vmcnt(0) lgkmcnt(0)
	v_dual_mov_b32 v7, s1 :: v_dual_mov_b32 v6, s0
	s_xor_b32 exec_lo, exec_lo, s6
	s_cbranch_execz .LBB130_80
; %bb.79:
	flat_load_u8 v0, v[0:1]
	v_mov_b32_e32 v6, 0
	v_mov_b32_e32 v7, 0
	s_waitcnt vmcnt(0) lgkmcnt(0)
	v_cvt_f64_u32_e32 v[4:5], v0
.LBB130_80:
	s_or_b32 exec_lo, exec_lo, s6
.LBB130_81:
	s_delay_alu instid0(SALU_CYCLE_1)
	s_or_b32 exec_lo, exec_lo, s5
.LBB130_82:
	s_delay_alu instid0(SALU_CYCLE_1) | instskip(NEXT) | instid1(SALU_CYCLE_1)
	s_or_b32 exec_lo, exec_lo, s4
	s_or_b32 s2, s2, exec_lo
.LBB130_83:
	s_or_b32 exec_lo, exec_lo, s3
                                        ; implicit-def: $vgpr0_vgpr1
                                        ; implicit-def: $vgpr2_vgpr3
	s_and_saveexec_b32 s7, s2
	s_cbranch_execz .LBB130_90
; %bb.84:
	s_waitcnt vmcnt(0) lgkmcnt(0)
	s_delay_alu instid0(VALU_DEP_1) | instskip(SKIP_1) | instid1(VALU_DEP_1)
	v_mul_f64 v[0:1], v[6:7], 0.5
	s_mov_b32 s1, exec_lo
                                        ; implicit-def: $vgpr26
                                        ; implicit-def: $vgpr2_vgpr3
                                        ; implicit-def: $vgpr8_vgpr9
	v_cmpx_ngt_f64_e64 0x41d00000, |v[0:1]|
	s_xor_b32 s1, exec_lo, s1
	s_cbranch_execz .LBB130_86
; %bb.85:
	v_ldexp_f64 v[2:3], |v[0:1]|, 0xffffff80
	v_cmp_le_f64_e64 vcc_lo, 0x7b000000, |v[0:1]|
	v_trig_preop_f64 v[8:9], |v[0:1]|, 0
	v_and_b32_e32 v10, 0x7fffffff, v1
	v_trig_preop_f64 v[20:21], |v[0:1]|, 2
	v_mov_b32_e32 v28, 0
	s_mov_b32 s2, 0x54442d18
	s_mov_b32 s3, 0x3ff921fb
	;; [unrolled: 1-line block ×4, first 2 shown]
	v_dual_cndmask_b32 v3, v10, v3 :: v_dual_cndmask_b32 v2, v0, v2
	v_trig_preop_f64 v[10:11], |v[0:1]|, 1
	s_delay_alu instid0(VALU_DEP_2) | instskip(SKIP_1) | instid1(VALU_DEP_3)
	v_mul_f64 v[12:13], v[8:9], v[2:3]
	v_mul_f64 v[26:27], v[20:21], v[2:3]
	;; [unrolled: 1-line block ×3, first 2 shown]
	s_delay_alu instid0(VALU_DEP_3) | instskip(NEXT) | instid1(VALU_DEP_2)
	v_fma_f64 v[8:9], v[8:9], v[2:3], -v[12:13]
	v_fma_f64 v[10:11], v[10:11], v[2:3], -v[14:15]
	s_delay_alu instid0(VALU_DEP_4) | instskip(NEXT) | instid1(VALU_DEP_3)
	v_fma_f64 v[2:3], v[20:21], v[2:3], -v[26:27]
	v_add_f64 v[16:17], v[14:15], v[8:9]
	s_delay_alu instid0(VALU_DEP_1) | instskip(SKIP_1) | instid1(VALU_DEP_2)
	v_add_f64 v[18:19], v[16:17], -v[14:15]
	v_add_f64 v[24:25], v[12:13], v[16:17]
	v_add_f64 v[22:23], v[16:17], -v[18:19]
	v_add_f64 v[8:9], v[8:9], -v[18:19]
	s_delay_alu instid0(VALU_DEP_3) | instskip(SKIP_1) | instid1(VALU_DEP_4)
	v_ldexp_f64 v[18:19], v[24:25], -2
	v_add_f64 v[12:13], v[24:25], -v[12:13]
	v_add_f64 v[14:15], v[14:15], -v[22:23]
	v_add_f64 v[22:23], v[26:27], v[10:11]
	s_delay_alu instid0(VALU_DEP_4) | instskip(NEXT) | instid1(VALU_DEP_4)
	v_cmp_neq_f64_e64 vcc_lo, 0x7ff00000, |v[18:19]|
	v_add_f64 v[12:13], v[16:17], -v[12:13]
	s_delay_alu instid0(VALU_DEP_4) | instskip(SKIP_1) | instid1(VALU_DEP_2)
	v_add_f64 v[8:9], v[8:9], v[14:15]
	v_fract_f64_e32 v[14:15], v[18:19]
	v_add_f64 v[16:17], v[22:23], v[8:9]
	s_delay_alu instid0(VALU_DEP_2) | instskip(NEXT) | instid1(VALU_DEP_1)
	v_dual_cndmask_b32 v15, 0, v15 :: v_dual_cndmask_b32 v14, 0, v14
	v_ldexp_f64 v[14:15], v[14:15], 2
	s_delay_alu instid0(VALU_DEP_3) | instskip(NEXT) | instid1(VALU_DEP_1)
	v_add_f64 v[18:19], v[12:13], v[16:17]
	v_add_f64 v[24:25], v[18:19], v[14:15]
	v_add_f64 v[12:13], v[18:19], -v[12:13]
	s_delay_alu instid0(VALU_DEP_2) | instskip(SKIP_1) | instid1(VALU_DEP_3)
	v_cmp_gt_f64_e32 vcc_lo, 0, v[24:25]
	v_add_f64 v[24:25], v[22:23], -v[26:27]
	v_add_f64 v[12:13], v[16:17], -v[12:13]
	v_cndmask_b32_e64 v29, 0, 0x40100000, vcc_lo
	s_delay_alu instid0(VALU_DEP_3) | instskip(SKIP_1) | instid1(VALU_DEP_3)
	v_add_f64 v[33:34], v[22:23], -v[24:25]
	v_add_f64 v[10:11], v[10:11], -v[24:25]
	v_add_f64 v[14:15], v[14:15], v[28:29]
	v_add_f64 v[29:30], v[16:17], -v[22:23]
	s_delay_alu instid0(VALU_DEP_4) | instskip(NEXT) | instid1(VALU_DEP_3)
	v_add_f64 v[24:25], v[26:27], -v[33:34]
	v_add_f64 v[31:32], v[18:19], v[14:15]
	s_delay_alu instid0(VALU_DEP_3) | instskip(SKIP_1) | instid1(VALU_DEP_4)
	v_add_f64 v[35:36], v[16:17], -v[29:30]
	v_add_f64 v[8:9], v[8:9], -v[29:30]
	v_add_f64 v[10:11], v[10:11], v[24:25]
	s_delay_alu instid0(VALU_DEP_4) | instskip(NEXT) | instid1(VALU_DEP_4)
	v_cvt_i32_f64_e32 v31, v[31:32]
	v_add_f64 v[22:23], v[22:23], -v[35:36]
	s_delay_alu instid0(VALU_DEP_2) | instskip(NEXT) | instid1(VALU_DEP_2)
	v_cvt_f64_i32_e32 v[29:30], v31
	v_add_f64 v[8:9], v[8:9], v[22:23]
	s_delay_alu instid0(VALU_DEP_2) | instskip(NEXT) | instid1(VALU_DEP_2)
	v_add_f64 v[14:15], v[14:15], -v[29:30]
	v_add_f64 v[8:9], v[10:11], v[8:9]
	s_delay_alu instid0(VALU_DEP_2) | instskip(NEXT) | instid1(VALU_DEP_2)
	v_add_f64 v[10:11], v[18:19], v[14:15]
	v_add_f64 v[2:3], v[2:3], v[8:9]
	s_delay_alu instid0(VALU_DEP_2) | instskip(SKIP_1) | instid1(VALU_DEP_3)
	v_add_f64 v[8:9], v[10:11], -v[14:15]
	v_cmp_le_f64_e32 vcc_lo, 0.5, v[10:11]
	v_add_f64 v[2:3], v[12:13], v[2:3]
	s_delay_alu instid0(VALU_DEP_3) | instskip(SKIP_2) | instid1(VALU_DEP_3)
	v_add_f64 v[8:9], v[18:19], -v[8:9]
	v_cndmask_b32_e64 v29, 0, 0x3ff00000, vcc_lo
	v_add_co_ci_u32_e64 v26, s0, 0, v31, vcc_lo
	v_add_f64 v[2:3], v[2:3], v[8:9]
	s_delay_alu instid0(VALU_DEP_3) | instskip(NEXT) | instid1(VALU_DEP_1)
	v_add_f64 v[8:9], v[10:11], -v[28:29]
	v_add_f64 v[10:11], v[8:9], v[2:3]
	s_delay_alu instid0(VALU_DEP_1) | instskip(SKIP_1) | instid1(VALU_DEP_2)
	v_mul_f64 v[12:13], v[10:11], s[2:3]
	v_add_f64 v[8:9], v[10:11], -v[8:9]
	v_fma_f64 v[14:15], v[10:11], s[2:3], -v[12:13]
	s_delay_alu instid0(VALU_DEP_2) | instskip(NEXT) | instid1(VALU_DEP_2)
	v_add_f64 v[2:3], v[2:3], -v[8:9]
	v_fma_f64 v[8:9], v[10:11], s[4:5], v[14:15]
	s_delay_alu instid0(VALU_DEP_1) | instskip(NEXT) | instid1(VALU_DEP_1)
	v_fma_f64 v[8:9], v[2:3], s[2:3], v[8:9]
	v_add_f64 v[2:3], v[12:13], v[8:9]
	s_delay_alu instid0(VALU_DEP_1) | instskip(NEXT) | instid1(VALU_DEP_1)
	v_add_f64 v[10:11], v[2:3], -v[12:13]
	v_add_f64 v[8:9], v[8:9], -v[10:11]
.LBB130_86:
	s_and_not1_saveexec_b32 s0, s1
	s_cbranch_execz .LBB130_88
; %bb.87:
	s_mov_b32 s2, 0x6dc9c883
	s_mov_b32 s3, 0x3fe45f30
	;; [unrolled: 1-line block ×3, first 2 shown]
	v_mul_f64 v[2:3], |v[0:1]|, s[2:3]
	s_mov_b32 s2, 0x54442d18
	s_mov_b32 s3, 0xbff921fb
	s_mov_b32 s4, 0x33145c00
	s_delay_alu instid0(VALU_DEP_1) | instskip(NEXT) | instid1(VALU_DEP_1)
	v_rndne_f64_e32 v[10:11], v[2:3]
	v_fma_f64 v[2:3], v[10:11], s[2:3], |v[0:1]|
	v_mul_f64 v[8:9], v[10:11], s[4:5]
	s_mov_b32 s2, 0x252049c0
	s_mov_b32 s3, 0xb97b839a
	v_cvt_i32_f64_e32 v26, v[10:11]
	s_delay_alu instid0(VALU_DEP_3) | instskip(NEXT) | instid1(VALU_DEP_3)
	v_fma_f64 v[14:15], v[10:11], s[4:5], v[2:3]
	v_add_f64 v[12:13], v[2:3], v[8:9]
	s_mov_b32 s5, 0x3c91a626
	s_delay_alu instid0(VALU_DEP_1) | instskip(NEXT) | instid1(VALU_DEP_3)
	v_add_f64 v[2:3], v[2:3], -v[12:13]
	v_add_f64 v[12:13], v[12:13], -v[14:15]
	s_delay_alu instid0(VALU_DEP_2) | instskip(SKIP_1) | instid1(VALU_DEP_2)
	v_add_f64 v[2:3], v[2:3], v[8:9]
	v_fma_f64 v[8:9], v[10:11], s[4:5], v[8:9]
	v_add_f64 v[2:3], v[12:13], v[2:3]
	s_delay_alu instid0(VALU_DEP_1) | instskip(NEXT) | instid1(VALU_DEP_1)
	v_add_f64 v[2:3], v[2:3], -v[8:9]
	v_fma_f64 v[8:9], v[10:11], s[2:3], v[2:3]
	s_delay_alu instid0(VALU_DEP_1) | instskip(NEXT) | instid1(VALU_DEP_1)
	v_add_f64 v[2:3], v[14:15], v[8:9]
	v_add_f64 v[12:13], v[2:3], -v[14:15]
	s_delay_alu instid0(VALU_DEP_1)
	v_add_f64 v[8:9], v[8:9], -v[12:13]
.LBB130_88:
	s_or_b32 exec_lo, exec_lo, s0
	v_cmp_ngt_f64_e64 s1, 0x41d00000, |v[6:7]|
	v_trig_preop_f64 v[22:23], |v[6:7]|, 0
	v_trig_preop_f64 v[20:21], |v[6:7]|, 1
	v_ldexp_f64 v[24:25], |v[6:7]|, 0xffffff80
	v_trig_preop_f64 v[18:19], |v[6:7]|, 2
	v_and_b32_e32 v29, 0x7fffffff, v7
                                        ; implicit-def: $vgpr27
                                        ; implicit-def: $vgpr10_vgpr11
                                        ; implicit-def: $vgpr12_vgpr13
	s_and_saveexec_b32 s0, s1
	s_delay_alu instid0(SALU_CYCLE_1)
	s_xor_b32 s2, exec_lo, s0
	s_cbranch_execz .LBB130_121
; %bb.89:
	v_cmp_le_f64_e64 vcc_lo, 0x7b000000, |v[6:7]|
	v_mov_b32_e32 v48, 0
	s_mov_b32 s4, 0x54442d18
	s_mov_b32 s5, 0x3ff921fb
	;; [unrolled: 1-line block ×4, first 2 shown]
	v_dual_cndmask_b32 v11, v29, v25 :: v_dual_cndmask_b32 v10, v6, v24
	s_delay_alu instid0(VALU_DEP_1) | instskip(SKIP_2) | instid1(VALU_DEP_3)
	v_mul_f64 v[12:13], v[22:23], v[10:11]
	v_mul_f64 v[14:15], v[20:21], v[10:11]
	;; [unrolled: 1-line block ×3, first 2 shown]
	v_fma_f64 v[16:17], v[22:23], v[10:11], -v[12:13]
	s_delay_alu instid0(VALU_DEP_3) | instskip(NEXT) | instid1(VALU_DEP_3)
	v_fma_f64 v[38:39], v[20:21], v[10:11], -v[14:15]
	v_fma_f64 v[10:11], v[18:19], v[10:11], -v[36:37]
	s_delay_alu instid0(VALU_DEP_3) | instskip(NEXT) | instid1(VALU_DEP_1)
	v_add_f64 v[27:28], v[14:15], v[16:17]
	v_add_f64 v[30:31], v[27:28], -v[14:15]
	v_add_f64 v[34:35], v[12:13], v[27:28]
	s_delay_alu instid0(VALU_DEP_2) | instskip(SKIP_1) | instid1(VALU_DEP_3)
	v_add_f64 v[32:33], v[27:28], -v[30:31]
	v_add_f64 v[16:17], v[16:17], -v[30:31]
	v_ldexp_f64 v[30:31], v[34:35], -2
	v_add_f64 v[12:13], v[34:35], -v[12:13]
	s_delay_alu instid0(VALU_DEP_4) | instskip(SKIP_1) | instid1(VALU_DEP_4)
	v_add_f64 v[14:15], v[14:15], -v[32:33]
	v_add_f64 v[32:33], v[36:37], v[38:39]
	v_cmp_neq_f64_e64 vcc_lo, 0x7ff00000, |v[30:31]|
	s_delay_alu instid0(VALU_DEP_4) | instskip(NEXT) | instid1(VALU_DEP_4)
	v_add_f64 v[12:13], v[27:28], -v[12:13]
	v_add_f64 v[14:15], v[16:17], v[14:15]
	v_fract_f64_e32 v[16:17], v[30:31]
	s_delay_alu instid0(VALU_DEP_2) | instskip(NEXT) | instid1(VALU_DEP_2)
	v_add_f64 v[27:28], v[32:33], v[14:15]
	v_dual_cndmask_b32 v17, 0, v17 :: v_dual_cndmask_b32 v16, 0, v16
	s_delay_alu instid0(VALU_DEP_1) | instskip(NEXT) | instid1(VALU_DEP_3)
	v_ldexp_f64 v[16:17], v[16:17], 2
	v_add_f64 v[30:31], v[12:13], v[27:28]
	s_delay_alu instid0(VALU_DEP_1) | instskip(SKIP_1) | instid1(VALU_DEP_2)
	v_add_f64 v[34:35], v[30:31], v[16:17]
	v_add_f64 v[12:13], v[30:31], -v[12:13]
	v_cmp_gt_f64_e32 vcc_lo, 0, v[34:35]
	v_add_f64 v[34:35], v[32:33], -v[36:37]
	s_delay_alu instid0(VALU_DEP_3) | instskip(SKIP_1) | instid1(VALU_DEP_3)
	v_add_f64 v[12:13], v[27:28], -v[12:13]
	v_cndmask_b32_e64 v49, 0, 0x40100000, vcc_lo
	v_add_f64 v[53:54], v[32:33], -v[34:35]
	v_add_f64 v[34:35], v[38:39], -v[34:35]
	s_delay_alu instid0(VALU_DEP_3) | instskip(SKIP_1) | instid1(VALU_DEP_4)
	v_add_f64 v[16:17], v[16:17], v[48:49]
	v_add_f64 v[49:50], v[27:28], -v[32:33]
	v_add_f64 v[38:39], v[36:37], -v[53:54]
	s_delay_alu instid0(VALU_DEP_3) | instskip(NEXT) | instid1(VALU_DEP_3)
	v_add_f64 v[51:52], v[30:31], v[16:17]
	v_add_f64 v[64:65], v[27:28], -v[49:50]
	v_add_f64 v[14:15], v[14:15], -v[49:50]
	s_delay_alu instid0(VALU_DEP_4) | instskip(NEXT) | instid1(VALU_DEP_4)
	v_add_f64 v[34:35], v[34:35], v[38:39]
	v_cvt_i32_f64_e32 v51, v[51:52]
	s_delay_alu instid0(VALU_DEP_4) | instskip(NEXT) | instid1(VALU_DEP_2)
	v_add_f64 v[32:33], v[32:33], -v[64:65]
	v_cvt_f64_i32_e32 v[49:50], v51
	s_delay_alu instid0(VALU_DEP_2) | instskip(NEXT) | instid1(VALU_DEP_2)
	v_add_f64 v[14:15], v[14:15], v[32:33]
	v_add_f64 v[16:17], v[16:17], -v[49:50]
	s_delay_alu instid0(VALU_DEP_2) | instskip(NEXT) | instid1(VALU_DEP_2)
	v_add_f64 v[14:15], v[34:35], v[14:15]
	v_add_f64 v[32:33], v[30:31], v[16:17]
	s_delay_alu instid0(VALU_DEP_2) | instskip(NEXT) | instid1(VALU_DEP_2)
	v_add_f64 v[10:11], v[10:11], v[14:15]
	v_add_f64 v[14:15], v[32:33], -v[16:17]
	v_cmp_le_f64_e32 vcc_lo, 0.5, v[32:33]
	s_delay_alu instid0(VALU_DEP_3) | instskip(NEXT) | instid1(VALU_DEP_3)
	v_add_f64 v[10:11], v[12:13], v[10:11]
	v_add_f64 v[12:13], v[30:31], -v[14:15]
	v_cndmask_b32_e64 v49, 0, 0x3ff00000, vcc_lo
	v_add_co_ci_u32_e64 v27, s0, 0, v51, vcc_lo
	s_delay_alu instid0(VALU_DEP_3) | instskip(NEXT) | instid1(VALU_DEP_3)
	v_add_f64 v[10:11], v[10:11], v[12:13]
	v_add_f64 v[12:13], v[32:33], -v[48:49]
	s_delay_alu instid0(VALU_DEP_1) | instskip(NEXT) | instid1(VALU_DEP_1)
	v_add_f64 v[14:15], v[12:13], v[10:11]
	v_mul_f64 v[16:17], v[14:15], s[4:5]
	v_add_f64 v[12:13], v[14:15], -v[12:13]
	s_delay_alu instid0(VALU_DEP_2) | instskip(NEXT) | instid1(VALU_DEP_2)
	v_fma_f64 v[30:31], v[14:15], s[4:5], -v[16:17]
	v_add_f64 v[10:11], v[10:11], -v[12:13]
	s_delay_alu instid0(VALU_DEP_2) | instskip(NEXT) | instid1(VALU_DEP_1)
	v_fma_f64 v[12:13], v[14:15], s[8:9], v[30:31]
	v_fma_f64 v[12:13], v[10:11], s[4:5], v[12:13]
	s_delay_alu instid0(VALU_DEP_1) | instskip(NEXT) | instid1(VALU_DEP_1)
	v_add_f64 v[10:11], v[16:17], v[12:13]
	v_add_f64 v[14:15], v[10:11], -v[16:17]
	s_delay_alu instid0(VALU_DEP_1)
	v_add_f64 v[12:13], v[12:13], -v[14:15]
	s_and_not1_saveexec_b32 s0, s2
	s_cbranch_execz .LBB130_123
	s_branch .LBB130_122
.LBB130_90:
	s_or_b32 exec_lo, exec_lo, s7
	s_waitcnt vmcnt(0) lgkmcnt(0)
	s_setpc_b64 s[30:31]
.LBB130_91:
	s_and_not1_saveexec_b32 s7, s7
	s_cbranch_execz .LBB130_37
.LBB130_92:
	s_mov_b32 s2, s6
                                        ; implicit-def: $vgpr6_vgpr7
	s_mov_b32 s0, exec_lo
	v_cmpx_lt_i16_e32 22, v2
	s_xor_b32 s5, exec_lo, s0
	s_cbranch_execz .LBB130_110
; %bb.93:
                                        ; implicit-def: $vgpr6_vgpr7
	s_mov_b32 s0, exec_lo
	v_cmpx_lt_i16_e32 23, v2
	s_xor_b32 s9, exec_lo, s0
	s_cbranch_execz .LBB130_107
; %bb.94:
	;; [unrolled: 6-line block ×3, first 2 shown]
	flat_load_u8 v2, v[0:1]
	s_mov_b32 s11, 0
	s_mov_b32 s12, exec_lo
                                        ; implicit-def: $sgpr0_sgpr1
                                        ; implicit-def: $sgpr2_sgpr3
	s_waitcnt vmcnt(0) lgkmcnt(0)
	v_cmpx_lt_i16_e32 0x7f, v2
	s_xor_b32 s12, exec_lo, s12
	s_cbranch_execz .LBB130_99
; %bb.96:
	s_mov_b32 s11, -1
	s_mov_b32 s13, exec_lo
                                        ; implicit-def: $sgpr0_sgpr1
                                        ; implicit-def: $sgpr2_sgpr3
	v_cmpx_eq_u16_e32 0x80, v2
; %bb.97:
	s_mov_b64 s[0:1], 0
	s_mov_b32 s3, 0x7ff80000
	s_brev_b32 s2, 4
	s_xor_b32 s11, exec_lo, -1
; %bb.98:
	s_or_b32 exec_lo, exec_lo, s13
	s_delay_alu instid0(SALU_CYCLE_1)
	s_and_b32 s11, s11, exec_lo
.LBB130_99:
	s_or_saveexec_b32 s12, s12
	v_dual_mov_b32 v7, s1 :: v_dual_mov_b32 v6, s0
	v_dual_mov_b32 v5, s3 :: v_dual_mov_b32 v4, s2
	s_xor_b32 exec_lo, exec_lo, s12
; %bb.100:
	v_mov_b32_e32 v6, 0
	v_mov_b32_e32 v7, 0
	v_cmp_ne_u16_e32 vcc_lo, 0, v2
	s_delay_alu instid0(VALU_DEP_3) | instskip(SKIP_1) | instid1(VALU_DEP_3)
	v_mov_b32_e32 v4, v6
	s_and_not1_b32 s0, s11, exec_lo
	v_mov_b32_e32 v5, v7
	s_and_b32 s1, vcc_lo, exec_lo
	s_delay_alu instid0(SALU_CYCLE_1)
	s_or_b32 s11, s0, s1
; %bb.101:
	s_or_b32 exec_lo, exec_lo, s12
	s_and_saveexec_b32 s0, s11
	s_cbranch_execz .LBB130_103
; %bb.102:
	v_and_b32_e32 v3, 0xffff, v2
	v_lshlrev_b32_e32 v2, 24, v2
	s_delay_alu instid0(VALU_DEP_2) | instskip(NEXT) | instid1(VALU_DEP_1)
	v_and_b32_e32 v4, 3, v3
	v_clz_i32_u32_e32 v5, v4
	s_delay_alu instid0(VALU_DEP_1) | instskip(NEXT) | instid1(VALU_DEP_1)
	v_min_u32_e32 v5, 32, v5
	v_subrev_nc_u32_e32 v6, 29, v5
	v_sub_nc_u32_e32 v5, 30, v5
	s_delay_alu instid0(VALU_DEP_2) | instskip(SKIP_1) | instid1(VALU_DEP_2)
	v_lshlrev_b32_e32 v6, v6, v3
	v_bfe_u32 v3, v3, 2, 5
	v_and_b32_e32 v6, 3, v6
	s_delay_alu instid0(VALU_DEP_2) | instskip(NEXT) | instid1(VALU_DEP_2)
	v_cmp_eq_u32_e32 vcc_lo, 0, v3
	v_dual_cndmask_b32 v3, v3, v5 :: v_dual_cndmask_b32 v4, v4, v6
	v_mov_b32_e32 v6, 0
	v_dual_mov_b32 v7, 0 :: v_dual_and_b32 v2, 0x80000000, v2
	s_delay_alu instid0(VALU_DEP_3) | instskip(NEXT) | instid1(VALU_DEP_4)
	v_lshl_add_u32 v3, v3, 23, 0x37800000
	v_lshlrev_b32_e32 v4, 21, v4
	s_delay_alu instid0(VALU_DEP_1) | instskip(NEXT) | instid1(VALU_DEP_1)
	v_or3_b32 v2, v2, v3, v4
	v_cvt_f64_f32_e32 v[4:5], v2
.LBB130_103:
	s_or_b32 exec_lo, exec_lo, s0
.LBB130_104:
	s_and_not1_saveexec_b32 s0, s10
	s_cbranch_execz .LBB130_106
; %bb.105:
	flat_load_u8 v2, v[0:1]
	s_waitcnt vmcnt(0) lgkmcnt(0)
	v_lshlrev_b32_e32 v2, 24, v2
	s_delay_alu instid0(VALU_DEP_1) | instskip(NEXT) | instid1(VALU_DEP_1)
	v_and_b32_e32 v3, 0x7f000000, v2
	v_clz_i32_u32_e32 v4, v3
	v_add_nc_u32_e32 v6, 0x1000000, v3
	s_delay_alu instid0(VALU_DEP_2) | instskip(NEXT) | instid1(VALU_DEP_1)
	v_min_u32_e32 v4, 32, v4
	v_sub_nc_u32_e64 v4, v4, 4 clamp
	s_delay_alu instid0(VALU_DEP_1) | instskip(SKIP_1) | instid1(VALU_DEP_2)
	v_lshlrev_b32_e32 v5, v4, v3
	v_lshlrev_b32_e32 v4, 23, v4
	v_lshrrev_b32_e32 v5, 4, v5
	s_delay_alu instid0(VALU_DEP_1)
	v_sub_nc_u32_e32 v4, v5, v4
	v_ashrrev_i32_e32 v5, 8, v6
	v_mov_b32_e32 v6, 0
	v_mov_b32_e32 v7, 0
	v_cmp_ne_u32_e32 vcc_lo, 0, v3
	v_add_nc_u32_e32 v4, 0x3c000000, v4
	s_delay_alu instid0(VALU_DEP_1) | instskip(NEXT) | instid1(VALU_DEP_1)
	v_and_or_b32 v4, 0x7f800000, v5, v4
	v_cndmask_b32_e32 v3, 0, v4, vcc_lo
	s_delay_alu instid0(VALU_DEP_1) | instskip(NEXT) | instid1(VALU_DEP_1)
	v_and_or_b32 v2, 0x80000000, v2, v3
	v_cvt_f64_f32_e32 v[4:5], v2
.LBB130_106:
	s_or_b32 exec_lo, exec_lo, s0
.LBB130_107:
	s_and_not1_saveexec_b32 s0, s9
	s_cbranch_execz .LBB130_109
; %bb.108:
	flat_load_u8 v2, v[0:1]
	v_mov_b32_e32 v6, 0
	v_mov_b32_e32 v7, 0
	s_waitcnt vmcnt(0) lgkmcnt(0)
	v_lshlrev_b32_e32 v3, 25, v2
	v_lshlrev_b16 v2, 8, v2
	s_delay_alu instid0(VALU_DEP_2) | instskip(NEXT) | instid1(VALU_DEP_2)
	v_lshrrev_b32_e32 v4, 4, v3
	v_and_or_b32 v5, 0x7f00, v2, 0.5
	v_bfe_i32 v2, v2, 0, 16
	s_delay_alu instid0(VALU_DEP_3) | instskip(NEXT) | instid1(VALU_DEP_1)
	v_or_b32_e32 v4, 0x70000000, v4
	v_dual_add_f32 v5, -0.5, v5 :: v_dual_mul_f32 v4, 0x7800000, v4
	v_cmp_gt_u32_e32 vcc_lo, 0x8000000, v3
	s_delay_alu instid0(VALU_DEP_2) | instskip(NEXT) | instid1(VALU_DEP_1)
	v_cndmask_b32_e32 v3, v4, v5, vcc_lo
	v_and_or_b32 v2, 0x80000000, v2, v3
	s_delay_alu instid0(VALU_DEP_1)
	v_cvt_f64_f32_e32 v[4:5], v2
.LBB130_109:
	s_or_b32 exec_lo, exec_lo, s0
	s_delay_alu instid0(SALU_CYCLE_1)
	s_or_b32 s2, s6, exec_lo
                                        ; implicit-def: $vgpr2
.LBB130_110:
	s_or_saveexec_b32 s3, s5
	s_mov_b32 s0, 0
	s_mov_b32 s1, s8
	s_xor_b32 exec_lo, exec_lo, s3
	s_cbranch_execz .LBB130_118
; %bb.111:
	s_mov_b32 s5, s8
	s_mov_b32 s9, s2
	s_mov_b32 s10, exec_lo
                                        ; implicit-def: $sgpr0_sgpr1
                                        ; implicit-def: $vgpr4_vgpr5
	v_cmpx_lt_i16_e32 14, v2
	s_xor_b32 s10, exec_lo, s10
	s_cbranch_execz .LBB130_115
; %bb.112:
	s_mov_b32 s5, -1
	s_mov_b32 s9, s2
	s_mov_b32 s11, exec_lo
                                        ; implicit-def: $sgpr0_sgpr1
                                        ; implicit-def: $vgpr4_vgpr5
	v_cmpx_eq_u16_e32 15, v2
	s_cbranch_execz .LBB130_114
; %bb.113:
	flat_load_u16 v2, v[0:1]
	s_mov_b64 s[0:1], 0
	s_or_b32 s9, s2, exec_lo
	s_xor_b32 s5, exec_lo, -1
	s_waitcnt vmcnt(0) lgkmcnt(0)
	v_lshlrev_b32_e32 v2, 16, v2
	s_delay_alu instid0(VALU_DEP_1)
	v_cvt_f64_f32_e32 v[4:5], v2
.LBB130_114:
	s_or_b32 exec_lo, exec_lo, s11
	s_delay_alu instid0(SALU_CYCLE_1)
	s_and_not1_b32 s11, s2, exec_lo
	s_and_b32 s9, s9, exec_lo
	s_and_not1_b32 s12, s8, exec_lo
	s_and_b32 s5, s5, exec_lo
	s_or_b32 s9, s11, s9
	s_or_b32 s5, s12, s5
                                        ; implicit-def: $vgpr2
.LBB130_115:
	s_or_saveexec_b32 s11, s10
	s_mov_b32 s10, 0
	s_xor_b32 exec_lo, exec_lo, s11
; %bb.116:
	v_cmp_ne_u16_e32 vcc_lo, 11, v2
	s_and_not1_b32 s5, s5, exec_lo
	s_mov_b32 s10, exec_lo
                                        ; implicit-def: $vgpr4_vgpr5
	s_and_b32 s12, vcc_lo, exec_lo
	s_delay_alu instid0(SALU_CYCLE_1)
	s_or_b32 s5, s5, s12
; %bb.117:
	s_or_b32 exec_lo, exec_lo, s11
	v_dual_mov_b32 v7, s1 :: v_dual_mov_b32 v6, s0
	s_and_not1_b32 s2, s2, exec_lo
	s_and_b32 s9, s9, exec_lo
	s_and_not1_b32 s1, s8, exec_lo
	s_and_b32 s5, s5, exec_lo
	s_or_b32 s2, s2, s9
	s_and_b32 s0, s10, exec_lo
	s_or_b32 s1, s1, s5
.LBB130_118:
	s_or_b32 exec_lo, exec_lo, s3
	s_delay_alu instid0(SALU_CYCLE_1)
	s_and_not1_b32 s3, s6, exec_lo
	s_and_b32 s2, s2, exec_lo
	s_and_b32 s1, s1, exec_lo
	s_or_b32 s6, s3, s2
	s_and_not1_b32 s2, s8, exec_lo
	s_and_b32 s5, s0, exec_lo
	s_or_b32 s8, s2, s1
	s_or_b32 exec_lo, exec_lo, s7
	s_and_saveexec_b32 s0, s8
	s_cbranch_execz .LBB130_38
.LBB130_119:
	s_cbranch_execnz .LBB130_128
; %bb.120:
	; divergent unreachable
	s_and_not1_b32 s5, s5, exec_lo
                                        ; implicit-def: $vgpr6_vgpr7
	s_or_b32 exec_lo, exec_lo, s0
	s_and_saveexec_b32 s0, s5
	s_delay_alu instid0(SALU_CYCLE_1)
	s_xor_b32 s0, exec_lo, s0
	s_cbranch_execnz .LBB130_39
	s_branch .LBB130_40
.LBB130_121:
	s_and_not1_saveexec_b32 s0, s2
	s_cbranch_execz .LBB130_123
.LBB130_122:
	s_mov_b32 s2, 0x6dc9c883
	s_mov_b32 s3, 0x3fe45f30
	;; [unrolled: 1-line block ×3, first 2 shown]
	v_mul_f64 v[10:11], |v[6:7]|, s[2:3]
	s_mov_b32 s2, 0x54442d18
	s_mov_b32 s3, 0xbff921fb
	;; [unrolled: 1-line block ×3, first 2 shown]
	s_delay_alu instid0(VALU_DEP_1) | instskip(NEXT) | instid1(VALU_DEP_1)
	v_rndne_f64_e32 v[14:15], v[10:11]
	v_fma_f64 v[10:11], v[14:15], s[2:3], |v[6:7]|
	v_mul_f64 v[12:13], v[14:15], s[4:5]
	s_mov_b32 s2, 0x252049c0
	s_mov_b32 s3, 0xb97b839a
	s_delay_alu instid0(VALU_DEP_2) | instskip(NEXT) | instid1(VALU_DEP_2)
	v_fma_f64 v[27:28], v[14:15], s[4:5], v[10:11]
	v_add_f64 v[16:17], v[10:11], v[12:13]
	s_mov_b32 s5, 0x3c91a626
	s_delay_alu instid0(VALU_DEP_1) | instskip(NEXT) | instid1(VALU_DEP_3)
	v_add_f64 v[10:11], v[10:11], -v[16:17]
	v_add_f64 v[16:17], v[16:17], -v[27:28]
	s_delay_alu instid0(VALU_DEP_2) | instskip(SKIP_1) | instid1(VALU_DEP_2)
	v_add_f64 v[10:11], v[10:11], v[12:13]
	v_fma_f64 v[12:13], v[14:15], s[4:5], v[12:13]
	v_add_f64 v[10:11], v[16:17], v[10:11]
	s_delay_alu instid0(VALU_DEP_1) | instskip(NEXT) | instid1(VALU_DEP_1)
	v_add_f64 v[10:11], v[10:11], -v[12:13]
	v_fma_f64 v[12:13], v[14:15], s[2:3], v[10:11]
	s_delay_alu instid0(VALU_DEP_1) | instskip(NEXT) | instid1(VALU_DEP_1)
	v_add_f64 v[10:11], v[27:28], v[12:13]
	v_add_f64 v[16:17], v[10:11], -v[27:28]
	v_cvt_i32_f64_e32 v27, v[14:15]
	s_delay_alu instid0(VALU_DEP_2)
	v_add_f64 v[12:13], v[12:13], -v[16:17]
.LBB130_123:
	s_or_b32 exec_lo, exec_lo, s0
                                        ; implicit-def: $vgpr28
                                        ; implicit-def: $vgpr14_vgpr15
                                        ; implicit-def: $vgpr16_vgpr17
	s_and_saveexec_b32 s0, s1
	s_delay_alu instid0(SALU_CYCLE_1)
	s_xor_b32 s1, exec_lo, s0
	s_cbranch_execz .LBB130_125
; %bb.124:
	v_cmp_le_f64_e64 vcc_lo, 0x7b000000, |v[6:7]|
	v_mov_b32_e32 v38, 0
	s_mov_b32 s2, 0x54442d18
	s_mov_b32 s3, 0x3ff921fb
	;; [unrolled: 1-line block ×4, first 2 shown]
	v_dual_cndmask_b32 v15, v29, v25 :: v_dual_cndmask_b32 v14, v6, v24
	s_delay_alu instid0(VALU_DEP_1) | instskip(SKIP_2) | instid1(VALU_DEP_3)
	v_mul_f64 v[16:17], v[22:23], v[14:15]
	v_mul_f64 v[24:25], v[20:21], v[14:15]
	;; [unrolled: 1-line block ×3, first 2 shown]
	v_fma_f64 v[22:23], v[22:23], v[14:15], -v[16:17]
	s_delay_alu instid0(VALU_DEP_3) | instskip(NEXT) | instid1(VALU_DEP_3)
	v_fma_f64 v[20:21], v[20:21], v[14:15], -v[24:25]
	v_fma_f64 v[14:15], v[18:19], v[14:15], -v[36:37]
	s_delay_alu instid0(VALU_DEP_3) | instskip(NEXT) | instid1(VALU_DEP_1)
	v_add_f64 v[28:29], v[24:25], v[22:23]
	v_add_f64 v[30:31], v[28:29], -v[24:25]
	v_add_f64 v[34:35], v[16:17], v[28:29]
	s_delay_alu instid0(VALU_DEP_2) | instskip(SKIP_1) | instid1(VALU_DEP_3)
	v_add_f64 v[32:33], v[28:29], -v[30:31]
	v_add_f64 v[22:23], v[22:23], -v[30:31]
	v_ldexp_f64 v[30:31], v[34:35], -2
	v_add_f64 v[16:17], v[34:35], -v[16:17]
	s_delay_alu instid0(VALU_DEP_4) | instskip(SKIP_1) | instid1(VALU_DEP_4)
	v_add_f64 v[24:25], v[24:25], -v[32:33]
	v_add_f64 v[32:33], v[36:37], v[20:21]
	v_cmp_neq_f64_e64 vcc_lo, 0x7ff00000, |v[30:31]|
	s_delay_alu instid0(VALU_DEP_4) | instskip(NEXT) | instid1(VALU_DEP_4)
	v_add_f64 v[16:17], v[28:29], -v[16:17]
	v_add_f64 v[22:23], v[22:23], v[24:25]
	v_fract_f64_e32 v[24:25], v[30:31]
	s_delay_alu instid0(VALU_DEP_2) | instskip(NEXT) | instid1(VALU_DEP_2)
	v_add_f64 v[28:29], v[32:33], v[22:23]
	v_dual_cndmask_b32 v25, 0, v25 :: v_dual_cndmask_b32 v24, 0, v24
	s_delay_alu instid0(VALU_DEP_1) | instskip(NEXT) | instid1(VALU_DEP_3)
	v_ldexp_f64 v[24:25], v[24:25], 2
	v_add_f64 v[30:31], v[16:17], v[28:29]
	v_add_f64 v[48:49], v[28:29], -v[32:33]
	s_delay_alu instid0(VALU_DEP_2) | instskip(NEXT) | instid1(VALU_DEP_2)
	v_add_f64 v[34:35], v[30:31], v[24:25]
	v_add_f64 v[54:55], v[28:29], -v[48:49]
	v_add_f64 v[22:23], v[22:23], -v[48:49]
	v_add_f64 v[16:17], v[30:31], -v[16:17]
	s_delay_alu instid0(VALU_DEP_4) | instskip(SKIP_1) | instid1(VALU_DEP_3)
	v_cmp_gt_f64_e32 vcc_lo, 0, v[34:35]
	v_add_f64 v[34:35], v[32:33], -v[36:37]
	v_add_f64 v[16:17], v[28:29], -v[16:17]
	v_cndmask_b32_e64 v39, 0, 0x40100000, vcc_lo
	s_delay_alu instid0(VALU_DEP_3) | instskip(SKIP_2) | instid1(VALU_DEP_4)
	v_add_f64 v[52:53], v[32:33], -v[34:35]
	v_add_f64 v[20:21], v[20:21], -v[34:35]
	;; [unrolled: 1-line block ×3, first 2 shown]
	v_add_f64 v[24:25], v[24:25], v[38:39]
	s_delay_alu instid0(VALU_DEP_4) | instskip(NEXT) | instid1(VALU_DEP_3)
	v_add_f64 v[34:35], v[36:37], -v[52:53]
	v_add_f64 v[22:23], v[22:23], v[32:33]
	s_delay_alu instid0(VALU_DEP_3) | instskip(NEXT) | instid1(VALU_DEP_3)
	v_add_f64 v[50:51], v[30:31], v[24:25]
	v_add_f64 v[20:21], v[20:21], v[34:35]
	s_delay_alu instid0(VALU_DEP_2) | instskip(NEXT) | instid1(VALU_DEP_2)
	v_cvt_i32_f64_e32 v39, v[50:51]
	v_add_f64 v[18:19], v[20:21], v[22:23]
	s_delay_alu instid0(VALU_DEP_2) | instskip(NEXT) | instid1(VALU_DEP_2)
	v_cvt_f64_i32_e32 v[48:49], v39
	v_add_f64 v[14:15], v[14:15], v[18:19]
	s_delay_alu instid0(VALU_DEP_2) | instskip(NEXT) | instid1(VALU_DEP_2)
	v_add_f64 v[24:25], v[24:25], -v[48:49]
	v_add_f64 v[14:15], v[16:17], v[14:15]
	s_delay_alu instid0(VALU_DEP_2) | instskip(NEXT) | instid1(VALU_DEP_1)
	v_add_f64 v[20:21], v[30:31], v[24:25]
	v_add_f64 v[18:19], v[20:21], -v[24:25]
	v_cmp_le_f64_e32 vcc_lo, 0.5, v[20:21]
	s_delay_alu instid0(VALU_DEP_2) | instskip(SKIP_2) | instid1(VALU_DEP_3)
	v_add_f64 v[16:17], v[30:31], -v[18:19]
	v_add_co_ci_u32_e64 v28, s0, 0, v39, vcc_lo
	v_cndmask_b32_e64 v39, 0, 0x3ff00000, vcc_lo
	v_add_f64 v[14:15], v[14:15], v[16:17]
	s_delay_alu instid0(VALU_DEP_2) | instskip(NEXT) | instid1(VALU_DEP_1)
	v_add_f64 v[16:17], v[20:21], -v[38:39]
	v_add_f64 v[18:19], v[16:17], v[14:15]
	s_delay_alu instid0(VALU_DEP_1) | instskip(SKIP_1) | instid1(VALU_DEP_2)
	v_mul_f64 v[20:21], v[18:19], s[2:3]
	v_add_f64 v[16:17], v[18:19], -v[16:17]
	v_fma_f64 v[22:23], v[18:19], s[2:3], -v[20:21]
	s_delay_alu instid0(VALU_DEP_2) | instskip(NEXT) | instid1(VALU_DEP_2)
	v_add_f64 v[14:15], v[14:15], -v[16:17]
	v_fma_f64 v[16:17], v[18:19], s[4:5], v[22:23]
	s_delay_alu instid0(VALU_DEP_1) | instskip(NEXT) | instid1(VALU_DEP_1)
	v_fma_f64 v[16:17], v[14:15], s[2:3], v[16:17]
	v_add_f64 v[14:15], v[20:21], v[16:17]
	s_delay_alu instid0(VALU_DEP_1) | instskip(NEXT) | instid1(VALU_DEP_1)
	v_add_f64 v[18:19], v[14:15], -v[20:21]
	v_add_f64 v[16:17], v[16:17], -v[18:19]
	s_and_not1_saveexec_b32 s0, s1
	s_cbranch_execnz .LBB130_126
	s_branch .LBB130_127
.LBB130_125:
	s_and_not1_saveexec_b32 s0, s1
	s_cbranch_execz .LBB130_127
.LBB130_126:
	s_mov_b32 s2, 0x6dc9c883
	s_mov_b32 s3, 0x3fe45f30
	;; [unrolled: 1-line block ×3, first 2 shown]
	v_mul_f64 v[14:15], |v[6:7]|, s[2:3]
	s_mov_b32 s2, 0x54442d18
	s_mov_b32 s3, 0xbff921fb
	;; [unrolled: 1-line block ×3, first 2 shown]
	s_delay_alu instid0(VALU_DEP_1) | instskip(NEXT) | instid1(VALU_DEP_1)
	v_rndne_f64_e32 v[18:19], v[14:15]
	v_fma_f64 v[14:15], v[18:19], s[2:3], |v[6:7]|
	v_mul_f64 v[16:17], v[18:19], s[4:5]
	s_mov_b32 s2, 0x252049c0
	s_mov_b32 s3, 0xb97b839a
	v_cvt_i32_f64_e32 v28, v[18:19]
	s_delay_alu instid0(VALU_DEP_3) | instskip(NEXT) | instid1(VALU_DEP_3)
	v_fma_f64 v[22:23], v[18:19], s[4:5], v[14:15]
	v_add_f64 v[20:21], v[14:15], v[16:17]
	s_mov_b32 s5, 0x3c91a626
	s_delay_alu instid0(VALU_DEP_1) | instskip(NEXT) | instid1(VALU_DEP_3)
	v_add_f64 v[14:15], v[14:15], -v[20:21]
	v_add_f64 v[20:21], v[20:21], -v[22:23]
	s_delay_alu instid0(VALU_DEP_2) | instskip(SKIP_1) | instid1(VALU_DEP_2)
	v_add_f64 v[14:15], v[14:15], v[16:17]
	v_fma_f64 v[16:17], v[18:19], s[4:5], v[16:17]
	v_add_f64 v[14:15], v[20:21], v[14:15]
	s_delay_alu instid0(VALU_DEP_1) | instskip(NEXT) | instid1(VALU_DEP_1)
	v_add_f64 v[14:15], v[14:15], -v[16:17]
	v_fma_f64 v[16:17], v[18:19], s[2:3], v[14:15]
	s_delay_alu instid0(VALU_DEP_1) | instskip(NEXT) | instid1(VALU_DEP_1)
	v_add_f64 v[14:15], v[22:23], v[16:17]
	v_add_f64 v[20:21], v[14:15], -v[22:23]
	s_delay_alu instid0(VALU_DEP_1)
	v_add_f64 v[16:17], v[16:17], -v[20:21]
.LBB130_127:
	s_or_b32 exec_lo, exec_lo, s0
	s_mov_b32 s0, 0x652b82fe
	s_mov_b32 s1, 0x3ff71547
	;; [unrolled: 1-line block ×3, first 2 shown]
	v_mul_f64 v[18:19], v[4:5], s[0:1]
	s_mov_b32 s2, 0xfefa39ef
	s_mov_b32 s0, 0x3b39803f
	;; [unrolled: 1-line block ×5, first 2 shown]
	v_mul_f64 v[29:30], v[2:3], v[2:3]
	s_mov_b32 s8, 0xf9a43bb8
	s_mov_b32 s9, 0x3de5e0b2
	v_mul_f64 v[33:34], v[10:11], v[10:11]
	s_mov_b32 s11, 0x3f56c16c
	s_mov_b32 s10, 0x1852b7b0
	s_mov_b32 s12, 0x46cc5e42
	s_mov_b32 s14, 0x796cde01
	s_mov_b32 s13, 0xbda907db
	s_mov_b32 s15, 0x3ec71de3
	v_mul_f64 v[48:49], v[14:15], v[14:15]
	s_mov_b32 s17, 0x3f811111
	s_mov_b32 s16, 0x11122322
	;; [unrolled: 1-line block ×8, first 2 shown]
	v_mul_f64 v[68:69], v[8:9], 0.5
	v_rndne_f64_e32 v[18:19], v[18:19]
	v_mul_f64 v[35:36], v[29:30], 0.5
	v_mul_f64 v[70:71], v[2:3], -v[29:30]
	v_mul_f64 v[100:101], v[29:30], v[29:30]
	v_mul_f64 v[64:65], v[33:34], 0.5
	v_mul_f64 v[96:97], v[10:11], -v[33:34]
	v_mul_f64 v[82:83], v[48:49], 0.5
	v_fma_f64 v[20:21], v[18:19], s[2:3], v[4:5]
	v_cvt_i32_f64_e32 v39, v[18:19]
	v_cmp_eq_f64_e32 vcc_lo, 0x40900000, v[18:19]
	s_mov_b32 s3, 0x40862e42
	s_delay_alu instid0(SALU_CYCLE_1)
	v_cmp_nlt_f64_e64 s2, s[2:3], v[4:5]
	v_add_f64 v[52:53], -v[35:36], 1.0
	v_cmp_ngt_f64_e64 s3, 0xc0428000, v[4:5]
	v_add_f64 v[86:87], -v[64:65], 1.0
	v_fma_f64 v[20:21], v[18:19], s[0:1], v[20:21]
	s_mov_b32 s0, 0x2a1b768b
	s_mov_b32 s1, 0x3e5af4eb
	v_cndmask_b32_e64 v112, v39, 0x3ff, vcc_lo
	v_add_f64 v[80:81], -v[52:53], 1.0
	s_delay_alu instid0(VALU_DEP_4) | instskip(NEXT) | instid1(VALU_DEP_4)
	v_add_f64 v[98:99], -v[86:87], 1.0
	v_fma_f64 v[22:23], v[20:21], s[4:5], s[0:1]
	s_mov_b32 s0, 0xfca7ab0c
	s_mov_b32 s4, 0x6a5dcb37
	;; [unrolled: 1-line block ×4, first 2 shown]
	s_delay_alu instid0(SALU_CYCLE_1) | instskip(SKIP_4) | instid1(VALU_DEP_4)
	v_fma_f64 v[24:25], v[20:21], s[4:5], s[0:1]
	s_mov_b32 s0, 0xe0ac05b
	s_mov_b32 s1, 0x3e927e50
	;; [unrolled: 1-line block ×4, first 2 shown]
	v_add_f64 v[35:36], v[80:81], -v[35:36]
	s_delay_alu instid0(VALU_DEP_4) | instskip(NEXT) | instid1(VALU_DEP_4)
	v_add_f64 v[18:19], v[98:99], -v[64:65]
	v_fma_f64 v[22:23], v[20:21], v[22:23], s[0:1]
	s_mov_b32 s0, 0x623fde64
	s_mov_b32 s1, 0x3ec71dee
	s_delay_alu instid0(VALU_DEP_4) | instid1(SALU_CYCLE_1)
	v_fma_f64 v[24:25], v[20:21], v[24:25], s[0:1]
	s_mov_b32 s0, 0x1b889c29
	s_mov_b32 s1, 0x3ec71de0
	s_delay_alu instid0(VALU_DEP_4) | instskip(NEXT) | instid1(VALU_DEP_4)
	v_fma_f64 v[35:36], v[2:3], -v[8:9], v[35:36]
	v_fma_f64 v[18:19], v[10:11], -v[12:13], v[18:19]
	s_delay_alu instid0(VALU_DEP_4) | instskip(SKIP_2) | instid1(VALU_DEP_4)
	v_fma_f64 v[22:23], v[20:21], v[22:23], s[0:1]
	s_mov_b32 s1, 0x3efa01a0
	s_mov_b32 s0, 0x197bcfd8
	v_fma_f64 v[24:25], v[20:21], v[24:25], s[4:5]
	s_mov_b32 s5, 0x3f2a01a0
	s_mov_b32 s4, 0x14761f6e
	s_delay_alu instid0(VALU_DEP_2) | instskip(SKIP_1) | instid1(VALU_DEP_2)
	v_fma_f64 v[22:23], v[20:21], v[22:23], s[0:1]
	s_mov_b32 s0, 0x19f4ec90
	v_fma_f64 v[24:25], v[20:21], v[24:25], s[4:5]
	s_mov_b32 s4, 0x1ac1a723
	s_delay_alu instid0(VALU_DEP_2) | instid1(SALU_CYCLE_1)
	v_fma_f64 v[22:23], v[20:21], v[22:23], s[4:5]
	s_mov_b32 s4, 0xb42fdfa7
	s_mov_b32 s5, 0xbe5ae600
	s_delay_alu instid0(SALU_CYCLE_1) | instskip(SKIP_1) | instid1(VALU_DEP_4)
	v_fma_f64 v[31:32], v[29:30], s[8:9], s[4:5]
	v_fma_f64 v[50:51], v[33:34], s[8:9], s[4:5]
	;; [unrolled: 1-line block ×3, first 2 shown]
	s_mov_b32 s10, 0x16c18931
	v_fma_f64 v[54:55], v[48:49], s[8:9], s[4:5]
	s_mov_b32 s5, 0x3fc55555
	s_mov_b32 s4, 0x55555511
	;; [unrolled: 1-line block ×3, first 2 shown]
	v_fma_f64 v[22:23], v[20:21], v[22:23], s[10:11]
	s_mov_b32 s10, 0x9037ab78
	s_mov_b32 s11, 0x3e21eeb6
	s_delay_alu instid0(SALU_CYCLE_1)
	v_fma_f64 v[37:38], v[29:30], s[12:13], s[10:11]
	v_fma_f64 v[31:32], v[29:30], v[31:32], s[14:15]
	;; [unrolled: 1-line block ×3, first 2 shown]
	s_mov_b32 s16, 0x11110056
	v_fma_f64 v[50:51], v[33:34], v[50:51], s[14:15]
	v_fma_f64 v[66:67], v[33:34], s[12:13], s[10:11]
	v_fma_f64 v[84:85], v[48:49], s[12:13], s[10:11]
	v_fma_f64 v[54:55], v[48:49], v[54:55], s[14:15]
	v_fma_f64 v[22:23], v[20:21], v[22:23], s[16:17]
	s_mov_b32 s16, 0x11110bb3
	v_fma_f64 v[37:38], v[29:30], v[37:38], s[18:19]
	v_fma_f64 v[31:32], v[29:30], v[31:32], s[20:21]
	;; [unrolled: 1-line block ×3, first 2 shown]
	s_mov_b32 s22, 0x55555552
	v_fma_f64 v[50:51], v[33:34], v[50:51], s[20:21]
	v_fma_f64 v[66:67], v[33:34], v[66:67], s[18:19]
	;; [unrolled: 1-line block ×4, first 2 shown]
	v_mul_f64 v[84:85], v[12:13], 0.5
	v_fma_f64 v[22:23], v[20:21], v[22:23], s[22:23]
	s_mov_b32 s22, 0x55555555
	s_delay_alu instid0(SALU_CYCLE_1)
	s_mov_b32 s8, s22
	v_fma_f64 v[37:38], v[29:30], v[37:38], s[0:1]
	v_fma_f64 v[31:32], v[29:30], v[31:32], s[16:17]
	;; [unrolled: 1-line block ×3, first 2 shown]
	s_mov_b32 s4, 0x55555557
	v_fma_f64 v[50:51], v[33:34], v[50:51], s[16:17]
	v_fma_f64 v[66:67], v[33:34], v[66:67], s[0:1]
	;; [unrolled: 1-line block ×4, first 2 shown]
	s_mov_b32 s0, 11
	s_mov_b32 s1, 0x3fe00000
	v_fma_f64 v[22:23], v[20:21], v[22:23], s[4:5]
	s_mov_b32 s4, 0x16c16967
	s_mov_b32 s5, 0xbf56c16c
	s_delay_alu instid0(SALU_CYCLE_1)
	v_fma_f64 v[37:38], v[29:30], v[37:38], s[4:5]
	v_fma_f64 v[31:32], v[70:71], v[31:32], v[68:69]
	v_add_f64 v[68:69], -v[82:83], 1.0
	v_fma_f64 v[24:25], v[20:21], v[24:25], s[0:1]
	v_fma_f64 v[50:51], v[96:97], v[50:51], v[84:85]
	;; [unrolled: 1-line block ×3, first 2 shown]
	v_ldexp_f64 v[66:67], 1.0, v112
	v_cmp_class_f64_e64 s1, v[0:1], 0x1f8
	v_fma_f64 v[22:23], v[20:21], v[22:23], 0.5
	v_fma_f64 v[37:38], v[29:30], v[37:38], s[22:23]
	v_fma_f64 v[8:9], v[29:30], v[31:32], -v[8:9]
	v_mul_f64 v[29:30], v[16:17], 0.5
	v_mul_f64 v[31:32], v[14:15], -v[48:49]
	v_add_f64 v[102:103], -v[68:69], 1.0
	v_fma_f64 v[12:13], v[33:34], v[50:51], -v[12:13]
	v_fma_f64 v[64:65], v[33:34], v[64:65], s[22:23]
	v_fma_f64 v[24:25], v[20:21], v[24:25], 1.0
	v_mul_f64 v[22:23], v[20:21], v[22:23]
	v_fma_f64 v[35:36], v[100:101], v[37:38], v[35:36]
	v_fma_f64 v[8:9], v[70:71], s[8:9], v[8:9]
	;; [unrolled: 1-line block ×4, first 2 shown]
	v_add_f64 v[37:38], v[102:103], -v[82:83]
	v_mul_f64 v[54:55], v[33:34], v[33:34]
	v_add_f64 v[33:34], v[66:67], -1.0
	v_fma_f64 v[12:13], v[96:97], s[8:9], v[12:13]
	v_cmp_nlt_f64_e64 s4, 0x40900000, v[4:5]
	v_cmp_ngt_f64_e64 s5, 0xc090cc00, v[4:5]
	v_fma_f64 v[22:23], v[20:21], v[22:23], v[20:21]
	v_fma_f64 v[20:21], v[20:21], v[24:25], 1.0
	v_add_f64 v[35:36], v[52:53], v[35:36]
	v_add_f64 v[2:3], v[2:3], -v[8:9]
	v_mul_f64 v[8:9], v[48:49], v[48:49]
	v_fma_f64 v[50:51], v[48:49], v[70:71], s[22:23]
	v_fma_f64 v[37:38], v[14:15], -v[16:17], v[37:38]
	v_fma_f64 v[16:17], v[48:49], v[29:30], -v[16:17]
	v_fma_f64 v[18:19], v[54:55], v[64:65], v[18:19]
	v_and_b32_e32 v29, 1, v26
	v_add_f64 v[10:11], v[10:11], -v[12:13]
	s_delay_alu instid0(VALU_DEP_2) | instskip(SKIP_2) | instid1(VALU_DEP_3)
	v_cmp_eq_u32_e64 s0, 0, v29
	v_fma_f64 v[22:23], v[66:67], v[22:23], v[33:34]
	v_lshlrev_b32_e32 v0, 30, v26
	v_cndmask_b32_e64 v24, v35, v2, s0
	s_delay_alu instid0(VALU_DEP_2)
	v_xor_b32_e32 v2, v0, v1
	v_cndmask_b32_e64 v12, v36, v3, s0
	v_fma_f64 v[0:1], v[8:9], v[50:51], v[37:38]
	v_fma_f64 v[8:9], v[31:32], s[8:9], v[16:17]
	v_add_f64 v[16:17], v[86:87], v[18:19]
	v_and_b32_e32 v25, 0x80000000, v2
	v_cndmask_b32_e64 v18, 0, v24, s1
	v_xor_b32_e32 v11, 0x80000000, v11
	s_delay_alu instid0(VALU_DEP_3) | instskip(SKIP_1) | instid1(VALU_DEP_2)
	v_xor_b32_e32 v19, v12, v25
	v_ldexp_f64 v[12:13], v[20:21], v39
	v_cndmask_b32_e64 v19, 0x7ff80000, v19, s1
	v_cmp_class_f64_e64 s1, v[6:7], 0x1f8
	v_and_b32_e32 v6, 1, v28
	s_delay_alu instid0(VALU_DEP_3) | instskip(NEXT) | instid1(VALU_DEP_2)
	v_add_f64 v[20:21], v[18:19], v[18:19]
	v_cmp_eq_u32_e64 s6, 0, v6
	v_add_f64 v[2:3], v[22:23], v[22:23]
	v_lshlrev_b32_e32 v5, 30, v28
	v_add_f64 v[0:1], v[68:69], v[0:1]
	v_add_f64 v[8:9], v[14:15], -v[8:9]
	v_lshlrev_b32_e32 v15, 30, v27
	v_cndmask_b32_e64 v13, 0x7ff00000, v13, s4
	v_dual_cndmask_b32 v2, v22, v2 :: v_dual_cndmask_b32 v3, v23, v3
	s_and_b32 vcc_lo, s3, s2
	v_and_b32_e32 v24, 1, v27
	v_xor_b32_e32 v5, v5, v7
	s_delay_alu instid0(VALU_DEP_3)
	v_cndmask_b32_e64 v14, 0x7ff00000, v3, s2
	v_mul_f64 v[3:4], v[20:21], v[18:19]
	v_cndmask_b32_e64 v8, v0, v8, s6
	v_cndmask_b32_e64 v0, v1, v9, s6
	v_cndmask_b32_e32 v9, 0, v2, vcc_lo
	v_cmp_eq_u32_e64 s0, 0, v24
	v_and_b32_e32 v5, 0x80000000, v5
	s_and_b32 vcc_lo, s5, s4
	v_and_b32_e32 v6, 0x80000000, v15
	s_delay_alu instid0(VALU_DEP_3) | instskip(SKIP_1) | instid1(VALU_DEP_2)
	v_cndmask_b32_e64 v7, v11, v17, s0
	v_cndmask_b32_e64 v10, v10, v16, s0
	v_xor_b32_e32 v1, v7, v6
	v_cndmask_b32_e32 v7, 0, v12, vcc_lo
	v_xor_b32_e32 v6, v0, v5
	s_delay_alu instid0(VALU_DEP_4)
	v_cndmask_b32_e64 v0, 0, v10, s1
	v_cndmask_b32_e64 v5, 0, v8, s1
	;; [unrolled: 1-line block ×6, first 2 shown]
	s_delay_alu instid0(VALU_DEP_1) | instskip(NEXT) | instid1(VALU_DEP_3)
	v_fma_f64 v[0:1], v[9:10], v[0:1], -v[3:4]
	v_mul_f64 v[2:3], v[7:8], v[5:6]
	s_or_b32 exec_lo, exec_lo, s7
	s_setpc_b64 s[30:31]
.LBB130_128:
	s_trap 2
	s_sendmsg_rtn_b32 s0, sendmsg(MSG_RTN_GET_DOORBELL)
	s_mov_b32 ttmp2, m0
	s_waitcnt lgkmcnt(0)
	s_and_b32 s0, s0, 0x3ff
	s_delay_alu instid0(SALU_CYCLE_1) | instskip(NEXT) | instid1(SALU_CYCLE_1)
	s_bitset1_b32 s0, 10
	s_mov_b32 m0, s0
	s_sendmsg sendmsg(MSG_INTERRUPT)
	s_mov_b32 m0, ttmp2
.LBB130_129:                            ; =>This Inner Loop Header: Depth=1
	s_sethalt 5
	s_branch .LBB130_129
.Lfunc_end130:
	.size	_ZN2at6native6invokeIZZZNS0_17expm1_kernel_cudaERNS_18TensorIteratorBaseEENKUlvE_clEvENKUlvE1_clEvEUlN3c107complexIdEEE_i15function_traitsIS9_EEENT1_11result_typeERKT_PrKPcPKT0_PKNS6_10ScalarTypeEi, .Lfunc_end130-_ZN2at6native6invokeIZZZNS0_17expm1_kernel_cudaERNS_18TensorIteratorBaseEENKUlvE_clEvENKUlvE1_clEvEUlN3c107complexIdEEE_i15function_traitsIS9_EEENT1_11result_typeERKT_PrKPcPKT0_PKNS6_10ScalarTypeEi
                                        ; -- End function
	.section	.AMDGPU.csdata,"",@progbits
; Function info:
; codeLenInByte = 7392
; NumSgprs: 34
; NumVgprs: 113
; ScratchSize: 0
; MemoryBound: 1
	.section	.text._ZN2at6native32elementwise_kernel_manual_unrollILi128ELi4EZNS0_15gpu_kernel_implIZZZNS0_17expm1_kernel_cudaERNS_18TensorIteratorBaseEENKUlvE_clEvENKUlvE1_clEvEUlN3c107complexIdEEE_EEvS4_RKT_EUlibE_EEviT1_,"axG",@progbits,_ZN2at6native32elementwise_kernel_manual_unrollILi128ELi4EZNS0_15gpu_kernel_implIZZZNS0_17expm1_kernel_cudaERNS_18TensorIteratorBaseEENKUlvE_clEvENKUlvE1_clEvEUlN3c107complexIdEEE_EEvS4_RKT_EUlibE_EEviT1_,comdat
	.globl	_ZN2at6native32elementwise_kernel_manual_unrollILi128ELi4EZNS0_15gpu_kernel_implIZZZNS0_17expm1_kernel_cudaERNS_18TensorIteratorBaseEENKUlvE_clEvENKUlvE1_clEvEUlN3c107complexIdEEE_EEvS4_RKT_EUlibE_EEviT1_ ; -- Begin function _ZN2at6native32elementwise_kernel_manual_unrollILi128ELi4EZNS0_15gpu_kernel_implIZZZNS0_17expm1_kernel_cudaERNS_18TensorIteratorBaseEENKUlvE_clEvENKUlvE1_clEvEUlN3c107complexIdEEE_EEvS4_RKT_EUlibE_EEviT1_
	.p2align	8
	.type	_ZN2at6native32elementwise_kernel_manual_unrollILi128ELi4EZNS0_15gpu_kernel_implIZZZNS0_17expm1_kernel_cudaERNS_18TensorIteratorBaseEENKUlvE_clEvENKUlvE1_clEvEUlN3c107complexIdEEE_EEvS4_RKT_EUlibE_EEviT1_,@function
_ZN2at6native32elementwise_kernel_manual_unrollILi128ELi4EZNS0_15gpu_kernel_implIZZZNS0_17expm1_kernel_cudaERNS_18TensorIteratorBaseEENKUlvE_clEvENKUlvE1_clEvEUlN3c107complexIdEEE_EEvS4_RKT_EUlibE_EEviT1_: ; @_ZN2at6native32elementwise_kernel_manual_unrollILi128ELi4EZNS0_15gpu_kernel_implIZZZNS0_17expm1_kernel_cudaERNS_18TensorIteratorBaseEENKUlvE_clEvENKUlvE1_clEvEUlN3c107complexIdEEE_EEvS4_RKT_EUlibE_EEviT1_
; %bb.0:
	v_mov_b32_e32 v1, 0
	s_clause 0x2
	s_load_b32 s36, s[0:1], 0x0
	s_load_b64 s[28:29], s[0:1], 0x18
	s_load_b128 s[24:27], s[0:1], 0x8
	v_lshl_or_b32 v60, s15, 9, v0
	s_mov_b32 s33, 0
	s_mov_b32 s35, 0
	global_load_u16 v63, v1, s[0:1] offset:33
	s_mov_b32 s32, 0
	v_or_b32_e32 v62, 0x180, v60
	s_mov_b32 s0, exec_lo
	s_waitcnt vmcnt(0)
	v_lshrrev_b16 v61, 8, v63
	s_waitcnt lgkmcnt(0)
	v_cmpx_le_i32_e64 s36, v62
	s_xor_b32 s34, exec_lo, s0
	s_cbranch_execz .LBB131_175
; %bb.1:
	s_mov_b32 s0, -1
	s_mov_b32 s38, 0
	s_mov_b32 s37, exec_lo
	v_cmpx_gt_i32_e64 s36, v60
                                        ; implicit-def: $vgpr0_vgpr1
	s_cbranch_execz .LBB131_124
; %bb.2:
	v_dual_mov_b32 v0, s26 :: v_dual_mov_b32 v1, s27
	v_dual_mov_b32 v2, s29 :: v_dual_mov_b32 v3, v61
	v_mov_b32_e32 v4, v60
	s_getpc_b64 s[0:1]
	s_add_u32 s0, s0, _ZN2at6native6invokeIZZZNS0_17expm1_kernel_cudaERNS_18TensorIteratorBaseEENKUlvE_clEvENKUlvE1_clEvEUlN3c107complexIdEEE_i15function_traitsIS9_EEENT1_11result_typeERKT_PrKPcPKT0_PKNS6_10ScalarTypeEi@rel32@lo+4
	s_addc_u32 s1, s1, _ZN2at6native6invokeIZZZNS0_17expm1_kernel_cudaERNS_18TensorIteratorBaseEENKUlvE_clEvENKUlvE1_clEvEUlN3c107complexIdEEE_i15function_traitsIS9_EEENT1_11result_typeERKT_PrKPcPKT0_PKNS6_10ScalarTypeEi@rel32@hi+12
	s_delay_alu instid0(SALU_CYCLE_1) | instskip(SKIP_2) | instid1(VALU_DEP_1)
	s_swappc_b64 s[30:31], s[0:1]
	v_mul_lo_u32 v4, v60, s28
	v_and_b32_e32 v6, 0xff, v63
	v_cmp_gt_i16_e32 vcc_lo, 11, v6
	s_delay_alu instid0(VALU_DEP_3) | instskip(SKIP_1) | instid1(VALU_DEP_1)
	v_ashrrev_i32_e32 v5, 31, v4
	v_add_co_u32 v4, s0, s24, v4
	v_add_co_ci_u32_e64 v5, s0, s25, v5, s0
	s_cbranch_vccnz .LBB131_9
; %bb.3:
	v_cmp_lt_i16_e32 vcc_lo, 25, v6
	s_cbranch_vccz .LBB131_12
; %bb.4:
	v_cmp_lt_i16_e32 vcc_lo, 28, v6
	s_cbranch_vccz .LBB131_13
	;; [unrolled: 3-line block ×4, first 2 shown]
; %bb.7:
	v_cmp_eq_u16_e32 vcc_lo, 46, v6
	s_mov_b32 s2, 0
	s_mov_b32 s0, -1
	s_mov_b32 s1, 0
	s_cbranch_vccz .LBB131_16
; %bb.8:
	v_cvt_f32_f64_e32 v7, v[2:3]
	v_cvt_f32_f64_e32 v8, v[0:1]
	s_mov_b32 s1, -1
	s_mov_b32 s0, 0
	s_delay_alu instid0(VALU_DEP_2) | instskip(NEXT) | instid1(VALU_DEP_2)
	v_bfe_u32 v9, v7, 16, 1
	v_bfe_u32 v10, v8, 16, 1
	v_cmp_o_f32_e32 vcc_lo, v7, v7
	s_delay_alu instid0(VALU_DEP_3) | instskip(NEXT) | instid1(VALU_DEP_3)
	v_add3_u32 v9, v7, v9, 0x7fff
	v_add3_u32 v10, v8, v10, 0x7fff
	s_delay_alu instid0(VALU_DEP_2) | instskip(NEXT) | instid1(VALU_DEP_2)
	v_and_b32_e32 v9, 0xffff0000, v9
	v_lshrrev_b32_e32 v10, 16, v10
	s_delay_alu instid0(VALU_DEP_2) | instskip(SKIP_1) | instid1(VALU_DEP_3)
	v_cndmask_b32_e32 v7, 0x7fc00000, v9, vcc_lo
	v_cmp_o_f32_e32 vcc_lo, v8, v8
	v_cndmask_b32_e32 v8, 0x7fc0, v10, vcc_lo
	s_delay_alu instid0(VALU_DEP_1)
	v_or_b32_e32 v7, v7, v8
	global_store_b32 v[4:5], v7, off
	s_branch .LBB131_16
.LBB131_9:
	s_mov_b32 s0, 0
	s_mov_b32 s1, 0
	s_cbranch_execnz .LBB131_84
.LBB131_10:
	s_and_not1_b32 vcc_lo, exec_lo, s1
	s_cbranch_vccnz .LBB131_122
.LBB131_11:
	v_add_nc_u32_e32 v60, 0x80, v60
	s_mov_b32 s1, -1
	s_branch .LBB131_123
.LBB131_12:
	s_mov_b32 s0, 0
	s_mov_b32 s1, 0
	s_cbranch_execnz .LBB131_43
	s_branch .LBB131_83
.LBB131_13:
	s_mov_b32 s2, -1
	s_mov_b32 s0, 0
	s_mov_b32 s1, 0
	s_branch .LBB131_26
.LBB131_14:
	s_mov_b32 s2, -1
	s_mov_b32 s0, 0
	s_mov_b32 s1, 0
	s_branch .LBB131_22
.LBB131_15:
	s_mov_b32 s2, -1
	s_mov_b32 s0, 0
	s_mov_b32 s1, 0
.LBB131_16:
	s_and_b32 vcc_lo, exec_lo, s2
	s_cbranch_vccz .LBB131_21
; %bb.17:
	v_cmp_eq_u16_e32 vcc_lo, 44, v6
	s_mov_b32 s0, -1
	s_cbranch_vccz .LBB131_21
; %bb.18:
	v_cvt_f32_f64_e32 v7, v[0:1]
	v_mov_b32_e32 v8, 0xff
	s_mov_b32 s1, exec_lo
	s_delay_alu instid0(VALU_DEP_2) | instskip(NEXT) | instid1(VALU_DEP_1)
	v_bfe_u32 v9, v7, 23, 8
	v_cmpx_ne_u32_e32 0xff, v9
; %bb.19:
	v_and_b32_e32 v8, 0x400000, v7
	v_and_or_b32 v9, 0x3fffff, v7, v9
	v_lshrrev_b32_e32 v7, 23, v7
	s_delay_alu instid0(VALU_DEP_3) | instskip(NEXT) | instid1(VALU_DEP_3)
	v_cmp_ne_u32_e32 vcc_lo, 0, v8
	v_cmp_ne_u32_e64 s0, 0, v9
	s_delay_alu instid0(VALU_DEP_1) | instskip(NEXT) | instid1(SALU_CYCLE_1)
	s_and_b32 s0, vcc_lo, s0
	v_cndmask_b32_e64 v8, 0, 1, s0
	s_delay_alu instid0(VALU_DEP_1)
	v_add_nc_u32_e32 v8, v7, v8
; %bb.20:
	s_or_b32 exec_lo, exec_lo, s1
	s_mov_b32 s1, -1
	s_mov_b32 s0, 0
	global_store_b8 v[4:5], v8, off
.LBB131_21:
	s_mov_b32 s2, 0
.LBB131_22:
	s_delay_alu instid0(SALU_CYCLE_1)
	s_and_b32 vcc_lo, exec_lo, s2
	s_cbranch_vccz .LBB131_25
; %bb.23:
	v_cmp_eq_u16_e32 vcc_lo, 29, v6
	s_mov_b32 s0, -1
	s_cbranch_vccz .LBB131_25
; %bb.24:
	v_trunc_f64_e32 v[7:8], v[0:1]
	s_mov_b32 s1, -1
	s_mov_b32 s0, 0
	s_mov_b32 s2, 0
	s_delay_alu instid0(VALU_DEP_1) | instskip(NEXT) | instid1(VALU_DEP_1)
	v_ldexp_f64 v[9:10], v[7:8], 0xffffffe0
	v_floor_f64_e32 v[9:10], v[9:10]
	s_delay_alu instid0(VALU_DEP_1) | instskip(SKIP_1) | instid1(VALU_DEP_2)
	v_fma_f64 v[7:8], 0xc1f00000, v[9:10], v[7:8]
	v_cvt_u32_f64_e32 v9, v[9:10]
	v_cvt_u32_f64_e32 v8, v[7:8]
	global_store_b64 v[4:5], v[8:9], off
	s_branch .LBB131_26
.LBB131_25:
	s_mov_b32 s2, 0
.LBB131_26:
	s_delay_alu instid0(SALU_CYCLE_1)
	s_and_b32 vcc_lo, exec_lo, s2
	s_cbranch_vccz .LBB131_42
; %bb.27:
	v_cmp_gt_i16_e32 vcc_lo, 27, v6
	s_mov_b32 s1, -1
	s_cbranch_vccnz .LBB131_33
; %bb.28:
	v_cvt_u32_f64_e32 v7, v[0:1]
	v_cmp_lt_i16_e32 vcc_lo, 27, v6
	s_cbranch_vccz .LBB131_30
; %bb.29:
	s_mov_b32 s1, 0
	global_store_b32 v[4:5], v7, off
.LBB131_30:
	s_and_not1_b32 vcc_lo, exec_lo, s1
	s_cbranch_vccnz .LBB131_32
; %bb.31:
	global_store_b16 v[4:5], v7, off
.LBB131_32:
	s_mov_b32 s1, 0
.LBB131_33:
	s_delay_alu instid0(SALU_CYCLE_1)
	s_and_not1_b32 vcc_lo, exec_lo, s1
	s_cbranch_vccnz .LBB131_41
; %bb.34:
	v_cvt_f32_f64_e32 v7, v[0:1]
	v_mov_b32_e32 v9, 0x80
	s_mov_b32 s1, exec_lo
	s_delay_alu instid0(VALU_DEP_2) | instskip(NEXT) | instid1(VALU_DEP_1)
	v_and_b32_e32 v8, 0x7fffffff, v7
	v_cmpx_gt_u32_e32 0x43800000, v8
	s_cbranch_execz .LBB131_40
; %bb.35:
	v_cmp_lt_u32_e32 vcc_lo, 0x3bffffff, v8
	s_mov_b32 s2, 0
                                        ; implicit-def: $vgpr8
	s_and_saveexec_b32 s3, vcc_lo
	s_delay_alu instid0(SALU_CYCLE_1)
	s_xor_b32 s3, exec_lo, s3
	s_cbranch_execz .LBB131_661
; %bb.36:
	v_bfe_u32 v8, v7, 20, 1
	s_mov_b32 s2, exec_lo
	s_delay_alu instid0(VALU_DEP_1) | instskip(NEXT) | instid1(VALU_DEP_1)
	v_add3_u32 v8, v7, v8, 0x487ffff
	v_lshrrev_b32_e32 v8, 20, v8
	s_or_saveexec_b32 s3, s3
                                        ; implicit-def: $sgpr4
	s_delay_alu instid0(SALU_CYCLE_1)
	s_xor_b32 exec_lo, exec_lo, s3
	s_cbranch_execnz .LBB131_662
.LBB131_37:
	s_or_b32 exec_lo, exec_lo, s3
	v_mov_b32_e32 v9, s4
	s_and_saveexec_b32 s3, s2
.LBB131_38:
	v_lshrrev_b32_e32 v7, 24, v7
	s_delay_alu instid0(VALU_DEP_1)
	v_and_or_b32 v9, 0x80, v7, v8
.LBB131_39:
	s_or_b32 exec_lo, exec_lo, s3
.LBB131_40:
	s_delay_alu instid0(SALU_CYCLE_1)
	s_or_b32 exec_lo, exec_lo, s1
	global_store_b8 v[4:5], v9, off
.LBB131_41:
	s_mov_b32 s1, -1
.LBB131_42:
	s_branch .LBB131_83
.LBB131_43:
	v_cmp_lt_i16_e32 vcc_lo, 22, v6
	s_mov_b32 s2, -1
	s_cbranch_vccz .LBB131_75
; %bb.44:
	v_cmp_gt_i16_e32 vcc_lo, 24, v6
	s_mov_b32 s1, -1
	s_cbranch_vccnz .LBB131_64
; %bb.45:
	v_cmp_lt_i16_e32 vcc_lo, 24, v6
	s_cbranch_vccz .LBB131_53
; %bb.46:
	v_cvt_f32_f64_e32 v7, v[0:1]
	v_mov_b32_e32 v9, 0x80
	s_mov_b32 s1, exec_lo
	s_delay_alu instid0(VALU_DEP_2) | instskip(NEXT) | instid1(VALU_DEP_1)
	v_and_b32_e32 v8, 0x7fffffff, v7
	v_cmpx_gt_u32_e32 0x47800000, v8
	s_cbranch_execz .LBB131_52
; %bb.47:
	v_cmp_lt_u32_e32 vcc_lo, 0x37ffffff, v8
	s_mov_b32 s2, 0
                                        ; implicit-def: $vgpr8
	s_and_saveexec_b32 s3, vcc_lo
	s_delay_alu instid0(SALU_CYCLE_1)
	s_xor_b32 s3, exec_lo, s3
	s_cbranch_execz .LBB131_672
; %bb.48:
	v_bfe_u32 v8, v7, 21, 1
	s_mov_b32 s2, exec_lo
	s_delay_alu instid0(VALU_DEP_1) | instskip(NEXT) | instid1(VALU_DEP_1)
	v_add3_u32 v8, v7, v8, 0x88fffff
	v_lshrrev_b32_e32 v8, 21, v8
	s_or_saveexec_b32 s3, s3
                                        ; implicit-def: $sgpr4
	s_delay_alu instid0(SALU_CYCLE_1)
	s_xor_b32 exec_lo, exec_lo, s3
	s_cbranch_execnz .LBB131_673
.LBB131_49:
	s_or_b32 exec_lo, exec_lo, s3
	v_mov_b32_e32 v9, s4
	s_and_saveexec_b32 s3, s2
.LBB131_50:
	v_lshrrev_b32_e32 v7, 24, v7
	s_delay_alu instid0(VALU_DEP_1)
	v_and_or_b32 v9, 0x80, v7, v8
.LBB131_51:
	s_or_b32 exec_lo, exec_lo, s3
.LBB131_52:
	s_delay_alu instid0(SALU_CYCLE_1)
	s_or_b32 exec_lo, exec_lo, s1
	s_mov_b32 s1, 0
	global_store_b8 v[4:5], v9, off
.LBB131_53:
	s_and_b32 vcc_lo, exec_lo, s1
	s_cbranch_vccz .LBB131_63
; %bb.54:
	v_cvt_f32_f64_e32 v7, v[0:1]
	s_mov_b32 s1, exec_lo
                                        ; implicit-def: $vgpr8
	s_delay_alu instid0(VALU_DEP_1) | instskip(NEXT) | instid1(VALU_DEP_1)
	v_and_b32_e32 v9, 0x7fffffff, v7
	v_cmpx_gt_u32_e32 0x43f00000, v9
	s_xor_b32 s1, exec_lo, s1
	s_cbranch_execz .LBB131_60
; %bb.55:
	s_mov_b32 s2, exec_lo
                                        ; implicit-def: $vgpr8
	v_cmpx_lt_u32_e32 0x3c7fffff, v9
	s_xor_b32 s2, exec_lo, s2
; %bb.56:
	v_bfe_u32 v8, v7, 20, 1
	s_delay_alu instid0(VALU_DEP_1) | instskip(NEXT) | instid1(VALU_DEP_1)
	v_add3_u32 v8, v7, v8, 0x407ffff
	v_and_b32_e32 v9, 0xff00000, v8
	v_lshrrev_b32_e32 v8, 20, v8
	s_delay_alu instid0(VALU_DEP_2) | instskip(NEXT) | instid1(VALU_DEP_2)
	v_cmp_ne_u32_e32 vcc_lo, 0x7f00000, v9
	v_cndmask_b32_e32 v8, 0x7e, v8, vcc_lo
; %bb.57:
	s_and_not1_saveexec_b32 s2, s2
; %bb.58:
	v_add_f32_e64 v8, 0x46800000, |v7|
; %bb.59:
	s_or_b32 exec_lo, exec_lo, s2
                                        ; implicit-def: $vgpr9
.LBB131_60:
	s_and_not1_saveexec_b32 s1, s1
; %bb.61:
	v_mov_b32_e32 v8, 0x7f
	v_cmp_lt_u32_e32 vcc_lo, 0x7f800000, v9
	s_delay_alu instid0(VALU_DEP_2)
	v_cndmask_b32_e32 v8, 0x7e, v8, vcc_lo
; %bb.62:
	s_or_b32 exec_lo, exec_lo, s1
	v_lshrrev_b32_e32 v7, 24, v7
	s_delay_alu instid0(VALU_DEP_1)
	v_and_or_b32 v7, 0x80, v7, v8
	global_store_b8 v[4:5], v7, off
.LBB131_63:
	s_mov_b32 s1, 0
.LBB131_64:
	s_delay_alu instid0(SALU_CYCLE_1)
	s_and_not1_b32 vcc_lo, exec_lo, s1
	s_cbranch_vccnz .LBB131_74
; %bb.65:
	v_cvt_f32_f64_e32 v7, v[0:1]
	s_mov_b32 s1, exec_lo
                                        ; implicit-def: $vgpr8
	s_delay_alu instid0(VALU_DEP_1) | instskip(NEXT) | instid1(VALU_DEP_1)
	v_and_b32_e32 v9, 0x7fffffff, v7
	v_cmpx_gt_u32_e32 0x47800000, v9
	s_xor_b32 s1, exec_lo, s1
	s_cbranch_execz .LBB131_71
; %bb.66:
	s_mov_b32 s2, exec_lo
                                        ; implicit-def: $vgpr8
	v_cmpx_lt_u32_e32 0x387fffff, v9
	s_xor_b32 s2, exec_lo, s2
; %bb.67:
	v_bfe_u32 v8, v7, 21, 1
	s_delay_alu instid0(VALU_DEP_1) | instskip(NEXT) | instid1(VALU_DEP_1)
	v_add3_u32 v8, v7, v8, 0x80fffff
	v_lshrrev_b32_e32 v8, 21, v8
; %bb.68:
	s_and_not1_saveexec_b32 s2, s2
; %bb.69:
	v_add_f32_e64 v8, 0x43000000, |v7|
; %bb.70:
	s_or_b32 exec_lo, exec_lo, s2
                                        ; implicit-def: $vgpr9
.LBB131_71:
	s_and_not1_saveexec_b32 s1, s1
; %bb.72:
	v_mov_b32_e32 v8, 0x7f
	v_cmp_lt_u32_e32 vcc_lo, 0x7f800000, v9
	s_delay_alu instid0(VALU_DEP_2)
	v_cndmask_b32_e32 v8, 0x7c, v8, vcc_lo
; %bb.73:
	s_or_b32 exec_lo, exec_lo, s1
	v_lshrrev_b32_e32 v7, 24, v7
	s_delay_alu instid0(VALU_DEP_1)
	v_and_or_b32 v7, 0x80, v7, v8
	global_store_b8 v[4:5], v7, off
.LBB131_74:
	s_mov_b32 s2, 0
	s_mov_b32 s1, -1
.LBB131_75:
	s_and_not1_b32 vcc_lo, exec_lo, s2
	s_cbranch_vccnz .LBB131_83
; %bb.76:
	v_cmp_lt_i16_e32 vcc_lo, 14, v6
	s_mov_b32 s2, -1
	s_cbranch_vccz .LBB131_80
; %bb.77:
	v_cmp_eq_u16_e32 vcc_lo, 15, v6
	s_mov_b32 s0, -1
	s_cbranch_vccz .LBB131_79
; %bb.78:
	v_cvt_f32_f64_e32 v7, v[0:1]
	s_mov_b32 s1, -1
	s_mov_b32 s0, 0
	s_delay_alu instid0(VALU_DEP_1) | instskip(SKIP_1) | instid1(VALU_DEP_2)
	v_bfe_u32 v8, v7, 16, 1
	v_cmp_o_f32_e32 vcc_lo, v7, v7
	v_add3_u32 v8, v7, v8, 0x7fff
	s_delay_alu instid0(VALU_DEP_1) | instskip(NEXT) | instid1(VALU_DEP_1)
	v_lshrrev_b32_e32 v8, 16, v8
	v_cndmask_b32_e32 v7, 0x7fc0, v8, vcc_lo
	global_store_b16 v[4:5], v7, off
.LBB131_79:
	s_mov_b32 s2, 0
.LBB131_80:
	s_delay_alu instid0(SALU_CYCLE_1)
	s_and_b32 vcc_lo, exec_lo, s2
	s_cbranch_vccz .LBB131_83
; %bb.81:
	v_cmp_eq_u16_e32 vcc_lo, 11, v6
	s_mov_b32 s0, -1
	s_cbranch_vccz .LBB131_83
; %bb.82:
	v_cmp_neq_f64_e32 vcc_lo, 0, v[0:1]
	v_cmp_neq_f64_e64 s0, 0, v[2:3]
	s_mov_b32 s1, -1
	s_delay_alu instid0(VALU_DEP_1) | instskip(NEXT) | instid1(SALU_CYCLE_1)
	s_or_b32 s0, vcc_lo, s0
	v_cndmask_b32_e64 v7, 0, 1, s0
	s_mov_b32 s0, 0
	global_store_b8 v[4:5], v7, off
.LBB131_83:
	s_branch .LBB131_10
.LBB131_84:
	v_cmp_gt_i16_e32 vcc_lo, 5, v6
	s_mov_b32 s1, -1
	s_cbranch_vccnz .LBB131_105
; %bb.85:
	v_cmp_gt_i16_e32 vcc_lo, 8, v6
	s_cbranch_vccnz .LBB131_95
; %bb.86:
	v_cmp_gt_i16_e32 vcc_lo, 9, v6
	s_cbranch_vccnz .LBB131_92
; %bb.87:
	v_cmp_lt_i16_e32 vcc_lo, 9, v6
	s_cbranch_vccz .LBB131_89
; %bb.88:
	s_mov_b32 s1, 0
	global_store_b128 v[4:5], v[0:3], off
.LBB131_89:
	s_and_not1_b32 vcc_lo, exec_lo, s1
	s_cbranch_vccnz .LBB131_91
; %bb.90:
	v_cvt_f32_f64_e32 v7, v[0:1]
	v_cvt_f32_f64_e32 v8, v[2:3]
	global_store_b64 v[4:5], v[7:8], off
.LBB131_91:
	s_mov_b32 s1, 0
.LBB131_92:
	s_delay_alu instid0(SALU_CYCLE_1)
	s_and_not1_b32 vcc_lo, exec_lo, s1
	s_cbranch_vccnz .LBB131_94
; %bb.93:
	v_cvt_f32_f64_e32 v2, v[2:3]
	v_cvt_f32_f64_e32 v3, v[0:1]
	s_delay_alu instid0(VALU_DEP_2) | instskip(NEXT) | instid1(VALU_DEP_2)
	v_cvt_f16_f32_e32 v2, v2
	v_cvt_f16_f32_e32 v3, v3
	s_delay_alu instid0(VALU_DEP_2) | instskip(NEXT) | instid1(VALU_DEP_2)
	v_lshlrev_b32_e32 v2, 16, v2
	v_and_b32_e32 v3, 0xffff, v3
	s_delay_alu instid0(VALU_DEP_1)
	v_or_b32_e32 v2, v2, v3
	global_store_b32 v[4:5], v2, off
.LBB131_94:
	s_mov_b32 s1, 0
.LBB131_95:
	s_delay_alu instid0(SALU_CYCLE_1)
	s_and_not1_b32 vcc_lo, exec_lo, s1
	s_cbranch_vccnz .LBB131_104
; %bb.96:
	v_cmp_gt_i16_e32 vcc_lo, 6, v6
	s_mov_b32 s1, -1
	s_cbranch_vccnz .LBB131_102
; %bb.97:
	v_cmp_lt_i16_e32 vcc_lo, 6, v6
	s_cbranch_vccz .LBB131_99
; %bb.98:
	s_mov_b32 s1, 0
	global_store_b64 v[4:5], v[0:1], off
.LBB131_99:
	s_and_not1_b32 vcc_lo, exec_lo, s1
	s_cbranch_vccnz .LBB131_101
; %bb.100:
	v_cvt_f32_f64_e32 v2, v[0:1]
	global_store_b32 v[4:5], v2, off
.LBB131_101:
	s_mov_b32 s1, 0
.LBB131_102:
	s_delay_alu instid0(SALU_CYCLE_1)
	s_and_not1_b32 vcc_lo, exec_lo, s1
	s_cbranch_vccnz .LBB131_104
; %bb.103:
	v_cvt_f32_f64_e32 v2, v[0:1]
	s_delay_alu instid0(VALU_DEP_1)
	v_cvt_f16_f32_e32 v2, v2
	global_store_b16 v[4:5], v2, off
.LBB131_104:
	s_mov_b32 s1, 0
.LBB131_105:
	s_delay_alu instid0(SALU_CYCLE_1)
	s_and_not1_b32 vcc_lo, exec_lo, s1
	s_cbranch_vccnz .LBB131_121
; %bb.106:
	v_cmp_gt_i16_e32 vcc_lo, 2, v6
	s_mov_b32 s1, -1
	s_cbranch_vccnz .LBB131_116
; %bb.107:
	v_cmp_gt_i16_e32 vcc_lo, 3, v6
	s_cbranch_vccnz .LBB131_113
; %bb.108:
	v_cmp_lt_i16_e32 vcc_lo, 3, v6
	s_cbranch_vccz .LBB131_110
; %bb.109:
	v_trunc_f64_e32 v[2:3], v[0:1]
	s_mov_b32 s1, 0
	s_delay_alu instid0(VALU_DEP_1) | instskip(NEXT) | instid1(VALU_DEP_1)
	v_ldexp_f64 v[7:8], v[2:3], 0xffffffe0
	v_floor_f64_e32 v[7:8], v[7:8]
	s_delay_alu instid0(VALU_DEP_1) | instskip(SKIP_1) | instid1(VALU_DEP_2)
	v_fma_f64 v[2:3], 0xc1f00000, v[7:8], v[2:3]
	v_cvt_i32_f64_e32 v8, v[7:8]
	v_cvt_u32_f64_e32 v7, v[2:3]
	global_store_b64 v[4:5], v[7:8], off
.LBB131_110:
	s_and_not1_b32 vcc_lo, exec_lo, s1
	s_cbranch_vccnz .LBB131_112
; %bb.111:
	v_cvt_i32_f64_e32 v2, v[0:1]
	global_store_b32 v[4:5], v2, off
.LBB131_112:
	s_mov_b32 s1, 0
.LBB131_113:
	s_delay_alu instid0(SALU_CYCLE_1)
	s_and_not1_b32 vcc_lo, exec_lo, s1
	s_cbranch_vccnz .LBB131_115
; %bb.114:
	v_cvt_i32_f64_e32 v2, v[0:1]
	global_store_b16 v[4:5], v2, off
.LBB131_115:
	s_mov_b32 s1, 0
.LBB131_116:
	s_delay_alu instid0(SALU_CYCLE_1)
	s_and_not1_b32 vcc_lo, exec_lo, s1
	s_cbranch_vccnz .LBB131_121
; %bb.117:
	v_cmp_lt_i16_e32 vcc_lo, 0, v6
	s_mov_b32 s1, -1
	s_cbranch_vccz .LBB131_119
; %bb.118:
	v_cvt_i32_f64_e32 v2, v[0:1]
	s_mov_b32 s1, 0
	global_store_b8 v[4:5], v2, off
.LBB131_119:
	s_and_not1_b32 vcc_lo, exec_lo, s1
	s_cbranch_vccnz .LBB131_121
; %bb.120:
	v_trunc_f64_e32 v[0:1], v[0:1]
	s_delay_alu instid0(VALU_DEP_1) | instskip(NEXT) | instid1(VALU_DEP_1)
	v_ldexp_f64 v[2:3], v[0:1], 0xffffffe0
	v_floor_f64_e32 v[2:3], v[2:3]
	s_delay_alu instid0(VALU_DEP_1) | instskip(NEXT) | instid1(VALU_DEP_1)
	v_fma_f64 v[0:1], 0xc1f00000, v[2:3], v[0:1]
	v_cvt_u32_f64_e32 v0, v[0:1]
	global_store_b8 v[4:5], v0, off
.LBB131_121:
	s_branch .LBB131_11
.LBB131_122:
	s_mov_b32 s1, 0
                                        ; implicit-def: $vgpr60
.LBB131_123:
	s_and_b32 s35, s0, exec_lo
	s_or_not1_b32 s0, s1, exec_lo
.LBB131_124:
	s_or_b32 exec_lo, exec_lo, s37
	s_mov_b32 s2, 0
                                        ; implicit-def: $vgpr6
                                        ; implicit-def: $vgpr2_vgpr3
                                        ; implicit-def: $vgpr4_vgpr5
	s_and_saveexec_b32 s37, s0
	s_cbranch_execz .LBB131_133
; %bb.125:
	s_mov_b32 s2, -1
	s_mov_b32 s38, s35
	s_mov_b32 s39, exec_lo
	v_cmpx_gt_i32_e64 s36, v60
	s_cbranch_execz .LBB131_784
; %bb.126:
	v_dual_mov_b32 v0, s26 :: v_dual_mov_b32 v1, s27
	v_dual_mov_b32 v2, s29 :: v_dual_mov_b32 v3, v61
	v_mov_b32_e32 v4, v60
	s_getpc_b64 s[0:1]
	s_add_u32 s0, s0, _ZN2at6native6invokeIZZZNS0_17expm1_kernel_cudaERNS_18TensorIteratorBaseEENKUlvE_clEvENKUlvE1_clEvEUlN3c107complexIdEEE_i15function_traitsIS9_EEENT1_11result_typeERKT_PrKPcPKT0_PKNS6_10ScalarTypeEi@rel32@lo+4
	s_addc_u32 s1, s1, _ZN2at6native6invokeIZZZNS0_17expm1_kernel_cudaERNS_18TensorIteratorBaseEENKUlvE_clEvENKUlvE1_clEvEUlN3c107complexIdEEE_i15function_traitsIS9_EEENT1_11result_typeERKT_PrKPcPKT0_PKNS6_10ScalarTypeEi@rel32@hi+12
	s_delay_alu instid0(SALU_CYCLE_1) | instskip(SKIP_2) | instid1(VALU_DEP_1)
	s_swappc_b64 s[30:31], s[0:1]
	v_mul_lo_u32 v4, v60, s28
	v_and_b32_e32 v6, 0xff, v63
	v_cmp_gt_i16_e32 vcc_lo, 11, v6
	s_delay_alu instid0(VALU_DEP_3) | instskip(SKIP_1) | instid1(VALU_DEP_1)
	v_ashrrev_i32_e32 v5, 31, v4
	v_add_co_u32 v4, s0, s24, v4
	v_add_co_ci_u32_e64 v5, s0, s25, v5, s0
	s_cbranch_vccnz .LBB131_567
; %bb.127:
	v_cmp_lt_i16_e32 vcc_lo, 25, v6
	s_cbranch_vccz .LBB131_654
; %bb.128:
	v_cmp_lt_i16_e32 vcc_lo, 28, v6
	s_cbranch_vccz .LBB131_656
	;; [unrolled: 3-line block ×4, first 2 shown]
; %bb.131:
	v_cmp_eq_u16_e32 vcc_lo, 46, v6
	s_mov_b32 s2, 0
	s_mov_b32 s0, -1
	s_mov_b32 s1, 0
	s_cbranch_vccz .LBB131_675
; %bb.132:
	v_cvt_f32_f64_e32 v7, v[2:3]
	v_cvt_f32_f64_e32 v8, v[0:1]
	s_mov_b32 s1, -1
	s_mov_b32 s0, 0
	s_delay_alu instid0(VALU_DEP_2) | instskip(NEXT) | instid1(VALU_DEP_2)
	v_bfe_u32 v9, v7, 16, 1
	v_bfe_u32 v10, v8, 16, 1
	v_cmp_o_f32_e32 vcc_lo, v7, v7
	s_delay_alu instid0(VALU_DEP_3) | instskip(NEXT) | instid1(VALU_DEP_3)
	v_add3_u32 v9, v7, v9, 0x7fff
	v_add3_u32 v10, v8, v10, 0x7fff
	s_delay_alu instid0(VALU_DEP_2) | instskip(NEXT) | instid1(VALU_DEP_2)
	v_and_b32_e32 v9, 0xffff0000, v9
	v_lshrrev_b32_e32 v10, 16, v10
	s_delay_alu instid0(VALU_DEP_2) | instskip(SKIP_1) | instid1(VALU_DEP_3)
	v_cndmask_b32_e32 v7, 0x7fc00000, v9, vcc_lo
	v_cmp_o_f32_e32 vcc_lo, v8, v8
	v_cndmask_b32_e32 v8, 0x7fc0, v10, vcc_lo
	s_delay_alu instid0(VALU_DEP_1)
	v_or_b32_e32 v7, v7, v8
	global_store_b32 v[4:5], v7, off
	s_branch .LBB131_675
.LBB131_133:
	s_or_b32 exec_lo, exec_lo, s37
	s_mov_b32 s1, 0
	s_and_saveexec_b32 s0, s35
	s_cbranch_execnz .LBB131_1020
.LBB131_134:
	s_or_b32 exec_lo, exec_lo, s0
	s_and_saveexec_b32 s0, s38
	s_delay_alu instid0(SALU_CYCLE_1)
	s_xor_b32 s3, exec_lo, s0
	s_cbranch_execz .LBB131_136
.LBB131_135:
	v_cmp_neq_f64_e32 vcc_lo, 0, v[0:1]
	v_cmp_neq_f64_e64 s0, 0, v[2:3]
	s_delay_alu instid0(VALU_DEP_1) | instskip(NEXT) | instid1(SALU_CYCLE_1)
	s_or_b32 s0, vcc_lo, s0
	v_cndmask_b32_e64 v7, 0, 1, s0
	global_store_b8 v[4:5], v7, off
.LBB131_136:
	s_or_b32 exec_lo, exec_lo, s3
	s_and_saveexec_b32 s0, s2
	s_delay_alu instid0(SALU_CYCLE_1)
	s_xor_b32 s0, exec_lo, s0
	s_cbranch_execz .LBB131_174
; %bb.137:
	v_cmp_gt_i16_e32 vcc_lo, 5, v6
	s_mov_b32 s2, -1
	s_cbranch_vccnz .LBB131_158
; %bb.138:
	v_cmp_gt_i16_e32 vcc_lo, 8, v6
	s_cbranch_vccnz .LBB131_148
; %bb.139:
	v_cmp_gt_i16_e32 vcc_lo, 9, v6
	s_cbranch_vccnz .LBB131_145
; %bb.140:
	v_cmp_lt_i16_e32 vcc_lo, 9, v6
	s_cbranch_vccz .LBB131_142
; %bb.141:
	s_mov_b32 s2, 0
	global_store_b128 v[4:5], v[0:3], off
.LBB131_142:
	s_and_not1_b32 vcc_lo, exec_lo, s2
	s_cbranch_vccnz .LBB131_144
; %bb.143:
	v_cvt_f32_f64_e32 v7, v[0:1]
	v_cvt_f32_f64_e32 v8, v[2:3]
	global_store_b64 v[4:5], v[7:8], off
.LBB131_144:
	s_mov_b32 s2, 0
.LBB131_145:
	s_delay_alu instid0(SALU_CYCLE_1)
	s_and_not1_b32 vcc_lo, exec_lo, s2
	s_cbranch_vccnz .LBB131_147
; %bb.146:
	v_cvt_f32_f64_e32 v2, v[2:3]
	v_cvt_f32_f64_e32 v3, v[0:1]
	s_delay_alu instid0(VALU_DEP_2) | instskip(NEXT) | instid1(VALU_DEP_2)
	v_cvt_f16_f32_e32 v2, v2
	v_cvt_f16_f32_e32 v3, v3
	s_delay_alu instid0(VALU_DEP_2) | instskip(NEXT) | instid1(VALU_DEP_2)
	v_lshlrev_b32_e32 v2, 16, v2
	v_and_b32_e32 v3, 0xffff, v3
	s_delay_alu instid0(VALU_DEP_1)
	v_or_b32_e32 v2, v2, v3
	global_store_b32 v[4:5], v2, off
.LBB131_147:
	s_mov_b32 s2, 0
.LBB131_148:
	s_delay_alu instid0(SALU_CYCLE_1)
	s_and_not1_b32 vcc_lo, exec_lo, s2
	s_cbranch_vccnz .LBB131_157
; %bb.149:
	v_cmp_gt_i16_e32 vcc_lo, 6, v6
	s_mov_b32 s2, -1
	s_cbranch_vccnz .LBB131_155
; %bb.150:
	v_cmp_lt_i16_e32 vcc_lo, 6, v6
	s_cbranch_vccz .LBB131_152
; %bb.151:
	s_mov_b32 s2, 0
	global_store_b64 v[4:5], v[0:1], off
.LBB131_152:
	s_and_not1_b32 vcc_lo, exec_lo, s2
	s_cbranch_vccnz .LBB131_154
; %bb.153:
	v_cvt_f32_f64_e32 v2, v[0:1]
	global_store_b32 v[4:5], v2, off
.LBB131_154:
	s_mov_b32 s2, 0
.LBB131_155:
	s_delay_alu instid0(SALU_CYCLE_1)
	s_and_not1_b32 vcc_lo, exec_lo, s2
	s_cbranch_vccnz .LBB131_157
; %bb.156:
	v_cvt_f32_f64_e32 v2, v[0:1]
	s_delay_alu instid0(VALU_DEP_1)
	v_cvt_f16_f32_e32 v2, v2
	global_store_b16 v[4:5], v2, off
.LBB131_157:
	s_mov_b32 s2, 0
.LBB131_158:
	s_delay_alu instid0(SALU_CYCLE_1)
	s_and_not1_b32 vcc_lo, exec_lo, s2
	s_cbranch_vccnz .LBB131_174
; %bb.159:
	v_cmp_gt_i16_e32 vcc_lo, 2, v6
	s_mov_b32 s2, -1
	s_cbranch_vccnz .LBB131_169
; %bb.160:
	v_cmp_gt_i16_e32 vcc_lo, 3, v6
	s_cbranch_vccnz .LBB131_166
; %bb.161:
	v_cmp_lt_i16_e32 vcc_lo, 3, v6
	s_cbranch_vccz .LBB131_163
; %bb.162:
	v_trunc_f64_e32 v[2:3], v[0:1]
	s_mov_b32 s2, 0
	s_delay_alu instid0(VALU_DEP_1) | instskip(NEXT) | instid1(VALU_DEP_1)
	v_ldexp_f64 v[7:8], v[2:3], 0xffffffe0
	v_floor_f64_e32 v[7:8], v[7:8]
	s_delay_alu instid0(VALU_DEP_1) | instskip(SKIP_1) | instid1(VALU_DEP_2)
	v_fma_f64 v[2:3], 0xc1f00000, v[7:8], v[2:3]
	v_cvt_i32_f64_e32 v8, v[7:8]
	v_cvt_u32_f64_e32 v7, v[2:3]
	global_store_b64 v[4:5], v[7:8], off
.LBB131_163:
	s_and_not1_b32 vcc_lo, exec_lo, s2
	s_cbranch_vccnz .LBB131_165
; %bb.164:
	v_cvt_i32_f64_e32 v2, v[0:1]
	global_store_b32 v[4:5], v2, off
.LBB131_165:
	s_mov_b32 s2, 0
.LBB131_166:
	s_delay_alu instid0(SALU_CYCLE_1)
	s_and_not1_b32 vcc_lo, exec_lo, s2
	s_cbranch_vccnz .LBB131_168
; %bb.167:
	v_cvt_i32_f64_e32 v2, v[0:1]
	global_store_b16 v[4:5], v2, off
.LBB131_168:
	s_mov_b32 s2, 0
.LBB131_169:
	s_delay_alu instid0(SALU_CYCLE_1)
	s_and_not1_b32 vcc_lo, exec_lo, s2
	s_cbranch_vccnz .LBB131_174
; %bb.170:
	v_cmp_lt_i16_e32 vcc_lo, 0, v6
	s_mov_b32 s2, -1
	s_cbranch_vccz .LBB131_172
; %bb.171:
	v_cvt_i32_f64_e32 v2, v[0:1]
	s_mov_b32 s2, 0
	global_store_b8 v[4:5], v2, off
.LBB131_172:
	s_and_not1_b32 vcc_lo, exec_lo, s2
	s_cbranch_vccnz .LBB131_174
; %bb.173:
	v_trunc_f64_e32 v[0:1], v[0:1]
	s_delay_alu instid0(VALU_DEP_1) | instskip(NEXT) | instid1(VALU_DEP_1)
	v_ldexp_f64 v[2:3], v[0:1], 0xffffffe0
	v_floor_f64_e32 v[2:3], v[2:3]
	s_delay_alu instid0(VALU_DEP_1) | instskip(NEXT) | instid1(VALU_DEP_1)
	v_fma_f64 v[0:1], 0xc1f00000, v[2:3], v[0:1]
	v_cvt_u32_f64_e32 v0, v[0:1]
	global_store_b8 v[4:5], v0, off
.LBB131_174:
	s_or_b32 exec_lo, exec_lo, s0
	s_delay_alu instid0(SALU_CYCLE_1)
	s_and_b32 s35, s1, exec_lo
                                        ; implicit-def: $vgpr60
                                        ; implicit-def: $vgpr63
                                        ; implicit-def: $vgpr61
                                        ; implicit-def: $vgpr62
.LBB131_175:
	s_or_saveexec_b32 s34, s34
	s_mov_b32 s3, 0
                                        ; implicit-def: $vgpr6
                                        ; implicit-def: $vgpr2_vgpr3
                                        ; implicit-def: $vgpr4_vgpr5
	s_xor_b32 exec_lo, exec_lo, s34
	s_cbranch_execz .LBB131_611
; %bb.176:
	v_dual_mov_b32 v1, s27 :: v_dual_add_nc_u32 v40, 0x80, v60
	v_dual_mov_b32 v0, s26 :: v_dual_add_nc_u32 v41, 0x100, v60
	v_dual_mov_b32 v2, s29 :: v_dual_mov_b32 v3, v61
	v_mov_b32_e32 v4, v60
	s_getpc_b64 s[36:37]
	s_add_u32 s36, s36, _ZN2at6native6invokeIZZZNS0_17expm1_kernel_cudaERNS_18TensorIteratorBaseEENKUlvE_clEvENKUlvE1_clEvEUlN3c107complexIdEEE_i15function_traitsIS9_EEENT1_11result_typeERKT_PrKPcPKT0_PKNS6_10ScalarTypeEi@rel32@lo+4
	s_addc_u32 s37, s37, _ZN2at6native6invokeIZZZNS0_17expm1_kernel_cudaERNS_18TensorIteratorBaseEENKUlvE_clEvENKUlvE1_clEvEUlN3c107complexIdEEE_i15function_traitsIS9_EEENT1_11result_typeERKT_PrKPcPKT0_PKNS6_10ScalarTypeEi@rel32@hi+12
	s_delay_alu instid0(SALU_CYCLE_1)
	s_swappc_b64 s[30:31], s[36:37]
	v_dual_mov_b32 v56, v0 :: v_dual_mov_b32 v57, v1
	v_dual_mov_b32 v58, v2 :: v_dual_mov_b32 v59, v3
	;; [unrolled: 1-line block ×4, first 2 shown]
	v_mov_b32_e32 v4, v40
	s_swappc_b64 s[30:31], s[36:37]
	s_delay_alu instid0(VALU_DEP_3) | instskip(NEXT) | instid1(VALU_DEP_3)
	v_dual_mov_b32 v44, v0 :: v_dual_mov_b32 v45, v1
	v_dual_mov_b32 v46, v2 :: v_dual_mov_b32 v47, v3
	;; [unrolled: 1-line block ×4, first 2 shown]
	v_mov_b32_e32 v4, v41
	s_swappc_b64 s[30:31], s[36:37]
	s_delay_alu instid0(VALU_DEP_3) | instskip(NEXT) | instid1(VALU_DEP_3)
	v_dual_mov_b32 v40, v0 :: v_dual_mov_b32 v41, v1
	v_dual_mov_b32 v42, v2 :: v_dual_mov_b32 v43, v3
	;; [unrolled: 1-line block ×4, first 2 shown]
	v_mov_b32_e32 v4, v62
	s_swappc_b64 s[30:31], s[36:37]
	v_mul_lo_u32 v7, s28, v60
	v_and_b32_e32 v6, 0xff, v63
	s_delay_alu instid0(VALU_DEP_1) | instskip(NEXT) | instid1(VALU_DEP_3)
	v_cmp_gt_i16_e32 vcc_lo, 11, v6
	v_ashrrev_i32_e32 v5, 31, v7
	v_add_co_u32 v4, s0, s24, v7
	s_delay_alu instid0(VALU_DEP_1)
	v_add_co_ci_u32_e64 v5, s0, s25, v5, s0
	s_cbranch_vccnz .LBB131_255
; %bb.177:
	v_cmp_lt_i16_e32 vcc_lo, 25, v6
	s_mov_b32 s1, -1
	s_mov_b32 s2, 0
	s_mov_b32 s3, 0
	;; [unrolled: 1-line block ×3, first 2 shown]
	s_cbranch_vccz .LBB131_210
; %bb.178:
	v_cmp_lt_i16_e32 vcc_lo, 28, v6
	s_cbranch_vccz .LBB131_193
; %bb.179:
	v_cmp_lt_i16_e32 vcc_lo, 43, v6
	;; [unrolled: 3-line block ×3, first 2 shown]
	s_cbranch_vccz .LBB131_183
; %bb.181:
	v_cmp_eq_u16_e32 vcc_lo, 46, v6
	s_mov_b32 s0, -1
	s_mov_b32 s1, 0
	s_cbranch_vccz .LBB131_183
; %bb.182:
	v_cvt_f32_f64_e32 v8, v[58:59]
	v_cvt_f32_f64_e32 v9, v[56:57]
	s_mov_b32 s0, 0
	s_mov_b32 s3, -1
	s_delay_alu instid0(VALU_DEP_2) | instskip(NEXT) | instid1(VALU_DEP_2)
	v_bfe_u32 v10, v8, 16, 1
	v_bfe_u32 v11, v9, 16, 1
	v_cmp_o_f32_e32 vcc_lo, v8, v8
	s_delay_alu instid0(VALU_DEP_3) | instskip(NEXT) | instid1(VALU_DEP_3)
	v_add3_u32 v10, v8, v10, 0x7fff
	v_add3_u32 v11, v9, v11, 0x7fff
	s_delay_alu instid0(VALU_DEP_2) | instskip(NEXT) | instid1(VALU_DEP_2)
	v_and_b32_e32 v10, 0xffff0000, v10
	v_lshrrev_b32_e32 v11, 16, v11
	s_delay_alu instid0(VALU_DEP_2) | instskip(SKIP_1) | instid1(VALU_DEP_3)
	v_cndmask_b32_e32 v8, 0x7fc00000, v10, vcc_lo
	v_cmp_o_f32_e32 vcc_lo, v9, v9
	v_cndmask_b32_e32 v9, 0x7fc0, v11, vcc_lo
	s_delay_alu instid0(VALU_DEP_1)
	v_or_b32_e32 v8, v8, v9
	global_store_b32 v[4:5], v8, off
.LBB131_183:
	s_and_b32 vcc_lo, exec_lo, s1
	s_cbranch_vccz .LBB131_188
; %bb.184:
	v_cmp_eq_u16_e32 vcc_lo, 44, v6
	s_mov_b32 s0, -1
	s_cbranch_vccz .LBB131_188
; %bb.185:
	v_cvt_f32_f64_e32 v8, v[56:57]
	v_mov_b32_e32 v9, 0xff
	s_mov_b32 s1, exec_lo
	s_delay_alu instid0(VALU_DEP_2) | instskip(NEXT) | instid1(VALU_DEP_1)
	v_bfe_u32 v10, v8, 23, 8
	v_cmpx_ne_u32_e32 0xff, v10
; %bb.186:
	v_and_b32_e32 v9, 0x400000, v8
	v_and_or_b32 v10, 0x3fffff, v8, v10
	v_lshrrev_b32_e32 v8, 23, v8
	s_delay_alu instid0(VALU_DEP_3) | instskip(NEXT) | instid1(VALU_DEP_3)
	v_cmp_ne_u32_e32 vcc_lo, 0, v9
	v_cmp_ne_u32_e64 s0, 0, v10
	s_delay_alu instid0(VALU_DEP_1) | instskip(NEXT) | instid1(SALU_CYCLE_1)
	s_and_b32 s0, vcc_lo, s0
	v_cndmask_b32_e64 v9, 0, 1, s0
	s_delay_alu instid0(VALU_DEP_1)
	v_add_nc_u32_e32 v9, v8, v9
; %bb.187:
	s_or_b32 exec_lo, exec_lo, s1
	s_mov_b32 s0, 0
	s_mov_b32 s3, -1
	global_store_b8 v[4:5], v9, off
.LBB131_188:
	s_mov_b32 s1, 0
.LBB131_189:
	s_delay_alu instid0(SALU_CYCLE_1)
	s_and_b32 vcc_lo, exec_lo, s1
	s_cbranch_vccz .LBB131_192
; %bb.190:
	v_cmp_eq_u16_e32 vcc_lo, 29, v6
	s_mov_b32 s0, -1
	s_cbranch_vccz .LBB131_192
; %bb.191:
	v_trunc_f64_e32 v[8:9], v[56:57]
	s_mov_b32 s0, 0
	s_mov_b32 s3, -1
	s_delay_alu instid0(VALU_DEP_1) | instskip(NEXT) | instid1(VALU_DEP_1)
	v_ldexp_f64 v[10:11], v[8:9], 0xffffffe0
	v_floor_f64_e32 v[10:11], v[10:11]
	s_delay_alu instid0(VALU_DEP_1) | instskip(SKIP_1) | instid1(VALU_DEP_2)
	v_fma_f64 v[8:9], 0xc1f00000, v[10:11], v[8:9]
	v_cvt_u32_f64_e32 v10, v[10:11]
	v_cvt_u32_f64_e32 v9, v[8:9]
	global_store_b64 v[4:5], v[9:10], off
.LBB131_192:
	s_mov_b32 s1, 0
.LBB131_193:
	s_delay_alu instid0(SALU_CYCLE_1)
	s_and_b32 vcc_lo, exec_lo, s1
	s_cbranch_vccz .LBB131_209
; %bb.194:
	v_cmp_gt_i16_e32 vcc_lo, 27, v6
	s_mov_b32 s1, -1
	s_cbranch_vccnz .LBB131_200
; %bb.195:
	v_cmp_lt_i16_e32 vcc_lo, 27, v6
	s_cbranch_vccz .LBB131_197
; %bb.196:
	v_cvt_u32_f64_e32 v8, v[56:57]
	s_mov_b32 s1, 0
	global_store_b32 v[4:5], v8, off
.LBB131_197:
	s_and_not1_b32 vcc_lo, exec_lo, s1
	s_cbranch_vccnz .LBB131_199
; %bb.198:
	v_cvt_u32_f64_e32 v8, v[56:57]
	global_store_b16 v[4:5], v8, off
.LBB131_199:
	s_mov_b32 s1, 0
.LBB131_200:
	s_delay_alu instid0(SALU_CYCLE_1)
	s_and_not1_b32 vcc_lo, exec_lo, s1
	s_cbranch_vccnz .LBB131_208
; %bb.201:
	v_cvt_f32_f64_e32 v8, v[56:57]
	v_mov_b32_e32 v10, 0x80
	s_mov_b32 s1, exec_lo
	s_delay_alu instid0(VALU_DEP_2) | instskip(NEXT) | instid1(VALU_DEP_1)
	v_and_b32_e32 v9, 0x7fffffff, v8
	v_cmpx_gt_u32_e32 0x43800000, v9
	s_cbranch_execz .LBB131_207
; %bb.202:
	v_cmp_lt_u32_e32 vcc_lo, 0x3bffffff, v9
	s_mov_b32 s3, 0
                                        ; implicit-def: $vgpr9
	s_and_saveexec_b32 s4, vcc_lo
	s_delay_alu instid0(SALU_CYCLE_1)
	s_xor_b32 s4, exec_lo, s4
	s_cbranch_execz .LBB131_657
; %bb.203:
	v_bfe_u32 v9, v8, 20, 1
	s_mov_b32 s3, exec_lo
	s_delay_alu instid0(VALU_DEP_1) | instskip(NEXT) | instid1(VALU_DEP_1)
	v_add3_u32 v9, v8, v9, 0x487ffff
	v_lshrrev_b32_e32 v9, 20, v9
	s_or_saveexec_b32 s4, s4
                                        ; implicit-def: $sgpr5
	s_delay_alu instid0(SALU_CYCLE_1)
	s_xor_b32 exec_lo, exec_lo, s4
	s_cbranch_execnz .LBB131_658
.LBB131_204:
	s_or_b32 exec_lo, exec_lo, s4
	v_mov_b32_e32 v10, s5
	s_and_saveexec_b32 s4, s3
.LBB131_205:
	v_lshrrev_b32_e32 v8, 24, v8
	s_delay_alu instid0(VALU_DEP_1)
	v_and_or_b32 v10, 0x80, v8, v9
.LBB131_206:
	s_or_b32 exec_lo, exec_lo, s4
.LBB131_207:
	s_delay_alu instid0(SALU_CYCLE_1)
	s_or_b32 exec_lo, exec_lo, s1
	global_store_b8 v[4:5], v10, off
.LBB131_208:
	s_mov_b32 s3, -1
.LBB131_209:
	s_mov_b32 s1, 0
.LBB131_210:
	s_delay_alu instid0(SALU_CYCLE_1)
	s_and_b32 vcc_lo, exec_lo, s1
	s_cbranch_vccz .LBB131_250
; %bb.211:
	v_cmp_lt_i16_e32 vcc_lo, 22, v6
	s_mov_b32 s1, -1
	s_cbranch_vccz .LBB131_243
; %bb.212:
	v_cmp_gt_i16_e32 vcc_lo, 24, v6
	s_cbranch_vccnz .LBB131_232
; %bb.213:
	v_cmp_lt_i16_e32 vcc_lo, 24, v6
	s_cbranch_vccz .LBB131_221
; %bb.214:
	v_cvt_f32_f64_e32 v8, v[56:57]
	v_mov_b32_e32 v10, 0x80
	s_mov_b32 s1, exec_lo
	s_delay_alu instid0(VALU_DEP_2) | instskip(NEXT) | instid1(VALU_DEP_1)
	v_and_b32_e32 v9, 0x7fffffff, v8
	v_cmpx_gt_u32_e32 0x47800000, v9
	s_cbranch_execz .LBB131_220
; %bb.215:
	v_cmp_lt_u32_e32 vcc_lo, 0x37ffffff, v9
                                        ; implicit-def: $vgpr9
	s_and_saveexec_b32 s3, vcc_lo
	s_delay_alu instid0(SALU_CYCLE_1)
	s_xor_b32 s3, exec_lo, s3
	s_cbranch_execz .LBB131_664
; %bb.216:
	v_bfe_u32 v9, v8, 21, 1
	s_mov_b32 s2, exec_lo
	s_delay_alu instid0(VALU_DEP_1) | instskip(NEXT) | instid1(VALU_DEP_1)
	v_add3_u32 v9, v8, v9, 0x88fffff
	v_lshrrev_b32_e32 v9, 21, v9
	s_or_saveexec_b32 s3, s3
                                        ; implicit-def: $sgpr4
	s_delay_alu instid0(SALU_CYCLE_1)
	s_xor_b32 exec_lo, exec_lo, s3
	s_cbranch_execnz .LBB131_665
.LBB131_217:
	s_or_b32 exec_lo, exec_lo, s3
	v_mov_b32_e32 v10, s4
	s_and_saveexec_b32 s3, s2
.LBB131_218:
	v_lshrrev_b32_e32 v8, 24, v8
	s_delay_alu instid0(VALU_DEP_1)
	v_and_or_b32 v10, 0x80, v8, v9
.LBB131_219:
	s_or_b32 exec_lo, exec_lo, s3
.LBB131_220:
	s_delay_alu instid0(SALU_CYCLE_1)
	s_or_b32 exec_lo, exec_lo, s1
	s_mov_b32 s1, 0
	global_store_b8 v[4:5], v10, off
.LBB131_221:
	s_and_b32 vcc_lo, exec_lo, s1
	s_cbranch_vccz .LBB131_231
; %bb.222:
	v_cvt_f32_f64_e32 v8, v[56:57]
	s_mov_b32 s1, exec_lo
                                        ; implicit-def: $vgpr9
	s_delay_alu instid0(VALU_DEP_1) | instskip(NEXT) | instid1(VALU_DEP_1)
	v_and_b32_e32 v10, 0x7fffffff, v8
	v_cmpx_gt_u32_e32 0x43f00000, v10
	s_xor_b32 s1, exec_lo, s1
	s_cbranch_execz .LBB131_228
; %bb.223:
	s_mov_b32 s2, exec_lo
                                        ; implicit-def: $vgpr9
	v_cmpx_lt_u32_e32 0x3c7fffff, v10
	s_xor_b32 s2, exec_lo, s2
; %bb.224:
	v_bfe_u32 v9, v8, 20, 1
	s_delay_alu instid0(VALU_DEP_1) | instskip(NEXT) | instid1(VALU_DEP_1)
	v_add3_u32 v9, v8, v9, 0x407ffff
	v_and_b32_e32 v10, 0xff00000, v9
	v_lshrrev_b32_e32 v9, 20, v9
	s_delay_alu instid0(VALU_DEP_2) | instskip(NEXT) | instid1(VALU_DEP_2)
	v_cmp_ne_u32_e32 vcc_lo, 0x7f00000, v10
	v_cndmask_b32_e32 v9, 0x7e, v9, vcc_lo
; %bb.225:
	s_and_not1_saveexec_b32 s2, s2
; %bb.226:
	v_add_f32_e64 v9, 0x46800000, |v8|
; %bb.227:
	s_or_b32 exec_lo, exec_lo, s2
                                        ; implicit-def: $vgpr10
.LBB131_228:
	s_and_not1_saveexec_b32 s1, s1
; %bb.229:
	v_mov_b32_e32 v9, 0x7f
	v_cmp_lt_u32_e32 vcc_lo, 0x7f800000, v10
	s_delay_alu instid0(VALU_DEP_2)
	v_cndmask_b32_e32 v9, 0x7e, v9, vcc_lo
; %bb.230:
	s_or_b32 exec_lo, exec_lo, s1
	v_lshrrev_b32_e32 v8, 24, v8
	s_delay_alu instid0(VALU_DEP_1)
	v_and_or_b32 v8, 0x80, v8, v9
	global_store_b8 v[4:5], v8, off
.LBB131_231:
	s_mov_b32 s1, 0
.LBB131_232:
	s_delay_alu instid0(SALU_CYCLE_1)
	s_and_not1_b32 vcc_lo, exec_lo, s1
	s_cbranch_vccnz .LBB131_242
; %bb.233:
	v_cvt_f32_f64_e32 v8, v[56:57]
	s_mov_b32 s1, exec_lo
                                        ; implicit-def: $vgpr9
	s_delay_alu instid0(VALU_DEP_1) | instskip(NEXT) | instid1(VALU_DEP_1)
	v_and_b32_e32 v10, 0x7fffffff, v8
	v_cmpx_gt_u32_e32 0x47800000, v10
	s_xor_b32 s1, exec_lo, s1
	s_cbranch_execz .LBB131_239
; %bb.234:
	s_mov_b32 s2, exec_lo
                                        ; implicit-def: $vgpr9
	v_cmpx_lt_u32_e32 0x387fffff, v10
	s_xor_b32 s2, exec_lo, s2
; %bb.235:
	v_bfe_u32 v9, v8, 21, 1
	s_delay_alu instid0(VALU_DEP_1) | instskip(NEXT) | instid1(VALU_DEP_1)
	v_add3_u32 v9, v8, v9, 0x80fffff
	v_lshrrev_b32_e32 v9, 21, v9
; %bb.236:
	s_and_not1_saveexec_b32 s2, s2
; %bb.237:
	v_add_f32_e64 v9, 0x43000000, |v8|
; %bb.238:
	s_or_b32 exec_lo, exec_lo, s2
                                        ; implicit-def: $vgpr10
.LBB131_239:
	s_and_not1_saveexec_b32 s1, s1
; %bb.240:
	v_mov_b32_e32 v9, 0x7f
	v_cmp_lt_u32_e32 vcc_lo, 0x7f800000, v10
	s_delay_alu instid0(VALU_DEP_2)
	v_cndmask_b32_e32 v9, 0x7c, v9, vcc_lo
; %bb.241:
	s_or_b32 exec_lo, exec_lo, s1
	v_lshrrev_b32_e32 v8, 24, v8
	s_delay_alu instid0(VALU_DEP_1)
	v_and_or_b32 v8, 0x80, v8, v9
	global_store_b8 v[4:5], v8, off
.LBB131_242:
	s_mov_b32 s1, 0
	s_mov_b32 s3, -1
.LBB131_243:
	s_and_not1_b32 vcc_lo, exec_lo, s1
	s_mov_b32 s2, 0
	s_cbranch_vccnz .LBB131_250
; %bb.244:
	v_cmp_lt_i16_e32 vcc_lo, 14, v6
	s_mov_b32 s1, -1
	s_cbranch_vccz .LBB131_248
; %bb.245:
	v_cmp_eq_u16_e32 vcc_lo, 15, v6
	s_mov_b32 s0, -1
	s_cbranch_vccz .LBB131_247
; %bb.246:
	v_cvt_f32_f64_e32 v8, v[56:57]
	s_mov_b32 s0, 0
	s_mov_b32 s3, -1
	s_delay_alu instid0(VALU_DEP_1) | instskip(SKIP_1) | instid1(VALU_DEP_2)
	v_bfe_u32 v9, v8, 16, 1
	v_cmp_o_f32_e32 vcc_lo, v8, v8
	v_add3_u32 v9, v8, v9, 0x7fff
	s_delay_alu instid0(VALU_DEP_1) | instskip(NEXT) | instid1(VALU_DEP_1)
	v_lshrrev_b32_e32 v9, 16, v9
	v_cndmask_b32_e32 v8, 0x7fc0, v9, vcc_lo
	global_store_b16 v[4:5], v8, off
.LBB131_247:
	s_mov_b32 s1, 0
.LBB131_248:
	s_delay_alu instid0(SALU_CYCLE_1)
	s_and_b32 vcc_lo, exec_lo, s1
	s_cbranch_vccz .LBB131_250
; %bb.249:
	v_cmp_ne_u16_e64 s0, 11, v6
	s_mov_b32 s2, -1
.LBB131_250:
	s_delay_alu instid0(VALU_DEP_1)
	s_and_b32 vcc_lo, exec_lo, s0
	s_mov_b32 s1, s35
	s_cbranch_vccnz .LBB131_659
; %bb.251:
	s_and_not1_b32 vcc_lo, exec_lo, s2
	s_cbranch_vccnz .LBB131_253
.LBB131_252:
	v_cmp_neq_f64_e32 vcc_lo, 0, v[56:57]
	v_cmp_neq_f64_e64 s0, 0, v[58:59]
	s_mov_b32 s3, -1
	s_delay_alu instid0(VALU_DEP_1) | instskip(NEXT) | instid1(SALU_CYCLE_1)
	s_or_b32 s0, vcc_lo, s0
	v_cndmask_b32_e64 v8, 0, 1, s0
	global_store_b8 v[4:5], v8, off
.LBB131_253:
.LBB131_254:
	s_and_not1_b32 vcc_lo, exec_lo, s3
	s_cbranch_vccz .LBB131_294
	s_branch .LBB131_609
.LBB131_255:
	s_mov_b32 s3, 0
	s_mov_b32 s1, s35
	s_cbranch_execz .LBB131_254
; %bb.256:
	v_cmp_gt_i16_e32 vcc_lo, 5, v6
	s_mov_b32 s0, -1
	s_cbranch_vccnz .LBB131_277
; %bb.257:
	v_cmp_gt_i16_e32 vcc_lo, 8, v6
	s_cbranch_vccnz .LBB131_267
; %bb.258:
	v_cmp_gt_i16_e32 vcc_lo, 9, v6
	s_cbranch_vccnz .LBB131_264
; %bb.259:
	v_cmp_lt_i16_e32 vcc_lo, 9, v6
	s_cbranch_vccz .LBB131_261
; %bb.260:
	s_mov_b32 s0, 0
	global_store_b128 v[4:5], v[56:59], off
.LBB131_261:
	s_and_not1_b32 vcc_lo, exec_lo, s0
	s_cbranch_vccnz .LBB131_263
; %bb.262:
	v_cvt_f32_f64_e32 v8, v[56:57]
	v_cvt_f32_f64_e32 v9, v[58:59]
	global_store_b64 v[4:5], v[8:9], off
.LBB131_263:
	s_mov_b32 s0, 0
.LBB131_264:
	s_delay_alu instid0(SALU_CYCLE_1)
	s_and_not1_b32 vcc_lo, exec_lo, s0
	s_cbranch_vccnz .LBB131_266
; %bb.265:
	v_cvt_f32_f64_e32 v8, v[58:59]
	v_cvt_f32_f64_e32 v9, v[56:57]
	s_delay_alu instid0(VALU_DEP_2) | instskip(NEXT) | instid1(VALU_DEP_2)
	v_cvt_f16_f32_e32 v8, v8
	v_cvt_f16_f32_e32 v9, v9
	s_delay_alu instid0(VALU_DEP_2) | instskip(NEXT) | instid1(VALU_DEP_2)
	v_lshlrev_b32_e32 v8, 16, v8
	v_and_b32_e32 v9, 0xffff, v9
	s_delay_alu instid0(VALU_DEP_1)
	v_or_b32_e32 v8, v8, v9
	global_store_b32 v[4:5], v8, off
.LBB131_266:
	s_mov_b32 s0, 0
.LBB131_267:
	s_delay_alu instid0(SALU_CYCLE_1)
	s_and_not1_b32 vcc_lo, exec_lo, s0
	s_cbranch_vccnz .LBB131_276
; %bb.268:
	v_cmp_gt_i16_e32 vcc_lo, 6, v6
	s_mov_b32 s0, -1
	s_cbranch_vccnz .LBB131_274
; %bb.269:
	v_cmp_lt_i16_e32 vcc_lo, 6, v6
	s_cbranch_vccz .LBB131_271
; %bb.270:
	s_mov_b32 s0, 0
	global_store_b64 v[4:5], v[56:57], off
.LBB131_271:
	s_and_not1_b32 vcc_lo, exec_lo, s0
	s_cbranch_vccnz .LBB131_273
; %bb.272:
	v_cvt_f32_f64_e32 v8, v[56:57]
	global_store_b32 v[4:5], v8, off
.LBB131_273:
	s_mov_b32 s0, 0
.LBB131_274:
	s_delay_alu instid0(SALU_CYCLE_1)
	s_and_not1_b32 vcc_lo, exec_lo, s0
	s_cbranch_vccnz .LBB131_276
; %bb.275:
	v_cvt_f32_f64_e32 v8, v[56:57]
	s_delay_alu instid0(VALU_DEP_1)
	v_cvt_f16_f32_e32 v8, v8
	global_store_b16 v[4:5], v8, off
.LBB131_276:
	s_mov_b32 s0, 0
.LBB131_277:
	s_delay_alu instid0(SALU_CYCLE_1)
	s_and_not1_b32 vcc_lo, exec_lo, s0
	s_cbranch_vccnz .LBB131_293
; %bb.278:
	v_cmp_gt_i16_e32 vcc_lo, 2, v6
	s_mov_b32 s0, -1
	s_cbranch_vccnz .LBB131_288
; %bb.279:
	v_cmp_gt_i16_e32 vcc_lo, 3, v6
	s_cbranch_vccnz .LBB131_285
; %bb.280:
	v_cmp_lt_i16_e32 vcc_lo, 3, v6
	s_cbranch_vccz .LBB131_282
; %bb.281:
	v_trunc_f64_e32 v[8:9], v[56:57]
	s_mov_b32 s0, 0
	s_delay_alu instid0(VALU_DEP_1) | instskip(NEXT) | instid1(VALU_DEP_1)
	v_ldexp_f64 v[10:11], v[8:9], 0xffffffe0
	v_floor_f64_e32 v[10:11], v[10:11]
	s_delay_alu instid0(VALU_DEP_1) | instskip(SKIP_1) | instid1(VALU_DEP_2)
	v_fma_f64 v[8:9], 0xc1f00000, v[10:11], v[8:9]
	v_cvt_i32_f64_e32 v10, v[10:11]
	v_cvt_u32_f64_e32 v9, v[8:9]
	global_store_b64 v[4:5], v[9:10], off
.LBB131_282:
	s_and_not1_b32 vcc_lo, exec_lo, s0
	s_cbranch_vccnz .LBB131_284
; %bb.283:
	v_cvt_i32_f64_e32 v8, v[56:57]
	global_store_b32 v[4:5], v8, off
.LBB131_284:
	s_mov_b32 s0, 0
.LBB131_285:
	s_delay_alu instid0(SALU_CYCLE_1)
	s_and_not1_b32 vcc_lo, exec_lo, s0
	s_cbranch_vccnz .LBB131_287
; %bb.286:
	v_cvt_i32_f64_e32 v8, v[56:57]
	global_store_b16 v[4:5], v8, off
.LBB131_287:
	s_mov_b32 s0, 0
.LBB131_288:
	s_delay_alu instid0(SALU_CYCLE_1)
	s_and_not1_b32 vcc_lo, exec_lo, s0
	s_cbranch_vccnz .LBB131_293
; %bb.289:
	v_cmp_lt_i16_e32 vcc_lo, 0, v6
	s_mov_b32 s0, -1
	s_cbranch_vccz .LBB131_291
; %bb.290:
	v_cvt_i32_f64_e32 v8, v[56:57]
	s_mov_b32 s0, 0
	global_store_b8 v[4:5], v8, off
.LBB131_291:
	s_and_not1_b32 vcc_lo, exec_lo, s0
	s_cbranch_vccnz .LBB131_293
; %bb.292:
	v_trunc_f64_e32 v[8:9], v[56:57]
	s_delay_alu instid0(VALU_DEP_1) | instskip(NEXT) | instid1(VALU_DEP_1)
	v_ldexp_f64 v[10:11], v[8:9], 0xffffffe0
	v_floor_f64_e32 v[10:11], v[10:11]
	s_delay_alu instid0(VALU_DEP_1) | instskip(NEXT) | instid1(VALU_DEP_1)
	v_fma_f64 v[8:9], 0xc1f00000, v[10:11], v[8:9]
	v_cvt_u32_f64_e32 v8, v[8:9]
	global_store_b8 v[4:5], v8, off
.LBB131_293:
.LBB131_294:
	s_lshl_b32 s2, s28, 7
	v_cmp_gt_i16_e32 vcc_lo, 11, v6
	v_add_nc_u32_e32 v7, s2, v7
	s_delay_alu instid0(VALU_DEP_1) | instskip(SKIP_1) | instid1(VALU_DEP_1)
	v_ashrrev_i32_e32 v5, 31, v7
	v_add_co_u32 v4, s0, s24, v7
	v_add_co_ci_u32_e64 v5, s0, s25, v5, s0
	s_cbranch_vccnz .LBB131_373
; %bb.295:
	v_cmp_lt_i16_e32 vcc_lo, 25, v6
	s_mov_b32 s5, -1
	s_mov_b32 s3, 0
	s_mov_b32 s4, 0
	;; [unrolled: 1-line block ×3, first 2 shown]
	s_cbranch_vccz .LBB131_328
; %bb.296:
	v_cmp_lt_i16_e32 vcc_lo, 28, v6
	s_cbranch_vccz .LBB131_311
; %bb.297:
	v_cmp_lt_i16_e32 vcc_lo, 43, v6
	;; [unrolled: 3-line block ×3, first 2 shown]
	s_cbranch_vccz .LBB131_301
; %bb.299:
	v_cmp_eq_u16_e32 vcc_lo, 46, v6
	s_mov_b32 s0, -1
	s_mov_b32 s5, 0
	s_cbranch_vccz .LBB131_301
; %bb.300:
	v_cvt_f32_f64_e32 v8, v[46:47]
	v_cvt_f32_f64_e32 v9, v[44:45]
	s_mov_b32 s0, 0
	s_mov_b32 s4, -1
	s_delay_alu instid0(VALU_DEP_2) | instskip(NEXT) | instid1(VALU_DEP_2)
	v_bfe_u32 v10, v8, 16, 1
	v_bfe_u32 v11, v9, 16, 1
	v_cmp_o_f32_e32 vcc_lo, v8, v8
	s_delay_alu instid0(VALU_DEP_3) | instskip(NEXT) | instid1(VALU_DEP_3)
	v_add3_u32 v10, v8, v10, 0x7fff
	v_add3_u32 v11, v9, v11, 0x7fff
	s_delay_alu instid0(VALU_DEP_2) | instskip(NEXT) | instid1(VALU_DEP_2)
	v_and_b32_e32 v10, 0xffff0000, v10
	v_lshrrev_b32_e32 v11, 16, v11
	s_delay_alu instid0(VALU_DEP_2) | instskip(SKIP_1) | instid1(VALU_DEP_3)
	v_cndmask_b32_e32 v8, 0x7fc00000, v10, vcc_lo
	v_cmp_o_f32_e32 vcc_lo, v9, v9
	v_cndmask_b32_e32 v9, 0x7fc0, v11, vcc_lo
	s_delay_alu instid0(VALU_DEP_1)
	v_or_b32_e32 v8, v8, v9
	global_store_b32 v[4:5], v8, off
.LBB131_301:
	s_and_b32 vcc_lo, exec_lo, s5
	s_cbranch_vccz .LBB131_306
; %bb.302:
	v_cmp_eq_u16_e32 vcc_lo, 44, v6
	s_mov_b32 s0, -1
	s_cbranch_vccz .LBB131_306
; %bb.303:
	v_cvt_f32_f64_e32 v8, v[44:45]
	v_mov_b32_e32 v9, 0xff
	s_mov_b32 s4, exec_lo
	s_delay_alu instid0(VALU_DEP_2) | instskip(NEXT) | instid1(VALU_DEP_1)
	v_bfe_u32 v10, v8, 23, 8
	v_cmpx_ne_u32_e32 0xff, v10
; %bb.304:
	v_and_b32_e32 v9, 0x400000, v8
	v_and_or_b32 v10, 0x3fffff, v8, v10
	v_lshrrev_b32_e32 v8, 23, v8
	s_delay_alu instid0(VALU_DEP_3) | instskip(NEXT) | instid1(VALU_DEP_3)
	v_cmp_ne_u32_e32 vcc_lo, 0, v9
	v_cmp_ne_u32_e64 s0, 0, v10
	s_delay_alu instid0(VALU_DEP_1) | instskip(NEXT) | instid1(SALU_CYCLE_1)
	s_and_b32 s0, vcc_lo, s0
	v_cndmask_b32_e64 v9, 0, 1, s0
	s_delay_alu instid0(VALU_DEP_1)
	v_add_nc_u32_e32 v9, v8, v9
; %bb.305:
	s_or_b32 exec_lo, exec_lo, s4
	s_mov_b32 s0, 0
	s_mov_b32 s4, -1
	global_store_b8 v[4:5], v9, off
.LBB131_306:
	s_mov_b32 s5, 0
.LBB131_307:
	s_delay_alu instid0(SALU_CYCLE_1)
	s_and_b32 vcc_lo, exec_lo, s5
	s_cbranch_vccz .LBB131_310
; %bb.308:
	v_cmp_eq_u16_e32 vcc_lo, 29, v6
	s_mov_b32 s0, -1
	s_cbranch_vccz .LBB131_310
; %bb.309:
	v_trunc_f64_e32 v[8:9], v[44:45]
	s_mov_b32 s0, 0
	s_mov_b32 s4, -1
	s_delay_alu instid0(VALU_DEP_1) | instskip(NEXT) | instid1(VALU_DEP_1)
	v_ldexp_f64 v[10:11], v[8:9], 0xffffffe0
	v_floor_f64_e32 v[10:11], v[10:11]
	s_delay_alu instid0(VALU_DEP_1) | instskip(SKIP_1) | instid1(VALU_DEP_2)
	v_fma_f64 v[8:9], 0xc1f00000, v[10:11], v[8:9]
	v_cvt_u32_f64_e32 v10, v[10:11]
	v_cvt_u32_f64_e32 v9, v[8:9]
	global_store_b64 v[4:5], v[9:10], off
.LBB131_310:
	s_mov_b32 s5, 0
.LBB131_311:
	s_delay_alu instid0(SALU_CYCLE_1)
	s_and_b32 vcc_lo, exec_lo, s5
	s_cbranch_vccz .LBB131_327
; %bb.312:
	v_cmp_gt_i16_e32 vcc_lo, 27, v6
	s_mov_b32 s4, -1
	s_cbranch_vccnz .LBB131_318
; %bb.313:
	v_cvt_u32_f64_e32 v8, v[44:45]
	v_cmp_lt_i16_e32 vcc_lo, 27, v6
	s_cbranch_vccz .LBB131_315
; %bb.314:
	s_mov_b32 s4, 0
	global_store_b32 v[4:5], v8, off
.LBB131_315:
	s_and_not1_b32 vcc_lo, exec_lo, s4
	s_cbranch_vccnz .LBB131_317
; %bb.316:
	global_store_b16 v[4:5], v8, off
.LBB131_317:
	s_mov_b32 s4, 0
.LBB131_318:
	s_delay_alu instid0(SALU_CYCLE_1)
	s_and_not1_b32 vcc_lo, exec_lo, s4
	s_cbranch_vccnz .LBB131_326
; %bb.319:
	v_cvt_f32_f64_e32 v8, v[44:45]
	v_mov_b32_e32 v10, 0x80
	s_mov_b32 s4, exec_lo
	s_delay_alu instid0(VALU_DEP_2) | instskip(NEXT) | instid1(VALU_DEP_1)
	v_and_b32_e32 v9, 0x7fffffff, v8
	v_cmpx_gt_u32_e32 0x43800000, v9
	s_cbranch_execz .LBB131_325
; %bb.320:
	v_cmp_lt_u32_e32 vcc_lo, 0x3bffffff, v9
	s_mov_b32 s5, 0
                                        ; implicit-def: $vgpr9
	s_and_saveexec_b32 s6, vcc_lo
	s_delay_alu instid0(SALU_CYCLE_1)
	s_xor_b32 s6, exec_lo, s6
	s_cbranch_execz .LBB131_666
; %bb.321:
	v_bfe_u32 v9, v8, 20, 1
	s_mov_b32 s5, exec_lo
	s_delay_alu instid0(VALU_DEP_1) | instskip(NEXT) | instid1(VALU_DEP_1)
	v_add3_u32 v9, v8, v9, 0x487ffff
	v_lshrrev_b32_e32 v9, 20, v9
	s_or_saveexec_b32 s6, s6
                                        ; implicit-def: $sgpr7
	s_delay_alu instid0(SALU_CYCLE_1)
	s_xor_b32 exec_lo, exec_lo, s6
	s_cbranch_execnz .LBB131_667
.LBB131_322:
	s_or_b32 exec_lo, exec_lo, s6
	v_mov_b32_e32 v10, s7
	s_and_saveexec_b32 s6, s5
.LBB131_323:
	v_lshrrev_b32_e32 v8, 24, v8
	s_delay_alu instid0(VALU_DEP_1)
	v_and_or_b32 v10, 0x80, v8, v9
.LBB131_324:
	s_or_b32 exec_lo, exec_lo, s6
.LBB131_325:
	s_delay_alu instid0(SALU_CYCLE_1)
	s_or_b32 exec_lo, exec_lo, s4
	global_store_b8 v[4:5], v10, off
.LBB131_326:
	s_mov_b32 s4, -1
.LBB131_327:
	s_mov_b32 s5, 0
.LBB131_328:
	s_delay_alu instid0(SALU_CYCLE_1)
	s_and_b32 vcc_lo, exec_lo, s5
	s_cbranch_vccz .LBB131_368
; %bb.329:
	v_cmp_lt_i16_e32 vcc_lo, 22, v6
	s_mov_b32 s3, -1
	s_cbranch_vccz .LBB131_361
; %bb.330:
	v_cmp_gt_i16_e32 vcc_lo, 24, v6
	s_cbranch_vccnz .LBB131_350
; %bb.331:
	v_cmp_lt_i16_e32 vcc_lo, 24, v6
	s_cbranch_vccz .LBB131_339
; %bb.332:
	v_cvt_f32_f64_e32 v8, v[44:45]
	v_mov_b32_e32 v10, 0x80
	s_mov_b32 s3, exec_lo
	s_delay_alu instid0(VALU_DEP_2) | instskip(NEXT) | instid1(VALU_DEP_1)
	v_and_b32_e32 v9, 0x7fffffff, v8
	v_cmpx_gt_u32_e32 0x47800000, v9
	s_cbranch_execz .LBB131_338
; %bb.333:
	v_cmp_lt_u32_e32 vcc_lo, 0x37ffffff, v9
	s_mov_b32 s4, 0
                                        ; implicit-def: $vgpr9
	s_and_saveexec_b32 s5, vcc_lo
	s_delay_alu instid0(SALU_CYCLE_1)
	s_xor_b32 s5, exec_lo, s5
	s_cbranch_execz .LBB131_799
; %bb.334:
	v_bfe_u32 v9, v8, 21, 1
	s_mov_b32 s4, exec_lo
	s_delay_alu instid0(VALU_DEP_1) | instskip(NEXT) | instid1(VALU_DEP_1)
	v_add3_u32 v9, v8, v9, 0x88fffff
	v_lshrrev_b32_e32 v9, 21, v9
	s_or_saveexec_b32 s5, s5
                                        ; implicit-def: $sgpr6
	s_delay_alu instid0(SALU_CYCLE_1)
	s_xor_b32 exec_lo, exec_lo, s5
	s_cbranch_execnz .LBB131_800
.LBB131_335:
	s_or_b32 exec_lo, exec_lo, s5
	v_mov_b32_e32 v10, s6
	s_and_saveexec_b32 s5, s4
.LBB131_336:
	v_lshrrev_b32_e32 v8, 24, v8
	s_delay_alu instid0(VALU_DEP_1)
	v_and_or_b32 v10, 0x80, v8, v9
.LBB131_337:
	s_or_b32 exec_lo, exec_lo, s5
.LBB131_338:
	s_delay_alu instid0(SALU_CYCLE_1)
	s_or_b32 exec_lo, exec_lo, s3
	s_mov_b32 s3, 0
	global_store_b8 v[4:5], v10, off
.LBB131_339:
	s_and_b32 vcc_lo, exec_lo, s3
	s_cbranch_vccz .LBB131_349
; %bb.340:
	v_cvt_f32_f64_e32 v8, v[44:45]
	s_mov_b32 s3, exec_lo
                                        ; implicit-def: $vgpr9
	s_delay_alu instid0(VALU_DEP_1) | instskip(NEXT) | instid1(VALU_DEP_1)
	v_and_b32_e32 v10, 0x7fffffff, v8
	v_cmpx_gt_u32_e32 0x43f00000, v10
	s_xor_b32 s3, exec_lo, s3
	s_cbranch_execz .LBB131_346
; %bb.341:
	s_mov_b32 s4, exec_lo
                                        ; implicit-def: $vgpr9
	v_cmpx_lt_u32_e32 0x3c7fffff, v10
	s_xor_b32 s4, exec_lo, s4
; %bb.342:
	v_bfe_u32 v9, v8, 20, 1
	s_delay_alu instid0(VALU_DEP_1) | instskip(NEXT) | instid1(VALU_DEP_1)
	v_add3_u32 v9, v8, v9, 0x407ffff
	v_and_b32_e32 v10, 0xff00000, v9
	v_lshrrev_b32_e32 v9, 20, v9
	s_delay_alu instid0(VALU_DEP_2) | instskip(NEXT) | instid1(VALU_DEP_2)
	v_cmp_ne_u32_e32 vcc_lo, 0x7f00000, v10
	v_cndmask_b32_e32 v9, 0x7e, v9, vcc_lo
; %bb.343:
	s_and_not1_saveexec_b32 s4, s4
; %bb.344:
	v_add_f32_e64 v9, 0x46800000, |v8|
; %bb.345:
	s_or_b32 exec_lo, exec_lo, s4
                                        ; implicit-def: $vgpr10
.LBB131_346:
	s_and_not1_saveexec_b32 s3, s3
; %bb.347:
	v_mov_b32_e32 v9, 0x7f
	v_cmp_lt_u32_e32 vcc_lo, 0x7f800000, v10
	s_delay_alu instid0(VALU_DEP_2)
	v_cndmask_b32_e32 v9, 0x7e, v9, vcc_lo
; %bb.348:
	s_or_b32 exec_lo, exec_lo, s3
	v_lshrrev_b32_e32 v8, 24, v8
	s_delay_alu instid0(VALU_DEP_1)
	v_and_or_b32 v8, 0x80, v8, v9
	global_store_b8 v[4:5], v8, off
.LBB131_349:
	s_mov_b32 s3, 0
.LBB131_350:
	s_delay_alu instid0(SALU_CYCLE_1)
	s_and_not1_b32 vcc_lo, exec_lo, s3
	s_cbranch_vccnz .LBB131_360
; %bb.351:
	v_cvt_f32_f64_e32 v8, v[44:45]
	s_mov_b32 s3, exec_lo
                                        ; implicit-def: $vgpr9
	s_delay_alu instid0(VALU_DEP_1) | instskip(NEXT) | instid1(VALU_DEP_1)
	v_and_b32_e32 v10, 0x7fffffff, v8
	v_cmpx_gt_u32_e32 0x47800000, v10
	s_xor_b32 s3, exec_lo, s3
	s_cbranch_execz .LBB131_357
; %bb.352:
	s_mov_b32 s4, exec_lo
                                        ; implicit-def: $vgpr9
	v_cmpx_lt_u32_e32 0x387fffff, v10
	s_xor_b32 s4, exec_lo, s4
; %bb.353:
	v_bfe_u32 v9, v8, 21, 1
	s_delay_alu instid0(VALU_DEP_1) | instskip(NEXT) | instid1(VALU_DEP_1)
	v_add3_u32 v9, v8, v9, 0x80fffff
	v_lshrrev_b32_e32 v9, 21, v9
; %bb.354:
	s_and_not1_saveexec_b32 s4, s4
; %bb.355:
	v_add_f32_e64 v9, 0x43000000, |v8|
; %bb.356:
	s_or_b32 exec_lo, exec_lo, s4
                                        ; implicit-def: $vgpr10
.LBB131_357:
	s_and_not1_saveexec_b32 s3, s3
; %bb.358:
	v_mov_b32_e32 v9, 0x7f
	v_cmp_lt_u32_e32 vcc_lo, 0x7f800000, v10
	s_delay_alu instid0(VALU_DEP_2)
	v_cndmask_b32_e32 v9, 0x7c, v9, vcc_lo
; %bb.359:
	s_or_b32 exec_lo, exec_lo, s3
	v_lshrrev_b32_e32 v8, 24, v8
	s_delay_alu instid0(VALU_DEP_1)
	v_and_or_b32 v8, 0x80, v8, v9
	global_store_b8 v[4:5], v8, off
.LBB131_360:
	s_mov_b32 s3, 0
	s_mov_b32 s4, -1
.LBB131_361:
	s_and_not1_b32 vcc_lo, exec_lo, s3
	s_mov_b32 s3, 0
	s_cbranch_vccnz .LBB131_368
; %bb.362:
	v_cmp_lt_i16_e32 vcc_lo, 14, v6
	s_mov_b32 s3, -1
	s_cbranch_vccz .LBB131_366
; %bb.363:
	v_cmp_eq_u16_e32 vcc_lo, 15, v6
	s_mov_b32 s0, -1
	s_cbranch_vccz .LBB131_365
; %bb.364:
	v_cvt_f32_f64_e32 v8, v[44:45]
	s_mov_b32 s0, 0
	s_mov_b32 s4, -1
	s_delay_alu instid0(VALU_DEP_1) | instskip(SKIP_1) | instid1(VALU_DEP_2)
	v_bfe_u32 v9, v8, 16, 1
	v_cmp_o_f32_e32 vcc_lo, v8, v8
	v_add3_u32 v9, v8, v9, 0x7fff
	s_delay_alu instid0(VALU_DEP_1) | instskip(NEXT) | instid1(VALU_DEP_1)
	v_lshrrev_b32_e32 v9, 16, v9
	v_cndmask_b32_e32 v8, 0x7fc0, v9, vcc_lo
	global_store_b16 v[4:5], v8, off
.LBB131_365:
	s_mov_b32 s3, 0
.LBB131_366:
	s_delay_alu instid0(SALU_CYCLE_1)
	s_and_b32 vcc_lo, exec_lo, s3
	s_mov_b32 s3, 0
	s_cbranch_vccz .LBB131_368
; %bb.367:
	v_cmp_ne_u16_e64 s0, 11, v6
	s_mov_b32 s3, -1
.LBB131_368:
	s_delay_alu instid0(VALU_DEP_1)
	s_and_b32 vcc_lo, exec_lo, s0
	s_cbranch_vccnz .LBB131_670
; %bb.369:
	s_and_not1_b32 vcc_lo, exec_lo, s3
	s_cbranch_vccnz .LBB131_371
.LBB131_370:
	v_cmp_neq_f64_e32 vcc_lo, 0, v[44:45]
	v_cmp_neq_f64_e64 s0, 0, v[46:47]
	s_mov_b32 s4, -1
	s_delay_alu instid0(VALU_DEP_1) | instskip(NEXT) | instid1(SALU_CYCLE_1)
	s_or_b32 s0, vcc_lo, s0
	v_cndmask_b32_e64 v8, 0, 1, s0
	global_store_b8 v[4:5], v8, off
.LBB131_371:
.LBB131_372:
	s_and_not1_b32 vcc_lo, exec_lo, s4
	s_cbranch_vccz .LBB131_412
	s_branch .LBB131_609
.LBB131_373:
	s_mov_b32 s4, 0
	s_cbranch_execz .LBB131_372
; %bb.374:
	v_cmp_gt_i16_e32 vcc_lo, 5, v6
	s_mov_b32 s0, -1
	s_cbranch_vccnz .LBB131_395
; %bb.375:
	v_cmp_gt_i16_e32 vcc_lo, 8, v6
	s_cbranch_vccnz .LBB131_385
; %bb.376:
	v_cmp_gt_i16_e32 vcc_lo, 9, v6
	s_cbranch_vccnz .LBB131_382
; %bb.377:
	v_cmp_lt_i16_e32 vcc_lo, 9, v6
	s_cbranch_vccz .LBB131_379
; %bb.378:
	s_mov_b32 s0, 0
	global_store_b128 v[4:5], v[44:47], off
.LBB131_379:
	s_and_not1_b32 vcc_lo, exec_lo, s0
	s_cbranch_vccnz .LBB131_381
; %bb.380:
	v_cvt_f32_f64_e32 v8, v[44:45]
	v_cvt_f32_f64_e32 v9, v[46:47]
	global_store_b64 v[4:5], v[8:9], off
.LBB131_381:
	s_mov_b32 s0, 0
.LBB131_382:
	s_delay_alu instid0(SALU_CYCLE_1)
	s_and_not1_b32 vcc_lo, exec_lo, s0
	s_cbranch_vccnz .LBB131_384
; %bb.383:
	v_cvt_f32_f64_e32 v8, v[46:47]
	v_cvt_f32_f64_e32 v9, v[44:45]
	s_delay_alu instid0(VALU_DEP_2) | instskip(NEXT) | instid1(VALU_DEP_2)
	v_cvt_f16_f32_e32 v8, v8
	v_cvt_f16_f32_e32 v9, v9
	s_delay_alu instid0(VALU_DEP_2) | instskip(NEXT) | instid1(VALU_DEP_2)
	v_lshlrev_b32_e32 v8, 16, v8
	v_and_b32_e32 v9, 0xffff, v9
	s_delay_alu instid0(VALU_DEP_1)
	v_or_b32_e32 v8, v8, v9
	global_store_b32 v[4:5], v8, off
.LBB131_384:
	s_mov_b32 s0, 0
.LBB131_385:
	s_delay_alu instid0(SALU_CYCLE_1)
	s_and_not1_b32 vcc_lo, exec_lo, s0
	s_cbranch_vccnz .LBB131_394
; %bb.386:
	v_cmp_gt_i16_e32 vcc_lo, 6, v6
	s_mov_b32 s0, -1
	s_cbranch_vccnz .LBB131_392
; %bb.387:
	v_cmp_lt_i16_e32 vcc_lo, 6, v6
	s_cbranch_vccz .LBB131_389
; %bb.388:
	s_mov_b32 s0, 0
	global_store_b64 v[4:5], v[44:45], off
.LBB131_389:
	s_and_not1_b32 vcc_lo, exec_lo, s0
	s_cbranch_vccnz .LBB131_391
; %bb.390:
	v_cvt_f32_f64_e32 v8, v[44:45]
	global_store_b32 v[4:5], v8, off
.LBB131_391:
	s_mov_b32 s0, 0
.LBB131_392:
	s_delay_alu instid0(SALU_CYCLE_1)
	s_and_not1_b32 vcc_lo, exec_lo, s0
	s_cbranch_vccnz .LBB131_394
; %bb.393:
	v_cvt_f32_f64_e32 v8, v[44:45]
	s_delay_alu instid0(VALU_DEP_1)
	v_cvt_f16_f32_e32 v8, v8
	global_store_b16 v[4:5], v8, off
.LBB131_394:
	s_mov_b32 s0, 0
.LBB131_395:
	s_delay_alu instid0(SALU_CYCLE_1)
	s_and_not1_b32 vcc_lo, exec_lo, s0
	s_cbranch_vccnz .LBB131_411
; %bb.396:
	v_cmp_gt_i16_e32 vcc_lo, 2, v6
	s_mov_b32 s0, -1
	s_cbranch_vccnz .LBB131_406
; %bb.397:
	v_cmp_gt_i16_e32 vcc_lo, 3, v6
	s_cbranch_vccnz .LBB131_403
; %bb.398:
	v_cmp_lt_i16_e32 vcc_lo, 3, v6
	s_cbranch_vccz .LBB131_400
; %bb.399:
	v_trunc_f64_e32 v[8:9], v[44:45]
	s_mov_b32 s0, 0
	s_delay_alu instid0(VALU_DEP_1) | instskip(NEXT) | instid1(VALU_DEP_1)
	v_ldexp_f64 v[10:11], v[8:9], 0xffffffe0
	v_floor_f64_e32 v[10:11], v[10:11]
	s_delay_alu instid0(VALU_DEP_1) | instskip(SKIP_1) | instid1(VALU_DEP_2)
	v_fma_f64 v[8:9], 0xc1f00000, v[10:11], v[8:9]
	v_cvt_i32_f64_e32 v10, v[10:11]
	v_cvt_u32_f64_e32 v9, v[8:9]
	global_store_b64 v[4:5], v[9:10], off
.LBB131_400:
	s_and_not1_b32 vcc_lo, exec_lo, s0
	s_cbranch_vccnz .LBB131_402
; %bb.401:
	v_cvt_i32_f64_e32 v8, v[44:45]
	global_store_b32 v[4:5], v8, off
.LBB131_402:
	s_mov_b32 s0, 0
.LBB131_403:
	s_delay_alu instid0(SALU_CYCLE_1)
	s_and_not1_b32 vcc_lo, exec_lo, s0
	s_cbranch_vccnz .LBB131_405
; %bb.404:
	v_cvt_i32_f64_e32 v8, v[44:45]
	global_store_b16 v[4:5], v8, off
.LBB131_405:
	s_mov_b32 s0, 0
.LBB131_406:
	s_delay_alu instid0(SALU_CYCLE_1)
	s_and_not1_b32 vcc_lo, exec_lo, s0
	s_cbranch_vccnz .LBB131_411
; %bb.407:
	v_cmp_lt_i16_e32 vcc_lo, 0, v6
	s_mov_b32 s0, -1
	s_cbranch_vccz .LBB131_409
; %bb.408:
	v_cvt_i32_f64_e32 v8, v[44:45]
	s_mov_b32 s0, 0
	global_store_b8 v[4:5], v8, off
.LBB131_409:
	s_and_not1_b32 vcc_lo, exec_lo, s0
	s_cbranch_vccnz .LBB131_411
; %bb.410:
	v_trunc_f64_e32 v[8:9], v[44:45]
	s_delay_alu instid0(VALU_DEP_1) | instskip(NEXT) | instid1(VALU_DEP_1)
	v_ldexp_f64 v[10:11], v[8:9], 0xffffffe0
	v_floor_f64_e32 v[10:11], v[10:11]
	s_delay_alu instid0(VALU_DEP_1) | instskip(NEXT) | instid1(VALU_DEP_1)
	v_fma_f64 v[8:9], 0xc1f00000, v[10:11], v[8:9]
	v_cvt_u32_f64_e32 v8, v[8:9]
	global_store_b8 v[4:5], v8, off
.LBB131_411:
.LBB131_412:
	v_add_nc_u32_e32 v7, s2, v7
	v_cmp_gt_i16_e32 vcc_lo, 11, v6
	s_delay_alu instid0(VALU_DEP_2) | instskip(SKIP_1) | instid1(VALU_DEP_1)
	v_ashrrev_i32_e32 v5, 31, v7
	v_add_co_u32 v4, s0, s24, v7
	v_add_co_ci_u32_e64 v5, s0, s25, v5, s0
	s_cbranch_vccnz .LBB131_570
; %bb.413:
	v_cmp_lt_i16_e32 vcc_lo, 25, v6
	s_mov_b32 s5, -1
	s_mov_b32 s3, 0
	s_mov_b32 s4, 0
	s_mov_b32 s0, 0
	s_cbranch_vccz .LBB131_446
; %bb.414:
	v_cmp_lt_i16_e32 vcc_lo, 28, v6
	s_cbranch_vccz .LBB131_429
; %bb.415:
	v_cmp_lt_i16_e32 vcc_lo, 43, v6
	;; [unrolled: 3-line block ×3, first 2 shown]
	s_cbranch_vccz .LBB131_419
; %bb.417:
	v_cmp_eq_u16_e32 vcc_lo, 46, v6
	s_mov_b32 s0, -1
	s_mov_b32 s5, 0
	s_cbranch_vccz .LBB131_419
; %bb.418:
	v_cvt_f32_f64_e32 v8, v[42:43]
	v_cvt_f32_f64_e32 v9, v[40:41]
	s_mov_b32 s0, 0
	s_mov_b32 s4, -1
	s_delay_alu instid0(VALU_DEP_2) | instskip(NEXT) | instid1(VALU_DEP_2)
	v_bfe_u32 v10, v8, 16, 1
	v_bfe_u32 v11, v9, 16, 1
	v_cmp_o_f32_e32 vcc_lo, v8, v8
	s_delay_alu instid0(VALU_DEP_3) | instskip(NEXT) | instid1(VALU_DEP_3)
	v_add3_u32 v10, v8, v10, 0x7fff
	v_add3_u32 v11, v9, v11, 0x7fff
	s_delay_alu instid0(VALU_DEP_2) | instskip(NEXT) | instid1(VALU_DEP_2)
	v_and_b32_e32 v10, 0xffff0000, v10
	v_lshrrev_b32_e32 v11, 16, v11
	s_delay_alu instid0(VALU_DEP_2) | instskip(SKIP_1) | instid1(VALU_DEP_3)
	v_cndmask_b32_e32 v8, 0x7fc00000, v10, vcc_lo
	v_cmp_o_f32_e32 vcc_lo, v9, v9
	v_cndmask_b32_e32 v9, 0x7fc0, v11, vcc_lo
	s_delay_alu instid0(VALU_DEP_1)
	v_or_b32_e32 v8, v8, v9
	global_store_b32 v[4:5], v8, off
.LBB131_419:
	s_and_b32 vcc_lo, exec_lo, s5
	s_cbranch_vccz .LBB131_424
; %bb.420:
	v_cmp_eq_u16_e32 vcc_lo, 44, v6
	s_mov_b32 s0, -1
	s_cbranch_vccz .LBB131_424
; %bb.421:
	v_cvt_f32_f64_e32 v8, v[40:41]
	v_mov_b32_e32 v9, 0xff
	s_mov_b32 s4, exec_lo
	s_delay_alu instid0(VALU_DEP_2) | instskip(NEXT) | instid1(VALU_DEP_1)
	v_bfe_u32 v10, v8, 23, 8
	v_cmpx_ne_u32_e32 0xff, v10
; %bb.422:
	v_and_b32_e32 v9, 0x400000, v8
	v_and_or_b32 v10, 0x3fffff, v8, v10
	v_lshrrev_b32_e32 v8, 23, v8
	s_delay_alu instid0(VALU_DEP_3) | instskip(NEXT) | instid1(VALU_DEP_3)
	v_cmp_ne_u32_e32 vcc_lo, 0, v9
	v_cmp_ne_u32_e64 s0, 0, v10
	s_delay_alu instid0(VALU_DEP_1) | instskip(NEXT) | instid1(SALU_CYCLE_1)
	s_and_b32 s0, vcc_lo, s0
	v_cndmask_b32_e64 v9, 0, 1, s0
	s_delay_alu instid0(VALU_DEP_1)
	v_add_nc_u32_e32 v9, v8, v9
; %bb.423:
	s_or_b32 exec_lo, exec_lo, s4
	s_mov_b32 s0, 0
	s_mov_b32 s4, -1
	global_store_b8 v[4:5], v9, off
.LBB131_424:
	s_mov_b32 s5, 0
.LBB131_425:
	s_delay_alu instid0(SALU_CYCLE_1)
	s_and_b32 vcc_lo, exec_lo, s5
	s_cbranch_vccz .LBB131_428
; %bb.426:
	v_cmp_eq_u16_e32 vcc_lo, 29, v6
	s_mov_b32 s0, -1
	s_cbranch_vccz .LBB131_428
; %bb.427:
	v_trunc_f64_e32 v[8:9], v[40:41]
	s_mov_b32 s0, 0
	s_mov_b32 s4, -1
	s_delay_alu instid0(VALU_DEP_1) | instskip(NEXT) | instid1(VALU_DEP_1)
	v_ldexp_f64 v[10:11], v[8:9], 0xffffffe0
	v_floor_f64_e32 v[10:11], v[10:11]
	s_delay_alu instid0(VALU_DEP_1) | instskip(SKIP_1) | instid1(VALU_DEP_2)
	v_fma_f64 v[8:9], 0xc1f00000, v[10:11], v[8:9]
	v_cvt_u32_f64_e32 v10, v[10:11]
	v_cvt_u32_f64_e32 v9, v[8:9]
	global_store_b64 v[4:5], v[9:10], off
.LBB131_428:
	s_mov_b32 s5, 0
.LBB131_429:
	s_delay_alu instid0(SALU_CYCLE_1)
	s_and_b32 vcc_lo, exec_lo, s5
	s_cbranch_vccz .LBB131_445
; %bb.430:
	v_cmp_gt_i16_e32 vcc_lo, 27, v6
	s_mov_b32 s4, -1
	s_cbranch_vccnz .LBB131_436
; %bb.431:
	v_cvt_u32_f64_e32 v8, v[40:41]
	v_cmp_lt_i16_e32 vcc_lo, 27, v6
	s_cbranch_vccz .LBB131_433
; %bb.432:
	s_mov_b32 s4, 0
	global_store_b32 v[4:5], v8, off
.LBB131_433:
	s_and_not1_b32 vcc_lo, exec_lo, s4
	s_cbranch_vccnz .LBB131_435
; %bb.434:
	global_store_b16 v[4:5], v8, off
.LBB131_435:
	s_mov_b32 s4, 0
.LBB131_436:
	s_delay_alu instid0(SALU_CYCLE_1)
	s_and_not1_b32 vcc_lo, exec_lo, s4
	s_cbranch_vccnz .LBB131_444
; %bb.437:
	v_cvt_f32_f64_e32 v8, v[40:41]
	v_mov_b32_e32 v10, 0x80
	s_mov_b32 s4, exec_lo
	s_delay_alu instid0(VALU_DEP_2) | instskip(NEXT) | instid1(VALU_DEP_1)
	v_and_b32_e32 v9, 0x7fffffff, v8
	v_cmpx_gt_u32_e32 0x43800000, v9
	s_cbranch_execz .LBB131_443
; %bb.438:
	v_cmp_lt_u32_e32 vcc_lo, 0x3bffffff, v9
	s_mov_b32 s5, 0
                                        ; implicit-def: $vgpr9
	s_and_saveexec_b32 s6, vcc_lo
	s_delay_alu instid0(SALU_CYCLE_1)
	s_xor_b32 s6, exec_lo, s6
	s_cbranch_execz .LBB131_801
; %bb.439:
	v_bfe_u32 v9, v8, 20, 1
	s_mov_b32 s5, exec_lo
	s_delay_alu instid0(VALU_DEP_1) | instskip(NEXT) | instid1(VALU_DEP_1)
	v_add3_u32 v9, v8, v9, 0x487ffff
	v_lshrrev_b32_e32 v9, 20, v9
	s_or_saveexec_b32 s6, s6
                                        ; implicit-def: $sgpr7
	s_delay_alu instid0(SALU_CYCLE_1)
	s_xor_b32 exec_lo, exec_lo, s6
	s_cbranch_execnz .LBB131_802
.LBB131_440:
	s_or_b32 exec_lo, exec_lo, s6
	v_mov_b32_e32 v10, s7
	s_and_saveexec_b32 s6, s5
.LBB131_441:
	v_lshrrev_b32_e32 v8, 24, v8
	s_delay_alu instid0(VALU_DEP_1)
	v_and_or_b32 v10, 0x80, v8, v9
.LBB131_442:
	s_or_b32 exec_lo, exec_lo, s6
.LBB131_443:
	s_delay_alu instid0(SALU_CYCLE_1)
	s_or_b32 exec_lo, exec_lo, s4
	global_store_b8 v[4:5], v10, off
.LBB131_444:
	s_mov_b32 s4, -1
.LBB131_445:
	s_mov_b32 s5, 0
.LBB131_446:
	s_delay_alu instid0(SALU_CYCLE_1)
	s_and_b32 vcc_lo, exec_lo, s5
	s_cbranch_vccz .LBB131_486
; %bb.447:
	v_cmp_lt_i16_e32 vcc_lo, 22, v6
	s_mov_b32 s3, -1
	s_cbranch_vccz .LBB131_479
; %bb.448:
	v_cmp_gt_i16_e32 vcc_lo, 24, v6
	s_cbranch_vccnz .LBB131_468
; %bb.449:
	v_cmp_lt_i16_e32 vcc_lo, 24, v6
	s_cbranch_vccz .LBB131_457
; %bb.450:
	v_cvt_f32_f64_e32 v8, v[40:41]
	v_mov_b32_e32 v10, 0x80
	s_mov_b32 s3, exec_lo
	s_delay_alu instid0(VALU_DEP_2) | instskip(NEXT) | instid1(VALU_DEP_1)
	v_and_b32_e32 v9, 0x7fffffff, v8
	v_cmpx_gt_u32_e32 0x47800000, v9
	s_cbranch_execz .LBB131_456
; %bb.451:
	v_cmp_lt_u32_e32 vcc_lo, 0x37ffffff, v9
	s_mov_b32 s4, 0
                                        ; implicit-def: $vgpr9
	s_and_saveexec_b32 s5, vcc_lo
	s_delay_alu instid0(SALU_CYCLE_1)
	s_xor_b32 s5, exec_lo, s5
	s_cbranch_execz .LBB131_934
; %bb.452:
	v_bfe_u32 v9, v8, 21, 1
	s_mov_b32 s4, exec_lo
	s_delay_alu instid0(VALU_DEP_1) | instskip(NEXT) | instid1(VALU_DEP_1)
	v_add3_u32 v9, v8, v9, 0x88fffff
	v_lshrrev_b32_e32 v9, 21, v9
	s_or_saveexec_b32 s5, s5
                                        ; implicit-def: $sgpr6
	s_delay_alu instid0(SALU_CYCLE_1)
	s_xor_b32 exec_lo, exec_lo, s5
	s_cbranch_execnz .LBB131_935
.LBB131_453:
	s_or_b32 exec_lo, exec_lo, s5
	v_mov_b32_e32 v10, s6
	s_and_saveexec_b32 s5, s4
.LBB131_454:
	v_lshrrev_b32_e32 v8, 24, v8
	s_delay_alu instid0(VALU_DEP_1)
	v_and_or_b32 v10, 0x80, v8, v9
.LBB131_455:
	s_or_b32 exec_lo, exec_lo, s5
.LBB131_456:
	s_delay_alu instid0(SALU_CYCLE_1)
	s_or_b32 exec_lo, exec_lo, s3
	s_mov_b32 s3, 0
	global_store_b8 v[4:5], v10, off
.LBB131_457:
	s_and_b32 vcc_lo, exec_lo, s3
	s_cbranch_vccz .LBB131_467
; %bb.458:
	v_cvt_f32_f64_e32 v8, v[40:41]
	s_mov_b32 s3, exec_lo
                                        ; implicit-def: $vgpr9
	s_delay_alu instid0(VALU_DEP_1) | instskip(NEXT) | instid1(VALU_DEP_1)
	v_and_b32_e32 v10, 0x7fffffff, v8
	v_cmpx_gt_u32_e32 0x43f00000, v10
	s_xor_b32 s3, exec_lo, s3
	s_cbranch_execz .LBB131_464
; %bb.459:
	s_mov_b32 s4, exec_lo
                                        ; implicit-def: $vgpr9
	v_cmpx_lt_u32_e32 0x3c7fffff, v10
	s_xor_b32 s4, exec_lo, s4
; %bb.460:
	v_bfe_u32 v9, v8, 20, 1
	s_delay_alu instid0(VALU_DEP_1) | instskip(NEXT) | instid1(VALU_DEP_1)
	v_add3_u32 v9, v8, v9, 0x407ffff
	v_and_b32_e32 v10, 0xff00000, v9
	v_lshrrev_b32_e32 v9, 20, v9
	s_delay_alu instid0(VALU_DEP_2) | instskip(NEXT) | instid1(VALU_DEP_2)
	v_cmp_ne_u32_e32 vcc_lo, 0x7f00000, v10
	v_cndmask_b32_e32 v9, 0x7e, v9, vcc_lo
; %bb.461:
	s_and_not1_saveexec_b32 s4, s4
; %bb.462:
	v_add_f32_e64 v9, 0x46800000, |v8|
; %bb.463:
	s_or_b32 exec_lo, exec_lo, s4
                                        ; implicit-def: $vgpr10
.LBB131_464:
	s_and_not1_saveexec_b32 s3, s3
; %bb.465:
	v_mov_b32_e32 v9, 0x7f
	v_cmp_lt_u32_e32 vcc_lo, 0x7f800000, v10
	s_delay_alu instid0(VALU_DEP_2)
	v_cndmask_b32_e32 v9, 0x7e, v9, vcc_lo
; %bb.466:
	s_or_b32 exec_lo, exec_lo, s3
	v_lshrrev_b32_e32 v8, 24, v8
	s_delay_alu instid0(VALU_DEP_1)
	v_and_or_b32 v8, 0x80, v8, v9
	global_store_b8 v[4:5], v8, off
.LBB131_467:
	s_mov_b32 s3, 0
.LBB131_468:
	s_delay_alu instid0(SALU_CYCLE_1)
	s_and_not1_b32 vcc_lo, exec_lo, s3
	s_cbranch_vccnz .LBB131_478
; %bb.469:
	v_cvt_f32_f64_e32 v8, v[40:41]
	s_mov_b32 s3, exec_lo
                                        ; implicit-def: $vgpr9
	s_delay_alu instid0(VALU_DEP_1) | instskip(NEXT) | instid1(VALU_DEP_1)
	v_and_b32_e32 v10, 0x7fffffff, v8
	v_cmpx_gt_u32_e32 0x47800000, v10
	s_xor_b32 s3, exec_lo, s3
	s_cbranch_execz .LBB131_475
; %bb.470:
	s_mov_b32 s4, exec_lo
                                        ; implicit-def: $vgpr9
	v_cmpx_lt_u32_e32 0x387fffff, v10
	s_xor_b32 s4, exec_lo, s4
; %bb.471:
	v_bfe_u32 v9, v8, 21, 1
	s_delay_alu instid0(VALU_DEP_1) | instskip(NEXT) | instid1(VALU_DEP_1)
	v_add3_u32 v9, v8, v9, 0x80fffff
	v_lshrrev_b32_e32 v9, 21, v9
; %bb.472:
	s_and_not1_saveexec_b32 s4, s4
; %bb.473:
	v_add_f32_e64 v9, 0x43000000, |v8|
; %bb.474:
	s_or_b32 exec_lo, exec_lo, s4
                                        ; implicit-def: $vgpr10
.LBB131_475:
	s_and_not1_saveexec_b32 s3, s3
; %bb.476:
	v_mov_b32_e32 v9, 0x7f
	v_cmp_lt_u32_e32 vcc_lo, 0x7f800000, v10
	s_delay_alu instid0(VALU_DEP_2)
	v_cndmask_b32_e32 v9, 0x7c, v9, vcc_lo
; %bb.477:
	s_or_b32 exec_lo, exec_lo, s3
	v_lshrrev_b32_e32 v8, 24, v8
	s_delay_alu instid0(VALU_DEP_1)
	v_and_or_b32 v8, 0x80, v8, v9
	global_store_b8 v[4:5], v8, off
.LBB131_478:
	s_mov_b32 s3, 0
	s_mov_b32 s4, -1
.LBB131_479:
	s_and_not1_b32 vcc_lo, exec_lo, s3
	s_mov_b32 s3, 0
	s_cbranch_vccnz .LBB131_486
; %bb.480:
	v_cmp_lt_i16_e32 vcc_lo, 14, v6
	s_mov_b32 s3, -1
	s_cbranch_vccz .LBB131_484
; %bb.481:
	v_cmp_eq_u16_e32 vcc_lo, 15, v6
	s_mov_b32 s0, -1
	s_cbranch_vccz .LBB131_483
; %bb.482:
	v_cvt_f32_f64_e32 v8, v[40:41]
	s_mov_b32 s0, 0
	s_mov_b32 s4, -1
	s_delay_alu instid0(VALU_DEP_1) | instskip(SKIP_1) | instid1(VALU_DEP_2)
	v_bfe_u32 v9, v8, 16, 1
	v_cmp_o_f32_e32 vcc_lo, v8, v8
	v_add3_u32 v9, v8, v9, 0x7fff
	s_delay_alu instid0(VALU_DEP_1) | instskip(NEXT) | instid1(VALU_DEP_1)
	v_lshrrev_b32_e32 v9, 16, v9
	v_cndmask_b32_e32 v8, 0x7fc0, v9, vcc_lo
	global_store_b16 v[4:5], v8, off
.LBB131_483:
	s_mov_b32 s3, 0
.LBB131_484:
	s_delay_alu instid0(SALU_CYCLE_1)
	s_and_b32 vcc_lo, exec_lo, s3
	s_mov_b32 s3, 0
	s_cbranch_vccz .LBB131_486
; %bb.485:
	v_cmp_ne_u16_e64 s0, 11, v6
	s_mov_b32 s3, -1
.LBB131_486:
	s_delay_alu instid0(VALU_DEP_1)
	s_and_b32 vcc_lo, exec_lo, s0
	s_cbranch_vccnz .LBB131_805
; %bb.487:
	s_and_not1_b32 vcc_lo, exec_lo, s3
	s_cbranch_vccnz .LBB131_489
.LBB131_488:
	v_cmp_neq_f64_e32 vcc_lo, 0, v[40:41]
	v_cmp_neq_f64_e64 s0, 0, v[42:43]
	s_mov_b32 s4, -1
	s_delay_alu instid0(VALU_DEP_1) | instskip(NEXT) | instid1(SALU_CYCLE_1)
	s_or_b32 s0, vcc_lo, s0
	v_cndmask_b32_e64 v8, 0, 1, s0
	global_store_b8 v[4:5], v8, off
.LBB131_489:
.LBB131_490:
	s_and_not1_b32 vcc_lo, exec_lo, s4
	s_cbranch_vccnz .LBB131_609
.LBB131_491:
	v_add_nc_u32_e32 v4, s2, v7
	v_cmp_gt_i16_e32 vcc_lo, 11, v6
	s_delay_alu instid0(VALU_DEP_2) | instskip(SKIP_1) | instid1(VALU_DEP_1)
	v_ashrrev_i32_e32 v5, 31, v4
	v_add_co_u32 v4, s0, s24, v4
	v_add_co_ci_u32_e64 v5, s0, s25, v5, s0
	s_cbranch_vccnz .LBB131_655
; %bb.492:
	v_cmp_lt_i16_e32 vcc_lo, 25, v6
	s_mov_b32 s3, -1
	s_mov_b32 s2, 0
	s_mov_b32 s0, 0
	s_cbranch_vccz .LBB131_525
; %bb.493:
	v_cmp_lt_i16_e32 vcc_lo, 28, v6
	s_cbranch_vccz .LBB131_509
; %bb.494:
	v_cmp_lt_i16_e32 vcc_lo, 43, v6
	s_cbranch_vccz .LBB131_505
; %bb.495:
	v_cmp_lt_i16_e32 vcc_lo, 45, v6
	s_cbranch_vccz .LBB131_499
; %bb.496:
	v_cmp_eq_u16_e32 vcc_lo, 46, v6
	s_mov_b32 s0, -1
	s_cbranch_vccz .LBB131_498
; %bb.497:
	v_cvt_f32_f64_e32 v7, v[2:3]
	v_cvt_f32_f64_e32 v8, v[0:1]
	s_mov_b32 s0, 0
	s_delay_alu instid0(VALU_DEP_2) | instskip(NEXT) | instid1(VALU_DEP_2)
	v_bfe_u32 v9, v7, 16, 1
	v_bfe_u32 v10, v8, 16, 1
	v_cmp_o_f32_e32 vcc_lo, v7, v7
	s_delay_alu instid0(VALU_DEP_3) | instskip(NEXT) | instid1(VALU_DEP_3)
	v_add3_u32 v9, v7, v9, 0x7fff
	v_add3_u32 v10, v8, v10, 0x7fff
	s_delay_alu instid0(VALU_DEP_2) | instskip(NEXT) | instid1(VALU_DEP_2)
	v_and_b32_e32 v9, 0xffff0000, v9
	v_lshrrev_b32_e32 v10, 16, v10
	s_delay_alu instid0(VALU_DEP_2) | instskip(SKIP_1) | instid1(VALU_DEP_3)
	v_cndmask_b32_e32 v7, 0x7fc00000, v9, vcc_lo
	v_cmp_o_f32_e32 vcc_lo, v8, v8
	v_cndmask_b32_e32 v8, 0x7fc0, v10, vcc_lo
	s_delay_alu instid0(VALU_DEP_1)
	v_or_b32_e32 v7, v7, v8
	global_store_b32 v[4:5], v7, off
.LBB131_498:
	s_mov_b32 s3, 0
.LBB131_499:
	s_delay_alu instid0(SALU_CYCLE_1)
	s_and_b32 vcc_lo, exec_lo, s3
	s_cbranch_vccz .LBB131_504
; %bb.500:
	v_cmp_eq_u16_e32 vcc_lo, 44, v6
	s_mov_b32 s0, -1
	s_cbranch_vccz .LBB131_504
; %bb.501:
	v_cvt_f32_f64_e32 v7, v[0:1]
	v_mov_b32_e32 v8, 0xff
	s_mov_b32 s3, exec_lo
	s_delay_alu instid0(VALU_DEP_2) | instskip(NEXT) | instid1(VALU_DEP_1)
	v_bfe_u32 v9, v7, 23, 8
	v_cmpx_ne_u32_e32 0xff, v9
; %bb.502:
	v_and_b32_e32 v8, 0x400000, v7
	v_and_or_b32 v9, 0x3fffff, v7, v9
	v_lshrrev_b32_e32 v7, 23, v7
	s_delay_alu instid0(VALU_DEP_3) | instskip(NEXT) | instid1(VALU_DEP_3)
	v_cmp_ne_u32_e32 vcc_lo, 0, v8
	v_cmp_ne_u32_e64 s0, 0, v9
	s_delay_alu instid0(VALU_DEP_1) | instskip(NEXT) | instid1(SALU_CYCLE_1)
	s_and_b32 s0, vcc_lo, s0
	v_cndmask_b32_e64 v8, 0, 1, s0
	s_delay_alu instid0(VALU_DEP_1)
	v_add_nc_u32_e32 v8, v7, v8
; %bb.503:
	s_or_b32 exec_lo, exec_lo, s3
	s_mov_b32 s0, 0
	global_store_b8 v[4:5], v8, off
.LBB131_504:
	s_mov_b32 s3, 0
.LBB131_505:
	s_delay_alu instid0(SALU_CYCLE_1)
	s_and_b32 vcc_lo, exec_lo, s3
	s_cbranch_vccz .LBB131_508
; %bb.506:
	v_cmp_eq_u16_e32 vcc_lo, 29, v6
	s_mov_b32 s0, -1
	s_cbranch_vccz .LBB131_508
; %bb.507:
	v_trunc_f64_e32 v[7:8], v[0:1]
	s_mov_b32 s0, 0
	s_delay_alu instid0(VALU_DEP_1) | instskip(NEXT) | instid1(VALU_DEP_1)
	v_ldexp_f64 v[9:10], v[7:8], 0xffffffe0
	v_floor_f64_e32 v[9:10], v[9:10]
	s_delay_alu instid0(VALU_DEP_1) | instskip(SKIP_1) | instid1(VALU_DEP_2)
	v_fma_f64 v[7:8], 0xc1f00000, v[9:10], v[7:8]
	v_cvt_u32_f64_e32 v9, v[9:10]
	v_cvt_u32_f64_e32 v8, v[7:8]
	global_store_b64 v[4:5], v[8:9], off
.LBB131_508:
	s_mov_b32 s3, 0
.LBB131_509:
	s_delay_alu instid0(SALU_CYCLE_1)
	s_and_b32 vcc_lo, exec_lo, s3
	s_cbranch_vccz .LBB131_524
; %bb.510:
	v_cmp_gt_i16_e32 vcc_lo, 27, v6
	s_mov_b32 s3, -1
	s_cbranch_vccnz .LBB131_516
; %bb.511:
	v_cvt_u32_f64_e32 v7, v[0:1]
	v_cmp_lt_i16_e32 vcc_lo, 27, v6
	s_cbranch_vccz .LBB131_513
; %bb.512:
	s_mov_b32 s3, 0
	global_store_b32 v[4:5], v7, off
.LBB131_513:
	s_and_not1_b32 vcc_lo, exec_lo, s3
	s_cbranch_vccnz .LBB131_515
; %bb.514:
	global_store_b16 v[4:5], v7, off
.LBB131_515:
	s_mov_b32 s3, 0
.LBB131_516:
	s_delay_alu instid0(SALU_CYCLE_1)
	s_and_not1_b32 vcc_lo, exec_lo, s3
	s_cbranch_vccnz .LBB131_524
; %bb.517:
	v_cvt_f32_f64_e32 v7, v[0:1]
	v_mov_b32_e32 v9, 0x80
	s_mov_b32 s3, exec_lo
	s_delay_alu instid0(VALU_DEP_2) | instskip(NEXT) | instid1(VALU_DEP_1)
	v_and_b32_e32 v8, 0x7fffffff, v7
	v_cmpx_gt_u32_e32 0x43800000, v8
	s_cbranch_execz .LBB131_523
; %bb.518:
	v_cmp_lt_u32_e32 vcc_lo, 0x3bffffff, v8
	s_mov_b32 s4, 0
                                        ; implicit-def: $vgpr8
	s_and_saveexec_b32 s5, vcc_lo
	s_delay_alu instid0(SALU_CYCLE_1)
	s_xor_b32 s5, exec_lo, s5
	s_cbranch_execz .LBB131_936
; %bb.519:
	v_bfe_u32 v8, v7, 20, 1
	s_mov_b32 s4, exec_lo
	s_delay_alu instid0(VALU_DEP_1) | instskip(NEXT) | instid1(VALU_DEP_1)
	v_add3_u32 v8, v7, v8, 0x487ffff
	v_lshrrev_b32_e32 v8, 20, v8
	s_or_saveexec_b32 s5, s5
                                        ; implicit-def: $sgpr6
	s_delay_alu instid0(SALU_CYCLE_1)
	s_xor_b32 exec_lo, exec_lo, s5
	s_cbranch_execnz .LBB131_937
.LBB131_520:
	s_or_b32 exec_lo, exec_lo, s5
	v_mov_b32_e32 v9, s6
	s_and_saveexec_b32 s5, s4
.LBB131_521:
	v_lshrrev_b32_e32 v7, 24, v7
	s_delay_alu instid0(VALU_DEP_1)
	v_and_or_b32 v9, 0x80, v7, v8
.LBB131_522:
	s_or_b32 exec_lo, exec_lo, s5
.LBB131_523:
	s_delay_alu instid0(SALU_CYCLE_1)
	s_or_b32 exec_lo, exec_lo, s3
	global_store_b8 v[4:5], v9, off
.LBB131_524:
	s_mov_b32 s3, 0
.LBB131_525:
	s_delay_alu instid0(SALU_CYCLE_1)
	s_and_b32 vcc_lo, exec_lo, s3
	s_cbranch_vccz .LBB131_565
; %bb.526:
	v_cmp_lt_i16_e32 vcc_lo, 22, v6
	s_mov_b32 s2, -1
	s_cbranch_vccz .LBB131_558
; %bb.527:
	v_cmp_gt_i16_e32 vcc_lo, 24, v6
	s_cbranch_vccnz .LBB131_547
; %bb.528:
	v_cmp_lt_i16_e32 vcc_lo, 24, v6
	s_cbranch_vccz .LBB131_536
; %bb.529:
	v_cvt_f32_f64_e32 v7, v[0:1]
	v_mov_b32_e32 v9, 0x80
	s_mov_b32 s2, exec_lo
	s_delay_alu instid0(VALU_DEP_2) | instskip(NEXT) | instid1(VALU_DEP_1)
	v_and_b32_e32 v8, 0x7fffffff, v7
	v_cmpx_gt_u32_e32 0x47800000, v8
	s_cbranch_execz .LBB131_535
; %bb.530:
	v_cmp_lt_u32_e32 vcc_lo, 0x37ffffff, v8
	s_mov_b32 s3, 0
                                        ; implicit-def: $vgpr8
	s_and_saveexec_b32 s4, vcc_lo
	s_delay_alu instid0(SALU_CYCLE_1)
	s_xor_b32 s4, exec_lo, s4
	s_cbranch_execz .LBB131_944
; %bb.531:
	v_bfe_u32 v8, v7, 21, 1
	s_mov_b32 s3, exec_lo
	s_delay_alu instid0(VALU_DEP_1) | instskip(NEXT) | instid1(VALU_DEP_1)
	v_add3_u32 v8, v7, v8, 0x88fffff
	v_lshrrev_b32_e32 v8, 21, v8
	s_or_saveexec_b32 s4, s4
                                        ; implicit-def: $sgpr5
	s_delay_alu instid0(SALU_CYCLE_1)
	s_xor_b32 exec_lo, exec_lo, s4
	s_cbranch_execnz .LBB131_945
.LBB131_532:
	s_or_b32 exec_lo, exec_lo, s4
	v_mov_b32_e32 v9, s5
	s_and_saveexec_b32 s4, s3
.LBB131_533:
	v_lshrrev_b32_e32 v7, 24, v7
	s_delay_alu instid0(VALU_DEP_1)
	v_and_or_b32 v9, 0x80, v7, v8
.LBB131_534:
	s_or_b32 exec_lo, exec_lo, s4
.LBB131_535:
	s_delay_alu instid0(SALU_CYCLE_1)
	s_or_b32 exec_lo, exec_lo, s2
	s_mov_b32 s2, 0
	global_store_b8 v[4:5], v9, off
.LBB131_536:
	s_and_b32 vcc_lo, exec_lo, s2
	s_cbranch_vccz .LBB131_546
; %bb.537:
	v_cvt_f32_f64_e32 v7, v[0:1]
	s_mov_b32 s2, exec_lo
                                        ; implicit-def: $vgpr8
	s_delay_alu instid0(VALU_DEP_1) | instskip(NEXT) | instid1(VALU_DEP_1)
	v_and_b32_e32 v9, 0x7fffffff, v7
	v_cmpx_gt_u32_e32 0x43f00000, v9
	s_xor_b32 s2, exec_lo, s2
	s_cbranch_execz .LBB131_543
; %bb.538:
	s_mov_b32 s3, exec_lo
                                        ; implicit-def: $vgpr8
	v_cmpx_lt_u32_e32 0x3c7fffff, v9
	s_xor_b32 s3, exec_lo, s3
; %bb.539:
	v_bfe_u32 v8, v7, 20, 1
	s_delay_alu instid0(VALU_DEP_1) | instskip(NEXT) | instid1(VALU_DEP_1)
	v_add3_u32 v8, v7, v8, 0x407ffff
	v_and_b32_e32 v9, 0xff00000, v8
	v_lshrrev_b32_e32 v8, 20, v8
	s_delay_alu instid0(VALU_DEP_2) | instskip(NEXT) | instid1(VALU_DEP_2)
	v_cmp_ne_u32_e32 vcc_lo, 0x7f00000, v9
	v_cndmask_b32_e32 v8, 0x7e, v8, vcc_lo
; %bb.540:
	s_and_not1_saveexec_b32 s3, s3
; %bb.541:
	v_add_f32_e64 v8, 0x46800000, |v7|
; %bb.542:
	s_or_b32 exec_lo, exec_lo, s3
                                        ; implicit-def: $vgpr9
.LBB131_543:
	s_and_not1_saveexec_b32 s2, s2
; %bb.544:
	v_mov_b32_e32 v8, 0x7f
	v_cmp_lt_u32_e32 vcc_lo, 0x7f800000, v9
	s_delay_alu instid0(VALU_DEP_2)
	v_cndmask_b32_e32 v8, 0x7e, v8, vcc_lo
; %bb.545:
	s_or_b32 exec_lo, exec_lo, s2
	v_lshrrev_b32_e32 v7, 24, v7
	s_delay_alu instid0(VALU_DEP_1)
	v_and_or_b32 v7, 0x80, v7, v8
	global_store_b8 v[4:5], v7, off
.LBB131_546:
	s_mov_b32 s2, 0
.LBB131_547:
	s_delay_alu instid0(SALU_CYCLE_1)
	s_and_not1_b32 vcc_lo, exec_lo, s2
	s_cbranch_vccnz .LBB131_557
; %bb.548:
	v_cvt_f32_f64_e32 v7, v[0:1]
	s_mov_b32 s2, exec_lo
                                        ; implicit-def: $vgpr8
	s_delay_alu instid0(VALU_DEP_1) | instskip(NEXT) | instid1(VALU_DEP_1)
	v_and_b32_e32 v9, 0x7fffffff, v7
	v_cmpx_gt_u32_e32 0x47800000, v9
	s_xor_b32 s2, exec_lo, s2
	s_cbranch_execz .LBB131_554
; %bb.549:
	s_mov_b32 s3, exec_lo
                                        ; implicit-def: $vgpr8
	v_cmpx_lt_u32_e32 0x387fffff, v9
	s_xor_b32 s3, exec_lo, s3
; %bb.550:
	v_bfe_u32 v8, v7, 21, 1
	s_delay_alu instid0(VALU_DEP_1) | instskip(NEXT) | instid1(VALU_DEP_1)
	v_add3_u32 v8, v7, v8, 0x80fffff
	v_lshrrev_b32_e32 v8, 21, v8
; %bb.551:
	s_and_not1_saveexec_b32 s3, s3
; %bb.552:
	v_add_f32_e64 v8, 0x43000000, |v7|
; %bb.553:
	s_or_b32 exec_lo, exec_lo, s3
                                        ; implicit-def: $vgpr9
.LBB131_554:
	s_and_not1_saveexec_b32 s2, s2
; %bb.555:
	v_mov_b32_e32 v8, 0x7f
	v_cmp_lt_u32_e32 vcc_lo, 0x7f800000, v9
	s_delay_alu instid0(VALU_DEP_2)
	v_cndmask_b32_e32 v8, 0x7c, v8, vcc_lo
; %bb.556:
	s_or_b32 exec_lo, exec_lo, s2
	v_lshrrev_b32_e32 v7, 24, v7
	s_delay_alu instid0(VALU_DEP_1)
	v_and_or_b32 v7, 0x80, v7, v8
	global_store_b8 v[4:5], v7, off
.LBB131_557:
	s_mov_b32 s2, 0
.LBB131_558:
	s_delay_alu instid0(SALU_CYCLE_1)
	s_and_not1_b32 vcc_lo, exec_lo, s2
	s_mov_b32 s2, 0
	s_cbranch_vccnz .LBB131_565
; %bb.559:
	v_cmp_lt_i16_e32 vcc_lo, 14, v6
	s_mov_b32 s2, -1
	s_cbranch_vccz .LBB131_563
; %bb.560:
	v_cmp_eq_u16_e32 vcc_lo, 15, v6
	s_mov_b32 s0, -1
	s_cbranch_vccz .LBB131_562
; %bb.561:
	v_cvt_f32_f64_e32 v7, v[0:1]
	s_mov_b32 s0, 0
	s_delay_alu instid0(VALU_DEP_1) | instskip(SKIP_1) | instid1(VALU_DEP_2)
	v_bfe_u32 v8, v7, 16, 1
	v_cmp_o_f32_e32 vcc_lo, v7, v7
	v_add3_u32 v8, v7, v8, 0x7fff
	s_delay_alu instid0(VALU_DEP_1) | instskip(NEXT) | instid1(VALU_DEP_1)
	v_lshrrev_b32_e32 v8, 16, v8
	v_cndmask_b32_e32 v7, 0x7fc0, v8, vcc_lo
	global_store_b16 v[4:5], v7, off
.LBB131_562:
	s_mov_b32 s2, 0
.LBB131_563:
	s_delay_alu instid0(SALU_CYCLE_1)
	s_and_b32 vcc_lo, exec_lo, s2
	s_mov_b32 s2, 0
	s_cbranch_vccz .LBB131_565
; %bb.564:
	v_cmp_ne_u16_e64 s0, 11, v6
	s_mov_b32 s2, -1
.LBB131_565:
	s_delay_alu instid0(VALU_DEP_1)
	s_and_b32 vcc_lo, exec_lo, s0
	s_cbranch_vccnz .LBB131_940
.LBB131_566:
	s_mov_b32 s0, 0
	s_branch .LBB131_610
.LBB131_567:
	s_mov_b32 s1, 0
	s_mov_b32 s0, s35
	s_cbranch_execnz .LBB131_744
.LBB131_568:
	s_and_not1_b32 vcc_lo, exec_lo, s1
	s_cbranch_vccnz .LBB131_782
.LBB131_569:
	v_add_nc_u32_e32 v60, 0x80, v60
	s_mov_b32 s1, -1
	s_branch .LBB131_783
.LBB131_570:
	s_mov_b32 s4, 0
	s_cbranch_execz .LBB131_490
; %bb.571:
	v_cmp_gt_i16_e32 vcc_lo, 5, v6
	s_mov_b32 s0, -1
	s_cbranch_vccnz .LBB131_592
; %bb.572:
	v_cmp_gt_i16_e32 vcc_lo, 8, v6
	s_cbranch_vccnz .LBB131_582
; %bb.573:
	v_cmp_gt_i16_e32 vcc_lo, 9, v6
	s_cbranch_vccnz .LBB131_579
; %bb.574:
	v_cmp_lt_i16_e32 vcc_lo, 9, v6
	s_cbranch_vccz .LBB131_576
; %bb.575:
	s_mov_b32 s0, 0
	global_store_b128 v[4:5], v[40:43], off
.LBB131_576:
	s_and_not1_b32 vcc_lo, exec_lo, s0
	s_cbranch_vccnz .LBB131_578
; %bb.577:
	v_cvt_f32_f64_e32 v8, v[40:41]
	v_cvt_f32_f64_e32 v9, v[42:43]
	global_store_b64 v[4:5], v[8:9], off
.LBB131_578:
	s_mov_b32 s0, 0
.LBB131_579:
	s_delay_alu instid0(SALU_CYCLE_1)
	s_and_not1_b32 vcc_lo, exec_lo, s0
	s_cbranch_vccnz .LBB131_581
; %bb.580:
	v_cvt_f32_f64_e32 v8, v[42:43]
	v_cvt_f32_f64_e32 v9, v[40:41]
	s_delay_alu instid0(VALU_DEP_2) | instskip(NEXT) | instid1(VALU_DEP_2)
	v_cvt_f16_f32_e32 v8, v8
	v_cvt_f16_f32_e32 v9, v9
	s_delay_alu instid0(VALU_DEP_2) | instskip(NEXT) | instid1(VALU_DEP_2)
	v_lshlrev_b32_e32 v8, 16, v8
	v_and_b32_e32 v9, 0xffff, v9
	s_delay_alu instid0(VALU_DEP_1)
	v_or_b32_e32 v8, v8, v9
	global_store_b32 v[4:5], v8, off
.LBB131_581:
	s_mov_b32 s0, 0
.LBB131_582:
	s_delay_alu instid0(SALU_CYCLE_1)
	s_and_not1_b32 vcc_lo, exec_lo, s0
	s_cbranch_vccnz .LBB131_591
; %bb.583:
	v_cmp_gt_i16_e32 vcc_lo, 6, v6
	s_mov_b32 s0, -1
	s_cbranch_vccnz .LBB131_589
; %bb.584:
	v_cmp_lt_i16_e32 vcc_lo, 6, v6
	s_cbranch_vccz .LBB131_586
; %bb.585:
	s_mov_b32 s0, 0
	global_store_b64 v[4:5], v[40:41], off
.LBB131_586:
	s_and_not1_b32 vcc_lo, exec_lo, s0
	s_cbranch_vccnz .LBB131_588
; %bb.587:
	v_cvt_f32_f64_e32 v8, v[40:41]
	global_store_b32 v[4:5], v8, off
.LBB131_588:
	s_mov_b32 s0, 0
.LBB131_589:
	s_delay_alu instid0(SALU_CYCLE_1)
	s_and_not1_b32 vcc_lo, exec_lo, s0
	s_cbranch_vccnz .LBB131_591
; %bb.590:
	v_cvt_f32_f64_e32 v8, v[40:41]
	s_delay_alu instid0(VALU_DEP_1)
	v_cvt_f16_f32_e32 v8, v8
	global_store_b16 v[4:5], v8, off
.LBB131_591:
	s_mov_b32 s0, 0
.LBB131_592:
	s_delay_alu instid0(SALU_CYCLE_1)
	s_and_not1_b32 vcc_lo, exec_lo, s0
	s_cbranch_vccnz .LBB131_608
; %bb.593:
	v_cmp_gt_i16_e32 vcc_lo, 2, v6
	s_mov_b32 s0, -1
	s_cbranch_vccnz .LBB131_603
; %bb.594:
	v_cmp_gt_i16_e32 vcc_lo, 3, v6
	s_cbranch_vccnz .LBB131_600
; %bb.595:
	v_cmp_lt_i16_e32 vcc_lo, 3, v6
	s_cbranch_vccz .LBB131_597
; %bb.596:
	v_trunc_f64_e32 v[8:9], v[40:41]
	s_mov_b32 s0, 0
	s_delay_alu instid0(VALU_DEP_1) | instskip(NEXT) | instid1(VALU_DEP_1)
	v_ldexp_f64 v[10:11], v[8:9], 0xffffffe0
	v_floor_f64_e32 v[10:11], v[10:11]
	s_delay_alu instid0(VALU_DEP_1) | instskip(SKIP_1) | instid1(VALU_DEP_2)
	v_fma_f64 v[8:9], 0xc1f00000, v[10:11], v[8:9]
	v_cvt_i32_f64_e32 v10, v[10:11]
	v_cvt_u32_f64_e32 v9, v[8:9]
	global_store_b64 v[4:5], v[9:10], off
.LBB131_597:
	s_and_not1_b32 vcc_lo, exec_lo, s0
	s_cbranch_vccnz .LBB131_599
; %bb.598:
	v_cvt_i32_f64_e32 v8, v[40:41]
	global_store_b32 v[4:5], v8, off
.LBB131_599:
	s_mov_b32 s0, 0
.LBB131_600:
	s_delay_alu instid0(SALU_CYCLE_1)
	s_and_not1_b32 vcc_lo, exec_lo, s0
	s_cbranch_vccnz .LBB131_602
; %bb.601:
	v_cvt_i32_f64_e32 v8, v[40:41]
	global_store_b16 v[4:5], v8, off
.LBB131_602:
	s_mov_b32 s0, 0
.LBB131_603:
	s_delay_alu instid0(SALU_CYCLE_1)
	s_and_not1_b32 vcc_lo, exec_lo, s0
	s_cbranch_vccnz .LBB131_608
; %bb.604:
	v_cmp_lt_i16_e32 vcc_lo, 0, v6
	s_mov_b32 s0, -1
	s_cbranch_vccz .LBB131_606
; %bb.605:
	v_cvt_i32_f64_e32 v8, v[40:41]
	s_mov_b32 s0, 0
	global_store_b8 v[4:5], v8, off
.LBB131_606:
	s_and_not1_b32 vcc_lo, exec_lo, s0
	s_cbranch_vccnz .LBB131_608
; %bb.607:
	v_trunc_f64_e32 v[8:9], v[40:41]
	s_delay_alu instid0(VALU_DEP_1) | instskip(NEXT) | instid1(VALU_DEP_1)
	v_ldexp_f64 v[10:11], v[8:9], 0xffffffe0
	v_floor_f64_e32 v[10:11], v[10:11]
	s_delay_alu instid0(VALU_DEP_1) | instskip(NEXT) | instid1(VALU_DEP_1)
	v_fma_f64 v[8:9], 0xc1f00000, v[10:11], v[8:9]
	v_cvt_u32_f64_e32 v8, v[8:9]
	global_store_b8 v[4:5], v8, off
.LBB131_608:
	s_branch .LBB131_491
.LBB131_609:
	s_mov_b32 s0, 0
	s_mov_b32 s2, 0
                                        ; implicit-def: $vgpr6
                                        ; implicit-def: $vgpr2_vgpr3
                                        ; implicit-def: $vgpr4_vgpr5
.LBB131_610:
	s_and_b32 s3, s0, exec_lo
	s_and_not1_b32 s0, s35, exec_lo
	s_and_b32 s1, s1, exec_lo
	s_and_b32 s33, s2, exec_lo
	s_or_b32 s35, s0, s1
.LBB131_611:
	s_or_b32 exec_lo, exec_lo, s34
	s_and_saveexec_b32 s0, s35
	s_cbranch_execz .LBB131_614
; %bb.612:
	; divergent unreachable
	s_or_b32 exec_lo, exec_lo, s0
	s_and_saveexec_b32 s0, s33
	s_delay_alu instid0(SALU_CYCLE_1)
	s_xor_b32 s1, exec_lo, s0
	s_cbranch_execnz .LBB131_615
.LBB131_613:
	s_or_b32 exec_lo, exec_lo, s1
	s_and_saveexec_b32 s0, s3
	s_cbranch_execnz .LBB131_616
	s_branch .LBB131_653
.LBB131_614:
	s_or_b32 exec_lo, exec_lo, s0
	s_and_saveexec_b32 s0, s33
	s_delay_alu instid0(SALU_CYCLE_1)
	s_xor_b32 s1, exec_lo, s0
	s_cbranch_execz .LBB131_613
.LBB131_615:
	v_cmp_neq_f64_e32 vcc_lo, 0, v[0:1]
	v_cmp_neq_f64_e64 s0, 0, v[2:3]
	s_delay_alu instid0(VALU_DEP_1) | instskip(NEXT) | instid1(SALU_CYCLE_1)
	s_or_b32 s0, vcc_lo, s0
	v_cndmask_b32_e64 v7, 0, 1, s0
	global_store_b8 v[4:5], v7, off
	s_or_b32 exec_lo, exec_lo, s1
	s_and_saveexec_b32 s0, s3
	s_cbranch_execz .LBB131_653
.LBB131_616:
	v_cmp_gt_i16_e32 vcc_lo, 5, v6
	s_mov_b32 s0, -1
	s_cbranch_vccnz .LBB131_637
; %bb.617:
	v_cmp_gt_i16_e32 vcc_lo, 8, v6
	s_cbranch_vccnz .LBB131_627
; %bb.618:
	v_cmp_gt_i16_e32 vcc_lo, 9, v6
	s_cbranch_vccnz .LBB131_624
; %bb.619:
	v_cmp_lt_i16_e32 vcc_lo, 9, v6
	s_cbranch_vccz .LBB131_621
; %bb.620:
	s_mov_b32 s0, 0
	global_store_b128 v[4:5], v[0:3], off
.LBB131_621:
	s_and_not1_b32 vcc_lo, exec_lo, s0
	s_cbranch_vccnz .LBB131_623
; %bb.622:
	v_cvt_f32_f64_e32 v7, v[0:1]
	v_cvt_f32_f64_e32 v8, v[2:3]
	global_store_b64 v[4:5], v[7:8], off
.LBB131_623:
	s_mov_b32 s0, 0
.LBB131_624:
	s_delay_alu instid0(SALU_CYCLE_1)
	s_and_not1_b32 vcc_lo, exec_lo, s0
	s_cbranch_vccnz .LBB131_626
; %bb.625:
	v_cvt_f32_f64_e32 v2, v[2:3]
	v_cvt_f32_f64_e32 v3, v[0:1]
	s_delay_alu instid0(VALU_DEP_2) | instskip(NEXT) | instid1(VALU_DEP_2)
	v_cvt_f16_f32_e32 v2, v2
	v_cvt_f16_f32_e32 v3, v3
	s_delay_alu instid0(VALU_DEP_2) | instskip(NEXT) | instid1(VALU_DEP_2)
	v_lshlrev_b32_e32 v2, 16, v2
	v_and_b32_e32 v3, 0xffff, v3
	s_delay_alu instid0(VALU_DEP_1)
	v_or_b32_e32 v2, v2, v3
	global_store_b32 v[4:5], v2, off
.LBB131_626:
	s_mov_b32 s0, 0
.LBB131_627:
	s_delay_alu instid0(SALU_CYCLE_1)
	s_and_not1_b32 vcc_lo, exec_lo, s0
	s_cbranch_vccnz .LBB131_636
; %bb.628:
	v_cmp_gt_i16_e32 vcc_lo, 6, v6
	s_mov_b32 s0, -1
	s_cbranch_vccnz .LBB131_634
; %bb.629:
	v_cmp_lt_i16_e32 vcc_lo, 6, v6
	s_cbranch_vccz .LBB131_631
; %bb.630:
	s_mov_b32 s0, 0
	global_store_b64 v[4:5], v[0:1], off
.LBB131_631:
	s_and_not1_b32 vcc_lo, exec_lo, s0
	s_cbranch_vccnz .LBB131_633
; %bb.632:
	v_cvt_f32_f64_e32 v2, v[0:1]
	global_store_b32 v[4:5], v2, off
.LBB131_633:
	s_mov_b32 s0, 0
.LBB131_634:
	s_delay_alu instid0(SALU_CYCLE_1)
	s_and_not1_b32 vcc_lo, exec_lo, s0
	s_cbranch_vccnz .LBB131_636
; %bb.635:
	v_cvt_f32_f64_e32 v2, v[0:1]
	s_delay_alu instid0(VALU_DEP_1)
	v_cvt_f16_f32_e32 v2, v2
	global_store_b16 v[4:5], v2, off
.LBB131_636:
	s_mov_b32 s0, 0
.LBB131_637:
	s_delay_alu instid0(SALU_CYCLE_1)
	s_and_not1_b32 vcc_lo, exec_lo, s0
	s_cbranch_vccnz .LBB131_653
; %bb.638:
	v_cmp_gt_i16_e32 vcc_lo, 2, v6
	s_mov_b32 s0, -1
	s_cbranch_vccnz .LBB131_648
; %bb.639:
	v_cmp_gt_i16_e32 vcc_lo, 3, v6
	s_cbranch_vccnz .LBB131_645
; %bb.640:
	v_cmp_lt_i16_e32 vcc_lo, 3, v6
	s_cbranch_vccz .LBB131_642
; %bb.641:
	v_trunc_f64_e32 v[2:3], v[0:1]
	s_mov_b32 s0, 0
	s_delay_alu instid0(VALU_DEP_1) | instskip(NEXT) | instid1(VALU_DEP_1)
	v_ldexp_f64 v[7:8], v[2:3], 0xffffffe0
	v_floor_f64_e32 v[7:8], v[7:8]
	s_delay_alu instid0(VALU_DEP_1) | instskip(SKIP_1) | instid1(VALU_DEP_2)
	v_fma_f64 v[2:3], 0xc1f00000, v[7:8], v[2:3]
	v_cvt_i32_f64_e32 v8, v[7:8]
	v_cvt_u32_f64_e32 v7, v[2:3]
	global_store_b64 v[4:5], v[7:8], off
.LBB131_642:
	s_and_not1_b32 vcc_lo, exec_lo, s0
	s_cbranch_vccnz .LBB131_644
; %bb.643:
	v_cvt_i32_f64_e32 v2, v[0:1]
	global_store_b32 v[4:5], v2, off
.LBB131_644:
	s_mov_b32 s0, 0
.LBB131_645:
	s_delay_alu instid0(SALU_CYCLE_1)
	s_and_not1_b32 vcc_lo, exec_lo, s0
	s_cbranch_vccnz .LBB131_647
; %bb.646:
	v_cvt_i32_f64_e32 v2, v[0:1]
	global_store_b16 v[4:5], v2, off
.LBB131_647:
	s_mov_b32 s0, 0
.LBB131_648:
	s_delay_alu instid0(SALU_CYCLE_1)
	s_and_not1_b32 vcc_lo, exec_lo, s0
	s_cbranch_vccnz .LBB131_653
; %bb.649:
	v_cmp_lt_i16_e32 vcc_lo, 0, v6
	s_mov_b32 s0, -1
	s_cbranch_vccz .LBB131_651
; %bb.650:
	v_cvt_i32_f64_e32 v2, v[0:1]
	s_mov_b32 s0, 0
	global_store_b8 v[4:5], v2, off
.LBB131_651:
	s_and_not1_b32 vcc_lo, exec_lo, s0
	s_cbranch_vccnz .LBB131_653
; %bb.652:
	v_trunc_f64_e32 v[0:1], v[0:1]
	s_delay_alu instid0(VALU_DEP_1) | instskip(NEXT) | instid1(VALU_DEP_1)
	v_ldexp_f64 v[2:3], v[0:1], 0xffffffe0
	v_floor_f64_e32 v[2:3], v[2:3]
	s_delay_alu instid0(VALU_DEP_1) | instskip(NEXT) | instid1(VALU_DEP_1)
	v_fma_f64 v[0:1], 0xc1f00000, v[2:3], v[0:1]
	v_cvt_u32_f64_e32 v0, v[0:1]
	global_store_b8 v[4:5], v0, off
	s_endpgm
.LBB131_653:
	s_endpgm
.LBB131_654:
	s_mov_b32 s2, -1
	s_mov_b32 s1, 0
	s_mov_b32 s0, s35
	s_branch .LBB131_702
.LBB131_655:
	s_mov_b32 s2, 0
	s_mov_b32 s0, -1
	s_branch .LBB131_610
.LBB131_656:
	s_mov_b32 s2, -1
	s_mov_b32 s1, 0
	s_mov_b32 s0, s35
	s_branch .LBB131_685
.LBB131_657:
	s_or_saveexec_b32 s4, s4
                                        ; implicit-def: $sgpr5
	s_delay_alu instid0(SALU_CYCLE_1)
	s_xor_b32 exec_lo, exec_lo, s4
	s_cbranch_execz .LBB131_204
.LBB131_658:
	v_add_f32_e64 v9, 0x46000000, |v8|
	s_and_not1_b32 s3, s3, exec_lo
	s_mov_b32 s5, 0
	s_delay_alu instid0(VALU_DEP_1) | instskip(NEXT) | instid1(VALU_DEP_1)
	v_and_b32_e32 v9, 0xff, v9
	v_cmp_ne_u32_e32 vcc_lo, 0, v9
	s_and_b32 s6, vcc_lo, exec_lo
	s_delay_alu instid0(SALU_CYCLE_1)
	s_or_b32 s3, s3, s6
	s_or_b32 exec_lo, exec_lo, s4
	v_mov_b32_e32 v10, s5
	s_and_saveexec_b32 s4, s3
	s_cbranch_execnz .LBB131_205
	s_branch .LBB131_206
.LBB131_659:
	s_cbranch_execnz .LBB131_668
; %bb.660:
	s_or_b32 s1, s35, exec_lo
	s_cbranch_execz .LBB131_252
	s_branch .LBB131_253
.LBB131_661:
	s_or_saveexec_b32 s3, s3
                                        ; implicit-def: $sgpr4
	s_delay_alu instid0(SALU_CYCLE_1)
	s_xor_b32 exec_lo, exec_lo, s3
	s_cbranch_execz .LBB131_37
.LBB131_662:
	v_add_f32_e64 v8, 0x46000000, |v7|
	s_and_not1_b32 s2, s2, exec_lo
	s_mov_b32 s4, 0
	s_delay_alu instid0(VALU_DEP_1) | instskip(NEXT) | instid1(VALU_DEP_1)
	v_and_b32_e32 v8, 0xff, v8
	v_cmp_ne_u32_e32 vcc_lo, 0, v8
	s_and_b32 s5, vcc_lo, exec_lo
	s_delay_alu instid0(SALU_CYCLE_1)
	s_or_b32 s2, s2, s5
	s_or_b32 exec_lo, exec_lo, s3
	v_mov_b32_e32 v9, s4
	s_and_saveexec_b32 s3, s2
	s_cbranch_execnz .LBB131_38
	s_branch .LBB131_39
.LBB131_663:
	s_mov_b32 s2, -1
	s_mov_b32 s1, 0
	s_mov_b32 s0, s35
	s_branch .LBB131_681
.LBB131_664:
	s_or_saveexec_b32 s3, s3
                                        ; implicit-def: $sgpr4
	s_delay_alu instid0(SALU_CYCLE_1)
	s_xor_b32 exec_lo, exec_lo, s3
	s_cbranch_execz .LBB131_217
.LBB131_665:
	v_add_f32_e64 v9, 0x42800000, |v8|
	s_and_not1_b32 s2, s2, exec_lo
	s_mov_b32 s4, 0
	s_delay_alu instid0(VALU_DEP_1) | instskip(NEXT) | instid1(VALU_DEP_1)
	v_and_b32_e32 v9, 0xff, v9
	v_cmp_ne_u32_e32 vcc_lo, 0, v9
	s_and_b32 s5, vcc_lo, exec_lo
	s_delay_alu instid0(SALU_CYCLE_1)
	s_or_b32 s2, s2, s5
	s_or_b32 exec_lo, exec_lo, s3
	v_mov_b32_e32 v10, s4
	s_and_saveexec_b32 s3, s2
	s_cbranch_execnz .LBB131_218
	s_branch .LBB131_219
.LBB131_666:
	s_or_saveexec_b32 s6, s6
                                        ; implicit-def: $sgpr7
	s_delay_alu instid0(SALU_CYCLE_1)
	s_xor_b32 exec_lo, exec_lo, s6
	s_cbranch_execz .LBB131_322
.LBB131_667:
	v_add_f32_e64 v9, 0x46000000, |v8|
	s_and_not1_b32 s5, s5, exec_lo
	s_mov_b32 s7, 0
	s_delay_alu instid0(VALU_DEP_1) | instskip(NEXT) | instid1(VALU_DEP_1)
	v_and_b32_e32 v9, 0xff, v9
	v_cmp_ne_u32_e32 vcc_lo, 0, v9
	s_and_b32 s8, vcc_lo, exec_lo
	s_delay_alu instid0(SALU_CYCLE_1)
	s_or_b32 s5, s5, s8
	s_or_b32 exec_lo, exec_lo, s6
	v_mov_b32_e32 v10, s7
	s_and_saveexec_b32 s6, s5
	s_cbranch_execnz .LBB131_323
	s_branch .LBB131_324
.LBB131_668:
	s_trap 2
	s_sendmsg_rtn_b32 s0, sendmsg(MSG_RTN_GET_DOORBELL)
	s_mov_b32 ttmp2, m0
	s_waitcnt lgkmcnt(0)
	s_and_b32 s0, s0, 0x3ff
	s_delay_alu instid0(SALU_CYCLE_1) | instskip(NEXT) | instid1(SALU_CYCLE_1)
	s_bitset1_b32 s0, 10
	s_mov_b32 m0, s0
	s_sendmsg sendmsg(MSG_INTERRUPT)
	s_mov_b32 m0, ttmp2
.LBB131_669:                            ; =>This Inner Loop Header: Depth=1
	s_sethalt 5
	s_branch .LBB131_669
.LBB131_670:
	s_cbranch_execnz .LBB131_803
; %bb.671:
	s_or_b32 s1, s1, exec_lo
	s_cbranch_execz .LBB131_370
	s_branch .LBB131_371
.LBB131_672:
	s_or_saveexec_b32 s3, s3
                                        ; implicit-def: $sgpr4
	s_delay_alu instid0(SALU_CYCLE_1)
	s_xor_b32 exec_lo, exec_lo, s3
	s_cbranch_execz .LBB131_49
.LBB131_673:
	v_add_f32_e64 v8, 0x42800000, |v7|
	s_and_not1_b32 s2, s2, exec_lo
	s_mov_b32 s4, 0
	s_delay_alu instid0(VALU_DEP_1) | instskip(NEXT) | instid1(VALU_DEP_1)
	v_and_b32_e32 v8, 0xff, v8
	v_cmp_ne_u32_e32 vcc_lo, 0, v8
	s_and_b32 s5, vcc_lo, exec_lo
	s_delay_alu instid0(SALU_CYCLE_1)
	s_or_b32 s2, s2, s5
	s_or_b32 exec_lo, exec_lo, s3
	v_mov_b32_e32 v9, s4
	s_and_saveexec_b32 s3, s2
	s_cbranch_execnz .LBB131_50
	s_branch .LBB131_51
.LBB131_674:
	s_mov_b32 s2, -1
	s_mov_b32 s1, 0
	s_mov_b32 s0, s35
.LBB131_675:
	s_and_b32 vcc_lo, exec_lo, s2
	s_cbranch_vccz .LBB131_680
; %bb.676:
	v_cmp_eq_u16_e32 vcc_lo, 44, v6
	s_mov_b32 s0, -1
	s_cbranch_vccz .LBB131_680
; %bb.677:
	v_cvt_f32_f64_e32 v7, v[0:1]
	v_mov_b32_e32 v8, 0xff
	s_mov_b32 s1, exec_lo
	s_delay_alu instid0(VALU_DEP_2) | instskip(NEXT) | instid1(VALU_DEP_1)
	v_bfe_u32 v9, v7, 23, 8
	v_cmpx_ne_u32_e32 0xff, v9
; %bb.678:
	v_and_b32_e32 v8, 0x400000, v7
	v_and_or_b32 v9, 0x3fffff, v7, v9
	v_lshrrev_b32_e32 v7, 23, v7
	s_delay_alu instid0(VALU_DEP_3) | instskip(NEXT) | instid1(VALU_DEP_3)
	v_cmp_ne_u32_e32 vcc_lo, 0, v8
	v_cmp_ne_u32_e64 s0, 0, v9
	s_delay_alu instid0(VALU_DEP_1) | instskip(NEXT) | instid1(SALU_CYCLE_1)
	s_and_b32 s0, vcc_lo, s0
	v_cndmask_b32_e64 v8, 0, 1, s0
	s_delay_alu instid0(VALU_DEP_1)
	v_add_nc_u32_e32 v8, v7, v8
; %bb.679:
	s_or_b32 exec_lo, exec_lo, s1
	s_mov_b32 s1, -1
	s_mov_b32 s0, 0
	global_store_b8 v[4:5], v8, off
.LBB131_680:
	s_mov_b32 s2, 0
.LBB131_681:
	s_delay_alu instid0(SALU_CYCLE_1)
	s_and_b32 vcc_lo, exec_lo, s2
	s_cbranch_vccz .LBB131_684
; %bb.682:
	v_cmp_eq_u16_e32 vcc_lo, 29, v6
	s_mov_b32 s0, -1
	s_cbranch_vccz .LBB131_684
; %bb.683:
	v_trunc_f64_e32 v[7:8], v[0:1]
	s_mov_b32 s1, -1
	s_mov_b32 s0, 0
	s_mov_b32 s2, 0
	s_delay_alu instid0(VALU_DEP_1) | instskip(NEXT) | instid1(VALU_DEP_1)
	v_ldexp_f64 v[9:10], v[7:8], 0xffffffe0
	v_floor_f64_e32 v[9:10], v[9:10]
	s_delay_alu instid0(VALU_DEP_1) | instskip(SKIP_1) | instid1(VALU_DEP_2)
	v_fma_f64 v[7:8], 0xc1f00000, v[9:10], v[7:8]
	v_cvt_u32_f64_e32 v9, v[9:10]
	v_cvt_u32_f64_e32 v8, v[7:8]
	global_store_b64 v[4:5], v[8:9], off
	s_branch .LBB131_685
.LBB131_684:
	s_mov_b32 s2, 0
.LBB131_685:
	s_delay_alu instid0(SALU_CYCLE_1)
	s_and_b32 vcc_lo, exec_lo, s2
	s_cbranch_vccz .LBB131_701
; %bb.686:
	v_cmp_gt_i16_e32 vcc_lo, 27, v6
	s_mov_b32 s1, -1
	s_cbranch_vccnz .LBB131_692
; %bb.687:
	v_cmp_lt_i16_e32 vcc_lo, 27, v6
	s_cbranch_vccz .LBB131_689
; %bb.688:
	v_cvt_u32_f64_e32 v7, v[0:1]
	s_mov_b32 s1, 0
	global_store_b32 v[4:5], v7, off
.LBB131_689:
	s_and_not1_b32 vcc_lo, exec_lo, s1
	s_cbranch_vccnz .LBB131_691
; %bb.690:
	v_cvt_u32_f64_e32 v7, v[0:1]
	global_store_b16 v[4:5], v7, off
.LBB131_691:
	s_mov_b32 s1, 0
.LBB131_692:
	s_delay_alu instid0(SALU_CYCLE_1)
	s_and_not1_b32 vcc_lo, exec_lo, s1
	s_cbranch_vccnz .LBB131_700
; %bb.693:
	v_cvt_f32_f64_e32 v7, v[0:1]
	v_mov_b32_e32 v9, 0x80
	s_mov_b32 s1, exec_lo
	s_delay_alu instid0(VALU_DEP_2) | instskip(NEXT) | instid1(VALU_DEP_1)
	v_and_b32_e32 v8, 0x7fffffff, v7
	v_cmpx_gt_u32_e32 0x43800000, v8
	s_cbranch_execz .LBB131_699
; %bb.694:
	v_cmp_lt_u32_e32 vcc_lo, 0x3bffffff, v8
	s_mov_b32 s2, 0
                                        ; implicit-def: $vgpr8
	s_and_saveexec_b32 s3, vcc_lo
	s_delay_alu instid0(SALU_CYCLE_1)
	s_xor_b32 s3, exec_lo, s3
	s_cbranch_execz .LBB131_796
; %bb.695:
	v_bfe_u32 v8, v7, 20, 1
	s_mov_b32 s2, exec_lo
	s_delay_alu instid0(VALU_DEP_1) | instskip(NEXT) | instid1(VALU_DEP_1)
	v_add3_u32 v8, v7, v8, 0x487ffff
	v_lshrrev_b32_e32 v8, 20, v8
	s_or_saveexec_b32 s3, s3
                                        ; implicit-def: $sgpr4
	s_delay_alu instid0(SALU_CYCLE_1)
	s_xor_b32 exec_lo, exec_lo, s3
	s_cbranch_execnz .LBB131_797
.LBB131_696:
	s_or_b32 exec_lo, exec_lo, s3
	v_mov_b32_e32 v9, s4
	s_and_saveexec_b32 s3, s2
.LBB131_697:
	v_lshrrev_b32_e32 v7, 24, v7
	s_delay_alu instid0(VALU_DEP_1)
	v_and_or_b32 v9, 0x80, v7, v8
.LBB131_698:
	s_or_b32 exec_lo, exec_lo, s3
.LBB131_699:
	s_delay_alu instid0(SALU_CYCLE_1)
	s_or_b32 exec_lo, exec_lo, s1
	global_store_b8 v[4:5], v9, off
.LBB131_700:
	s_mov_b32 s1, -1
.LBB131_701:
	s_mov_b32 s2, 0
.LBB131_702:
	s_delay_alu instid0(SALU_CYCLE_1)
	s_and_b32 vcc_lo, exec_lo, s2
	s_cbranch_vccz .LBB131_743
; %bb.703:
	v_cmp_lt_i16_e32 vcc_lo, 22, v6
	s_mov_b32 s2, -1
	s_cbranch_vccz .LBB131_735
; %bb.704:
	v_cmp_gt_i16_e32 vcc_lo, 24, v6
	s_mov_b32 s1, -1
	s_cbranch_vccnz .LBB131_724
; %bb.705:
	v_cmp_lt_i16_e32 vcc_lo, 24, v6
	s_cbranch_vccz .LBB131_713
; %bb.706:
	v_cvt_f32_f64_e32 v7, v[0:1]
	v_mov_b32_e32 v9, 0x80
	s_mov_b32 s1, exec_lo
	s_delay_alu instid0(VALU_DEP_2) | instskip(NEXT) | instid1(VALU_DEP_1)
	v_and_b32_e32 v8, 0x7fffffff, v7
	v_cmpx_gt_u32_e32 0x47800000, v8
	s_cbranch_execz .LBB131_712
; %bb.707:
	v_cmp_lt_u32_e32 vcc_lo, 0x37ffffff, v8
	s_mov_b32 s2, 0
                                        ; implicit-def: $vgpr8
	s_and_saveexec_b32 s3, vcc_lo
	s_delay_alu instid0(SALU_CYCLE_1)
	s_xor_b32 s3, exec_lo, s3
	s_cbranch_execz .LBB131_807
; %bb.708:
	v_bfe_u32 v8, v7, 21, 1
	s_mov_b32 s2, exec_lo
	s_delay_alu instid0(VALU_DEP_1) | instskip(NEXT) | instid1(VALU_DEP_1)
	v_add3_u32 v8, v7, v8, 0x88fffff
	v_lshrrev_b32_e32 v8, 21, v8
	s_or_saveexec_b32 s3, s3
                                        ; implicit-def: $sgpr4
	s_delay_alu instid0(SALU_CYCLE_1)
	s_xor_b32 exec_lo, exec_lo, s3
	s_cbranch_execnz .LBB131_808
.LBB131_709:
	s_or_b32 exec_lo, exec_lo, s3
	v_mov_b32_e32 v9, s4
	s_and_saveexec_b32 s3, s2
.LBB131_710:
	v_lshrrev_b32_e32 v7, 24, v7
	s_delay_alu instid0(VALU_DEP_1)
	v_and_or_b32 v9, 0x80, v7, v8
.LBB131_711:
	s_or_b32 exec_lo, exec_lo, s3
.LBB131_712:
	s_delay_alu instid0(SALU_CYCLE_1)
	s_or_b32 exec_lo, exec_lo, s1
	s_mov_b32 s1, 0
	global_store_b8 v[4:5], v9, off
.LBB131_713:
	s_and_b32 vcc_lo, exec_lo, s1
	s_cbranch_vccz .LBB131_723
; %bb.714:
	v_cvt_f32_f64_e32 v7, v[0:1]
	s_mov_b32 s1, exec_lo
                                        ; implicit-def: $vgpr8
	s_delay_alu instid0(VALU_DEP_1) | instskip(NEXT) | instid1(VALU_DEP_1)
	v_and_b32_e32 v9, 0x7fffffff, v7
	v_cmpx_gt_u32_e32 0x43f00000, v9
	s_xor_b32 s1, exec_lo, s1
	s_cbranch_execz .LBB131_720
; %bb.715:
	s_mov_b32 s2, exec_lo
                                        ; implicit-def: $vgpr8
	v_cmpx_lt_u32_e32 0x3c7fffff, v9
	s_xor_b32 s2, exec_lo, s2
; %bb.716:
	v_bfe_u32 v8, v7, 20, 1
	s_delay_alu instid0(VALU_DEP_1) | instskip(NEXT) | instid1(VALU_DEP_1)
	v_add3_u32 v8, v7, v8, 0x407ffff
	v_and_b32_e32 v9, 0xff00000, v8
	v_lshrrev_b32_e32 v8, 20, v8
	s_delay_alu instid0(VALU_DEP_2) | instskip(NEXT) | instid1(VALU_DEP_2)
	v_cmp_ne_u32_e32 vcc_lo, 0x7f00000, v9
	v_cndmask_b32_e32 v8, 0x7e, v8, vcc_lo
; %bb.717:
	s_and_not1_saveexec_b32 s2, s2
; %bb.718:
	v_add_f32_e64 v8, 0x46800000, |v7|
; %bb.719:
	s_or_b32 exec_lo, exec_lo, s2
                                        ; implicit-def: $vgpr9
.LBB131_720:
	s_and_not1_saveexec_b32 s1, s1
; %bb.721:
	v_mov_b32_e32 v8, 0x7f
	v_cmp_lt_u32_e32 vcc_lo, 0x7f800000, v9
	s_delay_alu instid0(VALU_DEP_2)
	v_cndmask_b32_e32 v8, 0x7e, v8, vcc_lo
; %bb.722:
	s_or_b32 exec_lo, exec_lo, s1
	v_lshrrev_b32_e32 v7, 24, v7
	s_delay_alu instid0(VALU_DEP_1)
	v_and_or_b32 v7, 0x80, v7, v8
	global_store_b8 v[4:5], v7, off
.LBB131_723:
	s_mov_b32 s1, 0
.LBB131_724:
	s_delay_alu instid0(SALU_CYCLE_1)
	s_and_not1_b32 vcc_lo, exec_lo, s1
	s_cbranch_vccnz .LBB131_734
; %bb.725:
	v_cvt_f32_f64_e32 v7, v[0:1]
	s_mov_b32 s1, exec_lo
                                        ; implicit-def: $vgpr8
	s_delay_alu instid0(VALU_DEP_1) | instskip(NEXT) | instid1(VALU_DEP_1)
	v_and_b32_e32 v9, 0x7fffffff, v7
	v_cmpx_gt_u32_e32 0x47800000, v9
	s_xor_b32 s1, exec_lo, s1
	s_cbranch_execz .LBB131_731
; %bb.726:
	s_mov_b32 s2, exec_lo
                                        ; implicit-def: $vgpr8
	v_cmpx_lt_u32_e32 0x387fffff, v9
	s_xor_b32 s2, exec_lo, s2
; %bb.727:
	v_bfe_u32 v8, v7, 21, 1
	s_delay_alu instid0(VALU_DEP_1) | instskip(NEXT) | instid1(VALU_DEP_1)
	v_add3_u32 v8, v7, v8, 0x80fffff
	v_lshrrev_b32_e32 v8, 21, v8
; %bb.728:
	s_and_not1_saveexec_b32 s2, s2
; %bb.729:
	v_add_f32_e64 v8, 0x43000000, |v7|
; %bb.730:
	s_or_b32 exec_lo, exec_lo, s2
                                        ; implicit-def: $vgpr9
.LBB131_731:
	s_and_not1_saveexec_b32 s1, s1
; %bb.732:
	v_mov_b32_e32 v8, 0x7f
	v_cmp_lt_u32_e32 vcc_lo, 0x7f800000, v9
	s_delay_alu instid0(VALU_DEP_2)
	v_cndmask_b32_e32 v8, 0x7c, v8, vcc_lo
; %bb.733:
	s_or_b32 exec_lo, exec_lo, s1
	v_lshrrev_b32_e32 v7, 24, v7
	s_delay_alu instid0(VALU_DEP_1)
	v_and_or_b32 v7, 0x80, v7, v8
	global_store_b8 v[4:5], v7, off
.LBB131_734:
	s_mov_b32 s2, 0
	s_mov_b32 s1, -1
.LBB131_735:
	s_and_not1_b32 vcc_lo, exec_lo, s2
	s_cbranch_vccnz .LBB131_743
; %bb.736:
	v_cmp_lt_i16_e32 vcc_lo, 14, v6
	s_mov_b32 s2, -1
	s_cbranch_vccz .LBB131_740
; %bb.737:
	v_cmp_eq_u16_e32 vcc_lo, 15, v6
	s_mov_b32 s0, -1
	s_cbranch_vccz .LBB131_739
; %bb.738:
	v_cvt_f32_f64_e32 v7, v[0:1]
	s_mov_b32 s1, -1
	s_mov_b32 s0, 0
	s_delay_alu instid0(VALU_DEP_1) | instskip(SKIP_1) | instid1(VALU_DEP_2)
	v_bfe_u32 v8, v7, 16, 1
	v_cmp_o_f32_e32 vcc_lo, v7, v7
	v_add3_u32 v8, v7, v8, 0x7fff
	s_delay_alu instid0(VALU_DEP_1) | instskip(NEXT) | instid1(VALU_DEP_1)
	v_lshrrev_b32_e32 v8, 16, v8
	v_cndmask_b32_e32 v7, 0x7fc0, v8, vcc_lo
	global_store_b16 v[4:5], v7, off
.LBB131_739:
	s_mov_b32 s2, 0
.LBB131_740:
	s_delay_alu instid0(SALU_CYCLE_1)
	s_and_b32 vcc_lo, exec_lo, s2
	s_cbranch_vccz .LBB131_743
; %bb.741:
	v_cmp_eq_u16_e32 vcc_lo, 11, v6
	s_mov_b32 s0, -1
	s_cbranch_vccz .LBB131_743
; %bb.742:
	v_cmp_neq_f64_e32 vcc_lo, 0, v[0:1]
	v_cmp_neq_f64_e64 s0, 0, v[2:3]
	s_mov_b32 s1, -1
	s_delay_alu instid0(VALU_DEP_1) | instskip(NEXT) | instid1(SALU_CYCLE_1)
	s_or_b32 s0, vcc_lo, s0
	v_cndmask_b32_e64 v7, 0, 1, s0
	s_mov_b32 s0, 0
	global_store_b8 v[4:5], v7, off
.LBB131_743:
	s_branch .LBB131_568
.LBB131_744:
	v_cmp_gt_i16_e32 vcc_lo, 5, v6
	s_mov_b32 s1, -1
	s_cbranch_vccnz .LBB131_765
; %bb.745:
	v_cmp_gt_i16_e32 vcc_lo, 8, v6
	s_cbranch_vccnz .LBB131_755
; %bb.746:
	v_cmp_gt_i16_e32 vcc_lo, 9, v6
	s_cbranch_vccnz .LBB131_752
; %bb.747:
	v_cmp_lt_i16_e32 vcc_lo, 9, v6
	s_cbranch_vccz .LBB131_749
; %bb.748:
	s_mov_b32 s1, 0
	global_store_b128 v[4:5], v[0:3], off
.LBB131_749:
	s_and_not1_b32 vcc_lo, exec_lo, s1
	s_cbranch_vccnz .LBB131_751
; %bb.750:
	v_cvt_f32_f64_e32 v7, v[0:1]
	v_cvt_f32_f64_e32 v8, v[2:3]
	global_store_b64 v[4:5], v[7:8], off
.LBB131_751:
	s_mov_b32 s1, 0
.LBB131_752:
	s_delay_alu instid0(SALU_CYCLE_1)
	s_and_not1_b32 vcc_lo, exec_lo, s1
	s_cbranch_vccnz .LBB131_754
; %bb.753:
	v_cvt_f32_f64_e32 v2, v[2:3]
	v_cvt_f32_f64_e32 v3, v[0:1]
	s_delay_alu instid0(VALU_DEP_2) | instskip(NEXT) | instid1(VALU_DEP_2)
	v_cvt_f16_f32_e32 v2, v2
	v_cvt_f16_f32_e32 v3, v3
	s_delay_alu instid0(VALU_DEP_2) | instskip(NEXT) | instid1(VALU_DEP_2)
	v_lshlrev_b32_e32 v2, 16, v2
	v_and_b32_e32 v3, 0xffff, v3
	s_delay_alu instid0(VALU_DEP_1)
	v_or_b32_e32 v2, v2, v3
	global_store_b32 v[4:5], v2, off
.LBB131_754:
	s_mov_b32 s1, 0
.LBB131_755:
	s_delay_alu instid0(SALU_CYCLE_1)
	s_and_not1_b32 vcc_lo, exec_lo, s1
	s_cbranch_vccnz .LBB131_764
; %bb.756:
	v_cmp_gt_i16_e32 vcc_lo, 6, v6
	s_mov_b32 s1, -1
	s_cbranch_vccnz .LBB131_762
; %bb.757:
	v_cmp_lt_i16_e32 vcc_lo, 6, v6
	s_cbranch_vccz .LBB131_759
; %bb.758:
	s_mov_b32 s1, 0
	global_store_b64 v[4:5], v[0:1], off
.LBB131_759:
	s_and_not1_b32 vcc_lo, exec_lo, s1
	s_cbranch_vccnz .LBB131_761
; %bb.760:
	v_cvt_f32_f64_e32 v2, v[0:1]
	global_store_b32 v[4:5], v2, off
.LBB131_761:
	s_mov_b32 s1, 0
.LBB131_762:
	s_delay_alu instid0(SALU_CYCLE_1)
	s_and_not1_b32 vcc_lo, exec_lo, s1
	s_cbranch_vccnz .LBB131_764
; %bb.763:
	v_cvt_f32_f64_e32 v2, v[0:1]
	s_delay_alu instid0(VALU_DEP_1)
	v_cvt_f16_f32_e32 v2, v2
	global_store_b16 v[4:5], v2, off
.LBB131_764:
	s_mov_b32 s1, 0
.LBB131_765:
	s_delay_alu instid0(SALU_CYCLE_1)
	s_and_not1_b32 vcc_lo, exec_lo, s1
	s_cbranch_vccnz .LBB131_781
; %bb.766:
	v_cmp_gt_i16_e32 vcc_lo, 2, v6
	s_mov_b32 s1, -1
	s_cbranch_vccnz .LBB131_776
; %bb.767:
	v_cmp_gt_i16_e32 vcc_lo, 3, v6
	s_cbranch_vccnz .LBB131_773
; %bb.768:
	v_cmp_lt_i16_e32 vcc_lo, 3, v6
	s_cbranch_vccz .LBB131_770
; %bb.769:
	v_trunc_f64_e32 v[2:3], v[0:1]
	s_mov_b32 s1, 0
	s_delay_alu instid0(VALU_DEP_1) | instskip(NEXT) | instid1(VALU_DEP_1)
	v_ldexp_f64 v[7:8], v[2:3], 0xffffffe0
	v_floor_f64_e32 v[7:8], v[7:8]
	s_delay_alu instid0(VALU_DEP_1) | instskip(SKIP_1) | instid1(VALU_DEP_2)
	v_fma_f64 v[2:3], 0xc1f00000, v[7:8], v[2:3]
	v_cvt_i32_f64_e32 v8, v[7:8]
	v_cvt_u32_f64_e32 v7, v[2:3]
	global_store_b64 v[4:5], v[7:8], off
.LBB131_770:
	s_and_not1_b32 vcc_lo, exec_lo, s1
	s_cbranch_vccnz .LBB131_772
; %bb.771:
	v_cvt_i32_f64_e32 v2, v[0:1]
	global_store_b32 v[4:5], v2, off
.LBB131_772:
	s_mov_b32 s1, 0
.LBB131_773:
	s_delay_alu instid0(SALU_CYCLE_1)
	s_and_not1_b32 vcc_lo, exec_lo, s1
	s_cbranch_vccnz .LBB131_775
; %bb.774:
	v_cvt_i32_f64_e32 v2, v[0:1]
	global_store_b16 v[4:5], v2, off
.LBB131_775:
	s_mov_b32 s1, 0
.LBB131_776:
	s_delay_alu instid0(SALU_CYCLE_1)
	s_and_not1_b32 vcc_lo, exec_lo, s1
	s_cbranch_vccnz .LBB131_781
; %bb.777:
	v_cmp_lt_i16_e32 vcc_lo, 0, v6
	s_mov_b32 s1, -1
	s_cbranch_vccz .LBB131_779
; %bb.778:
	v_cvt_i32_f64_e32 v2, v[0:1]
	s_mov_b32 s1, 0
	global_store_b8 v[4:5], v2, off
.LBB131_779:
	s_and_not1_b32 vcc_lo, exec_lo, s1
	s_cbranch_vccnz .LBB131_781
; %bb.780:
	v_trunc_f64_e32 v[0:1], v[0:1]
	s_delay_alu instid0(VALU_DEP_1) | instskip(NEXT) | instid1(VALU_DEP_1)
	v_ldexp_f64 v[2:3], v[0:1], 0xffffffe0
	v_floor_f64_e32 v[2:3], v[2:3]
	s_delay_alu instid0(VALU_DEP_1) | instskip(NEXT) | instid1(VALU_DEP_1)
	v_fma_f64 v[0:1], 0xc1f00000, v[2:3], v[0:1]
	v_cvt_u32_f64_e32 v0, v[0:1]
	global_store_b8 v[4:5], v0, off
.LBB131_781:
	s_branch .LBB131_569
.LBB131_782:
	s_mov_b32 s1, 0
                                        ; implicit-def: $vgpr60
.LBB131_783:
	s_and_not1_b32 s2, s35, exec_lo
	s_and_b32 s0, s0, exec_lo
	s_delay_alu instid0(SALU_CYCLE_1)
	s_or_b32 s38, s2, s0
	s_or_not1_b32 s2, s1, exec_lo
.LBB131_784:
	s_or_b32 exec_lo, exec_lo, s39
	s_mov_b32 s0, 0
	s_mov_b32 s1, 0
                                        ; implicit-def: $vgpr6
                                        ; implicit-def: $vgpr2_vgpr3
                                        ; implicit-def: $vgpr4_vgpr5
	s_and_saveexec_b32 s39, s2
	s_cbranch_execz .LBB131_1019
; %bb.785:
	s_mov_b32 s2, -1
	s_mov_b32 s41, s38
	s_mov_b32 s40, exec_lo
	v_cmpx_gt_i32_e64 s36, v60
	s_cbranch_execz .LBB131_922
; %bb.786:
	v_dual_mov_b32 v0, s26 :: v_dual_mov_b32 v1, s27
	v_dual_mov_b32 v2, s29 :: v_dual_mov_b32 v3, v61
	v_mov_b32_e32 v4, v60
	s_getpc_b64 s[0:1]
	s_add_u32 s0, s0, _ZN2at6native6invokeIZZZNS0_17expm1_kernel_cudaERNS_18TensorIteratorBaseEENKUlvE_clEvENKUlvE1_clEvEUlN3c107complexIdEEE_i15function_traitsIS9_EEENT1_11result_typeERKT_PrKPcPKT0_PKNS6_10ScalarTypeEi@rel32@lo+4
	s_addc_u32 s1, s1, _ZN2at6native6invokeIZZZNS0_17expm1_kernel_cudaERNS_18TensorIteratorBaseEENKUlvE_clEvENKUlvE1_clEvEUlN3c107complexIdEEE_i15function_traitsIS9_EEENT1_11result_typeERKT_PrKPcPKT0_PKNS6_10ScalarTypeEi@rel32@hi+12
	s_delay_alu instid0(SALU_CYCLE_1) | instskip(SKIP_2) | instid1(VALU_DEP_1)
	s_swappc_b64 s[30:31], s[0:1]
	v_mul_lo_u32 v4, v60, s28
	v_and_b32_e32 v6, 0xff, v63
	v_cmp_gt_i16_e32 vcc_lo, 11, v6
	s_delay_alu instid0(VALU_DEP_3) | instskip(SKIP_1) | instid1(VALU_DEP_1)
	v_ashrrev_i32_e32 v5, 31, v4
	v_add_co_u32 v4, s0, s24, v4
	v_add_co_ci_u32_e64 v5, s0, s25, v5, s0
	s_cbranch_vccnz .LBB131_793
; %bb.787:
	v_cmp_lt_i16_e32 vcc_lo, 25, v6
	s_cbranch_vccz .LBB131_794
; %bb.788:
	v_cmp_lt_i16_e32 vcc_lo, 28, v6
	s_cbranch_vccz .LBB131_795
; %bb.789:
	v_cmp_lt_i16_e32 vcc_lo, 43, v6
	s_cbranch_vccz .LBB131_798
; %bb.790:
	v_cmp_lt_i16_e32 vcc_lo, 45, v6
	s_cbranch_vccz .LBB131_809
; %bb.791:
	v_cmp_eq_u16_e32 vcc_lo, 46, v6
	s_mov_b32 s2, 0
	s_mov_b32 s0, -1
	s_mov_b32 s1, 0
	s_cbranch_vccz .LBB131_810
; %bb.792:
	v_cvt_f32_f64_e32 v7, v[2:3]
	v_cvt_f32_f64_e32 v8, v[0:1]
	s_mov_b32 s1, -1
	s_mov_b32 s0, 0
	s_delay_alu instid0(VALU_DEP_2) | instskip(NEXT) | instid1(VALU_DEP_2)
	v_bfe_u32 v9, v7, 16, 1
	v_bfe_u32 v10, v8, 16, 1
	v_cmp_o_f32_e32 vcc_lo, v7, v7
	s_delay_alu instid0(VALU_DEP_3) | instskip(NEXT) | instid1(VALU_DEP_3)
	v_add3_u32 v9, v7, v9, 0x7fff
	v_add3_u32 v10, v8, v10, 0x7fff
	s_delay_alu instid0(VALU_DEP_2) | instskip(NEXT) | instid1(VALU_DEP_2)
	v_and_b32_e32 v9, 0xffff0000, v9
	v_lshrrev_b32_e32 v10, 16, v10
	s_delay_alu instid0(VALU_DEP_2) | instskip(SKIP_1) | instid1(VALU_DEP_3)
	v_cndmask_b32_e32 v7, 0x7fc00000, v9, vcc_lo
	v_cmp_o_f32_e32 vcc_lo, v8, v8
	v_cndmask_b32_e32 v8, 0x7fc0, v10, vcc_lo
	s_delay_alu instid0(VALU_DEP_1)
	v_or_b32_e32 v7, v7, v8
	global_store_b32 v[4:5], v7, off
	s_branch .LBB131_810
.LBB131_793:
	s_mov_b32 s2, -1
	s_mov_b32 s1, 0
	s_mov_b32 s0, s38
	s_branch .LBB131_879
.LBB131_794:
	s_mov_b32 s2, -1
	s_mov_b32 s1, 0
	s_mov_b32 s0, s38
	s_branch .LBB131_837
.LBB131_795:
	s_mov_b32 s2, -1
	s_mov_b32 s1, 0
	s_mov_b32 s0, s38
	s_branch .LBB131_820
.LBB131_796:
	s_or_saveexec_b32 s3, s3
                                        ; implicit-def: $sgpr4
	s_delay_alu instid0(SALU_CYCLE_1)
	s_xor_b32 exec_lo, exec_lo, s3
	s_cbranch_execz .LBB131_696
.LBB131_797:
	v_add_f32_e64 v8, 0x46000000, |v7|
	s_and_not1_b32 s2, s2, exec_lo
	s_mov_b32 s4, 0
	s_delay_alu instid0(VALU_DEP_1) | instskip(NEXT) | instid1(VALU_DEP_1)
	v_and_b32_e32 v8, 0xff, v8
	v_cmp_ne_u32_e32 vcc_lo, 0, v8
	s_and_b32 s5, vcc_lo, exec_lo
	s_delay_alu instid0(SALU_CYCLE_1)
	s_or_b32 s2, s2, s5
	s_or_b32 exec_lo, exec_lo, s3
	v_mov_b32_e32 v9, s4
	s_and_saveexec_b32 s3, s2
	s_cbranch_execnz .LBB131_697
	s_branch .LBB131_698
.LBB131_798:
	s_mov_b32 s2, -1
	s_mov_b32 s1, 0
	s_mov_b32 s0, s38
	s_branch .LBB131_816
.LBB131_799:
	s_or_saveexec_b32 s5, s5
                                        ; implicit-def: $sgpr6
	s_delay_alu instid0(SALU_CYCLE_1)
	s_xor_b32 exec_lo, exec_lo, s5
	s_cbranch_execz .LBB131_335
.LBB131_800:
	v_add_f32_e64 v9, 0x42800000, |v8|
	s_and_not1_b32 s4, s4, exec_lo
	s_mov_b32 s6, 0
	s_delay_alu instid0(VALU_DEP_1) | instskip(NEXT) | instid1(VALU_DEP_1)
	v_and_b32_e32 v9, 0xff, v9
	v_cmp_ne_u32_e32 vcc_lo, 0, v9
	s_and_b32 s7, vcc_lo, exec_lo
	s_delay_alu instid0(SALU_CYCLE_1)
	s_or_b32 s4, s4, s7
	s_or_b32 exec_lo, exec_lo, s5
	v_mov_b32_e32 v10, s6
	s_and_saveexec_b32 s5, s4
	s_cbranch_execnz .LBB131_336
	s_branch .LBB131_337
.LBB131_801:
	s_or_saveexec_b32 s6, s6
                                        ; implicit-def: $sgpr7
	s_delay_alu instid0(SALU_CYCLE_1)
	s_xor_b32 exec_lo, exec_lo, s6
	s_cbranch_execz .LBB131_440
.LBB131_802:
	v_add_f32_e64 v9, 0x46000000, |v8|
	s_and_not1_b32 s5, s5, exec_lo
	s_mov_b32 s7, 0
	s_delay_alu instid0(VALU_DEP_1) | instskip(NEXT) | instid1(VALU_DEP_1)
	v_and_b32_e32 v9, 0xff, v9
	v_cmp_ne_u32_e32 vcc_lo, 0, v9
	s_and_b32 s8, vcc_lo, exec_lo
	s_delay_alu instid0(SALU_CYCLE_1)
	s_or_b32 s5, s5, s8
	s_or_b32 exec_lo, exec_lo, s6
	v_mov_b32_e32 v10, s7
	s_and_saveexec_b32 s6, s5
	s_cbranch_execnz .LBB131_441
	s_branch .LBB131_442
.LBB131_803:
	s_trap 2
	s_sendmsg_rtn_b32 s0, sendmsg(MSG_RTN_GET_DOORBELL)
	s_mov_b32 ttmp2, m0
	s_waitcnt lgkmcnt(0)
	s_and_b32 s0, s0, 0x3ff
	s_delay_alu instid0(SALU_CYCLE_1) | instskip(NEXT) | instid1(SALU_CYCLE_1)
	s_bitset1_b32 s0, 10
	s_mov_b32 m0, s0
	s_sendmsg sendmsg(MSG_INTERRUPT)
	s_mov_b32 m0, ttmp2
.LBB131_804:                            ; =>This Inner Loop Header: Depth=1
	s_sethalt 5
	s_branch .LBB131_804
.LBB131_805:
	s_cbranch_execnz .LBB131_938
; %bb.806:
	s_or_b32 s1, s1, exec_lo
	s_cbranch_execz .LBB131_488
	s_branch .LBB131_489
.LBB131_807:
	s_or_saveexec_b32 s3, s3
                                        ; implicit-def: $sgpr4
	s_delay_alu instid0(SALU_CYCLE_1)
	s_xor_b32 exec_lo, exec_lo, s3
	s_cbranch_execz .LBB131_709
.LBB131_808:
	v_add_f32_e64 v8, 0x42800000, |v7|
	s_and_not1_b32 s2, s2, exec_lo
	s_mov_b32 s4, 0
	s_delay_alu instid0(VALU_DEP_1) | instskip(NEXT) | instid1(VALU_DEP_1)
	v_and_b32_e32 v8, 0xff, v8
	v_cmp_ne_u32_e32 vcc_lo, 0, v8
	s_and_b32 s5, vcc_lo, exec_lo
	s_delay_alu instid0(SALU_CYCLE_1)
	s_or_b32 s2, s2, s5
	s_or_b32 exec_lo, exec_lo, s3
	v_mov_b32_e32 v9, s4
	s_and_saveexec_b32 s3, s2
	s_cbranch_execnz .LBB131_710
	s_branch .LBB131_711
.LBB131_809:
	s_mov_b32 s2, -1
	s_mov_b32 s1, 0
	s_mov_b32 s0, s38
.LBB131_810:
	s_and_b32 vcc_lo, exec_lo, s2
	s_cbranch_vccz .LBB131_815
; %bb.811:
	v_cmp_eq_u16_e32 vcc_lo, 44, v6
	s_mov_b32 s0, -1
	s_cbranch_vccz .LBB131_815
; %bb.812:
	v_cvt_f32_f64_e32 v7, v[0:1]
	v_mov_b32_e32 v8, 0xff
	s_mov_b32 s1, exec_lo
	s_delay_alu instid0(VALU_DEP_2) | instskip(NEXT) | instid1(VALU_DEP_1)
	v_bfe_u32 v9, v7, 23, 8
	v_cmpx_ne_u32_e32 0xff, v9
; %bb.813:
	v_and_b32_e32 v8, 0x400000, v7
	v_and_or_b32 v9, 0x3fffff, v7, v9
	v_lshrrev_b32_e32 v7, 23, v7
	s_delay_alu instid0(VALU_DEP_3) | instskip(NEXT) | instid1(VALU_DEP_3)
	v_cmp_ne_u32_e32 vcc_lo, 0, v8
	v_cmp_ne_u32_e64 s0, 0, v9
	s_delay_alu instid0(VALU_DEP_1) | instskip(NEXT) | instid1(SALU_CYCLE_1)
	s_and_b32 s0, vcc_lo, s0
	v_cndmask_b32_e64 v8, 0, 1, s0
	s_delay_alu instid0(VALU_DEP_1)
	v_add_nc_u32_e32 v8, v7, v8
; %bb.814:
	s_or_b32 exec_lo, exec_lo, s1
	s_mov_b32 s1, -1
	s_mov_b32 s0, 0
	global_store_b8 v[4:5], v8, off
.LBB131_815:
	s_mov_b32 s2, 0
.LBB131_816:
	s_delay_alu instid0(SALU_CYCLE_1)
	s_and_b32 vcc_lo, exec_lo, s2
	s_cbranch_vccz .LBB131_819
; %bb.817:
	v_cmp_eq_u16_e32 vcc_lo, 29, v6
	s_mov_b32 s0, -1
	s_cbranch_vccz .LBB131_819
; %bb.818:
	v_trunc_f64_e32 v[7:8], v[0:1]
	s_mov_b32 s1, -1
	s_mov_b32 s0, 0
	s_mov_b32 s2, 0
	s_delay_alu instid0(VALU_DEP_1) | instskip(NEXT) | instid1(VALU_DEP_1)
	v_ldexp_f64 v[9:10], v[7:8], 0xffffffe0
	v_floor_f64_e32 v[9:10], v[9:10]
	s_delay_alu instid0(VALU_DEP_1) | instskip(SKIP_1) | instid1(VALU_DEP_2)
	v_fma_f64 v[7:8], 0xc1f00000, v[9:10], v[7:8]
	v_cvt_u32_f64_e32 v9, v[9:10]
	v_cvt_u32_f64_e32 v8, v[7:8]
	global_store_b64 v[4:5], v[8:9], off
	s_branch .LBB131_820
.LBB131_819:
	s_mov_b32 s2, 0
.LBB131_820:
	s_delay_alu instid0(SALU_CYCLE_1)
	s_and_b32 vcc_lo, exec_lo, s2
	s_cbranch_vccz .LBB131_836
; %bb.821:
	v_cmp_gt_i16_e32 vcc_lo, 27, v6
	s_mov_b32 s1, -1
	s_cbranch_vccnz .LBB131_827
; %bb.822:
	v_cmp_lt_i16_e32 vcc_lo, 27, v6
	s_cbranch_vccz .LBB131_824
; %bb.823:
	v_cvt_u32_f64_e32 v7, v[0:1]
	s_mov_b32 s1, 0
	global_store_b32 v[4:5], v7, off
.LBB131_824:
	s_and_not1_b32 vcc_lo, exec_lo, s1
	s_cbranch_vccnz .LBB131_826
; %bb.825:
	v_cvt_u32_f64_e32 v7, v[0:1]
	global_store_b16 v[4:5], v7, off
.LBB131_826:
	s_mov_b32 s1, 0
.LBB131_827:
	s_delay_alu instid0(SALU_CYCLE_1)
	s_and_not1_b32 vcc_lo, exec_lo, s1
	s_cbranch_vccnz .LBB131_835
; %bb.828:
	v_cvt_f32_f64_e32 v7, v[0:1]
	v_mov_b32_e32 v9, 0x80
	s_mov_b32 s1, exec_lo
	s_delay_alu instid0(VALU_DEP_2) | instskip(NEXT) | instid1(VALU_DEP_1)
	v_and_b32_e32 v8, 0x7fffffff, v7
	v_cmpx_gt_u32_e32 0x43800000, v8
	s_cbranch_execz .LBB131_834
; %bb.829:
	v_cmp_lt_u32_e32 vcc_lo, 0x3bffffff, v8
	s_mov_b32 s2, 0
                                        ; implicit-def: $vgpr8
	s_and_saveexec_b32 s3, vcc_lo
	s_delay_alu instid0(SALU_CYCLE_1)
	s_xor_b32 s3, exec_lo, s3
	s_cbranch_execz .LBB131_932
; %bb.830:
	v_bfe_u32 v8, v7, 20, 1
	s_mov_b32 s2, exec_lo
	s_delay_alu instid0(VALU_DEP_1) | instskip(NEXT) | instid1(VALU_DEP_1)
	v_add3_u32 v8, v7, v8, 0x487ffff
	v_lshrrev_b32_e32 v8, 20, v8
	s_or_saveexec_b32 s3, s3
                                        ; implicit-def: $sgpr4
	s_delay_alu instid0(SALU_CYCLE_1)
	s_xor_b32 exec_lo, exec_lo, s3
	s_cbranch_execnz .LBB131_933
.LBB131_831:
	s_or_b32 exec_lo, exec_lo, s3
	v_mov_b32_e32 v9, s4
	s_and_saveexec_b32 s3, s2
.LBB131_832:
	v_lshrrev_b32_e32 v7, 24, v7
	s_delay_alu instid0(VALU_DEP_1)
	v_and_or_b32 v9, 0x80, v7, v8
.LBB131_833:
	s_or_b32 exec_lo, exec_lo, s3
.LBB131_834:
	s_delay_alu instid0(SALU_CYCLE_1)
	s_or_b32 exec_lo, exec_lo, s1
	global_store_b8 v[4:5], v9, off
.LBB131_835:
	s_mov_b32 s1, -1
.LBB131_836:
	s_mov_b32 s2, 0
.LBB131_837:
	s_delay_alu instid0(SALU_CYCLE_1)
	s_and_b32 vcc_lo, exec_lo, s2
	s_cbranch_vccz .LBB131_878
; %bb.838:
	v_cmp_lt_i16_e32 vcc_lo, 22, v6
	s_mov_b32 s2, -1
	s_cbranch_vccz .LBB131_870
; %bb.839:
	v_cmp_gt_i16_e32 vcc_lo, 24, v6
	s_mov_b32 s1, -1
	s_cbranch_vccnz .LBB131_859
; %bb.840:
	v_cmp_lt_i16_e32 vcc_lo, 24, v6
	s_cbranch_vccz .LBB131_848
; %bb.841:
	v_cvt_f32_f64_e32 v7, v[0:1]
	v_mov_b32_e32 v9, 0x80
	s_mov_b32 s1, exec_lo
	s_delay_alu instid0(VALU_DEP_2) | instskip(NEXT) | instid1(VALU_DEP_1)
	v_and_b32_e32 v8, 0x7fffffff, v7
	v_cmpx_gt_u32_e32 0x47800000, v8
	s_cbranch_execz .LBB131_847
; %bb.842:
	v_cmp_lt_u32_e32 vcc_lo, 0x37ffffff, v8
	s_mov_b32 s2, 0
                                        ; implicit-def: $vgpr8
	s_and_saveexec_b32 s3, vcc_lo
	s_delay_alu instid0(SALU_CYCLE_1)
	s_xor_b32 s3, exec_lo, s3
	s_cbranch_execz .LBB131_942
; %bb.843:
	v_bfe_u32 v8, v7, 21, 1
	s_mov_b32 s2, exec_lo
	s_delay_alu instid0(VALU_DEP_1) | instskip(NEXT) | instid1(VALU_DEP_1)
	v_add3_u32 v8, v7, v8, 0x88fffff
	v_lshrrev_b32_e32 v8, 21, v8
	s_or_saveexec_b32 s3, s3
                                        ; implicit-def: $sgpr4
	s_delay_alu instid0(SALU_CYCLE_1)
	s_xor_b32 exec_lo, exec_lo, s3
	s_cbranch_execnz .LBB131_943
.LBB131_844:
	s_or_b32 exec_lo, exec_lo, s3
	v_mov_b32_e32 v9, s4
	s_and_saveexec_b32 s3, s2
.LBB131_845:
	v_lshrrev_b32_e32 v7, 24, v7
	s_delay_alu instid0(VALU_DEP_1)
	v_and_or_b32 v9, 0x80, v7, v8
.LBB131_846:
	s_or_b32 exec_lo, exec_lo, s3
.LBB131_847:
	s_delay_alu instid0(SALU_CYCLE_1)
	s_or_b32 exec_lo, exec_lo, s1
	s_mov_b32 s1, 0
	global_store_b8 v[4:5], v9, off
.LBB131_848:
	s_and_b32 vcc_lo, exec_lo, s1
	s_cbranch_vccz .LBB131_858
; %bb.849:
	v_cvt_f32_f64_e32 v7, v[0:1]
	s_mov_b32 s1, exec_lo
                                        ; implicit-def: $vgpr8
	s_delay_alu instid0(VALU_DEP_1) | instskip(NEXT) | instid1(VALU_DEP_1)
	v_and_b32_e32 v9, 0x7fffffff, v7
	v_cmpx_gt_u32_e32 0x43f00000, v9
	s_xor_b32 s1, exec_lo, s1
	s_cbranch_execz .LBB131_855
; %bb.850:
	s_mov_b32 s2, exec_lo
                                        ; implicit-def: $vgpr8
	v_cmpx_lt_u32_e32 0x3c7fffff, v9
	s_xor_b32 s2, exec_lo, s2
; %bb.851:
	v_bfe_u32 v8, v7, 20, 1
	s_delay_alu instid0(VALU_DEP_1) | instskip(NEXT) | instid1(VALU_DEP_1)
	v_add3_u32 v8, v7, v8, 0x407ffff
	v_and_b32_e32 v9, 0xff00000, v8
	v_lshrrev_b32_e32 v8, 20, v8
	s_delay_alu instid0(VALU_DEP_2) | instskip(NEXT) | instid1(VALU_DEP_2)
	v_cmp_ne_u32_e32 vcc_lo, 0x7f00000, v9
	v_cndmask_b32_e32 v8, 0x7e, v8, vcc_lo
; %bb.852:
	s_and_not1_saveexec_b32 s2, s2
; %bb.853:
	v_add_f32_e64 v8, 0x46800000, |v7|
; %bb.854:
	s_or_b32 exec_lo, exec_lo, s2
                                        ; implicit-def: $vgpr9
.LBB131_855:
	s_and_not1_saveexec_b32 s1, s1
; %bb.856:
	v_mov_b32_e32 v8, 0x7f
	v_cmp_lt_u32_e32 vcc_lo, 0x7f800000, v9
	s_delay_alu instid0(VALU_DEP_2)
	v_cndmask_b32_e32 v8, 0x7e, v8, vcc_lo
; %bb.857:
	s_or_b32 exec_lo, exec_lo, s1
	v_lshrrev_b32_e32 v7, 24, v7
	s_delay_alu instid0(VALU_DEP_1)
	v_and_or_b32 v7, 0x80, v7, v8
	global_store_b8 v[4:5], v7, off
.LBB131_858:
	s_mov_b32 s1, 0
.LBB131_859:
	s_delay_alu instid0(SALU_CYCLE_1)
	s_and_not1_b32 vcc_lo, exec_lo, s1
	s_cbranch_vccnz .LBB131_869
; %bb.860:
	v_cvt_f32_f64_e32 v7, v[0:1]
	s_mov_b32 s1, exec_lo
                                        ; implicit-def: $vgpr8
	s_delay_alu instid0(VALU_DEP_1) | instskip(NEXT) | instid1(VALU_DEP_1)
	v_and_b32_e32 v9, 0x7fffffff, v7
	v_cmpx_gt_u32_e32 0x47800000, v9
	s_xor_b32 s1, exec_lo, s1
	s_cbranch_execz .LBB131_866
; %bb.861:
	s_mov_b32 s2, exec_lo
                                        ; implicit-def: $vgpr8
	v_cmpx_lt_u32_e32 0x387fffff, v9
	s_xor_b32 s2, exec_lo, s2
; %bb.862:
	v_bfe_u32 v8, v7, 21, 1
	s_delay_alu instid0(VALU_DEP_1) | instskip(NEXT) | instid1(VALU_DEP_1)
	v_add3_u32 v8, v7, v8, 0x80fffff
	v_lshrrev_b32_e32 v8, 21, v8
; %bb.863:
	s_and_not1_saveexec_b32 s2, s2
; %bb.864:
	v_add_f32_e64 v8, 0x43000000, |v7|
; %bb.865:
	s_or_b32 exec_lo, exec_lo, s2
                                        ; implicit-def: $vgpr9
.LBB131_866:
	s_and_not1_saveexec_b32 s1, s1
; %bb.867:
	v_mov_b32_e32 v8, 0x7f
	v_cmp_lt_u32_e32 vcc_lo, 0x7f800000, v9
	s_delay_alu instid0(VALU_DEP_2)
	v_cndmask_b32_e32 v8, 0x7c, v8, vcc_lo
; %bb.868:
	s_or_b32 exec_lo, exec_lo, s1
	v_lshrrev_b32_e32 v7, 24, v7
	s_delay_alu instid0(VALU_DEP_1)
	v_and_or_b32 v7, 0x80, v7, v8
	global_store_b8 v[4:5], v7, off
.LBB131_869:
	s_mov_b32 s2, 0
	s_mov_b32 s1, -1
.LBB131_870:
	s_and_not1_b32 vcc_lo, exec_lo, s2
	s_cbranch_vccnz .LBB131_878
; %bb.871:
	v_cmp_lt_i16_e32 vcc_lo, 14, v6
	s_mov_b32 s2, -1
	s_cbranch_vccz .LBB131_875
; %bb.872:
	v_cmp_eq_u16_e32 vcc_lo, 15, v6
	s_mov_b32 s0, -1
	s_cbranch_vccz .LBB131_874
; %bb.873:
	v_cvt_f32_f64_e32 v7, v[0:1]
	s_mov_b32 s1, -1
	s_mov_b32 s0, 0
	s_delay_alu instid0(VALU_DEP_1) | instskip(SKIP_1) | instid1(VALU_DEP_2)
	v_bfe_u32 v8, v7, 16, 1
	v_cmp_o_f32_e32 vcc_lo, v7, v7
	v_add3_u32 v8, v7, v8, 0x7fff
	s_delay_alu instid0(VALU_DEP_1) | instskip(NEXT) | instid1(VALU_DEP_1)
	v_lshrrev_b32_e32 v8, 16, v8
	v_cndmask_b32_e32 v7, 0x7fc0, v8, vcc_lo
	global_store_b16 v[4:5], v7, off
.LBB131_874:
	s_mov_b32 s2, 0
.LBB131_875:
	s_delay_alu instid0(SALU_CYCLE_1)
	s_and_b32 vcc_lo, exec_lo, s2
	s_cbranch_vccz .LBB131_878
; %bb.876:
	v_cmp_eq_u16_e32 vcc_lo, 11, v6
	s_mov_b32 s0, -1
	s_cbranch_vccz .LBB131_878
; %bb.877:
	v_cmp_neq_f64_e32 vcc_lo, 0, v[0:1]
	v_cmp_neq_f64_e64 s0, 0, v[2:3]
	s_mov_b32 s1, -1
	s_delay_alu instid0(VALU_DEP_1) | instskip(NEXT) | instid1(SALU_CYCLE_1)
	s_or_b32 s0, vcc_lo, s0
	v_cndmask_b32_e64 v7, 0, 1, s0
	s_mov_b32 s0, 0
	global_store_b8 v[4:5], v7, off
.LBB131_878:
	s_mov_b32 s2, 0
.LBB131_879:
	s_delay_alu instid0(SALU_CYCLE_1)
	s_and_b32 vcc_lo, exec_lo, s2
	s_cbranch_vccz .LBB131_918
; %bb.880:
	v_cmp_gt_i16_e32 vcc_lo, 5, v6
	s_mov_b32 s1, -1
	s_cbranch_vccnz .LBB131_901
; %bb.881:
	v_cmp_gt_i16_e32 vcc_lo, 8, v6
	s_cbranch_vccnz .LBB131_891
; %bb.882:
	v_cmp_gt_i16_e32 vcc_lo, 9, v6
	s_cbranch_vccnz .LBB131_888
; %bb.883:
	v_cmp_lt_i16_e32 vcc_lo, 9, v6
	s_cbranch_vccz .LBB131_885
; %bb.884:
	s_mov_b32 s1, 0
	global_store_b128 v[4:5], v[0:3], off
.LBB131_885:
	s_and_not1_b32 vcc_lo, exec_lo, s1
	s_cbranch_vccnz .LBB131_887
; %bb.886:
	v_cvt_f32_f64_e32 v7, v[0:1]
	v_cvt_f32_f64_e32 v8, v[2:3]
	global_store_b64 v[4:5], v[7:8], off
.LBB131_887:
	s_mov_b32 s1, 0
.LBB131_888:
	s_delay_alu instid0(SALU_CYCLE_1)
	s_and_not1_b32 vcc_lo, exec_lo, s1
	s_cbranch_vccnz .LBB131_890
; %bb.889:
	v_cvt_f32_f64_e32 v2, v[2:3]
	v_cvt_f32_f64_e32 v3, v[0:1]
	s_delay_alu instid0(VALU_DEP_2) | instskip(NEXT) | instid1(VALU_DEP_2)
	v_cvt_f16_f32_e32 v2, v2
	v_cvt_f16_f32_e32 v3, v3
	s_delay_alu instid0(VALU_DEP_2) | instskip(NEXT) | instid1(VALU_DEP_2)
	v_lshlrev_b32_e32 v2, 16, v2
	v_and_b32_e32 v3, 0xffff, v3
	s_delay_alu instid0(VALU_DEP_1)
	v_or_b32_e32 v2, v2, v3
	global_store_b32 v[4:5], v2, off
.LBB131_890:
	s_mov_b32 s1, 0
.LBB131_891:
	s_delay_alu instid0(SALU_CYCLE_1)
	s_and_not1_b32 vcc_lo, exec_lo, s1
	s_cbranch_vccnz .LBB131_900
; %bb.892:
	v_cmp_gt_i16_e32 vcc_lo, 6, v6
	s_mov_b32 s1, -1
	s_cbranch_vccnz .LBB131_898
; %bb.893:
	v_cmp_lt_i16_e32 vcc_lo, 6, v6
	s_cbranch_vccz .LBB131_895
; %bb.894:
	s_mov_b32 s1, 0
	global_store_b64 v[4:5], v[0:1], off
.LBB131_895:
	s_and_not1_b32 vcc_lo, exec_lo, s1
	s_cbranch_vccnz .LBB131_897
; %bb.896:
	v_cvt_f32_f64_e32 v2, v[0:1]
	global_store_b32 v[4:5], v2, off
.LBB131_897:
	s_mov_b32 s1, 0
.LBB131_898:
	s_delay_alu instid0(SALU_CYCLE_1)
	s_and_not1_b32 vcc_lo, exec_lo, s1
	s_cbranch_vccnz .LBB131_900
; %bb.899:
	v_cvt_f32_f64_e32 v2, v[0:1]
	s_delay_alu instid0(VALU_DEP_1)
	v_cvt_f16_f32_e32 v2, v2
	global_store_b16 v[4:5], v2, off
.LBB131_900:
	s_mov_b32 s1, 0
.LBB131_901:
	s_delay_alu instid0(SALU_CYCLE_1)
	s_and_not1_b32 vcc_lo, exec_lo, s1
	s_cbranch_vccnz .LBB131_917
; %bb.902:
	v_cmp_gt_i16_e32 vcc_lo, 2, v6
	s_mov_b32 s1, -1
	s_cbranch_vccnz .LBB131_912
; %bb.903:
	v_cmp_gt_i16_e32 vcc_lo, 3, v6
	s_cbranch_vccnz .LBB131_909
; %bb.904:
	v_cmp_lt_i16_e32 vcc_lo, 3, v6
	s_cbranch_vccz .LBB131_906
; %bb.905:
	v_trunc_f64_e32 v[2:3], v[0:1]
	s_mov_b32 s1, 0
	s_delay_alu instid0(VALU_DEP_1) | instskip(NEXT) | instid1(VALU_DEP_1)
	v_ldexp_f64 v[7:8], v[2:3], 0xffffffe0
	v_floor_f64_e32 v[7:8], v[7:8]
	s_delay_alu instid0(VALU_DEP_1) | instskip(SKIP_1) | instid1(VALU_DEP_2)
	v_fma_f64 v[2:3], 0xc1f00000, v[7:8], v[2:3]
	v_cvt_i32_f64_e32 v8, v[7:8]
	v_cvt_u32_f64_e32 v7, v[2:3]
	global_store_b64 v[4:5], v[7:8], off
.LBB131_906:
	s_and_not1_b32 vcc_lo, exec_lo, s1
	s_cbranch_vccnz .LBB131_908
; %bb.907:
	v_cvt_i32_f64_e32 v2, v[0:1]
	global_store_b32 v[4:5], v2, off
.LBB131_908:
	s_mov_b32 s1, 0
.LBB131_909:
	s_delay_alu instid0(SALU_CYCLE_1)
	s_and_not1_b32 vcc_lo, exec_lo, s1
	s_cbranch_vccnz .LBB131_911
; %bb.910:
	v_cvt_i32_f64_e32 v2, v[0:1]
	global_store_b16 v[4:5], v2, off
.LBB131_911:
	s_mov_b32 s1, 0
.LBB131_912:
	s_delay_alu instid0(SALU_CYCLE_1)
	s_and_not1_b32 vcc_lo, exec_lo, s1
	s_cbranch_vccnz .LBB131_917
; %bb.913:
	v_cmp_lt_i16_e32 vcc_lo, 0, v6
	s_mov_b32 s1, -1
	s_cbranch_vccz .LBB131_915
; %bb.914:
	v_cvt_i32_f64_e32 v2, v[0:1]
	s_mov_b32 s1, 0
	global_store_b8 v[4:5], v2, off
.LBB131_915:
	s_and_not1_b32 vcc_lo, exec_lo, s1
	s_cbranch_vccnz .LBB131_917
; %bb.916:
	v_trunc_f64_e32 v[0:1], v[0:1]
	s_delay_alu instid0(VALU_DEP_1) | instskip(NEXT) | instid1(VALU_DEP_1)
	v_ldexp_f64 v[2:3], v[0:1], 0xffffffe0
	v_floor_f64_e32 v[2:3], v[2:3]
	s_delay_alu instid0(VALU_DEP_1) | instskip(NEXT) | instid1(VALU_DEP_1)
	v_fma_f64 v[0:1], 0xc1f00000, v[2:3], v[0:1]
	v_cvt_u32_f64_e32 v0, v[0:1]
	global_store_b8 v[4:5], v0, off
.LBB131_917:
	s_mov_b32 s1, -1
.LBB131_918:
	s_delay_alu instid0(SALU_CYCLE_1)
	s_and_not1_b32 vcc_lo, exec_lo, s1
	s_cbranch_vccnz .LBB131_920
; %bb.919:
	v_add_nc_u32_e32 v60, 0x80, v60
	s_mov_b32 s1, -1
	s_branch .LBB131_921
.LBB131_920:
	s_mov_b32 s1, 0
                                        ; implicit-def: $vgpr60
.LBB131_921:
	s_and_not1_b32 s2, s38, exec_lo
	s_and_b32 s0, s0, exec_lo
	s_delay_alu instid0(SALU_CYCLE_1)
	s_or_b32 s41, s2, s0
	s_or_not1_b32 s2, s1, exec_lo
.LBB131_922:
	s_or_b32 exec_lo, exec_lo, s40
	s_mov_b32 s0, 0
	s_mov_b32 s1, 0
                                        ; implicit-def: $vgpr6
                                        ; implicit-def: $vgpr2_vgpr3
                                        ; implicit-def: $vgpr4_vgpr5
	s_and_saveexec_b32 s40, s2
	s_cbranch_execz .LBB131_1018
; %bb.923:
	v_cmp_gt_i32_e32 vcc_lo, s36, v60
	s_mov_b32 s2, s41
                                        ; implicit-def: $vgpr6
                                        ; implicit-def: $vgpr2_vgpr3
                                        ; implicit-def: $vgpr4_vgpr5
	s_and_saveexec_b32 s36, vcc_lo
	s_cbranch_execz .LBB131_1017
; %bb.924:
	v_dual_mov_b32 v0, s26 :: v_dual_mov_b32 v1, s27
	v_dual_mov_b32 v2, s29 :: v_dual_mov_b32 v3, v61
	v_mov_b32_e32 v4, v60
	s_getpc_b64 s[0:1]
	s_add_u32 s0, s0, _ZN2at6native6invokeIZZZNS0_17expm1_kernel_cudaERNS_18TensorIteratorBaseEENKUlvE_clEvENKUlvE1_clEvEUlN3c107complexIdEEE_i15function_traitsIS9_EEENT1_11result_typeERKT_PrKPcPKT0_PKNS6_10ScalarTypeEi@rel32@lo+4
	s_addc_u32 s1, s1, _ZN2at6native6invokeIZZZNS0_17expm1_kernel_cudaERNS_18TensorIteratorBaseEENKUlvE_clEvENKUlvE1_clEvEUlN3c107complexIdEEE_i15function_traitsIS9_EEENT1_11result_typeERKT_PrKPcPKT0_PKNS6_10ScalarTypeEi@rel32@hi+12
	s_delay_alu instid0(SALU_CYCLE_1) | instskip(SKIP_2) | instid1(VALU_DEP_1)
	s_swappc_b64 s[30:31], s[0:1]
	v_mul_lo_u32 v4, v60, s28
	v_and_b32_e32 v6, 0xff, v63
	v_cmp_gt_i16_e32 vcc_lo, 11, v6
	s_delay_alu instid0(VALU_DEP_3) | instskip(SKIP_1) | instid1(VALU_DEP_1)
	v_ashrrev_i32_e32 v5, 31, v4
	v_add_co_u32 v4, s0, s24, v4
	v_add_co_ci_u32_e64 v5, s0, s25, v5, s0
	s_cbranch_vccnz .LBB131_931
; %bb.925:
	v_cmp_lt_i16_e32 vcc_lo, 25, v6
	s_mov_b32 s1, -1
	s_mov_b32 s0, s41
	s_cbranch_vccz .LBB131_975
; %bb.926:
	v_cmp_lt_i16_e32 vcc_lo, 28, v6
	s_mov_b32 s0, s41
	s_cbranch_vccz .LBB131_959
; %bb.927:
	v_cmp_lt_i16_e32 vcc_lo, 43, v6
	;; [unrolled: 4-line block ×3, first 2 shown]
	s_mov_b32 s0, s41
	s_cbranch_vccz .LBB131_949
; %bb.929:
	v_cmp_eq_u16_e32 vcc_lo, 46, v6
	s_mov_b32 s0, -1
	s_cbranch_vccz .LBB131_948
; %bb.930:
	v_cvt_f32_f64_e32 v7, v[2:3]
	v_cvt_f32_f64_e32 v8, v[0:1]
	s_mov_b32 s0, 0
	s_mov_b32 s1, 0
	s_delay_alu instid0(VALU_DEP_2) | instskip(NEXT) | instid1(VALU_DEP_2)
	v_bfe_u32 v9, v7, 16, 1
	v_bfe_u32 v10, v8, 16, 1
	v_cmp_o_f32_e32 vcc_lo, v7, v7
	s_delay_alu instid0(VALU_DEP_3) | instskip(NEXT) | instid1(VALU_DEP_3)
	v_add3_u32 v9, v7, v9, 0x7fff
	v_add3_u32 v10, v8, v10, 0x7fff
	s_delay_alu instid0(VALU_DEP_2) | instskip(NEXT) | instid1(VALU_DEP_2)
	v_and_b32_e32 v9, 0xffff0000, v9
	v_lshrrev_b32_e32 v10, 16, v10
	s_delay_alu instid0(VALU_DEP_2) | instskip(SKIP_1) | instid1(VALU_DEP_3)
	v_cndmask_b32_e32 v7, 0x7fc00000, v9, vcc_lo
	v_cmp_o_f32_e32 vcc_lo, v8, v8
	v_cndmask_b32_e32 v8, 0x7fc0, v10, vcc_lo
	s_delay_alu instid0(VALU_DEP_1)
	v_or_b32_e32 v7, v7, v8
	global_store_b32 v[4:5], v7, off
	s_branch .LBB131_949
.LBB131_931:
	s_mov_b32 s2, 0
	s_mov_b32 s1, -1
	s_mov_b32 s0, s41
	s_branch .LBB131_1016
.LBB131_932:
	s_or_saveexec_b32 s3, s3
                                        ; implicit-def: $sgpr4
	s_delay_alu instid0(SALU_CYCLE_1)
	s_xor_b32 exec_lo, exec_lo, s3
	s_cbranch_execz .LBB131_831
.LBB131_933:
	v_add_f32_e64 v8, 0x46000000, |v7|
	s_and_not1_b32 s2, s2, exec_lo
	s_mov_b32 s4, 0
	s_delay_alu instid0(VALU_DEP_1) | instskip(NEXT) | instid1(VALU_DEP_1)
	v_and_b32_e32 v8, 0xff, v8
	v_cmp_ne_u32_e32 vcc_lo, 0, v8
	s_and_b32 s5, vcc_lo, exec_lo
	s_delay_alu instid0(SALU_CYCLE_1)
	s_or_b32 s2, s2, s5
	s_or_b32 exec_lo, exec_lo, s3
	v_mov_b32_e32 v9, s4
	s_and_saveexec_b32 s3, s2
	s_cbranch_execnz .LBB131_832
	s_branch .LBB131_833
.LBB131_934:
	s_or_saveexec_b32 s5, s5
                                        ; implicit-def: $sgpr6
	s_delay_alu instid0(SALU_CYCLE_1)
	s_xor_b32 exec_lo, exec_lo, s5
	s_cbranch_execz .LBB131_453
.LBB131_935:
	v_add_f32_e64 v9, 0x42800000, |v8|
	s_and_not1_b32 s4, s4, exec_lo
	s_mov_b32 s6, 0
	s_delay_alu instid0(VALU_DEP_1) | instskip(NEXT) | instid1(VALU_DEP_1)
	v_and_b32_e32 v9, 0xff, v9
	v_cmp_ne_u32_e32 vcc_lo, 0, v9
	s_and_b32 s7, vcc_lo, exec_lo
	s_delay_alu instid0(SALU_CYCLE_1)
	s_or_b32 s4, s4, s7
	s_or_b32 exec_lo, exec_lo, s5
	v_mov_b32_e32 v10, s6
	s_and_saveexec_b32 s5, s4
	s_cbranch_execnz .LBB131_454
	s_branch .LBB131_455
.LBB131_936:
	s_or_saveexec_b32 s5, s5
                                        ; implicit-def: $sgpr6
	s_delay_alu instid0(SALU_CYCLE_1)
	s_xor_b32 exec_lo, exec_lo, s5
	s_cbranch_execz .LBB131_520
.LBB131_937:
	v_add_f32_e64 v8, 0x46000000, |v7|
	s_and_not1_b32 s4, s4, exec_lo
	s_mov_b32 s6, 0
	s_delay_alu instid0(VALU_DEP_1) | instskip(NEXT) | instid1(VALU_DEP_1)
	v_and_b32_e32 v8, 0xff, v8
	v_cmp_ne_u32_e32 vcc_lo, 0, v8
	s_and_b32 s7, vcc_lo, exec_lo
	s_delay_alu instid0(SALU_CYCLE_1)
	s_or_b32 s4, s4, s7
	s_or_b32 exec_lo, exec_lo, s5
	v_mov_b32_e32 v9, s6
	s_and_saveexec_b32 s5, s4
	s_cbranch_execnz .LBB131_521
	s_branch .LBB131_522
.LBB131_938:
	s_trap 2
	s_sendmsg_rtn_b32 s0, sendmsg(MSG_RTN_GET_DOORBELL)
	s_mov_b32 ttmp2, m0
	s_waitcnt lgkmcnt(0)
	s_and_b32 s0, s0, 0x3ff
	s_delay_alu instid0(SALU_CYCLE_1) | instskip(NEXT) | instid1(SALU_CYCLE_1)
	s_bitset1_b32 s0, 10
	s_mov_b32 m0, s0
	s_sendmsg sendmsg(MSG_INTERRUPT)
	s_mov_b32 m0, ttmp2
.LBB131_939:                            ; =>This Inner Loop Header: Depth=1
	s_sethalt 5
	s_branch .LBB131_939
.LBB131_940:
	s_cbranch_execnz .LBB131_946
; %bb.941:
	s_mov_b32 s2, 0
	s_or_b32 s1, s1, exec_lo
	s_branch .LBB131_566
.LBB131_942:
	s_or_saveexec_b32 s3, s3
                                        ; implicit-def: $sgpr4
	s_delay_alu instid0(SALU_CYCLE_1)
	s_xor_b32 exec_lo, exec_lo, s3
	s_cbranch_execz .LBB131_844
.LBB131_943:
	v_add_f32_e64 v8, 0x42800000, |v7|
	s_and_not1_b32 s2, s2, exec_lo
	s_mov_b32 s4, 0
	s_delay_alu instid0(VALU_DEP_1) | instskip(NEXT) | instid1(VALU_DEP_1)
	v_and_b32_e32 v8, 0xff, v8
	v_cmp_ne_u32_e32 vcc_lo, 0, v8
	s_and_b32 s5, vcc_lo, exec_lo
	s_delay_alu instid0(SALU_CYCLE_1)
	s_or_b32 s2, s2, s5
	s_or_b32 exec_lo, exec_lo, s3
	v_mov_b32_e32 v9, s4
	s_and_saveexec_b32 s3, s2
	s_cbranch_execnz .LBB131_845
	s_branch .LBB131_846
.LBB131_944:
	s_or_saveexec_b32 s4, s4
                                        ; implicit-def: $sgpr5
	s_delay_alu instid0(SALU_CYCLE_1)
	s_xor_b32 exec_lo, exec_lo, s4
	s_cbranch_execz .LBB131_532
.LBB131_945:
	v_add_f32_e64 v8, 0x42800000, |v7|
	s_and_not1_b32 s3, s3, exec_lo
	s_mov_b32 s5, 0
	s_delay_alu instid0(VALU_DEP_1) | instskip(NEXT) | instid1(VALU_DEP_1)
	v_and_b32_e32 v8, 0xff, v8
	v_cmp_ne_u32_e32 vcc_lo, 0, v8
	s_and_b32 s6, vcc_lo, exec_lo
	s_delay_alu instid0(SALU_CYCLE_1)
	s_or_b32 s3, s3, s6
	s_or_b32 exec_lo, exec_lo, s4
	v_mov_b32_e32 v9, s5
	s_and_saveexec_b32 s4, s3
	s_cbranch_execnz .LBB131_533
	s_branch .LBB131_534
.LBB131_946:
	s_trap 2
	s_sendmsg_rtn_b32 s0, sendmsg(MSG_RTN_GET_DOORBELL)
	s_mov_b32 ttmp2, m0
	s_waitcnt lgkmcnt(0)
	s_and_b32 s0, s0, 0x3ff
	s_delay_alu instid0(SALU_CYCLE_1) | instskip(NEXT) | instid1(SALU_CYCLE_1)
	s_bitset1_b32 s0, 10
	s_mov_b32 m0, s0
	s_sendmsg sendmsg(MSG_INTERRUPT)
	s_mov_b32 m0, ttmp2
.LBB131_947:                            ; =>This Inner Loop Header: Depth=1
	s_sethalt 5
	s_branch .LBB131_947
.LBB131_948:
	s_mov_b32 s1, 0
.LBB131_949:
	s_delay_alu instid0(SALU_CYCLE_1)
	s_and_b32 vcc_lo, exec_lo, s1
	s_cbranch_vccz .LBB131_954
; %bb.950:
	v_cmp_eq_u16_e32 vcc_lo, 44, v6
	s_mov_b32 s0, -1
	s_cbranch_vccz .LBB131_954
; %bb.951:
	v_cvt_f32_f64_e32 v7, v[0:1]
	v_mov_b32_e32 v8, 0xff
	s_mov_b32 s1, exec_lo
	s_delay_alu instid0(VALU_DEP_2) | instskip(NEXT) | instid1(VALU_DEP_1)
	v_bfe_u32 v9, v7, 23, 8
	v_cmpx_ne_u32_e32 0xff, v9
; %bb.952:
	v_and_b32_e32 v8, 0x400000, v7
	v_and_or_b32 v9, 0x3fffff, v7, v9
	v_lshrrev_b32_e32 v7, 23, v7
	s_delay_alu instid0(VALU_DEP_3) | instskip(NEXT) | instid1(VALU_DEP_3)
	v_cmp_ne_u32_e32 vcc_lo, 0, v8
	v_cmp_ne_u32_e64 s0, 0, v9
	s_delay_alu instid0(VALU_DEP_1) | instskip(NEXT) | instid1(SALU_CYCLE_1)
	s_and_b32 s0, vcc_lo, s0
	v_cndmask_b32_e64 v8, 0, 1, s0
	s_delay_alu instid0(VALU_DEP_1)
	v_add_nc_u32_e32 v8, v7, v8
; %bb.953:
	s_or_b32 exec_lo, exec_lo, s1
	s_mov_b32 s0, 0
	global_store_b8 v[4:5], v8, off
.LBB131_954:
	s_mov_b32 s1, 0
.LBB131_955:
	s_delay_alu instid0(SALU_CYCLE_1)
	s_and_b32 vcc_lo, exec_lo, s1
	s_cbranch_vccz .LBB131_958
; %bb.956:
	v_cmp_eq_u16_e32 vcc_lo, 29, v6
	s_mov_b32 s0, -1
	s_cbranch_vccz .LBB131_958
; %bb.957:
	v_trunc_f64_e32 v[7:8], v[0:1]
	s_mov_b32 s0, 0
	s_mov_b32 s1, 0
	s_delay_alu instid0(VALU_DEP_1) | instskip(NEXT) | instid1(VALU_DEP_1)
	v_ldexp_f64 v[9:10], v[7:8], 0xffffffe0
	v_floor_f64_e32 v[9:10], v[9:10]
	s_delay_alu instid0(VALU_DEP_1) | instskip(SKIP_1) | instid1(VALU_DEP_2)
	v_fma_f64 v[7:8], 0xc1f00000, v[9:10], v[7:8]
	v_cvt_u32_f64_e32 v9, v[9:10]
	v_cvt_u32_f64_e32 v8, v[7:8]
	global_store_b64 v[4:5], v[8:9], off
	s_branch .LBB131_959
.LBB131_958:
	s_mov_b32 s1, 0
.LBB131_959:
	s_delay_alu instid0(SALU_CYCLE_1)
	s_and_b32 vcc_lo, exec_lo, s1
	s_cbranch_vccz .LBB131_974
; %bb.960:
	v_cmp_gt_i16_e32 vcc_lo, 27, v6
	s_mov_b32 s1, -1
	s_cbranch_vccnz .LBB131_966
; %bb.961:
	v_cmp_lt_i16_e32 vcc_lo, 27, v6
	s_cbranch_vccz .LBB131_963
; %bb.962:
	v_cvt_u32_f64_e32 v7, v[0:1]
	s_mov_b32 s1, 0
	global_store_b32 v[4:5], v7, off
.LBB131_963:
	s_and_not1_b32 vcc_lo, exec_lo, s1
	s_cbranch_vccnz .LBB131_965
; %bb.964:
	v_cvt_u32_f64_e32 v7, v[0:1]
	global_store_b16 v[4:5], v7, off
.LBB131_965:
	s_mov_b32 s1, 0
.LBB131_966:
	s_delay_alu instid0(SALU_CYCLE_1)
	s_and_not1_b32 vcc_lo, exec_lo, s1
	s_cbranch_vccnz .LBB131_974
; %bb.967:
	v_cvt_f32_f64_e32 v7, v[0:1]
	v_mov_b32_e32 v9, 0x80
	s_mov_b32 s1, exec_lo
	s_delay_alu instid0(VALU_DEP_2) | instskip(NEXT) | instid1(VALU_DEP_1)
	v_and_b32_e32 v8, 0x7fffffff, v7
	v_cmpx_gt_u32_e32 0x43800000, v8
	s_cbranch_execz .LBB131_973
; %bb.968:
	v_cmp_lt_u32_e32 vcc_lo, 0x3bffffff, v8
	s_mov_b32 s2, 0
                                        ; implicit-def: $vgpr8
	s_and_saveexec_b32 s3, vcc_lo
	s_delay_alu instid0(SALU_CYCLE_1)
	s_xor_b32 s3, exec_lo, s3
	s_cbranch_execz .LBB131_1024
; %bb.969:
	v_bfe_u32 v8, v7, 20, 1
	s_mov_b32 s2, exec_lo
	s_delay_alu instid0(VALU_DEP_1) | instskip(NEXT) | instid1(VALU_DEP_1)
	v_add3_u32 v8, v7, v8, 0x487ffff
	v_lshrrev_b32_e32 v8, 20, v8
	s_or_saveexec_b32 s3, s3
                                        ; implicit-def: $sgpr4
	s_delay_alu instid0(SALU_CYCLE_1)
	s_xor_b32 exec_lo, exec_lo, s3
	s_cbranch_execnz .LBB131_1025
.LBB131_970:
	s_or_b32 exec_lo, exec_lo, s3
	v_mov_b32_e32 v9, s4
	s_and_saveexec_b32 s3, s2
.LBB131_971:
	v_lshrrev_b32_e32 v7, 24, v7
	s_delay_alu instid0(VALU_DEP_1)
	v_and_or_b32 v9, 0x80, v7, v8
.LBB131_972:
	s_or_b32 exec_lo, exec_lo, s3
.LBB131_973:
	s_delay_alu instid0(SALU_CYCLE_1)
	s_or_b32 exec_lo, exec_lo, s1
	global_store_b8 v[4:5], v9, off
.LBB131_974:
	s_mov_b32 s1, 0
.LBB131_975:
	s_delay_alu instid0(SALU_CYCLE_1)
	s_and_b32 vcc_lo, exec_lo, s1
	s_mov_b32 s1, 0
	s_cbranch_vccz .LBB131_1015
; %bb.976:
	v_cmp_lt_i16_e32 vcc_lo, 22, v6
	s_mov_b32 s2, -1
	s_cbranch_vccz .LBB131_1008
; %bb.977:
	v_cmp_gt_i16_e32 vcc_lo, 24, v6
	s_cbranch_vccnz .LBB131_997
; %bb.978:
	v_cmp_lt_i16_e32 vcc_lo, 24, v6
	s_cbranch_vccz .LBB131_986
; %bb.979:
	v_cvt_f32_f64_e32 v7, v[0:1]
	v_mov_b32_e32 v9, 0x80
	s_mov_b32 s2, exec_lo
	s_delay_alu instid0(VALU_DEP_2) | instskip(NEXT) | instid1(VALU_DEP_1)
	v_and_b32_e32 v8, 0x7fffffff, v7
	v_cmpx_gt_u32_e32 0x47800000, v8
	s_cbranch_execz .LBB131_985
; %bb.980:
	v_cmp_lt_u32_e32 vcc_lo, 0x37ffffff, v8
	s_mov_b32 s3, 0
                                        ; implicit-def: $vgpr8
	s_and_saveexec_b32 s4, vcc_lo
	s_delay_alu instid0(SALU_CYCLE_1)
	s_xor_b32 s4, exec_lo, s4
	s_cbranch_execz .LBB131_1026
; %bb.981:
	v_bfe_u32 v8, v7, 21, 1
	s_mov_b32 s3, exec_lo
	s_delay_alu instid0(VALU_DEP_1) | instskip(NEXT) | instid1(VALU_DEP_1)
	v_add3_u32 v8, v7, v8, 0x88fffff
	v_lshrrev_b32_e32 v8, 21, v8
	s_or_saveexec_b32 s4, s4
                                        ; implicit-def: $sgpr5
	s_delay_alu instid0(SALU_CYCLE_1)
	s_xor_b32 exec_lo, exec_lo, s4
	s_cbranch_execnz .LBB131_1027
.LBB131_982:
	s_or_b32 exec_lo, exec_lo, s4
	v_mov_b32_e32 v9, s5
	s_and_saveexec_b32 s4, s3
.LBB131_983:
	v_lshrrev_b32_e32 v7, 24, v7
	s_delay_alu instid0(VALU_DEP_1)
	v_and_or_b32 v9, 0x80, v7, v8
.LBB131_984:
	s_or_b32 exec_lo, exec_lo, s4
.LBB131_985:
	s_delay_alu instid0(SALU_CYCLE_1)
	s_or_b32 exec_lo, exec_lo, s2
	s_mov_b32 s2, 0
	global_store_b8 v[4:5], v9, off
.LBB131_986:
	s_and_b32 vcc_lo, exec_lo, s2
	s_cbranch_vccz .LBB131_996
; %bb.987:
	v_cvt_f32_f64_e32 v7, v[0:1]
	s_mov_b32 s2, exec_lo
                                        ; implicit-def: $vgpr8
	s_delay_alu instid0(VALU_DEP_1) | instskip(NEXT) | instid1(VALU_DEP_1)
	v_and_b32_e32 v9, 0x7fffffff, v7
	v_cmpx_gt_u32_e32 0x43f00000, v9
	s_xor_b32 s2, exec_lo, s2
	s_cbranch_execz .LBB131_993
; %bb.988:
	s_mov_b32 s3, exec_lo
                                        ; implicit-def: $vgpr8
	v_cmpx_lt_u32_e32 0x3c7fffff, v9
	s_xor_b32 s3, exec_lo, s3
; %bb.989:
	v_bfe_u32 v8, v7, 20, 1
	s_delay_alu instid0(VALU_DEP_1) | instskip(NEXT) | instid1(VALU_DEP_1)
	v_add3_u32 v8, v7, v8, 0x407ffff
	v_and_b32_e32 v9, 0xff00000, v8
	v_lshrrev_b32_e32 v8, 20, v8
	s_delay_alu instid0(VALU_DEP_2) | instskip(NEXT) | instid1(VALU_DEP_2)
	v_cmp_ne_u32_e32 vcc_lo, 0x7f00000, v9
	v_cndmask_b32_e32 v8, 0x7e, v8, vcc_lo
; %bb.990:
	s_and_not1_saveexec_b32 s3, s3
; %bb.991:
	v_add_f32_e64 v8, 0x46800000, |v7|
; %bb.992:
	s_or_b32 exec_lo, exec_lo, s3
                                        ; implicit-def: $vgpr9
.LBB131_993:
	s_and_not1_saveexec_b32 s2, s2
; %bb.994:
	v_mov_b32_e32 v8, 0x7f
	v_cmp_lt_u32_e32 vcc_lo, 0x7f800000, v9
	s_delay_alu instid0(VALU_DEP_2)
	v_cndmask_b32_e32 v8, 0x7e, v8, vcc_lo
; %bb.995:
	s_or_b32 exec_lo, exec_lo, s2
	v_lshrrev_b32_e32 v7, 24, v7
	s_delay_alu instid0(VALU_DEP_1)
	v_and_or_b32 v7, 0x80, v7, v8
	global_store_b8 v[4:5], v7, off
.LBB131_996:
	s_mov_b32 s2, 0
.LBB131_997:
	s_delay_alu instid0(SALU_CYCLE_1)
	s_and_not1_b32 vcc_lo, exec_lo, s2
	s_cbranch_vccnz .LBB131_1007
; %bb.998:
	v_cvt_f32_f64_e32 v7, v[0:1]
	s_mov_b32 s2, exec_lo
                                        ; implicit-def: $vgpr8
	s_delay_alu instid0(VALU_DEP_1) | instskip(NEXT) | instid1(VALU_DEP_1)
	v_and_b32_e32 v9, 0x7fffffff, v7
	v_cmpx_gt_u32_e32 0x47800000, v9
	s_xor_b32 s2, exec_lo, s2
	s_cbranch_execz .LBB131_1004
; %bb.999:
	s_mov_b32 s3, exec_lo
                                        ; implicit-def: $vgpr8
	v_cmpx_lt_u32_e32 0x387fffff, v9
	s_xor_b32 s3, exec_lo, s3
; %bb.1000:
	v_bfe_u32 v8, v7, 21, 1
	s_delay_alu instid0(VALU_DEP_1) | instskip(NEXT) | instid1(VALU_DEP_1)
	v_add3_u32 v8, v7, v8, 0x80fffff
	v_lshrrev_b32_e32 v8, 21, v8
; %bb.1001:
	s_and_not1_saveexec_b32 s3, s3
; %bb.1002:
	v_add_f32_e64 v8, 0x43000000, |v7|
; %bb.1003:
	s_or_b32 exec_lo, exec_lo, s3
                                        ; implicit-def: $vgpr9
.LBB131_1004:
	s_and_not1_saveexec_b32 s2, s2
; %bb.1005:
	v_mov_b32_e32 v8, 0x7f
	v_cmp_lt_u32_e32 vcc_lo, 0x7f800000, v9
	s_delay_alu instid0(VALU_DEP_2)
	v_cndmask_b32_e32 v8, 0x7c, v8, vcc_lo
; %bb.1006:
	s_or_b32 exec_lo, exec_lo, s2
	v_lshrrev_b32_e32 v7, 24, v7
	s_delay_alu instid0(VALU_DEP_1)
	v_and_or_b32 v7, 0x80, v7, v8
	global_store_b8 v[4:5], v7, off
.LBB131_1007:
	s_mov_b32 s2, 0
.LBB131_1008:
	s_delay_alu instid0(SALU_CYCLE_1)
	s_and_not1_b32 vcc_lo, exec_lo, s2
	s_mov_b32 s2, 0
	s_cbranch_vccnz .LBB131_1016
; %bb.1009:
	v_cmp_lt_i16_e32 vcc_lo, 14, v6
	s_mov_b32 s2, -1
	s_cbranch_vccz .LBB131_1013
; %bb.1010:
	v_cmp_eq_u16_e32 vcc_lo, 15, v6
	s_mov_b32 s0, -1
	s_cbranch_vccz .LBB131_1012
; %bb.1011:
	v_cvt_f32_f64_e32 v7, v[0:1]
	s_mov_b32 s0, 0
	s_delay_alu instid0(VALU_DEP_1) | instskip(SKIP_1) | instid1(VALU_DEP_2)
	v_bfe_u32 v8, v7, 16, 1
	v_cmp_o_f32_e32 vcc_lo, v7, v7
	v_add3_u32 v8, v7, v8, 0x7fff
	s_delay_alu instid0(VALU_DEP_1) | instskip(NEXT) | instid1(VALU_DEP_1)
	v_lshrrev_b32_e32 v8, 16, v8
	v_cndmask_b32_e32 v7, 0x7fc0, v8, vcc_lo
	global_store_b16 v[4:5], v7, off
.LBB131_1012:
	s_mov_b32 s2, 0
.LBB131_1013:
	s_delay_alu instid0(SALU_CYCLE_1)
	s_and_b32 vcc_lo, exec_lo, s2
	s_mov_b32 s2, 0
	s_cbranch_vccz .LBB131_1016
; %bb.1014:
	v_cmp_ne_u16_e32 vcc_lo, 11, v6
	s_and_not1_b32 s0, s0, exec_lo
	s_mov_b32 s2, -1
	s_and_b32 s3, vcc_lo, exec_lo
	s_delay_alu instid0(SALU_CYCLE_1)
	s_or_b32 s0, s0, s3
	s_branch .LBB131_1016
.LBB131_1015:
	s_mov_b32 s2, 0
.LBB131_1016:
	s_and_not1_b32 s3, s41, exec_lo
	s_and_b32 s4, s0, exec_lo
	s_and_b32 s1, s1, exec_lo
	;; [unrolled: 1-line block ×3, first 2 shown]
	s_or_b32 s2, s3, s4
.LBB131_1017:
	s_or_b32 exec_lo, exec_lo, s36
	s_delay_alu instid0(SALU_CYCLE_1)
	s_and_not1_b32 s3, s41, exec_lo
	s_and_b32 s2, s2, exec_lo
	s_and_b32 s1, s1, exec_lo
	;; [unrolled: 1-line block ×3, first 2 shown]
	s_or_b32 s41, s3, s2
.LBB131_1018:
	s_or_b32 exec_lo, exec_lo, s40
	s_delay_alu instid0(SALU_CYCLE_1)
	s_and_not1_b32 s2, s38, exec_lo
	s_and_b32 s3, s41, exec_lo
	s_and_b32 s1, s1, exec_lo
	;; [unrolled: 1-line block ×3, first 2 shown]
	s_or_b32 s38, s2, s3
.LBB131_1019:
	s_or_b32 exec_lo, exec_lo, s39
	s_delay_alu instid0(SALU_CYCLE_1)
	s_and_b32 s2, s1, exec_lo
	s_and_not1_b32 s1, s35, exec_lo
	s_and_b32 s3, s38, exec_lo
	s_and_b32 s38, s0, exec_lo
	s_or_b32 s35, s1, s3
	s_or_b32 exec_lo, exec_lo, s37
	s_mov_b32 s1, 0
	s_and_saveexec_b32 s0, s35
	s_cbranch_execz .LBB131_134
.LBB131_1020:
	s_cbranch_execnz .LBB131_1022
; %bb.1021:
	s_mov_b32 s1, exec_lo
	s_and_not1_b32 s38, s38, exec_lo
	s_or_b32 exec_lo, exec_lo, s0
	s_and_saveexec_b32 s0, s38
	s_delay_alu instid0(SALU_CYCLE_1)
	s_xor_b32 s3, exec_lo, s0
	s_cbranch_execnz .LBB131_135
	s_branch .LBB131_136
.LBB131_1022:
	s_trap 2
	s_sendmsg_rtn_b32 s0, sendmsg(MSG_RTN_GET_DOORBELL)
	s_mov_b32 ttmp2, m0
	s_waitcnt lgkmcnt(0)
	s_and_b32 s0, s0, 0x3ff
	s_delay_alu instid0(SALU_CYCLE_1) | instskip(NEXT) | instid1(SALU_CYCLE_1)
	s_bitset1_b32 s0, 10
	s_mov_b32 m0, s0
	s_sendmsg sendmsg(MSG_INTERRUPT)
	s_mov_b32 m0, ttmp2
.LBB131_1023:                           ; =>This Inner Loop Header: Depth=1
	s_sethalt 5
	s_branch .LBB131_1023
.LBB131_1024:
	s_or_saveexec_b32 s3, s3
                                        ; implicit-def: $sgpr4
	s_delay_alu instid0(SALU_CYCLE_1)
	s_xor_b32 exec_lo, exec_lo, s3
	s_cbranch_execz .LBB131_970
.LBB131_1025:
	v_add_f32_e64 v8, 0x46000000, |v7|
	s_and_not1_b32 s2, s2, exec_lo
	s_mov_b32 s4, 0
	s_delay_alu instid0(VALU_DEP_1) | instskip(NEXT) | instid1(VALU_DEP_1)
	v_and_b32_e32 v8, 0xff, v8
	v_cmp_ne_u32_e32 vcc_lo, 0, v8
	s_and_b32 s5, vcc_lo, exec_lo
	s_delay_alu instid0(SALU_CYCLE_1)
	s_or_b32 s2, s2, s5
	s_or_b32 exec_lo, exec_lo, s3
	v_mov_b32_e32 v9, s4
	s_and_saveexec_b32 s3, s2
	s_cbranch_execnz .LBB131_971
	s_branch .LBB131_972
.LBB131_1026:
	s_or_saveexec_b32 s4, s4
                                        ; implicit-def: $sgpr5
	s_delay_alu instid0(SALU_CYCLE_1)
	s_xor_b32 exec_lo, exec_lo, s4
	s_cbranch_execz .LBB131_982
.LBB131_1027:
	v_add_f32_e64 v8, 0x42800000, |v7|
	s_and_not1_b32 s3, s3, exec_lo
	s_mov_b32 s5, 0
	s_delay_alu instid0(VALU_DEP_1) | instskip(NEXT) | instid1(VALU_DEP_1)
	v_and_b32_e32 v8, 0xff, v8
	v_cmp_ne_u32_e32 vcc_lo, 0, v8
	s_and_b32 s6, vcc_lo, exec_lo
	s_delay_alu instid0(SALU_CYCLE_1)
	s_or_b32 s3, s3, s6
	s_or_b32 exec_lo, exec_lo, s4
	v_mov_b32_e32 v9, s5
	s_and_saveexec_b32 s4, s3
	s_cbranch_execnz .LBB131_983
	s_branch .LBB131_984
	.section	.rodata,"a",@progbits
	.p2align	6, 0x0
	.amdhsa_kernel _ZN2at6native32elementwise_kernel_manual_unrollILi128ELi4EZNS0_15gpu_kernel_implIZZZNS0_17expm1_kernel_cudaERNS_18TensorIteratorBaseEENKUlvE_clEvENKUlvE1_clEvEUlN3c107complexIdEEE_EEvS4_RKT_EUlibE_EEviT1_
		.amdhsa_group_segment_fixed_size 0
		.amdhsa_private_segment_fixed_size 0
		.amdhsa_kernarg_size 40
		.amdhsa_user_sgpr_count 15
		.amdhsa_user_sgpr_dispatch_ptr 0
		.amdhsa_user_sgpr_queue_ptr 0
		.amdhsa_user_sgpr_kernarg_segment_ptr 1
		.amdhsa_user_sgpr_dispatch_id 0
		.amdhsa_user_sgpr_private_segment_size 0
		.amdhsa_wavefront_size32 1
		.amdhsa_uses_dynamic_stack 0
		.amdhsa_enable_private_segment 0
		.amdhsa_system_sgpr_workgroup_id_x 1
		.amdhsa_system_sgpr_workgroup_id_y 0
		.amdhsa_system_sgpr_workgroup_id_z 0
		.amdhsa_system_sgpr_workgroup_info 0
		.amdhsa_system_vgpr_workitem_id 0
		.amdhsa_next_free_vgpr 113
		.amdhsa_next_free_sgpr 42
		.amdhsa_reserve_vcc 1
		.amdhsa_float_round_mode_32 0
		.amdhsa_float_round_mode_16_64 0
		.amdhsa_float_denorm_mode_32 3
		.amdhsa_float_denorm_mode_16_64 3
		.amdhsa_dx10_clamp 1
		.amdhsa_ieee_mode 1
		.amdhsa_fp16_overflow 0
		.amdhsa_workgroup_processor_mode 1
		.amdhsa_memory_ordered 1
		.amdhsa_forward_progress 0
		.amdhsa_shared_vgpr_count 0
		.amdhsa_exception_fp_ieee_invalid_op 0
		.amdhsa_exception_fp_denorm_src 0
		.amdhsa_exception_fp_ieee_div_zero 0
		.amdhsa_exception_fp_ieee_overflow 0
		.amdhsa_exception_fp_ieee_underflow 0
		.amdhsa_exception_fp_ieee_inexact 0
		.amdhsa_exception_int_div_zero 0
	.end_amdhsa_kernel
	.section	.text._ZN2at6native32elementwise_kernel_manual_unrollILi128ELi4EZNS0_15gpu_kernel_implIZZZNS0_17expm1_kernel_cudaERNS_18TensorIteratorBaseEENKUlvE_clEvENKUlvE1_clEvEUlN3c107complexIdEEE_EEvS4_RKT_EUlibE_EEviT1_,"axG",@progbits,_ZN2at6native32elementwise_kernel_manual_unrollILi128ELi4EZNS0_15gpu_kernel_implIZZZNS0_17expm1_kernel_cudaERNS_18TensorIteratorBaseEENKUlvE_clEvENKUlvE1_clEvEUlN3c107complexIdEEE_EEvS4_RKT_EUlibE_EEviT1_,comdat
.Lfunc_end131:
	.size	_ZN2at6native32elementwise_kernel_manual_unrollILi128ELi4EZNS0_15gpu_kernel_implIZZZNS0_17expm1_kernel_cudaERNS_18TensorIteratorBaseEENKUlvE_clEvENKUlvE1_clEvEUlN3c107complexIdEEE_EEvS4_RKT_EUlibE_EEviT1_, .Lfunc_end131-_ZN2at6native32elementwise_kernel_manual_unrollILi128ELi4EZNS0_15gpu_kernel_implIZZZNS0_17expm1_kernel_cudaERNS_18TensorIteratorBaseEENKUlvE_clEvENKUlvE1_clEvEUlN3c107complexIdEEE_EEvS4_RKT_EUlibE_EEviT1_
                                        ; -- End function
	.section	.AMDGPU.csdata,"",@progbits
; Kernel info:
; codeLenInByte = 19192
; NumSgprs: 44
; NumVgprs: 113
; ScratchSize: 0
; MemoryBound: 0
; FloatMode: 240
; IeeeMode: 1
; LDSByteSize: 0 bytes/workgroup (compile time only)
; SGPRBlocks: 5
; VGPRBlocks: 14
; NumSGPRsForWavesPerEU: 44
; NumVGPRsForWavesPerEU: 113
; Occupancy: 12
; WaveLimiterHint : 0
; COMPUTE_PGM_RSRC2:SCRATCH_EN: 0
; COMPUTE_PGM_RSRC2:USER_SGPR: 15
; COMPUTE_PGM_RSRC2:TRAP_HANDLER: 0
; COMPUTE_PGM_RSRC2:TGID_X_EN: 1
; COMPUTE_PGM_RSRC2:TGID_Y_EN: 0
; COMPUTE_PGM_RSRC2:TGID_Z_EN: 0
; COMPUTE_PGM_RSRC2:TIDIG_COMP_CNT: 0
	.text
	.p2align	2                               ; -- Begin function _ZN2at6native6invokeIZZZNS0_17expm1_kernel_cudaERNS_18TensorIteratorBaseEENKUlvE_clEvENKUlvE1_clEvEUlN3c107complexIdEEE_j15function_traitsIS9_EEENT1_11result_typeERKT_PrKPcPKT0_PKNS6_10ScalarTypeEi
	.type	_ZN2at6native6invokeIZZZNS0_17expm1_kernel_cudaERNS_18TensorIteratorBaseEENKUlvE_clEvENKUlvE1_clEvEUlN3c107complexIdEEE_j15function_traitsIS9_EEENT1_11result_typeERKT_PrKPcPKT0_PKNS6_10ScalarTypeEi,@function
_ZN2at6native6invokeIZZZNS0_17expm1_kernel_cudaERNS_18TensorIteratorBaseEENKUlvE_clEvENKUlvE1_clEvEUlN3c107complexIdEEE_j15function_traitsIS9_EEENT1_11result_typeERKT_PrKPcPKT0_PKNS6_10ScalarTypeEi: ; @_ZN2at6native6invokeIZZZNS0_17expm1_kernel_cudaERNS_18TensorIteratorBaseEENKUlvE_clEvENKUlvE1_clEvEUlN3c107complexIdEEE_j15function_traitsIS9_EEENT1_11result_typeERKT_PrKPcPKT0_PKNS6_10ScalarTypeEi
; %bb.0:
	s_waitcnt vmcnt(0) expcnt(0) lgkmcnt(0)
	v_add_co_u32 v0, vcc_lo, v0, v2
	v_and_b32_e32 v3, 0xff, v3
	v_add_co_ci_u32_e32 v1, vcc_lo, 0, v1, vcc_lo
	s_mov_b32 s2, 0
                                        ; implicit-def: $vgpr6_vgpr7
	s_mov_b32 s0, exec_lo
	s_delay_alu instid0(VALU_DEP_2)
	v_cmpx_lt_i16_e32 10, v3
	s_xor_b32 s4, exec_lo, s0
	s_cbranch_execz .LBB132_41
; %bb.1:
	s_mov_b32 s5, 0
	s_mov_b32 s8, 0
	;; [unrolled: 1-line block ×3, first 2 shown]
                                        ; implicit-def: $vgpr6_vgpr7
	s_mov_b32 s0, exec_lo
	v_cmpx_lt_i16_e32 25, v3
	s_xor_b32 s7, exec_lo, s0
	s_cbranch_execz .LBB132_91
; %bb.2:
                                        ; implicit-def: $vgpr6_vgpr7
	s_mov_b32 s0, exec_lo
	v_cmpx_lt_i16_e32 28, v3
	s_xor_b32 s2, exec_lo, s0
	s_cbranch_execz .LBB132_18
; %bb.3:
	s_mov_b32 s9, 0
                                        ; implicit-def: $vgpr6_vgpr7
	s_mov_b32 s0, exec_lo
	v_cmpx_lt_i16_e32 43, v3
	s_xor_b32 s3, exec_lo, s0
	s_cbranch_execz .LBB132_13
; %bb.4:
	s_mov_b32 s0, exec_lo
                                        ; implicit-def: $vgpr6_vgpr7
	v_cmpx_lt_i16_e32 45, v3
	s_xor_b32 s0, exec_lo, s0
	s_cbranch_execz .LBB132_8
; %bb.5:
	s_mov_b32 s6, -1
	s_mov_b32 s1, 0
	s_mov_b32 s8, exec_lo
                                        ; implicit-def: $vgpr6_vgpr7
	v_cmpx_eq_u16_e32 46, v3
	s_cbranch_execz .LBB132_7
; %bb.6:
	flat_load_b32 v2, v[0:1]
	s_mov_b32 s1, exec_lo
	s_xor_b32 s6, exec_lo, -1
	s_waitcnt vmcnt(0) lgkmcnt(0)
	v_lshlrev_b32_e32 v3, 16, v2
	v_and_b32_e32 v2, 0xffff0000, v2
	s_delay_alu instid0(VALU_DEP_2) | instskip(NEXT) | instid1(VALU_DEP_2)
	v_cvt_f64_f32_e32 v[4:5], v3
	v_cvt_f64_f32_e32 v[6:7], v2
.LBB132_7:
	s_or_b32 exec_lo, exec_lo, s8
	s_delay_alu instid0(SALU_CYCLE_1)
	s_and_b32 s8, s1, exec_lo
	s_and_b32 s6, s6, exec_lo
                                        ; implicit-def: $vgpr3
.LBB132_8:
	s_and_not1_saveexec_b32 s9, s0
	s_cbranch_execz .LBB132_12
; %bb.9:
	s_mov_b32 s11, -1
	s_mov_b32 s12, s8
	s_mov_b32 s10, exec_lo
                                        ; implicit-def: $sgpr0_sgpr1
                                        ; implicit-def: $vgpr4_vgpr5
	v_cmpx_eq_u16_e32 44, v3
	s_cbranch_execz .LBB132_11
; %bb.10:
	flat_load_u8 v4, v[0:1]
	s_mov_b64 s[0:1], 0
	s_or_b32 s12, s8, exec_lo
	s_xor_b32 s11, exec_lo, -1
	s_waitcnt vmcnt(0) lgkmcnt(0)
	v_cmp_ne_u32_e32 vcc_lo, 0xff, v4
	v_lshlrev_b32_e32 v2, 23, v4
	s_delay_alu instid0(VALU_DEP_1) | instskip(NEXT) | instid1(VALU_DEP_1)
	v_cvt_f64_f32_e32 v[2:3], v2
	v_cndmask_b32_e32 v3, 0x7ff80000, v3, vcc_lo
	s_delay_alu instid0(VALU_DEP_2) | instskip(SKIP_1) | instid1(VALU_DEP_3)
	v_cndmask_b32_e32 v2, 0x20000000, v2, vcc_lo
	v_cmp_ne_u32_e32 vcc_lo, 0, v4
	v_cndmask_b32_e32 v5, 0x38000000, v3, vcc_lo
	s_delay_alu instid0(VALU_DEP_3)
	v_cndmask_b32_e32 v4, 0, v2, vcc_lo
.LBB132_11:
	s_or_b32 exec_lo, exec_lo, s10
	v_dual_mov_b32 v7, s1 :: v_dual_mov_b32 v6, s0
	s_and_not1_b32 s0, s8, exec_lo
	s_and_b32 s1, s12, exec_lo
	s_and_not1_b32 s6, s6, exec_lo
	s_and_b32 s10, s11, exec_lo
	s_or_b32 s8, s0, s1
	s_or_b32 s6, s6, s10
.LBB132_12:
	s_or_b32 exec_lo, exec_lo, s9
	s_delay_alu instid0(SALU_CYCLE_1)
	s_and_b32 s9, s8, exec_lo
	s_and_b32 s8, s6, exec_lo
                                        ; implicit-def: $vgpr3
.LBB132_13:
	s_and_not1_saveexec_b32 s3, s3
	s_cbranch_execz .LBB132_17
; %bb.14:
	s_mov_b32 s6, -1
	s_mov_b32 s10, s9
	s_mov_b32 s11, exec_lo
                                        ; implicit-def: $sgpr0_sgpr1
                                        ; implicit-def: $vgpr4_vgpr5
	v_cmpx_eq_u16_e32 29, v3
	s_cbranch_execz .LBB132_16
; %bb.15:
	flat_load_b64 v[2:3], v[0:1]
	s_mov_b64 s[0:1], 0
	s_or_b32 s10, s9, exec_lo
	s_xor_b32 s6, exec_lo, -1
	s_waitcnt vmcnt(0) lgkmcnt(0)
	v_cvt_f64_u32_e32 v[3:4], v3
	v_cvt_f64_u32_e32 v[5:6], v2
	s_delay_alu instid0(VALU_DEP_2) | instskip(NEXT) | instid1(VALU_DEP_1)
	v_ldexp_f64 v[3:4], v[3:4], 32
	v_add_f64 v[4:5], v[3:4], v[5:6]
.LBB132_16:
	s_or_b32 exec_lo, exec_lo, s11
	v_dual_mov_b32 v7, s1 :: v_dual_mov_b32 v6, s0
	s_and_not1_b32 s0, s9, exec_lo
	s_and_b32 s1, s10, exec_lo
	s_and_not1_b32 s8, s8, exec_lo
	s_and_b32 s6, s6, exec_lo
	s_or_b32 s9, s0, s1
	s_or_b32 s8, s8, s6
.LBB132_17:
	s_or_b32 exec_lo, exec_lo, s3
	s_delay_alu instid0(SALU_CYCLE_1)
	s_and_b32 s6, s9, exec_lo
	s_and_b32 s8, s8, exec_lo
                                        ; implicit-def: $vgpr3
.LBB132_18:
	s_and_not1_saveexec_b32 s9, s2
	s_cbranch_execz .LBB132_36
; %bb.19:
                                        ; implicit-def: $vgpr6_vgpr7
	s_mov_b32 s0, exec_lo
	v_cmpx_lt_i16_e32 26, v3
	s_xor_b32 s2, exec_lo, s0
	s_cbranch_execz .LBB132_25
; %bb.20:
	s_mov_b32 s3, exec_lo
                                        ; implicit-def: $sgpr0_sgpr1
                                        ; implicit-def: $vgpr4_vgpr5
	v_cmpx_lt_i16_e32 27, v3
	s_xor_b32 s3, exec_lo, s3
	s_cbranch_execz .LBB132_22
; %bb.21:
	flat_load_b32 v2, v[0:1]
	s_mov_b64 s[0:1], 0
	s_waitcnt vmcnt(0) lgkmcnt(0)
	v_cvt_f64_u32_e32 v[4:5], v2
.LBB132_22:
	s_or_saveexec_b32 s3, s3
	v_dual_mov_b32 v7, s1 :: v_dual_mov_b32 v6, s0
	s_xor_b32 exec_lo, exec_lo, s3
	s_cbranch_execz .LBB132_24
; %bb.23:
	flat_load_u16 v2, v[0:1]
	v_mov_b32_e32 v6, 0
	v_mov_b32_e32 v7, 0
	s_waitcnt vmcnt(0) lgkmcnt(0)
	v_cvt_f64_u32_e32 v[4:5], v2
.LBB132_24:
	s_or_b32 exec_lo, exec_lo, s3
.LBB132_25:
	s_and_not1_saveexec_b32 s10, s2
	s_cbranch_execz .LBB132_35
; %bb.26:
	flat_load_u8 v2, v[0:1]
	s_mov_b32 s11, 0
	s_mov_b32 s12, exec_lo
                                        ; implicit-def: $sgpr0_sgpr1
                                        ; implicit-def: $sgpr2_sgpr3
	s_waitcnt vmcnt(0) lgkmcnt(0)
	v_cmpx_lt_i16_e32 0x7f, v2
	s_xor_b32 s12, exec_lo, s12
	s_cbranch_execz .LBB132_30
; %bb.27:
	s_mov_b32 s11, -1
	s_mov_b32 s13, exec_lo
                                        ; implicit-def: $sgpr0_sgpr1
                                        ; implicit-def: $sgpr2_sgpr3
	v_cmpx_eq_u16_e32 0x80, v2
; %bb.28:
	s_mov_b64 s[0:1], 0
	s_mov_b32 s3, 0x7ff80000
	s_brev_b32 s2, 4
	s_xor_b32 s11, exec_lo, -1
; %bb.29:
	s_or_b32 exec_lo, exec_lo, s13
	s_delay_alu instid0(SALU_CYCLE_1)
	s_and_b32 s11, s11, exec_lo
.LBB132_30:
	s_or_saveexec_b32 s12, s12
	v_dual_mov_b32 v7, s1 :: v_dual_mov_b32 v6, s0
	v_dual_mov_b32 v5, s3 :: v_dual_mov_b32 v4, s2
	s_xor_b32 exec_lo, exec_lo, s12
; %bb.31:
	v_mov_b32_e32 v6, 0
	v_mov_b32_e32 v7, 0
	v_cmp_ne_u16_e32 vcc_lo, 0, v2
	s_delay_alu instid0(VALU_DEP_3) | instskip(SKIP_1) | instid1(VALU_DEP_3)
	v_mov_b32_e32 v4, v6
	s_and_not1_b32 s0, s11, exec_lo
	v_mov_b32_e32 v5, v7
	s_and_b32 s1, vcc_lo, exec_lo
	s_delay_alu instid0(SALU_CYCLE_1)
	s_or_b32 s11, s0, s1
; %bb.32:
	s_or_b32 exec_lo, exec_lo, s12
	s_and_saveexec_b32 s0, s11
	s_cbranch_execz .LBB132_34
; %bb.33:
	v_and_b32_e32 v3, 0xffff, v2
	v_lshlrev_b32_e32 v2, 24, v2
	s_delay_alu instid0(VALU_DEP_2) | instskip(NEXT) | instid1(VALU_DEP_1)
	v_and_b32_e32 v4, 7, v3
	v_clz_i32_u32_e32 v5, v4
	s_delay_alu instid0(VALU_DEP_1) | instskip(NEXT) | instid1(VALU_DEP_1)
	v_min_u32_e32 v5, 32, v5
	v_subrev_nc_u32_e32 v6, 28, v5
	v_sub_nc_u32_e32 v5, 29, v5
	s_delay_alu instid0(VALU_DEP_2) | instskip(SKIP_1) | instid1(VALU_DEP_2)
	v_lshlrev_b32_e32 v6, v6, v3
	v_bfe_u32 v3, v3, 3, 4
	v_and_b32_e32 v6, 7, v6
	s_delay_alu instid0(VALU_DEP_2) | instskip(NEXT) | instid1(VALU_DEP_2)
	v_cmp_eq_u32_e32 vcc_lo, 0, v3
	v_dual_cndmask_b32 v3, v3, v5 :: v_dual_cndmask_b32 v4, v4, v6
	v_mov_b32_e32 v6, 0
	v_dual_mov_b32 v7, 0 :: v_dual_and_b32 v2, 0x80000000, v2
	s_delay_alu instid0(VALU_DEP_3) | instskip(NEXT) | instid1(VALU_DEP_4)
	v_lshl_add_u32 v3, v3, 23, 0x3b800000
	v_lshlrev_b32_e32 v4, 20, v4
	s_delay_alu instid0(VALU_DEP_1) | instskip(NEXT) | instid1(VALU_DEP_1)
	v_or3_b32 v2, v2, v3, v4
	v_cvt_f64_f32_e32 v[4:5], v2
.LBB132_34:
	s_or_b32 exec_lo, exec_lo, s0
.LBB132_35:
	s_delay_alu instid0(SALU_CYCLE_1) | instskip(NEXT) | instid1(SALU_CYCLE_1)
	s_or_b32 exec_lo, exec_lo, s10
	s_or_b32 s6, s6, exec_lo
.LBB132_36:
	s_or_b32 exec_lo, exec_lo, s9
	s_delay_alu instid0(SALU_CYCLE_1)
	s_and_b32 s6, s6, exec_lo
	s_and_b32 s8, s8, exec_lo
                                        ; implicit-def: $vgpr3
	s_and_not1_saveexec_b32 s7, s7
	s_cbranch_execnz .LBB132_92
.LBB132_37:
	s_or_b32 exec_lo, exec_lo, s7
	s_and_saveexec_b32 s0, s8
	s_cbranch_execnz .LBB132_119
.LBB132_38:
	s_or_b32 exec_lo, exec_lo, s0
	s_and_saveexec_b32 s0, s5
	s_delay_alu instid0(SALU_CYCLE_1)
	s_xor_b32 s0, exec_lo, s0
	s_cbranch_execz .LBB132_40
.LBB132_39:
	flat_load_u8 v0, v[0:1]
	v_mov_b32_e32 v6, 0
	v_dual_mov_b32 v7, 0 :: v_dual_mov_b32 v4, 0
	s_or_b32 s6, s6, exec_lo
	s_waitcnt vmcnt(0) lgkmcnt(0)
	v_cmp_ne_u16_e32 vcc_lo, 0, v0
	v_cndmask_b32_e64 v5, 0, 0x3ff00000, vcc_lo
.LBB132_40:
	s_or_b32 exec_lo, exec_lo, s0
	s_delay_alu instid0(SALU_CYCLE_1)
	s_and_b32 s2, s6, exec_lo
                                        ; implicit-def: $vgpr3
                                        ; implicit-def: $vgpr0_vgpr1
.LBB132_41:
	s_and_not1_saveexec_b32 s3, s4
	s_cbranch_execz .LBB132_83
; %bb.42:
                                        ; implicit-def: $vgpr6_vgpr7
	s_mov_b32 s0, exec_lo
	v_cmpx_lt_i16_e32 4, v3
	s_xor_b32 s4, exec_lo, s0
	s_cbranch_execz .LBB132_64
; %bb.43:
	s_mov_b32 s0, exec_lo
                                        ; implicit-def: $vgpr6_vgpr7
	v_cmpx_lt_i16_e32 7, v3
	s_xor_b32 s0, exec_lo, s0
	s_cbranch_execz .LBB132_53
; %bb.44:
	s_mov_b32 s1, exec_lo
                                        ; implicit-def: $vgpr6_vgpr7
	;; [unrolled: 6-line block ×3, first 2 shown]
	v_cmpx_lt_i16_e32 9, v3
	s_xor_b32 s5, exec_lo, s5
	s_cbranch_execz .LBB132_47
; %bb.46:
	flat_load_b128 v[4:7], v[0:1]
                                        ; implicit-def: $vgpr0_vgpr1
.LBB132_47:
	s_and_not1_saveexec_b32 s5, s5
	s_cbranch_execz .LBB132_49
; %bb.48:
	flat_load_b64 v[0:1], v[0:1]
	s_waitcnt vmcnt(0) lgkmcnt(0)
	v_cvt_f64_f32_e32 v[4:5], v0
	v_cvt_f64_f32_e32 v[6:7], v1
.LBB132_49:
	s_or_b32 exec_lo, exec_lo, s5
                                        ; implicit-def: $vgpr0_vgpr1
.LBB132_50:
	s_and_not1_saveexec_b32 s1, s1
	s_cbranch_execz .LBB132_52
; %bb.51:
	flat_load_b32 v0, v[0:1]
	s_waitcnt vmcnt(0) lgkmcnt(0)
	v_lshrrev_b32_e32 v1, 16, v0
	v_cvt_f32_f16_e32 v0, v0
	s_delay_alu instid0(VALU_DEP_2) | instskip(NEXT) | instid1(VALU_DEP_2)
	v_cvt_f32_f16_e32 v1, v1
	v_cvt_f64_f32_e32 v[4:5], v0
	s_delay_alu instid0(VALU_DEP_2)
	v_cvt_f64_f32_e32 v[6:7], v1
.LBB132_52:
	s_or_b32 exec_lo, exec_lo, s1
                                        ; implicit-def: $vgpr0_vgpr1
                                        ; implicit-def: $vgpr3
.LBB132_53:
	s_and_not1_saveexec_b32 s5, s0
	s_cbranch_execz .LBB132_63
; %bb.54:
                                        ; implicit-def: $vgpr6_vgpr7
	s_mov_b32 s0, exec_lo
	v_cmpx_lt_i16_e32 5, v3
	s_xor_b32 s6, exec_lo, s0
	s_cbranch_execz .LBB132_60
; %bb.55:
	s_mov_b32 s7, exec_lo
                                        ; implicit-def: $sgpr0_sgpr1
                                        ; implicit-def: $vgpr4_vgpr5
	v_cmpx_lt_i16_e32 6, v3
	s_xor_b32 s7, exec_lo, s7
	s_cbranch_execz .LBB132_57
; %bb.56:
	s_waitcnt vmcnt(0) lgkmcnt(0)
	flat_load_b64 v[4:5], v[0:1]
	s_mov_b64 s[0:1], 0
                                        ; implicit-def: $vgpr0_vgpr1
.LBB132_57:
	s_or_saveexec_b32 s7, s7
	s_waitcnt vmcnt(0) lgkmcnt(0)
	v_dual_mov_b32 v7, s1 :: v_dual_mov_b32 v6, s0
	s_xor_b32 exec_lo, exec_lo, s7
	s_cbranch_execz .LBB132_59
; %bb.58:
	flat_load_b32 v0, v[0:1]
	v_mov_b32_e32 v6, 0
	v_mov_b32_e32 v7, 0
	s_waitcnt vmcnt(0) lgkmcnt(0)
	v_cvt_f64_f32_e32 v[4:5], v0
.LBB132_59:
	s_or_b32 exec_lo, exec_lo, s7
                                        ; implicit-def: $vgpr0_vgpr1
.LBB132_60:
	s_and_not1_saveexec_b32 s0, s6
	s_cbranch_execz .LBB132_62
; %bb.61:
	flat_load_u16 v0, v[0:1]
	s_waitcnt vmcnt(1) lgkmcnt(1)
	v_mov_b32_e32 v6, 0
	v_mov_b32_e32 v7, 0
	s_waitcnt vmcnt(0) lgkmcnt(0)
	v_cvt_f32_f16_e32 v0, v0
	s_delay_alu instid0(VALU_DEP_1)
	v_cvt_f64_f32_e32 v[4:5], v0
.LBB132_62:
	s_or_b32 exec_lo, exec_lo, s0
.LBB132_63:
	s_delay_alu instid0(SALU_CYCLE_1)
	s_or_b32 exec_lo, exec_lo, s5
                                        ; implicit-def: $vgpr3
                                        ; implicit-def: $vgpr0_vgpr1
.LBB132_64:
	s_and_not1_saveexec_b32 s4, s4
	s_cbranch_execz .LBB132_82
; %bb.65:
                                        ; implicit-def: $vgpr6_vgpr7
	s_mov_b32 s0, exec_lo
	v_cmpx_lt_i16_e32 1, v3
	s_xor_b32 s5, exec_lo, s0
	s_cbranch_execz .LBB132_75
; %bb.66:
                                        ; implicit-def: $vgpr6_vgpr7
	s_mov_b32 s0, exec_lo
	v_cmpx_lt_i16_e32 2, v3
	s_xor_b32 s6, exec_lo, s0
	s_cbranch_execz .LBB132_72
; %bb.67:
	s_mov_b32 s7, exec_lo
                                        ; implicit-def: $sgpr0_sgpr1
                                        ; implicit-def: $vgpr4_vgpr5
	v_cmpx_lt_i16_e32 3, v3
	s_xor_b32 s7, exec_lo, s7
	s_cbranch_execz .LBB132_69
; %bb.68:
	flat_load_b64 v[0:1], v[0:1]
	s_mov_b64 s[0:1], 0
	s_waitcnt vmcnt(0) lgkmcnt(0)
	v_cvt_f64_i32_e32 v[1:2], v1
	v_cvt_f64_u32_e32 v[3:4], v0
	s_delay_alu instid0(VALU_DEP_2) | instskip(NEXT) | instid1(VALU_DEP_1)
	v_ldexp_f64 v[1:2], v[1:2], 32
	v_add_f64 v[4:5], v[1:2], v[3:4]
                                        ; implicit-def: $vgpr0_vgpr1
.LBB132_69:
	s_or_saveexec_b32 s7, s7
	s_waitcnt vmcnt(0) lgkmcnt(0)
	v_dual_mov_b32 v7, s1 :: v_dual_mov_b32 v6, s0
	s_xor_b32 exec_lo, exec_lo, s7
	s_cbranch_execz .LBB132_71
; %bb.70:
	flat_load_b32 v0, v[0:1]
	v_mov_b32_e32 v6, 0
	v_mov_b32_e32 v7, 0
	s_waitcnt vmcnt(0) lgkmcnt(0)
	v_cvt_f64_i32_e32 v[4:5], v0
.LBB132_71:
	s_or_b32 exec_lo, exec_lo, s7
                                        ; implicit-def: $vgpr0_vgpr1
.LBB132_72:
	s_and_not1_saveexec_b32 s0, s6
	s_cbranch_execz .LBB132_74
; %bb.73:
	flat_load_i16 v0, v[0:1]
	s_waitcnt vmcnt(1) lgkmcnt(1)
	v_mov_b32_e32 v6, 0
	v_mov_b32_e32 v7, 0
	s_waitcnt vmcnt(0) lgkmcnt(0)
	v_cvt_f64_i32_e32 v[4:5], v0
.LBB132_74:
	s_or_b32 exec_lo, exec_lo, s0
                                        ; implicit-def: $vgpr0_vgpr1
                                        ; implicit-def: $vgpr3
.LBB132_75:
	s_and_not1_saveexec_b32 s5, s5
	s_cbranch_execz .LBB132_81
; %bb.76:
	s_mov_b32 s6, exec_lo
                                        ; implicit-def: $sgpr0_sgpr1
                                        ; implicit-def: $vgpr4_vgpr5
	v_cmpx_lt_i16_e32 0, v3
	s_xor_b32 s6, exec_lo, s6
	s_cbranch_execz .LBB132_78
; %bb.77:
	flat_load_i8 v0, v[0:1]
	s_mov_b64 s[0:1], 0
	s_waitcnt vmcnt(0) lgkmcnt(0)
	v_cvt_f64_i32_e32 v[4:5], v0
                                        ; implicit-def: $vgpr0_vgpr1
.LBB132_78:
	s_or_saveexec_b32 s6, s6
	s_waitcnt vmcnt(0) lgkmcnt(0)
	v_dual_mov_b32 v7, s1 :: v_dual_mov_b32 v6, s0
	s_xor_b32 exec_lo, exec_lo, s6
	s_cbranch_execz .LBB132_80
; %bb.79:
	flat_load_u8 v0, v[0:1]
	v_mov_b32_e32 v6, 0
	v_mov_b32_e32 v7, 0
	s_waitcnt vmcnt(0) lgkmcnt(0)
	v_cvt_f64_u32_e32 v[4:5], v0
.LBB132_80:
	s_or_b32 exec_lo, exec_lo, s6
.LBB132_81:
	s_delay_alu instid0(SALU_CYCLE_1)
	s_or_b32 exec_lo, exec_lo, s5
.LBB132_82:
	s_delay_alu instid0(SALU_CYCLE_1) | instskip(NEXT) | instid1(SALU_CYCLE_1)
	s_or_b32 exec_lo, exec_lo, s4
	s_or_b32 s2, s2, exec_lo
.LBB132_83:
	s_or_b32 exec_lo, exec_lo, s3
                                        ; implicit-def: $vgpr0_vgpr1
                                        ; implicit-def: $vgpr2_vgpr3
	s_and_saveexec_b32 s7, s2
	s_cbranch_execz .LBB132_90
; %bb.84:
	s_waitcnt vmcnt(0) lgkmcnt(0)
	s_delay_alu instid0(VALU_DEP_1) | instskip(SKIP_1) | instid1(VALU_DEP_1)
	v_mul_f64 v[0:1], v[6:7], 0.5
	s_mov_b32 s1, exec_lo
                                        ; implicit-def: $vgpr26
                                        ; implicit-def: $vgpr2_vgpr3
                                        ; implicit-def: $vgpr8_vgpr9
	v_cmpx_ngt_f64_e64 0x41d00000, |v[0:1]|
	s_xor_b32 s1, exec_lo, s1
	s_cbranch_execz .LBB132_86
; %bb.85:
	v_ldexp_f64 v[2:3], |v[0:1]|, 0xffffff80
	v_cmp_le_f64_e64 vcc_lo, 0x7b000000, |v[0:1]|
	v_trig_preop_f64 v[8:9], |v[0:1]|, 0
	v_and_b32_e32 v10, 0x7fffffff, v1
	v_trig_preop_f64 v[20:21], |v[0:1]|, 2
	v_mov_b32_e32 v28, 0
	s_mov_b32 s2, 0x54442d18
	s_mov_b32 s3, 0x3ff921fb
	;; [unrolled: 1-line block ×4, first 2 shown]
	v_dual_cndmask_b32 v3, v10, v3 :: v_dual_cndmask_b32 v2, v0, v2
	v_trig_preop_f64 v[10:11], |v[0:1]|, 1
	s_delay_alu instid0(VALU_DEP_2) | instskip(SKIP_1) | instid1(VALU_DEP_3)
	v_mul_f64 v[12:13], v[8:9], v[2:3]
	v_mul_f64 v[26:27], v[20:21], v[2:3]
	;; [unrolled: 1-line block ×3, first 2 shown]
	s_delay_alu instid0(VALU_DEP_3) | instskip(NEXT) | instid1(VALU_DEP_2)
	v_fma_f64 v[8:9], v[8:9], v[2:3], -v[12:13]
	v_fma_f64 v[10:11], v[10:11], v[2:3], -v[14:15]
	s_delay_alu instid0(VALU_DEP_4) | instskip(NEXT) | instid1(VALU_DEP_3)
	v_fma_f64 v[2:3], v[20:21], v[2:3], -v[26:27]
	v_add_f64 v[16:17], v[14:15], v[8:9]
	s_delay_alu instid0(VALU_DEP_1) | instskip(SKIP_1) | instid1(VALU_DEP_2)
	v_add_f64 v[18:19], v[16:17], -v[14:15]
	v_add_f64 v[24:25], v[12:13], v[16:17]
	v_add_f64 v[22:23], v[16:17], -v[18:19]
	v_add_f64 v[8:9], v[8:9], -v[18:19]
	s_delay_alu instid0(VALU_DEP_3) | instskip(SKIP_1) | instid1(VALU_DEP_4)
	v_ldexp_f64 v[18:19], v[24:25], -2
	v_add_f64 v[12:13], v[24:25], -v[12:13]
	v_add_f64 v[14:15], v[14:15], -v[22:23]
	v_add_f64 v[22:23], v[26:27], v[10:11]
	s_delay_alu instid0(VALU_DEP_4) | instskip(NEXT) | instid1(VALU_DEP_4)
	v_cmp_neq_f64_e64 vcc_lo, 0x7ff00000, |v[18:19]|
	v_add_f64 v[12:13], v[16:17], -v[12:13]
	s_delay_alu instid0(VALU_DEP_4) | instskip(SKIP_1) | instid1(VALU_DEP_2)
	v_add_f64 v[8:9], v[8:9], v[14:15]
	v_fract_f64_e32 v[14:15], v[18:19]
	v_add_f64 v[16:17], v[22:23], v[8:9]
	s_delay_alu instid0(VALU_DEP_2) | instskip(NEXT) | instid1(VALU_DEP_1)
	v_dual_cndmask_b32 v15, 0, v15 :: v_dual_cndmask_b32 v14, 0, v14
	v_ldexp_f64 v[14:15], v[14:15], 2
	s_delay_alu instid0(VALU_DEP_3) | instskip(NEXT) | instid1(VALU_DEP_1)
	v_add_f64 v[18:19], v[12:13], v[16:17]
	v_add_f64 v[24:25], v[18:19], v[14:15]
	v_add_f64 v[12:13], v[18:19], -v[12:13]
	s_delay_alu instid0(VALU_DEP_2) | instskip(SKIP_1) | instid1(VALU_DEP_3)
	v_cmp_gt_f64_e32 vcc_lo, 0, v[24:25]
	v_add_f64 v[24:25], v[22:23], -v[26:27]
	v_add_f64 v[12:13], v[16:17], -v[12:13]
	v_cndmask_b32_e64 v29, 0, 0x40100000, vcc_lo
	s_delay_alu instid0(VALU_DEP_3) | instskip(SKIP_1) | instid1(VALU_DEP_3)
	v_add_f64 v[33:34], v[22:23], -v[24:25]
	v_add_f64 v[10:11], v[10:11], -v[24:25]
	v_add_f64 v[14:15], v[14:15], v[28:29]
	v_add_f64 v[29:30], v[16:17], -v[22:23]
	s_delay_alu instid0(VALU_DEP_4) | instskip(NEXT) | instid1(VALU_DEP_3)
	v_add_f64 v[24:25], v[26:27], -v[33:34]
	v_add_f64 v[31:32], v[18:19], v[14:15]
	s_delay_alu instid0(VALU_DEP_3) | instskip(SKIP_1) | instid1(VALU_DEP_4)
	v_add_f64 v[35:36], v[16:17], -v[29:30]
	v_add_f64 v[8:9], v[8:9], -v[29:30]
	v_add_f64 v[10:11], v[10:11], v[24:25]
	s_delay_alu instid0(VALU_DEP_4) | instskip(NEXT) | instid1(VALU_DEP_4)
	v_cvt_i32_f64_e32 v31, v[31:32]
	v_add_f64 v[22:23], v[22:23], -v[35:36]
	s_delay_alu instid0(VALU_DEP_2) | instskip(NEXT) | instid1(VALU_DEP_2)
	v_cvt_f64_i32_e32 v[29:30], v31
	v_add_f64 v[8:9], v[8:9], v[22:23]
	s_delay_alu instid0(VALU_DEP_2) | instskip(NEXT) | instid1(VALU_DEP_2)
	v_add_f64 v[14:15], v[14:15], -v[29:30]
	v_add_f64 v[8:9], v[10:11], v[8:9]
	s_delay_alu instid0(VALU_DEP_2) | instskip(NEXT) | instid1(VALU_DEP_2)
	v_add_f64 v[10:11], v[18:19], v[14:15]
	v_add_f64 v[2:3], v[2:3], v[8:9]
	s_delay_alu instid0(VALU_DEP_2) | instskip(SKIP_1) | instid1(VALU_DEP_3)
	v_add_f64 v[8:9], v[10:11], -v[14:15]
	v_cmp_le_f64_e32 vcc_lo, 0.5, v[10:11]
	v_add_f64 v[2:3], v[12:13], v[2:3]
	s_delay_alu instid0(VALU_DEP_3) | instskip(SKIP_2) | instid1(VALU_DEP_3)
	v_add_f64 v[8:9], v[18:19], -v[8:9]
	v_cndmask_b32_e64 v29, 0, 0x3ff00000, vcc_lo
	v_add_co_ci_u32_e64 v26, s0, 0, v31, vcc_lo
	v_add_f64 v[2:3], v[2:3], v[8:9]
	s_delay_alu instid0(VALU_DEP_3) | instskip(NEXT) | instid1(VALU_DEP_1)
	v_add_f64 v[8:9], v[10:11], -v[28:29]
	v_add_f64 v[10:11], v[8:9], v[2:3]
	s_delay_alu instid0(VALU_DEP_1) | instskip(SKIP_1) | instid1(VALU_DEP_2)
	v_mul_f64 v[12:13], v[10:11], s[2:3]
	v_add_f64 v[8:9], v[10:11], -v[8:9]
	v_fma_f64 v[14:15], v[10:11], s[2:3], -v[12:13]
	s_delay_alu instid0(VALU_DEP_2) | instskip(NEXT) | instid1(VALU_DEP_2)
	v_add_f64 v[2:3], v[2:3], -v[8:9]
	v_fma_f64 v[8:9], v[10:11], s[4:5], v[14:15]
	s_delay_alu instid0(VALU_DEP_1) | instskip(NEXT) | instid1(VALU_DEP_1)
	v_fma_f64 v[8:9], v[2:3], s[2:3], v[8:9]
	v_add_f64 v[2:3], v[12:13], v[8:9]
	s_delay_alu instid0(VALU_DEP_1) | instskip(NEXT) | instid1(VALU_DEP_1)
	v_add_f64 v[10:11], v[2:3], -v[12:13]
	v_add_f64 v[8:9], v[8:9], -v[10:11]
.LBB132_86:
	s_and_not1_saveexec_b32 s0, s1
	s_cbranch_execz .LBB132_88
; %bb.87:
	s_mov_b32 s2, 0x6dc9c883
	s_mov_b32 s3, 0x3fe45f30
	;; [unrolled: 1-line block ×3, first 2 shown]
	v_mul_f64 v[2:3], |v[0:1]|, s[2:3]
	s_mov_b32 s2, 0x54442d18
	s_mov_b32 s3, 0xbff921fb
	;; [unrolled: 1-line block ×3, first 2 shown]
	s_delay_alu instid0(VALU_DEP_1) | instskip(NEXT) | instid1(VALU_DEP_1)
	v_rndne_f64_e32 v[10:11], v[2:3]
	v_fma_f64 v[2:3], v[10:11], s[2:3], |v[0:1]|
	v_mul_f64 v[8:9], v[10:11], s[4:5]
	s_mov_b32 s2, 0x252049c0
	s_mov_b32 s3, 0xb97b839a
	v_cvt_i32_f64_e32 v26, v[10:11]
	s_delay_alu instid0(VALU_DEP_3) | instskip(NEXT) | instid1(VALU_DEP_3)
	v_fma_f64 v[14:15], v[10:11], s[4:5], v[2:3]
	v_add_f64 v[12:13], v[2:3], v[8:9]
	s_mov_b32 s5, 0x3c91a626
	s_delay_alu instid0(VALU_DEP_1) | instskip(NEXT) | instid1(VALU_DEP_3)
	v_add_f64 v[2:3], v[2:3], -v[12:13]
	v_add_f64 v[12:13], v[12:13], -v[14:15]
	s_delay_alu instid0(VALU_DEP_2) | instskip(SKIP_1) | instid1(VALU_DEP_2)
	v_add_f64 v[2:3], v[2:3], v[8:9]
	v_fma_f64 v[8:9], v[10:11], s[4:5], v[8:9]
	v_add_f64 v[2:3], v[12:13], v[2:3]
	s_delay_alu instid0(VALU_DEP_1) | instskip(NEXT) | instid1(VALU_DEP_1)
	v_add_f64 v[2:3], v[2:3], -v[8:9]
	v_fma_f64 v[8:9], v[10:11], s[2:3], v[2:3]
	s_delay_alu instid0(VALU_DEP_1) | instskip(NEXT) | instid1(VALU_DEP_1)
	v_add_f64 v[2:3], v[14:15], v[8:9]
	v_add_f64 v[12:13], v[2:3], -v[14:15]
	s_delay_alu instid0(VALU_DEP_1)
	v_add_f64 v[8:9], v[8:9], -v[12:13]
.LBB132_88:
	s_or_b32 exec_lo, exec_lo, s0
	v_cmp_ngt_f64_e64 s1, 0x41d00000, |v[6:7]|
	v_trig_preop_f64 v[22:23], |v[6:7]|, 0
	v_trig_preop_f64 v[20:21], |v[6:7]|, 1
	v_ldexp_f64 v[24:25], |v[6:7]|, 0xffffff80
	v_trig_preop_f64 v[18:19], |v[6:7]|, 2
	v_and_b32_e32 v29, 0x7fffffff, v7
                                        ; implicit-def: $vgpr27
                                        ; implicit-def: $vgpr10_vgpr11
                                        ; implicit-def: $vgpr12_vgpr13
	s_and_saveexec_b32 s0, s1
	s_delay_alu instid0(SALU_CYCLE_1)
	s_xor_b32 s2, exec_lo, s0
	s_cbranch_execz .LBB132_121
; %bb.89:
	v_cmp_le_f64_e64 vcc_lo, 0x7b000000, |v[6:7]|
	v_mov_b32_e32 v48, 0
	s_mov_b32 s4, 0x54442d18
	s_mov_b32 s5, 0x3ff921fb
	;; [unrolled: 1-line block ×4, first 2 shown]
	v_dual_cndmask_b32 v11, v29, v25 :: v_dual_cndmask_b32 v10, v6, v24
	s_delay_alu instid0(VALU_DEP_1) | instskip(SKIP_2) | instid1(VALU_DEP_3)
	v_mul_f64 v[12:13], v[22:23], v[10:11]
	v_mul_f64 v[14:15], v[20:21], v[10:11]
	;; [unrolled: 1-line block ×3, first 2 shown]
	v_fma_f64 v[16:17], v[22:23], v[10:11], -v[12:13]
	s_delay_alu instid0(VALU_DEP_3) | instskip(NEXT) | instid1(VALU_DEP_3)
	v_fma_f64 v[38:39], v[20:21], v[10:11], -v[14:15]
	v_fma_f64 v[10:11], v[18:19], v[10:11], -v[36:37]
	s_delay_alu instid0(VALU_DEP_3) | instskip(NEXT) | instid1(VALU_DEP_1)
	v_add_f64 v[27:28], v[14:15], v[16:17]
	v_add_f64 v[30:31], v[27:28], -v[14:15]
	v_add_f64 v[34:35], v[12:13], v[27:28]
	s_delay_alu instid0(VALU_DEP_2) | instskip(SKIP_1) | instid1(VALU_DEP_3)
	v_add_f64 v[32:33], v[27:28], -v[30:31]
	v_add_f64 v[16:17], v[16:17], -v[30:31]
	v_ldexp_f64 v[30:31], v[34:35], -2
	v_add_f64 v[12:13], v[34:35], -v[12:13]
	s_delay_alu instid0(VALU_DEP_4) | instskip(SKIP_1) | instid1(VALU_DEP_4)
	v_add_f64 v[14:15], v[14:15], -v[32:33]
	v_add_f64 v[32:33], v[36:37], v[38:39]
	v_cmp_neq_f64_e64 vcc_lo, 0x7ff00000, |v[30:31]|
	s_delay_alu instid0(VALU_DEP_4) | instskip(NEXT) | instid1(VALU_DEP_4)
	v_add_f64 v[12:13], v[27:28], -v[12:13]
	v_add_f64 v[14:15], v[16:17], v[14:15]
	v_fract_f64_e32 v[16:17], v[30:31]
	s_delay_alu instid0(VALU_DEP_2) | instskip(NEXT) | instid1(VALU_DEP_2)
	v_add_f64 v[27:28], v[32:33], v[14:15]
	v_dual_cndmask_b32 v17, 0, v17 :: v_dual_cndmask_b32 v16, 0, v16
	s_delay_alu instid0(VALU_DEP_1) | instskip(NEXT) | instid1(VALU_DEP_3)
	v_ldexp_f64 v[16:17], v[16:17], 2
	v_add_f64 v[30:31], v[12:13], v[27:28]
	s_delay_alu instid0(VALU_DEP_1) | instskip(SKIP_1) | instid1(VALU_DEP_2)
	v_add_f64 v[34:35], v[30:31], v[16:17]
	v_add_f64 v[12:13], v[30:31], -v[12:13]
	v_cmp_gt_f64_e32 vcc_lo, 0, v[34:35]
	v_add_f64 v[34:35], v[32:33], -v[36:37]
	s_delay_alu instid0(VALU_DEP_3) | instskip(SKIP_1) | instid1(VALU_DEP_3)
	v_add_f64 v[12:13], v[27:28], -v[12:13]
	v_cndmask_b32_e64 v49, 0, 0x40100000, vcc_lo
	v_add_f64 v[53:54], v[32:33], -v[34:35]
	v_add_f64 v[34:35], v[38:39], -v[34:35]
	s_delay_alu instid0(VALU_DEP_3) | instskip(SKIP_1) | instid1(VALU_DEP_4)
	v_add_f64 v[16:17], v[16:17], v[48:49]
	v_add_f64 v[49:50], v[27:28], -v[32:33]
	v_add_f64 v[38:39], v[36:37], -v[53:54]
	s_delay_alu instid0(VALU_DEP_3) | instskip(NEXT) | instid1(VALU_DEP_3)
	v_add_f64 v[51:52], v[30:31], v[16:17]
	v_add_f64 v[64:65], v[27:28], -v[49:50]
	v_add_f64 v[14:15], v[14:15], -v[49:50]
	s_delay_alu instid0(VALU_DEP_4) | instskip(NEXT) | instid1(VALU_DEP_4)
	v_add_f64 v[34:35], v[34:35], v[38:39]
	v_cvt_i32_f64_e32 v51, v[51:52]
	s_delay_alu instid0(VALU_DEP_4) | instskip(NEXT) | instid1(VALU_DEP_2)
	v_add_f64 v[32:33], v[32:33], -v[64:65]
	v_cvt_f64_i32_e32 v[49:50], v51
	s_delay_alu instid0(VALU_DEP_2) | instskip(NEXT) | instid1(VALU_DEP_2)
	v_add_f64 v[14:15], v[14:15], v[32:33]
	v_add_f64 v[16:17], v[16:17], -v[49:50]
	s_delay_alu instid0(VALU_DEP_2) | instskip(NEXT) | instid1(VALU_DEP_2)
	v_add_f64 v[14:15], v[34:35], v[14:15]
	v_add_f64 v[32:33], v[30:31], v[16:17]
	s_delay_alu instid0(VALU_DEP_2) | instskip(NEXT) | instid1(VALU_DEP_2)
	v_add_f64 v[10:11], v[10:11], v[14:15]
	v_add_f64 v[14:15], v[32:33], -v[16:17]
	v_cmp_le_f64_e32 vcc_lo, 0.5, v[32:33]
	s_delay_alu instid0(VALU_DEP_3) | instskip(NEXT) | instid1(VALU_DEP_3)
	v_add_f64 v[10:11], v[12:13], v[10:11]
	v_add_f64 v[12:13], v[30:31], -v[14:15]
	v_cndmask_b32_e64 v49, 0, 0x3ff00000, vcc_lo
	v_add_co_ci_u32_e64 v27, s0, 0, v51, vcc_lo
	s_delay_alu instid0(VALU_DEP_3) | instskip(NEXT) | instid1(VALU_DEP_3)
	v_add_f64 v[10:11], v[10:11], v[12:13]
	v_add_f64 v[12:13], v[32:33], -v[48:49]
	s_delay_alu instid0(VALU_DEP_1) | instskip(NEXT) | instid1(VALU_DEP_1)
	v_add_f64 v[14:15], v[12:13], v[10:11]
	v_mul_f64 v[16:17], v[14:15], s[4:5]
	v_add_f64 v[12:13], v[14:15], -v[12:13]
	s_delay_alu instid0(VALU_DEP_2) | instskip(NEXT) | instid1(VALU_DEP_2)
	v_fma_f64 v[30:31], v[14:15], s[4:5], -v[16:17]
	v_add_f64 v[10:11], v[10:11], -v[12:13]
	s_delay_alu instid0(VALU_DEP_2) | instskip(NEXT) | instid1(VALU_DEP_1)
	v_fma_f64 v[12:13], v[14:15], s[8:9], v[30:31]
	v_fma_f64 v[12:13], v[10:11], s[4:5], v[12:13]
	s_delay_alu instid0(VALU_DEP_1) | instskip(NEXT) | instid1(VALU_DEP_1)
	v_add_f64 v[10:11], v[16:17], v[12:13]
	v_add_f64 v[14:15], v[10:11], -v[16:17]
	s_delay_alu instid0(VALU_DEP_1)
	v_add_f64 v[12:13], v[12:13], -v[14:15]
	s_and_not1_saveexec_b32 s0, s2
	s_cbranch_execz .LBB132_123
	s_branch .LBB132_122
.LBB132_90:
	s_or_b32 exec_lo, exec_lo, s7
	s_waitcnt vmcnt(0) lgkmcnt(0)
	s_setpc_b64 s[30:31]
.LBB132_91:
	s_and_not1_saveexec_b32 s7, s7
	s_cbranch_execz .LBB132_37
.LBB132_92:
	s_mov_b32 s2, s6
                                        ; implicit-def: $vgpr6_vgpr7
	s_mov_b32 s0, exec_lo
	v_cmpx_lt_i16_e32 22, v3
	s_xor_b32 s5, exec_lo, s0
	s_cbranch_execz .LBB132_110
; %bb.93:
                                        ; implicit-def: $vgpr6_vgpr7
	s_mov_b32 s0, exec_lo
	v_cmpx_lt_i16_e32 23, v3
	s_xor_b32 s9, exec_lo, s0
	s_cbranch_execz .LBB132_107
; %bb.94:
	;; [unrolled: 6-line block ×3, first 2 shown]
	flat_load_u8 v2, v[0:1]
	s_mov_b32 s11, 0
	s_mov_b32 s12, exec_lo
                                        ; implicit-def: $sgpr0_sgpr1
                                        ; implicit-def: $sgpr2_sgpr3
	s_waitcnt vmcnt(0) lgkmcnt(0)
	v_cmpx_lt_i16_e32 0x7f, v2
	s_xor_b32 s12, exec_lo, s12
	s_cbranch_execz .LBB132_99
; %bb.96:
	s_mov_b32 s11, -1
	s_mov_b32 s13, exec_lo
                                        ; implicit-def: $sgpr0_sgpr1
                                        ; implicit-def: $sgpr2_sgpr3
	v_cmpx_eq_u16_e32 0x80, v2
; %bb.97:
	s_mov_b64 s[0:1], 0
	s_mov_b32 s3, 0x7ff80000
	s_brev_b32 s2, 4
	s_xor_b32 s11, exec_lo, -1
; %bb.98:
	s_or_b32 exec_lo, exec_lo, s13
	s_delay_alu instid0(SALU_CYCLE_1)
	s_and_b32 s11, s11, exec_lo
.LBB132_99:
	s_or_saveexec_b32 s12, s12
	v_dual_mov_b32 v7, s1 :: v_dual_mov_b32 v6, s0
	v_dual_mov_b32 v5, s3 :: v_dual_mov_b32 v4, s2
	s_xor_b32 exec_lo, exec_lo, s12
; %bb.100:
	v_mov_b32_e32 v6, 0
	v_mov_b32_e32 v7, 0
	v_cmp_ne_u16_e32 vcc_lo, 0, v2
	s_delay_alu instid0(VALU_DEP_3) | instskip(SKIP_1) | instid1(VALU_DEP_3)
	v_mov_b32_e32 v4, v6
	s_and_not1_b32 s0, s11, exec_lo
	v_mov_b32_e32 v5, v7
	s_and_b32 s1, vcc_lo, exec_lo
	s_delay_alu instid0(SALU_CYCLE_1)
	s_or_b32 s11, s0, s1
; %bb.101:
	s_or_b32 exec_lo, exec_lo, s12
	s_and_saveexec_b32 s0, s11
	s_cbranch_execz .LBB132_103
; %bb.102:
	v_and_b32_e32 v3, 0xffff, v2
	v_lshlrev_b32_e32 v2, 24, v2
	s_delay_alu instid0(VALU_DEP_2) | instskip(NEXT) | instid1(VALU_DEP_1)
	v_and_b32_e32 v4, 3, v3
	v_clz_i32_u32_e32 v5, v4
	s_delay_alu instid0(VALU_DEP_1) | instskip(NEXT) | instid1(VALU_DEP_1)
	v_min_u32_e32 v5, 32, v5
	v_subrev_nc_u32_e32 v6, 29, v5
	v_sub_nc_u32_e32 v5, 30, v5
	s_delay_alu instid0(VALU_DEP_2) | instskip(SKIP_1) | instid1(VALU_DEP_2)
	v_lshlrev_b32_e32 v6, v6, v3
	v_bfe_u32 v3, v3, 2, 5
	v_and_b32_e32 v6, 3, v6
	s_delay_alu instid0(VALU_DEP_2) | instskip(NEXT) | instid1(VALU_DEP_2)
	v_cmp_eq_u32_e32 vcc_lo, 0, v3
	v_dual_cndmask_b32 v3, v3, v5 :: v_dual_cndmask_b32 v4, v4, v6
	v_mov_b32_e32 v6, 0
	v_dual_mov_b32 v7, 0 :: v_dual_and_b32 v2, 0x80000000, v2
	s_delay_alu instid0(VALU_DEP_3) | instskip(NEXT) | instid1(VALU_DEP_4)
	v_lshl_add_u32 v3, v3, 23, 0x37800000
	v_lshlrev_b32_e32 v4, 21, v4
	s_delay_alu instid0(VALU_DEP_1) | instskip(NEXT) | instid1(VALU_DEP_1)
	v_or3_b32 v2, v2, v3, v4
	v_cvt_f64_f32_e32 v[4:5], v2
.LBB132_103:
	s_or_b32 exec_lo, exec_lo, s0
.LBB132_104:
	s_and_not1_saveexec_b32 s0, s10
	s_cbranch_execz .LBB132_106
; %bb.105:
	flat_load_u8 v2, v[0:1]
	s_waitcnt vmcnt(0) lgkmcnt(0)
	v_lshlrev_b32_e32 v2, 24, v2
	s_delay_alu instid0(VALU_DEP_1) | instskip(NEXT) | instid1(VALU_DEP_1)
	v_and_b32_e32 v3, 0x7f000000, v2
	v_clz_i32_u32_e32 v4, v3
	v_add_nc_u32_e32 v6, 0x1000000, v3
	s_delay_alu instid0(VALU_DEP_2) | instskip(NEXT) | instid1(VALU_DEP_1)
	v_min_u32_e32 v4, 32, v4
	v_sub_nc_u32_e64 v4, v4, 4 clamp
	s_delay_alu instid0(VALU_DEP_1) | instskip(SKIP_1) | instid1(VALU_DEP_2)
	v_lshlrev_b32_e32 v5, v4, v3
	v_lshlrev_b32_e32 v4, 23, v4
	v_lshrrev_b32_e32 v5, 4, v5
	s_delay_alu instid0(VALU_DEP_1)
	v_sub_nc_u32_e32 v4, v5, v4
	v_ashrrev_i32_e32 v5, 8, v6
	v_mov_b32_e32 v6, 0
	v_mov_b32_e32 v7, 0
	v_cmp_ne_u32_e32 vcc_lo, 0, v3
	v_add_nc_u32_e32 v4, 0x3c000000, v4
	s_delay_alu instid0(VALU_DEP_1) | instskip(NEXT) | instid1(VALU_DEP_1)
	v_and_or_b32 v4, 0x7f800000, v5, v4
	v_cndmask_b32_e32 v3, 0, v4, vcc_lo
	s_delay_alu instid0(VALU_DEP_1) | instskip(NEXT) | instid1(VALU_DEP_1)
	v_and_or_b32 v2, 0x80000000, v2, v3
	v_cvt_f64_f32_e32 v[4:5], v2
.LBB132_106:
	s_or_b32 exec_lo, exec_lo, s0
.LBB132_107:
	s_and_not1_saveexec_b32 s0, s9
	s_cbranch_execz .LBB132_109
; %bb.108:
	flat_load_u8 v2, v[0:1]
	v_mov_b32_e32 v6, 0
	v_mov_b32_e32 v7, 0
	s_waitcnt vmcnt(0) lgkmcnt(0)
	v_lshlrev_b32_e32 v3, 25, v2
	v_lshlrev_b16 v2, 8, v2
	s_delay_alu instid0(VALU_DEP_2) | instskip(NEXT) | instid1(VALU_DEP_2)
	v_lshrrev_b32_e32 v4, 4, v3
	v_and_or_b32 v5, 0x7f00, v2, 0.5
	v_bfe_i32 v2, v2, 0, 16
	s_delay_alu instid0(VALU_DEP_3) | instskip(NEXT) | instid1(VALU_DEP_1)
	v_or_b32_e32 v4, 0x70000000, v4
	v_dual_add_f32 v5, -0.5, v5 :: v_dual_mul_f32 v4, 0x7800000, v4
	v_cmp_gt_u32_e32 vcc_lo, 0x8000000, v3
	s_delay_alu instid0(VALU_DEP_2) | instskip(NEXT) | instid1(VALU_DEP_1)
	v_cndmask_b32_e32 v3, v4, v5, vcc_lo
	v_and_or_b32 v2, 0x80000000, v2, v3
	s_delay_alu instid0(VALU_DEP_1)
	v_cvt_f64_f32_e32 v[4:5], v2
.LBB132_109:
	s_or_b32 exec_lo, exec_lo, s0
	s_delay_alu instid0(SALU_CYCLE_1)
	s_or_b32 s2, s6, exec_lo
                                        ; implicit-def: $vgpr3
.LBB132_110:
	s_or_saveexec_b32 s3, s5
	s_mov_b32 s0, 0
	s_mov_b32 s1, s8
	s_xor_b32 exec_lo, exec_lo, s3
	s_cbranch_execz .LBB132_118
; %bb.111:
	s_mov_b32 s5, s8
	s_mov_b32 s9, s2
	s_mov_b32 s10, exec_lo
                                        ; implicit-def: $sgpr0_sgpr1
                                        ; implicit-def: $vgpr4_vgpr5
	v_cmpx_lt_i16_e32 14, v3
	s_xor_b32 s10, exec_lo, s10
	s_cbranch_execz .LBB132_115
; %bb.112:
	s_mov_b32 s5, -1
	s_mov_b32 s9, s2
	s_mov_b32 s11, exec_lo
                                        ; implicit-def: $sgpr0_sgpr1
                                        ; implicit-def: $vgpr4_vgpr5
	v_cmpx_eq_u16_e32 15, v3
	s_cbranch_execz .LBB132_114
; %bb.113:
	flat_load_u16 v2, v[0:1]
	s_mov_b64 s[0:1], 0
	s_or_b32 s9, s2, exec_lo
	s_xor_b32 s5, exec_lo, -1
	s_waitcnt vmcnt(0) lgkmcnt(0)
	v_lshlrev_b32_e32 v2, 16, v2
	s_delay_alu instid0(VALU_DEP_1)
	v_cvt_f64_f32_e32 v[4:5], v2
.LBB132_114:
	s_or_b32 exec_lo, exec_lo, s11
	s_delay_alu instid0(SALU_CYCLE_1)
	s_and_not1_b32 s11, s2, exec_lo
	s_and_b32 s9, s9, exec_lo
	s_and_not1_b32 s12, s8, exec_lo
	s_and_b32 s5, s5, exec_lo
	s_or_b32 s9, s11, s9
	s_or_b32 s5, s12, s5
                                        ; implicit-def: $vgpr3
.LBB132_115:
	s_or_saveexec_b32 s11, s10
	s_mov_b32 s10, 0
	s_xor_b32 exec_lo, exec_lo, s11
; %bb.116:
	v_cmp_ne_u16_e32 vcc_lo, 11, v3
	s_and_not1_b32 s5, s5, exec_lo
	s_mov_b32 s10, exec_lo
                                        ; implicit-def: $vgpr4_vgpr5
	s_and_b32 s12, vcc_lo, exec_lo
	s_delay_alu instid0(SALU_CYCLE_1)
	s_or_b32 s5, s5, s12
; %bb.117:
	s_or_b32 exec_lo, exec_lo, s11
	v_dual_mov_b32 v7, s1 :: v_dual_mov_b32 v6, s0
	s_and_not1_b32 s2, s2, exec_lo
	s_and_b32 s9, s9, exec_lo
	s_and_not1_b32 s1, s8, exec_lo
	s_and_b32 s5, s5, exec_lo
	s_or_b32 s2, s2, s9
	s_and_b32 s0, s10, exec_lo
	s_or_b32 s1, s1, s5
.LBB132_118:
	s_or_b32 exec_lo, exec_lo, s3
	s_delay_alu instid0(SALU_CYCLE_1)
	s_and_not1_b32 s3, s6, exec_lo
	s_and_b32 s2, s2, exec_lo
	s_and_b32 s1, s1, exec_lo
	s_or_b32 s6, s3, s2
	s_and_not1_b32 s2, s8, exec_lo
	s_and_b32 s5, s0, exec_lo
	s_or_b32 s8, s2, s1
	s_or_b32 exec_lo, exec_lo, s7
	s_and_saveexec_b32 s0, s8
	s_cbranch_execz .LBB132_38
.LBB132_119:
	s_cbranch_execnz .LBB132_128
; %bb.120:
	; divergent unreachable
	s_and_not1_b32 s5, s5, exec_lo
                                        ; implicit-def: $vgpr6_vgpr7
	s_or_b32 exec_lo, exec_lo, s0
	s_and_saveexec_b32 s0, s5
	s_delay_alu instid0(SALU_CYCLE_1)
	s_xor_b32 s0, exec_lo, s0
	s_cbranch_execnz .LBB132_39
	s_branch .LBB132_40
.LBB132_121:
	s_and_not1_saveexec_b32 s0, s2
	s_cbranch_execz .LBB132_123
.LBB132_122:
	s_mov_b32 s2, 0x6dc9c883
	s_mov_b32 s3, 0x3fe45f30
	;; [unrolled: 1-line block ×3, first 2 shown]
	v_mul_f64 v[10:11], |v[6:7]|, s[2:3]
	s_mov_b32 s2, 0x54442d18
	s_mov_b32 s3, 0xbff921fb
	;; [unrolled: 1-line block ×3, first 2 shown]
	s_delay_alu instid0(VALU_DEP_1) | instskip(NEXT) | instid1(VALU_DEP_1)
	v_rndne_f64_e32 v[14:15], v[10:11]
	v_fma_f64 v[10:11], v[14:15], s[2:3], |v[6:7]|
	v_mul_f64 v[12:13], v[14:15], s[4:5]
	s_mov_b32 s2, 0x252049c0
	s_mov_b32 s3, 0xb97b839a
	s_delay_alu instid0(VALU_DEP_2) | instskip(NEXT) | instid1(VALU_DEP_2)
	v_fma_f64 v[27:28], v[14:15], s[4:5], v[10:11]
	v_add_f64 v[16:17], v[10:11], v[12:13]
	s_mov_b32 s5, 0x3c91a626
	s_delay_alu instid0(VALU_DEP_1) | instskip(NEXT) | instid1(VALU_DEP_3)
	v_add_f64 v[10:11], v[10:11], -v[16:17]
	v_add_f64 v[16:17], v[16:17], -v[27:28]
	s_delay_alu instid0(VALU_DEP_2) | instskip(SKIP_1) | instid1(VALU_DEP_2)
	v_add_f64 v[10:11], v[10:11], v[12:13]
	v_fma_f64 v[12:13], v[14:15], s[4:5], v[12:13]
	v_add_f64 v[10:11], v[16:17], v[10:11]
	s_delay_alu instid0(VALU_DEP_1) | instskip(NEXT) | instid1(VALU_DEP_1)
	v_add_f64 v[10:11], v[10:11], -v[12:13]
	v_fma_f64 v[12:13], v[14:15], s[2:3], v[10:11]
	s_delay_alu instid0(VALU_DEP_1) | instskip(NEXT) | instid1(VALU_DEP_1)
	v_add_f64 v[10:11], v[27:28], v[12:13]
	v_add_f64 v[16:17], v[10:11], -v[27:28]
	v_cvt_i32_f64_e32 v27, v[14:15]
	s_delay_alu instid0(VALU_DEP_2)
	v_add_f64 v[12:13], v[12:13], -v[16:17]
.LBB132_123:
	s_or_b32 exec_lo, exec_lo, s0
                                        ; implicit-def: $vgpr28
                                        ; implicit-def: $vgpr14_vgpr15
                                        ; implicit-def: $vgpr16_vgpr17
	s_and_saveexec_b32 s0, s1
	s_delay_alu instid0(SALU_CYCLE_1)
	s_xor_b32 s1, exec_lo, s0
	s_cbranch_execz .LBB132_125
; %bb.124:
	v_cmp_le_f64_e64 vcc_lo, 0x7b000000, |v[6:7]|
	v_mov_b32_e32 v38, 0
	s_mov_b32 s2, 0x54442d18
	s_mov_b32 s3, 0x3ff921fb
	s_mov_b32 s4, 0x33145c07
	s_mov_b32 s5, 0x3c91a626
	v_dual_cndmask_b32 v15, v29, v25 :: v_dual_cndmask_b32 v14, v6, v24
	s_delay_alu instid0(VALU_DEP_1) | instskip(SKIP_2) | instid1(VALU_DEP_3)
	v_mul_f64 v[16:17], v[22:23], v[14:15]
	v_mul_f64 v[24:25], v[20:21], v[14:15]
	;; [unrolled: 1-line block ×3, first 2 shown]
	v_fma_f64 v[22:23], v[22:23], v[14:15], -v[16:17]
	s_delay_alu instid0(VALU_DEP_3) | instskip(NEXT) | instid1(VALU_DEP_3)
	v_fma_f64 v[20:21], v[20:21], v[14:15], -v[24:25]
	v_fma_f64 v[14:15], v[18:19], v[14:15], -v[36:37]
	s_delay_alu instid0(VALU_DEP_3) | instskip(NEXT) | instid1(VALU_DEP_1)
	v_add_f64 v[28:29], v[24:25], v[22:23]
	v_add_f64 v[30:31], v[28:29], -v[24:25]
	v_add_f64 v[34:35], v[16:17], v[28:29]
	s_delay_alu instid0(VALU_DEP_2) | instskip(SKIP_1) | instid1(VALU_DEP_3)
	v_add_f64 v[32:33], v[28:29], -v[30:31]
	v_add_f64 v[22:23], v[22:23], -v[30:31]
	v_ldexp_f64 v[30:31], v[34:35], -2
	v_add_f64 v[16:17], v[34:35], -v[16:17]
	s_delay_alu instid0(VALU_DEP_4) | instskip(SKIP_1) | instid1(VALU_DEP_4)
	v_add_f64 v[24:25], v[24:25], -v[32:33]
	v_add_f64 v[32:33], v[36:37], v[20:21]
	v_cmp_neq_f64_e64 vcc_lo, 0x7ff00000, |v[30:31]|
	s_delay_alu instid0(VALU_DEP_4) | instskip(NEXT) | instid1(VALU_DEP_4)
	v_add_f64 v[16:17], v[28:29], -v[16:17]
	v_add_f64 v[22:23], v[22:23], v[24:25]
	v_fract_f64_e32 v[24:25], v[30:31]
	s_delay_alu instid0(VALU_DEP_2) | instskip(NEXT) | instid1(VALU_DEP_2)
	v_add_f64 v[28:29], v[32:33], v[22:23]
	v_dual_cndmask_b32 v25, 0, v25 :: v_dual_cndmask_b32 v24, 0, v24
	s_delay_alu instid0(VALU_DEP_1) | instskip(NEXT) | instid1(VALU_DEP_3)
	v_ldexp_f64 v[24:25], v[24:25], 2
	v_add_f64 v[30:31], v[16:17], v[28:29]
	v_add_f64 v[48:49], v[28:29], -v[32:33]
	s_delay_alu instid0(VALU_DEP_2) | instskip(NEXT) | instid1(VALU_DEP_2)
	v_add_f64 v[34:35], v[30:31], v[24:25]
	v_add_f64 v[54:55], v[28:29], -v[48:49]
	v_add_f64 v[22:23], v[22:23], -v[48:49]
	;; [unrolled: 1-line block ×3, first 2 shown]
	s_delay_alu instid0(VALU_DEP_4) | instskip(SKIP_1) | instid1(VALU_DEP_3)
	v_cmp_gt_f64_e32 vcc_lo, 0, v[34:35]
	v_add_f64 v[34:35], v[32:33], -v[36:37]
	v_add_f64 v[16:17], v[28:29], -v[16:17]
	v_cndmask_b32_e64 v39, 0, 0x40100000, vcc_lo
	s_delay_alu instid0(VALU_DEP_3) | instskip(SKIP_2) | instid1(VALU_DEP_4)
	v_add_f64 v[52:53], v[32:33], -v[34:35]
	v_add_f64 v[20:21], v[20:21], -v[34:35]
	;; [unrolled: 1-line block ×3, first 2 shown]
	v_add_f64 v[24:25], v[24:25], v[38:39]
	s_delay_alu instid0(VALU_DEP_4) | instskip(NEXT) | instid1(VALU_DEP_3)
	v_add_f64 v[34:35], v[36:37], -v[52:53]
	v_add_f64 v[22:23], v[22:23], v[32:33]
	s_delay_alu instid0(VALU_DEP_3) | instskip(NEXT) | instid1(VALU_DEP_3)
	v_add_f64 v[50:51], v[30:31], v[24:25]
	v_add_f64 v[20:21], v[20:21], v[34:35]
	s_delay_alu instid0(VALU_DEP_2) | instskip(NEXT) | instid1(VALU_DEP_2)
	v_cvt_i32_f64_e32 v39, v[50:51]
	v_add_f64 v[18:19], v[20:21], v[22:23]
	s_delay_alu instid0(VALU_DEP_2) | instskip(NEXT) | instid1(VALU_DEP_2)
	v_cvt_f64_i32_e32 v[48:49], v39
	v_add_f64 v[14:15], v[14:15], v[18:19]
	s_delay_alu instid0(VALU_DEP_2) | instskip(NEXT) | instid1(VALU_DEP_2)
	v_add_f64 v[24:25], v[24:25], -v[48:49]
	v_add_f64 v[14:15], v[16:17], v[14:15]
	s_delay_alu instid0(VALU_DEP_2) | instskip(NEXT) | instid1(VALU_DEP_1)
	v_add_f64 v[20:21], v[30:31], v[24:25]
	v_add_f64 v[18:19], v[20:21], -v[24:25]
	v_cmp_le_f64_e32 vcc_lo, 0.5, v[20:21]
	s_delay_alu instid0(VALU_DEP_2) | instskip(SKIP_2) | instid1(VALU_DEP_3)
	v_add_f64 v[16:17], v[30:31], -v[18:19]
	v_add_co_ci_u32_e64 v28, s0, 0, v39, vcc_lo
	v_cndmask_b32_e64 v39, 0, 0x3ff00000, vcc_lo
	v_add_f64 v[14:15], v[14:15], v[16:17]
	s_delay_alu instid0(VALU_DEP_2) | instskip(NEXT) | instid1(VALU_DEP_1)
	v_add_f64 v[16:17], v[20:21], -v[38:39]
	v_add_f64 v[18:19], v[16:17], v[14:15]
	s_delay_alu instid0(VALU_DEP_1) | instskip(SKIP_1) | instid1(VALU_DEP_2)
	v_mul_f64 v[20:21], v[18:19], s[2:3]
	v_add_f64 v[16:17], v[18:19], -v[16:17]
	v_fma_f64 v[22:23], v[18:19], s[2:3], -v[20:21]
	s_delay_alu instid0(VALU_DEP_2) | instskip(NEXT) | instid1(VALU_DEP_2)
	v_add_f64 v[14:15], v[14:15], -v[16:17]
	v_fma_f64 v[16:17], v[18:19], s[4:5], v[22:23]
	s_delay_alu instid0(VALU_DEP_1) | instskip(NEXT) | instid1(VALU_DEP_1)
	v_fma_f64 v[16:17], v[14:15], s[2:3], v[16:17]
	v_add_f64 v[14:15], v[20:21], v[16:17]
	s_delay_alu instid0(VALU_DEP_1) | instskip(NEXT) | instid1(VALU_DEP_1)
	v_add_f64 v[18:19], v[14:15], -v[20:21]
	v_add_f64 v[16:17], v[16:17], -v[18:19]
	s_and_not1_saveexec_b32 s0, s1
	s_cbranch_execnz .LBB132_126
	s_branch .LBB132_127
.LBB132_125:
	s_and_not1_saveexec_b32 s0, s1
	s_cbranch_execz .LBB132_127
.LBB132_126:
	s_mov_b32 s2, 0x6dc9c883
	s_mov_b32 s3, 0x3fe45f30
	;; [unrolled: 1-line block ×3, first 2 shown]
	v_mul_f64 v[14:15], |v[6:7]|, s[2:3]
	s_mov_b32 s2, 0x54442d18
	s_mov_b32 s3, 0xbff921fb
	;; [unrolled: 1-line block ×3, first 2 shown]
	s_delay_alu instid0(VALU_DEP_1) | instskip(NEXT) | instid1(VALU_DEP_1)
	v_rndne_f64_e32 v[18:19], v[14:15]
	v_fma_f64 v[14:15], v[18:19], s[2:3], |v[6:7]|
	v_mul_f64 v[16:17], v[18:19], s[4:5]
	s_mov_b32 s2, 0x252049c0
	s_mov_b32 s3, 0xb97b839a
	v_cvt_i32_f64_e32 v28, v[18:19]
	s_delay_alu instid0(VALU_DEP_3) | instskip(NEXT) | instid1(VALU_DEP_3)
	v_fma_f64 v[22:23], v[18:19], s[4:5], v[14:15]
	v_add_f64 v[20:21], v[14:15], v[16:17]
	s_mov_b32 s5, 0x3c91a626
	s_delay_alu instid0(VALU_DEP_1) | instskip(NEXT) | instid1(VALU_DEP_3)
	v_add_f64 v[14:15], v[14:15], -v[20:21]
	v_add_f64 v[20:21], v[20:21], -v[22:23]
	s_delay_alu instid0(VALU_DEP_2) | instskip(SKIP_1) | instid1(VALU_DEP_2)
	v_add_f64 v[14:15], v[14:15], v[16:17]
	v_fma_f64 v[16:17], v[18:19], s[4:5], v[16:17]
	v_add_f64 v[14:15], v[20:21], v[14:15]
	s_delay_alu instid0(VALU_DEP_1) | instskip(NEXT) | instid1(VALU_DEP_1)
	v_add_f64 v[14:15], v[14:15], -v[16:17]
	v_fma_f64 v[16:17], v[18:19], s[2:3], v[14:15]
	s_delay_alu instid0(VALU_DEP_1) | instskip(NEXT) | instid1(VALU_DEP_1)
	v_add_f64 v[14:15], v[22:23], v[16:17]
	v_add_f64 v[20:21], v[14:15], -v[22:23]
	s_delay_alu instid0(VALU_DEP_1)
	v_add_f64 v[16:17], v[16:17], -v[20:21]
.LBB132_127:
	s_or_b32 exec_lo, exec_lo, s0
	s_mov_b32 s0, 0x652b82fe
	s_mov_b32 s1, 0x3ff71547
	;; [unrolled: 1-line block ×3, first 2 shown]
	v_mul_f64 v[18:19], v[4:5], s[0:1]
	s_mov_b32 s2, 0xfefa39ef
	s_mov_b32 s0, 0x3b39803f
	;; [unrolled: 1-line block ×5, first 2 shown]
	v_mul_f64 v[29:30], v[2:3], v[2:3]
	s_mov_b32 s8, 0xf9a43bb8
	s_mov_b32 s9, 0x3de5e0b2
	v_mul_f64 v[33:34], v[10:11], v[10:11]
	s_mov_b32 s11, 0x3f56c16c
	s_mov_b32 s10, 0x1852b7b0
	;; [unrolled: 1-line block ×6, first 2 shown]
	v_mul_f64 v[48:49], v[14:15], v[14:15]
	s_mov_b32 s17, 0x3f811111
	s_mov_b32 s16, 0x11122322
	;; [unrolled: 1-line block ×8, first 2 shown]
	v_mul_f64 v[68:69], v[8:9], 0.5
	v_rndne_f64_e32 v[18:19], v[18:19]
	v_mul_f64 v[35:36], v[29:30], 0.5
	v_mul_f64 v[70:71], v[2:3], -v[29:30]
	v_mul_f64 v[100:101], v[29:30], v[29:30]
	v_mul_f64 v[64:65], v[33:34], 0.5
	v_mul_f64 v[96:97], v[10:11], -v[33:34]
	v_mul_f64 v[82:83], v[48:49], 0.5
	v_fma_f64 v[20:21], v[18:19], s[2:3], v[4:5]
	v_cvt_i32_f64_e32 v39, v[18:19]
	v_cmp_eq_f64_e32 vcc_lo, 0x40900000, v[18:19]
	s_mov_b32 s3, 0x40862e42
	s_delay_alu instid0(SALU_CYCLE_1)
	v_cmp_nlt_f64_e64 s2, s[2:3], v[4:5]
	v_add_f64 v[52:53], -v[35:36], 1.0
	v_cmp_ngt_f64_e64 s3, 0xc0428000, v[4:5]
	v_add_f64 v[86:87], -v[64:65], 1.0
	v_fma_f64 v[20:21], v[18:19], s[0:1], v[20:21]
	s_mov_b32 s0, 0x2a1b768b
	s_mov_b32 s1, 0x3e5af4eb
	v_cndmask_b32_e64 v112, v39, 0x3ff, vcc_lo
	v_add_f64 v[80:81], -v[52:53], 1.0
	s_delay_alu instid0(VALU_DEP_4) | instskip(NEXT) | instid1(VALU_DEP_4)
	v_add_f64 v[98:99], -v[86:87], 1.0
	v_fma_f64 v[22:23], v[20:21], s[4:5], s[0:1]
	s_mov_b32 s0, 0xfca7ab0c
	s_mov_b32 s4, 0x6a5dcb37
	;; [unrolled: 1-line block ×4, first 2 shown]
	s_delay_alu instid0(SALU_CYCLE_1) | instskip(SKIP_4) | instid1(VALU_DEP_4)
	v_fma_f64 v[24:25], v[20:21], s[4:5], s[0:1]
	s_mov_b32 s0, 0xe0ac05b
	s_mov_b32 s1, 0x3e927e50
	;; [unrolled: 1-line block ×4, first 2 shown]
	v_add_f64 v[35:36], v[80:81], -v[35:36]
	s_delay_alu instid0(VALU_DEP_4) | instskip(NEXT) | instid1(VALU_DEP_4)
	v_add_f64 v[18:19], v[98:99], -v[64:65]
	v_fma_f64 v[22:23], v[20:21], v[22:23], s[0:1]
	s_mov_b32 s0, 0x623fde64
	s_mov_b32 s1, 0x3ec71dee
	s_delay_alu instid0(VALU_DEP_4) | instid1(SALU_CYCLE_1)
	v_fma_f64 v[24:25], v[20:21], v[24:25], s[0:1]
	s_mov_b32 s0, 0x1b889c29
	s_mov_b32 s1, 0x3ec71de0
	s_delay_alu instid0(VALU_DEP_4) | instskip(NEXT) | instid1(VALU_DEP_4)
	v_fma_f64 v[35:36], v[2:3], -v[8:9], v[35:36]
	v_fma_f64 v[18:19], v[10:11], -v[12:13], v[18:19]
	s_delay_alu instid0(VALU_DEP_4) | instskip(SKIP_2) | instid1(VALU_DEP_4)
	v_fma_f64 v[22:23], v[20:21], v[22:23], s[0:1]
	s_mov_b32 s1, 0x3efa01a0
	s_mov_b32 s0, 0x197bcfd8
	v_fma_f64 v[24:25], v[20:21], v[24:25], s[4:5]
	s_mov_b32 s5, 0x3f2a01a0
	s_mov_b32 s4, 0x14761f6e
	s_delay_alu instid0(VALU_DEP_2) | instskip(SKIP_1) | instid1(VALU_DEP_2)
	v_fma_f64 v[22:23], v[20:21], v[22:23], s[0:1]
	s_mov_b32 s0, 0x19f4ec90
	v_fma_f64 v[24:25], v[20:21], v[24:25], s[4:5]
	s_mov_b32 s4, 0x1ac1a723
	s_delay_alu instid0(VALU_DEP_2) | instid1(SALU_CYCLE_1)
	v_fma_f64 v[22:23], v[20:21], v[22:23], s[4:5]
	s_mov_b32 s4, 0xb42fdfa7
	s_mov_b32 s5, 0xbe5ae600
	s_delay_alu instid0(SALU_CYCLE_1) | instskip(SKIP_1) | instid1(VALU_DEP_4)
	v_fma_f64 v[31:32], v[29:30], s[8:9], s[4:5]
	v_fma_f64 v[50:51], v[33:34], s[8:9], s[4:5]
	;; [unrolled: 1-line block ×3, first 2 shown]
	s_mov_b32 s10, 0x16c18931
	v_fma_f64 v[54:55], v[48:49], s[8:9], s[4:5]
	s_mov_b32 s5, 0x3fc55555
	s_mov_b32 s4, 0x55555511
	s_mov_b32 s9, 0xbfc55555
	v_fma_f64 v[22:23], v[20:21], v[22:23], s[10:11]
	s_mov_b32 s10, 0x9037ab78
	s_mov_b32 s11, 0x3e21eeb6
	s_delay_alu instid0(SALU_CYCLE_1)
	v_fma_f64 v[37:38], v[29:30], s[12:13], s[10:11]
	v_fma_f64 v[31:32], v[29:30], v[31:32], s[14:15]
	;; [unrolled: 1-line block ×3, first 2 shown]
	s_mov_b32 s16, 0x11110056
	v_fma_f64 v[50:51], v[33:34], v[50:51], s[14:15]
	v_fma_f64 v[66:67], v[33:34], s[12:13], s[10:11]
	;; [unrolled: 1-line block ×5, first 2 shown]
	s_mov_b32 s16, 0x11110bb3
	v_fma_f64 v[37:38], v[29:30], v[37:38], s[18:19]
	v_fma_f64 v[31:32], v[29:30], v[31:32], s[20:21]
	;; [unrolled: 1-line block ×3, first 2 shown]
	s_mov_b32 s22, 0x55555552
	v_fma_f64 v[50:51], v[33:34], v[50:51], s[20:21]
	v_fma_f64 v[66:67], v[33:34], v[66:67], s[18:19]
	;; [unrolled: 1-line block ×4, first 2 shown]
	v_mul_f64 v[84:85], v[12:13], 0.5
	v_fma_f64 v[22:23], v[20:21], v[22:23], s[22:23]
	s_mov_b32 s22, 0x55555555
	s_delay_alu instid0(SALU_CYCLE_1)
	s_mov_b32 s8, s22
	v_fma_f64 v[37:38], v[29:30], v[37:38], s[0:1]
	v_fma_f64 v[31:32], v[29:30], v[31:32], s[16:17]
	v_fma_f64 v[24:25], v[20:21], v[24:25], s[4:5]
	s_mov_b32 s4, 0x55555557
	v_fma_f64 v[50:51], v[33:34], v[50:51], s[16:17]
	v_fma_f64 v[66:67], v[33:34], v[66:67], s[0:1]
	;; [unrolled: 1-line block ×4, first 2 shown]
	s_mov_b32 s0, 11
	s_mov_b32 s1, 0x3fe00000
	v_fma_f64 v[22:23], v[20:21], v[22:23], s[4:5]
	s_mov_b32 s4, 0x16c16967
	s_mov_b32 s5, 0xbf56c16c
	s_delay_alu instid0(SALU_CYCLE_1)
	v_fma_f64 v[37:38], v[29:30], v[37:38], s[4:5]
	v_fma_f64 v[31:32], v[70:71], v[31:32], v[68:69]
	v_add_f64 v[68:69], -v[82:83], 1.0
	v_fma_f64 v[24:25], v[20:21], v[24:25], s[0:1]
	v_fma_f64 v[50:51], v[96:97], v[50:51], v[84:85]
	;; [unrolled: 1-line block ×3, first 2 shown]
	v_ldexp_f64 v[66:67], 1.0, v112
	v_cmp_class_f64_e64 s1, v[0:1], 0x1f8
	v_fma_f64 v[22:23], v[20:21], v[22:23], 0.5
	v_fma_f64 v[37:38], v[29:30], v[37:38], s[22:23]
	v_fma_f64 v[8:9], v[29:30], v[31:32], -v[8:9]
	v_mul_f64 v[29:30], v[16:17], 0.5
	v_mul_f64 v[31:32], v[14:15], -v[48:49]
	v_add_f64 v[102:103], -v[68:69], 1.0
	v_fma_f64 v[12:13], v[33:34], v[50:51], -v[12:13]
	v_fma_f64 v[64:65], v[33:34], v[64:65], s[22:23]
	v_fma_f64 v[24:25], v[20:21], v[24:25], 1.0
	v_mul_f64 v[22:23], v[20:21], v[22:23]
	v_fma_f64 v[35:36], v[100:101], v[37:38], v[35:36]
	v_fma_f64 v[8:9], v[70:71], s[8:9], v[8:9]
	;; [unrolled: 1-line block ×4, first 2 shown]
	v_add_f64 v[37:38], v[102:103], -v[82:83]
	v_mul_f64 v[54:55], v[33:34], v[33:34]
	v_add_f64 v[33:34], v[66:67], -1.0
	v_fma_f64 v[12:13], v[96:97], s[8:9], v[12:13]
	v_cmp_nlt_f64_e64 s4, 0x40900000, v[4:5]
	v_cmp_ngt_f64_e64 s5, 0xc090cc00, v[4:5]
	v_fma_f64 v[22:23], v[20:21], v[22:23], v[20:21]
	v_fma_f64 v[20:21], v[20:21], v[24:25], 1.0
	v_add_f64 v[35:36], v[52:53], v[35:36]
	v_add_f64 v[2:3], v[2:3], -v[8:9]
	v_mul_f64 v[8:9], v[48:49], v[48:49]
	v_fma_f64 v[50:51], v[48:49], v[70:71], s[22:23]
	v_fma_f64 v[37:38], v[14:15], -v[16:17], v[37:38]
	v_fma_f64 v[16:17], v[48:49], v[29:30], -v[16:17]
	v_fma_f64 v[18:19], v[54:55], v[64:65], v[18:19]
	v_and_b32_e32 v29, 1, v26
	v_add_f64 v[10:11], v[10:11], -v[12:13]
	s_delay_alu instid0(VALU_DEP_2) | instskip(SKIP_2) | instid1(VALU_DEP_3)
	v_cmp_eq_u32_e64 s0, 0, v29
	v_fma_f64 v[22:23], v[66:67], v[22:23], v[33:34]
	v_lshlrev_b32_e32 v0, 30, v26
	v_cndmask_b32_e64 v24, v35, v2, s0
	s_delay_alu instid0(VALU_DEP_2)
	v_xor_b32_e32 v2, v0, v1
	v_cndmask_b32_e64 v12, v36, v3, s0
	v_fma_f64 v[0:1], v[8:9], v[50:51], v[37:38]
	v_fma_f64 v[8:9], v[31:32], s[8:9], v[16:17]
	v_add_f64 v[16:17], v[86:87], v[18:19]
	v_and_b32_e32 v25, 0x80000000, v2
	v_cndmask_b32_e64 v18, 0, v24, s1
	v_xor_b32_e32 v11, 0x80000000, v11
	s_delay_alu instid0(VALU_DEP_3) | instskip(SKIP_1) | instid1(VALU_DEP_2)
	v_xor_b32_e32 v19, v12, v25
	v_ldexp_f64 v[12:13], v[20:21], v39
	v_cndmask_b32_e64 v19, 0x7ff80000, v19, s1
	v_cmp_class_f64_e64 s1, v[6:7], 0x1f8
	v_and_b32_e32 v6, 1, v28
	s_delay_alu instid0(VALU_DEP_3) | instskip(NEXT) | instid1(VALU_DEP_2)
	v_add_f64 v[20:21], v[18:19], v[18:19]
	v_cmp_eq_u32_e64 s6, 0, v6
	v_add_f64 v[2:3], v[22:23], v[22:23]
	v_lshlrev_b32_e32 v5, 30, v28
	v_add_f64 v[0:1], v[68:69], v[0:1]
	v_add_f64 v[8:9], v[14:15], -v[8:9]
	v_lshlrev_b32_e32 v15, 30, v27
	v_cndmask_b32_e64 v13, 0x7ff00000, v13, s4
	v_dual_cndmask_b32 v2, v22, v2 :: v_dual_cndmask_b32 v3, v23, v3
	s_and_b32 vcc_lo, s3, s2
	v_and_b32_e32 v24, 1, v27
	v_xor_b32_e32 v5, v5, v7
	s_delay_alu instid0(VALU_DEP_3)
	v_cndmask_b32_e64 v14, 0x7ff00000, v3, s2
	v_mul_f64 v[3:4], v[20:21], v[18:19]
	v_cndmask_b32_e64 v8, v0, v8, s6
	v_cndmask_b32_e64 v0, v1, v9, s6
	v_cndmask_b32_e32 v9, 0, v2, vcc_lo
	v_cmp_eq_u32_e64 s0, 0, v24
	v_and_b32_e32 v5, 0x80000000, v5
	s_and_b32 vcc_lo, s5, s4
	v_and_b32_e32 v6, 0x80000000, v15
	s_delay_alu instid0(VALU_DEP_3) | instskip(SKIP_1) | instid1(VALU_DEP_2)
	v_cndmask_b32_e64 v7, v11, v17, s0
	v_cndmask_b32_e64 v10, v10, v16, s0
	v_xor_b32_e32 v1, v7, v6
	v_cndmask_b32_e32 v7, 0, v12, vcc_lo
	v_xor_b32_e32 v6, v0, v5
	s_delay_alu instid0(VALU_DEP_4)
	v_cndmask_b32_e64 v0, 0, v10, s1
	v_cndmask_b32_e64 v5, 0, v8, s1
	;; [unrolled: 1-line block ×6, first 2 shown]
	s_delay_alu instid0(VALU_DEP_1) | instskip(NEXT) | instid1(VALU_DEP_3)
	v_fma_f64 v[0:1], v[9:10], v[0:1], -v[3:4]
	v_mul_f64 v[2:3], v[7:8], v[5:6]
	s_or_b32 exec_lo, exec_lo, s7
	s_setpc_b64 s[30:31]
.LBB132_128:
	s_trap 2
	s_sendmsg_rtn_b32 s0, sendmsg(MSG_RTN_GET_DOORBELL)
	s_mov_b32 ttmp2, m0
	s_waitcnt lgkmcnt(0)
	s_and_b32 s0, s0, 0x3ff
	s_delay_alu instid0(SALU_CYCLE_1) | instskip(NEXT) | instid1(SALU_CYCLE_1)
	s_bitset1_b32 s0, 10
	s_mov_b32 m0, s0
	s_sendmsg sendmsg(MSG_INTERRUPT)
	s_mov_b32 m0, ttmp2
.LBB132_129:                            ; =>This Inner Loop Header: Depth=1
	s_sethalt 5
	s_branch .LBB132_129
.Lfunc_end132:
	.size	_ZN2at6native6invokeIZZZNS0_17expm1_kernel_cudaERNS_18TensorIteratorBaseEENKUlvE_clEvENKUlvE1_clEvEUlN3c107complexIdEEE_j15function_traitsIS9_EEENT1_11result_typeERKT_PrKPcPKT0_PKNS6_10ScalarTypeEi, .Lfunc_end132-_ZN2at6native6invokeIZZZNS0_17expm1_kernel_cudaERNS_18TensorIteratorBaseEENKUlvE_clEvENKUlvE1_clEvEUlN3c107complexIdEEE_j15function_traitsIS9_EEENT1_11result_typeERKT_PrKPcPKT0_PKNS6_10ScalarTypeEi
                                        ; -- End function
	.section	.AMDGPU.csdata,"",@progbits
; Function info:
; codeLenInByte = 7380
; NumSgprs: 34
; NumVgprs: 113
; ScratchSize: 0
; MemoryBound: 1
	.section	.text._ZN2at6native32elementwise_kernel_manual_unrollILi128ELi4EZNS0_15gpu_kernel_implIZZZNS0_17expm1_kernel_cudaERNS_18TensorIteratorBaseEENKUlvE_clEvENKUlvE1_clEvEUlN3c107complexIdEEE_EEvS4_RKT_EUlibE0_EEviT1_,"axG",@progbits,_ZN2at6native32elementwise_kernel_manual_unrollILi128ELi4EZNS0_15gpu_kernel_implIZZZNS0_17expm1_kernel_cudaERNS_18TensorIteratorBaseEENKUlvE_clEvENKUlvE1_clEvEUlN3c107complexIdEEE_EEvS4_RKT_EUlibE0_EEviT1_,comdat
	.globl	_ZN2at6native32elementwise_kernel_manual_unrollILi128ELi4EZNS0_15gpu_kernel_implIZZZNS0_17expm1_kernel_cudaERNS_18TensorIteratorBaseEENKUlvE_clEvENKUlvE1_clEvEUlN3c107complexIdEEE_EEvS4_RKT_EUlibE0_EEviT1_ ; -- Begin function _ZN2at6native32elementwise_kernel_manual_unrollILi128ELi4EZNS0_15gpu_kernel_implIZZZNS0_17expm1_kernel_cudaERNS_18TensorIteratorBaseEENKUlvE_clEvENKUlvE1_clEvEUlN3c107complexIdEEE_EEvS4_RKT_EUlibE0_EEviT1_
	.p2align	8
	.type	_ZN2at6native32elementwise_kernel_manual_unrollILi128ELi4EZNS0_15gpu_kernel_implIZZZNS0_17expm1_kernel_cudaERNS_18TensorIteratorBaseEENKUlvE_clEvENKUlvE1_clEvEUlN3c107complexIdEEE_EEvS4_RKT_EUlibE0_EEviT1_,@function
_ZN2at6native32elementwise_kernel_manual_unrollILi128ELi4EZNS0_15gpu_kernel_implIZZZNS0_17expm1_kernel_cudaERNS_18TensorIteratorBaseEENKUlvE_clEvENKUlvE1_clEvEUlN3c107complexIdEEE_EEvS4_RKT_EUlibE0_EEviT1_: ; @_ZN2at6native32elementwise_kernel_manual_unrollILi128ELi4EZNS0_15gpu_kernel_implIZZZNS0_17expm1_kernel_cudaERNS_18TensorIteratorBaseEENKUlvE_clEvENKUlvE1_clEvEUlN3c107complexIdEEE_EEvS4_RKT_EUlibE0_EEviT1_
; %bb.0:
	s_clause 0x1
	s_load_b32 s33, s[0:1], 0x8
	s_load_b32 s53, s[0:1], 0x0
	v_lshl_or_b32 v42, s15, 9, v0
	s_mov_b64 s[24:25], s[0:1]
	s_mov_b32 s0, -1
	s_or_b32 s26, s24, 8
	s_mov_b32 s49, 0
	v_or_b32_e32 v0, 0x180, v42
	s_mov_b32 s27, s25
	s_mov_b32 s28, 0
	;; [unrolled: 1-line block ×3, first 2 shown]
	s_mov_b32 s1, exec_lo
	s_waitcnt lgkmcnt(0)
	s_add_i32 s48, s33, -1
	s_delay_alu instid0(SALU_CYCLE_1)
	s_cmp_gt_u32 s48, 1
	s_cselect_b32 s50, -1, 0
	v_cmpx_le_i32_e64 s53, v0
	s_xor_b32 s51, exec_lo, s1
	s_cbranch_execz .LBB133_183
; %bb.1:
	v_mov_b32_e32 v0, 0
	s_clause 0x3
	s_load_b128 s[44:47], s[26:27], 0x4
	s_load_b64 s[28:29], s[26:27], 0x14
	s_load_b128 s[40:43], s[26:27], 0xc4
	s_load_b128 s[36:39], s[26:27], 0x148
	s_cmp_lg_u32 s33, 0
	s_mov_b32 s58, 0
	s_cselect_b32 s55, -1, 0
	global_load_u16 v43, v0, s[26:27] offset:345
	s_add_u32 s34, s26, 0xc4
	s_addc_u32 s35, s27, 0
	s_min_u32 s54, s48, 15
	s_cmp_gt_u32 s33, 1
	s_mov_b32 s56, 0
	s_cselect_b32 s52, -1, 0
	s_mov_b32 s57, exec_lo
	s_waitcnt vmcnt(0)
	v_lshrrev_b16 v40, 8, v43
	v_cmpx_gt_i32_e64 s53, v42
                                        ; implicit-def: $vgpr0_vgpr1
	s_cbranch_execz .LBB133_134
; %bb.2:
	s_and_not1_b32 vcc_lo, exec_lo, s50
	s_cbranch_vccnz .LBB133_7
; %bb.3:
	v_dual_mov_b32 v41, 0 :: v_dual_mov_b32 v2, 0
	s_and_not1_b32 vcc_lo, exec_lo, s55
	s_mov_b32 s4, 0
	s_cbranch_vccnz .LBB133_12
; %bb.4:
	v_mov_b32_e32 v41, 0
	s_add_i32 s6, s54, 1
	s_cmp_eq_u32 s48, 2
	s_mov_b32 s5, 0
	s_cbranch_scc1 .LBB133_8
; %bb.5:
	v_dual_mov_b32 v2, 0 :: v_dual_mov_b32 v41, 0
	v_mov_b32_e32 v0, v42
	s_and_b32 s5, s6, 28
	s_mov_b32 s7, 0
	s_mov_b64 s[0:1], s[34:35]
	s_mov_b64 s[2:3], s[26:27]
.LBB133_6:                              ; =>This Inner Loop Header: Depth=1
	s_clause 0x1
	s_load_b256 s[8:15], s[2:3], 0x4
	s_load_b128 s[60:63], s[2:3], 0x24
	s_load_b256 s[16:23], s[0:1], 0x0
	s_add_u32 s2, s2, 48
	s_addc_u32 s3, s3, 0
	s_add_i32 s7, s7, 4
	s_add_u32 s0, s0, 32
	s_addc_u32 s1, s1, 0
	s_cmp_lg_u32 s5, s7
	s_waitcnt lgkmcnt(0)
	v_mul_hi_u32 v1, s9, v0
	s_delay_alu instid0(VALU_DEP_1) | instskip(NEXT) | instid1(VALU_DEP_1)
	v_add_nc_u32_e32 v1, v0, v1
	v_lshrrev_b32_e32 v1, s10, v1
	s_delay_alu instid0(VALU_DEP_1) | instskip(SKIP_1) | instid1(VALU_DEP_2)
	v_mul_hi_u32 v3, s12, v1
	v_mul_lo_u32 v5, v1, s8
	v_add_nc_u32_e32 v3, v1, v3
	s_delay_alu instid0(VALU_DEP_2) | instskip(NEXT) | instid1(VALU_DEP_2)
	v_sub_nc_u32_e32 v0, v0, v5
	v_lshrrev_b32_e32 v3, s13, v3
	s_delay_alu instid0(VALU_DEP_2) | instskip(SKIP_1) | instid1(VALU_DEP_3)
	v_mul_lo_u32 v5, v0, s16
	v_mul_lo_u32 v7, v0, s17
	v_mul_hi_u32 v4, s15, v3
	s_delay_alu instid0(VALU_DEP_1) | instskip(NEXT) | instid1(VALU_DEP_1)
	v_add_nc_u32_e32 v4, v3, v4
	v_lshrrev_b32_e32 v4, s60, v4
	s_delay_alu instid0(VALU_DEP_1) | instskip(SKIP_1) | instid1(VALU_DEP_2)
	v_mul_hi_u32 v6, s62, v4
	v_mul_lo_u32 v8, v4, s14
	v_add_nc_u32_e32 v0, v4, v6
	v_mul_lo_u32 v6, v3, s11
	s_delay_alu instid0(VALU_DEP_3) | instskip(NEXT) | instid1(VALU_DEP_3)
	v_sub_nc_u32_e32 v3, v3, v8
	v_lshrrev_b32_e32 v0, s63, v0
	s_delay_alu instid0(VALU_DEP_2) | instskip(SKIP_2) | instid1(VALU_DEP_4)
	v_mul_lo_u32 v8, v3, s20
	v_mul_lo_u32 v3, v3, s21
	v_sub_nc_u32_e32 v1, v1, v6
	v_mul_lo_u32 v9, v0, s61
	s_delay_alu instid0(VALU_DEP_2) | instskip(SKIP_1) | instid1(VALU_DEP_3)
	v_mul_lo_u32 v6, v1, s18
	v_mul_lo_u32 v1, v1, s19
	v_sub_nc_u32_e32 v4, v4, v9
	s_delay_alu instid0(VALU_DEP_3) | instskip(NEXT) | instid1(VALU_DEP_2)
	v_add3_u32 v5, v5, v41, v6
	v_mul_lo_u32 v9, v4, s22
	v_mul_lo_u32 v4, v4, s23
	v_add3_u32 v1, v7, v2, v1
	s_delay_alu instid0(VALU_DEP_3) | instskip(NEXT) | instid1(VALU_DEP_2)
	v_add3_u32 v41, v8, v5, v9
	v_add3_u32 v2, v3, v1, v4
	s_cbranch_scc1 .LBB133_6
	s_branch .LBB133_9
.LBB133_7:
	s_mov_b32 s4, -1
                                        ; implicit-def: $vgpr41
                                        ; implicit-def: $vgpr2
	s_branch .LBB133_12
.LBB133_8:
	v_mov_b32_e32 v0, v42
	v_mov_b32_e32 v2, 0
.LBB133_9:
	s_and_b32 s6, s6, 3
	s_delay_alu instid0(SALU_CYCLE_1)
	s_cmp_eq_u32 s6, 0
	s_cbranch_scc1 .LBB133_12
; %bb.10:
	s_lshl_b32 s0, s5, 3
	s_mul_i32 s2, s5, 12
	s_add_u32 s0, s0, s26
	s_addc_u32 s1, s27, 0
	s_add_u32 s0, s0, 0xc4
	s_addc_u32 s1, s1, 0
	s_add_u32 s2, s26, s2
	s_addc_u32 s3, s27, 0
	.p2align	6
.LBB133_11:                             ; =>This Inner Loop Header: Depth=1
	s_clause 0x1
	s_load_b64 s[8:9], s[2:3], 0x4
	s_load_b32 s5, s[2:3], 0xc
	s_load_b64 s[10:11], s[0:1], 0x0
	s_add_u32 s2, s2, 12
	s_addc_u32 s3, s3, 0
	s_add_u32 s0, s0, 8
	s_addc_u32 s1, s1, 0
	s_add_i32 s6, s6, -1
	s_delay_alu instid0(SALU_CYCLE_1) | instskip(SKIP_2) | instid1(VALU_DEP_1)
	s_cmp_lg_u32 s6, 0
	s_waitcnt lgkmcnt(0)
	v_mul_hi_u32 v1, s9, v0
	v_add_nc_u32_e32 v1, v0, v1
	s_delay_alu instid0(VALU_DEP_1) | instskip(NEXT) | instid1(VALU_DEP_1)
	v_lshrrev_b32_e32 v1, s5, v1
	v_mul_lo_u32 v3, v1, s8
	s_delay_alu instid0(VALU_DEP_1) | instskip(NEXT) | instid1(VALU_DEP_1)
	v_sub_nc_u32_e32 v0, v0, v3
	v_mad_u64_u32 v[3:4], null, v0, s10, v[41:42]
	s_delay_alu instid0(VALU_DEP_1) | instskip(SKIP_1) | instid1(VALU_DEP_2)
	v_mad_u64_u32 v[4:5], null, v0, s11, v[2:3]
	v_dual_mov_b32 v0, v1 :: v_dual_mov_b32 v41, v3
	v_mov_b32_e32 v2, v4
	s_cbranch_scc1 .LBB133_11
.LBB133_12:
	s_and_not1_b32 vcc_lo, exec_lo, s4
	s_cbranch_vccnz .LBB133_15
; %bb.13:
	s_waitcnt lgkmcnt(0)
	v_mul_hi_u32 v0, s45, v42
	s_and_not1_b32 vcc_lo, exec_lo, s52
	s_delay_alu instid0(VALU_DEP_1) | instskip(NEXT) | instid1(VALU_DEP_1)
	v_add_nc_u32_e32 v0, v42, v0
	v_lshrrev_b32_e32 v0, s46, v0
	s_delay_alu instid0(VALU_DEP_1) | instskip(NEXT) | instid1(VALU_DEP_1)
	v_mul_lo_u32 v1, v0, s44
	v_sub_nc_u32_e32 v1, v42, v1
	s_delay_alu instid0(VALU_DEP_1)
	v_mul_lo_u32 v41, v1, s40
	v_mul_lo_u32 v2, v1, s41
	s_cbranch_vccnz .LBB133_15
; %bb.14:
	v_mul_hi_u32 v1, s28, v0
	s_delay_alu instid0(VALU_DEP_1) | instskip(NEXT) | instid1(VALU_DEP_1)
	v_add_nc_u32_e32 v1, v0, v1
	v_lshrrev_b32_e32 v1, s29, v1
	s_delay_alu instid0(VALU_DEP_1) | instskip(NEXT) | instid1(VALU_DEP_1)
	v_mul_lo_u32 v1, v1, s47
	v_sub_nc_u32_e32 v5, v0, v1
	s_delay_alu instid0(VALU_DEP_1) | instskip(SKIP_1) | instid1(VALU_DEP_1)
	v_mad_u64_u32 v[0:1], null, v5, s42, v[41:42]
	v_mad_u64_u32 v[3:4], null, v5, s43, v[2:3]
	v_dual_mov_b32 v41, v0 :: v_dual_mov_b32 v2, v3
.LBB133_15:
	s_waitcnt lgkmcnt(0)
	v_dual_mov_b32 v0, s38 :: v_dual_mov_b32 v1, s39
	v_mov_b32_e32 v3, v40
	s_getpc_b64 s[0:1]
	s_add_u32 s0, s0, _ZN2at6native6invokeIZZZNS0_17expm1_kernel_cudaERNS_18TensorIteratorBaseEENKUlvE_clEvENKUlvE1_clEvEUlN3c107complexIdEEE_j15function_traitsIS9_EEENT1_11result_typeERKT_PrKPcPKT0_PKNS6_10ScalarTypeEi@rel32@lo+4
	s_addc_u32 s1, s1, _ZN2at6native6invokeIZZZNS0_17expm1_kernel_cudaERNS_18TensorIteratorBaseEENKUlvE_clEvENKUlvE1_clEvEUlN3c107complexIdEEE_j15function_traitsIS9_EEENT1_11result_typeERKT_PrKPcPKT0_PKNS6_10ScalarTypeEi@rel32@hi+12
	s_delay_alu instid0(SALU_CYCLE_1) | instskip(SKIP_2) | instid1(VALU_DEP_1)
	s_swappc_b64 s[30:31], s[0:1]
	v_and_b32_e32 v6, 0xff, v43
	v_add_co_u32 v4, s1, s36, v41
	v_add_co_ci_u32_e64 v5, null, s37, 0, s1
	s_delay_alu instid0(VALU_DEP_3)
	v_cmp_gt_i16_e32 vcc_lo, 11, v6
	s_mov_b32 s0, 0
	s_mov_b32 s2, -1
	s_mov_b32 s1, 0
	s_cbranch_vccnz .LBB133_93
; %bb.16:
	v_cmp_lt_i16_e32 vcc_lo, 25, v6
	s_cbranch_vccz .LBB133_49
; %bb.17:
	v_cmp_lt_i16_e32 vcc_lo, 28, v6
	s_cbranch_vccz .LBB133_32
	;; [unrolled: 3-line block ×4, first 2 shown]
; %bb.20:
	v_cmp_eq_u16_e32 vcc_lo, 46, v6
	s_mov_b32 s2, 0
	s_mov_b32 s0, -1
	s_cbranch_vccz .LBB133_22
; %bb.21:
	v_cvt_f32_f64_e32 v7, v[2:3]
	v_cvt_f32_f64_e32 v8, v[0:1]
	s_mov_b32 s1, -1
	s_mov_b32 s0, 0
	s_delay_alu instid0(VALU_DEP_2) | instskip(NEXT) | instid1(VALU_DEP_2)
	v_bfe_u32 v9, v7, 16, 1
	v_bfe_u32 v10, v8, 16, 1
	v_cmp_o_f32_e32 vcc_lo, v7, v7
	s_delay_alu instid0(VALU_DEP_3) | instskip(NEXT) | instid1(VALU_DEP_3)
	v_add3_u32 v9, v7, v9, 0x7fff
	v_add3_u32 v10, v8, v10, 0x7fff
	s_delay_alu instid0(VALU_DEP_2) | instskip(NEXT) | instid1(VALU_DEP_2)
	v_and_b32_e32 v9, 0xffff0000, v9
	v_lshrrev_b32_e32 v10, 16, v10
	s_delay_alu instid0(VALU_DEP_2) | instskip(SKIP_1) | instid1(VALU_DEP_3)
	v_cndmask_b32_e32 v7, 0x7fc00000, v9, vcc_lo
	v_cmp_o_f32_e32 vcc_lo, v8, v8
	v_cndmask_b32_e32 v8, 0x7fc0, v10, vcc_lo
	s_delay_alu instid0(VALU_DEP_1)
	v_or_b32_e32 v7, v7, v8
	global_store_b32 v[4:5], v7, off
.LBB133_22:
	s_and_b32 vcc_lo, exec_lo, s2
	s_cbranch_vccz .LBB133_27
; %bb.23:
	v_cmp_eq_u16_e32 vcc_lo, 44, v6
	s_mov_b32 s0, -1
	s_cbranch_vccz .LBB133_27
; %bb.24:
	v_cvt_f32_f64_e32 v7, v[0:1]
	v_mov_b32_e32 v8, 0xff
	s_mov_b32 s1, exec_lo
	s_delay_alu instid0(VALU_DEP_2) | instskip(NEXT) | instid1(VALU_DEP_1)
	v_bfe_u32 v9, v7, 23, 8
	v_cmpx_ne_u32_e32 0xff, v9
; %bb.25:
	v_and_b32_e32 v8, 0x400000, v7
	v_and_or_b32 v9, 0x3fffff, v7, v9
	v_lshrrev_b32_e32 v7, 23, v7
	s_delay_alu instid0(VALU_DEP_3) | instskip(NEXT) | instid1(VALU_DEP_3)
	v_cmp_ne_u32_e32 vcc_lo, 0, v8
	v_cmp_ne_u32_e64 s0, 0, v9
	s_delay_alu instid0(VALU_DEP_1) | instskip(NEXT) | instid1(SALU_CYCLE_1)
	s_and_b32 s0, vcc_lo, s0
	v_cndmask_b32_e64 v8, 0, 1, s0
	s_delay_alu instid0(VALU_DEP_1)
	v_add_nc_u32_e32 v8, v7, v8
; %bb.26:
	s_or_b32 exec_lo, exec_lo, s1
	s_mov_b32 s1, -1
	s_mov_b32 s0, 0
	global_store_b8 v[4:5], v8, off
.LBB133_27:
	s_mov_b32 s2, 0
.LBB133_28:
	s_delay_alu instid0(SALU_CYCLE_1)
	s_and_b32 vcc_lo, exec_lo, s2
	s_cbranch_vccz .LBB133_31
; %bb.29:
	v_cmp_eq_u16_e32 vcc_lo, 29, v6
	s_mov_b32 s0, -1
	s_cbranch_vccz .LBB133_31
; %bb.30:
	v_trunc_f64_e32 v[7:8], v[0:1]
	s_mov_b32 s1, -1
	s_mov_b32 s0, 0
	s_delay_alu instid0(VALU_DEP_1) | instskip(NEXT) | instid1(VALU_DEP_1)
	v_ldexp_f64 v[9:10], v[7:8], 0xffffffe0
	v_floor_f64_e32 v[9:10], v[9:10]
	s_delay_alu instid0(VALU_DEP_1) | instskip(SKIP_1) | instid1(VALU_DEP_2)
	v_fma_f64 v[7:8], 0xc1f00000, v[9:10], v[7:8]
	v_cvt_u32_f64_e32 v9, v[9:10]
	v_cvt_u32_f64_e32 v8, v[7:8]
	global_store_b64 v[4:5], v[8:9], off
.LBB133_31:
	s_mov_b32 s2, 0
.LBB133_32:
	s_delay_alu instid0(SALU_CYCLE_1)
	s_and_b32 vcc_lo, exec_lo, s2
	s_cbranch_vccz .LBB133_48
; %bb.33:
	v_cmp_gt_i16_e32 vcc_lo, 27, v6
	s_mov_b32 s1, -1
	s_cbranch_vccnz .LBB133_39
; %bb.34:
	v_cvt_u32_f64_e32 v7, v[0:1]
	v_cmp_lt_i16_e32 vcc_lo, 27, v6
	s_cbranch_vccz .LBB133_36
; %bb.35:
	s_mov_b32 s1, 0
	global_store_b32 v[4:5], v7, off
.LBB133_36:
	s_and_not1_b32 vcc_lo, exec_lo, s1
	s_cbranch_vccnz .LBB133_38
; %bb.37:
	global_store_b16 v[4:5], v7, off
.LBB133_38:
	s_mov_b32 s1, 0
.LBB133_39:
	s_delay_alu instid0(SALU_CYCLE_1)
	s_and_not1_b32 vcc_lo, exec_lo, s1
	s_cbranch_vccnz .LBB133_47
; %bb.40:
	v_cvt_f32_f64_e32 v7, v[0:1]
	v_mov_b32_e32 v9, 0x80
	s_mov_b32 s1, exec_lo
	s_delay_alu instid0(VALU_DEP_2) | instskip(NEXT) | instid1(VALU_DEP_1)
	v_and_b32_e32 v8, 0x7fffffff, v7
	v_cmpx_gt_u32_e32 0x43800000, v8
	s_cbranch_execz .LBB133_46
; %bb.41:
	v_cmp_lt_u32_e32 vcc_lo, 0x3bffffff, v8
	s_mov_b32 s2, 0
                                        ; implicit-def: $vgpr8
	s_and_saveexec_b32 s3, vcc_lo
	s_delay_alu instid0(SALU_CYCLE_1)
	s_xor_b32 s3, exec_lo, s3
	s_cbranch_execz .LBB133_772
; %bb.42:
	v_bfe_u32 v8, v7, 20, 1
	s_mov_b32 s2, exec_lo
	s_delay_alu instid0(VALU_DEP_1) | instskip(NEXT) | instid1(VALU_DEP_1)
	v_add3_u32 v8, v7, v8, 0x487ffff
	v_lshrrev_b32_e32 v8, 20, v8
	s_or_saveexec_b32 s3, s3
                                        ; implicit-def: $sgpr4
	s_delay_alu instid0(SALU_CYCLE_1)
	s_xor_b32 exec_lo, exec_lo, s3
	s_cbranch_execnz .LBB133_773
.LBB133_43:
	s_or_b32 exec_lo, exec_lo, s3
	v_mov_b32_e32 v9, s4
	s_and_saveexec_b32 s3, s2
.LBB133_44:
	v_lshrrev_b32_e32 v7, 24, v7
	s_delay_alu instid0(VALU_DEP_1)
	v_and_or_b32 v9, 0x80, v7, v8
.LBB133_45:
	s_or_b32 exec_lo, exec_lo, s3
.LBB133_46:
	s_delay_alu instid0(SALU_CYCLE_1)
	s_or_b32 exec_lo, exec_lo, s1
	global_store_b8 v[4:5], v9, off
.LBB133_47:
	s_mov_b32 s1, -1
.LBB133_48:
	s_mov_b32 s2, 0
.LBB133_49:
	s_delay_alu instid0(SALU_CYCLE_1)
	s_and_b32 vcc_lo, exec_lo, s2
	s_cbranch_vccz .LBB133_90
; %bb.50:
	v_cmp_lt_i16_e32 vcc_lo, 22, v6
	s_mov_b32 s2, -1
	s_cbranch_vccz .LBB133_82
; %bb.51:
	v_cmp_gt_i16_e32 vcc_lo, 24, v6
	s_mov_b32 s1, -1
	s_cbranch_vccnz .LBB133_71
; %bb.52:
	v_cmp_lt_i16_e32 vcc_lo, 24, v6
	s_cbranch_vccz .LBB133_60
; %bb.53:
	v_cvt_f32_f64_e32 v7, v[0:1]
	v_mov_b32_e32 v9, 0x80
	s_mov_b32 s1, exec_lo
	s_delay_alu instid0(VALU_DEP_2) | instskip(NEXT) | instid1(VALU_DEP_1)
	v_and_b32_e32 v8, 0x7fffffff, v7
	v_cmpx_gt_u32_e32 0x47800000, v8
	s_cbranch_execz .LBB133_59
; %bb.54:
	v_cmp_lt_u32_e32 vcc_lo, 0x37ffffff, v8
	s_mov_b32 s2, 0
                                        ; implicit-def: $vgpr8
	s_and_saveexec_b32 s3, vcc_lo
	s_delay_alu instid0(SALU_CYCLE_1)
	s_xor_b32 s3, exec_lo, s3
	s_cbranch_execz .LBB133_783
; %bb.55:
	v_bfe_u32 v8, v7, 21, 1
	s_mov_b32 s2, exec_lo
	s_delay_alu instid0(VALU_DEP_1) | instskip(NEXT) | instid1(VALU_DEP_1)
	v_add3_u32 v8, v7, v8, 0x88fffff
	v_lshrrev_b32_e32 v8, 21, v8
	s_or_saveexec_b32 s3, s3
                                        ; implicit-def: $sgpr4
	s_delay_alu instid0(SALU_CYCLE_1)
	s_xor_b32 exec_lo, exec_lo, s3
	s_cbranch_execnz .LBB133_784
.LBB133_56:
	s_or_b32 exec_lo, exec_lo, s3
	v_mov_b32_e32 v9, s4
	s_and_saveexec_b32 s3, s2
.LBB133_57:
	v_lshrrev_b32_e32 v7, 24, v7
	s_delay_alu instid0(VALU_DEP_1)
	v_and_or_b32 v9, 0x80, v7, v8
.LBB133_58:
	s_or_b32 exec_lo, exec_lo, s3
.LBB133_59:
	s_delay_alu instid0(SALU_CYCLE_1)
	s_or_b32 exec_lo, exec_lo, s1
	s_mov_b32 s1, 0
	global_store_b8 v[4:5], v9, off
.LBB133_60:
	s_and_b32 vcc_lo, exec_lo, s1
	s_cbranch_vccz .LBB133_70
; %bb.61:
	v_cvt_f32_f64_e32 v7, v[0:1]
	s_mov_b32 s1, exec_lo
                                        ; implicit-def: $vgpr8
	s_delay_alu instid0(VALU_DEP_1) | instskip(NEXT) | instid1(VALU_DEP_1)
	v_and_b32_e32 v9, 0x7fffffff, v7
	v_cmpx_gt_u32_e32 0x43f00000, v9
	s_xor_b32 s1, exec_lo, s1
	s_cbranch_execz .LBB133_67
; %bb.62:
	s_mov_b32 s2, exec_lo
                                        ; implicit-def: $vgpr8
	v_cmpx_lt_u32_e32 0x3c7fffff, v9
	s_xor_b32 s2, exec_lo, s2
; %bb.63:
	v_bfe_u32 v8, v7, 20, 1
	s_delay_alu instid0(VALU_DEP_1) | instskip(NEXT) | instid1(VALU_DEP_1)
	v_add3_u32 v8, v7, v8, 0x407ffff
	v_and_b32_e32 v9, 0xff00000, v8
	v_lshrrev_b32_e32 v8, 20, v8
	s_delay_alu instid0(VALU_DEP_2) | instskip(NEXT) | instid1(VALU_DEP_2)
	v_cmp_ne_u32_e32 vcc_lo, 0x7f00000, v9
	v_cndmask_b32_e32 v8, 0x7e, v8, vcc_lo
; %bb.64:
	s_and_not1_saveexec_b32 s2, s2
; %bb.65:
	v_add_f32_e64 v8, 0x46800000, |v7|
; %bb.66:
	s_or_b32 exec_lo, exec_lo, s2
                                        ; implicit-def: $vgpr9
.LBB133_67:
	s_and_not1_saveexec_b32 s1, s1
; %bb.68:
	v_mov_b32_e32 v8, 0x7f
	v_cmp_lt_u32_e32 vcc_lo, 0x7f800000, v9
	s_delay_alu instid0(VALU_DEP_2)
	v_cndmask_b32_e32 v8, 0x7e, v8, vcc_lo
; %bb.69:
	s_or_b32 exec_lo, exec_lo, s1
	v_lshrrev_b32_e32 v7, 24, v7
	s_delay_alu instid0(VALU_DEP_1)
	v_and_or_b32 v7, 0x80, v7, v8
	global_store_b8 v[4:5], v7, off
.LBB133_70:
	s_mov_b32 s1, 0
.LBB133_71:
	s_delay_alu instid0(SALU_CYCLE_1)
	s_and_not1_b32 vcc_lo, exec_lo, s1
	s_cbranch_vccnz .LBB133_81
; %bb.72:
	v_cvt_f32_f64_e32 v7, v[0:1]
	s_mov_b32 s1, exec_lo
                                        ; implicit-def: $vgpr8
	s_delay_alu instid0(VALU_DEP_1) | instskip(NEXT) | instid1(VALU_DEP_1)
	v_and_b32_e32 v9, 0x7fffffff, v7
	v_cmpx_gt_u32_e32 0x47800000, v9
	s_xor_b32 s1, exec_lo, s1
	s_cbranch_execz .LBB133_78
; %bb.73:
	s_mov_b32 s2, exec_lo
                                        ; implicit-def: $vgpr8
	v_cmpx_lt_u32_e32 0x387fffff, v9
	s_xor_b32 s2, exec_lo, s2
; %bb.74:
	v_bfe_u32 v8, v7, 21, 1
	s_delay_alu instid0(VALU_DEP_1) | instskip(NEXT) | instid1(VALU_DEP_1)
	v_add3_u32 v8, v7, v8, 0x80fffff
	v_lshrrev_b32_e32 v8, 21, v8
; %bb.75:
	s_and_not1_saveexec_b32 s2, s2
; %bb.76:
	v_add_f32_e64 v8, 0x43000000, |v7|
; %bb.77:
	s_or_b32 exec_lo, exec_lo, s2
                                        ; implicit-def: $vgpr9
.LBB133_78:
	s_and_not1_saveexec_b32 s1, s1
; %bb.79:
	v_mov_b32_e32 v8, 0x7f
	v_cmp_lt_u32_e32 vcc_lo, 0x7f800000, v9
	s_delay_alu instid0(VALU_DEP_2)
	v_cndmask_b32_e32 v8, 0x7c, v8, vcc_lo
; %bb.80:
	s_or_b32 exec_lo, exec_lo, s1
	v_lshrrev_b32_e32 v7, 24, v7
	s_delay_alu instid0(VALU_DEP_1)
	v_and_or_b32 v7, 0x80, v7, v8
	global_store_b8 v[4:5], v7, off
.LBB133_81:
	s_mov_b32 s2, 0
	s_mov_b32 s1, -1
.LBB133_82:
	s_and_not1_b32 vcc_lo, exec_lo, s2
	s_cbranch_vccnz .LBB133_90
; %bb.83:
	v_cmp_lt_i16_e32 vcc_lo, 14, v6
	s_mov_b32 s2, -1
	s_cbranch_vccz .LBB133_87
; %bb.84:
	v_cmp_eq_u16_e32 vcc_lo, 15, v6
	s_mov_b32 s0, -1
	s_cbranch_vccz .LBB133_86
; %bb.85:
	v_cvt_f32_f64_e32 v7, v[0:1]
	s_mov_b32 s1, -1
	s_mov_b32 s0, 0
	s_delay_alu instid0(VALU_DEP_1) | instskip(SKIP_1) | instid1(VALU_DEP_2)
	v_bfe_u32 v8, v7, 16, 1
	v_cmp_o_f32_e32 vcc_lo, v7, v7
	v_add3_u32 v8, v7, v8, 0x7fff
	s_delay_alu instid0(VALU_DEP_1) | instskip(NEXT) | instid1(VALU_DEP_1)
	v_lshrrev_b32_e32 v8, 16, v8
	v_cndmask_b32_e32 v7, 0x7fc0, v8, vcc_lo
	global_store_b16 v[4:5], v7, off
.LBB133_86:
	s_mov_b32 s2, 0
.LBB133_87:
	s_delay_alu instid0(SALU_CYCLE_1)
	s_and_b32 vcc_lo, exec_lo, s2
	s_cbranch_vccz .LBB133_90
; %bb.88:
	v_cmp_eq_u16_e32 vcc_lo, 11, v6
	s_mov_b32 s0, -1
	s_cbranch_vccz .LBB133_90
; %bb.89:
	v_cmp_neq_f64_e32 vcc_lo, 0, v[0:1]
	v_cmp_neq_f64_e64 s0, 0, v[2:3]
	s_mov_b32 s1, -1
	s_delay_alu instid0(VALU_DEP_1) | instskip(NEXT) | instid1(SALU_CYCLE_1)
	s_or_b32 s0, vcc_lo, s0
	v_cndmask_b32_e64 v7, 0, 1, s0
	s_mov_b32 s0, 0
	global_store_b8 v[4:5], v7, off
.LBB133_90:
.LBB133_91:
	s_and_not1_b32 vcc_lo, exec_lo, s1
	s_cbranch_vccnz .LBB133_132
.LBB133_92:
	v_add_nc_u32_e32 v42, 0x80, v42
	s_mov_b32 s1, -1
	s_branch .LBB133_133
.LBB133_93:
	s_and_b32 vcc_lo, exec_lo, s2
	s_cbranch_vccz .LBB133_91
; %bb.94:
	v_cmp_gt_i16_e32 vcc_lo, 5, v6
	s_mov_b32 s1, -1
	s_cbranch_vccnz .LBB133_115
; %bb.95:
	v_cmp_gt_i16_e32 vcc_lo, 8, v6
	s_cbranch_vccnz .LBB133_105
; %bb.96:
	v_cmp_gt_i16_e32 vcc_lo, 9, v6
	s_cbranch_vccnz .LBB133_102
; %bb.97:
	v_cmp_lt_i16_e32 vcc_lo, 9, v6
	s_cbranch_vccz .LBB133_99
; %bb.98:
	s_mov_b32 s1, 0
	global_store_b128 v[4:5], v[0:3], off
.LBB133_99:
	s_and_not1_b32 vcc_lo, exec_lo, s1
	s_cbranch_vccnz .LBB133_101
; %bb.100:
	v_cvt_f32_f64_e32 v7, v[0:1]
	v_cvt_f32_f64_e32 v8, v[2:3]
	global_store_b64 v[4:5], v[7:8], off
.LBB133_101:
	s_mov_b32 s1, 0
.LBB133_102:
	s_delay_alu instid0(SALU_CYCLE_1)
	s_and_not1_b32 vcc_lo, exec_lo, s1
	s_cbranch_vccnz .LBB133_104
; %bb.103:
	v_cvt_f32_f64_e32 v2, v[2:3]
	v_cvt_f32_f64_e32 v3, v[0:1]
	s_delay_alu instid0(VALU_DEP_2) | instskip(NEXT) | instid1(VALU_DEP_2)
	v_cvt_f16_f32_e32 v2, v2
	v_cvt_f16_f32_e32 v3, v3
	s_delay_alu instid0(VALU_DEP_2) | instskip(NEXT) | instid1(VALU_DEP_2)
	v_lshlrev_b32_e32 v2, 16, v2
	v_and_b32_e32 v3, 0xffff, v3
	s_delay_alu instid0(VALU_DEP_1)
	v_or_b32_e32 v2, v2, v3
	global_store_b32 v[4:5], v2, off
.LBB133_104:
	s_mov_b32 s1, 0
.LBB133_105:
	s_delay_alu instid0(SALU_CYCLE_1)
	s_and_not1_b32 vcc_lo, exec_lo, s1
	s_cbranch_vccnz .LBB133_114
; %bb.106:
	v_cmp_gt_i16_e32 vcc_lo, 6, v6
	s_mov_b32 s1, -1
	s_cbranch_vccnz .LBB133_112
; %bb.107:
	v_cmp_lt_i16_e32 vcc_lo, 6, v6
	s_cbranch_vccz .LBB133_109
; %bb.108:
	s_mov_b32 s1, 0
	global_store_b64 v[4:5], v[0:1], off
.LBB133_109:
	s_and_not1_b32 vcc_lo, exec_lo, s1
	s_cbranch_vccnz .LBB133_111
; %bb.110:
	v_cvt_f32_f64_e32 v2, v[0:1]
	global_store_b32 v[4:5], v2, off
.LBB133_111:
	s_mov_b32 s1, 0
.LBB133_112:
	s_delay_alu instid0(SALU_CYCLE_1)
	s_and_not1_b32 vcc_lo, exec_lo, s1
	s_cbranch_vccnz .LBB133_114
; %bb.113:
	v_cvt_f32_f64_e32 v2, v[0:1]
	s_delay_alu instid0(VALU_DEP_1)
	v_cvt_f16_f32_e32 v2, v2
	global_store_b16 v[4:5], v2, off
.LBB133_114:
	s_mov_b32 s1, 0
.LBB133_115:
	s_delay_alu instid0(SALU_CYCLE_1)
	s_and_not1_b32 vcc_lo, exec_lo, s1
	s_cbranch_vccnz .LBB133_131
; %bb.116:
	v_cmp_gt_i16_e32 vcc_lo, 2, v6
	s_mov_b32 s1, -1
	s_cbranch_vccnz .LBB133_126
; %bb.117:
	v_cmp_gt_i16_e32 vcc_lo, 3, v6
	s_cbranch_vccnz .LBB133_123
; %bb.118:
	v_cmp_lt_i16_e32 vcc_lo, 3, v6
	s_cbranch_vccz .LBB133_120
; %bb.119:
	v_trunc_f64_e32 v[2:3], v[0:1]
	s_mov_b32 s1, 0
	s_delay_alu instid0(VALU_DEP_1) | instskip(NEXT) | instid1(VALU_DEP_1)
	v_ldexp_f64 v[7:8], v[2:3], 0xffffffe0
	v_floor_f64_e32 v[7:8], v[7:8]
	s_delay_alu instid0(VALU_DEP_1) | instskip(SKIP_1) | instid1(VALU_DEP_2)
	v_fma_f64 v[2:3], 0xc1f00000, v[7:8], v[2:3]
	v_cvt_i32_f64_e32 v8, v[7:8]
	v_cvt_u32_f64_e32 v7, v[2:3]
	global_store_b64 v[4:5], v[7:8], off
.LBB133_120:
	s_and_not1_b32 vcc_lo, exec_lo, s1
	s_cbranch_vccnz .LBB133_122
; %bb.121:
	v_cvt_i32_f64_e32 v2, v[0:1]
	global_store_b32 v[4:5], v2, off
.LBB133_122:
	s_mov_b32 s1, 0
.LBB133_123:
	s_delay_alu instid0(SALU_CYCLE_1)
	s_and_not1_b32 vcc_lo, exec_lo, s1
	s_cbranch_vccnz .LBB133_125
; %bb.124:
	v_cvt_i32_f64_e32 v2, v[0:1]
	global_store_b16 v[4:5], v2, off
.LBB133_125:
	s_mov_b32 s1, 0
.LBB133_126:
	s_delay_alu instid0(SALU_CYCLE_1)
	s_and_not1_b32 vcc_lo, exec_lo, s1
	s_cbranch_vccnz .LBB133_131
; %bb.127:
	v_cmp_lt_i16_e32 vcc_lo, 0, v6
	s_mov_b32 s1, -1
	s_cbranch_vccz .LBB133_129
; %bb.128:
	v_cvt_i32_f64_e32 v2, v[0:1]
	s_mov_b32 s1, 0
	global_store_b8 v[4:5], v2, off
.LBB133_129:
	s_and_not1_b32 vcc_lo, exec_lo, s1
	s_cbranch_vccnz .LBB133_131
; %bb.130:
	v_trunc_f64_e32 v[0:1], v[0:1]
	s_delay_alu instid0(VALU_DEP_1) | instskip(NEXT) | instid1(VALU_DEP_1)
	v_ldexp_f64 v[2:3], v[0:1], 0xffffffe0
	v_floor_f64_e32 v[2:3], v[2:3]
	s_delay_alu instid0(VALU_DEP_1) | instskip(NEXT) | instid1(VALU_DEP_1)
	v_fma_f64 v[0:1], 0xc1f00000, v[2:3], v[0:1]
	v_cvt_u32_f64_e32 v0, v[0:1]
	global_store_b8 v[4:5], v0, off
.LBB133_131:
	s_branch .LBB133_92
.LBB133_132:
	s_mov_b32 s1, 0
                                        ; implicit-def: $vgpr42
.LBB133_133:
	s_and_b32 s56, s0, exec_lo
	s_or_not1_b32 s0, s1, exec_lo
.LBB133_134:
	s_or_b32 exec_lo, exec_lo, s57
	s_mov_b32 s2, 0
                                        ; implicit-def: $vgpr6
                                        ; implicit-def: $vgpr2_vgpr3
                                        ; implicit-def: $vgpr4_vgpr5
	s_and_saveexec_b32 s57, s0
	s_cbranch_execz .LBB133_141
; %bb.135:
	s_mov_b32 s2, -1
	s_mov_b32 s58, s56
	s_mov_b32 s59, exec_lo
	v_cmpx_gt_i32_e64 s53, v42
	s_cbranch_execz .LBB133_858
; %bb.136:
	s_and_not1_b32 vcc_lo, exec_lo, s50
	s_cbranch_vccnz .LBB133_711
; %bb.137:
	v_dual_mov_b32 v41, 0 :: v_dual_mov_b32 v2, 0
	s_and_not1_b32 vcc_lo, exec_lo, s55
	s_mov_b32 s4, 0
	s_cbranch_vccnz .LBB133_716
; %bb.138:
	v_mov_b32_e32 v41, 0
	s_add_i32 s6, s54, 1
	s_cmp_eq_u32 s48, 2
	s_mov_b32 s5, 0
	s_cbranch_scc1 .LBB133_712
; %bb.139:
	v_dual_mov_b32 v2, 0 :: v_dual_mov_b32 v41, 0
	v_mov_b32_e32 v0, v42
	s_and_b32 s5, s6, 28
	s_mov_b32 s7, 0
	s_mov_b64 s[0:1], s[34:35]
	s_mov_b64 s[2:3], s[26:27]
.LBB133_140:                            ; =>This Inner Loop Header: Depth=1
	s_clause 0x1
	s_load_b256 s[8:15], s[2:3], 0x4
	s_load_b128 s[60:63], s[2:3], 0x24
	s_load_b256 s[16:23], s[0:1], 0x0
	s_add_u32 s2, s2, 48
	s_addc_u32 s3, s3, 0
	s_add_i32 s7, s7, 4
	s_add_u32 s0, s0, 32
	s_addc_u32 s1, s1, 0
	s_cmp_eq_u32 s5, s7
	s_waitcnt lgkmcnt(0)
	v_mul_hi_u32 v1, s9, v0
	s_delay_alu instid0(VALU_DEP_1) | instskip(NEXT) | instid1(VALU_DEP_1)
	v_add_nc_u32_e32 v1, v0, v1
	v_lshrrev_b32_e32 v1, s10, v1
	s_delay_alu instid0(VALU_DEP_1) | instskip(SKIP_1) | instid1(VALU_DEP_2)
	v_mul_hi_u32 v3, s12, v1
	v_mul_lo_u32 v5, v1, s8
	v_add_nc_u32_e32 v3, v1, v3
	s_delay_alu instid0(VALU_DEP_2) | instskip(NEXT) | instid1(VALU_DEP_2)
	v_sub_nc_u32_e32 v0, v0, v5
	v_lshrrev_b32_e32 v3, s13, v3
	s_delay_alu instid0(VALU_DEP_2) | instskip(SKIP_1) | instid1(VALU_DEP_3)
	v_mul_lo_u32 v5, v0, s16
	v_mul_lo_u32 v7, v0, s17
	v_mul_hi_u32 v4, s15, v3
	s_delay_alu instid0(VALU_DEP_1) | instskip(NEXT) | instid1(VALU_DEP_1)
	v_add_nc_u32_e32 v4, v3, v4
	v_lshrrev_b32_e32 v4, s60, v4
	s_delay_alu instid0(VALU_DEP_1) | instskip(SKIP_1) | instid1(VALU_DEP_2)
	v_mul_hi_u32 v6, s62, v4
	v_mul_lo_u32 v8, v4, s14
	v_add_nc_u32_e32 v0, v4, v6
	v_mul_lo_u32 v6, v3, s11
	s_delay_alu instid0(VALU_DEP_3) | instskip(NEXT) | instid1(VALU_DEP_3)
	v_sub_nc_u32_e32 v3, v3, v8
	v_lshrrev_b32_e32 v0, s63, v0
	s_delay_alu instid0(VALU_DEP_2) | instskip(SKIP_2) | instid1(VALU_DEP_4)
	v_mul_lo_u32 v8, v3, s20
	v_mul_lo_u32 v3, v3, s21
	v_sub_nc_u32_e32 v1, v1, v6
	v_mul_lo_u32 v9, v0, s61
	s_delay_alu instid0(VALU_DEP_2) | instskip(SKIP_1) | instid1(VALU_DEP_3)
	v_mul_lo_u32 v6, v1, s18
	v_mul_lo_u32 v1, v1, s19
	v_sub_nc_u32_e32 v4, v4, v9
	s_delay_alu instid0(VALU_DEP_3) | instskip(NEXT) | instid1(VALU_DEP_2)
	v_add3_u32 v5, v5, v41, v6
	v_mul_lo_u32 v9, v4, s22
	v_mul_lo_u32 v4, v4, s23
	v_add3_u32 v1, v7, v2, v1
	s_delay_alu instid0(VALU_DEP_3) | instskip(NEXT) | instid1(VALU_DEP_2)
	v_add3_u32 v41, v8, v5, v9
	v_add3_u32 v2, v3, v1, v4
	s_cbranch_scc0 .LBB133_140
	s_branch .LBB133_713
.LBB133_141:
	s_or_b32 exec_lo, exec_lo, s57
	s_mov_b32 s1, 0
	s_and_saveexec_b32 s0, s56
	s_cbranch_execnz .LBB133_1102
.LBB133_142:
	s_or_b32 exec_lo, exec_lo, s0
	s_and_saveexec_b32 s0, s58
	s_delay_alu instid0(SALU_CYCLE_1)
	s_xor_b32 s3, exec_lo, s0
	s_cbranch_execz .LBB133_144
.LBB133_143:
	v_cmp_neq_f64_e32 vcc_lo, 0, v[0:1]
	v_cmp_neq_f64_e64 s0, 0, v[2:3]
	s_delay_alu instid0(VALU_DEP_1) | instskip(NEXT) | instid1(SALU_CYCLE_1)
	s_or_b32 s0, vcc_lo, s0
	v_cndmask_b32_e64 v7, 0, 1, s0
	global_store_b8 v[4:5], v7, off
.LBB133_144:
	s_or_b32 exec_lo, exec_lo, s3
	s_and_saveexec_b32 s0, s2
	s_delay_alu instid0(SALU_CYCLE_1)
	s_xor_b32 s0, exec_lo, s0
	s_cbranch_execz .LBB133_182
; %bb.145:
	v_cmp_gt_i16_e32 vcc_lo, 5, v6
	s_mov_b32 s2, -1
	s_cbranch_vccnz .LBB133_166
; %bb.146:
	v_cmp_gt_i16_e32 vcc_lo, 8, v6
	s_cbranch_vccnz .LBB133_156
; %bb.147:
	v_cmp_gt_i16_e32 vcc_lo, 9, v6
	s_cbranch_vccnz .LBB133_153
; %bb.148:
	v_cmp_lt_i16_e32 vcc_lo, 9, v6
	s_cbranch_vccz .LBB133_150
; %bb.149:
	s_mov_b32 s2, 0
	global_store_b128 v[4:5], v[0:3], off
.LBB133_150:
	s_and_not1_b32 vcc_lo, exec_lo, s2
	s_cbranch_vccnz .LBB133_152
; %bb.151:
	v_cvt_f32_f64_e32 v7, v[0:1]
	v_cvt_f32_f64_e32 v8, v[2:3]
	global_store_b64 v[4:5], v[7:8], off
.LBB133_152:
	s_mov_b32 s2, 0
.LBB133_153:
	s_delay_alu instid0(SALU_CYCLE_1)
	s_and_not1_b32 vcc_lo, exec_lo, s2
	s_cbranch_vccnz .LBB133_155
; %bb.154:
	v_cvt_f32_f64_e32 v2, v[2:3]
	v_cvt_f32_f64_e32 v3, v[0:1]
	s_delay_alu instid0(VALU_DEP_2) | instskip(NEXT) | instid1(VALU_DEP_2)
	v_cvt_f16_f32_e32 v2, v2
	v_cvt_f16_f32_e32 v3, v3
	s_delay_alu instid0(VALU_DEP_2) | instskip(NEXT) | instid1(VALU_DEP_2)
	v_lshlrev_b32_e32 v2, 16, v2
	v_and_b32_e32 v3, 0xffff, v3
	s_delay_alu instid0(VALU_DEP_1)
	v_or_b32_e32 v2, v2, v3
	global_store_b32 v[4:5], v2, off
.LBB133_155:
	s_mov_b32 s2, 0
.LBB133_156:
	s_delay_alu instid0(SALU_CYCLE_1)
	s_and_not1_b32 vcc_lo, exec_lo, s2
	s_cbranch_vccnz .LBB133_165
; %bb.157:
	v_cmp_gt_i16_e32 vcc_lo, 6, v6
	s_mov_b32 s2, -1
	s_cbranch_vccnz .LBB133_163
; %bb.158:
	v_cmp_lt_i16_e32 vcc_lo, 6, v6
	s_cbranch_vccz .LBB133_160
; %bb.159:
	s_mov_b32 s2, 0
	global_store_b64 v[4:5], v[0:1], off
.LBB133_160:
	s_and_not1_b32 vcc_lo, exec_lo, s2
	s_cbranch_vccnz .LBB133_162
; %bb.161:
	v_cvt_f32_f64_e32 v2, v[0:1]
	global_store_b32 v[4:5], v2, off
.LBB133_162:
	s_mov_b32 s2, 0
.LBB133_163:
	s_delay_alu instid0(SALU_CYCLE_1)
	s_and_not1_b32 vcc_lo, exec_lo, s2
	s_cbranch_vccnz .LBB133_165
; %bb.164:
	v_cvt_f32_f64_e32 v2, v[0:1]
	s_delay_alu instid0(VALU_DEP_1)
	v_cvt_f16_f32_e32 v2, v2
	global_store_b16 v[4:5], v2, off
.LBB133_165:
	s_mov_b32 s2, 0
.LBB133_166:
	s_delay_alu instid0(SALU_CYCLE_1)
	s_and_not1_b32 vcc_lo, exec_lo, s2
	s_cbranch_vccnz .LBB133_182
; %bb.167:
	v_cmp_gt_i16_e32 vcc_lo, 2, v6
	s_mov_b32 s2, -1
	s_cbranch_vccnz .LBB133_177
; %bb.168:
	v_cmp_gt_i16_e32 vcc_lo, 3, v6
	s_cbranch_vccnz .LBB133_174
; %bb.169:
	v_cmp_lt_i16_e32 vcc_lo, 3, v6
	s_cbranch_vccz .LBB133_171
; %bb.170:
	v_trunc_f64_e32 v[2:3], v[0:1]
	s_mov_b32 s2, 0
	s_delay_alu instid0(VALU_DEP_1) | instskip(NEXT) | instid1(VALU_DEP_1)
	v_ldexp_f64 v[7:8], v[2:3], 0xffffffe0
	v_floor_f64_e32 v[7:8], v[7:8]
	s_delay_alu instid0(VALU_DEP_1) | instskip(SKIP_1) | instid1(VALU_DEP_2)
	v_fma_f64 v[2:3], 0xc1f00000, v[7:8], v[2:3]
	v_cvt_i32_f64_e32 v8, v[7:8]
	v_cvt_u32_f64_e32 v7, v[2:3]
	global_store_b64 v[4:5], v[7:8], off
.LBB133_171:
	s_and_not1_b32 vcc_lo, exec_lo, s2
	s_cbranch_vccnz .LBB133_173
; %bb.172:
	v_cvt_i32_f64_e32 v2, v[0:1]
	global_store_b32 v[4:5], v2, off
.LBB133_173:
	s_mov_b32 s2, 0
.LBB133_174:
	s_delay_alu instid0(SALU_CYCLE_1)
	s_and_not1_b32 vcc_lo, exec_lo, s2
	s_cbranch_vccnz .LBB133_176
; %bb.175:
	v_cvt_i32_f64_e32 v2, v[0:1]
	global_store_b16 v[4:5], v2, off
.LBB133_176:
	s_mov_b32 s2, 0
.LBB133_177:
	s_delay_alu instid0(SALU_CYCLE_1)
	s_and_not1_b32 vcc_lo, exec_lo, s2
	s_cbranch_vccnz .LBB133_182
; %bb.178:
	v_cmp_lt_i16_e32 vcc_lo, 0, v6
	s_mov_b32 s2, -1
	s_cbranch_vccz .LBB133_180
; %bb.179:
	v_cvt_i32_f64_e32 v2, v[0:1]
	s_mov_b32 s2, 0
	global_store_b8 v[4:5], v2, off
.LBB133_180:
	s_and_not1_b32 vcc_lo, exec_lo, s2
	s_cbranch_vccnz .LBB133_182
; %bb.181:
	v_trunc_f64_e32 v[0:1], v[0:1]
	s_delay_alu instid0(VALU_DEP_1) | instskip(NEXT) | instid1(VALU_DEP_1)
	v_ldexp_f64 v[2:3], v[0:1], 0xffffffe0
	v_floor_f64_e32 v[2:3], v[2:3]
	s_delay_alu instid0(VALU_DEP_1) | instskip(NEXT) | instid1(VALU_DEP_1)
	v_fma_f64 v[0:1], 0xc1f00000, v[2:3], v[0:1]
	v_cvt_u32_f64_e32 v0, v[0:1]
	global_store_b8 v[4:5], v0, off
.LBB133_182:
	s_or_b32 exec_lo, exec_lo, s0
	s_waitcnt lgkmcnt(0)
	s_and_b32 s28, s1, exec_lo
                                        ; implicit-def: $vgpr0
                                        ; implicit-def: $vgpr42
.LBB133_183:
	s_or_saveexec_b32 s29, s51
	s_mov_b32 s3, 0
                                        ; implicit-def: $vgpr6
                                        ; implicit-def: $vgpr2_vgpr3
                                        ; implicit-def: $vgpr4_vgpr5
	s_xor_b32 exec_lo, exec_lo, s29
	s_cbranch_execz .LBB133_668
; %bb.184:
	v_cndmask_b32_e64 v1, 0, 1, s50
	s_and_not1_b32 vcc_lo, exec_lo, s50
	s_cbranch_vccnz .LBB133_190
; %bb.185:
	v_dual_mov_b32 v73, 0 :: v_dual_mov_b32 v2, 0
	s_cmp_lg_u32 s33, 0
	s_mov_b32 s4, 0
	s_cbranch_scc0 .LBB133_194
; %bb.186:
	s_min_u32 s5, s48, 15
	v_mov_b32_e32 v73, 0
	s_add_i32 s5, s5, 1
	s_cmp_eq_u32 s48, 2
	s_mov_b32 s6, 0
	s_cbranch_scc1 .LBB133_191
; %bb.187:
	v_dual_mov_b32 v2, 0 :: v_dual_mov_b32 v73, 0
	v_mov_b32_e32 v3, v42
	s_add_u32 s0, s26, 0xc4
	s_addc_u32 s1, s27, 0
	s_and_b32 s6, s5, 28
	s_mov_b32 s7, 0
	s_mov_b64 s[2:3], s[26:27]
.LBB133_188:                            ; =>This Inner Loop Header: Depth=1
	s_clause 0x1
	s_load_b256 s[8:15], s[2:3], 0x4
	s_load_b128 s[36:39], s[2:3], 0x24
	s_load_b256 s[16:23], s[0:1], 0x0
	s_add_u32 s2, s2, 48
	s_addc_u32 s3, s3, 0
	s_add_i32 s7, s7, 4
	s_add_u32 s0, s0, 32
	s_addc_u32 s1, s1, 0
	s_cmp_lg_u32 s6, s7
	s_waitcnt lgkmcnt(0)
	v_mul_hi_u32 v4, s9, v3
	s_delay_alu instid0(VALU_DEP_1) | instskip(NEXT) | instid1(VALU_DEP_1)
	v_add_nc_u32_e32 v4, v3, v4
	v_lshrrev_b32_e32 v4, s10, v4
	s_delay_alu instid0(VALU_DEP_1) | instskip(SKIP_1) | instid1(VALU_DEP_2)
	v_mul_hi_u32 v5, s12, v4
	v_mul_lo_u32 v7, v4, s8
	v_add_nc_u32_e32 v5, v4, v5
	s_delay_alu instid0(VALU_DEP_2) | instskip(NEXT) | instid1(VALU_DEP_2)
	v_sub_nc_u32_e32 v3, v3, v7
	v_lshrrev_b32_e32 v5, s13, v5
	s_delay_alu instid0(VALU_DEP_2) | instskip(SKIP_1) | instid1(VALU_DEP_3)
	v_mul_lo_u32 v7, v3, s16
	v_mul_lo_u32 v9, v3, s17
	v_mul_hi_u32 v6, s15, v5
	s_delay_alu instid0(VALU_DEP_1) | instskip(NEXT) | instid1(VALU_DEP_1)
	v_add_nc_u32_e32 v6, v5, v6
	v_lshrrev_b32_e32 v6, s36, v6
	s_delay_alu instid0(VALU_DEP_1) | instskip(SKIP_1) | instid1(VALU_DEP_2)
	v_mul_hi_u32 v8, s38, v6
	v_mul_lo_u32 v10, v6, s14
	v_add_nc_u32_e32 v3, v6, v8
	v_mul_lo_u32 v8, v5, s11
	s_delay_alu instid0(VALU_DEP_3) | instskip(NEXT) | instid1(VALU_DEP_3)
	v_sub_nc_u32_e32 v5, v5, v10
	v_lshrrev_b32_e32 v3, s39, v3
	s_delay_alu instid0(VALU_DEP_2) | instskip(SKIP_2) | instid1(VALU_DEP_4)
	v_mul_lo_u32 v10, v5, s20
	v_mul_lo_u32 v5, v5, s21
	v_sub_nc_u32_e32 v4, v4, v8
	v_mul_lo_u32 v11, v3, s37
	s_delay_alu instid0(VALU_DEP_2) | instskip(SKIP_1) | instid1(VALU_DEP_3)
	v_mul_lo_u32 v8, v4, s18
	v_mul_lo_u32 v4, v4, s19
	v_sub_nc_u32_e32 v6, v6, v11
	s_delay_alu instid0(VALU_DEP_3) | instskip(NEXT) | instid1(VALU_DEP_2)
	v_add3_u32 v7, v7, v73, v8
	v_mul_lo_u32 v11, v6, s22
	v_mul_lo_u32 v6, v6, s23
	v_add3_u32 v2, v9, v2, v4
	s_delay_alu instid0(VALU_DEP_3) | instskip(NEXT) | instid1(VALU_DEP_2)
	v_add3_u32 v73, v10, v7, v11
	v_add3_u32 v2, v5, v2, v6
	s_cbranch_scc1 .LBB133_188
; %bb.189:
	s_and_b32 s5, s5, 3
	s_delay_alu instid0(SALU_CYCLE_1)
	s_cmp_eq_u32 s5, 0
	s_cbranch_scc0 .LBB133_192
	s_branch .LBB133_194
.LBB133_190:
	s_mov_b32 s4, -1
                                        ; implicit-def: $vgpr73
                                        ; implicit-def: $vgpr2
	s_branch .LBB133_194
.LBB133_191:
	v_dual_mov_b32 v3, v42 :: v_dual_mov_b32 v2, 0
	s_and_b32 s5, s5, 3
	s_delay_alu instid0(SALU_CYCLE_1)
	s_cmp_eq_u32 s5, 0
	s_cbranch_scc1 .LBB133_194
.LBB133_192:
	s_lshl_b32 s0, s6, 3
	s_mul_i32 s2, s6, 12
	s_add_u32 s0, s0, s26
	s_addc_u32 s1, 0, s27
	s_add_u32 s0, s0, 0xc4
	s_addc_u32 s1, s1, 0
	s_add_u32 s2, s26, s2
	s_addc_u32 s3, 0, s27
	.p2align	6
.LBB133_193:                            ; =>This Inner Loop Header: Depth=1
	s_clause 0x1
	s_load_b64 s[6:7], s[2:3], 0x4
	s_load_b32 s10, s[2:3], 0xc
	s_load_b64 s[8:9], s[0:1], 0x0
	s_add_u32 s2, s2, 12
	s_addc_u32 s3, s3, 0
	s_add_u32 s0, s0, 8
	s_addc_u32 s1, s1, 0
	s_add_i32 s5, s5, -1
	s_delay_alu instid0(SALU_CYCLE_1) | instskip(SKIP_2) | instid1(VALU_DEP_1)
	s_cmp_lg_u32 s5, 0
	s_waitcnt lgkmcnt(0)
	v_mul_hi_u32 v4, s7, v3
	v_add_nc_u32_e32 v4, v3, v4
	s_delay_alu instid0(VALU_DEP_1) | instskip(NEXT) | instid1(VALU_DEP_1)
	v_lshrrev_b32_e32 v7, s10, v4
	v_mul_lo_u32 v4, v7, s6
	s_delay_alu instid0(VALU_DEP_1) | instskip(NEXT) | instid1(VALU_DEP_1)
	v_sub_nc_u32_e32 v3, v3, v4
	v_mad_u64_u32 v[4:5], null, v3, s8, v[73:74]
	v_mad_u64_u32 v[5:6], null, v3, s9, v[2:3]
	v_mov_b32_e32 v3, v7
	s_delay_alu instid0(VALU_DEP_2)
	v_dual_mov_b32 v73, v4 :: v_dual_mov_b32 v2, v5
	s_cbranch_scc1 .LBB133_193
.LBB133_194:
	s_and_not1_b32 vcc_lo, exec_lo, s4
	s_cbranch_vccnz .LBB133_197
; %bb.195:
	s_clause 0x1
	s_load_b128 s[0:3], s[26:27], 0x4
	s_load_b64 s[4:5], s[26:27], 0xc4
	s_cmp_lt_u32 s33, 2
	s_waitcnt lgkmcnt(0)
	v_mul_hi_u32 v2, s1, v42
	s_delay_alu instid0(VALU_DEP_1) | instskip(NEXT) | instid1(VALU_DEP_1)
	v_add_nc_u32_e32 v2, v42, v2
	v_lshrrev_b32_e32 v3, s2, v2
	s_delay_alu instid0(VALU_DEP_1) | instskip(NEXT) | instid1(VALU_DEP_1)
	v_mul_lo_u32 v2, v3, s0
	v_sub_nc_u32_e32 v2, v42, v2
	s_delay_alu instid0(VALU_DEP_1)
	v_mul_lo_u32 v73, v2, s4
	v_mul_lo_u32 v2, v2, s5
	s_cbranch_scc1 .LBB133_197
; %bb.196:
	s_clause 0x1
	s_load_b128 s[0:3], s[26:27], 0x10
	s_load_b64 s[4:5], s[26:27], 0xcc
	s_waitcnt lgkmcnt(0)
	v_mul_hi_u32 v4, s1, v3
	s_delay_alu instid0(VALU_DEP_1) | instskip(NEXT) | instid1(VALU_DEP_1)
	v_add_nc_u32_e32 v4, v3, v4
	v_lshrrev_b32_e32 v4, s2, v4
	s_delay_alu instid0(VALU_DEP_1) | instskip(NEXT) | instid1(VALU_DEP_1)
	v_mul_lo_u32 v4, v4, s0
	v_sub_nc_u32_e32 v6, v3, v4
	s_delay_alu instid0(VALU_DEP_1) | instskip(NEXT) | instid1(VALU_DEP_1)
	v_mad_u64_u32 v[3:4], null, v6, s4, v[73:74]
	v_mad_u64_u32 v[4:5], null, v6, s5, v[2:3]
	s_delay_alu instid0(VALU_DEP_1)
	v_dual_mov_b32 v73, v3 :: v_dual_mov_b32 v2, v4
.LBB133_197:
	v_cmp_ne_u32_e32 vcc_lo, 1, v1
	v_add_nc_u32_e32 v3, 0x80, v42
	s_cbranch_vccnz .LBB133_203
; %bb.198:
	v_mov_b32_e32 v72, 0
	v_mov_b32_e32 v40, 0
	s_cmp_lg_u32 s33, 0
	s_mov_b32 s4, 0
	s_cbranch_scc0 .LBB133_207
; %bb.199:
	s_min_u32 s5, s48, 15
	v_mov_b32_e32 v72, 0
	s_add_i32 s5, s5, 1
	s_cmp_eq_u32 s48, 2
	s_mov_b32 s6, 0
	s_cbranch_scc1 .LBB133_204
; %bb.200:
	v_mov_b32_e32 v40, 0
	v_mov_b32_e32 v72, 0
	;; [unrolled: 1-line block ×3, first 2 shown]
	s_add_u32 s0, s26, 0xc4
	s_addc_u32 s1, s27, 0
	s_and_b32 s6, s5, 28
	s_mov_b32 s7, 0
	s_mov_b64 s[2:3], s[26:27]
.LBB133_201:                            ; =>This Inner Loop Header: Depth=1
	s_clause 0x1
	s_load_b256 s[8:15], s[2:3], 0x4
	s_load_b128 s[36:39], s[2:3], 0x24
	s_load_b256 s[16:23], s[0:1], 0x0
	s_add_u32 s2, s2, 48
	s_addc_u32 s3, s3, 0
	s_add_i32 s7, s7, 4
	s_add_u32 s0, s0, 32
	s_addc_u32 s1, s1, 0
	s_cmp_lg_u32 s6, s7
	s_waitcnt lgkmcnt(0)
	v_mul_hi_u32 v5, s9, v4
	s_delay_alu instid0(VALU_DEP_1) | instskip(NEXT) | instid1(VALU_DEP_1)
	v_add_nc_u32_e32 v5, v4, v5
	v_lshrrev_b32_e32 v5, s10, v5
	s_delay_alu instid0(VALU_DEP_1) | instskip(SKIP_1) | instid1(VALU_DEP_2)
	v_mul_hi_u32 v6, s12, v5
	v_mul_lo_u32 v8, v5, s8
	v_add_nc_u32_e32 v6, v5, v6
	s_delay_alu instid0(VALU_DEP_2) | instskip(NEXT) | instid1(VALU_DEP_2)
	v_sub_nc_u32_e32 v4, v4, v8
	v_lshrrev_b32_e32 v6, s13, v6
	s_delay_alu instid0(VALU_DEP_2) | instskip(SKIP_1) | instid1(VALU_DEP_3)
	v_mul_lo_u32 v8, v4, s16
	v_mul_lo_u32 v10, v4, s17
	v_mul_hi_u32 v7, s15, v6
	s_delay_alu instid0(VALU_DEP_1) | instskip(NEXT) | instid1(VALU_DEP_1)
	v_add_nc_u32_e32 v7, v6, v7
	v_lshrrev_b32_e32 v7, s36, v7
	s_delay_alu instid0(VALU_DEP_1) | instskip(SKIP_1) | instid1(VALU_DEP_2)
	v_mul_hi_u32 v9, s38, v7
	v_mul_lo_u32 v11, v7, s14
	v_add_nc_u32_e32 v4, v7, v9
	v_mul_lo_u32 v9, v6, s11
	s_delay_alu instid0(VALU_DEP_3) | instskip(NEXT) | instid1(VALU_DEP_3)
	v_sub_nc_u32_e32 v6, v6, v11
	v_lshrrev_b32_e32 v4, s39, v4
	s_delay_alu instid0(VALU_DEP_2) | instskip(SKIP_2) | instid1(VALU_DEP_4)
	v_mul_lo_u32 v11, v6, s20
	v_mul_lo_u32 v6, v6, s21
	v_sub_nc_u32_e32 v5, v5, v9
	v_mul_lo_u32 v12, v4, s37
	s_delay_alu instid0(VALU_DEP_2) | instskip(SKIP_1) | instid1(VALU_DEP_3)
	v_mul_lo_u32 v9, v5, s18
	v_mul_lo_u32 v5, v5, s19
	v_sub_nc_u32_e32 v7, v7, v12
	s_delay_alu instid0(VALU_DEP_3) | instskip(NEXT) | instid1(VALU_DEP_2)
	v_add3_u32 v8, v8, v72, v9
	v_mul_lo_u32 v12, v7, s22
	v_mul_lo_u32 v7, v7, s23
	v_add3_u32 v5, v10, v40, v5
	s_delay_alu instid0(VALU_DEP_3) | instskip(NEXT) | instid1(VALU_DEP_2)
	v_add3_u32 v72, v11, v8, v12
	v_add3_u32 v40, v6, v5, v7
	s_cbranch_scc1 .LBB133_201
; %bb.202:
	s_and_b32 s5, s5, 3
	s_delay_alu instid0(SALU_CYCLE_1)
	s_cmp_eq_u32 s5, 0
	s_cbranch_scc0 .LBB133_205
	s_branch .LBB133_207
.LBB133_203:
	s_mov_b32 s4, -1
                                        ; implicit-def: $vgpr72
                                        ; implicit-def: $vgpr40
	s_branch .LBB133_207
.LBB133_204:
	v_mov_b32_e32 v4, v3
	v_mov_b32_e32 v40, 0
	s_and_b32 s5, s5, 3
	s_delay_alu instid0(SALU_CYCLE_1)
	s_cmp_eq_u32 s5, 0
	s_cbranch_scc1 .LBB133_207
.LBB133_205:
	s_lshl_b32 s0, s6, 3
	s_mul_i32 s2, s6, 12
	s_add_u32 s0, s0, s26
	s_addc_u32 s1, 0, s27
	s_add_u32 s0, s0, 0xc4
	s_addc_u32 s1, s1, 0
	;; [unrolled: 2-line block ×3, first 2 shown]
	.p2align	6
.LBB133_206:                            ; =>This Inner Loop Header: Depth=1
	s_clause 0x1
	s_load_b64 s[6:7], s[2:3], 0x4
	s_load_b32 s10, s[2:3], 0xc
	s_load_b64 s[8:9], s[0:1], 0x0
	s_add_u32 s2, s2, 12
	s_addc_u32 s3, s3, 0
	s_add_u32 s0, s0, 8
	s_addc_u32 s1, s1, 0
	s_add_i32 s5, s5, -1
	s_delay_alu instid0(SALU_CYCLE_1) | instskip(SKIP_2) | instid1(VALU_DEP_1)
	s_cmp_lg_u32 s5, 0
	s_waitcnt lgkmcnt(0)
	v_mul_hi_u32 v5, s7, v4
	v_add_nc_u32_e32 v5, v4, v5
	s_delay_alu instid0(VALU_DEP_1) | instskip(NEXT) | instid1(VALU_DEP_1)
	v_lshrrev_b32_e32 v8, s10, v5
	v_mul_lo_u32 v5, v8, s6
	s_delay_alu instid0(VALU_DEP_1) | instskip(NEXT) | instid1(VALU_DEP_1)
	v_sub_nc_u32_e32 v4, v4, v5
	v_mad_u64_u32 v[5:6], null, v4, s8, v[72:73]
	v_mad_u64_u32 v[6:7], null, v4, s9, v[40:41]
	v_mov_b32_e32 v4, v8
	s_delay_alu instid0(VALU_DEP_3) | instskip(NEXT) | instid1(VALU_DEP_3)
	v_mov_b32_e32 v72, v5
	v_mov_b32_e32 v40, v6
	s_cbranch_scc1 .LBB133_206
.LBB133_207:
	s_and_not1_b32 vcc_lo, exec_lo, s4
	s_cbranch_vccnz .LBB133_210
; %bb.208:
	s_clause 0x1
	s_load_b128 s[0:3], s[26:27], 0x4
	s_load_b64 s[4:5], s[26:27], 0xc4
	s_cmp_lt_u32 s33, 2
	s_waitcnt lgkmcnt(0)
	v_mul_hi_u32 v4, s1, v3
	s_delay_alu instid0(VALU_DEP_1) | instskip(NEXT) | instid1(VALU_DEP_1)
	v_add_nc_u32_e32 v4, v3, v4
	v_lshrrev_b32_e32 v4, s2, v4
	s_delay_alu instid0(VALU_DEP_1) | instskip(NEXT) | instid1(VALU_DEP_1)
	v_mul_lo_u32 v5, v4, s0
	v_sub_nc_u32_e32 v3, v3, v5
	s_delay_alu instid0(VALU_DEP_1)
	v_mul_lo_u32 v72, v3, s4
	v_mul_lo_u32 v40, v3, s5
	s_cbranch_scc1 .LBB133_210
; %bb.209:
	s_clause 0x1
	s_load_b128 s[0:3], s[26:27], 0x10
	s_load_b64 s[4:5], s[26:27], 0xcc
	s_waitcnt lgkmcnt(0)
	v_mul_hi_u32 v3, s1, v4
	s_delay_alu instid0(VALU_DEP_1) | instskip(NEXT) | instid1(VALU_DEP_1)
	v_add_nc_u32_e32 v3, v4, v3
	v_lshrrev_b32_e32 v3, s2, v3
	s_delay_alu instid0(VALU_DEP_1) | instskip(NEXT) | instid1(VALU_DEP_1)
	v_mul_lo_u32 v3, v3, s0
	v_sub_nc_u32_e32 v6, v4, v3
	s_delay_alu instid0(VALU_DEP_1) | instskip(SKIP_1) | instid1(VALU_DEP_2)
	v_mad_u64_u32 v[3:4], null, v6, s4, v[72:73]
	v_mad_u64_u32 v[4:5], null, v6, s5, v[40:41]
	v_mov_b32_e32 v72, v3
	s_delay_alu instid0(VALU_DEP_2)
	v_mov_b32_e32 v40, v4
.LBB133_210:
	v_cmp_ne_u32_e32 vcc_lo, 1, v1
	v_add_nc_u32_e32 v3, 0x100, v42
	s_cbranch_vccnz .LBB133_216
; %bb.211:
	v_dual_mov_b32 v62, 0 :: v_dual_mov_b32 v41, 0
	s_cmp_lg_u32 s33, 0
	s_mov_b32 s4, 0
	s_cbranch_scc0 .LBB133_220
; %bb.212:
	s_min_u32 s5, s48, 15
	v_mov_b32_e32 v62, 0
	s_add_i32 s5, s5, 1
	s_cmp_eq_u32 s48, 2
	s_mov_b32 s6, 0
	s_cbranch_scc1 .LBB133_217
; %bb.213:
	v_dual_mov_b32 v41, 0 :: v_dual_mov_b32 v62, 0
	v_mov_b32_e32 v4, v3
	s_add_u32 s0, s26, 0xc4
	s_addc_u32 s1, s27, 0
	s_and_b32 s6, s5, 28
	s_mov_b32 s7, 0
	s_mov_b64 s[2:3], s[26:27]
.LBB133_214:                            ; =>This Inner Loop Header: Depth=1
	s_clause 0x1
	s_load_b256 s[8:15], s[2:3], 0x4
	s_load_b128 s[36:39], s[2:3], 0x24
	s_load_b256 s[16:23], s[0:1], 0x0
	s_add_u32 s2, s2, 48
	s_addc_u32 s3, s3, 0
	s_add_i32 s7, s7, 4
	s_add_u32 s0, s0, 32
	s_addc_u32 s1, s1, 0
	s_cmp_lg_u32 s6, s7
	s_waitcnt lgkmcnt(0)
	v_mul_hi_u32 v5, s9, v4
	s_delay_alu instid0(VALU_DEP_1) | instskip(NEXT) | instid1(VALU_DEP_1)
	v_add_nc_u32_e32 v5, v4, v5
	v_lshrrev_b32_e32 v5, s10, v5
	s_delay_alu instid0(VALU_DEP_1) | instskip(SKIP_1) | instid1(VALU_DEP_2)
	v_mul_hi_u32 v6, s12, v5
	v_mul_lo_u32 v8, v5, s8
	v_add_nc_u32_e32 v6, v5, v6
	s_delay_alu instid0(VALU_DEP_2) | instskip(NEXT) | instid1(VALU_DEP_2)
	v_sub_nc_u32_e32 v4, v4, v8
	v_lshrrev_b32_e32 v6, s13, v6
	s_delay_alu instid0(VALU_DEP_2) | instskip(SKIP_1) | instid1(VALU_DEP_3)
	v_mul_lo_u32 v8, v4, s16
	v_mul_lo_u32 v10, v4, s17
	v_mul_hi_u32 v7, s15, v6
	s_delay_alu instid0(VALU_DEP_1) | instskip(NEXT) | instid1(VALU_DEP_1)
	v_add_nc_u32_e32 v7, v6, v7
	v_lshrrev_b32_e32 v7, s36, v7
	s_delay_alu instid0(VALU_DEP_1) | instskip(SKIP_1) | instid1(VALU_DEP_2)
	v_mul_hi_u32 v9, s38, v7
	v_mul_lo_u32 v11, v7, s14
	v_add_nc_u32_e32 v4, v7, v9
	v_mul_lo_u32 v9, v6, s11
	s_delay_alu instid0(VALU_DEP_3) | instskip(NEXT) | instid1(VALU_DEP_3)
	v_sub_nc_u32_e32 v6, v6, v11
	v_lshrrev_b32_e32 v4, s39, v4
	s_delay_alu instid0(VALU_DEP_2) | instskip(SKIP_2) | instid1(VALU_DEP_4)
	v_mul_lo_u32 v11, v6, s20
	v_mul_lo_u32 v6, v6, s21
	v_sub_nc_u32_e32 v5, v5, v9
	v_mul_lo_u32 v12, v4, s37
	s_delay_alu instid0(VALU_DEP_2) | instskip(SKIP_1) | instid1(VALU_DEP_3)
	v_mul_lo_u32 v9, v5, s18
	v_mul_lo_u32 v5, v5, s19
	v_sub_nc_u32_e32 v7, v7, v12
	s_delay_alu instid0(VALU_DEP_3) | instskip(NEXT) | instid1(VALU_DEP_2)
	v_add3_u32 v8, v8, v62, v9
	v_mul_lo_u32 v12, v7, s22
	v_mul_lo_u32 v7, v7, s23
	v_add3_u32 v5, v10, v41, v5
	s_delay_alu instid0(VALU_DEP_3) | instskip(NEXT) | instid1(VALU_DEP_2)
	v_add3_u32 v62, v11, v8, v12
	v_add3_u32 v41, v6, v5, v7
	s_cbranch_scc1 .LBB133_214
; %bb.215:
	s_and_b32 s5, s5, 3
	s_delay_alu instid0(SALU_CYCLE_1)
	s_cmp_eq_u32 s5, 0
	s_cbranch_scc0 .LBB133_218
	s_branch .LBB133_220
.LBB133_216:
	s_mov_b32 s4, -1
                                        ; implicit-def: $vgpr62
                                        ; implicit-def: $vgpr41
	s_branch .LBB133_220
.LBB133_217:
	v_dual_mov_b32 v4, v3 :: v_dual_mov_b32 v41, 0
	s_and_b32 s5, s5, 3
	s_delay_alu instid0(SALU_CYCLE_1)
	s_cmp_eq_u32 s5, 0
	s_cbranch_scc1 .LBB133_220
.LBB133_218:
	s_lshl_b32 s0, s6, 3
	s_mul_i32 s2, s6, 12
	s_add_u32 s0, s0, s26
	s_addc_u32 s1, 0, s27
	s_add_u32 s0, s0, 0xc4
	s_addc_u32 s1, s1, 0
	;; [unrolled: 2-line block ×3, first 2 shown]
	.p2align	6
.LBB133_219:                            ; =>This Inner Loop Header: Depth=1
	s_clause 0x1
	s_load_b64 s[6:7], s[2:3], 0x4
	s_load_b32 s10, s[2:3], 0xc
	s_load_b64 s[8:9], s[0:1], 0x0
	s_add_u32 s2, s2, 12
	s_addc_u32 s3, s3, 0
	s_add_u32 s0, s0, 8
	s_addc_u32 s1, s1, 0
	s_add_i32 s5, s5, -1
	s_delay_alu instid0(SALU_CYCLE_1) | instskip(SKIP_2) | instid1(VALU_DEP_1)
	s_cmp_lg_u32 s5, 0
	s_waitcnt lgkmcnt(0)
	v_mul_hi_u32 v5, s7, v4
	v_add_nc_u32_e32 v5, v4, v5
	s_delay_alu instid0(VALU_DEP_1) | instskip(NEXT) | instid1(VALU_DEP_1)
	v_lshrrev_b32_e32 v8, s10, v5
	v_mul_lo_u32 v5, v8, s6
	s_delay_alu instid0(VALU_DEP_1) | instskip(NEXT) | instid1(VALU_DEP_1)
	v_sub_nc_u32_e32 v4, v4, v5
	v_mad_u64_u32 v[5:6], null, v4, s8, v[62:63]
	v_mad_u64_u32 v[6:7], null, v4, s9, v[41:42]
	v_mov_b32_e32 v4, v8
	s_delay_alu instid0(VALU_DEP_2)
	v_dual_mov_b32 v62, v5 :: v_dual_mov_b32 v41, v6
	s_cbranch_scc1 .LBB133_219
.LBB133_220:
	s_and_not1_b32 vcc_lo, exec_lo, s4
	s_cbranch_vccnz .LBB133_223
; %bb.221:
	s_clause 0x1
	s_load_b128 s[0:3], s[26:27], 0x4
	s_load_b64 s[4:5], s[26:27], 0xc4
	s_cmp_lt_u32 s33, 2
	s_waitcnt lgkmcnt(0)
	v_mul_hi_u32 v4, s1, v3
	s_delay_alu instid0(VALU_DEP_1) | instskip(NEXT) | instid1(VALU_DEP_1)
	v_add_nc_u32_e32 v4, v3, v4
	v_lshrrev_b32_e32 v4, s2, v4
	s_delay_alu instid0(VALU_DEP_1) | instskip(NEXT) | instid1(VALU_DEP_1)
	v_mul_lo_u32 v5, v4, s0
	v_sub_nc_u32_e32 v3, v3, v5
	s_delay_alu instid0(VALU_DEP_1)
	v_mul_lo_u32 v62, v3, s4
	v_mul_lo_u32 v41, v3, s5
	s_cbranch_scc1 .LBB133_223
; %bb.222:
	s_clause 0x1
	s_load_b128 s[0:3], s[26:27], 0x10
	s_load_b64 s[4:5], s[26:27], 0xcc
	s_waitcnt lgkmcnt(0)
	v_mul_hi_u32 v3, s1, v4
	s_delay_alu instid0(VALU_DEP_1) | instskip(NEXT) | instid1(VALU_DEP_1)
	v_add_nc_u32_e32 v3, v4, v3
	v_lshrrev_b32_e32 v3, s2, v3
	s_delay_alu instid0(VALU_DEP_1) | instskip(NEXT) | instid1(VALU_DEP_1)
	v_mul_lo_u32 v3, v3, s0
	v_sub_nc_u32_e32 v6, v4, v3
	s_delay_alu instid0(VALU_DEP_1) | instskip(SKIP_1) | instid1(VALU_DEP_1)
	v_mad_u64_u32 v[3:4], null, v6, s4, v[62:63]
	v_mad_u64_u32 v[4:5], null, v6, s5, v[41:42]
	v_dual_mov_b32 v62, v3 :: v_dual_mov_b32 v41, v4
.LBB133_223:
	v_cmp_ne_u32_e32 vcc_lo, 1, v1
	s_cbranch_vccnz .LBB133_229
; %bb.224:
	v_dual_mov_b32 v61, 0 :: v_dual_mov_b32 v60, 0
	s_cmp_lg_u32 s33, 0
	s_mov_b32 s4, 0
	s_cbranch_scc0 .LBB133_233
; %bb.225:
	s_min_u32 s5, s48, 15
	v_mov_b32_e32 v61, 0
	s_add_i32 s5, s5, 1
	s_cmp_eq_u32 s48, 2
	s_mov_b32 s6, 0
	s_cbranch_scc1 .LBB133_230
; %bb.226:
	v_dual_mov_b32 v60, 0 :: v_dual_mov_b32 v61, 0
	v_mov_b32_e32 v1, v0
	s_add_u32 s0, s26, 0xc4
	s_addc_u32 s1, s27, 0
	s_and_b32 s6, s5, 28
	s_mov_b32 s7, 0
	s_mov_b64 s[2:3], s[26:27]
.LBB133_227:                            ; =>This Inner Loop Header: Depth=1
	s_clause 0x1
	s_load_b256 s[8:15], s[2:3], 0x4
	s_load_b128 s[36:39], s[2:3], 0x24
	s_load_b256 s[16:23], s[0:1], 0x0
	s_add_u32 s2, s2, 48
	s_addc_u32 s3, s3, 0
	s_add_i32 s7, s7, 4
	s_add_u32 s0, s0, 32
	s_addc_u32 s1, s1, 0
	s_cmp_lg_u32 s6, s7
	s_waitcnt lgkmcnt(0)
	v_mul_hi_u32 v3, s9, v1
	s_delay_alu instid0(VALU_DEP_1) | instskip(NEXT) | instid1(VALU_DEP_1)
	v_add_nc_u32_e32 v3, v1, v3
	v_lshrrev_b32_e32 v3, s10, v3
	s_delay_alu instid0(VALU_DEP_1) | instskip(SKIP_1) | instid1(VALU_DEP_2)
	v_mul_hi_u32 v4, s12, v3
	v_mul_lo_u32 v6, v3, s8
	v_add_nc_u32_e32 v4, v3, v4
	s_delay_alu instid0(VALU_DEP_2) | instskip(NEXT) | instid1(VALU_DEP_2)
	v_sub_nc_u32_e32 v1, v1, v6
	v_lshrrev_b32_e32 v4, s13, v4
	s_delay_alu instid0(VALU_DEP_2) | instskip(SKIP_1) | instid1(VALU_DEP_3)
	v_mul_lo_u32 v6, v1, s16
	v_mul_lo_u32 v8, v1, s17
	v_mul_hi_u32 v5, s15, v4
	s_delay_alu instid0(VALU_DEP_1) | instskip(NEXT) | instid1(VALU_DEP_1)
	v_add_nc_u32_e32 v5, v4, v5
	v_lshrrev_b32_e32 v5, s36, v5
	s_delay_alu instid0(VALU_DEP_1) | instskip(SKIP_1) | instid1(VALU_DEP_2)
	v_mul_hi_u32 v7, s38, v5
	v_mul_lo_u32 v9, v5, s14
	v_add_nc_u32_e32 v1, v5, v7
	v_mul_lo_u32 v7, v4, s11
	s_delay_alu instid0(VALU_DEP_3) | instskip(NEXT) | instid1(VALU_DEP_3)
	v_sub_nc_u32_e32 v4, v4, v9
	v_lshrrev_b32_e32 v1, s39, v1
	s_delay_alu instid0(VALU_DEP_2) | instskip(SKIP_2) | instid1(VALU_DEP_4)
	v_mul_lo_u32 v9, v4, s20
	v_mul_lo_u32 v4, v4, s21
	v_sub_nc_u32_e32 v3, v3, v7
	v_mul_lo_u32 v10, v1, s37
	s_delay_alu instid0(VALU_DEP_2) | instskip(SKIP_1) | instid1(VALU_DEP_3)
	v_mul_lo_u32 v7, v3, s18
	v_mul_lo_u32 v3, v3, s19
	v_sub_nc_u32_e32 v5, v5, v10
	s_delay_alu instid0(VALU_DEP_3) | instskip(NEXT) | instid1(VALU_DEP_2)
	v_add3_u32 v6, v6, v61, v7
	v_mul_lo_u32 v10, v5, s22
	v_mul_lo_u32 v5, v5, s23
	v_add3_u32 v3, v8, v60, v3
	s_delay_alu instid0(VALU_DEP_3) | instskip(NEXT) | instid1(VALU_DEP_2)
	v_add3_u32 v61, v9, v6, v10
	v_add3_u32 v60, v4, v3, v5
	s_cbranch_scc1 .LBB133_227
; %bb.228:
	s_and_b32 s5, s5, 3
	s_delay_alu instid0(SALU_CYCLE_1)
	s_cmp_eq_u32 s5, 0
	s_cbranch_scc0 .LBB133_231
	s_branch .LBB133_233
.LBB133_229:
	s_mov_b32 s4, -1
                                        ; implicit-def: $vgpr61
                                        ; implicit-def: $vgpr60
	s_branch .LBB133_233
.LBB133_230:
	v_dual_mov_b32 v1, v0 :: v_dual_mov_b32 v60, 0
	s_and_b32 s5, s5, 3
	s_delay_alu instid0(SALU_CYCLE_1)
	s_cmp_eq_u32 s5, 0
	s_cbranch_scc1 .LBB133_233
.LBB133_231:
	s_lshl_b32 s0, s6, 3
	s_mul_i32 s2, s6, 12
	s_add_u32 s0, s0, s26
	s_addc_u32 s1, 0, s27
	s_add_u32 s0, s0, 0xc4
	s_addc_u32 s1, s1, 0
	s_add_u32 s2, s26, s2
	s_addc_u32 s3, 0, s27
	.p2align	6
.LBB133_232:                            ; =>This Inner Loop Header: Depth=1
	s_clause 0x1
	s_load_b64 s[6:7], s[2:3], 0x4
	s_load_b32 s10, s[2:3], 0xc
	s_load_b64 s[8:9], s[0:1], 0x0
	s_add_u32 s2, s2, 12
	s_addc_u32 s3, s3, 0
	s_add_u32 s0, s0, 8
	s_addc_u32 s1, s1, 0
	s_add_i32 s5, s5, -1
	s_delay_alu instid0(SALU_CYCLE_1) | instskip(SKIP_2) | instid1(VALU_DEP_1)
	s_cmp_lg_u32 s5, 0
	s_waitcnt lgkmcnt(0)
	v_mul_hi_u32 v3, s7, v1
	v_add_nc_u32_e32 v3, v1, v3
	s_delay_alu instid0(VALU_DEP_1) | instskip(NEXT) | instid1(VALU_DEP_1)
	v_lshrrev_b32_e32 v6, s10, v3
	v_mul_lo_u32 v3, v6, s6
	s_delay_alu instid0(VALU_DEP_1) | instskip(NEXT) | instid1(VALU_DEP_1)
	v_sub_nc_u32_e32 v1, v1, v3
	v_mad_u64_u32 v[3:4], null, v1, s8, v[61:62]
	v_mad_u64_u32 v[4:5], null, v1, s9, v[60:61]
	v_mov_b32_e32 v1, v6
	s_delay_alu instid0(VALU_DEP_2)
	v_dual_mov_b32 v61, v3 :: v_dual_mov_b32 v60, v4
	s_cbranch_scc1 .LBB133_232
.LBB133_233:
	s_and_not1_b32 vcc_lo, exec_lo, s4
	s_cbranch_vccnz .LBB133_236
; %bb.234:
	s_clause 0x1
	s_load_b128 s[0:3], s[26:27], 0x4
	s_load_b64 s[4:5], s[26:27], 0xc4
	s_cmp_lt_u32 s33, 2
	s_waitcnt lgkmcnt(0)
	v_mul_hi_u32 v1, s1, v0
	s_delay_alu instid0(VALU_DEP_1) | instskip(NEXT) | instid1(VALU_DEP_1)
	v_add_nc_u32_e32 v1, v0, v1
	v_lshrrev_b32_e32 v1, s2, v1
	s_delay_alu instid0(VALU_DEP_1) | instskip(NEXT) | instid1(VALU_DEP_1)
	v_mul_lo_u32 v3, v1, s0
	v_sub_nc_u32_e32 v0, v0, v3
	s_delay_alu instid0(VALU_DEP_1)
	v_mul_lo_u32 v61, v0, s4
	v_mul_lo_u32 v60, v0, s5
	s_cbranch_scc1 .LBB133_236
; %bb.235:
	s_clause 0x1
	s_load_b128 s[0:3], s[26:27], 0x10
	s_load_b64 s[4:5], s[26:27], 0xcc
	s_waitcnt lgkmcnt(0)
	v_mul_hi_u32 v0, s1, v1
	s_delay_alu instid0(VALU_DEP_1) | instskip(NEXT) | instid1(VALU_DEP_1)
	v_add_nc_u32_e32 v0, v1, v0
	v_lshrrev_b32_e32 v0, s2, v0
	s_delay_alu instid0(VALU_DEP_1) | instskip(NEXT) | instid1(VALU_DEP_1)
	v_mul_lo_u32 v0, v0, s0
	v_sub_nc_u32_e32 v5, v1, v0
	s_delay_alu instid0(VALU_DEP_1) | instskip(SKIP_1) | instid1(VALU_DEP_1)
	v_mad_u64_u32 v[0:1], null, v5, s4, v[61:62]
	v_mad_u64_u32 v[3:4], null, v5, s5, v[60:61]
	v_dual_mov_b32 v61, v0 :: v_dual_mov_b32 v60, v3
.LBB133_236:
	s_clause 0x1
	s_load_b32 s33, s[24:25], 0x160
	s_load_b128 s[24:27], s[26:27], 0x148
	s_getpc_b64 s[34:35]
	s_add_u32 s34, s34, _ZN2at6native6invokeIZZZNS0_17expm1_kernel_cudaERNS_18TensorIteratorBaseEENKUlvE_clEvENKUlvE1_clEvEUlN3c107complexIdEEE_j15function_traitsIS9_EEENT1_11result_typeERKT_PrKPcPKT0_PKNS6_10ScalarTypeEi@rel32@lo+4
	s_addc_u32 s35, s35, _ZN2at6native6invokeIZZZNS0_17expm1_kernel_cudaERNS_18TensorIteratorBaseEENKUlvE_clEvENKUlvE1_clEvEUlN3c107complexIdEEE_j15function_traitsIS9_EEENT1_11result_typeERKT_PrKPcPKT0_PKNS6_10ScalarTypeEi@rel32@hi+12
	s_waitcnt lgkmcnt(0)
	s_lshr_b32 s36, s33, 16
	v_dual_mov_b32 v0, s26 :: v_dual_mov_b32 v1, s27
	v_mov_b32_e32 v3, s36
	s_swappc_b64 s[30:31], s[34:35]
	s_delay_alu instid0(VALU_DEP_2) | instskip(NEXT) | instid1(VALU_DEP_2)
	v_dual_mov_b32 v56, v0 :: v_dual_mov_b32 v57, v1
	v_dual_mov_b32 v58, v2 :: v_dual_mov_b32 v59, v3
	v_dual_mov_b32 v0, s26 :: v_dual_mov_b32 v1, s27
	v_dual_mov_b32 v2, v40 :: v_dual_mov_b32 v3, s36
	s_swappc_b64 s[30:31], s[34:35]
	s_delay_alu instid0(VALU_DEP_2) | instskip(NEXT) | instid1(VALU_DEP_2)
	v_dual_mov_b32 v44, v0 :: v_dual_mov_b32 v45, v1
	v_dual_mov_b32 v46, v2 :: v_dual_mov_b32 v47, v3
	v_dual_mov_b32 v0, s26 :: v_dual_mov_b32 v1, s27
	v_dual_mov_b32 v2, v41 :: v_dual_mov_b32 v3, s36
	;; [unrolled: 6-line block ×3, first 2 shown]
	s_swappc_b64 s[30:31], s[34:35]
	s_lshr_b32 s0, s33, 8
	s_mov_b32 s3, 0
	v_and_b32_e64 v6, 0xff, s0
	v_add_co_u32 v4, s0, s24, v73
	s_delay_alu instid0(VALU_DEP_1) | instskip(NEXT) | instid1(VALU_DEP_3)
	v_add_co_ci_u32_e64 v5, null, s25, 0, s0
	v_cmp_gt_i16_e32 vcc_lo, 11, v6
	s_mov_b32 s0, -1
	s_mov_b32 s1, s28
	s_cbranch_vccnz .LBB133_314
; %bb.237:
	v_cmp_lt_i16_e32 vcc_lo, 25, v6
	s_mov_b32 s1, -1
	s_mov_b32 s2, 0
	s_mov_b32 s0, 0
	s_cbranch_vccz .LBB133_270
; %bb.238:
	v_cmp_lt_i16_e32 vcc_lo, 28, v6
	s_cbranch_vccz .LBB133_253
; %bb.239:
	v_cmp_lt_i16_e32 vcc_lo, 43, v6
	;; [unrolled: 3-line block ×3, first 2 shown]
	s_cbranch_vccz .LBB133_243
; %bb.241:
	v_cmp_eq_u16_e32 vcc_lo, 46, v6
	s_mov_b32 s0, -1
	s_mov_b32 s1, 0
	s_cbranch_vccz .LBB133_243
; %bb.242:
	v_cvt_f32_f64_e32 v7, v[58:59]
	v_cvt_f32_f64_e32 v8, v[56:57]
	s_mov_b32 s0, 0
	s_mov_b32 s3, -1
	s_delay_alu instid0(VALU_DEP_2) | instskip(NEXT) | instid1(VALU_DEP_2)
	v_bfe_u32 v9, v7, 16, 1
	v_bfe_u32 v10, v8, 16, 1
	v_cmp_o_f32_e32 vcc_lo, v7, v7
	s_delay_alu instid0(VALU_DEP_3) | instskip(NEXT) | instid1(VALU_DEP_3)
	v_add3_u32 v9, v7, v9, 0x7fff
	v_add3_u32 v10, v8, v10, 0x7fff
	s_delay_alu instid0(VALU_DEP_2) | instskip(NEXT) | instid1(VALU_DEP_2)
	v_and_b32_e32 v9, 0xffff0000, v9
	v_lshrrev_b32_e32 v10, 16, v10
	s_delay_alu instid0(VALU_DEP_2) | instskip(SKIP_1) | instid1(VALU_DEP_3)
	v_cndmask_b32_e32 v7, 0x7fc00000, v9, vcc_lo
	v_cmp_o_f32_e32 vcc_lo, v8, v8
	v_cndmask_b32_e32 v8, 0x7fc0, v10, vcc_lo
	s_delay_alu instid0(VALU_DEP_1)
	v_or_b32_e32 v7, v7, v8
	global_store_b32 v[4:5], v7, off
.LBB133_243:
	s_and_b32 vcc_lo, exec_lo, s1
	s_cbranch_vccz .LBB133_248
; %bb.244:
	v_cmp_eq_u16_e32 vcc_lo, 44, v6
	s_mov_b32 s0, -1
	s_cbranch_vccz .LBB133_248
; %bb.245:
	v_cvt_f32_f64_e32 v7, v[56:57]
	v_mov_b32_e32 v8, 0xff
	s_mov_b32 s1, exec_lo
	s_delay_alu instid0(VALU_DEP_2) | instskip(NEXT) | instid1(VALU_DEP_1)
	v_bfe_u32 v9, v7, 23, 8
	v_cmpx_ne_u32_e32 0xff, v9
; %bb.246:
	v_and_b32_e32 v8, 0x400000, v7
	v_and_or_b32 v9, 0x3fffff, v7, v9
	v_lshrrev_b32_e32 v7, 23, v7
	s_delay_alu instid0(VALU_DEP_3) | instskip(NEXT) | instid1(VALU_DEP_3)
	v_cmp_ne_u32_e32 vcc_lo, 0, v8
	v_cmp_ne_u32_e64 s0, 0, v9
	s_delay_alu instid0(VALU_DEP_1) | instskip(NEXT) | instid1(SALU_CYCLE_1)
	s_and_b32 s0, vcc_lo, s0
	v_cndmask_b32_e64 v8, 0, 1, s0
	s_delay_alu instid0(VALU_DEP_1)
	v_add_nc_u32_e32 v8, v7, v8
; %bb.247:
	s_or_b32 exec_lo, exec_lo, s1
	s_mov_b32 s0, 0
	s_mov_b32 s3, -1
	global_store_b8 v[4:5], v8, off
.LBB133_248:
	s_mov_b32 s1, 0
.LBB133_249:
	s_delay_alu instid0(SALU_CYCLE_1)
	s_and_b32 vcc_lo, exec_lo, s1
	s_cbranch_vccz .LBB133_252
; %bb.250:
	v_cmp_eq_u16_e32 vcc_lo, 29, v6
	s_mov_b32 s0, -1
	s_cbranch_vccz .LBB133_252
; %bb.251:
	v_trunc_f64_e32 v[7:8], v[56:57]
	s_mov_b32 s0, 0
	s_mov_b32 s3, -1
	s_delay_alu instid0(VALU_DEP_1) | instskip(NEXT) | instid1(VALU_DEP_1)
	v_ldexp_f64 v[9:10], v[7:8], 0xffffffe0
	v_floor_f64_e32 v[9:10], v[9:10]
	s_delay_alu instid0(VALU_DEP_1) | instskip(SKIP_1) | instid1(VALU_DEP_2)
	v_fma_f64 v[7:8], 0xc1f00000, v[9:10], v[7:8]
	v_cvt_u32_f64_e32 v9, v[9:10]
	v_cvt_u32_f64_e32 v8, v[7:8]
	global_store_b64 v[4:5], v[8:9], off
.LBB133_252:
	s_mov_b32 s1, 0
.LBB133_253:
	s_delay_alu instid0(SALU_CYCLE_1)
	s_and_b32 vcc_lo, exec_lo, s1
	s_cbranch_vccz .LBB133_269
; %bb.254:
	v_cmp_gt_i16_e32 vcc_lo, 27, v6
	s_mov_b32 s1, -1
	s_cbranch_vccnz .LBB133_260
; %bb.255:
	v_cmp_lt_i16_e32 vcc_lo, 27, v6
	s_cbranch_vccz .LBB133_257
; %bb.256:
	v_cvt_u32_f64_e32 v7, v[56:57]
	s_mov_b32 s1, 0
	global_store_b32 v[4:5], v7, off
.LBB133_257:
	s_and_not1_b32 vcc_lo, exec_lo, s1
	s_cbranch_vccnz .LBB133_259
; %bb.258:
	v_cvt_u32_f64_e32 v7, v[56:57]
	global_store_b16 v[4:5], v7, off
.LBB133_259:
	s_mov_b32 s1, 0
.LBB133_260:
	s_delay_alu instid0(SALU_CYCLE_1)
	s_and_not1_b32 vcc_lo, exec_lo, s1
	s_cbranch_vccnz .LBB133_268
; %bb.261:
	v_cvt_f32_f64_e32 v7, v[56:57]
	v_mov_b32_e32 v9, 0x80
	s_mov_b32 s1, exec_lo
	s_delay_alu instid0(VALU_DEP_2) | instskip(NEXT) | instid1(VALU_DEP_1)
	v_and_b32_e32 v8, 0x7fffffff, v7
	v_cmpx_gt_u32_e32 0x43800000, v8
	s_cbranch_execz .LBB133_267
; %bb.262:
	v_cmp_lt_u32_e32 vcc_lo, 0x3bffffff, v8
	s_mov_b32 s3, 0
                                        ; implicit-def: $vgpr8
	s_and_saveexec_b32 s4, vcc_lo
	s_delay_alu instid0(SALU_CYCLE_1)
	s_xor_b32 s4, exec_lo, s4
	s_cbranch_execz .LBB133_768
; %bb.263:
	v_bfe_u32 v8, v7, 20, 1
	s_mov_b32 s3, exec_lo
	s_delay_alu instid0(VALU_DEP_1) | instskip(NEXT) | instid1(VALU_DEP_1)
	v_add3_u32 v8, v7, v8, 0x487ffff
	v_lshrrev_b32_e32 v8, 20, v8
	s_or_saveexec_b32 s4, s4
                                        ; implicit-def: $sgpr5
	s_delay_alu instid0(SALU_CYCLE_1)
	s_xor_b32 exec_lo, exec_lo, s4
	s_cbranch_execnz .LBB133_769
.LBB133_264:
	s_or_b32 exec_lo, exec_lo, s4
	v_mov_b32_e32 v9, s5
	s_and_saveexec_b32 s4, s3
.LBB133_265:
	v_lshrrev_b32_e32 v7, 24, v7
	s_delay_alu instid0(VALU_DEP_1)
	v_and_or_b32 v9, 0x80, v7, v8
.LBB133_266:
	s_or_b32 exec_lo, exec_lo, s4
.LBB133_267:
	s_delay_alu instid0(SALU_CYCLE_1)
	s_or_b32 exec_lo, exec_lo, s1
	global_store_b8 v[4:5], v9, off
.LBB133_268:
	s_mov_b32 s3, -1
.LBB133_269:
	s_mov_b32 s1, 0
.LBB133_270:
	s_delay_alu instid0(SALU_CYCLE_1)
	s_and_b32 vcc_lo, exec_lo, s1
	s_cbranch_vccz .LBB133_310
; %bb.271:
	v_cmp_lt_i16_e32 vcc_lo, 22, v6
	s_mov_b32 s1, -1
	s_cbranch_vccz .LBB133_303
; %bb.272:
	v_cmp_gt_i16_e32 vcc_lo, 24, v6
	s_cbranch_vccnz .LBB133_292
; %bb.273:
	v_cmp_lt_i16_e32 vcc_lo, 24, v6
	s_cbranch_vccz .LBB133_281
; %bb.274:
	v_cvt_f32_f64_e32 v7, v[56:57]
	v_mov_b32_e32 v9, 0x80
	s_mov_b32 s1, exec_lo
	s_delay_alu instid0(VALU_DEP_2) | instskip(NEXT) | instid1(VALU_DEP_1)
	v_and_b32_e32 v8, 0x7fffffff, v7
	v_cmpx_gt_u32_e32 0x47800000, v8
	s_cbranch_execz .LBB133_280
; %bb.275:
	v_cmp_lt_u32_e32 vcc_lo, 0x37ffffff, v8
                                        ; implicit-def: $vgpr8
	s_and_saveexec_b32 s3, vcc_lo
	s_delay_alu instid0(SALU_CYCLE_1)
	s_xor_b32 s3, exec_lo, s3
	s_cbranch_execz .LBB133_775
; %bb.276:
	v_bfe_u32 v8, v7, 21, 1
	s_mov_b32 s2, exec_lo
	s_delay_alu instid0(VALU_DEP_1) | instskip(NEXT) | instid1(VALU_DEP_1)
	v_add3_u32 v8, v7, v8, 0x88fffff
	v_lshrrev_b32_e32 v8, 21, v8
	s_or_saveexec_b32 s3, s3
                                        ; implicit-def: $sgpr4
	s_delay_alu instid0(SALU_CYCLE_1)
	s_xor_b32 exec_lo, exec_lo, s3
	s_cbranch_execnz .LBB133_776
.LBB133_277:
	s_or_b32 exec_lo, exec_lo, s3
	v_mov_b32_e32 v9, s4
	s_and_saveexec_b32 s3, s2
.LBB133_278:
	v_lshrrev_b32_e32 v7, 24, v7
	s_delay_alu instid0(VALU_DEP_1)
	v_and_or_b32 v9, 0x80, v7, v8
.LBB133_279:
	s_or_b32 exec_lo, exec_lo, s3
.LBB133_280:
	s_delay_alu instid0(SALU_CYCLE_1)
	s_or_b32 exec_lo, exec_lo, s1
	s_mov_b32 s1, 0
	global_store_b8 v[4:5], v9, off
.LBB133_281:
	s_and_b32 vcc_lo, exec_lo, s1
	s_cbranch_vccz .LBB133_291
; %bb.282:
	v_cvt_f32_f64_e32 v7, v[56:57]
	s_mov_b32 s1, exec_lo
                                        ; implicit-def: $vgpr8
	s_delay_alu instid0(VALU_DEP_1) | instskip(NEXT) | instid1(VALU_DEP_1)
	v_and_b32_e32 v9, 0x7fffffff, v7
	v_cmpx_gt_u32_e32 0x43f00000, v9
	s_xor_b32 s1, exec_lo, s1
	s_cbranch_execz .LBB133_288
; %bb.283:
	s_mov_b32 s2, exec_lo
                                        ; implicit-def: $vgpr8
	v_cmpx_lt_u32_e32 0x3c7fffff, v9
	s_xor_b32 s2, exec_lo, s2
; %bb.284:
	v_bfe_u32 v8, v7, 20, 1
	s_delay_alu instid0(VALU_DEP_1) | instskip(NEXT) | instid1(VALU_DEP_1)
	v_add3_u32 v8, v7, v8, 0x407ffff
	v_and_b32_e32 v9, 0xff00000, v8
	v_lshrrev_b32_e32 v8, 20, v8
	s_delay_alu instid0(VALU_DEP_2) | instskip(NEXT) | instid1(VALU_DEP_2)
	v_cmp_ne_u32_e32 vcc_lo, 0x7f00000, v9
	v_cndmask_b32_e32 v8, 0x7e, v8, vcc_lo
; %bb.285:
	s_and_not1_saveexec_b32 s2, s2
; %bb.286:
	v_add_f32_e64 v8, 0x46800000, |v7|
; %bb.287:
	s_or_b32 exec_lo, exec_lo, s2
                                        ; implicit-def: $vgpr9
.LBB133_288:
	s_and_not1_saveexec_b32 s1, s1
; %bb.289:
	v_mov_b32_e32 v8, 0x7f
	v_cmp_lt_u32_e32 vcc_lo, 0x7f800000, v9
	s_delay_alu instid0(VALU_DEP_2)
	v_cndmask_b32_e32 v8, 0x7e, v8, vcc_lo
; %bb.290:
	s_or_b32 exec_lo, exec_lo, s1
	v_lshrrev_b32_e32 v7, 24, v7
	s_delay_alu instid0(VALU_DEP_1)
	v_and_or_b32 v7, 0x80, v7, v8
	global_store_b8 v[4:5], v7, off
.LBB133_291:
	s_mov_b32 s1, 0
.LBB133_292:
	s_delay_alu instid0(SALU_CYCLE_1)
	s_and_not1_b32 vcc_lo, exec_lo, s1
	s_cbranch_vccnz .LBB133_302
; %bb.293:
	v_cvt_f32_f64_e32 v7, v[56:57]
	s_mov_b32 s1, exec_lo
                                        ; implicit-def: $vgpr8
	s_delay_alu instid0(VALU_DEP_1) | instskip(NEXT) | instid1(VALU_DEP_1)
	v_and_b32_e32 v9, 0x7fffffff, v7
	v_cmpx_gt_u32_e32 0x47800000, v9
	s_xor_b32 s1, exec_lo, s1
	s_cbranch_execz .LBB133_299
; %bb.294:
	s_mov_b32 s2, exec_lo
                                        ; implicit-def: $vgpr8
	v_cmpx_lt_u32_e32 0x387fffff, v9
	s_xor_b32 s2, exec_lo, s2
; %bb.295:
	v_bfe_u32 v8, v7, 21, 1
	s_delay_alu instid0(VALU_DEP_1) | instskip(NEXT) | instid1(VALU_DEP_1)
	v_add3_u32 v8, v7, v8, 0x80fffff
	v_lshrrev_b32_e32 v8, 21, v8
; %bb.296:
	s_and_not1_saveexec_b32 s2, s2
; %bb.297:
	v_add_f32_e64 v8, 0x43000000, |v7|
; %bb.298:
	s_or_b32 exec_lo, exec_lo, s2
                                        ; implicit-def: $vgpr9
.LBB133_299:
	s_and_not1_saveexec_b32 s1, s1
; %bb.300:
	v_mov_b32_e32 v8, 0x7f
	v_cmp_lt_u32_e32 vcc_lo, 0x7f800000, v9
	s_delay_alu instid0(VALU_DEP_2)
	v_cndmask_b32_e32 v8, 0x7c, v8, vcc_lo
; %bb.301:
	s_or_b32 exec_lo, exec_lo, s1
	v_lshrrev_b32_e32 v7, 24, v7
	s_delay_alu instid0(VALU_DEP_1)
	v_and_or_b32 v7, 0x80, v7, v8
	global_store_b8 v[4:5], v7, off
.LBB133_302:
	s_mov_b32 s1, 0
	s_mov_b32 s3, -1
.LBB133_303:
	s_and_not1_b32 vcc_lo, exec_lo, s1
	s_mov_b32 s2, 0
	s_cbranch_vccnz .LBB133_310
; %bb.304:
	v_cmp_lt_i16_e32 vcc_lo, 14, v6
	s_mov_b32 s1, -1
	s_cbranch_vccz .LBB133_308
; %bb.305:
	v_cmp_eq_u16_e32 vcc_lo, 15, v6
	s_mov_b32 s0, -1
	s_cbranch_vccz .LBB133_307
; %bb.306:
	v_cvt_f32_f64_e32 v7, v[56:57]
	s_mov_b32 s0, 0
	s_mov_b32 s3, -1
	s_delay_alu instid0(VALU_DEP_1) | instskip(SKIP_1) | instid1(VALU_DEP_2)
	v_bfe_u32 v8, v7, 16, 1
	v_cmp_o_f32_e32 vcc_lo, v7, v7
	v_add3_u32 v8, v7, v8, 0x7fff
	s_delay_alu instid0(VALU_DEP_1) | instskip(NEXT) | instid1(VALU_DEP_1)
	v_lshrrev_b32_e32 v8, 16, v8
	v_cndmask_b32_e32 v7, 0x7fc0, v8, vcc_lo
	global_store_b16 v[4:5], v7, off
.LBB133_307:
	s_mov_b32 s1, 0
.LBB133_308:
	s_delay_alu instid0(SALU_CYCLE_1)
	s_and_b32 vcc_lo, exec_lo, s1
	s_cbranch_vccz .LBB133_310
; %bb.309:
	v_cmp_ne_u16_e64 s0, 11, v6
	s_mov_b32 s2, -1
.LBB133_310:
	s_delay_alu instid0(VALU_DEP_1)
	s_and_b32 vcc_lo, exec_lo, s0
	s_mov_b32 s1, s28
	s_cbranch_vccnz .LBB133_770
; %bb.311:
	s_and_not1_b32 vcc_lo, exec_lo, s2
	s_cbranch_vccnz .LBB133_313
.LBB133_312:
	v_cmp_neq_f64_e32 vcc_lo, 0, v[56:57]
	v_cmp_neq_f64_e64 s0, 0, v[58:59]
	s_mov_b32 s3, -1
	s_delay_alu instid0(VALU_DEP_1) | instskip(NEXT) | instid1(SALU_CYCLE_1)
	s_or_b32 s0, vcc_lo, s0
	v_cndmask_b32_e64 v7, 0, 1, s0
	global_store_b8 v[4:5], v7, off
.LBB133_313:
	s_mov_b32 s0, 0
.LBB133_314:
	s_delay_alu instid0(SALU_CYCLE_1)
	s_and_b32 vcc_lo, exec_lo, s0
	s_cbranch_vccz .LBB133_353
; %bb.315:
	v_cmp_gt_i16_e32 vcc_lo, 5, v6
	s_mov_b32 s0, -1
	s_cbranch_vccnz .LBB133_336
; %bb.316:
	v_cmp_gt_i16_e32 vcc_lo, 8, v6
	s_cbranch_vccnz .LBB133_326
; %bb.317:
	v_cmp_gt_i16_e32 vcc_lo, 9, v6
	s_cbranch_vccnz .LBB133_323
; %bb.318:
	v_cmp_lt_i16_e32 vcc_lo, 9, v6
	s_cbranch_vccz .LBB133_320
; %bb.319:
	s_mov_b32 s0, 0
	global_store_b128 v[4:5], v[56:59], off
.LBB133_320:
	s_and_not1_b32 vcc_lo, exec_lo, s0
	s_cbranch_vccnz .LBB133_322
; %bb.321:
	v_cvt_f32_f64_e32 v7, v[56:57]
	v_cvt_f32_f64_e32 v8, v[58:59]
	global_store_b64 v[4:5], v[7:8], off
.LBB133_322:
	s_mov_b32 s0, 0
.LBB133_323:
	s_delay_alu instid0(SALU_CYCLE_1)
	s_and_not1_b32 vcc_lo, exec_lo, s0
	s_cbranch_vccnz .LBB133_325
; %bb.324:
	v_cvt_f32_f64_e32 v7, v[58:59]
	v_cvt_f32_f64_e32 v8, v[56:57]
	s_delay_alu instid0(VALU_DEP_2) | instskip(NEXT) | instid1(VALU_DEP_2)
	v_cvt_f16_f32_e32 v7, v7
	v_cvt_f16_f32_e32 v8, v8
	s_delay_alu instid0(VALU_DEP_2) | instskip(NEXT) | instid1(VALU_DEP_2)
	v_lshlrev_b32_e32 v7, 16, v7
	v_and_b32_e32 v8, 0xffff, v8
	s_delay_alu instid0(VALU_DEP_1)
	v_or_b32_e32 v7, v7, v8
	global_store_b32 v[4:5], v7, off
.LBB133_325:
	s_mov_b32 s0, 0
.LBB133_326:
	s_delay_alu instid0(SALU_CYCLE_1)
	s_and_not1_b32 vcc_lo, exec_lo, s0
	s_cbranch_vccnz .LBB133_335
; %bb.327:
	v_cmp_gt_i16_e32 vcc_lo, 6, v6
	s_mov_b32 s0, -1
	s_cbranch_vccnz .LBB133_333
; %bb.328:
	v_cmp_lt_i16_e32 vcc_lo, 6, v6
	s_cbranch_vccz .LBB133_330
; %bb.329:
	s_mov_b32 s0, 0
	global_store_b64 v[4:5], v[56:57], off
.LBB133_330:
	s_and_not1_b32 vcc_lo, exec_lo, s0
	s_cbranch_vccnz .LBB133_332
; %bb.331:
	v_cvt_f32_f64_e32 v7, v[56:57]
	global_store_b32 v[4:5], v7, off
.LBB133_332:
	s_mov_b32 s0, 0
.LBB133_333:
	s_delay_alu instid0(SALU_CYCLE_1)
	s_and_not1_b32 vcc_lo, exec_lo, s0
	s_cbranch_vccnz .LBB133_335
; %bb.334:
	v_cvt_f32_f64_e32 v7, v[56:57]
	s_delay_alu instid0(VALU_DEP_1)
	v_cvt_f16_f32_e32 v7, v7
	global_store_b16 v[4:5], v7, off
.LBB133_335:
	s_mov_b32 s0, 0
.LBB133_336:
	s_delay_alu instid0(SALU_CYCLE_1)
	s_and_not1_b32 vcc_lo, exec_lo, s0
	s_cbranch_vccnz .LBB133_352
; %bb.337:
	v_cmp_gt_i16_e32 vcc_lo, 2, v6
	s_mov_b32 s0, -1
	s_cbranch_vccnz .LBB133_347
; %bb.338:
	v_cmp_gt_i16_e32 vcc_lo, 3, v6
	s_cbranch_vccnz .LBB133_344
; %bb.339:
	v_cmp_lt_i16_e32 vcc_lo, 3, v6
	s_cbranch_vccz .LBB133_341
; %bb.340:
	v_trunc_f64_e32 v[7:8], v[56:57]
	s_mov_b32 s0, 0
	s_delay_alu instid0(VALU_DEP_1) | instskip(NEXT) | instid1(VALU_DEP_1)
	v_ldexp_f64 v[9:10], v[7:8], 0xffffffe0
	v_floor_f64_e32 v[9:10], v[9:10]
	s_delay_alu instid0(VALU_DEP_1) | instskip(SKIP_1) | instid1(VALU_DEP_2)
	v_fma_f64 v[7:8], 0xc1f00000, v[9:10], v[7:8]
	v_cvt_i32_f64_e32 v9, v[9:10]
	v_cvt_u32_f64_e32 v8, v[7:8]
	global_store_b64 v[4:5], v[8:9], off
.LBB133_341:
	s_and_not1_b32 vcc_lo, exec_lo, s0
	s_cbranch_vccnz .LBB133_343
; %bb.342:
	v_cvt_i32_f64_e32 v7, v[56:57]
	global_store_b32 v[4:5], v7, off
.LBB133_343:
	s_mov_b32 s0, 0
.LBB133_344:
	s_delay_alu instid0(SALU_CYCLE_1)
	s_and_not1_b32 vcc_lo, exec_lo, s0
	s_cbranch_vccnz .LBB133_346
; %bb.345:
	v_cvt_i32_f64_e32 v7, v[56:57]
	global_store_b16 v[4:5], v7, off
.LBB133_346:
	s_mov_b32 s0, 0
.LBB133_347:
	s_delay_alu instid0(SALU_CYCLE_1)
	s_and_not1_b32 vcc_lo, exec_lo, s0
	s_cbranch_vccnz .LBB133_352
; %bb.348:
	v_cmp_lt_i16_e32 vcc_lo, 0, v6
	s_mov_b32 s0, -1
	s_cbranch_vccz .LBB133_350
; %bb.349:
	v_cvt_i32_f64_e32 v7, v[56:57]
	s_mov_b32 s0, 0
	global_store_b8 v[4:5], v7, off
.LBB133_350:
	s_and_not1_b32 vcc_lo, exec_lo, s0
	s_cbranch_vccnz .LBB133_352
; %bb.351:
	v_trunc_f64_e32 v[7:8], v[56:57]
	s_delay_alu instid0(VALU_DEP_1) | instskip(NEXT) | instid1(VALU_DEP_1)
	v_ldexp_f64 v[9:10], v[7:8], 0xffffffe0
	v_floor_f64_e32 v[9:10], v[9:10]
	s_delay_alu instid0(VALU_DEP_1) | instskip(NEXT) | instid1(VALU_DEP_1)
	v_fma_f64 v[7:8], 0xc1f00000, v[9:10], v[7:8]
	v_cvt_u32_f64_e32 v7, v[7:8]
	global_store_b8 v[4:5], v7, off
.LBB133_352:
	s_mov_b32 s3, -1
.LBB133_353:
	s_delay_alu instid0(SALU_CYCLE_1)
	s_and_not1_b32 vcc_lo, exec_lo, s3
	s_cbranch_vccnz .LBB133_666
; %bb.354:
	v_cmp_gt_i16_e32 vcc_lo, 11, v6
	v_add_co_u32 v4, s0, s24, v72
	s_delay_alu instid0(VALU_DEP_1)
	v_add_co_ci_u32_e64 v5, null, s25, 0, s0
	s_mov_b32 s3, 0
	s_mov_b32 s0, -1
	s_cbranch_vccnz .LBB133_432
; %bb.355:
	v_cmp_lt_i16_e32 vcc_lo, 25, v6
	s_mov_b32 s4, -1
	s_mov_b32 s2, 0
	s_mov_b32 s0, 0
	s_cbranch_vccz .LBB133_388
; %bb.356:
	v_cmp_lt_i16_e32 vcc_lo, 28, v6
	s_cbranch_vccz .LBB133_371
; %bb.357:
	v_cmp_lt_i16_e32 vcc_lo, 43, v6
	;; [unrolled: 3-line block ×3, first 2 shown]
	s_cbranch_vccz .LBB133_361
; %bb.359:
	v_cmp_eq_u16_e32 vcc_lo, 46, v6
	s_mov_b32 s0, -1
	s_mov_b32 s4, 0
	s_cbranch_vccz .LBB133_361
; %bb.360:
	v_cvt_f32_f64_e32 v7, v[46:47]
	v_cvt_f32_f64_e32 v8, v[44:45]
	s_mov_b32 s0, 0
	s_mov_b32 s3, -1
	s_delay_alu instid0(VALU_DEP_2) | instskip(NEXT) | instid1(VALU_DEP_2)
	v_bfe_u32 v9, v7, 16, 1
	v_bfe_u32 v10, v8, 16, 1
	v_cmp_o_f32_e32 vcc_lo, v7, v7
	s_delay_alu instid0(VALU_DEP_3) | instskip(NEXT) | instid1(VALU_DEP_3)
	v_add3_u32 v9, v7, v9, 0x7fff
	v_add3_u32 v10, v8, v10, 0x7fff
	s_delay_alu instid0(VALU_DEP_2) | instskip(NEXT) | instid1(VALU_DEP_2)
	v_and_b32_e32 v9, 0xffff0000, v9
	v_lshrrev_b32_e32 v10, 16, v10
	s_delay_alu instid0(VALU_DEP_2) | instskip(SKIP_1) | instid1(VALU_DEP_3)
	v_cndmask_b32_e32 v7, 0x7fc00000, v9, vcc_lo
	v_cmp_o_f32_e32 vcc_lo, v8, v8
	v_cndmask_b32_e32 v8, 0x7fc0, v10, vcc_lo
	s_delay_alu instid0(VALU_DEP_1)
	v_or_b32_e32 v7, v7, v8
	global_store_b32 v[4:5], v7, off
.LBB133_361:
	s_and_b32 vcc_lo, exec_lo, s4
	s_cbranch_vccz .LBB133_366
; %bb.362:
	v_cmp_eq_u16_e32 vcc_lo, 44, v6
	s_mov_b32 s0, -1
	s_cbranch_vccz .LBB133_366
; %bb.363:
	v_cvt_f32_f64_e32 v7, v[44:45]
	v_mov_b32_e32 v8, 0xff
	s_mov_b32 s3, exec_lo
	s_delay_alu instid0(VALU_DEP_2) | instskip(NEXT) | instid1(VALU_DEP_1)
	v_bfe_u32 v9, v7, 23, 8
	v_cmpx_ne_u32_e32 0xff, v9
; %bb.364:
	v_and_b32_e32 v8, 0x400000, v7
	v_and_or_b32 v9, 0x3fffff, v7, v9
	v_lshrrev_b32_e32 v7, 23, v7
	s_delay_alu instid0(VALU_DEP_3) | instskip(NEXT) | instid1(VALU_DEP_3)
	v_cmp_ne_u32_e32 vcc_lo, 0, v8
	v_cmp_ne_u32_e64 s0, 0, v9
	s_delay_alu instid0(VALU_DEP_1) | instskip(NEXT) | instid1(SALU_CYCLE_1)
	s_and_b32 s0, vcc_lo, s0
	v_cndmask_b32_e64 v8, 0, 1, s0
	s_delay_alu instid0(VALU_DEP_1)
	v_add_nc_u32_e32 v8, v7, v8
; %bb.365:
	s_or_b32 exec_lo, exec_lo, s3
	s_mov_b32 s0, 0
	s_mov_b32 s3, -1
	global_store_b8 v[4:5], v8, off
.LBB133_366:
	s_mov_b32 s4, 0
.LBB133_367:
	s_delay_alu instid0(SALU_CYCLE_1)
	s_and_b32 vcc_lo, exec_lo, s4
	s_cbranch_vccz .LBB133_370
; %bb.368:
	v_cmp_eq_u16_e32 vcc_lo, 29, v6
	s_mov_b32 s0, -1
	s_cbranch_vccz .LBB133_370
; %bb.369:
	v_trunc_f64_e32 v[7:8], v[44:45]
	s_mov_b32 s0, 0
	s_mov_b32 s3, -1
	s_delay_alu instid0(VALU_DEP_1) | instskip(NEXT) | instid1(VALU_DEP_1)
	v_ldexp_f64 v[9:10], v[7:8], 0xffffffe0
	v_floor_f64_e32 v[9:10], v[9:10]
	s_delay_alu instid0(VALU_DEP_1) | instskip(SKIP_1) | instid1(VALU_DEP_2)
	v_fma_f64 v[7:8], 0xc1f00000, v[9:10], v[7:8]
	v_cvt_u32_f64_e32 v9, v[9:10]
	v_cvt_u32_f64_e32 v8, v[7:8]
	global_store_b64 v[4:5], v[8:9], off
.LBB133_370:
	s_mov_b32 s4, 0
.LBB133_371:
	s_delay_alu instid0(SALU_CYCLE_1)
	s_and_b32 vcc_lo, exec_lo, s4
	s_cbranch_vccz .LBB133_387
; %bb.372:
	v_cmp_gt_i16_e32 vcc_lo, 27, v6
	s_mov_b32 s3, -1
	s_cbranch_vccnz .LBB133_378
; %bb.373:
	v_cvt_u32_f64_e32 v7, v[44:45]
	v_cmp_lt_i16_e32 vcc_lo, 27, v6
	s_cbranch_vccz .LBB133_375
; %bb.374:
	s_mov_b32 s3, 0
	global_store_b32 v[4:5], v7, off
.LBB133_375:
	s_and_not1_b32 vcc_lo, exec_lo, s3
	s_cbranch_vccnz .LBB133_377
; %bb.376:
	global_store_b16 v[4:5], v7, off
.LBB133_377:
	s_mov_b32 s3, 0
.LBB133_378:
	s_delay_alu instid0(SALU_CYCLE_1)
	s_and_not1_b32 vcc_lo, exec_lo, s3
	s_cbranch_vccnz .LBB133_386
; %bb.379:
	v_cvt_f32_f64_e32 v7, v[44:45]
	v_mov_b32_e32 v9, 0x80
	s_mov_b32 s3, exec_lo
	s_delay_alu instid0(VALU_DEP_2) | instskip(NEXT) | instid1(VALU_DEP_1)
	v_and_b32_e32 v8, 0x7fffffff, v7
	v_cmpx_gt_u32_e32 0x43800000, v8
	s_cbranch_execz .LBB133_385
; %bb.380:
	v_cmp_lt_u32_e32 vcc_lo, 0x3bffffff, v8
	s_mov_b32 s4, 0
                                        ; implicit-def: $vgpr8
	s_and_saveexec_b32 s5, vcc_lo
	s_delay_alu instid0(SALU_CYCLE_1)
	s_xor_b32 s5, exec_lo, s5
	s_cbranch_execz .LBB133_777
; %bb.381:
	v_bfe_u32 v8, v7, 20, 1
	s_mov_b32 s4, exec_lo
	s_delay_alu instid0(VALU_DEP_1) | instskip(NEXT) | instid1(VALU_DEP_1)
	v_add3_u32 v8, v7, v8, 0x487ffff
	v_lshrrev_b32_e32 v8, 20, v8
	s_or_saveexec_b32 s5, s5
                                        ; implicit-def: $sgpr6
	s_delay_alu instid0(SALU_CYCLE_1)
	s_xor_b32 exec_lo, exec_lo, s5
	s_cbranch_execnz .LBB133_778
.LBB133_382:
	s_or_b32 exec_lo, exec_lo, s5
	v_mov_b32_e32 v9, s6
	s_and_saveexec_b32 s5, s4
.LBB133_383:
	v_lshrrev_b32_e32 v7, 24, v7
	s_delay_alu instid0(VALU_DEP_1)
	v_and_or_b32 v9, 0x80, v7, v8
.LBB133_384:
	s_or_b32 exec_lo, exec_lo, s5
.LBB133_385:
	s_delay_alu instid0(SALU_CYCLE_1)
	s_or_b32 exec_lo, exec_lo, s3
	global_store_b8 v[4:5], v9, off
.LBB133_386:
	s_mov_b32 s3, -1
.LBB133_387:
	s_mov_b32 s4, 0
.LBB133_388:
	s_delay_alu instid0(SALU_CYCLE_1)
	s_and_b32 vcc_lo, exec_lo, s4
	s_cbranch_vccz .LBB133_428
; %bb.389:
	v_cmp_lt_i16_e32 vcc_lo, 22, v6
	s_mov_b32 s2, -1
	s_cbranch_vccz .LBB133_421
; %bb.390:
	v_cmp_gt_i16_e32 vcc_lo, 24, v6
	s_cbranch_vccnz .LBB133_410
; %bb.391:
	v_cmp_lt_i16_e32 vcc_lo, 24, v6
	s_cbranch_vccz .LBB133_399
; %bb.392:
	v_cvt_f32_f64_e32 v7, v[44:45]
	v_mov_b32_e32 v9, 0x80
	s_mov_b32 s2, exec_lo
	s_delay_alu instid0(VALU_DEP_2) | instskip(NEXT) | instid1(VALU_DEP_1)
	v_and_b32_e32 v8, 0x7fffffff, v7
	v_cmpx_gt_u32_e32 0x47800000, v8
	s_cbranch_execz .LBB133_398
; %bb.393:
	v_cmp_lt_u32_e32 vcc_lo, 0x37ffffff, v8
	s_mov_b32 s3, 0
                                        ; implicit-def: $vgpr8
	s_and_saveexec_b32 s4, vcc_lo
	s_delay_alu instid0(SALU_CYCLE_1)
	s_xor_b32 s4, exec_lo, s4
	s_cbranch_execz .LBB133_925
; %bb.394:
	v_bfe_u32 v8, v7, 21, 1
	s_mov_b32 s3, exec_lo
	s_delay_alu instid0(VALU_DEP_1) | instskip(NEXT) | instid1(VALU_DEP_1)
	v_add3_u32 v8, v7, v8, 0x88fffff
	v_lshrrev_b32_e32 v8, 21, v8
	s_or_saveexec_b32 s4, s4
                                        ; implicit-def: $sgpr5
	s_delay_alu instid0(SALU_CYCLE_1)
	s_xor_b32 exec_lo, exec_lo, s4
	s_cbranch_execnz .LBB133_926
.LBB133_395:
	s_or_b32 exec_lo, exec_lo, s4
	v_mov_b32_e32 v9, s5
	s_and_saveexec_b32 s4, s3
.LBB133_396:
	v_lshrrev_b32_e32 v7, 24, v7
	s_delay_alu instid0(VALU_DEP_1)
	v_and_or_b32 v9, 0x80, v7, v8
.LBB133_397:
	s_or_b32 exec_lo, exec_lo, s4
.LBB133_398:
	s_delay_alu instid0(SALU_CYCLE_1)
	s_or_b32 exec_lo, exec_lo, s2
	s_mov_b32 s2, 0
	global_store_b8 v[4:5], v9, off
.LBB133_399:
	s_and_b32 vcc_lo, exec_lo, s2
	s_cbranch_vccz .LBB133_409
; %bb.400:
	v_cvt_f32_f64_e32 v7, v[44:45]
	s_mov_b32 s2, exec_lo
                                        ; implicit-def: $vgpr8
	s_delay_alu instid0(VALU_DEP_1) | instskip(NEXT) | instid1(VALU_DEP_1)
	v_and_b32_e32 v9, 0x7fffffff, v7
	v_cmpx_gt_u32_e32 0x43f00000, v9
	s_xor_b32 s2, exec_lo, s2
	s_cbranch_execz .LBB133_406
; %bb.401:
	s_mov_b32 s3, exec_lo
                                        ; implicit-def: $vgpr8
	v_cmpx_lt_u32_e32 0x3c7fffff, v9
	s_xor_b32 s3, exec_lo, s3
; %bb.402:
	v_bfe_u32 v8, v7, 20, 1
	s_delay_alu instid0(VALU_DEP_1) | instskip(NEXT) | instid1(VALU_DEP_1)
	v_add3_u32 v8, v7, v8, 0x407ffff
	v_and_b32_e32 v9, 0xff00000, v8
	v_lshrrev_b32_e32 v8, 20, v8
	s_delay_alu instid0(VALU_DEP_2) | instskip(NEXT) | instid1(VALU_DEP_2)
	v_cmp_ne_u32_e32 vcc_lo, 0x7f00000, v9
	v_cndmask_b32_e32 v8, 0x7e, v8, vcc_lo
; %bb.403:
	s_and_not1_saveexec_b32 s3, s3
; %bb.404:
	v_add_f32_e64 v8, 0x46800000, |v7|
; %bb.405:
	s_or_b32 exec_lo, exec_lo, s3
                                        ; implicit-def: $vgpr9
.LBB133_406:
	s_and_not1_saveexec_b32 s2, s2
; %bb.407:
	v_mov_b32_e32 v8, 0x7f
	v_cmp_lt_u32_e32 vcc_lo, 0x7f800000, v9
	s_delay_alu instid0(VALU_DEP_2)
	v_cndmask_b32_e32 v8, 0x7e, v8, vcc_lo
; %bb.408:
	s_or_b32 exec_lo, exec_lo, s2
	v_lshrrev_b32_e32 v7, 24, v7
	s_delay_alu instid0(VALU_DEP_1)
	v_and_or_b32 v7, 0x80, v7, v8
	global_store_b8 v[4:5], v7, off
.LBB133_409:
	s_mov_b32 s2, 0
.LBB133_410:
	s_delay_alu instid0(SALU_CYCLE_1)
	s_and_not1_b32 vcc_lo, exec_lo, s2
	s_cbranch_vccnz .LBB133_420
; %bb.411:
	v_cvt_f32_f64_e32 v7, v[44:45]
	s_mov_b32 s2, exec_lo
                                        ; implicit-def: $vgpr8
	s_delay_alu instid0(VALU_DEP_1) | instskip(NEXT) | instid1(VALU_DEP_1)
	v_and_b32_e32 v9, 0x7fffffff, v7
	v_cmpx_gt_u32_e32 0x47800000, v9
	s_xor_b32 s2, exec_lo, s2
	s_cbranch_execz .LBB133_417
; %bb.412:
	s_mov_b32 s3, exec_lo
                                        ; implicit-def: $vgpr8
	v_cmpx_lt_u32_e32 0x387fffff, v9
	s_xor_b32 s3, exec_lo, s3
; %bb.413:
	v_bfe_u32 v8, v7, 21, 1
	s_delay_alu instid0(VALU_DEP_1) | instskip(NEXT) | instid1(VALU_DEP_1)
	v_add3_u32 v8, v7, v8, 0x80fffff
	v_lshrrev_b32_e32 v8, 21, v8
; %bb.414:
	s_and_not1_saveexec_b32 s3, s3
; %bb.415:
	v_add_f32_e64 v8, 0x43000000, |v7|
; %bb.416:
	s_or_b32 exec_lo, exec_lo, s3
                                        ; implicit-def: $vgpr9
.LBB133_417:
	s_and_not1_saveexec_b32 s2, s2
; %bb.418:
	v_mov_b32_e32 v8, 0x7f
	v_cmp_lt_u32_e32 vcc_lo, 0x7f800000, v9
	s_delay_alu instid0(VALU_DEP_2)
	v_cndmask_b32_e32 v8, 0x7c, v8, vcc_lo
; %bb.419:
	s_or_b32 exec_lo, exec_lo, s2
	v_lshrrev_b32_e32 v7, 24, v7
	s_delay_alu instid0(VALU_DEP_1)
	v_and_or_b32 v7, 0x80, v7, v8
	global_store_b8 v[4:5], v7, off
.LBB133_420:
	s_mov_b32 s2, 0
	s_mov_b32 s3, -1
.LBB133_421:
	s_and_not1_b32 vcc_lo, exec_lo, s2
	s_mov_b32 s2, 0
	s_cbranch_vccnz .LBB133_428
; %bb.422:
	v_cmp_lt_i16_e32 vcc_lo, 14, v6
	s_mov_b32 s2, -1
	s_cbranch_vccz .LBB133_426
; %bb.423:
	v_cmp_eq_u16_e32 vcc_lo, 15, v6
	s_mov_b32 s0, -1
	s_cbranch_vccz .LBB133_425
; %bb.424:
	v_cvt_f32_f64_e32 v7, v[44:45]
	s_mov_b32 s0, 0
	s_mov_b32 s3, -1
	s_delay_alu instid0(VALU_DEP_1) | instskip(SKIP_1) | instid1(VALU_DEP_2)
	v_bfe_u32 v8, v7, 16, 1
	v_cmp_o_f32_e32 vcc_lo, v7, v7
	v_add3_u32 v8, v7, v8, 0x7fff
	s_delay_alu instid0(VALU_DEP_1) | instskip(NEXT) | instid1(VALU_DEP_1)
	v_lshrrev_b32_e32 v8, 16, v8
	v_cndmask_b32_e32 v7, 0x7fc0, v8, vcc_lo
	global_store_b16 v[4:5], v7, off
.LBB133_425:
	s_mov_b32 s2, 0
.LBB133_426:
	s_delay_alu instid0(SALU_CYCLE_1)
	s_and_b32 vcc_lo, exec_lo, s2
	s_mov_b32 s2, 0
	s_cbranch_vccz .LBB133_428
; %bb.427:
	v_cmp_ne_u16_e64 s0, 11, v6
	s_mov_b32 s2, -1
.LBB133_428:
	s_delay_alu instid0(VALU_DEP_1)
	s_and_b32 vcc_lo, exec_lo, s0
	s_cbranch_vccnz .LBB133_781
; %bb.429:
	s_and_not1_b32 vcc_lo, exec_lo, s2
	s_cbranch_vccnz .LBB133_431
.LBB133_430:
	v_cmp_neq_f64_e32 vcc_lo, 0, v[44:45]
	v_cmp_neq_f64_e64 s0, 0, v[46:47]
	s_mov_b32 s3, -1
	s_delay_alu instid0(VALU_DEP_1) | instskip(NEXT) | instid1(SALU_CYCLE_1)
	s_or_b32 s0, vcc_lo, s0
	v_cndmask_b32_e64 v7, 0, 1, s0
	global_store_b8 v[4:5], v7, off
.LBB133_431:
	s_mov_b32 s0, 0
.LBB133_432:
	s_delay_alu instid0(SALU_CYCLE_1)
	s_and_b32 vcc_lo, exec_lo, s0
	s_cbranch_vccz .LBB133_471
; %bb.433:
	v_cmp_gt_i16_e32 vcc_lo, 5, v6
	s_mov_b32 s0, -1
	s_cbranch_vccnz .LBB133_454
; %bb.434:
	v_cmp_gt_i16_e32 vcc_lo, 8, v6
	s_cbranch_vccnz .LBB133_444
; %bb.435:
	v_cmp_gt_i16_e32 vcc_lo, 9, v6
	s_cbranch_vccnz .LBB133_441
; %bb.436:
	v_cmp_lt_i16_e32 vcc_lo, 9, v6
	s_cbranch_vccz .LBB133_438
; %bb.437:
	s_mov_b32 s0, 0
	global_store_b128 v[4:5], v[44:47], off
.LBB133_438:
	s_and_not1_b32 vcc_lo, exec_lo, s0
	s_cbranch_vccnz .LBB133_440
; %bb.439:
	v_cvt_f32_f64_e32 v7, v[44:45]
	v_cvt_f32_f64_e32 v8, v[46:47]
	global_store_b64 v[4:5], v[7:8], off
.LBB133_440:
	s_mov_b32 s0, 0
.LBB133_441:
	s_delay_alu instid0(SALU_CYCLE_1)
	s_and_not1_b32 vcc_lo, exec_lo, s0
	s_cbranch_vccnz .LBB133_443
; %bb.442:
	v_cvt_f32_f64_e32 v7, v[46:47]
	v_cvt_f32_f64_e32 v8, v[44:45]
	s_delay_alu instid0(VALU_DEP_2) | instskip(NEXT) | instid1(VALU_DEP_2)
	v_cvt_f16_f32_e32 v7, v7
	v_cvt_f16_f32_e32 v8, v8
	s_delay_alu instid0(VALU_DEP_2) | instskip(NEXT) | instid1(VALU_DEP_2)
	v_lshlrev_b32_e32 v7, 16, v7
	v_and_b32_e32 v8, 0xffff, v8
	s_delay_alu instid0(VALU_DEP_1)
	v_or_b32_e32 v7, v7, v8
	global_store_b32 v[4:5], v7, off
.LBB133_443:
	s_mov_b32 s0, 0
.LBB133_444:
	s_delay_alu instid0(SALU_CYCLE_1)
	s_and_not1_b32 vcc_lo, exec_lo, s0
	s_cbranch_vccnz .LBB133_453
; %bb.445:
	v_cmp_gt_i16_e32 vcc_lo, 6, v6
	s_mov_b32 s0, -1
	s_cbranch_vccnz .LBB133_451
; %bb.446:
	v_cmp_lt_i16_e32 vcc_lo, 6, v6
	s_cbranch_vccz .LBB133_448
; %bb.447:
	s_mov_b32 s0, 0
	global_store_b64 v[4:5], v[44:45], off
.LBB133_448:
	s_and_not1_b32 vcc_lo, exec_lo, s0
	s_cbranch_vccnz .LBB133_450
; %bb.449:
	v_cvt_f32_f64_e32 v7, v[44:45]
	global_store_b32 v[4:5], v7, off
.LBB133_450:
	s_mov_b32 s0, 0
.LBB133_451:
	s_delay_alu instid0(SALU_CYCLE_1)
	s_and_not1_b32 vcc_lo, exec_lo, s0
	s_cbranch_vccnz .LBB133_453
; %bb.452:
	v_cvt_f32_f64_e32 v7, v[44:45]
	s_delay_alu instid0(VALU_DEP_1)
	v_cvt_f16_f32_e32 v7, v7
	global_store_b16 v[4:5], v7, off
.LBB133_453:
	s_mov_b32 s0, 0
.LBB133_454:
	s_delay_alu instid0(SALU_CYCLE_1)
	s_and_not1_b32 vcc_lo, exec_lo, s0
	s_cbranch_vccnz .LBB133_470
; %bb.455:
	v_cmp_gt_i16_e32 vcc_lo, 2, v6
	s_mov_b32 s0, -1
	s_cbranch_vccnz .LBB133_465
; %bb.456:
	v_cmp_gt_i16_e32 vcc_lo, 3, v6
	s_cbranch_vccnz .LBB133_462
; %bb.457:
	v_cmp_lt_i16_e32 vcc_lo, 3, v6
	s_cbranch_vccz .LBB133_459
; %bb.458:
	v_trunc_f64_e32 v[7:8], v[44:45]
	s_mov_b32 s0, 0
	s_delay_alu instid0(VALU_DEP_1) | instskip(NEXT) | instid1(VALU_DEP_1)
	v_ldexp_f64 v[9:10], v[7:8], 0xffffffe0
	v_floor_f64_e32 v[9:10], v[9:10]
	s_delay_alu instid0(VALU_DEP_1) | instskip(SKIP_1) | instid1(VALU_DEP_2)
	v_fma_f64 v[7:8], 0xc1f00000, v[9:10], v[7:8]
	v_cvt_i32_f64_e32 v9, v[9:10]
	v_cvt_u32_f64_e32 v8, v[7:8]
	global_store_b64 v[4:5], v[8:9], off
.LBB133_459:
	s_and_not1_b32 vcc_lo, exec_lo, s0
	s_cbranch_vccnz .LBB133_461
; %bb.460:
	v_cvt_i32_f64_e32 v7, v[44:45]
	global_store_b32 v[4:5], v7, off
.LBB133_461:
	s_mov_b32 s0, 0
.LBB133_462:
	s_delay_alu instid0(SALU_CYCLE_1)
	s_and_not1_b32 vcc_lo, exec_lo, s0
	s_cbranch_vccnz .LBB133_464
; %bb.463:
	v_cvt_i32_f64_e32 v7, v[44:45]
	global_store_b16 v[4:5], v7, off
.LBB133_464:
	s_mov_b32 s0, 0
.LBB133_465:
	s_delay_alu instid0(SALU_CYCLE_1)
	s_and_not1_b32 vcc_lo, exec_lo, s0
	s_cbranch_vccnz .LBB133_470
; %bb.466:
	v_cmp_lt_i16_e32 vcc_lo, 0, v6
	s_mov_b32 s0, -1
	s_cbranch_vccz .LBB133_468
; %bb.467:
	v_cvt_i32_f64_e32 v7, v[44:45]
	s_mov_b32 s0, 0
	global_store_b8 v[4:5], v7, off
.LBB133_468:
	s_and_not1_b32 vcc_lo, exec_lo, s0
	s_cbranch_vccnz .LBB133_470
; %bb.469:
	v_trunc_f64_e32 v[7:8], v[44:45]
	s_delay_alu instid0(VALU_DEP_1) | instskip(NEXT) | instid1(VALU_DEP_1)
	v_ldexp_f64 v[9:10], v[7:8], 0xffffffe0
	v_floor_f64_e32 v[9:10], v[9:10]
	s_delay_alu instid0(VALU_DEP_1) | instskip(NEXT) | instid1(VALU_DEP_1)
	v_fma_f64 v[7:8], 0xc1f00000, v[9:10], v[7:8]
	v_cvt_u32_f64_e32 v7, v[7:8]
	global_store_b8 v[4:5], v7, off
.LBB133_470:
	s_mov_b32 s3, -1
.LBB133_471:
	s_delay_alu instid0(SALU_CYCLE_1)
	s_and_not1_b32 vcc_lo, exec_lo, s3
	s_cbranch_vccnz .LBB133_666
; %bb.472:
	v_cmp_gt_i16_e32 vcc_lo, 11, v6
	v_add_co_u32 v4, s0, s24, v62
	s_delay_alu instid0(VALU_DEP_1)
	v_add_co_ci_u32_e64 v5, null, s25, 0, s0
	s_mov_b32 s3, 0
	s_mov_b32 s0, -1
	s_cbranch_vccnz .LBB133_550
; %bb.473:
	v_cmp_lt_i16_e32 vcc_lo, 25, v6
	s_mov_b32 s4, -1
	s_mov_b32 s2, 0
	s_mov_b32 s0, 0
	s_cbranch_vccz .LBB133_506
; %bb.474:
	v_cmp_lt_i16_e32 vcc_lo, 28, v6
	s_cbranch_vccz .LBB133_489
; %bb.475:
	v_cmp_lt_i16_e32 vcc_lo, 43, v6
	;; [unrolled: 3-line block ×3, first 2 shown]
	s_cbranch_vccz .LBB133_479
; %bb.477:
	v_cmp_eq_u16_e32 vcc_lo, 46, v6
	s_mov_b32 s0, -1
	s_mov_b32 s4, 0
	s_cbranch_vccz .LBB133_479
; %bb.478:
	v_cvt_f32_f64_e32 v7, v[42:43]
	v_cvt_f32_f64_e32 v8, v[40:41]
	s_mov_b32 s0, 0
	s_mov_b32 s3, -1
	s_delay_alu instid0(VALU_DEP_2) | instskip(NEXT) | instid1(VALU_DEP_2)
	v_bfe_u32 v9, v7, 16, 1
	v_bfe_u32 v10, v8, 16, 1
	v_cmp_o_f32_e32 vcc_lo, v7, v7
	s_delay_alu instid0(VALU_DEP_3) | instskip(NEXT) | instid1(VALU_DEP_3)
	v_add3_u32 v9, v7, v9, 0x7fff
	v_add3_u32 v10, v8, v10, 0x7fff
	s_delay_alu instid0(VALU_DEP_2) | instskip(NEXT) | instid1(VALU_DEP_2)
	v_and_b32_e32 v9, 0xffff0000, v9
	v_lshrrev_b32_e32 v10, 16, v10
	s_delay_alu instid0(VALU_DEP_2) | instskip(SKIP_1) | instid1(VALU_DEP_3)
	v_cndmask_b32_e32 v7, 0x7fc00000, v9, vcc_lo
	v_cmp_o_f32_e32 vcc_lo, v8, v8
	v_cndmask_b32_e32 v8, 0x7fc0, v10, vcc_lo
	s_delay_alu instid0(VALU_DEP_1)
	v_or_b32_e32 v7, v7, v8
	global_store_b32 v[4:5], v7, off
.LBB133_479:
	s_and_b32 vcc_lo, exec_lo, s4
	s_cbranch_vccz .LBB133_484
; %bb.480:
	v_cmp_eq_u16_e32 vcc_lo, 44, v6
	s_mov_b32 s0, -1
	s_cbranch_vccz .LBB133_484
; %bb.481:
	v_cvt_f32_f64_e32 v7, v[40:41]
	v_mov_b32_e32 v8, 0xff
	s_mov_b32 s3, exec_lo
	s_delay_alu instid0(VALU_DEP_2) | instskip(NEXT) | instid1(VALU_DEP_1)
	v_bfe_u32 v9, v7, 23, 8
	v_cmpx_ne_u32_e32 0xff, v9
; %bb.482:
	v_and_b32_e32 v8, 0x400000, v7
	v_and_or_b32 v9, 0x3fffff, v7, v9
	v_lshrrev_b32_e32 v7, 23, v7
	s_delay_alu instid0(VALU_DEP_3) | instskip(NEXT) | instid1(VALU_DEP_3)
	v_cmp_ne_u32_e32 vcc_lo, 0, v8
	v_cmp_ne_u32_e64 s0, 0, v9
	s_delay_alu instid0(VALU_DEP_1) | instskip(NEXT) | instid1(SALU_CYCLE_1)
	s_and_b32 s0, vcc_lo, s0
	v_cndmask_b32_e64 v8, 0, 1, s0
	s_delay_alu instid0(VALU_DEP_1)
	v_add_nc_u32_e32 v8, v7, v8
; %bb.483:
	s_or_b32 exec_lo, exec_lo, s3
	s_mov_b32 s0, 0
	s_mov_b32 s3, -1
	global_store_b8 v[4:5], v8, off
.LBB133_484:
	s_mov_b32 s4, 0
.LBB133_485:
	s_delay_alu instid0(SALU_CYCLE_1)
	s_and_b32 vcc_lo, exec_lo, s4
	s_cbranch_vccz .LBB133_488
; %bb.486:
	v_cmp_eq_u16_e32 vcc_lo, 29, v6
	s_mov_b32 s0, -1
	s_cbranch_vccz .LBB133_488
; %bb.487:
	v_trunc_f64_e32 v[7:8], v[40:41]
	s_mov_b32 s0, 0
	s_mov_b32 s3, -1
	s_delay_alu instid0(VALU_DEP_1) | instskip(NEXT) | instid1(VALU_DEP_1)
	v_ldexp_f64 v[9:10], v[7:8], 0xffffffe0
	v_floor_f64_e32 v[9:10], v[9:10]
	s_delay_alu instid0(VALU_DEP_1) | instskip(SKIP_1) | instid1(VALU_DEP_2)
	v_fma_f64 v[7:8], 0xc1f00000, v[9:10], v[7:8]
	v_cvt_u32_f64_e32 v9, v[9:10]
	v_cvt_u32_f64_e32 v8, v[7:8]
	global_store_b64 v[4:5], v[8:9], off
.LBB133_488:
	s_mov_b32 s4, 0
.LBB133_489:
	s_delay_alu instid0(SALU_CYCLE_1)
	s_and_b32 vcc_lo, exec_lo, s4
	s_cbranch_vccz .LBB133_505
; %bb.490:
	v_cmp_gt_i16_e32 vcc_lo, 27, v6
	s_mov_b32 s3, -1
	s_cbranch_vccnz .LBB133_496
; %bb.491:
	v_cvt_u32_f64_e32 v7, v[40:41]
	v_cmp_lt_i16_e32 vcc_lo, 27, v6
	s_cbranch_vccz .LBB133_493
; %bb.492:
	s_mov_b32 s3, 0
	global_store_b32 v[4:5], v7, off
.LBB133_493:
	s_and_not1_b32 vcc_lo, exec_lo, s3
	s_cbranch_vccnz .LBB133_495
; %bb.494:
	global_store_b16 v[4:5], v7, off
.LBB133_495:
	s_mov_b32 s3, 0
.LBB133_496:
	s_delay_alu instid0(SALU_CYCLE_1)
	s_and_not1_b32 vcc_lo, exec_lo, s3
	s_cbranch_vccnz .LBB133_504
; %bb.497:
	v_cvt_f32_f64_e32 v7, v[40:41]
	v_mov_b32_e32 v9, 0x80
	s_mov_b32 s3, exec_lo
	s_delay_alu instid0(VALU_DEP_2) | instskip(NEXT) | instid1(VALU_DEP_1)
	v_and_b32_e32 v8, 0x7fffffff, v7
	v_cmpx_gt_u32_e32 0x43800000, v8
	s_cbranch_execz .LBB133_503
; %bb.498:
	v_cmp_lt_u32_e32 vcc_lo, 0x3bffffff, v8
	s_mov_b32 s4, 0
                                        ; implicit-def: $vgpr8
	s_and_saveexec_b32 s5, vcc_lo
	s_delay_alu instid0(SALU_CYCLE_1)
	s_xor_b32 s5, exec_lo, s5
	s_cbranch_execz .LBB133_927
; %bb.499:
	v_bfe_u32 v8, v7, 20, 1
	s_mov_b32 s4, exec_lo
	s_delay_alu instid0(VALU_DEP_1) | instskip(NEXT) | instid1(VALU_DEP_1)
	v_add3_u32 v8, v7, v8, 0x487ffff
	v_lshrrev_b32_e32 v8, 20, v8
	s_or_saveexec_b32 s5, s5
                                        ; implicit-def: $sgpr6
	s_delay_alu instid0(SALU_CYCLE_1)
	s_xor_b32 exec_lo, exec_lo, s5
	s_cbranch_execnz .LBB133_928
.LBB133_500:
	s_or_b32 exec_lo, exec_lo, s5
	v_mov_b32_e32 v9, s6
	s_and_saveexec_b32 s5, s4
.LBB133_501:
	v_lshrrev_b32_e32 v7, 24, v7
	s_delay_alu instid0(VALU_DEP_1)
	v_and_or_b32 v9, 0x80, v7, v8
.LBB133_502:
	s_or_b32 exec_lo, exec_lo, s5
.LBB133_503:
	s_delay_alu instid0(SALU_CYCLE_1)
	s_or_b32 exec_lo, exec_lo, s3
	global_store_b8 v[4:5], v9, off
.LBB133_504:
	s_mov_b32 s3, -1
.LBB133_505:
	s_mov_b32 s4, 0
.LBB133_506:
	s_delay_alu instid0(SALU_CYCLE_1)
	s_and_b32 vcc_lo, exec_lo, s4
	s_cbranch_vccz .LBB133_546
; %bb.507:
	v_cmp_lt_i16_e32 vcc_lo, 22, v6
	s_mov_b32 s2, -1
	s_cbranch_vccz .LBB133_539
; %bb.508:
	v_cmp_gt_i16_e32 vcc_lo, 24, v6
	s_cbranch_vccnz .LBB133_528
; %bb.509:
	v_cmp_lt_i16_e32 vcc_lo, 24, v6
	s_cbranch_vccz .LBB133_517
; %bb.510:
	v_cvt_f32_f64_e32 v7, v[40:41]
	v_mov_b32_e32 v9, 0x80
	s_mov_b32 s2, exec_lo
	s_delay_alu instid0(VALU_DEP_2) | instskip(NEXT) | instid1(VALU_DEP_1)
	v_and_b32_e32 v8, 0x7fffffff, v7
	v_cmpx_gt_u32_e32 0x47800000, v8
	s_cbranch_execz .LBB133_516
; %bb.511:
	v_cmp_lt_u32_e32 vcc_lo, 0x37ffffff, v8
	s_mov_b32 s3, 0
                                        ; implicit-def: $vgpr8
	s_and_saveexec_b32 s4, vcc_lo
	s_delay_alu instid0(SALU_CYCLE_1)
	s_xor_b32 s4, exec_lo, s4
	s_cbranch_execz .LBB133_1108
; %bb.512:
	v_bfe_u32 v8, v7, 21, 1
	s_mov_b32 s3, exec_lo
	s_delay_alu instid0(VALU_DEP_1) | instskip(NEXT) | instid1(VALU_DEP_1)
	v_add3_u32 v8, v7, v8, 0x88fffff
	v_lshrrev_b32_e32 v8, 21, v8
	s_or_saveexec_b32 s4, s4
                                        ; implicit-def: $sgpr5
	s_delay_alu instid0(SALU_CYCLE_1)
	s_xor_b32 exec_lo, exec_lo, s4
	s_cbranch_execnz .LBB133_1109
.LBB133_513:
	s_or_b32 exec_lo, exec_lo, s4
	v_mov_b32_e32 v9, s5
	s_and_saveexec_b32 s4, s3
.LBB133_514:
	v_lshrrev_b32_e32 v7, 24, v7
	s_delay_alu instid0(VALU_DEP_1)
	v_and_or_b32 v9, 0x80, v7, v8
.LBB133_515:
	s_or_b32 exec_lo, exec_lo, s4
.LBB133_516:
	s_delay_alu instid0(SALU_CYCLE_1)
	s_or_b32 exec_lo, exec_lo, s2
	s_mov_b32 s2, 0
	global_store_b8 v[4:5], v9, off
.LBB133_517:
	s_and_b32 vcc_lo, exec_lo, s2
	s_cbranch_vccz .LBB133_527
; %bb.518:
	v_cvt_f32_f64_e32 v7, v[40:41]
	s_mov_b32 s2, exec_lo
                                        ; implicit-def: $vgpr8
	s_delay_alu instid0(VALU_DEP_1) | instskip(NEXT) | instid1(VALU_DEP_1)
	v_and_b32_e32 v9, 0x7fffffff, v7
	v_cmpx_gt_u32_e32 0x43f00000, v9
	s_xor_b32 s2, exec_lo, s2
	s_cbranch_execz .LBB133_524
; %bb.519:
	s_mov_b32 s3, exec_lo
                                        ; implicit-def: $vgpr8
	v_cmpx_lt_u32_e32 0x3c7fffff, v9
	s_xor_b32 s3, exec_lo, s3
; %bb.520:
	v_bfe_u32 v8, v7, 20, 1
	s_delay_alu instid0(VALU_DEP_1) | instskip(NEXT) | instid1(VALU_DEP_1)
	v_add3_u32 v8, v7, v8, 0x407ffff
	v_and_b32_e32 v9, 0xff00000, v8
	v_lshrrev_b32_e32 v8, 20, v8
	s_delay_alu instid0(VALU_DEP_2) | instskip(NEXT) | instid1(VALU_DEP_2)
	v_cmp_ne_u32_e32 vcc_lo, 0x7f00000, v9
	v_cndmask_b32_e32 v8, 0x7e, v8, vcc_lo
; %bb.521:
	s_and_not1_saveexec_b32 s3, s3
; %bb.522:
	v_add_f32_e64 v8, 0x46800000, |v7|
; %bb.523:
	s_or_b32 exec_lo, exec_lo, s3
                                        ; implicit-def: $vgpr9
.LBB133_524:
	s_and_not1_saveexec_b32 s2, s2
; %bb.525:
	v_mov_b32_e32 v8, 0x7f
	v_cmp_lt_u32_e32 vcc_lo, 0x7f800000, v9
	s_delay_alu instid0(VALU_DEP_2)
	v_cndmask_b32_e32 v8, 0x7e, v8, vcc_lo
; %bb.526:
	s_or_b32 exec_lo, exec_lo, s2
	v_lshrrev_b32_e32 v7, 24, v7
	s_delay_alu instid0(VALU_DEP_1)
	v_and_or_b32 v7, 0x80, v7, v8
	global_store_b8 v[4:5], v7, off
.LBB133_527:
	s_mov_b32 s2, 0
.LBB133_528:
	s_delay_alu instid0(SALU_CYCLE_1)
	s_and_not1_b32 vcc_lo, exec_lo, s2
	s_cbranch_vccnz .LBB133_538
; %bb.529:
	v_cvt_f32_f64_e32 v7, v[40:41]
	s_mov_b32 s2, exec_lo
                                        ; implicit-def: $vgpr8
	s_delay_alu instid0(VALU_DEP_1) | instskip(NEXT) | instid1(VALU_DEP_1)
	v_and_b32_e32 v9, 0x7fffffff, v7
	v_cmpx_gt_u32_e32 0x47800000, v9
	s_xor_b32 s2, exec_lo, s2
	s_cbranch_execz .LBB133_535
; %bb.530:
	s_mov_b32 s3, exec_lo
                                        ; implicit-def: $vgpr8
	v_cmpx_lt_u32_e32 0x387fffff, v9
	s_xor_b32 s3, exec_lo, s3
; %bb.531:
	v_bfe_u32 v8, v7, 21, 1
	s_delay_alu instid0(VALU_DEP_1) | instskip(NEXT) | instid1(VALU_DEP_1)
	v_add3_u32 v8, v7, v8, 0x80fffff
	v_lshrrev_b32_e32 v8, 21, v8
; %bb.532:
	s_and_not1_saveexec_b32 s3, s3
; %bb.533:
	v_add_f32_e64 v8, 0x43000000, |v7|
; %bb.534:
	s_or_b32 exec_lo, exec_lo, s3
                                        ; implicit-def: $vgpr9
.LBB133_535:
	s_and_not1_saveexec_b32 s2, s2
; %bb.536:
	v_mov_b32_e32 v8, 0x7f
	v_cmp_lt_u32_e32 vcc_lo, 0x7f800000, v9
	s_delay_alu instid0(VALU_DEP_2)
	v_cndmask_b32_e32 v8, 0x7c, v8, vcc_lo
; %bb.537:
	s_or_b32 exec_lo, exec_lo, s2
	v_lshrrev_b32_e32 v7, 24, v7
	s_delay_alu instid0(VALU_DEP_1)
	v_and_or_b32 v7, 0x80, v7, v8
	global_store_b8 v[4:5], v7, off
.LBB133_538:
	s_mov_b32 s2, 0
	s_mov_b32 s3, -1
.LBB133_539:
	s_and_not1_b32 vcc_lo, exec_lo, s2
	s_mov_b32 s2, 0
	s_cbranch_vccnz .LBB133_546
; %bb.540:
	v_cmp_lt_i16_e32 vcc_lo, 14, v6
	s_mov_b32 s2, -1
	s_cbranch_vccz .LBB133_544
; %bb.541:
	v_cmp_eq_u16_e32 vcc_lo, 15, v6
	s_mov_b32 s0, -1
	s_cbranch_vccz .LBB133_543
; %bb.542:
	v_cvt_f32_f64_e32 v7, v[40:41]
	s_mov_b32 s0, 0
	s_mov_b32 s3, -1
	s_delay_alu instid0(VALU_DEP_1) | instskip(SKIP_1) | instid1(VALU_DEP_2)
	v_bfe_u32 v8, v7, 16, 1
	v_cmp_o_f32_e32 vcc_lo, v7, v7
	v_add3_u32 v8, v7, v8, 0x7fff
	s_delay_alu instid0(VALU_DEP_1) | instskip(NEXT) | instid1(VALU_DEP_1)
	v_lshrrev_b32_e32 v8, 16, v8
	v_cndmask_b32_e32 v7, 0x7fc0, v8, vcc_lo
	global_store_b16 v[4:5], v7, off
.LBB133_543:
	s_mov_b32 s2, 0
.LBB133_544:
	s_delay_alu instid0(SALU_CYCLE_1)
	s_and_b32 vcc_lo, exec_lo, s2
	s_mov_b32 s2, 0
	s_cbranch_vccz .LBB133_546
; %bb.545:
	v_cmp_ne_u16_e64 s0, 11, v6
	s_mov_b32 s2, -1
.LBB133_546:
	s_delay_alu instid0(VALU_DEP_1)
	s_and_b32 vcc_lo, exec_lo, s0
	s_cbranch_vccnz .LBB133_931
; %bb.547:
	s_and_not1_b32 vcc_lo, exec_lo, s2
	s_cbranch_vccnz .LBB133_549
.LBB133_548:
	v_cmp_neq_f64_e32 vcc_lo, 0, v[40:41]
	v_cmp_neq_f64_e64 s0, 0, v[42:43]
	s_mov_b32 s3, -1
	s_delay_alu instid0(VALU_DEP_1) | instskip(NEXT) | instid1(SALU_CYCLE_1)
	s_or_b32 s0, vcc_lo, s0
	v_cndmask_b32_e64 v7, 0, 1, s0
	global_store_b8 v[4:5], v7, off
.LBB133_549:
	s_mov_b32 s0, 0
.LBB133_550:
	s_delay_alu instid0(SALU_CYCLE_1)
	s_and_b32 vcc_lo, exec_lo, s0
	s_cbranch_vccz .LBB133_589
; %bb.551:
	v_cmp_gt_i16_e32 vcc_lo, 5, v6
	s_mov_b32 s0, -1
	s_cbranch_vccnz .LBB133_572
; %bb.552:
	v_cmp_gt_i16_e32 vcc_lo, 8, v6
	s_cbranch_vccnz .LBB133_562
; %bb.553:
	v_cmp_gt_i16_e32 vcc_lo, 9, v6
	s_cbranch_vccnz .LBB133_559
; %bb.554:
	v_cmp_lt_i16_e32 vcc_lo, 9, v6
	s_cbranch_vccz .LBB133_556
; %bb.555:
	s_mov_b32 s0, 0
	global_store_b128 v[4:5], v[40:43], off
.LBB133_556:
	s_and_not1_b32 vcc_lo, exec_lo, s0
	s_cbranch_vccnz .LBB133_558
; %bb.557:
	v_cvt_f32_f64_e32 v7, v[40:41]
	v_cvt_f32_f64_e32 v8, v[42:43]
	global_store_b64 v[4:5], v[7:8], off
.LBB133_558:
	s_mov_b32 s0, 0
.LBB133_559:
	s_delay_alu instid0(SALU_CYCLE_1)
	s_and_not1_b32 vcc_lo, exec_lo, s0
	s_cbranch_vccnz .LBB133_561
; %bb.560:
	v_cvt_f32_f64_e32 v7, v[42:43]
	v_cvt_f32_f64_e32 v8, v[40:41]
	s_delay_alu instid0(VALU_DEP_2) | instskip(NEXT) | instid1(VALU_DEP_2)
	v_cvt_f16_f32_e32 v7, v7
	v_cvt_f16_f32_e32 v8, v8
	s_delay_alu instid0(VALU_DEP_2) | instskip(NEXT) | instid1(VALU_DEP_2)
	v_lshlrev_b32_e32 v7, 16, v7
	v_and_b32_e32 v8, 0xffff, v8
	s_delay_alu instid0(VALU_DEP_1)
	v_or_b32_e32 v7, v7, v8
	global_store_b32 v[4:5], v7, off
.LBB133_561:
	s_mov_b32 s0, 0
.LBB133_562:
	s_delay_alu instid0(SALU_CYCLE_1)
	s_and_not1_b32 vcc_lo, exec_lo, s0
	s_cbranch_vccnz .LBB133_571
; %bb.563:
	v_cmp_gt_i16_e32 vcc_lo, 6, v6
	s_mov_b32 s0, -1
	s_cbranch_vccnz .LBB133_569
; %bb.564:
	v_cmp_lt_i16_e32 vcc_lo, 6, v6
	s_cbranch_vccz .LBB133_566
; %bb.565:
	s_mov_b32 s0, 0
	global_store_b64 v[4:5], v[40:41], off
.LBB133_566:
	s_and_not1_b32 vcc_lo, exec_lo, s0
	s_cbranch_vccnz .LBB133_568
; %bb.567:
	v_cvt_f32_f64_e32 v7, v[40:41]
	global_store_b32 v[4:5], v7, off
.LBB133_568:
	s_mov_b32 s0, 0
.LBB133_569:
	s_delay_alu instid0(SALU_CYCLE_1)
	s_and_not1_b32 vcc_lo, exec_lo, s0
	s_cbranch_vccnz .LBB133_571
; %bb.570:
	v_cvt_f32_f64_e32 v7, v[40:41]
	s_delay_alu instid0(VALU_DEP_1)
	v_cvt_f16_f32_e32 v7, v7
	global_store_b16 v[4:5], v7, off
.LBB133_571:
	s_mov_b32 s0, 0
.LBB133_572:
	s_delay_alu instid0(SALU_CYCLE_1)
	s_and_not1_b32 vcc_lo, exec_lo, s0
	s_cbranch_vccnz .LBB133_588
; %bb.573:
	v_cmp_gt_i16_e32 vcc_lo, 2, v6
	s_mov_b32 s0, -1
	s_cbranch_vccnz .LBB133_583
; %bb.574:
	v_cmp_gt_i16_e32 vcc_lo, 3, v6
	s_cbranch_vccnz .LBB133_580
; %bb.575:
	v_cmp_lt_i16_e32 vcc_lo, 3, v6
	s_cbranch_vccz .LBB133_577
; %bb.576:
	v_trunc_f64_e32 v[7:8], v[40:41]
	s_mov_b32 s0, 0
	s_delay_alu instid0(VALU_DEP_1) | instskip(NEXT) | instid1(VALU_DEP_1)
	v_ldexp_f64 v[9:10], v[7:8], 0xffffffe0
	v_floor_f64_e32 v[9:10], v[9:10]
	s_delay_alu instid0(VALU_DEP_1) | instskip(SKIP_1) | instid1(VALU_DEP_2)
	v_fma_f64 v[7:8], 0xc1f00000, v[9:10], v[7:8]
	v_cvt_i32_f64_e32 v9, v[9:10]
	v_cvt_u32_f64_e32 v8, v[7:8]
	global_store_b64 v[4:5], v[8:9], off
.LBB133_577:
	s_and_not1_b32 vcc_lo, exec_lo, s0
	s_cbranch_vccnz .LBB133_579
; %bb.578:
	v_cvt_i32_f64_e32 v7, v[40:41]
	global_store_b32 v[4:5], v7, off
.LBB133_579:
	s_mov_b32 s0, 0
.LBB133_580:
	s_delay_alu instid0(SALU_CYCLE_1)
	s_and_not1_b32 vcc_lo, exec_lo, s0
	s_cbranch_vccnz .LBB133_582
; %bb.581:
	v_cvt_i32_f64_e32 v7, v[40:41]
	global_store_b16 v[4:5], v7, off
.LBB133_582:
	s_mov_b32 s0, 0
.LBB133_583:
	s_delay_alu instid0(SALU_CYCLE_1)
	s_and_not1_b32 vcc_lo, exec_lo, s0
	s_cbranch_vccnz .LBB133_588
; %bb.584:
	v_cmp_lt_i16_e32 vcc_lo, 0, v6
	s_mov_b32 s0, -1
	s_cbranch_vccz .LBB133_586
; %bb.585:
	v_cvt_i32_f64_e32 v7, v[40:41]
	s_mov_b32 s0, 0
	global_store_b8 v[4:5], v7, off
.LBB133_586:
	s_and_not1_b32 vcc_lo, exec_lo, s0
	s_cbranch_vccnz .LBB133_588
; %bb.587:
	v_trunc_f64_e32 v[7:8], v[40:41]
	s_delay_alu instid0(VALU_DEP_1) | instskip(NEXT) | instid1(VALU_DEP_1)
	v_ldexp_f64 v[9:10], v[7:8], 0xffffffe0
	v_floor_f64_e32 v[9:10], v[9:10]
	s_delay_alu instid0(VALU_DEP_1) | instskip(NEXT) | instid1(VALU_DEP_1)
	v_fma_f64 v[7:8], 0xc1f00000, v[9:10], v[7:8]
	v_cvt_u32_f64_e32 v7, v[7:8]
	global_store_b8 v[4:5], v7, off
.LBB133_588:
	s_mov_b32 s3, -1
.LBB133_589:
	s_delay_alu instid0(SALU_CYCLE_1)
	s_and_not1_b32 vcc_lo, exec_lo, s3
	s_cbranch_vccnz .LBB133_666
; %bb.590:
	v_cmp_gt_i16_e32 vcc_lo, 11, v6
	v_add_co_u32 v4, s0, s24, v61
	s_delay_alu instid0(VALU_DEP_1)
	v_add_co_ci_u32_e64 v5, null, s25, 0, s0
	s_mov_b32 s2, 0
	s_mov_b32 s0, -1
	s_cbranch_vccnz .LBB133_667
; %bb.591:
	v_cmp_lt_i16_e32 vcc_lo, 25, v6
	s_mov_b32 s3, -1
	s_mov_b32 s0, 0
	s_cbranch_vccz .LBB133_624
; %bb.592:
	v_cmp_lt_i16_e32 vcc_lo, 28, v6
	s_cbranch_vccz .LBB133_608
; %bb.593:
	v_cmp_lt_i16_e32 vcc_lo, 43, v6
	;; [unrolled: 3-line block ×3, first 2 shown]
	s_cbranch_vccz .LBB133_598
; %bb.595:
	v_cmp_eq_u16_e32 vcc_lo, 46, v6
	s_mov_b32 s0, -1
	s_cbranch_vccz .LBB133_597
; %bb.596:
	v_cvt_f32_f64_e32 v7, v[2:3]
	v_cvt_f32_f64_e32 v8, v[0:1]
	s_mov_b32 s0, 0
	s_delay_alu instid0(VALU_DEP_2) | instskip(NEXT) | instid1(VALU_DEP_2)
	v_bfe_u32 v9, v7, 16, 1
	v_bfe_u32 v10, v8, 16, 1
	v_cmp_o_f32_e32 vcc_lo, v7, v7
	s_delay_alu instid0(VALU_DEP_3) | instskip(NEXT) | instid1(VALU_DEP_3)
	v_add3_u32 v9, v7, v9, 0x7fff
	v_add3_u32 v10, v8, v10, 0x7fff
	s_delay_alu instid0(VALU_DEP_2) | instskip(NEXT) | instid1(VALU_DEP_2)
	v_and_b32_e32 v9, 0xffff0000, v9
	v_lshrrev_b32_e32 v10, 16, v10
	s_delay_alu instid0(VALU_DEP_2) | instskip(SKIP_1) | instid1(VALU_DEP_3)
	v_cndmask_b32_e32 v7, 0x7fc00000, v9, vcc_lo
	v_cmp_o_f32_e32 vcc_lo, v8, v8
	v_cndmask_b32_e32 v8, 0x7fc0, v10, vcc_lo
	s_delay_alu instid0(VALU_DEP_1)
	v_or_b32_e32 v7, v7, v8
	global_store_b32 v[4:5], v7, off
.LBB133_597:
	s_mov_b32 s3, 0
.LBB133_598:
	s_delay_alu instid0(SALU_CYCLE_1)
	s_and_b32 vcc_lo, exec_lo, s3
	s_cbranch_vccz .LBB133_603
; %bb.599:
	v_cmp_eq_u16_e32 vcc_lo, 44, v6
	s_mov_b32 s0, -1
	s_cbranch_vccz .LBB133_603
; %bb.600:
	v_cvt_f32_f64_e32 v7, v[0:1]
	v_mov_b32_e32 v8, 0xff
	s_mov_b32 s3, exec_lo
	s_delay_alu instid0(VALU_DEP_2) | instskip(NEXT) | instid1(VALU_DEP_1)
	v_bfe_u32 v9, v7, 23, 8
	v_cmpx_ne_u32_e32 0xff, v9
; %bb.601:
	v_and_b32_e32 v8, 0x400000, v7
	v_and_or_b32 v9, 0x3fffff, v7, v9
	v_lshrrev_b32_e32 v7, 23, v7
	s_delay_alu instid0(VALU_DEP_3) | instskip(NEXT) | instid1(VALU_DEP_3)
	v_cmp_ne_u32_e32 vcc_lo, 0, v8
	v_cmp_ne_u32_e64 s0, 0, v9
	s_delay_alu instid0(VALU_DEP_1) | instskip(NEXT) | instid1(SALU_CYCLE_1)
	s_and_b32 s0, vcc_lo, s0
	v_cndmask_b32_e64 v8, 0, 1, s0
	s_delay_alu instid0(VALU_DEP_1)
	v_add_nc_u32_e32 v8, v7, v8
; %bb.602:
	s_or_b32 exec_lo, exec_lo, s3
	s_mov_b32 s0, 0
	global_store_b8 v[4:5], v8, off
.LBB133_603:
	s_mov_b32 s3, 0
.LBB133_604:
	s_delay_alu instid0(SALU_CYCLE_1)
	s_and_b32 vcc_lo, exec_lo, s3
	s_cbranch_vccz .LBB133_607
; %bb.605:
	v_cmp_eq_u16_e32 vcc_lo, 29, v6
	s_mov_b32 s0, -1
	s_cbranch_vccz .LBB133_607
; %bb.606:
	v_trunc_f64_e32 v[7:8], v[0:1]
	s_mov_b32 s0, 0
	s_delay_alu instid0(VALU_DEP_1) | instskip(NEXT) | instid1(VALU_DEP_1)
	v_ldexp_f64 v[9:10], v[7:8], 0xffffffe0
	v_floor_f64_e32 v[9:10], v[9:10]
	s_delay_alu instid0(VALU_DEP_1) | instskip(SKIP_1) | instid1(VALU_DEP_2)
	v_fma_f64 v[7:8], 0xc1f00000, v[9:10], v[7:8]
	v_cvt_u32_f64_e32 v9, v[9:10]
	v_cvt_u32_f64_e32 v8, v[7:8]
	global_store_b64 v[4:5], v[8:9], off
.LBB133_607:
	s_mov_b32 s3, 0
.LBB133_608:
	s_delay_alu instid0(SALU_CYCLE_1)
	s_and_b32 vcc_lo, exec_lo, s3
	s_cbranch_vccz .LBB133_623
; %bb.609:
	v_cmp_gt_i16_e32 vcc_lo, 27, v6
	s_mov_b32 s3, -1
	s_cbranch_vccnz .LBB133_615
; %bb.610:
	v_cvt_u32_f64_e32 v7, v[0:1]
	v_cmp_lt_i16_e32 vcc_lo, 27, v6
	s_cbranch_vccz .LBB133_612
; %bb.611:
	s_mov_b32 s3, 0
	global_store_b32 v[4:5], v7, off
.LBB133_612:
	s_and_not1_b32 vcc_lo, exec_lo, s3
	s_cbranch_vccnz .LBB133_614
; %bb.613:
	global_store_b16 v[4:5], v7, off
.LBB133_614:
	s_mov_b32 s3, 0
.LBB133_615:
	s_delay_alu instid0(SALU_CYCLE_1)
	s_and_not1_b32 vcc_lo, exec_lo, s3
	s_cbranch_vccnz .LBB133_623
; %bb.616:
	v_cvt_f32_f64_e32 v7, v[0:1]
	v_mov_b32_e32 v9, 0x80
	s_mov_b32 s3, exec_lo
	s_delay_alu instid0(VALU_DEP_2) | instskip(NEXT) | instid1(VALU_DEP_1)
	v_and_b32_e32 v8, 0x7fffffff, v7
	v_cmpx_gt_u32_e32 0x43800000, v8
	s_cbranch_execz .LBB133_622
; %bb.617:
	v_cmp_lt_u32_e32 vcc_lo, 0x3bffffff, v8
	s_mov_b32 s4, 0
                                        ; implicit-def: $vgpr8
	s_and_saveexec_b32 s5, vcc_lo
	s_delay_alu instid0(SALU_CYCLE_1)
	s_xor_b32 s5, exec_lo, s5
	s_cbranch_execz .LBB133_1110
; %bb.618:
	v_bfe_u32 v8, v7, 20, 1
	s_mov_b32 s4, exec_lo
	s_delay_alu instid0(VALU_DEP_1) | instskip(NEXT) | instid1(VALU_DEP_1)
	v_add3_u32 v8, v7, v8, 0x487ffff
	v_lshrrev_b32_e32 v8, 20, v8
	s_or_saveexec_b32 s5, s5
                                        ; implicit-def: $sgpr6
	s_delay_alu instid0(SALU_CYCLE_1)
	s_xor_b32 exec_lo, exec_lo, s5
	s_cbranch_execnz .LBB133_1111
.LBB133_619:
	s_or_b32 exec_lo, exec_lo, s5
	v_mov_b32_e32 v9, s6
	s_and_saveexec_b32 s5, s4
.LBB133_620:
	v_lshrrev_b32_e32 v7, 24, v7
	s_delay_alu instid0(VALU_DEP_1)
	v_and_or_b32 v9, 0x80, v7, v8
.LBB133_621:
	s_or_b32 exec_lo, exec_lo, s5
.LBB133_622:
	s_delay_alu instid0(SALU_CYCLE_1)
	s_or_b32 exec_lo, exec_lo, s3
	global_store_b8 v[4:5], v9, off
.LBB133_623:
	s_mov_b32 s3, 0
.LBB133_624:
	s_delay_alu instid0(SALU_CYCLE_1)
	s_and_b32 vcc_lo, exec_lo, s3
	s_cbranch_vccz .LBB133_664
; %bb.625:
	v_cmp_lt_i16_e32 vcc_lo, 22, v6
	s_mov_b32 s2, -1
	s_cbranch_vccz .LBB133_657
; %bb.626:
	v_cmp_gt_i16_e32 vcc_lo, 24, v6
	s_cbranch_vccnz .LBB133_646
; %bb.627:
	v_cmp_lt_i16_e32 vcc_lo, 24, v6
	s_cbranch_vccz .LBB133_635
; %bb.628:
	v_cvt_f32_f64_e32 v7, v[0:1]
	v_mov_b32_e32 v9, 0x80
	s_mov_b32 s2, exec_lo
	s_delay_alu instid0(VALU_DEP_2) | instskip(NEXT) | instid1(VALU_DEP_1)
	v_and_b32_e32 v8, 0x7fffffff, v7
	v_cmpx_gt_u32_e32 0x47800000, v8
	s_cbranch_execz .LBB133_634
; %bb.629:
	v_cmp_lt_u32_e32 vcc_lo, 0x37ffffff, v8
	s_mov_b32 s3, 0
                                        ; implicit-def: $vgpr8
	s_and_saveexec_b32 s4, vcc_lo
	s_delay_alu instid0(SALU_CYCLE_1)
	s_xor_b32 s4, exec_lo, s4
	s_cbranch_execz .LBB133_1120
; %bb.630:
	v_bfe_u32 v8, v7, 21, 1
	s_mov_b32 s3, exec_lo
	s_delay_alu instid0(VALU_DEP_1) | instskip(NEXT) | instid1(VALU_DEP_1)
	v_add3_u32 v8, v7, v8, 0x88fffff
	v_lshrrev_b32_e32 v8, 21, v8
	s_or_saveexec_b32 s4, s4
                                        ; implicit-def: $sgpr5
	s_delay_alu instid0(SALU_CYCLE_1)
	s_xor_b32 exec_lo, exec_lo, s4
	s_cbranch_execnz .LBB133_1121
.LBB133_631:
	s_or_b32 exec_lo, exec_lo, s4
	v_mov_b32_e32 v9, s5
	s_and_saveexec_b32 s4, s3
.LBB133_632:
	v_lshrrev_b32_e32 v7, 24, v7
	s_delay_alu instid0(VALU_DEP_1)
	v_and_or_b32 v9, 0x80, v7, v8
.LBB133_633:
	s_or_b32 exec_lo, exec_lo, s4
.LBB133_634:
	s_delay_alu instid0(SALU_CYCLE_1)
	s_or_b32 exec_lo, exec_lo, s2
	s_mov_b32 s2, 0
	global_store_b8 v[4:5], v9, off
.LBB133_635:
	s_and_b32 vcc_lo, exec_lo, s2
	s_cbranch_vccz .LBB133_645
; %bb.636:
	v_cvt_f32_f64_e32 v7, v[0:1]
	s_mov_b32 s2, exec_lo
                                        ; implicit-def: $vgpr8
	s_delay_alu instid0(VALU_DEP_1) | instskip(NEXT) | instid1(VALU_DEP_1)
	v_and_b32_e32 v9, 0x7fffffff, v7
	v_cmpx_gt_u32_e32 0x43f00000, v9
	s_xor_b32 s2, exec_lo, s2
	s_cbranch_execz .LBB133_642
; %bb.637:
	s_mov_b32 s3, exec_lo
                                        ; implicit-def: $vgpr8
	v_cmpx_lt_u32_e32 0x3c7fffff, v9
	s_xor_b32 s3, exec_lo, s3
; %bb.638:
	v_bfe_u32 v8, v7, 20, 1
	s_delay_alu instid0(VALU_DEP_1) | instskip(NEXT) | instid1(VALU_DEP_1)
	v_add3_u32 v8, v7, v8, 0x407ffff
	v_and_b32_e32 v9, 0xff00000, v8
	v_lshrrev_b32_e32 v8, 20, v8
	s_delay_alu instid0(VALU_DEP_2) | instskip(NEXT) | instid1(VALU_DEP_2)
	v_cmp_ne_u32_e32 vcc_lo, 0x7f00000, v9
	v_cndmask_b32_e32 v8, 0x7e, v8, vcc_lo
; %bb.639:
	s_and_not1_saveexec_b32 s3, s3
; %bb.640:
	v_add_f32_e64 v8, 0x46800000, |v7|
; %bb.641:
	s_or_b32 exec_lo, exec_lo, s3
                                        ; implicit-def: $vgpr9
.LBB133_642:
	s_and_not1_saveexec_b32 s2, s2
; %bb.643:
	v_mov_b32_e32 v8, 0x7f
	v_cmp_lt_u32_e32 vcc_lo, 0x7f800000, v9
	s_delay_alu instid0(VALU_DEP_2)
	v_cndmask_b32_e32 v8, 0x7e, v8, vcc_lo
; %bb.644:
	s_or_b32 exec_lo, exec_lo, s2
	v_lshrrev_b32_e32 v7, 24, v7
	s_delay_alu instid0(VALU_DEP_1)
	v_and_or_b32 v7, 0x80, v7, v8
	global_store_b8 v[4:5], v7, off
.LBB133_645:
	s_mov_b32 s2, 0
.LBB133_646:
	s_delay_alu instid0(SALU_CYCLE_1)
	s_and_not1_b32 vcc_lo, exec_lo, s2
	s_cbranch_vccnz .LBB133_656
; %bb.647:
	v_cvt_f32_f64_e32 v7, v[0:1]
	s_mov_b32 s2, exec_lo
                                        ; implicit-def: $vgpr8
	s_delay_alu instid0(VALU_DEP_1) | instskip(NEXT) | instid1(VALU_DEP_1)
	v_and_b32_e32 v9, 0x7fffffff, v7
	v_cmpx_gt_u32_e32 0x47800000, v9
	s_xor_b32 s2, exec_lo, s2
	s_cbranch_execz .LBB133_653
; %bb.648:
	s_mov_b32 s3, exec_lo
                                        ; implicit-def: $vgpr8
	v_cmpx_lt_u32_e32 0x387fffff, v9
	s_xor_b32 s3, exec_lo, s3
; %bb.649:
	v_bfe_u32 v8, v7, 21, 1
	s_delay_alu instid0(VALU_DEP_1) | instskip(NEXT) | instid1(VALU_DEP_1)
	v_add3_u32 v8, v7, v8, 0x80fffff
	v_lshrrev_b32_e32 v8, 21, v8
; %bb.650:
	s_and_not1_saveexec_b32 s3, s3
; %bb.651:
	v_add_f32_e64 v8, 0x43000000, |v7|
; %bb.652:
	s_or_b32 exec_lo, exec_lo, s3
                                        ; implicit-def: $vgpr9
.LBB133_653:
	s_and_not1_saveexec_b32 s2, s2
; %bb.654:
	v_mov_b32_e32 v8, 0x7f
	v_cmp_lt_u32_e32 vcc_lo, 0x7f800000, v9
	s_delay_alu instid0(VALU_DEP_2)
	v_cndmask_b32_e32 v8, 0x7c, v8, vcc_lo
; %bb.655:
	s_or_b32 exec_lo, exec_lo, s2
	v_lshrrev_b32_e32 v7, 24, v7
	s_delay_alu instid0(VALU_DEP_1)
	v_and_or_b32 v7, 0x80, v7, v8
	global_store_b8 v[4:5], v7, off
.LBB133_656:
	s_mov_b32 s2, 0
.LBB133_657:
	s_delay_alu instid0(SALU_CYCLE_1)
	s_and_not1_b32 vcc_lo, exec_lo, s2
	s_mov_b32 s2, 0
	s_cbranch_vccnz .LBB133_664
; %bb.658:
	v_cmp_lt_i16_e32 vcc_lo, 14, v6
	s_mov_b32 s2, -1
	s_cbranch_vccz .LBB133_662
; %bb.659:
	v_cmp_eq_u16_e32 vcc_lo, 15, v6
	s_mov_b32 s0, -1
	s_cbranch_vccz .LBB133_661
; %bb.660:
	v_cvt_f32_f64_e32 v7, v[0:1]
	s_mov_b32 s0, 0
	s_delay_alu instid0(VALU_DEP_1) | instskip(SKIP_1) | instid1(VALU_DEP_2)
	v_bfe_u32 v8, v7, 16, 1
	v_cmp_o_f32_e32 vcc_lo, v7, v7
	v_add3_u32 v8, v7, v8, 0x7fff
	s_delay_alu instid0(VALU_DEP_1) | instskip(NEXT) | instid1(VALU_DEP_1)
	v_lshrrev_b32_e32 v8, 16, v8
	v_cndmask_b32_e32 v7, 0x7fc0, v8, vcc_lo
	global_store_b16 v[4:5], v7, off
.LBB133_661:
	s_mov_b32 s2, 0
.LBB133_662:
	s_delay_alu instid0(SALU_CYCLE_1)
	s_and_b32 vcc_lo, exec_lo, s2
	s_mov_b32 s2, 0
	s_cbranch_vccz .LBB133_664
; %bb.663:
	v_cmp_ne_u16_e64 s0, 11, v6
	s_mov_b32 s2, -1
.LBB133_664:
	s_delay_alu instid0(VALU_DEP_1)
	s_and_b32 vcc_lo, exec_lo, s0
	s_cbranch_vccnz .LBB133_1114
.LBB133_665:
	s_mov_b32 s0, 0
	s_branch .LBB133_667
.LBB133_666:
	s_mov_b32 s0, 0
	s_mov_b32 s2, 0
                                        ; implicit-def: $vgpr6
                                        ; implicit-def: $vgpr2_vgpr3
                                        ; implicit-def: $vgpr4_vgpr5
.LBB133_667:
	s_and_b32 s3, s0, exec_lo
	s_and_not1_b32 s0, s28, exec_lo
	s_and_b32 s1, s1, exec_lo
	s_and_b32 s49, s2, exec_lo
	s_or_b32 s28, s0, s1
.LBB133_668:
	s_or_b32 exec_lo, exec_lo, s29
	s_and_saveexec_b32 s0, s28
	s_cbranch_execz .LBB133_671
; %bb.669:
	; divergent unreachable
	s_or_b32 exec_lo, exec_lo, s0
	s_and_saveexec_b32 s0, s49
	s_delay_alu instid0(SALU_CYCLE_1)
	s_xor_b32 s1, exec_lo, s0
	s_cbranch_execnz .LBB133_672
.LBB133_670:
	s_or_b32 exec_lo, exec_lo, s1
	s_and_saveexec_b32 s0, s3
	s_cbranch_execnz .LBB133_673
	s_branch .LBB133_710
.LBB133_671:
	s_or_b32 exec_lo, exec_lo, s0
	s_and_saveexec_b32 s0, s49
	s_delay_alu instid0(SALU_CYCLE_1)
	s_xor_b32 s1, exec_lo, s0
	s_cbranch_execz .LBB133_670
.LBB133_672:
	v_cmp_neq_f64_e32 vcc_lo, 0, v[0:1]
	v_cmp_neq_f64_e64 s0, 0, v[2:3]
	s_delay_alu instid0(VALU_DEP_1) | instskip(NEXT) | instid1(SALU_CYCLE_1)
	s_or_b32 s0, vcc_lo, s0
	v_cndmask_b32_e64 v7, 0, 1, s0
	global_store_b8 v[4:5], v7, off
	s_or_b32 exec_lo, exec_lo, s1
	s_and_saveexec_b32 s0, s3
	s_cbranch_execz .LBB133_710
.LBB133_673:
	v_cmp_gt_i16_e32 vcc_lo, 5, v6
	s_mov_b32 s0, -1
	s_cbranch_vccnz .LBB133_694
; %bb.674:
	v_cmp_gt_i16_e32 vcc_lo, 8, v6
	s_cbranch_vccnz .LBB133_684
; %bb.675:
	v_cmp_gt_i16_e32 vcc_lo, 9, v6
	s_cbranch_vccnz .LBB133_681
; %bb.676:
	v_cmp_lt_i16_e32 vcc_lo, 9, v6
	s_cbranch_vccz .LBB133_678
; %bb.677:
	s_mov_b32 s0, 0
	global_store_b128 v[4:5], v[0:3], off
.LBB133_678:
	s_and_not1_b32 vcc_lo, exec_lo, s0
	s_cbranch_vccnz .LBB133_680
; %bb.679:
	v_cvt_f32_f64_e32 v7, v[0:1]
	v_cvt_f32_f64_e32 v8, v[2:3]
	global_store_b64 v[4:5], v[7:8], off
.LBB133_680:
	s_mov_b32 s0, 0
.LBB133_681:
	s_delay_alu instid0(SALU_CYCLE_1)
	s_and_not1_b32 vcc_lo, exec_lo, s0
	s_cbranch_vccnz .LBB133_683
; %bb.682:
	v_cvt_f32_f64_e32 v2, v[2:3]
	v_cvt_f32_f64_e32 v3, v[0:1]
	s_delay_alu instid0(VALU_DEP_2) | instskip(NEXT) | instid1(VALU_DEP_2)
	v_cvt_f16_f32_e32 v2, v2
	v_cvt_f16_f32_e32 v3, v3
	s_delay_alu instid0(VALU_DEP_2) | instskip(NEXT) | instid1(VALU_DEP_2)
	v_lshlrev_b32_e32 v2, 16, v2
	v_and_b32_e32 v3, 0xffff, v3
	s_delay_alu instid0(VALU_DEP_1)
	v_or_b32_e32 v2, v2, v3
	global_store_b32 v[4:5], v2, off
.LBB133_683:
	s_mov_b32 s0, 0
.LBB133_684:
	s_delay_alu instid0(SALU_CYCLE_1)
	s_and_not1_b32 vcc_lo, exec_lo, s0
	s_cbranch_vccnz .LBB133_693
; %bb.685:
	v_cmp_gt_i16_e32 vcc_lo, 6, v6
	s_mov_b32 s0, -1
	s_cbranch_vccnz .LBB133_691
; %bb.686:
	v_cmp_lt_i16_e32 vcc_lo, 6, v6
	s_cbranch_vccz .LBB133_688
; %bb.687:
	s_mov_b32 s0, 0
	global_store_b64 v[4:5], v[0:1], off
.LBB133_688:
	s_and_not1_b32 vcc_lo, exec_lo, s0
	s_cbranch_vccnz .LBB133_690
; %bb.689:
	v_cvt_f32_f64_e32 v2, v[0:1]
	global_store_b32 v[4:5], v2, off
.LBB133_690:
	s_mov_b32 s0, 0
.LBB133_691:
	s_delay_alu instid0(SALU_CYCLE_1)
	s_and_not1_b32 vcc_lo, exec_lo, s0
	s_cbranch_vccnz .LBB133_693
; %bb.692:
	v_cvt_f32_f64_e32 v2, v[0:1]
	s_delay_alu instid0(VALU_DEP_1)
	v_cvt_f16_f32_e32 v2, v2
	global_store_b16 v[4:5], v2, off
.LBB133_693:
	s_mov_b32 s0, 0
.LBB133_694:
	s_delay_alu instid0(SALU_CYCLE_1)
	s_and_not1_b32 vcc_lo, exec_lo, s0
	s_cbranch_vccnz .LBB133_710
; %bb.695:
	v_cmp_gt_i16_e32 vcc_lo, 2, v6
	s_mov_b32 s0, -1
	s_cbranch_vccnz .LBB133_705
; %bb.696:
	v_cmp_gt_i16_e32 vcc_lo, 3, v6
	s_cbranch_vccnz .LBB133_702
; %bb.697:
	v_cmp_lt_i16_e32 vcc_lo, 3, v6
	s_cbranch_vccz .LBB133_699
; %bb.698:
	v_trunc_f64_e32 v[2:3], v[0:1]
	s_mov_b32 s0, 0
	s_delay_alu instid0(VALU_DEP_1) | instskip(NEXT) | instid1(VALU_DEP_1)
	v_ldexp_f64 v[7:8], v[2:3], 0xffffffe0
	v_floor_f64_e32 v[7:8], v[7:8]
	s_delay_alu instid0(VALU_DEP_1) | instskip(SKIP_1) | instid1(VALU_DEP_2)
	v_fma_f64 v[2:3], 0xc1f00000, v[7:8], v[2:3]
	v_cvt_i32_f64_e32 v8, v[7:8]
	v_cvt_u32_f64_e32 v7, v[2:3]
	global_store_b64 v[4:5], v[7:8], off
.LBB133_699:
	s_and_not1_b32 vcc_lo, exec_lo, s0
	s_cbranch_vccnz .LBB133_701
; %bb.700:
	v_cvt_i32_f64_e32 v2, v[0:1]
	global_store_b32 v[4:5], v2, off
.LBB133_701:
	s_mov_b32 s0, 0
.LBB133_702:
	s_delay_alu instid0(SALU_CYCLE_1)
	s_and_not1_b32 vcc_lo, exec_lo, s0
	s_cbranch_vccnz .LBB133_704
; %bb.703:
	v_cvt_i32_f64_e32 v2, v[0:1]
	global_store_b16 v[4:5], v2, off
.LBB133_704:
	s_mov_b32 s0, 0
.LBB133_705:
	s_delay_alu instid0(SALU_CYCLE_1)
	s_and_not1_b32 vcc_lo, exec_lo, s0
	s_cbranch_vccnz .LBB133_710
; %bb.706:
	v_cmp_lt_i16_e32 vcc_lo, 0, v6
	s_mov_b32 s0, -1
	s_cbranch_vccz .LBB133_708
; %bb.707:
	v_cvt_i32_f64_e32 v2, v[0:1]
	s_mov_b32 s0, 0
	global_store_b8 v[4:5], v2, off
.LBB133_708:
	s_and_not1_b32 vcc_lo, exec_lo, s0
	s_cbranch_vccnz .LBB133_710
; %bb.709:
	v_trunc_f64_e32 v[0:1], v[0:1]
	s_delay_alu instid0(VALU_DEP_1) | instskip(NEXT) | instid1(VALU_DEP_1)
	v_ldexp_f64 v[2:3], v[0:1], 0xffffffe0
	v_floor_f64_e32 v[2:3], v[2:3]
	s_delay_alu instid0(VALU_DEP_1) | instskip(NEXT) | instid1(VALU_DEP_1)
	v_fma_f64 v[0:1], 0xc1f00000, v[2:3], v[0:1]
	v_cvt_u32_f64_e32 v0, v[0:1]
	global_store_b8 v[4:5], v0, off
	s_endpgm
.LBB133_710:
	s_endpgm
.LBB133_711:
	s_mov_b32 s4, -1
                                        ; implicit-def: $vgpr41
                                        ; implicit-def: $vgpr2
	s_branch .LBB133_716
.LBB133_712:
	v_mov_b32_e32 v0, v42
	v_mov_b32_e32 v2, 0
.LBB133_713:
	s_and_b32 s6, s6, 3
	s_delay_alu instid0(SALU_CYCLE_1)
	s_cmp_eq_u32 s6, 0
	s_cbranch_scc1 .LBB133_716
; %bb.714:
	s_lshl_b32 s0, s5, 3
	s_mul_i32 s2, s5, 12
	s_add_u32 s0, s0, s26
	s_addc_u32 s1, s27, 0
	s_add_u32 s0, s0, 0xc4
	s_addc_u32 s1, s1, 0
	;; [unrolled: 2-line block ×3, first 2 shown]
	.p2align	6
.LBB133_715:                            ; =>This Inner Loop Header: Depth=1
	s_clause 0x1
	s_load_b64 s[8:9], s[2:3], 0x4
	s_load_b32 s5, s[2:3], 0xc
	s_load_b64 s[10:11], s[0:1], 0x0
	s_add_u32 s2, s2, 12
	s_addc_u32 s3, s3, 0
	s_add_u32 s0, s0, 8
	s_addc_u32 s1, s1, 0
	s_add_i32 s6, s6, -1
	s_delay_alu instid0(SALU_CYCLE_1) | instskip(SKIP_2) | instid1(VALU_DEP_1)
	s_cmp_lg_u32 s6, 0
	s_waitcnt lgkmcnt(0)
	v_mul_hi_u32 v1, s9, v0
	v_add_nc_u32_e32 v1, v0, v1
	s_delay_alu instid0(VALU_DEP_1) | instskip(NEXT) | instid1(VALU_DEP_1)
	v_lshrrev_b32_e32 v1, s5, v1
	v_mul_lo_u32 v3, v1, s8
	s_delay_alu instid0(VALU_DEP_1) | instskip(NEXT) | instid1(VALU_DEP_1)
	v_sub_nc_u32_e32 v0, v0, v3
	v_mad_u64_u32 v[3:4], null, v0, s10, v[41:42]
	s_delay_alu instid0(VALU_DEP_1) | instskip(SKIP_1) | instid1(VALU_DEP_2)
	v_mad_u64_u32 v[4:5], null, v0, s11, v[2:3]
	v_dual_mov_b32 v0, v1 :: v_dual_mov_b32 v41, v3
	v_mov_b32_e32 v2, v4
	s_cbranch_scc1 .LBB133_715
.LBB133_716:
	s_and_not1_b32 vcc_lo, exec_lo, s4
	s_cbranch_vccnz .LBB133_719
; %bb.717:
	s_waitcnt lgkmcnt(0)
	v_mul_hi_u32 v0, s45, v42
	s_and_not1_b32 vcc_lo, exec_lo, s52
	s_delay_alu instid0(VALU_DEP_1) | instskip(NEXT) | instid1(VALU_DEP_1)
	v_add_nc_u32_e32 v0, v42, v0
	v_lshrrev_b32_e32 v0, s46, v0
	s_delay_alu instid0(VALU_DEP_1) | instskip(NEXT) | instid1(VALU_DEP_1)
	v_mul_lo_u32 v1, v0, s44
	v_sub_nc_u32_e32 v1, v42, v1
	s_delay_alu instid0(VALU_DEP_1)
	v_mul_lo_u32 v41, v1, s40
	v_mul_lo_u32 v2, v1, s41
	s_cbranch_vccnz .LBB133_719
; %bb.718:
	v_mul_hi_u32 v1, s28, v0
	s_delay_alu instid0(VALU_DEP_1) | instskip(NEXT) | instid1(VALU_DEP_1)
	v_add_nc_u32_e32 v1, v0, v1
	v_lshrrev_b32_e32 v1, s29, v1
	s_delay_alu instid0(VALU_DEP_1) | instskip(NEXT) | instid1(VALU_DEP_1)
	v_mul_lo_u32 v1, v1, s47
	v_sub_nc_u32_e32 v5, v0, v1
	s_delay_alu instid0(VALU_DEP_1) | instskip(SKIP_1) | instid1(VALU_DEP_1)
	v_mad_u64_u32 v[0:1], null, v5, s42, v[41:42]
	v_mad_u64_u32 v[3:4], null, v5, s43, v[2:3]
	v_dual_mov_b32 v41, v0 :: v_dual_mov_b32 v2, v3
.LBB133_719:
	s_waitcnt lgkmcnt(0)
	v_dual_mov_b32 v0, s38 :: v_dual_mov_b32 v1, s39
	v_mov_b32_e32 v3, v40
	s_getpc_b64 s[0:1]
	s_add_u32 s0, s0, _ZN2at6native6invokeIZZZNS0_17expm1_kernel_cudaERNS_18TensorIteratorBaseEENKUlvE_clEvENKUlvE1_clEvEUlN3c107complexIdEEE_j15function_traitsIS9_EEENT1_11result_typeERKT_PrKPcPKT0_PKNS6_10ScalarTypeEi@rel32@lo+4
	s_addc_u32 s1, s1, _ZN2at6native6invokeIZZZNS0_17expm1_kernel_cudaERNS_18TensorIteratorBaseEENKUlvE_clEvENKUlvE1_clEvEUlN3c107complexIdEEE_j15function_traitsIS9_EEENT1_11result_typeERKT_PrKPcPKT0_PKNS6_10ScalarTypeEi@rel32@hi+12
	s_delay_alu instid0(SALU_CYCLE_1) | instskip(SKIP_2) | instid1(VALU_DEP_1)
	s_swappc_b64 s[30:31], s[0:1]
	v_and_b32_e32 v6, 0xff, v43
	v_add_co_u32 v4, s0, s36, v41
	v_add_co_ci_u32_e64 v5, null, s37, 0, s0
	s_delay_alu instid0(VALU_DEP_3)
	v_cmp_gt_i16_e32 vcc_lo, 11, v6
	s_mov_b32 s1, 0
	s_mov_b32 s2, -1
	s_mov_b32 s0, s56
	s_cbranch_vccnz .LBB133_726
; %bb.720:
	v_cmp_lt_i16_e32 vcc_lo, 25, v6
	s_cbranch_vccz .LBB133_766
; %bb.721:
	v_cmp_lt_i16_e32 vcc_lo, 28, v6
	s_cbranch_vccz .LBB133_767
	;; [unrolled: 3-line block ×4, first 2 shown]
; %bb.724:
	v_cmp_eq_u16_e32 vcc_lo, 46, v6
	s_mov_b32 s2, 0
	s_mov_b32 s0, -1
	s_cbranch_vccz .LBB133_786
; %bb.725:
	v_cvt_f32_f64_e32 v7, v[2:3]
	v_cvt_f32_f64_e32 v8, v[0:1]
	s_mov_b32 s1, -1
	s_mov_b32 s0, 0
	s_delay_alu instid0(VALU_DEP_2) | instskip(NEXT) | instid1(VALU_DEP_2)
	v_bfe_u32 v9, v7, 16, 1
	v_bfe_u32 v10, v8, 16, 1
	v_cmp_o_f32_e32 vcc_lo, v7, v7
	s_delay_alu instid0(VALU_DEP_3) | instskip(NEXT) | instid1(VALU_DEP_3)
	v_add3_u32 v9, v7, v9, 0x7fff
	v_add3_u32 v10, v8, v10, 0x7fff
	s_delay_alu instid0(VALU_DEP_2) | instskip(NEXT) | instid1(VALU_DEP_2)
	v_and_b32_e32 v9, 0xffff0000, v9
	v_lshrrev_b32_e32 v10, 16, v10
	s_delay_alu instid0(VALU_DEP_2) | instskip(SKIP_1) | instid1(VALU_DEP_3)
	v_cndmask_b32_e32 v7, 0x7fc00000, v9, vcc_lo
	v_cmp_o_f32_e32 vcc_lo, v8, v8
	v_cndmask_b32_e32 v8, 0x7fc0, v10, vcc_lo
	s_delay_alu instid0(VALU_DEP_1)
	v_or_b32_e32 v7, v7, v8
	global_store_b32 v[4:5], v7, off
	s_branch .LBB133_786
.LBB133_726:
	s_and_b32 vcc_lo, exec_lo, s2
	s_cbranch_vccz .LBB133_855
; %bb.727:
	v_cmp_gt_i16_e32 vcc_lo, 5, v6
	s_mov_b32 s1, -1
	s_cbranch_vccnz .LBB133_748
; %bb.728:
	v_cmp_gt_i16_e32 vcc_lo, 8, v6
	s_cbranch_vccnz .LBB133_738
; %bb.729:
	v_cmp_gt_i16_e32 vcc_lo, 9, v6
	s_cbranch_vccnz .LBB133_735
; %bb.730:
	v_cmp_lt_i16_e32 vcc_lo, 9, v6
	s_cbranch_vccz .LBB133_732
; %bb.731:
	s_mov_b32 s1, 0
	global_store_b128 v[4:5], v[0:3], off
.LBB133_732:
	s_and_not1_b32 vcc_lo, exec_lo, s1
	s_cbranch_vccnz .LBB133_734
; %bb.733:
	v_cvt_f32_f64_e32 v7, v[0:1]
	v_cvt_f32_f64_e32 v8, v[2:3]
	global_store_b64 v[4:5], v[7:8], off
.LBB133_734:
	s_mov_b32 s1, 0
.LBB133_735:
	s_delay_alu instid0(SALU_CYCLE_1)
	s_and_not1_b32 vcc_lo, exec_lo, s1
	s_cbranch_vccnz .LBB133_737
; %bb.736:
	v_cvt_f32_f64_e32 v2, v[2:3]
	v_cvt_f32_f64_e32 v3, v[0:1]
	s_delay_alu instid0(VALU_DEP_2) | instskip(NEXT) | instid1(VALU_DEP_2)
	v_cvt_f16_f32_e32 v2, v2
	v_cvt_f16_f32_e32 v3, v3
	s_delay_alu instid0(VALU_DEP_2) | instskip(NEXT) | instid1(VALU_DEP_2)
	v_lshlrev_b32_e32 v2, 16, v2
	v_and_b32_e32 v3, 0xffff, v3
	s_delay_alu instid0(VALU_DEP_1)
	v_or_b32_e32 v2, v2, v3
	global_store_b32 v[4:5], v2, off
.LBB133_737:
	s_mov_b32 s1, 0
.LBB133_738:
	s_delay_alu instid0(SALU_CYCLE_1)
	s_and_not1_b32 vcc_lo, exec_lo, s1
	s_cbranch_vccnz .LBB133_747
; %bb.739:
	v_cmp_gt_i16_e32 vcc_lo, 6, v6
	s_mov_b32 s1, -1
	s_cbranch_vccnz .LBB133_745
; %bb.740:
	v_cmp_lt_i16_e32 vcc_lo, 6, v6
	s_cbranch_vccz .LBB133_742
; %bb.741:
	s_mov_b32 s1, 0
	global_store_b64 v[4:5], v[0:1], off
.LBB133_742:
	s_and_not1_b32 vcc_lo, exec_lo, s1
	s_cbranch_vccnz .LBB133_744
; %bb.743:
	v_cvt_f32_f64_e32 v2, v[0:1]
	global_store_b32 v[4:5], v2, off
.LBB133_744:
	s_mov_b32 s1, 0
.LBB133_745:
	s_delay_alu instid0(SALU_CYCLE_1)
	s_and_not1_b32 vcc_lo, exec_lo, s1
	s_cbranch_vccnz .LBB133_747
; %bb.746:
	v_cvt_f32_f64_e32 v2, v[0:1]
	s_delay_alu instid0(VALU_DEP_1)
	v_cvt_f16_f32_e32 v2, v2
	global_store_b16 v[4:5], v2, off
.LBB133_747:
	s_mov_b32 s1, 0
.LBB133_748:
	s_delay_alu instid0(SALU_CYCLE_1)
	s_and_not1_b32 vcc_lo, exec_lo, s1
	s_cbranch_vccnz .LBB133_764
; %bb.749:
	v_cmp_gt_i16_e32 vcc_lo, 2, v6
	s_mov_b32 s1, -1
	s_cbranch_vccnz .LBB133_759
; %bb.750:
	v_cmp_gt_i16_e32 vcc_lo, 3, v6
	s_cbranch_vccnz .LBB133_756
; %bb.751:
	v_cmp_lt_i16_e32 vcc_lo, 3, v6
	s_cbranch_vccz .LBB133_753
; %bb.752:
	v_trunc_f64_e32 v[2:3], v[0:1]
	s_mov_b32 s1, 0
	s_delay_alu instid0(VALU_DEP_1) | instskip(NEXT) | instid1(VALU_DEP_1)
	v_ldexp_f64 v[7:8], v[2:3], 0xffffffe0
	v_floor_f64_e32 v[7:8], v[7:8]
	s_delay_alu instid0(VALU_DEP_1) | instskip(SKIP_1) | instid1(VALU_DEP_2)
	v_fma_f64 v[2:3], 0xc1f00000, v[7:8], v[2:3]
	v_cvt_i32_f64_e32 v8, v[7:8]
	v_cvt_u32_f64_e32 v7, v[2:3]
	global_store_b64 v[4:5], v[7:8], off
.LBB133_753:
	s_and_not1_b32 vcc_lo, exec_lo, s1
	s_cbranch_vccnz .LBB133_755
; %bb.754:
	v_cvt_i32_f64_e32 v2, v[0:1]
	global_store_b32 v[4:5], v2, off
.LBB133_755:
	s_mov_b32 s1, 0
.LBB133_756:
	s_delay_alu instid0(SALU_CYCLE_1)
	s_and_not1_b32 vcc_lo, exec_lo, s1
	s_cbranch_vccnz .LBB133_758
; %bb.757:
	v_cvt_i32_f64_e32 v2, v[0:1]
	global_store_b16 v[4:5], v2, off
.LBB133_758:
	s_mov_b32 s1, 0
.LBB133_759:
	s_delay_alu instid0(SALU_CYCLE_1)
	s_and_not1_b32 vcc_lo, exec_lo, s1
	s_cbranch_vccnz .LBB133_764
; %bb.760:
	v_cmp_lt_i16_e32 vcc_lo, 0, v6
	s_mov_b32 s1, -1
	s_cbranch_vccz .LBB133_762
; %bb.761:
	v_cvt_i32_f64_e32 v2, v[0:1]
	s_mov_b32 s1, 0
	global_store_b8 v[4:5], v2, off
.LBB133_762:
	s_and_not1_b32 vcc_lo, exec_lo, s1
	s_cbranch_vccnz .LBB133_764
; %bb.763:
	v_trunc_f64_e32 v[0:1], v[0:1]
	s_delay_alu instid0(VALU_DEP_1) | instskip(NEXT) | instid1(VALU_DEP_1)
	v_ldexp_f64 v[2:3], v[0:1], 0xffffffe0
	v_floor_f64_e32 v[2:3], v[2:3]
	s_delay_alu instid0(VALU_DEP_1) | instskip(NEXT) | instid1(VALU_DEP_1)
	v_fma_f64 v[0:1], 0xc1f00000, v[2:3], v[0:1]
	v_cvt_u32_f64_e32 v0, v[0:1]
	global_store_b8 v[4:5], v0, off
.LBB133_764:
	s_branch .LBB133_856
.LBB133_765:
	s_mov_b32 s1, 0
                                        ; implicit-def: $vgpr42
	s_branch .LBB133_857
.LBB133_766:
	s_mov_b32 s0, s56
	s_branch .LBB133_813
.LBB133_767:
	s_mov_b32 s0, s56
	s_branch .LBB133_796
.LBB133_768:
	s_or_saveexec_b32 s4, s4
                                        ; implicit-def: $sgpr5
	s_delay_alu instid0(SALU_CYCLE_1)
	s_xor_b32 exec_lo, exec_lo, s4
	s_cbranch_execz .LBB133_264
.LBB133_769:
	v_add_f32_e64 v8, 0x46000000, |v7|
	s_and_not1_b32 s3, s3, exec_lo
	s_mov_b32 s5, 0
	s_delay_alu instid0(VALU_DEP_1) | instskip(NEXT) | instid1(VALU_DEP_1)
	v_and_b32_e32 v8, 0xff, v8
	v_cmp_ne_u32_e32 vcc_lo, 0, v8
	s_and_b32 s6, vcc_lo, exec_lo
	s_delay_alu instid0(SALU_CYCLE_1)
	s_or_b32 s3, s3, s6
	s_or_b32 exec_lo, exec_lo, s4
	v_mov_b32_e32 v9, s5
	s_and_saveexec_b32 s4, s3
	s_cbranch_execnz .LBB133_265
	s_branch .LBB133_266
.LBB133_770:
	s_cbranch_execnz .LBB133_779
; %bb.771:
	s_or_b32 s1, s28, exec_lo
	s_cbranch_execz .LBB133_312
	s_branch .LBB133_313
.LBB133_772:
	s_or_saveexec_b32 s3, s3
                                        ; implicit-def: $sgpr4
	s_delay_alu instid0(SALU_CYCLE_1)
	s_xor_b32 exec_lo, exec_lo, s3
	s_cbranch_execz .LBB133_43
.LBB133_773:
	v_add_f32_e64 v8, 0x46000000, |v7|
	s_and_not1_b32 s2, s2, exec_lo
	s_mov_b32 s4, 0
	s_delay_alu instid0(VALU_DEP_1) | instskip(NEXT) | instid1(VALU_DEP_1)
	v_and_b32_e32 v8, 0xff, v8
	v_cmp_ne_u32_e32 vcc_lo, 0, v8
	s_and_b32 s5, vcc_lo, exec_lo
	s_delay_alu instid0(SALU_CYCLE_1)
	s_or_b32 s2, s2, s5
	s_or_b32 exec_lo, exec_lo, s3
	v_mov_b32_e32 v9, s4
	s_and_saveexec_b32 s3, s2
	s_cbranch_execnz .LBB133_44
	s_branch .LBB133_45
.LBB133_774:
	s_mov_b32 s0, s56
	s_branch .LBB133_792
.LBB133_775:
	s_or_saveexec_b32 s3, s3
                                        ; implicit-def: $sgpr4
	s_delay_alu instid0(SALU_CYCLE_1)
	s_xor_b32 exec_lo, exec_lo, s3
	s_cbranch_execz .LBB133_277
.LBB133_776:
	v_add_f32_e64 v8, 0x42800000, |v7|
	s_and_not1_b32 s2, s2, exec_lo
	s_mov_b32 s4, 0
	s_delay_alu instid0(VALU_DEP_1) | instskip(NEXT) | instid1(VALU_DEP_1)
	v_and_b32_e32 v8, 0xff, v8
	v_cmp_ne_u32_e32 vcc_lo, 0, v8
	s_and_b32 s5, vcc_lo, exec_lo
	s_delay_alu instid0(SALU_CYCLE_1)
	s_or_b32 s2, s2, s5
	s_or_b32 exec_lo, exec_lo, s3
	v_mov_b32_e32 v9, s4
	s_and_saveexec_b32 s3, s2
	s_cbranch_execnz .LBB133_278
	s_branch .LBB133_279
.LBB133_777:
	s_or_saveexec_b32 s5, s5
                                        ; implicit-def: $sgpr6
	s_delay_alu instid0(SALU_CYCLE_1)
	s_xor_b32 exec_lo, exec_lo, s5
	s_cbranch_execz .LBB133_382
.LBB133_778:
	v_add_f32_e64 v8, 0x46000000, |v7|
	s_and_not1_b32 s4, s4, exec_lo
	s_mov_b32 s6, 0
	s_delay_alu instid0(VALU_DEP_1) | instskip(NEXT) | instid1(VALU_DEP_1)
	v_and_b32_e32 v8, 0xff, v8
	v_cmp_ne_u32_e32 vcc_lo, 0, v8
	s_and_b32 s7, vcc_lo, exec_lo
	s_delay_alu instid0(SALU_CYCLE_1)
	s_or_b32 s4, s4, s7
	s_or_b32 exec_lo, exec_lo, s5
	v_mov_b32_e32 v9, s6
	s_and_saveexec_b32 s5, s4
	s_cbranch_execnz .LBB133_383
	s_branch .LBB133_384
.LBB133_779:
	s_trap 2
	s_sendmsg_rtn_b32 s0, sendmsg(MSG_RTN_GET_DOORBELL)
	s_mov_b32 ttmp2, m0
	s_waitcnt lgkmcnt(0)
	s_and_b32 s0, s0, 0x3ff
	s_delay_alu instid0(SALU_CYCLE_1) | instskip(NEXT) | instid1(SALU_CYCLE_1)
	s_bitset1_b32 s0, 10
	s_mov_b32 m0, s0
	s_sendmsg sendmsg(MSG_INTERRUPT)
	s_mov_b32 m0, ttmp2
.LBB133_780:                            ; =>This Inner Loop Header: Depth=1
	s_sethalt 5
	s_branch .LBB133_780
.LBB133_781:
	s_cbranch_execnz .LBB133_929
; %bb.782:
	s_or_b32 s1, s1, exec_lo
	s_cbranch_execz .LBB133_430
	s_branch .LBB133_431
.LBB133_783:
	s_or_saveexec_b32 s3, s3
                                        ; implicit-def: $sgpr4
	s_delay_alu instid0(SALU_CYCLE_1)
	s_xor_b32 exec_lo, exec_lo, s3
	s_cbranch_execz .LBB133_56
.LBB133_784:
	v_add_f32_e64 v8, 0x42800000, |v7|
	s_and_not1_b32 s2, s2, exec_lo
	s_mov_b32 s4, 0
	s_delay_alu instid0(VALU_DEP_1) | instskip(NEXT) | instid1(VALU_DEP_1)
	v_and_b32_e32 v8, 0xff, v8
	v_cmp_ne_u32_e32 vcc_lo, 0, v8
	s_and_b32 s5, vcc_lo, exec_lo
	s_delay_alu instid0(SALU_CYCLE_1)
	s_or_b32 s2, s2, s5
	s_or_b32 exec_lo, exec_lo, s3
	v_mov_b32_e32 v9, s4
	s_and_saveexec_b32 s3, s2
	s_cbranch_execnz .LBB133_57
	s_branch .LBB133_58
.LBB133_785:
	s_mov_b32 s0, s56
.LBB133_786:
	s_and_b32 vcc_lo, exec_lo, s2
	s_cbranch_vccz .LBB133_791
; %bb.787:
	v_cmp_eq_u16_e32 vcc_lo, 44, v6
	s_mov_b32 s0, -1
	s_cbranch_vccz .LBB133_791
; %bb.788:
	v_cvt_f32_f64_e32 v7, v[0:1]
	v_mov_b32_e32 v8, 0xff
	s_mov_b32 s1, exec_lo
	s_delay_alu instid0(VALU_DEP_2) | instskip(NEXT) | instid1(VALU_DEP_1)
	v_bfe_u32 v9, v7, 23, 8
	v_cmpx_ne_u32_e32 0xff, v9
; %bb.789:
	v_and_b32_e32 v8, 0x400000, v7
	v_and_or_b32 v9, 0x3fffff, v7, v9
	v_lshrrev_b32_e32 v7, 23, v7
	s_delay_alu instid0(VALU_DEP_3) | instskip(NEXT) | instid1(VALU_DEP_3)
	v_cmp_ne_u32_e32 vcc_lo, 0, v8
	v_cmp_ne_u32_e64 s0, 0, v9
	s_delay_alu instid0(VALU_DEP_1) | instskip(NEXT) | instid1(SALU_CYCLE_1)
	s_and_b32 s0, vcc_lo, s0
	v_cndmask_b32_e64 v8, 0, 1, s0
	s_delay_alu instid0(VALU_DEP_1)
	v_add_nc_u32_e32 v8, v7, v8
; %bb.790:
	s_or_b32 exec_lo, exec_lo, s1
	s_mov_b32 s1, -1
	s_mov_b32 s0, 0
	global_store_b8 v[4:5], v8, off
.LBB133_791:
	s_mov_b32 s2, 0
.LBB133_792:
	s_delay_alu instid0(SALU_CYCLE_1)
	s_and_b32 vcc_lo, exec_lo, s2
	s_cbranch_vccz .LBB133_795
; %bb.793:
	v_cmp_eq_u16_e32 vcc_lo, 29, v6
	s_mov_b32 s0, -1
	s_cbranch_vccz .LBB133_795
; %bb.794:
	v_trunc_f64_e32 v[7:8], v[0:1]
	s_mov_b32 s1, -1
	s_mov_b32 s0, 0
	s_mov_b32 s2, 0
	s_delay_alu instid0(VALU_DEP_1) | instskip(NEXT) | instid1(VALU_DEP_1)
	v_ldexp_f64 v[9:10], v[7:8], 0xffffffe0
	v_floor_f64_e32 v[9:10], v[9:10]
	s_delay_alu instid0(VALU_DEP_1) | instskip(SKIP_1) | instid1(VALU_DEP_2)
	v_fma_f64 v[7:8], 0xc1f00000, v[9:10], v[7:8]
	v_cvt_u32_f64_e32 v9, v[9:10]
	v_cvt_u32_f64_e32 v8, v[7:8]
	global_store_b64 v[4:5], v[8:9], off
	s_branch .LBB133_796
.LBB133_795:
	s_mov_b32 s2, 0
.LBB133_796:
	s_delay_alu instid0(SALU_CYCLE_1)
	s_and_b32 vcc_lo, exec_lo, s2
	s_cbranch_vccz .LBB133_812
; %bb.797:
	v_cmp_gt_i16_e32 vcc_lo, 27, v6
	s_mov_b32 s1, -1
	s_cbranch_vccnz .LBB133_803
; %bb.798:
	v_cmp_lt_i16_e32 vcc_lo, 27, v6
	s_cbranch_vccz .LBB133_800
; %bb.799:
	v_cvt_u32_f64_e32 v7, v[0:1]
	s_mov_b32 s1, 0
	global_store_b32 v[4:5], v7, off
.LBB133_800:
	s_and_not1_b32 vcc_lo, exec_lo, s1
	s_cbranch_vccnz .LBB133_802
; %bb.801:
	v_cvt_u32_f64_e32 v7, v[0:1]
	global_store_b16 v[4:5], v7, off
.LBB133_802:
	s_mov_b32 s1, 0
.LBB133_803:
	s_delay_alu instid0(SALU_CYCLE_1)
	s_and_not1_b32 vcc_lo, exec_lo, s1
	s_cbranch_vccnz .LBB133_811
; %bb.804:
	v_cvt_f32_f64_e32 v7, v[0:1]
	v_mov_b32_e32 v9, 0x80
	s_mov_b32 s1, exec_lo
	s_delay_alu instid0(VALU_DEP_2) | instskip(NEXT) | instid1(VALU_DEP_1)
	v_and_b32_e32 v8, 0x7fffffff, v7
	v_cmpx_gt_u32_e32 0x43800000, v8
	s_cbranch_execz .LBB133_810
; %bb.805:
	v_cmp_lt_u32_e32 vcc_lo, 0x3bffffff, v8
	s_mov_b32 s2, 0
                                        ; implicit-def: $vgpr8
	s_and_saveexec_b32 s3, vcc_lo
	s_delay_alu instid0(SALU_CYCLE_1)
	s_xor_b32 s3, exec_lo, s3
	s_cbranch_execz .LBB133_922
; %bb.806:
	v_bfe_u32 v8, v7, 20, 1
	s_mov_b32 s2, exec_lo
	s_delay_alu instid0(VALU_DEP_1) | instskip(NEXT) | instid1(VALU_DEP_1)
	v_add3_u32 v8, v7, v8, 0x487ffff
	v_lshrrev_b32_e32 v8, 20, v8
	s_or_saveexec_b32 s3, s3
                                        ; implicit-def: $sgpr4
	s_delay_alu instid0(SALU_CYCLE_1)
	s_xor_b32 exec_lo, exec_lo, s3
	s_cbranch_execnz .LBB133_923
.LBB133_807:
	s_or_b32 exec_lo, exec_lo, s3
	v_mov_b32_e32 v9, s4
	s_and_saveexec_b32 s3, s2
.LBB133_808:
	v_lshrrev_b32_e32 v7, 24, v7
	s_delay_alu instid0(VALU_DEP_1)
	v_and_or_b32 v9, 0x80, v7, v8
.LBB133_809:
	s_or_b32 exec_lo, exec_lo, s3
.LBB133_810:
	s_delay_alu instid0(SALU_CYCLE_1)
	s_or_b32 exec_lo, exec_lo, s1
	global_store_b8 v[4:5], v9, off
.LBB133_811:
	s_mov_b32 s1, -1
.LBB133_812:
	s_mov_b32 s2, 0
.LBB133_813:
	s_delay_alu instid0(SALU_CYCLE_1)
	s_and_b32 vcc_lo, exec_lo, s2
	s_cbranch_vccz .LBB133_854
; %bb.814:
	v_cmp_lt_i16_e32 vcc_lo, 22, v6
	s_mov_b32 s2, -1
	s_cbranch_vccz .LBB133_846
; %bb.815:
	v_cmp_gt_i16_e32 vcc_lo, 24, v6
	s_mov_b32 s1, -1
	s_cbranch_vccnz .LBB133_835
; %bb.816:
	v_cmp_lt_i16_e32 vcc_lo, 24, v6
	s_cbranch_vccz .LBB133_824
; %bb.817:
	v_cvt_f32_f64_e32 v7, v[0:1]
	v_mov_b32_e32 v9, 0x80
	s_mov_b32 s1, exec_lo
	s_delay_alu instid0(VALU_DEP_2) | instskip(NEXT) | instid1(VALU_DEP_1)
	v_and_b32_e32 v8, 0x7fffffff, v7
	v_cmpx_gt_u32_e32 0x47800000, v8
	s_cbranch_execz .LBB133_823
; %bb.818:
	v_cmp_lt_u32_e32 vcc_lo, 0x37ffffff, v8
	s_mov_b32 s2, 0
                                        ; implicit-def: $vgpr8
	s_and_saveexec_b32 s3, vcc_lo
	s_delay_alu instid0(SALU_CYCLE_1)
	s_xor_b32 s3, exec_lo, s3
	s_cbranch_execz .LBB133_933
; %bb.819:
	v_bfe_u32 v8, v7, 21, 1
	s_mov_b32 s2, exec_lo
	s_delay_alu instid0(VALU_DEP_1) | instskip(NEXT) | instid1(VALU_DEP_1)
	v_add3_u32 v8, v7, v8, 0x88fffff
	v_lshrrev_b32_e32 v8, 21, v8
	s_or_saveexec_b32 s3, s3
                                        ; implicit-def: $sgpr4
	s_delay_alu instid0(SALU_CYCLE_1)
	s_xor_b32 exec_lo, exec_lo, s3
	s_cbranch_execnz .LBB133_934
.LBB133_820:
	s_or_b32 exec_lo, exec_lo, s3
	v_mov_b32_e32 v9, s4
	s_and_saveexec_b32 s3, s2
.LBB133_821:
	v_lshrrev_b32_e32 v7, 24, v7
	s_delay_alu instid0(VALU_DEP_1)
	v_and_or_b32 v9, 0x80, v7, v8
.LBB133_822:
	s_or_b32 exec_lo, exec_lo, s3
.LBB133_823:
	s_delay_alu instid0(SALU_CYCLE_1)
	s_or_b32 exec_lo, exec_lo, s1
	s_mov_b32 s1, 0
	global_store_b8 v[4:5], v9, off
.LBB133_824:
	s_and_b32 vcc_lo, exec_lo, s1
	s_cbranch_vccz .LBB133_834
; %bb.825:
	v_cvt_f32_f64_e32 v7, v[0:1]
	s_mov_b32 s1, exec_lo
                                        ; implicit-def: $vgpr8
	s_delay_alu instid0(VALU_DEP_1) | instskip(NEXT) | instid1(VALU_DEP_1)
	v_and_b32_e32 v9, 0x7fffffff, v7
	v_cmpx_gt_u32_e32 0x43f00000, v9
	s_xor_b32 s1, exec_lo, s1
	s_cbranch_execz .LBB133_831
; %bb.826:
	s_mov_b32 s2, exec_lo
                                        ; implicit-def: $vgpr8
	v_cmpx_lt_u32_e32 0x3c7fffff, v9
	s_xor_b32 s2, exec_lo, s2
; %bb.827:
	v_bfe_u32 v8, v7, 20, 1
	s_delay_alu instid0(VALU_DEP_1) | instskip(NEXT) | instid1(VALU_DEP_1)
	v_add3_u32 v8, v7, v8, 0x407ffff
	v_and_b32_e32 v9, 0xff00000, v8
	v_lshrrev_b32_e32 v8, 20, v8
	s_delay_alu instid0(VALU_DEP_2) | instskip(NEXT) | instid1(VALU_DEP_2)
	v_cmp_ne_u32_e32 vcc_lo, 0x7f00000, v9
	v_cndmask_b32_e32 v8, 0x7e, v8, vcc_lo
; %bb.828:
	s_and_not1_saveexec_b32 s2, s2
; %bb.829:
	v_add_f32_e64 v8, 0x46800000, |v7|
; %bb.830:
	s_or_b32 exec_lo, exec_lo, s2
                                        ; implicit-def: $vgpr9
.LBB133_831:
	s_and_not1_saveexec_b32 s1, s1
; %bb.832:
	v_mov_b32_e32 v8, 0x7f
	v_cmp_lt_u32_e32 vcc_lo, 0x7f800000, v9
	s_delay_alu instid0(VALU_DEP_2)
	v_cndmask_b32_e32 v8, 0x7e, v8, vcc_lo
; %bb.833:
	s_or_b32 exec_lo, exec_lo, s1
	v_lshrrev_b32_e32 v7, 24, v7
	s_delay_alu instid0(VALU_DEP_1)
	v_and_or_b32 v7, 0x80, v7, v8
	global_store_b8 v[4:5], v7, off
.LBB133_834:
	s_mov_b32 s1, 0
.LBB133_835:
	s_delay_alu instid0(SALU_CYCLE_1)
	s_and_not1_b32 vcc_lo, exec_lo, s1
	s_cbranch_vccnz .LBB133_845
; %bb.836:
	v_cvt_f32_f64_e32 v7, v[0:1]
	s_mov_b32 s1, exec_lo
                                        ; implicit-def: $vgpr8
	s_delay_alu instid0(VALU_DEP_1) | instskip(NEXT) | instid1(VALU_DEP_1)
	v_and_b32_e32 v9, 0x7fffffff, v7
	v_cmpx_gt_u32_e32 0x47800000, v9
	s_xor_b32 s1, exec_lo, s1
	s_cbranch_execz .LBB133_842
; %bb.837:
	s_mov_b32 s2, exec_lo
                                        ; implicit-def: $vgpr8
	v_cmpx_lt_u32_e32 0x387fffff, v9
	s_xor_b32 s2, exec_lo, s2
; %bb.838:
	v_bfe_u32 v8, v7, 21, 1
	s_delay_alu instid0(VALU_DEP_1) | instskip(NEXT) | instid1(VALU_DEP_1)
	v_add3_u32 v8, v7, v8, 0x80fffff
	v_lshrrev_b32_e32 v8, 21, v8
; %bb.839:
	s_and_not1_saveexec_b32 s2, s2
; %bb.840:
	v_add_f32_e64 v8, 0x43000000, |v7|
; %bb.841:
	s_or_b32 exec_lo, exec_lo, s2
                                        ; implicit-def: $vgpr9
.LBB133_842:
	s_and_not1_saveexec_b32 s1, s1
; %bb.843:
	v_mov_b32_e32 v8, 0x7f
	v_cmp_lt_u32_e32 vcc_lo, 0x7f800000, v9
	s_delay_alu instid0(VALU_DEP_2)
	v_cndmask_b32_e32 v8, 0x7c, v8, vcc_lo
; %bb.844:
	s_or_b32 exec_lo, exec_lo, s1
	v_lshrrev_b32_e32 v7, 24, v7
	s_delay_alu instid0(VALU_DEP_1)
	v_and_or_b32 v7, 0x80, v7, v8
	global_store_b8 v[4:5], v7, off
.LBB133_845:
	s_mov_b32 s2, 0
	s_mov_b32 s1, -1
.LBB133_846:
	s_and_not1_b32 vcc_lo, exec_lo, s2
	s_cbranch_vccnz .LBB133_854
; %bb.847:
	v_cmp_lt_i16_e32 vcc_lo, 14, v6
	s_mov_b32 s2, -1
	s_cbranch_vccz .LBB133_851
; %bb.848:
	v_cmp_eq_u16_e32 vcc_lo, 15, v6
	s_mov_b32 s0, -1
	s_cbranch_vccz .LBB133_850
; %bb.849:
	v_cvt_f32_f64_e32 v7, v[0:1]
	s_mov_b32 s1, -1
	s_mov_b32 s0, 0
	s_delay_alu instid0(VALU_DEP_1) | instskip(SKIP_1) | instid1(VALU_DEP_2)
	v_bfe_u32 v8, v7, 16, 1
	v_cmp_o_f32_e32 vcc_lo, v7, v7
	v_add3_u32 v8, v7, v8, 0x7fff
	s_delay_alu instid0(VALU_DEP_1) | instskip(NEXT) | instid1(VALU_DEP_1)
	v_lshrrev_b32_e32 v8, 16, v8
	v_cndmask_b32_e32 v7, 0x7fc0, v8, vcc_lo
	global_store_b16 v[4:5], v7, off
.LBB133_850:
	s_mov_b32 s2, 0
.LBB133_851:
	s_delay_alu instid0(SALU_CYCLE_1)
	s_and_b32 vcc_lo, exec_lo, s2
	s_cbranch_vccz .LBB133_854
; %bb.852:
	v_cmp_eq_u16_e32 vcc_lo, 11, v6
	s_mov_b32 s0, -1
	s_cbranch_vccz .LBB133_854
; %bb.853:
	v_cmp_neq_f64_e32 vcc_lo, 0, v[0:1]
	v_cmp_neq_f64_e64 s0, 0, v[2:3]
	s_mov_b32 s1, -1
	s_delay_alu instid0(VALU_DEP_1) | instskip(NEXT) | instid1(SALU_CYCLE_1)
	s_or_b32 s0, vcc_lo, s0
	v_cndmask_b32_e64 v7, 0, 1, s0
	s_mov_b32 s0, 0
	global_store_b8 v[4:5], v7, off
.LBB133_854:
.LBB133_855:
	s_and_not1_b32 vcc_lo, exec_lo, s1
	s_cbranch_vccnz .LBB133_765
.LBB133_856:
	v_add_nc_u32_e32 v42, 0x80, v42
	s_mov_b32 s1, -1
.LBB133_857:
	s_and_not1_b32 s2, s56, exec_lo
	s_and_b32 s0, s0, exec_lo
	s_delay_alu instid0(SALU_CYCLE_1)
	s_or_b32 s58, s2, s0
	s_or_not1_b32 s2, s1, exec_lo
.LBB133_858:
	s_or_b32 exec_lo, exec_lo, s59
	s_mov_b32 s0, 0
	s_mov_b32 s1, 0
                                        ; implicit-def: $vgpr6
                                        ; implicit-def: $vgpr2_vgpr3
                                        ; implicit-def: $vgpr4_vgpr5
	s_and_saveexec_b32 s59, s2
	s_cbranch_execz .LBB133_1101
; %bb.859:
	s_mov_b32 s2, -1
	s_mov_b32 s61, s58
	s_mov_b32 s60, exec_lo
	v_cmpx_gt_i32_e64 s53, v42
	s_cbranch_execz .LBB133_1008
; %bb.860:
	s_and_not1_b32 vcc_lo, exec_lo, s50
	s_cbranch_vccnz .LBB133_865
; %bb.861:
	v_dual_mov_b32 v41, 0 :: v_dual_mov_b32 v2, 0
	s_and_not1_b32 vcc_lo, exec_lo, s55
	s_mov_b32 s4, 0
	s_cbranch_vccnz .LBB133_870
; %bb.862:
	v_mov_b32_e32 v41, 0
	s_add_i32 s6, s54, 1
	s_cmp_eq_u32 s48, 2
	s_mov_b32 s5, 0
	s_cbranch_scc1 .LBB133_866
; %bb.863:
	v_dual_mov_b32 v2, 0 :: v_dual_mov_b32 v41, 0
	v_mov_b32_e32 v0, v42
	s_and_b32 s5, s6, 28
	s_mov_b32 s7, 0
	s_mov_b64 s[0:1], s[34:35]
	s_mov_b64 s[2:3], s[26:27]
.LBB133_864:                            ; =>This Inner Loop Header: Depth=1
	s_clause 0x1
	s_load_b256 s[8:15], s[2:3], 0x4
	s_load_b128 s[64:67], s[2:3], 0x24
	s_load_b256 s[16:23], s[0:1], 0x0
	s_add_u32 s2, s2, 48
	s_addc_u32 s3, s3, 0
	s_add_i32 s7, s7, 4
	s_add_u32 s0, s0, 32
	s_addc_u32 s1, s1, 0
	s_cmp_eq_u32 s5, s7
	s_waitcnt lgkmcnt(0)
	v_mul_hi_u32 v1, s9, v0
	s_delay_alu instid0(VALU_DEP_1) | instskip(NEXT) | instid1(VALU_DEP_1)
	v_add_nc_u32_e32 v1, v0, v1
	v_lshrrev_b32_e32 v1, s10, v1
	s_delay_alu instid0(VALU_DEP_1) | instskip(SKIP_1) | instid1(VALU_DEP_2)
	v_mul_hi_u32 v3, s12, v1
	v_mul_lo_u32 v5, v1, s8
	v_add_nc_u32_e32 v3, v1, v3
	s_delay_alu instid0(VALU_DEP_2) | instskip(NEXT) | instid1(VALU_DEP_2)
	v_sub_nc_u32_e32 v0, v0, v5
	v_lshrrev_b32_e32 v3, s13, v3
	s_delay_alu instid0(VALU_DEP_2) | instskip(SKIP_1) | instid1(VALU_DEP_3)
	v_mul_lo_u32 v5, v0, s16
	v_mul_lo_u32 v7, v0, s17
	v_mul_hi_u32 v4, s15, v3
	s_delay_alu instid0(VALU_DEP_1) | instskip(NEXT) | instid1(VALU_DEP_1)
	v_add_nc_u32_e32 v4, v3, v4
	v_lshrrev_b32_e32 v4, s64, v4
	s_delay_alu instid0(VALU_DEP_1) | instskip(SKIP_1) | instid1(VALU_DEP_2)
	v_mul_hi_u32 v6, s66, v4
	v_mul_lo_u32 v8, v4, s14
	v_add_nc_u32_e32 v0, v4, v6
	v_mul_lo_u32 v6, v3, s11
	s_delay_alu instid0(VALU_DEP_3) | instskip(NEXT) | instid1(VALU_DEP_3)
	v_sub_nc_u32_e32 v3, v3, v8
	v_lshrrev_b32_e32 v0, s67, v0
	s_delay_alu instid0(VALU_DEP_2) | instskip(SKIP_2) | instid1(VALU_DEP_4)
	v_mul_lo_u32 v8, v3, s20
	v_mul_lo_u32 v3, v3, s21
	v_sub_nc_u32_e32 v1, v1, v6
	v_mul_lo_u32 v9, v0, s65
	s_delay_alu instid0(VALU_DEP_2) | instskip(SKIP_1) | instid1(VALU_DEP_3)
	v_mul_lo_u32 v6, v1, s18
	v_mul_lo_u32 v1, v1, s19
	v_sub_nc_u32_e32 v4, v4, v9
	s_delay_alu instid0(VALU_DEP_3) | instskip(NEXT) | instid1(VALU_DEP_2)
	v_add3_u32 v5, v5, v41, v6
	v_mul_lo_u32 v9, v4, s22
	v_mul_lo_u32 v4, v4, s23
	v_add3_u32 v1, v7, v2, v1
	s_delay_alu instid0(VALU_DEP_3) | instskip(NEXT) | instid1(VALU_DEP_2)
	v_add3_u32 v41, v8, v5, v9
	v_add3_u32 v2, v3, v1, v4
	s_cbranch_scc0 .LBB133_864
	s_branch .LBB133_867
.LBB133_865:
	s_mov_b32 s4, -1
                                        ; implicit-def: $vgpr41
                                        ; implicit-def: $vgpr2
	s_branch .LBB133_870
.LBB133_866:
	v_mov_b32_e32 v0, v42
	v_mov_b32_e32 v2, 0
.LBB133_867:
	s_and_b32 s6, s6, 3
	s_delay_alu instid0(SALU_CYCLE_1)
	s_cmp_eq_u32 s6, 0
	s_cbranch_scc1 .LBB133_870
; %bb.868:
	s_lshl_b32 s0, s5, 3
	s_mul_i32 s2, s5, 12
	s_add_u32 s0, s0, s26
	s_addc_u32 s1, s27, 0
	s_add_u32 s0, s0, 0xc4
	s_addc_u32 s1, s1, 0
	;; [unrolled: 2-line block ×3, first 2 shown]
	.p2align	6
.LBB133_869:                            ; =>This Inner Loop Header: Depth=1
	s_clause 0x1
	s_load_b64 s[8:9], s[2:3], 0x4
	s_load_b32 s5, s[2:3], 0xc
	s_load_b64 s[10:11], s[0:1], 0x0
	s_add_u32 s2, s2, 12
	s_addc_u32 s3, s3, 0
	s_add_u32 s0, s0, 8
	s_addc_u32 s1, s1, 0
	s_add_i32 s6, s6, -1
	s_delay_alu instid0(SALU_CYCLE_1) | instskip(SKIP_2) | instid1(VALU_DEP_1)
	s_cmp_lg_u32 s6, 0
	s_waitcnt lgkmcnt(0)
	v_mul_hi_u32 v1, s9, v0
	v_add_nc_u32_e32 v1, v0, v1
	s_delay_alu instid0(VALU_DEP_1) | instskip(NEXT) | instid1(VALU_DEP_1)
	v_lshrrev_b32_e32 v1, s5, v1
	v_mul_lo_u32 v3, v1, s8
	s_delay_alu instid0(VALU_DEP_1) | instskip(NEXT) | instid1(VALU_DEP_1)
	v_sub_nc_u32_e32 v0, v0, v3
	v_mad_u64_u32 v[3:4], null, v0, s10, v[41:42]
	s_delay_alu instid0(VALU_DEP_1) | instskip(SKIP_1) | instid1(VALU_DEP_2)
	v_mad_u64_u32 v[4:5], null, v0, s11, v[2:3]
	v_dual_mov_b32 v0, v1 :: v_dual_mov_b32 v41, v3
	v_mov_b32_e32 v2, v4
	s_cbranch_scc1 .LBB133_869
.LBB133_870:
	s_and_not1_b32 vcc_lo, exec_lo, s4
	s_cbranch_vccnz .LBB133_873
; %bb.871:
	s_waitcnt lgkmcnt(0)
	v_mul_hi_u32 v0, s45, v42
	s_and_not1_b32 vcc_lo, exec_lo, s52
	s_delay_alu instid0(VALU_DEP_1) | instskip(NEXT) | instid1(VALU_DEP_1)
	v_add_nc_u32_e32 v0, v42, v0
	v_lshrrev_b32_e32 v0, s46, v0
	s_delay_alu instid0(VALU_DEP_1) | instskip(NEXT) | instid1(VALU_DEP_1)
	v_mul_lo_u32 v1, v0, s44
	v_sub_nc_u32_e32 v1, v42, v1
	s_delay_alu instid0(VALU_DEP_1)
	v_mul_lo_u32 v41, v1, s40
	v_mul_lo_u32 v2, v1, s41
	s_cbranch_vccnz .LBB133_873
; %bb.872:
	v_mul_hi_u32 v1, s28, v0
	s_delay_alu instid0(VALU_DEP_1) | instskip(NEXT) | instid1(VALU_DEP_1)
	v_add_nc_u32_e32 v1, v0, v1
	v_lshrrev_b32_e32 v1, s29, v1
	s_delay_alu instid0(VALU_DEP_1) | instskip(NEXT) | instid1(VALU_DEP_1)
	v_mul_lo_u32 v1, v1, s47
	v_sub_nc_u32_e32 v5, v0, v1
	s_delay_alu instid0(VALU_DEP_1) | instskip(SKIP_1) | instid1(VALU_DEP_1)
	v_mad_u64_u32 v[0:1], null, v5, s42, v[41:42]
	v_mad_u64_u32 v[3:4], null, v5, s43, v[2:3]
	v_dual_mov_b32 v41, v0 :: v_dual_mov_b32 v2, v3
.LBB133_873:
	s_waitcnt lgkmcnt(0)
	v_dual_mov_b32 v0, s38 :: v_dual_mov_b32 v1, s39
	v_mov_b32_e32 v3, v40
	s_getpc_b64 s[0:1]
	s_add_u32 s0, s0, _ZN2at6native6invokeIZZZNS0_17expm1_kernel_cudaERNS_18TensorIteratorBaseEENKUlvE_clEvENKUlvE1_clEvEUlN3c107complexIdEEE_j15function_traitsIS9_EEENT1_11result_typeERKT_PrKPcPKT0_PKNS6_10ScalarTypeEi@rel32@lo+4
	s_addc_u32 s1, s1, _ZN2at6native6invokeIZZZNS0_17expm1_kernel_cudaERNS_18TensorIteratorBaseEENKUlvE_clEvENKUlvE1_clEvEUlN3c107complexIdEEE_j15function_traitsIS9_EEENT1_11result_typeERKT_PrKPcPKT0_PKNS6_10ScalarTypeEi@rel32@hi+12
	s_delay_alu instid0(SALU_CYCLE_1) | instskip(SKIP_2) | instid1(VALU_DEP_1)
	s_swappc_b64 s[30:31], s[0:1]
	v_and_b32_e32 v6, 0xff, v43
	v_add_co_u32 v4, s0, s36, v41
	v_add_co_ci_u32_e64 v5, null, s37, 0, s0
	s_delay_alu instid0(VALU_DEP_3)
	v_cmp_gt_i16_e32 vcc_lo, 11, v6
	s_mov_b32 s1, 0
	s_mov_b32 s2, -1
	s_mov_b32 s0, s58
	s_cbranch_vccnz .LBB133_880
; %bb.874:
	v_cmp_lt_i16_e32 vcc_lo, 25, v6
	s_cbranch_vccz .LBB133_920
; %bb.875:
	v_cmp_lt_i16_e32 vcc_lo, 28, v6
	s_cbranch_vccz .LBB133_921
	;; [unrolled: 3-line block ×4, first 2 shown]
; %bb.878:
	v_cmp_eq_u16_e32 vcc_lo, 46, v6
	s_mov_b32 s2, 0
	s_mov_b32 s0, -1
	s_cbranch_vccz .LBB133_936
; %bb.879:
	v_cvt_f32_f64_e32 v7, v[2:3]
	v_cvt_f32_f64_e32 v8, v[0:1]
	s_mov_b32 s1, -1
	s_mov_b32 s0, 0
	s_delay_alu instid0(VALU_DEP_2) | instskip(NEXT) | instid1(VALU_DEP_2)
	v_bfe_u32 v9, v7, 16, 1
	v_bfe_u32 v10, v8, 16, 1
	v_cmp_o_f32_e32 vcc_lo, v7, v7
	s_delay_alu instid0(VALU_DEP_3) | instskip(NEXT) | instid1(VALU_DEP_3)
	v_add3_u32 v9, v7, v9, 0x7fff
	v_add3_u32 v10, v8, v10, 0x7fff
	s_delay_alu instid0(VALU_DEP_2) | instskip(NEXT) | instid1(VALU_DEP_2)
	v_and_b32_e32 v9, 0xffff0000, v9
	v_lshrrev_b32_e32 v10, 16, v10
	s_delay_alu instid0(VALU_DEP_2) | instskip(SKIP_1) | instid1(VALU_DEP_3)
	v_cndmask_b32_e32 v7, 0x7fc00000, v9, vcc_lo
	v_cmp_o_f32_e32 vcc_lo, v8, v8
	v_cndmask_b32_e32 v8, 0x7fc0, v10, vcc_lo
	s_delay_alu instid0(VALU_DEP_1)
	v_or_b32_e32 v7, v7, v8
	global_store_b32 v[4:5], v7, off
	s_branch .LBB133_936
.LBB133_880:
	s_and_b32 vcc_lo, exec_lo, s2
	s_cbranch_vccz .LBB133_1005
; %bb.881:
	v_cmp_gt_i16_e32 vcc_lo, 5, v6
	s_mov_b32 s1, -1
	s_cbranch_vccnz .LBB133_902
; %bb.882:
	v_cmp_gt_i16_e32 vcc_lo, 8, v6
	s_cbranch_vccnz .LBB133_892
; %bb.883:
	v_cmp_gt_i16_e32 vcc_lo, 9, v6
	s_cbranch_vccnz .LBB133_889
; %bb.884:
	v_cmp_lt_i16_e32 vcc_lo, 9, v6
	s_cbranch_vccz .LBB133_886
; %bb.885:
	s_mov_b32 s1, 0
	global_store_b128 v[4:5], v[0:3], off
.LBB133_886:
	s_and_not1_b32 vcc_lo, exec_lo, s1
	s_cbranch_vccnz .LBB133_888
; %bb.887:
	v_cvt_f32_f64_e32 v7, v[0:1]
	v_cvt_f32_f64_e32 v8, v[2:3]
	global_store_b64 v[4:5], v[7:8], off
.LBB133_888:
	s_mov_b32 s1, 0
.LBB133_889:
	s_delay_alu instid0(SALU_CYCLE_1)
	s_and_not1_b32 vcc_lo, exec_lo, s1
	s_cbranch_vccnz .LBB133_891
; %bb.890:
	v_cvt_f32_f64_e32 v2, v[2:3]
	v_cvt_f32_f64_e32 v3, v[0:1]
	s_delay_alu instid0(VALU_DEP_2) | instskip(NEXT) | instid1(VALU_DEP_2)
	v_cvt_f16_f32_e32 v2, v2
	v_cvt_f16_f32_e32 v3, v3
	s_delay_alu instid0(VALU_DEP_2) | instskip(NEXT) | instid1(VALU_DEP_2)
	v_lshlrev_b32_e32 v2, 16, v2
	v_and_b32_e32 v3, 0xffff, v3
	s_delay_alu instid0(VALU_DEP_1)
	v_or_b32_e32 v2, v2, v3
	global_store_b32 v[4:5], v2, off
.LBB133_891:
	s_mov_b32 s1, 0
.LBB133_892:
	s_delay_alu instid0(SALU_CYCLE_1)
	s_and_not1_b32 vcc_lo, exec_lo, s1
	s_cbranch_vccnz .LBB133_901
; %bb.893:
	v_cmp_gt_i16_e32 vcc_lo, 6, v6
	s_mov_b32 s1, -1
	s_cbranch_vccnz .LBB133_899
; %bb.894:
	v_cmp_lt_i16_e32 vcc_lo, 6, v6
	s_cbranch_vccz .LBB133_896
; %bb.895:
	s_mov_b32 s1, 0
	global_store_b64 v[4:5], v[0:1], off
.LBB133_896:
	s_and_not1_b32 vcc_lo, exec_lo, s1
	s_cbranch_vccnz .LBB133_898
; %bb.897:
	v_cvt_f32_f64_e32 v2, v[0:1]
	global_store_b32 v[4:5], v2, off
.LBB133_898:
	s_mov_b32 s1, 0
.LBB133_899:
	s_delay_alu instid0(SALU_CYCLE_1)
	s_and_not1_b32 vcc_lo, exec_lo, s1
	s_cbranch_vccnz .LBB133_901
; %bb.900:
	v_cvt_f32_f64_e32 v2, v[0:1]
	s_delay_alu instid0(VALU_DEP_1)
	v_cvt_f16_f32_e32 v2, v2
	global_store_b16 v[4:5], v2, off
.LBB133_901:
	s_mov_b32 s1, 0
.LBB133_902:
	s_delay_alu instid0(SALU_CYCLE_1)
	s_and_not1_b32 vcc_lo, exec_lo, s1
	s_cbranch_vccnz .LBB133_918
; %bb.903:
	v_cmp_gt_i16_e32 vcc_lo, 2, v6
	s_mov_b32 s1, -1
	s_cbranch_vccnz .LBB133_913
; %bb.904:
	v_cmp_gt_i16_e32 vcc_lo, 3, v6
	s_cbranch_vccnz .LBB133_910
; %bb.905:
	v_cmp_lt_i16_e32 vcc_lo, 3, v6
	s_cbranch_vccz .LBB133_907
; %bb.906:
	v_trunc_f64_e32 v[2:3], v[0:1]
	s_mov_b32 s1, 0
	s_delay_alu instid0(VALU_DEP_1) | instskip(NEXT) | instid1(VALU_DEP_1)
	v_ldexp_f64 v[7:8], v[2:3], 0xffffffe0
	v_floor_f64_e32 v[7:8], v[7:8]
	s_delay_alu instid0(VALU_DEP_1) | instskip(SKIP_1) | instid1(VALU_DEP_2)
	v_fma_f64 v[2:3], 0xc1f00000, v[7:8], v[2:3]
	v_cvt_i32_f64_e32 v8, v[7:8]
	v_cvt_u32_f64_e32 v7, v[2:3]
	global_store_b64 v[4:5], v[7:8], off
.LBB133_907:
	s_and_not1_b32 vcc_lo, exec_lo, s1
	s_cbranch_vccnz .LBB133_909
; %bb.908:
	v_cvt_i32_f64_e32 v2, v[0:1]
	global_store_b32 v[4:5], v2, off
.LBB133_909:
	s_mov_b32 s1, 0
.LBB133_910:
	s_delay_alu instid0(SALU_CYCLE_1)
	s_and_not1_b32 vcc_lo, exec_lo, s1
	s_cbranch_vccnz .LBB133_912
; %bb.911:
	v_cvt_i32_f64_e32 v2, v[0:1]
	global_store_b16 v[4:5], v2, off
.LBB133_912:
	s_mov_b32 s1, 0
.LBB133_913:
	s_delay_alu instid0(SALU_CYCLE_1)
	s_and_not1_b32 vcc_lo, exec_lo, s1
	s_cbranch_vccnz .LBB133_918
; %bb.914:
	v_cmp_lt_i16_e32 vcc_lo, 0, v6
	s_mov_b32 s1, -1
	s_cbranch_vccz .LBB133_916
; %bb.915:
	v_cvt_i32_f64_e32 v2, v[0:1]
	s_mov_b32 s1, 0
	global_store_b8 v[4:5], v2, off
.LBB133_916:
	s_and_not1_b32 vcc_lo, exec_lo, s1
	s_cbranch_vccnz .LBB133_918
; %bb.917:
	v_trunc_f64_e32 v[0:1], v[0:1]
	s_delay_alu instid0(VALU_DEP_1) | instskip(NEXT) | instid1(VALU_DEP_1)
	v_ldexp_f64 v[2:3], v[0:1], 0xffffffe0
	v_floor_f64_e32 v[2:3], v[2:3]
	s_delay_alu instid0(VALU_DEP_1) | instskip(NEXT) | instid1(VALU_DEP_1)
	v_fma_f64 v[0:1], 0xc1f00000, v[2:3], v[0:1]
	v_cvt_u32_f64_e32 v0, v[0:1]
	global_store_b8 v[4:5], v0, off
.LBB133_918:
	s_branch .LBB133_1006
.LBB133_919:
	s_mov_b32 s1, 0
                                        ; implicit-def: $vgpr42
	s_branch .LBB133_1007
.LBB133_920:
	s_mov_b32 s0, s58
	s_branch .LBB133_963
.LBB133_921:
	s_mov_b32 s0, s58
	s_branch .LBB133_946
.LBB133_922:
	s_or_saveexec_b32 s3, s3
                                        ; implicit-def: $sgpr4
	s_delay_alu instid0(SALU_CYCLE_1)
	s_xor_b32 exec_lo, exec_lo, s3
	s_cbranch_execz .LBB133_807
.LBB133_923:
	v_add_f32_e64 v8, 0x46000000, |v7|
	s_and_not1_b32 s2, s2, exec_lo
	s_mov_b32 s4, 0
	s_delay_alu instid0(VALU_DEP_1) | instskip(NEXT) | instid1(VALU_DEP_1)
	v_and_b32_e32 v8, 0xff, v8
	v_cmp_ne_u32_e32 vcc_lo, 0, v8
	s_and_b32 s5, vcc_lo, exec_lo
	s_delay_alu instid0(SALU_CYCLE_1)
	s_or_b32 s2, s2, s5
	s_or_b32 exec_lo, exec_lo, s3
	v_mov_b32_e32 v9, s4
	s_and_saveexec_b32 s3, s2
	s_cbranch_execnz .LBB133_808
	s_branch .LBB133_809
.LBB133_924:
	s_mov_b32 s0, s58
	s_branch .LBB133_942
.LBB133_925:
	s_or_saveexec_b32 s4, s4
                                        ; implicit-def: $sgpr5
	s_delay_alu instid0(SALU_CYCLE_1)
	s_xor_b32 exec_lo, exec_lo, s4
	s_cbranch_execz .LBB133_395
.LBB133_926:
	v_add_f32_e64 v8, 0x42800000, |v7|
	s_and_not1_b32 s3, s3, exec_lo
	s_mov_b32 s5, 0
	s_delay_alu instid0(VALU_DEP_1) | instskip(NEXT) | instid1(VALU_DEP_1)
	v_and_b32_e32 v8, 0xff, v8
	v_cmp_ne_u32_e32 vcc_lo, 0, v8
	s_and_b32 s6, vcc_lo, exec_lo
	s_delay_alu instid0(SALU_CYCLE_1)
	s_or_b32 s3, s3, s6
	s_or_b32 exec_lo, exec_lo, s4
	v_mov_b32_e32 v9, s5
	s_and_saveexec_b32 s4, s3
	s_cbranch_execnz .LBB133_396
	s_branch .LBB133_397
.LBB133_927:
	s_or_saveexec_b32 s5, s5
                                        ; implicit-def: $sgpr6
	s_delay_alu instid0(SALU_CYCLE_1)
	s_xor_b32 exec_lo, exec_lo, s5
	s_cbranch_execz .LBB133_500
.LBB133_928:
	v_add_f32_e64 v8, 0x46000000, |v7|
	s_and_not1_b32 s4, s4, exec_lo
	s_mov_b32 s6, 0
	s_delay_alu instid0(VALU_DEP_1) | instskip(NEXT) | instid1(VALU_DEP_1)
	v_and_b32_e32 v8, 0xff, v8
	v_cmp_ne_u32_e32 vcc_lo, 0, v8
	s_and_b32 s7, vcc_lo, exec_lo
	s_delay_alu instid0(SALU_CYCLE_1)
	s_or_b32 s4, s4, s7
	s_or_b32 exec_lo, exec_lo, s5
	v_mov_b32_e32 v9, s6
	s_and_saveexec_b32 s5, s4
	s_cbranch_execnz .LBB133_501
	s_branch .LBB133_502
.LBB133_929:
	s_trap 2
	s_sendmsg_rtn_b32 s0, sendmsg(MSG_RTN_GET_DOORBELL)
	s_mov_b32 ttmp2, m0
	s_waitcnt lgkmcnt(0)
	s_and_b32 s0, s0, 0x3ff
	s_delay_alu instid0(SALU_CYCLE_1) | instskip(NEXT) | instid1(SALU_CYCLE_1)
	s_bitset1_b32 s0, 10
	s_mov_b32 m0, s0
	s_sendmsg sendmsg(MSG_INTERRUPT)
	s_mov_b32 m0, ttmp2
.LBB133_930:                            ; =>This Inner Loop Header: Depth=1
	s_sethalt 5
	s_branch .LBB133_930
.LBB133_931:
	s_cbranch_execnz .LBB133_1112
; %bb.932:
	s_or_b32 s1, s1, exec_lo
	s_cbranch_execz .LBB133_548
	s_branch .LBB133_549
.LBB133_933:
	s_or_saveexec_b32 s3, s3
                                        ; implicit-def: $sgpr4
	s_delay_alu instid0(SALU_CYCLE_1)
	s_xor_b32 exec_lo, exec_lo, s3
	s_cbranch_execz .LBB133_820
.LBB133_934:
	v_add_f32_e64 v8, 0x42800000, |v7|
	s_and_not1_b32 s2, s2, exec_lo
	s_mov_b32 s4, 0
	s_delay_alu instid0(VALU_DEP_1) | instskip(NEXT) | instid1(VALU_DEP_1)
	v_and_b32_e32 v8, 0xff, v8
	v_cmp_ne_u32_e32 vcc_lo, 0, v8
	s_and_b32 s5, vcc_lo, exec_lo
	s_delay_alu instid0(SALU_CYCLE_1)
	s_or_b32 s2, s2, s5
	s_or_b32 exec_lo, exec_lo, s3
	v_mov_b32_e32 v9, s4
	s_and_saveexec_b32 s3, s2
	s_cbranch_execnz .LBB133_821
	s_branch .LBB133_822
.LBB133_935:
	s_mov_b32 s0, s58
.LBB133_936:
	s_and_b32 vcc_lo, exec_lo, s2
	s_cbranch_vccz .LBB133_941
; %bb.937:
	v_cmp_eq_u16_e32 vcc_lo, 44, v6
	s_mov_b32 s0, -1
	s_cbranch_vccz .LBB133_941
; %bb.938:
	v_cvt_f32_f64_e32 v7, v[0:1]
	v_mov_b32_e32 v8, 0xff
	s_mov_b32 s1, exec_lo
	s_delay_alu instid0(VALU_DEP_2) | instskip(NEXT) | instid1(VALU_DEP_1)
	v_bfe_u32 v9, v7, 23, 8
	v_cmpx_ne_u32_e32 0xff, v9
; %bb.939:
	v_and_b32_e32 v8, 0x400000, v7
	v_and_or_b32 v9, 0x3fffff, v7, v9
	v_lshrrev_b32_e32 v7, 23, v7
	s_delay_alu instid0(VALU_DEP_3) | instskip(NEXT) | instid1(VALU_DEP_3)
	v_cmp_ne_u32_e32 vcc_lo, 0, v8
	v_cmp_ne_u32_e64 s0, 0, v9
	s_delay_alu instid0(VALU_DEP_1) | instskip(NEXT) | instid1(SALU_CYCLE_1)
	s_and_b32 s0, vcc_lo, s0
	v_cndmask_b32_e64 v8, 0, 1, s0
	s_delay_alu instid0(VALU_DEP_1)
	v_add_nc_u32_e32 v8, v7, v8
; %bb.940:
	s_or_b32 exec_lo, exec_lo, s1
	s_mov_b32 s1, -1
	s_mov_b32 s0, 0
	global_store_b8 v[4:5], v8, off
.LBB133_941:
	s_mov_b32 s2, 0
.LBB133_942:
	s_delay_alu instid0(SALU_CYCLE_1)
	s_and_b32 vcc_lo, exec_lo, s2
	s_cbranch_vccz .LBB133_945
; %bb.943:
	v_cmp_eq_u16_e32 vcc_lo, 29, v6
	s_mov_b32 s0, -1
	s_cbranch_vccz .LBB133_945
; %bb.944:
	v_trunc_f64_e32 v[7:8], v[0:1]
	s_mov_b32 s1, -1
	s_mov_b32 s0, 0
	s_mov_b32 s2, 0
	s_delay_alu instid0(VALU_DEP_1) | instskip(NEXT) | instid1(VALU_DEP_1)
	v_ldexp_f64 v[9:10], v[7:8], 0xffffffe0
	v_floor_f64_e32 v[9:10], v[9:10]
	s_delay_alu instid0(VALU_DEP_1) | instskip(SKIP_1) | instid1(VALU_DEP_2)
	v_fma_f64 v[7:8], 0xc1f00000, v[9:10], v[7:8]
	v_cvt_u32_f64_e32 v9, v[9:10]
	v_cvt_u32_f64_e32 v8, v[7:8]
	global_store_b64 v[4:5], v[8:9], off
	s_branch .LBB133_946
.LBB133_945:
	s_mov_b32 s2, 0
.LBB133_946:
	s_delay_alu instid0(SALU_CYCLE_1)
	s_and_b32 vcc_lo, exec_lo, s2
	s_cbranch_vccz .LBB133_962
; %bb.947:
	v_cmp_gt_i16_e32 vcc_lo, 27, v6
	s_mov_b32 s1, -1
	s_cbranch_vccnz .LBB133_953
; %bb.948:
	v_cmp_lt_i16_e32 vcc_lo, 27, v6
	s_cbranch_vccz .LBB133_950
; %bb.949:
	v_cvt_u32_f64_e32 v7, v[0:1]
	s_mov_b32 s1, 0
	global_store_b32 v[4:5], v7, off
.LBB133_950:
	s_and_not1_b32 vcc_lo, exec_lo, s1
	s_cbranch_vccnz .LBB133_952
; %bb.951:
	v_cvt_u32_f64_e32 v7, v[0:1]
	global_store_b16 v[4:5], v7, off
.LBB133_952:
	s_mov_b32 s1, 0
.LBB133_953:
	s_delay_alu instid0(SALU_CYCLE_1)
	s_and_not1_b32 vcc_lo, exec_lo, s1
	s_cbranch_vccnz .LBB133_961
; %bb.954:
	v_cvt_f32_f64_e32 v7, v[0:1]
	v_mov_b32_e32 v9, 0x80
	s_mov_b32 s1, exec_lo
	s_delay_alu instid0(VALU_DEP_2) | instskip(NEXT) | instid1(VALU_DEP_1)
	v_and_b32_e32 v8, 0x7fffffff, v7
	v_cmpx_gt_u32_e32 0x43800000, v8
	s_cbranch_execz .LBB133_960
; %bb.955:
	v_cmp_lt_u32_e32 vcc_lo, 0x3bffffff, v8
	s_mov_b32 s2, 0
                                        ; implicit-def: $vgpr8
	s_and_saveexec_b32 s3, vcc_lo
	s_delay_alu instid0(SALU_CYCLE_1)
	s_xor_b32 s3, exec_lo, s3
	s_cbranch_execz .LBB133_1106
; %bb.956:
	v_bfe_u32 v8, v7, 20, 1
	s_mov_b32 s2, exec_lo
	s_delay_alu instid0(VALU_DEP_1) | instskip(NEXT) | instid1(VALU_DEP_1)
	v_add3_u32 v8, v7, v8, 0x487ffff
	v_lshrrev_b32_e32 v8, 20, v8
	s_or_saveexec_b32 s3, s3
                                        ; implicit-def: $sgpr4
	s_delay_alu instid0(SALU_CYCLE_1)
	s_xor_b32 exec_lo, exec_lo, s3
	s_cbranch_execnz .LBB133_1107
.LBB133_957:
	s_or_b32 exec_lo, exec_lo, s3
	v_mov_b32_e32 v9, s4
	s_and_saveexec_b32 s3, s2
.LBB133_958:
	v_lshrrev_b32_e32 v7, 24, v7
	s_delay_alu instid0(VALU_DEP_1)
	v_and_or_b32 v9, 0x80, v7, v8
.LBB133_959:
	s_or_b32 exec_lo, exec_lo, s3
.LBB133_960:
	s_delay_alu instid0(SALU_CYCLE_1)
	s_or_b32 exec_lo, exec_lo, s1
	global_store_b8 v[4:5], v9, off
.LBB133_961:
	s_mov_b32 s1, -1
.LBB133_962:
	s_mov_b32 s2, 0
.LBB133_963:
	s_delay_alu instid0(SALU_CYCLE_1)
	s_and_b32 vcc_lo, exec_lo, s2
	s_cbranch_vccz .LBB133_1004
; %bb.964:
	v_cmp_lt_i16_e32 vcc_lo, 22, v6
	s_mov_b32 s2, -1
	s_cbranch_vccz .LBB133_996
; %bb.965:
	v_cmp_gt_i16_e32 vcc_lo, 24, v6
	s_mov_b32 s1, -1
	s_cbranch_vccnz .LBB133_985
; %bb.966:
	v_cmp_lt_i16_e32 vcc_lo, 24, v6
	s_cbranch_vccz .LBB133_974
; %bb.967:
	v_cvt_f32_f64_e32 v7, v[0:1]
	v_mov_b32_e32 v9, 0x80
	s_mov_b32 s1, exec_lo
	s_delay_alu instid0(VALU_DEP_2) | instskip(NEXT) | instid1(VALU_DEP_1)
	v_and_b32_e32 v8, 0x7fffffff, v7
	v_cmpx_gt_u32_e32 0x47800000, v8
	s_cbranch_execz .LBB133_973
; %bb.968:
	v_cmp_lt_u32_e32 vcc_lo, 0x37ffffff, v8
	s_mov_b32 s2, 0
                                        ; implicit-def: $vgpr8
	s_and_saveexec_b32 s3, vcc_lo
	s_delay_alu instid0(SALU_CYCLE_1)
	s_xor_b32 s3, exec_lo, s3
	s_cbranch_execz .LBB133_1116
; %bb.969:
	v_bfe_u32 v8, v7, 21, 1
	s_mov_b32 s2, exec_lo
	s_delay_alu instid0(VALU_DEP_1) | instskip(NEXT) | instid1(VALU_DEP_1)
	v_add3_u32 v8, v7, v8, 0x88fffff
	v_lshrrev_b32_e32 v8, 21, v8
	s_or_saveexec_b32 s3, s3
                                        ; implicit-def: $sgpr4
	s_delay_alu instid0(SALU_CYCLE_1)
	s_xor_b32 exec_lo, exec_lo, s3
	s_cbranch_execnz .LBB133_1117
.LBB133_970:
	s_or_b32 exec_lo, exec_lo, s3
	v_mov_b32_e32 v9, s4
	s_and_saveexec_b32 s3, s2
.LBB133_971:
	v_lshrrev_b32_e32 v7, 24, v7
	s_delay_alu instid0(VALU_DEP_1)
	v_and_or_b32 v9, 0x80, v7, v8
.LBB133_972:
	s_or_b32 exec_lo, exec_lo, s3
.LBB133_973:
	s_delay_alu instid0(SALU_CYCLE_1)
	s_or_b32 exec_lo, exec_lo, s1
	s_mov_b32 s1, 0
	global_store_b8 v[4:5], v9, off
.LBB133_974:
	s_and_b32 vcc_lo, exec_lo, s1
	s_cbranch_vccz .LBB133_984
; %bb.975:
	v_cvt_f32_f64_e32 v7, v[0:1]
	s_mov_b32 s1, exec_lo
                                        ; implicit-def: $vgpr8
	s_delay_alu instid0(VALU_DEP_1) | instskip(NEXT) | instid1(VALU_DEP_1)
	v_and_b32_e32 v9, 0x7fffffff, v7
	v_cmpx_gt_u32_e32 0x43f00000, v9
	s_xor_b32 s1, exec_lo, s1
	s_cbranch_execz .LBB133_981
; %bb.976:
	s_mov_b32 s2, exec_lo
                                        ; implicit-def: $vgpr8
	v_cmpx_lt_u32_e32 0x3c7fffff, v9
	s_xor_b32 s2, exec_lo, s2
; %bb.977:
	v_bfe_u32 v8, v7, 20, 1
	s_delay_alu instid0(VALU_DEP_1) | instskip(NEXT) | instid1(VALU_DEP_1)
	v_add3_u32 v8, v7, v8, 0x407ffff
	v_and_b32_e32 v9, 0xff00000, v8
	v_lshrrev_b32_e32 v8, 20, v8
	s_delay_alu instid0(VALU_DEP_2) | instskip(NEXT) | instid1(VALU_DEP_2)
	v_cmp_ne_u32_e32 vcc_lo, 0x7f00000, v9
	v_cndmask_b32_e32 v8, 0x7e, v8, vcc_lo
; %bb.978:
	s_and_not1_saveexec_b32 s2, s2
; %bb.979:
	v_add_f32_e64 v8, 0x46800000, |v7|
; %bb.980:
	s_or_b32 exec_lo, exec_lo, s2
                                        ; implicit-def: $vgpr9
.LBB133_981:
	s_and_not1_saveexec_b32 s1, s1
; %bb.982:
	v_mov_b32_e32 v8, 0x7f
	v_cmp_lt_u32_e32 vcc_lo, 0x7f800000, v9
	s_delay_alu instid0(VALU_DEP_2)
	v_cndmask_b32_e32 v8, 0x7e, v8, vcc_lo
; %bb.983:
	s_or_b32 exec_lo, exec_lo, s1
	v_lshrrev_b32_e32 v7, 24, v7
	s_delay_alu instid0(VALU_DEP_1)
	v_and_or_b32 v7, 0x80, v7, v8
	global_store_b8 v[4:5], v7, off
.LBB133_984:
	s_mov_b32 s1, 0
.LBB133_985:
	s_delay_alu instid0(SALU_CYCLE_1)
	s_and_not1_b32 vcc_lo, exec_lo, s1
	s_cbranch_vccnz .LBB133_995
; %bb.986:
	v_cvt_f32_f64_e32 v7, v[0:1]
	s_mov_b32 s1, exec_lo
                                        ; implicit-def: $vgpr8
	s_delay_alu instid0(VALU_DEP_1) | instskip(NEXT) | instid1(VALU_DEP_1)
	v_and_b32_e32 v9, 0x7fffffff, v7
	v_cmpx_gt_u32_e32 0x47800000, v9
	s_xor_b32 s1, exec_lo, s1
	s_cbranch_execz .LBB133_992
; %bb.987:
	s_mov_b32 s2, exec_lo
                                        ; implicit-def: $vgpr8
	v_cmpx_lt_u32_e32 0x387fffff, v9
	s_xor_b32 s2, exec_lo, s2
; %bb.988:
	v_bfe_u32 v8, v7, 21, 1
	s_delay_alu instid0(VALU_DEP_1) | instskip(NEXT) | instid1(VALU_DEP_1)
	v_add3_u32 v8, v7, v8, 0x80fffff
	v_lshrrev_b32_e32 v8, 21, v8
; %bb.989:
	s_and_not1_saveexec_b32 s2, s2
; %bb.990:
	v_add_f32_e64 v8, 0x43000000, |v7|
; %bb.991:
	s_or_b32 exec_lo, exec_lo, s2
                                        ; implicit-def: $vgpr9
.LBB133_992:
	s_and_not1_saveexec_b32 s1, s1
; %bb.993:
	v_mov_b32_e32 v8, 0x7f
	v_cmp_lt_u32_e32 vcc_lo, 0x7f800000, v9
	s_delay_alu instid0(VALU_DEP_2)
	v_cndmask_b32_e32 v8, 0x7c, v8, vcc_lo
; %bb.994:
	s_or_b32 exec_lo, exec_lo, s1
	v_lshrrev_b32_e32 v7, 24, v7
	s_delay_alu instid0(VALU_DEP_1)
	v_and_or_b32 v7, 0x80, v7, v8
	global_store_b8 v[4:5], v7, off
.LBB133_995:
	s_mov_b32 s2, 0
	s_mov_b32 s1, -1
.LBB133_996:
	s_and_not1_b32 vcc_lo, exec_lo, s2
	s_cbranch_vccnz .LBB133_1004
; %bb.997:
	v_cmp_lt_i16_e32 vcc_lo, 14, v6
	s_mov_b32 s2, -1
	s_cbranch_vccz .LBB133_1001
; %bb.998:
	v_cmp_eq_u16_e32 vcc_lo, 15, v6
	s_mov_b32 s0, -1
	s_cbranch_vccz .LBB133_1000
; %bb.999:
	v_cvt_f32_f64_e32 v7, v[0:1]
	s_mov_b32 s1, -1
	s_mov_b32 s0, 0
	s_delay_alu instid0(VALU_DEP_1) | instskip(SKIP_1) | instid1(VALU_DEP_2)
	v_bfe_u32 v8, v7, 16, 1
	v_cmp_o_f32_e32 vcc_lo, v7, v7
	v_add3_u32 v8, v7, v8, 0x7fff
	s_delay_alu instid0(VALU_DEP_1) | instskip(NEXT) | instid1(VALU_DEP_1)
	v_lshrrev_b32_e32 v8, 16, v8
	v_cndmask_b32_e32 v7, 0x7fc0, v8, vcc_lo
	global_store_b16 v[4:5], v7, off
.LBB133_1000:
	s_mov_b32 s2, 0
.LBB133_1001:
	s_delay_alu instid0(SALU_CYCLE_1)
	s_and_b32 vcc_lo, exec_lo, s2
	s_cbranch_vccz .LBB133_1004
; %bb.1002:
	v_cmp_eq_u16_e32 vcc_lo, 11, v6
	s_mov_b32 s0, -1
	s_cbranch_vccz .LBB133_1004
; %bb.1003:
	v_cmp_neq_f64_e32 vcc_lo, 0, v[0:1]
	v_cmp_neq_f64_e64 s0, 0, v[2:3]
	s_mov_b32 s1, -1
	s_delay_alu instid0(VALU_DEP_1) | instskip(NEXT) | instid1(SALU_CYCLE_1)
	s_or_b32 s0, vcc_lo, s0
	v_cndmask_b32_e64 v7, 0, 1, s0
	s_mov_b32 s0, 0
	global_store_b8 v[4:5], v7, off
.LBB133_1004:
.LBB133_1005:
	s_and_not1_b32 vcc_lo, exec_lo, s1
	s_cbranch_vccnz .LBB133_919
.LBB133_1006:
	v_add_nc_u32_e32 v42, 0x80, v42
	s_mov_b32 s1, -1
.LBB133_1007:
	s_and_not1_b32 s2, s58, exec_lo
	s_and_b32 s0, s0, exec_lo
	s_delay_alu instid0(SALU_CYCLE_1)
	s_or_b32 s61, s2, s0
	s_or_not1_b32 s2, s1, exec_lo
.LBB133_1008:
	s_or_b32 exec_lo, exec_lo, s60
	s_mov_b32 s0, 0
	s_mov_b32 s1, 0
                                        ; implicit-def: $vgpr6
                                        ; implicit-def: $vgpr2_vgpr3
                                        ; implicit-def: $vgpr4_vgpr5
	s_and_saveexec_b32 s60, s2
	s_cbranch_execz .LBB133_1100
; %bb.1009:
	v_cmp_gt_i32_e32 vcc_lo, s53, v42
	s_mov_b32 s2, s61
                                        ; implicit-def: $vgpr6
                                        ; implicit-def: $vgpr2_vgpr3
                                        ; implicit-def: $vgpr4_vgpr5
	s_and_saveexec_b32 s53, vcc_lo
	s_cbranch_execz .LBB133_1099
; %bb.1010:
	s_and_not1_b32 vcc_lo, exec_lo, s50
	s_cbranch_vccnz .LBB133_1015
; %bb.1011:
	v_dual_mov_b32 v41, 0 :: v_dual_mov_b32 v2, 0
	s_and_not1_b32 vcc_lo, exec_lo, s55
	s_mov_b32 s4, 0
	s_cbranch_vccnz .LBB133_1020
; %bb.1012:
	v_mov_b32_e32 v41, 0
	s_add_i32 s54, s54, 1
	s_cmp_eq_u32 s48, 2
	s_mov_b32 s2, 0
	s_cbranch_scc1 .LBB133_1016
; %bb.1013:
	v_dual_mov_b32 v2, 0 :: v_dual_mov_b32 v41, 0
	v_mov_b32_e32 v0, v42
	s_and_b32 s2, s54, 28
	s_mov_b32 s3, 0
	s_mov_b64 s[0:1], s[26:27]
.LBB133_1014:                           ; =>This Inner Loop Header: Depth=1
	s_clause 0x1
	s_load_b256 s[8:15], s[0:1], 0x4
	s_load_b128 s[64:67], s[0:1], 0x24
	s_load_b256 s[16:23], s[34:35], 0x0
	s_add_u32 s0, s0, 48
	s_addc_u32 s1, s1, 0
	s_add_i32 s3, s3, 4
	s_add_u32 s34, s34, 32
	s_addc_u32 s35, s35, 0
	s_cmp_eq_u32 s2, s3
	s_waitcnt lgkmcnt(0)
	v_mul_hi_u32 v1, s9, v0
	s_delay_alu instid0(VALU_DEP_1) | instskip(NEXT) | instid1(VALU_DEP_1)
	v_add_nc_u32_e32 v1, v0, v1
	v_lshrrev_b32_e32 v1, s10, v1
	s_delay_alu instid0(VALU_DEP_1) | instskip(SKIP_1) | instid1(VALU_DEP_2)
	v_mul_hi_u32 v3, s12, v1
	v_mul_lo_u32 v5, v1, s8
	v_add_nc_u32_e32 v3, v1, v3
	s_delay_alu instid0(VALU_DEP_2) | instskip(NEXT) | instid1(VALU_DEP_2)
	v_sub_nc_u32_e32 v0, v0, v5
	v_lshrrev_b32_e32 v3, s13, v3
	s_delay_alu instid0(VALU_DEP_2) | instskip(SKIP_1) | instid1(VALU_DEP_3)
	v_mul_lo_u32 v5, v0, s16
	v_mul_lo_u32 v7, v0, s17
	v_mul_hi_u32 v4, s15, v3
	s_delay_alu instid0(VALU_DEP_1) | instskip(NEXT) | instid1(VALU_DEP_1)
	v_add_nc_u32_e32 v4, v3, v4
	v_lshrrev_b32_e32 v4, s64, v4
	s_delay_alu instid0(VALU_DEP_1) | instskip(SKIP_1) | instid1(VALU_DEP_2)
	v_mul_hi_u32 v6, s66, v4
	v_mul_lo_u32 v8, v4, s14
	v_add_nc_u32_e32 v0, v4, v6
	v_mul_lo_u32 v6, v3, s11
	s_delay_alu instid0(VALU_DEP_3) | instskip(NEXT) | instid1(VALU_DEP_3)
	v_sub_nc_u32_e32 v3, v3, v8
	v_lshrrev_b32_e32 v0, s67, v0
	s_delay_alu instid0(VALU_DEP_2) | instskip(SKIP_2) | instid1(VALU_DEP_4)
	v_mul_lo_u32 v8, v3, s20
	v_mul_lo_u32 v3, v3, s21
	v_sub_nc_u32_e32 v1, v1, v6
	v_mul_lo_u32 v9, v0, s65
	s_delay_alu instid0(VALU_DEP_2) | instskip(SKIP_1) | instid1(VALU_DEP_3)
	v_mul_lo_u32 v6, v1, s18
	v_mul_lo_u32 v1, v1, s19
	v_sub_nc_u32_e32 v4, v4, v9
	s_delay_alu instid0(VALU_DEP_3) | instskip(NEXT) | instid1(VALU_DEP_2)
	v_add3_u32 v5, v5, v41, v6
	v_mul_lo_u32 v9, v4, s22
	v_mul_lo_u32 v4, v4, s23
	v_add3_u32 v1, v7, v2, v1
	s_delay_alu instid0(VALU_DEP_3) | instskip(NEXT) | instid1(VALU_DEP_2)
	v_add3_u32 v41, v8, v5, v9
	v_add3_u32 v2, v3, v1, v4
	s_cbranch_scc0 .LBB133_1014
	s_branch .LBB133_1017
.LBB133_1015:
	s_mov_b32 s4, -1
                                        ; implicit-def: $vgpr41
                                        ; implicit-def: $vgpr2
	s_branch .LBB133_1020
.LBB133_1016:
	v_mov_b32_e32 v0, v42
	v_mov_b32_e32 v2, 0
.LBB133_1017:
	s_and_b32 s5, s54, 3
	s_delay_alu instid0(SALU_CYCLE_1)
	s_cmp_eq_u32 s5, 0
	s_cbranch_scc1 .LBB133_1020
; %bb.1018:
	s_lshl_b32 s0, s2, 3
	s_mul_i32 s2, s2, 12
	s_add_u32 s0, s0, s26
	s_addc_u32 s1, s27, 0
	s_add_u32 s0, s0, 0xc4
	s_addc_u32 s1, s1, 0
	;; [unrolled: 2-line block ×3, first 2 shown]
.LBB133_1019:                           ; =>This Inner Loop Header: Depth=1
	s_clause 0x1
	s_load_b64 s[6:7], s[2:3], 0x4
	s_load_b32 s10, s[2:3], 0xc
	s_load_b64 s[8:9], s[0:1], 0x0
	s_add_u32 s2, s2, 12
	s_addc_u32 s3, s3, 0
	s_add_u32 s0, s0, 8
	s_addc_u32 s1, s1, 0
	s_add_i32 s5, s5, -1
	s_delay_alu instid0(SALU_CYCLE_1) | instskip(SKIP_2) | instid1(VALU_DEP_1)
	s_cmp_lg_u32 s5, 0
	s_waitcnt lgkmcnt(0)
	v_mul_hi_u32 v1, s7, v0
	v_add_nc_u32_e32 v1, v0, v1
	s_delay_alu instid0(VALU_DEP_1) | instskip(NEXT) | instid1(VALU_DEP_1)
	v_lshrrev_b32_e32 v1, s10, v1
	v_mul_lo_u32 v3, v1, s6
	s_delay_alu instid0(VALU_DEP_1) | instskip(NEXT) | instid1(VALU_DEP_1)
	v_sub_nc_u32_e32 v0, v0, v3
	v_mad_u64_u32 v[3:4], null, v0, s8, v[41:42]
	s_delay_alu instid0(VALU_DEP_1) | instskip(SKIP_1) | instid1(VALU_DEP_2)
	v_mad_u64_u32 v[4:5], null, v0, s9, v[2:3]
	v_dual_mov_b32 v0, v1 :: v_dual_mov_b32 v41, v3
	v_mov_b32_e32 v2, v4
	s_cbranch_scc1 .LBB133_1019
.LBB133_1020:
	s_and_not1_b32 vcc_lo, exec_lo, s4
	s_cbranch_vccnz .LBB133_1023
; %bb.1021:
	s_waitcnt lgkmcnt(0)
	v_mul_hi_u32 v0, s45, v42
	s_and_not1_b32 vcc_lo, exec_lo, s52
	s_delay_alu instid0(VALU_DEP_1) | instskip(NEXT) | instid1(VALU_DEP_1)
	v_add_nc_u32_e32 v0, v42, v0
	v_lshrrev_b32_e32 v0, s46, v0
	s_delay_alu instid0(VALU_DEP_1) | instskip(NEXT) | instid1(VALU_DEP_1)
	v_mul_lo_u32 v1, v0, s44
	v_sub_nc_u32_e32 v1, v42, v1
	s_delay_alu instid0(VALU_DEP_1)
	v_mul_lo_u32 v41, v1, s40
	v_mul_lo_u32 v2, v1, s41
	s_cbranch_vccnz .LBB133_1023
; %bb.1022:
	v_mul_hi_u32 v1, s28, v0
	s_delay_alu instid0(VALU_DEP_1) | instskip(NEXT) | instid1(VALU_DEP_1)
	v_add_nc_u32_e32 v1, v0, v1
	v_lshrrev_b32_e32 v1, s29, v1
	s_delay_alu instid0(VALU_DEP_1) | instskip(NEXT) | instid1(VALU_DEP_1)
	v_mul_lo_u32 v1, v1, s47
	v_sub_nc_u32_e32 v5, v0, v1
	s_delay_alu instid0(VALU_DEP_1) | instskip(SKIP_1) | instid1(VALU_DEP_1)
	v_mad_u64_u32 v[0:1], null, v5, s42, v[41:42]
	v_mad_u64_u32 v[3:4], null, v5, s43, v[2:3]
	v_dual_mov_b32 v41, v0 :: v_dual_mov_b32 v2, v3
.LBB133_1023:
	s_waitcnt lgkmcnt(0)
	v_dual_mov_b32 v0, s38 :: v_dual_mov_b32 v1, s39
	v_mov_b32_e32 v3, v40
	s_getpc_b64 s[0:1]
	s_add_u32 s0, s0, _ZN2at6native6invokeIZZZNS0_17expm1_kernel_cudaERNS_18TensorIteratorBaseEENKUlvE_clEvENKUlvE1_clEvEUlN3c107complexIdEEE_j15function_traitsIS9_EEENT1_11result_typeERKT_PrKPcPKT0_PKNS6_10ScalarTypeEi@rel32@lo+4
	s_addc_u32 s1, s1, _ZN2at6native6invokeIZZZNS0_17expm1_kernel_cudaERNS_18TensorIteratorBaseEENKUlvE_clEvENKUlvE1_clEvEUlN3c107complexIdEEE_j15function_traitsIS9_EEENT1_11result_typeERKT_PrKPcPKT0_PKNS6_10ScalarTypeEi@rel32@hi+12
	s_delay_alu instid0(SALU_CYCLE_1) | instskip(SKIP_2) | instid1(VALU_DEP_1)
	s_swappc_b64 s[30:31], s[0:1]
	v_and_b32_e32 v6, 0xff, v43
	v_add_co_u32 v4, s0, s36, v41
	v_add_co_ci_u32_e64 v5, null, s37, 0, s0
	s_delay_alu instid0(VALU_DEP_3)
	v_cmp_gt_i16_e32 vcc_lo, 11, v6
	s_mov_b32 s2, 0
	s_mov_b32 s1, -1
	s_mov_b32 s0, s61
	s_cbranch_vccnz .LBB133_1098
; %bb.1024:
	v_cmp_lt_i16_e32 vcc_lo, 25, v6
	s_mov_b32 s0, s61
	s_cbranch_vccz .LBB133_1057
; %bb.1025:
	v_cmp_lt_i16_e32 vcc_lo, 28, v6
	s_mov_b32 s0, s61
	s_cbranch_vccz .LBB133_1041
	;; [unrolled: 4-line block ×4, first 2 shown]
; %bb.1028:
	v_cmp_eq_u16_e32 vcc_lo, 46, v6
	s_mov_b32 s0, -1
	s_cbranch_vccz .LBB133_1030
; %bb.1029:
	v_cvt_f32_f64_e32 v7, v[2:3]
	v_cvt_f32_f64_e32 v8, v[0:1]
	s_mov_b32 s0, 0
	s_delay_alu instid0(VALU_DEP_2) | instskip(NEXT) | instid1(VALU_DEP_2)
	v_bfe_u32 v9, v7, 16, 1
	v_bfe_u32 v10, v8, 16, 1
	v_cmp_o_f32_e32 vcc_lo, v7, v7
	s_delay_alu instid0(VALU_DEP_3) | instskip(NEXT) | instid1(VALU_DEP_3)
	v_add3_u32 v9, v7, v9, 0x7fff
	v_add3_u32 v10, v8, v10, 0x7fff
	s_delay_alu instid0(VALU_DEP_2) | instskip(NEXT) | instid1(VALU_DEP_2)
	v_and_b32_e32 v9, 0xffff0000, v9
	v_lshrrev_b32_e32 v10, 16, v10
	s_delay_alu instid0(VALU_DEP_2) | instskip(SKIP_1) | instid1(VALU_DEP_3)
	v_cndmask_b32_e32 v7, 0x7fc00000, v9, vcc_lo
	v_cmp_o_f32_e32 vcc_lo, v8, v8
	v_cndmask_b32_e32 v8, 0x7fc0, v10, vcc_lo
	s_delay_alu instid0(VALU_DEP_1)
	v_or_b32_e32 v7, v7, v8
	global_store_b32 v[4:5], v7, off
.LBB133_1030:
	s_mov_b32 s1, 0
.LBB133_1031:
	s_delay_alu instid0(SALU_CYCLE_1)
	s_and_b32 vcc_lo, exec_lo, s1
	s_cbranch_vccz .LBB133_1036
; %bb.1032:
	v_cmp_eq_u16_e32 vcc_lo, 44, v6
	s_mov_b32 s0, -1
	s_cbranch_vccz .LBB133_1036
; %bb.1033:
	v_cvt_f32_f64_e32 v7, v[0:1]
	v_mov_b32_e32 v8, 0xff
	s_mov_b32 s1, exec_lo
	s_delay_alu instid0(VALU_DEP_2) | instskip(NEXT) | instid1(VALU_DEP_1)
	v_bfe_u32 v9, v7, 23, 8
	v_cmpx_ne_u32_e32 0xff, v9
; %bb.1034:
	v_and_b32_e32 v8, 0x400000, v7
	v_and_or_b32 v9, 0x3fffff, v7, v9
	v_lshrrev_b32_e32 v7, 23, v7
	s_delay_alu instid0(VALU_DEP_3) | instskip(NEXT) | instid1(VALU_DEP_3)
	v_cmp_ne_u32_e32 vcc_lo, 0, v8
	v_cmp_ne_u32_e64 s0, 0, v9
	s_delay_alu instid0(VALU_DEP_1) | instskip(NEXT) | instid1(SALU_CYCLE_1)
	s_and_b32 s0, vcc_lo, s0
	v_cndmask_b32_e64 v8, 0, 1, s0
	s_delay_alu instid0(VALU_DEP_1)
	v_add_nc_u32_e32 v8, v7, v8
; %bb.1035:
	s_or_b32 exec_lo, exec_lo, s1
	s_mov_b32 s0, 0
	global_store_b8 v[4:5], v8, off
.LBB133_1036:
	s_mov_b32 s1, 0
.LBB133_1037:
	s_delay_alu instid0(SALU_CYCLE_1)
	s_and_b32 vcc_lo, exec_lo, s1
	s_cbranch_vccz .LBB133_1040
; %bb.1038:
	v_cmp_eq_u16_e32 vcc_lo, 29, v6
	s_mov_b32 s0, -1
	s_cbranch_vccz .LBB133_1040
; %bb.1039:
	v_trunc_f64_e32 v[7:8], v[0:1]
	s_mov_b32 s0, 0
	s_delay_alu instid0(VALU_DEP_1) | instskip(NEXT) | instid1(VALU_DEP_1)
	v_ldexp_f64 v[9:10], v[7:8], 0xffffffe0
	v_floor_f64_e32 v[9:10], v[9:10]
	s_delay_alu instid0(VALU_DEP_1) | instskip(SKIP_1) | instid1(VALU_DEP_2)
	v_fma_f64 v[7:8], 0xc1f00000, v[9:10], v[7:8]
	v_cvt_u32_f64_e32 v9, v[9:10]
	v_cvt_u32_f64_e32 v8, v[7:8]
	global_store_b64 v[4:5], v[8:9], off
.LBB133_1040:
	s_mov_b32 s1, 0
.LBB133_1041:
	s_delay_alu instid0(SALU_CYCLE_1)
	s_and_b32 vcc_lo, exec_lo, s1
	s_cbranch_vccz .LBB133_1056
; %bb.1042:
	v_cmp_gt_i16_e32 vcc_lo, 27, v6
	s_mov_b32 s1, -1
	s_cbranch_vccnz .LBB133_1048
; %bb.1043:
	v_cmp_lt_i16_e32 vcc_lo, 27, v6
	s_cbranch_vccz .LBB133_1045
; %bb.1044:
	v_cvt_u32_f64_e32 v7, v[0:1]
	s_mov_b32 s1, 0
	global_store_b32 v[4:5], v7, off
.LBB133_1045:
	s_and_not1_b32 vcc_lo, exec_lo, s1
	s_cbranch_vccnz .LBB133_1047
; %bb.1046:
	v_cvt_u32_f64_e32 v7, v[0:1]
	global_store_b16 v[4:5], v7, off
.LBB133_1047:
	s_mov_b32 s1, 0
.LBB133_1048:
	s_delay_alu instid0(SALU_CYCLE_1)
	s_and_not1_b32 vcc_lo, exec_lo, s1
	s_cbranch_vccnz .LBB133_1056
; %bb.1049:
	v_cvt_f32_f64_e32 v7, v[0:1]
	v_mov_b32_e32 v9, 0x80
	s_mov_b32 s1, exec_lo
	s_delay_alu instid0(VALU_DEP_2) | instskip(NEXT) | instid1(VALU_DEP_1)
	v_and_b32_e32 v8, 0x7fffffff, v7
	v_cmpx_gt_u32_e32 0x43800000, v8
	s_cbranch_execz .LBB133_1055
; %bb.1050:
	v_cmp_lt_u32_e32 vcc_lo, 0x3bffffff, v8
                                        ; implicit-def: $vgpr8
	s_and_saveexec_b32 s3, vcc_lo
	s_delay_alu instid0(SALU_CYCLE_1)
	s_xor_b32 s3, exec_lo, s3
	s_cbranch_execz .LBB133_1118
; %bb.1051:
	v_bfe_u32 v8, v7, 20, 1
	s_mov_b32 s2, exec_lo
	s_delay_alu instid0(VALU_DEP_1) | instskip(NEXT) | instid1(VALU_DEP_1)
	v_add3_u32 v8, v7, v8, 0x487ffff
	v_lshrrev_b32_e32 v8, 20, v8
	s_or_saveexec_b32 s3, s3
                                        ; implicit-def: $sgpr4
	s_delay_alu instid0(SALU_CYCLE_1)
	s_xor_b32 exec_lo, exec_lo, s3
	s_cbranch_execnz .LBB133_1119
.LBB133_1052:
	s_or_b32 exec_lo, exec_lo, s3
	v_mov_b32_e32 v9, s4
	s_and_saveexec_b32 s3, s2
.LBB133_1053:
	v_lshrrev_b32_e32 v7, 24, v7
	s_delay_alu instid0(VALU_DEP_1)
	v_and_or_b32 v9, 0x80, v7, v8
.LBB133_1054:
	s_or_b32 exec_lo, exec_lo, s3
.LBB133_1055:
	s_delay_alu instid0(SALU_CYCLE_1)
	s_or_b32 exec_lo, exec_lo, s1
	global_store_b8 v[4:5], v9, off
.LBB133_1056:
	s_mov_b32 s1, 0
.LBB133_1057:
	s_delay_alu instid0(SALU_CYCLE_1)
	s_and_b32 vcc_lo, exec_lo, s1
	s_mov_b32 s1, 0
	s_cbranch_vccz .LBB133_1097
; %bb.1058:
	v_cmp_lt_i16_e32 vcc_lo, 22, v6
	s_mov_b32 s2, -1
	s_cbranch_vccz .LBB133_1090
; %bb.1059:
	v_cmp_gt_i16_e32 vcc_lo, 24, v6
	s_cbranch_vccnz .LBB133_1079
; %bb.1060:
	v_cmp_lt_i16_e32 vcc_lo, 24, v6
	s_cbranch_vccz .LBB133_1068
; %bb.1061:
	v_cvt_f32_f64_e32 v7, v[0:1]
	v_mov_b32_e32 v9, 0x80
	s_mov_b32 s2, exec_lo
	s_delay_alu instid0(VALU_DEP_2) | instskip(NEXT) | instid1(VALU_DEP_1)
	v_and_b32_e32 v8, 0x7fffffff, v7
	v_cmpx_gt_u32_e32 0x47800000, v8
	s_cbranch_execz .LBB133_1067
; %bb.1062:
	v_cmp_lt_u32_e32 vcc_lo, 0x37ffffff, v8
	s_mov_b32 s3, 0
                                        ; implicit-def: $vgpr8
	s_and_saveexec_b32 s4, vcc_lo
	s_delay_alu instid0(SALU_CYCLE_1)
	s_xor_b32 s4, exec_lo, s4
	s_cbranch_execz .LBB133_1124
; %bb.1063:
	v_bfe_u32 v8, v7, 21, 1
	s_mov_b32 s3, exec_lo
	s_delay_alu instid0(VALU_DEP_1) | instskip(NEXT) | instid1(VALU_DEP_1)
	v_add3_u32 v8, v7, v8, 0x88fffff
	v_lshrrev_b32_e32 v8, 21, v8
	s_or_saveexec_b32 s4, s4
                                        ; implicit-def: $sgpr5
	s_delay_alu instid0(SALU_CYCLE_1)
	s_xor_b32 exec_lo, exec_lo, s4
	s_cbranch_execnz .LBB133_1125
.LBB133_1064:
	s_or_b32 exec_lo, exec_lo, s4
	v_mov_b32_e32 v9, s5
	s_and_saveexec_b32 s4, s3
.LBB133_1065:
	v_lshrrev_b32_e32 v7, 24, v7
	s_delay_alu instid0(VALU_DEP_1)
	v_and_or_b32 v9, 0x80, v7, v8
.LBB133_1066:
	s_or_b32 exec_lo, exec_lo, s4
.LBB133_1067:
	s_delay_alu instid0(SALU_CYCLE_1)
	s_or_b32 exec_lo, exec_lo, s2
	s_mov_b32 s2, 0
	global_store_b8 v[4:5], v9, off
.LBB133_1068:
	s_and_b32 vcc_lo, exec_lo, s2
	s_cbranch_vccz .LBB133_1078
; %bb.1069:
	v_cvt_f32_f64_e32 v7, v[0:1]
	s_mov_b32 s2, exec_lo
                                        ; implicit-def: $vgpr8
	s_delay_alu instid0(VALU_DEP_1) | instskip(NEXT) | instid1(VALU_DEP_1)
	v_and_b32_e32 v9, 0x7fffffff, v7
	v_cmpx_gt_u32_e32 0x43f00000, v9
	s_xor_b32 s2, exec_lo, s2
	s_cbranch_execz .LBB133_1075
; %bb.1070:
	s_mov_b32 s3, exec_lo
                                        ; implicit-def: $vgpr8
	v_cmpx_lt_u32_e32 0x3c7fffff, v9
	s_xor_b32 s3, exec_lo, s3
; %bb.1071:
	v_bfe_u32 v8, v7, 20, 1
	s_delay_alu instid0(VALU_DEP_1) | instskip(NEXT) | instid1(VALU_DEP_1)
	v_add3_u32 v8, v7, v8, 0x407ffff
	v_and_b32_e32 v9, 0xff00000, v8
	v_lshrrev_b32_e32 v8, 20, v8
	s_delay_alu instid0(VALU_DEP_2) | instskip(NEXT) | instid1(VALU_DEP_2)
	v_cmp_ne_u32_e32 vcc_lo, 0x7f00000, v9
	v_cndmask_b32_e32 v8, 0x7e, v8, vcc_lo
; %bb.1072:
	s_and_not1_saveexec_b32 s3, s3
; %bb.1073:
	v_add_f32_e64 v8, 0x46800000, |v7|
; %bb.1074:
	s_or_b32 exec_lo, exec_lo, s3
                                        ; implicit-def: $vgpr9
.LBB133_1075:
	s_and_not1_saveexec_b32 s2, s2
; %bb.1076:
	v_mov_b32_e32 v8, 0x7f
	v_cmp_lt_u32_e32 vcc_lo, 0x7f800000, v9
	s_delay_alu instid0(VALU_DEP_2)
	v_cndmask_b32_e32 v8, 0x7e, v8, vcc_lo
; %bb.1077:
	s_or_b32 exec_lo, exec_lo, s2
	v_lshrrev_b32_e32 v7, 24, v7
	s_delay_alu instid0(VALU_DEP_1)
	v_and_or_b32 v7, 0x80, v7, v8
	global_store_b8 v[4:5], v7, off
.LBB133_1078:
	s_mov_b32 s2, 0
.LBB133_1079:
	s_delay_alu instid0(SALU_CYCLE_1)
	s_and_not1_b32 vcc_lo, exec_lo, s2
	s_cbranch_vccnz .LBB133_1089
; %bb.1080:
	v_cvt_f32_f64_e32 v7, v[0:1]
	s_mov_b32 s2, exec_lo
                                        ; implicit-def: $vgpr8
	s_delay_alu instid0(VALU_DEP_1) | instskip(NEXT) | instid1(VALU_DEP_1)
	v_and_b32_e32 v9, 0x7fffffff, v7
	v_cmpx_gt_u32_e32 0x47800000, v9
	s_xor_b32 s2, exec_lo, s2
	s_cbranch_execz .LBB133_1086
; %bb.1081:
	s_mov_b32 s3, exec_lo
                                        ; implicit-def: $vgpr8
	v_cmpx_lt_u32_e32 0x387fffff, v9
	s_xor_b32 s3, exec_lo, s3
; %bb.1082:
	v_bfe_u32 v8, v7, 21, 1
	s_delay_alu instid0(VALU_DEP_1) | instskip(NEXT) | instid1(VALU_DEP_1)
	v_add3_u32 v8, v7, v8, 0x80fffff
	v_lshrrev_b32_e32 v8, 21, v8
; %bb.1083:
	s_and_not1_saveexec_b32 s3, s3
; %bb.1084:
	v_add_f32_e64 v8, 0x43000000, |v7|
; %bb.1085:
	s_or_b32 exec_lo, exec_lo, s3
                                        ; implicit-def: $vgpr9
.LBB133_1086:
	s_and_not1_saveexec_b32 s2, s2
; %bb.1087:
	v_mov_b32_e32 v8, 0x7f
	v_cmp_lt_u32_e32 vcc_lo, 0x7f800000, v9
	s_delay_alu instid0(VALU_DEP_2)
	v_cndmask_b32_e32 v8, 0x7c, v8, vcc_lo
; %bb.1088:
	s_or_b32 exec_lo, exec_lo, s2
	v_lshrrev_b32_e32 v7, 24, v7
	s_delay_alu instid0(VALU_DEP_1)
	v_and_or_b32 v7, 0x80, v7, v8
	global_store_b8 v[4:5], v7, off
.LBB133_1089:
	s_mov_b32 s2, 0
.LBB133_1090:
	s_delay_alu instid0(SALU_CYCLE_1)
	s_and_not1_b32 vcc_lo, exec_lo, s2
	s_mov_b32 s2, 0
	s_cbranch_vccnz .LBB133_1098
; %bb.1091:
	v_cmp_lt_i16_e32 vcc_lo, 14, v6
	s_mov_b32 s2, -1
	s_cbranch_vccz .LBB133_1095
; %bb.1092:
	v_cmp_eq_u16_e32 vcc_lo, 15, v6
	s_mov_b32 s0, -1
	s_cbranch_vccz .LBB133_1094
; %bb.1093:
	v_cvt_f32_f64_e32 v7, v[0:1]
	s_mov_b32 s0, 0
	s_delay_alu instid0(VALU_DEP_1) | instskip(SKIP_1) | instid1(VALU_DEP_2)
	v_bfe_u32 v8, v7, 16, 1
	v_cmp_o_f32_e32 vcc_lo, v7, v7
	v_add3_u32 v8, v7, v8, 0x7fff
	s_delay_alu instid0(VALU_DEP_1) | instskip(NEXT) | instid1(VALU_DEP_1)
	v_lshrrev_b32_e32 v8, 16, v8
	v_cndmask_b32_e32 v7, 0x7fc0, v8, vcc_lo
	global_store_b16 v[4:5], v7, off
.LBB133_1094:
	s_mov_b32 s2, 0
.LBB133_1095:
	s_delay_alu instid0(SALU_CYCLE_1)
	s_and_b32 vcc_lo, exec_lo, s2
	s_mov_b32 s2, 0
	s_cbranch_vccz .LBB133_1098
; %bb.1096:
	v_cmp_ne_u16_e32 vcc_lo, 11, v6
	s_and_not1_b32 s0, s0, exec_lo
	s_mov_b32 s2, -1
	s_and_b32 s3, vcc_lo, exec_lo
	s_delay_alu instid0(SALU_CYCLE_1)
	s_or_b32 s0, s0, s3
	s_branch .LBB133_1098
.LBB133_1097:
	s_mov_b32 s2, 0
.LBB133_1098:
	s_and_not1_b32 s3, s61, exec_lo
	s_and_b32 s4, s0, exec_lo
	s_and_b32 s1, s1, exec_lo
	s_and_b32 s0, s2, exec_lo
	s_or_b32 s2, s3, s4
.LBB133_1099:
	s_or_b32 exec_lo, exec_lo, s53
	s_delay_alu instid0(SALU_CYCLE_1)
	s_and_not1_b32 s3, s61, exec_lo
	s_and_b32 s2, s2, exec_lo
	s_and_b32 s1, s1, exec_lo
	;; [unrolled: 1-line block ×3, first 2 shown]
	s_or_b32 s61, s3, s2
.LBB133_1100:
	s_or_b32 exec_lo, exec_lo, s60
	s_delay_alu instid0(SALU_CYCLE_1)
	s_and_not1_b32 s2, s58, exec_lo
	s_and_b32 s3, s61, exec_lo
	s_and_b32 s1, s1, exec_lo
	;; [unrolled: 1-line block ×3, first 2 shown]
	s_or_b32 s58, s2, s3
.LBB133_1101:
	s_or_b32 exec_lo, exec_lo, s59
	s_delay_alu instid0(SALU_CYCLE_1)
	s_and_b32 s2, s1, exec_lo
	s_and_not1_b32 s1, s56, exec_lo
	s_and_b32 s3, s58, exec_lo
	s_and_b32 s58, s0, exec_lo
	s_or_b32 s56, s1, s3
	s_or_b32 exec_lo, exec_lo, s57
	s_mov_b32 s1, 0
	s_and_saveexec_b32 s0, s56
	s_cbranch_execz .LBB133_142
.LBB133_1102:
	s_cbranch_execnz .LBB133_1104
; %bb.1103:
	s_mov_b32 s1, exec_lo
	s_and_not1_b32 s58, s58, exec_lo
	s_or_b32 exec_lo, exec_lo, s0
	s_and_saveexec_b32 s0, s58
	s_delay_alu instid0(SALU_CYCLE_1)
	s_xor_b32 s3, exec_lo, s0
	s_cbranch_execnz .LBB133_143
	s_branch .LBB133_144
.LBB133_1104:
	s_trap 2
	s_sendmsg_rtn_b32 s0, sendmsg(MSG_RTN_GET_DOORBELL)
	s_mov_b32 ttmp2, m0
	s_waitcnt lgkmcnt(0)
	s_and_b32 s0, s0, 0x3ff
	s_delay_alu instid0(SALU_CYCLE_1) | instskip(NEXT) | instid1(SALU_CYCLE_1)
	s_bitset1_b32 s0, 10
	s_mov_b32 m0, s0
	s_sendmsg sendmsg(MSG_INTERRUPT)
	s_mov_b32 m0, ttmp2
.LBB133_1105:                           ; =>This Inner Loop Header: Depth=1
	s_sethalt 5
	s_branch .LBB133_1105
.LBB133_1106:
	s_or_saveexec_b32 s3, s3
                                        ; implicit-def: $sgpr4
	s_delay_alu instid0(SALU_CYCLE_1)
	s_xor_b32 exec_lo, exec_lo, s3
	s_cbranch_execz .LBB133_957
.LBB133_1107:
	v_add_f32_e64 v8, 0x46000000, |v7|
	s_and_not1_b32 s2, s2, exec_lo
	s_mov_b32 s4, 0
	s_delay_alu instid0(VALU_DEP_1) | instskip(NEXT) | instid1(VALU_DEP_1)
	v_and_b32_e32 v8, 0xff, v8
	v_cmp_ne_u32_e32 vcc_lo, 0, v8
	s_and_b32 s5, vcc_lo, exec_lo
	s_delay_alu instid0(SALU_CYCLE_1)
	s_or_b32 s2, s2, s5
	s_or_b32 exec_lo, exec_lo, s3
	v_mov_b32_e32 v9, s4
	s_and_saveexec_b32 s3, s2
	s_cbranch_execnz .LBB133_958
	s_branch .LBB133_959
.LBB133_1108:
	s_or_saveexec_b32 s4, s4
                                        ; implicit-def: $sgpr5
	s_delay_alu instid0(SALU_CYCLE_1)
	s_xor_b32 exec_lo, exec_lo, s4
	s_cbranch_execz .LBB133_513
.LBB133_1109:
	v_add_f32_e64 v8, 0x42800000, |v7|
	s_and_not1_b32 s3, s3, exec_lo
	s_mov_b32 s5, 0
	s_delay_alu instid0(VALU_DEP_1) | instskip(NEXT) | instid1(VALU_DEP_1)
	v_and_b32_e32 v8, 0xff, v8
	v_cmp_ne_u32_e32 vcc_lo, 0, v8
	s_and_b32 s6, vcc_lo, exec_lo
	s_delay_alu instid0(SALU_CYCLE_1)
	s_or_b32 s3, s3, s6
	s_or_b32 exec_lo, exec_lo, s4
	v_mov_b32_e32 v9, s5
	s_and_saveexec_b32 s4, s3
	s_cbranch_execnz .LBB133_514
	s_branch .LBB133_515
.LBB133_1110:
	s_or_saveexec_b32 s5, s5
                                        ; implicit-def: $sgpr6
	s_delay_alu instid0(SALU_CYCLE_1)
	s_xor_b32 exec_lo, exec_lo, s5
	s_cbranch_execz .LBB133_619
.LBB133_1111:
	v_add_f32_e64 v8, 0x46000000, |v7|
	s_and_not1_b32 s4, s4, exec_lo
	s_mov_b32 s6, 0
	s_delay_alu instid0(VALU_DEP_1) | instskip(NEXT) | instid1(VALU_DEP_1)
	v_and_b32_e32 v8, 0xff, v8
	v_cmp_ne_u32_e32 vcc_lo, 0, v8
	s_and_b32 s7, vcc_lo, exec_lo
	s_delay_alu instid0(SALU_CYCLE_1)
	s_or_b32 s4, s4, s7
	s_or_b32 exec_lo, exec_lo, s5
	v_mov_b32_e32 v9, s6
	s_and_saveexec_b32 s5, s4
	s_cbranch_execnz .LBB133_620
	s_branch .LBB133_621
.LBB133_1112:
	s_trap 2
	s_sendmsg_rtn_b32 s0, sendmsg(MSG_RTN_GET_DOORBELL)
	s_mov_b32 ttmp2, m0
	s_waitcnt lgkmcnt(0)
	s_and_b32 s0, s0, 0x3ff
	s_delay_alu instid0(SALU_CYCLE_1) | instskip(NEXT) | instid1(SALU_CYCLE_1)
	s_bitset1_b32 s0, 10
	s_mov_b32 m0, s0
	s_sendmsg sendmsg(MSG_INTERRUPT)
	s_mov_b32 m0, ttmp2
.LBB133_1113:                           ; =>This Inner Loop Header: Depth=1
	s_sethalt 5
	s_branch .LBB133_1113
.LBB133_1114:
	s_cbranch_execnz .LBB133_1122
; %bb.1115:
	s_mov_b32 s2, 0
	s_or_b32 s1, s1, exec_lo
	s_branch .LBB133_665
.LBB133_1116:
	s_or_saveexec_b32 s3, s3
                                        ; implicit-def: $sgpr4
	s_delay_alu instid0(SALU_CYCLE_1)
	s_xor_b32 exec_lo, exec_lo, s3
	s_cbranch_execz .LBB133_970
.LBB133_1117:
	v_add_f32_e64 v8, 0x42800000, |v7|
	s_and_not1_b32 s2, s2, exec_lo
	s_mov_b32 s4, 0
	s_delay_alu instid0(VALU_DEP_1) | instskip(NEXT) | instid1(VALU_DEP_1)
	v_and_b32_e32 v8, 0xff, v8
	v_cmp_ne_u32_e32 vcc_lo, 0, v8
	s_and_b32 s5, vcc_lo, exec_lo
	s_delay_alu instid0(SALU_CYCLE_1)
	s_or_b32 s2, s2, s5
	s_or_b32 exec_lo, exec_lo, s3
	v_mov_b32_e32 v9, s4
	s_and_saveexec_b32 s3, s2
	s_cbranch_execnz .LBB133_971
	s_branch .LBB133_972
.LBB133_1118:
	s_or_saveexec_b32 s3, s3
                                        ; implicit-def: $sgpr4
	s_delay_alu instid0(SALU_CYCLE_1)
	s_xor_b32 exec_lo, exec_lo, s3
	s_cbranch_execz .LBB133_1052
.LBB133_1119:
	v_add_f32_e64 v8, 0x46000000, |v7|
	s_and_not1_b32 s2, s2, exec_lo
	s_mov_b32 s4, 0
	s_delay_alu instid0(VALU_DEP_1) | instskip(NEXT) | instid1(VALU_DEP_1)
	v_and_b32_e32 v8, 0xff, v8
	v_cmp_ne_u32_e32 vcc_lo, 0, v8
	s_and_b32 s5, vcc_lo, exec_lo
	s_delay_alu instid0(SALU_CYCLE_1)
	s_or_b32 s2, s2, s5
	s_or_b32 exec_lo, exec_lo, s3
	v_mov_b32_e32 v9, s4
	s_and_saveexec_b32 s3, s2
	s_cbranch_execnz .LBB133_1053
	s_branch .LBB133_1054
.LBB133_1120:
	s_or_saveexec_b32 s4, s4
                                        ; implicit-def: $sgpr5
	s_delay_alu instid0(SALU_CYCLE_1)
	s_xor_b32 exec_lo, exec_lo, s4
	s_cbranch_execz .LBB133_631
.LBB133_1121:
	v_add_f32_e64 v8, 0x42800000, |v7|
	s_and_not1_b32 s3, s3, exec_lo
	s_mov_b32 s5, 0
	s_delay_alu instid0(VALU_DEP_1) | instskip(NEXT) | instid1(VALU_DEP_1)
	v_and_b32_e32 v8, 0xff, v8
	v_cmp_ne_u32_e32 vcc_lo, 0, v8
	s_and_b32 s6, vcc_lo, exec_lo
	s_delay_alu instid0(SALU_CYCLE_1)
	s_or_b32 s3, s3, s6
	s_or_b32 exec_lo, exec_lo, s4
	v_mov_b32_e32 v9, s5
	s_and_saveexec_b32 s4, s3
	s_cbranch_execnz .LBB133_632
	s_branch .LBB133_633
.LBB133_1122:
	s_trap 2
	s_sendmsg_rtn_b32 s0, sendmsg(MSG_RTN_GET_DOORBELL)
	s_mov_b32 ttmp2, m0
	s_waitcnt lgkmcnt(0)
	s_and_b32 s0, s0, 0x3ff
	s_delay_alu instid0(SALU_CYCLE_1) | instskip(NEXT) | instid1(SALU_CYCLE_1)
	s_bitset1_b32 s0, 10
	s_mov_b32 m0, s0
	s_sendmsg sendmsg(MSG_INTERRUPT)
	s_mov_b32 m0, ttmp2
.LBB133_1123:                           ; =>This Inner Loop Header: Depth=1
	s_sethalt 5
	s_branch .LBB133_1123
.LBB133_1124:
	s_or_saveexec_b32 s4, s4
                                        ; implicit-def: $sgpr5
	s_delay_alu instid0(SALU_CYCLE_1)
	s_xor_b32 exec_lo, exec_lo, s4
	s_cbranch_execz .LBB133_1064
.LBB133_1125:
	v_add_f32_e64 v8, 0x42800000, |v7|
	s_and_not1_b32 s3, s3, exec_lo
	s_mov_b32 s5, 0
	s_delay_alu instid0(VALU_DEP_1) | instskip(NEXT) | instid1(VALU_DEP_1)
	v_and_b32_e32 v8, 0xff, v8
	v_cmp_ne_u32_e32 vcc_lo, 0, v8
	s_and_b32 s6, vcc_lo, exec_lo
	s_delay_alu instid0(SALU_CYCLE_1)
	s_or_b32 s3, s3, s6
	s_or_b32 exec_lo, exec_lo, s4
	v_mov_b32_e32 v9, s5
	s_and_saveexec_b32 s4, s3
	s_cbranch_execnz .LBB133_1065
	s_branch .LBB133_1066
	.section	.rodata,"a",@progbits
	.p2align	6, 0x0
	.amdhsa_kernel _ZN2at6native32elementwise_kernel_manual_unrollILi128ELi4EZNS0_15gpu_kernel_implIZZZNS0_17expm1_kernel_cudaERNS_18TensorIteratorBaseEENKUlvE_clEvENKUlvE1_clEvEUlN3c107complexIdEEE_EEvS4_RKT_EUlibE0_EEviT1_
		.amdhsa_group_segment_fixed_size 0
		.amdhsa_private_segment_fixed_size 0
		.amdhsa_kernarg_size 360
		.amdhsa_user_sgpr_count 15
		.amdhsa_user_sgpr_dispatch_ptr 0
		.amdhsa_user_sgpr_queue_ptr 0
		.amdhsa_user_sgpr_kernarg_segment_ptr 1
		.amdhsa_user_sgpr_dispatch_id 0
		.amdhsa_user_sgpr_private_segment_size 0
		.amdhsa_wavefront_size32 1
		.amdhsa_uses_dynamic_stack 0
		.amdhsa_enable_private_segment 0
		.amdhsa_system_sgpr_workgroup_id_x 1
		.amdhsa_system_sgpr_workgroup_id_y 0
		.amdhsa_system_sgpr_workgroup_id_z 0
		.amdhsa_system_sgpr_workgroup_info 0
		.amdhsa_system_vgpr_workitem_id 0
		.amdhsa_next_free_vgpr 113
		.amdhsa_next_free_sgpr 68
		.amdhsa_reserve_vcc 1
		.amdhsa_float_round_mode_32 0
		.amdhsa_float_round_mode_16_64 0
		.amdhsa_float_denorm_mode_32 3
		.amdhsa_float_denorm_mode_16_64 3
		.amdhsa_dx10_clamp 1
		.amdhsa_ieee_mode 1
		.amdhsa_fp16_overflow 0
		.amdhsa_workgroup_processor_mode 1
		.amdhsa_memory_ordered 1
		.amdhsa_forward_progress 0
		.amdhsa_shared_vgpr_count 0
		.amdhsa_exception_fp_ieee_invalid_op 0
		.amdhsa_exception_fp_denorm_src 0
		.amdhsa_exception_fp_ieee_div_zero 0
		.amdhsa_exception_fp_ieee_overflow 0
		.amdhsa_exception_fp_ieee_underflow 0
		.amdhsa_exception_fp_ieee_inexact 0
		.amdhsa_exception_int_div_zero 0
	.end_amdhsa_kernel
	.section	.text._ZN2at6native32elementwise_kernel_manual_unrollILi128ELi4EZNS0_15gpu_kernel_implIZZZNS0_17expm1_kernel_cudaERNS_18TensorIteratorBaseEENKUlvE_clEvENKUlvE1_clEvEUlN3c107complexIdEEE_EEvS4_RKT_EUlibE0_EEviT1_,"axG",@progbits,_ZN2at6native32elementwise_kernel_manual_unrollILi128ELi4EZNS0_15gpu_kernel_implIZZZNS0_17expm1_kernel_cudaERNS_18TensorIteratorBaseEENKUlvE_clEvENKUlvE1_clEvEUlN3c107complexIdEEE_EEvS4_RKT_EUlibE0_EEviT1_,comdat
.Lfunc_end133:
	.size	_ZN2at6native32elementwise_kernel_manual_unrollILi128ELi4EZNS0_15gpu_kernel_implIZZZNS0_17expm1_kernel_cudaERNS_18TensorIteratorBaseEENKUlvE_clEvENKUlvE1_clEvEUlN3c107complexIdEEE_EEvS4_RKT_EUlibE0_EEviT1_, .Lfunc_end133-_ZN2at6native32elementwise_kernel_manual_unrollILi128ELi4EZNS0_15gpu_kernel_implIZZZNS0_17expm1_kernel_cudaERNS_18TensorIteratorBaseEENKUlvE_clEvENKUlvE1_clEvEUlN3c107complexIdEEE_EEvS4_RKT_EUlibE0_EEviT1_
                                        ; -- End function
	.section	.AMDGPU.csdata,"",@progbits
; Kernel info:
; codeLenInByte = 25216
; NumSgprs: 70
; NumVgprs: 113
; ScratchSize: 0
; MemoryBound: 0
; FloatMode: 240
; IeeeMode: 1
; LDSByteSize: 0 bytes/workgroup (compile time only)
; SGPRBlocks: 8
; VGPRBlocks: 14
; NumSGPRsForWavesPerEU: 70
; NumVGPRsForWavesPerEU: 113
; Occupancy: 12
; WaveLimiterHint : 1
; COMPUTE_PGM_RSRC2:SCRATCH_EN: 0
; COMPUTE_PGM_RSRC2:USER_SGPR: 15
; COMPUTE_PGM_RSRC2:TRAP_HANDLER: 0
; COMPUTE_PGM_RSRC2:TGID_X_EN: 1
; COMPUTE_PGM_RSRC2:TGID_Y_EN: 0
; COMPUTE_PGM_RSRC2:TGID_Z_EN: 0
; COMPUTE_PGM_RSRC2:TIDIG_COMP_CNT: 0
	.text
	.p2align	2                               ; -- Begin function _ZN2at6native25elementwise_kernel_helperILb0EZZZNS0_17expm1_kernel_cudaERNS_18TensorIteratorBaseEENKUlvE_clEvENKUlvE2_clEvEUlN3c107complexIfEEE_NS0_6memory8policies11unroll_baseILi256ESt5arrayIPcLm2EE23TrivialOffsetCalculatorILi1EjESH_NSA_15LoadWithoutCastENSA_16StoreWithoutCastELi4ELi1EEEEEvT0_T1_
	.type	_ZN2at6native25elementwise_kernel_helperILb0EZZZNS0_17expm1_kernel_cudaERNS_18TensorIteratorBaseEENKUlvE_clEvENKUlvE2_clEvEUlN3c107complexIfEEE_NS0_6memory8policies11unroll_baseILi256ESt5arrayIPcLm2EE23TrivialOffsetCalculatorILi1EjESH_NSA_15LoadWithoutCastENSA_16StoreWithoutCastELi4ELi1EEEEEvT0_T1_,@function
_ZN2at6native25elementwise_kernel_helperILb0EZZZNS0_17expm1_kernel_cudaERNS_18TensorIteratorBaseEENKUlvE_clEvENKUlvE2_clEvEUlN3c107complexIfEEE_NS0_6memory8policies11unroll_baseILi256ESt5arrayIPcLm2EE23TrivialOffsetCalculatorILi1EjESH_NSA_15LoadWithoutCastENSA_16StoreWithoutCastELi4ELi1EEEEEvT0_T1_: ; @_ZN2at6native25elementwise_kernel_helperILb0EZZZNS0_17expm1_kernel_cudaERNS_18TensorIteratorBaseEENKUlvE_clEvENKUlvE2_clEvEUlN3c107complexIfEEE_NS0_6memory8policies11unroll_baseILi256ESt5arrayIPcLm2EE23TrivialOffsetCalculatorILi1EjESH_NSA_15LoadWithoutCastENSA_16StoreWithoutCastELi4ELi1EEEEEvT0_T1_
; %bb.0:
	s_waitcnt vmcnt(0) expcnt(0) lgkmcnt(0)
	v_dual_mov_b32 v11, 0 :: v_dual_and_b32 v14, 0x3ff, v31
	s_lshl_b32 s4, s12, 10
	v_dual_mov_b32 v13, 0 :: v_dual_mov_b32 v12, 0
	s_delay_alu instid0(VALU_DEP_2)
	v_mov_b32_e32 v16, v14
	v_cmp_lt_i32_e32 vcc_lo, v14, v4
	v_or_b32_e32 v5, s4, v14
	v_add_nc_u32_e32 v15, 0x100, v14
	s_and_saveexec_b32 s1, vcc_lo
	s_cbranch_execz .LBB134_2
; %bb.1:
	v_mov_b32_e32 v6, 0
	v_add_nc_u32_e32 v16, 0x100, v14
	s_delay_alu instid0(VALU_DEP_2) | instskip(NEXT) | instid1(VALU_DEP_1)
	v_lshlrev_b64 v[6:7], 3, v[5:6]
	v_add_co_u32 v6, s0, v2, v6
	s_delay_alu instid0(VALU_DEP_1)
	v_add_co_ci_u32_e64 v7, s0, v3, v7, s0
	flat_load_b64 v[12:13], v[6:7]
.LBB134_2:
	s_or_b32 exec_lo, exec_lo, s1
	v_mov_b32_e32 v10, 0
	s_mov_b32 s1, exec_lo
	v_cmpx_lt_i32_e64 v16, v4
	s_cbranch_execz .LBB134_4
; %bb.3:
	v_dual_mov_b32 v7, 0 :: v_dual_add_nc_u32 v6, s4, v16
	v_add_nc_u32_e32 v16, 0x100, v16
	s_delay_alu instid0(VALU_DEP_2) | instskip(NEXT) | instid1(VALU_DEP_1)
	v_lshlrev_b64 v[6:7], 3, v[6:7]
	v_add_co_u32 v6, s0, v2, v6
	s_delay_alu instid0(VALU_DEP_1)
	v_add_co_ci_u32_e64 v7, s0, v3, v7, s0
	flat_load_b64 v[10:11], v[6:7]
.LBB134_4:
	s_or_b32 exec_lo, exec_lo, s1
	v_dual_mov_b32 v7, 0 :: v_dual_mov_b32 v8, 0
	v_mov_b32_e32 v9, 0
	s_mov_b32 s1, exec_lo
	v_cmpx_lt_i32_e64 v16, v4
	s_cbranch_execz .LBB134_6
; %bb.5:
	v_dual_mov_b32 v9, 0 :: v_dual_add_nc_u32 v8, s4, v16
	v_add_nc_u32_e32 v16, 0x100, v16
	s_delay_alu instid0(VALU_DEP_2) | instskip(NEXT) | instid1(VALU_DEP_1)
	v_lshlrev_b64 v[8:9], 3, v[8:9]
	v_add_co_u32 v8, s0, v2, v8
	s_delay_alu instid0(VALU_DEP_1)
	v_add_co_ci_u32_e64 v9, s0, v3, v9, s0
	flat_load_b64 v[8:9], v[8:9]
.LBB134_6:
	s_or_b32 exec_lo, exec_lo, s1
	v_mov_b32_e32 v6, 0
	s_mov_b32 s1, exec_lo
	v_cmpx_lt_i32_e64 v16, v4
	s_cbranch_execz .LBB134_8
; %bb.7:
	v_dual_mov_b32 v7, 0 :: v_dual_add_nc_u32 v6, s4, v16
	s_delay_alu instid0(VALU_DEP_1) | instskip(NEXT) | instid1(VALU_DEP_1)
	v_lshlrev_b64 v[6:7], 3, v[6:7]
	v_add_co_u32 v2, s0, v2, v6
	s_delay_alu instid0(VALU_DEP_1)
	v_add_co_ci_u32_e64 v3, s0, v3, v7, s0
	flat_load_b64 v[6:7], v[2:3]
.LBB134_8:
	s_or_b32 exec_lo, exec_lo, s1
	v_dual_mov_b32 v2, 0 :: v_dual_mov_b32 v3, 0
	s_and_saveexec_b32 s5, vcc_lo
	s_cbranch_execz .LBB134_22
; %bb.9:
	s_waitcnt vmcnt(0) lgkmcnt(0)
	v_mul_f32_e32 v2, 0.5, v13
                                        ; implicit-def: $vgpr18
                                        ; implicit-def: $vgpr16
	s_mov_b32 s1, exec_lo
	s_delay_alu instid0(VALU_DEP_1)
	v_and_b32_e32 v3, 0x7fffffff, v2
	v_cmpx_ngt_f32_e64 0x48000000, |v2|
	s_xor_b32 s6, exec_lo, s1
	s_cbranch_execz .LBB134_11
; %bb.10:
	s_mov_b32 s0, 0x7fffff
	v_mov_b32_e32 v18, 0
	v_and_or_b32 v26, v3, s0, 0x800000
	v_lshrrev_b32_e32 v23, 23, v3
	s_delay_alu instid0(VALU_DEP_2) | instskip(NEXT) | instid1(VALU_DEP_2)
	v_mad_u64_u32 v[16:17], null, 0xfe5163ab, v26, 0
	v_add_nc_u32_e32 v24, 0xffffff88, v23
	s_delay_alu instid0(VALU_DEP_1) | instskip(NEXT) | instid1(VALU_DEP_3)
	v_cmp_lt_u32_e64 s0, 63, v24
	v_mad_u64_u32 v[19:20], null, 0x3c439041, v26, v[17:18]
	s_delay_alu instid0(VALU_DEP_2) | instskip(NEXT) | instid1(VALU_DEP_2)
	v_cndmask_b32_e64 v25, 0, 0xffffffc0, s0
	v_mov_b32_e32 v17, v20
	s_delay_alu instid0(VALU_DEP_2) | instskip(NEXT) | instid1(VALU_DEP_2)
	v_add_nc_u32_e32 v25, v25, v24
	v_mad_u64_u32 v[20:21], null, 0xdb629599, v26, v[17:18]
	s_delay_alu instid0(VALU_DEP_2) | instskip(NEXT) | instid1(VALU_DEP_1)
	v_cmp_lt_u32_e64 s1, 31, v25
	v_cndmask_b32_e64 v27, 0, 0xffffffe0, s1
	s_delay_alu instid0(VALU_DEP_3) | instskip(NEXT) | instid1(VALU_DEP_4)
	v_mov_b32_e32 v17, v21
	v_cndmask_b32_e64 v16, v20, v16, s0
	s_delay_alu instid0(VALU_DEP_3) | instskip(NEXT) | instid1(VALU_DEP_3)
	v_add_nc_u32_e32 v27, v27, v25
	v_mad_u64_u32 v[21:22], null, 0xf534ddc0, v26, v[17:18]
	s_delay_alu instid0(VALU_DEP_2) | instskip(NEXT) | instid1(VALU_DEP_2)
	v_cmp_lt_u32_e64 s2, 31, v27
	v_mov_b32_e32 v17, v22
	s_delay_alu instid0(VALU_DEP_3) | instskip(NEXT) | instid1(VALU_DEP_2)
	v_cndmask_b32_e64 v19, v21, v19, s0
	v_mad_u64_u32 v[22:23], null, 0xfc2757d1, v26, v[17:18]
	s_delay_alu instid0(VALU_DEP_2) | instskip(NEXT) | instid1(VALU_DEP_2)
	v_cndmask_b32_e64 v16, v19, v16, s1
	v_mov_b32_e32 v17, v23
	s_delay_alu instid0(VALU_DEP_1) | instskip(NEXT) | instid1(VALU_DEP_1)
	v_mad_u64_u32 v[23:24], null, 0x4e441529, v26, v[17:18]
	v_mov_b32_e32 v17, v24
	s_delay_alu instid0(VALU_DEP_1) | instskip(SKIP_1) | instid1(VALU_DEP_4)
	v_mad_u64_u32 v[24:25], null, 0xa2f9836e, v26, v[17:18]
	v_cndmask_b32_e64 v17, 0, 0xffffffe0, s2
	v_cndmask_b32_e64 v18, v23, v21, s0
	s_delay_alu instid0(VALU_DEP_2) | instskip(NEXT) | instid1(VALU_DEP_4)
	v_add_nc_u32_e32 v17, v17, v27
	v_cndmask_b32_e64 v24, v24, v22, s0
	v_cndmask_b32_e64 v23, v25, v23, s0
	;; [unrolled: 1-line block ×3, first 2 shown]
	s_delay_alu instid0(VALU_DEP_4) | instskip(NEXT) | instid1(VALU_DEP_4)
	v_cmp_eq_u32_e64 s3, 0, v17
	v_cndmask_b32_e64 v21, v24, v18, s1
	s_delay_alu instid0(VALU_DEP_4) | instskip(NEXT) | instid1(VALU_DEP_4)
	v_cndmask_b32_e64 v23, v23, v24, s1
	v_cndmask_b32_e64 v18, v18, v22, s1
	v_sub_nc_u32_e32 v24, 32, v17
	v_cndmask_b32_e64 v22, v22, v19, s1
	s_delay_alu instid0(VALU_DEP_4) | instskip(NEXT) | instid1(VALU_DEP_4)
	v_cndmask_b32_e64 v23, v23, v21, s2
	v_cndmask_b32_e64 v21, v21, v18, s2
	s_delay_alu instid0(VALU_DEP_3) | instskip(SKIP_1) | instid1(VALU_DEP_3)
	v_cndmask_b32_e64 v18, v18, v22, s2
	v_cndmask_b32_e64 v16, v22, v16, s2
	v_alignbit_b32 v25, v23, v21, v24
	s_delay_alu instid0(VALU_DEP_3) | instskip(NEXT) | instid1(VALU_DEP_3)
	v_alignbit_b32 v26, v21, v18, v24
	v_alignbit_b32 v24, v18, v16, v24
	s_delay_alu instid0(VALU_DEP_3) | instskip(NEXT) | instid1(VALU_DEP_3)
	v_cndmask_b32_e64 v17, v25, v23, s3
	v_cndmask_b32_e64 v20, v26, v21, s3
	s_delay_alu instid0(VALU_DEP_3) | instskip(NEXT) | instid1(VALU_DEP_3)
	v_cndmask_b32_e64 v18, v24, v18, s3
	v_bfe_u32 v21, v17, 29, 1
	s_delay_alu instid0(VALU_DEP_3) | instskip(NEXT) | instid1(VALU_DEP_3)
	v_alignbit_b32 v19, v17, v20, 30
	v_alignbit_b32 v20, v20, v18, 30
	;; [unrolled: 1-line block ×3, first 2 shown]
	s_delay_alu instid0(VALU_DEP_4) | instskip(NEXT) | instid1(VALU_DEP_1)
	v_sub_nc_u32_e32 v23, 0, v21
	v_xor_b32_e32 v22, v19, v23
	v_cmp_ne_u32_e64 s0, v19, v23
	v_xor_b32_e32 v18, v20, v23
	v_xor_b32_e32 v16, v16, v23
	s_delay_alu instid0(VALU_DEP_4) | instskip(NEXT) | instid1(VALU_DEP_1)
	v_clz_i32_u32_e32 v25, v22
	v_add_nc_u32_e32 v24, 1, v25
	s_delay_alu instid0(VALU_DEP_1) | instskip(NEXT) | instid1(VALU_DEP_1)
	v_cndmask_b32_e64 v19, 33, v24, s0
	v_sub_nc_u32_e32 v20, 32, v19
	s_delay_alu instid0(VALU_DEP_1) | instskip(SKIP_3) | instid1(VALU_DEP_3)
	v_alignbit_b32 v22, v22, v18, v20
	v_alignbit_b32 v16, v18, v16, v20
	v_lshrrev_b32_e32 v18, 29, v17
	v_lshrrev_b32_e32 v17, 30, v17
	v_alignbit_b32 v20, v22, v16, 9
	s_delay_alu instid0(VALU_DEP_3) | instskip(SKIP_1) | instid1(VALU_DEP_3)
	v_lshlrev_b32_e32 v18, 31, v18
	v_alignbit_b32 v22, v19, v22, 9
	v_clz_i32_u32_e32 v23, v20
	s_delay_alu instid0(VALU_DEP_2) | instskip(SKIP_1) | instid1(VALU_DEP_3)
	v_or_b32_e32 v22, v22, v18
	v_or_b32_e32 v18, 0x33800000, v18
	v_min_u32_e32 v23, 32, v23
	s_delay_alu instid0(VALU_DEP_3) | instskip(NEXT) | instid1(VALU_DEP_2)
	v_xor_b32_e32 v22, 1.0, v22
	v_sub_nc_u32_e32 v24, 31, v23
	v_add_lshl_u32 v19, v23, v19, 23
	s_delay_alu instid0(VALU_DEP_3) | instskip(NEXT) | instid1(VALU_DEP_3)
	v_mul_f32_e32 v23, 0x3fc90fda, v22
	v_alignbit_b32 v16, v20, v16, v24
	s_delay_alu instid0(VALU_DEP_3) | instskip(NEXT) | instid1(VALU_DEP_2)
	v_sub_nc_u32_e32 v18, v18, v19
	v_lshrrev_b32_e32 v16, 9, v16
	s_delay_alu instid0(VALU_DEP_1) | instskip(SKIP_2) | instid1(VALU_DEP_1)
	v_or_b32_e32 v16, v18, v16
	v_add_nc_u32_e32 v18, v21, v17
	v_fma_f32 v19, 0x3fc90fda, v22, -v23
	v_fmamk_f32 v19, v22, 0x33a22168, v19
	s_delay_alu instid0(VALU_DEP_1) | instskip(NEXT) | instid1(VALU_DEP_1)
	v_fmac_f32_e32 v19, 0x3fc90fda, v16
	v_add_f32_e32 v16, v23, v19
.LBB134_11:
	s_and_not1_saveexec_b32 s0, s6
; %bb.12:
	v_mul_f32_e64 v16, 0x3f22f983, |v2|
	s_delay_alu instid0(VALU_DEP_1) | instskip(NEXT) | instid1(VALU_DEP_1)
	v_rndne_f32_e32 v17, v16
	v_fma_f32 v16, 0xbfc90fda, v17, |v2|
	v_cvt_i32_f32_e32 v18, v17
	s_delay_alu instid0(VALU_DEP_2) | instskip(NEXT) | instid1(VALU_DEP_1)
	v_fmamk_f32 v16, v17, 0xb3a22168, v16
	v_fmamk_f32 v16, v17, 0xa7c234c4, v16
; %bb.13:
	s_or_b32 exec_lo, exec_lo, s0
	v_and_b32_e32 v17, 0x7fffffff, v13
	v_cmp_ngt_f32_e64 s6, 0x48000000, |v13|
                                        ; implicit-def: $vgpr20
                                        ; implicit-def: $vgpr19
	s_delay_alu instid0(VALU_DEP_2) | instskip(NEXT) | instid1(VALU_DEP_2)
	v_lshrrev_b32_e32 v21, 23, v17
	s_and_saveexec_b32 s0, s6
	s_delay_alu instid0(SALU_CYCLE_1)
	s_xor_b32 s7, exec_lo, s0
	s_cbranch_execz .LBB134_15
; %bb.14:
	s_mov_b32 s0, 0x7fffff
	s_delay_alu instid0(SALU_CYCLE_1) | instskip(NEXT) | instid1(VALU_DEP_1)
	v_and_or_b32 v31, v17, s0, 0x800000
	v_mad_u64_u32 v[19:20], null, 0xfe5163ab, v31, 0
	s_delay_alu instid0(VALU_DEP_1) | instskip(SKIP_1) | instid1(VALU_DEP_2)
	v_dual_mov_b32 v23, 0 :: v_dual_mov_b32 v22, v20
	v_add_nc_u32_e32 v20, 0xffffff88, v21
	v_mad_u64_u32 v[24:25], null, 0x3c439041, v31, v[22:23]
	s_delay_alu instid0(VALU_DEP_2) | instskip(NEXT) | instid1(VALU_DEP_1)
	v_cmp_lt_u32_e64 s0, 63, v20
	v_cndmask_b32_e64 v29, 0, 0xffffffc0, s0
	s_delay_alu instid0(VALU_DEP_3) | instskip(NEXT) | instid1(VALU_DEP_2)
	v_mov_b32_e32 v22, v25
	v_add_nc_u32_e32 v20, v29, v20
	s_delay_alu instid0(VALU_DEP_2) | instskip(NEXT) | instid1(VALU_DEP_2)
	v_mad_u64_u32 v[25:26], null, 0xdb629599, v31, v[22:23]
	v_cmp_lt_u32_e64 s1, 31, v20
	s_delay_alu instid0(VALU_DEP_2) | instskip(NEXT) | instid1(VALU_DEP_2)
	v_mov_b32_e32 v22, v26
	v_cndmask_b32_e64 v30, 0, 0xffffffe0, s1
	s_delay_alu instid0(VALU_DEP_4) | instskip(NEXT) | instid1(VALU_DEP_3)
	v_cndmask_b32_e64 v19, v25, v19, s0
	v_mad_u64_u32 v[26:27], null, 0xf534ddc0, v31, v[22:23]
	s_delay_alu instid0(VALU_DEP_3) | instskip(NEXT) | instid1(VALU_DEP_1)
	v_add_nc_u32_e32 v20, v30, v20
	v_cmp_lt_u32_e64 s2, 31, v20
	s_delay_alu instid0(VALU_DEP_3) | instskip(NEXT) | instid1(VALU_DEP_1)
	v_mov_b32_e32 v22, v27
	v_mad_u64_u32 v[27:28], null, 0xfc2757d1, v31, v[22:23]
	s_delay_alu instid0(VALU_DEP_1) | instskip(NEXT) | instid1(VALU_DEP_1)
	v_mov_b32_e32 v22, v28
	v_mad_u64_u32 v[28:29], null, 0x4e441529, v31, v[22:23]
	s_delay_alu instid0(VALU_DEP_1) | instskip(NEXT) | instid1(VALU_DEP_1)
	v_mov_b32_e32 v22, v29
	v_mad_u64_u32 v[29:30], null, 0xa2f9836e, v31, v[22:23]
	v_cndmask_b32_e64 v22, 0, 0xffffffe0, s2
	s_delay_alu instid0(VALU_DEP_4) | instskip(NEXT) | instid1(VALU_DEP_2)
	v_cndmask_b32_e64 v23, v28, v26, s0
	v_add_nc_u32_e32 v20, v22, v20
	s_delay_alu instid0(VALU_DEP_4)
	v_cndmask_b32_e64 v29, v29, v27, s0
	v_cndmask_b32_e64 v28, v30, v28, s0
	;; [unrolled: 1-line block ×4, first 2 shown]
	v_cmp_eq_u32_e64 s3, 0, v20
	v_cndmask_b32_e64 v24, v29, v23, s1
	v_cndmask_b32_e64 v26, v28, v29, s1
	;; [unrolled: 1-line block ×3, first 2 shown]
	v_sub_nc_u32_e32 v28, 32, v20
	v_cndmask_b32_e64 v27, v27, v22, s1
	v_cndmask_b32_e64 v19, v22, v19, s1
	;; [unrolled: 1-line block ×4, first 2 shown]
	s_delay_alu instid0(VALU_DEP_4) | instskip(NEXT) | instid1(VALU_DEP_4)
	v_cndmask_b32_e64 v23, v23, v27, s2
	v_cndmask_b32_e64 v19, v27, v19, s2
	s_delay_alu instid0(VALU_DEP_3) | instskip(NEXT) | instid1(VALU_DEP_3)
	v_alignbit_b32 v29, v26, v24, v28
	v_alignbit_b32 v30, v24, v23, v28
	s_delay_alu instid0(VALU_DEP_3) | instskip(NEXT) | instid1(VALU_DEP_3)
	v_alignbit_b32 v28, v23, v19, v28
	v_cndmask_b32_e64 v20, v29, v26, s3
	s_delay_alu instid0(VALU_DEP_3) | instskip(NEXT) | instid1(VALU_DEP_3)
	v_cndmask_b32_e64 v24, v30, v24, s3
	v_cndmask_b32_e64 v23, v28, v23, s3
	s_delay_alu instid0(VALU_DEP_3) | instskip(NEXT) | instid1(VALU_DEP_3)
	v_bfe_u32 v25, v20, 29, 1
	v_alignbit_b32 v22, v20, v24, 30
	s_delay_alu instid0(VALU_DEP_3) | instskip(SKIP_1) | instid1(VALU_DEP_4)
	v_alignbit_b32 v24, v24, v23, 30
	v_alignbit_b32 v19, v23, v19, 30
	v_sub_nc_u32_e32 v26, 0, v25
	s_delay_alu instid0(VALU_DEP_1) | instskip(SKIP_3) | instid1(VALU_DEP_4)
	v_xor_b32_e32 v27, v22, v26
	v_cmp_ne_u32_e64 s0, v22, v26
	v_xor_b32_e32 v23, v24, v26
	v_xor_b32_e32 v19, v19, v26
	v_clz_i32_u32_e32 v29, v27
	s_delay_alu instid0(VALU_DEP_1) | instskip(NEXT) | instid1(VALU_DEP_1)
	v_add_nc_u32_e32 v28, 1, v29
	v_cndmask_b32_e64 v22, 33, v28, s0
	s_delay_alu instid0(VALU_DEP_1) | instskip(NEXT) | instid1(VALU_DEP_1)
	v_sub_nc_u32_e32 v24, 32, v22
	v_alignbit_b32 v26, v27, v23, v24
	v_alignbit_b32 v19, v23, v19, v24
	v_lshrrev_b32_e32 v23, 29, v20
	v_lshrrev_b32_e32 v20, 30, v20
	s_delay_alu instid0(VALU_DEP_3) | instskip(NEXT) | instid1(VALU_DEP_3)
	v_alignbit_b32 v24, v26, v19, 9
	v_lshlrev_b32_e32 v23, 31, v23
	v_alignbit_b32 v26, v22, v26, 9
	s_delay_alu instid0(VALU_DEP_4) | instskip(NEXT) | instid1(VALU_DEP_4)
	v_add_nc_u32_e32 v20, v25, v20
	v_clz_i32_u32_e32 v27, v24
	s_delay_alu instid0(VALU_DEP_3) | instskip(SKIP_1) | instid1(VALU_DEP_3)
	v_or_b32_e32 v26, v26, v23
	v_or_b32_e32 v23, 0x33800000, v23
	v_min_u32_e32 v27, 32, v27
	s_delay_alu instid0(VALU_DEP_3) | instskip(NEXT) | instid1(VALU_DEP_2)
	v_xor_b32_e32 v26, 1.0, v26
	v_sub_nc_u32_e32 v28, 31, v27
	v_add_lshl_u32 v22, v27, v22, 23
	s_delay_alu instid0(VALU_DEP_3) | instskip(NEXT) | instid1(VALU_DEP_3)
	v_mul_f32_e32 v27, 0x3fc90fda, v26
	v_alignbit_b32 v19, v24, v19, v28
	s_delay_alu instid0(VALU_DEP_3) | instskip(NEXT) | instid1(VALU_DEP_3)
	v_sub_nc_u32_e32 v22, v23, v22
	v_fma_f32 v23, 0x3fc90fda, v26, -v27
	s_delay_alu instid0(VALU_DEP_3) | instskip(NEXT) | instid1(VALU_DEP_2)
	v_lshrrev_b32_e32 v19, 9, v19
	v_fmamk_f32 v23, v26, 0x33a22168, v23
	s_delay_alu instid0(VALU_DEP_2) | instskip(NEXT) | instid1(VALU_DEP_1)
	v_or_b32_e32 v19, v22, v19
	v_fmac_f32_e32 v23, 0x3fc90fda, v19
	s_delay_alu instid0(VALU_DEP_1)
	v_add_f32_e32 v19, v27, v23
	s_or_saveexec_b32 s0, s7
	v_mul_f32_e64 v24, 0x3f22f983, |v13|
	s_xor_b32 exec_lo, exec_lo, s0
	s_branch .LBB134_16
.LBB134_15:
	s_or_saveexec_b32 s0, s7
	v_mul_f32_e64 v24, 0x3f22f983, |v13|
	s_xor_b32 exec_lo, exec_lo, s0
.LBB134_16:
	s_delay_alu instid0(VALU_DEP_1) | instskip(NEXT) | instid1(VALU_DEP_1)
	v_rndne_f32_e32 v20, v24
	v_fma_f32 v19, 0xbfc90fda, v20, |v13|
	s_delay_alu instid0(VALU_DEP_1) | instskip(NEXT) | instid1(VALU_DEP_1)
	v_fmamk_f32 v19, v20, 0xb3a22168, v19
	v_fmamk_f32 v19, v20, 0xa7c234c4, v19
	v_cvt_i32_f32_e32 v20, v20
; %bb.17:
	s_or_b32 exec_lo, exec_lo, s0
                                        ; implicit-def: $vgpr23
                                        ; implicit-def: $vgpr22
	s_and_saveexec_b32 s0, s6
	s_delay_alu instid0(SALU_CYCLE_1)
	s_xor_b32 s6, exec_lo, s0
	s_cbranch_execz .LBB134_19
; %bb.18:
	s_mov_b32 s0, 0x7fffff
	v_mov_b32_e32 v24, 0
	v_and_or_b32 v32, v17, s0, 0x800000
	v_add_nc_u32_e32 v21, 0xffffff88, v21
	s_delay_alu instid0(VALU_DEP_2) | instskip(NEXT) | instid1(VALU_DEP_2)
	v_mad_u64_u32 v[22:23], null, 0xfe5163ab, v32, 0
	v_cmp_lt_u32_e64 s0, 63, v21
	s_delay_alu instid0(VALU_DEP_1) | instskip(NEXT) | instid1(VALU_DEP_3)
	v_cndmask_b32_e64 v30, 0, 0xffffffc0, s0
	v_mad_u64_u32 v[25:26], null, 0x3c439041, v32, v[23:24]
	s_delay_alu instid0(VALU_DEP_2) | instskip(NEXT) | instid1(VALU_DEP_2)
	v_add_nc_u32_e32 v21, v30, v21
	v_mov_b32_e32 v23, v26
	s_delay_alu instid0(VALU_DEP_2) | instskip(NEXT) | instid1(VALU_DEP_2)
	v_cmp_lt_u32_e64 s1, 31, v21
	v_mad_u64_u32 v[26:27], null, 0xdb629599, v32, v[23:24]
	s_delay_alu instid0(VALU_DEP_2) | instskip(NEXT) | instid1(VALU_DEP_1)
	v_cndmask_b32_e64 v31, 0, 0xffffffe0, s1
	v_add_nc_u32_e32 v21, v31, v21
	s_delay_alu instid0(VALU_DEP_3) | instskip(NEXT) | instid1(VALU_DEP_4)
	v_mov_b32_e32 v23, v27
	v_cndmask_b32_e64 v22, v26, v22, s0
	s_delay_alu instid0(VALU_DEP_3) | instskip(NEXT) | instid1(VALU_DEP_3)
	v_cmp_lt_u32_e64 s2, 31, v21
	v_mad_u64_u32 v[27:28], null, 0xf534ddc0, v32, v[23:24]
	s_delay_alu instid0(VALU_DEP_1) | instskip(NEXT) | instid1(VALU_DEP_1)
	v_mov_b32_e32 v23, v28
	v_mad_u64_u32 v[28:29], null, 0xfc2757d1, v32, v[23:24]
	s_delay_alu instid0(VALU_DEP_1) | instskip(NEXT) | instid1(VALU_DEP_1)
	v_mov_b32_e32 v23, v29
	;; [unrolled: 3-line block ×3, first 2 shown]
	v_mad_u64_u32 v[30:31], null, 0xa2f9836e, v32, v[23:24]
	v_cndmask_b32_e64 v23, 0, 0xffffffe0, s2
	s_delay_alu instid0(VALU_DEP_4) | instskip(NEXT) | instid1(VALU_DEP_2)
	v_cndmask_b32_e64 v24, v29, v27, s0
	v_add_nc_u32_e32 v21, v23, v21
	s_delay_alu instid0(VALU_DEP_4)
	v_cndmask_b32_e64 v30, v30, v28, s0
	v_cndmask_b32_e64 v29, v31, v29, s0
	;; [unrolled: 1-line block ×4, first 2 shown]
	v_cmp_eq_u32_e64 s3, 0, v21
	v_cndmask_b32_e64 v25, v30, v24, s1
	v_cndmask_b32_e64 v27, v29, v30, s1
	;; [unrolled: 1-line block ×3, first 2 shown]
	v_sub_nc_u32_e32 v29, 32, v21
	v_cndmask_b32_e64 v28, v28, v23, s1
	v_cndmask_b32_e64 v22, v23, v22, s1
	v_cndmask_b32_e64 v27, v27, v25, s2
	v_cndmask_b32_e64 v25, v25, v24, s2
	s_delay_alu instid0(VALU_DEP_4) | instskip(NEXT) | instid1(VALU_DEP_4)
	v_cndmask_b32_e64 v24, v24, v28, s2
	v_cndmask_b32_e64 v22, v28, v22, s2
	s_delay_alu instid0(VALU_DEP_3) | instskip(NEXT) | instid1(VALU_DEP_3)
	v_alignbit_b32 v30, v27, v25, v29
	v_alignbit_b32 v31, v25, v24, v29
	s_delay_alu instid0(VALU_DEP_3) | instskip(NEXT) | instid1(VALU_DEP_3)
	v_alignbit_b32 v29, v24, v22, v29
	v_cndmask_b32_e64 v21, v30, v27, s3
	s_delay_alu instid0(VALU_DEP_3) | instskip(NEXT) | instid1(VALU_DEP_3)
	v_cndmask_b32_e64 v25, v31, v25, s3
	v_cndmask_b32_e64 v24, v29, v24, s3
	s_delay_alu instid0(VALU_DEP_3) | instskip(NEXT) | instid1(VALU_DEP_3)
	v_bfe_u32 v26, v21, 29, 1
	v_alignbit_b32 v23, v21, v25, 30
	s_delay_alu instid0(VALU_DEP_3) | instskip(SKIP_1) | instid1(VALU_DEP_4)
	v_alignbit_b32 v25, v25, v24, 30
	v_alignbit_b32 v22, v24, v22, 30
	v_sub_nc_u32_e32 v27, 0, v26
	s_delay_alu instid0(VALU_DEP_1) | instskip(SKIP_3) | instid1(VALU_DEP_4)
	v_xor_b32_e32 v28, v23, v27
	v_cmp_ne_u32_e64 s0, v23, v27
	v_xor_b32_e32 v24, v25, v27
	v_xor_b32_e32 v22, v22, v27
	v_clz_i32_u32_e32 v30, v28
	s_delay_alu instid0(VALU_DEP_1) | instskip(NEXT) | instid1(VALU_DEP_1)
	v_add_nc_u32_e32 v29, 1, v30
	v_cndmask_b32_e64 v23, 33, v29, s0
	s_delay_alu instid0(VALU_DEP_1) | instskip(NEXT) | instid1(VALU_DEP_1)
	v_sub_nc_u32_e32 v25, 32, v23
	v_alignbit_b32 v27, v28, v24, v25
	v_alignbit_b32 v22, v24, v22, v25
	v_lshrrev_b32_e32 v24, 29, v21
	v_lshrrev_b32_e32 v21, 30, v21
	s_delay_alu instid0(VALU_DEP_3) | instskip(NEXT) | instid1(VALU_DEP_3)
	v_alignbit_b32 v25, v27, v22, 9
	v_lshlrev_b32_e32 v24, 31, v24
	v_alignbit_b32 v27, v23, v27, 9
	s_delay_alu instid0(VALU_DEP_3) | instskip(NEXT) | instid1(VALU_DEP_2)
	v_clz_i32_u32_e32 v28, v25
	v_or_b32_e32 v27, v27, v24
	v_or_b32_e32 v24, 0x33800000, v24
	s_delay_alu instid0(VALU_DEP_3) | instskip(NEXT) | instid1(VALU_DEP_3)
	v_min_u32_e32 v28, 32, v28
	v_xor_b32_e32 v27, 1.0, v27
	s_delay_alu instid0(VALU_DEP_2) | instskip(SKIP_1) | instid1(VALU_DEP_3)
	v_sub_nc_u32_e32 v29, 31, v28
	v_add_lshl_u32 v23, v28, v23, 23
	v_mul_f32_e32 v28, 0x3fc90fda, v27
	s_delay_alu instid0(VALU_DEP_3) | instskip(NEXT) | instid1(VALU_DEP_3)
	v_alignbit_b32 v22, v25, v22, v29
	v_sub_nc_u32_e32 v23, v24, v23
	s_delay_alu instid0(VALU_DEP_3) | instskip(NEXT) | instid1(VALU_DEP_3)
	v_fma_f32 v24, 0x3fc90fda, v27, -v28
	v_lshrrev_b32_e32 v22, 9, v22
	s_delay_alu instid0(VALU_DEP_2) | instskip(NEXT) | instid1(VALU_DEP_2)
	v_fmamk_f32 v24, v27, 0x33a22168, v24
	v_or_b32_e32 v22, v23, v22
	s_delay_alu instid0(VALU_DEP_1) | instskip(NEXT) | instid1(VALU_DEP_1)
	v_dual_fmac_f32 v24, 0x3fc90fda, v22 :: v_dual_add_nc_u32 v23, v26, v21
	v_add_f32_e32 v22, v28, v24
                                        ; implicit-def: $vgpr24
	s_and_not1_saveexec_b32 s0, s6
	s_cbranch_execnz .LBB134_20
	s_branch .LBB134_21
.LBB134_19:
	s_and_not1_saveexec_b32 s0, s6
.LBB134_20:
	v_rndne_f32_e32 v21, v24
	s_delay_alu instid0(VALU_DEP_1) | instskip(SKIP_1) | instid1(VALU_DEP_2)
	v_fma_f32 v22, 0xbfc90fda, v21, |v13|
	v_cvt_i32_f32_e32 v23, v21
	v_fmamk_f32 v22, v21, 0xb3a22168, v22
	s_delay_alu instid0(VALU_DEP_1)
	v_fmamk_f32 v22, v21, 0xa7c234c4, v22
.LBB134_21:
	s_or_b32 exec_lo, exec_lo, s0
	v_dual_mul_f32 v21, 0x3fb8aa3b, v12 :: v_dual_mul_f32 v26, v19, v19
	s_mov_b32 s0, 0x395133b1
	s_mov_b32 s1, 0x37d75334
	v_dual_mul_f32 v29, v16, v16 :: v_dual_lshlrev_b32 v28, 30, v18
	s_delay_alu instid0(VALU_DEP_2)
	v_rndne_f32_e32 v25, v21
	v_lshlrev_b32_e32 v24, 30, v20
	v_mul_f32_e32 v30, v22, v22
	v_fma_f32 v31, 0x3fb8aa3b, v12, -v21
	s_mov_b32 s2, 0xb94c1982
	v_sub_f32_e32 v21, v21, v25
	v_dual_fmamk_f32 v27, v25, 0xbf317218, v12 :: v_dual_and_b32 v20, 1, v20
	s_delay_alu instid0(VALU_DEP_3) | instskip(SKIP_2) | instid1(VALU_DEP_4)
	v_fmamk_f32 v31, v12, 0x32a5705f, v31
	v_cvt_i32_f32_e32 v39, v25
	v_and_b32_e32 v24, 0x80000000, v24
	v_fmamk_f32 v27, v25, 0x3102e308, v27
	s_delay_alu instid0(VALU_DEP_4) | instskip(SKIP_1) | instid1(VALU_DEP_3)
	v_dual_fmaak_f32 v38, s1, v30, 0xbab64f3b :: v_dual_add_f32 v21, v21, v31
	v_dual_fmaak_f32 v35, s2, v29, 0x3c0881c4 :: v_dual_and_b32 v18, 1, v18
	v_fmaak_f32 v34, s0, v27, 0x3ab69700
	v_cmp_eq_f32_e64 s0, 0x43000000, v25
	s_delay_alu instid0(VALU_DEP_4) | instskip(SKIP_4) | instid1(VALU_DEP_3)
	v_exp_f32_e32 v21, v21
	v_xor_b32_e32 v3, v3, v2
	v_fmaak_f32 v35, v29, v35, 0xbe2aaa9d
	v_fmaak_f32 v34, v27, v34, 0x3c0887f9
	v_cndmask_b32_e64 v25, v39, 0x7f, s0
	v_dual_mul_f32 v35, v29, v35 :: v_dual_and_b32 v28, 0x80000000, v28
	s_delay_alu instid0(VALU_DEP_3) | instskip(NEXT) | instid1(VALU_DEP_3)
	v_fmaak_f32 v34, v27, v34, 0x3d2aaa81
	v_ldexp_f32 v25, 1.0, v25
	v_fmaak_f32 v33, s2, v26, 0x3c0881c4
	s_delay_alu instid0(TRANS32_DEP_1) | instskip(SKIP_2) | instid1(VALU_DEP_1)
	v_ldexp_f32 v21, v21, v39
	v_fmac_f32_e32 v16, v16, v35
	v_fmaak_f32 v34, v27, v34, 0x3e2aaaab
	v_fma_f32 v31, v27, v34, 0.5
	v_fmaak_f32 v32, s1, v26, 0xbab64f3b
	v_fmaak_f32 v34, v30, v38, 0x3d2aabf7
	v_add_f32_e32 v38, -1.0, v25
	v_fmaak_f32 v33, v26, v33, 0xbe2aaa9d
	v_dual_mul_f32 v31, v27, v31 :: v_dual_fmaak_f32 v36, s1, v29, 0xbab64f3b
	v_cmp_ngt_f32_e64 s1, 0xc2ce8ed0, v12
	v_fmaak_f32 v32, v26, v32, 0x3d2aabf7
	s_delay_alu instid0(VALU_DEP_4) | instskip(NEXT) | instid1(VALU_DEP_4)
	v_mul_f32_e32 v33, v26, v33
	v_fmac_f32_e32 v27, v27, v31
	v_fmaak_f32 v37, s2, v30, 0x3c0881c4
	v_cndmask_b32_e64 v21, 0, v21, s1
	v_cmp_eq_u32_e64 s1, 0, v18
	v_fmaak_f32 v32, v26, v32, 0xbf000004
	v_fmac_f32_e32 v38, v25, v27
	v_fmaak_f32 v36, v29, v36, 0x3d2aabf7
	v_fmaak_f32 v37, v30, v37, 0xbe2aaa9d
	v_fmac_f32_e32 v19, v19, v33
	v_fma_f32 v26, v26, v32, 1.0
	s_delay_alu instid0(VALU_DEP_4) | instskip(NEXT) | instid1(VALU_DEP_4)
	v_dual_add_f32 v27, v38, v38 :: v_dual_fmaak_f32 v36, v29, v36, 0xbf000004
	v_mul_f32_e32 v31, v30, v37
	s_delay_alu instid0(VALU_DEP_2) | instskip(NEXT) | instid1(VALU_DEP_1)
	v_fma_f32 v25, v29, v36, 1.0
	v_cndmask_b32_e64 v16, v25, v16, s1
	v_cmp_nlt_f32_e64 s1, 0x42b17218, v12
	v_lshlrev_b32_e32 v25, 30, v23
	v_fmac_f32_e32 v22, v22, v31
	s_delay_alu instid0(VALU_DEP_4) | instskip(NEXT) | instid1(VALU_DEP_4)
	v_xor3_b32 v3, v3, v28, v16
	v_cndmask_b32_e64 v18, 0x7f800000, v21, s1
	v_cndmask_b32_e64 v21, v38, v27, s0
	v_cmp_eq_u32_e64 s0, 0, v20
	v_fmaak_f32 v20, v30, v34, 0xbf000004
	v_and_b32_e32 v16, 1, v23
	v_and_b32_e32 v23, 0x80000000, v25
	v_cmp_ngt_f32_e64 s1, 0xc1880000, v12
	v_cndmask_b32_e64 v19, -v19, v26, s0
	v_cmp_class_f32_e64 s0, v2, 0x1f8
	v_fma_f32 v20, v30, v20, 1.0
	s_delay_alu instid0(VALU_DEP_3) | instskip(NEXT) | instid1(VALU_DEP_3)
	v_xor_b32_e32 v19, v24, v19
	v_cndmask_b32_e64 v2, 0x7fc00000, v3, s0
	v_cmp_eq_u32_e64 s0, 0, v16
	v_xor_b32_e32 v16, v17, v23
	s_delay_alu instid0(VALU_DEP_2) | instskip(SKIP_2) | instid1(VALU_DEP_3)
	v_cndmask_b32_e64 v3, v20, v22, s0
	v_cmp_nlt_f32_e64 s0, 0x42b17217, v12
	v_add_f32_e32 v20, v2, v2
	v_xor3_b32 v3, v16, v3, v13
	s_delay_alu instid0(VALU_DEP_3) | instskip(SKIP_1) | instid1(VALU_DEP_4)
	v_cndmask_b32_e64 v17, 0x7f800000, v21, s0
	v_cmp_class_f32_e64 s0, v13, 0x1f8
	v_mul_f32_e32 v2, v2, v20
	s_delay_alu instid0(VALU_DEP_3) | instskip(NEXT) | instid1(VALU_DEP_3)
	v_cndmask_b32_e64 v12, -1.0, v17, s1
	v_cndmask_b32_e64 v13, 0x7fc00000, v19, s0
	v_cndmask_b32_e64 v3, 0x7fc00000, v3, s0
	s_delay_alu instid0(VALU_DEP_2) | instskip(NEXT) | instid1(VALU_DEP_2)
	v_fma_f32 v2, v12, v13, -v2
	v_mul_f32_e32 v3, v18, v3
.LBB134_22:
	s_or_b32 exec_lo, exec_lo, s5
	s_waitcnt vmcnt(0) lgkmcnt(0)
	v_dual_mov_b32 v12, 0 :: v_dual_mov_b32 v13, 0
	s_mov_b32 s5, exec_lo
	v_cmpx_lt_i32_e64 v15, v4
	s_cbranch_execz .LBB134_36
; %bb.23:
	v_mul_f32_e32 v12, 0.5, v11
                                        ; implicit-def: $vgpr18
                                        ; implicit-def: $vgpr16
	s_mov_b32 s1, exec_lo
	s_delay_alu instid0(VALU_DEP_1)
	v_and_b32_e32 v13, 0x7fffffff, v12
	v_cmpx_ngt_f32_e64 0x48000000, |v12|
	s_xor_b32 s6, exec_lo, s1
	s_cbranch_execz .LBB134_25
; %bb.24:
	s_mov_b32 s0, 0x7fffff
	v_mov_b32_e32 v18, 0
	v_and_or_b32 v26, v13, s0, 0x800000
	v_lshrrev_b32_e32 v23, 23, v13
	s_delay_alu instid0(VALU_DEP_2) | instskip(NEXT) | instid1(VALU_DEP_2)
	v_mad_u64_u32 v[16:17], null, 0xfe5163ab, v26, 0
	v_add_nc_u32_e32 v24, 0xffffff88, v23
	s_delay_alu instid0(VALU_DEP_1) | instskip(NEXT) | instid1(VALU_DEP_3)
	v_cmp_lt_u32_e64 s0, 63, v24
	v_mad_u64_u32 v[19:20], null, 0x3c439041, v26, v[17:18]
	s_delay_alu instid0(VALU_DEP_2) | instskip(NEXT) | instid1(VALU_DEP_2)
	v_cndmask_b32_e64 v25, 0, 0xffffffc0, s0
	v_mov_b32_e32 v17, v20
	s_delay_alu instid0(VALU_DEP_2) | instskip(NEXT) | instid1(VALU_DEP_2)
	v_add_nc_u32_e32 v25, v25, v24
	v_mad_u64_u32 v[20:21], null, 0xdb629599, v26, v[17:18]
	s_delay_alu instid0(VALU_DEP_2) | instskip(NEXT) | instid1(VALU_DEP_1)
	v_cmp_lt_u32_e64 s1, 31, v25
	v_cndmask_b32_e64 v27, 0, 0xffffffe0, s1
	s_delay_alu instid0(VALU_DEP_3) | instskip(NEXT) | instid1(VALU_DEP_4)
	v_mov_b32_e32 v17, v21
	v_cndmask_b32_e64 v16, v20, v16, s0
	s_delay_alu instid0(VALU_DEP_3) | instskip(NEXT) | instid1(VALU_DEP_3)
	v_add_nc_u32_e32 v27, v27, v25
	v_mad_u64_u32 v[21:22], null, 0xf534ddc0, v26, v[17:18]
	s_delay_alu instid0(VALU_DEP_2) | instskip(NEXT) | instid1(VALU_DEP_2)
	v_cmp_lt_u32_e64 s2, 31, v27
	v_mov_b32_e32 v17, v22
	s_delay_alu instid0(VALU_DEP_3) | instskip(NEXT) | instid1(VALU_DEP_2)
	v_cndmask_b32_e64 v19, v21, v19, s0
	v_mad_u64_u32 v[22:23], null, 0xfc2757d1, v26, v[17:18]
	s_delay_alu instid0(VALU_DEP_2) | instskip(NEXT) | instid1(VALU_DEP_2)
	v_cndmask_b32_e64 v16, v19, v16, s1
	v_mov_b32_e32 v17, v23
	s_delay_alu instid0(VALU_DEP_1) | instskip(NEXT) | instid1(VALU_DEP_1)
	v_mad_u64_u32 v[23:24], null, 0x4e441529, v26, v[17:18]
	v_mov_b32_e32 v17, v24
	s_delay_alu instid0(VALU_DEP_1) | instskip(SKIP_1) | instid1(VALU_DEP_4)
	v_mad_u64_u32 v[24:25], null, 0xa2f9836e, v26, v[17:18]
	v_cndmask_b32_e64 v17, 0, 0xffffffe0, s2
	v_cndmask_b32_e64 v18, v23, v21, s0
	s_delay_alu instid0(VALU_DEP_2) | instskip(NEXT) | instid1(VALU_DEP_4)
	v_add_nc_u32_e32 v17, v17, v27
	v_cndmask_b32_e64 v24, v24, v22, s0
	v_cndmask_b32_e64 v23, v25, v23, s0
	;; [unrolled: 1-line block ×3, first 2 shown]
	s_delay_alu instid0(VALU_DEP_4) | instskip(NEXT) | instid1(VALU_DEP_4)
	v_cmp_eq_u32_e64 s3, 0, v17
	v_cndmask_b32_e64 v21, v24, v18, s1
	s_delay_alu instid0(VALU_DEP_4) | instskip(NEXT) | instid1(VALU_DEP_4)
	v_cndmask_b32_e64 v23, v23, v24, s1
	v_cndmask_b32_e64 v18, v18, v22, s1
	v_sub_nc_u32_e32 v24, 32, v17
	v_cndmask_b32_e64 v22, v22, v19, s1
	s_delay_alu instid0(VALU_DEP_4) | instskip(NEXT) | instid1(VALU_DEP_4)
	v_cndmask_b32_e64 v23, v23, v21, s2
	v_cndmask_b32_e64 v21, v21, v18, s2
	s_delay_alu instid0(VALU_DEP_3) | instskip(SKIP_1) | instid1(VALU_DEP_3)
	v_cndmask_b32_e64 v18, v18, v22, s2
	v_cndmask_b32_e64 v16, v22, v16, s2
	v_alignbit_b32 v25, v23, v21, v24
	s_delay_alu instid0(VALU_DEP_3) | instskip(NEXT) | instid1(VALU_DEP_3)
	v_alignbit_b32 v26, v21, v18, v24
	v_alignbit_b32 v24, v18, v16, v24
	s_delay_alu instid0(VALU_DEP_3) | instskip(NEXT) | instid1(VALU_DEP_3)
	v_cndmask_b32_e64 v17, v25, v23, s3
	v_cndmask_b32_e64 v20, v26, v21, s3
	s_delay_alu instid0(VALU_DEP_3) | instskip(NEXT) | instid1(VALU_DEP_3)
	v_cndmask_b32_e64 v18, v24, v18, s3
	v_bfe_u32 v21, v17, 29, 1
	s_delay_alu instid0(VALU_DEP_3) | instskip(NEXT) | instid1(VALU_DEP_3)
	v_alignbit_b32 v19, v17, v20, 30
	v_alignbit_b32 v20, v20, v18, 30
	;; [unrolled: 1-line block ×3, first 2 shown]
	s_delay_alu instid0(VALU_DEP_4) | instskip(NEXT) | instid1(VALU_DEP_1)
	v_sub_nc_u32_e32 v23, 0, v21
	v_xor_b32_e32 v22, v19, v23
	v_cmp_ne_u32_e64 s0, v19, v23
	v_xor_b32_e32 v18, v20, v23
	v_xor_b32_e32 v16, v16, v23
	s_delay_alu instid0(VALU_DEP_4) | instskip(NEXT) | instid1(VALU_DEP_1)
	v_clz_i32_u32_e32 v25, v22
	v_add_nc_u32_e32 v24, 1, v25
	s_delay_alu instid0(VALU_DEP_1) | instskip(NEXT) | instid1(VALU_DEP_1)
	v_cndmask_b32_e64 v19, 33, v24, s0
	v_sub_nc_u32_e32 v20, 32, v19
	s_delay_alu instid0(VALU_DEP_1) | instskip(SKIP_3) | instid1(VALU_DEP_3)
	v_alignbit_b32 v22, v22, v18, v20
	v_alignbit_b32 v16, v18, v16, v20
	v_lshrrev_b32_e32 v18, 29, v17
	v_lshrrev_b32_e32 v17, 30, v17
	v_alignbit_b32 v20, v22, v16, 9
	s_delay_alu instid0(VALU_DEP_3) | instskip(SKIP_1) | instid1(VALU_DEP_3)
	v_lshlrev_b32_e32 v18, 31, v18
	v_alignbit_b32 v22, v19, v22, 9
	v_clz_i32_u32_e32 v23, v20
	s_delay_alu instid0(VALU_DEP_2) | instskip(SKIP_1) | instid1(VALU_DEP_3)
	v_or_b32_e32 v22, v22, v18
	v_or_b32_e32 v18, 0x33800000, v18
	v_min_u32_e32 v23, 32, v23
	s_delay_alu instid0(VALU_DEP_3) | instskip(NEXT) | instid1(VALU_DEP_2)
	v_xor_b32_e32 v22, 1.0, v22
	v_sub_nc_u32_e32 v24, 31, v23
	v_add_lshl_u32 v19, v23, v19, 23
	s_delay_alu instid0(VALU_DEP_3) | instskip(NEXT) | instid1(VALU_DEP_3)
	v_mul_f32_e32 v23, 0x3fc90fda, v22
	v_alignbit_b32 v16, v20, v16, v24
	s_delay_alu instid0(VALU_DEP_3) | instskip(NEXT) | instid1(VALU_DEP_2)
	v_sub_nc_u32_e32 v18, v18, v19
	v_lshrrev_b32_e32 v16, 9, v16
	s_delay_alu instid0(VALU_DEP_1) | instskip(SKIP_2) | instid1(VALU_DEP_1)
	v_or_b32_e32 v16, v18, v16
	v_add_nc_u32_e32 v18, v21, v17
	v_fma_f32 v19, 0x3fc90fda, v22, -v23
	v_fmamk_f32 v19, v22, 0x33a22168, v19
	s_delay_alu instid0(VALU_DEP_1) | instskip(NEXT) | instid1(VALU_DEP_1)
	v_fmac_f32_e32 v19, 0x3fc90fda, v16
	v_add_f32_e32 v16, v23, v19
.LBB134_25:
	s_and_not1_saveexec_b32 s0, s6
; %bb.26:
	v_mul_f32_e64 v16, 0x3f22f983, |v12|
	s_delay_alu instid0(VALU_DEP_1) | instskip(NEXT) | instid1(VALU_DEP_1)
	v_rndne_f32_e32 v17, v16
	v_fma_f32 v16, 0xbfc90fda, v17, |v12|
	v_cvt_i32_f32_e32 v18, v17
	s_delay_alu instid0(VALU_DEP_2) | instskip(NEXT) | instid1(VALU_DEP_1)
	v_fmamk_f32 v16, v17, 0xb3a22168, v16
	v_fmamk_f32 v16, v17, 0xa7c234c4, v16
; %bb.27:
	s_or_b32 exec_lo, exec_lo, s0
	v_and_b32_e32 v17, 0x7fffffff, v11
	v_cmp_ngt_f32_e64 s6, 0x48000000, |v11|
                                        ; implicit-def: $vgpr20
                                        ; implicit-def: $vgpr19
	s_delay_alu instid0(VALU_DEP_2) | instskip(NEXT) | instid1(VALU_DEP_2)
	v_lshrrev_b32_e32 v21, 23, v17
	s_and_saveexec_b32 s0, s6
	s_delay_alu instid0(SALU_CYCLE_1)
	s_xor_b32 s7, exec_lo, s0
	s_cbranch_execz .LBB134_29
; %bb.28:
	s_mov_b32 s0, 0x7fffff
	s_delay_alu instid0(SALU_CYCLE_1) | instskip(NEXT) | instid1(VALU_DEP_1)
	v_and_or_b32 v31, v17, s0, 0x800000
	v_mad_u64_u32 v[19:20], null, 0xfe5163ab, v31, 0
	s_delay_alu instid0(VALU_DEP_1) | instskip(SKIP_1) | instid1(VALU_DEP_2)
	v_dual_mov_b32 v23, 0 :: v_dual_mov_b32 v22, v20
	v_add_nc_u32_e32 v20, 0xffffff88, v21
	v_mad_u64_u32 v[24:25], null, 0x3c439041, v31, v[22:23]
	s_delay_alu instid0(VALU_DEP_2) | instskip(NEXT) | instid1(VALU_DEP_1)
	v_cmp_lt_u32_e64 s0, 63, v20
	v_cndmask_b32_e64 v29, 0, 0xffffffc0, s0
	s_delay_alu instid0(VALU_DEP_3) | instskip(NEXT) | instid1(VALU_DEP_2)
	v_mov_b32_e32 v22, v25
	v_add_nc_u32_e32 v20, v29, v20
	s_delay_alu instid0(VALU_DEP_2) | instskip(NEXT) | instid1(VALU_DEP_2)
	v_mad_u64_u32 v[25:26], null, 0xdb629599, v31, v[22:23]
	v_cmp_lt_u32_e64 s1, 31, v20
	s_delay_alu instid0(VALU_DEP_2) | instskip(NEXT) | instid1(VALU_DEP_2)
	v_mov_b32_e32 v22, v26
	v_cndmask_b32_e64 v30, 0, 0xffffffe0, s1
	s_delay_alu instid0(VALU_DEP_4) | instskip(NEXT) | instid1(VALU_DEP_3)
	v_cndmask_b32_e64 v19, v25, v19, s0
	v_mad_u64_u32 v[26:27], null, 0xf534ddc0, v31, v[22:23]
	s_delay_alu instid0(VALU_DEP_3) | instskip(NEXT) | instid1(VALU_DEP_1)
	v_add_nc_u32_e32 v20, v30, v20
	v_cmp_lt_u32_e64 s2, 31, v20
	s_delay_alu instid0(VALU_DEP_3) | instskip(NEXT) | instid1(VALU_DEP_1)
	v_mov_b32_e32 v22, v27
	v_mad_u64_u32 v[27:28], null, 0xfc2757d1, v31, v[22:23]
	s_delay_alu instid0(VALU_DEP_1) | instskip(NEXT) | instid1(VALU_DEP_1)
	v_mov_b32_e32 v22, v28
	v_mad_u64_u32 v[28:29], null, 0x4e441529, v31, v[22:23]
	s_delay_alu instid0(VALU_DEP_1) | instskip(NEXT) | instid1(VALU_DEP_1)
	v_mov_b32_e32 v22, v29
	v_mad_u64_u32 v[29:30], null, 0xa2f9836e, v31, v[22:23]
	v_cndmask_b32_e64 v22, 0, 0xffffffe0, s2
	s_delay_alu instid0(VALU_DEP_4) | instskip(NEXT) | instid1(VALU_DEP_2)
	v_cndmask_b32_e64 v23, v28, v26, s0
	v_add_nc_u32_e32 v20, v22, v20
	s_delay_alu instid0(VALU_DEP_4)
	v_cndmask_b32_e64 v29, v29, v27, s0
	v_cndmask_b32_e64 v28, v30, v28, s0
	;; [unrolled: 1-line block ×4, first 2 shown]
	v_cmp_eq_u32_e64 s3, 0, v20
	v_cndmask_b32_e64 v24, v29, v23, s1
	v_cndmask_b32_e64 v26, v28, v29, s1
	;; [unrolled: 1-line block ×3, first 2 shown]
	v_sub_nc_u32_e32 v28, 32, v20
	v_cndmask_b32_e64 v27, v27, v22, s1
	v_cndmask_b32_e64 v19, v22, v19, s1
	;; [unrolled: 1-line block ×4, first 2 shown]
	s_delay_alu instid0(VALU_DEP_4) | instskip(NEXT) | instid1(VALU_DEP_4)
	v_cndmask_b32_e64 v23, v23, v27, s2
	v_cndmask_b32_e64 v19, v27, v19, s2
	s_delay_alu instid0(VALU_DEP_3) | instskip(NEXT) | instid1(VALU_DEP_3)
	v_alignbit_b32 v29, v26, v24, v28
	v_alignbit_b32 v30, v24, v23, v28
	s_delay_alu instid0(VALU_DEP_3) | instskip(NEXT) | instid1(VALU_DEP_3)
	v_alignbit_b32 v28, v23, v19, v28
	v_cndmask_b32_e64 v20, v29, v26, s3
	s_delay_alu instid0(VALU_DEP_3) | instskip(NEXT) | instid1(VALU_DEP_3)
	v_cndmask_b32_e64 v24, v30, v24, s3
	v_cndmask_b32_e64 v23, v28, v23, s3
	s_delay_alu instid0(VALU_DEP_3) | instskip(NEXT) | instid1(VALU_DEP_3)
	v_bfe_u32 v25, v20, 29, 1
	v_alignbit_b32 v22, v20, v24, 30
	s_delay_alu instid0(VALU_DEP_3) | instskip(SKIP_1) | instid1(VALU_DEP_4)
	v_alignbit_b32 v24, v24, v23, 30
	v_alignbit_b32 v19, v23, v19, 30
	v_sub_nc_u32_e32 v26, 0, v25
	s_delay_alu instid0(VALU_DEP_1) | instskip(SKIP_3) | instid1(VALU_DEP_4)
	v_xor_b32_e32 v27, v22, v26
	v_cmp_ne_u32_e64 s0, v22, v26
	v_xor_b32_e32 v23, v24, v26
	v_xor_b32_e32 v19, v19, v26
	v_clz_i32_u32_e32 v29, v27
	s_delay_alu instid0(VALU_DEP_1) | instskip(NEXT) | instid1(VALU_DEP_1)
	v_add_nc_u32_e32 v28, 1, v29
	v_cndmask_b32_e64 v22, 33, v28, s0
	s_delay_alu instid0(VALU_DEP_1) | instskip(NEXT) | instid1(VALU_DEP_1)
	v_sub_nc_u32_e32 v24, 32, v22
	v_alignbit_b32 v26, v27, v23, v24
	v_alignbit_b32 v19, v23, v19, v24
	v_lshrrev_b32_e32 v23, 29, v20
	v_lshrrev_b32_e32 v20, 30, v20
	s_delay_alu instid0(VALU_DEP_3) | instskip(NEXT) | instid1(VALU_DEP_3)
	v_alignbit_b32 v24, v26, v19, 9
	v_lshlrev_b32_e32 v23, 31, v23
	v_alignbit_b32 v26, v22, v26, 9
	s_delay_alu instid0(VALU_DEP_4) | instskip(NEXT) | instid1(VALU_DEP_4)
	v_add_nc_u32_e32 v20, v25, v20
	v_clz_i32_u32_e32 v27, v24
	s_delay_alu instid0(VALU_DEP_3) | instskip(SKIP_1) | instid1(VALU_DEP_3)
	v_or_b32_e32 v26, v26, v23
	v_or_b32_e32 v23, 0x33800000, v23
	v_min_u32_e32 v27, 32, v27
	s_delay_alu instid0(VALU_DEP_3) | instskip(NEXT) | instid1(VALU_DEP_2)
	v_xor_b32_e32 v26, 1.0, v26
	v_sub_nc_u32_e32 v28, 31, v27
	v_add_lshl_u32 v22, v27, v22, 23
	s_delay_alu instid0(VALU_DEP_3) | instskip(NEXT) | instid1(VALU_DEP_3)
	v_mul_f32_e32 v27, 0x3fc90fda, v26
	v_alignbit_b32 v19, v24, v19, v28
	s_delay_alu instid0(VALU_DEP_3) | instskip(NEXT) | instid1(VALU_DEP_3)
	v_sub_nc_u32_e32 v22, v23, v22
	v_fma_f32 v23, 0x3fc90fda, v26, -v27
	s_delay_alu instid0(VALU_DEP_3) | instskip(NEXT) | instid1(VALU_DEP_2)
	v_lshrrev_b32_e32 v19, 9, v19
	v_fmamk_f32 v23, v26, 0x33a22168, v23
	s_delay_alu instid0(VALU_DEP_2) | instskip(NEXT) | instid1(VALU_DEP_1)
	v_or_b32_e32 v19, v22, v19
	v_fmac_f32_e32 v23, 0x3fc90fda, v19
	s_delay_alu instid0(VALU_DEP_1)
	v_add_f32_e32 v19, v27, v23
	s_or_saveexec_b32 s0, s7
	v_mul_f32_e64 v24, 0x3f22f983, |v11|
	s_xor_b32 exec_lo, exec_lo, s0
	s_branch .LBB134_30
.LBB134_29:
	s_or_saveexec_b32 s0, s7
	v_mul_f32_e64 v24, 0x3f22f983, |v11|
	s_xor_b32 exec_lo, exec_lo, s0
.LBB134_30:
	s_delay_alu instid0(VALU_DEP_1) | instskip(NEXT) | instid1(VALU_DEP_1)
	v_rndne_f32_e32 v20, v24
	v_fma_f32 v19, 0xbfc90fda, v20, |v11|
	s_delay_alu instid0(VALU_DEP_1) | instskip(NEXT) | instid1(VALU_DEP_1)
	v_fmamk_f32 v19, v20, 0xb3a22168, v19
	v_fmamk_f32 v19, v20, 0xa7c234c4, v19
	v_cvt_i32_f32_e32 v20, v20
; %bb.31:
	s_or_b32 exec_lo, exec_lo, s0
                                        ; implicit-def: $vgpr23
                                        ; implicit-def: $vgpr22
	s_and_saveexec_b32 s0, s6
	s_delay_alu instid0(SALU_CYCLE_1)
	s_xor_b32 s6, exec_lo, s0
	s_cbranch_execz .LBB134_33
; %bb.32:
	s_mov_b32 s0, 0x7fffff
	v_mov_b32_e32 v24, 0
	v_and_or_b32 v32, v17, s0, 0x800000
	v_add_nc_u32_e32 v21, 0xffffff88, v21
	s_delay_alu instid0(VALU_DEP_2) | instskip(NEXT) | instid1(VALU_DEP_2)
	v_mad_u64_u32 v[22:23], null, 0xfe5163ab, v32, 0
	v_cmp_lt_u32_e64 s0, 63, v21
	s_delay_alu instid0(VALU_DEP_1) | instskip(NEXT) | instid1(VALU_DEP_3)
	v_cndmask_b32_e64 v30, 0, 0xffffffc0, s0
	v_mad_u64_u32 v[25:26], null, 0x3c439041, v32, v[23:24]
	s_delay_alu instid0(VALU_DEP_2) | instskip(NEXT) | instid1(VALU_DEP_2)
	v_add_nc_u32_e32 v21, v30, v21
	v_mov_b32_e32 v23, v26
	s_delay_alu instid0(VALU_DEP_2) | instskip(NEXT) | instid1(VALU_DEP_2)
	v_cmp_lt_u32_e64 s1, 31, v21
	v_mad_u64_u32 v[26:27], null, 0xdb629599, v32, v[23:24]
	s_delay_alu instid0(VALU_DEP_2) | instskip(NEXT) | instid1(VALU_DEP_1)
	v_cndmask_b32_e64 v31, 0, 0xffffffe0, s1
	v_add_nc_u32_e32 v21, v31, v21
	s_delay_alu instid0(VALU_DEP_3) | instskip(NEXT) | instid1(VALU_DEP_4)
	v_mov_b32_e32 v23, v27
	v_cndmask_b32_e64 v22, v26, v22, s0
	s_delay_alu instid0(VALU_DEP_3) | instskip(NEXT) | instid1(VALU_DEP_3)
	v_cmp_lt_u32_e64 s2, 31, v21
	v_mad_u64_u32 v[27:28], null, 0xf534ddc0, v32, v[23:24]
	s_delay_alu instid0(VALU_DEP_1) | instskip(NEXT) | instid1(VALU_DEP_1)
	v_mov_b32_e32 v23, v28
	v_mad_u64_u32 v[28:29], null, 0xfc2757d1, v32, v[23:24]
	s_delay_alu instid0(VALU_DEP_1) | instskip(NEXT) | instid1(VALU_DEP_1)
	v_mov_b32_e32 v23, v29
	;; [unrolled: 3-line block ×3, first 2 shown]
	v_mad_u64_u32 v[30:31], null, 0xa2f9836e, v32, v[23:24]
	v_cndmask_b32_e64 v23, 0, 0xffffffe0, s2
	s_delay_alu instid0(VALU_DEP_4) | instskip(NEXT) | instid1(VALU_DEP_2)
	v_cndmask_b32_e64 v24, v29, v27, s0
	v_add_nc_u32_e32 v21, v23, v21
	s_delay_alu instid0(VALU_DEP_4)
	v_cndmask_b32_e64 v30, v30, v28, s0
	v_cndmask_b32_e64 v29, v31, v29, s0
	;; [unrolled: 1-line block ×4, first 2 shown]
	v_cmp_eq_u32_e64 s3, 0, v21
	v_cndmask_b32_e64 v25, v30, v24, s1
	v_cndmask_b32_e64 v27, v29, v30, s1
	;; [unrolled: 1-line block ×3, first 2 shown]
	v_sub_nc_u32_e32 v29, 32, v21
	v_cndmask_b32_e64 v28, v28, v23, s1
	v_cndmask_b32_e64 v22, v23, v22, s1
	;; [unrolled: 1-line block ×4, first 2 shown]
	s_delay_alu instid0(VALU_DEP_4) | instskip(NEXT) | instid1(VALU_DEP_4)
	v_cndmask_b32_e64 v24, v24, v28, s2
	v_cndmask_b32_e64 v22, v28, v22, s2
	s_delay_alu instid0(VALU_DEP_3) | instskip(NEXT) | instid1(VALU_DEP_3)
	v_alignbit_b32 v30, v27, v25, v29
	v_alignbit_b32 v31, v25, v24, v29
	s_delay_alu instid0(VALU_DEP_3) | instskip(NEXT) | instid1(VALU_DEP_3)
	v_alignbit_b32 v29, v24, v22, v29
	v_cndmask_b32_e64 v21, v30, v27, s3
	s_delay_alu instid0(VALU_DEP_3) | instskip(NEXT) | instid1(VALU_DEP_3)
	v_cndmask_b32_e64 v25, v31, v25, s3
	v_cndmask_b32_e64 v24, v29, v24, s3
	s_delay_alu instid0(VALU_DEP_3) | instskip(NEXT) | instid1(VALU_DEP_3)
	v_bfe_u32 v26, v21, 29, 1
	v_alignbit_b32 v23, v21, v25, 30
	s_delay_alu instid0(VALU_DEP_3) | instskip(SKIP_1) | instid1(VALU_DEP_4)
	v_alignbit_b32 v25, v25, v24, 30
	v_alignbit_b32 v22, v24, v22, 30
	v_sub_nc_u32_e32 v27, 0, v26
	s_delay_alu instid0(VALU_DEP_1) | instskip(SKIP_3) | instid1(VALU_DEP_4)
	v_xor_b32_e32 v28, v23, v27
	v_cmp_ne_u32_e64 s0, v23, v27
	v_xor_b32_e32 v24, v25, v27
	v_xor_b32_e32 v22, v22, v27
	v_clz_i32_u32_e32 v30, v28
	s_delay_alu instid0(VALU_DEP_1) | instskip(NEXT) | instid1(VALU_DEP_1)
	v_add_nc_u32_e32 v29, 1, v30
	v_cndmask_b32_e64 v23, 33, v29, s0
	s_delay_alu instid0(VALU_DEP_1) | instskip(NEXT) | instid1(VALU_DEP_1)
	v_sub_nc_u32_e32 v25, 32, v23
	v_alignbit_b32 v27, v28, v24, v25
	v_alignbit_b32 v22, v24, v22, v25
	v_lshrrev_b32_e32 v24, 29, v21
	v_lshrrev_b32_e32 v21, 30, v21
	s_delay_alu instid0(VALU_DEP_3) | instskip(NEXT) | instid1(VALU_DEP_3)
	v_alignbit_b32 v25, v27, v22, 9
	v_lshlrev_b32_e32 v24, 31, v24
	v_alignbit_b32 v27, v23, v27, 9
	s_delay_alu instid0(VALU_DEP_3) | instskip(NEXT) | instid1(VALU_DEP_2)
	v_clz_i32_u32_e32 v28, v25
	v_or_b32_e32 v27, v27, v24
	v_or_b32_e32 v24, 0x33800000, v24
	s_delay_alu instid0(VALU_DEP_3) | instskip(NEXT) | instid1(VALU_DEP_3)
	v_min_u32_e32 v28, 32, v28
	v_xor_b32_e32 v27, 1.0, v27
	s_delay_alu instid0(VALU_DEP_2) | instskip(SKIP_1) | instid1(VALU_DEP_3)
	v_sub_nc_u32_e32 v29, 31, v28
	v_add_lshl_u32 v23, v28, v23, 23
	v_mul_f32_e32 v28, 0x3fc90fda, v27
	s_delay_alu instid0(VALU_DEP_3) | instskip(NEXT) | instid1(VALU_DEP_3)
	v_alignbit_b32 v22, v25, v22, v29
	v_sub_nc_u32_e32 v23, v24, v23
	s_delay_alu instid0(VALU_DEP_3) | instskip(NEXT) | instid1(VALU_DEP_3)
	v_fma_f32 v24, 0x3fc90fda, v27, -v28
	v_lshrrev_b32_e32 v22, 9, v22
	s_delay_alu instid0(VALU_DEP_2) | instskip(NEXT) | instid1(VALU_DEP_2)
	v_fmamk_f32 v24, v27, 0x33a22168, v24
	v_or_b32_e32 v22, v23, v22
	s_delay_alu instid0(VALU_DEP_1) | instskip(NEXT) | instid1(VALU_DEP_1)
	v_dual_fmac_f32 v24, 0x3fc90fda, v22 :: v_dual_add_nc_u32 v23, v26, v21
	v_add_f32_e32 v22, v28, v24
                                        ; implicit-def: $vgpr24
	s_and_not1_saveexec_b32 s0, s6
	s_cbranch_execnz .LBB134_34
	s_branch .LBB134_35
.LBB134_33:
	s_and_not1_saveexec_b32 s0, s6
.LBB134_34:
	v_rndne_f32_e32 v21, v24
	s_delay_alu instid0(VALU_DEP_1) | instskip(SKIP_1) | instid1(VALU_DEP_2)
	v_fma_f32 v22, 0xbfc90fda, v21, |v11|
	v_cvt_i32_f32_e32 v23, v21
	v_fmamk_f32 v22, v21, 0xb3a22168, v22
	s_delay_alu instid0(VALU_DEP_1)
	v_fmamk_f32 v22, v21, 0xa7c234c4, v22
.LBB134_35:
	s_or_b32 exec_lo, exec_lo, s0
	v_dual_mul_f32 v21, 0x3fb8aa3b, v10 :: v_dual_lshlrev_b32 v24, 30, v20
	s_mov_b32 s0, 0x395133b1
	v_dual_mul_f32 v26, v19, v19 :: v_dual_mul_f32 v29, v16, v16
	s_delay_alu instid0(VALU_DEP_2)
	v_rndne_f32_e32 v25, v21
	v_and_b32_e32 v20, 1, v20
	s_mov_b32 s2, 0xb94c1982
	v_mul_f32_e32 v30, v22, v22
	v_fma_f32 v31, 0x3fb8aa3b, v10, -v21
	v_sub_f32_e32 v21, v21, v25
	v_dual_fmamk_f32 v27, v25, 0xbf317218, v10 :: v_dual_lshlrev_b32 v28, 30, v18
	v_dual_fmaak_f32 v35, s2, v29, 0x3c0881c4 :: v_dual_and_b32 v18, 1, v18
	v_cvt_i32_f32_e32 v39, v25
	s_delay_alu instid0(VALU_DEP_3)
	v_fmamk_f32 v27, v25, 0x3102e308, v27
	s_mov_b32 s1, 0x37d75334
	v_xor_b32_e32 v13, v13, v12
	v_fmaak_f32 v35, v29, v35, 0xbe2aaa9d
	v_and_b32_e32 v28, 0x80000000, v28
	v_fmaak_f32 v34, s0, v27, 0x3ab69700
	v_cmp_eq_f32_e64 s0, 0x43000000, v25
	s_delay_alu instid0(VALU_DEP_4) | instskip(SKIP_1) | instid1(VALU_DEP_4)
	v_dual_fmaak_f32 v38, s1, v30, 0xbab64f3b :: v_dual_mul_f32 v35, v29, v35
	v_fmamk_f32 v31, v10, 0x32a5705f, v31
	v_fmaak_f32 v34, v27, v34, 0x3c0887f9
	s_delay_alu instid0(VALU_DEP_4) | instskip(NEXT) | instid1(VALU_DEP_4)
	v_cndmask_b32_e64 v25, v39, 0x7f, s0
	v_fmac_f32_e32 v16, v16, v35
	s_delay_alu instid0(VALU_DEP_4) | instskip(NEXT) | instid1(VALU_DEP_4)
	v_dual_add_f32 v21, v21, v31 :: v_dual_and_b32 v24, 0x80000000, v24
	v_fmaak_f32 v34, v27, v34, 0x3d2aaa81
	s_delay_alu instid0(VALU_DEP_4) | instskip(SKIP_1) | instid1(VALU_DEP_4)
	v_ldexp_f32 v25, 1.0, v25
	v_fmaak_f32 v33, s2, v26, 0x3c0881c4
	v_exp_f32_e32 v21, v21
	s_delay_alu instid0(VALU_DEP_3) | instskip(NEXT) | instid1(VALU_DEP_1)
	v_fmaak_f32 v34, v27, v34, 0x3e2aaaab
	v_fma_f32 v31, v27, v34, 0.5
	v_fmaak_f32 v32, s1, v26, 0xbab64f3b
	v_fmaak_f32 v34, v30, v38, 0x3d2aabf7
	v_add_f32_e32 v38, -1.0, v25
	s_waitcnt_depctr 0xfff
	v_ldexp_f32 v21, v21, v39
	v_dual_mul_f32 v31, v27, v31 :: v_dual_fmaak_f32 v36, s1, v29, 0xbab64f3b
	v_cmp_ngt_f32_e64 s1, 0xc2ce8ed0, v10
	v_fmaak_f32 v32, v26, v32, 0x3d2aabf7
	v_fmaak_f32 v33, v26, v33, 0xbe2aaa9d
	s_delay_alu instid0(VALU_DEP_4)
	v_fmac_f32_e32 v27, v27, v31
	v_fmaak_f32 v37, s2, v30, 0x3c0881c4
	v_cndmask_b32_e64 v21, 0, v21, s1
	v_cmp_eq_u32_e64 s1, 0, v18
	v_fmaak_f32 v32, v26, v32, 0xbf000004
	v_fmac_f32_e32 v38, v25, v27
	s_delay_alu instid0(VALU_DEP_1) | instskip(NEXT) | instid1(VALU_DEP_1)
	v_dual_fmaak_f32 v36, v29, v36, 0x3d2aabf7 :: v_dual_add_f32 v27, v38, v38
	v_fmaak_f32 v36, v29, v36, 0xbf000004
	s_delay_alu instid0(VALU_DEP_1) | instskip(NEXT) | instid1(VALU_DEP_1)
	v_fma_f32 v25, v29, v36, 1.0
	v_cndmask_b32_e64 v16, v25, v16, s1
	v_cmp_nlt_f32_e64 s1, 0x42b17218, v10
	v_lshlrev_b32_e32 v25, 30, v23
	s_delay_alu instid0(VALU_DEP_3)
	v_xor3_b32 v13, v13, v28, v16
	v_dual_mul_f32 v33, v26, v33 :: v_dual_and_b32 v16, 1, v23
	v_fma_f32 v26, v26, v32, 1.0
	v_cndmask_b32_e64 v18, 0x7f800000, v21, s1
	v_cndmask_b32_e64 v21, v38, v27, s0
	v_cmp_eq_u32_e64 s0, 0, v20
	v_dual_fmac_f32 v19, v19, v33 :: v_dual_fmaak_f32 v20, v30, v34, 0xbf000004
	v_cmp_ngt_f32_e64 s1, 0xc1880000, v10
	v_and_b32_e32 v23, 0x80000000, v25
	s_delay_alu instid0(VALU_DEP_3) | instskip(SKIP_2) | instid1(VALU_DEP_3)
	v_cndmask_b32_e64 v19, -v19, v26, s0
	v_cmp_class_f32_e64 s0, v12, 0x1f8
	v_fma_f32 v20, v30, v20, 1.0
	v_xor_b32_e32 v19, v24, v19
	s_delay_alu instid0(VALU_DEP_3) | instskip(SKIP_3) | instid1(VALU_DEP_3)
	v_cndmask_b32_e64 v12, 0x7fc00000, v13, s0
	v_fmaak_f32 v37, v30, v37, 0xbe2aaa9d
	v_cmp_eq_u32_e64 s0, 0, v16
	v_xor_b32_e32 v16, v17, v23
	v_mul_f32_e32 v31, v30, v37
	s_delay_alu instid0(VALU_DEP_1) | instskip(NEXT) | instid1(VALU_DEP_1)
	v_fmac_f32_e32 v22, v22, v31
	v_cndmask_b32_e64 v13, v20, v22, s0
	v_cmp_nlt_f32_e64 s0, 0x42b17217, v10
	v_add_f32_e32 v20, v12, v12
	s_delay_alu instid0(VALU_DEP_2) | instskip(SKIP_2) | instid1(VALU_DEP_4)
	v_cndmask_b32_e64 v17, 0x7f800000, v21, s0
	v_cmp_class_f32_e64 s0, v11, 0x1f8
	v_xor3_b32 v11, v16, v13, v11
	v_mul_f32_e32 v12, v12, v20
	s_delay_alu instid0(VALU_DEP_4) | instskip(NEXT) | instid1(VALU_DEP_4)
	v_cndmask_b32_e64 v10, -1.0, v17, s1
	v_cndmask_b32_e64 v13, 0x7fc00000, v19, s0
	s_delay_alu instid0(VALU_DEP_4) | instskip(NEXT) | instid1(VALU_DEP_2)
	v_cndmask_b32_e64 v11, 0x7fc00000, v11, s0
	v_fma_f32 v12, v10, v13, -v12
	s_delay_alu instid0(VALU_DEP_2)
	v_mul_f32_e32 v13, v18, v11
.LBB134_36:
	s_or_b32 exec_lo, exec_lo, s5
	v_dual_mov_b32 v10, 0 :: v_dual_add_nc_u32 v11, 0x200, v14
	s_delay_alu instid0(VALU_DEP_1) | instskip(SKIP_1) | instid1(VALU_DEP_2)
	v_cmp_lt_i32_e64 s0, v11, v4
	v_mov_b32_e32 v11, 0
	s_and_saveexec_b32 s5, s0
	s_cbranch_execz .LBB134_50
; %bb.37:
	v_mul_f32_e32 v10, 0.5, v9
                                        ; implicit-def: $vgpr18
                                        ; implicit-def: $vgpr16
	s_mov_b32 s1, exec_lo
	s_delay_alu instid0(VALU_DEP_1)
	v_and_b32_e32 v11, 0x7fffffff, v10
	v_cmpx_ngt_f32_e64 0x48000000, |v10|
	s_xor_b32 s6, exec_lo, s1
	s_cbranch_execz .LBB134_39
; %bb.38:
	s_mov_b32 s0, 0x7fffff
	v_mov_b32_e32 v18, 0
	v_and_or_b32 v26, v11, s0, 0x800000
	v_lshrrev_b32_e32 v23, 23, v11
	s_delay_alu instid0(VALU_DEP_2) | instskip(NEXT) | instid1(VALU_DEP_2)
	v_mad_u64_u32 v[16:17], null, 0xfe5163ab, v26, 0
	v_add_nc_u32_e32 v24, 0xffffff88, v23
	s_delay_alu instid0(VALU_DEP_1) | instskip(NEXT) | instid1(VALU_DEP_3)
	v_cmp_lt_u32_e64 s0, 63, v24
	v_mad_u64_u32 v[19:20], null, 0x3c439041, v26, v[17:18]
	s_delay_alu instid0(VALU_DEP_2) | instskip(NEXT) | instid1(VALU_DEP_2)
	v_cndmask_b32_e64 v25, 0, 0xffffffc0, s0
	v_mov_b32_e32 v17, v20
	s_delay_alu instid0(VALU_DEP_2) | instskip(NEXT) | instid1(VALU_DEP_2)
	v_add_nc_u32_e32 v25, v25, v24
	v_mad_u64_u32 v[20:21], null, 0xdb629599, v26, v[17:18]
	s_delay_alu instid0(VALU_DEP_2) | instskip(NEXT) | instid1(VALU_DEP_1)
	v_cmp_lt_u32_e64 s1, 31, v25
	v_cndmask_b32_e64 v27, 0, 0xffffffe0, s1
	s_delay_alu instid0(VALU_DEP_3) | instskip(NEXT) | instid1(VALU_DEP_4)
	v_mov_b32_e32 v17, v21
	v_cndmask_b32_e64 v16, v20, v16, s0
	s_delay_alu instid0(VALU_DEP_3) | instskip(NEXT) | instid1(VALU_DEP_3)
	v_add_nc_u32_e32 v27, v27, v25
	v_mad_u64_u32 v[21:22], null, 0xf534ddc0, v26, v[17:18]
	s_delay_alu instid0(VALU_DEP_2) | instskip(NEXT) | instid1(VALU_DEP_2)
	v_cmp_lt_u32_e64 s2, 31, v27
	v_mov_b32_e32 v17, v22
	s_delay_alu instid0(VALU_DEP_3) | instskip(NEXT) | instid1(VALU_DEP_2)
	v_cndmask_b32_e64 v19, v21, v19, s0
	v_mad_u64_u32 v[22:23], null, 0xfc2757d1, v26, v[17:18]
	s_delay_alu instid0(VALU_DEP_2) | instskip(NEXT) | instid1(VALU_DEP_2)
	v_cndmask_b32_e64 v16, v19, v16, s1
	v_mov_b32_e32 v17, v23
	s_delay_alu instid0(VALU_DEP_1) | instskip(NEXT) | instid1(VALU_DEP_1)
	v_mad_u64_u32 v[23:24], null, 0x4e441529, v26, v[17:18]
	v_mov_b32_e32 v17, v24
	s_delay_alu instid0(VALU_DEP_1) | instskip(SKIP_1) | instid1(VALU_DEP_4)
	v_mad_u64_u32 v[24:25], null, 0xa2f9836e, v26, v[17:18]
	v_cndmask_b32_e64 v17, 0, 0xffffffe0, s2
	v_cndmask_b32_e64 v18, v23, v21, s0
	s_delay_alu instid0(VALU_DEP_2) | instskip(NEXT) | instid1(VALU_DEP_4)
	v_add_nc_u32_e32 v17, v17, v27
	v_cndmask_b32_e64 v24, v24, v22, s0
	v_cndmask_b32_e64 v23, v25, v23, s0
	;; [unrolled: 1-line block ×3, first 2 shown]
	s_delay_alu instid0(VALU_DEP_4) | instskip(NEXT) | instid1(VALU_DEP_4)
	v_cmp_eq_u32_e64 s3, 0, v17
	v_cndmask_b32_e64 v21, v24, v18, s1
	s_delay_alu instid0(VALU_DEP_4) | instskip(NEXT) | instid1(VALU_DEP_4)
	v_cndmask_b32_e64 v23, v23, v24, s1
	v_cndmask_b32_e64 v18, v18, v22, s1
	v_sub_nc_u32_e32 v24, 32, v17
	v_cndmask_b32_e64 v22, v22, v19, s1
	s_delay_alu instid0(VALU_DEP_4) | instskip(NEXT) | instid1(VALU_DEP_4)
	v_cndmask_b32_e64 v23, v23, v21, s2
	v_cndmask_b32_e64 v21, v21, v18, s2
	s_delay_alu instid0(VALU_DEP_3) | instskip(SKIP_1) | instid1(VALU_DEP_3)
	v_cndmask_b32_e64 v18, v18, v22, s2
	v_cndmask_b32_e64 v16, v22, v16, s2
	v_alignbit_b32 v25, v23, v21, v24
	s_delay_alu instid0(VALU_DEP_3) | instskip(NEXT) | instid1(VALU_DEP_3)
	v_alignbit_b32 v26, v21, v18, v24
	v_alignbit_b32 v24, v18, v16, v24
	s_delay_alu instid0(VALU_DEP_3) | instskip(NEXT) | instid1(VALU_DEP_3)
	v_cndmask_b32_e64 v17, v25, v23, s3
	v_cndmask_b32_e64 v20, v26, v21, s3
	s_delay_alu instid0(VALU_DEP_3) | instskip(NEXT) | instid1(VALU_DEP_3)
	v_cndmask_b32_e64 v18, v24, v18, s3
	v_bfe_u32 v21, v17, 29, 1
	s_delay_alu instid0(VALU_DEP_3) | instskip(NEXT) | instid1(VALU_DEP_3)
	v_alignbit_b32 v19, v17, v20, 30
	v_alignbit_b32 v20, v20, v18, 30
	;; [unrolled: 1-line block ×3, first 2 shown]
	s_delay_alu instid0(VALU_DEP_4) | instskip(NEXT) | instid1(VALU_DEP_1)
	v_sub_nc_u32_e32 v23, 0, v21
	v_xor_b32_e32 v22, v19, v23
	v_cmp_ne_u32_e64 s0, v19, v23
	v_xor_b32_e32 v18, v20, v23
	v_xor_b32_e32 v16, v16, v23
	s_delay_alu instid0(VALU_DEP_4) | instskip(NEXT) | instid1(VALU_DEP_1)
	v_clz_i32_u32_e32 v25, v22
	v_add_nc_u32_e32 v24, 1, v25
	s_delay_alu instid0(VALU_DEP_1) | instskip(NEXT) | instid1(VALU_DEP_1)
	v_cndmask_b32_e64 v19, 33, v24, s0
	v_sub_nc_u32_e32 v20, 32, v19
	s_delay_alu instid0(VALU_DEP_1) | instskip(SKIP_3) | instid1(VALU_DEP_3)
	v_alignbit_b32 v22, v22, v18, v20
	v_alignbit_b32 v16, v18, v16, v20
	v_lshrrev_b32_e32 v18, 29, v17
	v_lshrrev_b32_e32 v17, 30, v17
	v_alignbit_b32 v20, v22, v16, 9
	s_delay_alu instid0(VALU_DEP_3) | instskip(SKIP_1) | instid1(VALU_DEP_3)
	v_lshlrev_b32_e32 v18, 31, v18
	v_alignbit_b32 v22, v19, v22, 9
	v_clz_i32_u32_e32 v23, v20
	s_delay_alu instid0(VALU_DEP_2) | instskip(SKIP_1) | instid1(VALU_DEP_3)
	v_or_b32_e32 v22, v22, v18
	v_or_b32_e32 v18, 0x33800000, v18
	v_min_u32_e32 v23, 32, v23
	s_delay_alu instid0(VALU_DEP_3) | instskip(NEXT) | instid1(VALU_DEP_2)
	v_xor_b32_e32 v22, 1.0, v22
	v_sub_nc_u32_e32 v24, 31, v23
	v_add_lshl_u32 v19, v23, v19, 23
	s_delay_alu instid0(VALU_DEP_3) | instskip(NEXT) | instid1(VALU_DEP_3)
	v_mul_f32_e32 v23, 0x3fc90fda, v22
	v_alignbit_b32 v16, v20, v16, v24
	s_delay_alu instid0(VALU_DEP_3) | instskip(NEXT) | instid1(VALU_DEP_2)
	v_sub_nc_u32_e32 v18, v18, v19
	v_lshrrev_b32_e32 v16, 9, v16
	s_delay_alu instid0(VALU_DEP_1) | instskip(SKIP_2) | instid1(VALU_DEP_1)
	v_or_b32_e32 v16, v18, v16
	v_add_nc_u32_e32 v18, v21, v17
	v_fma_f32 v19, 0x3fc90fda, v22, -v23
	v_fmamk_f32 v19, v22, 0x33a22168, v19
	s_delay_alu instid0(VALU_DEP_1) | instskip(NEXT) | instid1(VALU_DEP_1)
	v_fmac_f32_e32 v19, 0x3fc90fda, v16
	v_add_f32_e32 v16, v23, v19
.LBB134_39:
	s_and_not1_saveexec_b32 s0, s6
; %bb.40:
	v_mul_f32_e64 v16, 0x3f22f983, |v10|
	s_delay_alu instid0(VALU_DEP_1) | instskip(NEXT) | instid1(VALU_DEP_1)
	v_rndne_f32_e32 v17, v16
	v_fma_f32 v16, 0xbfc90fda, v17, |v10|
	v_cvt_i32_f32_e32 v18, v17
	s_delay_alu instid0(VALU_DEP_2) | instskip(NEXT) | instid1(VALU_DEP_1)
	v_fmamk_f32 v16, v17, 0xb3a22168, v16
	v_fmamk_f32 v16, v17, 0xa7c234c4, v16
; %bb.41:
	s_or_b32 exec_lo, exec_lo, s0
	v_and_b32_e32 v17, 0x7fffffff, v9
	v_cmp_ngt_f32_e64 s6, 0x48000000, |v9|
                                        ; implicit-def: $vgpr20
                                        ; implicit-def: $vgpr19
	s_delay_alu instid0(VALU_DEP_2) | instskip(NEXT) | instid1(VALU_DEP_2)
	v_lshrrev_b32_e32 v21, 23, v17
	s_and_saveexec_b32 s0, s6
	s_delay_alu instid0(SALU_CYCLE_1)
	s_xor_b32 s7, exec_lo, s0
	s_cbranch_execz .LBB134_43
; %bb.42:
	s_mov_b32 s0, 0x7fffff
	s_delay_alu instid0(SALU_CYCLE_1) | instskip(NEXT) | instid1(VALU_DEP_1)
	v_and_or_b32 v31, v17, s0, 0x800000
	v_mad_u64_u32 v[19:20], null, 0xfe5163ab, v31, 0
	s_delay_alu instid0(VALU_DEP_1) | instskip(SKIP_1) | instid1(VALU_DEP_2)
	v_dual_mov_b32 v23, 0 :: v_dual_mov_b32 v22, v20
	v_add_nc_u32_e32 v20, 0xffffff88, v21
	v_mad_u64_u32 v[24:25], null, 0x3c439041, v31, v[22:23]
	s_delay_alu instid0(VALU_DEP_2) | instskip(NEXT) | instid1(VALU_DEP_1)
	v_cmp_lt_u32_e64 s0, 63, v20
	v_cndmask_b32_e64 v29, 0, 0xffffffc0, s0
	s_delay_alu instid0(VALU_DEP_3) | instskip(NEXT) | instid1(VALU_DEP_2)
	v_mov_b32_e32 v22, v25
	v_add_nc_u32_e32 v20, v29, v20
	s_delay_alu instid0(VALU_DEP_2) | instskip(NEXT) | instid1(VALU_DEP_2)
	v_mad_u64_u32 v[25:26], null, 0xdb629599, v31, v[22:23]
	v_cmp_lt_u32_e64 s1, 31, v20
	s_delay_alu instid0(VALU_DEP_2) | instskip(NEXT) | instid1(VALU_DEP_2)
	v_mov_b32_e32 v22, v26
	v_cndmask_b32_e64 v30, 0, 0xffffffe0, s1
	s_delay_alu instid0(VALU_DEP_4) | instskip(NEXT) | instid1(VALU_DEP_3)
	v_cndmask_b32_e64 v19, v25, v19, s0
	v_mad_u64_u32 v[26:27], null, 0xf534ddc0, v31, v[22:23]
	s_delay_alu instid0(VALU_DEP_3) | instskip(NEXT) | instid1(VALU_DEP_1)
	v_add_nc_u32_e32 v20, v30, v20
	v_cmp_lt_u32_e64 s2, 31, v20
	s_delay_alu instid0(VALU_DEP_3) | instskip(NEXT) | instid1(VALU_DEP_1)
	v_mov_b32_e32 v22, v27
	v_mad_u64_u32 v[27:28], null, 0xfc2757d1, v31, v[22:23]
	s_delay_alu instid0(VALU_DEP_1) | instskip(NEXT) | instid1(VALU_DEP_1)
	v_mov_b32_e32 v22, v28
	v_mad_u64_u32 v[28:29], null, 0x4e441529, v31, v[22:23]
	s_delay_alu instid0(VALU_DEP_1) | instskip(NEXT) | instid1(VALU_DEP_1)
	v_mov_b32_e32 v22, v29
	v_mad_u64_u32 v[29:30], null, 0xa2f9836e, v31, v[22:23]
	v_cndmask_b32_e64 v22, 0, 0xffffffe0, s2
	s_delay_alu instid0(VALU_DEP_4) | instskip(NEXT) | instid1(VALU_DEP_2)
	v_cndmask_b32_e64 v23, v28, v26, s0
	v_add_nc_u32_e32 v20, v22, v20
	s_delay_alu instid0(VALU_DEP_4)
	v_cndmask_b32_e64 v29, v29, v27, s0
	v_cndmask_b32_e64 v28, v30, v28, s0
	v_cndmask_b32_e64 v27, v27, v25, s0
	v_cndmask_b32_e64 v22, v26, v24, s0
	v_cmp_eq_u32_e64 s3, 0, v20
	v_cndmask_b32_e64 v24, v29, v23, s1
	v_cndmask_b32_e64 v26, v28, v29, s1
	;; [unrolled: 1-line block ×3, first 2 shown]
	v_sub_nc_u32_e32 v28, 32, v20
	v_cndmask_b32_e64 v27, v27, v22, s1
	v_cndmask_b32_e64 v19, v22, v19, s1
	;; [unrolled: 1-line block ×4, first 2 shown]
	s_delay_alu instid0(VALU_DEP_4) | instskip(NEXT) | instid1(VALU_DEP_4)
	v_cndmask_b32_e64 v23, v23, v27, s2
	v_cndmask_b32_e64 v19, v27, v19, s2
	s_delay_alu instid0(VALU_DEP_3) | instskip(NEXT) | instid1(VALU_DEP_3)
	v_alignbit_b32 v29, v26, v24, v28
	v_alignbit_b32 v30, v24, v23, v28
	s_delay_alu instid0(VALU_DEP_3) | instskip(NEXT) | instid1(VALU_DEP_3)
	v_alignbit_b32 v28, v23, v19, v28
	v_cndmask_b32_e64 v20, v29, v26, s3
	s_delay_alu instid0(VALU_DEP_3) | instskip(NEXT) | instid1(VALU_DEP_3)
	v_cndmask_b32_e64 v24, v30, v24, s3
	v_cndmask_b32_e64 v23, v28, v23, s3
	s_delay_alu instid0(VALU_DEP_3) | instskip(NEXT) | instid1(VALU_DEP_3)
	v_bfe_u32 v25, v20, 29, 1
	v_alignbit_b32 v22, v20, v24, 30
	s_delay_alu instid0(VALU_DEP_3) | instskip(SKIP_1) | instid1(VALU_DEP_4)
	v_alignbit_b32 v24, v24, v23, 30
	v_alignbit_b32 v19, v23, v19, 30
	v_sub_nc_u32_e32 v26, 0, v25
	s_delay_alu instid0(VALU_DEP_1) | instskip(SKIP_3) | instid1(VALU_DEP_4)
	v_xor_b32_e32 v27, v22, v26
	v_cmp_ne_u32_e64 s0, v22, v26
	v_xor_b32_e32 v23, v24, v26
	v_xor_b32_e32 v19, v19, v26
	v_clz_i32_u32_e32 v29, v27
	s_delay_alu instid0(VALU_DEP_1) | instskip(NEXT) | instid1(VALU_DEP_1)
	v_add_nc_u32_e32 v28, 1, v29
	v_cndmask_b32_e64 v22, 33, v28, s0
	s_delay_alu instid0(VALU_DEP_1) | instskip(NEXT) | instid1(VALU_DEP_1)
	v_sub_nc_u32_e32 v24, 32, v22
	v_alignbit_b32 v26, v27, v23, v24
	v_alignbit_b32 v19, v23, v19, v24
	v_lshrrev_b32_e32 v23, 29, v20
	v_lshrrev_b32_e32 v20, 30, v20
	s_delay_alu instid0(VALU_DEP_3) | instskip(NEXT) | instid1(VALU_DEP_3)
	v_alignbit_b32 v24, v26, v19, 9
	v_lshlrev_b32_e32 v23, 31, v23
	v_alignbit_b32 v26, v22, v26, 9
	s_delay_alu instid0(VALU_DEP_4) | instskip(NEXT) | instid1(VALU_DEP_4)
	v_add_nc_u32_e32 v20, v25, v20
	v_clz_i32_u32_e32 v27, v24
	s_delay_alu instid0(VALU_DEP_3) | instskip(SKIP_1) | instid1(VALU_DEP_3)
	v_or_b32_e32 v26, v26, v23
	v_or_b32_e32 v23, 0x33800000, v23
	v_min_u32_e32 v27, 32, v27
	s_delay_alu instid0(VALU_DEP_3) | instskip(NEXT) | instid1(VALU_DEP_2)
	v_xor_b32_e32 v26, 1.0, v26
	v_sub_nc_u32_e32 v28, 31, v27
	v_add_lshl_u32 v22, v27, v22, 23
	s_delay_alu instid0(VALU_DEP_3) | instskip(NEXT) | instid1(VALU_DEP_3)
	v_mul_f32_e32 v27, 0x3fc90fda, v26
	v_alignbit_b32 v19, v24, v19, v28
	s_delay_alu instid0(VALU_DEP_3) | instskip(NEXT) | instid1(VALU_DEP_3)
	v_sub_nc_u32_e32 v22, v23, v22
	v_fma_f32 v23, 0x3fc90fda, v26, -v27
	s_delay_alu instid0(VALU_DEP_3) | instskip(NEXT) | instid1(VALU_DEP_2)
	v_lshrrev_b32_e32 v19, 9, v19
	v_fmamk_f32 v23, v26, 0x33a22168, v23
	s_delay_alu instid0(VALU_DEP_2) | instskip(NEXT) | instid1(VALU_DEP_1)
	v_or_b32_e32 v19, v22, v19
	v_fmac_f32_e32 v23, 0x3fc90fda, v19
	s_delay_alu instid0(VALU_DEP_1)
	v_add_f32_e32 v19, v27, v23
	s_or_saveexec_b32 s0, s7
	v_mul_f32_e64 v24, 0x3f22f983, |v9|
	s_xor_b32 exec_lo, exec_lo, s0
	s_branch .LBB134_44
.LBB134_43:
	s_or_saveexec_b32 s0, s7
	v_mul_f32_e64 v24, 0x3f22f983, |v9|
	s_xor_b32 exec_lo, exec_lo, s0
.LBB134_44:
	s_delay_alu instid0(VALU_DEP_1) | instskip(NEXT) | instid1(VALU_DEP_1)
	v_rndne_f32_e32 v20, v24
	v_fma_f32 v19, 0xbfc90fda, v20, |v9|
	s_delay_alu instid0(VALU_DEP_1) | instskip(NEXT) | instid1(VALU_DEP_1)
	v_fmamk_f32 v19, v20, 0xb3a22168, v19
	v_fmamk_f32 v19, v20, 0xa7c234c4, v19
	v_cvt_i32_f32_e32 v20, v20
; %bb.45:
	s_or_b32 exec_lo, exec_lo, s0
                                        ; implicit-def: $vgpr23
                                        ; implicit-def: $vgpr22
	s_and_saveexec_b32 s0, s6
	s_delay_alu instid0(SALU_CYCLE_1)
	s_xor_b32 s6, exec_lo, s0
	s_cbranch_execz .LBB134_47
; %bb.46:
	s_mov_b32 s0, 0x7fffff
	v_mov_b32_e32 v24, 0
	v_and_or_b32 v32, v17, s0, 0x800000
	v_add_nc_u32_e32 v21, 0xffffff88, v21
	s_delay_alu instid0(VALU_DEP_2) | instskip(NEXT) | instid1(VALU_DEP_2)
	v_mad_u64_u32 v[22:23], null, 0xfe5163ab, v32, 0
	v_cmp_lt_u32_e64 s0, 63, v21
	s_delay_alu instid0(VALU_DEP_1) | instskip(NEXT) | instid1(VALU_DEP_3)
	v_cndmask_b32_e64 v30, 0, 0xffffffc0, s0
	v_mad_u64_u32 v[25:26], null, 0x3c439041, v32, v[23:24]
	s_delay_alu instid0(VALU_DEP_2) | instskip(NEXT) | instid1(VALU_DEP_2)
	v_add_nc_u32_e32 v21, v30, v21
	v_mov_b32_e32 v23, v26
	s_delay_alu instid0(VALU_DEP_2) | instskip(NEXT) | instid1(VALU_DEP_2)
	v_cmp_lt_u32_e64 s1, 31, v21
	v_mad_u64_u32 v[26:27], null, 0xdb629599, v32, v[23:24]
	s_delay_alu instid0(VALU_DEP_2) | instskip(NEXT) | instid1(VALU_DEP_1)
	v_cndmask_b32_e64 v31, 0, 0xffffffe0, s1
	v_add_nc_u32_e32 v21, v31, v21
	s_delay_alu instid0(VALU_DEP_3) | instskip(NEXT) | instid1(VALU_DEP_4)
	v_mov_b32_e32 v23, v27
	v_cndmask_b32_e64 v22, v26, v22, s0
	s_delay_alu instid0(VALU_DEP_3) | instskip(NEXT) | instid1(VALU_DEP_3)
	v_cmp_lt_u32_e64 s2, 31, v21
	v_mad_u64_u32 v[27:28], null, 0xf534ddc0, v32, v[23:24]
	s_delay_alu instid0(VALU_DEP_1) | instskip(NEXT) | instid1(VALU_DEP_1)
	v_mov_b32_e32 v23, v28
	v_mad_u64_u32 v[28:29], null, 0xfc2757d1, v32, v[23:24]
	s_delay_alu instid0(VALU_DEP_1) | instskip(NEXT) | instid1(VALU_DEP_1)
	v_mov_b32_e32 v23, v29
	;; [unrolled: 3-line block ×3, first 2 shown]
	v_mad_u64_u32 v[30:31], null, 0xa2f9836e, v32, v[23:24]
	v_cndmask_b32_e64 v23, 0, 0xffffffe0, s2
	s_delay_alu instid0(VALU_DEP_4) | instskip(NEXT) | instid1(VALU_DEP_2)
	v_cndmask_b32_e64 v24, v29, v27, s0
	v_add_nc_u32_e32 v21, v23, v21
	s_delay_alu instid0(VALU_DEP_4)
	v_cndmask_b32_e64 v30, v30, v28, s0
	v_cndmask_b32_e64 v29, v31, v29, s0
	;; [unrolled: 1-line block ×4, first 2 shown]
	v_cmp_eq_u32_e64 s3, 0, v21
	v_cndmask_b32_e64 v25, v30, v24, s1
	v_cndmask_b32_e64 v27, v29, v30, s1
	;; [unrolled: 1-line block ×3, first 2 shown]
	v_sub_nc_u32_e32 v29, 32, v21
	v_cndmask_b32_e64 v28, v28, v23, s1
	v_cndmask_b32_e64 v22, v23, v22, s1
	;; [unrolled: 1-line block ×4, first 2 shown]
	s_delay_alu instid0(VALU_DEP_4) | instskip(NEXT) | instid1(VALU_DEP_4)
	v_cndmask_b32_e64 v24, v24, v28, s2
	v_cndmask_b32_e64 v22, v28, v22, s2
	s_delay_alu instid0(VALU_DEP_3) | instskip(NEXT) | instid1(VALU_DEP_3)
	v_alignbit_b32 v30, v27, v25, v29
	v_alignbit_b32 v31, v25, v24, v29
	s_delay_alu instid0(VALU_DEP_3) | instskip(NEXT) | instid1(VALU_DEP_3)
	v_alignbit_b32 v29, v24, v22, v29
	v_cndmask_b32_e64 v21, v30, v27, s3
	s_delay_alu instid0(VALU_DEP_3) | instskip(NEXT) | instid1(VALU_DEP_3)
	v_cndmask_b32_e64 v25, v31, v25, s3
	v_cndmask_b32_e64 v24, v29, v24, s3
	s_delay_alu instid0(VALU_DEP_3) | instskip(NEXT) | instid1(VALU_DEP_3)
	v_bfe_u32 v26, v21, 29, 1
	v_alignbit_b32 v23, v21, v25, 30
	s_delay_alu instid0(VALU_DEP_3) | instskip(SKIP_1) | instid1(VALU_DEP_4)
	v_alignbit_b32 v25, v25, v24, 30
	v_alignbit_b32 v22, v24, v22, 30
	v_sub_nc_u32_e32 v27, 0, v26
	s_delay_alu instid0(VALU_DEP_1) | instskip(SKIP_3) | instid1(VALU_DEP_4)
	v_xor_b32_e32 v28, v23, v27
	v_cmp_ne_u32_e64 s0, v23, v27
	v_xor_b32_e32 v24, v25, v27
	v_xor_b32_e32 v22, v22, v27
	v_clz_i32_u32_e32 v30, v28
	s_delay_alu instid0(VALU_DEP_1) | instskip(NEXT) | instid1(VALU_DEP_1)
	v_add_nc_u32_e32 v29, 1, v30
	v_cndmask_b32_e64 v23, 33, v29, s0
	s_delay_alu instid0(VALU_DEP_1) | instskip(NEXT) | instid1(VALU_DEP_1)
	v_sub_nc_u32_e32 v25, 32, v23
	v_alignbit_b32 v27, v28, v24, v25
	v_alignbit_b32 v22, v24, v22, v25
	v_lshrrev_b32_e32 v24, 29, v21
	v_lshrrev_b32_e32 v21, 30, v21
	s_delay_alu instid0(VALU_DEP_3) | instskip(NEXT) | instid1(VALU_DEP_3)
	v_alignbit_b32 v25, v27, v22, 9
	v_lshlrev_b32_e32 v24, 31, v24
	v_alignbit_b32 v27, v23, v27, 9
	s_delay_alu instid0(VALU_DEP_3) | instskip(NEXT) | instid1(VALU_DEP_2)
	v_clz_i32_u32_e32 v28, v25
	v_or_b32_e32 v27, v27, v24
	v_or_b32_e32 v24, 0x33800000, v24
	s_delay_alu instid0(VALU_DEP_3) | instskip(NEXT) | instid1(VALU_DEP_3)
	v_min_u32_e32 v28, 32, v28
	v_xor_b32_e32 v27, 1.0, v27
	s_delay_alu instid0(VALU_DEP_2) | instskip(SKIP_1) | instid1(VALU_DEP_3)
	v_sub_nc_u32_e32 v29, 31, v28
	v_add_lshl_u32 v23, v28, v23, 23
	v_mul_f32_e32 v28, 0x3fc90fda, v27
	s_delay_alu instid0(VALU_DEP_3) | instskip(NEXT) | instid1(VALU_DEP_3)
	v_alignbit_b32 v22, v25, v22, v29
	v_sub_nc_u32_e32 v23, v24, v23
	s_delay_alu instid0(VALU_DEP_3) | instskip(NEXT) | instid1(VALU_DEP_3)
	v_fma_f32 v24, 0x3fc90fda, v27, -v28
	v_lshrrev_b32_e32 v22, 9, v22
	s_delay_alu instid0(VALU_DEP_2) | instskip(NEXT) | instid1(VALU_DEP_2)
	v_fmamk_f32 v24, v27, 0x33a22168, v24
	v_or_b32_e32 v22, v23, v22
	s_delay_alu instid0(VALU_DEP_1) | instskip(NEXT) | instid1(VALU_DEP_1)
	v_dual_fmac_f32 v24, 0x3fc90fda, v22 :: v_dual_add_nc_u32 v23, v26, v21
	v_add_f32_e32 v22, v28, v24
                                        ; implicit-def: $vgpr24
	s_and_not1_saveexec_b32 s0, s6
	s_cbranch_execnz .LBB134_48
	s_branch .LBB134_49
.LBB134_47:
	s_and_not1_saveexec_b32 s0, s6
.LBB134_48:
	v_rndne_f32_e32 v21, v24
	s_delay_alu instid0(VALU_DEP_1) | instskip(SKIP_1) | instid1(VALU_DEP_2)
	v_fma_f32 v22, 0xbfc90fda, v21, |v9|
	v_cvt_i32_f32_e32 v23, v21
	v_fmamk_f32 v22, v21, 0xb3a22168, v22
	s_delay_alu instid0(VALU_DEP_1)
	v_fmamk_f32 v22, v21, 0xa7c234c4, v22
.LBB134_49:
	s_or_b32 exec_lo, exec_lo, s0
	v_dual_mul_f32 v21, 0x3fb8aa3b, v8 :: v_dual_mul_f32 v26, v19, v19
	s_mov_b32 s0, 0x395133b1
	s_mov_b32 s1, 0x37d75334
	v_dual_mul_f32 v29, v16, v16 :: v_dual_lshlrev_b32 v28, 30, v18
	s_delay_alu instid0(VALU_DEP_2)
	v_rndne_f32_e32 v25, v21
	v_lshlrev_b32_e32 v24, 30, v20
	v_mul_f32_e32 v30, v22, v22
	v_fma_f32 v31, 0x3fb8aa3b, v8, -v21
	s_mov_b32 s2, 0xb94c1982
	v_sub_f32_e32 v21, v21, v25
	v_dual_fmamk_f32 v27, v25, 0xbf317218, v8 :: v_dual_and_b32 v20, 1, v20
	s_delay_alu instid0(VALU_DEP_3) | instskip(SKIP_2) | instid1(VALU_DEP_4)
	v_fmamk_f32 v31, v8, 0x32a5705f, v31
	v_cvt_i32_f32_e32 v39, v25
	v_and_b32_e32 v24, 0x80000000, v24
	v_fmamk_f32 v27, v25, 0x3102e308, v27
	s_delay_alu instid0(VALU_DEP_4) | instskip(SKIP_1) | instid1(VALU_DEP_3)
	v_dual_fmaak_f32 v38, s1, v30, 0xbab64f3b :: v_dual_add_f32 v21, v21, v31
	v_dual_fmaak_f32 v35, s2, v29, 0x3c0881c4 :: v_dual_and_b32 v18, 1, v18
	v_fmaak_f32 v34, s0, v27, 0x3ab69700
	v_cmp_eq_f32_e64 s0, 0x43000000, v25
	s_delay_alu instid0(VALU_DEP_4) | instskip(SKIP_4) | instid1(VALU_DEP_3)
	v_exp_f32_e32 v21, v21
	v_xor_b32_e32 v11, v11, v10
	v_fmaak_f32 v35, v29, v35, 0xbe2aaa9d
	v_fmaak_f32 v34, v27, v34, 0x3c0887f9
	v_cndmask_b32_e64 v25, v39, 0x7f, s0
	v_dual_mul_f32 v35, v29, v35 :: v_dual_and_b32 v28, 0x80000000, v28
	s_delay_alu instid0(VALU_DEP_3) | instskip(NEXT) | instid1(VALU_DEP_3)
	v_fmaak_f32 v34, v27, v34, 0x3d2aaa81
	v_ldexp_f32 v25, 1.0, v25
	v_fmaak_f32 v33, s2, v26, 0x3c0881c4
	s_delay_alu instid0(TRANS32_DEP_1) | instskip(SKIP_2) | instid1(VALU_DEP_1)
	v_ldexp_f32 v21, v21, v39
	v_fmac_f32_e32 v16, v16, v35
	v_fmaak_f32 v34, v27, v34, 0x3e2aaaab
	v_fma_f32 v31, v27, v34, 0.5
	v_fmaak_f32 v32, s1, v26, 0xbab64f3b
	v_fmaak_f32 v34, v30, v38, 0x3d2aabf7
	v_add_f32_e32 v38, -1.0, v25
	v_fmaak_f32 v33, v26, v33, 0xbe2aaa9d
	v_dual_mul_f32 v31, v27, v31 :: v_dual_fmaak_f32 v36, s1, v29, 0xbab64f3b
	v_cmp_ngt_f32_e64 s1, 0xc2ce8ed0, v8
	v_fmaak_f32 v32, v26, v32, 0x3d2aabf7
	s_delay_alu instid0(VALU_DEP_4) | instskip(NEXT) | instid1(VALU_DEP_4)
	v_mul_f32_e32 v33, v26, v33
	v_fmac_f32_e32 v27, v27, v31
	v_fmaak_f32 v37, s2, v30, 0x3c0881c4
	v_cndmask_b32_e64 v21, 0, v21, s1
	v_cmp_eq_u32_e64 s1, 0, v18
	v_fmaak_f32 v32, v26, v32, 0xbf000004
	v_fmac_f32_e32 v38, v25, v27
	v_fmaak_f32 v36, v29, v36, 0x3d2aabf7
	v_fmaak_f32 v37, v30, v37, 0xbe2aaa9d
	v_fmac_f32_e32 v19, v19, v33
	v_fma_f32 v26, v26, v32, 1.0
	s_delay_alu instid0(VALU_DEP_4) | instskip(NEXT) | instid1(VALU_DEP_4)
	v_dual_add_f32 v27, v38, v38 :: v_dual_fmaak_f32 v36, v29, v36, 0xbf000004
	v_mul_f32_e32 v31, v30, v37
	s_delay_alu instid0(VALU_DEP_2) | instskip(NEXT) | instid1(VALU_DEP_1)
	v_fma_f32 v25, v29, v36, 1.0
	v_cndmask_b32_e64 v16, v25, v16, s1
	v_cmp_nlt_f32_e64 s1, 0x42b17218, v8
	v_lshlrev_b32_e32 v25, 30, v23
	v_fmac_f32_e32 v22, v22, v31
	s_delay_alu instid0(VALU_DEP_4) | instskip(NEXT) | instid1(VALU_DEP_4)
	v_xor3_b32 v11, v11, v28, v16
	v_cndmask_b32_e64 v18, 0x7f800000, v21, s1
	v_cndmask_b32_e64 v21, v38, v27, s0
	v_cmp_eq_u32_e64 s0, 0, v20
	v_fmaak_f32 v20, v30, v34, 0xbf000004
	v_and_b32_e32 v16, 1, v23
	v_and_b32_e32 v23, 0x80000000, v25
	v_cmp_ngt_f32_e64 s1, 0xc1880000, v8
	v_cndmask_b32_e64 v19, -v19, v26, s0
	v_cmp_class_f32_e64 s0, v10, 0x1f8
	v_fma_f32 v20, v30, v20, 1.0
	s_delay_alu instid0(VALU_DEP_3) | instskip(NEXT) | instid1(VALU_DEP_3)
	v_xor_b32_e32 v19, v24, v19
	v_cndmask_b32_e64 v10, 0x7fc00000, v11, s0
	v_cmp_eq_u32_e64 s0, 0, v16
	v_xor_b32_e32 v16, v17, v23
	s_delay_alu instid0(VALU_DEP_2) | instskip(SKIP_2) | instid1(VALU_DEP_2)
	v_cndmask_b32_e64 v11, v20, v22, s0
	v_cmp_nlt_f32_e64 s0, 0x42b17217, v8
	v_add_f32_e32 v20, v10, v10
	v_cndmask_b32_e64 v17, 0x7f800000, v21, s0
	v_cmp_class_f32_e64 s0, v9, 0x1f8
	v_xor3_b32 v9, v16, v11, v9
	s_delay_alu instid0(VALU_DEP_4) | instskip(NEXT) | instid1(VALU_DEP_4)
	v_mul_f32_e32 v10, v10, v20
	v_cndmask_b32_e64 v8, -1.0, v17, s1
	s_delay_alu instid0(VALU_DEP_4) | instskip(NEXT) | instid1(VALU_DEP_4)
	v_cndmask_b32_e64 v11, 0x7fc00000, v19, s0
	v_cndmask_b32_e64 v9, 0x7fc00000, v9, s0
	s_delay_alu instid0(VALU_DEP_2) | instskip(NEXT) | instid1(VALU_DEP_2)
	v_fma_f32 v10, v8, v11, -v10
	v_mul_f32_e32 v11, v18, v9
.LBB134_50:
	s_or_b32 exec_lo, exec_lo, s5
	v_dual_mov_b32 v8, 0 :: v_dual_add_nc_u32 v9, 0x300, v14
	s_delay_alu instid0(VALU_DEP_1) | instskip(SKIP_1) | instid1(VALU_DEP_2)
	v_cmp_lt_i32_e64 s0, v9, v4
	v_mov_b32_e32 v9, 0
	s_and_saveexec_b32 s5, s0
	s_cbranch_execz .LBB134_57
; %bb.51:
	v_mul_f32_e32 v8, 0.5, v7
                                        ; implicit-def: $vgpr18
                                        ; implicit-def: $vgpr16
	s_mov_b32 s1, exec_lo
	s_delay_alu instid0(VALU_DEP_1)
	v_and_b32_e32 v9, 0x7fffffff, v8
	v_cmpx_ngt_f32_e64 0x48000000, |v8|
	s_xor_b32 s6, exec_lo, s1
	s_cbranch_execz .LBB134_53
; %bb.52:
	s_mov_b32 s0, 0x7fffff
	v_mov_b32_e32 v18, 0
	v_and_or_b32 v26, v9, s0, 0x800000
	v_lshrrev_b32_e32 v23, 23, v9
	s_delay_alu instid0(VALU_DEP_2) | instskip(NEXT) | instid1(VALU_DEP_2)
	v_mad_u64_u32 v[16:17], null, 0xfe5163ab, v26, 0
	v_add_nc_u32_e32 v24, 0xffffff88, v23
	s_delay_alu instid0(VALU_DEP_1) | instskip(NEXT) | instid1(VALU_DEP_3)
	v_cmp_lt_u32_e64 s0, 63, v24
	v_mad_u64_u32 v[19:20], null, 0x3c439041, v26, v[17:18]
	s_delay_alu instid0(VALU_DEP_2) | instskip(NEXT) | instid1(VALU_DEP_2)
	v_cndmask_b32_e64 v25, 0, 0xffffffc0, s0
	v_mov_b32_e32 v17, v20
	s_delay_alu instid0(VALU_DEP_2) | instskip(NEXT) | instid1(VALU_DEP_2)
	v_add_nc_u32_e32 v25, v25, v24
	v_mad_u64_u32 v[20:21], null, 0xdb629599, v26, v[17:18]
	s_delay_alu instid0(VALU_DEP_2) | instskip(NEXT) | instid1(VALU_DEP_1)
	v_cmp_lt_u32_e64 s1, 31, v25
	v_cndmask_b32_e64 v27, 0, 0xffffffe0, s1
	s_delay_alu instid0(VALU_DEP_3) | instskip(NEXT) | instid1(VALU_DEP_4)
	v_mov_b32_e32 v17, v21
	v_cndmask_b32_e64 v16, v20, v16, s0
	s_delay_alu instid0(VALU_DEP_3) | instskip(NEXT) | instid1(VALU_DEP_3)
	v_add_nc_u32_e32 v27, v27, v25
	v_mad_u64_u32 v[21:22], null, 0xf534ddc0, v26, v[17:18]
	s_delay_alu instid0(VALU_DEP_2) | instskip(NEXT) | instid1(VALU_DEP_2)
	v_cmp_lt_u32_e64 s2, 31, v27
	v_mov_b32_e32 v17, v22
	s_delay_alu instid0(VALU_DEP_3) | instskip(NEXT) | instid1(VALU_DEP_2)
	v_cndmask_b32_e64 v19, v21, v19, s0
	v_mad_u64_u32 v[22:23], null, 0xfc2757d1, v26, v[17:18]
	s_delay_alu instid0(VALU_DEP_2) | instskip(NEXT) | instid1(VALU_DEP_2)
	v_cndmask_b32_e64 v16, v19, v16, s1
	v_mov_b32_e32 v17, v23
	s_delay_alu instid0(VALU_DEP_1) | instskip(NEXT) | instid1(VALU_DEP_1)
	v_mad_u64_u32 v[23:24], null, 0x4e441529, v26, v[17:18]
	v_mov_b32_e32 v17, v24
	s_delay_alu instid0(VALU_DEP_1) | instskip(SKIP_1) | instid1(VALU_DEP_4)
	v_mad_u64_u32 v[24:25], null, 0xa2f9836e, v26, v[17:18]
	v_cndmask_b32_e64 v17, 0, 0xffffffe0, s2
	v_cndmask_b32_e64 v18, v23, v21, s0
	s_delay_alu instid0(VALU_DEP_2) | instskip(NEXT) | instid1(VALU_DEP_4)
	v_add_nc_u32_e32 v17, v17, v27
	v_cndmask_b32_e64 v24, v24, v22, s0
	v_cndmask_b32_e64 v23, v25, v23, s0
	;; [unrolled: 1-line block ×3, first 2 shown]
	s_delay_alu instid0(VALU_DEP_4) | instskip(NEXT) | instid1(VALU_DEP_4)
	v_cmp_eq_u32_e64 s3, 0, v17
	v_cndmask_b32_e64 v21, v24, v18, s1
	s_delay_alu instid0(VALU_DEP_4) | instskip(NEXT) | instid1(VALU_DEP_4)
	v_cndmask_b32_e64 v23, v23, v24, s1
	v_cndmask_b32_e64 v18, v18, v22, s1
	v_sub_nc_u32_e32 v24, 32, v17
	v_cndmask_b32_e64 v22, v22, v19, s1
	s_delay_alu instid0(VALU_DEP_4) | instskip(NEXT) | instid1(VALU_DEP_4)
	v_cndmask_b32_e64 v23, v23, v21, s2
	v_cndmask_b32_e64 v21, v21, v18, s2
	s_delay_alu instid0(VALU_DEP_3) | instskip(SKIP_1) | instid1(VALU_DEP_3)
	v_cndmask_b32_e64 v18, v18, v22, s2
	v_cndmask_b32_e64 v16, v22, v16, s2
	v_alignbit_b32 v25, v23, v21, v24
	s_delay_alu instid0(VALU_DEP_3) | instskip(NEXT) | instid1(VALU_DEP_3)
	v_alignbit_b32 v26, v21, v18, v24
	v_alignbit_b32 v24, v18, v16, v24
	s_delay_alu instid0(VALU_DEP_3) | instskip(NEXT) | instid1(VALU_DEP_3)
	v_cndmask_b32_e64 v17, v25, v23, s3
	v_cndmask_b32_e64 v20, v26, v21, s3
	s_delay_alu instid0(VALU_DEP_3) | instskip(NEXT) | instid1(VALU_DEP_3)
	v_cndmask_b32_e64 v18, v24, v18, s3
	v_bfe_u32 v21, v17, 29, 1
	s_delay_alu instid0(VALU_DEP_3) | instskip(NEXT) | instid1(VALU_DEP_3)
	v_alignbit_b32 v19, v17, v20, 30
	v_alignbit_b32 v20, v20, v18, 30
	;; [unrolled: 1-line block ×3, first 2 shown]
	s_delay_alu instid0(VALU_DEP_4) | instskip(NEXT) | instid1(VALU_DEP_1)
	v_sub_nc_u32_e32 v23, 0, v21
	v_xor_b32_e32 v22, v19, v23
	v_cmp_ne_u32_e64 s0, v19, v23
	v_xor_b32_e32 v18, v20, v23
	v_xor_b32_e32 v16, v16, v23
	s_delay_alu instid0(VALU_DEP_4) | instskip(NEXT) | instid1(VALU_DEP_1)
	v_clz_i32_u32_e32 v25, v22
	v_add_nc_u32_e32 v24, 1, v25
	s_delay_alu instid0(VALU_DEP_1) | instskip(NEXT) | instid1(VALU_DEP_1)
	v_cndmask_b32_e64 v19, 33, v24, s0
	v_sub_nc_u32_e32 v20, 32, v19
	s_delay_alu instid0(VALU_DEP_1) | instskip(SKIP_3) | instid1(VALU_DEP_3)
	v_alignbit_b32 v22, v22, v18, v20
	v_alignbit_b32 v16, v18, v16, v20
	v_lshrrev_b32_e32 v18, 29, v17
	v_lshrrev_b32_e32 v17, 30, v17
	v_alignbit_b32 v20, v22, v16, 9
	s_delay_alu instid0(VALU_DEP_3) | instskip(SKIP_1) | instid1(VALU_DEP_3)
	v_lshlrev_b32_e32 v18, 31, v18
	v_alignbit_b32 v22, v19, v22, 9
	v_clz_i32_u32_e32 v23, v20
	s_delay_alu instid0(VALU_DEP_2) | instskip(SKIP_1) | instid1(VALU_DEP_3)
	v_or_b32_e32 v22, v22, v18
	v_or_b32_e32 v18, 0x33800000, v18
	v_min_u32_e32 v23, 32, v23
	s_delay_alu instid0(VALU_DEP_3) | instskip(NEXT) | instid1(VALU_DEP_2)
	v_xor_b32_e32 v22, 1.0, v22
	v_sub_nc_u32_e32 v24, 31, v23
	v_add_lshl_u32 v19, v23, v19, 23
	s_delay_alu instid0(VALU_DEP_3) | instskip(NEXT) | instid1(VALU_DEP_3)
	v_mul_f32_e32 v23, 0x3fc90fda, v22
	v_alignbit_b32 v16, v20, v16, v24
	s_delay_alu instid0(VALU_DEP_3) | instskip(NEXT) | instid1(VALU_DEP_2)
	v_sub_nc_u32_e32 v18, v18, v19
	v_lshrrev_b32_e32 v16, 9, v16
	s_delay_alu instid0(VALU_DEP_1) | instskip(SKIP_2) | instid1(VALU_DEP_1)
	v_or_b32_e32 v16, v18, v16
	v_add_nc_u32_e32 v18, v21, v17
	v_fma_f32 v19, 0x3fc90fda, v22, -v23
	v_fmamk_f32 v19, v22, 0x33a22168, v19
	s_delay_alu instid0(VALU_DEP_1) | instskip(NEXT) | instid1(VALU_DEP_1)
	v_fmac_f32_e32 v19, 0x3fc90fda, v16
	v_add_f32_e32 v16, v23, v19
.LBB134_53:
	s_and_not1_saveexec_b32 s0, s6
; %bb.54:
	v_mul_f32_e64 v16, 0x3f22f983, |v8|
	s_delay_alu instid0(VALU_DEP_1) | instskip(NEXT) | instid1(VALU_DEP_1)
	v_rndne_f32_e32 v17, v16
	v_fma_f32 v16, 0xbfc90fda, v17, |v8|
	v_cvt_i32_f32_e32 v18, v17
	s_delay_alu instid0(VALU_DEP_2) | instskip(NEXT) | instid1(VALU_DEP_1)
	v_fmamk_f32 v16, v17, 0xb3a22168, v16
	v_fmamk_f32 v16, v17, 0xa7c234c4, v16
; %bb.55:
	s_or_b32 exec_lo, exec_lo, s0
	v_and_b32_e32 v17, 0x7fffffff, v7
	v_cmp_ngt_f32_e64 s6, 0x48000000, |v7|
                                        ; implicit-def: $vgpr20
                                        ; implicit-def: $vgpr19
	s_delay_alu instid0(VALU_DEP_2) | instskip(NEXT) | instid1(VALU_DEP_2)
	v_lshrrev_b32_e32 v21, 23, v17
	s_and_saveexec_b32 s0, s6
	s_delay_alu instid0(SALU_CYCLE_1)
	s_xor_b32 s7, exec_lo, s0
	s_cbranch_execz .LBB134_62
; %bb.56:
	s_mov_b32 s0, 0x7fffff
	s_delay_alu instid0(SALU_CYCLE_1) | instskip(NEXT) | instid1(VALU_DEP_1)
	v_and_or_b32 v31, v17, s0, 0x800000
	v_mad_u64_u32 v[19:20], null, 0xfe5163ab, v31, 0
	s_delay_alu instid0(VALU_DEP_1) | instskip(SKIP_1) | instid1(VALU_DEP_2)
	v_dual_mov_b32 v23, 0 :: v_dual_mov_b32 v22, v20
	v_add_nc_u32_e32 v20, 0xffffff88, v21
	v_mad_u64_u32 v[24:25], null, 0x3c439041, v31, v[22:23]
	s_delay_alu instid0(VALU_DEP_2) | instskip(NEXT) | instid1(VALU_DEP_1)
	v_cmp_lt_u32_e64 s0, 63, v20
	v_cndmask_b32_e64 v29, 0, 0xffffffc0, s0
	s_delay_alu instid0(VALU_DEP_3) | instskip(NEXT) | instid1(VALU_DEP_2)
	v_mov_b32_e32 v22, v25
	v_add_nc_u32_e32 v20, v29, v20
	s_delay_alu instid0(VALU_DEP_2) | instskip(NEXT) | instid1(VALU_DEP_2)
	v_mad_u64_u32 v[25:26], null, 0xdb629599, v31, v[22:23]
	v_cmp_lt_u32_e64 s1, 31, v20
	s_delay_alu instid0(VALU_DEP_2) | instskip(NEXT) | instid1(VALU_DEP_2)
	v_mov_b32_e32 v22, v26
	v_cndmask_b32_e64 v30, 0, 0xffffffe0, s1
	s_delay_alu instid0(VALU_DEP_4) | instskip(NEXT) | instid1(VALU_DEP_3)
	v_cndmask_b32_e64 v19, v25, v19, s0
	v_mad_u64_u32 v[26:27], null, 0xf534ddc0, v31, v[22:23]
	s_delay_alu instid0(VALU_DEP_3) | instskip(NEXT) | instid1(VALU_DEP_1)
	v_add_nc_u32_e32 v20, v30, v20
	v_cmp_lt_u32_e64 s2, 31, v20
	s_delay_alu instid0(VALU_DEP_3) | instskip(NEXT) | instid1(VALU_DEP_1)
	v_mov_b32_e32 v22, v27
	v_mad_u64_u32 v[27:28], null, 0xfc2757d1, v31, v[22:23]
	s_delay_alu instid0(VALU_DEP_1) | instskip(NEXT) | instid1(VALU_DEP_1)
	v_mov_b32_e32 v22, v28
	v_mad_u64_u32 v[28:29], null, 0x4e441529, v31, v[22:23]
	s_delay_alu instid0(VALU_DEP_1) | instskip(NEXT) | instid1(VALU_DEP_1)
	v_mov_b32_e32 v22, v29
	v_mad_u64_u32 v[29:30], null, 0xa2f9836e, v31, v[22:23]
	v_cndmask_b32_e64 v22, 0, 0xffffffe0, s2
	s_delay_alu instid0(VALU_DEP_4) | instskip(NEXT) | instid1(VALU_DEP_2)
	v_cndmask_b32_e64 v23, v28, v26, s0
	v_add_nc_u32_e32 v20, v22, v20
	s_delay_alu instid0(VALU_DEP_4)
	v_cndmask_b32_e64 v29, v29, v27, s0
	v_cndmask_b32_e64 v28, v30, v28, s0
	;; [unrolled: 1-line block ×4, first 2 shown]
	v_cmp_eq_u32_e64 s3, 0, v20
	v_cndmask_b32_e64 v24, v29, v23, s1
	v_cndmask_b32_e64 v26, v28, v29, s1
	;; [unrolled: 1-line block ×3, first 2 shown]
	v_sub_nc_u32_e32 v28, 32, v20
	v_cndmask_b32_e64 v27, v27, v22, s1
	v_cndmask_b32_e64 v19, v22, v19, s1
	;; [unrolled: 1-line block ×4, first 2 shown]
	s_delay_alu instid0(VALU_DEP_4) | instskip(NEXT) | instid1(VALU_DEP_4)
	v_cndmask_b32_e64 v23, v23, v27, s2
	v_cndmask_b32_e64 v19, v27, v19, s2
	s_delay_alu instid0(VALU_DEP_3) | instskip(NEXT) | instid1(VALU_DEP_3)
	v_alignbit_b32 v29, v26, v24, v28
	v_alignbit_b32 v30, v24, v23, v28
	s_delay_alu instid0(VALU_DEP_3) | instskip(NEXT) | instid1(VALU_DEP_3)
	v_alignbit_b32 v28, v23, v19, v28
	v_cndmask_b32_e64 v20, v29, v26, s3
	s_delay_alu instid0(VALU_DEP_3) | instskip(NEXT) | instid1(VALU_DEP_3)
	v_cndmask_b32_e64 v24, v30, v24, s3
	v_cndmask_b32_e64 v23, v28, v23, s3
	s_delay_alu instid0(VALU_DEP_3) | instskip(NEXT) | instid1(VALU_DEP_3)
	v_bfe_u32 v25, v20, 29, 1
	v_alignbit_b32 v22, v20, v24, 30
	s_delay_alu instid0(VALU_DEP_3) | instskip(SKIP_1) | instid1(VALU_DEP_4)
	v_alignbit_b32 v24, v24, v23, 30
	v_alignbit_b32 v19, v23, v19, 30
	v_sub_nc_u32_e32 v26, 0, v25
	s_delay_alu instid0(VALU_DEP_1) | instskip(SKIP_3) | instid1(VALU_DEP_4)
	v_xor_b32_e32 v27, v22, v26
	v_cmp_ne_u32_e64 s0, v22, v26
	v_xor_b32_e32 v23, v24, v26
	v_xor_b32_e32 v19, v19, v26
	v_clz_i32_u32_e32 v29, v27
	s_delay_alu instid0(VALU_DEP_1) | instskip(NEXT) | instid1(VALU_DEP_1)
	v_add_nc_u32_e32 v28, 1, v29
	v_cndmask_b32_e64 v22, 33, v28, s0
	s_delay_alu instid0(VALU_DEP_1) | instskip(NEXT) | instid1(VALU_DEP_1)
	v_sub_nc_u32_e32 v24, 32, v22
	v_alignbit_b32 v26, v27, v23, v24
	v_alignbit_b32 v19, v23, v19, v24
	v_lshrrev_b32_e32 v23, 29, v20
	v_lshrrev_b32_e32 v20, 30, v20
	s_delay_alu instid0(VALU_DEP_3) | instskip(NEXT) | instid1(VALU_DEP_3)
	v_alignbit_b32 v24, v26, v19, 9
	v_lshlrev_b32_e32 v23, 31, v23
	v_alignbit_b32 v26, v22, v26, 9
	s_delay_alu instid0(VALU_DEP_4) | instskip(NEXT) | instid1(VALU_DEP_4)
	v_add_nc_u32_e32 v20, v25, v20
	v_clz_i32_u32_e32 v27, v24
	s_delay_alu instid0(VALU_DEP_3) | instskip(SKIP_1) | instid1(VALU_DEP_3)
	v_or_b32_e32 v26, v26, v23
	v_or_b32_e32 v23, 0x33800000, v23
	v_min_u32_e32 v27, 32, v27
	s_delay_alu instid0(VALU_DEP_3) | instskip(NEXT) | instid1(VALU_DEP_2)
	v_xor_b32_e32 v26, 1.0, v26
	v_sub_nc_u32_e32 v28, 31, v27
	v_add_lshl_u32 v22, v27, v22, 23
	s_delay_alu instid0(VALU_DEP_3) | instskip(NEXT) | instid1(VALU_DEP_3)
	v_mul_f32_e32 v27, 0x3fc90fda, v26
	v_alignbit_b32 v19, v24, v19, v28
	s_delay_alu instid0(VALU_DEP_3) | instskip(NEXT) | instid1(VALU_DEP_3)
	v_sub_nc_u32_e32 v22, v23, v22
	v_fma_f32 v23, 0x3fc90fda, v26, -v27
	s_delay_alu instid0(VALU_DEP_3) | instskip(NEXT) | instid1(VALU_DEP_2)
	v_lshrrev_b32_e32 v19, 9, v19
	v_fmamk_f32 v23, v26, 0x33a22168, v23
	s_delay_alu instid0(VALU_DEP_2) | instskip(NEXT) | instid1(VALU_DEP_1)
	v_or_b32_e32 v19, v22, v19
	v_fmac_f32_e32 v23, 0x3fc90fda, v19
	s_delay_alu instid0(VALU_DEP_1)
	v_add_f32_e32 v19, v27, v23
	s_or_saveexec_b32 s0, s7
	v_mul_f32_e64 v24, 0x3f22f983, |v7|
	s_xor_b32 exec_lo, exec_lo, s0
	s_branch .LBB134_63
.LBB134_57:
	s_or_b32 exec_lo, exec_lo, s5
	s_and_saveexec_b32 s0, vcc_lo
	s_delay_alu instid0(SALU_CYCLE_1)
	s_xor_b32 s0, exec_lo, s0
	s_cbranch_execz .LBB134_69
.LBB134_58:
	v_mov_b32_e32 v6, 0
	v_mov_b32_e32 v14, v15
	s_delay_alu instid0(VALU_DEP_2) | instskip(NEXT) | instid1(VALU_DEP_1)
	v_lshlrev_b64 v[5:6], 3, v[5:6]
	v_add_co_u32 v5, vcc_lo, v0, v5
	s_delay_alu instid0(VALU_DEP_2) | instskip(SKIP_2) | instid1(SALU_CYCLE_1)
	v_add_co_ci_u32_e32 v6, vcc_lo, v1, v6, vcc_lo
	flat_store_b64 v[5:6], v[2:3]
	s_or_b32 exec_lo, exec_lo, s0
	s_mov_b32 s0, exec_lo
	v_cmpx_lt_i32_e64 v14, v4
	s_cbranch_execnz .LBB134_70
.LBB134_59:
	s_or_b32 exec_lo, exec_lo, s0
	s_delay_alu instid0(SALU_CYCLE_1)
	s_mov_b32 s0, exec_lo
	v_cmpx_lt_i32_e64 v14, v4
	s_cbranch_execz .LBB134_71
.LBB134_60:
	v_dual_mov_b32 v3, 0 :: v_dual_add_nc_u32 v2, s4, v14
	v_add_nc_u32_e32 v14, 0x100, v14
	s_delay_alu instid0(VALU_DEP_2) | instskip(NEXT) | instid1(VALU_DEP_1)
	v_lshlrev_b64 v[2:3], 3, v[2:3]
	v_add_co_u32 v2, vcc_lo, v0, v2
	s_delay_alu instid0(VALU_DEP_2) | instskip(SKIP_2) | instid1(SALU_CYCLE_1)
	v_add_co_ci_u32_e32 v3, vcc_lo, v1, v3, vcc_lo
	flat_store_b64 v[2:3], v[10:11]
	s_or_b32 exec_lo, exec_lo, s0
	s_mov_b32 s0, exec_lo
	v_cmpx_lt_i32_e64 v14, v4
	s_cbranch_execnz .LBB134_72
.LBB134_61:
	s_or_b32 exec_lo, exec_lo, s0
	s_waitcnt lgkmcnt(0)
	s_setpc_b64 s[30:31]
.LBB134_62:
	s_or_saveexec_b32 s0, s7
	v_mul_f32_e64 v24, 0x3f22f983, |v7|
	s_xor_b32 exec_lo, exec_lo, s0
.LBB134_63:
	s_delay_alu instid0(VALU_DEP_1) | instskip(NEXT) | instid1(VALU_DEP_1)
	v_rndne_f32_e32 v20, v24
	v_fma_f32 v19, 0xbfc90fda, v20, |v7|
	s_delay_alu instid0(VALU_DEP_1) | instskip(NEXT) | instid1(VALU_DEP_1)
	v_fmamk_f32 v19, v20, 0xb3a22168, v19
	v_fmamk_f32 v19, v20, 0xa7c234c4, v19
	v_cvt_i32_f32_e32 v20, v20
; %bb.64:
	s_or_b32 exec_lo, exec_lo, s0
                                        ; implicit-def: $vgpr23
                                        ; implicit-def: $vgpr22
	s_and_saveexec_b32 s0, s6
	s_delay_alu instid0(SALU_CYCLE_1)
	s_xor_b32 s6, exec_lo, s0
	s_cbranch_execz .LBB134_66
; %bb.65:
	s_mov_b32 s0, 0x7fffff
	v_mov_b32_e32 v24, 0
	v_and_or_b32 v32, v17, s0, 0x800000
	v_add_nc_u32_e32 v21, 0xffffff88, v21
	s_delay_alu instid0(VALU_DEP_2) | instskip(NEXT) | instid1(VALU_DEP_2)
	v_mad_u64_u32 v[22:23], null, 0xfe5163ab, v32, 0
	v_cmp_lt_u32_e64 s0, 63, v21
	s_delay_alu instid0(VALU_DEP_1) | instskip(NEXT) | instid1(VALU_DEP_3)
	v_cndmask_b32_e64 v30, 0, 0xffffffc0, s0
	v_mad_u64_u32 v[25:26], null, 0x3c439041, v32, v[23:24]
	s_delay_alu instid0(VALU_DEP_2) | instskip(NEXT) | instid1(VALU_DEP_2)
	v_add_nc_u32_e32 v21, v30, v21
	v_mov_b32_e32 v23, v26
	s_delay_alu instid0(VALU_DEP_2) | instskip(NEXT) | instid1(VALU_DEP_2)
	v_cmp_lt_u32_e64 s1, 31, v21
	v_mad_u64_u32 v[26:27], null, 0xdb629599, v32, v[23:24]
	s_delay_alu instid0(VALU_DEP_2) | instskip(NEXT) | instid1(VALU_DEP_1)
	v_cndmask_b32_e64 v31, 0, 0xffffffe0, s1
	v_add_nc_u32_e32 v21, v31, v21
	s_delay_alu instid0(VALU_DEP_3) | instskip(NEXT) | instid1(VALU_DEP_4)
	v_mov_b32_e32 v23, v27
	v_cndmask_b32_e64 v22, v26, v22, s0
	s_delay_alu instid0(VALU_DEP_3) | instskip(NEXT) | instid1(VALU_DEP_3)
	v_cmp_lt_u32_e64 s2, 31, v21
	v_mad_u64_u32 v[27:28], null, 0xf534ddc0, v32, v[23:24]
	s_delay_alu instid0(VALU_DEP_1) | instskip(NEXT) | instid1(VALU_DEP_1)
	v_mov_b32_e32 v23, v28
	v_mad_u64_u32 v[28:29], null, 0xfc2757d1, v32, v[23:24]
	s_delay_alu instid0(VALU_DEP_1) | instskip(NEXT) | instid1(VALU_DEP_1)
	v_mov_b32_e32 v23, v29
	v_mad_u64_u32 v[29:30], null, 0x4e441529, v32, v[23:24]
	s_delay_alu instid0(VALU_DEP_1) | instskip(NEXT) | instid1(VALU_DEP_1)
	v_mov_b32_e32 v23, v30
	v_mad_u64_u32 v[30:31], null, 0xa2f9836e, v32, v[23:24]
	v_cndmask_b32_e64 v23, 0, 0xffffffe0, s2
	s_delay_alu instid0(VALU_DEP_4) | instskip(NEXT) | instid1(VALU_DEP_2)
	v_cndmask_b32_e64 v24, v29, v27, s0
	v_add_nc_u32_e32 v21, v23, v21
	s_delay_alu instid0(VALU_DEP_4)
	v_cndmask_b32_e64 v30, v30, v28, s0
	v_cndmask_b32_e64 v29, v31, v29, s0
	;; [unrolled: 1-line block ×4, first 2 shown]
	v_cmp_eq_u32_e64 s3, 0, v21
	v_cndmask_b32_e64 v25, v30, v24, s1
	v_cndmask_b32_e64 v27, v29, v30, s1
	;; [unrolled: 1-line block ×3, first 2 shown]
	v_sub_nc_u32_e32 v29, 32, v21
	v_cndmask_b32_e64 v28, v28, v23, s1
	v_cndmask_b32_e64 v22, v23, v22, s1
	;; [unrolled: 1-line block ×4, first 2 shown]
	s_delay_alu instid0(VALU_DEP_4) | instskip(NEXT) | instid1(VALU_DEP_4)
	v_cndmask_b32_e64 v24, v24, v28, s2
	v_cndmask_b32_e64 v22, v28, v22, s2
	s_delay_alu instid0(VALU_DEP_3) | instskip(NEXT) | instid1(VALU_DEP_3)
	v_alignbit_b32 v30, v27, v25, v29
	v_alignbit_b32 v31, v25, v24, v29
	s_delay_alu instid0(VALU_DEP_3) | instskip(NEXT) | instid1(VALU_DEP_3)
	v_alignbit_b32 v29, v24, v22, v29
	v_cndmask_b32_e64 v21, v30, v27, s3
	s_delay_alu instid0(VALU_DEP_3) | instskip(NEXT) | instid1(VALU_DEP_3)
	v_cndmask_b32_e64 v25, v31, v25, s3
	v_cndmask_b32_e64 v24, v29, v24, s3
	s_delay_alu instid0(VALU_DEP_3) | instskip(NEXT) | instid1(VALU_DEP_3)
	v_bfe_u32 v26, v21, 29, 1
	v_alignbit_b32 v23, v21, v25, 30
	s_delay_alu instid0(VALU_DEP_3) | instskip(SKIP_1) | instid1(VALU_DEP_4)
	v_alignbit_b32 v25, v25, v24, 30
	v_alignbit_b32 v22, v24, v22, 30
	v_sub_nc_u32_e32 v27, 0, v26
	s_delay_alu instid0(VALU_DEP_1) | instskip(SKIP_3) | instid1(VALU_DEP_4)
	v_xor_b32_e32 v28, v23, v27
	v_cmp_ne_u32_e64 s0, v23, v27
	v_xor_b32_e32 v24, v25, v27
	v_xor_b32_e32 v22, v22, v27
	v_clz_i32_u32_e32 v30, v28
	s_delay_alu instid0(VALU_DEP_1) | instskip(NEXT) | instid1(VALU_DEP_1)
	v_add_nc_u32_e32 v29, 1, v30
	v_cndmask_b32_e64 v23, 33, v29, s0
	s_delay_alu instid0(VALU_DEP_1) | instskip(NEXT) | instid1(VALU_DEP_1)
	v_sub_nc_u32_e32 v25, 32, v23
	v_alignbit_b32 v27, v28, v24, v25
	v_alignbit_b32 v22, v24, v22, v25
	v_lshrrev_b32_e32 v24, 29, v21
	v_lshrrev_b32_e32 v21, 30, v21
	s_delay_alu instid0(VALU_DEP_3) | instskip(NEXT) | instid1(VALU_DEP_3)
	v_alignbit_b32 v25, v27, v22, 9
	v_lshlrev_b32_e32 v24, 31, v24
	v_alignbit_b32 v27, v23, v27, 9
	s_delay_alu instid0(VALU_DEP_3) | instskip(NEXT) | instid1(VALU_DEP_2)
	v_clz_i32_u32_e32 v28, v25
	v_or_b32_e32 v27, v27, v24
	v_or_b32_e32 v24, 0x33800000, v24
	s_delay_alu instid0(VALU_DEP_3) | instskip(NEXT) | instid1(VALU_DEP_3)
	v_min_u32_e32 v28, 32, v28
	v_xor_b32_e32 v27, 1.0, v27
	s_delay_alu instid0(VALU_DEP_2) | instskip(SKIP_1) | instid1(VALU_DEP_3)
	v_sub_nc_u32_e32 v29, 31, v28
	v_add_lshl_u32 v23, v28, v23, 23
	v_mul_f32_e32 v28, 0x3fc90fda, v27
	s_delay_alu instid0(VALU_DEP_3) | instskip(NEXT) | instid1(VALU_DEP_3)
	v_alignbit_b32 v22, v25, v22, v29
	v_sub_nc_u32_e32 v23, v24, v23
	s_delay_alu instid0(VALU_DEP_3) | instskip(NEXT) | instid1(VALU_DEP_3)
	v_fma_f32 v24, 0x3fc90fda, v27, -v28
	v_lshrrev_b32_e32 v22, 9, v22
	s_delay_alu instid0(VALU_DEP_2) | instskip(NEXT) | instid1(VALU_DEP_2)
	v_fmamk_f32 v24, v27, 0x33a22168, v24
	v_or_b32_e32 v22, v23, v22
	s_delay_alu instid0(VALU_DEP_1) | instskip(NEXT) | instid1(VALU_DEP_1)
	v_dual_fmac_f32 v24, 0x3fc90fda, v22 :: v_dual_add_nc_u32 v23, v26, v21
	v_add_f32_e32 v22, v28, v24
                                        ; implicit-def: $vgpr24
	s_and_not1_saveexec_b32 s0, s6
	s_cbranch_execnz .LBB134_67
	s_branch .LBB134_68
.LBB134_66:
	s_and_not1_saveexec_b32 s0, s6
.LBB134_67:
	v_rndne_f32_e32 v21, v24
	s_delay_alu instid0(VALU_DEP_1) | instskip(SKIP_1) | instid1(VALU_DEP_2)
	v_fma_f32 v22, 0xbfc90fda, v21, |v7|
	v_cvt_i32_f32_e32 v23, v21
	v_fmamk_f32 v22, v21, 0xb3a22168, v22
	s_delay_alu instid0(VALU_DEP_1)
	v_fmamk_f32 v22, v21, 0xa7c234c4, v22
.LBB134_68:
	s_or_b32 exec_lo, exec_lo, s0
	v_dual_mul_f32 v21, 0x3fb8aa3b, v6 :: v_dual_lshlrev_b32 v24, 30, v20
	s_mov_b32 s0, 0x395133b1
	v_dual_mul_f32 v26, v19, v19 :: v_dual_mul_f32 v29, v16, v16
	s_delay_alu instid0(VALU_DEP_2)
	v_rndne_f32_e32 v25, v21
	v_and_b32_e32 v20, 1, v20
	s_mov_b32 s2, 0xb94c1982
	v_mul_f32_e32 v30, v22, v22
	v_fma_f32 v31, 0x3fb8aa3b, v6, -v21
	v_sub_f32_e32 v21, v21, v25
	v_dual_fmamk_f32 v27, v25, 0xbf317218, v6 :: v_dual_lshlrev_b32 v28, 30, v18
	v_dual_fmaak_f32 v35, s2, v29, 0x3c0881c4 :: v_dual_and_b32 v18, 1, v18
	v_cvt_i32_f32_e32 v39, v25
	s_delay_alu instid0(VALU_DEP_3)
	v_fmamk_f32 v27, v25, 0x3102e308, v27
	s_mov_b32 s1, 0x37d75334
	v_xor_b32_e32 v9, v9, v8
	v_fmaak_f32 v35, v29, v35, 0xbe2aaa9d
	v_and_b32_e32 v28, 0x80000000, v28
	v_fmaak_f32 v34, s0, v27, 0x3ab69700
	v_cmp_eq_f32_e64 s0, 0x43000000, v25
	s_delay_alu instid0(VALU_DEP_4) | instskip(SKIP_1) | instid1(VALU_DEP_4)
	v_dual_fmaak_f32 v38, s1, v30, 0xbab64f3b :: v_dual_mul_f32 v35, v29, v35
	v_fmamk_f32 v31, v6, 0x32a5705f, v31
	v_fmaak_f32 v34, v27, v34, 0x3c0887f9
	s_delay_alu instid0(VALU_DEP_4) | instskip(NEXT) | instid1(VALU_DEP_4)
	v_cndmask_b32_e64 v25, v39, 0x7f, s0
	v_fmac_f32_e32 v16, v16, v35
	s_delay_alu instid0(VALU_DEP_4) | instskip(NEXT) | instid1(VALU_DEP_4)
	v_dual_add_f32 v21, v21, v31 :: v_dual_and_b32 v24, 0x80000000, v24
	v_fmaak_f32 v34, v27, v34, 0x3d2aaa81
	s_delay_alu instid0(VALU_DEP_4) | instskip(SKIP_1) | instid1(VALU_DEP_4)
	v_ldexp_f32 v25, 1.0, v25
	v_fmaak_f32 v33, s2, v26, 0x3c0881c4
	v_exp_f32_e32 v21, v21
	s_delay_alu instid0(VALU_DEP_3) | instskip(NEXT) | instid1(VALU_DEP_1)
	v_fmaak_f32 v34, v27, v34, 0x3e2aaaab
	v_fma_f32 v31, v27, v34, 0.5
	v_fmaak_f32 v32, s1, v26, 0xbab64f3b
	v_fmaak_f32 v34, v30, v38, 0x3d2aabf7
	v_add_f32_e32 v38, -1.0, v25
	s_waitcnt_depctr 0xfff
	v_ldexp_f32 v21, v21, v39
	v_dual_mul_f32 v31, v27, v31 :: v_dual_fmaak_f32 v36, s1, v29, 0xbab64f3b
	v_cmp_ngt_f32_e64 s1, 0xc2ce8ed0, v6
	v_fmaak_f32 v32, v26, v32, 0x3d2aabf7
	v_fmaak_f32 v33, v26, v33, 0xbe2aaa9d
	s_delay_alu instid0(VALU_DEP_4)
	v_fmac_f32_e32 v27, v27, v31
	v_fmaak_f32 v37, s2, v30, 0x3c0881c4
	v_cndmask_b32_e64 v21, 0, v21, s1
	v_cmp_eq_u32_e64 s1, 0, v18
	v_fmaak_f32 v32, v26, v32, 0xbf000004
	v_fmac_f32_e32 v38, v25, v27
	s_delay_alu instid0(VALU_DEP_1) | instskip(NEXT) | instid1(VALU_DEP_1)
	v_dual_fmaak_f32 v36, v29, v36, 0x3d2aabf7 :: v_dual_add_f32 v27, v38, v38
	v_fmaak_f32 v36, v29, v36, 0xbf000004
	s_delay_alu instid0(VALU_DEP_1) | instskip(NEXT) | instid1(VALU_DEP_1)
	v_fma_f32 v25, v29, v36, 1.0
	v_cndmask_b32_e64 v16, v25, v16, s1
	v_cmp_nlt_f32_e64 s1, 0x42b17218, v6
	v_lshlrev_b32_e32 v25, 30, v23
	s_delay_alu instid0(VALU_DEP_3)
	v_xor3_b32 v9, v9, v28, v16
	v_dual_mul_f32 v33, v26, v33 :: v_dual_and_b32 v16, 1, v23
	v_fma_f32 v26, v26, v32, 1.0
	v_cndmask_b32_e64 v18, 0x7f800000, v21, s1
	v_cndmask_b32_e64 v21, v38, v27, s0
	v_cmp_eq_u32_e64 s0, 0, v20
	v_dual_fmac_f32 v19, v19, v33 :: v_dual_fmaak_f32 v20, v30, v34, 0xbf000004
	v_cmp_ngt_f32_e64 s1, 0xc1880000, v6
	v_and_b32_e32 v23, 0x80000000, v25
	s_delay_alu instid0(VALU_DEP_3) | instskip(SKIP_2) | instid1(VALU_DEP_3)
	v_cndmask_b32_e64 v19, -v19, v26, s0
	v_cmp_class_f32_e64 s0, v8, 0x1f8
	v_fma_f32 v20, v30, v20, 1.0
	v_xor_b32_e32 v19, v24, v19
	s_delay_alu instid0(VALU_DEP_3) | instskip(SKIP_3) | instid1(VALU_DEP_3)
	v_cndmask_b32_e64 v8, 0x7fc00000, v9, s0
	v_fmaak_f32 v37, v30, v37, 0xbe2aaa9d
	v_cmp_eq_u32_e64 s0, 0, v16
	v_xor_b32_e32 v16, v17, v23
	v_mul_f32_e32 v31, v30, v37
	s_delay_alu instid0(VALU_DEP_1) | instskip(NEXT) | instid1(VALU_DEP_1)
	v_fmac_f32_e32 v22, v22, v31
	v_cndmask_b32_e64 v9, v20, v22, s0
	v_cmp_nlt_f32_e64 s0, 0x42b17217, v6
	v_add_f32_e32 v20, v8, v8
	s_delay_alu instid0(VALU_DEP_2) | instskip(SKIP_2) | instid1(VALU_DEP_4)
	v_cndmask_b32_e64 v17, 0x7f800000, v21, s0
	v_cmp_class_f32_e64 s0, v7, 0x1f8
	v_xor3_b32 v7, v16, v9, v7
	v_mul_f32_e32 v8, v8, v20
	s_delay_alu instid0(VALU_DEP_4) | instskip(NEXT) | instid1(VALU_DEP_4)
	v_cndmask_b32_e64 v6, -1.0, v17, s1
	v_cndmask_b32_e64 v9, 0x7fc00000, v19, s0
	s_delay_alu instid0(VALU_DEP_4) | instskip(NEXT) | instid1(VALU_DEP_2)
	v_cndmask_b32_e64 v7, 0x7fc00000, v7, s0
	v_fma_f32 v8, v6, v9, -v8
	s_delay_alu instid0(VALU_DEP_2) | instskip(SKIP_2) | instid1(SALU_CYCLE_1)
	v_mul_f32_e32 v9, v18, v7
	s_or_b32 exec_lo, exec_lo, s5
	s_and_saveexec_b32 s0, vcc_lo
	s_xor_b32 s0, exec_lo, s0
	s_cbranch_execnz .LBB134_58
.LBB134_69:
	s_or_b32 exec_lo, exec_lo, s0
	s_delay_alu instid0(SALU_CYCLE_1)
	s_mov_b32 s0, exec_lo
	v_cmpx_lt_i32_e64 v14, v4
	s_cbranch_execz .LBB134_59
.LBB134_70:
	v_dual_mov_b32 v3, 0 :: v_dual_add_nc_u32 v2, s4, v14
	v_add_nc_u32_e32 v14, 0x100, v14
	s_delay_alu instid0(VALU_DEP_2) | instskip(NEXT) | instid1(VALU_DEP_1)
	v_lshlrev_b64 v[2:3], 3, v[2:3]
	v_add_co_u32 v2, vcc_lo, v0, v2
	s_delay_alu instid0(VALU_DEP_2) | instskip(SKIP_2) | instid1(SALU_CYCLE_1)
	v_add_co_ci_u32_e32 v3, vcc_lo, v1, v3, vcc_lo
	flat_store_b64 v[2:3], v[12:13]
	s_or_b32 exec_lo, exec_lo, s0
	s_mov_b32 s0, exec_lo
	v_cmpx_lt_i32_e64 v14, v4
	s_cbranch_execnz .LBB134_60
.LBB134_71:
	s_or_b32 exec_lo, exec_lo, s0
	s_delay_alu instid0(SALU_CYCLE_1)
	s_mov_b32 s0, exec_lo
	v_cmpx_lt_i32_e64 v14, v4
	s_cbranch_execz .LBB134_61
.LBB134_72:
	v_dual_mov_b32 v3, 0 :: v_dual_add_nc_u32 v2, s4, v14
	s_delay_alu instid0(VALU_DEP_1) | instskip(NEXT) | instid1(VALU_DEP_1)
	v_lshlrev_b64 v[2:3], 3, v[2:3]
	v_add_co_u32 v0, vcc_lo, v0, v2
	s_delay_alu instid0(VALU_DEP_2)
	v_add_co_ci_u32_e32 v1, vcc_lo, v1, v3, vcc_lo
	flat_store_b64 v[0:1], v[8:9]
	s_or_b32 exec_lo, exec_lo, s0
	s_waitcnt lgkmcnt(0)
	s_setpc_b64 s[30:31]
.Lfunc_end134:
	.size	_ZN2at6native25elementwise_kernel_helperILb0EZZZNS0_17expm1_kernel_cudaERNS_18TensorIteratorBaseEENKUlvE_clEvENKUlvE2_clEvEUlN3c107complexIfEEE_NS0_6memory8policies11unroll_baseILi256ESt5arrayIPcLm2EE23TrivialOffsetCalculatorILi1EjESH_NSA_15LoadWithoutCastENSA_16StoreWithoutCastELi4ELi1EEEEEvT0_T1_, .Lfunc_end134-_ZN2at6native25elementwise_kernel_helperILb0EZZZNS0_17expm1_kernel_cudaERNS_18TensorIteratorBaseEENKUlvE_clEvENKUlvE2_clEvEUlN3c107complexIfEEE_NS0_6memory8policies11unroll_baseILi256ESt5arrayIPcLm2EE23TrivialOffsetCalculatorILi1EjESH_NSA_15LoadWithoutCastENSA_16StoreWithoutCastELi4ELi1EEEEEvT0_T1_
                                        ; -- End function
	.section	.AMDGPU.csdata,"",@progbits
; Function info:
; codeLenInByte = 13896
; NumSgprs: 34
; NumVgprs: 40
; ScratchSize: 0
; MemoryBound: 0
	.text
	.p2align	2                               ; -- Begin function _ZN2at6native25elementwise_kernel_helperILb0EZZZNS0_17expm1_kernel_cudaERNS_18TensorIteratorBaseEENKUlvE_clEvENKUlvE2_clEvEUlN3c107complexIfEEE_NS0_6memory8policies10vectorizedILi4ESt5arrayIPcLm2EELi4EEEEEvT0_T1_
	.type	_ZN2at6native25elementwise_kernel_helperILb0EZZZNS0_17expm1_kernel_cudaERNS_18TensorIteratorBaseEENKUlvE_clEvENKUlvE2_clEvEUlN3c107complexIfEEE_NS0_6memory8policies10vectorizedILi4ESt5arrayIPcLm2EELi4EEEEEvT0_T1_,@function
_ZN2at6native25elementwise_kernel_helperILb0EZZZNS0_17expm1_kernel_cudaERNS_18TensorIteratorBaseEENKUlvE_clEvENKUlvE2_clEvEUlN3c107complexIfEEE_NS0_6memory8policies10vectorizedILi4ESt5arrayIPcLm2EELi4EEEEEvT0_T1_: ; @_ZN2at6native25elementwise_kernel_helperILb0EZZZNS0_17expm1_kernel_cudaERNS_18TensorIteratorBaseEENKUlvE_clEvENKUlvE2_clEvEUlN3c107complexIfEEE_NS0_6memory8policies10vectorizedILi4ESt5arrayIPcLm2EELi4EEEEEvT0_T1_
; %bb.0:
	s_waitcnt vmcnt(0) expcnt(0) lgkmcnt(0)
	s_lshl_b32 s0, s12, 10
	v_and_b32_e32 v4, 0x3ff, v31
	s_ashr_i32 s1, s0, 31
                                        ; implicit-def: $vgpr14
                                        ; implicit-def: $vgpr13
	s_delay_alu instid0(SALU_CYCLE_1) | instskip(SKIP_1) | instid1(VALU_DEP_1)
	s_lshl_b64 s[4:5], s[0:1], 3
	s_mov_b32 s1, exec_lo
	v_lshlrev_b32_e32 v10, 5, v4
	v_add_co_u32 v2, vcc_lo, v2, s4
	v_add_co_ci_u32_e32 v3, vcc_lo, s5, v3, vcc_lo
	s_delay_alu instid0(VALU_DEP_2) | instskip(NEXT) | instid1(VALU_DEP_2)
	v_add_co_u32 v2, vcc_lo, v2, v10
	v_add_co_ci_u32_e32 v3, vcc_lo, 0, v3, vcc_lo
	s_clause 0x1
	flat_load_b128 v[6:9], v[2:3]
	flat_load_b128 v[2:5], v[2:3] offset:16
	s_waitcnt vmcnt(1) lgkmcnt(1)
	v_mul_f32_e32 v11, 0.5, v7
	s_delay_alu instid0(VALU_DEP_1)
	v_and_b32_e32 v12, 0x7fffffff, v11
	v_cmpx_ngt_f32_e64 0x48000000, |v11|
	s_xor_b32 s3, exec_lo, s1
	s_cbranch_execz .LBB135_2
; %bb.1:
	s_mov_b32 s0, 0x7fffff
	v_mov_b32_e32 v15, 0
	v_and_or_b32 v23, v12, s0, 0x800000
	v_lshrrev_b32_e32 v20, 23, v12
	s_delay_alu instid0(VALU_DEP_2) | instskip(NEXT) | instid1(VALU_DEP_2)
	v_mad_u64_u32 v[13:14], null, 0xfe5163ab, v23, 0
	v_add_nc_u32_e32 v21, 0xffffff88, v20
	s_delay_alu instid0(VALU_DEP_1) | instskip(NEXT) | instid1(VALU_DEP_3)
	v_cmp_lt_u32_e32 vcc_lo, 63, v21
	v_mad_u64_u32 v[16:17], null, 0x3c439041, v23, v[14:15]
	v_cndmask_b32_e64 v22, 0, 0xffffffc0, vcc_lo
	s_delay_alu instid0(VALU_DEP_2) | instskip(NEXT) | instid1(VALU_DEP_2)
	v_mov_b32_e32 v14, v17
	v_add_nc_u32_e32 v22, v22, v21
	s_delay_alu instid0(VALU_DEP_2) | instskip(NEXT) | instid1(VALU_DEP_2)
	v_mad_u64_u32 v[17:18], null, 0xdb629599, v23, v[14:15]
	v_cmp_lt_u32_e64 s0, 31, v22
	s_delay_alu instid0(VALU_DEP_1) | instskip(NEXT) | instid1(VALU_DEP_3)
	v_cndmask_b32_e64 v24, 0, 0xffffffe0, s0
	v_dual_mov_b32 v14, v18 :: v_dual_cndmask_b32 v13, v17, v13
	s_delay_alu instid0(VALU_DEP_2) | instskip(NEXT) | instid1(VALU_DEP_2)
	v_add_nc_u32_e32 v24, v24, v22
	v_mad_u64_u32 v[18:19], null, 0xf534ddc0, v23, v[14:15]
	s_delay_alu instid0(VALU_DEP_2) | instskip(NEXT) | instid1(VALU_DEP_2)
	v_cmp_lt_u32_e64 s1, 31, v24
	v_mov_b32_e32 v14, v19
	s_delay_alu instid0(VALU_DEP_3) | instskip(NEXT) | instid1(VALU_DEP_2)
	v_cndmask_b32_e32 v16, v18, v16, vcc_lo
	v_mad_u64_u32 v[19:20], null, 0xfc2757d1, v23, v[14:15]
	s_delay_alu instid0(VALU_DEP_2) | instskip(NEXT) | instid1(VALU_DEP_2)
	v_cndmask_b32_e64 v13, v16, v13, s0
	v_mov_b32_e32 v14, v20
	s_delay_alu instid0(VALU_DEP_1) | instskip(NEXT) | instid1(VALU_DEP_1)
	v_mad_u64_u32 v[20:21], null, 0x4e441529, v23, v[14:15]
	v_mov_b32_e32 v14, v21
	s_delay_alu instid0(VALU_DEP_1) | instskip(SKIP_1) | instid1(VALU_DEP_1)
	v_mad_u64_u32 v[21:22], null, 0xa2f9836e, v23, v[14:15]
	v_cndmask_b32_e64 v14, 0, 0xffffffe0, s1
	v_dual_cndmask_b32 v15, v20, v18 :: v_dual_add_nc_u32 v14, v14, v24
	s_delay_alu instid0(VALU_DEP_3) | instskip(NEXT) | instid1(VALU_DEP_4)
	v_cndmask_b32_e32 v21, v21, v19, vcc_lo
	v_dual_cndmask_b32 v19, v19, v17 :: v_dual_cndmask_b32 v20, v22, v20
	s_delay_alu instid0(VALU_DEP_3) | instskip(NEXT) | instid1(VALU_DEP_3)
	v_cmp_eq_u32_e64 s2, 0, v14
	v_cndmask_b32_e64 v18, v21, v15, s0
	s_delay_alu instid0(VALU_DEP_3) | instskip(NEXT) | instid1(VALU_DEP_4)
	v_cndmask_b32_e64 v15, v15, v19, s0
	v_cndmask_b32_e64 v20, v20, v21, s0
	v_sub_nc_u32_e32 v21, 32, v14
	v_cndmask_b32_e64 v19, v19, v16, s0
	s_delay_alu instid0(VALU_DEP_3) | instskip(SKIP_1) | instid1(VALU_DEP_3)
	v_cndmask_b32_e64 v20, v20, v18, s1
	v_cndmask_b32_e64 v18, v18, v15, s1
	;; [unrolled: 1-line block ×4, first 2 shown]
	s_delay_alu instid0(VALU_DEP_3) | instskip(NEXT) | instid1(VALU_DEP_3)
	v_alignbit_b32 v22, v20, v18, v21
	v_alignbit_b32 v23, v18, v15, v21
	s_delay_alu instid0(VALU_DEP_3) | instskip(NEXT) | instid1(VALU_DEP_3)
	v_alignbit_b32 v21, v15, v13, v21
	v_cndmask_b32_e64 v14, v22, v20, s2
	s_delay_alu instid0(VALU_DEP_3) | instskip(NEXT) | instid1(VALU_DEP_3)
	v_cndmask_b32_e64 v17, v23, v18, s2
	v_cndmask_b32_e64 v15, v21, v15, s2
	s_delay_alu instid0(VALU_DEP_3) | instskip(NEXT) | instid1(VALU_DEP_3)
	v_bfe_u32 v18, v14, 29, 1
	v_alignbit_b32 v16, v14, v17, 30
	s_delay_alu instid0(VALU_DEP_3) | instskip(SKIP_1) | instid1(VALU_DEP_4)
	v_alignbit_b32 v17, v17, v15, 30
	v_alignbit_b32 v13, v15, v13, 30
	v_sub_nc_u32_e32 v20, 0, v18
	s_delay_alu instid0(VALU_DEP_1) | instskip(SKIP_3) | instid1(VALU_DEP_4)
	v_xor_b32_e32 v19, v16, v20
	v_cmp_ne_u32_e32 vcc_lo, v16, v20
	v_xor_b32_e32 v15, v17, v20
	v_xor_b32_e32 v13, v13, v20
	v_clz_i32_u32_e32 v22, v19
	s_delay_alu instid0(VALU_DEP_1) | instskip(NEXT) | instid1(VALU_DEP_1)
	v_add_nc_u32_e32 v21, 1, v22
	v_cndmask_b32_e32 v16, 33, v21, vcc_lo
	s_delay_alu instid0(VALU_DEP_1) | instskip(NEXT) | instid1(VALU_DEP_1)
	v_sub_nc_u32_e32 v17, 32, v16
	v_alignbit_b32 v19, v19, v15, v17
	v_alignbit_b32 v13, v15, v13, v17
	v_lshrrev_b32_e32 v15, 29, v14
	v_lshrrev_b32_e32 v14, 30, v14
	s_delay_alu instid0(VALU_DEP_3) | instskip(NEXT) | instid1(VALU_DEP_3)
	v_alignbit_b32 v17, v19, v13, 9
	v_lshlrev_b32_e32 v15, 31, v15
	v_alignbit_b32 v19, v16, v19, 9
	s_delay_alu instid0(VALU_DEP_4) | instskip(NEXT) | instid1(VALU_DEP_4)
	v_add_nc_u32_e32 v14, v18, v14
	v_clz_i32_u32_e32 v20, v17
	s_delay_alu instid0(VALU_DEP_3) | instskip(SKIP_1) | instid1(VALU_DEP_3)
	v_or_b32_e32 v19, v19, v15
	v_or_b32_e32 v15, 0x33800000, v15
	v_min_u32_e32 v20, 32, v20
	s_delay_alu instid0(VALU_DEP_3) | instskip(NEXT) | instid1(VALU_DEP_2)
	v_xor_b32_e32 v19, 1.0, v19
	v_sub_nc_u32_e32 v21, 31, v20
	v_add_lshl_u32 v16, v20, v16, 23
	s_delay_alu instid0(VALU_DEP_3) | instskip(NEXT) | instid1(VALU_DEP_3)
	v_mul_f32_e32 v20, 0x3fc90fda, v19
	v_alignbit_b32 v13, v17, v13, v21
	s_delay_alu instid0(VALU_DEP_3) | instskip(NEXT) | instid1(VALU_DEP_3)
	v_sub_nc_u32_e32 v15, v15, v16
	v_fma_f32 v16, 0x3fc90fda, v19, -v20
	s_delay_alu instid0(VALU_DEP_3) | instskip(NEXT) | instid1(VALU_DEP_2)
	v_lshrrev_b32_e32 v13, 9, v13
	v_fmamk_f32 v16, v19, 0x33a22168, v16
	s_delay_alu instid0(VALU_DEP_2) | instskip(NEXT) | instid1(VALU_DEP_1)
	v_or_b32_e32 v13, v15, v13
	v_fmac_f32_e32 v16, 0x3fc90fda, v13
	s_delay_alu instid0(VALU_DEP_1)
	v_add_f32_e32 v13, v20, v16
.LBB135_2:
	s_and_not1_saveexec_b32 s0, s3
; %bb.3:
	v_mul_f32_e64 v13, 0x3f22f983, |v11|
	s_delay_alu instid0(VALU_DEP_1) | instskip(NEXT) | instid1(VALU_DEP_1)
	v_rndne_f32_e32 v14, v13
	v_fma_f32 v13, 0xbfc90fda, v14, |v11|
	s_delay_alu instid0(VALU_DEP_1) | instskip(NEXT) | instid1(VALU_DEP_1)
	v_fmamk_f32 v13, v14, 0xb3a22168, v13
	v_fmamk_f32 v13, v14, 0xa7c234c4, v13
	v_cvt_i32_f32_e32 v14, v14
; %bb.4:
	s_or_b32 exec_lo, exec_lo, s0
	v_and_b32_e32 v15, 0x7fffffff, v7
	v_cmp_ngt_f32_e64 s3, 0x48000000, |v7|
                                        ; implicit-def: $vgpr17
                                        ; implicit-def: $vgpr16
	s_delay_alu instid0(VALU_DEP_2) | instskip(NEXT) | instid1(VALU_DEP_2)
	v_lshrrev_b32_e32 v20, 23, v15
	s_and_saveexec_b32 s0, s3
	s_delay_alu instid0(SALU_CYCLE_1)
	s_xor_b32 s6, exec_lo, s0
	s_cbranch_execz .LBB135_6
; %bb.5:
	s_mov_b32 s0, 0x7fffff
	v_mov_b32_e32 v18, 0
	v_and_or_b32 v19, v15, s0, 0x800000
	v_add_nc_u32_e32 v26, 0xffffff88, v20
	s_delay_alu instid0(VALU_DEP_2) | instskip(NEXT) | instid1(VALU_DEP_2)
	v_mad_u64_u32 v[16:17], null, 0xfe5163ab, v19, 0
	v_cmp_lt_u32_e32 vcc_lo, 63, v26
	v_cndmask_b32_e64 v27, 0, 0xffffffc0, vcc_lo
	s_delay_alu instid0(VALU_DEP_3) | instskip(NEXT) | instid1(VALU_DEP_1)
	v_mad_u64_u32 v[21:22], null, 0x3c439041, v19, v[17:18]
	v_mov_b32_e32 v17, v22
	s_delay_alu instid0(VALU_DEP_1) | instskip(NEXT) | instid1(VALU_DEP_1)
	v_mad_u64_u32 v[22:23], null, 0xdb629599, v19, v[17:18]
	v_dual_cndmask_b32 v16, v22, v16 :: v_dual_add_nc_u32 v27, v27, v26
	s_delay_alu instid0(VALU_DEP_2) | instskip(NEXT) | instid1(VALU_DEP_2)
	v_mov_b32_e32 v17, v23
	v_cmp_lt_u32_e64 s0, 31, v27
	s_delay_alu instid0(VALU_DEP_2) | instskip(NEXT) | instid1(VALU_DEP_2)
	v_mad_u64_u32 v[23:24], null, 0xf534ddc0, v19, v[17:18]
	v_cndmask_b32_e64 v28, 0, 0xffffffe0, s0
	s_delay_alu instid0(VALU_DEP_1) | instskip(NEXT) | instid1(VALU_DEP_3)
	v_add_nc_u32_e32 v28, v28, v27
	v_mov_b32_e32 v17, v24
	s_delay_alu instid0(VALU_DEP_4) | instskip(NEXT) | instid1(VALU_DEP_3)
	v_cndmask_b32_e32 v21, v23, v21, vcc_lo
	v_cmp_lt_u32_e64 s1, 31, v28
	s_delay_alu instid0(VALU_DEP_3) | instskip(NEXT) | instid1(VALU_DEP_3)
	v_mad_u64_u32 v[24:25], null, 0xfc2757d1, v19, v[17:18]
	v_cndmask_b32_e64 v16, v21, v16, s0
	s_delay_alu instid0(VALU_DEP_2) | instskip(NEXT) | instid1(VALU_DEP_1)
	v_mov_b32_e32 v17, v25
	v_mad_u64_u32 v[25:26], null, 0x4e441529, v19, v[17:18]
	s_delay_alu instid0(VALU_DEP_1) | instskip(NEXT) | instid1(VALU_DEP_1)
	v_mov_b32_e32 v17, v26
	v_mad_u64_u32 v[26:27], null, 0xa2f9836e, v19, v[17:18]
	v_cndmask_b32_e64 v17, 0, 0xffffffe0, s1
	s_delay_alu instid0(VALU_DEP_4) | instskip(NEXT) | instid1(VALU_DEP_2)
	v_cndmask_b32_e32 v18, v25, v23, vcc_lo
	v_add_nc_u32_e32 v17, v17, v28
	s_delay_alu instid0(VALU_DEP_4) | instskip(SKIP_1) | instid1(VALU_DEP_3)
	v_cndmask_b32_e32 v19, v26, v24, vcc_lo
	v_dual_cndmask_b32 v25, v27, v25 :: v_dual_cndmask_b32 v24, v24, v22
	v_cmp_eq_u32_e64 s2, 0, v17
	s_delay_alu instid0(VALU_DEP_3) | instskip(NEXT) | instid1(VALU_DEP_3)
	v_cndmask_b32_e64 v23, v19, v18, s0
	v_cndmask_b32_e64 v19, v25, v19, s0
	s_delay_alu instid0(VALU_DEP_4) | instskip(SKIP_2) | instid1(VALU_DEP_4)
	v_cndmask_b32_e64 v18, v18, v24, s0
	v_sub_nc_u32_e32 v25, 32, v17
	v_cndmask_b32_e64 v24, v24, v21, s0
	v_cndmask_b32_e64 v19, v19, v23, s1
	s_delay_alu instid0(VALU_DEP_4) | instskip(NEXT) | instid1(VALU_DEP_3)
	v_cndmask_b32_e64 v23, v23, v18, s1
	v_cndmask_b32_e64 v18, v18, v24, s1
	;; [unrolled: 1-line block ×3, first 2 shown]
	s_delay_alu instid0(VALU_DEP_3) | instskip(NEXT) | instid1(VALU_DEP_3)
	v_alignbit_b32 v26, v19, v23, v25
	v_alignbit_b32 v27, v23, v18, v25
	s_delay_alu instid0(VALU_DEP_3) | instskip(NEXT) | instid1(VALU_DEP_3)
	v_alignbit_b32 v25, v18, v16, v25
	v_cndmask_b32_e64 v17, v26, v19, s2
	s_delay_alu instid0(VALU_DEP_3) | instskip(NEXT) | instid1(VALU_DEP_3)
	v_cndmask_b32_e64 v19, v27, v23, s2
	v_cndmask_b32_e64 v18, v25, v18, s2
	s_delay_alu instid0(VALU_DEP_3) | instskip(NEXT) | instid1(VALU_DEP_3)
	v_bfe_u32 v22, v17, 29, 1
	v_alignbit_b32 v21, v17, v19, 30
	s_delay_alu instid0(VALU_DEP_3) | instskip(SKIP_1) | instid1(VALU_DEP_4)
	v_alignbit_b32 v19, v19, v18, 30
	v_alignbit_b32 v16, v18, v16, 30
	v_sub_nc_u32_e32 v23, 0, v22
	s_delay_alu instid0(VALU_DEP_1) | instskip(SKIP_3) | instid1(VALU_DEP_4)
	v_xor_b32_e32 v24, v21, v23
	v_cmp_ne_u32_e32 vcc_lo, v21, v23
	v_xor_b32_e32 v18, v19, v23
	v_xor_b32_e32 v16, v16, v23
	v_clz_i32_u32_e32 v26, v24
	s_delay_alu instid0(VALU_DEP_1) | instskip(NEXT) | instid1(VALU_DEP_1)
	v_add_nc_u32_e32 v25, 1, v26
	v_cndmask_b32_e32 v21, 33, v25, vcc_lo
	s_delay_alu instid0(VALU_DEP_1) | instskip(NEXT) | instid1(VALU_DEP_1)
	v_sub_nc_u32_e32 v19, 32, v21
	v_alignbit_b32 v23, v24, v18, v19
	v_alignbit_b32 v16, v18, v16, v19
	v_lshrrev_b32_e32 v18, 29, v17
	v_lshrrev_b32_e32 v17, 30, v17
	s_delay_alu instid0(VALU_DEP_3) | instskip(NEXT) | instid1(VALU_DEP_3)
	v_alignbit_b32 v19, v23, v16, 9
	v_lshlrev_b32_e32 v18, 31, v18
	v_alignbit_b32 v23, v21, v23, 9
	s_delay_alu instid0(VALU_DEP_4) | instskip(NEXT) | instid1(VALU_DEP_4)
	v_add_nc_u32_e32 v17, v22, v17
	v_clz_i32_u32_e32 v24, v19
	s_delay_alu instid0(VALU_DEP_3) | instskip(SKIP_1) | instid1(VALU_DEP_3)
	v_or_b32_e32 v23, v23, v18
	v_or_b32_e32 v18, 0x33800000, v18
	v_min_u32_e32 v24, 32, v24
	s_delay_alu instid0(VALU_DEP_3) | instskip(NEXT) | instid1(VALU_DEP_2)
	v_xor_b32_e32 v23, 1.0, v23
	v_sub_nc_u32_e32 v25, 31, v24
	v_add_lshl_u32 v21, v24, v21, 23
	s_delay_alu instid0(VALU_DEP_3) | instskip(NEXT) | instid1(VALU_DEP_3)
	v_mul_f32_e32 v24, 0x3fc90fda, v23
	v_alignbit_b32 v16, v19, v16, v25
	s_delay_alu instid0(VALU_DEP_3) | instskip(NEXT) | instid1(VALU_DEP_3)
	v_sub_nc_u32_e32 v18, v18, v21
	v_fma_f32 v19, 0x3fc90fda, v23, -v24
	s_delay_alu instid0(VALU_DEP_3) | instskip(NEXT) | instid1(VALU_DEP_2)
	v_lshrrev_b32_e32 v16, 9, v16
	v_fmamk_f32 v19, v23, 0x33a22168, v19
	s_delay_alu instid0(VALU_DEP_2) | instskip(NEXT) | instid1(VALU_DEP_1)
	v_or_b32_e32 v16, v18, v16
	v_fmac_f32_e32 v19, 0x3fc90fda, v16
	s_delay_alu instid0(VALU_DEP_1)
	v_add_f32_e32 v16, v24, v19
	s_or_saveexec_b32 s0, s6
	v_mul_f32_e64 v21, 0x3f22f983, |v7|
	s_xor_b32 exec_lo, exec_lo, s0
	s_branch .LBB135_7
.LBB135_6:
	s_or_saveexec_b32 s0, s6
	v_mul_f32_e64 v21, 0x3f22f983, |v7|
	s_xor_b32 exec_lo, exec_lo, s0
.LBB135_7:
	s_delay_alu instid0(VALU_DEP_1) | instskip(NEXT) | instid1(VALU_DEP_1)
	v_rndne_f32_e32 v17, v21
	v_fma_f32 v16, 0xbfc90fda, v17, |v7|
	s_delay_alu instid0(VALU_DEP_1) | instskip(NEXT) | instid1(VALU_DEP_1)
	v_fmamk_f32 v16, v17, 0xb3a22168, v16
	v_fmamk_f32 v16, v17, 0xa7c234c4, v16
	v_cvt_i32_f32_e32 v17, v17
; %bb.8:
	s_or_b32 exec_lo, exec_lo, s0
                                        ; implicit-def: $vgpr19
                                        ; implicit-def: $vgpr18
	s_and_saveexec_b32 s0, s3
	s_delay_alu instid0(SALU_CYCLE_1)
	s_xor_b32 s3, exec_lo, s0
	s_cbranch_execz .LBB135_10
; %bb.9:
	s_mov_b32 s0, 0x7fffff
	s_delay_alu instid0(SALU_CYCLE_1) | instskip(NEXT) | instid1(VALU_DEP_1)
	v_and_or_b32 v29, v15, s0, 0x800000
	v_mad_u64_u32 v[18:19], null, 0xfe5163ab, v29, 0
	s_delay_alu instid0(VALU_DEP_1) | instskip(NEXT) | instid1(VALU_DEP_1)
	v_dual_mov_b32 v22, 0 :: v_dual_mov_b32 v21, v19
	v_mad_u64_u32 v[23:24], null, 0x3c439041, v29, v[21:22]
	s_delay_alu instid0(VALU_DEP_1) | instskip(NEXT) | instid1(VALU_DEP_1)
	v_mov_b32_e32 v21, v24
	v_mad_u64_u32 v[24:25], null, 0xdb629599, v29, v[21:22]
	s_delay_alu instid0(VALU_DEP_1) | instskip(NEXT) | instid1(VALU_DEP_1)
	v_mov_b32_e32 v21, v25
	v_mad_u64_u32 v[25:26], null, 0xf534ddc0, v29, v[21:22]
	s_delay_alu instid0(VALU_DEP_1) | instskip(NEXT) | instid1(VALU_DEP_1)
	v_dual_mov_b32 v21, v26 :: v_dual_add_nc_u32 v26, 0xffffff88, v20
	v_mad_u64_u32 v[19:20], null, 0xfc2757d1, v29, v[21:22]
	s_delay_alu instid0(VALU_DEP_2) | instskip(SKIP_1) | instid1(VALU_DEP_3)
	v_cmp_lt_u32_e32 vcc_lo, 63, v26
	v_cndmask_b32_e64 v27, 0, 0xffffffc0, vcc_lo
	v_mov_b32_e32 v21, v20
	v_cndmask_b32_e32 v18, v24, v18, vcc_lo
	s_delay_alu instid0(VALU_DEP_3) | instskip(NEXT) | instid1(VALU_DEP_3)
	v_add_nc_u32_e32 v20, v27, v26
	v_mad_u64_u32 v[26:27], null, 0x4e441529, v29, v[21:22]
	s_delay_alu instid0(VALU_DEP_2) | instskip(NEXT) | instid1(VALU_DEP_2)
	v_cmp_lt_u32_e64 s0, 31, v20
	v_mov_b32_e32 v21, v27
	s_delay_alu instid0(VALU_DEP_2) | instskip(NEXT) | instid1(VALU_DEP_1)
	v_cndmask_b32_e64 v28, 0, 0xffffffe0, s0
	v_add_nc_u32_e32 v20, v28, v20
	s_delay_alu instid0(VALU_DEP_3) | instskip(SKIP_1) | instid1(VALU_DEP_3)
	v_mad_u64_u32 v[27:28], null, 0xa2f9836e, v29, v[21:22]
	v_cndmask_b32_e32 v22, v26, v25, vcc_lo
	v_cmp_lt_u32_e64 s1, 31, v20
	s_delay_alu instid0(VALU_DEP_3) | instskip(NEXT) | instid1(VALU_DEP_2)
	v_cndmask_b32_e32 v26, v28, v26, vcc_lo
	v_cndmask_b32_e64 v21, 0, 0xffffffe0, s1
	v_cndmask_b32_e32 v27, v27, v19, vcc_lo
	v_cndmask_b32_e32 v19, v19, v24, vcc_lo
	s_delay_alu instid0(VALU_DEP_3) | instskip(SKIP_1) | instid1(VALU_DEP_4)
	v_add_nc_u32_e32 v20, v21, v20
	v_cndmask_b32_e32 v21, v25, v23, vcc_lo
	v_cndmask_b32_e64 v23, v27, v22, s0
	v_cndmask_b32_e64 v25, v26, v27, s0
	;; [unrolled: 1-line block ×3, first 2 shown]
	v_sub_nc_u32_e32 v26, 32, v20
	v_cndmask_b32_e64 v19, v19, v21, s0
	v_cmp_eq_u32_e64 s2, 0, v20
	v_cndmask_b32_e64 v25, v25, v23, s1
	v_cndmask_b32_e64 v23, v23, v22, s1
	;; [unrolled: 1-line block ×4, first 2 shown]
	s_delay_alu instid0(VALU_DEP_3) | instskip(NEXT) | instid1(VALU_DEP_3)
	v_alignbit_b32 v27, v25, v23, v26
	v_cndmask_b32_e64 v18, v19, v18, s1
	s_delay_alu instid0(VALU_DEP_3) | instskip(NEXT) | instid1(VALU_DEP_3)
	v_alignbit_b32 v28, v23, v22, v26
	v_cndmask_b32_e64 v20, v27, v25, s2
	;; [unrolled: 3-line block ×3, first 2 shown]
	s_delay_alu instid0(VALU_DEP_3) | instskip(NEXT) | instid1(VALU_DEP_3)
	v_bfe_u32 v24, v20, 29, 1
	v_cndmask_b32_e64 v22, v26, v22, s2
	s_delay_alu instid0(VALU_DEP_3) | instskip(NEXT) | instid1(VALU_DEP_3)
	v_alignbit_b32 v21, v20, v23, 30
	v_sub_nc_u32_e32 v25, 0, v24
	s_delay_alu instid0(VALU_DEP_3) | instskip(SKIP_1) | instid1(VALU_DEP_3)
	v_alignbit_b32 v23, v23, v22, 30
	v_alignbit_b32 v18, v22, v18, 30
	v_xor_b32_e32 v19, v21, v25
	v_cmp_ne_u32_e32 vcc_lo, v21, v25
	s_delay_alu instid0(VALU_DEP_4) | instskip(NEXT) | instid1(VALU_DEP_4)
	v_xor_b32_e32 v22, v23, v25
	v_xor_b32_e32 v18, v18, v25
	s_delay_alu instid0(VALU_DEP_4) | instskip(NEXT) | instid1(VALU_DEP_1)
	v_clz_i32_u32_e32 v27, v19
	v_add_nc_u32_e32 v26, 1, v27
	s_delay_alu instid0(VALU_DEP_1) | instskip(NEXT) | instid1(VALU_DEP_1)
	v_cndmask_b32_e32 v21, 33, v26, vcc_lo
	v_sub_nc_u32_e32 v23, 32, v21
	s_delay_alu instid0(VALU_DEP_1) | instskip(SKIP_3) | instid1(VALU_DEP_3)
	v_alignbit_b32 v19, v19, v22, v23
	v_alignbit_b32 v18, v22, v18, v23
	v_lshrrev_b32_e32 v22, 29, v20
	v_lshrrev_b32_e32 v20, 30, v20
	v_alignbit_b32 v23, v19, v18, 9
	s_delay_alu instid0(VALU_DEP_3) | instskip(SKIP_1) | instid1(VALU_DEP_3)
	v_lshlrev_b32_e32 v22, 31, v22
	v_alignbit_b32 v19, v21, v19, 9
	v_clz_i32_u32_e32 v25, v23
	s_delay_alu instid0(VALU_DEP_2) | instskip(SKIP_1) | instid1(VALU_DEP_3)
	v_or_b32_e32 v19, v19, v22
	v_or_b32_e32 v22, 0x33800000, v22
	v_min_u32_e32 v25, 32, v25
	s_delay_alu instid0(VALU_DEP_3) | instskip(NEXT) | instid1(VALU_DEP_2)
	v_xor_b32_e32 v19, 1.0, v19
	v_sub_nc_u32_e32 v26, 31, v25
	v_add_lshl_u32 v21, v25, v21, 23
	s_delay_alu instid0(VALU_DEP_3) | instskip(NEXT) | instid1(VALU_DEP_3)
	v_mul_f32_e32 v25, 0x3fc90fda, v19
	v_alignbit_b32 v18, v23, v18, v26
	s_delay_alu instid0(VALU_DEP_3) | instskip(NEXT) | instid1(VALU_DEP_3)
	v_sub_nc_u32_e32 v21, v22, v21
	v_fma_f32 v22, 0x3fc90fda, v19, -v25
	s_delay_alu instid0(VALU_DEP_3) | instskip(NEXT) | instid1(VALU_DEP_2)
	v_lshrrev_b32_e32 v18, 9, v18
	v_fmamk_f32 v19, v19, 0x33a22168, v22
	s_delay_alu instid0(VALU_DEP_2) | instskip(NEXT) | instid1(VALU_DEP_1)
	v_or_b32_e32 v18, v21, v18
                                        ; implicit-def: $vgpr21
	v_fmac_f32_e32 v19, 0x3fc90fda, v18
	s_delay_alu instid0(VALU_DEP_1)
	v_dual_add_f32 v18, v25, v19 :: v_dual_add_nc_u32 v19, v24, v20
	s_and_not1_saveexec_b32 s0, s3
	s_cbranch_execnz .LBB135_11
	s_branch .LBB135_12
.LBB135_10:
	s_and_not1_saveexec_b32 s0, s3
.LBB135_11:
	v_rndne_f32_e32 v19, v21
	s_delay_alu instid0(VALU_DEP_1) | instskip(NEXT) | instid1(VALU_DEP_1)
	v_fma_f32 v18, 0xbfc90fda, v19, |v7|
	v_fmamk_f32 v18, v19, 0xb3a22168, v18
	s_delay_alu instid0(VALU_DEP_1)
	v_fmamk_f32 v18, v19, 0xa7c234c4, v18
	v_cvt_i32_f32_e32 v19, v19
.LBB135_12:
	s_or_b32 exec_lo, exec_lo, s0
	v_mul_f32_e32 v20, 0.5, v9
                                        ; implicit-def: $vgpr23
                                        ; implicit-def: $vgpr22
	s_mov_b32 s1, exec_lo
	s_delay_alu instid0(VALU_DEP_1)
	v_and_b32_e32 v21, 0x7fffffff, v20
	v_cmpx_ngt_f32_e64 0x48000000, |v20|
	s_xor_b32 s3, exec_lo, s1
	s_cbranch_execz .LBB135_14
; %bb.13:
	s_mov_b32 s0, 0x7fffff
	v_mov_b32_e32 v24, 0
	v_and_or_b32 v32, v21, s0, 0x800000
	v_lshrrev_b32_e32 v29, 23, v21
	s_delay_alu instid0(VALU_DEP_2) | instskip(NEXT) | instid1(VALU_DEP_2)
	v_mad_u64_u32 v[22:23], null, 0xfe5163ab, v32, 0
	v_add_nc_u32_e32 v30, 0xffffff88, v29
	s_delay_alu instid0(VALU_DEP_1) | instskip(NEXT) | instid1(VALU_DEP_3)
	v_cmp_lt_u32_e32 vcc_lo, 63, v30
	v_mad_u64_u32 v[25:26], null, 0x3c439041, v32, v[23:24]
	v_cndmask_b32_e64 v31, 0, 0xffffffc0, vcc_lo
	s_delay_alu instid0(VALU_DEP_2) | instskip(NEXT) | instid1(VALU_DEP_2)
	v_mov_b32_e32 v23, v26
	v_add_nc_u32_e32 v31, v31, v30
	s_delay_alu instid0(VALU_DEP_2) | instskip(NEXT) | instid1(VALU_DEP_2)
	v_mad_u64_u32 v[26:27], null, 0xdb629599, v32, v[23:24]
	v_cmp_lt_u32_e64 s0, 31, v31
	s_delay_alu instid0(VALU_DEP_1) | instskip(NEXT) | instid1(VALU_DEP_3)
	v_cndmask_b32_e64 v33, 0, 0xffffffe0, s0
	v_dual_mov_b32 v23, v27 :: v_dual_cndmask_b32 v22, v26, v22
	s_delay_alu instid0(VALU_DEP_2) | instskip(NEXT) | instid1(VALU_DEP_2)
	v_add_nc_u32_e32 v33, v33, v31
	v_mad_u64_u32 v[27:28], null, 0xf534ddc0, v32, v[23:24]
	s_delay_alu instid0(VALU_DEP_2) | instskip(NEXT) | instid1(VALU_DEP_2)
	v_cmp_lt_u32_e64 s1, 31, v33
	v_mov_b32_e32 v23, v28
	s_delay_alu instid0(VALU_DEP_3) | instskip(NEXT) | instid1(VALU_DEP_2)
	v_cndmask_b32_e32 v25, v27, v25, vcc_lo
	v_mad_u64_u32 v[28:29], null, 0xfc2757d1, v32, v[23:24]
	s_delay_alu instid0(VALU_DEP_2) | instskip(NEXT) | instid1(VALU_DEP_2)
	v_cndmask_b32_e64 v22, v25, v22, s0
	v_mov_b32_e32 v23, v29
	s_delay_alu instid0(VALU_DEP_1) | instskip(NEXT) | instid1(VALU_DEP_1)
	v_mad_u64_u32 v[29:30], null, 0x4e441529, v32, v[23:24]
	v_mov_b32_e32 v23, v30
	s_delay_alu instid0(VALU_DEP_1) | instskip(SKIP_1) | instid1(VALU_DEP_1)
	v_mad_u64_u32 v[30:31], null, 0xa2f9836e, v32, v[23:24]
	v_cndmask_b32_e64 v23, 0, 0xffffffe0, s1
	v_dual_cndmask_b32 v24, v29, v27 :: v_dual_add_nc_u32 v23, v23, v33
	s_delay_alu instid0(VALU_DEP_3) | instskip(NEXT) | instid1(VALU_DEP_4)
	v_cndmask_b32_e32 v30, v30, v28, vcc_lo
	v_dual_cndmask_b32 v28, v28, v26 :: v_dual_cndmask_b32 v29, v31, v29
	s_delay_alu instid0(VALU_DEP_3) | instskip(NEXT) | instid1(VALU_DEP_3)
	v_cmp_eq_u32_e64 s2, 0, v23
	v_cndmask_b32_e64 v27, v30, v24, s0
	s_delay_alu instid0(VALU_DEP_3) | instskip(NEXT) | instid1(VALU_DEP_4)
	v_cndmask_b32_e64 v24, v24, v28, s0
	v_cndmask_b32_e64 v29, v29, v30, s0
	v_sub_nc_u32_e32 v30, 32, v23
	v_cndmask_b32_e64 v28, v28, v25, s0
	s_delay_alu instid0(VALU_DEP_3) | instskip(SKIP_1) | instid1(VALU_DEP_3)
	v_cndmask_b32_e64 v29, v29, v27, s1
	v_cndmask_b32_e64 v27, v27, v24, s1
	;; [unrolled: 1-line block ×4, first 2 shown]
	s_delay_alu instid0(VALU_DEP_3) | instskip(NEXT) | instid1(VALU_DEP_3)
	v_alignbit_b32 v31, v29, v27, v30
	v_alignbit_b32 v32, v27, v24, v30
	s_delay_alu instid0(VALU_DEP_3) | instskip(NEXT) | instid1(VALU_DEP_3)
	v_alignbit_b32 v30, v24, v22, v30
	v_cndmask_b32_e64 v23, v31, v29, s2
	s_delay_alu instid0(VALU_DEP_3) | instskip(NEXT) | instid1(VALU_DEP_3)
	v_cndmask_b32_e64 v26, v32, v27, s2
	v_cndmask_b32_e64 v24, v30, v24, s2
	s_delay_alu instid0(VALU_DEP_3) | instskip(NEXT) | instid1(VALU_DEP_3)
	v_bfe_u32 v27, v23, 29, 1
	v_alignbit_b32 v25, v23, v26, 30
	s_delay_alu instid0(VALU_DEP_3) | instskip(SKIP_1) | instid1(VALU_DEP_4)
	v_alignbit_b32 v26, v26, v24, 30
	v_alignbit_b32 v22, v24, v22, 30
	v_sub_nc_u32_e32 v29, 0, v27
	s_delay_alu instid0(VALU_DEP_1) | instskip(SKIP_3) | instid1(VALU_DEP_4)
	v_xor_b32_e32 v28, v25, v29
	v_cmp_ne_u32_e32 vcc_lo, v25, v29
	v_xor_b32_e32 v24, v26, v29
	v_xor_b32_e32 v22, v22, v29
	v_clz_i32_u32_e32 v31, v28
	s_delay_alu instid0(VALU_DEP_1) | instskip(NEXT) | instid1(VALU_DEP_1)
	v_add_nc_u32_e32 v30, 1, v31
	v_cndmask_b32_e32 v25, 33, v30, vcc_lo
	s_delay_alu instid0(VALU_DEP_1) | instskip(NEXT) | instid1(VALU_DEP_1)
	v_sub_nc_u32_e32 v26, 32, v25
	v_alignbit_b32 v28, v28, v24, v26
	v_alignbit_b32 v22, v24, v22, v26
	v_lshrrev_b32_e32 v24, 29, v23
	v_lshrrev_b32_e32 v23, 30, v23
	s_delay_alu instid0(VALU_DEP_3) | instskip(NEXT) | instid1(VALU_DEP_3)
	v_alignbit_b32 v26, v28, v22, 9
	v_lshlrev_b32_e32 v24, 31, v24
	v_alignbit_b32 v28, v25, v28, 9
	s_delay_alu instid0(VALU_DEP_4) | instskip(NEXT) | instid1(VALU_DEP_4)
	v_add_nc_u32_e32 v23, v27, v23
	v_clz_i32_u32_e32 v29, v26
	s_delay_alu instid0(VALU_DEP_3) | instskip(SKIP_1) | instid1(VALU_DEP_3)
	v_or_b32_e32 v28, v28, v24
	v_or_b32_e32 v24, 0x33800000, v24
	v_min_u32_e32 v29, 32, v29
	s_delay_alu instid0(VALU_DEP_3) | instskip(NEXT) | instid1(VALU_DEP_2)
	v_xor_b32_e32 v28, 1.0, v28
	v_sub_nc_u32_e32 v30, 31, v29
	v_add_lshl_u32 v25, v29, v25, 23
	s_delay_alu instid0(VALU_DEP_3) | instskip(NEXT) | instid1(VALU_DEP_3)
	v_mul_f32_e32 v29, 0x3fc90fda, v28
	v_alignbit_b32 v22, v26, v22, v30
	s_delay_alu instid0(VALU_DEP_3) | instskip(NEXT) | instid1(VALU_DEP_3)
	v_sub_nc_u32_e32 v24, v24, v25
	v_fma_f32 v25, 0x3fc90fda, v28, -v29
	s_delay_alu instid0(VALU_DEP_3) | instskip(NEXT) | instid1(VALU_DEP_2)
	v_lshrrev_b32_e32 v22, 9, v22
	v_fmamk_f32 v25, v28, 0x33a22168, v25
	s_delay_alu instid0(VALU_DEP_2) | instskip(NEXT) | instid1(VALU_DEP_1)
	v_or_b32_e32 v22, v24, v22
	v_fmac_f32_e32 v25, 0x3fc90fda, v22
	s_delay_alu instid0(VALU_DEP_1)
	v_add_f32_e32 v22, v29, v25
.LBB135_14:
	s_and_not1_saveexec_b32 s0, s3
; %bb.15:
	v_mul_f32_e64 v22, 0x3f22f983, |v20|
	s_delay_alu instid0(VALU_DEP_1) | instskip(NEXT) | instid1(VALU_DEP_1)
	v_rndne_f32_e32 v23, v22
	v_fma_f32 v22, 0xbfc90fda, v23, |v20|
	s_delay_alu instid0(VALU_DEP_1) | instskip(NEXT) | instid1(VALU_DEP_1)
	v_fmamk_f32 v22, v23, 0xb3a22168, v22
	v_fmamk_f32 v22, v23, 0xa7c234c4, v22
	v_cvt_i32_f32_e32 v23, v23
; %bb.16:
	s_or_b32 exec_lo, exec_lo, s0
	v_and_b32_e32 v24, 0x7fffffff, v9
	v_cmp_ngt_f32_e64 s3, 0x48000000, |v9|
                                        ; implicit-def: $vgpr26
                                        ; implicit-def: $vgpr25
	s_delay_alu instid0(VALU_DEP_2) | instskip(NEXT) | instid1(VALU_DEP_2)
	v_lshrrev_b32_e32 v29, 23, v24
	s_and_saveexec_b32 s0, s3
	s_delay_alu instid0(SALU_CYCLE_1)
	s_xor_b32 s6, exec_lo, s0
	s_cbranch_execz .LBB135_18
; %bb.17:
	s_mov_b32 s0, 0x7fffff
	v_mov_b32_e32 v27, 0
	v_and_or_b32 v28, v24, s0, 0x800000
	v_add_nc_u32_e32 v35, 0xffffff88, v29
	s_delay_alu instid0(VALU_DEP_2) | instskip(NEXT) | instid1(VALU_DEP_2)
	v_mad_u64_u32 v[25:26], null, 0xfe5163ab, v28, 0
	v_cmp_lt_u32_e32 vcc_lo, 63, v35
	v_cndmask_b32_e64 v36, 0, 0xffffffc0, vcc_lo
	s_delay_alu instid0(VALU_DEP_3) | instskip(NEXT) | instid1(VALU_DEP_1)
	v_mad_u64_u32 v[30:31], null, 0x3c439041, v28, v[26:27]
	v_mov_b32_e32 v26, v31
	s_delay_alu instid0(VALU_DEP_1) | instskip(NEXT) | instid1(VALU_DEP_1)
	v_mad_u64_u32 v[31:32], null, 0xdb629599, v28, v[26:27]
	v_dual_cndmask_b32 v25, v31, v25 :: v_dual_add_nc_u32 v36, v36, v35
	s_delay_alu instid0(VALU_DEP_2) | instskip(NEXT) | instid1(VALU_DEP_2)
	v_mov_b32_e32 v26, v32
	v_cmp_lt_u32_e64 s0, 31, v36
	s_delay_alu instid0(VALU_DEP_2) | instskip(NEXT) | instid1(VALU_DEP_2)
	v_mad_u64_u32 v[32:33], null, 0xf534ddc0, v28, v[26:27]
	v_cndmask_b32_e64 v37, 0, 0xffffffe0, s0
	s_delay_alu instid0(VALU_DEP_1) | instskip(NEXT) | instid1(VALU_DEP_3)
	v_add_nc_u32_e32 v37, v37, v36
	v_mov_b32_e32 v26, v33
	s_delay_alu instid0(VALU_DEP_4) | instskip(NEXT) | instid1(VALU_DEP_3)
	v_cndmask_b32_e32 v30, v32, v30, vcc_lo
	v_cmp_lt_u32_e64 s1, 31, v37
	s_delay_alu instid0(VALU_DEP_3) | instskip(NEXT) | instid1(VALU_DEP_3)
	v_mad_u64_u32 v[33:34], null, 0xfc2757d1, v28, v[26:27]
	v_cndmask_b32_e64 v25, v30, v25, s0
	s_delay_alu instid0(VALU_DEP_2) | instskip(NEXT) | instid1(VALU_DEP_1)
	v_mov_b32_e32 v26, v34
	v_mad_u64_u32 v[34:35], null, 0x4e441529, v28, v[26:27]
	s_delay_alu instid0(VALU_DEP_1) | instskip(NEXT) | instid1(VALU_DEP_1)
	v_mov_b32_e32 v26, v35
	v_mad_u64_u32 v[35:36], null, 0xa2f9836e, v28, v[26:27]
	v_cndmask_b32_e64 v26, 0, 0xffffffe0, s1
	s_delay_alu instid0(VALU_DEP_4) | instskip(NEXT) | instid1(VALU_DEP_2)
	v_cndmask_b32_e32 v27, v34, v32, vcc_lo
	v_add_nc_u32_e32 v26, v26, v37
	s_delay_alu instid0(VALU_DEP_4) | instskip(SKIP_1) | instid1(VALU_DEP_3)
	v_cndmask_b32_e32 v28, v35, v33, vcc_lo
	v_dual_cndmask_b32 v34, v36, v34 :: v_dual_cndmask_b32 v33, v33, v31
	v_cmp_eq_u32_e64 s2, 0, v26
	s_delay_alu instid0(VALU_DEP_3) | instskip(NEXT) | instid1(VALU_DEP_3)
	v_cndmask_b32_e64 v32, v28, v27, s0
	v_cndmask_b32_e64 v28, v34, v28, s0
	s_delay_alu instid0(VALU_DEP_4) | instskip(SKIP_2) | instid1(VALU_DEP_4)
	v_cndmask_b32_e64 v27, v27, v33, s0
	v_sub_nc_u32_e32 v34, 32, v26
	v_cndmask_b32_e64 v33, v33, v30, s0
	v_cndmask_b32_e64 v28, v28, v32, s1
	s_delay_alu instid0(VALU_DEP_4) | instskip(NEXT) | instid1(VALU_DEP_3)
	v_cndmask_b32_e64 v32, v32, v27, s1
	v_cndmask_b32_e64 v27, v27, v33, s1
	;; [unrolled: 1-line block ×3, first 2 shown]
	s_delay_alu instid0(VALU_DEP_3) | instskip(NEXT) | instid1(VALU_DEP_3)
	v_alignbit_b32 v35, v28, v32, v34
	v_alignbit_b32 v36, v32, v27, v34
	s_delay_alu instid0(VALU_DEP_3) | instskip(NEXT) | instid1(VALU_DEP_3)
	v_alignbit_b32 v34, v27, v25, v34
	v_cndmask_b32_e64 v26, v35, v28, s2
	s_delay_alu instid0(VALU_DEP_3) | instskip(NEXT) | instid1(VALU_DEP_3)
	v_cndmask_b32_e64 v28, v36, v32, s2
	v_cndmask_b32_e64 v27, v34, v27, s2
	s_delay_alu instid0(VALU_DEP_3) | instskip(NEXT) | instid1(VALU_DEP_3)
	v_bfe_u32 v31, v26, 29, 1
	v_alignbit_b32 v30, v26, v28, 30
	s_delay_alu instid0(VALU_DEP_3) | instskip(SKIP_1) | instid1(VALU_DEP_4)
	v_alignbit_b32 v28, v28, v27, 30
	v_alignbit_b32 v25, v27, v25, 30
	v_sub_nc_u32_e32 v32, 0, v31
	s_delay_alu instid0(VALU_DEP_1) | instskip(SKIP_3) | instid1(VALU_DEP_4)
	v_xor_b32_e32 v33, v30, v32
	v_cmp_ne_u32_e32 vcc_lo, v30, v32
	v_xor_b32_e32 v27, v28, v32
	v_xor_b32_e32 v25, v25, v32
	v_clz_i32_u32_e32 v35, v33
	s_delay_alu instid0(VALU_DEP_1) | instskip(NEXT) | instid1(VALU_DEP_1)
	v_add_nc_u32_e32 v34, 1, v35
	v_cndmask_b32_e32 v30, 33, v34, vcc_lo
	s_delay_alu instid0(VALU_DEP_1) | instskip(NEXT) | instid1(VALU_DEP_1)
	v_sub_nc_u32_e32 v28, 32, v30
	v_alignbit_b32 v32, v33, v27, v28
	v_alignbit_b32 v25, v27, v25, v28
	v_lshrrev_b32_e32 v27, 29, v26
	v_lshrrev_b32_e32 v26, 30, v26
	s_delay_alu instid0(VALU_DEP_3) | instskip(NEXT) | instid1(VALU_DEP_3)
	v_alignbit_b32 v28, v32, v25, 9
	v_lshlrev_b32_e32 v27, 31, v27
	v_alignbit_b32 v32, v30, v32, 9
	s_delay_alu instid0(VALU_DEP_4) | instskip(NEXT) | instid1(VALU_DEP_4)
	v_add_nc_u32_e32 v26, v31, v26
	v_clz_i32_u32_e32 v33, v28
	s_delay_alu instid0(VALU_DEP_3) | instskip(SKIP_1) | instid1(VALU_DEP_3)
	v_or_b32_e32 v32, v32, v27
	v_or_b32_e32 v27, 0x33800000, v27
	v_min_u32_e32 v33, 32, v33
	s_delay_alu instid0(VALU_DEP_3) | instskip(NEXT) | instid1(VALU_DEP_2)
	v_xor_b32_e32 v32, 1.0, v32
	v_sub_nc_u32_e32 v34, 31, v33
	v_add_lshl_u32 v30, v33, v30, 23
	s_delay_alu instid0(VALU_DEP_3) | instskip(NEXT) | instid1(VALU_DEP_3)
	v_mul_f32_e32 v33, 0x3fc90fda, v32
	v_alignbit_b32 v25, v28, v25, v34
	s_delay_alu instid0(VALU_DEP_3) | instskip(NEXT) | instid1(VALU_DEP_3)
	v_sub_nc_u32_e32 v27, v27, v30
	v_fma_f32 v28, 0x3fc90fda, v32, -v33
	s_delay_alu instid0(VALU_DEP_3) | instskip(NEXT) | instid1(VALU_DEP_2)
	v_lshrrev_b32_e32 v25, 9, v25
	v_fmamk_f32 v28, v32, 0x33a22168, v28
	s_delay_alu instid0(VALU_DEP_2) | instskip(NEXT) | instid1(VALU_DEP_1)
	v_or_b32_e32 v25, v27, v25
	v_fmac_f32_e32 v28, 0x3fc90fda, v25
	s_delay_alu instid0(VALU_DEP_1)
	v_add_f32_e32 v25, v33, v28
	s_or_saveexec_b32 s0, s6
	v_mul_f32_e64 v30, 0x3f22f983, |v9|
	s_xor_b32 exec_lo, exec_lo, s0
	s_branch .LBB135_19
.LBB135_18:
	s_or_saveexec_b32 s0, s6
	v_mul_f32_e64 v30, 0x3f22f983, |v9|
	s_xor_b32 exec_lo, exec_lo, s0
.LBB135_19:
	s_delay_alu instid0(VALU_DEP_1) | instskip(NEXT) | instid1(VALU_DEP_1)
	v_rndne_f32_e32 v26, v30
	v_fma_f32 v25, 0xbfc90fda, v26, |v9|
	s_delay_alu instid0(VALU_DEP_1) | instskip(NEXT) | instid1(VALU_DEP_1)
	v_fmamk_f32 v25, v26, 0xb3a22168, v25
	v_fmamk_f32 v25, v26, 0xa7c234c4, v25
	v_cvt_i32_f32_e32 v26, v26
; %bb.20:
	s_or_b32 exec_lo, exec_lo, s0
                                        ; implicit-def: $vgpr28
                                        ; implicit-def: $vgpr27
	s_and_saveexec_b32 s0, s3
	s_delay_alu instid0(SALU_CYCLE_1)
	s_xor_b32 s3, exec_lo, s0
	s_cbranch_execz .LBB135_22
; %bb.21:
	s_mov_b32 s0, 0x7fffff
	s_delay_alu instid0(SALU_CYCLE_1) | instskip(NEXT) | instid1(VALU_DEP_1)
	v_and_or_b32 v38, v24, s0, 0x800000
	v_mad_u64_u32 v[27:28], null, 0xfe5163ab, v38, 0
	s_delay_alu instid0(VALU_DEP_1) | instskip(NEXT) | instid1(VALU_DEP_1)
	v_dual_mov_b32 v31, 0 :: v_dual_mov_b32 v30, v28
	v_mad_u64_u32 v[32:33], null, 0x3c439041, v38, v[30:31]
	s_delay_alu instid0(VALU_DEP_1) | instskip(NEXT) | instid1(VALU_DEP_1)
	v_mov_b32_e32 v30, v33
	v_mad_u64_u32 v[33:34], null, 0xdb629599, v38, v[30:31]
	s_delay_alu instid0(VALU_DEP_1) | instskip(NEXT) | instid1(VALU_DEP_1)
	v_mov_b32_e32 v30, v34
	v_mad_u64_u32 v[34:35], null, 0xf534ddc0, v38, v[30:31]
	s_delay_alu instid0(VALU_DEP_1) | instskip(NEXT) | instid1(VALU_DEP_1)
	v_dual_mov_b32 v30, v35 :: v_dual_add_nc_u32 v35, 0xffffff88, v29
	v_mad_u64_u32 v[28:29], null, 0xfc2757d1, v38, v[30:31]
	s_delay_alu instid0(VALU_DEP_2) | instskip(SKIP_1) | instid1(VALU_DEP_3)
	v_cmp_lt_u32_e32 vcc_lo, 63, v35
	v_cndmask_b32_e64 v36, 0, 0xffffffc0, vcc_lo
	v_mov_b32_e32 v30, v29
	v_cndmask_b32_e32 v27, v33, v27, vcc_lo
	s_delay_alu instid0(VALU_DEP_3) | instskip(NEXT) | instid1(VALU_DEP_3)
	v_add_nc_u32_e32 v29, v36, v35
	v_mad_u64_u32 v[35:36], null, 0x4e441529, v38, v[30:31]
	s_delay_alu instid0(VALU_DEP_2) | instskip(NEXT) | instid1(VALU_DEP_2)
	v_cmp_lt_u32_e64 s0, 31, v29
	v_mov_b32_e32 v30, v36
	s_delay_alu instid0(VALU_DEP_2) | instskip(NEXT) | instid1(VALU_DEP_1)
	v_cndmask_b32_e64 v37, 0, 0xffffffe0, s0
	v_add_nc_u32_e32 v29, v37, v29
	s_delay_alu instid0(VALU_DEP_3) | instskip(SKIP_1) | instid1(VALU_DEP_3)
	v_mad_u64_u32 v[36:37], null, 0xa2f9836e, v38, v[30:31]
	v_cndmask_b32_e32 v31, v35, v34, vcc_lo
	v_cmp_lt_u32_e64 s1, 31, v29
	s_delay_alu instid0(VALU_DEP_3) | instskip(NEXT) | instid1(VALU_DEP_2)
	v_cndmask_b32_e32 v35, v37, v35, vcc_lo
	v_cndmask_b32_e64 v30, 0, 0xffffffe0, s1
	v_cndmask_b32_e32 v36, v36, v28, vcc_lo
	v_cndmask_b32_e32 v28, v28, v33, vcc_lo
	s_delay_alu instid0(VALU_DEP_3) | instskip(SKIP_1) | instid1(VALU_DEP_4)
	v_add_nc_u32_e32 v29, v30, v29
	v_cndmask_b32_e32 v30, v34, v32, vcc_lo
	v_cndmask_b32_e64 v32, v36, v31, s0
	v_cndmask_b32_e64 v34, v35, v36, s0
	;; [unrolled: 1-line block ×3, first 2 shown]
	v_sub_nc_u32_e32 v35, 32, v29
	v_cndmask_b32_e64 v28, v28, v30, s0
	v_cmp_eq_u32_e64 s2, 0, v29
	v_cndmask_b32_e64 v34, v34, v32, s1
	v_cndmask_b32_e64 v32, v32, v31, s1
	;; [unrolled: 1-line block ×4, first 2 shown]
	s_delay_alu instid0(VALU_DEP_3) | instskip(NEXT) | instid1(VALU_DEP_3)
	v_alignbit_b32 v36, v34, v32, v35
	v_cndmask_b32_e64 v27, v28, v27, s1
	s_delay_alu instid0(VALU_DEP_3) | instskip(NEXT) | instid1(VALU_DEP_3)
	v_alignbit_b32 v37, v32, v31, v35
	v_cndmask_b32_e64 v29, v36, v34, s2
	;; [unrolled: 3-line block ×3, first 2 shown]
	s_delay_alu instid0(VALU_DEP_3) | instskip(NEXT) | instid1(VALU_DEP_3)
	v_bfe_u32 v33, v29, 29, 1
	v_cndmask_b32_e64 v31, v35, v31, s2
	s_delay_alu instid0(VALU_DEP_3) | instskip(NEXT) | instid1(VALU_DEP_3)
	v_alignbit_b32 v30, v29, v32, 30
	v_sub_nc_u32_e32 v34, 0, v33
	s_delay_alu instid0(VALU_DEP_3) | instskip(SKIP_1) | instid1(VALU_DEP_3)
	v_alignbit_b32 v32, v32, v31, 30
	v_alignbit_b32 v27, v31, v27, 30
	v_xor_b32_e32 v28, v30, v34
	v_cmp_ne_u32_e32 vcc_lo, v30, v34
	s_delay_alu instid0(VALU_DEP_4) | instskip(NEXT) | instid1(VALU_DEP_4)
	v_xor_b32_e32 v31, v32, v34
	v_xor_b32_e32 v27, v27, v34
	s_delay_alu instid0(VALU_DEP_4) | instskip(NEXT) | instid1(VALU_DEP_1)
	v_clz_i32_u32_e32 v36, v28
	v_add_nc_u32_e32 v35, 1, v36
	s_delay_alu instid0(VALU_DEP_1) | instskip(NEXT) | instid1(VALU_DEP_1)
	v_cndmask_b32_e32 v30, 33, v35, vcc_lo
	v_sub_nc_u32_e32 v32, 32, v30
	s_delay_alu instid0(VALU_DEP_1) | instskip(SKIP_3) | instid1(VALU_DEP_3)
	v_alignbit_b32 v28, v28, v31, v32
	v_alignbit_b32 v27, v31, v27, v32
	v_lshrrev_b32_e32 v31, 29, v29
	v_lshrrev_b32_e32 v29, 30, v29
	v_alignbit_b32 v32, v28, v27, 9
	s_delay_alu instid0(VALU_DEP_3) | instskip(SKIP_1) | instid1(VALU_DEP_3)
	v_lshlrev_b32_e32 v31, 31, v31
	v_alignbit_b32 v28, v30, v28, 9
	v_clz_i32_u32_e32 v34, v32
	s_delay_alu instid0(VALU_DEP_2) | instskip(SKIP_1) | instid1(VALU_DEP_3)
	v_or_b32_e32 v28, v28, v31
	v_or_b32_e32 v31, 0x33800000, v31
	v_min_u32_e32 v34, 32, v34
	s_delay_alu instid0(VALU_DEP_3) | instskip(NEXT) | instid1(VALU_DEP_2)
	v_xor_b32_e32 v28, 1.0, v28
	v_sub_nc_u32_e32 v35, 31, v34
	v_add_lshl_u32 v30, v34, v30, 23
	s_delay_alu instid0(VALU_DEP_3) | instskip(NEXT) | instid1(VALU_DEP_3)
	v_mul_f32_e32 v34, 0x3fc90fda, v28
	v_alignbit_b32 v27, v32, v27, v35
	s_delay_alu instid0(VALU_DEP_3) | instskip(NEXT) | instid1(VALU_DEP_3)
	v_sub_nc_u32_e32 v30, v31, v30
	v_fma_f32 v31, 0x3fc90fda, v28, -v34
	s_delay_alu instid0(VALU_DEP_3) | instskip(NEXT) | instid1(VALU_DEP_2)
	v_lshrrev_b32_e32 v27, 9, v27
	v_fmamk_f32 v28, v28, 0x33a22168, v31
	s_delay_alu instid0(VALU_DEP_2) | instskip(NEXT) | instid1(VALU_DEP_1)
	v_or_b32_e32 v27, v30, v27
                                        ; implicit-def: $vgpr30
	v_fmac_f32_e32 v28, 0x3fc90fda, v27
	s_delay_alu instid0(VALU_DEP_1)
	v_dual_add_f32 v27, v34, v28 :: v_dual_add_nc_u32 v28, v33, v29
	s_and_not1_saveexec_b32 s0, s3
	s_cbranch_execnz .LBB135_23
	s_branch .LBB135_24
.LBB135_22:
	s_and_not1_saveexec_b32 s0, s3
.LBB135_23:
	v_rndne_f32_e32 v28, v30
	s_delay_alu instid0(VALU_DEP_1) | instskip(NEXT) | instid1(VALU_DEP_1)
	v_fma_f32 v27, 0xbfc90fda, v28, |v9|
	v_fmamk_f32 v27, v28, 0xb3a22168, v27
	s_delay_alu instid0(VALU_DEP_1)
	v_fmamk_f32 v27, v28, 0xa7c234c4, v27
	v_cvt_i32_f32_e32 v28, v28
.LBB135_24:
	s_or_b32 exec_lo, exec_lo, s0
	s_waitcnt vmcnt(0) lgkmcnt(0)
	v_mul_f32_e32 v29, 0.5, v3
                                        ; implicit-def: $vgpr34
                                        ; implicit-def: $vgpr33
	s_mov_b32 s1, exec_lo
	s_delay_alu instid0(VALU_DEP_1)
	v_and_b32_e32 v31, 0x7fffffff, v29
	v_cmpx_ngt_f32_e64 0x48000000, |v29|
	s_xor_b32 s3, exec_lo, s1
	s_cbranch_execz .LBB135_26
; %bb.25:
	s_mov_b32 s0, 0x7fffff
	v_mov_b32_e32 v34, 0
	v_and_or_b32 v30, v31, s0, 0x800000
	v_lshrrev_b32_e32 v39, 23, v31
	s_delay_alu instid0(VALU_DEP_2) | instskip(NEXT) | instid1(VALU_DEP_2)
	v_mad_u64_u32 v[32:33], null, 0xfe5163ab, v30, 0
	v_add_nc_u32_e32 v48, 0xffffff88, v39
	s_delay_alu instid0(VALU_DEP_1) | instskip(NEXT) | instid1(VALU_DEP_3)
	v_cmp_lt_u32_e32 vcc_lo, 63, v48
	v_mad_u64_u32 v[35:36], null, 0x3c439041, v30, v[33:34]
	v_cndmask_b32_e64 v49, 0, 0xffffffc0, vcc_lo
	s_delay_alu instid0(VALU_DEP_2) | instskip(NEXT) | instid1(VALU_DEP_1)
	v_mov_b32_e32 v33, v36
	v_mad_u64_u32 v[36:37], null, 0xdb629599, v30, v[33:34]
	s_delay_alu instid0(VALU_DEP_1) | instskip(NEXT) | instid1(VALU_DEP_1)
	v_dual_mov_b32 v33, v37 :: v_dual_cndmask_b32 v32, v36, v32
	v_mad_u64_u32 v[37:38], null, 0xf534ddc0, v30, v[33:34]
	s_delay_alu instid0(VALU_DEP_1) | instskip(NEXT) | instid1(VALU_DEP_2)
	v_mov_b32_e32 v33, v38
	v_cndmask_b32_e32 v35, v37, v35, vcc_lo
	s_delay_alu instid0(VALU_DEP_2) | instskip(NEXT) | instid1(VALU_DEP_1)
	v_mad_u64_u32 v[38:39], null, 0xfc2757d1, v30, v[33:34]
	v_mov_b32_e32 v33, v39
	v_add_nc_u32_e32 v39, v49, v48
	s_delay_alu instid0(VALU_DEP_2) | instskip(NEXT) | instid1(VALU_DEP_2)
	v_mad_u64_u32 v[48:49], null, 0x4e441529, v30, v[33:34]
	v_cmp_lt_u32_e64 s0, 31, v39
	s_delay_alu instid0(VALU_DEP_1) | instskip(NEXT) | instid1(VALU_DEP_3)
	v_cndmask_b32_e64 v50, 0, 0xffffffe0, s0
	v_mov_b32_e32 v33, v49
	v_cndmask_b32_e64 v32, v35, v32, s0
	s_delay_alu instid0(VALU_DEP_3) | instskip(NEXT) | instid1(VALU_DEP_3)
	v_add_nc_u32_e32 v39, v50, v39
	v_mad_u64_u32 v[49:50], null, 0xa2f9836e, v30, v[33:34]
	s_delay_alu instid0(VALU_DEP_2) | instskip(NEXT) | instid1(VALU_DEP_2)
	v_cmp_lt_u32_e64 s1, 31, v39
	v_cndmask_b32_e32 v34, v49, v38, vcc_lo
	s_delay_alu instid0(VALU_DEP_2) | instskip(NEXT) | instid1(VALU_DEP_4)
	v_cndmask_b32_e64 v30, 0, 0xffffffe0, s1
	v_dual_cndmask_b32 v33, v48, v37 :: v_dual_cndmask_b32 v48, v50, v48
	v_cndmask_b32_e32 v38, v38, v36, vcc_lo
	s_delay_alu instid0(VALU_DEP_3) | instskip(NEXT) | instid1(VALU_DEP_3)
	v_add_nc_u32_e32 v30, v30, v39
	v_cndmask_b32_e64 v37, v34, v33, s0
	s_delay_alu instid0(VALU_DEP_4) | instskip(NEXT) | instid1(VALU_DEP_4)
	v_cndmask_b32_e64 v34, v48, v34, s0
	v_cndmask_b32_e64 v33, v33, v38, s0
	;; [unrolled: 1-line block ×3, first 2 shown]
	v_sub_nc_u32_e32 v39, 32, v30
	v_cmp_eq_u32_e64 s2, 0, v30
	v_cndmask_b32_e64 v34, v34, v37, s1
	v_cndmask_b32_e64 v37, v37, v33, s1
	v_cndmask_b32_e64 v33, v33, v38, s1
	v_cndmask_b32_e64 v32, v38, v32, s1
	s_delay_alu instid0(VALU_DEP_3) | instskip(NEXT) | instid1(VALU_DEP_3)
	v_alignbit_b32 v48, v34, v37, v39
	v_alignbit_b32 v49, v37, v33, v39
	s_delay_alu instid0(VALU_DEP_3) | instskip(NEXT) | instid1(VALU_DEP_3)
	v_alignbit_b32 v39, v33, v32, v39
	v_cndmask_b32_e64 v30, v48, v34, s2
	s_delay_alu instid0(VALU_DEP_3) | instskip(NEXT) | instid1(VALU_DEP_3)
	v_cndmask_b32_e64 v34, v49, v37, s2
	v_cndmask_b32_e64 v33, v39, v33, s2
	s_delay_alu instid0(VALU_DEP_3) | instskip(NEXT) | instid1(VALU_DEP_3)
	v_bfe_u32 v36, v30, 29, 1
	v_alignbit_b32 v35, v30, v34, 30
	s_delay_alu instid0(VALU_DEP_3) | instskip(SKIP_1) | instid1(VALU_DEP_4)
	v_alignbit_b32 v34, v34, v33, 30
	v_alignbit_b32 v32, v33, v32, 30
	v_sub_nc_u32_e32 v37, 0, v36
	s_delay_alu instid0(VALU_DEP_1) | instskip(SKIP_3) | instid1(VALU_DEP_4)
	v_xor_b32_e32 v38, v35, v37
	v_cmp_ne_u32_e32 vcc_lo, v35, v37
	v_xor_b32_e32 v33, v34, v37
	v_xor_b32_e32 v32, v32, v37
	v_clz_i32_u32_e32 v48, v38
	s_delay_alu instid0(VALU_DEP_1) | instskip(NEXT) | instid1(VALU_DEP_1)
	v_add_nc_u32_e32 v39, 1, v48
	v_cndmask_b32_e32 v35, 33, v39, vcc_lo
	s_delay_alu instid0(VALU_DEP_1) | instskip(NEXT) | instid1(VALU_DEP_1)
	v_sub_nc_u32_e32 v34, 32, v35
	v_alignbit_b32 v37, v38, v33, v34
	v_alignbit_b32 v32, v33, v32, v34
	v_lshrrev_b32_e32 v33, 29, v30
	v_lshrrev_b32_e32 v30, 30, v30
	s_delay_alu instid0(VALU_DEP_3) | instskip(NEXT) | instid1(VALU_DEP_3)
	v_alignbit_b32 v34, v37, v32, 9
	v_lshlrev_b32_e32 v33, 31, v33
	v_alignbit_b32 v37, v35, v37, 9
	s_delay_alu instid0(VALU_DEP_3) | instskip(NEXT) | instid1(VALU_DEP_2)
	v_clz_i32_u32_e32 v38, v34
	v_or_b32_e32 v37, v37, v33
	v_or_b32_e32 v33, 0x33800000, v33
	s_delay_alu instid0(VALU_DEP_3) | instskip(NEXT) | instid1(VALU_DEP_3)
	v_min_u32_e32 v38, 32, v38
	v_xor_b32_e32 v37, 1.0, v37
	s_delay_alu instid0(VALU_DEP_2) | instskip(SKIP_1) | instid1(VALU_DEP_3)
	v_sub_nc_u32_e32 v39, 31, v38
	v_add_lshl_u32 v35, v38, v35, 23
	v_mul_f32_e32 v38, 0x3fc90fda, v37
	s_delay_alu instid0(VALU_DEP_3) | instskip(NEXT) | instid1(VALU_DEP_3)
	v_alignbit_b32 v32, v34, v32, v39
	v_sub_nc_u32_e32 v33, v33, v35
	s_delay_alu instid0(VALU_DEP_3) | instskip(NEXT) | instid1(VALU_DEP_3)
	v_fma_f32 v34, 0x3fc90fda, v37, -v38
	v_lshrrev_b32_e32 v32, 9, v32
	s_delay_alu instid0(VALU_DEP_2) | instskip(NEXT) | instid1(VALU_DEP_2)
	v_fmamk_f32 v34, v37, 0x33a22168, v34
	v_or_b32_e32 v32, v33, v32
	s_delay_alu instid0(VALU_DEP_1) | instskip(NEXT) | instid1(VALU_DEP_1)
	v_fmac_f32_e32 v34, 0x3fc90fda, v32
	v_add_f32_e32 v33, v38, v34
	v_add_nc_u32_e32 v34, v36, v30
.LBB135_26:
	s_and_not1_saveexec_b32 s0, s3
; %bb.27:
	v_mul_f32_e64 v30, 0x3f22f983, |v29|
	s_delay_alu instid0(VALU_DEP_1) | instskip(NEXT) | instid1(VALU_DEP_1)
	v_rndne_f32_e32 v30, v30
	v_fma_f32 v32, 0xbfc90fda, v30, |v29|
	v_cvt_i32_f32_e32 v34, v30
	s_delay_alu instid0(VALU_DEP_2) | instskip(NEXT) | instid1(VALU_DEP_1)
	v_fmamk_f32 v32, v30, 0xb3a22168, v32
	v_fmamk_f32 v33, v30, 0xa7c234c4, v32
; %bb.28:
	s_or_b32 exec_lo, exec_lo, s0
	v_and_b32_e32 v37, 0x7fffffff, v3
	v_cmp_ngt_f32_e64 s3, 0x48000000, |v3|
                                        ; implicit-def: $vgpr49
                                        ; implicit-def: $vgpr39
	s_delay_alu instid0(VALU_DEP_2) | instskip(NEXT) | instid1(VALU_DEP_2)
	v_lshrrev_b32_e32 v30, 23, v37
	s_and_saveexec_b32 s0, s3
	s_delay_alu instid0(SALU_CYCLE_1)
	s_xor_b32 s6, exec_lo, s0
	s_cbranch_execz .LBB135_30
; %bb.29:
	s_mov_b32 s0, 0x7fffff
	s_delay_alu instid0(SALU_CYCLE_1) | instskip(NEXT) | instid1(VALU_DEP_1)
	v_and_or_b32 v32, v37, s0, 0x800000
	v_mad_u64_u32 v[35:36], null, 0xfe5163ab, v32, 0
	s_delay_alu instid0(VALU_DEP_1) | instskip(SKIP_1) | instid1(VALU_DEP_2)
	v_dual_mov_b32 v39, 0 :: v_dual_mov_b32 v38, v36
	v_add_nc_u32_e32 v36, 0xffffff88, v30
	v_mad_u64_u32 v[48:49], null, 0x3c439041, v32, v[38:39]
	s_delay_alu instid0(VALU_DEP_2) | instskip(SKIP_1) | instid1(VALU_DEP_3)
	v_cmp_lt_u32_e32 vcc_lo, 63, v36
	v_cndmask_b32_e64 v53, 0, 0xffffffc0, vcc_lo
	v_mov_b32_e32 v38, v49
	s_delay_alu instid0(VALU_DEP_2) | instskip(NEXT) | instid1(VALU_DEP_2)
	v_add_nc_u32_e32 v36, v53, v36
	v_mad_u64_u32 v[49:50], null, 0xdb629599, v32, v[38:39]
	s_delay_alu instid0(VALU_DEP_2) | instskip(NEXT) | instid1(VALU_DEP_2)
	v_cmp_lt_u32_e64 s0, 31, v36
	v_mov_b32_e32 v38, v50
	s_delay_alu instid0(VALU_DEP_2) | instskip(NEXT) | instid1(VALU_DEP_4)
	v_cndmask_b32_e64 v54, 0, 0xffffffe0, s0
	v_cndmask_b32_e32 v35, v49, v35, vcc_lo
	s_delay_alu instid0(VALU_DEP_3) | instskip(NEXT) | instid1(VALU_DEP_3)
	v_mad_u64_u32 v[50:51], null, 0xf534ddc0, v32, v[38:39]
	v_add_nc_u32_e32 v36, v54, v36
	s_delay_alu instid0(VALU_DEP_1) | instskip(NEXT) | instid1(VALU_DEP_3)
	v_cmp_lt_u32_e64 s1, 31, v36
	v_mov_b32_e32 v38, v51
	s_delay_alu instid0(VALU_DEP_1) | instskip(NEXT) | instid1(VALU_DEP_1)
	v_mad_u64_u32 v[51:52], null, 0xfc2757d1, v32, v[38:39]
	v_mov_b32_e32 v38, v52
	s_delay_alu instid0(VALU_DEP_1) | instskip(NEXT) | instid1(VALU_DEP_1)
	v_mad_u64_u32 v[52:53], null, 0x4e441529, v32, v[38:39]
	v_mov_b32_e32 v38, v53
	s_delay_alu instid0(VALU_DEP_1) | instskip(SKIP_1) | instid1(VALU_DEP_4)
	v_mad_u64_u32 v[53:54], null, 0xa2f9836e, v32, v[38:39]
	v_cndmask_b32_e64 v32, 0, 0xffffffe0, s1
	v_cndmask_b32_e32 v38, v52, v50, vcc_lo
	s_delay_alu instid0(VALU_DEP_2) | instskip(NEXT) | instid1(VALU_DEP_4)
	v_dual_cndmask_b32 v39, v53, v51 :: v_dual_add_nc_u32 v32, v32, v36
	v_dual_cndmask_b32 v52, v54, v52 :: v_dual_cndmask_b32 v51, v51, v49
	v_cndmask_b32_e32 v36, v50, v48, vcc_lo
	s_delay_alu instid0(VALU_DEP_3) | instskip(NEXT) | instid1(VALU_DEP_4)
	v_sub_nc_u32_e32 v50, 32, v32
	v_cndmask_b32_e64 v48, v39, v38, s0
	s_delay_alu instid0(VALU_DEP_4)
	v_cndmask_b32_e64 v39, v52, v39, s0
	v_cndmask_b32_e64 v38, v38, v51, s0
	v_cndmask_b32_e64 v51, v51, v36, s0
	v_cmp_eq_u32_e64 s2, 0, v32
	v_cndmask_b32_e64 v35, v36, v35, s0
	v_cndmask_b32_e64 v39, v39, v48, s1
	;; [unrolled: 1-line block ×4, first 2 shown]
	s_delay_alu instid0(VALU_DEP_4) | instskip(NEXT) | instid1(VALU_DEP_3)
	v_cndmask_b32_e64 v35, v51, v35, s1
	v_alignbit_b32 v52, v39, v48, v50
	s_delay_alu instid0(VALU_DEP_3) | instskip(NEXT) | instid1(VALU_DEP_3)
	v_alignbit_b32 v53, v48, v38, v50
	v_alignbit_b32 v50, v38, v35, v50
	s_delay_alu instid0(VALU_DEP_3) | instskip(NEXT) | instid1(VALU_DEP_3)
	v_cndmask_b32_e64 v32, v52, v39, s2
	v_cndmask_b32_e64 v39, v53, v48, s2
	s_delay_alu instid0(VALU_DEP_3) | instskip(NEXT) | instid1(VALU_DEP_3)
	v_cndmask_b32_e64 v38, v50, v38, s2
	v_bfe_u32 v48, v32, 29, 1
	s_delay_alu instid0(VALU_DEP_3) | instskip(NEXT) | instid1(VALU_DEP_3)
	v_alignbit_b32 v36, v32, v39, 30
	v_alignbit_b32 v39, v39, v38, 30
	v_alignbit_b32 v35, v38, v35, 30
	s_delay_alu instid0(VALU_DEP_4) | instskip(NEXT) | instid1(VALU_DEP_1)
	v_sub_nc_u32_e32 v49, 0, v48
	v_xor_b32_e32 v51, v36, v49
	v_cmp_ne_u32_e32 vcc_lo, v36, v49
	v_xor_b32_e32 v38, v39, v49
	v_xor_b32_e32 v35, v35, v49
	s_delay_alu instid0(VALU_DEP_4) | instskip(NEXT) | instid1(VALU_DEP_1)
	v_clz_i32_u32_e32 v52, v51
	v_add_nc_u32_e32 v50, 1, v52
	s_delay_alu instid0(VALU_DEP_1) | instskip(NEXT) | instid1(VALU_DEP_1)
	v_cndmask_b32_e32 v36, 33, v50, vcc_lo
	v_sub_nc_u32_e32 v39, 32, v36
	s_delay_alu instid0(VALU_DEP_1) | instskip(SKIP_3) | instid1(VALU_DEP_3)
	v_alignbit_b32 v49, v51, v38, v39
	v_alignbit_b32 v35, v38, v35, v39
	v_lshrrev_b32_e32 v38, 29, v32
	v_lshrrev_b32_e32 v32, 30, v32
	v_alignbit_b32 v39, v49, v35, 9
	s_delay_alu instid0(VALU_DEP_3) | instskip(SKIP_1) | instid1(VALU_DEP_3)
	v_lshlrev_b32_e32 v38, 31, v38
	v_alignbit_b32 v49, v36, v49, 9
	v_clz_i32_u32_e32 v50, v39
	s_delay_alu instid0(VALU_DEP_2) | instskip(SKIP_1) | instid1(VALU_DEP_3)
	v_or_b32_e32 v49, v49, v38
	v_or_b32_e32 v38, 0x33800000, v38
	v_min_u32_e32 v50, 32, v50
	s_delay_alu instid0(VALU_DEP_3) | instskip(NEXT) | instid1(VALU_DEP_2)
	v_xor_b32_e32 v49, 1.0, v49
	v_sub_nc_u32_e32 v51, 31, v50
	v_add_lshl_u32 v36, v50, v36, 23
	s_delay_alu instid0(VALU_DEP_3) | instskip(NEXT) | instid1(VALU_DEP_3)
	v_mul_f32_e32 v50, 0x3fc90fda, v49
	v_alignbit_b32 v35, v39, v35, v51
	s_delay_alu instid0(VALU_DEP_3) | instskip(NEXT) | instid1(VALU_DEP_3)
	v_sub_nc_u32_e32 v36, v38, v36
	v_fma_f32 v38, 0x3fc90fda, v49, -v50
	s_delay_alu instid0(VALU_DEP_3) | instskip(NEXT) | instid1(VALU_DEP_2)
	v_lshrrev_b32_e32 v35, 9, v35
	v_dual_fmamk_f32 v38, v49, 0x33a22168, v38 :: v_dual_add_nc_u32 v49, v48, v32
	s_delay_alu instid0(VALU_DEP_2) | instskip(NEXT) | instid1(VALU_DEP_1)
	v_or_b32_e32 v35, v36, v35
	v_fmac_f32_e32 v38, 0x3fc90fda, v35
	s_delay_alu instid0(VALU_DEP_1)
	v_add_f32_e32 v39, v50, v38
	s_or_saveexec_b32 s0, s6
	v_mul_f32_e64 v32, 0x3f22f983, |v3|
	s_xor_b32 exec_lo, exec_lo, s0
	s_branch .LBB135_31
.LBB135_30:
	s_or_saveexec_b32 s0, s6
	v_mul_f32_e64 v32, 0x3f22f983, |v3|
	s_xor_b32 exec_lo, exec_lo, s0
.LBB135_31:
	s_delay_alu instid0(VALU_DEP_1) | instskip(NEXT) | instid1(VALU_DEP_1)
	v_rndne_f32_e32 v35, v32
	v_fma_f32 v36, 0xbfc90fda, v35, |v3|
	v_cvt_i32_f32_e32 v49, v35
	s_delay_alu instid0(VALU_DEP_2) | instskip(NEXT) | instid1(VALU_DEP_1)
	v_fmamk_f32 v36, v35, 0xb3a22168, v36
	v_fmamk_f32 v39, v35, 0xa7c234c4, v36
; %bb.32:
	s_or_b32 exec_lo, exec_lo, s0
                                        ; implicit-def: $vgpr54
                                        ; implicit-def: $vgpr51
	s_and_saveexec_b32 s0, s3
	s_delay_alu instid0(SALU_CYCLE_1)
	s_xor_b32 s3, exec_lo, s0
	s_cbranch_execz .LBB135_34
; %bb.33:
	s_mov_b32 s0, 0x7fffff
	v_add_nc_u32_e32 v30, 0xffffff88, v30
	v_and_or_b32 v32, v37, s0, 0x800000
	s_delay_alu instid0(VALU_DEP_2) | instskip(NEXT) | instid1(VALU_DEP_2)
	v_cmp_lt_u32_e32 vcc_lo, 63, v30
	v_mad_u64_u32 v[35:36], null, 0xfe5163ab, v32, 0
	s_delay_alu instid0(VALU_DEP_1) | instskip(SKIP_1) | instid1(VALU_DEP_2)
	v_dual_mov_b32 v51, 0 :: v_dual_mov_b32 v50, v36
	v_cndmask_b32_e64 v36, 0, 0xffffffc0, vcc_lo
	v_mad_u64_u32 v[52:53], null, 0x3c439041, v32, v[50:51]
	s_delay_alu instid0(VALU_DEP_2) | instskip(NEXT) | instid1(VALU_DEP_1)
	v_add_nc_u32_e32 v30, v36, v30
	v_cmp_lt_u32_e64 s0, 31, v30
	s_delay_alu instid0(VALU_DEP_3) | instskip(NEXT) | instid1(VALU_DEP_2)
	v_mov_b32_e32 v50, v53
	v_cndmask_b32_e64 v36, 0, 0xffffffe0, s0
	s_delay_alu instid0(VALU_DEP_2) | instskip(NEXT) | instid1(VALU_DEP_2)
	v_mad_u64_u32 v[53:54], null, 0xdb629599, v32, v[50:51]
	v_add_nc_u32_e32 v30, v36, v30
	s_delay_alu instid0(VALU_DEP_2) | instskip(NEXT) | instid1(VALU_DEP_2)
	v_dual_mov_b32 v50, v54 :: v_dual_cndmask_b32 v35, v53, v35
	v_cmp_lt_u32_e64 s1, 31, v30
	s_delay_alu instid0(VALU_DEP_2) | instskip(NEXT) | instid1(VALU_DEP_1)
	v_mad_u64_u32 v[54:55], null, 0xf534ddc0, v32, v[50:51]
	v_mov_b32_e32 v50, v55
	s_delay_alu instid0(VALU_DEP_1) | instskip(NEXT) | instid1(VALU_DEP_1)
	v_mad_u64_u32 v[64:65], null, 0xfc2757d1, v32, v[50:51]
	v_mov_b32_e32 v50, v65
	s_delay_alu instid0(VALU_DEP_1) | instskip(NEXT) | instid1(VALU_DEP_1)
	v_mad_u64_u32 v[65:66], null, 0x4e441529, v32, v[50:51]
	v_mov_b32_e32 v50, v66
	s_delay_alu instid0(VALU_DEP_2) | instskip(NEXT) | instid1(VALU_DEP_2)
	v_cndmask_b32_e32 v36, v65, v54, vcc_lo
	v_mad_u64_u32 v[66:67], null, 0xa2f9836e, v32, v[50:51]
	v_cndmask_b32_e64 v32, 0, 0xffffffe0, s1
	v_cndmask_b32_e32 v50, v64, v53, vcc_lo
	s_delay_alu instid0(VALU_DEP_2) | instskip(NEXT) | instid1(VALU_DEP_4)
	v_add_nc_u32_e32 v30, v32, v30
	v_cndmask_b32_e32 v38, v66, v64, vcc_lo
	v_cndmask_b32_e32 v48, v67, v65, vcc_lo
	;; [unrolled: 1-line block ×3, first 2 shown]
	s_delay_alu instid0(VALU_DEP_4) | instskip(NEXT) | instid1(VALU_DEP_4)
	v_cmp_eq_u32_e64 s2, 0, v30
	v_cndmask_b32_e64 v51, v38, v36, s0
	s_delay_alu instid0(VALU_DEP_4)
	v_cndmask_b32_e64 v38, v48, v38, s0
	v_cndmask_b32_e64 v36, v36, v50, s0
	v_sub_nc_u32_e32 v48, 32, v30
	v_cndmask_b32_e64 v50, v50, v32, s0
	v_cndmask_b32_e64 v32, v32, v35, s0
	;; [unrolled: 1-line block ×4, first 2 shown]
	s_delay_alu instid0(VALU_DEP_4) | instskip(NEXT) | instid1(VALU_DEP_4)
	v_cndmask_b32_e64 v36, v36, v50, s1
	v_cndmask_b32_e64 v32, v50, v32, s1
	s_delay_alu instid0(VALU_DEP_3) | instskip(NEXT) | instid1(VALU_DEP_3)
	v_alignbit_b32 v52, v38, v51, v48
	v_alignbit_b32 v54, v51, v36, v48
	s_delay_alu instid0(VALU_DEP_3) | instskip(NEXT) | instid1(VALU_DEP_3)
	v_alignbit_b32 v48, v36, v32, v48
	v_cndmask_b32_e64 v30, v52, v38, s2
	s_delay_alu instid0(VALU_DEP_3) | instskip(NEXT) | instid1(VALU_DEP_3)
	v_cndmask_b32_e64 v38, v54, v51, s2
	v_cndmask_b32_e64 v36, v48, v36, s2
	s_delay_alu instid0(VALU_DEP_3) | instskip(NEXT) | instid1(VALU_DEP_3)
	v_bfe_u32 v52, v30, 29, 1
	v_alignbit_b32 v35, v30, v38, 30
	s_delay_alu instid0(VALU_DEP_3) | instskip(SKIP_1) | instid1(VALU_DEP_4)
	v_alignbit_b32 v38, v38, v36, 30
	v_alignbit_b32 v32, v36, v32, 30
	v_sub_nc_u32_e32 v51, 0, v52
	s_delay_alu instid0(VALU_DEP_1) | instskip(SKIP_3) | instid1(VALU_DEP_4)
	v_xor_b32_e32 v50, v35, v51
	v_cmp_ne_u32_e32 vcc_lo, v35, v51
	v_xor_b32_e32 v36, v38, v51
	v_xor_b32_e32 v32, v32, v51
	v_clz_i32_u32_e32 v53, v50
	s_delay_alu instid0(VALU_DEP_1) | instskip(NEXT) | instid1(VALU_DEP_1)
	v_add_nc_u32_e32 v48, 1, v53
	v_cndmask_b32_e32 v35, 33, v48, vcc_lo
	s_delay_alu instid0(VALU_DEP_1) | instskip(NEXT) | instid1(VALU_DEP_1)
	v_sub_nc_u32_e32 v38, 32, v35
	v_alignbit_b32 v48, v50, v36, v38
	v_alignbit_b32 v32, v36, v32, v38
	v_lshrrev_b32_e32 v36, 29, v30
	v_lshrrev_b32_e32 v30, 30, v30
	s_delay_alu instid0(VALU_DEP_3) | instskip(NEXT) | instid1(VALU_DEP_3)
	v_alignbit_b32 v38, v48, v32, 9
	v_lshlrev_b32_e32 v36, 31, v36
	v_alignbit_b32 v48, v35, v48, 9
	s_delay_alu instid0(VALU_DEP_4) | instskip(NEXT) | instid1(VALU_DEP_4)
	v_add_nc_u32_e32 v54, v52, v30
	v_clz_i32_u32_e32 v50, v38
	s_delay_alu instid0(VALU_DEP_3) | instskip(SKIP_1) | instid1(VALU_DEP_3)
	v_or_b32_e32 v48, v48, v36
	v_or_b32_e32 v36, 0x33800000, v36
	v_min_u32_e32 v50, 32, v50
	s_delay_alu instid0(VALU_DEP_3) | instskip(NEXT) | instid1(VALU_DEP_2)
	v_xor_b32_e32 v48, 1.0, v48
	v_sub_nc_u32_e32 v51, 31, v50
	v_add_lshl_u32 v35, v50, v35, 23
	s_delay_alu instid0(VALU_DEP_3) | instskip(NEXT) | instid1(VALU_DEP_3)
	v_mul_f32_e32 v50, 0x3fc90fda, v48
	v_alignbit_b32 v32, v38, v32, v51
	s_delay_alu instid0(VALU_DEP_3) | instskip(NEXT) | instid1(VALU_DEP_3)
	v_sub_nc_u32_e32 v35, v36, v35
	v_fma_f32 v36, 0x3fc90fda, v48, -v50
	s_delay_alu instid0(VALU_DEP_3) | instskip(NEXT) | instid1(VALU_DEP_2)
	v_lshrrev_b32_e32 v32, 9, v32
	v_fmamk_f32 v36, v48, 0x33a22168, v36
	s_delay_alu instid0(VALU_DEP_2) | instskip(NEXT) | instid1(VALU_DEP_1)
	v_or_b32_e32 v32, v35, v32
	v_fmac_f32_e32 v36, 0x3fc90fda, v32
                                        ; implicit-def: $vgpr32
	s_delay_alu instid0(VALU_DEP_1)
	v_add_f32_e32 v51, v50, v36
	s_and_not1_saveexec_b32 s0, s3
	s_cbranch_execnz .LBB135_35
	s_branch .LBB135_36
.LBB135_34:
	s_and_not1_saveexec_b32 s0, s3
.LBB135_35:
	v_rndne_f32_e32 v30, v32
	s_delay_alu instid0(VALU_DEP_1) | instskip(SKIP_1) | instid1(VALU_DEP_2)
	v_fma_f32 v32, 0xbfc90fda, v30, |v3|
	v_cvt_i32_f32_e32 v54, v30
	v_fmamk_f32 v32, v30, 0xb3a22168, v32
	s_delay_alu instid0(VALU_DEP_1)
	v_fmamk_f32 v51, v30, 0xa7c234c4, v32
.LBB135_36:
	s_or_b32 exec_lo, exec_lo, s0
	v_mul_f32_e32 v30, 0.5, v5
                                        ; implicit-def: $vgpr38
                                        ; implicit-def: $vgpr35
	s_mov_b32 s1, exec_lo
	s_delay_alu instid0(VALU_DEP_1)
	v_and_b32_e32 v32, 0x7fffffff, v30
	v_cmpx_ngt_f32_e64 0x48000000, |v30|
	s_xor_b32 s3, exec_lo, s1
	s_cbranch_execz .LBB135_38
; %bb.37:
	s_mov_b32 s0, 0x7fffff
	s_delay_alu instid0(SALU_CYCLE_1) | instskip(NEXT) | instid1(VALU_DEP_1)
	v_and_or_b32 v38, v32, s0, 0x800000
	v_mad_u64_u32 v[35:36], null, 0xfe5163ab, v38, 0
	s_delay_alu instid0(VALU_DEP_1) | instskip(SKIP_1) | instid1(VALU_DEP_2)
	v_dual_mov_b32 v53, 0 :: v_dual_mov_b32 v52, v36
	v_lshrrev_b32_e32 v36, 23, v32
	v_mad_u64_u32 v[64:65], null, 0x3c439041, v38, v[52:53]
	s_delay_alu instid0(VALU_DEP_2) | instskip(NEXT) | instid1(VALU_DEP_1)
	v_add_nc_u32_e32 v36, 0xffffff88, v36
	v_cmp_lt_u32_e32 vcc_lo, 63, v36
	s_delay_alu instid0(VALU_DEP_3) | instskip(SKIP_1) | instid1(VALU_DEP_2)
	v_mov_b32_e32 v52, v65
	v_cndmask_b32_e64 v48, 0, 0xffffffc0, vcc_lo
	v_mad_u64_u32 v[65:66], null, 0xdb629599, v38, v[52:53]
	s_delay_alu instid0(VALU_DEP_2) | instskip(NEXT) | instid1(VALU_DEP_2)
	v_add_nc_u32_e32 v36, v48, v36
	v_dual_mov_b32 v52, v66 :: v_dual_cndmask_b32 v35, v65, v35
	s_delay_alu instid0(VALU_DEP_2) | instskip(NEXT) | instid1(VALU_DEP_2)
	v_cmp_lt_u32_e64 s0, 31, v36
	v_mad_u64_u32 v[66:67], null, 0xf534ddc0, v38, v[52:53]
	s_delay_alu instid0(VALU_DEP_2) | instskip(NEXT) | instid1(VALU_DEP_1)
	v_cndmask_b32_e64 v48, 0, 0xffffffe0, s0
	v_add_nc_u32_e32 v36, v48, v36
	s_delay_alu instid0(VALU_DEP_3) | instskip(NEXT) | instid1(VALU_DEP_2)
	v_mov_b32_e32 v52, v67
	v_cmp_lt_u32_e64 s1, 31, v36
	s_delay_alu instid0(VALU_DEP_2) | instskip(NEXT) | instid1(VALU_DEP_1)
	v_mad_u64_u32 v[67:68], null, 0xfc2757d1, v38, v[52:53]
	v_mov_b32_e32 v52, v68
	s_delay_alu instid0(VALU_DEP_1) | instskip(NEXT) | instid1(VALU_DEP_1)
	v_mad_u64_u32 v[68:69], null, 0x4e441529, v38, v[52:53]
	v_mov_b32_e32 v52, v69
	s_delay_alu instid0(VALU_DEP_2) | instskip(NEXT) | instid1(VALU_DEP_2)
	v_cndmask_b32_e32 v48, v68, v66, vcc_lo
	v_mad_u64_u32 v[69:70], null, 0xa2f9836e, v38, v[52:53]
	v_cndmask_b32_e64 v38, 0, 0xffffffe0, s1
	s_delay_alu instid0(VALU_DEP_1) | instskip(NEXT) | instid1(VALU_DEP_3)
	v_dual_cndmask_b32 v53, v67, v65 :: v_dual_add_nc_u32 v36, v38, v36
	v_cndmask_b32_e32 v50, v69, v67, vcc_lo
	s_delay_alu instid0(VALU_DEP_4) | instskip(SKIP_1) | instid1(VALU_DEP_4)
	v_cndmask_b32_e32 v52, v70, v68, vcc_lo
	v_cndmask_b32_e32 v38, v66, v64, vcc_lo
	v_cmp_eq_u32_e64 s2, 0, v36
	s_delay_alu instid0(VALU_DEP_4) | instskip(NEXT) | instid1(VALU_DEP_4)
	v_cndmask_b32_e64 v55, v50, v48, s0
	v_cndmask_b32_e64 v50, v52, v50, s0
	;; [unrolled: 1-line block ×3, first 2 shown]
	v_sub_nc_u32_e32 v52, 32, v36
	v_cndmask_b32_e64 v53, v53, v38, s0
	v_cndmask_b32_e64 v35, v38, v35, s0
	;; [unrolled: 1-line block ×4, first 2 shown]
	s_delay_alu instid0(VALU_DEP_4) | instskip(NEXT) | instid1(VALU_DEP_4)
	v_cndmask_b32_e64 v48, v48, v53, s1
	v_cndmask_b32_e64 v35, v53, v35, s1
	s_delay_alu instid0(VALU_DEP_3) | instskip(NEXT) | instid1(VALU_DEP_3)
	v_alignbit_b32 v64, v50, v55, v52
	v_alignbit_b32 v66, v55, v48, v52
	s_delay_alu instid0(VALU_DEP_3) | instskip(NEXT) | instid1(VALU_DEP_3)
	v_alignbit_b32 v52, v48, v35, v52
	v_cndmask_b32_e64 v36, v64, v50, s2
	s_delay_alu instid0(VALU_DEP_3) | instskip(NEXT) | instid1(VALU_DEP_3)
	v_cndmask_b32_e64 v50, v66, v55, s2
	v_cndmask_b32_e64 v48, v52, v48, s2
	s_delay_alu instid0(VALU_DEP_3) | instskip(NEXT) | instid1(VALU_DEP_3)
	v_bfe_u32 v55, v36, 29, 1
	v_alignbit_b32 v38, v36, v50, 30
	s_delay_alu instid0(VALU_DEP_3) | instskip(SKIP_1) | instid1(VALU_DEP_4)
	v_alignbit_b32 v50, v50, v48, 30
	v_alignbit_b32 v35, v48, v35, 30
	v_sub_nc_u32_e32 v64, 0, v55
	s_delay_alu instid0(VALU_DEP_1) | instskip(SKIP_3) | instid1(VALU_DEP_4)
	v_xor_b32_e32 v53, v38, v64
	v_cmp_ne_u32_e32 vcc_lo, v38, v64
	v_xor_b32_e32 v48, v50, v64
	v_xor_b32_e32 v35, v35, v64
	v_clz_i32_u32_e32 v65, v53
	s_delay_alu instid0(VALU_DEP_1) | instskip(NEXT) | instid1(VALU_DEP_1)
	v_add_nc_u32_e32 v52, 1, v65
	v_cndmask_b32_e32 v38, 33, v52, vcc_lo
	s_delay_alu instid0(VALU_DEP_1) | instskip(NEXT) | instid1(VALU_DEP_1)
	v_sub_nc_u32_e32 v50, 32, v38
	v_alignbit_b32 v52, v53, v48, v50
	v_alignbit_b32 v35, v48, v35, v50
	v_lshrrev_b32_e32 v48, 29, v36
	v_lshrrev_b32_e32 v36, 30, v36
	s_delay_alu instid0(VALU_DEP_3) | instskip(NEXT) | instid1(VALU_DEP_3)
	v_alignbit_b32 v50, v52, v35, 9
	v_lshlrev_b32_e32 v48, 31, v48
	v_alignbit_b32 v52, v38, v52, 9
	s_delay_alu instid0(VALU_DEP_3) | instskip(NEXT) | instid1(VALU_DEP_2)
	v_clz_i32_u32_e32 v53, v50
	v_or_b32_e32 v52, v52, v48
	v_or_b32_e32 v48, 0x33800000, v48
	s_delay_alu instid0(VALU_DEP_3) | instskip(NEXT) | instid1(VALU_DEP_3)
	v_min_u32_e32 v53, 32, v53
	v_xor_b32_e32 v52, 1.0, v52
	s_delay_alu instid0(VALU_DEP_2) | instskip(SKIP_1) | instid1(VALU_DEP_3)
	v_sub_nc_u32_e32 v64, 31, v53
	v_add_lshl_u32 v38, v53, v38, 23
	v_mul_f32_e32 v53, 0x3fc90fda, v52
	s_delay_alu instid0(VALU_DEP_3) | instskip(NEXT) | instid1(VALU_DEP_3)
	v_alignbit_b32 v35, v50, v35, v64
	v_sub_nc_u32_e32 v38, v48, v38
	s_delay_alu instid0(VALU_DEP_3) | instskip(NEXT) | instid1(VALU_DEP_3)
	v_fma_f32 v48, 0x3fc90fda, v52, -v53
	v_lshrrev_b32_e32 v35, 9, v35
	s_delay_alu instid0(VALU_DEP_2) | instskip(NEXT) | instid1(VALU_DEP_2)
	v_fmamk_f32 v48, v52, 0x33a22168, v48
	v_or_b32_e32 v35, v38, v35
	v_add_nc_u32_e32 v38, v55, v36
	s_delay_alu instid0(VALU_DEP_2) | instskip(NEXT) | instid1(VALU_DEP_1)
	v_fmac_f32_e32 v48, 0x3fc90fda, v35
	v_add_f32_e32 v35, v53, v48
.LBB135_38:
	s_and_not1_saveexec_b32 s0, s3
; %bb.39:
	v_mul_f32_e64 v35, 0x3f22f983, |v30|
	s_delay_alu instid0(VALU_DEP_1) | instskip(NEXT) | instid1(VALU_DEP_1)
	v_rndne_f32_e32 v36, v35
	v_fma_f32 v35, 0xbfc90fda, v36, |v30|
	v_cvt_i32_f32_e32 v38, v36
	s_delay_alu instid0(VALU_DEP_2) | instskip(NEXT) | instid1(VALU_DEP_1)
	v_fmamk_f32 v35, v36, 0xb3a22168, v35
	v_fmamk_f32 v35, v36, 0xa7c234c4, v35
; %bb.40:
	s_or_b32 exec_lo, exec_lo, s0
	v_and_b32_e32 v36, 0x7fffffff, v5
	v_cmp_ngt_f32_e64 s3, 0x48000000, |v5|
                                        ; implicit-def: $vgpr50
                                        ; implicit-def: $vgpr48
	s_delay_alu instid0(VALU_DEP_2) | instskip(NEXT) | instid1(VALU_DEP_2)
	v_lshrrev_b32_e32 v55, 23, v36
	s_and_saveexec_b32 s0, s3
	s_delay_alu instid0(SALU_CYCLE_1)
	s_xor_b32 s6, exec_lo, s0
	s_cbranch_execz .LBB135_42
; %bb.41:
	s_mov_b32 s0, 0x7fffff
	v_add_nc_u32_e32 v50, 0xffffff88, v55
	v_and_or_b32 v48, v36, s0, 0x800000
	s_delay_alu instid0(VALU_DEP_2) | instskip(NEXT) | instid1(VALU_DEP_2)
	v_cmp_lt_u32_e32 vcc_lo, 63, v50
	v_mad_u64_u32 v[52:53], null, 0xfe5163ab, v48, 0
	s_delay_alu instid0(VALU_DEP_1) | instskip(SKIP_1) | instid1(VALU_DEP_2)
	v_dual_mov_b32 v65, 0 :: v_dual_mov_b32 v64, v53
	v_cndmask_b32_e64 v53, 0, 0xffffffc0, vcc_lo
	v_mad_u64_u32 v[66:67], null, 0x3c439041, v48, v[64:65]
	s_delay_alu instid0(VALU_DEP_2) | instskip(NEXT) | instid1(VALU_DEP_1)
	v_add_nc_u32_e32 v50, v53, v50
	v_cmp_lt_u32_e64 s0, 31, v50
	s_delay_alu instid0(VALU_DEP_3) | instskip(NEXT) | instid1(VALU_DEP_2)
	v_mov_b32_e32 v64, v67
	v_cndmask_b32_e64 v53, 0, 0xffffffe0, s0
	s_delay_alu instid0(VALU_DEP_2) | instskip(NEXT) | instid1(VALU_DEP_2)
	v_mad_u64_u32 v[67:68], null, 0xdb629599, v48, v[64:65]
	v_add_nc_u32_e32 v50, v53, v50
	s_delay_alu instid0(VALU_DEP_2) | instskip(NEXT) | instid1(VALU_DEP_2)
	v_mov_b32_e32 v64, v68
	v_cmp_lt_u32_e64 s1, 31, v50
	s_delay_alu instid0(VALU_DEP_4) | instskip(NEXT) | instid1(VALU_DEP_3)
	v_cndmask_b32_e32 v52, v67, v52, vcc_lo
	v_mad_u64_u32 v[68:69], null, 0xf534ddc0, v48, v[64:65]
	s_delay_alu instid0(VALU_DEP_1) | instskip(NEXT) | instid1(VALU_DEP_1)
	v_mov_b32_e32 v64, v69
	v_mad_u64_u32 v[69:70], null, 0xfc2757d1, v48, v[64:65]
	s_delay_alu instid0(VALU_DEP_1) | instskip(NEXT) | instid1(VALU_DEP_1)
	v_mov_b32_e32 v64, v70
	v_mad_u64_u32 v[70:71], null, 0x4e441529, v48, v[64:65]
	s_delay_alu instid0(VALU_DEP_1) | instskip(NEXT) | instid1(VALU_DEP_1)
	v_dual_mov_b32 v64, v71 :: v_dual_cndmask_b32 v53, v70, v68
	v_mad_u64_u32 v[80:81], null, 0xa2f9836e, v48, v[64:65]
	v_cndmask_b32_e64 v48, 0, 0xffffffe0, s1
	s_delay_alu instid0(VALU_DEP_1) | instskip(NEXT) | instid1(VALU_DEP_3)
	v_add_nc_u32_e32 v48, v48, v50
	v_dual_cndmask_b32 v64, v80, v69 :: v_dual_cndmask_b32 v65, v81, v70
	v_dual_cndmask_b32 v69, v69, v67 :: v_dual_cndmask_b32 v50, v68, v66
	s_delay_alu instid0(VALU_DEP_3) | instskip(NEXT) | instid1(VALU_DEP_3)
	v_cmp_eq_u32_e64 s2, 0, v48
	v_cndmask_b32_e64 v66, v64, v53, s0
	s_delay_alu instid0(VALU_DEP_4) | instskip(NEXT) | instid1(VALU_DEP_4)
	v_cndmask_b32_e64 v64, v65, v64, s0
	v_cndmask_b32_e64 v53, v53, v69, s0
	v_sub_nc_u32_e32 v65, 32, v48
	v_cndmask_b32_e64 v68, v69, v50, s0
	v_cndmask_b32_e64 v50, v50, v52, s0
	;; [unrolled: 1-line block ×4, first 2 shown]
	s_delay_alu instid0(VALU_DEP_4) | instskip(NEXT) | instid1(VALU_DEP_4)
	v_cndmask_b32_e64 v53, v53, v68, s1
	v_cndmask_b32_e64 v50, v68, v50, s1
	s_delay_alu instid0(VALU_DEP_3) | instskip(NEXT) | instid1(VALU_DEP_3)
	v_alignbit_b32 v69, v64, v66, v65
	v_alignbit_b32 v70, v66, v53, v65
	s_delay_alu instid0(VALU_DEP_3) | instskip(NEXT) | instid1(VALU_DEP_3)
	v_alignbit_b32 v65, v53, v50, v65
	v_cndmask_b32_e64 v48, v69, v64, s2
	s_delay_alu instid0(VALU_DEP_3) | instskip(NEXT) | instid1(VALU_DEP_3)
	v_cndmask_b32_e64 v64, v70, v66, s2
	v_cndmask_b32_e64 v53, v65, v53, s2
	s_delay_alu instid0(VALU_DEP_3) | instskip(NEXT) | instid1(VALU_DEP_3)
	v_bfe_u32 v66, v48, 29, 1
	v_alignbit_b32 v52, v48, v64, 30
	s_delay_alu instid0(VALU_DEP_3) | instskip(SKIP_1) | instid1(VALU_DEP_4)
	v_alignbit_b32 v64, v64, v53, 30
	v_alignbit_b32 v50, v53, v50, 30
	v_sub_nc_u32_e32 v67, 0, v66
	s_delay_alu instid0(VALU_DEP_1) | instskip(SKIP_3) | instid1(VALU_DEP_4)
	v_xor_b32_e32 v68, v52, v67
	v_cmp_ne_u32_e32 vcc_lo, v52, v67
	v_xor_b32_e32 v53, v64, v67
	v_xor_b32_e32 v50, v50, v67
	v_clz_i32_u32_e32 v69, v68
	s_delay_alu instid0(VALU_DEP_1) | instskip(NEXT) | instid1(VALU_DEP_1)
	v_add_nc_u32_e32 v65, 1, v69
	v_cndmask_b32_e32 v52, 33, v65, vcc_lo
	s_delay_alu instid0(VALU_DEP_1) | instskip(NEXT) | instid1(VALU_DEP_1)
	v_sub_nc_u32_e32 v64, 32, v52
	v_alignbit_b32 v65, v68, v53, v64
	v_alignbit_b32 v50, v53, v50, v64
	v_lshrrev_b32_e32 v53, 29, v48
	s_delay_alu instid0(VALU_DEP_2) | instskip(NEXT) | instid1(VALU_DEP_2)
	v_alignbit_b32 v64, v65, v50, 9
	v_lshlrev_b32_e32 v53, 31, v53
	v_alignbit_b32 v65, v52, v65, 9
	s_delay_alu instid0(VALU_DEP_3) | instskip(NEXT) | instid1(VALU_DEP_2)
	v_clz_i32_u32_e32 v67, v64
	v_or_b32_e32 v65, v65, v53
	v_or_b32_e32 v53, 0x33800000, v53
	s_delay_alu instid0(VALU_DEP_3) | instskip(NEXT) | instid1(VALU_DEP_3)
	v_min_u32_e32 v67, 32, v67
	v_xor_b32_e32 v65, 1.0, v65
	s_delay_alu instid0(VALU_DEP_2) | instskip(SKIP_1) | instid1(VALU_DEP_3)
	v_sub_nc_u32_e32 v68, 31, v67
	v_add_lshl_u32 v52, v67, v52, 23
	v_mul_f32_e32 v67, 0x3fc90fda, v65
	s_delay_alu instid0(VALU_DEP_3) | instskip(NEXT) | instid1(VALU_DEP_3)
	v_alignbit_b32 v50, v64, v50, v68
	v_sub_nc_u32_e32 v52, v53, v52
	s_delay_alu instid0(VALU_DEP_3) | instskip(NEXT) | instid1(VALU_DEP_3)
	v_fma_f32 v53, 0x3fc90fda, v65, -v67
	v_lshrrev_b32_e32 v50, 9, v50
	s_delay_alu instid0(VALU_DEP_2) | instskip(NEXT) | instid1(VALU_DEP_2)
	v_fmamk_f32 v53, v65, 0x33a22168, v53
	v_or_b32_e32 v50, v52, v50
	s_delay_alu instid0(VALU_DEP_1) | instskip(SKIP_1) | instid1(VALU_DEP_2)
	v_fmac_f32_e32 v53, 0x3fc90fda, v50
	v_lshrrev_b32_e32 v50, 30, v48
	v_add_f32_e32 v48, v67, v53
	s_delay_alu instid0(VALU_DEP_2)
	v_add_nc_u32_e32 v50, v66, v50
	s_or_saveexec_b32 s0, s6
	v_mul_f32_e64 v64, 0x3f22f983, |v5|
	s_xor_b32 exec_lo, exec_lo, s0
	s_branch .LBB135_43
.LBB135_42:
	s_or_saveexec_b32 s0, s6
	v_mul_f32_e64 v64, 0x3f22f983, |v5|
	s_xor_b32 exec_lo, exec_lo, s0
.LBB135_43:
	s_delay_alu instid0(VALU_DEP_1) | instskip(NEXT) | instid1(VALU_DEP_1)
	v_rndne_f32_e32 v50, v64
	v_fma_f32 v48, 0xbfc90fda, v50, |v5|
	s_delay_alu instid0(VALU_DEP_1) | instskip(NEXT) | instid1(VALU_DEP_1)
	v_fmamk_f32 v48, v50, 0xb3a22168, v48
	v_fmamk_f32 v48, v50, 0xa7c234c4, v48
	v_cvt_i32_f32_e32 v50, v50
; %bb.44:
	s_or_b32 exec_lo, exec_lo, s0
                                        ; implicit-def: $vgpr53
                                        ; implicit-def: $vgpr52
	s_and_saveexec_b32 s0, s3
	s_delay_alu instid0(SALU_CYCLE_1)
	s_xor_b32 s3, exec_lo, s0
	s_cbranch_execz .LBB135_46
; %bb.45:
	s_mov_b32 s0, 0x7fffff
	s_delay_alu instid0(SALU_CYCLE_1) | instskip(NEXT) | instid1(VALU_DEP_1)
	v_and_or_b32 v82, v36, s0, 0x800000
	v_mad_u64_u32 v[52:53], null, 0xfe5163ab, v82, 0
	s_delay_alu instid0(VALU_DEP_1) | instskip(SKIP_1) | instid1(VALU_DEP_2)
	v_dual_mov_b32 v65, 0 :: v_dual_mov_b32 v64, v53
	v_add_nc_u32_e32 v53, 0xffffff88, v55
	v_mad_u64_u32 v[66:67], null, 0x3c439041, v82, v[64:65]
	s_delay_alu instid0(VALU_DEP_2) | instskip(SKIP_1) | instid1(VALU_DEP_3)
	v_cmp_lt_u32_e32 vcc_lo, 63, v53
	v_cndmask_b32_e64 v55, 0, 0xffffffc0, vcc_lo
	v_mov_b32_e32 v64, v67
	s_delay_alu instid0(VALU_DEP_2) | instskip(NEXT) | instid1(VALU_DEP_2)
	v_add_nc_u32_e32 v53, v55, v53
	v_mad_u64_u32 v[67:68], null, 0xdb629599, v82, v[64:65]
	s_delay_alu instid0(VALU_DEP_2) | instskip(NEXT) | instid1(VALU_DEP_2)
	v_cmp_lt_u32_e64 s0, 31, v53
	v_mov_b32_e32 v64, v68
	s_delay_alu instid0(VALU_DEP_2) | instskip(NEXT) | instid1(VALU_DEP_4)
	v_cndmask_b32_e64 v55, 0, 0xffffffe0, s0
	v_cndmask_b32_e32 v52, v67, v52, vcc_lo
	s_delay_alu instid0(VALU_DEP_3) | instskip(NEXT) | instid1(VALU_DEP_3)
	v_mad_u64_u32 v[68:69], null, 0xf534ddc0, v82, v[64:65]
	v_add_nc_u32_e32 v53, v55, v53
	s_delay_alu instid0(VALU_DEP_1) | instskip(NEXT) | instid1(VALU_DEP_3)
	v_cmp_lt_u32_e64 s1, 31, v53
	v_mov_b32_e32 v64, v69
	s_delay_alu instid0(VALU_DEP_2) | instskip(NEXT) | instid1(VALU_DEP_2)
	v_cndmask_b32_e64 v55, 0, 0xffffffe0, s1
	v_mad_u64_u32 v[69:70], null, 0xfc2757d1, v82, v[64:65]
	s_delay_alu instid0(VALU_DEP_2) | instskip(NEXT) | instid1(VALU_DEP_2)
	v_add_nc_u32_e32 v53, v55, v53
	v_dual_cndmask_b32 v55, v68, v66 :: v_dual_mov_b32 v64, v70
	s_delay_alu instid0(VALU_DEP_2) | instskip(NEXT) | instid1(VALU_DEP_2)
	v_cmp_eq_u32_e64 s2, 0, v53
	v_cndmask_b32_e64 v52, v55, v52, s0
	s_delay_alu instid0(VALU_DEP_3) | instskip(NEXT) | instid1(VALU_DEP_1)
	v_mad_u64_u32 v[70:71], null, 0x4e441529, v82, v[64:65]
	v_mov_b32_e32 v64, v71
	s_delay_alu instid0(VALU_DEP_1) | instskip(NEXT) | instid1(VALU_DEP_3)
	v_mad_u64_u32 v[80:81], null, 0xa2f9836e, v82, v[64:65]
	v_cndmask_b32_e32 v64, v70, v68, vcc_lo
	v_sub_nc_u32_e32 v68, 32, v53
	s_delay_alu instid0(VALU_DEP_3) | instskip(SKIP_1) | instid1(VALU_DEP_2)
	v_dual_cndmask_b32 v65, v80, v69 :: v_dual_cndmask_b32 v70, v81, v70
	v_cndmask_b32_e32 v69, v69, v67, vcc_lo
	v_cndmask_b32_e64 v66, v65, v64, s0
	s_delay_alu instid0(VALU_DEP_3) | instskip(NEXT) | instid1(VALU_DEP_3)
	v_cndmask_b32_e64 v65, v70, v65, s0
	v_cndmask_b32_e64 v64, v64, v69, s0
	;; [unrolled: 1-line block ×3, first 2 shown]
	s_delay_alu instid0(VALU_DEP_3) | instskip(NEXT) | instid1(VALU_DEP_3)
	v_cndmask_b32_e64 v65, v65, v66, s1
	v_cndmask_b32_e64 v66, v66, v64, s1
	s_delay_alu instid0(VALU_DEP_3) | instskip(SKIP_1) | instid1(VALU_DEP_3)
	v_cndmask_b32_e64 v64, v64, v69, s1
	v_cndmask_b32_e64 v52, v69, v52, s1
	v_alignbit_b32 v70, v65, v66, v68
	s_delay_alu instid0(VALU_DEP_3) | instskip(NEXT) | instid1(VALU_DEP_3)
	v_alignbit_b32 v71, v66, v64, v68
	v_alignbit_b32 v68, v64, v52, v68
	s_delay_alu instid0(VALU_DEP_3) | instskip(NEXT) | instid1(VALU_DEP_3)
	v_cndmask_b32_e64 v53, v70, v65, s2
	v_cndmask_b32_e64 v65, v71, v66, s2
	s_delay_alu instid0(VALU_DEP_3) | instskip(NEXT) | instid1(VALU_DEP_3)
	v_cndmask_b32_e64 v64, v68, v64, s2
	v_bfe_u32 v66, v53, 29, 1
	s_delay_alu instid0(VALU_DEP_3) | instskip(NEXT) | instid1(VALU_DEP_3)
	v_alignbit_b32 v55, v53, v65, 30
	v_alignbit_b32 v65, v65, v64, 30
	;; [unrolled: 1-line block ×3, first 2 shown]
	s_delay_alu instid0(VALU_DEP_4) | instskip(NEXT) | instid1(VALU_DEP_1)
	v_sub_nc_u32_e32 v67, 0, v66
	v_xor_b32_e32 v69, v55, v67
	v_cmp_ne_u32_e32 vcc_lo, v55, v67
	v_xor_b32_e32 v64, v65, v67
	v_xor_b32_e32 v52, v52, v67
	s_delay_alu instid0(VALU_DEP_4) | instskip(NEXT) | instid1(VALU_DEP_1)
	v_clz_i32_u32_e32 v70, v69
	v_add_nc_u32_e32 v68, 1, v70
	s_delay_alu instid0(VALU_DEP_1) | instskip(NEXT) | instid1(VALU_DEP_1)
	v_cndmask_b32_e32 v55, 33, v68, vcc_lo
	v_sub_nc_u32_e32 v65, 32, v55
	s_delay_alu instid0(VALU_DEP_1) | instskip(SKIP_3) | instid1(VALU_DEP_3)
	v_alignbit_b32 v67, v69, v64, v65
	v_alignbit_b32 v52, v64, v52, v65
	v_lshrrev_b32_e32 v64, 29, v53
	v_lshrrev_b32_e32 v53, 30, v53
	v_alignbit_b32 v65, v67, v52, 9
	s_delay_alu instid0(VALU_DEP_3) | instskip(SKIP_1) | instid1(VALU_DEP_4)
	v_lshlrev_b32_e32 v64, 31, v64
	v_alignbit_b32 v67, v55, v67, 9
	v_add_nc_u32_e32 v53, v66, v53
	s_delay_alu instid0(VALU_DEP_4) | instskip(NEXT) | instid1(VALU_DEP_3)
	v_clz_i32_u32_e32 v68, v65
	v_or_b32_e32 v67, v67, v64
	v_or_b32_e32 v64, 0x33800000, v64
	s_delay_alu instid0(VALU_DEP_3) | instskip(NEXT) | instid1(VALU_DEP_3)
	v_min_u32_e32 v68, 32, v68
	v_xor_b32_e32 v67, 1.0, v67
	s_delay_alu instid0(VALU_DEP_2) | instskip(SKIP_1) | instid1(VALU_DEP_3)
	v_sub_nc_u32_e32 v69, 31, v68
	v_add_lshl_u32 v55, v68, v55, 23
	v_mul_f32_e32 v68, 0x3fc90fda, v67
	s_delay_alu instid0(VALU_DEP_3) | instskip(NEXT) | instid1(VALU_DEP_3)
	v_alignbit_b32 v52, v65, v52, v69
	v_sub_nc_u32_e32 v55, v64, v55
	s_delay_alu instid0(VALU_DEP_3) | instskip(NEXT) | instid1(VALU_DEP_3)
	v_fma_f32 v64, 0x3fc90fda, v67, -v68
	v_lshrrev_b32_e32 v52, 9, v52
	s_delay_alu instid0(VALU_DEP_2) | instskip(NEXT) | instid1(VALU_DEP_2)
	v_fmamk_f32 v64, v67, 0x33a22168, v64
	v_or_b32_e32 v52, v55, v52
	s_delay_alu instid0(VALU_DEP_1) | instskip(NEXT) | instid1(VALU_DEP_1)
	v_fmac_f32_e32 v64, 0x3fc90fda, v52
	v_add_f32_e32 v52, v68, v64
                                        ; implicit-def: $vgpr64
	s_and_not1_saveexec_b32 s0, s3
	s_cbranch_execnz .LBB135_47
	s_branch .LBB135_48
.LBB135_46:
	s_and_not1_saveexec_b32 s0, s3
.LBB135_47:
	v_rndne_f32_e32 v53, v64
	s_delay_alu instid0(VALU_DEP_1) | instskip(NEXT) | instid1(VALU_DEP_1)
	v_fma_f32 v52, 0xbfc90fda, v53, |v5|
	v_fmamk_f32 v52, v53, 0xb3a22168, v52
	s_delay_alu instid0(VALU_DEP_1)
	v_fmamk_f32 v52, v53, 0xa7c234c4, v52
	v_cvt_i32_f32_e32 v53, v53
.LBB135_48:
	s_or_b32 exec_lo, exec_lo, s0
	v_dual_mul_f32 v55, 0x3fb8aa3b, v2 :: v_dual_mul_f32 v70, v33, v33
	v_dual_mul_f32 v65, v51, v51 :: v_dual_lshlrev_b32 v64, 30, v54
	s_mov_b32 s2, 0xb94c1982
	s_delay_alu instid0(VALU_DEP_2)
	v_rndne_f32_e32 v66, v55
	v_lshlrev_b32_e32 v67, 30, v49
	v_fma_f32 v71, 0x3fb8aa3b, v2, -v55
	v_and_b32_e32 v64, 0x80000000, v64
	v_dual_fmaak_f32 v80, s2, v65, 0x3c0881c4 :: v_dual_fmaak_f32 v85, s2, v70, 0x3c0881c4
	v_fmamk_f32 v68, v66, 0xbf317218, v2
	v_cvt_i32_f32_e32 v87, v66
	v_cmp_eq_f32_e32 vcc_lo, 0x43000000, v66
	v_and_b32_e32 v49, 1, v49
	v_sub_f32_e32 v55, v55, v66
	v_fmac_f32_e32 v68, 0x3102e308, v66
	s_mov_b32 s3, 0x37d75334
	v_cndmask_b32_e64 v66, v87, 0x7f, vcc_lo
	s_mov_b32 s6, 0x395133b1
	v_dual_fmaak_f32 v81, s3, v65, 0xbab64f3b :: v_dual_fmaak_f32 v86, s3, v70, 0xbab64f3b
	v_xor_b32_e32 v37, v37, v64
	v_fmaak_f32 v64, v65, v80, 0xbe2aaa9d
	v_ldexp_f32 v66, 1.0, v66
	v_fmac_f32_e32 v71, 0x32a5705f, v2
	v_fmaak_f32 v82, s6, v68, 0x3ab69700
	s_delay_alu instid0(VALU_DEP_4) | instskip(NEXT) | instid1(VALU_DEP_3)
	v_dual_mul_f32 v64, v65, v64 :: v_dual_and_b32 v67, 0x80000000, v67
	v_dual_fmaak_f32 v80, v65, v81, 0x3d2aabf7 :: v_dual_add_f32 v55, v55, v71
	s_delay_alu instid0(VALU_DEP_3) | instskip(SKIP_1) | instid1(VALU_DEP_3)
	v_fmaak_f32 v82, v68, v82, 0x3c0887f9
	v_dual_mul_f32 v69, v39, v39 :: v_dual_and_b32 v54, 1, v54
	v_fmaak_f32 v80, v65, v80, 0xbf000004
	s_delay_alu instid0(VALU_DEP_3) | instskip(SKIP_1) | instid1(VALU_DEP_3)
	v_dual_fmac_f32 v51, v51, v64 :: v_dual_fmaak_f32 v82, v68, v82, 0x3d2aaa81
	v_exp_f32_e32 v55, v55
	v_fmaak_f32 v83, s3, v69, 0xbab64f3b
	s_delay_alu instid0(VALU_DEP_3) | instskip(SKIP_2) | instid1(VALU_DEP_4)
	v_fma_f32 v64, v65, v80, 1.0
	v_dual_add_f32 v80, -1.0, v66 :: v_dual_fmaak_f32 v65, v70, v85, 0xbe2aaa9d
	v_fmaak_f32 v82, v68, v82, 0x3e2aaaab
	v_fmaak_f32 v81, v69, v83, 0x3d2aabf7
	v_cmp_eq_u32_e64 s0, 0, v54
	v_fmaak_f32 v54, v70, v86, 0x3d2aabf7
	v_mul_f32_e32 v65, v70, v65
	v_fma_f32 v71, v68, v82, 0.5
	v_fmaak_f32 v84, s2, v69, 0x3c0881c4
	v_cndmask_b32_e64 v51, v64, v51, s0
	v_ldexp_f32 v55, v55, v87
	v_cmp_ngt_f32_e64 s0, 0xc2ce8ed0, v2
	v_mul_f32_e32 v71, v68, v71
	v_fmaak_f32 v83, v69, v84, 0xbe2aaa9d
	v_xor3_b32 v37, v37, v51, v3
	v_cmp_nlt_f32_e64 s1, 0x42b17218, v2
	v_cndmask_b32_e64 v51, 0, v55, s0
	v_fmac_f32_e32 v68, v68, v71
	v_cmp_class_f32_e64 s0, v3, 0x1f8
	v_xor_b32_e32 v31, v31, v29
	v_xor_b32_e32 v21, v21, v20
	;; [unrolled: 1-line block ×3, first 2 shown]
	v_fmac_f32_e32 v80, v66, v68
	v_fmaak_f32 v64, v69, v81, 0xbf000004
	v_cndmask_b32_e64 v3, 0x7fc00000, v37, s0
	v_cndmask_b32_e64 v37, 0x7f800000, v51, s1
	s_delay_alu instid0(VALU_DEP_4) | instskip(SKIP_1) | instid1(VALU_DEP_3)
	v_dual_fmaak_f32 v54, v70, v54, 0xbf000004 :: v_dual_add_f32 v55, v80, v80
	v_dual_fmac_f32 v33, v33, v65 :: v_dual_lshlrev_b32 v66, 30, v34
	v_dual_mul_f32 v3, v37, v3 :: v_dual_and_b32 v34, 1, v34
	s_delay_alu instid0(VALU_DEP_3) | instskip(SKIP_3) | instid1(VALU_DEP_4)
	v_cndmask_b32_e32 v55, v80, v55, vcc_lo
	v_cmp_nlt_f32_e32 vcc_lo, 0x42b17217, v2
	v_fma_f32 v54, v70, v54, 1.0
	v_dual_mul_f32 v51, v69, v83 :: v_dual_and_b32 v66, 0x80000000, v66
	v_cndmask_b32_e32 v37, 0x7f800000, v55, vcc_lo
	v_mul_f32_e32 v55, 0x3fb8aa3b, v8
	v_cmp_eq_u32_e32 vcc_lo, 0, v34
	s_delay_alu instid0(VALU_DEP_4) | instskip(NEXT) | instid1(VALU_DEP_3)
	v_fmac_f32_e32 v39, v39, v51
	v_rndne_f32_e32 v65, v55
	v_fma_f32 v68, 0x3fb8aa3b, v8, -v55
	v_cndmask_b32_e32 v33, v54, v33, vcc_lo
	v_cmp_eq_u32_e32 vcc_lo, 0, v49
	s_delay_alu instid0(VALU_DEP_3) | instskip(NEXT) | instid1(VALU_DEP_3)
	v_dual_mul_f32 v49, v27, v27 :: v_dual_fmac_f32 v68, 0x32a5705f, v8
	v_xor3_b32 v31, v31, v66, v33
	v_sub_f32_e32 v34, v55, v65
	v_fma_f32 v55, v69, v64, 1.0
	v_fmamk_f32 v54, v65, 0xbf317218, v8
	v_fmaak_f32 v51, s3, v49, 0xbab64f3b
	s_delay_alu instid0(VALU_DEP_4) | instskip(NEXT) | instid1(VALU_DEP_4)
	v_add_f32_e32 v33, v34, v68
	v_cndmask_b32_e64 v34, -v39, v55, vcc_lo
	v_cmp_class_f32_e64 vcc_lo, v29, 0x1f8
	v_fmac_f32_e32 v54, 0x3102e308, v65
	v_fmaak_f32 v51, v49, v51, 0x3d2aabf7
	v_exp_f32_e32 v33, v33
	v_xor_b32_e32 v34, v67, v34
	v_cndmask_b32_e32 v29, 0x7fc00000, v31, vcc_lo
	v_cmp_ngt_f32_e32 vcc_lo, 0xc1880000, v2
	v_fmaak_f32 v31, s6, v54, 0x3ab69700
	v_fmaak_f32 v51, v49, v51, 0xbf000004
	v_cndmask_b32_e64 v34, 0x7fc00000, v34, s0
	v_cvt_i32_f32_e32 v39, v65
	v_cndmask_b32_e32 v2, -1.0, v37, vcc_lo
	v_add_f32_e32 v37, v29, v29
	v_cmp_ngt_f32_e32 vcc_lo, 0xc2ce8ed0, v8
	s_delay_alu instid0(VALU_DEP_4) | instskip(NEXT) | instid1(VALU_DEP_3)
	v_ldexp_f32 v33, v33, v39
	v_mul_f32_e32 v29, v29, v37
	s_delay_alu instid0(VALU_DEP_1) | instskip(SKIP_3) | instid1(VALU_DEP_3)
	v_fma_f32 v2, v2, v34, -v29
	v_mul_f32_e32 v29, v22, v22
	v_lshlrev_b32_e32 v55, 30, v28
	v_and_b32_e32 v28, 1, v28
	v_fmaak_f32 v34, s2, v29, 0x3c0881c4
	s_delay_alu instid0(VALU_DEP_3) | instskip(NEXT) | instid1(VALU_DEP_3)
	v_and_b32_e32 v55, 0x80000000, v55
	v_cmp_eq_u32_e64 s0, 0, v28
	s_delay_alu instid0(VALU_DEP_3) | instskip(SKIP_1) | instid1(VALU_DEP_4)
	v_fmaak_f32 v34, v29, v34, 0xbe2aaa9d
	v_fmaak_f32 v31, v54, v31, 0x3c0887f9
	v_xor_b32_e32 v24, v24, v55
	s_delay_alu instid0(VALU_DEP_3) | instskip(NEXT) | instid1(VALU_DEP_1)
	v_dual_mul_f32 v34, v29, v34 :: v_dual_fmaak_f32 v37, s2, v49, 0x3c0881c4
	v_dual_fmac_f32 v22, v22, v34 :: v_dual_fmaak_f32 v37, v49, v37, 0xbe2aaa9d
	s_delay_alu instid0(VALU_DEP_1) | instskip(NEXT) | instid1(VALU_DEP_1)
	v_mul_f32_e32 v37, v49, v37
	v_fmac_f32_e32 v27, v27, v37
	v_fma_f32 v37, v49, v51, 1.0
	v_lshlrev_b32_e32 v49, 30, v23
	v_and_b32_e32 v23, 1, v23
	s_delay_alu instid0(VALU_DEP_3) | instskip(SKIP_2) | instid1(VALU_DEP_3)
	v_cndmask_b32_e64 v27, v37, v27, s0
	v_fmaak_f32 v37, s3, v29, 0xbab64f3b
	v_cmp_nlt_f32_e64 s0, 0x42b17218, v8
	v_xor3_b32 v24, v24, v27, v9
	s_delay_alu instid0(VALU_DEP_3) | instskip(SKIP_3) | instid1(VALU_DEP_4)
	v_fmaak_f32 v37, v29, v37, 0x3d2aabf7
	v_mul_f32_e32 v27, v25, v25
	v_cndmask_b32_e32 v33, 0, v33, vcc_lo
	v_cmp_eq_f32_e32 vcc_lo, 0x43000000, v65
	v_fmaak_f32 v37, v29, v37, 0xbf000004
	s_delay_alu instid0(VALU_DEP_3) | instskip(SKIP_2) | instid1(VALU_DEP_4)
	v_cndmask_b32_e64 v28, 0x7f800000, v33, s0
	v_cndmask_b32_e64 v39, v39, 0x7f, vcc_lo
	v_cmp_class_f32_e64 s0, v9, 0x1f8
	v_fma_f32 v29, v29, v37, 1.0
	v_fmaak_f32 v31, v54, v31, 0x3d2aaa81
	v_and_b32_e32 v37, 0x80000000, v49
	v_ldexp_f32 v39, 1.0, v39
	v_cndmask_b32_e64 v9, 0x7fc00000, v24, s0
	v_fmaak_f32 v24, s3, v27, 0xbab64f3b
	v_fmaak_f32 v31, v54, v31, 0x3e2aaaab
	s_delay_alu instid0(VALU_DEP_2) | instskip(NEXT) | instid1(VALU_DEP_2)
	v_dual_mul_f32 v9, v28, v9 :: v_dual_fmaak_f32 v24, v27, v24, 0x3d2aabf7
	v_fma_f32 v31, v54, v31, 0.5
	v_lshlrev_b32_e32 v28, 30, v19
	s_delay_alu instid0(VALU_DEP_3) | instskip(NEXT) | instid1(VALU_DEP_2)
	v_dual_fmaak_f32 v24, v27, v24, 0xbf000004 :: v_dual_and_b32 v19, 1, v19
	v_dual_mul_f32 v31, v54, v31 :: v_dual_and_b32 v28, 0x80000000, v28
	s_delay_alu instid0(VALU_DEP_2) | instskip(NEXT) | instid1(VALU_DEP_2)
	v_fma_f32 v24, v27, v24, 1.0
	v_fmac_f32_e32 v54, v54, v31
	v_add_f32_e32 v31, -1.0, v39
	s_delay_alu instid0(VALU_DEP_4) | instskip(NEXT) | instid1(VALU_DEP_2)
	v_xor_b32_e32 v15, v15, v28
	v_fmac_f32_e32 v31, v39, v54
	v_fmaak_f32 v39, s2, v27, 0x3c0881c4
	s_delay_alu instid0(VALU_DEP_2) | instskip(NEXT) | instid1(VALU_DEP_2)
	v_add_f32_e32 v33, v31, v31
	v_fmaak_f32 v39, v27, v39, 0xbe2aaa9d
	s_delay_alu instid0(VALU_DEP_2) | instskip(NEXT) | instid1(VALU_DEP_2)
	v_cndmask_b32_e32 v31, v31, v33, vcc_lo
	v_dual_mul_f32 v34, v27, v39 :: v_dual_lshlrev_b32 v33, 30, v26
	v_cmp_eq_u32_e32 vcc_lo, 0, v23
	v_and_b32_e32 v26, 1, v26
	v_mul_f32_e32 v23, 0x3fb8aa3b, v6
	s_delay_alu instid0(VALU_DEP_4) | instskip(SKIP_4) | instid1(VALU_DEP_3)
	v_and_b32_e32 v33, 0x80000000, v33
	v_fmac_f32_e32 v25, v25, v34
	v_cndmask_b32_e32 v22, v29, v22, vcc_lo
	v_cmp_eq_u32_e32 vcc_lo, 0, v26
	v_fma_f32 v27, 0x3fb8aa3b, v6, -v23
	v_xor3_b32 v21, v21, v37, v22
	v_rndne_f32_e32 v22, v23
	v_cndmask_b32_e64 v24, -v25, v24, vcc_lo
	v_cmp_class_f32_e64 vcc_lo, v20, 0x1f8
	v_fmac_f32_e32 v27, 0x32a5705f, v6
	s_delay_alu instid0(VALU_DEP_3) | instskip(SKIP_3) | instid1(VALU_DEP_4)
	v_xor_b32_e32 v24, v33, v24
	v_dual_cndmask_b32 v20, 0x7fc00000, v21 :: v_dual_sub_f32 v21, v23, v22
	v_fmamk_f32 v23, v22, 0xbf317218, v6
	v_cmp_nlt_f32_e32 vcc_lo, 0x42b17217, v8
	v_cndmask_b32_e64 v24, 0x7fc00000, v24, s0
	s_delay_alu instid0(VALU_DEP_4) | instskip(NEXT) | instid1(VALU_DEP_4)
	v_dual_add_f32 v26, v20, v20 :: v_dual_add_f32 v21, v21, v27
	v_fmac_f32_e32 v23, 0x3102e308, v22
	v_cndmask_b32_e32 v25, 0x7f800000, v31, vcc_lo
	v_cmp_ngt_f32_e32 vcc_lo, 0xc1880000, v8
	s_delay_alu instid0(VALU_DEP_4)
	v_mul_f32_e32 v20, v20, v26
	v_exp_f32_e32 v21, v21
	v_mul_f32_e32 v26, v18, v18
	v_cvt_i32_f32_e32 v27, v22
	v_cndmask_b32_e32 v8, -1.0, v25, vcc_lo
	v_fmaak_f32 v25, s6, v23, 0x3ab69700
	v_cmp_ngt_f32_e32 vcc_lo, 0xc2ce8ed0, v6
	v_cmp_eq_u32_e64 s0, 0, v19
	s_delay_alu instid0(VALU_DEP_4) | instskip(NEXT) | instid1(VALU_DEP_4)
	v_fma_f32 v8, v8, v24, -v20
	v_fmaak_f32 v25, v23, v25, 0x3c0887f9
	v_fmaak_f32 v20, s2, v26, 0x3c0881c4
	;; [unrolled: 1-line block ×3, first 2 shown]
	v_ldexp_f32 v21, v21, v27
	s_delay_alu instid0(VALU_DEP_4) | instskip(NEXT) | instid1(VALU_DEP_4)
	v_fmaak_f32 v25, v23, v25, 0x3d2aaa81
	v_fmaak_f32 v20, v26, v20, 0xbe2aaa9d
	s_delay_alu instid0(VALU_DEP_3) | instskip(SKIP_1) | instid1(VALU_DEP_3)
	v_dual_fmaak_f32 v24, v26, v24, 0x3d2aabf7 :: v_dual_cndmask_b32 v21, 0, v21
	v_cmp_eq_f32_e32 vcc_lo, 0x43000000, v22
	v_dual_fmaak_f32 v25, v23, v25, 0x3e2aaaab :: v_dual_mul_f32 v20, v26, v20
	s_delay_alu instid0(VALU_DEP_3) | instskip(SKIP_1) | instid1(VALU_DEP_3)
	v_fmaak_f32 v24, v26, v24, 0xbf000004
	v_cndmask_b32_e64 v22, v27, 0x7f, vcc_lo
	v_fma_f32 v25, v23, v25, 0.5
	s_delay_alu instid0(VALU_DEP_4) | instskip(NEXT) | instid1(VALU_DEP_4)
	v_fmac_f32_e32 v18, v18, v20
	v_fma_f32 v20, v26, v24, 1.0
	s_delay_alu instid0(VALU_DEP_4) | instskip(NEXT) | instid1(VALU_DEP_4)
	v_ldexp_f32 v22, 1.0, v22
	v_mul_f32_e32 v24, v23, v25
	s_delay_alu instid0(VALU_DEP_3) | instskip(NEXT) | instid1(VALU_DEP_3)
	v_cndmask_b32_e64 v18, v20, v18, s0
	v_dual_mul_f32 v20, 0x3fb8aa3b, v4 :: v_dual_add_f32 v19, -1.0, v22
	s_delay_alu instid0(VALU_DEP_3) | instskip(SKIP_1) | instid1(VALU_DEP_4)
	v_fmac_f32_e32 v23, v23, v24
	v_cmp_nlt_f32_e64 s0, 0x42b17218, v6
	v_xor3_b32 v15, v15, v18, v7
	v_mul_f32_e32 v18, v16, v16
	s_delay_alu instid0(VALU_DEP_4) | instskip(SKIP_2) | instid1(VALU_DEP_3)
	v_dual_fmac_f32 v19, v22, v23 :: v_dual_lshlrev_b32 v24, 30, v17
	v_rndne_f32_e32 v22, v20
	v_and_b32_e32 v17, 1, v17
	v_add_f32_e32 v23, v19, v19
	s_delay_alu instid0(VALU_DEP_3) | instskip(SKIP_1) | instid1(VALU_DEP_3)
	v_fmamk_f32 v25, v22, 0xbf317218, v4
	v_cvt_i32_f32_e32 v29, v22
	v_cndmask_b32_e32 v19, v19, v23, vcc_lo
	s_delay_alu instid0(VALU_DEP_3) | instskip(SKIP_2) | instid1(VALU_DEP_3)
	v_fmac_f32_e32 v25, 0x3102e308, v22
	v_fmaak_f32 v23, s2, v18, 0x3c0881c4
	v_cmp_eq_f32_e32 vcc_lo, 0x43000000, v22
	v_fmaak_f32 v26, s6, v25, 0x3ab69700
	s_delay_alu instid0(VALU_DEP_3) | instskip(NEXT) | instid1(VALU_DEP_2)
	v_fmaak_f32 v23, v18, v23, 0xbe2aaa9d
	v_fmaak_f32 v26, v25, v26, 0x3c0887f9
	s_delay_alu instid0(VALU_DEP_1) | instskip(SKIP_2) | instid1(VALU_DEP_3)
	v_fmaak_f32 v26, v25, v26, 0x3d2aaa81
	v_cndmask_b32_e64 v21, 0x7f800000, v21, s0
	v_cmp_class_f32_e64 s0, v7, 0x1f8
	v_fmaak_f32 v26, v25, v26, 0x3e2aaaab
	s_delay_alu instid0(VALU_DEP_2) | instskip(SKIP_1) | instid1(VALU_DEP_3)
	v_cndmask_b32_e64 v7, 0x7fc00000, v15, s0
	v_fmaak_f32 v15, s3, v18, 0xbab64f3b
	v_fma_f32 v26, v25, v26, 0.5
	s_delay_alu instid0(VALU_DEP_3) | instskip(SKIP_1) | instid1(VALU_DEP_4)
	v_mul_f32_e32 v7, v21, v7
	v_dual_mul_f32 v24, v13, v13 :: v_dual_and_b32 v21, 0x80000000, v24
	v_fmaak_f32 v15, v18, v15, 0x3d2aabf7
	s_delay_alu instid0(VALU_DEP_2) | instskip(SKIP_1) | instid1(VALU_DEP_3)
	v_fmaak_f32 v27, s2, v24, 0x3c0881c4
	v_fmaak_f32 v28, s3, v24, 0xbab64f3b
	;; [unrolled: 1-line block ×3, first 2 shown]
	s_delay_alu instid0(VALU_DEP_3) | instskip(NEXT) | instid1(VALU_DEP_3)
	v_fmaak_f32 v27, v24, v27, 0xbe2aaa9d
	v_fmaak_f32 v28, v24, v28, 0x3d2aabf7
	s_delay_alu instid0(VALU_DEP_3) | instskip(SKIP_1) | instid1(VALU_DEP_4)
	v_fma_f32 v15, v18, v15, 1.0
	v_dual_mul_f32 v18, v18, v23 :: v_dual_lshlrev_b32 v23, 30, v14
	v_mul_f32_e32 v27, v24, v27
	s_delay_alu instid0(VALU_DEP_4) | instskip(SKIP_1) | instid1(VALU_DEP_4)
	v_fmaak_f32 v28, v24, v28, 0xbf000004
	v_and_b32_e32 v14, 1, v14
	v_dual_fmac_f32 v16, v16, v18 :: v_dual_and_b32 v23, 0x80000000, v23
	s_delay_alu instid0(VALU_DEP_4) | instskip(NEXT) | instid1(VALU_DEP_4)
	v_fmac_f32_e32 v13, v13, v27
	v_fma_f32 v24, v24, v28, 1.0
	v_cndmask_b32_e64 v27, v29, 0x7f, vcc_lo
	v_cmp_eq_u32_e64 s1, 0, v14
	v_fma_f32 v28, 0x3fb8aa3b, v4, -v20
	v_mul_f32_e32 v14, v25, v26
	v_sub_f32_e32 v20, v20, v22
	v_and_b32_e32 v22, 1, v50
	v_cndmask_b32_e64 v13, v24, v13, s1
	v_ldexp_f32 v24, 1.0, v27
	v_cmp_eq_u32_e64 s1, 0, v17
	v_dual_fmac_f32 v28, 0x32a5705f, v4 :: v_dual_fmac_f32 v25, v25, v14
	s_delay_alu instid0(VALU_DEP_4) | instskip(NEXT) | instid1(VALU_DEP_4)
	v_xor3_b32 v12, v12, v23, v13
	v_add_f32_e32 v14, -1.0, v24
	s_delay_alu instid0(VALU_DEP_4) | instskip(SKIP_2) | instid1(VALU_DEP_4)
	v_cndmask_b32_e64 v15, -v16, v15, s1
	v_cmp_class_f32_e64 s1, v11, 0x1f8
	v_add_f32_e32 v13, v20, v28
	v_dual_fmac_f32 v14, v24, v25 :: v_dual_lshlrev_b32 v23, 30, v38
	v_and_b32_e32 v24, 1, v38
	s_delay_alu instid0(VALU_DEP_4) | instskip(SKIP_3) | instid1(VALU_DEP_3)
	v_cndmask_b32_e64 v11, 0x7fc00000, v12, s1
	v_cmp_nlt_f32_e64 s1, 0x42b17217, v6
	v_exp_f32_e32 v12, v13
	v_dual_add_f32 v16, v14, v14 :: v_dual_and_b32 v23, 0x80000000, v23
	v_add_f32_e32 v17, v11, v11
	s_delay_alu instid0(VALU_DEP_3) | instskip(SKIP_1) | instid1(VALU_DEP_3)
	v_cndmask_b32_e64 v13, 0x7f800000, v19, s1
	v_cmp_ngt_f32_e64 s1, 0xc1880000, v6
	v_mul_f32_e32 v11, v11, v17
	v_lshlrev_b32_e32 v17, 30, v50
	s_delay_alu instid0(VALU_DEP_3) | instskip(SKIP_4) | instid1(VALU_DEP_4)
	v_cndmask_b32_e64 v6, -1.0, v13, s1
	v_dual_cndmask_b32 v13, v14, v16 :: v_dual_mul_f32 v16, v35, v35
	v_cmp_nlt_f32_e32 vcc_lo, 0x42b17217, v4
	v_ldexp_f32 v12, v12, v29
	v_and_b32_e32 v17, 0x80000000, v17
	v_fmaak_f32 v19, s2, v16, 0x3c0881c4
	v_fmaak_f32 v20, s3, v16, 0xbab64f3b
	v_cndmask_b32_e32 v13, 0x7f800000, v13, vcc_lo
	v_cmp_ngt_f32_e32 vcc_lo, 0xc2ce8ed0, v4
	s_delay_alu instid0(VALU_DEP_4) | instskip(NEXT) | instid1(VALU_DEP_4)
	v_fmaak_f32 v19, v16, v19, 0xbe2aaa9d
	v_fmaak_f32 v20, v16, v20, 0x3d2aabf7
	v_cndmask_b32_e32 v12, 0, v12, vcc_lo
	v_cmp_ngt_f32_e32 vcc_lo, 0xc1880000, v4
	s_delay_alu instid0(VALU_DEP_4) | instskip(NEXT) | instid1(VALU_DEP_4)
	v_mul_f32_e32 v19, v16, v19
	v_dual_fmaak_f32 v20, v16, v20, 0xbf000004 :: v_dual_cndmask_b32 v13, -1.0, v13
	s_delay_alu instid0(VALU_DEP_2) | instskip(NEXT) | instid1(VALU_DEP_2)
	v_fmac_f32_e32 v35, v35, v19
	v_fma_f32 v16, v16, v20, 1.0
	v_cmp_eq_u32_e32 vcc_lo, 0, v24
	v_mul_f32_e32 v19, v52, v52
	v_xor_b32_e32 v20, v32, v30
	s_delay_alu instid0(VALU_DEP_4) | instskip(SKIP_1) | instid1(VALU_DEP_4)
	v_cndmask_b32_e32 v16, v16, v35, vcc_lo
	v_xor_b32_e32 v15, v21, v15
	v_fmaak_f32 v24, s2, v19, 0x3c0881c4
	v_fmaak_f32 v25, s3, v19, 0xbab64f3b
	v_cmp_eq_u32_e32 vcc_lo, 0, v22
	v_xor3_b32 v16, v20, v23, v16
	v_cndmask_b32_e64 v14, 0x7fc00000, v15, s0
	s_delay_alu instid0(VALU_DEP_4) | instskip(NEXT) | instid1(VALU_DEP_2)
	v_dual_mul_f32 v15, v48, v48 :: v_dual_fmaak_f32 v20, v19, v25, 0x3d2aabf7
	v_fma_f32 v6, v6, v14, -v11
	s_delay_alu instid0(VALU_DEP_2) | instskip(NEXT) | instid1(VALU_DEP_3)
	v_fmaak_f32 v18, s3, v15, 0xbab64f3b
	v_fmaak_f32 v20, v19, v20, 0xbf000004
	;; [unrolled: 1-line block ×3, first 2 shown]
	s_delay_alu instid0(VALU_DEP_3) | instskip(NEXT) | instid1(VALU_DEP_2)
	v_fmaak_f32 v18, v15, v18, 0x3d2aabf7
	v_fmaak_f32 v21, v15, v21, 0xbe2aaa9d
	s_delay_alu instid0(VALU_DEP_2) | instskip(NEXT) | instid1(VALU_DEP_2)
	v_fmaak_f32 v18, v15, v18, 0xbf000004
	v_mul_f32_e32 v21, v15, v21
	s_delay_alu instid0(VALU_DEP_2) | instskip(SKIP_1) | instid1(VALU_DEP_3)
	v_fma_f32 v15, v15, v18, 1.0
	v_fmaak_f32 v18, v19, v24, 0xbe2aaa9d
	v_fmac_f32_e32 v48, v48, v21
	s_delay_alu instid0(VALU_DEP_2) | instskip(NEXT) | instid1(VALU_DEP_2)
	v_mul_f32_e32 v18, v19, v18
	v_cndmask_b32_e64 v15, -v48, v15, vcc_lo
	v_cmp_class_f32_e64 vcc_lo, v30, 0x1f8
	s_delay_alu instid0(VALU_DEP_3) | instskip(NEXT) | instid1(VALU_DEP_3)
	v_fmac_f32_e32 v52, v52, v18
	v_xor_b32_e32 v15, v17, v15
	v_lshlrev_b32_e32 v17, 30, v53
	v_fma_f32 v18, v19, v20, 1.0
	v_dual_cndmask_b32 v16, 0x7fc00000, v16 :: v_dual_and_b32 v19, 1, v53
	v_cmp_class_f32_e64 vcc_lo, v5, 0x1f8
	s_delay_alu instid0(VALU_DEP_4) | instskip(NEXT) | instid1(VALU_DEP_3)
	v_and_b32_e32 v17, 0x80000000, v17
	v_cmp_eq_u32_e64 s0, 0, v19
	s_delay_alu instid0(VALU_DEP_4) | instskip(SKIP_1) | instid1(VALU_DEP_4)
	v_add_f32_e32 v21, v16, v16
	v_cndmask_b32_e32 v15, 0x7fc00000, v15, vcc_lo
	v_xor_b32_e32 v17, v36, v17
	s_delay_alu instid0(VALU_DEP_4) | instskip(SKIP_2) | instid1(VALU_DEP_3)
	v_cndmask_b32_e64 v18, v18, v52, s0
	v_cmp_nlt_f32_e64 s0, 0x42b17218, v4
	v_mul_f32_e32 v16, v16, v21
	v_xor3_b32 v5, v17, v18, v5
	s_delay_alu instid0(VALU_DEP_3) | instskip(SKIP_1) | instid1(VALU_DEP_1)
	v_cndmask_b32_e64 v11, 0x7f800000, v12, s0
	v_add_co_u32 v0, s0, v0, s4
	v_add_co_ci_u32_e64 v1, s0, s5, v1, s0
	s_delay_alu instid0(VALU_DEP_4) | instskip(NEXT) | instid1(VALU_DEP_3)
	v_cndmask_b32_e32 v5, 0x7fc00000, v5, vcc_lo
	v_add_co_u32 v0, vcc_lo, v0, v10
	s_delay_alu instid0(VALU_DEP_3) | instskip(SKIP_1) | instid1(VALU_DEP_4)
	v_add_co_ci_u32_e32 v1, vcc_lo, 0, v1, vcc_lo
	v_fma_f32 v4, v13, v15, -v16
	v_mul_f32_e32 v5, v11, v5
	s_clause 0x1
	flat_store_b128 v[0:1], v[6:9]
	flat_store_b128 v[0:1], v[2:5] offset:16
	s_waitcnt lgkmcnt(0)
	s_setpc_b64 s[30:31]
.Lfunc_end135:
	.size	_ZN2at6native25elementwise_kernel_helperILb0EZZZNS0_17expm1_kernel_cudaERNS_18TensorIteratorBaseEENKUlvE_clEvENKUlvE2_clEvEUlN3c107complexIfEEE_NS0_6memory8policies10vectorizedILi4ESt5arrayIPcLm2EELi4EEEEEvT0_T1_, .Lfunc_end135-_ZN2at6native25elementwise_kernel_helperILb0EZZZNS0_17expm1_kernel_cudaERNS_18TensorIteratorBaseEENKUlvE_clEvENKUlvE2_clEvEUlN3c107complexIfEEE_NS0_6memory8policies10vectorizedILi4ESt5arrayIPcLm2EELi4EEEEEvT0_T1_
                                        ; -- End function
	.section	.AMDGPU.csdata,"",@progbits
; Function info:
; codeLenInByte = 12544
; NumSgprs: 34
; NumVgprs: 88
; ScratchSize: 0
; MemoryBound: 0
	.section	.text._ZN2at6native29vectorized_elementwise_kernelILi16EZZZNS0_17expm1_kernel_cudaERNS_18TensorIteratorBaseEENKUlvE_clEvENKUlvE2_clEvEUlN3c107complexIfEEE_St5arrayIPcLm2EEEEviT0_T1_,"axG",@progbits,_ZN2at6native29vectorized_elementwise_kernelILi16EZZZNS0_17expm1_kernel_cudaERNS_18TensorIteratorBaseEENKUlvE_clEvENKUlvE2_clEvEUlN3c107complexIfEEE_St5arrayIPcLm2EEEEviT0_T1_,comdat
	.globl	_ZN2at6native29vectorized_elementwise_kernelILi16EZZZNS0_17expm1_kernel_cudaERNS_18TensorIteratorBaseEENKUlvE_clEvENKUlvE2_clEvEUlN3c107complexIfEEE_St5arrayIPcLm2EEEEviT0_T1_ ; -- Begin function _ZN2at6native29vectorized_elementwise_kernelILi16EZZZNS0_17expm1_kernel_cudaERNS_18TensorIteratorBaseEENKUlvE_clEvENKUlvE2_clEvEUlN3c107complexIfEEE_St5arrayIPcLm2EEEEviT0_T1_
	.p2align	8
	.type	_ZN2at6native29vectorized_elementwise_kernelILi16EZZZNS0_17expm1_kernel_cudaERNS_18TensorIteratorBaseEENKUlvE_clEvENKUlvE2_clEvEUlN3c107complexIfEEE_St5arrayIPcLm2EEEEviT0_T1_,@function
_ZN2at6native29vectorized_elementwise_kernelILi16EZZZNS0_17expm1_kernel_cudaERNS_18TensorIteratorBaseEENKUlvE_clEvENKUlvE2_clEvEUlN3c107complexIfEEE_St5arrayIPcLm2EEEEviT0_T1_: ; @_ZN2at6native29vectorized_elementwise_kernelILi16EZZZNS0_17expm1_kernel_cudaERNS_18TensorIteratorBaseEENKUlvE_clEvENKUlvE2_clEvEUlN3c107complexIfEEE_St5arrayIPcLm2EEEEviT0_T1_
; %bb.0:
	s_clause 0x1
	s_load_b32 s2, s[0:1], 0x0
	s_load_b128 s[8:11], s[0:1], 0x8
	s_lshl_b32 s0, s15, 10
	v_mov_b32_e32 v40, v0
	s_mov_b32 s12, s15
	s_mov_b32 s32, 0
	s_waitcnt lgkmcnt(0)
	s_sub_i32 s7, s2, s0
	s_mov_b32 s0, -1
	s_cmpk_gt_i32 s7, 0x3ff
	s_cbranch_scc1 .LBB136_3
; %bb.1:
	s_and_not1_b32 vcc_lo, exec_lo, s0
	s_cbranch_vccz .LBB136_4
.LBB136_2:
	s_endpgm
.LBB136_3:
	v_dual_mov_b32 v31, v40 :: v_dual_mov_b32 v0, s8
	v_dual_mov_b32 v1, s9 :: v_dual_mov_b32 v2, s10
	v_mov_b32_e32 v3, s11
	s_getpc_b64 s[0:1]
	s_add_u32 s0, s0, _ZN2at6native25elementwise_kernel_helperILb0EZZZNS0_17expm1_kernel_cudaERNS_18TensorIteratorBaseEENKUlvE_clEvENKUlvE2_clEvEUlN3c107complexIfEEE_NS0_6memory8policies10vectorizedILi4ESt5arrayIPcLm2EELi4EEEEEvT0_T1_@rel32@lo+4
	s_addc_u32 s1, s1, _ZN2at6native25elementwise_kernel_helperILb0EZZZNS0_17expm1_kernel_cudaERNS_18TensorIteratorBaseEENKUlvE_clEvENKUlvE2_clEvEUlN3c107complexIfEEE_NS0_6memory8policies10vectorizedILi4ESt5arrayIPcLm2EELi4EEEEEvT0_T1_@rel32@hi+12
	s_delay_alu instid0(SALU_CYCLE_1)
	s_swappc_b64 s[30:31], s[0:1]
	s_cbranch_execnz .LBB136_2
.LBB136_4:
	v_dual_mov_b32 v31, v40 :: v_dual_mov_b32 v0, s8
	v_dual_mov_b32 v1, s9 :: v_dual_mov_b32 v2, s10
	v_dual_mov_b32 v3, s11 :: v_dual_mov_b32 v4, s7
	s_getpc_b64 s[0:1]
	s_add_u32 s0, s0, _ZN2at6native25elementwise_kernel_helperILb0EZZZNS0_17expm1_kernel_cudaERNS_18TensorIteratorBaseEENKUlvE_clEvENKUlvE2_clEvEUlN3c107complexIfEEE_NS0_6memory8policies11unroll_baseILi256ESt5arrayIPcLm2EE23TrivialOffsetCalculatorILi1EjESH_NSA_15LoadWithoutCastENSA_16StoreWithoutCastELi4ELi1EEEEEvT0_T1_@rel32@lo+4
	s_addc_u32 s1, s1, _ZN2at6native25elementwise_kernel_helperILb0EZZZNS0_17expm1_kernel_cudaERNS_18TensorIteratorBaseEENKUlvE_clEvENKUlvE2_clEvEUlN3c107complexIfEEE_NS0_6memory8policies11unroll_baseILi256ESt5arrayIPcLm2EE23TrivialOffsetCalculatorILi1EjESH_NSA_15LoadWithoutCastENSA_16StoreWithoutCastELi4ELi1EEEEEvT0_T1_@rel32@hi+12
	s_delay_alu instid0(SALU_CYCLE_1)
	s_swappc_b64 s[30:31], s[0:1]
	s_endpgm
	.section	.rodata,"a",@progbits
	.p2align	6, 0x0
	.amdhsa_kernel _ZN2at6native29vectorized_elementwise_kernelILi16EZZZNS0_17expm1_kernel_cudaERNS_18TensorIteratorBaseEENKUlvE_clEvENKUlvE2_clEvEUlN3c107complexIfEEE_St5arrayIPcLm2EEEEviT0_T1_
		.amdhsa_group_segment_fixed_size 0
		.amdhsa_private_segment_fixed_size 0
		.amdhsa_kernarg_size 24
		.amdhsa_user_sgpr_count 15
		.amdhsa_user_sgpr_dispatch_ptr 0
		.amdhsa_user_sgpr_queue_ptr 0
		.amdhsa_user_sgpr_kernarg_segment_ptr 1
		.amdhsa_user_sgpr_dispatch_id 0
		.amdhsa_user_sgpr_private_segment_size 0
		.amdhsa_wavefront_size32 1
		.amdhsa_uses_dynamic_stack 0
		.amdhsa_enable_private_segment 0
		.amdhsa_system_sgpr_workgroup_id_x 1
		.amdhsa_system_sgpr_workgroup_id_y 0
		.amdhsa_system_sgpr_workgroup_id_z 0
		.amdhsa_system_sgpr_workgroup_info 0
		.amdhsa_system_vgpr_workitem_id 0
		.amdhsa_next_free_vgpr 88
		.amdhsa_next_free_sgpr 33
		.amdhsa_reserve_vcc 1
		.amdhsa_float_round_mode_32 0
		.amdhsa_float_round_mode_16_64 0
		.amdhsa_float_denorm_mode_32 3
		.amdhsa_float_denorm_mode_16_64 3
		.amdhsa_dx10_clamp 1
		.amdhsa_ieee_mode 1
		.amdhsa_fp16_overflow 0
		.amdhsa_workgroup_processor_mode 1
		.amdhsa_memory_ordered 1
		.amdhsa_forward_progress 0
		.amdhsa_shared_vgpr_count 0
		.amdhsa_exception_fp_ieee_invalid_op 0
		.amdhsa_exception_fp_denorm_src 0
		.amdhsa_exception_fp_ieee_div_zero 0
		.amdhsa_exception_fp_ieee_overflow 0
		.amdhsa_exception_fp_ieee_underflow 0
		.amdhsa_exception_fp_ieee_inexact 0
		.amdhsa_exception_int_div_zero 0
	.end_amdhsa_kernel
	.section	.text._ZN2at6native29vectorized_elementwise_kernelILi16EZZZNS0_17expm1_kernel_cudaERNS_18TensorIteratorBaseEENKUlvE_clEvENKUlvE2_clEvEUlN3c107complexIfEEE_St5arrayIPcLm2EEEEviT0_T1_,"axG",@progbits,_ZN2at6native29vectorized_elementwise_kernelILi16EZZZNS0_17expm1_kernel_cudaERNS_18TensorIteratorBaseEENKUlvE_clEvENKUlvE2_clEvEUlN3c107complexIfEEE_St5arrayIPcLm2EEEEviT0_T1_,comdat
.Lfunc_end136:
	.size	_ZN2at6native29vectorized_elementwise_kernelILi16EZZZNS0_17expm1_kernel_cudaERNS_18TensorIteratorBaseEENKUlvE_clEvENKUlvE2_clEvEUlN3c107complexIfEEE_St5arrayIPcLm2EEEEviT0_T1_, .Lfunc_end136-_ZN2at6native29vectorized_elementwise_kernelILi16EZZZNS0_17expm1_kernel_cudaERNS_18TensorIteratorBaseEENKUlvE_clEvENKUlvE2_clEvEUlN3c107complexIfEEE_St5arrayIPcLm2EEEEviT0_T1_
                                        ; -- End function
	.section	.AMDGPU.csdata,"",@progbits
; Kernel info:
; codeLenInByte = 176
; NumSgprs: 35
; NumVgprs: 88
; ScratchSize: 0
; MemoryBound: 0
; FloatMode: 240
; IeeeMode: 1
; LDSByteSize: 0 bytes/workgroup (compile time only)
; SGPRBlocks: 4
; VGPRBlocks: 10
; NumSGPRsForWavesPerEU: 35
; NumVGPRsForWavesPerEU: 88
; Occupancy: 16
; WaveLimiterHint : 0
; COMPUTE_PGM_RSRC2:SCRATCH_EN: 0
; COMPUTE_PGM_RSRC2:USER_SGPR: 15
; COMPUTE_PGM_RSRC2:TRAP_HANDLER: 0
; COMPUTE_PGM_RSRC2:TGID_X_EN: 1
; COMPUTE_PGM_RSRC2:TGID_Y_EN: 0
; COMPUTE_PGM_RSRC2:TGID_Z_EN: 0
; COMPUTE_PGM_RSRC2:TIDIG_COMP_CNT: 0
	.section	.text._ZN2at6native29vectorized_elementwise_kernelILi8EZZZNS0_17expm1_kernel_cudaERNS_18TensorIteratorBaseEENKUlvE_clEvENKUlvE2_clEvEUlN3c107complexIfEEE_St5arrayIPcLm2EEEEviT0_T1_,"axG",@progbits,_ZN2at6native29vectorized_elementwise_kernelILi8EZZZNS0_17expm1_kernel_cudaERNS_18TensorIteratorBaseEENKUlvE_clEvENKUlvE2_clEvEUlN3c107complexIfEEE_St5arrayIPcLm2EEEEviT0_T1_,comdat
	.globl	_ZN2at6native29vectorized_elementwise_kernelILi8EZZZNS0_17expm1_kernel_cudaERNS_18TensorIteratorBaseEENKUlvE_clEvENKUlvE2_clEvEUlN3c107complexIfEEE_St5arrayIPcLm2EEEEviT0_T1_ ; -- Begin function _ZN2at6native29vectorized_elementwise_kernelILi8EZZZNS0_17expm1_kernel_cudaERNS_18TensorIteratorBaseEENKUlvE_clEvENKUlvE2_clEvEUlN3c107complexIfEEE_St5arrayIPcLm2EEEEviT0_T1_
	.p2align	8
	.type	_ZN2at6native29vectorized_elementwise_kernelILi8EZZZNS0_17expm1_kernel_cudaERNS_18TensorIteratorBaseEENKUlvE_clEvENKUlvE2_clEvEUlN3c107complexIfEEE_St5arrayIPcLm2EEEEviT0_T1_,@function
_ZN2at6native29vectorized_elementwise_kernelILi8EZZZNS0_17expm1_kernel_cudaERNS_18TensorIteratorBaseEENKUlvE_clEvENKUlvE2_clEvEUlN3c107complexIfEEE_St5arrayIPcLm2EEEEviT0_T1_: ; @_ZN2at6native29vectorized_elementwise_kernelILi8EZZZNS0_17expm1_kernel_cudaERNS_18TensorIteratorBaseEENKUlvE_clEvENKUlvE2_clEvEUlN3c107complexIfEEE_St5arrayIPcLm2EEEEviT0_T1_
; %bb.0:
	s_clause 0x1
	s_load_b32 s2, s[0:1], 0x0
	s_load_b128 s[8:11], s[0:1], 0x8
	s_lshl_b32 s0, s15, 10
	v_mov_b32_e32 v40, v0
	s_mov_b32 s12, s15
	s_mov_b32 s32, 0
	s_waitcnt lgkmcnt(0)
	s_sub_i32 s7, s2, s0
	s_mov_b32 s0, -1
	s_cmpk_gt_i32 s7, 0x3ff
	s_cbranch_scc1 .LBB137_3
; %bb.1:
	s_and_not1_b32 vcc_lo, exec_lo, s0
	s_cbranch_vccz .LBB137_4
.LBB137_2:
	s_endpgm
.LBB137_3:
	v_dual_mov_b32 v31, v40 :: v_dual_mov_b32 v0, s8
	v_dual_mov_b32 v1, s9 :: v_dual_mov_b32 v2, s10
	v_mov_b32_e32 v3, s11
	s_getpc_b64 s[0:1]
	s_add_u32 s0, s0, _ZN2at6native25elementwise_kernel_helperILb0EZZZNS0_17expm1_kernel_cudaERNS_18TensorIteratorBaseEENKUlvE_clEvENKUlvE2_clEvEUlN3c107complexIfEEE_NS0_6memory8policies10vectorizedILi4ESt5arrayIPcLm2EELi4EEEEEvT0_T1_@rel32@lo+4
	s_addc_u32 s1, s1, _ZN2at6native25elementwise_kernel_helperILb0EZZZNS0_17expm1_kernel_cudaERNS_18TensorIteratorBaseEENKUlvE_clEvENKUlvE2_clEvEUlN3c107complexIfEEE_NS0_6memory8policies10vectorizedILi4ESt5arrayIPcLm2EELi4EEEEEvT0_T1_@rel32@hi+12
	s_delay_alu instid0(SALU_CYCLE_1)
	s_swappc_b64 s[30:31], s[0:1]
	s_cbranch_execnz .LBB137_2
.LBB137_4:
	v_dual_mov_b32 v31, v40 :: v_dual_mov_b32 v0, s8
	v_dual_mov_b32 v1, s9 :: v_dual_mov_b32 v2, s10
	;; [unrolled: 1-line block ×3, first 2 shown]
	s_getpc_b64 s[0:1]
	s_add_u32 s0, s0, _ZN2at6native25elementwise_kernel_helperILb0EZZZNS0_17expm1_kernel_cudaERNS_18TensorIteratorBaseEENKUlvE_clEvENKUlvE2_clEvEUlN3c107complexIfEEE_NS0_6memory8policies11unroll_baseILi256ESt5arrayIPcLm2EE23TrivialOffsetCalculatorILi1EjESH_NSA_15LoadWithoutCastENSA_16StoreWithoutCastELi4ELi1EEEEEvT0_T1_@rel32@lo+4
	s_addc_u32 s1, s1, _ZN2at6native25elementwise_kernel_helperILb0EZZZNS0_17expm1_kernel_cudaERNS_18TensorIteratorBaseEENKUlvE_clEvENKUlvE2_clEvEUlN3c107complexIfEEE_NS0_6memory8policies11unroll_baseILi256ESt5arrayIPcLm2EE23TrivialOffsetCalculatorILi1EjESH_NSA_15LoadWithoutCastENSA_16StoreWithoutCastELi4ELi1EEEEEvT0_T1_@rel32@hi+12
	s_delay_alu instid0(SALU_CYCLE_1)
	s_swappc_b64 s[30:31], s[0:1]
	s_endpgm
	.section	.rodata,"a",@progbits
	.p2align	6, 0x0
	.amdhsa_kernel _ZN2at6native29vectorized_elementwise_kernelILi8EZZZNS0_17expm1_kernel_cudaERNS_18TensorIteratorBaseEENKUlvE_clEvENKUlvE2_clEvEUlN3c107complexIfEEE_St5arrayIPcLm2EEEEviT0_T1_
		.amdhsa_group_segment_fixed_size 0
		.amdhsa_private_segment_fixed_size 0
		.amdhsa_kernarg_size 24
		.amdhsa_user_sgpr_count 15
		.amdhsa_user_sgpr_dispatch_ptr 0
		.amdhsa_user_sgpr_queue_ptr 0
		.amdhsa_user_sgpr_kernarg_segment_ptr 1
		.amdhsa_user_sgpr_dispatch_id 0
		.amdhsa_user_sgpr_private_segment_size 0
		.amdhsa_wavefront_size32 1
		.amdhsa_uses_dynamic_stack 0
		.amdhsa_enable_private_segment 0
		.amdhsa_system_sgpr_workgroup_id_x 1
		.amdhsa_system_sgpr_workgroup_id_y 0
		.amdhsa_system_sgpr_workgroup_id_z 0
		.amdhsa_system_sgpr_workgroup_info 0
		.amdhsa_system_vgpr_workitem_id 0
		.amdhsa_next_free_vgpr 88
		.amdhsa_next_free_sgpr 33
		.amdhsa_reserve_vcc 1
		.amdhsa_float_round_mode_32 0
		.amdhsa_float_round_mode_16_64 0
		.amdhsa_float_denorm_mode_32 3
		.amdhsa_float_denorm_mode_16_64 3
		.amdhsa_dx10_clamp 1
		.amdhsa_ieee_mode 1
		.amdhsa_fp16_overflow 0
		.amdhsa_workgroup_processor_mode 1
		.amdhsa_memory_ordered 1
		.amdhsa_forward_progress 0
		.amdhsa_shared_vgpr_count 0
		.amdhsa_exception_fp_ieee_invalid_op 0
		.amdhsa_exception_fp_denorm_src 0
		.amdhsa_exception_fp_ieee_div_zero 0
		.amdhsa_exception_fp_ieee_overflow 0
		.amdhsa_exception_fp_ieee_underflow 0
		.amdhsa_exception_fp_ieee_inexact 0
		.amdhsa_exception_int_div_zero 0
	.end_amdhsa_kernel
	.section	.text._ZN2at6native29vectorized_elementwise_kernelILi8EZZZNS0_17expm1_kernel_cudaERNS_18TensorIteratorBaseEENKUlvE_clEvENKUlvE2_clEvEUlN3c107complexIfEEE_St5arrayIPcLm2EEEEviT0_T1_,"axG",@progbits,_ZN2at6native29vectorized_elementwise_kernelILi8EZZZNS0_17expm1_kernel_cudaERNS_18TensorIteratorBaseEENKUlvE_clEvENKUlvE2_clEvEUlN3c107complexIfEEE_St5arrayIPcLm2EEEEviT0_T1_,comdat
.Lfunc_end137:
	.size	_ZN2at6native29vectorized_elementwise_kernelILi8EZZZNS0_17expm1_kernel_cudaERNS_18TensorIteratorBaseEENKUlvE_clEvENKUlvE2_clEvEUlN3c107complexIfEEE_St5arrayIPcLm2EEEEviT0_T1_, .Lfunc_end137-_ZN2at6native29vectorized_elementwise_kernelILi8EZZZNS0_17expm1_kernel_cudaERNS_18TensorIteratorBaseEENKUlvE_clEvENKUlvE2_clEvEUlN3c107complexIfEEE_St5arrayIPcLm2EEEEviT0_T1_
                                        ; -- End function
	.section	.AMDGPU.csdata,"",@progbits
; Kernel info:
; codeLenInByte = 176
; NumSgprs: 35
; NumVgprs: 88
; ScratchSize: 0
; MemoryBound: 0
; FloatMode: 240
; IeeeMode: 1
; LDSByteSize: 0 bytes/workgroup (compile time only)
; SGPRBlocks: 4
; VGPRBlocks: 10
; NumSGPRsForWavesPerEU: 35
; NumVGPRsForWavesPerEU: 88
; Occupancy: 16
; WaveLimiterHint : 0
; COMPUTE_PGM_RSRC2:SCRATCH_EN: 0
; COMPUTE_PGM_RSRC2:USER_SGPR: 15
; COMPUTE_PGM_RSRC2:TRAP_HANDLER: 0
; COMPUTE_PGM_RSRC2:TGID_X_EN: 1
; COMPUTE_PGM_RSRC2:TGID_Y_EN: 0
; COMPUTE_PGM_RSRC2:TGID_Z_EN: 0
; COMPUTE_PGM_RSRC2:TIDIG_COMP_CNT: 0
	.section	.text._ZN2at6native29vectorized_elementwise_kernelILi4EZZZNS0_17expm1_kernel_cudaERNS_18TensorIteratorBaseEENKUlvE_clEvENKUlvE2_clEvEUlN3c107complexIfEEE_St5arrayIPcLm2EEEEviT0_T1_,"axG",@progbits,_ZN2at6native29vectorized_elementwise_kernelILi4EZZZNS0_17expm1_kernel_cudaERNS_18TensorIteratorBaseEENKUlvE_clEvENKUlvE2_clEvEUlN3c107complexIfEEE_St5arrayIPcLm2EEEEviT0_T1_,comdat
	.globl	_ZN2at6native29vectorized_elementwise_kernelILi4EZZZNS0_17expm1_kernel_cudaERNS_18TensorIteratorBaseEENKUlvE_clEvENKUlvE2_clEvEUlN3c107complexIfEEE_St5arrayIPcLm2EEEEviT0_T1_ ; -- Begin function _ZN2at6native29vectorized_elementwise_kernelILi4EZZZNS0_17expm1_kernel_cudaERNS_18TensorIteratorBaseEENKUlvE_clEvENKUlvE2_clEvEUlN3c107complexIfEEE_St5arrayIPcLm2EEEEviT0_T1_
	.p2align	8
	.type	_ZN2at6native29vectorized_elementwise_kernelILi4EZZZNS0_17expm1_kernel_cudaERNS_18TensorIteratorBaseEENKUlvE_clEvENKUlvE2_clEvEUlN3c107complexIfEEE_St5arrayIPcLm2EEEEviT0_T1_,@function
_ZN2at6native29vectorized_elementwise_kernelILi4EZZZNS0_17expm1_kernel_cudaERNS_18TensorIteratorBaseEENKUlvE_clEvENKUlvE2_clEvEUlN3c107complexIfEEE_St5arrayIPcLm2EEEEviT0_T1_: ; @_ZN2at6native29vectorized_elementwise_kernelILi4EZZZNS0_17expm1_kernel_cudaERNS_18TensorIteratorBaseEENKUlvE_clEvENKUlvE2_clEvEUlN3c107complexIfEEE_St5arrayIPcLm2EEEEviT0_T1_
; %bb.0:
	s_clause 0x1
	s_load_b32 s2, s[0:1], 0x0
	s_load_b128 s[8:11], s[0:1], 0x8
	s_lshl_b32 s0, s15, 10
	v_mov_b32_e32 v40, v0
	s_mov_b32 s12, s15
	s_mov_b32 s32, 0
	s_waitcnt lgkmcnt(0)
	s_sub_i32 s7, s2, s0
	s_mov_b32 s0, -1
	s_cmpk_gt_i32 s7, 0x3ff
	s_cbranch_scc1 .LBB138_3
; %bb.1:
	s_and_not1_b32 vcc_lo, exec_lo, s0
	s_cbranch_vccz .LBB138_4
.LBB138_2:
	s_endpgm
.LBB138_3:
	v_dual_mov_b32 v31, v40 :: v_dual_mov_b32 v0, s8
	v_dual_mov_b32 v1, s9 :: v_dual_mov_b32 v2, s10
	v_mov_b32_e32 v3, s11
	s_getpc_b64 s[0:1]
	s_add_u32 s0, s0, _ZN2at6native25elementwise_kernel_helperILb0EZZZNS0_17expm1_kernel_cudaERNS_18TensorIteratorBaseEENKUlvE_clEvENKUlvE2_clEvEUlN3c107complexIfEEE_NS0_6memory8policies10vectorizedILi4ESt5arrayIPcLm2EELi4EEEEEvT0_T1_@rel32@lo+4
	s_addc_u32 s1, s1, _ZN2at6native25elementwise_kernel_helperILb0EZZZNS0_17expm1_kernel_cudaERNS_18TensorIteratorBaseEENKUlvE_clEvENKUlvE2_clEvEUlN3c107complexIfEEE_NS0_6memory8policies10vectorizedILi4ESt5arrayIPcLm2EELi4EEEEEvT0_T1_@rel32@hi+12
	s_delay_alu instid0(SALU_CYCLE_1)
	s_swappc_b64 s[30:31], s[0:1]
	s_cbranch_execnz .LBB138_2
.LBB138_4:
	v_dual_mov_b32 v31, v40 :: v_dual_mov_b32 v0, s8
	v_dual_mov_b32 v1, s9 :: v_dual_mov_b32 v2, s10
	;; [unrolled: 1-line block ×3, first 2 shown]
	s_getpc_b64 s[0:1]
	s_add_u32 s0, s0, _ZN2at6native25elementwise_kernel_helperILb0EZZZNS0_17expm1_kernel_cudaERNS_18TensorIteratorBaseEENKUlvE_clEvENKUlvE2_clEvEUlN3c107complexIfEEE_NS0_6memory8policies11unroll_baseILi256ESt5arrayIPcLm2EE23TrivialOffsetCalculatorILi1EjESH_NSA_15LoadWithoutCastENSA_16StoreWithoutCastELi4ELi1EEEEEvT0_T1_@rel32@lo+4
	s_addc_u32 s1, s1, _ZN2at6native25elementwise_kernel_helperILb0EZZZNS0_17expm1_kernel_cudaERNS_18TensorIteratorBaseEENKUlvE_clEvENKUlvE2_clEvEUlN3c107complexIfEEE_NS0_6memory8policies11unroll_baseILi256ESt5arrayIPcLm2EE23TrivialOffsetCalculatorILi1EjESH_NSA_15LoadWithoutCastENSA_16StoreWithoutCastELi4ELi1EEEEEvT0_T1_@rel32@hi+12
	s_delay_alu instid0(SALU_CYCLE_1)
	s_swappc_b64 s[30:31], s[0:1]
	s_endpgm
	.section	.rodata,"a",@progbits
	.p2align	6, 0x0
	.amdhsa_kernel _ZN2at6native29vectorized_elementwise_kernelILi4EZZZNS0_17expm1_kernel_cudaERNS_18TensorIteratorBaseEENKUlvE_clEvENKUlvE2_clEvEUlN3c107complexIfEEE_St5arrayIPcLm2EEEEviT0_T1_
		.amdhsa_group_segment_fixed_size 0
		.amdhsa_private_segment_fixed_size 0
		.amdhsa_kernarg_size 24
		.amdhsa_user_sgpr_count 15
		.amdhsa_user_sgpr_dispatch_ptr 0
		.amdhsa_user_sgpr_queue_ptr 0
		.amdhsa_user_sgpr_kernarg_segment_ptr 1
		.amdhsa_user_sgpr_dispatch_id 0
		.amdhsa_user_sgpr_private_segment_size 0
		.amdhsa_wavefront_size32 1
		.amdhsa_uses_dynamic_stack 0
		.amdhsa_enable_private_segment 0
		.amdhsa_system_sgpr_workgroup_id_x 1
		.amdhsa_system_sgpr_workgroup_id_y 0
		.amdhsa_system_sgpr_workgroup_id_z 0
		.amdhsa_system_sgpr_workgroup_info 0
		.amdhsa_system_vgpr_workitem_id 0
		.amdhsa_next_free_vgpr 88
		.amdhsa_next_free_sgpr 33
		.amdhsa_reserve_vcc 1
		.amdhsa_float_round_mode_32 0
		.amdhsa_float_round_mode_16_64 0
		.amdhsa_float_denorm_mode_32 3
		.amdhsa_float_denorm_mode_16_64 3
		.amdhsa_dx10_clamp 1
		.amdhsa_ieee_mode 1
		.amdhsa_fp16_overflow 0
		.amdhsa_workgroup_processor_mode 1
		.amdhsa_memory_ordered 1
		.amdhsa_forward_progress 0
		.amdhsa_shared_vgpr_count 0
		.amdhsa_exception_fp_ieee_invalid_op 0
		.amdhsa_exception_fp_denorm_src 0
		.amdhsa_exception_fp_ieee_div_zero 0
		.amdhsa_exception_fp_ieee_overflow 0
		.amdhsa_exception_fp_ieee_underflow 0
		.amdhsa_exception_fp_ieee_inexact 0
		.amdhsa_exception_int_div_zero 0
	.end_amdhsa_kernel
	.section	.text._ZN2at6native29vectorized_elementwise_kernelILi4EZZZNS0_17expm1_kernel_cudaERNS_18TensorIteratorBaseEENKUlvE_clEvENKUlvE2_clEvEUlN3c107complexIfEEE_St5arrayIPcLm2EEEEviT0_T1_,"axG",@progbits,_ZN2at6native29vectorized_elementwise_kernelILi4EZZZNS0_17expm1_kernel_cudaERNS_18TensorIteratorBaseEENKUlvE_clEvENKUlvE2_clEvEUlN3c107complexIfEEE_St5arrayIPcLm2EEEEviT0_T1_,comdat
.Lfunc_end138:
	.size	_ZN2at6native29vectorized_elementwise_kernelILi4EZZZNS0_17expm1_kernel_cudaERNS_18TensorIteratorBaseEENKUlvE_clEvENKUlvE2_clEvEUlN3c107complexIfEEE_St5arrayIPcLm2EEEEviT0_T1_, .Lfunc_end138-_ZN2at6native29vectorized_elementwise_kernelILi4EZZZNS0_17expm1_kernel_cudaERNS_18TensorIteratorBaseEENKUlvE_clEvENKUlvE2_clEvEUlN3c107complexIfEEE_St5arrayIPcLm2EEEEviT0_T1_
                                        ; -- End function
	.section	.AMDGPU.csdata,"",@progbits
; Kernel info:
; codeLenInByte = 176
; NumSgprs: 35
; NumVgprs: 88
; ScratchSize: 0
; MemoryBound: 0
; FloatMode: 240
; IeeeMode: 1
; LDSByteSize: 0 bytes/workgroup (compile time only)
; SGPRBlocks: 4
; VGPRBlocks: 10
; NumSGPRsForWavesPerEU: 35
; NumVGPRsForWavesPerEU: 88
; Occupancy: 16
; WaveLimiterHint : 0
; COMPUTE_PGM_RSRC2:SCRATCH_EN: 0
; COMPUTE_PGM_RSRC2:USER_SGPR: 15
; COMPUTE_PGM_RSRC2:TRAP_HANDLER: 0
; COMPUTE_PGM_RSRC2:TGID_X_EN: 1
; COMPUTE_PGM_RSRC2:TGID_Y_EN: 0
; COMPUTE_PGM_RSRC2:TGID_Z_EN: 0
; COMPUTE_PGM_RSRC2:TIDIG_COMP_CNT: 0
	.section	.text._ZN2at6native29vectorized_elementwise_kernelILi2EZZZNS0_17expm1_kernel_cudaERNS_18TensorIteratorBaseEENKUlvE_clEvENKUlvE2_clEvEUlN3c107complexIfEEE_St5arrayIPcLm2EEEEviT0_T1_,"axG",@progbits,_ZN2at6native29vectorized_elementwise_kernelILi2EZZZNS0_17expm1_kernel_cudaERNS_18TensorIteratorBaseEENKUlvE_clEvENKUlvE2_clEvEUlN3c107complexIfEEE_St5arrayIPcLm2EEEEviT0_T1_,comdat
	.globl	_ZN2at6native29vectorized_elementwise_kernelILi2EZZZNS0_17expm1_kernel_cudaERNS_18TensorIteratorBaseEENKUlvE_clEvENKUlvE2_clEvEUlN3c107complexIfEEE_St5arrayIPcLm2EEEEviT0_T1_ ; -- Begin function _ZN2at6native29vectorized_elementwise_kernelILi2EZZZNS0_17expm1_kernel_cudaERNS_18TensorIteratorBaseEENKUlvE_clEvENKUlvE2_clEvEUlN3c107complexIfEEE_St5arrayIPcLm2EEEEviT0_T1_
	.p2align	8
	.type	_ZN2at6native29vectorized_elementwise_kernelILi2EZZZNS0_17expm1_kernel_cudaERNS_18TensorIteratorBaseEENKUlvE_clEvENKUlvE2_clEvEUlN3c107complexIfEEE_St5arrayIPcLm2EEEEviT0_T1_,@function
_ZN2at6native29vectorized_elementwise_kernelILi2EZZZNS0_17expm1_kernel_cudaERNS_18TensorIteratorBaseEENKUlvE_clEvENKUlvE2_clEvEUlN3c107complexIfEEE_St5arrayIPcLm2EEEEviT0_T1_: ; @_ZN2at6native29vectorized_elementwise_kernelILi2EZZZNS0_17expm1_kernel_cudaERNS_18TensorIteratorBaseEENKUlvE_clEvENKUlvE2_clEvEUlN3c107complexIfEEE_St5arrayIPcLm2EEEEviT0_T1_
; %bb.0:
	s_clause 0x1
	s_load_b32 s2, s[0:1], 0x0
	s_load_b128 s[4:7], s[0:1], 0x8
	s_lshl_b32 s0, s15, 10
	s_mov_b32 s1, -1
	s_mov_b32 s32, 0
	s_waitcnt lgkmcnt(0)
	s_sub_i32 s3, s2, s0
	s_delay_alu instid0(SALU_CYCLE_1)
	s_cmpk_gt_i32 s3, 0x3ff
	s_cbranch_scc0 .LBB139_7
; %bb.1:
	s_ashr_i32 s1, s0, 31
	v_lshlrev_b32_e32 v9, 4, v0
	s_lshl_b64 s[8:9], s[0:1], 3
                                        ; implicit-def: $vgpr13
                                        ; implicit-def: $vgpr12
	s_delay_alu instid0(SALU_CYCLE_1)
	s_add_u32 s0, s6, s8
	s_addc_u32 s1, s7, s9
	global_load_b128 v[5:8], v9, s[0:1]
	s_waitcnt vmcnt(0)
	v_mul_f32_e32 v10, 0.5, v6
	v_add_co_u32 v1, s0, s0, v9
	s_delay_alu instid0(VALU_DEP_1) | instskip(NEXT) | instid1(VALU_DEP_3)
	v_add_co_ci_u32_e64 v2, null, s1, 0, s0
	v_and_b32_e32 v11, 0x7fffffff, v10
	s_delay_alu instid0(VALU_DEP_3) | instskip(NEXT) | instid1(VALU_DEP_3)
	v_add_co_u32 v1, vcc_lo, 0x1000, v1
	v_add_co_ci_u32_e32 v2, vcc_lo, 0, v2, vcc_lo
	s_mov_b32 s1, exec_lo
	global_load_b128 v[1:4], v[1:2], off
	v_cmpx_ngt_f32_e64 0x48000000, |v10|
	s_xor_b32 s10, exec_lo, s1
	s_cbranch_execz .LBB139_3
; %bb.2:
	s_mov_b32 s0, 0x7fffff
	v_mov_b32_e32 v14, 0
	v_and_or_b32 v22, v11, s0, 0x800000
	v_lshrrev_b32_e32 v19, 23, v11
	s_delay_alu instid0(VALU_DEP_2) | instskip(NEXT) | instid1(VALU_DEP_2)
	v_mad_u64_u32 v[12:13], null, 0xfe5163ab, v22, 0
	v_add_nc_u32_e32 v20, 0xffffff88, v19
	s_delay_alu instid0(VALU_DEP_1) | instskip(NEXT) | instid1(VALU_DEP_3)
	v_cmp_lt_u32_e32 vcc_lo, 63, v20
	v_mad_u64_u32 v[15:16], null, 0x3c439041, v22, v[13:14]
	v_cndmask_b32_e64 v21, 0, 0xffffffc0, vcc_lo
	s_delay_alu instid0(VALU_DEP_2) | instskip(NEXT) | instid1(VALU_DEP_2)
	v_mov_b32_e32 v13, v16
	v_add_nc_u32_e32 v21, v21, v20
	s_delay_alu instid0(VALU_DEP_2) | instskip(NEXT) | instid1(VALU_DEP_2)
	v_mad_u64_u32 v[16:17], null, 0xdb629599, v22, v[13:14]
	v_cmp_lt_u32_e64 s0, 31, v21
	s_delay_alu instid0(VALU_DEP_1) | instskip(NEXT) | instid1(VALU_DEP_3)
	v_cndmask_b32_e64 v23, 0, 0xffffffe0, s0
	v_dual_mov_b32 v13, v17 :: v_dual_cndmask_b32 v12, v16, v12
	s_delay_alu instid0(VALU_DEP_2) | instskip(NEXT) | instid1(VALU_DEP_2)
	v_add_nc_u32_e32 v23, v23, v21
	v_mad_u64_u32 v[17:18], null, 0xf534ddc0, v22, v[13:14]
	s_delay_alu instid0(VALU_DEP_2) | instskip(NEXT) | instid1(VALU_DEP_2)
	v_cmp_lt_u32_e64 s1, 31, v23
	v_mov_b32_e32 v13, v18
	s_delay_alu instid0(VALU_DEP_3) | instskip(NEXT) | instid1(VALU_DEP_2)
	v_cndmask_b32_e32 v15, v17, v15, vcc_lo
	v_mad_u64_u32 v[18:19], null, 0xfc2757d1, v22, v[13:14]
	s_delay_alu instid0(VALU_DEP_2) | instskip(NEXT) | instid1(VALU_DEP_2)
	v_cndmask_b32_e64 v12, v15, v12, s0
	v_mov_b32_e32 v13, v19
	s_delay_alu instid0(VALU_DEP_1) | instskip(NEXT) | instid1(VALU_DEP_1)
	v_mad_u64_u32 v[19:20], null, 0x4e441529, v22, v[13:14]
	v_mov_b32_e32 v13, v20
	s_delay_alu instid0(VALU_DEP_1) | instskip(SKIP_1) | instid1(VALU_DEP_1)
	v_mad_u64_u32 v[20:21], null, 0xa2f9836e, v22, v[13:14]
	v_cndmask_b32_e64 v13, 0, 0xffffffe0, s1
	v_dual_cndmask_b32 v14, v19, v17 :: v_dual_add_nc_u32 v13, v13, v23
	s_delay_alu instid0(VALU_DEP_3) | instskip(NEXT) | instid1(VALU_DEP_4)
	v_cndmask_b32_e32 v20, v20, v18, vcc_lo
	v_dual_cndmask_b32 v18, v18, v16 :: v_dual_cndmask_b32 v19, v21, v19
	s_delay_alu instid0(VALU_DEP_3) | instskip(NEXT) | instid1(VALU_DEP_3)
	v_cmp_eq_u32_e64 s2, 0, v13
	v_cndmask_b32_e64 v17, v20, v14, s0
	s_delay_alu instid0(VALU_DEP_3) | instskip(NEXT) | instid1(VALU_DEP_4)
	v_cndmask_b32_e64 v14, v14, v18, s0
	v_cndmask_b32_e64 v19, v19, v20, s0
	v_sub_nc_u32_e32 v20, 32, v13
	v_cndmask_b32_e64 v18, v18, v15, s0
	s_delay_alu instid0(VALU_DEP_3) | instskip(SKIP_1) | instid1(VALU_DEP_3)
	v_cndmask_b32_e64 v19, v19, v17, s1
	v_cndmask_b32_e64 v17, v17, v14, s1
	v_cndmask_b32_e64 v14, v14, v18, s1
	v_cndmask_b32_e64 v12, v18, v12, s1
	s_delay_alu instid0(VALU_DEP_3) | instskip(NEXT) | instid1(VALU_DEP_3)
	v_alignbit_b32 v21, v19, v17, v20
	v_alignbit_b32 v22, v17, v14, v20
	s_delay_alu instid0(VALU_DEP_3) | instskip(NEXT) | instid1(VALU_DEP_3)
	v_alignbit_b32 v20, v14, v12, v20
	v_cndmask_b32_e64 v13, v21, v19, s2
	s_delay_alu instid0(VALU_DEP_3) | instskip(NEXT) | instid1(VALU_DEP_3)
	v_cndmask_b32_e64 v16, v22, v17, s2
	v_cndmask_b32_e64 v14, v20, v14, s2
	s_delay_alu instid0(VALU_DEP_3) | instskip(NEXT) | instid1(VALU_DEP_3)
	v_bfe_u32 v17, v13, 29, 1
	v_alignbit_b32 v15, v13, v16, 30
	s_delay_alu instid0(VALU_DEP_3) | instskip(SKIP_1) | instid1(VALU_DEP_4)
	v_alignbit_b32 v16, v16, v14, 30
	v_alignbit_b32 v12, v14, v12, 30
	v_sub_nc_u32_e32 v19, 0, v17
	s_delay_alu instid0(VALU_DEP_1) | instskip(SKIP_3) | instid1(VALU_DEP_4)
	v_xor_b32_e32 v18, v15, v19
	v_cmp_ne_u32_e32 vcc_lo, v15, v19
	v_xor_b32_e32 v14, v16, v19
	v_xor_b32_e32 v12, v12, v19
	v_clz_i32_u32_e32 v21, v18
	s_delay_alu instid0(VALU_DEP_1) | instskip(NEXT) | instid1(VALU_DEP_1)
	v_add_nc_u32_e32 v20, 1, v21
	v_cndmask_b32_e32 v15, 33, v20, vcc_lo
	s_delay_alu instid0(VALU_DEP_1) | instskip(NEXT) | instid1(VALU_DEP_1)
	v_sub_nc_u32_e32 v16, 32, v15
	v_alignbit_b32 v18, v18, v14, v16
	v_alignbit_b32 v12, v14, v12, v16
	v_lshrrev_b32_e32 v14, 29, v13
	v_lshrrev_b32_e32 v13, 30, v13
	s_delay_alu instid0(VALU_DEP_3) | instskip(NEXT) | instid1(VALU_DEP_3)
	v_alignbit_b32 v16, v18, v12, 9
	v_lshlrev_b32_e32 v14, 31, v14
	v_alignbit_b32 v18, v15, v18, 9
	s_delay_alu instid0(VALU_DEP_4) | instskip(NEXT) | instid1(VALU_DEP_4)
	v_add_nc_u32_e32 v13, v17, v13
	v_clz_i32_u32_e32 v19, v16
	s_delay_alu instid0(VALU_DEP_3) | instskip(SKIP_1) | instid1(VALU_DEP_3)
	v_or_b32_e32 v18, v18, v14
	v_or_b32_e32 v14, 0x33800000, v14
	v_min_u32_e32 v19, 32, v19
	s_delay_alu instid0(VALU_DEP_3) | instskip(NEXT) | instid1(VALU_DEP_2)
	v_xor_b32_e32 v18, 1.0, v18
	v_sub_nc_u32_e32 v20, 31, v19
	v_add_lshl_u32 v15, v19, v15, 23
	s_delay_alu instid0(VALU_DEP_3) | instskip(NEXT) | instid1(VALU_DEP_3)
	v_mul_f32_e32 v19, 0x3fc90fda, v18
	v_alignbit_b32 v12, v16, v12, v20
	s_delay_alu instid0(VALU_DEP_3) | instskip(NEXT) | instid1(VALU_DEP_3)
	v_sub_nc_u32_e32 v14, v14, v15
	v_fma_f32 v15, 0x3fc90fda, v18, -v19
	s_delay_alu instid0(VALU_DEP_3) | instskip(NEXT) | instid1(VALU_DEP_2)
	v_lshrrev_b32_e32 v12, 9, v12
	v_fmamk_f32 v15, v18, 0x33a22168, v15
	s_delay_alu instid0(VALU_DEP_2) | instskip(NEXT) | instid1(VALU_DEP_1)
	v_or_b32_e32 v12, v14, v12
	v_fmac_f32_e32 v15, 0x3fc90fda, v12
	s_delay_alu instid0(VALU_DEP_1)
	v_add_f32_e32 v12, v19, v15
.LBB139_3:
	s_and_not1_saveexec_b32 s0, s10
; %bb.4:
	v_mul_f32_e64 v12, 0x3f22f983, |v10|
	s_delay_alu instid0(VALU_DEP_1) | instskip(NEXT) | instid1(VALU_DEP_1)
	v_rndne_f32_e32 v13, v12
	v_fma_f32 v12, 0xbfc90fda, v13, |v10|
	s_delay_alu instid0(VALU_DEP_1) | instskip(NEXT) | instid1(VALU_DEP_1)
	v_fmamk_f32 v12, v13, 0xb3a22168, v12
	v_fmamk_f32 v12, v13, 0xa7c234c4, v12
	v_cvt_i32_f32_e32 v13, v13
; %bb.5:
	s_or_b32 exec_lo, exec_lo, s0
	v_and_b32_e32 v14, 0x7fffffff, v6
	v_cmp_ngt_f32_e64 s10, 0x48000000, |v6|
                                        ; implicit-def: $vgpr16
                                        ; implicit-def: $vgpr15
	s_delay_alu instid0(VALU_DEP_2) | instskip(NEXT) | instid1(VALU_DEP_2)
	v_lshrrev_b32_e32 v19, 23, v14
	s_and_saveexec_b32 s0, s10
	s_delay_alu instid0(SALU_CYCLE_1)
	s_xor_b32 s11, exec_lo, s0
	s_cbranch_execz .LBB139_9
; %bb.6:
	s_mov_b32 s0, 0x7fffff
	v_mov_b32_e32 v17, 0
	v_and_or_b32 v18, v14, s0, 0x800000
	v_add_nc_u32_e32 v25, 0xffffff88, v19
	s_delay_alu instid0(VALU_DEP_2) | instskip(NEXT) | instid1(VALU_DEP_2)
	v_mad_u64_u32 v[15:16], null, 0xfe5163ab, v18, 0
	v_cmp_lt_u32_e32 vcc_lo, 63, v25
	v_cndmask_b32_e64 v26, 0, 0xffffffc0, vcc_lo
	s_delay_alu instid0(VALU_DEP_3) | instskip(NEXT) | instid1(VALU_DEP_1)
	v_mad_u64_u32 v[20:21], null, 0x3c439041, v18, v[16:17]
	v_mov_b32_e32 v16, v21
	s_delay_alu instid0(VALU_DEP_1) | instskip(NEXT) | instid1(VALU_DEP_1)
	v_mad_u64_u32 v[21:22], null, 0xdb629599, v18, v[16:17]
	v_dual_cndmask_b32 v15, v21, v15 :: v_dual_add_nc_u32 v26, v26, v25
	s_delay_alu instid0(VALU_DEP_2) | instskip(NEXT) | instid1(VALU_DEP_2)
	v_mov_b32_e32 v16, v22
	v_cmp_lt_u32_e64 s0, 31, v26
	s_delay_alu instid0(VALU_DEP_2) | instskip(NEXT) | instid1(VALU_DEP_2)
	v_mad_u64_u32 v[22:23], null, 0xf534ddc0, v18, v[16:17]
	v_cndmask_b32_e64 v27, 0, 0xffffffe0, s0
	s_delay_alu instid0(VALU_DEP_1) | instskip(NEXT) | instid1(VALU_DEP_3)
	v_add_nc_u32_e32 v27, v27, v26
	v_mov_b32_e32 v16, v23
	s_delay_alu instid0(VALU_DEP_4) | instskip(NEXT) | instid1(VALU_DEP_3)
	v_cndmask_b32_e32 v20, v22, v20, vcc_lo
	v_cmp_lt_u32_e64 s1, 31, v27
	s_delay_alu instid0(VALU_DEP_3) | instskip(NEXT) | instid1(VALU_DEP_3)
	v_mad_u64_u32 v[23:24], null, 0xfc2757d1, v18, v[16:17]
	v_cndmask_b32_e64 v15, v20, v15, s0
	s_delay_alu instid0(VALU_DEP_2) | instskip(NEXT) | instid1(VALU_DEP_1)
	v_mov_b32_e32 v16, v24
	v_mad_u64_u32 v[24:25], null, 0x4e441529, v18, v[16:17]
	s_delay_alu instid0(VALU_DEP_1) | instskip(NEXT) | instid1(VALU_DEP_1)
	v_mov_b32_e32 v16, v25
	v_mad_u64_u32 v[25:26], null, 0xa2f9836e, v18, v[16:17]
	v_cndmask_b32_e64 v16, 0, 0xffffffe0, s1
	s_delay_alu instid0(VALU_DEP_4) | instskip(NEXT) | instid1(VALU_DEP_2)
	v_cndmask_b32_e32 v17, v24, v22, vcc_lo
	v_add_nc_u32_e32 v16, v16, v27
	s_delay_alu instid0(VALU_DEP_4) | instskip(SKIP_1) | instid1(VALU_DEP_3)
	v_cndmask_b32_e32 v18, v25, v23, vcc_lo
	v_dual_cndmask_b32 v24, v26, v24 :: v_dual_cndmask_b32 v23, v23, v21
	v_cmp_eq_u32_e64 s2, 0, v16
	s_delay_alu instid0(VALU_DEP_3) | instskip(NEXT) | instid1(VALU_DEP_3)
	v_cndmask_b32_e64 v22, v18, v17, s0
	v_cndmask_b32_e64 v18, v24, v18, s0
	s_delay_alu instid0(VALU_DEP_4) | instskip(SKIP_2) | instid1(VALU_DEP_4)
	v_cndmask_b32_e64 v17, v17, v23, s0
	v_sub_nc_u32_e32 v24, 32, v16
	v_cndmask_b32_e64 v23, v23, v20, s0
	v_cndmask_b32_e64 v18, v18, v22, s1
	s_delay_alu instid0(VALU_DEP_4) | instskip(NEXT) | instid1(VALU_DEP_3)
	v_cndmask_b32_e64 v22, v22, v17, s1
	v_cndmask_b32_e64 v17, v17, v23, s1
	;; [unrolled: 1-line block ×3, first 2 shown]
	s_delay_alu instid0(VALU_DEP_3) | instskip(NEXT) | instid1(VALU_DEP_3)
	v_alignbit_b32 v25, v18, v22, v24
	v_alignbit_b32 v26, v22, v17, v24
	s_delay_alu instid0(VALU_DEP_3) | instskip(NEXT) | instid1(VALU_DEP_3)
	v_alignbit_b32 v24, v17, v15, v24
	v_cndmask_b32_e64 v16, v25, v18, s2
	s_delay_alu instid0(VALU_DEP_3) | instskip(NEXT) | instid1(VALU_DEP_3)
	v_cndmask_b32_e64 v18, v26, v22, s2
	v_cndmask_b32_e64 v17, v24, v17, s2
	s_delay_alu instid0(VALU_DEP_3) | instskip(NEXT) | instid1(VALU_DEP_3)
	v_bfe_u32 v21, v16, 29, 1
	v_alignbit_b32 v20, v16, v18, 30
	s_delay_alu instid0(VALU_DEP_3) | instskip(SKIP_1) | instid1(VALU_DEP_4)
	v_alignbit_b32 v18, v18, v17, 30
	v_alignbit_b32 v15, v17, v15, 30
	v_sub_nc_u32_e32 v22, 0, v21
	s_delay_alu instid0(VALU_DEP_1) | instskip(SKIP_3) | instid1(VALU_DEP_4)
	v_xor_b32_e32 v23, v20, v22
	v_cmp_ne_u32_e32 vcc_lo, v20, v22
	v_xor_b32_e32 v17, v18, v22
	v_xor_b32_e32 v15, v15, v22
	v_clz_i32_u32_e32 v25, v23
	s_delay_alu instid0(VALU_DEP_1) | instskip(NEXT) | instid1(VALU_DEP_1)
	v_add_nc_u32_e32 v24, 1, v25
	v_cndmask_b32_e32 v20, 33, v24, vcc_lo
	s_delay_alu instid0(VALU_DEP_1) | instskip(NEXT) | instid1(VALU_DEP_1)
	v_sub_nc_u32_e32 v18, 32, v20
	v_alignbit_b32 v22, v23, v17, v18
	v_alignbit_b32 v15, v17, v15, v18
	v_lshrrev_b32_e32 v17, 29, v16
	v_lshrrev_b32_e32 v16, 30, v16
	s_delay_alu instid0(VALU_DEP_3) | instskip(NEXT) | instid1(VALU_DEP_3)
	v_alignbit_b32 v18, v22, v15, 9
	v_lshlrev_b32_e32 v17, 31, v17
	v_alignbit_b32 v22, v20, v22, 9
	s_delay_alu instid0(VALU_DEP_4) | instskip(NEXT) | instid1(VALU_DEP_4)
	v_add_nc_u32_e32 v16, v21, v16
	v_clz_i32_u32_e32 v23, v18
	s_delay_alu instid0(VALU_DEP_3) | instskip(SKIP_1) | instid1(VALU_DEP_3)
	v_or_b32_e32 v22, v22, v17
	v_or_b32_e32 v17, 0x33800000, v17
	v_min_u32_e32 v23, 32, v23
	s_delay_alu instid0(VALU_DEP_3) | instskip(NEXT) | instid1(VALU_DEP_2)
	v_xor_b32_e32 v22, 1.0, v22
	v_sub_nc_u32_e32 v24, 31, v23
	v_add_lshl_u32 v20, v23, v20, 23
	s_delay_alu instid0(VALU_DEP_3) | instskip(NEXT) | instid1(VALU_DEP_3)
	v_mul_f32_e32 v23, 0x3fc90fda, v22
	v_alignbit_b32 v15, v18, v15, v24
	s_delay_alu instid0(VALU_DEP_3) | instskip(NEXT) | instid1(VALU_DEP_3)
	v_sub_nc_u32_e32 v17, v17, v20
	v_fma_f32 v18, 0x3fc90fda, v22, -v23
	s_delay_alu instid0(VALU_DEP_3) | instskip(NEXT) | instid1(VALU_DEP_2)
	v_lshrrev_b32_e32 v15, 9, v15
	v_fmamk_f32 v18, v22, 0x33a22168, v18
	s_delay_alu instid0(VALU_DEP_2) | instskip(NEXT) | instid1(VALU_DEP_1)
	v_or_b32_e32 v15, v17, v15
	v_fmac_f32_e32 v18, 0x3fc90fda, v15
	s_delay_alu instid0(VALU_DEP_1)
	v_add_f32_e32 v15, v23, v18
	s_or_saveexec_b32 s0, s11
	v_mul_f32_e64 v20, 0x3f22f983, |v6|
	s_xor_b32 exec_lo, exec_lo, s0
	s_branch .LBB139_10
.LBB139_7:
	s_and_b32 vcc_lo, exec_lo, s1
	s_cbranch_vccz .LBB139_52
; %bb.8:
	v_dual_mov_b32 v31, v0 :: v_dual_mov_b32 v0, s4
	v_dual_mov_b32 v1, s5 :: v_dual_mov_b32 v2, s6
	;; [unrolled: 1-line block ×3, first 2 shown]
	s_mov_b32 s12, s15
	s_getpc_b64 s[0:1]
	s_add_u32 s0, s0, _ZN2at6native25elementwise_kernel_helperILb0EZZZNS0_17expm1_kernel_cudaERNS_18TensorIteratorBaseEENKUlvE_clEvENKUlvE2_clEvEUlN3c107complexIfEEE_NS0_6memory8policies11unroll_baseILi256ESt5arrayIPcLm2EE23TrivialOffsetCalculatorILi1EjESH_NSA_15LoadWithoutCastENSA_16StoreWithoutCastELi4ELi1EEEEEvT0_T1_@rel32@lo+4
	s_addc_u32 s1, s1, _ZN2at6native25elementwise_kernel_helperILb0EZZZNS0_17expm1_kernel_cudaERNS_18TensorIteratorBaseEENKUlvE_clEvENKUlvE2_clEvEUlN3c107complexIfEEE_NS0_6memory8policies11unroll_baseILi256ESt5arrayIPcLm2EE23TrivialOffsetCalculatorILi1EjESH_NSA_15LoadWithoutCastENSA_16StoreWithoutCastELi4ELi1EEEEEvT0_T1_@rel32@hi+12
	s_delay_alu instid0(SALU_CYCLE_1)
	s_swappc_b64 s[30:31], s[0:1]
	s_endpgm
.LBB139_9:
	s_or_saveexec_b32 s0, s11
	v_mul_f32_e64 v20, 0x3f22f983, |v6|
	s_xor_b32 exec_lo, exec_lo, s0
.LBB139_10:
	s_delay_alu instid0(VALU_DEP_1) | instskip(NEXT) | instid1(VALU_DEP_1)
	v_rndne_f32_e32 v16, v20
	v_fma_f32 v15, 0xbfc90fda, v16, |v6|
	s_delay_alu instid0(VALU_DEP_1) | instskip(NEXT) | instid1(VALU_DEP_1)
	v_fmamk_f32 v15, v16, 0xb3a22168, v15
	v_fmamk_f32 v15, v16, 0xa7c234c4, v15
	v_cvt_i32_f32_e32 v16, v16
; %bb.11:
	s_or_b32 exec_lo, exec_lo, s0
                                        ; implicit-def: $vgpr18
                                        ; implicit-def: $vgpr17
	s_and_saveexec_b32 s0, s10
	s_delay_alu instid0(SALU_CYCLE_1)
	s_xor_b32 s10, exec_lo, s0
	s_cbranch_execz .LBB139_13
; %bb.12:
	s_mov_b32 s0, 0x7fffff
	s_delay_alu instid0(SALU_CYCLE_1) | instskip(NEXT) | instid1(VALU_DEP_1)
	v_and_or_b32 v28, v14, s0, 0x800000
	v_mad_u64_u32 v[17:18], null, 0xfe5163ab, v28, 0
	s_delay_alu instid0(VALU_DEP_1) | instskip(NEXT) | instid1(VALU_DEP_1)
	v_dual_mov_b32 v21, 0 :: v_dual_mov_b32 v20, v18
	v_mad_u64_u32 v[22:23], null, 0x3c439041, v28, v[20:21]
	s_delay_alu instid0(VALU_DEP_1) | instskip(NEXT) | instid1(VALU_DEP_1)
	v_mov_b32_e32 v20, v23
	v_mad_u64_u32 v[23:24], null, 0xdb629599, v28, v[20:21]
	s_delay_alu instid0(VALU_DEP_1) | instskip(NEXT) | instid1(VALU_DEP_1)
	v_mov_b32_e32 v20, v24
	v_mad_u64_u32 v[24:25], null, 0xf534ddc0, v28, v[20:21]
	s_delay_alu instid0(VALU_DEP_1) | instskip(NEXT) | instid1(VALU_DEP_1)
	v_dual_mov_b32 v20, v25 :: v_dual_add_nc_u32 v25, 0xffffff88, v19
	v_mad_u64_u32 v[18:19], null, 0xfc2757d1, v28, v[20:21]
	s_delay_alu instid0(VALU_DEP_2) | instskip(SKIP_1) | instid1(VALU_DEP_3)
	v_cmp_lt_u32_e32 vcc_lo, 63, v25
	v_cndmask_b32_e64 v26, 0, 0xffffffc0, vcc_lo
	v_mov_b32_e32 v20, v19
	v_cndmask_b32_e32 v17, v23, v17, vcc_lo
	s_delay_alu instid0(VALU_DEP_3) | instskip(NEXT) | instid1(VALU_DEP_3)
	v_add_nc_u32_e32 v19, v26, v25
	v_mad_u64_u32 v[25:26], null, 0x4e441529, v28, v[20:21]
	s_delay_alu instid0(VALU_DEP_2) | instskip(NEXT) | instid1(VALU_DEP_2)
	v_cmp_lt_u32_e64 s0, 31, v19
	v_mov_b32_e32 v20, v26
	s_delay_alu instid0(VALU_DEP_2) | instskip(NEXT) | instid1(VALU_DEP_1)
	v_cndmask_b32_e64 v27, 0, 0xffffffe0, s0
	v_add_nc_u32_e32 v19, v27, v19
	s_delay_alu instid0(VALU_DEP_3) | instskip(SKIP_1) | instid1(VALU_DEP_3)
	v_mad_u64_u32 v[26:27], null, 0xa2f9836e, v28, v[20:21]
	v_cndmask_b32_e32 v21, v25, v24, vcc_lo
	v_cmp_lt_u32_e64 s1, 31, v19
	s_delay_alu instid0(VALU_DEP_3) | instskip(NEXT) | instid1(VALU_DEP_2)
	v_cndmask_b32_e32 v25, v27, v25, vcc_lo
	v_cndmask_b32_e64 v20, 0, 0xffffffe0, s1
	v_cndmask_b32_e32 v26, v26, v18, vcc_lo
	v_cndmask_b32_e32 v18, v18, v23, vcc_lo
	s_delay_alu instid0(VALU_DEP_3) | instskip(SKIP_1) | instid1(VALU_DEP_4)
	v_add_nc_u32_e32 v19, v20, v19
	v_cndmask_b32_e32 v20, v24, v22, vcc_lo
	v_cndmask_b32_e64 v22, v26, v21, s0
	v_cndmask_b32_e64 v24, v25, v26, s0
	;; [unrolled: 1-line block ×3, first 2 shown]
	v_sub_nc_u32_e32 v25, 32, v19
	v_cndmask_b32_e64 v18, v18, v20, s0
	v_cmp_eq_u32_e64 s2, 0, v19
	v_cndmask_b32_e64 v24, v24, v22, s1
	v_cndmask_b32_e64 v22, v22, v21, s1
	;; [unrolled: 1-line block ×4, first 2 shown]
	s_delay_alu instid0(VALU_DEP_3) | instskip(NEXT) | instid1(VALU_DEP_3)
	v_alignbit_b32 v26, v24, v22, v25
	v_cndmask_b32_e64 v17, v18, v17, s1
	s_delay_alu instid0(VALU_DEP_3) | instskip(NEXT) | instid1(VALU_DEP_3)
	v_alignbit_b32 v27, v22, v21, v25
	v_cndmask_b32_e64 v19, v26, v24, s2
	;; [unrolled: 3-line block ×3, first 2 shown]
	s_delay_alu instid0(VALU_DEP_3) | instskip(NEXT) | instid1(VALU_DEP_3)
	v_bfe_u32 v23, v19, 29, 1
	v_cndmask_b32_e64 v21, v25, v21, s2
	s_delay_alu instid0(VALU_DEP_3) | instskip(NEXT) | instid1(VALU_DEP_3)
	v_alignbit_b32 v20, v19, v22, 30
	v_sub_nc_u32_e32 v24, 0, v23
	s_delay_alu instid0(VALU_DEP_3) | instskip(SKIP_1) | instid1(VALU_DEP_3)
	v_alignbit_b32 v22, v22, v21, 30
	v_alignbit_b32 v17, v21, v17, 30
	v_xor_b32_e32 v18, v20, v24
	v_cmp_ne_u32_e32 vcc_lo, v20, v24
	s_delay_alu instid0(VALU_DEP_4) | instskip(NEXT) | instid1(VALU_DEP_4)
	v_xor_b32_e32 v21, v22, v24
	v_xor_b32_e32 v17, v17, v24
	s_delay_alu instid0(VALU_DEP_4) | instskip(NEXT) | instid1(VALU_DEP_1)
	v_clz_i32_u32_e32 v26, v18
	v_add_nc_u32_e32 v25, 1, v26
	s_delay_alu instid0(VALU_DEP_1) | instskip(NEXT) | instid1(VALU_DEP_1)
	v_cndmask_b32_e32 v20, 33, v25, vcc_lo
	v_sub_nc_u32_e32 v22, 32, v20
	s_delay_alu instid0(VALU_DEP_1) | instskip(SKIP_3) | instid1(VALU_DEP_3)
	v_alignbit_b32 v18, v18, v21, v22
	v_alignbit_b32 v17, v21, v17, v22
	v_lshrrev_b32_e32 v21, 29, v19
	v_lshrrev_b32_e32 v19, 30, v19
	v_alignbit_b32 v22, v18, v17, 9
	s_delay_alu instid0(VALU_DEP_3) | instskip(SKIP_1) | instid1(VALU_DEP_3)
	v_lshlrev_b32_e32 v21, 31, v21
	v_alignbit_b32 v18, v20, v18, 9
	v_clz_i32_u32_e32 v24, v22
	s_delay_alu instid0(VALU_DEP_2) | instskip(SKIP_1) | instid1(VALU_DEP_3)
	v_or_b32_e32 v18, v18, v21
	v_or_b32_e32 v21, 0x33800000, v21
	v_min_u32_e32 v24, 32, v24
	s_delay_alu instid0(VALU_DEP_3) | instskip(NEXT) | instid1(VALU_DEP_2)
	v_xor_b32_e32 v18, 1.0, v18
	v_sub_nc_u32_e32 v25, 31, v24
	v_add_lshl_u32 v20, v24, v20, 23
	s_delay_alu instid0(VALU_DEP_3) | instskip(NEXT) | instid1(VALU_DEP_3)
	v_mul_f32_e32 v24, 0x3fc90fda, v18
	v_alignbit_b32 v17, v22, v17, v25
	s_delay_alu instid0(VALU_DEP_3) | instskip(NEXT) | instid1(VALU_DEP_3)
	v_sub_nc_u32_e32 v20, v21, v20
	v_fma_f32 v21, 0x3fc90fda, v18, -v24
	s_delay_alu instid0(VALU_DEP_3) | instskip(NEXT) | instid1(VALU_DEP_2)
	v_lshrrev_b32_e32 v17, 9, v17
	v_fmamk_f32 v18, v18, 0x33a22168, v21
	s_delay_alu instid0(VALU_DEP_2) | instskip(NEXT) | instid1(VALU_DEP_1)
	v_or_b32_e32 v17, v20, v17
                                        ; implicit-def: $vgpr20
	v_fmac_f32_e32 v18, 0x3fc90fda, v17
	s_delay_alu instid0(VALU_DEP_1)
	v_dual_add_f32 v17, v24, v18 :: v_dual_add_nc_u32 v18, v23, v19
	s_and_not1_saveexec_b32 s0, s10
	s_cbranch_execnz .LBB139_14
	s_branch .LBB139_15
.LBB139_13:
	s_and_not1_saveexec_b32 s0, s10
.LBB139_14:
	v_rndne_f32_e32 v18, v20
	s_delay_alu instid0(VALU_DEP_1) | instskip(NEXT) | instid1(VALU_DEP_1)
	v_fma_f32 v17, 0xbfc90fda, v18, |v6|
	v_fmamk_f32 v17, v18, 0xb3a22168, v17
	s_delay_alu instid0(VALU_DEP_1)
	v_fmamk_f32 v17, v18, 0xa7c234c4, v17
	v_cvt_i32_f32_e32 v18, v18
.LBB139_15:
	s_or_b32 exec_lo, exec_lo, s0
	v_mul_f32_e32 v19, 0.5, v8
                                        ; implicit-def: $vgpr22
                                        ; implicit-def: $vgpr21
	s_mov_b32 s1, exec_lo
	s_delay_alu instid0(VALU_DEP_1)
	v_and_b32_e32 v20, 0x7fffffff, v19
	v_cmpx_ngt_f32_e64 0x48000000, |v19|
	s_xor_b32 s10, exec_lo, s1
	s_cbranch_execz .LBB139_17
; %bb.16:
	s_mov_b32 s0, 0x7fffff
	v_mov_b32_e32 v23, 0
	v_and_or_b32 v31, v20, s0, 0x800000
	v_lshrrev_b32_e32 v28, 23, v20
	s_delay_alu instid0(VALU_DEP_2) | instskip(NEXT) | instid1(VALU_DEP_2)
	v_mad_u64_u32 v[21:22], null, 0xfe5163ab, v31, 0
	v_add_nc_u32_e32 v29, 0xffffff88, v28
	s_delay_alu instid0(VALU_DEP_1) | instskip(NEXT) | instid1(VALU_DEP_3)
	v_cmp_lt_u32_e32 vcc_lo, 63, v29
	v_mad_u64_u32 v[24:25], null, 0x3c439041, v31, v[22:23]
	v_cndmask_b32_e64 v30, 0, 0xffffffc0, vcc_lo
	s_delay_alu instid0(VALU_DEP_2) | instskip(NEXT) | instid1(VALU_DEP_2)
	v_mov_b32_e32 v22, v25
	v_add_nc_u32_e32 v30, v30, v29
	s_delay_alu instid0(VALU_DEP_2) | instskip(NEXT) | instid1(VALU_DEP_2)
	v_mad_u64_u32 v[25:26], null, 0xdb629599, v31, v[22:23]
	v_cmp_lt_u32_e64 s0, 31, v30
	s_delay_alu instid0(VALU_DEP_1) | instskip(NEXT) | instid1(VALU_DEP_3)
	v_cndmask_b32_e64 v32, 0, 0xffffffe0, s0
	v_dual_mov_b32 v22, v26 :: v_dual_cndmask_b32 v21, v25, v21
	s_delay_alu instid0(VALU_DEP_2) | instskip(NEXT) | instid1(VALU_DEP_2)
	v_add_nc_u32_e32 v32, v32, v30
	v_mad_u64_u32 v[26:27], null, 0xf534ddc0, v31, v[22:23]
	s_delay_alu instid0(VALU_DEP_2) | instskip(NEXT) | instid1(VALU_DEP_2)
	v_cmp_lt_u32_e64 s1, 31, v32
	v_mov_b32_e32 v22, v27
	s_delay_alu instid0(VALU_DEP_3) | instskip(NEXT) | instid1(VALU_DEP_2)
	v_cndmask_b32_e32 v24, v26, v24, vcc_lo
	v_mad_u64_u32 v[27:28], null, 0xfc2757d1, v31, v[22:23]
	s_delay_alu instid0(VALU_DEP_2) | instskip(NEXT) | instid1(VALU_DEP_2)
	v_cndmask_b32_e64 v21, v24, v21, s0
	v_mov_b32_e32 v22, v28
	s_delay_alu instid0(VALU_DEP_1) | instskip(NEXT) | instid1(VALU_DEP_1)
	v_mad_u64_u32 v[28:29], null, 0x4e441529, v31, v[22:23]
	v_mov_b32_e32 v22, v29
	s_delay_alu instid0(VALU_DEP_1) | instskip(SKIP_1) | instid1(VALU_DEP_1)
	v_mad_u64_u32 v[29:30], null, 0xa2f9836e, v31, v[22:23]
	v_cndmask_b32_e64 v22, 0, 0xffffffe0, s1
	v_dual_cndmask_b32 v23, v28, v26 :: v_dual_add_nc_u32 v22, v22, v32
	s_delay_alu instid0(VALU_DEP_3) | instskip(NEXT) | instid1(VALU_DEP_4)
	v_cndmask_b32_e32 v29, v29, v27, vcc_lo
	v_dual_cndmask_b32 v27, v27, v25 :: v_dual_cndmask_b32 v28, v30, v28
	s_delay_alu instid0(VALU_DEP_3) | instskip(NEXT) | instid1(VALU_DEP_3)
	v_cmp_eq_u32_e64 s2, 0, v22
	v_cndmask_b32_e64 v26, v29, v23, s0
	s_delay_alu instid0(VALU_DEP_3) | instskip(NEXT) | instid1(VALU_DEP_4)
	v_cndmask_b32_e64 v23, v23, v27, s0
	v_cndmask_b32_e64 v28, v28, v29, s0
	v_sub_nc_u32_e32 v29, 32, v22
	v_cndmask_b32_e64 v27, v27, v24, s0
	s_delay_alu instid0(VALU_DEP_3) | instskip(SKIP_1) | instid1(VALU_DEP_3)
	v_cndmask_b32_e64 v28, v28, v26, s1
	v_cndmask_b32_e64 v26, v26, v23, s1
	;; [unrolled: 1-line block ×4, first 2 shown]
	s_delay_alu instid0(VALU_DEP_3) | instskip(NEXT) | instid1(VALU_DEP_3)
	v_alignbit_b32 v30, v28, v26, v29
	v_alignbit_b32 v31, v26, v23, v29
	s_delay_alu instid0(VALU_DEP_3) | instskip(NEXT) | instid1(VALU_DEP_3)
	v_alignbit_b32 v29, v23, v21, v29
	v_cndmask_b32_e64 v22, v30, v28, s2
	s_delay_alu instid0(VALU_DEP_3) | instskip(NEXT) | instid1(VALU_DEP_3)
	v_cndmask_b32_e64 v25, v31, v26, s2
	v_cndmask_b32_e64 v23, v29, v23, s2
	s_delay_alu instid0(VALU_DEP_3) | instskip(NEXT) | instid1(VALU_DEP_3)
	v_bfe_u32 v26, v22, 29, 1
	v_alignbit_b32 v24, v22, v25, 30
	s_delay_alu instid0(VALU_DEP_3) | instskip(SKIP_1) | instid1(VALU_DEP_4)
	v_alignbit_b32 v25, v25, v23, 30
	v_alignbit_b32 v21, v23, v21, 30
	v_sub_nc_u32_e32 v28, 0, v26
	s_delay_alu instid0(VALU_DEP_1) | instskip(SKIP_3) | instid1(VALU_DEP_4)
	v_xor_b32_e32 v27, v24, v28
	v_cmp_ne_u32_e32 vcc_lo, v24, v28
	v_xor_b32_e32 v23, v25, v28
	v_xor_b32_e32 v21, v21, v28
	v_clz_i32_u32_e32 v30, v27
	s_delay_alu instid0(VALU_DEP_1) | instskip(NEXT) | instid1(VALU_DEP_1)
	v_add_nc_u32_e32 v29, 1, v30
	v_cndmask_b32_e32 v24, 33, v29, vcc_lo
	s_delay_alu instid0(VALU_DEP_1) | instskip(NEXT) | instid1(VALU_DEP_1)
	v_sub_nc_u32_e32 v25, 32, v24
	v_alignbit_b32 v27, v27, v23, v25
	v_alignbit_b32 v21, v23, v21, v25
	v_lshrrev_b32_e32 v23, 29, v22
	v_lshrrev_b32_e32 v22, 30, v22
	s_delay_alu instid0(VALU_DEP_3) | instskip(NEXT) | instid1(VALU_DEP_3)
	v_alignbit_b32 v25, v27, v21, 9
	v_lshlrev_b32_e32 v23, 31, v23
	v_alignbit_b32 v27, v24, v27, 9
	s_delay_alu instid0(VALU_DEP_4) | instskip(NEXT) | instid1(VALU_DEP_4)
	v_add_nc_u32_e32 v22, v26, v22
	v_clz_i32_u32_e32 v28, v25
	s_delay_alu instid0(VALU_DEP_3) | instskip(SKIP_1) | instid1(VALU_DEP_3)
	v_or_b32_e32 v27, v27, v23
	v_or_b32_e32 v23, 0x33800000, v23
	v_min_u32_e32 v28, 32, v28
	s_delay_alu instid0(VALU_DEP_3) | instskip(NEXT) | instid1(VALU_DEP_2)
	v_xor_b32_e32 v27, 1.0, v27
	v_sub_nc_u32_e32 v29, 31, v28
	v_add_lshl_u32 v24, v28, v24, 23
	s_delay_alu instid0(VALU_DEP_3) | instskip(NEXT) | instid1(VALU_DEP_3)
	v_mul_f32_e32 v28, 0x3fc90fda, v27
	v_alignbit_b32 v21, v25, v21, v29
	s_delay_alu instid0(VALU_DEP_3) | instskip(NEXT) | instid1(VALU_DEP_3)
	v_sub_nc_u32_e32 v23, v23, v24
	v_fma_f32 v24, 0x3fc90fda, v27, -v28
	s_delay_alu instid0(VALU_DEP_3) | instskip(NEXT) | instid1(VALU_DEP_2)
	v_lshrrev_b32_e32 v21, 9, v21
	v_fmamk_f32 v24, v27, 0x33a22168, v24
	s_delay_alu instid0(VALU_DEP_2) | instskip(NEXT) | instid1(VALU_DEP_1)
	v_or_b32_e32 v21, v23, v21
	v_fmac_f32_e32 v24, 0x3fc90fda, v21
	s_delay_alu instid0(VALU_DEP_1)
	v_add_f32_e32 v21, v28, v24
.LBB139_17:
	s_and_not1_saveexec_b32 s0, s10
; %bb.18:
	v_mul_f32_e64 v21, 0x3f22f983, |v19|
	s_delay_alu instid0(VALU_DEP_1) | instskip(NEXT) | instid1(VALU_DEP_1)
	v_rndne_f32_e32 v22, v21
	v_fma_f32 v21, 0xbfc90fda, v22, |v19|
	s_delay_alu instid0(VALU_DEP_1) | instskip(NEXT) | instid1(VALU_DEP_1)
	v_fmamk_f32 v21, v22, 0xb3a22168, v21
	v_fmamk_f32 v21, v22, 0xa7c234c4, v21
	v_cvt_i32_f32_e32 v22, v22
; %bb.19:
	s_or_b32 exec_lo, exec_lo, s0
	v_and_b32_e32 v23, 0x7fffffff, v8
	v_cmp_ngt_f32_e64 s10, 0x48000000, |v8|
                                        ; implicit-def: $vgpr25
                                        ; implicit-def: $vgpr24
	s_delay_alu instid0(VALU_DEP_2) | instskip(NEXT) | instid1(VALU_DEP_2)
	v_lshrrev_b32_e32 v28, 23, v23
	s_and_saveexec_b32 s0, s10
	s_delay_alu instid0(SALU_CYCLE_1)
	s_xor_b32 s11, exec_lo, s0
	s_cbranch_execz .LBB139_21
; %bb.20:
	s_mov_b32 s0, 0x7fffff
	v_mov_b32_e32 v26, 0
	v_and_or_b32 v27, v23, s0, 0x800000
	v_add_nc_u32_e32 v34, 0xffffff88, v28
	s_delay_alu instid0(VALU_DEP_2) | instskip(NEXT) | instid1(VALU_DEP_2)
	v_mad_u64_u32 v[24:25], null, 0xfe5163ab, v27, 0
	v_cmp_lt_u32_e32 vcc_lo, 63, v34
	v_cndmask_b32_e64 v35, 0, 0xffffffc0, vcc_lo
	s_delay_alu instid0(VALU_DEP_3) | instskip(NEXT) | instid1(VALU_DEP_1)
	v_mad_u64_u32 v[29:30], null, 0x3c439041, v27, v[25:26]
	v_mov_b32_e32 v25, v30
	s_delay_alu instid0(VALU_DEP_1) | instskip(NEXT) | instid1(VALU_DEP_1)
	v_mad_u64_u32 v[30:31], null, 0xdb629599, v27, v[25:26]
	v_dual_cndmask_b32 v24, v30, v24 :: v_dual_add_nc_u32 v35, v35, v34
	s_delay_alu instid0(VALU_DEP_2) | instskip(NEXT) | instid1(VALU_DEP_2)
	v_mov_b32_e32 v25, v31
	v_cmp_lt_u32_e64 s0, 31, v35
	s_delay_alu instid0(VALU_DEP_2) | instskip(NEXT) | instid1(VALU_DEP_2)
	v_mad_u64_u32 v[31:32], null, 0xf534ddc0, v27, v[25:26]
	v_cndmask_b32_e64 v36, 0, 0xffffffe0, s0
	s_delay_alu instid0(VALU_DEP_1) | instskip(NEXT) | instid1(VALU_DEP_3)
	v_add_nc_u32_e32 v36, v36, v35
	v_mov_b32_e32 v25, v32
	s_delay_alu instid0(VALU_DEP_4) | instskip(NEXT) | instid1(VALU_DEP_3)
	v_cndmask_b32_e32 v29, v31, v29, vcc_lo
	v_cmp_lt_u32_e64 s1, 31, v36
	s_delay_alu instid0(VALU_DEP_3) | instskip(NEXT) | instid1(VALU_DEP_3)
	v_mad_u64_u32 v[32:33], null, 0xfc2757d1, v27, v[25:26]
	v_cndmask_b32_e64 v24, v29, v24, s0
	s_delay_alu instid0(VALU_DEP_2) | instskip(NEXT) | instid1(VALU_DEP_1)
	v_mov_b32_e32 v25, v33
	v_mad_u64_u32 v[33:34], null, 0x4e441529, v27, v[25:26]
	s_delay_alu instid0(VALU_DEP_1) | instskip(NEXT) | instid1(VALU_DEP_1)
	v_mov_b32_e32 v25, v34
	v_mad_u64_u32 v[34:35], null, 0xa2f9836e, v27, v[25:26]
	v_cndmask_b32_e64 v25, 0, 0xffffffe0, s1
	s_delay_alu instid0(VALU_DEP_4) | instskip(NEXT) | instid1(VALU_DEP_2)
	v_cndmask_b32_e32 v26, v33, v31, vcc_lo
	v_add_nc_u32_e32 v25, v25, v36
	s_delay_alu instid0(VALU_DEP_4) | instskip(SKIP_1) | instid1(VALU_DEP_3)
	v_cndmask_b32_e32 v27, v34, v32, vcc_lo
	v_dual_cndmask_b32 v33, v35, v33 :: v_dual_cndmask_b32 v32, v32, v30
	v_cmp_eq_u32_e64 s2, 0, v25
	s_delay_alu instid0(VALU_DEP_3) | instskip(NEXT) | instid1(VALU_DEP_3)
	v_cndmask_b32_e64 v31, v27, v26, s0
	v_cndmask_b32_e64 v27, v33, v27, s0
	s_delay_alu instid0(VALU_DEP_4) | instskip(SKIP_2) | instid1(VALU_DEP_4)
	v_cndmask_b32_e64 v26, v26, v32, s0
	v_sub_nc_u32_e32 v33, 32, v25
	v_cndmask_b32_e64 v32, v32, v29, s0
	v_cndmask_b32_e64 v27, v27, v31, s1
	s_delay_alu instid0(VALU_DEP_4) | instskip(NEXT) | instid1(VALU_DEP_3)
	v_cndmask_b32_e64 v31, v31, v26, s1
	v_cndmask_b32_e64 v26, v26, v32, s1
	;; [unrolled: 1-line block ×3, first 2 shown]
	s_delay_alu instid0(VALU_DEP_3) | instskip(NEXT) | instid1(VALU_DEP_3)
	v_alignbit_b32 v34, v27, v31, v33
	v_alignbit_b32 v35, v31, v26, v33
	s_delay_alu instid0(VALU_DEP_3) | instskip(NEXT) | instid1(VALU_DEP_3)
	v_alignbit_b32 v33, v26, v24, v33
	v_cndmask_b32_e64 v25, v34, v27, s2
	s_delay_alu instid0(VALU_DEP_3) | instskip(NEXT) | instid1(VALU_DEP_3)
	v_cndmask_b32_e64 v27, v35, v31, s2
	v_cndmask_b32_e64 v26, v33, v26, s2
	s_delay_alu instid0(VALU_DEP_3) | instskip(NEXT) | instid1(VALU_DEP_3)
	v_bfe_u32 v30, v25, 29, 1
	v_alignbit_b32 v29, v25, v27, 30
	s_delay_alu instid0(VALU_DEP_3) | instskip(SKIP_1) | instid1(VALU_DEP_4)
	v_alignbit_b32 v27, v27, v26, 30
	v_alignbit_b32 v24, v26, v24, 30
	v_sub_nc_u32_e32 v31, 0, v30
	s_delay_alu instid0(VALU_DEP_1) | instskip(SKIP_3) | instid1(VALU_DEP_4)
	v_xor_b32_e32 v32, v29, v31
	v_cmp_ne_u32_e32 vcc_lo, v29, v31
	v_xor_b32_e32 v26, v27, v31
	v_xor_b32_e32 v24, v24, v31
	v_clz_i32_u32_e32 v34, v32
	s_delay_alu instid0(VALU_DEP_1) | instskip(NEXT) | instid1(VALU_DEP_1)
	v_add_nc_u32_e32 v33, 1, v34
	v_cndmask_b32_e32 v29, 33, v33, vcc_lo
	s_delay_alu instid0(VALU_DEP_1) | instskip(NEXT) | instid1(VALU_DEP_1)
	v_sub_nc_u32_e32 v27, 32, v29
	v_alignbit_b32 v31, v32, v26, v27
	v_alignbit_b32 v24, v26, v24, v27
	v_lshrrev_b32_e32 v26, 29, v25
	v_lshrrev_b32_e32 v25, 30, v25
	s_delay_alu instid0(VALU_DEP_3) | instskip(NEXT) | instid1(VALU_DEP_3)
	v_alignbit_b32 v27, v31, v24, 9
	v_lshlrev_b32_e32 v26, 31, v26
	v_alignbit_b32 v31, v29, v31, 9
	s_delay_alu instid0(VALU_DEP_4) | instskip(NEXT) | instid1(VALU_DEP_4)
	v_add_nc_u32_e32 v25, v30, v25
	v_clz_i32_u32_e32 v32, v27
	s_delay_alu instid0(VALU_DEP_3) | instskip(SKIP_1) | instid1(VALU_DEP_3)
	v_or_b32_e32 v31, v31, v26
	v_or_b32_e32 v26, 0x33800000, v26
	v_min_u32_e32 v32, 32, v32
	s_delay_alu instid0(VALU_DEP_3) | instskip(NEXT) | instid1(VALU_DEP_2)
	v_xor_b32_e32 v31, 1.0, v31
	v_sub_nc_u32_e32 v33, 31, v32
	v_add_lshl_u32 v29, v32, v29, 23
	s_delay_alu instid0(VALU_DEP_3) | instskip(NEXT) | instid1(VALU_DEP_3)
	v_mul_f32_e32 v32, 0x3fc90fda, v31
	v_alignbit_b32 v24, v27, v24, v33
	s_delay_alu instid0(VALU_DEP_3) | instskip(NEXT) | instid1(VALU_DEP_3)
	v_sub_nc_u32_e32 v26, v26, v29
	v_fma_f32 v27, 0x3fc90fda, v31, -v32
	s_delay_alu instid0(VALU_DEP_3) | instskip(NEXT) | instid1(VALU_DEP_2)
	v_lshrrev_b32_e32 v24, 9, v24
	v_fmamk_f32 v27, v31, 0x33a22168, v27
	s_delay_alu instid0(VALU_DEP_2) | instskip(NEXT) | instid1(VALU_DEP_1)
	v_or_b32_e32 v24, v26, v24
	v_fmac_f32_e32 v27, 0x3fc90fda, v24
	s_delay_alu instid0(VALU_DEP_1)
	v_add_f32_e32 v24, v32, v27
	s_or_saveexec_b32 s0, s11
	v_mul_f32_e64 v29, 0x3f22f983, |v8|
	s_xor_b32 exec_lo, exec_lo, s0
	s_branch .LBB139_22
.LBB139_21:
	s_or_saveexec_b32 s0, s11
	v_mul_f32_e64 v29, 0x3f22f983, |v8|
	s_xor_b32 exec_lo, exec_lo, s0
.LBB139_22:
	s_delay_alu instid0(VALU_DEP_1) | instskip(NEXT) | instid1(VALU_DEP_1)
	v_rndne_f32_e32 v25, v29
	v_fma_f32 v24, 0xbfc90fda, v25, |v8|
	s_delay_alu instid0(VALU_DEP_1) | instskip(NEXT) | instid1(VALU_DEP_1)
	v_fmamk_f32 v24, v25, 0xb3a22168, v24
	v_fmamk_f32 v24, v25, 0xa7c234c4, v24
	v_cvt_i32_f32_e32 v25, v25
; %bb.23:
	s_or_b32 exec_lo, exec_lo, s0
                                        ; implicit-def: $vgpr27
                                        ; implicit-def: $vgpr26
	s_and_saveexec_b32 s0, s10
	s_delay_alu instid0(SALU_CYCLE_1)
	s_xor_b32 s10, exec_lo, s0
	s_cbranch_execz .LBB139_25
; %bb.24:
	s_mov_b32 s0, 0x7fffff
	s_delay_alu instid0(SALU_CYCLE_1) | instskip(NEXT) | instid1(VALU_DEP_1)
	v_and_or_b32 v37, v23, s0, 0x800000
	v_mad_u64_u32 v[26:27], null, 0xfe5163ab, v37, 0
	s_delay_alu instid0(VALU_DEP_1) | instskip(NEXT) | instid1(VALU_DEP_1)
	v_dual_mov_b32 v30, 0 :: v_dual_mov_b32 v29, v27
	v_mad_u64_u32 v[31:32], null, 0x3c439041, v37, v[29:30]
	s_delay_alu instid0(VALU_DEP_1) | instskip(NEXT) | instid1(VALU_DEP_1)
	v_mov_b32_e32 v29, v32
	v_mad_u64_u32 v[32:33], null, 0xdb629599, v37, v[29:30]
	s_delay_alu instid0(VALU_DEP_1) | instskip(NEXT) | instid1(VALU_DEP_1)
	v_mov_b32_e32 v29, v33
	v_mad_u64_u32 v[33:34], null, 0xf534ddc0, v37, v[29:30]
	s_delay_alu instid0(VALU_DEP_1) | instskip(NEXT) | instid1(VALU_DEP_1)
	v_dual_mov_b32 v29, v34 :: v_dual_add_nc_u32 v34, 0xffffff88, v28
	v_mad_u64_u32 v[27:28], null, 0xfc2757d1, v37, v[29:30]
	s_delay_alu instid0(VALU_DEP_2) | instskip(SKIP_1) | instid1(VALU_DEP_3)
	v_cmp_lt_u32_e32 vcc_lo, 63, v34
	v_cndmask_b32_e64 v35, 0, 0xffffffc0, vcc_lo
	v_mov_b32_e32 v29, v28
	v_cndmask_b32_e32 v26, v32, v26, vcc_lo
	s_delay_alu instid0(VALU_DEP_3) | instskip(NEXT) | instid1(VALU_DEP_3)
	v_add_nc_u32_e32 v28, v35, v34
	v_mad_u64_u32 v[34:35], null, 0x4e441529, v37, v[29:30]
	s_delay_alu instid0(VALU_DEP_2) | instskip(NEXT) | instid1(VALU_DEP_2)
	v_cmp_lt_u32_e64 s0, 31, v28
	v_mov_b32_e32 v29, v35
	s_delay_alu instid0(VALU_DEP_2) | instskip(NEXT) | instid1(VALU_DEP_1)
	v_cndmask_b32_e64 v36, 0, 0xffffffe0, s0
	v_add_nc_u32_e32 v28, v36, v28
	s_delay_alu instid0(VALU_DEP_3) | instskip(SKIP_1) | instid1(VALU_DEP_3)
	v_mad_u64_u32 v[35:36], null, 0xa2f9836e, v37, v[29:30]
	v_cndmask_b32_e32 v30, v34, v33, vcc_lo
	v_cmp_lt_u32_e64 s1, 31, v28
	s_delay_alu instid0(VALU_DEP_3) | instskip(NEXT) | instid1(VALU_DEP_2)
	v_cndmask_b32_e32 v34, v36, v34, vcc_lo
	v_cndmask_b32_e64 v29, 0, 0xffffffe0, s1
	v_cndmask_b32_e32 v35, v35, v27, vcc_lo
	v_cndmask_b32_e32 v27, v27, v32, vcc_lo
	s_delay_alu instid0(VALU_DEP_3) | instskip(SKIP_1) | instid1(VALU_DEP_4)
	v_add_nc_u32_e32 v28, v29, v28
	v_cndmask_b32_e32 v29, v33, v31, vcc_lo
	v_cndmask_b32_e64 v31, v35, v30, s0
	v_cndmask_b32_e64 v33, v34, v35, s0
	v_cndmask_b32_e64 v30, v30, v27, s0
	v_sub_nc_u32_e32 v34, 32, v28
	v_cndmask_b32_e64 v27, v27, v29, s0
	v_cmp_eq_u32_e64 s2, 0, v28
	v_cndmask_b32_e64 v33, v33, v31, s1
	v_cndmask_b32_e64 v31, v31, v30, s1
	;; [unrolled: 1-line block ×4, first 2 shown]
	s_delay_alu instid0(VALU_DEP_3) | instskip(NEXT) | instid1(VALU_DEP_3)
	v_alignbit_b32 v35, v33, v31, v34
	v_cndmask_b32_e64 v26, v27, v26, s1
	s_delay_alu instid0(VALU_DEP_3) | instskip(NEXT) | instid1(VALU_DEP_3)
	v_alignbit_b32 v36, v31, v30, v34
	v_cndmask_b32_e64 v28, v35, v33, s2
	;; [unrolled: 3-line block ×3, first 2 shown]
	s_delay_alu instid0(VALU_DEP_3) | instskip(NEXT) | instid1(VALU_DEP_3)
	v_bfe_u32 v32, v28, 29, 1
	v_cndmask_b32_e64 v30, v34, v30, s2
	s_delay_alu instid0(VALU_DEP_3) | instskip(NEXT) | instid1(VALU_DEP_3)
	v_alignbit_b32 v29, v28, v31, 30
	v_sub_nc_u32_e32 v33, 0, v32
	s_delay_alu instid0(VALU_DEP_3) | instskip(SKIP_1) | instid1(VALU_DEP_3)
	v_alignbit_b32 v31, v31, v30, 30
	v_alignbit_b32 v26, v30, v26, 30
	v_xor_b32_e32 v27, v29, v33
	v_cmp_ne_u32_e32 vcc_lo, v29, v33
	s_delay_alu instid0(VALU_DEP_4) | instskip(NEXT) | instid1(VALU_DEP_4)
	v_xor_b32_e32 v30, v31, v33
	v_xor_b32_e32 v26, v26, v33
	s_delay_alu instid0(VALU_DEP_4) | instskip(NEXT) | instid1(VALU_DEP_1)
	v_clz_i32_u32_e32 v35, v27
	v_add_nc_u32_e32 v34, 1, v35
	s_delay_alu instid0(VALU_DEP_1) | instskip(NEXT) | instid1(VALU_DEP_1)
	v_cndmask_b32_e32 v29, 33, v34, vcc_lo
	v_sub_nc_u32_e32 v31, 32, v29
	s_delay_alu instid0(VALU_DEP_1) | instskip(SKIP_3) | instid1(VALU_DEP_3)
	v_alignbit_b32 v27, v27, v30, v31
	v_alignbit_b32 v26, v30, v26, v31
	v_lshrrev_b32_e32 v30, 29, v28
	v_lshrrev_b32_e32 v28, 30, v28
	v_alignbit_b32 v31, v27, v26, 9
	s_delay_alu instid0(VALU_DEP_3) | instskip(SKIP_1) | instid1(VALU_DEP_3)
	v_lshlrev_b32_e32 v30, 31, v30
	v_alignbit_b32 v27, v29, v27, 9
	v_clz_i32_u32_e32 v33, v31
	s_delay_alu instid0(VALU_DEP_2) | instskip(SKIP_1) | instid1(VALU_DEP_3)
	v_or_b32_e32 v27, v27, v30
	v_or_b32_e32 v30, 0x33800000, v30
	v_min_u32_e32 v33, 32, v33
	s_delay_alu instid0(VALU_DEP_3) | instskip(NEXT) | instid1(VALU_DEP_2)
	v_xor_b32_e32 v27, 1.0, v27
	v_sub_nc_u32_e32 v34, 31, v33
	v_add_lshl_u32 v29, v33, v29, 23
	s_delay_alu instid0(VALU_DEP_3) | instskip(NEXT) | instid1(VALU_DEP_3)
	v_mul_f32_e32 v33, 0x3fc90fda, v27
	v_alignbit_b32 v26, v31, v26, v34
	s_delay_alu instid0(VALU_DEP_3) | instskip(NEXT) | instid1(VALU_DEP_3)
	v_sub_nc_u32_e32 v29, v30, v29
	v_fma_f32 v30, 0x3fc90fda, v27, -v33
	s_delay_alu instid0(VALU_DEP_3) | instskip(NEXT) | instid1(VALU_DEP_2)
	v_lshrrev_b32_e32 v26, 9, v26
	v_fmamk_f32 v27, v27, 0x33a22168, v30
	s_delay_alu instid0(VALU_DEP_2) | instskip(NEXT) | instid1(VALU_DEP_1)
	v_or_b32_e32 v26, v29, v26
                                        ; implicit-def: $vgpr29
	v_fmac_f32_e32 v27, 0x3fc90fda, v26
	s_delay_alu instid0(VALU_DEP_1)
	v_dual_add_f32 v26, v33, v27 :: v_dual_add_nc_u32 v27, v32, v28
	s_and_not1_saveexec_b32 s0, s10
	s_cbranch_execnz .LBB139_26
	s_branch .LBB139_27
.LBB139_25:
	s_and_not1_saveexec_b32 s0, s10
.LBB139_26:
	v_rndne_f32_e32 v27, v29
	s_delay_alu instid0(VALU_DEP_1) | instskip(NEXT) | instid1(VALU_DEP_1)
	v_fma_f32 v26, 0xbfc90fda, v27, |v8|
	v_fmamk_f32 v26, v27, 0xb3a22168, v26
	s_delay_alu instid0(VALU_DEP_1)
	v_fmamk_f32 v26, v27, 0xa7c234c4, v26
	v_cvt_i32_f32_e32 v27, v27
.LBB139_27:
	s_or_b32 exec_lo, exec_lo, s0
	s_waitcnt vmcnt(0)
	v_mul_f32_e32 v28, 0.5, v2
                                        ; implicit-def: $vgpr33
                                        ; implicit-def: $vgpr32
	s_mov_b32 s1, exec_lo
	s_delay_alu instid0(VALU_DEP_1)
	v_and_b32_e32 v30, 0x7fffffff, v28
	v_cmpx_ngt_f32_e64 0x48000000, |v28|
	s_xor_b32 s10, exec_lo, s1
	s_cbranch_execz .LBB139_29
; %bb.28:
	s_mov_b32 s0, 0x7fffff
	v_mov_b32_e32 v33, 0
	v_and_or_b32 v29, v30, s0, 0x800000
	v_lshrrev_b32_e32 v38, 23, v30
	s_delay_alu instid0(VALU_DEP_2) | instskip(NEXT) | instid1(VALU_DEP_2)
	v_mad_u64_u32 v[31:32], null, 0xfe5163ab, v29, 0
	v_add_nc_u32_e32 v39, 0xffffff88, v38
	s_delay_alu instid0(VALU_DEP_1) | instskip(NEXT) | instid1(VALU_DEP_3)
	v_cmp_lt_u32_e32 vcc_lo, 63, v39
	v_mad_u64_u32 v[34:35], null, 0x3c439041, v29, v[32:33]
	v_cndmask_b32_e64 v40, 0, 0xffffffc0, vcc_lo
	s_delay_alu instid0(VALU_DEP_2) | instskip(NEXT) | instid1(VALU_DEP_2)
	v_mov_b32_e32 v32, v35
	v_add_nc_u32_e32 v40, v40, v39
	s_delay_alu instid0(VALU_DEP_2) | instskip(NEXT) | instid1(VALU_DEP_2)
	v_mad_u64_u32 v[35:36], null, 0xdb629599, v29, v[32:33]
	v_cmp_lt_u32_e64 s0, 31, v40
	s_delay_alu instid0(VALU_DEP_1) | instskip(NEXT) | instid1(VALU_DEP_3)
	v_cndmask_b32_e64 v41, 0, 0xffffffe0, s0
	v_dual_mov_b32 v32, v36 :: v_dual_cndmask_b32 v31, v35, v31
	s_delay_alu instid0(VALU_DEP_2) | instskip(NEXT) | instid1(VALU_DEP_2)
	v_add_nc_u32_e32 v41, v41, v40
	v_mad_u64_u32 v[36:37], null, 0xf534ddc0, v29, v[32:33]
	s_delay_alu instid0(VALU_DEP_2) | instskip(NEXT) | instid1(VALU_DEP_2)
	v_cmp_lt_u32_e64 s1, 31, v41
	v_mov_b32_e32 v32, v37
	s_delay_alu instid0(VALU_DEP_3) | instskip(NEXT) | instid1(VALU_DEP_2)
	v_cndmask_b32_e32 v34, v36, v34, vcc_lo
	v_mad_u64_u32 v[37:38], null, 0xfc2757d1, v29, v[32:33]
	s_delay_alu instid0(VALU_DEP_2) | instskip(NEXT) | instid1(VALU_DEP_2)
	v_cndmask_b32_e64 v31, v34, v31, s0
	v_mov_b32_e32 v32, v38
	s_delay_alu instid0(VALU_DEP_1) | instskip(NEXT) | instid1(VALU_DEP_1)
	v_mad_u64_u32 v[38:39], null, 0x4e441529, v29, v[32:33]
	v_mov_b32_e32 v32, v39
	s_delay_alu instid0(VALU_DEP_1) | instskip(SKIP_1) | instid1(VALU_DEP_1)
	v_mad_u64_u32 v[39:40], null, 0xa2f9836e, v29, v[32:33]
	v_cndmask_b32_e64 v29, 0, 0xffffffe0, s1
	v_dual_cndmask_b32 v32, v38, v36 :: v_dual_add_nc_u32 v29, v29, v41
	s_delay_alu instid0(VALU_DEP_3) | instskip(SKIP_1) | instid1(VALU_DEP_3)
	v_dual_cndmask_b32 v33, v39, v37 :: v_dual_cndmask_b32 v38, v40, v38
	v_cndmask_b32_e32 v37, v37, v35, vcc_lo
	v_cmp_eq_u32_e64 s2, 0, v29
	s_delay_alu instid0(VALU_DEP_3) | instskip(NEXT) | instid1(VALU_DEP_4)
	v_cndmask_b32_e64 v36, v33, v32, s0
	v_cndmask_b32_e64 v33, v38, v33, s0
	s_delay_alu instid0(VALU_DEP_4) | instskip(SKIP_2) | instid1(VALU_DEP_4)
	v_cndmask_b32_e64 v32, v32, v37, s0
	v_sub_nc_u32_e32 v38, 32, v29
	v_cndmask_b32_e64 v37, v37, v34, s0
	v_cndmask_b32_e64 v33, v33, v36, s1
	s_delay_alu instid0(VALU_DEP_4) | instskip(NEXT) | instid1(VALU_DEP_3)
	v_cndmask_b32_e64 v36, v36, v32, s1
	v_cndmask_b32_e64 v32, v32, v37, s1
	v_cndmask_b32_e64 v31, v37, v31, s1
	s_delay_alu instid0(VALU_DEP_3) | instskip(NEXT) | instid1(VALU_DEP_3)
	v_alignbit_b32 v39, v33, v36, v38
	v_alignbit_b32 v40, v36, v32, v38
	s_delay_alu instid0(VALU_DEP_3) | instskip(NEXT) | instid1(VALU_DEP_3)
	v_alignbit_b32 v38, v32, v31, v38
	v_cndmask_b32_e64 v29, v39, v33, s2
	s_delay_alu instid0(VALU_DEP_3) | instskip(NEXT) | instid1(VALU_DEP_3)
	v_cndmask_b32_e64 v33, v40, v36, s2
	v_cndmask_b32_e64 v32, v38, v32, s2
	s_delay_alu instid0(VALU_DEP_3) | instskip(NEXT) | instid1(VALU_DEP_3)
	v_bfe_u32 v35, v29, 29, 1
	v_alignbit_b32 v34, v29, v33, 30
	s_delay_alu instid0(VALU_DEP_3) | instskip(SKIP_1) | instid1(VALU_DEP_4)
	v_alignbit_b32 v33, v33, v32, 30
	v_alignbit_b32 v31, v32, v31, 30
	v_sub_nc_u32_e32 v36, 0, v35
	s_delay_alu instid0(VALU_DEP_1) | instskip(SKIP_3) | instid1(VALU_DEP_4)
	v_xor_b32_e32 v37, v34, v36
	v_cmp_ne_u32_e32 vcc_lo, v34, v36
	v_xor_b32_e32 v32, v33, v36
	v_xor_b32_e32 v31, v31, v36
	v_clz_i32_u32_e32 v39, v37
	s_delay_alu instid0(VALU_DEP_1) | instskip(NEXT) | instid1(VALU_DEP_1)
	v_add_nc_u32_e32 v38, 1, v39
	v_cndmask_b32_e32 v34, 33, v38, vcc_lo
	s_delay_alu instid0(VALU_DEP_1) | instskip(NEXT) | instid1(VALU_DEP_1)
	v_sub_nc_u32_e32 v33, 32, v34
	v_alignbit_b32 v36, v37, v32, v33
	v_alignbit_b32 v31, v32, v31, v33
	v_lshrrev_b32_e32 v32, 29, v29
	v_lshrrev_b32_e32 v29, 30, v29
	s_delay_alu instid0(VALU_DEP_3) | instskip(NEXT) | instid1(VALU_DEP_3)
	v_alignbit_b32 v33, v36, v31, 9
	v_lshlrev_b32_e32 v32, 31, v32
	v_alignbit_b32 v36, v34, v36, 9
	s_delay_alu instid0(VALU_DEP_3) | instskip(NEXT) | instid1(VALU_DEP_2)
	v_clz_i32_u32_e32 v37, v33
	v_or_b32_e32 v36, v36, v32
	v_or_b32_e32 v32, 0x33800000, v32
	s_delay_alu instid0(VALU_DEP_3) | instskip(NEXT) | instid1(VALU_DEP_3)
	v_min_u32_e32 v37, 32, v37
	v_xor_b32_e32 v36, 1.0, v36
	s_delay_alu instid0(VALU_DEP_2) | instskip(SKIP_1) | instid1(VALU_DEP_3)
	v_sub_nc_u32_e32 v38, 31, v37
	v_add_lshl_u32 v34, v37, v34, 23
	v_mul_f32_e32 v37, 0x3fc90fda, v36
	s_delay_alu instid0(VALU_DEP_3) | instskip(NEXT) | instid1(VALU_DEP_3)
	v_alignbit_b32 v31, v33, v31, v38
	v_sub_nc_u32_e32 v32, v32, v34
	s_delay_alu instid0(VALU_DEP_3) | instskip(NEXT) | instid1(VALU_DEP_3)
	v_fma_f32 v33, 0x3fc90fda, v36, -v37
	v_lshrrev_b32_e32 v31, 9, v31
	s_delay_alu instid0(VALU_DEP_2) | instskip(NEXT) | instid1(VALU_DEP_2)
	v_fmamk_f32 v33, v36, 0x33a22168, v33
	v_or_b32_e32 v31, v32, v31
	s_delay_alu instid0(VALU_DEP_1) | instskip(NEXT) | instid1(VALU_DEP_1)
	v_fmac_f32_e32 v33, 0x3fc90fda, v31
	v_add_f32_e32 v32, v37, v33
	v_add_nc_u32_e32 v33, v35, v29
.LBB139_29:
	s_and_not1_saveexec_b32 s0, s10
; %bb.30:
	v_mul_f32_e64 v29, 0x3f22f983, |v28|
	s_delay_alu instid0(VALU_DEP_1) | instskip(NEXT) | instid1(VALU_DEP_1)
	v_rndne_f32_e32 v29, v29
	v_fma_f32 v31, 0xbfc90fda, v29, |v28|
	v_cvt_i32_f32_e32 v33, v29
	s_delay_alu instid0(VALU_DEP_2) | instskip(NEXT) | instid1(VALU_DEP_1)
	v_fmamk_f32 v31, v29, 0xb3a22168, v31
	v_fmamk_f32 v32, v29, 0xa7c234c4, v31
; %bb.31:
	s_or_b32 exec_lo, exec_lo, s0
	v_and_b32_e32 v35, 0x7fffffff, v2
	v_cmp_ngt_f32_e64 s10, 0x48000000, |v2|
                                        ; implicit-def: $vgpr39
                                        ; implicit-def: $vgpr38
	s_delay_alu instid0(VALU_DEP_2) | instskip(NEXT) | instid1(VALU_DEP_2)
	v_lshrrev_b32_e32 v29, 23, v35
	s_and_saveexec_b32 s0, s10
	s_delay_alu instid0(SALU_CYCLE_1)
	s_xor_b32 s11, exec_lo, s0
	s_cbranch_execz .LBB139_33
; %bb.32:
	s_mov_b32 s0, 0x7fffff
	v_mov_b32_e32 v38, 0
	v_and_or_b32 v31, v35, s0, 0x800000
	v_add_nc_u32_e32 v34, 0xffffff88, v29
	s_delay_alu instid0(VALU_DEP_2) | instskip(NEXT) | instid1(VALU_DEP_2)
	v_mad_u64_u32 v[36:37], null, 0xfe5163ab, v31, 0
	v_cmp_lt_u32_e32 vcc_lo, 63, v34
	v_cndmask_b32_e64 v44, 0, 0xffffffc0, vcc_lo
	s_delay_alu instid0(VALU_DEP_3) | instskip(NEXT) | instid1(VALU_DEP_2)
	v_mad_u64_u32 v[39:40], null, 0x3c439041, v31, v[37:38]
	v_add_nc_u32_e32 v34, v44, v34
	s_delay_alu instid0(VALU_DEP_2) | instskip(NEXT) | instid1(VALU_DEP_2)
	v_mov_b32_e32 v37, v40
	v_cmp_lt_u32_e64 s0, 31, v34
	s_delay_alu instid0(VALU_DEP_2) | instskip(NEXT) | instid1(VALU_DEP_2)
	v_mad_u64_u32 v[40:41], null, 0xdb629599, v31, v[37:38]
	v_cndmask_b32_e64 v45, 0, 0xffffffe0, s0
	s_delay_alu instid0(VALU_DEP_1) | instskip(NEXT) | instid1(VALU_DEP_3)
	v_add_nc_u32_e32 v34, v45, v34
	v_dual_mov_b32 v37, v41 :: v_dual_cndmask_b32 v36, v40, v36
	s_delay_alu instid0(VALU_DEP_2) | instskip(NEXT) | instid1(VALU_DEP_2)
	v_cmp_lt_u32_e64 s1, 31, v34
	v_mad_u64_u32 v[41:42], null, 0xf534ddc0, v31, v[37:38]
	s_delay_alu instid0(VALU_DEP_1) | instskip(NEXT) | instid1(VALU_DEP_1)
	v_mov_b32_e32 v37, v42
	v_mad_u64_u32 v[42:43], null, 0xfc2757d1, v31, v[37:38]
	s_delay_alu instid0(VALU_DEP_1) | instskip(NEXT) | instid1(VALU_DEP_1)
	v_mov_b32_e32 v37, v43
	;; [unrolled: 3-line block ×3, first 2 shown]
	v_mad_u64_u32 v[44:45], null, 0xa2f9836e, v31, v[37:38]
	v_cndmask_b32_e64 v31, 0, 0xffffffe0, s1
	s_delay_alu instid0(VALU_DEP_4) | instskip(NEXT) | instid1(VALU_DEP_2)
	v_cndmask_b32_e32 v37, v43, v41, vcc_lo
	v_dual_cndmask_b32 v34, v41, v39 :: v_dual_add_nc_u32 v31, v31, v34
	s_delay_alu instid0(VALU_DEP_4) | instskip(SKIP_1) | instid1(VALU_DEP_3)
	v_dual_cndmask_b32 v38, v44, v42 :: v_dual_cndmask_b32 v43, v45, v43
	v_cndmask_b32_e32 v42, v42, v40, vcc_lo
	v_sub_nc_u32_e32 v41, 32, v31
	v_cmp_eq_u32_e64 s2, 0, v31
	s_delay_alu instid0(VALU_DEP_4) | instskip(SKIP_4) | instid1(VALU_DEP_4)
	v_cndmask_b32_e64 v39, v38, v37, s0
	v_cndmask_b32_e64 v38, v43, v38, s0
	;; [unrolled: 1-line block ×6, first 2 shown]
	s_delay_alu instid0(VALU_DEP_4) | instskip(NEXT) | instid1(VALU_DEP_4)
	v_cndmask_b32_e64 v39, v39, v37, s1
	v_cndmask_b32_e64 v37, v37, v42, s1
	s_delay_alu instid0(VALU_DEP_4) | instskip(NEXT) | instid1(VALU_DEP_3)
	v_cndmask_b32_e64 v34, v42, v34, s1
	v_alignbit_b32 v43, v38, v39, v41
	s_delay_alu instid0(VALU_DEP_3) | instskip(NEXT) | instid1(VALU_DEP_3)
	v_alignbit_b32 v44, v39, v37, v41
	v_alignbit_b32 v41, v37, v34, v41
	s_delay_alu instid0(VALU_DEP_3) | instskip(NEXT) | instid1(VALU_DEP_3)
	v_cndmask_b32_e64 v31, v43, v38, s2
	v_cndmask_b32_e64 v38, v44, v39, s2
	s_delay_alu instid0(VALU_DEP_3) | instskip(NEXT) | instid1(VALU_DEP_3)
	v_cndmask_b32_e64 v37, v41, v37, s2
	v_bfe_u32 v39, v31, 29, 1
	s_delay_alu instid0(VALU_DEP_3) | instskip(NEXT) | instid1(VALU_DEP_3)
	v_alignbit_b32 v36, v31, v38, 30
	v_alignbit_b32 v38, v38, v37, 30
	;; [unrolled: 1-line block ×3, first 2 shown]
	s_delay_alu instid0(VALU_DEP_4) | instskip(NEXT) | instid1(VALU_DEP_1)
	v_sub_nc_u32_e32 v40, 0, v39
	v_xor_b32_e32 v42, v36, v40
	v_cmp_ne_u32_e32 vcc_lo, v36, v40
	v_xor_b32_e32 v37, v38, v40
	v_xor_b32_e32 v34, v34, v40
	s_delay_alu instid0(VALU_DEP_4) | instskip(NEXT) | instid1(VALU_DEP_1)
	v_clz_i32_u32_e32 v43, v42
	v_add_nc_u32_e32 v41, 1, v43
	s_delay_alu instid0(VALU_DEP_1) | instskip(NEXT) | instid1(VALU_DEP_1)
	v_cndmask_b32_e32 v36, 33, v41, vcc_lo
	v_sub_nc_u32_e32 v38, 32, v36
	s_delay_alu instid0(VALU_DEP_1) | instskip(SKIP_3) | instid1(VALU_DEP_3)
	v_alignbit_b32 v40, v42, v37, v38
	v_alignbit_b32 v34, v37, v34, v38
	v_lshrrev_b32_e32 v37, 29, v31
	v_lshrrev_b32_e32 v31, 30, v31
	v_alignbit_b32 v38, v40, v34, 9
	s_delay_alu instid0(VALU_DEP_3) | instskip(SKIP_1) | instid1(VALU_DEP_4)
	v_lshlrev_b32_e32 v37, 31, v37
	v_alignbit_b32 v40, v36, v40, 9
	v_add_nc_u32_e32 v39, v39, v31
	s_delay_alu instid0(VALU_DEP_4) | instskip(NEXT) | instid1(VALU_DEP_3)
	v_clz_i32_u32_e32 v41, v38
	v_or_b32_e32 v40, v40, v37
	v_or_b32_e32 v37, 0x33800000, v37
	s_delay_alu instid0(VALU_DEP_3) | instskip(NEXT) | instid1(VALU_DEP_3)
	v_min_u32_e32 v41, 32, v41
	v_xor_b32_e32 v40, 1.0, v40
	s_delay_alu instid0(VALU_DEP_2) | instskip(SKIP_1) | instid1(VALU_DEP_3)
	v_sub_nc_u32_e32 v42, 31, v41
	v_add_lshl_u32 v36, v41, v36, 23
	v_mul_f32_e32 v41, 0x3fc90fda, v40
	s_delay_alu instid0(VALU_DEP_3) | instskip(NEXT) | instid1(VALU_DEP_3)
	v_alignbit_b32 v34, v38, v34, v42
	v_sub_nc_u32_e32 v36, v37, v36
	s_delay_alu instid0(VALU_DEP_3) | instskip(NEXT) | instid1(VALU_DEP_3)
	v_fma_f32 v37, 0x3fc90fda, v40, -v41
	v_lshrrev_b32_e32 v34, 9, v34
	s_delay_alu instid0(VALU_DEP_2) | instskip(NEXT) | instid1(VALU_DEP_2)
	v_fmamk_f32 v37, v40, 0x33a22168, v37
	v_or_b32_e32 v34, v36, v34
	s_delay_alu instid0(VALU_DEP_1) | instskip(NEXT) | instid1(VALU_DEP_1)
	v_fmac_f32_e32 v37, 0x3fc90fda, v34
	v_add_f32_e32 v38, v41, v37
	s_or_saveexec_b32 s0, s11
	v_mul_f32_e64 v31, 0x3f22f983, |v2|
	s_xor_b32 exec_lo, exec_lo, s0
	s_branch .LBB139_34
.LBB139_33:
	s_or_saveexec_b32 s0, s11
	v_mul_f32_e64 v31, 0x3f22f983, |v2|
	s_xor_b32 exec_lo, exec_lo, s0
.LBB139_34:
	s_delay_alu instid0(VALU_DEP_1) | instskip(NEXT) | instid1(VALU_DEP_1)
	v_rndne_f32_e32 v34, v31
	v_fma_f32 v36, 0xbfc90fda, v34, |v2|
	v_cvt_i32_f32_e32 v39, v34
	s_delay_alu instid0(VALU_DEP_2) | instskip(NEXT) | instid1(VALU_DEP_1)
	v_fmamk_f32 v36, v34, 0xb3a22168, v36
	v_fmamk_f32 v38, v34, 0xa7c234c4, v36
; %bb.35:
	s_or_b32 exec_lo, exec_lo, s0
                                        ; implicit-def: $vgpr45
                                        ; implicit-def: $vgpr42
	s_and_saveexec_b32 s0, s10
	s_delay_alu instid0(SALU_CYCLE_1)
	s_xor_b32 s10, exec_lo, s0
	s_cbranch_execz .LBB139_37
; %bb.36:
	s_mov_b32 s0, 0x7fffff
	v_add_nc_u32_e32 v29, 0xffffff88, v29
	v_and_or_b32 v31, v35, s0, 0x800000
	s_delay_alu instid0(VALU_DEP_2) | instskip(NEXT) | instid1(VALU_DEP_2)
	v_cmp_lt_u32_e32 vcc_lo, 63, v29
	v_mad_u64_u32 v[36:37], null, 0xfe5163ab, v31, 0
	v_mov_b32_e32 v41, 0
	v_cndmask_b32_e64 v34, 0, 0xffffffc0, vcc_lo
	s_delay_alu instid0(VALU_DEP_1) | instskip(NEXT) | instid1(VALU_DEP_1)
	v_dual_mov_b32 v40, v37 :: v_dual_add_nc_u32 v29, v34, v29
	v_mad_u64_u32 v[42:43], null, 0x3c439041, v31, v[40:41]
	s_delay_alu instid0(VALU_DEP_2) | instskip(NEXT) | instid1(VALU_DEP_1)
	v_cmp_lt_u32_e64 s0, 31, v29
	v_cndmask_b32_e64 v34, 0, 0xffffffe0, s0
	s_delay_alu instid0(VALU_DEP_1) | instskip(NEXT) | instid1(VALU_DEP_1)
	v_dual_mov_b32 v40, v43 :: v_dual_add_nc_u32 v29, v34, v29
	v_mad_u64_u32 v[43:44], null, 0xdb629599, v31, v[40:41]
	s_delay_alu instid0(VALU_DEP_2) | instskip(NEXT) | instid1(VALU_DEP_2)
	v_cmp_lt_u32_e64 s1, 31, v29
	v_mov_b32_e32 v40, v44
	s_delay_alu instid0(VALU_DEP_3) | instskip(NEXT) | instid1(VALU_DEP_2)
	v_cndmask_b32_e32 v36, v43, v36, vcc_lo
	v_mad_u64_u32 v[44:45], null, 0xf534ddc0, v31, v[40:41]
	s_delay_alu instid0(VALU_DEP_1) | instskip(NEXT) | instid1(VALU_DEP_1)
	v_mov_b32_e32 v40, v45
	v_mad_u64_u32 v[45:46], null, 0xfc2757d1, v31, v[40:41]
	s_delay_alu instid0(VALU_DEP_1) | instskip(NEXT) | instid1(VALU_DEP_1)
	v_mov_b32_e32 v40, v46
	v_mad_u64_u32 v[46:47], null, 0x4e441529, v31, v[40:41]
	s_delay_alu instid0(VALU_DEP_1) | instskip(NEXT) | instid1(VALU_DEP_1)
	v_mov_b32_e32 v40, v47
	v_mad_u64_u32 v[47:48], null, 0xa2f9836e, v31, v[40:41]
	v_cndmask_b32_e32 v41, v45, v43, vcc_lo
	v_cndmask_b32_e64 v31, 0, 0xffffffe0, s1
	s_delay_alu instid0(VALU_DEP_1) | instskip(NEXT) | instid1(VALU_DEP_4)
	v_dual_cndmask_b32 v34, v46, v44 :: v_dual_add_nc_u32 v29, v31, v29
	v_dual_cndmask_b32 v37, v47, v45 :: v_dual_cndmask_b32 v40, v48, v46
	v_cndmask_b32_e32 v31, v44, v42, vcc_lo
	s_delay_alu instid0(VALU_DEP_3) | instskip(NEXT) | instid1(VALU_DEP_3)
	v_cmp_eq_u32_e64 s2, 0, v29
	v_cndmask_b32_e64 v42, v37, v34, s0
	s_delay_alu instid0(VALU_DEP_4)
	v_cndmask_b32_e64 v37, v40, v37, s0
	v_cndmask_b32_e64 v34, v34, v41, s0
	v_sub_nc_u32_e32 v40, 32, v29
	v_cndmask_b32_e64 v41, v41, v31, s0
	v_cndmask_b32_e64 v31, v31, v36, s0
	;; [unrolled: 1-line block ×4, first 2 shown]
	s_delay_alu instid0(VALU_DEP_4) | instskip(NEXT) | instid1(VALU_DEP_4)
	v_cndmask_b32_e64 v34, v34, v41, s1
	v_cndmask_b32_e64 v31, v41, v31, s1
	s_delay_alu instid0(VALU_DEP_3) | instskip(NEXT) | instid1(VALU_DEP_3)
	v_alignbit_b32 v44, v37, v42, v40
	v_alignbit_b32 v45, v42, v34, v40
	s_delay_alu instid0(VALU_DEP_3) | instskip(NEXT) | instid1(VALU_DEP_3)
	v_alignbit_b32 v40, v34, v31, v40
	v_cndmask_b32_e64 v29, v44, v37, s2
	s_delay_alu instid0(VALU_DEP_3) | instskip(NEXT) | instid1(VALU_DEP_3)
	v_cndmask_b32_e64 v37, v45, v42, s2
	v_cndmask_b32_e64 v34, v40, v34, s2
	s_delay_alu instid0(VALU_DEP_3) | instskip(NEXT) | instid1(VALU_DEP_3)
	v_bfe_u32 v43, v29, 29, 1
	v_alignbit_b32 v36, v29, v37, 30
	s_delay_alu instid0(VALU_DEP_3) | instskip(SKIP_1) | instid1(VALU_DEP_4)
	v_alignbit_b32 v37, v37, v34, 30
	v_alignbit_b32 v31, v34, v31, 30
	v_sub_nc_u32_e32 v42, 0, v43
	s_delay_alu instid0(VALU_DEP_1) | instskip(SKIP_3) | instid1(VALU_DEP_4)
	v_xor_b32_e32 v41, v36, v42
	v_cmp_ne_u32_e32 vcc_lo, v36, v42
	v_xor_b32_e32 v34, v37, v42
	v_xor_b32_e32 v31, v31, v42
	v_clz_i32_u32_e32 v44, v41
	s_delay_alu instid0(VALU_DEP_1) | instskip(NEXT) | instid1(VALU_DEP_1)
	v_add_nc_u32_e32 v40, 1, v44
	v_cndmask_b32_e32 v36, 33, v40, vcc_lo
	s_delay_alu instid0(VALU_DEP_1) | instskip(NEXT) | instid1(VALU_DEP_1)
	v_sub_nc_u32_e32 v37, 32, v36
	v_alignbit_b32 v40, v41, v34, v37
	v_alignbit_b32 v31, v34, v31, v37
	v_lshrrev_b32_e32 v34, 29, v29
	v_lshrrev_b32_e32 v29, 30, v29
	s_delay_alu instid0(VALU_DEP_3) | instskip(NEXT) | instid1(VALU_DEP_3)
	v_alignbit_b32 v37, v40, v31, 9
	v_lshlrev_b32_e32 v34, 31, v34
	v_alignbit_b32 v40, v36, v40, 9
	s_delay_alu instid0(VALU_DEP_4) | instskip(NEXT) | instid1(VALU_DEP_4)
	v_add_nc_u32_e32 v45, v43, v29
	v_clz_i32_u32_e32 v41, v37
	s_delay_alu instid0(VALU_DEP_3) | instskip(NEXT) | instid1(VALU_DEP_2)
	v_or_b32_e32 v40, v40, v34
	v_min_u32_e32 v41, 32, v41
	s_delay_alu instid0(VALU_DEP_2) | instskip(NEXT) | instid1(VALU_DEP_2)
	v_xor_b32_e32 v40, 1.0, v40
	v_sub_nc_u32_e32 v42, 31, v41
	v_add_lshl_u32 v36, v41, v36, 23
	s_delay_alu instid0(VALU_DEP_3) | instskip(SKIP_1) | instid1(VALU_DEP_4)
	v_mul_f32_e32 v41, 0x3fc90fda, v40
	v_or_b32_e32 v34, 0x33800000, v34
	v_alignbit_b32 v31, v37, v31, v42
	s_delay_alu instid0(VALU_DEP_2) | instskip(NEXT) | instid1(VALU_DEP_4)
	v_sub_nc_u32_e32 v34, v34, v36
	v_fma_f32 v36, 0x3fc90fda, v40, -v41
	s_delay_alu instid0(VALU_DEP_3) | instskip(NEXT) | instid1(VALU_DEP_2)
	v_lshrrev_b32_e32 v31, 9, v31
	v_fmamk_f32 v36, v40, 0x33a22168, v36
	s_delay_alu instid0(VALU_DEP_2) | instskip(NEXT) | instid1(VALU_DEP_1)
	v_or_b32_e32 v31, v34, v31
	v_fmac_f32_e32 v36, 0x3fc90fda, v31
                                        ; implicit-def: $vgpr31
	s_delay_alu instid0(VALU_DEP_1)
	v_add_f32_e32 v42, v41, v36
	s_and_not1_saveexec_b32 s0, s10
	s_cbranch_execnz .LBB139_38
	s_branch .LBB139_39
.LBB139_37:
	s_and_not1_saveexec_b32 s0, s10
.LBB139_38:
	v_rndne_f32_e32 v29, v31
	s_delay_alu instid0(VALU_DEP_1) | instskip(SKIP_1) | instid1(VALU_DEP_2)
	v_fma_f32 v31, 0xbfc90fda, v29, |v2|
	v_cvt_i32_f32_e32 v45, v29
	v_fmamk_f32 v31, v29, 0xb3a22168, v31
	s_delay_alu instid0(VALU_DEP_1)
	v_fmamk_f32 v42, v29, 0xa7c234c4, v31
.LBB139_39:
	s_or_b32 exec_lo, exec_lo, s0
	v_mul_f32_e32 v29, 0.5, v4
                                        ; implicit-def: $vgpr36
                                        ; implicit-def: $vgpr34
	s_mov_b32 s1, exec_lo
	s_delay_alu instid0(VALU_DEP_1)
	v_and_b32_e32 v31, 0x7fffffff, v29
	v_cmpx_ngt_f32_e64 0x48000000, |v29|
	s_xor_b32 s10, exec_lo, s1
	s_cbranch_execz .LBB139_41
; %bb.40:
	s_mov_b32 s0, 0x7fffff
	s_delay_alu instid0(SALU_CYCLE_1) | instskip(NEXT) | instid1(VALU_DEP_1)
	v_and_or_b32 v34, v31, s0, 0x800000
	v_mad_u64_u32 v[36:37], null, 0xfe5163ab, v34, 0
	s_delay_alu instid0(VALU_DEP_1) | instskip(SKIP_1) | instid1(VALU_DEP_2)
	v_dual_mov_b32 v41, 0 :: v_dual_mov_b32 v40, v37
	v_lshrrev_b32_e32 v37, 23, v31
	v_mad_u64_u32 v[43:44], null, 0x3c439041, v34, v[40:41]
	s_delay_alu instid0(VALU_DEP_2) | instskip(NEXT) | instid1(VALU_DEP_1)
	v_add_nc_u32_e32 v37, 0xffffff88, v37
	v_cmp_lt_u32_e32 vcc_lo, 63, v37
	s_delay_alu instid0(VALU_DEP_3) | instskip(SKIP_1) | instid1(VALU_DEP_2)
	v_mov_b32_e32 v40, v44
	v_cndmask_b32_e64 v44, 0, 0xffffffc0, vcc_lo
	v_mad_u64_u32 v[46:47], null, 0xdb629599, v34, v[40:41]
	s_delay_alu instid0(VALU_DEP_1) | instskip(NEXT) | instid1(VALU_DEP_2)
	v_dual_mov_b32 v40, v47 :: v_dual_add_nc_u32 v37, v44, v37
	v_cndmask_b32_e32 v36, v46, v36, vcc_lo
	s_delay_alu instid0(VALU_DEP_2) | instskip(NEXT) | instid1(VALU_DEP_3)
	v_cmp_lt_u32_e64 s0, 31, v37
	v_mad_u64_u32 v[47:48], null, 0xf534ddc0, v34, v[40:41]
	s_delay_alu instid0(VALU_DEP_2) | instskip(NEXT) | instid1(VALU_DEP_1)
	v_cndmask_b32_e64 v44, 0, 0xffffffe0, s0
	v_add_nc_u32_e32 v37, v44, v37
	s_delay_alu instid0(VALU_DEP_3) | instskip(NEXT) | instid1(VALU_DEP_2)
	v_mov_b32_e32 v40, v48
	v_cmp_lt_u32_e64 s1, 31, v37
	s_delay_alu instid0(VALU_DEP_2) | instskip(NEXT) | instid1(VALU_DEP_1)
	v_mad_u64_u32 v[48:49], null, 0xfc2757d1, v34, v[40:41]
	v_mov_b32_e32 v40, v49
	s_delay_alu instid0(VALU_DEP_1) | instskip(NEXT) | instid1(VALU_DEP_1)
	v_mad_u64_u32 v[49:50], null, 0x4e441529, v34, v[40:41]
	v_mov_b32_e32 v40, v50
	s_delay_alu instid0(VALU_DEP_1) | instskip(SKIP_1) | instid1(VALU_DEP_4)
	v_mad_u64_u32 v[50:51], null, 0xa2f9836e, v34, v[40:41]
	v_cndmask_b32_e64 v34, 0, 0xffffffe0, s1
	v_cndmask_b32_e32 v40, v49, v47, vcc_lo
	s_delay_alu instid0(VALU_DEP_2) | instskip(NEXT) | instid1(VALU_DEP_4)
	v_add_nc_u32_e32 v34, v34, v37
	v_dual_cndmask_b32 v41, v50, v48 :: v_dual_cndmask_b32 v44, v51, v49
	v_dual_cndmask_b32 v48, v48, v46 :: v_dual_cndmask_b32 v37, v47, v43
	s_delay_alu instid0(VALU_DEP_3) | instskip(NEXT) | instid1(VALU_DEP_3)
	v_cmp_eq_u32_e64 s2, 0, v34
	v_cndmask_b32_e64 v43, v41, v40, s0
	s_delay_alu instid0(VALU_DEP_4) | instskip(NEXT) | instid1(VALU_DEP_4)
	v_cndmask_b32_e64 v41, v44, v41, s0
	v_cndmask_b32_e64 v40, v40, v48, s0
	v_sub_nc_u32_e32 v44, 32, v34
	v_cndmask_b32_e64 v47, v48, v37, s0
	v_cndmask_b32_e64 v36, v37, v36, s0
	;; [unrolled: 1-line block ×4, first 2 shown]
	s_delay_alu instid0(VALU_DEP_4) | instskip(NEXT) | instid1(VALU_DEP_4)
	v_cndmask_b32_e64 v40, v40, v47, s1
	v_cndmask_b32_e64 v36, v47, v36, s1
	s_delay_alu instid0(VALU_DEP_3) | instskip(NEXT) | instid1(VALU_DEP_3)
	v_alignbit_b32 v48, v41, v43, v44
	v_alignbit_b32 v49, v43, v40, v44
	s_delay_alu instid0(VALU_DEP_3) | instskip(NEXT) | instid1(VALU_DEP_3)
	v_alignbit_b32 v44, v40, v36, v44
	v_cndmask_b32_e64 v34, v48, v41, s2
	s_delay_alu instid0(VALU_DEP_3) | instskip(NEXT) | instid1(VALU_DEP_3)
	v_cndmask_b32_e64 v41, v49, v43, s2
	v_cndmask_b32_e64 v40, v44, v40, s2
	s_delay_alu instid0(VALU_DEP_3) | instskip(NEXT) | instid1(VALU_DEP_3)
	v_bfe_u32 v43, v34, 29, 1
	v_alignbit_b32 v37, v34, v41, 30
	s_delay_alu instid0(VALU_DEP_3) | instskip(SKIP_1) | instid1(VALU_DEP_4)
	v_alignbit_b32 v41, v41, v40, 30
	v_alignbit_b32 v36, v40, v36, 30
	v_sub_nc_u32_e32 v46, 0, v43
	s_delay_alu instid0(VALU_DEP_1) | instskip(SKIP_3) | instid1(VALU_DEP_4)
	v_xor_b32_e32 v47, v37, v46
	v_cmp_ne_u32_e32 vcc_lo, v37, v46
	v_xor_b32_e32 v40, v41, v46
	v_xor_b32_e32 v36, v36, v46
	v_clz_i32_u32_e32 v48, v47
	s_delay_alu instid0(VALU_DEP_1) | instskip(NEXT) | instid1(VALU_DEP_1)
	v_add_nc_u32_e32 v44, 1, v48
	v_cndmask_b32_e32 v37, 33, v44, vcc_lo
	s_delay_alu instid0(VALU_DEP_1) | instskip(NEXT) | instid1(VALU_DEP_1)
	v_sub_nc_u32_e32 v41, 32, v37
	v_alignbit_b32 v44, v47, v40, v41
	v_alignbit_b32 v36, v40, v36, v41
	v_lshrrev_b32_e32 v40, 29, v34
	s_delay_alu instid0(VALU_DEP_2) | instskip(NEXT) | instid1(VALU_DEP_2)
	v_alignbit_b32 v41, v44, v36, 9
	v_lshlrev_b32_e32 v40, 31, v40
	v_alignbit_b32 v44, v37, v44, 9
	s_delay_alu instid0(VALU_DEP_3) | instskip(NEXT) | instid1(VALU_DEP_2)
	v_clz_i32_u32_e32 v46, v41
	v_or_b32_e32 v44, v44, v40
	v_or_b32_e32 v40, 0x33800000, v40
	s_delay_alu instid0(VALU_DEP_3) | instskip(NEXT) | instid1(VALU_DEP_3)
	v_min_u32_e32 v46, 32, v46
	v_xor_b32_e32 v44, 1.0, v44
	s_delay_alu instid0(VALU_DEP_2) | instskip(SKIP_1) | instid1(VALU_DEP_3)
	v_sub_nc_u32_e32 v47, 31, v46
	v_add_lshl_u32 v37, v46, v37, 23
	v_mul_f32_e32 v46, 0x3fc90fda, v44
	s_delay_alu instid0(VALU_DEP_3) | instskip(NEXT) | instid1(VALU_DEP_3)
	v_alignbit_b32 v36, v41, v36, v47
	v_sub_nc_u32_e32 v37, v40, v37
	s_delay_alu instid0(VALU_DEP_3) | instskip(NEXT) | instid1(VALU_DEP_3)
	v_fma_f32 v40, 0x3fc90fda, v44, -v46
	v_lshrrev_b32_e32 v36, 9, v36
	s_delay_alu instid0(VALU_DEP_2) | instskip(NEXT) | instid1(VALU_DEP_2)
	v_fmamk_f32 v40, v44, 0x33a22168, v40
	v_or_b32_e32 v36, v37, v36
	s_delay_alu instid0(VALU_DEP_1) | instskip(SKIP_1) | instid1(VALU_DEP_2)
	v_fmac_f32_e32 v40, 0x3fc90fda, v36
	v_lshrrev_b32_e32 v36, 30, v34
	v_add_f32_e32 v34, v46, v40
	s_delay_alu instid0(VALU_DEP_2)
	v_add_nc_u32_e32 v36, v43, v36
.LBB139_41:
	s_and_not1_saveexec_b32 s0, s10
; %bb.42:
	v_mul_f32_e64 v34, 0x3f22f983, |v29|
	s_delay_alu instid0(VALU_DEP_1) | instskip(NEXT) | instid1(VALU_DEP_1)
	v_rndne_f32_e32 v36, v34
	v_fma_f32 v34, 0xbfc90fda, v36, |v29|
	s_delay_alu instid0(VALU_DEP_1) | instskip(NEXT) | instid1(VALU_DEP_1)
	v_fmamk_f32 v34, v36, 0xb3a22168, v34
	v_fmamk_f32 v34, v36, 0xa7c234c4, v34
	v_cvt_i32_f32_e32 v36, v36
; %bb.43:
	s_or_b32 exec_lo, exec_lo, s0
	v_and_b32_e32 v37, 0x7fffffff, v4
	v_cmp_ngt_f32_e64 s10, 0x48000000, |v4|
                                        ; implicit-def: $vgpr41
                                        ; implicit-def: $vgpr40
	s_delay_alu instid0(VALU_DEP_2) | instskip(NEXT) | instid1(VALU_DEP_2)
	v_lshrrev_b32_e32 v46, 23, v37
	s_and_saveexec_b32 s0, s10
	s_delay_alu instid0(SALU_CYCLE_1)
	s_xor_b32 s11, exec_lo, s0
	s_cbranch_execz .LBB139_45
; %bb.44:
	s_mov_b32 s0, 0x7fffff
	s_delay_alu instid0(SALU_CYCLE_1) | instskip(NEXT) | instid1(VALU_DEP_1)
	v_and_or_b32 v54, v37, s0, 0x800000
	v_mad_u64_u32 v[40:41], null, 0xfe5163ab, v54, 0
	s_delay_alu instid0(VALU_DEP_1) | instskip(SKIP_1) | instid1(VALU_DEP_2)
	v_dual_mov_b32 v44, 0 :: v_dual_mov_b32 v43, v41
	v_add_nc_u32_e32 v41, 0xffffff88, v46
	v_mad_u64_u32 v[47:48], null, 0x3c439041, v54, v[43:44]
	s_delay_alu instid0(VALU_DEP_2) | instskip(SKIP_1) | instid1(VALU_DEP_3)
	v_cmp_lt_u32_e32 vcc_lo, 63, v41
	v_cndmask_b32_e64 v52, 0, 0xffffffc0, vcc_lo
	v_mov_b32_e32 v43, v48
	s_delay_alu instid0(VALU_DEP_2) | instskip(NEXT) | instid1(VALU_DEP_2)
	v_add_nc_u32_e32 v41, v52, v41
	v_mad_u64_u32 v[48:49], null, 0xdb629599, v54, v[43:44]
	s_delay_alu instid0(VALU_DEP_2) | instskip(NEXT) | instid1(VALU_DEP_2)
	v_cmp_lt_u32_e64 s0, 31, v41
	v_mov_b32_e32 v43, v49
	s_delay_alu instid0(VALU_DEP_2) | instskip(NEXT) | instid1(VALU_DEP_4)
	v_cndmask_b32_e64 v53, 0, 0xffffffe0, s0
	v_cndmask_b32_e32 v40, v48, v40, vcc_lo
	s_delay_alu instid0(VALU_DEP_3) | instskip(NEXT) | instid1(VALU_DEP_3)
	v_mad_u64_u32 v[49:50], null, 0xf534ddc0, v54, v[43:44]
	v_add_nc_u32_e32 v41, v53, v41
	s_delay_alu instid0(VALU_DEP_1) | instskip(NEXT) | instid1(VALU_DEP_3)
	v_cmp_lt_u32_e64 s1, 31, v41
	v_mov_b32_e32 v43, v50
	s_delay_alu instid0(VALU_DEP_1) | instskip(NEXT) | instid1(VALU_DEP_1)
	v_mad_u64_u32 v[50:51], null, 0xfc2757d1, v54, v[43:44]
	v_mov_b32_e32 v43, v51
	s_delay_alu instid0(VALU_DEP_1) | instskip(NEXT) | instid1(VALU_DEP_1)
	v_mad_u64_u32 v[51:52], null, 0x4e441529, v54, v[43:44]
	v_mov_b32_e32 v43, v52
	s_delay_alu instid0(VALU_DEP_1) | instskip(SKIP_1) | instid1(VALU_DEP_4)
	v_mad_u64_u32 v[52:53], null, 0xa2f9836e, v54, v[43:44]
	v_cndmask_b32_e64 v43, 0, 0xffffffe0, s1
	v_cndmask_b32_e32 v44, v51, v49, vcc_lo
	s_delay_alu instid0(VALU_DEP_2) | instskip(NEXT) | instid1(VALU_DEP_4)
	v_dual_cndmask_b32 v52, v52, v50 :: v_dual_add_nc_u32 v41, v43, v41
	v_dual_cndmask_b32 v51, v53, v51 :: v_dual_cndmask_b32 v50, v50, v48
	v_cndmask_b32_e32 v43, v49, v47, vcc_lo
	s_delay_alu instid0(VALU_DEP_3) | instskip(NEXT) | instid1(VALU_DEP_4)
	v_cmp_eq_u32_e64 s2, 0, v41
	v_cndmask_b32_e64 v47, v52, v44, s0
	s_delay_alu instid0(VALU_DEP_4)
	v_cndmask_b32_e64 v49, v51, v52, s0
	v_cndmask_b32_e64 v44, v44, v50, s0
	v_sub_nc_u32_e32 v51, 32, v41
	v_cndmask_b32_e64 v50, v50, v43, s0
	v_cndmask_b32_e64 v40, v43, v40, s0
	;; [unrolled: 1-line block ×4, first 2 shown]
	s_delay_alu instid0(VALU_DEP_4) | instskip(NEXT) | instid1(VALU_DEP_4)
	v_cndmask_b32_e64 v44, v44, v50, s1
	v_cndmask_b32_e64 v40, v50, v40, s1
	s_delay_alu instid0(VALU_DEP_3) | instskip(NEXT) | instid1(VALU_DEP_3)
	v_alignbit_b32 v52, v49, v47, v51
	v_alignbit_b32 v53, v47, v44, v51
	s_delay_alu instid0(VALU_DEP_3) | instskip(NEXT) | instid1(VALU_DEP_3)
	v_alignbit_b32 v51, v44, v40, v51
	v_cndmask_b32_e64 v41, v52, v49, s2
	s_delay_alu instid0(VALU_DEP_3) | instskip(NEXT) | instid1(VALU_DEP_3)
	v_cndmask_b32_e64 v47, v53, v47, s2
	v_cndmask_b32_e64 v44, v51, v44, s2
	s_delay_alu instid0(VALU_DEP_3) | instskip(NEXT) | instid1(VALU_DEP_3)
	v_bfe_u32 v48, v41, 29, 1
	v_alignbit_b32 v43, v41, v47, 30
	s_delay_alu instid0(VALU_DEP_3) | instskip(SKIP_1) | instid1(VALU_DEP_4)
	v_alignbit_b32 v47, v47, v44, 30
	v_alignbit_b32 v40, v44, v40, 30
	v_sub_nc_u32_e32 v49, 0, v48
	s_delay_alu instid0(VALU_DEP_1) | instskip(SKIP_3) | instid1(VALU_DEP_4)
	v_xor_b32_e32 v50, v43, v49
	v_cmp_ne_u32_e32 vcc_lo, v43, v49
	v_xor_b32_e32 v44, v47, v49
	v_xor_b32_e32 v40, v40, v49
	v_clz_i32_u32_e32 v52, v50
	s_delay_alu instid0(VALU_DEP_1) | instskip(NEXT) | instid1(VALU_DEP_1)
	v_add_nc_u32_e32 v51, 1, v52
	v_cndmask_b32_e32 v43, 33, v51, vcc_lo
	s_delay_alu instid0(VALU_DEP_1) | instskip(NEXT) | instid1(VALU_DEP_1)
	v_sub_nc_u32_e32 v47, 32, v43
	v_alignbit_b32 v49, v50, v44, v47
	v_alignbit_b32 v40, v44, v40, v47
	v_lshrrev_b32_e32 v44, 29, v41
	v_lshrrev_b32_e32 v41, 30, v41
	s_delay_alu instid0(VALU_DEP_3) | instskip(NEXT) | instid1(VALU_DEP_3)
	v_alignbit_b32 v47, v49, v40, 9
	v_lshlrev_b32_e32 v44, 31, v44
	v_alignbit_b32 v49, v43, v49, 9
	s_delay_alu instid0(VALU_DEP_4) | instskip(NEXT) | instid1(VALU_DEP_4)
	v_add_nc_u32_e32 v41, v48, v41
	v_clz_i32_u32_e32 v50, v47
	s_delay_alu instid0(VALU_DEP_3) | instskip(SKIP_1) | instid1(VALU_DEP_3)
	v_or_b32_e32 v49, v49, v44
	v_or_b32_e32 v44, 0x33800000, v44
	v_min_u32_e32 v50, 32, v50
	s_delay_alu instid0(VALU_DEP_3) | instskip(NEXT) | instid1(VALU_DEP_2)
	v_xor_b32_e32 v49, 1.0, v49
	v_sub_nc_u32_e32 v51, 31, v50
	v_add_lshl_u32 v43, v50, v43, 23
	s_delay_alu instid0(VALU_DEP_3) | instskip(NEXT) | instid1(VALU_DEP_3)
	v_mul_f32_e32 v50, 0x3fc90fda, v49
	v_alignbit_b32 v40, v47, v40, v51
	s_delay_alu instid0(VALU_DEP_3) | instskip(NEXT) | instid1(VALU_DEP_3)
	v_sub_nc_u32_e32 v43, v44, v43
	v_fma_f32 v44, 0x3fc90fda, v49, -v50
	s_delay_alu instid0(VALU_DEP_3) | instskip(NEXT) | instid1(VALU_DEP_2)
	v_lshrrev_b32_e32 v40, 9, v40
	v_fmamk_f32 v44, v49, 0x33a22168, v44
	s_delay_alu instid0(VALU_DEP_2) | instskip(NEXT) | instid1(VALU_DEP_1)
	v_or_b32_e32 v40, v43, v40
	v_fmac_f32_e32 v44, 0x3fc90fda, v40
	s_delay_alu instid0(VALU_DEP_1)
	v_add_f32_e32 v40, v50, v44
	s_or_saveexec_b32 s0, s11
	v_mul_f32_e64 v47, 0x3f22f983, |v4|
	s_xor_b32 exec_lo, exec_lo, s0
	s_branch .LBB139_46
.LBB139_45:
	s_or_saveexec_b32 s0, s11
	v_mul_f32_e64 v47, 0x3f22f983, |v4|
	s_xor_b32 exec_lo, exec_lo, s0
.LBB139_46:
	s_delay_alu instid0(VALU_DEP_1) | instskip(NEXT) | instid1(VALU_DEP_1)
	v_rndne_f32_e32 v41, v47
	v_fma_f32 v40, 0xbfc90fda, v41, |v4|
	s_delay_alu instid0(VALU_DEP_1) | instskip(NEXT) | instid1(VALU_DEP_1)
	v_fmamk_f32 v40, v41, 0xb3a22168, v40
	v_fmamk_f32 v40, v41, 0xa7c234c4, v40
	v_cvt_i32_f32_e32 v41, v41
; %bb.47:
	s_or_b32 exec_lo, exec_lo, s0
                                        ; implicit-def: $vgpr44
                                        ; implicit-def: $vgpr43
	s_and_saveexec_b32 s0, s10
	s_delay_alu instid0(SALU_CYCLE_1)
	s_xor_b32 s10, exec_lo, s0
	s_cbranch_execz .LBB139_49
; %bb.48:
	s_mov_b32 s0, 0x7fffff
	s_delay_alu instid0(SALU_CYCLE_1) | instskip(NEXT) | instid1(VALU_DEP_1)
	v_and_or_b32 v56, v37, s0, 0x800000
	v_mad_u64_u32 v[43:44], null, 0xfe5163ab, v56, 0
	s_delay_alu instid0(VALU_DEP_1) | instskip(SKIP_1) | instid1(VALU_DEP_2)
	v_dual_mov_b32 v48, 0 :: v_dual_mov_b32 v47, v44
	v_add_nc_u32_e32 v44, 0xffffff88, v46
	v_mad_u64_u32 v[49:50], null, 0x3c439041, v56, v[47:48]
	s_delay_alu instid0(VALU_DEP_2) | instskip(SKIP_1) | instid1(VALU_DEP_3)
	v_cmp_lt_u32_e32 vcc_lo, 63, v44
	v_cndmask_b32_e64 v46, 0, 0xffffffc0, vcc_lo
	v_mov_b32_e32 v47, v50
	s_delay_alu instid0(VALU_DEP_2) | instskip(NEXT) | instid1(VALU_DEP_2)
	v_add_nc_u32_e32 v44, v46, v44
	v_mad_u64_u32 v[50:51], null, 0xdb629599, v56, v[47:48]
	s_delay_alu instid0(VALU_DEP_2) | instskip(NEXT) | instid1(VALU_DEP_2)
	v_cmp_lt_u32_e64 s0, 31, v44
	v_mov_b32_e32 v47, v51
	s_delay_alu instid0(VALU_DEP_2) | instskip(NEXT) | instid1(VALU_DEP_4)
	v_cndmask_b32_e64 v46, 0, 0xffffffe0, s0
	v_cndmask_b32_e32 v43, v50, v43, vcc_lo
	s_delay_alu instid0(VALU_DEP_3) | instskip(NEXT) | instid1(VALU_DEP_3)
	v_mad_u64_u32 v[51:52], null, 0xf534ddc0, v56, v[47:48]
	v_add_nc_u32_e32 v44, v46, v44
	s_delay_alu instid0(VALU_DEP_1) | instskip(NEXT) | instid1(VALU_DEP_3)
	v_cmp_lt_u32_e64 s1, 31, v44
	v_mov_b32_e32 v47, v52
	s_delay_alu instid0(VALU_DEP_2) | instskip(NEXT) | instid1(VALU_DEP_2)
	v_cndmask_b32_e64 v46, 0, 0xffffffe0, s1
	v_mad_u64_u32 v[52:53], null, 0xfc2757d1, v56, v[47:48]
	s_delay_alu instid0(VALU_DEP_2) | instskip(NEXT) | instid1(VALU_DEP_2)
	v_add_nc_u32_e32 v44, v46, v44
	v_dual_cndmask_b32 v46, v51, v49 :: v_dual_mov_b32 v47, v53
	s_delay_alu instid0(VALU_DEP_2) | instskip(NEXT) | instid1(VALU_DEP_2)
	v_cmp_eq_u32_e64 s2, 0, v44
	v_cndmask_b32_e64 v43, v46, v43, s0
	s_delay_alu instid0(VALU_DEP_3) | instskip(NEXT) | instid1(VALU_DEP_1)
	v_mad_u64_u32 v[53:54], null, 0x4e441529, v56, v[47:48]
	v_mov_b32_e32 v47, v54
	s_delay_alu instid0(VALU_DEP_1) | instskip(NEXT) | instid1(VALU_DEP_3)
	v_mad_u64_u32 v[54:55], null, 0xa2f9836e, v56, v[47:48]
	v_cndmask_b32_e32 v47, v53, v51, vcc_lo
	v_sub_nc_u32_e32 v51, 32, v44
	s_delay_alu instid0(VALU_DEP_3) | instskip(SKIP_1) | instid1(VALU_DEP_2)
	v_dual_cndmask_b32 v48, v54, v52 :: v_dual_cndmask_b32 v53, v55, v53
	v_cndmask_b32_e32 v52, v52, v50, vcc_lo
	v_cndmask_b32_e64 v49, v48, v47, s0
	s_delay_alu instid0(VALU_DEP_3) | instskip(NEXT) | instid1(VALU_DEP_3)
	v_cndmask_b32_e64 v48, v53, v48, s0
	v_cndmask_b32_e64 v47, v47, v52, s0
	;; [unrolled: 1-line block ×3, first 2 shown]
	s_delay_alu instid0(VALU_DEP_3) | instskip(NEXT) | instid1(VALU_DEP_3)
	v_cndmask_b32_e64 v48, v48, v49, s1
	v_cndmask_b32_e64 v49, v49, v47, s1
	s_delay_alu instid0(VALU_DEP_3) | instskip(SKIP_1) | instid1(VALU_DEP_3)
	v_cndmask_b32_e64 v47, v47, v52, s1
	v_cndmask_b32_e64 v43, v52, v43, s1
	v_alignbit_b32 v53, v48, v49, v51
	s_delay_alu instid0(VALU_DEP_3) | instskip(NEXT) | instid1(VALU_DEP_3)
	v_alignbit_b32 v54, v49, v47, v51
	v_alignbit_b32 v51, v47, v43, v51
	s_delay_alu instid0(VALU_DEP_3) | instskip(NEXT) | instid1(VALU_DEP_3)
	v_cndmask_b32_e64 v44, v53, v48, s2
	v_cndmask_b32_e64 v48, v54, v49, s2
	s_delay_alu instid0(VALU_DEP_3) | instskip(NEXT) | instid1(VALU_DEP_3)
	v_cndmask_b32_e64 v47, v51, v47, s2
	v_bfe_u32 v49, v44, 29, 1
	s_delay_alu instid0(VALU_DEP_3) | instskip(NEXT) | instid1(VALU_DEP_3)
	v_alignbit_b32 v46, v44, v48, 30
	v_alignbit_b32 v48, v48, v47, 30
	;; [unrolled: 1-line block ×3, first 2 shown]
	s_delay_alu instid0(VALU_DEP_4) | instskip(NEXT) | instid1(VALU_DEP_1)
	v_sub_nc_u32_e32 v50, 0, v49
	v_xor_b32_e32 v52, v46, v50
	v_cmp_ne_u32_e32 vcc_lo, v46, v50
	v_xor_b32_e32 v47, v48, v50
	v_xor_b32_e32 v43, v43, v50
	s_delay_alu instid0(VALU_DEP_4) | instskip(NEXT) | instid1(VALU_DEP_1)
	v_clz_i32_u32_e32 v53, v52
	v_add_nc_u32_e32 v51, 1, v53
	s_delay_alu instid0(VALU_DEP_1) | instskip(NEXT) | instid1(VALU_DEP_1)
	v_cndmask_b32_e32 v46, 33, v51, vcc_lo
	v_sub_nc_u32_e32 v48, 32, v46
	s_delay_alu instid0(VALU_DEP_1) | instskip(SKIP_3) | instid1(VALU_DEP_3)
	v_alignbit_b32 v50, v52, v47, v48
	v_alignbit_b32 v43, v47, v43, v48
	v_lshrrev_b32_e32 v47, 29, v44
	v_lshrrev_b32_e32 v44, 30, v44
	v_alignbit_b32 v48, v50, v43, 9
	s_delay_alu instid0(VALU_DEP_3) | instskip(SKIP_1) | instid1(VALU_DEP_4)
	v_lshlrev_b32_e32 v47, 31, v47
	v_alignbit_b32 v50, v46, v50, 9
	v_add_nc_u32_e32 v44, v49, v44
	s_delay_alu instid0(VALU_DEP_4) | instskip(NEXT) | instid1(VALU_DEP_3)
	v_clz_i32_u32_e32 v51, v48
	v_or_b32_e32 v50, v50, v47
	v_or_b32_e32 v47, 0x33800000, v47
	s_delay_alu instid0(VALU_DEP_3) | instskip(NEXT) | instid1(VALU_DEP_3)
	v_min_u32_e32 v51, 32, v51
	v_xor_b32_e32 v50, 1.0, v50
	s_delay_alu instid0(VALU_DEP_2) | instskip(SKIP_1) | instid1(VALU_DEP_3)
	v_sub_nc_u32_e32 v52, 31, v51
	v_add_lshl_u32 v46, v51, v46, 23
	v_mul_f32_e32 v51, 0x3fc90fda, v50
	s_delay_alu instid0(VALU_DEP_3) | instskip(NEXT) | instid1(VALU_DEP_3)
	v_alignbit_b32 v43, v48, v43, v52
	v_sub_nc_u32_e32 v46, v47, v46
	s_delay_alu instid0(VALU_DEP_3) | instskip(NEXT) | instid1(VALU_DEP_3)
	v_fma_f32 v47, 0x3fc90fda, v50, -v51
	v_lshrrev_b32_e32 v43, 9, v43
	s_delay_alu instid0(VALU_DEP_2) | instskip(NEXT) | instid1(VALU_DEP_2)
	v_fmamk_f32 v47, v50, 0x33a22168, v47
	v_or_b32_e32 v43, v46, v43
	s_delay_alu instid0(VALU_DEP_1) | instskip(NEXT) | instid1(VALU_DEP_1)
	v_fmac_f32_e32 v47, 0x3fc90fda, v43
	v_add_f32_e32 v43, v51, v47
                                        ; implicit-def: $vgpr47
	s_and_not1_saveexec_b32 s0, s10
	s_cbranch_execnz .LBB139_50
	s_branch .LBB139_51
.LBB139_49:
	s_and_not1_saveexec_b32 s0, s10
.LBB139_50:
	v_rndne_f32_e32 v44, v47
	s_delay_alu instid0(VALU_DEP_1) | instskip(NEXT) | instid1(VALU_DEP_1)
	v_fma_f32 v43, 0xbfc90fda, v44, |v4|
	v_fmamk_f32 v43, v44, 0xb3a22168, v43
	s_delay_alu instid0(VALU_DEP_1)
	v_fmamk_f32 v43, v44, 0xa7c234c4, v43
	v_cvt_i32_f32_e32 v44, v44
.LBB139_51:
	s_or_b32 exec_lo, exec_lo, s0
	v_dual_mul_f32 v48, v42, v42 :: v_dual_lshlrev_b32 v47, 30, v45
	s_mov_b32 s2, 0xb94c1982
	v_dual_mul_f32 v46, 0x3fb8aa3b, v1 :: v_dual_mul_f32 v53, v32, v32
	s_mov_b32 s10, 0x37d75334
	s_delay_alu instid0(VALU_DEP_2) | instskip(SKIP_1) | instid1(VALU_DEP_3)
	v_fmaak_f32 v56, s2, v48, 0x3c0881c4
	v_fmaak_f32 v57, s10, v48, 0xbab64f3b
	v_rndne_f32_e32 v49, v46
	v_fmaak_f32 v62, s10, v53, 0xbab64f3b
	v_fma_f32 v55, 0x3fb8aa3b, v1, -v46
	v_fmaak_f32 v61, s2, v53, 0x3c0881c4
	v_fmaak_f32 v56, v48, v56, 0xbe2aaa9d
	v_dual_fmamk_f32 v51, v49, 0xbf317218, v1 :: v_dual_lshlrev_b32 v50, 30, v39
	v_cvt_i32_f32_e32 v63, v49
	v_cmp_eq_f32_e32 vcc_lo, 0x43000000, v49
	v_and_b32_e32 v39, 1, v39
	v_dual_fmac_f32 v55, 0x32a5705f, v1 :: v_dual_mul_f32 v56, v48, v56
	v_fmaak_f32 v57, v48, v57, 0x3d2aabf7
	v_dual_mul_f32 v52, v38, v38 :: v_dual_and_b32 v45, 1, v45
	v_dual_sub_f32 v46, v46, v49 :: v_dual_and_b32 v47, 0x80000000, v47
	v_fmac_f32_e32 v51, 0x3102e308, v49
	v_cndmask_b32_e64 v49, v63, 0x7f, vcc_lo
	v_fmac_f32_e32 v42, v42, v56
	v_fmaak_f32 v56, v53, v61, 0xbe2aaa9d
	v_fmaak_f32 v57, v48, v57, 0xbf000004
	s_mov_b32 s11, 0x395133b1
	v_add_f32_e32 v46, v46, v55
	v_fmaak_f32 v58, s11, v51, 0x3ab69700
	v_ldexp_f32 v49, 1.0, v49
	v_fma_f32 v48, v48, v57, 1.0
	v_cmp_eq_u32_e64 s0, 0, v45
	v_mul_f32_e32 v54, 0x3fb8aa3b, v7
	v_exp_f32_e32 v46, v46
	v_dual_add_f32 v57, -1.0, v49 :: v_dual_fmaak_f32 v58, v51, v58, 0x3c0887f9
	s_delay_alu instid0(VALU_DEP_3)
	v_cndmask_b32_e64 v42, v48, v42, s0
	v_mul_f32_e32 v48, v53, v56
	v_xor_b32_e32 v35, v35, v47
	v_cmp_ngt_f32_e64 s0, 0xc2ce8ed0, v1
	v_cmp_nlt_f32_e64 s1, 0x42b17218, v1
	v_xor_b32_e32 v30, v30, v28
	v_fmac_f32_e32 v32, v32, v48
	v_rndne_f32_e32 v48, v54
	v_fmaak_f32 v58, v51, v58, 0x3d2aaa81
	v_ldexp_f32 v46, v46, v63
	v_xor3_b32 v35, v35, v42, v2
	v_xor_b32_e32 v20, v20, v19
	v_xor_b32_e32 v11, v11, v10
	v_fmaak_f32 v58, v51, v58, 0x3e2aaaab
	v_cndmask_b32_e64 v42, 0, v46, s0
	v_cmp_class_f32_e64 s0, v2, 0x1f8
	s_add_u32 s8, s4, s8
	s_addc_u32 s9, s5, s9
	v_fma_f32 v55, v51, v58, 0.5
	v_and_b32_e32 v50, 0x80000000, v50
	v_cndmask_b32_e64 v2, 0x7fc00000, v35, s0
	v_cndmask_b32_e64 v35, 0x7f800000, v42, s1
	s_delay_alu instid0(VALU_DEP_4) | instskip(NEXT) | instid1(VALU_DEP_2)
	v_dual_mul_f32 v55, v51, v55 :: v_dual_fmaak_f32 v60, s2, v52, 0x3c0881c4
	v_mul_f32_e32 v2, v35, v2
	s_delay_alu instid0(VALU_DEP_2) | instskip(NEXT) | instid1(VALU_DEP_1)
	v_fmac_f32_e32 v51, v51, v55
	v_fmac_f32_e32 v57, v49, v51
	v_fmaak_f32 v59, s10, v52, 0xbab64f3b
	v_fma_f32 v49, 0x3fb8aa3b, v7, -v54
	s_delay_alu instid0(VALU_DEP_2) | instskip(SKIP_2) | instid1(VALU_DEP_3)
	v_dual_add_f32 v46, v57, v57 :: v_dual_fmaak_f32 v47, v52, v59, 0x3d2aabf7
	v_fmaak_f32 v59, v52, v60, 0xbe2aaa9d
	v_fmaak_f32 v45, v53, v62, 0x3d2aabf7
	v_dual_fmac_f32 v49, 0x32a5705f, v7 :: v_dual_cndmask_b32 v46, v57, v46
	v_cmp_nlt_f32_e32 vcc_lo, 0x42b17217, v1
	s_delay_alu instid0(VALU_DEP_4) | instskip(SKIP_3) | instid1(VALU_DEP_4)
	v_mul_f32_e32 v42, v52, v59
	v_fmaak_f32 v47, v52, v47, 0xbf000004
	v_fmaak_f32 v45, v53, v45, 0xbf000004
	v_dual_cndmask_b32 v35, 0x7f800000, v46 :: v_dual_lshlrev_b32 v46, 30, v33
	v_dual_fmac_f32 v38, v38, v42 :: v_dual_and_b32 v33, 1, v33
	s_delay_alu instid0(VALU_DEP_3) | instskip(SKIP_1) | instid1(VALU_DEP_4)
	v_fma_f32 v45, v53, v45, 1.0
	v_mul_f32_e32 v42, v26, v26
	v_and_b32_e32 v46, 0x80000000, v46
	s_delay_alu instid0(VALU_DEP_4)
	v_cmp_eq_u32_e32 vcc_lo, 0, v33
	v_sub_f32_e32 v33, v54, v48
	v_cndmask_b32_e32 v32, v45, v32, vcc_lo
	v_fma_f32 v45, v52, v47, 1.0
	v_cmp_eq_u32_e32 vcc_lo, 0, v39
	v_cvt_i32_f32_e32 v39, v48
	s_delay_alu instid0(VALU_DEP_4) | instskip(SKIP_4) | instid1(VALU_DEP_4)
	v_xor3_b32 v30, v30, v46, v32
	v_dual_add_f32 v32, v33, v49 :: v_dual_fmamk_f32 v33, v48, 0xbf317218, v7
	v_cndmask_b32_e64 v38, -v38, v45, vcc_lo
	v_cmp_class_f32_e64 vcc_lo, v28, 0x1f8
	v_dual_fmaak_f32 v45, s10, v42, 0xbab64f3b :: v_dual_lshlrev_b32 v46, 30, v27
	v_fmac_f32_e32 v33, 0x3102e308, v48
	v_dual_cndmask_b32 v28, 0x7fc00000, v30 :: v_dual_and_b32 v27, 1, v27
	v_cmp_ngt_f32_e32 vcc_lo, 0xc1880000, v1
	v_exp_f32_e32 v30, v32
	v_xor_b32_e32 v32, v50, v38
	v_cndmask_b32_e32 v1, -1.0, v35, vcc_lo
	v_fmaak_f32 v35, s11, v33, 0x3ab69700
	v_cmp_ngt_f32_e32 vcc_lo, 0xc2ce8ed0, v7
	s_delay_alu instid0(VALU_DEP_4) | instskip(SKIP_3) | instid1(TRANS32_DEP_1)
	v_cndmask_b32_e64 v32, 0x7fc00000, v32, s0
	v_cmp_eq_u32_e64 s0, 0, v27
	v_mul_f32_e32 v27, v24, v24
	v_fmaak_f32 v35, v33, v35, 0x3c0887f9
	v_ldexp_f32 v30, v30, v39
	v_fmaak_f32 v45, v42, v45, 0x3d2aabf7
	s_delay_alu instid0(VALU_DEP_2) | instskip(SKIP_1) | instid1(VALU_DEP_3)
	v_dual_fmaak_f32 v35, v33, v35, 0x3d2aaa81 :: v_dual_cndmask_b32 v30, 0, v30
	v_cmp_eq_f32_e32 vcc_lo, 0x43000000, v48
	v_fmaak_f32 v45, v42, v45, 0xbf000004
	s_delay_alu instid0(VALU_DEP_3) | instskip(SKIP_1) | instid1(VALU_DEP_2)
	v_fmaak_f32 v35, v33, v35, 0x3e2aaaab
	v_cndmask_b32_e64 v39, v39, 0x7f, vcc_lo
	v_fma_f32 v35, v33, v35, 0.5
	s_delay_alu instid0(VALU_DEP_2) | instskip(NEXT) | instid1(VALU_DEP_2)
	v_ldexp_f32 v39, 1.0, v39
	v_mul_f32_e32 v35, v33, v35
	s_delay_alu instid0(VALU_DEP_1) | instskip(NEXT) | instid1(VALU_DEP_1)
	v_dual_fmac_f32 v33, v33, v35 :: v_dual_add_f32 v38, v28, v28
	v_dual_add_f32 v35, -1.0, v39 :: v_dual_mul_f32 v28, v28, v38
	s_delay_alu instid0(VALU_DEP_1) | instskip(NEXT) | instid1(VALU_DEP_2)
	v_dual_fmaak_f32 v38, s2, v42, 0x3c0881c4 :: v_dual_fmac_f32 v35, v39, v33
	v_fma_f32 v1, v1, v32, -v28
	s_delay_alu instid0(VALU_DEP_2) | instskip(NEXT) | instid1(VALU_DEP_1)
	v_dual_fmaak_f32 v38, v42, v38, 0xbe2aaa9d :: v_dual_add_f32 v33, v35, v35
	v_mul_f32_e32 v38, v42, v38
	s_delay_alu instid0(VALU_DEP_2) | instskip(SKIP_1) | instid1(VALU_DEP_3)
	v_cndmask_b32_e32 v28, v35, v33, vcc_lo
	v_cmp_nlt_f32_e32 vcc_lo, 0x42b17217, v7
	v_fmac_f32_e32 v26, v26, v38
	v_fma_f32 v38, v42, v45, 1.0
	v_and_b32_e32 v42, 0x80000000, v46
	s_delay_alu instid0(VALU_DEP_2) | instskip(NEXT) | instid1(VALU_DEP_2)
	v_cndmask_b32_e64 v26, v38, v26, s0
	v_xor_b32_e32 v23, v23, v42
	v_cmp_nlt_f32_e64 s0, 0x42b17218, v7
	v_fmaak_f32 v38, s2, v27, 0x3c0881c4
	s_delay_alu instid0(VALU_DEP_3) | instskip(NEXT) | instid1(VALU_DEP_3)
	v_xor3_b32 v23, v23, v26, v8
	v_cndmask_b32_e64 v30, 0x7f800000, v30, s0
	v_cmp_class_f32_e64 s0, v8, 0x1f8
	v_fmaak_f32 v26, s10, v27, 0xbab64f3b
	s_delay_alu instid0(VALU_DEP_2) | instskip(NEXT) | instid1(VALU_DEP_1)
	v_cndmask_b32_e64 v8, 0x7fc00000, v23, s0
	v_mul_f32_e32 v8, v30, v8
	v_lshlrev_b32_e32 v30, 30, v25
	v_and_b32_e32 v25, 1, v25
	v_fmaak_f32 v23, v27, v26, 0x3d2aabf7
	v_fmaak_f32 v26, v27, v38, 0xbe2aaa9d
	s_delay_alu instid0(VALU_DEP_1) | instskip(NEXT) | instid1(VALU_DEP_1)
	v_mul_f32_e32 v26, v27, v26
	v_fmac_f32_e32 v24, v24, v26
	s_delay_alu instid0(VALU_DEP_4) | instskip(NEXT) | instid1(VALU_DEP_1)
	v_dual_mul_f32 v26, v21, v21 :: v_dual_fmaak_f32 v23, v27, v23, 0xbf000004
	v_fma_f32 v23, v27, v23, 1.0
	v_cndmask_b32_e32 v27, 0x7f800000, v28, vcc_lo
	v_cmp_eq_u32_e32 vcc_lo, 0, v25
	s_delay_alu instid0(VALU_DEP_3) | instskip(SKIP_2) | instid1(VALU_DEP_2)
	v_cndmask_b32_e64 v23, -v24, v23, vcc_lo
	v_fmaak_f32 v24, s2, v26, 0x3c0881c4
	v_cmp_ngt_f32_e32 vcc_lo, 0xc1880000, v7
	v_fmaak_f32 v24, v26, v24, 0xbe2aaa9d
	v_fmaak_f32 v25, s10, v26, 0xbab64f3b
	v_cndmask_b32_e32 v7, -1.0, v27, vcc_lo
	s_delay_alu instid0(VALU_DEP_3) | instskip(NEXT) | instid1(VALU_DEP_3)
	v_dual_mul_f32 v27, 0x3fb8aa3b, v5 :: v_dual_mul_f32 v24, v26, v24
	v_fmaak_f32 v25, v26, v25, 0x3d2aabf7
	s_delay_alu instid0(VALU_DEP_2) | instskip(NEXT) | instid1(VALU_DEP_2)
	v_fmac_f32_e32 v21, v21, v24
	v_fmaak_f32 v25, v26, v25, 0xbf000004
	s_delay_alu instid0(VALU_DEP_1) | instskip(SKIP_1) | instid1(VALU_DEP_1)
	v_fma_f32 v25, v26, v25, 1.0
	v_and_b32_e32 v28, 0x80000000, v30
	v_xor_b32_e32 v23, v28, v23
	v_lshlrev_b32_e32 v28, 30, v22
	v_and_b32_e32 v22, 1, v22
	v_rndne_f32_e32 v30, v27
	v_fma_f32 v32, 0x3fb8aa3b, v5, -v27
	v_cndmask_b32_e64 v23, 0x7fc00000, v23, s0
	s_delay_alu instid0(VALU_DEP_4) | instskip(NEXT) | instid1(VALU_DEP_4)
	v_cmp_eq_u32_e32 vcc_lo, 0, v22
	v_dual_sub_f32 v26, v27, v30 :: v_dual_and_b32 v27, 0x80000000, v28
	s_delay_alu instid0(VALU_DEP_4) | instskip(SKIP_2) | instid1(VALU_DEP_3)
	v_fmac_f32_e32 v32, 0x32a5705f, v5
	v_cndmask_b32_e32 v21, v25, v21, vcc_lo
	v_cmp_class_f32_e64 vcc_lo, v19, 0x1f8
	v_dual_mul_f32 v25, v17, v17 :: v_dual_add_f32 v22, v26, v32
	v_lshlrev_b32_e32 v32, 30, v18
	s_delay_alu instid0(VALU_DEP_4) | instskip(NEXT) | instid1(VALU_DEP_3)
	v_xor3_b32 v20, v20, v27, v21
	v_dual_fmaak_f32 v27, s10, v25, 0xbab64f3b :: v_dual_and_b32 v18, 1, v18
	s_delay_alu instid0(VALU_DEP_4) | instskip(NEXT) | instid1(VALU_DEP_2)
	v_exp_f32_e32 v21, v22
	v_cndmask_b32_e32 v19, 0x7fc00000, v20, vcc_lo
	v_cvt_i32_f32_e32 v20, v30
	s_delay_alu instid0(VALU_DEP_3)
	v_fmaak_f32 v27, v25, v27, 0x3d2aabf7
	v_cmp_eq_u32_e64 s0, 0, v18
	v_cmp_eq_f32_e32 vcc_lo, 0x43000000, v30
	v_add_f32_e32 v28, v19, v19
	v_fmamk_f32 v24, v30, 0xbf317218, v5
	v_fmaak_f32 v27, v25, v27, 0xbf000004
	s_delay_alu instid0(TRANS32_DEP_1) | instskip(SKIP_1) | instid1(VALU_DEP_4)
	v_ldexp_f32 v21, v21, v20
	v_cndmask_b32_e64 v20, v20, 0x7f, vcc_lo
	v_dual_mul_f32 v19, v19, v28 :: v_dual_fmac_f32 v24, 0x3102e308, v30
	s_delay_alu instid0(VALU_DEP_2) | instskip(NEXT) | instid1(VALU_DEP_2)
	v_ldexp_f32 v20, 1.0, v20
	v_fma_f32 v7, v7, v23, -v19
	v_mul_f32_e32 v23, v12, v12
	s_delay_alu instid0(VALU_DEP_4) | instskip(SKIP_1) | instid1(VALU_DEP_2)
	v_fmaak_f32 v26, s11, v24, 0x3ab69700
	v_fmaak_f32 v22, s2, v25, 0x3c0881c4
	;; [unrolled: 1-line block ×3, first 2 shown]
	s_delay_alu instid0(VALU_DEP_2) | instskip(NEXT) | instid1(VALU_DEP_2)
	v_fmaak_f32 v22, v25, v22, 0xbe2aaa9d
	v_fmaak_f32 v26, v24, v26, 0x3d2aaa81
	s_delay_alu instid0(VALU_DEP_2) | instskip(NEXT) | instid1(VALU_DEP_2)
	v_mul_f32_e32 v22, v25, v22
	v_fmaak_f32 v26, v24, v26, 0x3e2aaaab
	s_delay_alu instid0(VALU_DEP_2) | instskip(SKIP_1) | instid1(VALU_DEP_3)
	v_fmac_f32_e32 v17, v17, v22
	v_fma_f32 v22, v25, v27, 1.0
	v_fma_f32 v25, v24, v26, 0.5
	v_and_b32_e32 v26, 0x80000000, v32
	s_delay_alu instid0(VALU_DEP_3) | instskip(SKIP_1) | instid1(VALU_DEP_3)
	v_cndmask_b32_e64 v17, v22, v17, s0
	v_cmp_ngt_f32_e64 s0, 0xc2ce8ed0, v5
	v_xor_b32_e32 v14, v14, v26
	v_fmaak_f32 v26, s10, v23, 0xbab64f3b
	s_delay_alu instid0(VALU_DEP_3) | instskip(SKIP_1) | instid1(VALU_DEP_4)
	v_cndmask_b32_e64 v21, 0, v21, s0
	v_cmp_nlt_f32_e64 s0, 0x42b17218, v5
	v_xor3_b32 v14, v14, v17, v6
	s_delay_alu instid0(VALU_DEP_2) | instskip(SKIP_1) | instid1(VALU_DEP_1)
	v_cndmask_b32_e64 v17, 0x7f800000, v21, s0
	v_cmp_class_f32_e64 s0, v6, 0x1f8
	v_cndmask_b32_e64 v6, 0x7fc00000, v14, s0
	v_mul_f32_e32 v14, v15, v15
	v_dual_mul_f32 v18, v24, v25 :: v_dual_fmaak_f32 v25, s2, v23, 0x3c0881c4
	s_delay_alu instid0(VALU_DEP_2) | instskip(NEXT) | instid1(VALU_DEP_2)
	v_fmaak_f32 v21, s10, v14, 0xbab64f3b
	v_fmac_f32_e32 v24, v24, v18
	s_delay_alu instid0(VALU_DEP_2) | instskip(NEXT) | instid1(VALU_DEP_1)
	v_dual_add_f32 v18, -1.0, v20 :: v_dual_fmaak_f32 v21, v14, v21, 0x3d2aabf7
	v_fmac_f32_e32 v18, v20, v24
	s_delay_alu instid0(VALU_DEP_2) | instskip(NEXT) | instid1(VALU_DEP_2)
	v_dual_fmaak_f32 v21, v14, v21, 0xbf000004 :: v_dual_lshlrev_b32 v20, 30, v16
	v_add_f32_e32 v19, v18, v18
	s_delay_alu instid0(VALU_DEP_1) | instskip(SKIP_1) | instid1(VALU_DEP_1)
	v_dual_cndmask_b32 v18, v18, v19 :: v_dual_and_b32 v19, 0x80000000, v20
	v_fmaak_f32 v20, s2, v14, 0x3c0881c4
	v_fmaak_f32 v20, v14, v20, 0xbe2aaa9d
	s_delay_alu instid0(VALU_DEP_1)
	v_mul_f32_e32 v20, v14, v20
	v_fma_f32 v14, v14, v21, 1.0
	v_fmaak_f32 v21, v23, v25, 0xbe2aaa9d
	v_fmaak_f32 v25, v23, v26, 0x3d2aabf7
	v_dual_mul_f32 v6, v17, v6 :: v_dual_mul_f32 v17, 0x3fb8aa3b, v3
	v_lshlrev_b32_e32 v26, 30, v13
	s_delay_alu instid0(VALU_DEP_4) | instskip(NEXT) | instid1(VALU_DEP_4)
	v_mul_f32_e32 v21, v23, v21
	v_fmaak_f32 v25, v23, v25, 0xbf000004
	v_and_b32_e32 v13, 1, v13
	v_rndne_f32_e32 v22, v17
	s_delay_alu instid0(VALU_DEP_4) | instskip(NEXT) | instid1(VALU_DEP_4)
	v_dual_fmac_f32 v15, v15, v20 :: v_dual_fmac_f32 v12, v12, v21
	v_fma_f32 v21, v23, v25, 1.0
	s_delay_alu instid0(VALU_DEP_4) | instskip(NEXT) | instid1(VALU_DEP_4)
	v_cmp_eq_u32_e32 vcc_lo, 0, v13
	v_fmamk_f32 v24, v22, 0xbf317218, v3
	v_cvt_i32_f32_e32 v13, v22
	v_fma_f32 v25, 0x3fb8aa3b, v3, -v17
	v_and_b32_e32 v16, 1, v16
	v_cndmask_b32_e32 v12, v21, v12, vcc_lo
	v_fmac_f32_e32 v24, 0x3102e308, v22
	v_cmp_eq_f32_e32 vcc_lo, 0x43000000, v22
	v_fmac_f32_e32 v25, 0x32a5705f, v3
	v_cmp_eq_u32_e64 s1, 0, v16
	v_and_b32_e32 v23, 0x80000000, v26
	v_fmaak_f32 v20, s11, v24, 0x3ab69700
	v_cndmask_b32_e64 v21, v13, 0x7f, vcc_lo
	v_sub_f32_e32 v17, v17, v22
	v_cndmask_b32_e64 v14, -v15, v14, s1
	v_xor3_b32 v11, v11, v23, v12
	v_cmp_class_f32_e64 s1, v10, 0x1f8
	v_ldexp_f32 v16, 1.0, v21
	v_dual_fmaak_f32 v20, v24, v20, 0x3c0887f9 :: v_dual_and_b32 v21, 1, v41
	v_xor_b32_e32 v14, v19, v14
	s_delay_alu instid0(VALU_DEP_4)
	v_cndmask_b32_e64 v10, 0x7fc00000, v11, s1
	v_cmp_nlt_f32_e64 s1, 0x42b17217, v5
	v_and_b32_e32 v23, 1, v36
	v_fmaak_f32 v20, v24, v20, 0x3d2aaa81
	v_lshlrev_b32_e32 v22, 30, v36
	v_cndmask_b32_e64 v14, 0x7fc00000, v14, s0
	v_cmp_ngt_f32_e64 s0, 0xc2ce8ed0, v3
	s_delay_alu instid0(VALU_DEP_4) | instskip(NEXT) | instid1(VALU_DEP_4)
	v_fmaak_f32 v20, v24, v20, 0x3e2aaaab
	v_and_b32_e32 v22, 0x80000000, v22
	s_delay_alu instid0(VALU_DEP_2) | instskip(NEXT) | instid1(VALU_DEP_1)
	v_fma_f32 v20, v24, v20, 0.5
	v_mul_f32_e32 v15, v24, v20
	s_delay_alu instid0(VALU_DEP_1) | instskip(SKIP_3) | instid1(VALU_DEP_2)
	v_fmac_f32_e32 v24, v24, v15
	v_cndmask_b32_e64 v15, 0x7f800000, v18, s1
	v_mul_f32_e32 v18, v34, v34
	v_cmp_ngt_f32_e64 s1, 0xc1880000, v5
	v_fmaak_f32 v20, s10, v18, 0xbab64f3b
	s_delay_alu instid0(VALU_DEP_2) | instskip(SKIP_2) | instid1(VALU_DEP_4)
	v_cndmask_b32_e64 v5, -1.0, v15, s1
	v_mul_f32_e32 v15, v40, v40
	v_fmaak_f32 v19, s2, v18, 0x3c0881c4
	v_fmaak_f32 v20, v18, v20, 0x3d2aabf7
	v_dual_add_f32 v12, v17, v25 :: v_dual_add_f32 v17, v10, v10
	s_delay_alu instid0(VALU_DEP_3) | instskip(NEXT) | instid1(VALU_DEP_2)
	v_fmaak_f32 v19, v18, v19, 0xbe2aaa9d
	v_dual_mul_f32 v10, v10, v17 :: v_dual_fmaak_f32 v17, s2, v15, 0x3c0881c4
	s_delay_alu instid0(VALU_DEP_1) | instskip(NEXT) | instid1(VALU_DEP_1)
	v_fmaak_f32 v17, v15, v17, 0xbe2aaa9d
	v_mul_f32_e32 v17, v15, v17
	s_delay_alu instid0(VALU_DEP_1) | instskip(SKIP_2) | instid1(VALU_DEP_2)
	v_dual_fmac_f32 v40, v40, v17 :: v_dual_mul_f32 v17, v18, v19
	v_dual_fmaak_f32 v19, v18, v20, 0xbf000004 :: v_dual_mul_f32 v20, v43, v43
	v_exp_f32_e32 v11, v12
	v_fmac_f32_e32 v34, v34, v17
	s_delay_alu instid0(VALU_DEP_2) | instskip(NEXT) | instid1(VALU_DEP_3)
	v_fma_f32 v17, v18, v19, 1.0
	v_fmaak_f32 v19, s10, v20, 0xbab64f3b
	v_add_f32_e32 v12, -1.0, v16
	v_fmaak_f32 v18, s2, v20, 0x3c0881c4
	v_fma_f32 v5, v5, v14, -v10
	s_delay_alu instid0(VALU_DEP_4) | instskip(NEXT) | instid1(VALU_DEP_4)
	v_fmaak_f32 v19, v20, v19, 0x3d2aabf7
	v_fmac_f32_e32 v12, v16, v24
	s_delay_alu instid0(TRANS32_DEP_1) | instskip(SKIP_1) | instid1(VALU_DEP_3)
	v_ldexp_f32 v11, v11, v13
	v_fmaak_f32 v18, v20, v18, 0xbe2aaa9d
	v_dual_fmaak_f32 v16, s10, v15, 0xbab64f3b :: v_dual_add_f32 v13, v12, v12
	s_delay_alu instid0(VALU_DEP_3) | instskip(SKIP_1) | instid1(VALU_DEP_3)
	v_cndmask_b32_e64 v11, 0, v11, s0
	v_cmp_nlt_f32_e64 s0, 0x42b17218, v3
	v_fmaak_f32 v16, v15, v16, 0x3d2aabf7
	s_delay_alu instid0(VALU_DEP_4) | instskip(SKIP_1) | instid1(VALU_DEP_3)
	v_cndmask_b32_e32 v12, v12, v13, vcc_lo
	v_cmp_nlt_f32_e32 vcc_lo, 0x42b17217, v3
	v_dual_fmaak_f32 v16, v15, v16, 0xbf000004 :: v_dual_lshlrev_b32 v13, 30, v41
	v_cndmask_b32_e64 v10, 0x7f800000, v11, s0
	v_add_co_u32 v11, s0, s8, v9
	v_cndmask_b32_e32 v12, 0x7f800000, v12, vcc_lo
	v_cmp_eq_u32_e32 vcc_lo, 0, v23
	v_fma_f32 v15, v15, v16, 1.0
	v_xor_b32_e32 v16, v31, v29
	v_and_b32_e32 v13, 0x80000000, v13
	v_cndmask_b32_e32 v17, v17, v34, vcc_lo
	v_cmp_eq_u32_e32 vcc_lo, 0, v21
	s_delay_alu instid0(VALU_DEP_2)
	v_xor3_b32 v16, v16, v22, v17
	v_mul_f32_e32 v17, v20, v18
	v_cndmask_b32_e64 v15, -v40, v15, vcc_lo
	v_fmaak_f32 v18, v20, v19, 0xbf000004
	v_cmp_class_f32_e64 vcc_lo, v29, 0x1f8
	v_lshlrev_b32_e32 v19, 30, v44
	v_fmac_f32_e32 v43, v43, v17
	v_and_b32_e32 v17, 1, v44
	v_fma_f32 v18, v20, v18, 1.0
	v_cndmask_b32_e32 v16, 0x7fc00000, v16, vcc_lo
	v_and_b32_e32 v19, 0x80000000, v19
	v_xor_b32_e32 v13, v13, v15
	v_cmp_eq_u32_e32 vcc_lo, 0, v17
	s_delay_alu instid0(VALU_DEP_4) | instskip(SKIP_2) | instid1(VALU_DEP_3)
	v_add_f32_e32 v15, v16, v16
	v_cndmask_b32_e32 v17, v18, v43, vcc_lo
	v_cmp_ngt_f32_e32 vcc_lo, 0xc1880000, v3
	v_mul_f32_e32 v15, v16, v15
	v_xor_b32_e32 v18, v37, v19
	v_cndmask_b32_e32 v12, -1.0, v12, vcc_lo
	v_cmp_class_f32_e64 vcc_lo, v4, 0x1f8
	s_delay_alu instid0(VALU_DEP_3) | instskip(SKIP_1) | instid1(VALU_DEP_2)
	v_xor3_b32 v4, v18, v17, v4
	v_cndmask_b32_e32 v13, 0x7fc00000, v13, vcc_lo
	v_cndmask_b32_e32 v4, 0x7fc00000, v4, vcc_lo
	s_delay_alu instid0(VALU_DEP_2) | instskip(SKIP_1) | instid1(VALU_DEP_3)
	v_fma_f32 v3, v12, v13, -v15
	v_add_co_ci_u32_e64 v12, null, s9, 0, s0
	v_mul_f32_e32 v4, v10, v4
	v_add_co_u32 v10, vcc_lo, 0x1000, v11
	s_delay_alu instid0(VALU_DEP_3)
	v_add_co_ci_u32_e32 v11, vcc_lo, 0, v12, vcc_lo
	s_clause 0x1
	global_store_b128 v9, v[5:8], s[8:9]
	global_store_b128 v[10:11], v[1:4], off
.LBB139_52:
	s_nop 0
	s_sendmsg sendmsg(MSG_DEALLOC_VGPRS)
	s_endpgm
	.section	.rodata,"a",@progbits
	.p2align	6, 0x0
	.amdhsa_kernel _ZN2at6native29vectorized_elementwise_kernelILi2EZZZNS0_17expm1_kernel_cudaERNS_18TensorIteratorBaseEENKUlvE_clEvENKUlvE2_clEvEUlN3c107complexIfEEE_St5arrayIPcLm2EEEEviT0_T1_
		.amdhsa_group_segment_fixed_size 0
		.amdhsa_private_segment_fixed_size 0
		.amdhsa_kernarg_size 24
		.amdhsa_user_sgpr_count 15
		.amdhsa_user_sgpr_dispatch_ptr 0
		.amdhsa_user_sgpr_queue_ptr 0
		.amdhsa_user_sgpr_kernarg_segment_ptr 1
		.amdhsa_user_sgpr_dispatch_id 0
		.amdhsa_user_sgpr_private_segment_size 0
		.amdhsa_wavefront_size32 1
		.amdhsa_uses_dynamic_stack 0
		.amdhsa_enable_private_segment 0
		.amdhsa_system_sgpr_workgroup_id_x 1
		.amdhsa_system_sgpr_workgroup_id_y 0
		.amdhsa_system_sgpr_workgroup_id_z 0
		.amdhsa_system_sgpr_workgroup_info 0
		.amdhsa_system_vgpr_workitem_id 0
		.amdhsa_next_free_vgpr 64
		.amdhsa_next_free_sgpr 33
		.amdhsa_reserve_vcc 1
		.amdhsa_float_round_mode_32 0
		.amdhsa_float_round_mode_16_64 0
		.amdhsa_float_denorm_mode_32 3
		.amdhsa_float_denorm_mode_16_64 3
		.amdhsa_dx10_clamp 1
		.amdhsa_ieee_mode 1
		.amdhsa_fp16_overflow 0
		.amdhsa_workgroup_processor_mode 1
		.amdhsa_memory_ordered 1
		.amdhsa_forward_progress 0
		.amdhsa_shared_vgpr_count 0
		.amdhsa_exception_fp_ieee_invalid_op 0
		.amdhsa_exception_fp_denorm_src 0
		.amdhsa_exception_fp_ieee_div_zero 0
		.amdhsa_exception_fp_ieee_overflow 0
		.amdhsa_exception_fp_ieee_underflow 0
		.amdhsa_exception_fp_ieee_inexact 0
		.amdhsa_exception_int_div_zero 0
	.end_amdhsa_kernel
	.section	.text._ZN2at6native29vectorized_elementwise_kernelILi2EZZZNS0_17expm1_kernel_cudaERNS_18TensorIteratorBaseEENKUlvE_clEvENKUlvE2_clEvEUlN3c107complexIfEEE_St5arrayIPcLm2EEEEviT0_T1_,"axG",@progbits,_ZN2at6native29vectorized_elementwise_kernelILi2EZZZNS0_17expm1_kernel_cudaERNS_18TensorIteratorBaseEENKUlvE_clEvENKUlvE2_clEvEUlN3c107complexIfEEE_St5arrayIPcLm2EEEEviT0_T1_,comdat
.Lfunc_end139:
	.size	_ZN2at6native29vectorized_elementwise_kernelILi2EZZZNS0_17expm1_kernel_cudaERNS_18TensorIteratorBaseEENKUlvE_clEvENKUlvE2_clEvEUlN3c107complexIfEEE_St5arrayIPcLm2EEEEviT0_T1_, .Lfunc_end139-_ZN2at6native29vectorized_elementwise_kernelILi2EZZZNS0_17expm1_kernel_cudaERNS_18TensorIteratorBaseEENKUlvE_clEvENKUlvE2_clEvEUlN3c107complexIfEEE_St5arrayIPcLm2EEEEviT0_T1_
                                        ; -- End function
	.section	.AMDGPU.csdata,"",@progbits
; Kernel info:
; codeLenInByte = 12668
; NumSgprs: 35
; NumVgprs: 64
; ScratchSize: 0
; MemoryBound: 0
; FloatMode: 240
; IeeeMode: 1
; LDSByteSize: 0 bytes/workgroup (compile time only)
; SGPRBlocks: 4
; VGPRBlocks: 7
; NumSGPRsForWavesPerEU: 35
; NumVGPRsForWavesPerEU: 64
; Occupancy: 16
; WaveLimiterHint : 1
; COMPUTE_PGM_RSRC2:SCRATCH_EN: 0
; COMPUTE_PGM_RSRC2:USER_SGPR: 15
; COMPUTE_PGM_RSRC2:TRAP_HANDLER: 0
; COMPUTE_PGM_RSRC2:TGID_X_EN: 1
; COMPUTE_PGM_RSRC2:TGID_Y_EN: 0
; COMPUTE_PGM_RSRC2:TGID_Z_EN: 0
; COMPUTE_PGM_RSRC2:TIDIG_COMP_CNT: 0
	.section	.text._ZN2at6native27unrolled_elementwise_kernelIZZZNS0_17expm1_kernel_cudaERNS_18TensorIteratorBaseEENKUlvE_clEvENKUlvE2_clEvEUlN3c107complexIfEEE_St5arrayIPcLm2EELi4E23TrivialOffsetCalculatorILi1EjESE_NS0_6memory15LoadWithoutCastENSF_16StoreWithoutCastEEEviT_T0_T2_T3_T4_T5_,"axG",@progbits,_ZN2at6native27unrolled_elementwise_kernelIZZZNS0_17expm1_kernel_cudaERNS_18TensorIteratorBaseEENKUlvE_clEvENKUlvE2_clEvEUlN3c107complexIfEEE_St5arrayIPcLm2EELi4E23TrivialOffsetCalculatorILi1EjESE_NS0_6memory15LoadWithoutCastENSF_16StoreWithoutCastEEEviT_T0_T2_T3_T4_T5_,comdat
	.globl	_ZN2at6native27unrolled_elementwise_kernelIZZZNS0_17expm1_kernel_cudaERNS_18TensorIteratorBaseEENKUlvE_clEvENKUlvE2_clEvEUlN3c107complexIfEEE_St5arrayIPcLm2EELi4E23TrivialOffsetCalculatorILi1EjESE_NS0_6memory15LoadWithoutCastENSF_16StoreWithoutCastEEEviT_T0_T2_T3_T4_T5_ ; -- Begin function _ZN2at6native27unrolled_elementwise_kernelIZZZNS0_17expm1_kernel_cudaERNS_18TensorIteratorBaseEENKUlvE_clEvENKUlvE2_clEvEUlN3c107complexIfEEE_St5arrayIPcLm2EELi4E23TrivialOffsetCalculatorILi1EjESE_NS0_6memory15LoadWithoutCastENSF_16StoreWithoutCastEEEviT_T0_T2_T3_T4_T5_
	.p2align	8
	.type	_ZN2at6native27unrolled_elementwise_kernelIZZZNS0_17expm1_kernel_cudaERNS_18TensorIteratorBaseEENKUlvE_clEvENKUlvE2_clEvEUlN3c107complexIfEEE_St5arrayIPcLm2EELi4E23TrivialOffsetCalculatorILi1EjESE_NS0_6memory15LoadWithoutCastENSF_16StoreWithoutCastEEEviT_T0_T2_T3_T4_T5_,@function
_ZN2at6native27unrolled_elementwise_kernelIZZZNS0_17expm1_kernel_cudaERNS_18TensorIteratorBaseEENKUlvE_clEvENKUlvE2_clEvEUlN3c107complexIfEEE_St5arrayIPcLm2EELi4E23TrivialOffsetCalculatorILi1EjESE_NS0_6memory15LoadWithoutCastENSF_16StoreWithoutCastEEEviT_T0_T2_T3_T4_T5_: ; @_ZN2at6native27unrolled_elementwise_kernelIZZZNS0_17expm1_kernel_cudaERNS_18TensorIteratorBaseEENKUlvE_clEvENKUlvE2_clEvEUlN3c107complexIfEEE_St5arrayIPcLm2EELi4E23TrivialOffsetCalculatorILi1EjESE_NS0_6memory15LoadWithoutCastENSF_16StoreWithoutCastEEEviT_T0_T2_T3_T4_T5_
; %bb.0:
	s_clause 0x1
	s_load_b32 s6, s[0:1], 0x0
	s_load_b128 s[0:3], s[0:1], 0x8
	s_lshl_b32 s7, s15, 10
	s_getpc_b64 s[4:5]
	s_add_u32 s4, s4, _ZN2at6native25elementwise_kernel_helperILb0EZZZNS0_17expm1_kernel_cudaERNS_18TensorIteratorBaseEENKUlvE_clEvENKUlvE2_clEvEUlN3c107complexIfEEE_NS0_6memory8policies11unroll_baseILi256ESt5arrayIPcLm2EE23TrivialOffsetCalculatorILi1EjESH_NSA_15LoadWithoutCastENSA_16StoreWithoutCastELi4ELi1EEEEEvT0_T1_@rel32@lo+4
	s_addc_u32 s5, s5, _ZN2at6native25elementwise_kernel_helperILb0EZZZNS0_17expm1_kernel_cudaERNS_18TensorIteratorBaseEENKUlvE_clEvENKUlvE2_clEvEUlN3c107complexIfEEE_NS0_6memory8policies11unroll_baseILi256ESt5arrayIPcLm2EE23TrivialOffsetCalculatorILi1EjESH_NSA_15LoadWithoutCastENSA_16StoreWithoutCastELi4ELi1EEEEEvT0_T1_@rel32@hi+12
	v_mov_b32_e32 v31, v0
	s_mov_b32 s12, s15
	s_mov_b32 s32, 0
	s_waitcnt lgkmcnt(0)
	s_sub_i32 s6, s6, s7
	v_dual_mov_b32 v0, s0 :: v_dual_mov_b32 v1, s1
	v_dual_mov_b32 v2, s2 :: v_dual_mov_b32 v3, s3
	v_mov_b32_e32 v4, s6
	s_swappc_b64 s[30:31], s[4:5]
	s_endpgm
	.section	.rodata,"a",@progbits
	.p2align	6, 0x0
	.amdhsa_kernel _ZN2at6native27unrolled_elementwise_kernelIZZZNS0_17expm1_kernel_cudaERNS_18TensorIteratorBaseEENKUlvE_clEvENKUlvE2_clEvEUlN3c107complexIfEEE_St5arrayIPcLm2EELi4E23TrivialOffsetCalculatorILi1EjESE_NS0_6memory15LoadWithoutCastENSF_16StoreWithoutCastEEEviT_T0_T2_T3_T4_T5_
		.amdhsa_group_segment_fixed_size 0
		.amdhsa_private_segment_fixed_size 0
		.amdhsa_kernarg_size 28
		.amdhsa_user_sgpr_count 15
		.amdhsa_user_sgpr_dispatch_ptr 0
		.amdhsa_user_sgpr_queue_ptr 0
		.amdhsa_user_sgpr_kernarg_segment_ptr 1
		.amdhsa_user_sgpr_dispatch_id 0
		.amdhsa_user_sgpr_private_segment_size 0
		.amdhsa_wavefront_size32 1
		.amdhsa_uses_dynamic_stack 0
		.amdhsa_enable_private_segment 0
		.amdhsa_system_sgpr_workgroup_id_x 1
		.amdhsa_system_sgpr_workgroup_id_y 0
		.amdhsa_system_sgpr_workgroup_id_z 0
		.amdhsa_system_sgpr_workgroup_info 0
		.amdhsa_system_vgpr_workitem_id 0
		.amdhsa_next_free_vgpr 40
		.amdhsa_next_free_sgpr 33
		.amdhsa_reserve_vcc 1
		.amdhsa_float_round_mode_32 0
		.amdhsa_float_round_mode_16_64 0
		.amdhsa_float_denorm_mode_32 3
		.amdhsa_float_denorm_mode_16_64 3
		.amdhsa_dx10_clamp 1
		.amdhsa_ieee_mode 1
		.amdhsa_fp16_overflow 0
		.amdhsa_workgroup_processor_mode 1
		.amdhsa_memory_ordered 1
		.amdhsa_forward_progress 0
		.amdhsa_shared_vgpr_count 0
		.amdhsa_exception_fp_ieee_invalid_op 0
		.amdhsa_exception_fp_denorm_src 0
		.amdhsa_exception_fp_ieee_div_zero 0
		.amdhsa_exception_fp_ieee_overflow 0
		.amdhsa_exception_fp_ieee_underflow 0
		.amdhsa_exception_fp_ieee_inexact 0
		.amdhsa_exception_int_div_zero 0
	.end_amdhsa_kernel
	.section	.text._ZN2at6native27unrolled_elementwise_kernelIZZZNS0_17expm1_kernel_cudaERNS_18TensorIteratorBaseEENKUlvE_clEvENKUlvE2_clEvEUlN3c107complexIfEEE_St5arrayIPcLm2EELi4E23TrivialOffsetCalculatorILi1EjESE_NS0_6memory15LoadWithoutCastENSF_16StoreWithoutCastEEEviT_T0_T2_T3_T4_T5_,"axG",@progbits,_ZN2at6native27unrolled_elementwise_kernelIZZZNS0_17expm1_kernel_cudaERNS_18TensorIteratorBaseEENKUlvE_clEvENKUlvE2_clEvEUlN3c107complexIfEEE_St5arrayIPcLm2EELi4E23TrivialOffsetCalculatorILi1EjESE_NS0_6memory15LoadWithoutCastENSF_16StoreWithoutCastEEEviT_T0_T2_T3_T4_T5_,comdat
.Lfunc_end140:
	.size	_ZN2at6native27unrolled_elementwise_kernelIZZZNS0_17expm1_kernel_cudaERNS_18TensorIteratorBaseEENKUlvE_clEvENKUlvE2_clEvEUlN3c107complexIfEEE_St5arrayIPcLm2EELi4E23TrivialOffsetCalculatorILi1EjESE_NS0_6memory15LoadWithoutCastENSF_16StoreWithoutCastEEEviT_T0_T2_T3_T4_T5_, .Lfunc_end140-_ZN2at6native27unrolled_elementwise_kernelIZZZNS0_17expm1_kernel_cudaERNS_18TensorIteratorBaseEENKUlvE_clEvENKUlvE2_clEvEUlN3c107complexIfEEE_St5arrayIPcLm2EELi4E23TrivialOffsetCalculatorILi1EjESE_NS0_6memory15LoadWithoutCastENSF_16StoreWithoutCastEEEviT_T0_T2_T3_T4_T5_
                                        ; -- End function
	.section	.AMDGPU.csdata,"",@progbits
; Kernel info:
; codeLenInByte = 92
; NumSgprs: 35
; NumVgprs: 40
; ScratchSize: 0
; MemoryBound: 0
; FloatMode: 240
; IeeeMode: 1
; LDSByteSize: 0 bytes/workgroup (compile time only)
; SGPRBlocks: 4
; VGPRBlocks: 4
; NumSGPRsForWavesPerEU: 35
; NumVGPRsForWavesPerEU: 40
; Occupancy: 16
; WaveLimiterHint : 0
; COMPUTE_PGM_RSRC2:SCRATCH_EN: 0
; COMPUTE_PGM_RSRC2:USER_SGPR: 15
; COMPUTE_PGM_RSRC2:TRAP_HANDLER: 0
; COMPUTE_PGM_RSRC2:TGID_X_EN: 1
; COMPUTE_PGM_RSRC2:TGID_Y_EN: 0
; COMPUTE_PGM_RSRC2:TGID_Z_EN: 0
; COMPUTE_PGM_RSRC2:TIDIG_COMP_CNT: 0
	.section	.text._ZN2at6native32elementwise_kernel_manual_unrollILi128ELi4EZNS0_22gpu_kernel_impl_nocastIZZZNS0_17expm1_kernel_cudaERNS_18TensorIteratorBaseEENKUlvE_clEvENKUlvE2_clEvEUlN3c107complexIfEEE_EEvS4_RKT_EUlibE_EEviT1_,"axG",@progbits,_ZN2at6native32elementwise_kernel_manual_unrollILi128ELi4EZNS0_22gpu_kernel_impl_nocastIZZZNS0_17expm1_kernel_cudaERNS_18TensorIteratorBaseEENKUlvE_clEvENKUlvE2_clEvEUlN3c107complexIfEEE_EEvS4_RKT_EUlibE_EEviT1_,comdat
	.globl	_ZN2at6native32elementwise_kernel_manual_unrollILi128ELi4EZNS0_22gpu_kernel_impl_nocastIZZZNS0_17expm1_kernel_cudaERNS_18TensorIteratorBaseEENKUlvE_clEvENKUlvE2_clEvEUlN3c107complexIfEEE_EEvS4_RKT_EUlibE_EEviT1_ ; -- Begin function _ZN2at6native32elementwise_kernel_manual_unrollILi128ELi4EZNS0_22gpu_kernel_impl_nocastIZZZNS0_17expm1_kernel_cudaERNS_18TensorIteratorBaseEENKUlvE_clEvENKUlvE2_clEvEUlN3c107complexIfEEE_EEvS4_RKT_EUlibE_EEviT1_
	.p2align	8
	.type	_ZN2at6native32elementwise_kernel_manual_unrollILi128ELi4EZNS0_22gpu_kernel_impl_nocastIZZZNS0_17expm1_kernel_cudaERNS_18TensorIteratorBaseEENKUlvE_clEvENKUlvE2_clEvEUlN3c107complexIfEEE_EEvS4_RKT_EUlibE_EEviT1_,@function
_ZN2at6native32elementwise_kernel_manual_unrollILi128ELi4EZNS0_22gpu_kernel_impl_nocastIZZZNS0_17expm1_kernel_cudaERNS_18TensorIteratorBaseEENKUlvE_clEvENKUlvE2_clEvEUlN3c107complexIfEEE_EEvS4_RKT_EUlibE_EEviT1_: ; @_ZN2at6native32elementwise_kernel_manual_unrollILi128ELi4EZNS0_22gpu_kernel_impl_nocastIZZZNS0_17expm1_kernel_cudaERNS_18TensorIteratorBaseEENKUlvE_clEvENKUlvE2_clEvEUlN3c107complexIfEEE_EEvS4_RKT_EUlibE_EEviT1_
; %bb.0:
	s_clause 0x1
	s_load_b32 s22, s[0:1], 0x8
	s_load_b32 s27, s[0:1], 0x0
	v_lshl_or_b32 v3, s15, 9, v0
	s_or_b32 s0, s0, 8
	s_mov_b32 s8, 0
                                        ; implicit-def: $vgpr6
                                        ; implicit-def: $vgpr4_vgpr5
	s_mov_b32 s2, exec_lo
	s_delay_alu instid0(VALU_DEP_1) | instskip(SKIP_2) | instid1(SALU_CYCLE_1)
	v_or_b32_e32 v7, 0x180, v3
	s_waitcnt lgkmcnt(0)
	s_add_i32 s23, s22, -1
	s_cmp_gt_u32 s23, 1
	s_cselect_b32 s24, -1, 0
	v_cmpx_le_i32_e64 s27, v7
	s_xor_b32 s25, exec_lo, s2
	s_cbranch_execz .LBB141_7
; %bb.1:
	s_clause 0x3
	s_load_b128 s[16:19], s[0:1], 0x4
	s_load_b64 s[6:7], s[0:1], 0x14
	s_load_b128 s[12:15], s[0:1], 0xc4
	s_load_b128 s[8:11], s[0:1], 0x148
	s_cmp_lg_u32 s22, 0
	s_mov_b32 s30, exec_lo
	s_cselect_b32 s29, -1, 0
	s_add_u32 s20, s0, 0xc4
	s_addc_u32 s21, s1, 0
	s_min_u32 s28, s23, 15
	s_cmp_gt_u32 s22, 1
	s_cselect_b32 s26, -1, 0
	v_cmpx_gt_i32_e64 s27, v3
	s_cbranch_execz .LBB141_14
; %bb.2:
	s_and_not1_b32 vcc_lo, exec_lo, s24
	s_cbranch_vccnz .LBB141_21
; %bb.3:
	v_dual_mov_b32 v0, 0 :: v_dual_mov_b32 v1, 0
	s_and_not1_b32 vcc_lo, exec_lo, s29
	s_mov_b32 s31, 0
	s_cbranch_vccnz .LBB141_122
; %bb.4:
	v_mov_b32_e32 v0, 0
	s_add_i32 s34, s28, 1
	s_cmp_eq_u32 s23, 2
	s_mov_b32 s33, 0
	s_cbranch_scc1 .LBB141_118
; %bb.5:
	v_dual_mov_b32 v1, 0 :: v_dual_mov_b32 v0, 0
	v_mov_b32_e32 v2, v3
	s_and_b32 s33, s34, 28
	s_mov_b32 s35, 0
	s_mov_b64 s[2:3], s[20:21]
	s_mov_b64 s[4:5], s[0:1]
.LBB141_6:                              ; =>This Inner Loop Header: Depth=1
	s_clause 0x1
	s_load_b256 s[36:43], s[4:5], 0x4
	s_load_b128 s[52:55], s[4:5], 0x24
	s_load_b256 s[44:51], s[2:3], 0x0
	s_add_u32 s4, s4, 48
	s_addc_u32 s5, s5, 0
	s_add_i32 s35, s35, 4
	s_add_u32 s2, s2, 32
	s_addc_u32 s3, s3, 0
	s_cmp_lg_u32 s33, s35
	s_waitcnt lgkmcnt(0)
	v_mul_hi_u32 v4, s37, v2
	s_delay_alu instid0(VALU_DEP_1) | instskip(NEXT) | instid1(VALU_DEP_1)
	v_add_nc_u32_e32 v4, v2, v4
	v_lshrrev_b32_e32 v4, s38, v4
	s_delay_alu instid0(VALU_DEP_1) | instskip(SKIP_1) | instid1(VALU_DEP_2)
	v_mul_hi_u32 v5, s40, v4
	v_mul_lo_u32 v7, v4, s36
	v_add_nc_u32_e32 v5, v4, v5
	s_delay_alu instid0(VALU_DEP_2) | instskip(NEXT) | instid1(VALU_DEP_2)
	v_sub_nc_u32_e32 v2, v2, v7
	v_lshrrev_b32_e32 v5, s41, v5
	s_delay_alu instid0(VALU_DEP_2) | instskip(SKIP_1) | instid1(VALU_DEP_3)
	v_mul_lo_u32 v7, v2, s44
	v_mul_lo_u32 v9, v2, s45
	v_mul_hi_u32 v6, s43, v5
	s_delay_alu instid0(VALU_DEP_1) | instskip(NEXT) | instid1(VALU_DEP_1)
	v_add_nc_u32_e32 v6, v5, v6
	v_lshrrev_b32_e32 v6, s52, v6
	s_delay_alu instid0(VALU_DEP_1) | instskip(SKIP_1) | instid1(VALU_DEP_2)
	v_mul_hi_u32 v8, s54, v6
	v_mul_lo_u32 v10, v6, s42
	v_add_nc_u32_e32 v2, v6, v8
	v_mul_lo_u32 v8, v5, s39
	s_delay_alu instid0(VALU_DEP_3) | instskip(NEXT) | instid1(VALU_DEP_3)
	v_sub_nc_u32_e32 v5, v5, v10
	v_lshrrev_b32_e32 v2, s55, v2
	s_delay_alu instid0(VALU_DEP_2) | instskip(SKIP_2) | instid1(VALU_DEP_4)
	v_mul_lo_u32 v10, v5, s48
	v_mul_lo_u32 v5, v5, s49
	v_sub_nc_u32_e32 v4, v4, v8
	v_mul_lo_u32 v11, v2, s53
	s_delay_alu instid0(VALU_DEP_2) | instskip(SKIP_1) | instid1(VALU_DEP_3)
	v_mul_lo_u32 v8, v4, s46
	v_mul_lo_u32 v4, v4, s47
	v_sub_nc_u32_e32 v6, v6, v11
	s_delay_alu instid0(VALU_DEP_3) | instskip(NEXT) | instid1(VALU_DEP_2)
	v_add3_u32 v0, v7, v0, v8
	v_mul_lo_u32 v11, v6, s50
	v_mul_lo_u32 v6, v6, s51
	v_add3_u32 v1, v9, v1, v4
	s_delay_alu instid0(VALU_DEP_3) | instskip(NEXT) | instid1(VALU_DEP_2)
	v_add3_u32 v0, v10, v0, v11
	v_add3_u32 v1, v5, v1, v6
	s_cbranch_scc1 .LBB141_6
	s_branch .LBB141_119
.LBB141_7:
	s_and_not1_saveexec_b32 s9, s25
	s_cbranch_execz .LBB141_213
.LBB141_8:
	v_cndmask_b32_e64 v5, 0, 1, s24
	s_and_not1_b32 vcc_lo, exec_lo, s24
	s_cbranch_vccnz .LBB141_20
; %bb.9:
	v_mov_b32_e32 v0, 0
	v_mov_b32_e32 v4, 0
	s_cmp_lg_u32 s22, 0
	s_mov_b32 s6, 0
	s_cbranch_scc0 .LBB141_26
; %bb.10:
	s_min_u32 s7, s23, 15
	v_mov_b32_e32 v0, 0
	s_add_i32 s7, s7, 1
	s_cmp_eq_u32 s23, 2
	s_mov_b32 s10, 0
	s_cbranch_scc1 .LBB141_23
; %bb.11:
	v_dual_mov_b32 v4, 0 :: v_dual_mov_b32 v1, v3
	v_mov_b32_e32 v0, 0
	s_add_u32 s2, s0, 0xc4
	s_addc_u32 s3, s1, 0
	s_and_b32 s10, s7, 28
	s_mov_b32 s11, 0
	s_mov_b64 s[4:5], s[0:1]
.LBB141_12:                             ; =>This Inner Loop Header: Depth=1
	s_clause 0x1
	s_load_b256 s[12:19], s[4:5], 0x4
	s_load_b128 s[36:39], s[4:5], 0x24
	s_load_b256 s[24:31], s[2:3], 0x0
	s_add_u32 s4, s4, 48
	s_addc_u32 s5, s5, 0
	s_add_i32 s11, s11, 4
	s_add_u32 s2, s2, 32
	s_addc_u32 s3, s3, 0
	s_cmp_lg_u32 s10, s11
	s_waitcnt lgkmcnt(0)
	v_mul_hi_u32 v2, s13, v1
	s_delay_alu instid0(VALU_DEP_1) | instskip(NEXT) | instid1(VALU_DEP_1)
	v_add_nc_u32_e32 v2, v1, v2
	v_lshrrev_b32_e32 v2, s14, v2
	s_delay_alu instid0(VALU_DEP_1) | instskip(SKIP_1) | instid1(VALU_DEP_2)
	v_mul_hi_u32 v6, s16, v2
	v_mul_lo_u32 v9, v2, s12
	v_add_nc_u32_e32 v6, v2, v6
	s_delay_alu instid0(VALU_DEP_2) | instskip(NEXT) | instid1(VALU_DEP_2)
	v_sub_nc_u32_e32 v1, v1, v9
	v_lshrrev_b32_e32 v6, s17, v6
	s_delay_alu instid0(VALU_DEP_2) | instskip(SKIP_1) | instid1(VALU_DEP_3)
	v_mul_lo_u32 v9, v1, s24
	v_mul_lo_u32 v11, v1, s25
	v_mul_hi_u32 v8, s19, v6
	s_delay_alu instid0(VALU_DEP_1) | instskip(NEXT) | instid1(VALU_DEP_1)
	v_add_nc_u32_e32 v8, v6, v8
	v_lshrrev_b32_e32 v8, s36, v8
	s_delay_alu instid0(VALU_DEP_1) | instskip(SKIP_1) | instid1(VALU_DEP_2)
	v_mul_hi_u32 v10, s38, v8
	v_mul_lo_u32 v12, v8, s18
	v_add_nc_u32_e32 v1, v8, v10
	v_mul_lo_u32 v10, v6, s15
	s_delay_alu instid0(VALU_DEP_3) | instskip(NEXT) | instid1(VALU_DEP_3)
	v_sub_nc_u32_e32 v6, v6, v12
	v_lshrrev_b32_e32 v1, s39, v1
	s_delay_alu instid0(VALU_DEP_2) | instskip(SKIP_2) | instid1(VALU_DEP_4)
	v_mul_lo_u32 v12, v6, s28
	v_mul_lo_u32 v6, v6, s29
	v_sub_nc_u32_e32 v2, v2, v10
	v_mul_lo_u32 v13, v1, s37
	s_delay_alu instid0(VALU_DEP_2) | instskip(SKIP_1) | instid1(VALU_DEP_3)
	v_mul_lo_u32 v10, v2, s26
	v_mul_lo_u32 v2, v2, s27
	v_sub_nc_u32_e32 v8, v8, v13
	s_delay_alu instid0(VALU_DEP_3) | instskip(NEXT) | instid1(VALU_DEP_2)
	v_add3_u32 v0, v9, v0, v10
	v_mul_lo_u32 v13, v8, s30
	v_mul_lo_u32 v8, v8, s31
	v_add3_u32 v2, v11, v4, v2
	s_delay_alu instid0(VALU_DEP_3) | instskip(NEXT) | instid1(VALU_DEP_2)
	v_add3_u32 v0, v12, v0, v13
	v_add3_u32 v4, v6, v2, v8
	s_cbranch_scc1 .LBB141_12
; %bb.13:
	s_and_b32 s7, s7, 3
	s_delay_alu instid0(SALU_CYCLE_1)
	s_cmp_eq_u32 s7, 0
	s_cbranch_scc0 .LBB141_24
	s_branch .LBB141_26
.LBB141_14:
	s_or_b32 exec_lo, exec_lo, s30
	s_delay_alu instid0(SALU_CYCLE_1)
	s_mov_b32 s30, exec_lo
	v_cmpx_gt_i32_e64 s27, v3
	s_cbranch_execz .LBB141_138
.LBB141_15:
	s_and_not1_b32 vcc_lo, exec_lo, s24
	s_cbranch_vccnz .LBB141_22
; %bb.16:
	v_dual_mov_b32 v0, 0 :: v_dual_mov_b32 v1, 0
	s_and_not1_b32 vcc_lo, exec_lo, s29
	s_mov_b32 s31, 0
	s_cbranch_vccnz .LBB141_143
; %bb.17:
	v_mov_b32_e32 v0, 0
	s_add_i32 s34, s28, 1
	s_cmp_eq_u32 s23, 2
	s_mov_b32 s33, 0
	s_cbranch_scc1 .LBB141_139
; %bb.18:
	v_dual_mov_b32 v1, 0 :: v_dual_mov_b32 v0, 0
	v_mov_b32_e32 v2, v3
	s_and_b32 s33, s34, 28
	s_mov_b32 s35, 0
	s_mov_b64 s[2:3], s[20:21]
	s_mov_b64 s[4:5], s[0:1]
.LBB141_19:                             ; =>This Inner Loop Header: Depth=1
	s_clause 0x1
	s_load_b256 s[36:43], s[4:5], 0x4
	s_load_b128 s[52:55], s[4:5], 0x24
	s_load_b256 s[44:51], s[2:3], 0x0
	s_add_u32 s4, s4, 48
	s_addc_u32 s5, s5, 0
	s_add_i32 s35, s35, 4
	s_add_u32 s2, s2, 32
	s_addc_u32 s3, s3, 0
	s_cmp_eq_u32 s33, s35
	s_waitcnt lgkmcnt(0)
	v_mul_hi_u32 v4, s37, v2
	s_delay_alu instid0(VALU_DEP_1) | instskip(NEXT) | instid1(VALU_DEP_1)
	v_add_nc_u32_e32 v4, v2, v4
	v_lshrrev_b32_e32 v4, s38, v4
	s_delay_alu instid0(VALU_DEP_1) | instskip(SKIP_1) | instid1(VALU_DEP_2)
	v_mul_hi_u32 v5, s40, v4
	v_mul_lo_u32 v7, v4, s36
	v_add_nc_u32_e32 v5, v4, v5
	s_delay_alu instid0(VALU_DEP_2) | instskip(NEXT) | instid1(VALU_DEP_2)
	v_sub_nc_u32_e32 v2, v2, v7
	v_lshrrev_b32_e32 v5, s41, v5
	s_delay_alu instid0(VALU_DEP_2) | instskip(SKIP_1) | instid1(VALU_DEP_3)
	v_mul_lo_u32 v7, v2, s44
	v_mul_lo_u32 v9, v2, s45
	v_mul_hi_u32 v6, s43, v5
	s_delay_alu instid0(VALU_DEP_1) | instskip(NEXT) | instid1(VALU_DEP_1)
	v_add_nc_u32_e32 v6, v5, v6
	v_lshrrev_b32_e32 v6, s52, v6
	s_delay_alu instid0(VALU_DEP_1) | instskip(SKIP_1) | instid1(VALU_DEP_2)
	v_mul_hi_u32 v8, s54, v6
	v_mul_lo_u32 v10, v6, s42
	v_add_nc_u32_e32 v2, v6, v8
	v_mul_lo_u32 v8, v5, s39
	s_delay_alu instid0(VALU_DEP_3) | instskip(NEXT) | instid1(VALU_DEP_3)
	v_sub_nc_u32_e32 v5, v5, v10
	v_lshrrev_b32_e32 v2, s55, v2
	s_delay_alu instid0(VALU_DEP_2) | instskip(SKIP_2) | instid1(VALU_DEP_4)
	v_mul_lo_u32 v10, v5, s48
	v_mul_lo_u32 v5, v5, s49
	v_sub_nc_u32_e32 v4, v4, v8
	v_mul_lo_u32 v11, v2, s53
	s_delay_alu instid0(VALU_DEP_2) | instskip(SKIP_1) | instid1(VALU_DEP_3)
	v_mul_lo_u32 v8, v4, s46
	v_mul_lo_u32 v4, v4, s47
	v_sub_nc_u32_e32 v6, v6, v11
	s_delay_alu instid0(VALU_DEP_3) | instskip(NEXT) | instid1(VALU_DEP_2)
	v_add3_u32 v0, v7, v0, v8
	v_mul_lo_u32 v11, v6, s50
	v_mul_lo_u32 v6, v6, s51
	v_add3_u32 v1, v9, v1, v4
	s_delay_alu instid0(VALU_DEP_3) | instskip(NEXT) | instid1(VALU_DEP_2)
	v_add3_u32 v0, v10, v0, v11
	v_add3_u32 v1, v5, v1, v6
	s_cbranch_scc0 .LBB141_19
	s_branch .LBB141_140
.LBB141_20:
	s_mov_b32 s6, -1
                                        ; implicit-def: $vgpr0
                                        ; implicit-def: $vgpr4
	s_branch .LBB141_26
.LBB141_21:
	s_mov_b32 s31, -1
                                        ; implicit-def: $vgpr0
                                        ; implicit-def: $vgpr1
	s_branch .LBB141_122
.LBB141_22:
	s_mov_b32 s31, -1
                                        ; implicit-def: $vgpr0
                                        ; implicit-def: $vgpr1
	s_branch .LBB141_143
.LBB141_23:
	v_dual_mov_b32 v1, v3 :: v_dual_mov_b32 v4, 0
	s_and_b32 s7, s7, 3
	s_delay_alu instid0(SALU_CYCLE_1)
	s_cmp_eq_u32 s7, 0
	s_cbranch_scc1 .LBB141_26
.LBB141_24:
	s_lshl_b32 s2, s10, 3
	s_mul_i32 s4, s10, 12
	s_add_u32 s2, s2, s0
	s_addc_u32 s3, 0, s1
	s_add_u32 s2, s2, 0xc4
	s_addc_u32 s3, s3, 0
	;; [unrolled: 2-line block ×3, first 2 shown]
	.p2align	6
.LBB141_25:                             ; =>This Inner Loop Header: Depth=1
	s_clause 0x1
	s_load_b64 s[10:11], s[4:5], 0x4
	s_load_b32 s14, s[4:5], 0xc
	s_load_b64 s[12:13], s[2:3], 0x0
	s_add_u32 s4, s4, 12
	s_addc_u32 s5, s5, 0
	s_add_u32 s2, s2, 8
	s_addc_u32 s3, s3, 0
	s_add_i32 s7, s7, -1
	s_delay_alu instid0(SALU_CYCLE_1) | instskip(SKIP_2) | instid1(VALU_DEP_1)
	s_cmp_lg_u32 s7, 0
	s_waitcnt lgkmcnt(0)
	v_mul_hi_u32 v2, s11, v1
	v_add_nc_u32_e32 v2, v1, v2
	s_delay_alu instid0(VALU_DEP_1) | instskip(NEXT) | instid1(VALU_DEP_1)
	v_lshrrev_b32_e32 v2, s14, v2
	v_mul_lo_u32 v6, v2, s10
	s_delay_alu instid0(VALU_DEP_1) | instskip(NEXT) | instid1(VALU_DEP_1)
	v_sub_nc_u32_e32 v1, v1, v6
	v_mad_u64_u32 v[8:9], null, v1, s12, v[0:1]
	v_mad_u64_u32 v[9:10], null, v1, s13, v[4:5]
	s_delay_alu instid0(VALU_DEP_2) | instskip(NEXT) | instid1(VALU_DEP_2)
	v_dual_mov_b32 v1, v2 :: v_dual_mov_b32 v0, v8
	v_mov_b32_e32 v4, v9
	s_cbranch_scc1 .LBB141_25
.LBB141_26:
	s_and_not1_b32 vcc_lo, exec_lo, s6
	s_cbranch_vccnz .LBB141_29
; %bb.27:
	s_clause 0x1
	s_load_b128 s[4:7], s[0:1], 0x4
	s_load_b64 s[2:3], s[0:1], 0xc4
	s_cmp_lt_u32 s22, 2
	s_waitcnt lgkmcnt(0)
	v_mul_hi_u32 v0, s5, v3
	s_delay_alu instid0(VALU_DEP_1) | instskip(NEXT) | instid1(VALU_DEP_1)
	v_add_nc_u32_e32 v0, v3, v0
	v_lshrrev_b32_e32 v1, s6, v0
	s_delay_alu instid0(VALU_DEP_1) | instskip(NEXT) | instid1(VALU_DEP_1)
	v_mul_lo_u32 v0, v1, s4
	v_sub_nc_u32_e32 v2, v3, v0
	s_delay_alu instid0(VALU_DEP_1)
	v_mul_lo_u32 v0, v2, s2
	v_mul_lo_u32 v4, v2, s3
	s_cbranch_scc1 .LBB141_29
; %bb.28:
	s_clause 0x1
	s_load_b128 s[4:7], s[0:1], 0x10
	s_load_b64 s[2:3], s[0:1], 0xcc
	s_waitcnt lgkmcnt(0)
	v_mul_hi_u32 v2, s5, v1
	s_delay_alu instid0(VALU_DEP_1) | instskip(NEXT) | instid1(VALU_DEP_1)
	v_add_nc_u32_e32 v2, v1, v2
	v_lshrrev_b32_e32 v2, s6, v2
	s_delay_alu instid0(VALU_DEP_1) | instskip(NEXT) | instid1(VALU_DEP_1)
	v_mul_lo_u32 v2, v2, s4
	v_sub_nc_u32_e32 v6, v1, v2
	s_delay_alu instid0(VALU_DEP_1) | instskip(SKIP_1) | instid1(VALU_DEP_2)
	v_mad_u64_u32 v[1:2], null, v6, s2, v[0:1]
	v_mad_u64_u32 v[8:9], null, v6, s3, v[4:5]
	v_mov_b32_e32 v0, v1
	s_delay_alu instid0(VALU_DEP_2)
	v_mov_b32_e32 v4, v8
.LBB141_29:
	v_cmp_ne_u32_e32 vcc_lo, 1, v5
	v_add_nc_u32_e32 v2, 0x80, v3
	s_cbranch_vccnz .LBB141_35
; %bb.30:
	v_dual_mov_b32 v1, 0 :: v_dual_mov_b32 v6, 0
	s_cmp_lg_u32 s22, 0
	s_mov_b32 s6, 0
	s_cbranch_scc0 .LBB141_39
; %bb.31:
	s_min_u32 s7, s23, 15
	v_mov_b32_e32 v1, 0
	s_add_i32 s7, s7, 1
	s_cmp_eq_u32 s23, 2
	s_mov_b32 s10, 0
	s_cbranch_scc1 .LBB141_36
; %bb.32:
	v_dual_mov_b32 v6, 0 :: v_dual_mov_b32 v1, 0
	v_mov_b32_e32 v8, v2
	s_add_u32 s2, s0, 0xc4
	s_addc_u32 s3, s1, 0
	s_and_b32 s10, s7, 28
	s_mov_b32 s11, 0
	s_mov_b64 s[4:5], s[0:1]
.LBB141_33:                             ; =>This Inner Loop Header: Depth=1
	s_clause 0x1
	s_load_b256 s[12:19], s[4:5], 0x4
	s_load_b128 s[36:39], s[4:5], 0x24
	s_load_b256 s[24:31], s[2:3], 0x0
	s_add_u32 s4, s4, 48
	s_addc_u32 s5, s5, 0
	s_add_i32 s11, s11, 4
	s_add_u32 s2, s2, 32
	s_addc_u32 s3, s3, 0
	s_cmp_lg_u32 s10, s11
	s_waitcnt lgkmcnt(0)
	v_mul_hi_u32 v9, s13, v8
	s_delay_alu instid0(VALU_DEP_1) | instskip(NEXT) | instid1(VALU_DEP_1)
	v_add_nc_u32_e32 v9, v8, v9
	v_lshrrev_b32_e32 v9, s14, v9
	s_delay_alu instid0(VALU_DEP_1) | instskip(SKIP_1) | instid1(VALU_DEP_2)
	v_mul_hi_u32 v10, s16, v9
	v_mul_lo_u32 v12, v9, s12
	v_add_nc_u32_e32 v10, v9, v10
	s_delay_alu instid0(VALU_DEP_2) | instskip(NEXT) | instid1(VALU_DEP_2)
	v_sub_nc_u32_e32 v8, v8, v12
	v_lshrrev_b32_e32 v10, s17, v10
	s_delay_alu instid0(VALU_DEP_2) | instskip(SKIP_1) | instid1(VALU_DEP_3)
	v_mul_lo_u32 v12, v8, s24
	v_mul_lo_u32 v14, v8, s25
	v_mul_hi_u32 v11, s19, v10
	s_delay_alu instid0(VALU_DEP_1) | instskip(NEXT) | instid1(VALU_DEP_1)
	v_add_nc_u32_e32 v11, v10, v11
	v_lshrrev_b32_e32 v11, s36, v11
	s_delay_alu instid0(VALU_DEP_1) | instskip(SKIP_1) | instid1(VALU_DEP_2)
	v_mul_hi_u32 v13, s38, v11
	v_mul_lo_u32 v15, v11, s18
	v_add_nc_u32_e32 v8, v11, v13
	v_mul_lo_u32 v13, v10, s15
	s_delay_alu instid0(VALU_DEP_3) | instskip(NEXT) | instid1(VALU_DEP_3)
	v_sub_nc_u32_e32 v10, v10, v15
	v_lshrrev_b32_e32 v8, s39, v8
	s_delay_alu instid0(VALU_DEP_2) | instskip(SKIP_2) | instid1(VALU_DEP_4)
	v_mul_lo_u32 v15, v10, s28
	v_mul_lo_u32 v10, v10, s29
	v_sub_nc_u32_e32 v9, v9, v13
	v_mul_lo_u32 v16, v8, s37
	s_delay_alu instid0(VALU_DEP_2) | instskip(SKIP_1) | instid1(VALU_DEP_3)
	v_mul_lo_u32 v13, v9, s26
	v_mul_lo_u32 v9, v9, s27
	v_sub_nc_u32_e32 v11, v11, v16
	s_delay_alu instid0(VALU_DEP_3) | instskip(NEXT) | instid1(VALU_DEP_2)
	v_add3_u32 v1, v12, v1, v13
	v_mul_lo_u32 v16, v11, s30
	v_mul_lo_u32 v11, v11, s31
	v_add3_u32 v6, v14, v6, v9
	s_delay_alu instid0(VALU_DEP_3) | instskip(NEXT) | instid1(VALU_DEP_2)
	v_add3_u32 v1, v15, v1, v16
	v_add3_u32 v6, v10, v6, v11
	s_cbranch_scc1 .LBB141_33
; %bb.34:
	s_and_b32 s7, s7, 3
	s_delay_alu instid0(SALU_CYCLE_1)
	s_cmp_eq_u32 s7, 0
	s_cbranch_scc0 .LBB141_37
	s_branch .LBB141_39
.LBB141_35:
	s_mov_b32 s6, -1
                                        ; implicit-def: $vgpr1
                                        ; implicit-def: $vgpr6
	s_branch .LBB141_39
.LBB141_36:
	v_mov_b32_e32 v8, v2
	v_mov_b32_e32 v6, 0
	s_and_b32 s7, s7, 3
	s_delay_alu instid0(SALU_CYCLE_1)
	s_cmp_eq_u32 s7, 0
	s_cbranch_scc1 .LBB141_39
.LBB141_37:
	s_lshl_b32 s2, s10, 3
	s_mul_i32 s4, s10, 12
	s_add_u32 s2, s2, s0
	s_addc_u32 s3, 0, s1
	s_add_u32 s2, s2, 0xc4
	s_addc_u32 s3, s3, 0
	;; [unrolled: 2-line block ×3, first 2 shown]
	.p2align	6
.LBB141_38:                             ; =>This Inner Loop Header: Depth=1
	s_clause 0x1
	s_load_b64 s[10:11], s[4:5], 0x4
	s_load_b32 s14, s[4:5], 0xc
	s_load_b64 s[12:13], s[2:3], 0x0
	s_add_u32 s4, s4, 12
	s_addc_u32 s5, s5, 0
	s_add_u32 s2, s2, 8
	s_addc_u32 s3, s3, 0
	s_add_i32 s7, s7, -1
	s_delay_alu instid0(SALU_CYCLE_1) | instskip(SKIP_2) | instid1(VALU_DEP_1)
	s_cmp_lg_u32 s7, 0
	s_waitcnt lgkmcnt(0)
	v_mul_hi_u32 v9, s11, v8
	v_add_nc_u32_e32 v9, v8, v9
	s_delay_alu instid0(VALU_DEP_1) | instskip(NEXT) | instid1(VALU_DEP_1)
	v_lshrrev_b32_e32 v12, s14, v9
	v_mul_lo_u32 v9, v12, s10
	s_delay_alu instid0(VALU_DEP_1) | instskip(NEXT) | instid1(VALU_DEP_1)
	v_sub_nc_u32_e32 v8, v8, v9
	v_mad_u64_u32 v[9:10], null, v8, s12, v[1:2]
	v_mad_u64_u32 v[10:11], null, v8, s13, v[6:7]
	s_delay_alu instid0(VALU_DEP_2) | instskip(NEXT) | instid1(VALU_DEP_2)
	v_dual_mov_b32 v8, v12 :: v_dual_mov_b32 v1, v9
	v_mov_b32_e32 v6, v10
	s_cbranch_scc1 .LBB141_38
.LBB141_39:
	s_and_not1_b32 vcc_lo, exec_lo, s6
	s_cbranch_vccnz .LBB141_42
; %bb.40:
	s_clause 0x1
	s_load_b128 s[4:7], s[0:1], 0x4
	s_load_b64 s[2:3], s[0:1], 0xc4
	s_cmp_lt_u32 s22, 2
	s_waitcnt lgkmcnt(0)
	v_mul_hi_u32 v1, s5, v2
	s_delay_alu instid0(VALU_DEP_1) | instskip(NEXT) | instid1(VALU_DEP_1)
	v_add_nc_u32_e32 v1, v2, v1
	v_lshrrev_b32_e32 v8, s6, v1
	s_delay_alu instid0(VALU_DEP_1) | instskip(NEXT) | instid1(VALU_DEP_1)
	v_mul_lo_u32 v1, v8, s4
	v_sub_nc_u32_e32 v2, v2, v1
	s_delay_alu instid0(VALU_DEP_1)
	v_mul_lo_u32 v1, v2, s2
	v_mul_lo_u32 v6, v2, s3
	s_cbranch_scc1 .LBB141_42
; %bb.41:
	s_clause 0x1
	s_load_b128 s[4:7], s[0:1], 0x10
	s_load_b64 s[2:3], s[0:1], 0xcc
	s_waitcnt lgkmcnt(0)
	v_mul_hi_u32 v2, s5, v8
	s_delay_alu instid0(VALU_DEP_1) | instskip(NEXT) | instid1(VALU_DEP_1)
	v_add_nc_u32_e32 v2, v8, v2
	v_lshrrev_b32_e32 v2, s6, v2
	s_delay_alu instid0(VALU_DEP_1) | instskip(NEXT) | instid1(VALU_DEP_1)
	v_mul_lo_u32 v2, v2, s4
	v_sub_nc_u32_e32 v2, v8, v2
	s_delay_alu instid0(VALU_DEP_1) | instskip(SKIP_1) | instid1(VALU_DEP_1)
	v_mad_u64_u32 v[8:9], null, v2, s2, v[1:2]
	v_mad_u64_u32 v[9:10], null, v2, s3, v[6:7]
	v_dual_mov_b32 v1, v8 :: v_dual_mov_b32 v6, v9
.LBB141_42:
	v_cmp_ne_u32_e32 vcc_lo, 1, v5
	v_add_nc_u32_e32 v3, 0x100, v3
	s_cbranch_vccnz .LBB141_48
; %bb.43:
	v_dual_mov_b32 v2, 0 :: v_dual_mov_b32 v9, 0
	s_cmp_lg_u32 s22, 0
	s_mov_b32 s6, 0
	s_cbranch_scc0 .LBB141_52
; %bb.44:
	s_min_u32 s7, s23, 15
	v_mov_b32_e32 v2, 0
	s_add_i32 s7, s7, 1
	s_cmp_eq_u32 s23, 2
	s_mov_b32 s10, 0
	s_cbranch_scc1 .LBB141_49
; %bb.45:
	v_dual_mov_b32 v9, 0 :: v_dual_mov_b32 v2, 0
	v_mov_b32_e32 v8, v3
	s_add_u32 s2, s0, 0xc4
	s_addc_u32 s3, s1, 0
	s_and_b32 s10, s7, 28
	s_mov_b32 s11, 0
	s_mov_b64 s[4:5], s[0:1]
.LBB141_46:                             ; =>This Inner Loop Header: Depth=1
	s_clause 0x1
	s_load_b256 s[12:19], s[4:5], 0x4
	s_load_b128 s[36:39], s[4:5], 0x24
	s_load_b256 s[24:31], s[2:3], 0x0
	s_add_u32 s4, s4, 48
	s_addc_u32 s5, s5, 0
	s_add_i32 s11, s11, 4
	s_add_u32 s2, s2, 32
	s_addc_u32 s3, s3, 0
	s_cmp_lg_u32 s10, s11
	s_waitcnt lgkmcnt(0)
	v_mul_hi_u32 v10, s13, v8
	s_delay_alu instid0(VALU_DEP_1) | instskip(NEXT) | instid1(VALU_DEP_1)
	v_add_nc_u32_e32 v10, v8, v10
	v_lshrrev_b32_e32 v10, s14, v10
	s_delay_alu instid0(VALU_DEP_1) | instskip(SKIP_1) | instid1(VALU_DEP_2)
	v_mul_hi_u32 v11, s16, v10
	v_mul_lo_u32 v13, v10, s12
	v_add_nc_u32_e32 v11, v10, v11
	s_delay_alu instid0(VALU_DEP_2) | instskip(NEXT) | instid1(VALU_DEP_2)
	v_sub_nc_u32_e32 v8, v8, v13
	v_lshrrev_b32_e32 v11, s17, v11
	s_delay_alu instid0(VALU_DEP_2) | instskip(SKIP_1) | instid1(VALU_DEP_3)
	v_mul_lo_u32 v13, v8, s24
	v_mul_lo_u32 v15, v8, s25
	v_mul_hi_u32 v12, s19, v11
	s_delay_alu instid0(VALU_DEP_1) | instskip(NEXT) | instid1(VALU_DEP_1)
	v_add_nc_u32_e32 v12, v11, v12
	v_lshrrev_b32_e32 v12, s36, v12
	s_delay_alu instid0(VALU_DEP_1) | instskip(SKIP_1) | instid1(VALU_DEP_2)
	v_mul_hi_u32 v14, s38, v12
	v_mul_lo_u32 v16, v12, s18
	v_add_nc_u32_e32 v8, v12, v14
	v_mul_lo_u32 v14, v11, s15
	s_delay_alu instid0(VALU_DEP_3) | instskip(NEXT) | instid1(VALU_DEP_3)
	v_sub_nc_u32_e32 v11, v11, v16
	v_lshrrev_b32_e32 v8, s39, v8
	s_delay_alu instid0(VALU_DEP_2) | instskip(SKIP_2) | instid1(VALU_DEP_4)
	v_mul_lo_u32 v16, v11, s28
	v_mul_lo_u32 v11, v11, s29
	v_sub_nc_u32_e32 v10, v10, v14
	v_mul_lo_u32 v17, v8, s37
	s_delay_alu instid0(VALU_DEP_2) | instskip(SKIP_1) | instid1(VALU_DEP_3)
	v_mul_lo_u32 v14, v10, s26
	v_mul_lo_u32 v10, v10, s27
	v_sub_nc_u32_e32 v12, v12, v17
	s_delay_alu instid0(VALU_DEP_3) | instskip(NEXT) | instid1(VALU_DEP_2)
	v_add3_u32 v2, v13, v2, v14
	v_mul_lo_u32 v17, v12, s30
	v_mul_lo_u32 v12, v12, s31
	v_add3_u32 v9, v15, v9, v10
	s_delay_alu instid0(VALU_DEP_3) | instskip(NEXT) | instid1(VALU_DEP_2)
	v_add3_u32 v2, v16, v2, v17
	v_add3_u32 v9, v11, v9, v12
	s_cbranch_scc1 .LBB141_46
; %bb.47:
	s_and_b32 s7, s7, 3
	s_delay_alu instid0(SALU_CYCLE_1)
	s_cmp_eq_u32 s7, 0
	s_cbranch_scc0 .LBB141_50
	s_branch .LBB141_52
.LBB141_48:
	s_mov_b32 s6, -1
                                        ; implicit-def: $vgpr2
                                        ; implicit-def: $vgpr9
	s_branch .LBB141_52
.LBB141_49:
	v_dual_mov_b32 v8, v3 :: v_dual_mov_b32 v9, 0
	s_and_b32 s7, s7, 3
	s_delay_alu instid0(SALU_CYCLE_1)
	s_cmp_eq_u32 s7, 0
	s_cbranch_scc1 .LBB141_52
.LBB141_50:
	s_lshl_b32 s2, s10, 3
	s_mul_i32 s4, s10, 12
	s_add_u32 s2, s2, s0
	s_addc_u32 s3, 0, s1
	s_add_u32 s2, s2, 0xc4
	s_addc_u32 s3, s3, 0
	;; [unrolled: 2-line block ×3, first 2 shown]
	.p2align	6
.LBB141_51:                             ; =>This Inner Loop Header: Depth=1
	s_clause 0x1
	s_load_b64 s[10:11], s[4:5], 0x4
	s_load_b32 s14, s[4:5], 0xc
	s_load_b64 s[12:13], s[2:3], 0x0
	s_add_u32 s4, s4, 12
	s_addc_u32 s5, s5, 0
	s_add_u32 s2, s2, 8
	s_addc_u32 s3, s3, 0
	s_add_i32 s7, s7, -1
	s_delay_alu instid0(SALU_CYCLE_1) | instskip(SKIP_2) | instid1(VALU_DEP_1)
	s_cmp_lg_u32 s7, 0
	s_waitcnt lgkmcnt(0)
	v_mul_hi_u32 v10, s11, v8
	v_add_nc_u32_e32 v10, v8, v10
	s_delay_alu instid0(VALU_DEP_1) | instskip(NEXT) | instid1(VALU_DEP_1)
	v_lshrrev_b32_e32 v13, s14, v10
	v_mul_lo_u32 v10, v13, s10
	s_delay_alu instid0(VALU_DEP_1) | instskip(NEXT) | instid1(VALU_DEP_1)
	v_sub_nc_u32_e32 v8, v8, v10
	v_mad_u64_u32 v[10:11], null, v8, s12, v[2:3]
	s_delay_alu instid0(VALU_DEP_1) | instskip(SKIP_1) | instid1(VALU_DEP_2)
	v_mad_u64_u32 v[11:12], null, v8, s13, v[9:10]
	v_mov_b32_e32 v8, v13
	v_dual_mov_b32 v2, v10 :: v_dual_mov_b32 v9, v11
	s_cbranch_scc1 .LBB141_51
.LBB141_52:
	s_and_not1_b32 vcc_lo, exec_lo, s6
	s_cbranch_vccnz .LBB141_55
; %bb.53:
	s_clause 0x1
	s_load_b128 s[4:7], s[0:1], 0x4
	s_load_b64 s[2:3], s[0:1], 0xc4
	s_cmp_lt_u32 s22, 2
	s_waitcnt lgkmcnt(0)
	v_mul_hi_u32 v2, s5, v3
	s_delay_alu instid0(VALU_DEP_1) | instskip(NEXT) | instid1(VALU_DEP_1)
	v_add_nc_u32_e32 v2, v3, v2
	v_lshrrev_b32_e32 v8, s6, v2
	s_delay_alu instid0(VALU_DEP_1) | instskip(NEXT) | instid1(VALU_DEP_1)
	v_mul_lo_u32 v2, v8, s4
	v_sub_nc_u32_e32 v3, v3, v2
	s_delay_alu instid0(VALU_DEP_1)
	v_mul_lo_u32 v2, v3, s2
	v_mul_lo_u32 v9, v3, s3
	s_cbranch_scc1 .LBB141_55
; %bb.54:
	s_clause 0x1
	s_load_b128 s[4:7], s[0:1], 0x10
	s_load_b64 s[2:3], s[0:1], 0xcc
	s_waitcnt lgkmcnt(0)
	v_mul_hi_u32 v3, s5, v8
	s_delay_alu instid0(VALU_DEP_1) | instskip(NEXT) | instid1(VALU_DEP_1)
	v_add_nc_u32_e32 v3, v8, v3
	v_lshrrev_b32_e32 v3, s6, v3
	s_delay_alu instid0(VALU_DEP_1) | instskip(NEXT) | instid1(VALU_DEP_1)
	v_mul_lo_u32 v3, v3, s4
	v_sub_nc_u32_e32 v3, v8, v3
	s_delay_alu instid0(VALU_DEP_1) | instskip(NEXT) | instid1(VALU_DEP_1)
	v_mad_u64_u32 v[10:11], null, v3, s2, v[2:3]
	v_mov_b32_e32 v2, v10
	v_mad_u64_u32 v[11:12], null, v3, s3, v[9:10]
	s_delay_alu instid0(VALU_DEP_1)
	v_mov_b32_e32 v9, v11
.LBB141_55:
	v_cmp_ne_u32_e32 vcc_lo, 1, v5
	s_cbranch_vccnz .LBB141_61
; %bb.56:
	v_dual_mov_b32 v3, 0 :: v_dual_mov_b32 v8, 0
	s_cmp_lg_u32 s22, 0
	s_mov_b32 s6, 0
	s_cbranch_scc0 .LBB141_65
; %bb.57:
	s_min_u32 s7, s23, 15
	v_mov_b32_e32 v3, 0
	s_add_i32 s7, s7, 1
	s_cmp_eq_u32 s23, 2
	s_mov_b32 s10, 0
	s_cbranch_scc1 .LBB141_62
; %bb.58:
	v_dual_mov_b32 v8, 0 :: v_dual_mov_b32 v3, 0
	v_mov_b32_e32 v5, v7
	s_add_u32 s2, s0, 0xc4
	s_addc_u32 s3, s1, 0
	s_and_b32 s10, s7, 28
	s_mov_b32 s11, 0
	s_mov_b64 s[4:5], s[0:1]
.LBB141_59:                             ; =>This Inner Loop Header: Depth=1
	s_clause 0x1
	s_load_b256 s[12:19], s[4:5], 0x4
	s_load_b128 s[36:39], s[4:5], 0x24
	s_load_b256 s[24:31], s[2:3], 0x0
	s_add_u32 s4, s4, 48
	s_addc_u32 s5, s5, 0
	s_add_i32 s11, s11, 4
	s_add_u32 s2, s2, 32
	s_addc_u32 s3, s3, 0
	s_cmp_lg_u32 s10, s11
	s_waitcnt lgkmcnt(0)
	v_mul_hi_u32 v10, s13, v5
	s_delay_alu instid0(VALU_DEP_1) | instskip(NEXT) | instid1(VALU_DEP_1)
	v_add_nc_u32_e32 v10, v5, v10
	v_lshrrev_b32_e32 v10, s14, v10
	s_delay_alu instid0(VALU_DEP_1) | instskip(SKIP_1) | instid1(VALU_DEP_2)
	v_mul_hi_u32 v11, s16, v10
	v_mul_lo_u32 v13, v10, s12
	v_add_nc_u32_e32 v11, v10, v11
	s_delay_alu instid0(VALU_DEP_2) | instskip(NEXT) | instid1(VALU_DEP_2)
	v_sub_nc_u32_e32 v5, v5, v13
	v_lshrrev_b32_e32 v11, s17, v11
	s_delay_alu instid0(VALU_DEP_2) | instskip(SKIP_1) | instid1(VALU_DEP_3)
	v_mul_lo_u32 v13, v5, s24
	v_mul_lo_u32 v15, v5, s25
	v_mul_hi_u32 v12, s19, v11
	s_delay_alu instid0(VALU_DEP_1) | instskip(NEXT) | instid1(VALU_DEP_1)
	v_add_nc_u32_e32 v12, v11, v12
	v_lshrrev_b32_e32 v12, s36, v12
	s_delay_alu instid0(VALU_DEP_1) | instskip(SKIP_1) | instid1(VALU_DEP_2)
	v_mul_hi_u32 v14, s38, v12
	v_mul_lo_u32 v16, v12, s18
	v_add_nc_u32_e32 v5, v12, v14
	v_mul_lo_u32 v14, v11, s15
	s_delay_alu instid0(VALU_DEP_3) | instskip(NEXT) | instid1(VALU_DEP_3)
	v_sub_nc_u32_e32 v11, v11, v16
	v_lshrrev_b32_e32 v5, s39, v5
	s_delay_alu instid0(VALU_DEP_2) | instskip(SKIP_2) | instid1(VALU_DEP_4)
	v_mul_lo_u32 v16, v11, s28
	v_mul_lo_u32 v11, v11, s29
	v_sub_nc_u32_e32 v10, v10, v14
	v_mul_lo_u32 v17, v5, s37
	s_delay_alu instid0(VALU_DEP_2) | instskip(SKIP_1) | instid1(VALU_DEP_3)
	v_mul_lo_u32 v14, v10, s26
	v_mul_lo_u32 v10, v10, s27
	v_sub_nc_u32_e32 v12, v12, v17
	s_delay_alu instid0(VALU_DEP_3) | instskip(NEXT) | instid1(VALU_DEP_2)
	v_add3_u32 v3, v13, v3, v14
	v_mul_lo_u32 v17, v12, s30
	v_mul_lo_u32 v12, v12, s31
	v_add3_u32 v8, v15, v8, v10
	s_delay_alu instid0(VALU_DEP_3) | instskip(NEXT) | instid1(VALU_DEP_2)
	v_add3_u32 v3, v16, v3, v17
	v_add3_u32 v8, v11, v8, v12
	s_cbranch_scc1 .LBB141_59
; %bb.60:
	s_and_b32 s7, s7, 3
	s_delay_alu instid0(SALU_CYCLE_1)
	s_cmp_eq_u32 s7, 0
	s_cbranch_scc0 .LBB141_63
	s_branch .LBB141_65
.LBB141_61:
	s_mov_b32 s6, -1
                                        ; implicit-def: $vgpr3
                                        ; implicit-def: $vgpr8
	s_branch .LBB141_65
.LBB141_62:
	v_dual_mov_b32 v5, v7 :: v_dual_mov_b32 v8, 0
	s_and_b32 s7, s7, 3
	s_delay_alu instid0(SALU_CYCLE_1)
	s_cmp_eq_u32 s7, 0
	s_cbranch_scc1 .LBB141_65
.LBB141_63:
	s_lshl_b32 s2, s10, 3
	s_mul_i32 s4, s10, 12
	s_add_u32 s2, s2, s0
	s_addc_u32 s3, 0, s1
	s_add_u32 s2, s2, 0xc4
	s_addc_u32 s3, s3, 0
	;; [unrolled: 2-line block ×3, first 2 shown]
	.p2align	6
.LBB141_64:                             ; =>This Inner Loop Header: Depth=1
	s_clause 0x1
	s_load_b64 s[10:11], s[4:5], 0x4
	s_load_b32 s14, s[4:5], 0xc
	s_load_b64 s[12:13], s[2:3], 0x0
	s_add_u32 s4, s4, 12
	s_addc_u32 s5, s5, 0
	s_add_u32 s2, s2, 8
	s_addc_u32 s3, s3, 0
	s_add_i32 s7, s7, -1
	s_delay_alu instid0(SALU_CYCLE_1) | instskip(SKIP_2) | instid1(VALU_DEP_1)
	s_cmp_lg_u32 s7, 0
	s_waitcnt lgkmcnt(0)
	v_mul_hi_u32 v10, s11, v5
	v_add_nc_u32_e32 v10, v5, v10
	s_delay_alu instid0(VALU_DEP_1) | instskip(NEXT) | instid1(VALU_DEP_1)
	v_lshrrev_b32_e32 v13, s14, v10
	v_mul_lo_u32 v10, v13, s10
	s_delay_alu instid0(VALU_DEP_1) | instskip(NEXT) | instid1(VALU_DEP_1)
	v_sub_nc_u32_e32 v5, v5, v10
	v_mad_u64_u32 v[10:11], null, v5, s12, v[3:4]
	v_mad_u64_u32 v[11:12], null, v5, s13, v[8:9]
	v_mov_b32_e32 v5, v13
	s_delay_alu instid0(VALU_DEP_2)
	v_dual_mov_b32 v3, v10 :: v_dual_mov_b32 v8, v11
	s_cbranch_scc1 .LBB141_64
.LBB141_65:
	s_and_not1_b32 vcc_lo, exec_lo, s6
	s_cbranch_vccnz .LBB141_68
; %bb.66:
	s_clause 0x1
	s_load_b128 s[4:7], s[0:1], 0x4
	s_load_b64 s[2:3], s[0:1], 0xc4
	s_cmp_lt_u32 s22, 2
	s_waitcnt lgkmcnt(0)
	v_mul_hi_u32 v3, s5, v7
	s_delay_alu instid0(VALU_DEP_1) | instskip(NEXT) | instid1(VALU_DEP_1)
	v_add_nc_u32_e32 v3, v7, v3
	v_lshrrev_b32_e32 v5, s6, v3
	s_delay_alu instid0(VALU_DEP_1) | instskip(NEXT) | instid1(VALU_DEP_1)
	v_mul_lo_u32 v3, v5, s4
	v_sub_nc_u32_e32 v7, v7, v3
	s_delay_alu instid0(VALU_DEP_1)
	v_mul_lo_u32 v3, v7, s2
	v_mul_lo_u32 v8, v7, s3
	s_cbranch_scc1 .LBB141_68
; %bb.67:
	s_clause 0x1
	s_load_b128 s[4:7], s[0:1], 0x10
	s_load_b64 s[2:3], s[0:1], 0xcc
	s_waitcnt lgkmcnt(0)
	v_mul_hi_u32 v7, s5, v5
	s_delay_alu instid0(VALU_DEP_1) | instskip(NEXT) | instid1(VALU_DEP_1)
	v_add_nc_u32_e32 v7, v5, v7
	v_lshrrev_b32_e32 v7, s6, v7
	s_delay_alu instid0(VALU_DEP_1) | instskip(NEXT) | instid1(VALU_DEP_1)
	v_mul_lo_u32 v7, v7, s4
	v_sub_nc_u32_e32 v5, v5, v7
	s_delay_alu instid0(VALU_DEP_1) | instskip(SKIP_1) | instid1(VALU_DEP_1)
	v_mad_u64_u32 v[10:11], null, v5, s2, v[3:4]
	v_mad_u64_u32 v[11:12], null, v5, s3, v[8:9]
	v_dual_mov_b32 v3, v10 :: v_dual_mov_b32 v8, v11
.LBB141_68:
	s_load_b128 s[4:7], s[0:1], 0x148
                                        ; implicit-def: $vgpr17
                                        ; implicit-def: $vgpr16
	s_mov_b32 s1, exec_lo
	s_waitcnt lgkmcnt(0)
	global_load_b64 v[4:5], v4, s[6:7]
	s_waitcnt vmcnt(0)
	v_mul_f32_e32 v13, 0.5, v5
	s_delay_alu instid0(VALU_DEP_1)
	v_and_b32_e32 v14, 0x7fffffff, v13
	v_cmpx_ngt_f32_e64 0x48000000, |v13|
	s_xor_b32 s3, exec_lo, s1
	s_cbranch_execz .LBB141_70
; %bb.69:
	s_mov_b32 s0, 0x7fffff
	v_mov_b32_e32 v12, 0
	v_and_or_b32 v7, v14, s0, 0x800000
	v_lshrrev_b32_e32 v19, 23, v14
	s_delay_alu instid0(VALU_DEP_2) | instskip(NEXT) | instid1(VALU_DEP_2)
	v_mad_u64_u32 v[10:11], null, 0xfe5163ab, v7, 0
	v_add_nc_u32_e32 v20, 0xffffff88, v19
	s_delay_alu instid0(VALU_DEP_1) | instskip(NEXT) | instid1(VALU_DEP_3)
	v_cmp_lt_u32_e32 vcc_lo, 63, v20
	v_mad_u64_u32 v[15:16], null, 0x3c439041, v7, v[11:12]
	v_cndmask_b32_e64 v21, 0, 0xffffffc0, vcc_lo
	s_delay_alu instid0(VALU_DEP_2) | instskip(NEXT) | instid1(VALU_DEP_1)
	v_mov_b32_e32 v11, v16
	v_mad_u64_u32 v[16:17], null, 0xdb629599, v7, v[11:12]
	s_delay_alu instid0(VALU_DEP_1) | instskip(NEXT) | instid1(VALU_DEP_2)
	v_dual_cndmask_b32 v10, v16, v10 :: v_dual_add_nc_u32 v21, v21, v20
	v_mov_b32_e32 v11, v17
	s_delay_alu instid0(VALU_DEP_2) | instskip(NEXT) | instid1(VALU_DEP_2)
	v_cmp_lt_u32_e64 s0, 31, v21
	v_mad_u64_u32 v[17:18], null, 0xf534ddc0, v7, v[11:12]
	s_delay_alu instid0(VALU_DEP_2) | instskip(NEXT) | instid1(VALU_DEP_1)
	v_cndmask_b32_e64 v22, 0, 0xffffffe0, s0
	v_add_nc_u32_e32 v22, v22, v21
	s_delay_alu instid0(VALU_DEP_3) | instskip(NEXT) | instid1(VALU_DEP_4)
	v_mov_b32_e32 v11, v18
	v_cndmask_b32_e32 v15, v17, v15, vcc_lo
	s_delay_alu instid0(VALU_DEP_3) | instskip(NEXT) | instid1(VALU_DEP_3)
	v_cmp_lt_u32_e64 s1, 31, v22
	v_mad_u64_u32 v[18:19], null, 0xfc2757d1, v7, v[11:12]
	s_delay_alu instid0(VALU_DEP_3) | instskip(NEXT) | instid1(VALU_DEP_2)
	v_cndmask_b32_e64 v10, v15, v10, s0
	v_mov_b32_e32 v11, v19
	s_delay_alu instid0(VALU_DEP_1) | instskip(NEXT) | instid1(VALU_DEP_1)
	v_mad_u64_u32 v[19:20], null, 0x4e441529, v7, v[11:12]
	v_mov_b32_e32 v11, v20
	s_delay_alu instid0(VALU_DEP_1) | instskip(SKIP_1) | instid1(VALU_DEP_4)
	v_mad_u64_u32 v[20:21], null, 0xa2f9836e, v7, v[11:12]
	v_cndmask_b32_e64 v7, 0, 0xffffffe0, s1
	v_cndmask_b32_e32 v11, v19, v17, vcc_lo
	s_delay_alu instid0(VALU_DEP_2) | instskip(NEXT) | instid1(VALU_DEP_4)
	v_add_nc_u32_e32 v7, v7, v22
	v_dual_cndmask_b32 v12, v20, v18 :: v_dual_cndmask_b32 v19, v21, v19
	v_cndmask_b32_e32 v18, v18, v16, vcc_lo
	s_delay_alu instid0(VALU_DEP_3) | instskip(NEXT) | instid1(VALU_DEP_3)
	v_cmp_eq_u32_e64 s2, 0, v7
	v_cndmask_b32_e64 v17, v12, v11, s0
	s_delay_alu instid0(VALU_DEP_4) | instskip(NEXT) | instid1(VALU_DEP_4)
	v_cndmask_b32_e64 v12, v19, v12, s0
	v_cndmask_b32_e64 v11, v11, v18, s0
	v_sub_nc_u32_e32 v19, 32, v7
	v_cndmask_b32_e64 v18, v18, v15, s0
	s_delay_alu instid0(VALU_DEP_4) | instskip(NEXT) | instid1(VALU_DEP_4)
	v_cndmask_b32_e64 v12, v12, v17, s1
	v_cndmask_b32_e64 v17, v17, v11, s1
	s_delay_alu instid0(VALU_DEP_3) | instskip(SKIP_1) | instid1(VALU_DEP_3)
	v_cndmask_b32_e64 v11, v11, v18, s1
	v_cndmask_b32_e64 v10, v18, v10, s1
	v_alignbit_b32 v20, v12, v17, v19
	s_delay_alu instid0(VALU_DEP_3) | instskip(NEXT) | instid1(VALU_DEP_3)
	v_alignbit_b32 v21, v17, v11, v19
	v_alignbit_b32 v19, v11, v10, v19
	s_delay_alu instid0(VALU_DEP_3) | instskip(NEXT) | instid1(VALU_DEP_3)
	v_cndmask_b32_e64 v7, v20, v12, s2
	v_cndmask_b32_e64 v12, v21, v17, s2
	s_delay_alu instid0(VALU_DEP_3) | instskip(NEXT) | instid1(VALU_DEP_3)
	v_cndmask_b32_e64 v11, v19, v11, s2
	v_bfe_u32 v17, v7, 29, 1
	s_delay_alu instid0(VALU_DEP_3) | instskip(NEXT) | instid1(VALU_DEP_3)
	v_alignbit_b32 v15, v7, v12, 30
	v_alignbit_b32 v12, v12, v11, 30
	;; [unrolled: 1-line block ×3, first 2 shown]
	s_delay_alu instid0(VALU_DEP_4) | instskip(NEXT) | instid1(VALU_DEP_1)
	v_sub_nc_u32_e32 v16, 0, v17
	v_xor_b32_e32 v18, v15, v16
	v_cmp_ne_u32_e32 vcc_lo, v15, v16
	v_xor_b32_e32 v11, v12, v16
	v_xor_b32_e32 v10, v10, v16
	s_delay_alu instid0(VALU_DEP_4) | instskip(NEXT) | instid1(VALU_DEP_1)
	v_clz_i32_u32_e32 v20, v18
	v_add_nc_u32_e32 v19, 1, v20
	s_delay_alu instid0(VALU_DEP_1) | instskip(NEXT) | instid1(VALU_DEP_1)
	v_cndmask_b32_e32 v15, 33, v19, vcc_lo
	v_sub_nc_u32_e32 v12, 32, v15
	s_delay_alu instid0(VALU_DEP_1) | instskip(SKIP_3) | instid1(VALU_DEP_3)
	v_alignbit_b32 v16, v18, v11, v12
	v_alignbit_b32 v10, v11, v10, v12
	v_lshrrev_b32_e32 v11, 29, v7
	v_lshrrev_b32_e32 v7, 30, v7
	v_alignbit_b32 v12, v16, v10, 9
	s_delay_alu instid0(VALU_DEP_3) | instskip(SKIP_1) | instid1(VALU_DEP_4)
	v_lshlrev_b32_e32 v11, 31, v11
	v_alignbit_b32 v16, v15, v16, 9
	v_add_nc_u32_e32 v17, v17, v7
	s_delay_alu instid0(VALU_DEP_4) | instskip(NEXT) | instid1(VALU_DEP_3)
	v_clz_i32_u32_e32 v18, v12
	v_or_b32_e32 v16, v16, v11
	v_or_b32_e32 v11, 0x33800000, v11
	s_delay_alu instid0(VALU_DEP_3) | instskip(NEXT) | instid1(VALU_DEP_3)
	v_min_u32_e32 v18, 32, v18
	v_xor_b32_e32 v16, 1.0, v16
	s_delay_alu instid0(VALU_DEP_2) | instskip(SKIP_1) | instid1(VALU_DEP_3)
	v_sub_nc_u32_e32 v19, 31, v18
	v_add_lshl_u32 v15, v18, v15, 23
	v_mul_f32_e32 v18, 0x3fc90fda, v16
	s_delay_alu instid0(VALU_DEP_3) | instskip(NEXT) | instid1(VALU_DEP_3)
	v_alignbit_b32 v10, v12, v10, v19
	v_sub_nc_u32_e32 v11, v11, v15
	s_delay_alu instid0(VALU_DEP_3) | instskip(NEXT) | instid1(VALU_DEP_3)
	v_fma_f32 v12, 0x3fc90fda, v16, -v18
	v_lshrrev_b32_e32 v10, 9, v10
	s_delay_alu instid0(VALU_DEP_2) | instskip(NEXT) | instid1(VALU_DEP_2)
	v_fmamk_f32 v12, v16, 0x33a22168, v12
	v_or_b32_e32 v10, v11, v10
	s_delay_alu instid0(VALU_DEP_1) | instskip(NEXT) | instid1(VALU_DEP_1)
	v_fmac_f32_e32 v12, 0x3fc90fda, v10
	v_add_f32_e32 v16, v18, v12
.LBB141_70:
	s_and_not1_saveexec_b32 s0, s3
; %bb.71:
	v_mul_f32_e64 v7, 0x3f22f983, |v13|
	s_delay_alu instid0(VALU_DEP_1) | instskip(NEXT) | instid1(VALU_DEP_1)
	v_rndne_f32_e32 v7, v7
	v_fma_f32 v10, 0xbfc90fda, v7, |v13|
	v_cvt_i32_f32_e32 v17, v7
	s_delay_alu instid0(VALU_DEP_2) | instskip(NEXT) | instid1(VALU_DEP_1)
	v_fmamk_f32 v10, v7, 0xb3a22168, v10
	v_fmamk_f32 v16, v7, 0xa7c234c4, v10
; %bb.72:
	s_or_b32 exec_lo, exec_lo, s0
	v_and_b32_e32 v15, 0x7fffffff, v5
	v_cmp_ngt_f32_e64 s3, 0x48000000, |v5|
                                        ; implicit-def: $vgpr19
                                        ; implicit-def: $vgpr18
	s_delay_alu instid0(VALU_DEP_1) | instskip(NEXT) | instid1(SALU_CYCLE_1)
	s_and_saveexec_b32 s0, s3
	s_xor_b32 s10, exec_lo, s0
	s_cbranch_execz .LBB141_74
; %bb.73:
	s_mov_b32 s0, 0x7fffff
	v_mov_b32_e32 v12, 0
	v_and_or_b32 v7, v15, s0, 0x800000
	v_lshrrev_b32_e32 v22, 23, v15
	s_delay_alu instid0(VALU_DEP_2) | instskip(NEXT) | instid1(VALU_DEP_2)
	v_mad_u64_u32 v[10:11], null, 0xfe5163ab, v7, 0
	v_add_nc_u32_e32 v23, 0xffffff88, v22
	s_delay_alu instid0(VALU_DEP_1) | instskip(NEXT) | instid1(VALU_DEP_3)
	v_cmp_lt_u32_e32 vcc_lo, 63, v23
	v_mad_u64_u32 v[18:19], null, 0x3c439041, v7, v[11:12]
	v_cndmask_b32_e64 v24, 0, 0xffffffc0, vcc_lo
	s_delay_alu instid0(VALU_DEP_1) | instskip(NEXT) | instid1(VALU_DEP_1)
	v_dual_mov_b32 v11, v19 :: v_dual_add_nc_u32 v24, v24, v23
	v_mad_u64_u32 v[19:20], null, 0xdb629599, v7, v[11:12]
	s_delay_alu instid0(VALU_DEP_2) | instskip(NEXT) | instid1(VALU_DEP_1)
	v_cmp_lt_u32_e64 s0, 31, v24
	v_cndmask_b32_e64 v25, 0, 0xffffffe0, s0
	s_delay_alu instid0(VALU_DEP_3) | instskip(NEXT) | instid1(VALU_DEP_2)
	v_dual_mov_b32 v11, v20 :: v_dual_cndmask_b32 v10, v19, v10
	v_add_nc_u32_e32 v25, v25, v24
	s_delay_alu instid0(VALU_DEP_2) | instskip(NEXT) | instid1(VALU_DEP_2)
	v_mad_u64_u32 v[20:21], null, 0xf534ddc0, v7, v[11:12]
	v_cmp_lt_u32_e64 s1, 31, v25
	s_delay_alu instid0(VALU_DEP_2) | instskip(NEXT) | instid1(VALU_DEP_1)
	v_dual_mov_b32 v11, v21 :: v_dual_cndmask_b32 v18, v20, v18
	v_mad_u64_u32 v[21:22], null, 0xfc2757d1, v7, v[11:12]
	s_delay_alu instid0(VALU_DEP_2) | instskip(NEXT) | instid1(VALU_DEP_2)
	v_cndmask_b32_e64 v10, v18, v10, s0
	v_mov_b32_e32 v11, v22
	s_delay_alu instid0(VALU_DEP_1) | instskip(NEXT) | instid1(VALU_DEP_1)
	v_mad_u64_u32 v[22:23], null, 0x4e441529, v7, v[11:12]
	v_mov_b32_e32 v11, v23
	s_delay_alu instid0(VALU_DEP_1) | instskip(SKIP_1) | instid1(VALU_DEP_4)
	v_mad_u64_u32 v[23:24], null, 0xa2f9836e, v7, v[11:12]
	v_cndmask_b32_e64 v7, 0, 0xffffffe0, s1
	v_cndmask_b32_e32 v11, v22, v20, vcc_lo
	s_delay_alu instid0(VALU_DEP_2) | instskip(NEXT) | instid1(VALU_DEP_4)
	v_add_nc_u32_e32 v7, v7, v25
	v_cndmask_b32_e32 v12, v23, v21, vcc_lo
	v_dual_cndmask_b32 v22, v24, v22 :: v_dual_cndmask_b32 v21, v21, v19
	s_delay_alu instid0(VALU_DEP_3) | instskip(NEXT) | instid1(VALU_DEP_3)
	v_cmp_eq_u32_e64 s2, 0, v7
	v_cndmask_b32_e64 v20, v12, v11, s0
	s_delay_alu instid0(VALU_DEP_3) | instskip(NEXT) | instid1(VALU_DEP_4)
	v_cndmask_b32_e64 v12, v22, v12, s0
	v_cndmask_b32_e64 v11, v11, v21, s0
	v_sub_nc_u32_e32 v22, 32, v7
	v_cndmask_b32_e64 v21, v21, v18, s0
	s_delay_alu instid0(VALU_DEP_4) | instskip(NEXT) | instid1(VALU_DEP_4)
	v_cndmask_b32_e64 v12, v12, v20, s1
	v_cndmask_b32_e64 v20, v20, v11, s1
	s_delay_alu instid0(VALU_DEP_3) | instskip(SKIP_1) | instid1(VALU_DEP_3)
	v_cndmask_b32_e64 v11, v11, v21, s1
	v_cndmask_b32_e64 v10, v21, v10, s1
	v_alignbit_b32 v23, v12, v20, v22
	s_delay_alu instid0(VALU_DEP_3) | instskip(NEXT) | instid1(VALU_DEP_3)
	v_alignbit_b32 v24, v20, v11, v22
	v_alignbit_b32 v22, v11, v10, v22
	s_delay_alu instid0(VALU_DEP_3) | instskip(NEXT) | instid1(VALU_DEP_3)
	v_cndmask_b32_e64 v7, v23, v12, s2
	v_cndmask_b32_e64 v12, v24, v20, s2
	s_delay_alu instid0(VALU_DEP_3) | instskip(NEXT) | instid1(VALU_DEP_3)
	v_cndmask_b32_e64 v11, v22, v11, s2
	v_bfe_u32 v19, v7, 29, 1
	s_delay_alu instid0(VALU_DEP_3) | instskip(NEXT) | instid1(VALU_DEP_3)
	v_alignbit_b32 v18, v7, v12, 30
	v_alignbit_b32 v12, v12, v11, 30
	;; [unrolled: 1-line block ×3, first 2 shown]
	s_delay_alu instid0(VALU_DEP_4) | instskip(NEXT) | instid1(VALU_DEP_1)
	v_sub_nc_u32_e32 v20, 0, v19
	v_xor_b32_e32 v21, v18, v20
	v_cmp_ne_u32_e32 vcc_lo, v18, v20
	v_xor_b32_e32 v11, v12, v20
	v_xor_b32_e32 v10, v10, v20
	s_delay_alu instid0(VALU_DEP_4) | instskip(NEXT) | instid1(VALU_DEP_1)
	v_clz_i32_u32_e32 v23, v21
	v_add_nc_u32_e32 v22, 1, v23
	s_delay_alu instid0(VALU_DEP_1) | instskip(NEXT) | instid1(VALU_DEP_1)
	v_cndmask_b32_e32 v18, 33, v22, vcc_lo
	v_sub_nc_u32_e32 v12, 32, v18
	s_delay_alu instid0(VALU_DEP_1) | instskip(SKIP_3) | instid1(VALU_DEP_3)
	v_alignbit_b32 v20, v21, v11, v12
	v_alignbit_b32 v10, v11, v10, v12
	v_lshrrev_b32_e32 v11, 29, v7
	v_lshrrev_b32_e32 v7, 30, v7
	v_alignbit_b32 v12, v20, v10, 9
	s_delay_alu instid0(VALU_DEP_3) | instskip(SKIP_1) | instid1(VALU_DEP_4)
	v_lshlrev_b32_e32 v11, 31, v11
	v_alignbit_b32 v20, v18, v20, 9
	v_add_nc_u32_e32 v19, v19, v7
	s_delay_alu instid0(VALU_DEP_4) | instskip(NEXT) | instid1(VALU_DEP_3)
	v_clz_i32_u32_e32 v21, v12
	v_or_b32_e32 v20, v20, v11
	v_or_b32_e32 v11, 0x33800000, v11
	s_delay_alu instid0(VALU_DEP_3) | instskip(NEXT) | instid1(VALU_DEP_3)
	v_min_u32_e32 v21, 32, v21
	v_xor_b32_e32 v20, 1.0, v20
	s_delay_alu instid0(VALU_DEP_2) | instskip(SKIP_1) | instid1(VALU_DEP_3)
	v_sub_nc_u32_e32 v22, 31, v21
	v_add_lshl_u32 v18, v21, v18, 23
	v_mul_f32_e32 v21, 0x3fc90fda, v20
	s_delay_alu instid0(VALU_DEP_3) | instskip(NEXT) | instid1(VALU_DEP_3)
	v_alignbit_b32 v10, v12, v10, v22
	v_sub_nc_u32_e32 v11, v11, v18
	s_delay_alu instid0(VALU_DEP_3) | instskip(NEXT) | instid1(VALU_DEP_3)
	v_fma_f32 v12, 0x3fc90fda, v20, -v21
	v_lshrrev_b32_e32 v10, 9, v10
	s_delay_alu instid0(VALU_DEP_2) | instskip(NEXT) | instid1(VALU_DEP_2)
	v_fmamk_f32 v12, v20, 0x33a22168, v12
	v_or_b32_e32 v10, v11, v10
	s_delay_alu instid0(VALU_DEP_1) | instskip(NEXT) | instid1(VALU_DEP_1)
	v_fmac_f32_e32 v12, 0x3fc90fda, v10
	v_add_f32_e32 v18, v21, v12
	s_and_not1_saveexec_b32 s0, s10
	s_branch .LBB141_75
.LBB141_74:
	s_and_not1_saveexec_b32 s0, s10
.LBB141_75:
	v_mul_f32_e64 v7, 0x3f22f983, |v5|
	s_delay_alu instid0(VALU_DEP_1) | instskip(NEXT) | instid1(VALU_DEP_1)
	v_rndne_f32_e32 v7, v7
	v_fma_f32 v10, 0xbfc90fda, v7, |v5|
	v_cvt_i32_f32_e32 v19, v7
	s_delay_alu instid0(VALU_DEP_2) | instskip(NEXT) | instid1(VALU_DEP_1)
	v_fmamk_f32 v10, v7, 0xb3a22168, v10
	v_fmamk_f32 v18, v7, 0xa7c234c4, v10
; %bb.76:
	s_or_b32 exec_lo, exec_lo, s0
                                        ; implicit-def: $vgpr21
                                        ; implicit-def: $vgpr20
	s_and_saveexec_b32 s0, s3
	s_delay_alu instid0(SALU_CYCLE_1)
	s_xor_b32 s3, exec_lo, s0
	s_cbranch_execz .LBB141_78
; %bb.77:
	s_mov_b32 s0, 0x7fffff
	v_mov_b32_e32 v12, 0
	v_and_or_b32 v7, v15, s0, 0x800000
	v_lshrrev_b32_e32 v24, 23, v15
	s_delay_alu instid0(VALU_DEP_2) | instskip(NEXT) | instid1(VALU_DEP_1)
	v_mad_u64_u32 v[10:11], null, 0xfe5163ab, v7, 0
	v_mad_u64_u32 v[20:21], null, 0x3c439041, v7, v[11:12]
	s_delay_alu instid0(VALU_DEP_1) | instskip(NEXT) | instid1(VALU_DEP_1)
	v_mov_b32_e32 v11, v21
	v_mad_u64_u32 v[21:22], null, 0xdb629599, v7, v[11:12]
	v_add_nc_u32_e32 v25, 0xffffff88, v24
	s_delay_alu instid0(VALU_DEP_1) | instskip(NEXT) | instid1(VALU_DEP_3)
	v_cmp_lt_u32_e32 vcc_lo, 63, v25
	v_mov_b32_e32 v11, v22
	v_cndmask_b32_e64 v26, 0, 0xffffffc0, vcc_lo
	s_delay_alu instid0(VALU_DEP_2) | instskip(SKIP_1) | instid1(VALU_DEP_2)
	v_mad_u64_u32 v[22:23], null, 0xf534ddc0, v7, v[11:12]
	v_cndmask_b32_e32 v10, v21, v10, vcc_lo
	v_dual_mov_b32 v11, v23 :: v_dual_add_nc_u32 v26, v26, v25
	s_delay_alu instid0(VALU_DEP_1) | instskip(NEXT) | instid1(VALU_DEP_4)
	v_cmp_lt_u32_e64 s0, 31, v26
	v_cndmask_b32_e32 v20, v22, v20, vcc_lo
	s_delay_alu instid0(VALU_DEP_3) | instskip(NEXT) | instid1(VALU_DEP_3)
	v_mad_u64_u32 v[23:24], null, 0xfc2757d1, v7, v[11:12]
	v_cndmask_b32_e64 v27, 0, 0xffffffe0, s0
	s_delay_alu instid0(VALU_DEP_3) | instskip(NEXT) | instid1(VALU_DEP_2)
	v_cndmask_b32_e64 v10, v20, v10, s0
	v_add_nc_u32_e32 v27, v27, v26
	s_delay_alu instid0(VALU_DEP_4) | instskip(NEXT) | instid1(VALU_DEP_2)
	v_mov_b32_e32 v11, v24
	v_cmp_lt_u32_e64 s1, 31, v27
	s_delay_alu instid0(VALU_DEP_2) | instskip(NEXT) | instid1(VALU_DEP_1)
	v_mad_u64_u32 v[24:25], null, 0x4e441529, v7, v[11:12]
	v_mov_b32_e32 v11, v25
	s_delay_alu instid0(VALU_DEP_1) | instskip(NEXT) | instid1(VALU_DEP_4)
	v_mad_u64_u32 v[25:26], null, 0xa2f9836e, v7, v[11:12]
	v_cndmask_b32_e64 v7, 0, 0xffffffe0, s1
	s_delay_alu instid0(VALU_DEP_4) | instskip(NEXT) | instid1(VALU_DEP_2)
	v_cndmask_b32_e32 v11, v24, v22, vcc_lo
	v_add_nc_u32_e32 v7, v7, v27
	s_delay_alu instid0(VALU_DEP_4) | instskip(SKIP_1) | instid1(VALU_DEP_3)
	v_cndmask_b32_e32 v12, v25, v23, vcc_lo
	v_dual_cndmask_b32 v24, v26, v24 :: v_dual_cndmask_b32 v23, v23, v21
	v_cmp_eq_u32_e64 s2, 0, v7
	s_delay_alu instid0(VALU_DEP_3) | instskip(NEXT) | instid1(VALU_DEP_3)
	v_cndmask_b32_e64 v22, v12, v11, s0
	v_cndmask_b32_e64 v12, v24, v12, s0
	s_delay_alu instid0(VALU_DEP_4) | instskip(SKIP_2) | instid1(VALU_DEP_4)
	v_cndmask_b32_e64 v11, v11, v23, s0
	v_sub_nc_u32_e32 v24, 32, v7
	v_cndmask_b32_e64 v23, v23, v20, s0
	v_cndmask_b32_e64 v12, v12, v22, s1
	s_delay_alu instid0(VALU_DEP_4) | instskip(NEXT) | instid1(VALU_DEP_3)
	v_cndmask_b32_e64 v22, v22, v11, s1
	v_cndmask_b32_e64 v11, v11, v23, s1
	;; [unrolled: 1-line block ×3, first 2 shown]
	s_delay_alu instid0(VALU_DEP_3) | instskip(NEXT) | instid1(VALU_DEP_3)
	v_alignbit_b32 v25, v12, v22, v24
	v_alignbit_b32 v26, v22, v11, v24
	s_delay_alu instid0(VALU_DEP_3) | instskip(NEXT) | instid1(VALU_DEP_3)
	v_alignbit_b32 v24, v11, v10, v24
	v_cndmask_b32_e64 v7, v25, v12, s2
	s_delay_alu instid0(VALU_DEP_3) | instskip(NEXT) | instid1(VALU_DEP_3)
	v_cndmask_b32_e64 v12, v26, v22, s2
	v_cndmask_b32_e64 v11, v24, v11, s2
	s_delay_alu instid0(VALU_DEP_3) | instskip(NEXT) | instid1(VALU_DEP_3)
	v_bfe_u32 v21, v7, 29, 1
	v_alignbit_b32 v20, v7, v12, 30
	s_delay_alu instid0(VALU_DEP_3) | instskip(SKIP_1) | instid1(VALU_DEP_4)
	v_alignbit_b32 v12, v12, v11, 30
	v_alignbit_b32 v10, v11, v10, 30
	v_sub_nc_u32_e32 v22, 0, v21
	s_delay_alu instid0(VALU_DEP_1) | instskip(SKIP_3) | instid1(VALU_DEP_4)
	v_xor_b32_e32 v23, v20, v22
	v_cmp_ne_u32_e32 vcc_lo, v20, v22
	v_xor_b32_e32 v11, v12, v22
	v_xor_b32_e32 v10, v10, v22
	v_clz_i32_u32_e32 v25, v23
	s_delay_alu instid0(VALU_DEP_1) | instskip(NEXT) | instid1(VALU_DEP_1)
	v_add_nc_u32_e32 v24, 1, v25
	v_cndmask_b32_e32 v20, 33, v24, vcc_lo
	s_delay_alu instid0(VALU_DEP_1) | instskip(NEXT) | instid1(VALU_DEP_1)
	v_sub_nc_u32_e32 v12, 32, v20
	v_alignbit_b32 v22, v23, v11, v12
	v_alignbit_b32 v10, v11, v10, v12
	v_lshrrev_b32_e32 v11, 29, v7
	v_lshrrev_b32_e32 v7, 30, v7
	s_delay_alu instid0(VALU_DEP_3) | instskip(NEXT) | instid1(VALU_DEP_3)
	v_alignbit_b32 v12, v22, v10, 9
	v_lshlrev_b32_e32 v11, 31, v11
	v_alignbit_b32 v22, v20, v22, 9
	s_delay_alu instid0(VALU_DEP_4) | instskip(NEXT) | instid1(VALU_DEP_4)
	v_add_nc_u32_e32 v21, v21, v7
	v_clz_i32_u32_e32 v23, v12
	s_delay_alu instid0(VALU_DEP_3) | instskip(SKIP_1) | instid1(VALU_DEP_3)
	v_or_b32_e32 v22, v22, v11
	v_or_b32_e32 v11, 0x33800000, v11
	v_min_u32_e32 v23, 32, v23
	s_delay_alu instid0(VALU_DEP_3) | instskip(NEXT) | instid1(VALU_DEP_2)
	v_xor_b32_e32 v22, 1.0, v22
	v_sub_nc_u32_e32 v24, 31, v23
	v_add_lshl_u32 v20, v23, v20, 23
	s_delay_alu instid0(VALU_DEP_3) | instskip(NEXT) | instid1(VALU_DEP_3)
	v_mul_f32_e32 v23, 0x3fc90fda, v22
	v_alignbit_b32 v10, v12, v10, v24
	s_delay_alu instid0(VALU_DEP_3) | instskip(NEXT) | instid1(VALU_DEP_3)
	v_sub_nc_u32_e32 v11, v11, v20
	v_fma_f32 v12, 0x3fc90fda, v22, -v23
	s_delay_alu instid0(VALU_DEP_3) | instskip(NEXT) | instid1(VALU_DEP_2)
	v_lshrrev_b32_e32 v10, 9, v10
	v_fmamk_f32 v12, v22, 0x33a22168, v12
	s_delay_alu instid0(VALU_DEP_2) | instskip(NEXT) | instid1(VALU_DEP_1)
	v_or_b32_e32 v10, v11, v10
	v_fmac_f32_e32 v12, 0x3fc90fda, v10
	s_delay_alu instid0(VALU_DEP_1)
	v_add_f32_e32 v20, v23, v12
	s_and_not1_saveexec_b32 s0, s3
	s_cbranch_execnz .LBB141_79
	s_branch .LBB141_80
.LBB141_78:
	s_and_not1_saveexec_b32 s0, s3
.LBB141_79:
	v_mul_f32_e64 v7, 0x3f22f983, |v5|
	s_delay_alu instid0(VALU_DEP_1) | instskip(NEXT) | instid1(VALU_DEP_1)
	v_rndne_f32_e32 v7, v7
	v_fma_f32 v10, 0xbfc90fda, v7, |v5|
	v_cvt_i32_f32_e32 v21, v7
	s_delay_alu instid0(VALU_DEP_2) | instskip(NEXT) | instid1(VALU_DEP_1)
	v_fmamk_f32 v10, v7, 0xb3a22168, v10
	v_fmamk_f32 v20, v7, 0xa7c234c4, v10
.LBB141_80:
	s_or_b32 exec_lo, exec_lo, s0
	global_load_b64 v[6:7], v6, s[6:7]
                                        ; implicit-def: $vgpr26
                                        ; implicit-def: $vgpr24
	s_mov_b32 s1, exec_lo
	s_waitcnt vmcnt(0)
	v_mul_f32_e32 v22, 0.5, v7
	s_delay_alu instid0(VALU_DEP_1)
	v_and_b32_e32 v23, 0x7fffffff, v22
	v_cmpx_ngt_f32_e64 0x48000000, |v22|
	s_xor_b32 s3, exec_lo, s1
	s_cbranch_execz .LBB141_82
; %bb.81:
	s_mov_b32 s0, 0x7fffff
	v_mov_b32_e32 v12, 0
	v_and_or_b32 v31, v23, s0, 0x800000
	v_lshrrev_b32_e32 v28, 23, v23
	s_delay_alu instid0(VALU_DEP_2) | instskip(NEXT) | instid1(VALU_DEP_1)
	v_mad_u64_u32 v[10:11], null, 0xfe5163ab, v31, 0
	v_mad_u64_u32 v[24:25], null, 0x3c439041, v31, v[11:12]
	s_delay_alu instid0(VALU_DEP_1) | instskip(NEXT) | instid1(VALU_DEP_1)
	v_mov_b32_e32 v11, v25
	v_mad_u64_u32 v[25:26], null, 0xdb629599, v31, v[11:12]
	v_add_nc_u32_e32 v29, 0xffffff88, v28
	s_delay_alu instid0(VALU_DEP_1) | instskip(NEXT) | instid1(VALU_DEP_3)
	v_cmp_lt_u32_e32 vcc_lo, 63, v29
	v_cndmask_b32_e32 v10, v25, v10, vcc_lo
	v_cndmask_b32_e64 v30, 0, 0xffffffc0, vcc_lo
	s_delay_alu instid0(VALU_DEP_1) | instskip(NEXT) | instid1(VALU_DEP_1)
	v_add_nc_u32_e32 v30, v30, v29
	v_cmp_lt_u32_e64 s0, 31, v30
	s_delay_alu instid0(VALU_DEP_1) | instskip(NEXT) | instid1(VALU_DEP_1)
	v_cndmask_b32_e64 v32, 0, 0xffffffe0, s0
	v_dual_mov_b32 v11, v26 :: v_dual_add_nc_u32 v32, v32, v30
	s_delay_alu instid0(VALU_DEP_1) | instskip(NEXT) | instid1(VALU_DEP_2)
	v_mad_u64_u32 v[26:27], null, 0xf534ddc0, v31, v[11:12]
	v_cmp_lt_u32_e64 s1, 31, v32
	s_delay_alu instid0(VALU_DEP_2) | instskip(NEXT) | instid1(VALU_DEP_1)
	v_dual_mov_b32 v11, v27 :: v_dual_cndmask_b32 v24, v26, v24
	v_mad_u64_u32 v[27:28], null, 0xfc2757d1, v31, v[11:12]
	s_delay_alu instid0(VALU_DEP_2) | instskip(NEXT) | instid1(VALU_DEP_2)
	v_cndmask_b32_e64 v10, v24, v10, s0
	v_mov_b32_e32 v11, v28
	s_delay_alu instid0(VALU_DEP_1) | instskip(NEXT) | instid1(VALU_DEP_1)
	v_mad_u64_u32 v[28:29], null, 0x4e441529, v31, v[11:12]
	v_mov_b32_e32 v11, v29
	s_delay_alu instid0(VALU_DEP_1) | instskip(SKIP_1) | instid1(VALU_DEP_1)
	v_mad_u64_u32 v[29:30], null, 0xa2f9836e, v31, v[11:12]
	v_cndmask_b32_e64 v11, 0, 0xffffffe0, s1
	v_dual_cndmask_b32 v12, v28, v26 :: v_dual_add_nc_u32 v11, v11, v32
	s_delay_alu instid0(VALU_DEP_3) | instskip(SKIP_1) | instid1(VALU_DEP_3)
	v_dual_cndmask_b32 v29, v29, v27 :: v_dual_cndmask_b32 v28, v30, v28
	v_cndmask_b32_e32 v27, v27, v25, vcc_lo
	v_cmp_eq_u32_e64 s2, 0, v11
	s_delay_alu instid0(VALU_DEP_3) | instskip(NEXT) | instid1(VALU_DEP_4)
	v_cndmask_b32_e64 v26, v29, v12, s0
	v_cndmask_b32_e64 v28, v28, v29, s0
	s_delay_alu instid0(VALU_DEP_4) | instskip(SKIP_2) | instid1(VALU_DEP_4)
	v_cndmask_b32_e64 v12, v12, v27, s0
	v_sub_nc_u32_e32 v29, 32, v11
	v_cndmask_b32_e64 v27, v27, v24, s0
	v_cndmask_b32_e64 v28, v28, v26, s1
	s_delay_alu instid0(VALU_DEP_4) | instskip(NEXT) | instid1(VALU_DEP_3)
	v_cndmask_b32_e64 v26, v26, v12, s1
	v_cndmask_b32_e64 v12, v12, v27, s1
	;; [unrolled: 1-line block ×3, first 2 shown]
	s_delay_alu instid0(VALU_DEP_3) | instskip(NEXT) | instid1(VALU_DEP_3)
	v_alignbit_b32 v30, v28, v26, v29
	v_alignbit_b32 v31, v26, v12, v29
	s_delay_alu instid0(VALU_DEP_3) | instskip(NEXT) | instid1(VALU_DEP_3)
	v_alignbit_b32 v29, v12, v10, v29
	v_cndmask_b32_e64 v11, v30, v28, s2
	s_delay_alu instid0(VALU_DEP_3) | instskip(NEXT) | instid1(VALU_DEP_3)
	v_cndmask_b32_e64 v25, v31, v26, s2
	v_cndmask_b32_e64 v12, v29, v12, s2
	s_delay_alu instid0(VALU_DEP_3) | instskip(NEXT) | instid1(VALU_DEP_3)
	v_bfe_u32 v26, v11, 29, 1
	v_alignbit_b32 v24, v11, v25, 30
	s_delay_alu instid0(VALU_DEP_3) | instskip(SKIP_1) | instid1(VALU_DEP_4)
	v_alignbit_b32 v25, v25, v12, 30
	v_alignbit_b32 v10, v12, v10, 30
	v_sub_nc_u32_e32 v28, 0, v26
	s_delay_alu instid0(VALU_DEP_1) | instskip(SKIP_3) | instid1(VALU_DEP_4)
	v_xor_b32_e32 v27, v24, v28
	v_cmp_ne_u32_e32 vcc_lo, v24, v28
	v_xor_b32_e32 v12, v25, v28
	v_xor_b32_e32 v10, v10, v28
	v_clz_i32_u32_e32 v30, v27
	s_delay_alu instid0(VALU_DEP_1) | instskip(NEXT) | instid1(VALU_DEP_1)
	v_add_nc_u32_e32 v29, 1, v30
	v_cndmask_b32_e32 v24, 33, v29, vcc_lo
	s_delay_alu instid0(VALU_DEP_1) | instskip(NEXT) | instid1(VALU_DEP_1)
	v_sub_nc_u32_e32 v25, 32, v24
	v_alignbit_b32 v27, v27, v12, v25
	v_alignbit_b32 v10, v12, v10, v25
	v_lshrrev_b32_e32 v12, 29, v11
	s_delay_alu instid0(VALU_DEP_2) | instskip(NEXT) | instid1(VALU_DEP_2)
	v_alignbit_b32 v25, v27, v10, 9
	v_lshlrev_b32_e32 v12, 31, v12
	v_alignbit_b32 v27, v24, v27, 9
	s_delay_alu instid0(VALU_DEP_3) | instskip(NEXT) | instid1(VALU_DEP_2)
	v_clz_i32_u32_e32 v28, v25
	v_or_b32_e32 v27, v27, v12
	v_or_b32_e32 v12, 0x33800000, v12
	s_delay_alu instid0(VALU_DEP_3) | instskip(NEXT) | instid1(VALU_DEP_3)
	v_min_u32_e32 v28, 32, v28
	v_xor_b32_e32 v27, 1.0, v27
	s_delay_alu instid0(VALU_DEP_2) | instskip(SKIP_1) | instid1(VALU_DEP_3)
	v_sub_nc_u32_e32 v29, 31, v28
	v_add_lshl_u32 v24, v28, v24, 23
	v_mul_f32_e32 v28, 0x3fc90fda, v27
	s_delay_alu instid0(VALU_DEP_3) | instskip(NEXT) | instid1(VALU_DEP_3)
	v_alignbit_b32 v10, v25, v10, v29
	v_sub_nc_u32_e32 v12, v12, v24
	s_delay_alu instid0(VALU_DEP_3) | instskip(NEXT) | instid1(VALU_DEP_3)
	v_fma_f32 v24, 0x3fc90fda, v27, -v28
	v_lshrrev_b32_e32 v10, 9, v10
	s_delay_alu instid0(VALU_DEP_2) | instskip(NEXT) | instid1(VALU_DEP_2)
	v_fmamk_f32 v24, v27, 0x33a22168, v24
	v_or_b32_e32 v10, v12, v10
	s_delay_alu instid0(VALU_DEP_1) | instskip(SKIP_1) | instid1(VALU_DEP_2)
	v_fmac_f32_e32 v24, 0x3fc90fda, v10
	v_lshrrev_b32_e32 v10, 30, v11
	v_add_f32_e32 v24, v28, v24
	s_delay_alu instid0(VALU_DEP_2)
	v_add_nc_u32_e32 v26, v26, v10
.LBB141_82:
	s_and_not1_saveexec_b32 s0, s3
; %bb.83:
	v_mul_f32_e64 v10, 0x3f22f983, |v22|
	s_delay_alu instid0(VALU_DEP_1) | instskip(NEXT) | instid1(VALU_DEP_1)
	v_rndne_f32_e32 v10, v10
	v_fma_f32 v11, 0xbfc90fda, v10, |v22|
	v_cvt_i32_f32_e32 v26, v10
	s_delay_alu instid0(VALU_DEP_2) | instskip(NEXT) | instid1(VALU_DEP_1)
	v_fmamk_f32 v11, v10, 0xb3a22168, v11
	v_fmamk_f32 v24, v10, 0xa7c234c4, v11
; %bb.84:
	s_or_b32 exec_lo, exec_lo, s0
	v_and_b32_e32 v25, 0x7fffffff, v7
	v_cmp_ngt_f32_e64 s3, 0x48000000, |v7|
                                        ; implicit-def: $vgpr28
                                        ; implicit-def: $vgpr27
	s_delay_alu instid0(VALU_DEP_1) | instskip(NEXT) | instid1(SALU_CYCLE_1)
	s_and_saveexec_b32 s0, s3
	s_xor_b32 s10, exec_lo, s0
	s_cbranch_execz .LBB141_86
; %bb.85:
	s_mov_b32 s0, 0x7fffff
	v_mov_b32_e32 v12, 0
	v_and_or_b32 v34, v25, s0, 0x800000
	v_lshrrev_b32_e32 v31, 23, v25
	s_delay_alu instid0(VALU_DEP_2) | instskip(NEXT) | instid1(VALU_DEP_2)
	v_mad_u64_u32 v[10:11], null, 0xfe5163ab, v34, 0
	v_add_nc_u32_e32 v32, 0xffffff88, v31
	s_delay_alu instid0(VALU_DEP_1) | instskip(NEXT) | instid1(VALU_DEP_3)
	v_cmp_lt_u32_e32 vcc_lo, 63, v32
	v_mad_u64_u32 v[27:28], null, 0x3c439041, v34, v[11:12]
	v_cndmask_b32_e64 v33, 0, 0xffffffc0, vcc_lo
	s_delay_alu instid0(VALU_DEP_2) | instskip(NEXT) | instid1(VALU_DEP_1)
	v_mov_b32_e32 v11, v28
	v_mad_u64_u32 v[28:29], null, 0xdb629599, v34, v[11:12]
	s_delay_alu instid0(VALU_DEP_1) | instskip(NEXT) | instid1(VALU_DEP_2)
	v_dual_cndmask_b32 v10, v28, v10 :: v_dual_add_nc_u32 v33, v33, v32
	v_mov_b32_e32 v11, v29
	s_delay_alu instid0(VALU_DEP_2) | instskip(NEXT) | instid1(VALU_DEP_2)
	v_cmp_lt_u32_e64 s0, 31, v33
	v_mad_u64_u32 v[29:30], null, 0xf534ddc0, v34, v[11:12]
	s_delay_alu instid0(VALU_DEP_2) | instskip(NEXT) | instid1(VALU_DEP_1)
	v_cndmask_b32_e64 v35, 0, 0xffffffe0, s0
	v_add_nc_u32_e32 v35, v35, v33
	s_delay_alu instid0(VALU_DEP_3) | instskip(NEXT) | instid1(VALU_DEP_4)
	v_mov_b32_e32 v11, v30
	v_cndmask_b32_e32 v27, v29, v27, vcc_lo
	s_delay_alu instid0(VALU_DEP_3) | instskip(NEXT) | instid1(VALU_DEP_3)
	v_cmp_lt_u32_e64 s1, 31, v35
	v_mad_u64_u32 v[30:31], null, 0xfc2757d1, v34, v[11:12]
	s_delay_alu instid0(VALU_DEP_3) | instskip(NEXT) | instid1(VALU_DEP_2)
	v_cndmask_b32_e64 v10, v27, v10, s0
	v_mov_b32_e32 v11, v31
	s_delay_alu instid0(VALU_DEP_1) | instskip(NEXT) | instid1(VALU_DEP_1)
	v_mad_u64_u32 v[31:32], null, 0x4e441529, v34, v[11:12]
	v_mov_b32_e32 v11, v32
	s_delay_alu instid0(VALU_DEP_1) | instskip(SKIP_1) | instid1(VALU_DEP_4)
	v_mad_u64_u32 v[32:33], null, 0xa2f9836e, v34, v[11:12]
	v_cndmask_b32_e64 v11, 0, 0xffffffe0, s1
	v_cndmask_b32_e32 v12, v31, v29, vcc_lo
	s_delay_alu instid0(VALU_DEP_2) | instskip(NEXT) | instid1(VALU_DEP_4)
	v_dual_cndmask_b32 v32, v32, v30 :: v_dual_add_nc_u32 v11, v11, v35
	v_dual_cndmask_b32 v30, v30, v28 :: v_dual_cndmask_b32 v31, v33, v31
	s_delay_alu instid0(VALU_DEP_2) | instskip(NEXT) | instid1(VALU_DEP_3)
	v_cmp_eq_u32_e64 s2, 0, v11
	v_cndmask_b32_e64 v29, v32, v12, s0
	s_delay_alu instid0(VALU_DEP_3) | instskip(NEXT) | instid1(VALU_DEP_4)
	v_cndmask_b32_e64 v12, v12, v30, s0
	v_cndmask_b32_e64 v31, v31, v32, s0
	v_sub_nc_u32_e32 v32, 32, v11
	v_cndmask_b32_e64 v30, v30, v27, s0
	s_delay_alu instid0(VALU_DEP_3) | instskip(SKIP_1) | instid1(VALU_DEP_3)
	v_cndmask_b32_e64 v31, v31, v29, s1
	v_cndmask_b32_e64 v29, v29, v12, s1
	;; [unrolled: 1-line block ×4, first 2 shown]
	s_delay_alu instid0(VALU_DEP_3) | instskip(NEXT) | instid1(VALU_DEP_3)
	v_alignbit_b32 v33, v31, v29, v32
	v_alignbit_b32 v34, v29, v12, v32
	s_delay_alu instid0(VALU_DEP_3) | instskip(NEXT) | instid1(VALU_DEP_3)
	v_alignbit_b32 v32, v12, v10, v32
	v_cndmask_b32_e64 v11, v33, v31, s2
	s_delay_alu instid0(VALU_DEP_3) | instskip(NEXT) | instid1(VALU_DEP_3)
	v_cndmask_b32_e64 v28, v34, v29, s2
	v_cndmask_b32_e64 v12, v32, v12, s2
	s_delay_alu instid0(VALU_DEP_3) | instskip(NEXT) | instid1(VALU_DEP_3)
	v_bfe_u32 v29, v11, 29, 1
	v_alignbit_b32 v27, v11, v28, 30
	s_delay_alu instid0(VALU_DEP_3) | instskip(SKIP_1) | instid1(VALU_DEP_4)
	v_alignbit_b32 v28, v28, v12, 30
	v_alignbit_b32 v10, v12, v10, 30
	v_sub_nc_u32_e32 v31, 0, v29
	s_delay_alu instid0(VALU_DEP_1) | instskip(SKIP_3) | instid1(VALU_DEP_4)
	v_xor_b32_e32 v30, v27, v31
	v_cmp_ne_u32_e32 vcc_lo, v27, v31
	v_xor_b32_e32 v12, v28, v31
	v_xor_b32_e32 v10, v10, v31
	v_clz_i32_u32_e32 v33, v30
	s_delay_alu instid0(VALU_DEP_1) | instskip(NEXT) | instid1(VALU_DEP_1)
	v_add_nc_u32_e32 v32, 1, v33
	v_cndmask_b32_e32 v27, 33, v32, vcc_lo
	s_delay_alu instid0(VALU_DEP_1) | instskip(NEXT) | instid1(VALU_DEP_1)
	v_sub_nc_u32_e32 v28, 32, v27
	v_alignbit_b32 v30, v30, v12, v28
	v_alignbit_b32 v10, v12, v10, v28
	v_lshrrev_b32_e32 v12, 29, v11
	s_delay_alu instid0(VALU_DEP_2) | instskip(NEXT) | instid1(VALU_DEP_2)
	v_alignbit_b32 v28, v30, v10, 9
	v_lshlrev_b32_e32 v12, 31, v12
	v_alignbit_b32 v30, v27, v30, 9
	s_delay_alu instid0(VALU_DEP_3) | instskip(NEXT) | instid1(VALU_DEP_2)
	v_clz_i32_u32_e32 v31, v28
	v_or_b32_e32 v30, v30, v12
	v_or_b32_e32 v12, 0x33800000, v12
	s_delay_alu instid0(VALU_DEP_3) | instskip(NEXT) | instid1(VALU_DEP_3)
	v_min_u32_e32 v31, 32, v31
	v_xor_b32_e32 v30, 1.0, v30
	s_delay_alu instid0(VALU_DEP_2) | instskip(SKIP_1) | instid1(VALU_DEP_3)
	v_sub_nc_u32_e32 v32, 31, v31
	v_add_lshl_u32 v27, v31, v27, 23
	v_mul_f32_e32 v31, 0x3fc90fda, v30
	s_delay_alu instid0(VALU_DEP_3) | instskip(NEXT) | instid1(VALU_DEP_3)
	v_alignbit_b32 v10, v28, v10, v32
	v_sub_nc_u32_e32 v12, v12, v27
	s_delay_alu instid0(VALU_DEP_3) | instskip(NEXT) | instid1(VALU_DEP_3)
	v_fma_f32 v27, 0x3fc90fda, v30, -v31
	v_lshrrev_b32_e32 v10, 9, v10
	s_delay_alu instid0(VALU_DEP_2) | instskip(NEXT) | instid1(VALU_DEP_2)
	v_fmamk_f32 v27, v30, 0x33a22168, v27
	v_or_b32_e32 v10, v12, v10
	s_delay_alu instid0(VALU_DEP_1) | instskip(SKIP_1) | instid1(VALU_DEP_1)
	v_fmac_f32_e32 v27, 0x3fc90fda, v10
	v_lshrrev_b32_e32 v10, 30, v11
	v_dual_add_f32 v27, v31, v27 :: v_dual_add_nc_u32 v28, v29, v10
	s_and_not1_saveexec_b32 s0, s10
	s_branch .LBB141_87
.LBB141_86:
	s_and_not1_saveexec_b32 s0, s10
.LBB141_87:
	v_mul_f32_e64 v10, 0x3f22f983, |v7|
	s_delay_alu instid0(VALU_DEP_1) | instskip(NEXT) | instid1(VALU_DEP_1)
	v_rndne_f32_e32 v10, v10
	v_fma_f32 v11, 0xbfc90fda, v10, |v7|
	v_cvt_i32_f32_e32 v28, v10
	s_delay_alu instid0(VALU_DEP_2) | instskip(NEXT) | instid1(VALU_DEP_1)
	v_fmamk_f32 v11, v10, 0xb3a22168, v11
	v_fmamk_f32 v27, v10, 0xa7c234c4, v11
; %bb.88:
	s_or_b32 exec_lo, exec_lo, s0
                                        ; implicit-def: $vgpr30
                                        ; implicit-def: $vgpr29
	s_and_saveexec_b32 s0, s3
	s_delay_alu instid0(SALU_CYCLE_1)
	s_xor_b32 s3, exec_lo, s0
	s_cbranch_execz .LBB141_90
; %bb.89:
	s_mov_b32 s0, 0x7fffff
	v_mov_b32_e32 v12, 0
	v_and_or_b32 v36, v25, s0, 0x800000
	v_lshrrev_b32_e32 v33, 23, v25
	s_delay_alu instid0(VALU_DEP_2) | instskip(NEXT) | instid1(VALU_DEP_2)
	v_mad_u64_u32 v[10:11], null, 0xfe5163ab, v36, 0
	v_add_nc_u32_e32 v34, 0xffffff88, v33
	s_delay_alu instid0(VALU_DEP_1) | instskip(NEXT) | instid1(VALU_DEP_3)
	v_cmp_lt_u32_e32 vcc_lo, 63, v34
	v_mad_u64_u32 v[29:30], null, 0x3c439041, v36, v[11:12]
	v_cndmask_b32_e64 v35, 0, 0xffffffc0, vcc_lo
	s_delay_alu instid0(VALU_DEP_2) | instskip(NEXT) | instid1(VALU_DEP_2)
	v_mov_b32_e32 v11, v30
	v_add_nc_u32_e32 v35, v35, v34
	s_delay_alu instid0(VALU_DEP_2) | instskip(NEXT) | instid1(VALU_DEP_2)
	v_mad_u64_u32 v[30:31], null, 0xdb629599, v36, v[11:12]
	v_cmp_lt_u32_e64 s0, 31, v35
	s_delay_alu instid0(VALU_DEP_1) | instskip(NEXT) | instid1(VALU_DEP_3)
	v_cndmask_b32_e64 v37, 0, 0xffffffe0, s0
	v_dual_mov_b32 v11, v31 :: v_dual_cndmask_b32 v10, v30, v10
	s_delay_alu instid0(VALU_DEP_2) | instskip(NEXT) | instid1(VALU_DEP_2)
	v_add_nc_u32_e32 v37, v37, v35
	v_mad_u64_u32 v[31:32], null, 0xf534ddc0, v36, v[11:12]
	s_delay_alu instid0(VALU_DEP_2) | instskip(NEXT) | instid1(VALU_DEP_2)
	v_cmp_lt_u32_e64 s1, 31, v37
	v_mov_b32_e32 v11, v32
	s_delay_alu instid0(VALU_DEP_3) | instskip(NEXT) | instid1(VALU_DEP_2)
	v_cndmask_b32_e32 v29, v31, v29, vcc_lo
	v_mad_u64_u32 v[32:33], null, 0xfc2757d1, v36, v[11:12]
	s_delay_alu instid0(VALU_DEP_2) | instskip(NEXT) | instid1(VALU_DEP_2)
	v_cndmask_b32_e64 v10, v29, v10, s0
	v_mov_b32_e32 v11, v33
	s_delay_alu instid0(VALU_DEP_1) | instskip(NEXT) | instid1(VALU_DEP_1)
	v_mad_u64_u32 v[33:34], null, 0x4e441529, v36, v[11:12]
	v_mov_b32_e32 v11, v34
	s_delay_alu instid0(VALU_DEP_1) | instskip(SKIP_1) | instid1(VALU_DEP_1)
	v_mad_u64_u32 v[34:35], null, 0xa2f9836e, v36, v[11:12]
	v_cndmask_b32_e64 v11, 0, 0xffffffe0, s1
	v_dual_cndmask_b32 v12, v33, v31 :: v_dual_add_nc_u32 v11, v11, v37
	s_delay_alu instid0(VALU_DEP_3) | instskip(NEXT) | instid1(VALU_DEP_4)
	v_cndmask_b32_e32 v34, v34, v32, vcc_lo
	v_dual_cndmask_b32 v32, v32, v30 :: v_dual_cndmask_b32 v33, v35, v33
	s_delay_alu instid0(VALU_DEP_3) | instskip(NEXT) | instid1(VALU_DEP_3)
	v_cmp_eq_u32_e64 s2, 0, v11
	v_cndmask_b32_e64 v31, v34, v12, s0
	s_delay_alu instid0(VALU_DEP_3) | instskip(NEXT) | instid1(VALU_DEP_4)
	v_cndmask_b32_e64 v12, v12, v32, s0
	v_cndmask_b32_e64 v33, v33, v34, s0
	v_sub_nc_u32_e32 v34, 32, v11
	v_cndmask_b32_e64 v32, v32, v29, s0
	s_delay_alu instid0(VALU_DEP_3) | instskip(SKIP_1) | instid1(VALU_DEP_3)
	v_cndmask_b32_e64 v33, v33, v31, s1
	v_cndmask_b32_e64 v31, v31, v12, s1
	;; [unrolled: 1-line block ×4, first 2 shown]
	s_delay_alu instid0(VALU_DEP_3) | instskip(NEXT) | instid1(VALU_DEP_3)
	v_alignbit_b32 v35, v33, v31, v34
	v_alignbit_b32 v36, v31, v12, v34
	s_delay_alu instid0(VALU_DEP_3) | instskip(NEXT) | instid1(VALU_DEP_3)
	v_alignbit_b32 v34, v12, v10, v34
	v_cndmask_b32_e64 v11, v35, v33, s2
	s_delay_alu instid0(VALU_DEP_3) | instskip(NEXT) | instid1(VALU_DEP_3)
	v_cndmask_b32_e64 v30, v36, v31, s2
	v_cndmask_b32_e64 v12, v34, v12, s2
	s_delay_alu instid0(VALU_DEP_3) | instskip(NEXT) | instid1(VALU_DEP_3)
	v_bfe_u32 v31, v11, 29, 1
	v_alignbit_b32 v29, v11, v30, 30
	s_delay_alu instid0(VALU_DEP_3) | instskip(SKIP_1) | instid1(VALU_DEP_4)
	v_alignbit_b32 v30, v30, v12, 30
	v_alignbit_b32 v10, v12, v10, 30
	v_sub_nc_u32_e32 v33, 0, v31
	s_delay_alu instid0(VALU_DEP_1) | instskip(SKIP_3) | instid1(VALU_DEP_4)
	v_xor_b32_e32 v32, v29, v33
	v_cmp_ne_u32_e32 vcc_lo, v29, v33
	v_xor_b32_e32 v12, v30, v33
	v_xor_b32_e32 v10, v10, v33
	v_clz_i32_u32_e32 v35, v32
	s_delay_alu instid0(VALU_DEP_1) | instskip(NEXT) | instid1(VALU_DEP_1)
	v_add_nc_u32_e32 v34, 1, v35
	v_cndmask_b32_e32 v29, 33, v34, vcc_lo
	s_delay_alu instid0(VALU_DEP_1) | instskip(NEXT) | instid1(VALU_DEP_1)
	v_sub_nc_u32_e32 v30, 32, v29
	v_alignbit_b32 v32, v32, v12, v30
	v_alignbit_b32 v10, v12, v10, v30
	v_lshrrev_b32_e32 v12, 29, v11
	s_delay_alu instid0(VALU_DEP_2) | instskip(NEXT) | instid1(VALU_DEP_2)
	v_alignbit_b32 v30, v32, v10, 9
	v_lshlrev_b32_e32 v12, 31, v12
	v_alignbit_b32 v32, v29, v32, 9
	s_delay_alu instid0(VALU_DEP_3) | instskip(NEXT) | instid1(VALU_DEP_2)
	v_clz_i32_u32_e32 v33, v30
	v_or_b32_e32 v32, v32, v12
	v_or_b32_e32 v12, 0x33800000, v12
	s_delay_alu instid0(VALU_DEP_3) | instskip(NEXT) | instid1(VALU_DEP_3)
	v_min_u32_e32 v33, 32, v33
	v_xor_b32_e32 v32, 1.0, v32
	s_delay_alu instid0(VALU_DEP_2) | instskip(SKIP_1) | instid1(VALU_DEP_3)
	v_sub_nc_u32_e32 v34, 31, v33
	v_add_lshl_u32 v29, v33, v29, 23
	v_mul_f32_e32 v33, 0x3fc90fda, v32
	s_delay_alu instid0(VALU_DEP_3) | instskip(NEXT) | instid1(VALU_DEP_3)
	v_alignbit_b32 v10, v30, v10, v34
	v_sub_nc_u32_e32 v12, v12, v29
	s_delay_alu instid0(VALU_DEP_3) | instskip(NEXT) | instid1(VALU_DEP_3)
	v_fma_f32 v29, 0x3fc90fda, v32, -v33
	v_lshrrev_b32_e32 v10, 9, v10
	s_delay_alu instid0(VALU_DEP_2) | instskip(NEXT) | instid1(VALU_DEP_2)
	v_fmamk_f32 v29, v32, 0x33a22168, v29
	v_or_b32_e32 v10, v12, v10
	s_delay_alu instid0(VALU_DEP_1) | instskip(SKIP_1) | instid1(VALU_DEP_1)
	v_fmac_f32_e32 v29, 0x3fc90fda, v10
	v_lshrrev_b32_e32 v10, 30, v11
	v_dual_add_f32 v29, v33, v29 :: v_dual_add_nc_u32 v30, v31, v10
	s_and_not1_saveexec_b32 s0, s3
	s_cbranch_execnz .LBB141_91
	s_branch .LBB141_92
.LBB141_90:
	s_and_not1_saveexec_b32 s0, s3
.LBB141_91:
	v_mul_f32_e64 v10, 0x3f22f983, |v7|
	s_delay_alu instid0(VALU_DEP_1) | instskip(NEXT) | instid1(VALU_DEP_1)
	v_rndne_f32_e32 v10, v10
	v_fma_f32 v11, 0xbfc90fda, v10, |v7|
	v_cvt_i32_f32_e32 v30, v10
	s_delay_alu instid0(VALU_DEP_2) | instskip(NEXT) | instid1(VALU_DEP_1)
	v_fmamk_f32 v11, v10, 0xb3a22168, v11
	v_fmamk_f32 v29, v10, 0xa7c234c4, v11
.LBB141_92:
	s_or_b32 exec_lo, exec_lo, s0
	global_load_b64 v[9:10], v9, s[6:7]
                                        ; implicit-def: $vgpr39
                                        ; implicit-def: $vgpr34
	s_mov_b32 s1, exec_lo
	s_waitcnt vmcnt(0)
	v_mul_f32_e32 v31, 0.5, v10
	s_delay_alu instid0(VALU_DEP_1)
	v_and_b32_e32 v33, 0x7fffffff, v31
	v_cmpx_ngt_f32_e64 0x48000000, |v31|
	s_xor_b32 s3, exec_lo, s1
	s_cbranch_execz .LBB141_94
; %bb.93:
	s_mov_b32 s0, 0x7fffff
	s_delay_alu instid0(SALU_CYCLE_1) | instskip(NEXT) | instid1(VALU_DEP_1)
	v_and_or_b32 v32, v33, s0, 0x800000
	v_mad_u64_u32 v[11:12], null, 0xfe5163ab, v32, 0
	s_delay_alu instid0(VALU_DEP_1) | instskip(SKIP_1) | instid1(VALU_DEP_2)
	v_dual_mov_b32 v35, 0 :: v_dual_mov_b32 v34, v12
	v_lshrrev_b32_e32 v12, 23, v33
	v_mad_u64_u32 v[36:37], null, 0x3c439041, v32, v[34:35]
	s_delay_alu instid0(VALU_DEP_2) | instskip(NEXT) | instid1(VALU_DEP_1)
	v_add_nc_u32_e32 v12, 0xffffff88, v12
	v_cmp_lt_u32_e32 vcc_lo, 63, v12
	s_delay_alu instid0(VALU_DEP_3) | instskip(SKIP_1) | instid1(VALU_DEP_2)
	v_mov_b32_e32 v34, v37
	v_cndmask_b32_e64 v41, 0, 0xffffffc0, vcc_lo
	v_mad_u64_u32 v[37:38], null, 0xdb629599, v32, v[34:35]
	s_delay_alu instid0(VALU_DEP_2) | instskip(NEXT) | instid1(VALU_DEP_2)
	v_add_nc_u32_e32 v12, v41, v12
	v_mov_b32_e32 v34, v38
	s_delay_alu instid0(VALU_DEP_2) | instskip(NEXT) | instid1(VALU_DEP_4)
	v_cmp_lt_u32_e64 s0, 31, v12
	v_cndmask_b32_e32 v11, v37, v11, vcc_lo
	s_delay_alu instid0(VALU_DEP_3) | instskip(NEXT) | instid1(VALU_DEP_3)
	v_mad_u64_u32 v[38:39], null, 0xf534ddc0, v32, v[34:35]
	v_cndmask_b32_e64 v42, 0, 0xffffffe0, s0
	s_delay_alu instid0(VALU_DEP_1) | instskip(NEXT) | instid1(VALU_DEP_3)
	v_add_nc_u32_e32 v12, v42, v12
	v_mov_b32_e32 v34, v39
	s_delay_alu instid0(VALU_DEP_2) | instskip(NEXT) | instid1(VALU_DEP_2)
	v_cmp_lt_u32_e64 s1, 31, v12
	v_mad_u64_u32 v[39:40], null, 0xfc2757d1, v32, v[34:35]
	s_delay_alu instid0(VALU_DEP_1) | instskip(NEXT) | instid1(VALU_DEP_1)
	v_mov_b32_e32 v34, v40
	v_mad_u64_u32 v[40:41], null, 0x4e441529, v32, v[34:35]
	s_delay_alu instid0(VALU_DEP_1) | instskip(NEXT) | instid1(VALU_DEP_1)
	v_mov_b32_e32 v34, v41
	v_mad_u64_u32 v[41:42], null, 0xa2f9836e, v32, v[34:35]
	v_cndmask_b32_e64 v32, 0, 0xffffffe0, s1
	s_delay_alu instid0(VALU_DEP_4) | instskip(NEXT) | instid1(VALU_DEP_2)
	v_cndmask_b32_e32 v34, v40, v38, vcc_lo
	v_dual_cndmask_b32 v35, v41, v39 :: v_dual_add_nc_u32 v12, v32, v12
	s_delay_alu instid0(VALU_DEP_4) | instskip(SKIP_1) | instid1(VALU_DEP_3)
	v_dual_cndmask_b32 v40, v42, v40 :: v_dual_cndmask_b32 v39, v39, v37
	v_cndmask_b32_e32 v32, v38, v36, vcc_lo
	v_sub_nc_u32_e32 v38, 32, v12
	s_delay_alu instid0(VALU_DEP_4) | instskip(NEXT) | instid1(VALU_DEP_4)
	v_cndmask_b32_e64 v36, v35, v34, s0
	v_cndmask_b32_e64 v35, v40, v35, s0
	;; [unrolled: 1-line block ×4, first 2 shown]
	v_cmp_eq_u32_e64 s2, 0, v12
	v_cndmask_b32_e64 v11, v32, v11, s0
	v_cndmask_b32_e64 v35, v35, v36, s1
	;; [unrolled: 1-line block ×4, first 2 shown]
	s_delay_alu instid0(VALU_DEP_4) | instskip(NEXT) | instid1(VALU_DEP_3)
	v_cndmask_b32_e64 v11, v39, v11, s1
	v_alignbit_b32 v40, v35, v36, v38
	s_delay_alu instid0(VALU_DEP_3) | instskip(NEXT) | instid1(VALU_DEP_3)
	v_alignbit_b32 v41, v36, v34, v38
	v_alignbit_b32 v38, v34, v11, v38
	s_delay_alu instid0(VALU_DEP_3) | instskip(NEXT) | instid1(VALU_DEP_3)
	v_cndmask_b32_e64 v12, v40, v35, s2
	v_cndmask_b32_e64 v35, v41, v36, s2
	s_delay_alu instid0(VALU_DEP_3) | instskip(NEXT) | instid1(VALU_DEP_3)
	v_cndmask_b32_e64 v34, v38, v34, s2
	v_bfe_u32 v36, v12, 29, 1
	s_delay_alu instid0(VALU_DEP_3) | instskip(NEXT) | instid1(VALU_DEP_3)
	v_alignbit_b32 v32, v12, v35, 30
	v_alignbit_b32 v35, v35, v34, 30
	;; [unrolled: 1-line block ×3, first 2 shown]
	s_delay_alu instid0(VALU_DEP_4) | instskip(NEXT) | instid1(VALU_DEP_1)
	v_sub_nc_u32_e32 v37, 0, v36
	v_xor_b32_e32 v39, v32, v37
	v_cmp_ne_u32_e32 vcc_lo, v32, v37
	v_xor_b32_e32 v34, v35, v37
	v_xor_b32_e32 v11, v11, v37
	s_delay_alu instid0(VALU_DEP_4) | instskip(NEXT) | instid1(VALU_DEP_1)
	v_clz_i32_u32_e32 v40, v39
	v_add_nc_u32_e32 v38, 1, v40
	s_delay_alu instid0(VALU_DEP_1) | instskip(NEXT) | instid1(VALU_DEP_1)
	v_cndmask_b32_e32 v32, 33, v38, vcc_lo
	v_sub_nc_u32_e32 v35, 32, v32
	s_delay_alu instid0(VALU_DEP_1) | instskip(SKIP_2) | instid1(VALU_DEP_2)
	v_alignbit_b32 v37, v39, v34, v35
	v_alignbit_b32 v11, v34, v11, v35
	v_lshrrev_b32_e32 v34, 29, v12
	v_alignbit_b32 v35, v37, v11, 9
	s_delay_alu instid0(VALU_DEP_2) | instskip(SKIP_1) | instid1(VALU_DEP_3)
	v_lshlrev_b32_e32 v34, 31, v34
	v_alignbit_b32 v37, v32, v37, 9
	v_clz_i32_u32_e32 v38, v35
	s_delay_alu instid0(VALU_DEP_2) | instskip(SKIP_1) | instid1(VALU_DEP_3)
	v_or_b32_e32 v37, v37, v34
	v_or_b32_e32 v34, 0x33800000, v34
	v_min_u32_e32 v38, 32, v38
	s_delay_alu instid0(VALU_DEP_3) | instskip(NEXT) | instid1(VALU_DEP_2)
	v_xor_b32_e32 v37, 1.0, v37
	v_sub_nc_u32_e32 v39, 31, v38
	v_add_lshl_u32 v32, v38, v32, 23
	s_delay_alu instid0(VALU_DEP_3) | instskip(NEXT) | instid1(VALU_DEP_3)
	v_mul_f32_e32 v38, 0x3fc90fda, v37
	v_alignbit_b32 v11, v35, v11, v39
	s_delay_alu instid0(VALU_DEP_3) | instskip(NEXT) | instid1(VALU_DEP_3)
	v_sub_nc_u32_e32 v32, v34, v32
	v_fma_f32 v34, 0x3fc90fda, v37, -v38
	s_delay_alu instid0(VALU_DEP_3) | instskip(NEXT) | instid1(VALU_DEP_2)
	v_lshrrev_b32_e32 v11, 9, v11
	v_fmamk_f32 v34, v37, 0x33a22168, v34
	s_delay_alu instid0(VALU_DEP_2) | instskip(NEXT) | instid1(VALU_DEP_1)
	v_or_b32_e32 v11, v32, v11
	v_fmac_f32_e32 v34, 0x3fc90fda, v11
	v_lshrrev_b32_e32 v11, 30, v12
	s_delay_alu instid0(VALU_DEP_1)
	v_dual_add_f32 v34, v38, v34 :: v_dual_add_nc_u32 v39, v36, v11
.LBB141_94:
	s_and_not1_saveexec_b32 s0, s3
; %bb.95:
	v_mul_f32_e64 v11, 0x3f22f983, |v31|
	s_delay_alu instid0(VALU_DEP_1) | instskip(NEXT) | instid1(VALU_DEP_1)
	v_rndne_f32_e32 v11, v11
	v_fma_f32 v12, 0xbfc90fda, v11, |v31|
	v_cvt_i32_f32_e32 v39, v11
	s_delay_alu instid0(VALU_DEP_2) | instskip(NEXT) | instid1(VALU_DEP_1)
	v_fmamk_f32 v12, v11, 0xb3a22168, v12
	v_fmamk_f32 v34, v11, 0xa7c234c4, v12
; %bb.96:
	s_or_b32 exec_lo, exec_lo, s0
	v_and_b32_e32 v35, 0x7fffffff, v10
	v_cmp_ngt_f32_e64 s3, 0x48000000, |v10|
                                        ; implicit-def: $vgpr43
                                        ; implicit-def: $vgpr40
	s_delay_alu instid0(VALU_DEP_1) | instskip(NEXT) | instid1(SALU_CYCLE_1)
	s_and_saveexec_b32 s0, s3
	s_xor_b32 s10, exec_lo, s0
	s_cbranch_execz .LBB141_98
; %bb.97:
	s_mov_b32 s0, 0x7fffff
	s_delay_alu instid0(SALU_CYCLE_1) | instskip(NEXT) | instid1(VALU_DEP_1)
	v_and_or_b32 v32, v35, s0, 0x800000
	v_mad_u64_u32 v[11:12], null, 0xfe5163ab, v32, 0
	s_delay_alu instid0(VALU_DEP_1) | instskip(SKIP_1) | instid1(VALU_DEP_2)
	v_dual_mov_b32 v37, 0 :: v_dual_mov_b32 v36, v12
	v_lshrrev_b32_e32 v12, 23, v35
	v_mad_u64_u32 v[40:41], null, 0x3c439041, v32, v[36:37]
	s_delay_alu instid0(VALU_DEP_2) | instskip(NEXT) | instid1(VALU_DEP_1)
	v_add_nc_u32_e32 v12, 0xffffff88, v12
	v_cmp_lt_u32_e32 vcc_lo, 63, v12
	s_delay_alu instid0(VALU_DEP_3) | instskip(SKIP_1) | instid1(VALU_DEP_2)
	v_mov_b32_e32 v36, v41
	v_cndmask_b32_e64 v38, 0, 0xffffffc0, vcc_lo
	v_mad_u64_u32 v[41:42], null, 0xdb629599, v32, v[36:37]
	s_delay_alu instid0(VALU_DEP_2) | instskip(NEXT) | instid1(VALU_DEP_2)
	v_add_nc_u32_e32 v12, v38, v12
	v_mov_b32_e32 v36, v42
	s_delay_alu instid0(VALU_DEP_2) | instskip(NEXT) | instid1(VALU_DEP_4)
	v_cmp_lt_u32_e64 s0, 31, v12
	v_cndmask_b32_e32 v11, v41, v11, vcc_lo
	s_delay_alu instid0(VALU_DEP_3) | instskip(NEXT) | instid1(VALU_DEP_3)
	v_mad_u64_u32 v[42:43], null, 0xf534ddc0, v32, v[36:37]
	v_cndmask_b32_e64 v38, 0, 0xffffffe0, s0
	s_delay_alu instid0(VALU_DEP_1) | instskip(NEXT) | instid1(VALU_DEP_3)
	v_add_nc_u32_e32 v12, v38, v12
	v_mov_b32_e32 v36, v43
	s_delay_alu instid0(VALU_DEP_2) | instskip(NEXT) | instid1(VALU_DEP_2)
	v_cmp_lt_u32_e64 s1, 31, v12
	v_mad_u64_u32 v[43:44], null, 0xfc2757d1, v32, v[36:37]
	s_delay_alu instid0(VALU_DEP_1) | instskip(NEXT) | instid1(VALU_DEP_1)
	v_mov_b32_e32 v36, v44
	v_mad_u64_u32 v[44:45], null, 0x4e441529, v32, v[36:37]
	s_delay_alu instid0(VALU_DEP_1) | instskip(NEXT) | instid1(VALU_DEP_1)
	v_mov_b32_e32 v36, v45
	v_mad_u64_u32 v[45:46], null, 0xa2f9836e, v32, v[36:37]
	v_cndmask_b32_e64 v32, 0, 0xffffffe0, s1
	s_delay_alu instid0(VALU_DEP_4) | instskip(NEXT) | instid1(VALU_DEP_2)
	v_cndmask_b32_e32 v36, v44, v42, vcc_lo
	v_dual_cndmask_b32 v37, v45, v43 :: v_dual_add_nc_u32 v12, v32, v12
	s_delay_alu instid0(VALU_DEP_4) | instskip(SKIP_1) | instid1(VALU_DEP_3)
	v_dual_cndmask_b32 v38, v46, v44 :: v_dual_cndmask_b32 v43, v43, v41
	v_cndmask_b32_e32 v32, v42, v40, vcc_lo
	v_cmp_eq_u32_e64 s2, 0, v12
	s_delay_alu instid0(VALU_DEP_4) | instskip(NEXT) | instid1(VALU_DEP_4)
	v_cndmask_b32_e64 v40, v37, v36, s0
	v_cndmask_b32_e64 v37, v38, v37, s0
	;; [unrolled: 1-line block ×3, first 2 shown]
	v_sub_nc_u32_e32 v38, 32, v12
	v_cndmask_b32_e64 v42, v43, v32, s0
	v_cndmask_b32_e64 v11, v32, v11, s0
	;; [unrolled: 1-line block ×4, first 2 shown]
	s_delay_alu instid0(VALU_DEP_4) | instskip(NEXT) | instid1(VALU_DEP_4)
	v_cndmask_b32_e64 v36, v36, v42, s1
	v_cndmask_b32_e64 v11, v42, v11, s1
	s_delay_alu instid0(VALU_DEP_3) | instskip(NEXT) | instid1(VALU_DEP_3)
	v_alignbit_b32 v43, v37, v40, v38
	v_alignbit_b32 v44, v40, v36, v38
	s_delay_alu instid0(VALU_DEP_3) | instskip(NEXT) | instid1(VALU_DEP_3)
	v_alignbit_b32 v38, v36, v11, v38
	v_cndmask_b32_e64 v12, v43, v37, s2
	s_delay_alu instid0(VALU_DEP_3) | instskip(NEXT) | instid1(VALU_DEP_3)
	v_cndmask_b32_e64 v37, v44, v40, s2
	v_cndmask_b32_e64 v36, v38, v36, s2
	s_delay_alu instid0(VALU_DEP_3) | instskip(NEXT) | instid1(VALU_DEP_3)
	v_bfe_u32 v41, v12, 29, 1
	v_alignbit_b32 v32, v12, v37, 30
	s_delay_alu instid0(VALU_DEP_3) | instskip(SKIP_1) | instid1(VALU_DEP_4)
	v_alignbit_b32 v37, v37, v36, 30
	v_alignbit_b32 v11, v36, v11, 30
	v_sub_nc_u32_e32 v40, 0, v41
	s_delay_alu instid0(VALU_DEP_1) | instskip(SKIP_3) | instid1(VALU_DEP_4)
	v_xor_b32_e32 v42, v32, v40
	v_cmp_ne_u32_e32 vcc_lo, v32, v40
	v_xor_b32_e32 v36, v37, v40
	v_xor_b32_e32 v11, v11, v40
	v_clz_i32_u32_e32 v43, v42
	s_delay_alu instid0(VALU_DEP_1) | instskip(NEXT) | instid1(VALU_DEP_1)
	v_add_nc_u32_e32 v38, 1, v43
	v_cndmask_b32_e32 v32, 33, v38, vcc_lo
	s_delay_alu instid0(VALU_DEP_1) | instskip(NEXT) | instid1(VALU_DEP_1)
	v_sub_nc_u32_e32 v37, 32, v32
	v_alignbit_b32 v38, v42, v36, v37
	v_alignbit_b32 v11, v36, v11, v37
	v_lshrrev_b32_e32 v36, 29, v12
	s_delay_alu instid0(VALU_DEP_2) | instskip(NEXT) | instid1(VALU_DEP_2)
	v_alignbit_b32 v37, v38, v11, 9
	v_lshlrev_b32_e32 v36, 31, v36
	v_alignbit_b32 v38, v32, v38, 9
	s_delay_alu instid0(VALU_DEP_3) | instskip(NEXT) | instid1(VALU_DEP_2)
	v_clz_i32_u32_e32 v40, v37
	v_or_b32_e32 v38, v38, v36
	v_or_b32_e32 v36, 0x33800000, v36
	s_delay_alu instid0(VALU_DEP_3) | instskip(NEXT) | instid1(VALU_DEP_3)
	v_min_u32_e32 v40, 32, v40
	v_xor_b32_e32 v38, 1.0, v38
	s_delay_alu instid0(VALU_DEP_2) | instskip(SKIP_1) | instid1(VALU_DEP_3)
	v_sub_nc_u32_e32 v42, 31, v40
	v_add_lshl_u32 v32, v40, v32, 23
	v_mul_f32_e32 v40, 0x3fc90fda, v38
	s_delay_alu instid0(VALU_DEP_3) | instskip(NEXT) | instid1(VALU_DEP_3)
	v_alignbit_b32 v11, v37, v11, v42
	v_sub_nc_u32_e32 v32, v36, v32
	s_delay_alu instid0(VALU_DEP_3) | instskip(NEXT) | instid1(VALU_DEP_3)
	v_fma_f32 v36, 0x3fc90fda, v38, -v40
	v_lshrrev_b32_e32 v11, 9, v11
	s_delay_alu instid0(VALU_DEP_2) | instskip(NEXT) | instid1(VALU_DEP_2)
	v_fmamk_f32 v36, v38, 0x33a22168, v36
	v_or_b32_e32 v11, v32, v11
	s_delay_alu instid0(VALU_DEP_1) | instskip(SKIP_1) | instid1(VALU_DEP_1)
	v_fmac_f32_e32 v36, 0x3fc90fda, v11
	v_lshrrev_b32_e32 v11, 30, v12
	v_dual_add_f32 v40, v40, v36 :: v_dual_add_nc_u32 v43, v41, v11
	s_and_not1_saveexec_b32 s0, s10
	s_branch .LBB141_99
.LBB141_98:
	s_and_not1_saveexec_b32 s0, s10
.LBB141_99:
	v_mul_f32_e64 v11, 0x3f22f983, |v10|
	s_delay_alu instid0(VALU_DEP_1) | instskip(NEXT) | instid1(VALU_DEP_1)
	v_rndne_f32_e32 v11, v11
	v_fma_f32 v12, 0xbfc90fda, v11, |v10|
	v_cvt_i32_f32_e32 v43, v11
	s_delay_alu instid0(VALU_DEP_2) | instskip(NEXT) | instid1(VALU_DEP_1)
	v_fmamk_f32 v12, v11, 0xb3a22168, v12
	v_fmamk_f32 v40, v11, 0xa7c234c4, v12
; %bb.100:
	s_or_b32 exec_lo, exec_lo, s0
                                        ; implicit-def: $vgpr45
                                        ; implicit-def: $vgpr44
	s_and_saveexec_b32 s0, s3
	s_delay_alu instid0(SALU_CYCLE_1)
	s_xor_b32 s3, exec_lo, s0
	s_cbranch_execz .LBB141_102
; %bb.101:
	s_mov_b32 s0, 0x7fffff
	s_delay_alu instid0(SALU_CYCLE_1) | instskip(NEXT) | instid1(VALU_DEP_1)
	v_and_or_b32 v32, v35, s0, 0x800000
	v_mad_u64_u32 v[11:12], null, 0xfe5163ab, v32, 0
	s_delay_alu instid0(VALU_DEP_1) | instskip(SKIP_1) | instid1(VALU_DEP_2)
	v_dual_mov_b32 v37, 0 :: v_dual_mov_b32 v36, v12
	v_lshrrev_b32_e32 v12, 23, v35
	v_mad_u64_u32 v[41:42], null, 0x3c439041, v32, v[36:37]
	s_delay_alu instid0(VALU_DEP_2) | instskip(NEXT) | instid1(VALU_DEP_1)
	v_add_nc_u32_e32 v12, 0xffffff88, v12
	v_cmp_lt_u32_e32 vcc_lo, 63, v12
	s_delay_alu instid0(VALU_DEP_3) | instskip(SKIP_1) | instid1(VALU_DEP_2)
	v_mov_b32_e32 v36, v42
	v_cndmask_b32_e64 v38, 0, 0xffffffc0, vcc_lo
	v_mad_u64_u32 v[44:45], null, 0xdb629599, v32, v[36:37]
	s_delay_alu instid0(VALU_DEP_2) | instskip(NEXT) | instid1(VALU_DEP_2)
	v_add_nc_u32_e32 v12, v38, v12
	v_dual_mov_b32 v36, v45 :: v_dual_cndmask_b32 v11, v44, v11
	s_delay_alu instid0(VALU_DEP_2) | instskip(NEXT) | instid1(VALU_DEP_2)
	v_cmp_lt_u32_e64 s0, 31, v12
	v_mad_u64_u32 v[45:46], null, 0xf534ddc0, v32, v[36:37]
	s_delay_alu instid0(VALU_DEP_2) | instskip(NEXT) | instid1(VALU_DEP_1)
	v_cndmask_b32_e64 v38, 0, 0xffffffe0, s0
	v_add_nc_u32_e32 v12, v38, v12
	s_delay_alu instid0(VALU_DEP_3) | instskip(NEXT) | instid1(VALU_DEP_2)
	v_mov_b32_e32 v36, v46
	v_cmp_lt_u32_e64 s1, 31, v12
	s_delay_alu instid0(VALU_DEP_2) | instskip(NEXT) | instid1(VALU_DEP_1)
	v_mad_u64_u32 v[46:47], null, 0xfc2757d1, v32, v[36:37]
	v_mov_b32_e32 v36, v47
	s_delay_alu instid0(VALU_DEP_2) | instskip(NEXT) | instid1(VALU_DEP_2)
	v_cndmask_b32_e32 v42, v46, v44, vcc_lo
	v_mad_u64_u32 v[47:48], null, 0x4e441529, v32, v[36:37]
	s_delay_alu instid0(VALU_DEP_1) | instskip(NEXT) | instid1(VALU_DEP_1)
	v_mov_b32_e32 v36, v48
	v_mad_u64_u32 v[48:49], null, 0xa2f9836e, v32, v[36:37]
	v_cndmask_b32_e64 v32, 0, 0xffffffe0, s1
	s_delay_alu instid0(VALU_DEP_4) | instskip(NEXT) | instid1(VALU_DEP_2)
	v_cndmask_b32_e32 v36, v47, v45, vcc_lo
	v_add_nc_u32_e32 v12, v32, v12
	s_delay_alu instid0(VALU_DEP_4) | instskip(SKIP_1) | instid1(VALU_DEP_3)
	v_dual_cndmask_b32 v37, v48, v46 :: v_dual_cndmask_b32 v38, v49, v47
	v_cndmask_b32_e32 v32, v45, v41, vcc_lo
	v_cmp_eq_u32_e64 s2, 0, v12
	s_delay_alu instid0(VALU_DEP_3) | instskip(NEXT) | instid1(VALU_DEP_4)
	v_cndmask_b32_e64 v41, v37, v36, s0
	v_cndmask_b32_e64 v37, v38, v37, s0
	v_cndmask_b32_e64 v36, v36, v42, s0
	v_sub_nc_u32_e32 v38, 32, v12
	v_cndmask_b32_e64 v42, v42, v32, s0
	v_cndmask_b32_e64 v11, v32, v11, s0
	;; [unrolled: 1-line block ×4, first 2 shown]
	s_delay_alu instid0(VALU_DEP_4) | instskip(NEXT) | instid1(VALU_DEP_4)
	v_cndmask_b32_e64 v36, v36, v42, s1
	v_cndmask_b32_e64 v11, v42, v11, s1
	s_delay_alu instid0(VALU_DEP_3) | instskip(NEXT) | instid1(VALU_DEP_3)
	v_alignbit_b32 v45, v37, v41, v38
	v_alignbit_b32 v46, v41, v36, v38
	s_delay_alu instid0(VALU_DEP_3) | instskip(NEXT) | instid1(VALU_DEP_3)
	v_alignbit_b32 v38, v36, v11, v38
	v_cndmask_b32_e64 v12, v45, v37, s2
	s_delay_alu instid0(VALU_DEP_3) | instskip(NEXT) | instid1(VALU_DEP_3)
	v_cndmask_b32_e64 v37, v46, v41, s2
	v_cndmask_b32_e64 v36, v38, v36, s2
	s_delay_alu instid0(VALU_DEP_3) | instskip(NEXT) | instid1(VALU_DEP_3)
	v_bfe_u32 v41, v12, 29, 1
	v_alignbit_b32 v32, v12, v37, 30
	s_delay_alu instid0(VALU_DEP_3) | instskip(SKIP_1) | instid1(VALU_DEP_4)
	v_alignbit_b32 v37, v37, v36, 30
	v_alignbit_b32 v11, v36, v11, 30
	v_sub_nc_u32_e32 v44, 0, v41
	s_delay_alu instid0(VALU_DEP_1) | instskip(SKIP_3) | instid1(VALU_DEP_4)
	v_xor_b32_e32 v42, v32, v44
	v_cmp_ne_u32_e32 vcc_lo, v32, v44
	v_xor_b32_e32 v36, v37, v44
	v_xor_b32_e32 v11, v11, v44
	v_clz_i32_u32_e32 v45, v42
	s_delay_alu instid0(VALU_DEP_1) | instskip(NEXT) | instid1(VALU_DEP_1)
	v_add_nc_u32_e32 v38, 1, v45
	v_cndmask_b32_e32 v32, 33, v38, vcc_lo
	s_delay_alu instid0(VALU_DEP_1) | instskip(NEXT) | instid1(VALU_DEP_1)
	v_sub_nc_u32_e32 v37, 32, v32
	v_alignbit_b32 v38, v42, v36, v37
	v_alignbit_b32 v11, v36, v11, v37
	v_lshrrev_b32_e32 v36, 29, v12
	s_delay_alu instid0(VALU_DEP_2) | instskip(NEXT) | instid1(VALU_DEP_2)
	v_alignbit_b32 v37, v38, v11, 9
	v_lshlrev_b32_e32 v36, 31, v36
	v_alignbit_b32 v38, v32, v38, 9
	s_delay_alu instid0(VALU_DEP_3) | instskip(NEXT) | instid1(VALU_DEP_2)
	v_clz_i32_u32_e32 v42, v37
	v_or_b32_e32 v38, v38, v36
	v_or_b32_e32 v36, 0x33800000, v36
	s_delay_alu instid0(VALU_DEP_3) | instskip(NEXT) | instid1(VALU_DEP_3)
	v_min_u32_e32 v42, 32, v42
	v_xor_b32_e32 v38, 1.0, v38
	s_delay_alu instid0(VALU_DEP_2) | instskip(SKIP_1) | instid1(VALU_DEP_3)
	v_sub_nc_u32_e32 v44, 31, v42
	v_add_lshl_u32 v32, v42, v32, 23
	v_mul_f32_e32 v42, 0x3fc90fda, v38
	s_delay_alu instid0(VALU_DEP_3) | instskip(NEXT) | instid1(VALU_DEP_3)
	v_alignbit_b32 v11, v37, v11, v44
	v_sub_nc_u32_e32 v32, v36, v32
	s_delay_alu instid0(VALU_DEP_3) | instskip(NEXT) | instid1(VALU_DEP_3)
	v_fma_f32 v36, 0x3fc90fda, v38, -v42
	v_lshrrev_b32_e32 v11, 9, v11
	s_delay_alu instid0(VALU_DEP_2) | instskip(NEXT) | instid1(VALU_DEP_2)
	v_fmamk_f32 v36, v38, 0x33a22168, v36
	v_or_b32_e32 v11, v32, v11
	s_delay_alu instid0(VALU_DEP_1) | instskip(SKIP_1) | instid1(VALU_DEP_1)
	v_fmac_f32_e32 v36, 0x3fc90fda, v11
	v_lshrrev_b32_e32 v11, 30, v12
	v_dual_add_f32 v44, v42, v36 :: v_dual_add_nc_u32 v45, v41, v11
	s_and_not1_saveexec_b32 s0, s3
	s_cbranch_execnz .LBB141_103
	s_branch .LBB141_104
.LBB141_102:
	s_and_not1_saveexec_b32 s0, s3
.LBB141_103:
	v_mul_f32_e64 v11, 0x3f22f983, |v10|
	s_delay_alu instid0(VALU_DEP_1) | instskip(NEXT) | instid1(VALU_DEP_1)
	v_rndne_f32_e32 v11, v11
	v_fma_f32 v12, 0xbfc90fda, v11, |v10|
	v_cvt_i32_f32_e32 v45, v11
	s_delay_alu instid0(VALU_DEP_2) | instskip(NEXT) | instid1(VALU_DEP_1)
	v_fmamk_f32 v12, v11, 0xb3a22168, v12
	v_fmamk_f32 v44, v11, 0xa7c234c4, v12
.LBB141_104:
	s_or_b32 exec_lo, exec_lo, s0
	global_load_b64 v[11:12], v8, s[6:7]
                                        ; implicit-def: $vgpr37
                                        ; implicit-def: $vgpr36
	s_mov_b32 s1, exec_lo
	s_waitcnt vmcnt(0)
	v_mul_f32_e32 v8, 0.5, v12
	s_delay_alu instid0(VALU_DEP_1)
	v_and_b32_e32 v32, 0x7fffffff, v8
	v_cmpx_ngt_f32_e64 0x48000000, |v8|
	s_xor_b32 s3, exec_lo, s1
	s_cbranch_execz .LBB141_106
; %bb.105:
	s_mov_b32 s0, 0x7fffff
	v_mov_b32_e32 v38, 0
	v_and_or_b32 v52, v32, s0, 0x800000
	s_delay_alu instid0(VALU_DEP_1) | instskip(NEXT) | instid1(VALU_DEP_1)
	v_mad_u64_u32 v[36:37], null, 0xfe5163ab, v52, 0
	v_mad_u64_u32 v[41:42], null, 0x3c439041, v52, v[37:38]
	s_delay_alu instid0(VALU_DEP_1) | instskip(SKIP_1) | instid1(VALU_DEP_2)
	v_mov_b32_e32 v37, v42
	v_lshrrev_b32_e32 v42, 23, v32
	v_mad_u64_u32 v[46:47], null, 0xdb629599, v52, v[37:38]
	s_delay_alu instid0(VALU_DEP_2) | instskip(NEXT) | instid1(VALU_DEP_1)
	v_add_nc_u32_e32 v42, 0xffffff88, v42
	v_cmp_lt_u32_e32 vcc_lo, 63, v42
	s_delay_alu instid0(VALU_DEP_3) | instskip(SKIP_1) | instid1(VALU_DEP_2)
	v_mov_b32_e32 v37, v47
	v_cndmask_b32_e64 v50, 0, 0xffffffc0, vcc_lo
	v_mad_u64_u32 v[47:48], null, 0xf534ddc0, v52, v[37:38]
	v_cndmask_b32_e32 v36, v46, v36, vcc_lo
	s_delay_alu instid0(VALU_DEP_2) | instskip(NEXT) | instid1(VALU_DEP_1)
	v_dual_mov_b32 v37, v48 :: v_dual_add_nc_u32 v42, v50, v42
	v_cmp_lt_u32_e64 s0, 31, v42
	s_delay_alu instid0(VALU_DEP_4) | instskip(NEXT) | instid1(VALU_DEP_3)
	v_cndmask_b32_e32 v41, v47, v41, vcc_lo
	v_mad_u64_u32 v[48:49], null, 0xfc2757d1, v52, v[37:38]
	s_delay_alu instid0(VALU_DEP_3) | instskip(NEXT) | instid1(VALU_DEP_3)
	v_cndmask_b32_e64 v51, 0, 0xffffffe0, s0
	v_cndmask_b32_e64 v36, v41, v36, s0
	s_delay_alu instid0(VALU_DEP_2) | instskip(NEXT) | instid1(VALU_DEP_1)
	v_dual_mov_b32 v37, v49 :: v_dual_add_nc_u32 v42, v51, v42
	v_cmp_lt_u32_e64 s1, 31, v42
	s_delay_alu instid0(VALU_DEP_2) | instskip(NEXT) | instid1(VALU_DEP_1)
	v_mad_u64_u32 v[49:50], null, 0x4e441529, v52, v[37:38]
	v_mov_b32_e32 v37, v50
	s_delay_alu instid0(VALU_DEP_1) | instskip(NEXT) | instid1(VALU_DEP_3)
	v_mad_u64_u32 v[50:51], null, 0xa2f9836e, v52, v[37:38]
	v_cndmask_b32_e32 v38, v49, v47, vcc_lo
	v_cndmask_b32_e64 v37, 0, 0xffffffe0, s1
	s_delay_alu instid0(VALU_DEP_3) | instskip(SKIP_1) | instid1(VALU_DEP_3)
	v_dual_cndmask_b32 v50, v50, v48 :: v_dual_cndmask_b32 v49, v51, v49
	v_cndmask_b32_e32 v48, v48, v46, vcc_lo
	v_add_nc_u32_e32 v37, v37, v42
	s_delay_alu instid0(VALU_DEP_3) | instskip(NEXT) | instid1(VALU_DEP_4)
	v_cndmask_b32_e64 v42, v50, v38, s0
	v_cndmask_b32_e64 v47, v49, v50, s0
	s_delay_alu instid0(VALU_DEP_4) | instskip(NEXT) | instid1(VALU_DEP_4)
	v_cndmask_b32_e64 v38, v38, v48, s0
	v_sub_nc_u32_e32 v49, 32, v37
	v_cndmask_b32_e64 v48, v48, v41, s0
	v_cmp_eq_u32_e64 s2, 0, v37
	v_cndmask_b32_e64 v47, v47, v42, s1
	v_cndmask_b32_e64 v42, v42, v38, s1
	s_delay_alu instid0(VALU_DEP_4) | instskip(SKIP_1) | instid1(VALU_DEP_3)
	v_cndmask_b32_e64 v38, v38, v48, s1
	v_cndmask_b32_e64 v36, v48, v36, s1
	v_alignbit_b32 v50, v47, v42, v49
	s_delay_alu instid0(VALU_DEP_3) | instskip(NEXT) | instid1(VALU_DEP_3)
	v_alignbit_b32 v51, v42, v38, v49
	v_alignbit_b32 v49, v38, v36, v49
	s_delay_alu instid0(VALU_DEP_3) | instskip(NEXT) | instid1(VALU_DEP_3)
	v_cndmask_b32_e64 v37, v50, v47, s2
	v_cndmask_b32_e64 v42, v51, v42, s2
	s_delay_alu instid0(VALU_DEP_3) | instskip(NEXT) | instid1(VALU_DEP_3)
	v_cndmask_b32_e64 v38, v49, v38, s2
	v_bfe_u32 v46, v37, 29, 1
	s_delay_alu instid0(VALU_DEP_3) | instskip(NEXT) | instid1(VALU_DEP_3)
	v_alignbit_b32 v41, v37, v42, 30
	v_alignbit_b32 v42, v42, v38, 30
	;; [unrolled: 1-line block ×3, first 2 shown]
	s_delay_alu instid0(VALU_DEP_4) | instskip(NEXT) | instid1(VALU_DEP_1)
	v_sub_nc_u32_e32 v47, 0, v46
	v_xor_b32_e32 v48, v41, v47
	v_cmp_ne_u32_e32 vcc_lo, v41, v47
	v_xor_b32_e32 v38, v42, v47
	v_xor_b32_e32 v36, v36, v47
	s_delay_alu instid0(VALU_DEP_4) | instskip(NEXT) | instid1(VALU_DEP_1)
	v_clz_i32_u32_e32 v50, v48
	v_add_nc_u32_e32 v49, 1, v50
	s_delay_alu instid0(VALU_DEP_1) | instskip(NEXT) | instid1(VALU_DEP_1)
	v_cndmask_b32_e32 v41, 33, v49, vcc_lo
	v_sub_nc_u32_e32 v42, 32, v41
	s_delay_alu instid0(VALU_DEP_1) | instskip(SKIP_3) | instid1(VALU_DEP_3)
	v_alignbit_b32 v47, v48, v38, v42
	v_alignbit_b32 v36, v38, v36, v42
	v_lshrrev_b32_e32 v38, 29, v37
	v_lshrrev_b32_e32 v37, 30, v37
	v_alignbit_b32 v42, v47, v36, 9
	s_delay_alu instid0(VALU_DEP_3) | instskip(SKIP_1) | instid1(VALU_DEP_4)
	v_lshlrev_b32_e32 v38, 31, v38
	v_alignbit_b32 v47, v41, v47, 9
	v_add_nc_u32_e32 v37, v46, v37
	s_delay_alu instid0(VALU_DEP_4) | instskip(NEXT) | instid1(VALU_DEP_3)
	v_clz_i32_u32_e32 v48, v42
	v_or_b32_e32 v47, v47, v38
	v_or_b32_e32 v38, 0x33800000, v38
	s_delay_alu instid0(VALU_DEP_3) | instskip(NEXT) | instid1(VALU_DEP_3)
	v_min_u32_e32 v48, 32, v48
	v_xor_b32_e32 v47, 1.0, v47
	s_delay_alu instid0(VALU_DEP_2) | instskip(SKIP_1) | instid1(VALU_DEP_3)
	v_sub_nc_u32_e32 v49, 31, v48
	v_add_lshl_u32 v41, v48, v41, 23
	v_mul_f32_e32 v48, 0x3fc90fda, v47
	s_delay_alu instid0(VALU_DEP_3) | instskip(NEXT) | instid1(VALU_DEP_3)
	v_alignbit_b32 v36, v42, v36, v49
	v_sub_nc_u32_e32 v38, v38, v41
	s_delay_alu instid0(VALU_DEP_3) | instskip(NEXT) | instid1(VALU_DEP_3)
	v_fma_f32 v41, 0x3fc90fda, v47, -v48
	v_lshrrev_b32_e32 v36, 9, v36
	s_delay_alu instid0(VALU_DEP_2) | instskip(NEXT) | instid1(VALU_DEP_2)
	v_fmamk_f32 v41, v47, 0x33a22168, v41
	v_or_b32_e32 v36, v38, v36
	s_delay_alu instid0(VALU_DEP_1) | instskip(NEXT) | instid1(VALU_DEP_1)
	v_fmac_f32_e32 v41, 0x3fc90fda, v36
	v_add_f32_e32 v36, v48, v41
.LBB141_106:
	s_and_not1_saveexec_b32 s0, s3
; %bb.107:
	v_mul_f32_e64 v36, 0x3f22f983, |v8|
	s_delay_alu instid0(VALU_DEP_1) | instskip(NEXT) | instid1(VALU_DEP_1)
	v_rndne_f32_e32 v37, v36
	v_fma_f32 v36, 0xbfc90fda, v37, |v8|
	s_delay_alu instid0(VALU_DEP_1) | instskip(NEXT) | instid1(VALU_DEP_1)
	v_fmamk_f32 v36, v37, 0xb3a22168, v36
	v_fmamk_f32 v36, v37, 0xa7c234c4, v36
	v_cvt_i32_f32_e32 v37, v37
; %bb.108:
	s_or_b32 exec_lo, exec_lo, s0
	v_and_b32_e32 v38, 0x7fffffff, v12
	v_cmp_ngt_f32_e64 s3, 0x48000000, |v12|
                                        ; implicit-def: $vgpr42
                                        ; implicit-def: $vgpr41
	s_delay_alu instid0(VALU_DEP_1) | instskip(NEXT) | instid1(SALU_CYCLE_1)
	s_and_saveexec_b32 s0, s3
	s_xor_b32 s6, exec_lo, s0
	s_cbranch_execz .LBB141_110
; %bb.109:
	s_mov_b32 s0, 0x7fffff
	s_delay_alu instid0(SALU_CYCLE_1) | instskip(NEXT) | instid1(VALU_DEP_1)
	v_and_or_b32 v55, v38, s0, 0x800000
	v_mad_u64_u32 v[41:42], null, 0xfe5163ab, v55, 0
	s_delay_alu instid0(VALU_DEP_1) | instskip(SKIP_1) | instid1(VALU_DEP_2)
	v_dual_mov_b32 v47, 0 :: v_dual_mov_b32 v46, v42
	v_lshrrev_b32_e32 v42, 23, v38
	v_mad_u64_u32 v[48:49], null, 0x3c439041, v55, v[46:47]
	s_delay_alu instid0(VALU_DEP_2) | instskip(NEXT) | instid1(VALU_DEP_1)
	v_add_nc_u32_e32 v42, 0xffffff88, v42
	v_cmp_lt_u32_e32 vcc_lo, 63, v42
	s_delay_alu instid0(VALU_DEP_3) | instskip(SKIP_1) | instid1(VALU_DEP_2)
	v_mov_b32_e32 v46, v49
	v_cndmask_b32_e64 v53, 0, 0xffffffc0, vcc_lo
	v_mad_u64_u32 v[49:50], null, 0xdb629599, v55, v[46:47]
	s_delay_alu instid0(VALU_DEP_2) | instskip(NEXT) | instid1(VALU_DEP_2)
	v_add_nc_u32_e32 v42, v53, v42
	v_mov_b32_e32 v46, v50
	s_delay_alu instid0(VALU_DEP_2) | instskip(NEXT) | instid1(VALU_DEP_4)
	v_cmp_lt_u32_e64 s0, 31, v42
	v_cndmask_b32_e32 v41, v49, v41, vcc_lo
	s_delay_alu instid0(VALU_DEP_3) | instskip(NEXT) | instid1(VALU_DEP_3)
	v_mad_u64_u32 v[50:51], null, 0xf534ddc0, v55, v[46:47]
	v_cndmask_b32_e64 v54, 0, 0xffffffe0, s0
	s_delay_alu instid0(VALU_DEP_1) | instskip(NEXT) | instid1(VALU_DEP_3)
	v_add_nc_u32_e32 v42, v54, v42
	v_mov_b32_e32 v46, v51
	s_delay_alu instid0(VALU_DEP_2) | instskip(NEXT) | instid1(VALU_DEP_2)
	v_cmp_lt_u32_e64 s1, 31, v42
	v_mad_u64_u32 v[51:52], null, 0xfc2757d1, v55, v[46:47]
	s_delay_alu instid0(VALU_DEP_1) | instskip(NEXT) | instid1(VALU_DEP_1)
	v_mov_b32_e32 v46, v52
	v_mad_u64_u32 v[52:53], null, 0x4e441529, v55, v[46:47]
	s_delay_alu instid0(VALU_DEP_1) | instskip(NEXT) | instid1(VALU_DEP_1)
	v_mov_b32_e32 v46, v53
	v_mad_u64_u32 v[53:54], null, 0xa2f9836e, v55, v[46:47]
	v_cndmask_b32_e64 v46, 0, 0xffffffe0, s1
	s_delay_alu instid0(VALU_DEP_4) | instskip(NEXT) | instid1(VALU_DEP_2)
	v_cndmask_b32_e32 v47, v52, v50, vcc_lo
	v_dual_cndmask_b32 v53, v53, v51 :: v_dual_add_nc_u32 v42, v46, v42
	s_delay_alu instid0(VALU_DEP_4) | instskip(SKIP_1) | instid1(VALU_DEP_3)
	v_dual_cndmask_b32 v52, v54, v52 :: v_dual_cndmask_b32 v51, v51, v49
	v_cndmask_b32_e32 v46, v50, v48, vcc_lo
	v_cmp_eq_u32_e64 s2, 0, v42
	s_delay_alu instid0(VALU_DEP_4) | instskip(NEXT) | instid1(VALU_DEP_4)
	v_cndmask_b32_e64 v48, v53, v47, s0
	v_cndmask_b32_e64 v50, v52, v53, s0
	;; [unrolled: 1-line block ×3, first 2 shown]
	v_sub_nc_u32_e32 v52, 32, v42
	v_cndmask_b32_e64 v51, v51, v46, s0
	v_cndmask_b32_e64 v41, v46, v41, s0
	;; [unrolled: 1-line block ×4, first 2 shown]
	s_delay_alu instid0(VALU_DEP_4) | instskip(NEXT) | instid1(VALU_DEP_4)
	v_cndmask_b32_e64 v47, v47, v51, s1
	v_cndmask_b32_e64 v41, v51, v41, s1
	s_delay_alu instid0(VALU_DEP_3) | instskip(NEXT) | instid1(VALU_DEP_3)
	v_alignbit_b32 v53, v50, v48, v52
	v_alignbit_b32 v54, v48, v47, v52
	s_delay_alu instid0(VALU_DEP_3) | instskip(NEXT) | instid1(VALU_DEP_3)
	v_alignbit_b32 v52, v47, v41, v52
	v_cndmask_b32_e64 v42, v53, v50, s2
	s_delay_alu instid0(VALU_DEP_3) | instskip(NEXT) | instid1(VALU_DEP_3)
	v_cndmask_b32_e64 v48, v54, v48, s2
	v_cndmask_b32_e64 v47, v52, v47, s2
	s_delay_alu instid0(VALU_DEP_3) | instskip(NEXT) | instid1(VALU_DEP_3)
	v_bfe_u32 v49, v42, 29, 1
	v_alignbit_b32 v46, v42, v48, 30
	s_delay_alu instid0(VALU_DEP_3) | instskip(SKIP_1) | instid1(VALU_DEP_4)
	v_alignbit_b32 v48, v48, v47, 30
	v_alignbit_b32 v41, v47, v41, 30
	v_sub_nc_u32_e32 v50, 0, v49
	s_delay_alu instid0(VALU_DEP_1) | instskip(SKIP_3) | instid1(VALU_DEP_4)
	v_xor_b32_e32 v51, v46, v50
	v_cmp_ne_u32_e32 vcc_lo, v46, v50
	v_xor_b32_e32 v47, v48, v50
	v_xor_b32_e32 v41, v41, v50
	v_clz_i32_u32_e32 v53, v51
	s_delay_alu instid0(VALU_DEP_1) | instskip(NEXT) | instid1(VALU_DEP_1)
	v_add_nc_u32_e32 v52, 1, v53
	v_cndmask_b32_e32 v46, 33, v52, vcc_lo
	s_delay_alu instid0(VALU_DEP_1) | instskip(NEXT) | instid1(VALU_DEP_1)
	v_sub_nc_u32_e32 v48, 32, v46
	v_alignbit_b32 v50, v51, v47, v48
	v_alignbit_b32 v41, v47, v41, v48
	v_lshrrev_b32_e32 v47, 29, v42
	v_lshrrev_b32_e32 v42, 30, v42
	s_delay_alu instid0(VALU_DEP_3) | instskip(NEXT) | instid1(VALU_DEP_3)
	v_alignbit_b32 v48, v50, v41, 9
	v_lshlrev_b32_e32 v47, 31, v47
	v_alignbit_b32 v50, v46, v50, 9
	s_delay_alu instid0(VALU_DEP_4) | instskip(NEXT) | instid1(VALU_DEP_4)
	v_add_nc_u32_e32 v42, v49, v42
	v_clz_i32_u32_e32 v51, v48
	s_delay_alu instid0(VALU_DEP_3) | instskip(SKIP_1) | instid1(VALU_DEP_3)
	v_or_b32_e32 v50, v50, v47
	v_or_b32_e32 v47, 0x33800000, v47
	v_min_u32_e32 v51, 32, v51
	s_delay_alu instid0(VALU_DEP_3) | instskip(NEXT) | instid1(VALU_DEP_2)
	v_xor_b32_e32 v50, 1.0, v50
	v_sub_nc_u32_e32 v52, 31, v51
	v_add_lshl_u32 v46, v51, v46, 23
	s_delay_alu instid0(VALU_DEP_3) | instskip(NEXT) | instid1(VALU_DEP_3)
	v_mul_f32_e32 v51, 0x3fc90fda, v50
	v_alignbit_b32 v41, v48, v41, v52
	s_delay_alu instid0(VALU_DEP_3) | instskip(NEXT) | instid1(VALU_DEP_3)
	v_sub_nc_u32_e32 v46, v47, v46
	v_fma_f32 v47, 0x3fc90fda, v50, -v51
	s_delay_alu instid0(VALU_DEP_3) | instskip(NEXT) | instid1(VALU_DEP_2)
	v_lshrrev_b32_e32 v41, 9, v41
	v_fmamk_f32 v47, v50, 0x33a22168, v47
	s_delay_alu instid0(VALU_DEP_2) | instskip(NEXT) | instid1(VALU_DEP_1)
	v_or_b32_e32 v41, v46, v41
	v_fmac_f32_e32 v47, 0x3fc90fda, v41
	s_delay_alu instid0(VALU_DEP_1)
	v_add_f32_e32 v41, v51, v47
	s_and_not1_saveexec_b32 s0, s6
	s_branch .LBB141_111
.LBB141_110:
	s_and_not1_saveexec_b32 s0, s6
.LBB141_111:
	v_mul_f32_e64 v41, 0x3f22f983, |v12|
	s_delay_alu instid0(VALU_DEP_1) | instskip(NEXT) | instid1(VALU_DEP_1)
	v_rndne_f32_e32 v42, v41
	v_fma_f32 v41, 0xbfc90fda, v42, |v12|
	s_delay_alu instid0(VALU_DEP_1) | instskip(NEXT) | instid1(VALU_DEP_1)
	v_fmamk_f32 v41, v42, 0xb3a22168, v41
	v_fmamk_f32 v41, v42, 0xa7c234c4, v41
	v_cvt_i32_f32_e32 v42, v42
; %bb.112:
	s_or_b32 exec_lo, exec_lo, s0
                                        ; implicit-def: $vgpr47
                                        ; implicit-def: $vgpr46
	s_and_saveexec_b32 s0, s3
	s_delay_alu instid0(SALU_CYCLE_1)
	s_xor_b32 s3, exec_lo, s0
	s_cbranch_execz .LBB141_114
; %bb.113:
	s_mov_b32 s0, 0x7fffff
	v_mov_b32_e32 v48, 0
	v_and_or_b32 v56, v38, s0, 0x800000
	v_lshrrev_b32_e32 v53, 23, v38
	s_delay_alu instid0(VALU_DEP_2) | instskip(NEXT) | instid1(VALU_DEP_2)
	v_mad_u64_u32 v[46:47], null, 0xfe5163ab, v56, 0
	v_add_nc_u32_e32 v54, 0xffffff88, v53
	s_delay_alu instid0(VALU_DEP_1) | instskip(NEXT) | instid1(VALU_DEP_3)
	v_cmp_lt_u32_e32 vcc_lo, 63, v54
	v_mad_u64_u32 v[49:50], null, 0x3c439041, v56, v[47:48]
	v_cndmask_b32_e64 v55, 0, 0xffffffc0, vcc_lo
	s_delay_alu instid0(VALU_DEP_2) | instskip(NEXT) | instid1(VALU_DEP_2)
	v_mov_b32_e32 v47, v50
	v_add_nc_u32_e32 v55, v55, v54
	s_delay_alu instid0(VALU_DEP_2) | instskip(NEXT) | instid1(VALU_DEP_2)
	v_mad_u64_u32 v[50:51], null, 0xdb629599, v56, v[47:48]
	v_cmp_lt_u32_e64 s0, 31, v55
	s_delay_alu instid0(VALU_DEP_1) | instskip(NEXT) | instid1(VALU_DEP_3)
	v_cndmask_b32_e64 v57, 0, 0xffffffe0, s0
	v_dual_mov_b32 v47, v51 :: v_dual_cndmask_b32 v46, v50, v46
	s_delay_alu instid0(VALU_DEP_2) | instskip(NEXT) | instid1(VALU_DEP_2)
	v_add_nc_u32_e32 v57, v57, v55
	v_mad_u64_u32 v[51:52], null, 0xf534ddc0, v56, v[47:48]
	s_delay_alu instid0(VALU_DEP_2) | instskip(NEXT) | instid1(VALU_DEP_2)
	v_cmp_lt_u32_e64 s1, 31, v57
	v_mov_b32_e32 v47, v52
	s_delay_alu instid0(VALU_DEP_3) | instskip(NEXT) | instid1(VALU_DEP_2)
	v_cndmask_b32_e32 v49, v51, v49, vcc_lo
	v_mad_u64_u32 v[52:53], null, 0xfc2757d1, v56, v[47:48]
	s_delay_alu instid0(VALU_DEP_2) | instskip(NEXT) | instid1(VALU_DEP_2)
	v_cndmask_b32_e64 v46, v49, v46, s0
	v_mov_b32_e32 v47, v53
	s_delay_alu instid0(VALU_DEP_1) | instskip(NEXT) | instid1(VALU_DEP_1)
	v_mad_u64_u32 v[53:54], null, 0x4e441529, v56, v[47:48]
	v_mov_b32_e32 v47, v54
	s_delay_alu instid0(VALU_DEP_1) | instskip(SKIP_1) | instid1(VALU_DEP_1)
	v_mad_u64_u32 v[54:55], null, 0xa2f9836e, v56, v[47:48]
	v_cndmask_b32_e64 v47, 0, 0xffffffe0, s1
	v_dual_cndmask_b32 v48, v53, v51 :: v_dual_add_nc_u32 v47, v47, v57
	s_delay_alu instid0(VALU_DEP_3) | instskip(NEXT) | instid1(VALU_DEP_4)
	v_cndmask_b32_e32 v54, v54, v52, vcc_lo
	v_dual_cndmask_b32 v52, v52, v50 :: v_dual_cndmask_b32 v53, v55, v53
	s_delay_alu instid0(VALU_DEP_3) | instskip(NEXT) | instid1(VALU_DEP_3)
	v_cmp_eq_u32_e64 s2, 0, v47
	v_cndmask_b32_e64 v51, v54, v48, s0
	s_delay_alu instid0(VALU_DEP_3) | instskip(NEXT) | instid1(VALU_DEP_4)
	v_cndmask_b32_e64 v48, v48, v52, s0
	v_cndmask_b32_e64 v53, v53, v54, s0
	v_sub_nc_u32_e32 v54, 32, v47
	v_cndmask_b32_e64 v52, v52, v49, s0
	s_delay_alu instid0(VALU_DEP_3) | instskip(SKIP_1) | instid1(VALU_DEP_3)
	v_cndmask_b32_e64 v53, v53, v51, s1
	v_cndmask_b32_e64 v51, v51, v48, s1
	;; [unrolled: 1-line block ×4, first 2 shown]
	s_delay_alu instid0(VALU_DEP_3) | instskip(NEXT) | instid1(VALU_DEP_3)
	v_alignbit_b32 v55, v53, v51, v54
	v_alignbit_b32 v56, v51, v48, v54
	s_delay_alu instid0(VALU_DEP_3) | instskip(NEXT) | instid1(VALU_DEP_3)
	v_alignbit_b32 v54, v48, v46, v54
	v_cndmask_b32_e64 v47, v55, v53, s2
	s_delay_alu instid0(VALU_DEP_3) | instskip(NEXT) | instid1(VALU_DEP_3)
	v_cndmask_b32_e64 v50, v56, v51, s2
	v_cndmask_b32_e64 v48, v54, v48, s2
	s_delay_alu instid0(VALU_DEP_3) | instskip(NEXT) | instid1(VALU_DEP_3)
	v_bfe_u32 v51, v47, 29, 1
	v_alignbit_b32 v49, v47, v50, 30
	s_delay_alu instid0(VALU_DEP_3) | instskip(SKIP_1) | instid1(VALU_DEP_4)
	v_alignbit_b32 v50, v50, v48, 30
	v_alignbit_b32 v46, v48, v46, 30
	v_sub_nc_u32_e32 v53, 0, v51
	s_delay_alu instid0(VALU_DEP_1) | instskip(SKIP_3) | instid1(VALU_DEP_4)
	v_xor_b32_e32 v52, v49, v53
	v_cmp_ne_u32_e32 vcc_lo, v49, v53
	v_xor_b32_e32 v48, v50, v53
	v_xor_b32_e32 v46, v46, v53
	v_clz_i32_u32_e32 v55, v52
	s_delay_alu instid0(VALU_DEP_1) | instskip(NEXT) | instid1(VALU_DEP_1)
	v_add_nc_u32_e32 v54, 1, v55
	v_cndmask_b32_e32 v49, 33, v54, vcc_lo
	s_delay_alu instid0(VALU_DEP_1) | instskip(NEXT) | instid1(VALU_DEP_1)
	v_sub_nc_u32_e32 v50, 32, v49
	v_alignbit_b32 v52, v52, v48, v50
	v_alignbit_b32 v46, v48, v46, v50
	v_lshrrev_b32_e32 v48, 29, v47
	v_lshrrev_b32_e32 v47, 30, v47
	s_delay_alu instid0(VALU_DEP_3) | instskip(NEXT) | instid1(VALU_DEP_3)
	v_alignbit_b32 v50, v52, v46, 9
	v_lshlrev_b32_e32 v48, 31, v48
	v_alignbit_b32 v52, v49, v52, 9
	s_delay_alu instid0(VALU_DEP_4) | instskip(NEXT) | instid1(VALU_DEP_4)
	v_add_nc_u32_e32 v47, v51, v47
	v_clz_i32_u32_e32 v53, v50
	s_delay_alu instid0(VALU_DEP_3) | instskip(SKIP_1) | instid1(VALU_DEP_3)
	v_or_b32_e32 v52, v52, v48
	v_or_b32_e32 v48, 0x33800000, v48
	v_min_u32_e32 v53, 32, v53
	s_delay_alu instid0(VALU_DEP_3) | instskip(NEXT) | instid1(VALU_DEP_2)
	v_xor_b32_e32 v52, 1.0, v52
	v_sub_nc_u32_e32 v54, 31, v53
	v_add_lshl_u32 v49, v53, v49, 23
	s_delay_alu instid0(VALU_DEP_3) | instskip(NEXT) | instid1(VALU_DEP_3)
	v_mul_f32_e32 v53, 0x3fc90fda, v52
	v_alignbit_b32 v46, v50, v46, v54
	s_delay_alu instid0(VALU_DEP_3) | instskip(NEXT) | instid1(VALU_DEP_3)
	v_sub_nc_u32_e32 v48, v48, v49
	v_fma_f32 v49, 0x3fc90fda, v52, -v53
	s_delay_alu instid0(VALU_DEP_3) | instskip(NEXT) | instid1(VALU_DEP_2)
	v_lshrrev_b32_e32 v46, 9, v46
	v_fmamk_f32 v49, v52, 0x33a22168, v49
	s_delay_alu instid0(VALU_DEP_2) | instskip(NEXT) | instid1(VALU_DEP_1)
	v_or_b32_e32 v46, v48, v46
	v_fmac_f32_e32 v49, 0x3fc90fda, v46
	s_delay_alu instid0(VALU_DEP_1)
	v_add_f32_e32 v46, v53, v49
	s_and_not1_saveexec_b32 s0, s3
	s_cbranch_execnz .LBB141_115
	s_branch .LBB141_116
.LBB141_114:
	s_and_not1_saveexec_b32 s0, s3
.LBB141_115:
	v_mul_f32_e64 v46, 0x3f22f983, |v12|
	s_delay_alu instid0(VALU_DEP_1) | instskip(NEXT) | instid1(VALU_DEP_1)
	v_rndne_f32_e32 v47, v46
	v_fma_f32 v46, 0xbfc90fda, v47, |v12|
	s_delay_alu instid0(VALU_DEP_1) | instskip(NEXT) | instid1(VALU_DEP_1)
	v_fmamk_f32 v46, v47, 0xb3a22168, v46
	v_fmamk_f32 v46, v47, 0xa7c234c4, v46
	v_cvt_i32_f32_e32 v47, v47
.LBB141_116:
	s_or_b32 exec_lo, exec_lo, s0
	v_dual_mul_f32 v48, 0x3fb8aa3b, v9 :: v_dual_lshlrev_b32 v49, 30, v43
	s_mov_b32 s1, 0x395133b1
	v_dual_mul_f32 v51, v40, v40 :: v_dual_mul_f32 v54, v34, v34
	s_delay_alu instid0(VALU_DEP_2)
	v_rndne_f32_e32 v50, v48
	v_and_b32_e32 v43, 1, v43
	v_fma_f32 v57, 0x3fb8aa3b, v9, -v48
	v_and_b32_e32 v49, 0x80000000, v49
	s_mov_b32 s2, 0x37d75334
	v_sub_f32_e32 v48, v48, v50
	v_dual_fmamk_f32 v52, v50, 0xbf317218, v9 :: v_dual_lshlrev_b32 v53, 30, v39
	v_cvt_i32_f32_e32 v66, v50
	v_cmp_eq_f32_e32 vcc_lo, 0x43000000, v50
	s_mov_b32 s3, 0xb94c1982
	s_delay_alu instid0(VALU_DEP_3) | instskip(SKIP_3) | instid1(VALU_DEP_3)
	v_fmac_f32_e32 v52, 0x3102e308, v50
	v_fmac_f32_e32 v57, 0x32a5705f, v9
	v_dual_mul_f32 v55, v44, v44 :: v_dual_fmaak_f32 v58, s2, v51, 0xbab64f3b
	v_dual_fmaak_f32 v60, s3, v51, 0x3c0881c4 :: v_dual_fmaak_f32 v61, s3, v54, 0x3c0881c4
	v_dual_fmaak_f32 v59, s1, v52, 0x3ab69700 :: v_dual_add_f32 v48, v48, v57
	v_cndmask_b32_e64 v50, v66, 0x7f, vcc_lo
	s_delay_alu instid0(VALU_DEP_3) | instskip(SKIP_1) | instid1(VALU_DEP_4)
	v_dual_fmaak_f32 v60, v51, v60, 0xbe2aaa9d :: v_dual_fmaak_f32 v61, v54, v61, 0xbe2aaa9d
	v_cmp_eq_u32_e64 s0, 0, v43
	v_exp_f32_e32 v48, v48
	s_delay_alu instid0(VALU_DEP_3)
	v_ldexp_f32 v50, 1.0, v50
	v_fmaak_f32 v59, v52, v59, 0x3c0887f9
	v_and_b32_e32 v53, 0x80000000, v53
	v_dual_mul_f32 v56, 0x3fb8aa3b, v6 :: v_dual_and_b32 v39, 1, v39
	v_fmaak_f32 v64, s2, v55, 0xbab64f3b
	v_xor_b32_e32 v33, v33, v31
	v_xor_b32_e32 v23, v23, v22
	v_xor_b32_e32 v14, v14, v13
	s_delay_alu instid0(TRANS32_DEP_1) | instskip(SKIP_3) | instid1(VALU_DEP_2)
	v_ldexp_f32 v43, v48, v66
	v_fmaak_f32 v58, v51, v58, 0x3d2aabf7
	v_rndne_f32_e32 v65, v56
	s_or_b32 s8, s8, exec_lo
	v_fmaak_f32 v57, v51, v58, 0xbf000004
	v_mul_f32_e32 v58, v51, v60
	v_dual_add_f32 v60, -1.0, v50 :: v_dual_fmaak_f32 v59, v52, v59, 0x3d2aaa81
	s_delay_alu instid0(VALU_DEP_2) | instskip(NEXT) | instid1(VALU_DEP_2)
	v_fmac_f32_e32 v40, v40, v58
	v_fmaak_f32 v59, v52, v59, 0x3e2aaaab
	s_delay_alu instid0(VALU_DEP_1) | instskip(NEXT) | instid1(VALU_DEP_1)
	v_fma_f32 v59, v52, v59, 0.5
	v_dual_fmaak_f32 v62, s2, v54, 0xbab64f3b :: v_dual_mul_f32 v59, v52, v59
	s_delay_alu instid0(VALU_DEP_1) | instskip(NEXT) | instid1(VALU_DEP_2)
	v_fmaak_f32 v62, v54, v62, 0x3d2aabf7
	v_fmac_f32_e32 v52, v52, v59
	v_fmaak_f32 v63, s3, v55, 0x3c0881c4
	v_dual_mul_f32 v59, v54, v61 :: v_dual_fmaak_f32 v64, v55, v64, 0x3d2aabf7
	s_delay_alu instid0(VALU_DEP_3) | instskip(SKIP_1) | instid1(VALU_DEP_3)
	v_fmac_f32_e32 v60, v50, v52
	v_fmamk_f32 v67, v65, 0xbf317218, v6
	v_fmac_f32_e32 v34, v34, v59
	v_fma_f32 v50, v51, v57, 1.0
	s_delay_alu instid0(VALU_DEP_4) | instskip(SKIP_2) | instid1(VALU_DEP_4)
	v_dual_fmaak_f32 v63, v55, v63, 0xbe2aaa9d :: v_dual_add_f32 v52, v60, v60
	v_fmaak_f32 v61, v54, v62, 0xbf000004
	v_fmac_f32_e32 v67, 0x3102e308, v65
	v_cndmask_b32_e64 v40, -v40, v50, s0
	v_sub_f32_e32 v50, v56, v65
	v_cndmask_b32_e32 v48, v60, v52, vcc_lo
	v_fma_f32 v51, v54, v61, 1.0
	v_cmp_eq_u32_e32 vcc_lo, 0, v39
	v_xor_b32_e32 v40, v49, v40
	v_cvt_i32_f32_e32 v49, v65
	s_delay_alu instid0(VALU_DEP_4) | instskip(SKIP_1) | instid1(VALU_DEP_2)
	v_cndmask_b32_e32 v34, v51, v34, vcc_lo
	v_cmp_ngt_f32_e32 vcc_lo, 0xc2ce8ed0, v9
	v_xor3_b32 v33, v33, v53, v34
	v_mul_f32_e32 v34, v55, v63
	v_cndmask_b32_e32 v39, 0, v43, vcc_lo
	v_cmp_nlt_f32_e32 vcc_lo, 0x42b17217, v9
	v_fmaak_f32 v54, s1, v67, 0x3ab69700
	s_delay_alu instid0(VALU_DEP_4) | instskip(SKIP_3) | instid1(VALU_DEP_4)
	v_dual_fmac_f32 v44, v44, v34 :: v_dual_cndmask_b32 v43, 0x7f800000, v48
	v_cmp_nlt_f32_e32 vcc_lo, 0x42b17218, v9
	v_cndmask_b32_e32 v39, 0x7f800000, v39, vcc_lo
	v_cmp_ngt_f32_e32 vcc_lo, 0xc1880000, v9
	v_cndmask_b32_e32 v9, -1.0, v43, vcc_lo
	v_cmp_class_f32_e64 vcc_lo, v31, 0x1f8
	v_cndmask_b32_e32 v31, 0x7fc00000, v33, vcc_lo
	v_lshlrev_b32_e32 v33, 30, v45
	v_dual_fmaak_f32 v48, v67, v54, 0x3c0887f9 :: v_dual_and_b32 v45, 1, v45
	v_cmp_eq_f32_e32 vcc_lo, 0x43000000, v65
	v_fmaak_f32 v43, v55, v64, 0xbf000004
	s_delay_alu instid0(VALU_DEP_4) | instskip(NEXT) | instid1(VALU_DEP_4)
	v_and_b32_e32 v33, 0x80000000, v33
	v_cmp_eq_u32_e64 s0, 0, v45
	v_cndmask_b32_e64 v51, v49, 0x7f, vcc_lo
	s_delay_alu instid0(VALU_DEP_4) | instskip(SKIP_3) | instid1(VALU_DEP_4)
	v_fma_f32 v34, v55, v43, 1.0
	v_fmaak_f32 v43, v67, v48, 0x3d2aaa81
	v_fma_f32 v48, 0x3fb8aa3b, v6, -v56
	v_xor_b32_e32 v33, v35, v33
	v_cndmask_b32_e64 v34, v34, v44, s0
	s_delay_alu instid0(VALU_DEP_4) | instskip(SKIP_1) | instid1(VALU_DEP_3)
	v_fmaak_f32 v43, v67, v43, 0x3e2aaaab
	v_cmp_class_f32_e64 s0, v10, 0x1f8
	v_xor3_b32 v33, v33, v34, v10
	s_delay_alu instid0(VALU_DEP_3) | instskip(SKIP_1) | instid1(VALU_DEP_4)
	v_fma_f32 v43, v67, v43, 0.5
	v_fmac_f32_e32 v48, 0x32a5705f, v6
	v_cndmask_b32_e64 v10, 0x7fc00000, v40, s0
	s_delay_alu instid0(VALU_DEP_4) | instskip(NEXT) | instid1(VALU_DEP_3)
	v_cndmask_b32_e64 v33, 0x7fc00000, v33, s0
	v_dual_mul_f32 v35, v67, v43 :: v_dual_add_f32 v44, v50, v48
	v_ldexp_f32 v43, 1.0, v51
	v_cmp_ngt_f32_e64 s0, 0xc2ce8ed0, v6
	s_delay_alu instid0(VALU_DEP_3) | instskip(NEXT) | instid1(VALU_DEP_4)
	v_dual_mul_f32 v48, v29, v29 :: v_dual_fmac_f32 v67, v67, v35
	v_exp_f32_e32 v44, v44
	s_delay_alu instid0(VALU_DEP_3) | instskip(NEXT) | instid1(VALU_DEP_2)
	v_add_f32_e32 v34, -1.0, v43
	v_dual_mul_f32 v35, v27, v27 :: v_dual_fmaak_f32 v50, s3, v48, 0x3c0881c4
	s_delay_alu instid0(VALU_DEP_2) | instskip(SKIP_2) | instid1(VALU_DEP_1)
	v_fmac_f32_e32 v34, v43, v67
	s_waitcnt_depctr 0xfff
	v_ldexp_f32 v40, v44, v49
	v_cndmask_b32_e64 v40, 0, v40, s0
	v_add_f32_e32 v45, v31, v31
	v_cmp_class_f32_e64 s0, v7, 0x1f8
	s_delay_alu instid0(VALU_DEP_2) | instskip(SKIP_1) | instid1(VALU_DEP_1)
	v_mul_f32_e32 v31, v31, v45
	v_add_f32_e32 v45, v34, v34
	v_cndmask_b32_e32 v34, v34, v45, vcc_lo
	v_cmp_nlt_f32_e32 vcc_lo, 0x42b17218, v6
	v_lshlrev_b32_e32 v45, 30, v28
	v_and_b32_e32 v28, 1, v28
	v_cndmask_b32_e32 v40, 0x7f800000, v40, vcc_lo
	v_cmp_nlt_f32_e32 vcc_lo, 0x42b17217, v6
	v_cndmask_b32_e32 v34, 0x7f800000, v34, vcc_lo
	v_cmp_ngt_f32_e32 vcc_lo, 0xc1880000, v6
	s_delay_alu instid0(VALU_DEP_2)
	v_cndmask_b32_e32 v6, -1.0, v34, vcc_lo
	v_mul_f32_e32 v34, v24, v24
	v_fmaak_f32 v44, s3, v35, 0x3c0881c4
	v_cmp_eq_u32_e32 vcc_lo, 0, v28
	v_lshlrev_b32_e32 v28, 30, v26
	v_fma_f32 v9, v9, v10, -v31
	v_and_b32_e32 v26, 1, v26
	v_fmaak_f32 v44, v35, v44, 0xbe2aaa9d
	v_fmaak_f32 v43, s2, v35, 0xbab64f3b
	v_lshlrev_b32_e32 v31, 30, v17
	s_delay_alu instid0(VALU_DEP_3) | instskip(NEXT) | instid1(VALU_DEP_3)
	v_dual_mul_f32 v44, v35, v44 :: v_dual_and_b32 v17, 1, v17
	v_fmaak_f32 v43, v35, v43, 0x3d2aabf7
	s_delay_alu instid0(VALU_DEP_2) | instskip(NEXT) | instid1(VALU_DEP_2)
	v_dual_fmac_f32 v27, v27, v44 :: v_dual_fmaak_f32 v44, s2, v34, 0xbab64f3b
	v_fmaak_f32 v43, v35, v43, 0xbf000004
	s_delay_alu instid0(VALU_DEP_1) | instskip(NEXT) | instid1(VALU_DEP_1)
	v_fma_f32 v35, v35, v43, 1.0
	v_cndmask_b32_e64 v27, -v27, v35, vcc_lo
	v_fmaak_f32 v35, s3, v34, 0x3c0881c4
	v_cmp_eq_u32_e32 vcc_lo, 0, v26
	s_delay_alu instid0(VALU_DEP_2) | instskip(NEXT) | instid1(VALU_DEP_1)
	v_fmaak_f32 v35, v34, v35, 0xbe2aaa9d
	v_dual_mul_f32 v35, v34, v35 :: v_dual_and_b32 v28, 0x80000000, v28
	v_and_b32_e32 v43, 0x80000000, v45
	s_delay_alu instid0(VALU_DEP_2) | instskip(SKIP_1) | instid1(VALU_DEP_2)
	v_dual_mul_f32 v45, 0x3fb8aa3b, v4 :: v_dual_fmac_f32 v24, v24, v35
	v_fmaak_f32 v35, v48, v50, 0xbe2aaa9d
	v_rndne_f32_e32 v49, v45
	s_delay_alu instid0(VALU_DEP_4) | instskip(NEXT) | instid1(VALU_DEP_2)
	v_xor_b32_e32 v27, v43, v27
	v_dual_mul_f32 v26, v48, v35 :: v_dual_fmamk_f32 v51, v49, 0xbf317218, v4
	s_delay_alu instid0(VALU_DEP_1) | instskip(NEXT) | instid1(VALU_DEP_2)
	v_dual_fmaak_f32 v44, v34, v44, 0x3d2aabf7 :: v_dual_fmac_f32 v29, v29, v26
	v_fmac_f32_e32 v51, 0x3102e308, v49
	s_delay_alu instid0(VALU_DEP_2) | instskip(NEXT) | instid1(VALU_DEP_1)
	v_fmaak_f32 v44, v34, v44, 0xbf000004
	v_fma_f32 v34, v34, v44, 1.0
	s_delay_alu instid0(VALU_DEP_1) | instskip(SKIP_1) | instid1(VALU_DEP_2)
	v_cndmask_b32_e32 v24, v34, v24, vcc_lo
	v_cmp_class_f32_e64 vcc_lo, v22, 0x1f8
	v_xor3_b32 v23, v23, v28, v24
	v_and_b32_e32 v28, 1, v30
	s_delay_alu instid0(VALU_DEP_2) | instskip(NEXT) | instid1(VALU_DEP_2)
	v_cndmask_b32_e32 v22, 0x7fc00000, v23, vcc_lo
	v_cmp_eq_u32_e32 vcc_lo, 0, v28
	v_fma_f32 v28, 0x3fb8aa3b, v4, -v45
	s_delay_alu instid0(VALU_DEP_1) | instskip(SKIP_1) | instid1(VALU_DEP_1)
	v_fmac_f32_e32 v28, 0x32a5705f, v4
	v_fmaak_f32 v34, s1, v51, 0x3ab69700
	v_fmaak_f32 v24, v51, v34, 0x3c0887f9
	s_delay_alu instid0(VALU_DEP_1) | instskip(NEXT) | instid1(VALU_DEP_1)
	v_dual_fmaak_f32 v23, v51, v24, 0x3d2aaa81 :: v_dual_lshlrev_b32 v24, 30, v30
	v_dual_sub_f32 v30, v45, v49 :: v_dual_fmaak_f32 v23, v51, v23, 0x3e2aaaab
	s_delay_alu instid0(VALU_DEP_2) | instskip(NEXT) | instid1(VALU_DEP_2)
	v_and_b32_e32 v24, 0x80000000, v24
	v_fma_f32 v23, v51, v23, 0.5
	s_delay_alu instid0(VALU_DEP_2) | instskip(NEXT) | instid1(VALU_DEP_4)
	v_xor_b32_e32 v24, v25, v24
	v_add_f32_e32 v25, v30, v28
	s_delay_alu instid0(VALU_DEP_3) | instskip(SKIP_1) | instid1(VALU_DEP_3)
	v_dual_add_f32 v28, v22, v22 :: v_dual_mul_f32 v23, v51, v23
	v_fmaak_f32 v52, s2, v48, 0xbab64f3b
	v_exp_f32_e32 v25, v25
	s_delay_alu instid0(VALU_DEP_2) | instskip(NEXT) | instid1(VALU_DEP_2)
	v_dual_mul_f32 v22, v22, v28 :: v_dual_fmac_f32 v51, v51, v23
	v_fmaak_f32 v44, v48, v52, 0x3d2aabf7
	v_cndmask_b32_e64 v23, 0x7fc00000, v27, s0
	s_delay_alu instid0(VALU_DEP_2) | instskip(NEXT) | instid1(VALU_DEP_2)
	v_fmaak_f32 v35, v48, v44, 0xbf000004
	v_fma_f32 v22, v6, v23, -v22
	s_delay_alu instid0(VALU_DEP_2) | instskip(NEXT) | instid1(VALU_DEP_1)
	v_fma_f32 v26, v48, v35, 1.0
	v_cndmask_b32_e32 v26, v26, v29, vcc_lo
	v_cvt_i32_f32_e32 v29, v49
	v_cmp_eq_f32_e32 vcc_lo, 0x43000000, v49
	s_delay_alu instid0(VALU_DEP_3) | instskip(SKIP_1) | instid1(VALU_DEP_4)
	v_xor3_b32 v24, v24, v26, v7
	v_mul_f32_e32 v26, v16, v16
	v_cndmask_b32_e64 v34, v29, 0x7f, vcc_lo
	v_mul_f32_e32 v10, v39, v33
	v_ldexp_f32 v6, v25, v29
	v_cndmask_b32_e64 v24, 0x7fc00000, v24, s0
	v_fmaak_f32 v29, s2, v26, 0xbab64f3b
	v_ldexp_f32 v30, 1.0, v34
	v_mul_f32_e32 v25, v18, v18
	v_cmp_ngt_f32_e64 s0, 0xc2ce8ed0, v4
	v_mul_f32_e32 v23, v40, v24
	v_fmaak_f32 v29, v26, v29, 0x3d2aabf7
	v_add_f32_e32 v7, -1.0, v30
	v_fmaak_f32 v27, s2, v25, 0xbab64f3b
	v_cndmask_b32_e64 v6, 0, v6, s0
	s_delay_alu instid0(VALU_DEP_3) | instskip(NEXT) | instid1(VALU_DEP_1)
	v_fmac_f32_e32 v7, v30, v51
	v_add_f32_e32 v24, v7, v7
	s_delay_alu instid0(VALU_DEP_1) | instskip(SKIP_2) | instid1(VALU_DEP_3)
	v_dual_cndmask_b32 v7, v7, v24 :: v_dual_lshlrev_b32 v24, 30, v19
	v_cmp_nlt_f32_e32 vcc_lo, 0x42b17217, v4
	v_and_b32_e32 v19, 1, v19
	v_cndmask_b32_e32 v7, 0x7f800000, v7, vcc_lo
	v_fmaak_f32 v28, s3, v26, 0x3c0881c4
	v_fmaak_f32 v29, v26, v29, 0xbf000004
	v_cmp_eq_u32_e32 vcc_lo, 0, v17
	s_delay_alu instid0(VALU_DEP_3) | instskip(NEXT) | instid1(VALU_DEP_1)
	v_fmaak_f32 v28, v26, v28, 0xbe2aaa9d
	v_dual_fmaak_f32 v27, v25, v27, 0x3d2aabf7 :: v_dual_mul_f32 v28, v26, v28
	s_delay_alu instid0(VALU_DEP_1) | instskip(SKIP_1) | instid1(VALU_DEP_3)
	v_fmaak_f32 v27, v25, v27, 0xbf000004
	v_fma_f32 v26, v26, v29, 1.0
	v_dual_fmac_f32 v16, v16, v28 :: v_dual_and_b32 v29, 0x80000000, v31
	s_delay_alu instid0(VALU_DEP_1) | instskip(SKIP_1) | instid1(VALU_DEP_2)
	v_cndmask_b32_e32 v16, v26, v16, vcc_lo
	v_cmp_eq_u32_e32 vcc_lo, 0, v19
	v_xor3_b32 v14, v14, v29, v16
	v_mul_f32_e32 v26, v20, v20
	s_delay_alu instid0(VALU_DEP_1) | instskip(NEXT) | instid1(VALU_DEP_1)
	v_dual_fmaak_f32 v30, s3, v25, 0x3c0881c4 :: v_dual_fmaak_f32 v19, s3, v26, 0x3c0881c4
	v_fmaak_f32 v30, v25, v30, 0xbe2aaa9d
	s_delay_alu instid0(VALU_DEP_1) | instskip(SKIP_1) | instid1(VALU_DEP_2)
	v_dual_mul_f32 v28, v25, v30 :: v_dual_mul_f32 v17, 0x3fb8aa3b, v11
	v_fma_f32 v25, v25, v27, 1.0
	v_fmac_f32_e32 v18, v18, v28
	s_delay_alu instid0(VALU_DEP_3) | instskip(NEXT) | instid1(VALU_DEP_2)
	v_rndne_f32_e32 v16, v17
	v_cndmask_b32_e64 v18, -v18, v25, vcc_lo
	v_cmp_class_f32_e64 vcc_lo, v13, 0x1f8
	v_cndmask_b32_e32 v13, 0x7fc00000, v14, vcc_lo
	v_fmaak_f32 v14, v26, v19, 0xbe2aaa9d
	v_cmp_ngt_f32_e32 vcc_lo, 0xc1880000, v4
	s_delay_alu instid0(VALU_DEP_3) | instskip(NEXT) | instid1(VALU_DEP_3)
	v_dual_add_f32 v19, v13, v13 :: v_dual_and_b32 v24, 0x80000000, v24
	v_dual_fmamk_f32 v25, v16, 0xbf317218, v11 :: v_dual_mul_f32 v14, v26, v14
	v_cndmask_b32_e32 v7, -1.0, v7, vcc_lo
	s_delay_alu instid0(VALU_DEP_3) | instskip(SKIP_1) | instid1(VALU_DEP_4)
	v_xor_b32_e32 v18, v24, v18
	v_cmp_class_f32_e64 vcc_lo, v5, 0x1f8
	v_dual_fmac_f32 v25, 0x3102e308, v16 :: v_dual_fmac_f32 v20, v20, v14
	v_fma_f32 v14, 0x3fb8aa3b, v11, -v17
	s_delay_alu instid0(VALU_DEP_4) | instskip(SKIP_1) | instid1(VALU_DEP_3)
	v_dual_sub_f32 v17, v17, v16 :: v_dual_cndmask_b32 v18, 0x7fc00000, v18
	v_dual_fmaak_f32 v24, s2, v26, 0xbab64f3b :: v_dual_mul_f32 v13, v13, v19
	v_fmac_f32_e32 v14, 0x32a5705f, v11
	v_fmaak_f32 v27, s1, v25, 0x3ab69700
	v_cmp_nlt_f32_e64 s1, 0x42b17218, v4
	s_delay_alu instid0(VALU_DEP_4) | instskip(SKIP_2) | instid1(VALU_DEP_4)
	v_fmaak_f32 v24, v26, v24, 0x3d2aabf7
	v_fma_f32 v13, v7, v18, -v13
	v_add_f32_e32 v14, v17, v14
	v_cndmask_b32_e64 v4, 0x7f800000, v6, s1
	v_fmaak_f32 v19, v25, v27, 0x3c0887f9
	v_lshlrev_b32_e32 v27, 30, v21
	v_and_b32_e32 v21, 1, v21
	v_exp_f32_e32 v14, v14
	s_delay_alu instid0(VALU_DEP_3) | instskip(NEXT) | instid1(VALU_DEP_2)
	v_fmaak_f32 v19, v25, v19, 0x3d2aaa81
	v_cmp_eq_u32_e64 s0, 0, v21
	v_lshlrev_b32_e32 v21, 30, v37
	s_delay_alu instid0(VALU_DEP_3) | instskip(NEXT) | instid1(VALU_DEP_1)
	v_fmaak_f32 v17, v25, v19, 0x3e2aaaab
	v_fma_f32 v17, v25, v17, 0.5
	s_delay_alu instid0(VALU_DEP_1) | instskip(SKIP_1) | instid1(VALU_DEP_2)
	v_mul_f32_e32 v6, v25, v17
	v_dual_fmaak_f32 v24, v26, v24, 0xbf000004 :: v_dual_lshlrev_b32 v17, 30, v42
	v_fmac_f32_e32 v25, v25, v6
	s_delay_alu instid0(VALU_DEP_2) | instskip(SKIP_1) | instid1(VALU_DEP_2)
	v_fma_f32 v24, v26, v24, 1.0
	v_and_b32_e32 v26, 0x80000000, v27
	v_cndmask_b32_e64 v19, v24, v20, s0
	v_cvt_i32_f32_e32 v20, v16
	s_delay_alu instid0(VALU_DEP_3) | instskip(SKIP_1) | instid1(VALU_DEP_3)
	v_xor_b32_e32 v15, v15, v26
	v_cmp_eq_f32_e64 s0, 0x43000000, v16
	v_ldexp_f32 v7, v14, v20
	s_delay_alu instid0(VALU_DEP_3) | instskip(NEXT) | instid1(VALU_DEP_3)
	v_xor3_b32 v5, v15, v19, v5
	v_cndmask_b32_e64 v16, v20, 0x7f, s0
	v_and_b32_e32 v20, 1, v42
	s_delay_alu instid0(VALU_DEP_2) | instskip(NEXT) | instid1(VALU_DEP_4)
	v_ldexp_f32 v15, 1.0, v16
	v_cndmask_b32_e32 v5, 0x7fc00000, v5, vcc_lo
	v_cmp_ngt_f32_e32 vcc_lo, 0xc2ce8ed0, v11
	s_delay_alu instid0(VALU_DEP_3) | instskip(NEXT) | instid1(VALU_DEP_3)
	v_add_f32_e32 v6, -1.0, v15
	v_mul_f32_e32 v14, v4, v5
	v_cndmask_b32_e32 v4, 0, v7, vcc_lo
	v_cmp_nlt_f32_e32 vcc_lo, 0x42b17218, v11
	v_mul_f32_e32 v16, v41, v41
	v_fmac_f32_e32 v6, v15, v25
	s_clause 0x2
	global_store_b64 v0, v[13:14], s[4:5]
	global_store_b64 v1, v[22:23], s[4:5]
	;; [unrolled: 1-line block ×3, first 2 shown]
	v_cndmask_b32_e32 v15, 0x7f800000, v4, vcc_lo
	v_dual_fmaak_f32 v7, s3, v16, 0x3c0881c4 :: v_dual_add_f32 v4, v6, v6
	v_fmaak_f32 v5, s2, v16, 0xbab64f3b
	s_delay_alu instid0(VALU_DEP_2) | instskip(NEXT) | instid1(VALU_DEP_3)
	v_fmaak_f32 v7, v16, v7, 0xbe2aaa9d
	v_cndmask_b32_e64 v4, v6, v4, s0
	v_and_b32_e32 v6, 0x80000000, v17
	s_delay_alu instid0(VALU_DEP_4) | instskip(SKIP_2) | instid1(VALU_DEP_1)
	v_fmaak_f32 v5, v16, v5, 0x3d2aabf7
	v_cmp_ngt_f32_e64 s0, 0xc1880000, v11
	v_mul_f32_e32 v7, v16, v7
	v_dual_mul_f32 v18, v36, v36 :: v_dual_fmac_f32 v41, v41, v7
	s_delay_alu instid0(VALU_DEP_1) | instskip(SKIP_1) | instid1(VALU_DEP_2)
	v_fmaak_f32 v17, s3, v18, 0x3c0881c4
	v_fmaak_f32 v5, v16, v5, 0xbf000004
	;; [unrolled: 1-line block ×3, first 2 shown]
	v_mul_f32_e32 v17, v46, v46
	v_fmaak_f32 v19, s2, v18, 0xbab64f3b
	s_delay_alu instid0(VALU_DEP_4) | instskip(NEXT) | instid1(VALU_DEP_3)
	v_fma_f32 v5, v16, v5, 1.0
	v_dual_mul_f32 v7, v18, v7 :: v_dual_fmaak_f32 v24, s3, v17, 0x3c0881c4
	v_fmaak_f32 v26, s2, v17, 0xbab64f3b
	s_delay_alu instid0(VALU_DEP_4) | instskip(SKIP_1) | instid1(VALU_DEP_4)
	v_fmaak_f32 v16, v18, v19, 0x3d2aabf7
	v_xor_b32_e32 v19, v32, v8
	v_fmac_f32_e32 v36, v36, v7
	s_delay_alu instid0(VALU_DEP_3) | instskip(NEXT) | instid1(VALU_DEP_1)
	v_fmaak_f32 v16, v18, v16, 0xbf000004
	v_fma_f32 v7, v18, v16, 1.0
	v_fmaak_f32 v16, v17, v24, 0xbe2aaa9d
	s_delay_alu instid0(VALU_DEP_1) | instskip(NEXT) | instid1(VALU_DEP_1)
	v_dual_mul_f32 v16, v17, v16 :: v_dual_and_b32 v25, 1, v37
	v_fmac_f32_e32 v46, v46, v16
	s_delay_alu instid0(VALU_DEP_2) | instskip(SKIP_4) | instid1(VALU_DEP_3)
	v_cmp_eq_u32_e32 vcc_lo, 0, v25
	v_and_b32_e32 v18, 0x80000000, v21
	v_dual_fmaak_f32 v21, v17, v26, 0x3d2aabf7 :: v_dual_and_b32 v16, 1, v47
	v_cndmask_b32_e32 v7, v7, v36, vcc_lo
	v_cmp_eq_u32_e32 vcc_lo, 0, v20
	v_dual_fmaak_f32 v20, v17, v21, 0xbf000004 :: v_dual_lshlrev_b32 v21, 30, v47
	s_delay_alu instid0(VALU_DEP_3) | instskip(SKIP_2) | instid1(VALU_DEP_4)
	v_xor3_b32 v7, v19, v18, v7
	v_cndmask_b32_e64 v5, -v41, v5, vcc_lo
	v_cmp_class_f32_e64 vcc_lo, v8, 0x1f8
	v_fma_f32 v17, v17, v20, 1.0
	v_and_b32_e32 v18, 0x80000000, v21
	s_delay_alu instid0(VALU_DEP_4) | instskip(SKIP_2) | instid1(VALU_DEP_4)
	v_xor_b32_e32 v5, v6, v5
	v_cndmask_b32_e32 v7, 0x7fc00000, v7, vcc_lo
	v_cmp_eq_u32_e32 vcc_lo, 0, v16
	v_xor_b32_e32 v16, v38, v18
	v_cndmask_b32_e32 v8, v17, v46, vcc_lo
	v_cmp_nlt_f32_e32 vcc_lo, 0x42b17217, v11
	s_delay_alu instid0(VALU_DEP_2) | instskip(SKIP_3) | instid1(VALU_DEP_3)
	v_xor3_b32 v8, v16, v8, v12
	v_cndmask_b32_e32 v4, 0x7f800000, v4, vcc_lo
	v_cmp_class_f32_e64 vcc_lo, v12, 0x1f8
	v_add_f32_e32 v6, v7, v7
	v_cndmask_b32_e64 v11, -1.0, v4, s0
	v_cndmask_b32_e32 v12, 0x7fc00000, v5, vcc_lo
	s_delay_alu instid0(VALU_DEP_3) | instskip(SKIP_1) | instid1(VALU_DEP_1)
	v_dual_mul_f32 v6, v7, v6 :: v_dual_cndmask_b32 v7, 0x7fc00000, v8
	v_add_co_u32 v4, s0, s4, v3
	v_add_co_ci_u32_e64 v5, null, s5, 0, s0
	s_delay_alu instid0(VALU_DEP_3) | instskip(NEXT) | instid1(VALU_DEP_4)
	v_fma_f32 v8, v11, v12, -v6
	v_mul_f32_e32 v6, v15, v7
	global_store_b32 v3, v8, s[4:5]
	s_or_b32 exec_lo, exec_lo, s9
	s_and_saveexec_b32 s0, s8
	s_cbranch_execnz .LBB141_214
.LBB141_117:
	s_nop 0
	s_sendmsg sendmsg(MSG_DEALLOC_VGPRS)
	s_endpgm
.LBB141_118:
	v_dual_mov_b32 v2, v3 :: v_dual_mov_b32 v1, 0
.LBB141_119:
	s_and_b32 s34, s34, 3
	s_delay_alu instid0(SALU_CYCLE_1)
	s_cmp_eq_u32 s34, 0
	s_cbranch_scc1 .LBB141_122
; %bb.120:
	s_lshl_b32 s2, s33, 3
	s_mul_i32 s4, s33, 12
	s_add_u32 s2, s2, s0
	s_addc_u32 s3, s1, 0
	s_add_u32 s2, s2, 0xc4
	s_addc_u32 s3, s3, 0
	;; [unrolled: 2-line block ×3, first 2 shown]
	.p2align	6
.LBB141_121:                            ; =>This Inner Loop Header: Depth=1
	s_clause 0x1
	s_load_b64 s[36:37], s[4:5], 0x4
	s_load_b32 s33, s[4:5], 0xc
	s_load_b64 s[38:39], s[2:3], 0x0
	s_add_u32 s4, s4, 12
	s_addc_u32 s5, s5, 0
	s_add_u32 s2, s2, 8
	s_addc_u32 s3, s3, 0
	s_add_i32 s34, s34, -1
	s_delay_alu instid0(SALU_CYCLE_1) | instskip(SKIP_2) | instid1(VALU_DEP_1)
	s_cmp_lg_u32 s34, 0
	s_waitcnt lgkmcnt(0)
	v_mul_hi_u32 v4, s37, v2
	v_add_nc_u32_e32 v4, v2, v4
	s_delay_alu instid0(VALU_DEP_1) | instskip(NEXT) | instid1(VALU_DEP_1)
	v_lshrrev_b32_e32 v7, s33, v4
	v_mul_lo_u32 v4, v7, s36
	s_delay_alu instid0(VALU_DEP_1) | instskip(NEXT) | instid1(VALU_DEP_1)
	v_sub_nc_u32_e32 v2, v2, v4
	v_mad_u64_u32 v[4:5], null, v2, s38, v[0:1]
	v_mad_u64_u32 v[5:6], null, v2, s39, v[1:2]
	v_mov_b32_e32 v2, v7
	s_delay_alu instid0(VALU_DEP_2)
	v_dual_mov_b32 v0, v4 :: v_dual_mov_b32 v1, v5
	s_cbranch_scc1 .LBB141_121
.LBB141_122:
	s_and_not1_b32 vcc_lo, exec_lo, s31
	s_cbranch_vccnz .LBB141_125
; %bb.123:
	s_waitcnt lgkmcnt(0)
	v_mul_hi_u32 v0, s17, v3
	s_and_not1_b32 vcc_lo, exec_lo, s26
	s_delay_alu instid0(VALU_DEP_1) | instskip(NEXT) | instid1(VALU_DEP_1)
	v_add_nc_u32_e32 v0, v3, v0
	v_lshrrev_b32_e32 v2, s18, v0
	s_delay_alu instid0(VALU_DEP_1) | instskip(NEXT) | instid1(VALU_DEP_1)
	v_mul_lo_u32 v0, v2, s16
	v_sub_nc_u32_e32 v1, v3, v0
	s_delay_alu instid0(VALU_DEP_1)
	v_mul_lo_u32 v0, v1, s12
	v_mul_lo_u32 v1, v1, s13
	s_cbranch_vccnz .LBB141_125
; %bb.124:
	v_mul_hi_u32 v4, s6, v2
	s_delay_alu instid0(VALU_DEP_1) | instskip(NEXT) | instid1(VALU_DEP_1)
	v_add_nc_u32_e32 v4, v2, v4
	v_lshrrev_b32_e32 v4, s7, v4
	s_delay_alu instid0(VALU_DEP_1) | instskip(NEXT) | instid1(VALU_DEP_1)
	v_mul_lo_u32 v4, v4, s19
	v_sub_nc_u32_e32 v2, v2, v4
	s_delay_alu instid0(VALU_DEP_1) | instskip(SKIP_1) | instid1(VALU_DEP_1)
	v_mad_u64_u32 v[4:5], null, v2, s14, v[0:1]
	v_mad_u64_u32 v[5:6], null, v2, s15, v[1:2]
	v_dual_mov_b32 v0, v4 :: v_dual_mov_b32 v1, v5
.LBB141_125:
	s_waitcnt lgkmcnt(0)
	global_load_b64 v[1:2], v1, s[10:11]
                                        ; implicit-def: $vgpr8
                                        ; implicit-def: $vgpr6
	s_mov_b32 s3, exec_lo
	s_waitcnt vmcnt(0)
	v_mul_f32_e32 v4, 0.5, v2
	s_delay_alu instid0(VALU_DEP_1)
	v_and_b32_e32 v5, 0x7fffffff, v4
	v_cmpx_ngt_f32_e64 0x48000000, |v4|
	s_xor_b32 s5, exec_lo, s3
	s_cbranch_execz .LBB141_127
; %bb.126:
	s_mov_b32 s2, 0x7fffff
	v_mov_b32_e32 v8, 0
	v_and_or_b32 v16, v5, s2, 0x800000
	v_lshrrev_b32_e32 v13, 23, v5
	s_delay_alu instid0(VALU_DEP_2) | instskip(NEXT) | instid1(VALU_DEP_2)
	v_mad_u64_u32 v[6:7], null, 0xfe5163ab, v16, 0
	v_add_nc_u32_e32 v14, 0xffffff88, v13
	s_delay_alu instid0(VALU_DEP_1) | instskip(NEXT) | instid1(VALU_DEP_3)
	v_cmp_lt_u32_e32 vcc_lo, 63, v14
	v_mad_u64_u32 v[9:10], null, 0x3c439041, v16, v[7:8]
	v_cndmask_b32_e64 v15, 0, 0xffffffc0, vcc_lo
	s_delay_alu instid0(VALU_DEP_2) | instskip(NEXT) | instid1(VALU_DEP_2)
	v_mov_b32_e32 v7, v10
	v_add_nc_u32_e32 v15, v15, v14
	s_delay_alu instid0(VALU_DEP_2) | instskip(NEXT) | instid1(VALU_DEP_2)
	v_mad_u64_u32 v[10:11], null, 0xdb629599, v16, v[7:8]
	v_cmp_lt_u32_e64 s2, 31, v15
	s_delay_alu instid0(VALU_DEP_1) | instskip(NEXT) | instid1(VALU_DEP_3)
	v_cndmask_b32_e64 v17, 0, 0xffffffe0, s2
	v_dual_mov_b32 v7, v11 :: v_dual_cndmask_b32 v6, v10, v6
	s_delay_alu instid0(VALU_DEP_2) | instskip(NEXT) | instid1(VALU_DEP_2)
	v_add_nc_u32_e32 v17, v17, v15
	v_mad_u64_u32 v[11:12], null, 0xf534ddc0, v16, v[7:8]
	s_delay_alu instid0(VALU_DEP_2) | instskip(NEXT) | instid1(VALU_DEP_2)
	v_cmp_lt_u32_e64 s3, 31, v17
	v_mov_b32_e32 v7, v12
	s_delay_alu instid0(VALU_DEP_3) | instskip(NEXT) | instid1(VALU_DEP_2)
	v_cndmask_b32_e32 v9, v11, v9, vcc_lo
	v_mad_u64_u32 v[12:13], null, 0xfc2757d1, v16, v[7:8]
	s_delay_alu instid0(VALU_DEP_2) | instskip(NEXT) | instid1(VALU_DEP_2)
	v_cndmask_b32_e64 v6, v9, v6, s2
	v_mov_b32_e32 v7, v13
	s_delay_alu instid0(VALU_DEP_1) | instskip(NEXT) | instid1(VALU_DEP_1)
	v_mad_u64_u32 v[13:14], null, 0x4e441529, v16, v[7:8]
	v_mov_b32_e32 v7, v14
	s_delay_alu instid0(VALU_DEP_1) | instskip(SKIP_1) | instid1(VALU_DEP_1)
	v_mad_u64_u32 v[14:15], null, 0xa2f9836e, v16, v[7:8]
	v_cndmask_b32_e64 v7, 0, 0xffffffe0, s3
	v_dual_cndmask_b32 v8, v13, v11 :: v_dual_add_nc_u32 v7, v7, v17
	s_delay_alu instid0(VALU_DEP_3) | instskip(NEXT) | instid1(VALU_DEP_4)
	v_cndmask_b32_e32 v14, v14, v12, vcc_lo
	v_dual_cndmask_b32 v12, v12, v10 :: v_dual_cndmask_b32 v13, v15, v13
	s_delay_alu instid0(VALU_DEP_3) | instskip(NEXT) | instid1(VALU_DEP_3)
	v_cmp_eq_u32_e64 s4, 0, v7
	v_cndmask_b32_e64 v11, v14, v8, s2
	s_delay_alu instid0(VALU_DEP_3) | instskip(NEXT) | instid1(VALU_DEP_4)
	v_cndmask_b32_e64 v8, v8, v12, s2
	v_cndmask_b32_e64 v13, v13, v14, s2
	v_sub_nc_u32_e32 v14, 32, v7
	v_cndmask_b32_e64 v12, v12, v9, s2
	s_delay_alu instid0(VALU_DEP_3) | instskip(SKIP_1) | instid1(VALU_DEP_3)
	v_cndmask_b32_e64 v13, v13, v11, s3
	v_cndmask_b32_e64 v11, v11, v8, s3
	;; [unrolled: 1-line block ×4, first 2 shown]
	s_delay_alu instid0(VALU_DEP_3) | instskip(NEXT) | instid1(VALU_DEP_3)
	v_alignbit_b32 v15, v13, v11, v14
	v_alignbit_b32 v16, v11, v8, v14
	s_delay_alu instid0(VALU_DEP_3) | instskip(NEXT) | instid1(VALU_DEP_3)
	v_alignbit_b32 v14, v8, v6, v14
	v_cndmask_b32_e64 v7, v15, v13, s4
	s_delay_alu instid0(VALU_DEP_3) | instskip(NEXT) | instid1(VALU_DEP_3)
	v_cndmask_b32_e64 v10, v16, v11, s4
	v_cndmask_b32_e64 v8, v14, v8, s4
	s_delay_alu instid0(VALU_DEP_3) | instskip(NEXT) | instid1(VALU_DEP_3)
	v_bfe_u32 v11, v7, 29, 1
	v_alignbit_b32 v9, v7, v10, 30
	s_delay_alu instid0(VALU_DEP_3) | instskip(SKIP_1) | instid1(VALU_DEP_4)
	v_alignbit_b32 v10, v10, v8, 30
	v_alignbit_b32 v6, v8, v6, 30
	v_sub_nc_u32_e32 v13, 0, v11
	s_delay_alu instid0(VALU_DEP_1) | instskip(SKIP_3) | instid1(VALU_DEP_4)
	v_xor_b32_e32 v12, v9, v13
	v_cmp_ne_u32_e32 vcc_lo, v9, v13
	v_xor_b32_e32 v8, v10, v13
	v_xor_b32_e32 v6, v6, v13
	v_clz_i32_u32_e32 v15, v12
	s_delay_alu instid0(VALU_DEP_1) | instskip(NEXT) | instid1(VALU_DEP_1)
	v_add_nc_u32_e32 v14, 1, v15
	v_cndmask_b32_e32 v9, 33, v14, vcc_lo
	s_delay_alu instid0(VALU_DEP_1) | instskip(NEXT) | instid1(VALU_DEP_1)
	v_sub_nc_u32_e32 v10, 32, v9
	v_alignbit_b32 v12, v12, v8, v10
	v_alignbit_b32 v6, v8, v6, v10
	v_lshrrev_b32_e32 v8, 29, v7
	v_lshrrev_b32_e32 v7, 30, v7
	s_delay_alu instid0(VALU_DEP_3) | instskip(NEXT) | instid1(VALU_DEP_3)
	v_alignbit_b32 v10, v12, v6, 9
	v_lshlrev_b32_e32 v8, 31, v8
	v_alignbit_b32 v12, v9, v12, 9
	s_delay_alu instid0(VALU_DEP_3) | instskip(NEXT) | instid1(VALU_DEP_2)
	v_clz_i32_u32_e32 v13, v10
	v_or_b32_e32 v12, v12, v8
	v_or_b32_e32 v8, 0x33800000, v8
	s_delay_alu instid0(VALU_DEP_3) | instskip(NEXT) | instid1(VALU_DEP_3)
	v_min_u32_e32 v13, 32, v13
	v_xor_b32_e32 v12, 1.0, v12
	s_delay_alu instid0(VALU_DEP_2) | instskip(SKIP_1) | instid1(VALU_DEP_3)
	v_sub_nc_u32_e32 v14, 31, v13
	v_add_lshl_u32 v9, v13, v9, 23
	v_mul_f32_e32 v13, 0x3fc90fda, v12
	s_delay_alu instid0(VALU_DEP_3) | instskip(NEXT) | instid1(VALU_DEP_3)
	v_alignbit_b32 v6, v10, v6, v14
	v_sub_nc_u32_e32 v8, v8, v9
	s_delay_alu instid0(VALU_DEP_3) | instskip(NEXT) | instid1(VALU_DEP_3)
	v_fma_f32 v9, 0x3fc90fda, v12, -v13
	v_lshrrev_b32_e32 v6, 9, v6
	s_delay_alu instid0(VALU_DEP_2) | instskip(NEXT) | instid1(VALU_DEP_2)
	v_fmamk_f32 v9, v12, 0x33a22168, v9
	v_or_b32_e32 v6, v8, v6
	s_delay_alu instid0(VALU_DEP_1) | instskip(NEXT) | instid1(VALU_DEP_1)
	v_dual_fmac_f32 v9, 0x3fc90fda, v6 :: v_dual_add_nc_u32 v8, v11, v7
	v_add_f32_e32 v6, v13, v9
.LBB141_127:
	s_and_not1_saveexec_b32 s2, s5
; %bb.128:
	v_mul_f32_e64 v6, 0x3f22f983, |v4|
	s_delay_alu instid0(VALU_DEP_1) | instskip(NEXT) | instid1(VALU_DEP_1)
	v_rndne_f32_e32 v7, v6
	v_fma_f32 v6, 0xbfc90fda, v7, |v4|
	v_cvt_i32_f32_e32 v8, v7
	s_delay_alu instid0(VALU_DEP_2) | instskip(NEXT) | instid1(VALU_DEP_1)
	v_fmamk_f32 v6, v7, 0xb3a22168, v6
	v_fmamk_f32 v6, v7, 0xa7c234c4, v6
; %bb.129:
	s_or_b32 exec_lo, exec_lo, s2
	v_and_b32_e32 v7, 0x7fffffff, v2
	v_cmp_ngt_f32_e64 s5, 0x48000000, |v2|
                                        ; implicit-def: $vgpr10
                                        ; implicit-def: $vgpr9
	s_delay_alu instid0(VALU_DEP_2) | instskip(NEXT) | instid1(VALU_DEP_2)
	v_lshrrev_b32_e32 v11, 23, v7
	s_and_saveexec_b32 s2, s5
	s_delay_alu instid0(SALU_CYCLE_1)
	s_xor_b32 s31, exec_lo, s2
	s_cbranch_execz .LBB141_131
; %bb.130:
	s_mov_b32 s2, 0x7fffff
	s_delay_alu instid0(SALU_CYCLE_1) | instskip(NEXT) | instid1(VALU_DEP_1)
	v_and_or_b32 v21, v7, s2, 0x800000
	v_mad_u64_u32 v[9:10], null, 0xfe5163ab, v21, 0
	s_delay_alu instid0(VALU_DEP_1) | instskip(SKIP_1) | instid1(VALU_DEP_2)
	v_dual_mov_b32 v13, 0 :: v_dual_mov_b32 v12, v10
	v_add_nc_u32_e32 v10, 0xffffff88, v11
	v_mad_u64_u32 v[14:15], null, 0x3c439041, v21, v[12:13]
	s_delay_alu instid0(VALU_DEP_2) | instskip(SKIP_1) | instid1(VALU_DEP_3)
	v_cmp_lt_u32_e32 vcc_lo, 63, v10
	v_cndmask_b32_e64 v19, 0, 0xffffffc0, vcc_lo
	v_mov_b32_e32 v12, v15
	s_delay_alu instid0(VALU_DEP_2) | instskip(NEXT) | instid1(VALU_DEP_2)
	v_add_nc_u32_e32 v10, v19, v10
	v_mad_u64_u32 v[15:16], null, 0xdb629599, v21, v[12:13]
	s_delay_alu instid0(VALU_DEP_2) | instskip(NEXT) | instid1(VALU_DEP_2)
	v_cmp_lt_u32_e64 s2, 31, v10
	v_mov_b32_e32 v12, v16
	s_delay_alu instid0(VALU_DEP_2) | instskip(NEXT) | instid1(VALU_DEP_4)
	v_cndmask_b32_e64 v20, 0, 0xffffffe0, s2
	v_cndmask_b32_e32 v9, v15, v9, vcc_lo
	s_delay_alu instid0(VALU_DEP_3) | instskip(NEXT) | instid1(VALU_DEP_3)
	v_mad_u64_u32 v[16:17], null, 0xf534ddc0, v21, v[12:13]
	v_add_nc_u32_e32 v10, v20, v10
	s_delay_alu instid0(VALU_DEP_1) | instskip(NEXT) | instid1(VALU_DEP_3)
	v_cmp_lt_u32_e64 s3, 31, v10
	v_mov_b32_e32 v12, v17
	s_delay_alu instid0(VALU_DEP_1) | instskip(NEXT) | instid1(VALU_DEP_1)
	v_mad_u64_u32 v[17:18], null, 0xfc2757d1, v21, v[12:13]
	v_mov_b32_e32 v12, v18
	s_delay_alu instid0(VALU_DEP_1) | instskip(NEXT) | instid1(VALU_DEP_1)
	v_mad_u64_u32 v[18:19], null, 0x4e441529, v21, v[12:13]
	v_mov_b32_e32 v12, v19
	s_delay_alu instid0(VALU_DEP_1) | instskip(SKIP_1) | instid1(VALU_DEP_1)
	v_mad_u64_u32 v[19:20], null, 0xa2f9836e, v21, v[12:13]
	v_cndmask_b32_e64 v12, 0, 0xffffffe0, s3
	v_dual_cndmask_b32 v13, v18, v16 :: v_dual_add_nc_u32 v10, v12, v10
	s_delay_alu instid0(VALU_DEP_3) | instskip(SKIP_1) | instid1(VALU_DEP_3)
	v_dual_cndmask_b32 v19, v19, v17 :: v_dual_cndmask_b32 v18, v20, v18
	v_dual_cndmask_b32 v17, v17, v15 :: v_dual_cndmask_b32 v12, v16, v14
	v_cmp_eq_u32_e64 s4, 0, v10
	s_delay_alu instid0(VALU_DEP_3) | instskip(NEXT) | instid1(VALU_DEP_4)
	v_cndmask_b32_e64 v14, v19, v13, s2
	v_cndmask_b32_e64 v16, v18, v19, s2
	s_delay_alu instid0(VALU_DEP_4)
	v_cndmask_b32_e64 v13, v13, v17, s2
	v_sub_nc_u32_e32 v18, 32, v10
	v_cndmask_b32_e64 v17, v17, v12, s2
	v_cndmask_b32_e64 v9, v12, v9, s2
	;; [unrolled: 1-line block ×4, first 2 shown]
	s_delay_alu instid0(VALU_DEP_4) | instskip(NEXT) | instid1(VALU_DEP_4)
	v_cndmask_b32_e64 v13, v13, v17, s3
	v_cndmask_b32_e64 v9, v17, v9, s3
	s_delay_alu instid0(VALU_DEP_3) | instskip(NEXT) | instid1(VALU_DEP_3)
	v_alignbit_b32 v19, v16, v14, v18
	v_alignbit_b32 v20, v14, v13, v18
	s_delay_alu instid0(VALU_DEP_3) | instskip(NEXT) | instid1(VALU_DEP_3)
	v_alignbit_b32 v18, v13, v9, v18
	v_cndmask_b32_e64 v10, v19, v16, s4
	s_delay_alu instid0(VALU_DEP_3) | instskip(NEXT) | instid1(VALU_DEP_3)
	v_cndmask_b32_e64 v14, v20, v14, s4
	v_cndmask_b32_e64 v13, v18, v13, s4
	s_delay_alu instid0(VALU_DEP_3) | instskip(NEXT) | instid1(VALU_DEP_3)
	v_bfe_u32 v15, v10, 29, 1
	v_alignbit_b32 v12, v10, v14, 30
	s_delay_alu instid0(VALU_DEP_3) | instskip(SKIP_1) | instid1(VALU_DEP_4)
	v_alignbit_b32 v14, v14, v13, 30
	v_alignbit_b32 v9, v13, v9, 30
	v_sub_nc_u32_e32 v16, 0, v15
	s_delay_alu instid0(VALU_DEP_1) | instskip(SKIP_3) | instid1(VALU_DEP_4)
	v_xor_b32_e32 v17, v12, v16
	v_cmp_ne_u32_e32 vcc_lo, v12, v16
	v_xor_b32_e32 v13, v14, v16
	v_xor_b32_e32 v9, v9, v16
	v_clz_i32_u32_e32 v19, v17
	s_delay_alu instid0(VALU_DEP_1) | instskip(NEXT) | instid1(VALU_DEP_1)
	v_add_nc_u32_e32 v18, 1, v19
	v_cndmask_b32_e32 v12, 33, v18, vcc_lo
	s_delay_alu instid0(VALU_DEP_1) | instskip(NEXT) | instid1(VALU_DEP_1)
	v_sub_nc_u32_e32 v14, 32, v12
	v_alignbit_b32 v16, v17, v13, v14
	v_alignbit_b32 v9, v13, v9, v14
	v_lshrrev_b32_e32 v13, 29, v10
	v_lshrrev_b32_e32 v10, 30, v10
	s_delay_alu instid0(VALU_DEP_3) | instskip(NEXT) | instid1(VALU_DEP_3)
	v_alignbit_b32 v14, v16, v9, 9
	v_lshlrev_b32_e32 v13, 31, v13
	v_alignbit_b32 v16, v12, v16, 9
	s_delay_alu instid0(VALU_DEP_4) | instskip(NEXT) | instid1(VALU_DEP_4)
	v_add_nc_u32_e32 v10, v15, v10
	v_clz_i32_u32_e32 v17, v14
	s_delay_alu instid0(VALU_DEP_3) | instskip(SKIP_1) | instid1(VALU_DEP_3)
	v_or_b32_e32 v16, v16, v13
	v_or_b32_e32 v13, 0x33800000, v13
	v_min_u32_e32 v17, 32, v17
	s_delay_alu instid0(VALU_DEP_3) | instskip(NEXT) | instid1(VALU_DEP_2)
	v_xor_b32_e32 v16, 1.0, v16
	v_sub_nc_u32_e32 v18, 31, v17
	v_add_lshl_u32 v12, v17, v12, 23
	s_delay_alu instid0(VALU_DEP_3) | instskip(NEXT) | instid1(VALU_DEP_3)
	v_mul_f32_e32 v17, 0x3fc90fda, v16
	v_alignbit_b32 v9, v14, v9, v18
	s_delay_alu instid0(VALU_DEP_3) | instskip(NEXT) | instid1(VALU_DEP_3)
	v_sub_nc_u32_e32 v12, v13, v12
	v_fma_f32 v13, 0x3fc90fda, v16, -v17
	s_delay_alu instid0(VALU_DEP_3) | instskip(NEXT) | instid1(VALU_DEP_2)
	v_lshrrev_b32_e32 v9, 9, v9
	v_fmamk_f32 v13, v16, 0x33a22168, v13
	s_delay_alu instid0(VALU_DEP_2) | instskip(NEXT) | instid1(VALU_DEP_1)
	v_or_b32_e32 v9, v12, v9
	v_fmac_f32_e32 v13, 0x3fc90fda, v9
	s_delay_alu instid0(VALU_DEP_1)
	v_add_f32_e32 v9, v17, v13
	s_or_saveexec_b32 s2, s31
	v_mul_f32_e64 v14, 0x3f22f983, |v2|
	s_xor_b32 exec_lo, exec_lo, s2
	s_branch .LBB141_132
.LBB141_131:
	s_or_saveexec_b32 s2, s31
	v_mul_f32_e64 v14, 0x3f22f983, |v2|
	s_xor_b32 exec_lo, exec_lo, s2
.LBB141_132:
	s_delay_alu instid0(VALU_DEP_1) | instskip(NEXT) | instid1(VALU_DEP_1)
	v_rndne_f32_e32 v10, v14
	v_fma_f32 v9, 0xbfc90fda, v10, |v2|
	s_delay_alu instid0(VALU_DEP_1) | instskip(NEXT) | instid1(VALU_DEP_1)
	v_fmamk_f32 v9, v10, 0xb3a22168, v9
	v_fmamk_f32 v9, v10, 0xa7c234c4, v9
	v_cvt_i32_f32_e32 v10, v10
; %bb.133:
	s_or_b32 exec_lo, exec_lo, s2
                                        ; implicit-def: $vgpr13
                                        ; implicit-def: $vgpr12
	s_and_saveexec_b32 s2, s5
	s_delay_alu instid0(SALU_CYCLE_1)
	s_xor_b32 s5, exec_lo, s2
	s_cbranch_execz .LBB141_135
; %bb.134:
	s_mov_b32 s2, 0x7fffff
	v_mov_b32_e32 v14, 0
	v_and_or_b32 v22, v7, s2, 0x800000
	s_delay_alu instid0(VALU_DEP_1) | instskip(NEXT) | instid1(VALU_DEP_1)
	v_mad_u64_u32 v[12:13], null, 0xfe5163ab, v22, 0
	v_mad_u64_u32 v[15:16], null, 0x3c439041, v22, v[13:14]
	s_delay_alu instid0(VALU_DEP_1) | instskip(NEXT) | instid1(VALU_DEP_1)
	v_mov_b32_e32 v13, v16
	v_mad_u64_u32 v[16:17], null, 0xdb629599, v22, v[13:14]
	v_add_nc_u32_e32 v11, 0xffffff88, v11
	s_delay_alu instid0(VALU_DEP_1) | instskip(NEXT) | instid1(VALU_DEP_3)
	v_cmp_lt_u32_e32 vcc_lo, 63, v11
	v_mov_b32_e32 v13, v17
	v_cndmask_b32_e64 v20, 0, 0xffffffc0, vcc_lo
	s_delay_alu instid0(VALU_DEP_2) | instskip(SKIP_1) | instid1(VALU_DEP_3)
	v_mad_u64_u32 v[17:18], null, 0xf534ddc0, v22, v[13:14]
	v_cndmask_b32_e32 v12, v16, v12, vcc_lo
	v_add_nc_u32_e32 v11, v20, v11
	s_delay_alu instid0(VALU_DEP_3) | instskip(NEXT) | instid1(VALU_DEP_2)
	v_mov_b32_e32 v13, v18
	v_cmp_lt_u32_e64 s2, 31, v11
	s_delay_alu instid0(VALU_DEP_2) | instskip(NEXT) | instid1(VALU_DEP_2)
	v_mad_u64_u32 v[18:19], null, 0xfc2757d1, v22, v[13:14]
	v_cndmask_b32_e64 v21, 0, 0xffffffe0, s2
	s_delay_alu instid0(VALU_DEP_1) | instskip(NEXT) | instid1(VALU_DEP_3)
	v_add_nc_u32_e32 v11, v21, v11
	v_mov_b32_e32 v13, v19
	s_delay_alu instid0(VALU_DEP_2) | instskip(NEXT) | instid1(VALU_DEP_2)
	v_cmp_lt_u32_e64 s3, 31, v11
	v_mad_u64_u32 v[19:20], null, 0x4e441529, v22, v[13:14]
	s_delay_alu instid0(VALU_DEP_1) | instskip(NEXT) | instid1(VALU_DEP_1)
	v_mov_b32_e32 v13, v20
	v_mad_u64_u32 v[20:21], null, 0xa2f9836e, v22, v[13:14]
	s_delay_alu instid0(VALU_DEP_4) | instskip(NEXT) | instid1(VALU_DEP_1)
	v_cndmask_b32_e64 v13, 0, 0xffffffe0, s3
	v_dual_cndmask_b32 v14, v19, v17 :: v_dual_add_nc_u32 v11, v13, v11
	s_delay_alu instid0(VALU_DEP_3) | instskip(SKIP_1) | instid1(VALU_DEP_3)
	v_dual_cndmask_b32 v20, v20, v18 :: v_dual_cndmask_b32 v19, v21, v19
	v_dual_cndmask_b32 v18, v18, v16 :: v_dual_cndmask_b32 v13, v17, v15
	v_cmp_eq_u32_e64 s4, 0, v11
	s_delay_alu instid0(VALU_DEP_3) | instskip(NEXT) | instid1(VALU_DEP_4)
	v_cndmask_b32_e64 v15, v20, v14, s2
	v_cndmask_b32_e64 v17, v19, v20, s2
	s_delay_alu instid0(VALU_DEP_4)
	v_cndmask_b32_e64 v14, v14, v18, s2
	v_sub_nc_u32_e32 v19, 32, v11
	v_cndmask_b32_e64 v18, v18, v13, s2
	v_cndmask_b32_e64 v12, v13, v12, s2
	v_cndmask_b32_e64 v17, v17, v15, s3
	v_cndmask_b32_e64 v15, v15, v14, s3
	s_delay_alu instid0(VALU_DEP_4) | instskip(NEXT) | instid1(VALU_DEP_4)
	v_cndmask_b32_e64 v14, v14, v18, s3
	v_cndmask_b32_e64 v12, v18, v12, s3
	s_delay_alu instid0(VALU_DEP_3) | instskip(NEXT) | instid1(VALU_DEP_3)
	v_alignbit_b32 v20, v17, v15, v19
	v_alignbit_b32 v21, v15, v14, v19
	s_delay_alu instid0(VALU_DEP_3) | instskip(NEXT) | instid1(VALU_DEP_3)
	v_alignbit_b32 v19, v14, v12, v19
	v_cndmask_b32_e64 v11, v20, v17, s4
	s_delay_alu instid0(VALU_DEP_3) | instskip(NEXT) | instid1(VALU_DEP_3)
	v_cndmask_b32_e64 v15, v21, v15, s4
	v_cndmask_b32_e64 v14, v19, v14, s4
	s_delay_alu instid0(VALU_DEP_3) | instskip(NEXT) | instid1(VALU_DEP_3)
	v_bfe_u32 v16, v11, 29, 1
	v_alignbit_b32 v13, v11, v15, 30
	s_delay_alu instid0(VALU_DEP_3) | instskip(SKIP_1) | instid1(VALU_DEP_4)
	v_alignbit_b32 v15, v15, v14, 30
	v_alignbit_b32 v12, v14, v12, 30
	v_sub_nc_u32_e32 v17, 0, v16
	s_delay_alu instid0(VALU_DEP_1) | instskip(SKIP_3) | instid1(VALU_DEP_4)
	v_xor_b32_e32 v18, v13, v17
	v_cmp_ne_u32_e32 vcc_lo, v13, v17
	v_xor_b32_e32 v14, v15, v17
	v_xor_b32_e32 v12, v12, v17
	v_clz_i32_u32_e32 v20, v18
	s_delay_alu instid0(VALU_DEP_1) | instskip(NEXT) | instid1(VALU_DEP_1)
	v_add_nc_u32_e32 v19, 1, v20
	v_cndmask_b32_e32 v13, 33, v19, vcc_lo
	s_delay_alu instid0(VALU_DEP_1) | instskip(NEXT) | instid1(VALU_DEP_1)
	v_sub_nc_u32_e32 v15, 32, v13
	v_alignbit_b32 v17, v18, v14, v15
	v_alignbit_b32 v12, v14, v12, v15
	v_lshrrev_b32_e32 v14, 29, v11
	v_lshrrev_b32_e32 v11, 30, v11
	s_delay_alu instid0(VALU_DEP_3) | instskip(NEXT) | instid1(VALU_DEP_3)
	v_alignbit_b32 v15, v17, v12, 9
	v_lshlrev_b32_e32 v14, 31, v14
	v_alignbit_b32 v17, v13, v17, 9
	s_delay_alu instid0(VALU_DEP_3) | instskip(NEXT) | instid1(VALU_DEP_2)
	v_clz_i32_u32_e32 v18, v15
	v_or_b32_e32 v17, v17, v14
	v_or_b32_e32 v14, 0x33800000, v14
	s_delay_alu instid0(VALU_DEP_3) | instskip(NEXT) | instid1(VALU_DEP_3)
	v_min_u32_e32 v18, 32, v18
	v_xor_b32_e32 v17, 1.0, v17
	s_delay_alu instid0(VALU_DEP_2) | instskip(SKIP_1) | instid1(VALU_DEP_3)
	v_sub_nc_u32_e32 v19, 31, v18
	v_add_lshl_u32 v13, v18, v13, 23
	v_mul_f32_e32 v18, 0x3fc90fda, v17
	s_delay_alu instid0(VALU_DEP_3) | instskip(NEXT) | instid1(VALU_DEP_3)
	v_alignbit_b32 v12, v15, v12, v19
	v_sub_nc_u32_e32 v13, v14, v13
	s_delay_alu instid0(VALU_DEP_3) | instskip(NEXT) | instid1(VALU_DEP_3)
	v_fma_f32 v14, 0x3fc90fda, v17, -v18
	v_lshrrev_b32_e32 v12, 9, v12
	s_delay_alu instid0(VALU_DEP_2) | instskip(NEXT) | instid1(VALU_DEP_2)
	v_fmamk_f32 v14, v17, 0x33a22168, v14
	v_or_b32_e32 v12, v13, v12
	s_delay_alu instid0(VALU_DEP_1) | instskip(NEXT) | instid1(VALU_DEP_1)
	v_dual_fmac_f32 v14, 0x3fc90fda, v12 :: v_dual_add_nc_u32 v13, v16, v11
	v_add_f32_e32 v12, v18, v14
                                        ; implicit-def: $vgpr14
	s_and_not1_saveexec_b32 s2, s5
	s_cbranch_execnz .LBB141_136
	s_branch .LBB141_137
.LBB141_135:
	s_and_not1_saveexec_b32 s2, s5
.LBB141_136:
	v_rndne_f32_e32 v11, v14
	s_delay_alu instid0(VALU_DEP_1) | instskip(SKIP_1) | instid1(VALU_DEP_2)
	v_fma_f32 v12, 0xbfc90fda, v11, |v2|
	v_cvt_i32_f32_e32 v13, v11
	v_fmamk_f32 v12, v11, 0xb3a22168, v12
	s_delay_alu instid0(VALU_DEP_1)
	v_fmamk_f32 v12, v11, 0xa7c234c4, v12
.LBB141_137:
	s_or_b32 exec_lo, exec_lo, s2
	v_dual_mul_f32 v11, 0x3fb8aa3b, v1 :: v_dual_lshlrev_b32 v14, 30, v10
	s_mov_b32 s2, 0x395133b1
	v_dual_mul_f32 v16, v9, v9 :: v_dual_mul_f32 v19, v6, v6
	s_delay_alu instid0(VALU_DEP_2)
	v_rndne_f32_e32 v15, v11
	v_and_b32_e32 v10, 1, v10
	s_mov_b32 s4, 0xb94c1982
	v_mul_f32_e32 v20, v12, v12
	v_fma_f32 v21, 0x3fb8aa3b, v1, -v11
	v_sub_f32_e32 v11, v11, v15
	v_dual_fmamk_f32 v17, v15, 0xbf317218, v1 :: v_dual_lshlrev_b32 v18, 30, v8
	v_dual_fmaak_f32 v25, s4, v19, 0x3c0881c4 :: v_dual_and_b32 v8, 1, v8
	v_cmp_eq_f32_e32 vcc_lo, 0x43000000, v15
	s_delay_alu instid0(VALU_DEP_3)
	v_fmamk_f32 v17, v15, 0x3102e308, v17
	v_cvt_i32_f32_e32 v29, v15
	s_mov_b32 s3, 0x37d75334
	v_fmaak_f32 v25, v19, v25, 0xbe2aaa9d
	v_and_b32_e32 v18, 0x80000000, v18
	v_fmaak_f32 v24, s2, v17, 0x3ab69700
	v_cndmask_b32_e64 v15, v29, 0x7f, vcc_lo
	s_delay_alu instid0(VALU_DEP_4) | instskip(SKIP_1) | instid1(VALU_DEP_4)
	v_dual_fmaak_f32 v28, s3, v20, 0xbab64f3b :: v_dual_mul_f32 v25, v19, v25
	v_fmamk_f32 v21, v1, 0x32a5705f, v21
	v_fmaak_f32 v24, v17, v24, 0x3c0887f9
	s_delay_alu instid0(VALU_DEP_4) | instskip(NEXT) | instid1(VALU_DEP_4)
	v_ldexp_f32 v15, 1.0, v15
	v_dual_fmaak_f32 v23, s4, v16, 0x3c0881c4 :: v_dual_fmac_f32 v6, v6, v25
	s_delay_alu instid0(VALU_DEP_4) | instskip(NEXT) | instid1(VALU_DEP_4)
	v_dual_add_f32 v11, v11, v21 :: v_dual_and_b32 v14, 0x80000000, v14
	v_fmaak_f32 v24, v17, v24, 0x3d2aaa81
	v_cmp_ngt_f32_e64 s2, 0xc2ce8ed0, v1
	v_xor_b32_e32 v5, v5, v4
	v_add_nc_u32_e32 v3, 0x80, v3
	v_exp_f32_e32 v11, v11
	v_fmaak_f32 v24, v17, v24, 0x3e2aaaab
	s_delay_alu instid0(VALU_DEP_1)
	v_fma_f32 v21, v17, v24, 0.5
	v_fmaak_f32 v22, s3, v16, 0xbab64f3b
	v_fmaak_f32 v24, v20, v28, 0x3d2aabf7
	v_add_f32_e32 v28, -1.0, v15
	s_waitcnt_depctr 0xfff
	v_ldexp_f32 v11, v11, v29
	v_dual_mul_f32 v21, v17, v21 :: v_dual_fmaak_f32 v26, s3, v19, 0xbab64f3b
	v_fmaak_f32 v22, v16, v22, 0x3d2aabf7
	v_fmaak_f32 v23, v16, v23, 0xbe2aaa9d
	s_delay_alu instid0(VALU_DEP_4) | instskip(NEXT) | instid1(VALU_DEP_4)
	v_cndmask_b32_e64 v11, 0, v11, s2
	v_fmac_f32_e32 v17, v17, v21
	v_fmaak_f32 v27, s4, v20, 0x3c0881c4
	v_cmp_eq_u32_e64 s2, 0, v8
	s_delay_alu instid0(VALU_DEP_3) | instskip(SKIP_1) | instid1(VALU_DEP_4)
	v_fmac_f32_e32 v28, v15, v17
	v_fmaak_f32 v26, v19, v26, 0x3d2aabf7
	v_fmaak_f32 v27, v20, v27, 0xbe2aaa9d
	s_delay_alu instid0(VALU_DEP_2) | instskip(NEXT) | instid1(VALU_DEP_2)
	v_dual_add_f32 v17, v28, v28 :: v_dual_fmaak_f32 v26, v19, v26, 0xbf000004
	v_mul_f32_e32 v21, v20, v27
	s_delay_alu instid0(VALU_DEP_2) | instskip(NEXT) | instid1(VALU_DEP_1)
	v_fma_f32 v15, v19, v26, 1.0
	v_cndmask_b32_e64 v6, v15, v6, s2
	v_cmp_nlt_f32_e64 s2, 0x42b17218, v1
	v_lshlrev_b32_e32 v15, 30, v13
	v_fmac_f32_e32 v12, v12, v21
	s_delay_alu instid0(VALU_DEP_4) | instskip(NEXT) | instid1(VALU_DEP_4)
	v_xor3_b32 v5, v5, v18, v6
	v_cndmask_b32_e64 v8, 0x7f800000, v11, s2
	v_cndmask_b32_e32 v11, v28, v17, vcc_lo
	v_cmp_eq_u32_e32 vcc_lo, 0, v10
	v_fmaak_f32 v10, v20, v24, 0xbf000004
	v_and_b32_e32 v6, 1, v13
	v_and_b32_e32 v13, 0x80000000, v15
	v_mul_f32_e32 v23, v16, v23
	v_cmp_ngt_f32_e64 s2, 0xc1880000, v1
	v_fma_f32 v10, v20, v10, 1.0
	s_delay_alu instid0(VALU_DEP_3) | instskip(NEXT) | instid1(VALU_DEP_1)
	v_dual_fmaak_f32 v22, v16, v22, 0xbf000004 :: v_dual_fmac_f32 v9, v9, v23
	v_fma_f32 v16, v16, v22, 1.0
	s_delay_alu instid0(VALU_DEP_1) | instskip(SKIP_1) | instid1(VALU_DEP_2)
	v_cndmask_b32_e64 v9, -v9, v16, vcc_lo
	v_cmp_class_f32_e64 vcc_lo, v4, 0x1f8
	v_xor_b32_e32 v9, v14, v9
	v_cndmask_b32_e32 v4, 0x7fc00000, v5, vcc_lo
	v_cmp_eq_u32_e32 vcc_lo, 0, v6
	v_xor_b32_e32 v6, v7, v13
	v_cndmask_b32_e32 v5, v10, v12, vcc_lo
	v_cmp_nlt_f32_e32 vcc_lo, 0x42b17217, v1
	v_dual_add_f32 v10, v4, v4 :: v_dual_cndmask_b32 v7, 0x7f800000, v11
	s_delay_alu instid0(VALU_DEP_1) | instskip(SKIP_2) | instid1(VALU_DEP_4)
	v_mul_f32_e32 v4, v4, v10
	v_cmp_class_f32_e64 vcc_lo, v2, 0x1f8
	v_xor3_b32 v2, v6, v5, v2
	v_cndmask_b32_e64 v1, -1.0, v7, s2
	s_delay_alu instid0(VALU_DEP_2) | instskip(NEXT) | instid1(VALU_DEP_1)
	v_cndmask_b32_e32 v2, 0x7fc00000, v2, vcc_lo
	v_dual_cndmask_b32 v5, 0x7fc00000, v9 :: v_dual_mul_f32 v2, v8, v2
	s_delay_alu instid0(VALU_DEP_1) | instskip(SKIP_2) | instid1(SALU_CYCLE_1)
	v_fma_f32 v1, v1, v5, -v4
	global_store_b64 v0, v[1:2], s[8:9]
	s_or_b32 exec_lo, exec_lo, s30
	s_mov_b32 s30, exec_lo
	v_cmpx_gt_i32_e64 s27, v3
	s_cbranch_execnz .LBB141_15
.LBB141_138:
	s_or_b32 exec_lo, exec_lo, s30
	s_delay_alu instid0(SALU_CYCLE_1)
	s_mov_b32 s30, exec_lo
	v_cmpx_gt_i32_e64 s27, v3
	s_cbranch_execnz .LBB141_159
	s_branch .LBB141_185
.LBB141_139:
	v_dual_mov_b32 v2, v3 :: v_dual_mov_b32 v1, 0
.LBB141_140:
	s_and_b32 s34, s34, 3
	s_delay_alu instid0(SALU_CYCLE_1)
	s_cmp_eq_u32 s34, 0
	s_cbranch_scc1 .LBB141_143
; %bb.141:
	s_lshl_b32 s2, s33, 3
	s_mul_i32 s4, s33, 12
	s_add_u32 s2, s2, s0
	s_addc_u32 s3, s1, 0
	s_add_u32 s2, s2, 0xc4
	s_addc_u32 s3, s3, 0
	;; [unrolled: 2-line block ×3, first 2 shown]
	.p2align	6
.LBB141_142:                            ; =>This Inner Loop Header: Depth=1
	s_clause 0x1
	s_load_b64 s[36:37], s[4:5], 0x4
	s_load_b32 s33, s[4:5], 0xc
	s_load_b64 s[38:39], s[2:3], 0x0
	s_add_u32 s4, s4, 12
	s_addc_u32 s5, s5, 0
	s_add_u32 s2, s2, 8
	s_addc_u32 s3, s3, 0
	s_add_i32 s34, s34, -1
	s_delay_alu instid0(SALU_CYCLE_1) | instskip(SKIP_2) | instid1(VALU_DEP_1)
	s_cmp_lg_u32 s34, 0
	s_waitcnt lgkmcnt(0)
	v_mul_hi_u32 v4, s37, v2
	v_add_nc_u32_e32 v4, v2, v4
	s_delay_alu instid0(VALU_DEP_1) | instskip(NEXT) | instid1(VALU_DEP_1)
	v_lshrrev_b32_e32 v7, s33, v4
	v_mul_lo_u32 v4, v7, s36
	s_delay_alu instid0(VALU_DEP_1) | instskip(NEXT) | instid1(VALU_DEP_1)
	v_sub_nc_u32_e32 v2, v2, v4
	v_mad_u64_u32 v[4:5], null, v2, s38, v[0:1]
	v_mad_u64_u32 v[5:6], null, v2, s39, v[1:2]
	v_mov_b32_e32 v2, v7
	s_delay_alu instid0(VALU_DEP_2)
	v_dual_mov_b32 v0, v4 :: v_dual_mov_b32 v1, v5
	s_cbranch_scc1 .LBB141_142
.LBB141_143:
	s_and_not1_b32 vcc_lo, exec_lo, s31
	s_cbranch_vccnz .LBB141_146
; %bb.144:
	s_waitcnt lgkmcnt(0)
	v_mul_hi_u32 v0, s17, v3
	s_and_not1_b32 vcc_lo, exec_lo, s26
	s_delay_alu instid0(VALU_DEP_1) | instskip(NEXT) | instid1(VALU_DEP_1)
	v_add_nc_u32_e32 v0, v3, v0
	v_lshrrev_b32_e32 v2, s18, v0
	s_delay_alu instid0(VALU_DEP_1) | instskip(NEXT) | instid1(VALU_DEP_1)
	v_mul_lo_u32 v0, v2, s16
	v_sub_nc_u32_e32 v1, v3, v0
	s_delay_alu instid0(VALU_DEP_1)
	v_mul_lo_u32 v0, v1, s12
	v_mul_lo_u32 v1, v1, s13
	s_cbranch_vccnz .LBB141_146
; %bb.145:
	v_mul_hi_u32 v4, s6, v2
	s_delay_alu instid0(VALU_DEP_1) | instskip(NEXT) | instid1(VALU_DEP_1)
	v_add_nc_u32_e32 v4, v2, v4
	v_lshrrev_b32_e32 v4, s7, v4
	s_delay_alu instid0(VALU_DEP_1) | instskip(NEXT) | instid1(VALU_DEP_1)
	v_mul_lo_u32 v4, v4, s19
	v_sub_nc_u32_e32 v2, v2, v4
	s_delay_alu instid0(VALU_DEP_1) | instskip(SKIP_1) | instid1(VALU_DEP_1)
	v_mad_u64_u32 v[4:5], null, v2, s14, v[0:1]
	v_mad_u64_u32 v[5:6], null, v2, s15, v[1:2]
	v_dual_mov_b32 v0, v4 :: v_dual_mov_b32 v1, v5
.LBB141_146:
	s_waitcnt lgkmcnt(0)
	global_load_b64 v[1:2], v1, s[10:11]
                                        ; implicit-def: $vgpr8
                                        ; implicit-def: $vgpr6
	s_mov_b32 s3, exec_lo
	s_waitcnt vmcnt(0)
	v_mul_f32_e32 v4, 0.5, v2
	s_delay_alu instid0(VALU_DEP_1)
	v_and_b32_e32 v5, 0x7fffffff, v4
	v_cmpx_ngt_f32_e64 0x48000000, |v4|
	s_xor_b32 s5, exec_lo, s3
	s_cbranch_execz .LBB141_148
; %bb.147:
	s_mov_b32 s2, 0x7fffff
	v_mov_b32_e32 v8, 0
	v_and_or_b32 v16, v5, s2, 0x800000
	v_lshrrev_b32_e32 v13, 23, v5
	s_delay_alu instid0(VALU_DEP_2) | instskip(NEXT) | instid1(VALU_DEP_2)
	v_mad_u64_u32 v[6:7], null, 0xfe5163ab, v16, 0
	v_add_nc_u32_e32 v14, 0xffffff88, v13
	s_delay_alu instid0(VALU_DEP_1) | instskip(NEXT) | instid1(VALU_DEP_3)
	v_cmp_lt_u32_e32 vcc_lo, 63, v14
	v_mad_u64_u32 v[9:10], null, 0x3c439041, v16, v[7:8]
	v_cndmask_b32_e64 v15, 0, 0xffffffc0, vcc_lo
	s_delay_alu instid0(VALU_DEP_2) | instskip(NEXT) | instid1(VALU_DEP_2)
	v_mov_b32_e32 v7, v10
	v_add_nc_u32_e32 v15, v15, v14
	s_delay_alu instid0(VALU_DEP_2) | instskip(NEXT) | instid1(VALU_DEP_2)
	v_mad_u64_u32 v[10:11], null, 0xdb629599, v16, v[7:8]
	v_cmp_lt_u32_e64 s2, 31, v15
	s_delay_alu instid0(VALU_DEP_1) | instskip(NEXT) | instid1(VALU_DEP_3)
	v_cndmask_b32_e64 v17, 0, 0xffffffe0, s2
	v_dual_mov_b32 v7, v11 :: v_dual_cndmask_b32 v6, v10, v6
	s_delay_alu instid0(VALU_DEP_2) | instskip(NEXT) | instid1(VALU_DEP_2)
	v_add_nc_u32_e32 v17, v17, v15
	v_mad_u64_u32 v[11:12], null, 0xf534ddc0, v16, v[7:8]
	s_delay_alu instid0(VALU_DEP_2) | instskip(NEXT) | instid1(VALU_DEP_2)
	v_cmp_lt_u32_e64 s3, 31, v17
	v_mov_b32_e32 v7, v12
	s_delay_alu instid0(VALU_DEP_3) | instskip(NEXT) | instid1(VALU_DEP_2)
	v_cndmask_b32_e32 v9, v11, v9, vcc_lo
	v_mad_u64_u32 v[12:13], null, 0xfc2757d1, v16, v[7:8]
	s_delay_alu instid0(VALU_DEP_2) | instskip(NEXT) | instid1(VALU_DEP_2)
	v_cndmask_b32_e64 v6, v9, v6, s2
	v_mov_b32_e32 v7, v13
	s_delay_alu instid0(VALU_DEP_1) | instskip(NEXT) | instid1(VALU_DEP_1)
	v_mad_u64_u32 v[13:14], null, 0x4e441529, v16, v[7:8]
	v_mov_b32_e32 v7, v14
	s_delay_alu instid0(VALU_DEP_1) | instskip(SKIP_1) | instid1(VALU_DEP_1)
	v_mad_u64_u32 v[14:15], null, 0xa2f9836e, v16, v[7:8]
	v_cndmask_b32_e64 v7, 0, 0xffffffe0, s3
	v_dual_cndmask_b32 v8, v13, v11 :: v_dual_add_nc_u32 v7, v7, v17
	s_delay_alu instid0(VALU_DEP_3) | instskip(NEXT) | instid1(VALU_DEP_4)
	v_cndmask_b32_e32 v14, v14, v12, vcc_lo
	v_dual_cndmask_b32 v12, v12, v10 :: v_dual_cndmask_b32 v13, v15, v13
	s_delay_alu instid0(VALU_DEP_3) | instskip(NEXT) | instid1(VALU_DEP_3)
	v_cmp_eq_u32_e64 s4, 0, v7
	v_cndmask_b32_e64 v11, v14, v8, s2
	s_delay_alu instid0(VALU_DEP_3) | instskip(NEXT) | instid1(VALU_DEP_4)
	v_cndmask_b32_e64 v8, v8, v12, s2
	v_cndmask_b32_e64 v13, v13, v14, s2
	v_sub_nc_u32_e32 v14, 32, v7
	v_cndmask_b32_e64 v12, v12, v9, s2
	s_delay_alu instid0(VALU_DEP_3) | instskip(SKIP_1) | instid1(VALU_DEP_3)
	v_cndmask_b32_e64 v13, v13, v11, s3
	v_cndmask_b32_e64 v11, v11, v8, s3
	;; [unrolled: 1-line block ×4, first 2 shown]
	s_delay_alu instid0(VALU_DEP_3) | instskip(NEXT) | instid1(VALU_DEP_3)
	v_alignbit_b32 v15, v13, v11, v14
	v_alignbit_b32 v16, v11, v8, v14
	s_delay_alu instid0(VALU_DEP_3) | instskip(NEXT) | instid1(VALU_DEP_3)
	v_alignbit_b32 v14, v8, v6, v14
	v_cndmask_b32_e64 v7, v15, v13, s4
	s_delay_alu instid0(VALU_DEP_3) | instskip(NEXT) | instid1(VALU_DEP_3)
	v_cndmask_b32_e64 v10, v16, v11, s4
	v_cndmask_b32_e64 v8, v14, v8, s4
	s_delay_alu instid0(VALU_DEP_3) | instskip(NEXT) | instid1(VALU_DEP_3)
	v_bfe_u32 v11, v7, 29, 1
	v_alignbit_b32 v9, v7, v10, 30
	s_delay_alu instid0(VALU_DEP_3) | instskip(SKIP_1) | instid1(VALU_DEP_4)
	v_alignbit_b32 v10, v10, v8, 30
	v_alignbit_b32 v6, v8, v6, 30
	v_sub_nc_u32_e32 v13, 0, v11
	s_delay_alu instid0(VALU_DEP_1) | instskip(SKIP_3) | instid1(VALU_DEP_4)
	v_xor_b32_e32 v12, v9, v13
	v_cmp_ne_u32_e32 vcc_lo, v9, v13
	v_xor_b32_e32 v8, v10, v13
	v_xor_b32_e32 v6, v6, v13
	v_clz_i32_u32_e32 v15, v12
	s_delay_alu instid0(VALU_DEP_1) | instskip(NEXT) | instid1(VALU_DEP_1)
	v_add_nc_u32_e32 v14, 1, v15
	v_cndmask_b32_e32 v9, 33, v14, vcc_lo
	s_delay_alu instid0(VALU_DEP_1) | instskip(NEXT) | instid1(VALU_DEP_1)
	v_sub_nc_u32_e32 v10, 32, v9
	v_alignbit_b32 v12, v12, v8, v10
	v_alignbit_b32 v6, v8, v6, v10
	v_lshrrev_b32_e32 v8, 29, v7
	v_lshrrev_b32_e32 v7, 30, v7
	s_delay_alu instid0(VALU_DEP_3) | instskip(NEXT) | instid1(VALU_DEP_3)
	v_alignbit_b32 v10, v12, v6, 9
	v_lshlrev_b32_e32 v8, 31, v8
	v_alignbit_b32 v12, v9, v12, 9
	s_delay_alu instid0(VALU_DEP_3) | instskip(NEXT) | instid1(VALU_DEP_2)
	v_clz_i32_u32_e32 v13, v10
	v_or_b32_e32 v12, v12, v8
	v_or_b32_e32 v8, 0x33800000, v8
	s_delay_alu instid0(VALU_DEP_3) | instskip(NEXT) | instid1(VALU_DEP_3)
	v_min_u32_e32 v13, 32, v13
	v_xor_b32_e32 v12, 1.0, v12
	s_delay_alu instid0(VALU_DEP_2) | instskip(SKIP_1) | instid1(VALU_DEP_3)
	v_sub_nc_u32_e32 v14, 31, v13
	v_add_lshl_u32 v9, v13, v9, 23
	v_mul_f32_e32 v13, 0x3fc90fda, v12
	s_delay_alu instid0(VALU_DEP_3) | instskip(NEXT) | instid1(VALU_DEP_3)
	v_alignbit_b32 v6, v10, v6, v14
	v_sub_nc_u32_e32 v8, v8, v9
	s_delay_alu instid0(VALU_DEP_3) | instskip(NEXT) | instid1(VALU_DEP_3)
	v_fma_f32 v9, 0x3fc90fda, v12, -v13
	v_lshrrev_b32_e32 v6, 9, v6
	s_delay_alu instid0(VALU_DEP_2) | instskip(NEXT) | instid1(VALU_DEP_2)
	v_fmamk_f32 v9, v12, 0x33a22168, v9
	v_or_b32_e32 v6, v8, v6
	s_delay_alu instid0(VALU_DEP_1) | instskip(NEXT) | instid1(VALU_DEP_1)
	v_dual_fmac_f32 v9, 0x3fc90fda, v6 :: v_dual_add_nc_u32 v8, v11, v7
	v_add_f32_e32 v6, v13, v9
.LBB141_148:
	s_and_not1_saveexec_b32 s2, s5
; %bb.149:
	v_mul_f32_e64 v6, 0x3f22f983, |v4|
	s_delay_alu instid0(VALU_DEP_1) | instskip(NEXT) | instid1(VALU_DEP_1)
	v_rndne_f32_e32 v7, v6
	v_fma_f32 v6, 0xbfc90fda, v7, |v4|
	v_cvt_i32_f32_e32 v8, v7
	s_delay_alu instid0(VALU_DEP_2) | instskip(NEXT) | instid1(VALU_DEP_1)
	v_fmamk_f32 v6, v7, 0xb3a22168, v6
	v_fmamk_f32 v6, v7, 0xa7c234c4, v6
; %bb.150:
	s_or_b32 exec_lo, exec_lo, s2
	v_and_b32_e32 v7, 0x7fffffff, v2
	v_cmp_ngt_f32_e64 s5, 0x48000000, |v2|
                                        ; implicit-def: $vgpr10
                                        ; implicit-def: $vgpr9
	s_delay_alu instid0(VALU_DEP_2) | instskip(NEXT) | instid1(VALU_DEP_2)
	v_lshrrev_b32_e32 v11, 23, v7
	s_and_saveexec_b32 s2, s5
	s_delay_alu instid0(SALU_CYCLE_1)
	s_xor_b32 s31, exec_lo, s2
	s_cbranch_execz .LBB141_152
; %bb.151:
	s_mov_b32 s2, 0x7fffff
	s_delay_alu instid0(SALU_CYCLE_1) | instskip(NEXT) | instid1(VALU_DEP_1)
	v_and_or_b32 v21, v7, s2, 0x800000
	v_mad_u64_u32 v[9:10], null, 0xfe5163ab, v21, 0
	s_delay_alu instid0(VALU_DEP_1) | instskip(SKIP_1) | instid1(VALU_DEP_2)
	v_dual_mov_b32 v13, 0 :: v_dual_mov_b32 v12, v10
	v_add_nc_u32_e32 v10, 0xffffff88, v11
	v_mad_u64_u32 v[14:15], null, 0x3c439041, v21, v[12:13]
	s_delay_alu instid0(VALU_DEP_2) | instskip(SKIP_1) | instid1(VALU_DEP_3)
	v_cmp_lt_u32_e32 vcc_lo, 63, v10
	v_cndmask_b32_e64 v19, 0, 0xffffffc0, vcc_lo
	v_mov_b32_e32 v12, v15
	s_delay_alu instid0(VALU_DEP_2) | instskip(NEXT) | instid1(VALU_DEP_2)
	v_add_nc_u32_e32 v10, v19, v10
	v_mad_u64_u32 v[15:16], null, 0xdb629599, v21, v[12:13]
	s_delay_alu instid0(VALU_DEP_2) | instskip(NEXT) | instid1(VALU_DEP_2)
	v_cmp_lt_u32_e64 s2, 31, v10
	v_mov_b32_e32 v12, v16
	s_delay_alu instid0(VALU_DEP_2) | instskip(NEXT) | instid1(VALU_DEP_4)
	v_cndmask_b32_e64 v20, 0, 0xffffffe0, s2
	v_cndmask_b32_e32 v9, v15, v9, vcc_lo
	s_delay_alu instid0(VALU_DEP_3) | instskip(NEXT) | instid1(VALU_DEP_3)
	v_mad_u64_u32 v[16:17], null, 0xf534ddc0, v21, v[12:13]
	v_add_nc_u32_e32 v10, v20, v10
	s_delay_alu instid0(VALU_DEP_1) | instskip(NEXT) | instid1(VALU_DEP_3)
	v_cmp_lt_u32_e64 s3, 31, v10
	v_mov_b32_e32 v12, v17
	s_delay_alu instid0(VALU_DEP_1) | instskip(NEXT) | instid1(VALU_DEP_1)
	v_mad_u64_u32 v[17:18], null, 0xfc2757d1, v21, v[12:13]
	v_mov_b32_e32 v12, v18
	s_delay_alu instid0(VALU_DEP_1) | instskip(NEXT) | instid1(VALU_DEP_1)
	v_mad_u64_u32 v[18:19], null, 0x4e441529, v21, v[12:13]
	v_mov_b32_e32 v12, v19
	s_delay_alu instid0(VALU_DEP_1) | instskip(SKIP_1) | instid1(VALU_DEP_1)
	v_mad_u64_u32 v[19:20], null, 0xa2f9836e, v21, v[12:13]
	v_cndmask_b32_e64 v12, 0, 0xffffffe0, s3
	v_dual_cndmask_b32 v13, v18, v16 :: v_dual_add_nc_u32 v10, v12, v10
	s_delay_alu instid0(VALU_DEP_3) | instskip(SKIP_1) | instid1(VALU_DEP_3)
	v_dual_cndmask_b32 v19, v19, v17 :: v_dual_cndmask_b32 v18, v20, v18
	v_dual_cndmask_b32 v17, v17, v15 :: v_dual_cndmask_b32 v12, v16, v14
	v_cmp_eq_u32_e64 s4, 0, v10
	s_delay_alu instid0(VALU_DEP_3) | instskip(NEXT) | instid1(VALU_DEP_4)
	v_cndmask_b32_e64 v14, v19, v13, s2
	v_cndmask_b32_e64 v16, v18, v19, s2
	s_delay_alu instid0(VALU_DEP_4)
	v_cndmask_b32_e64 v13, v13, v17, s2
	v_sub_nc_u32_e32 v18, 32, v10
	v_cndmask_b32_e64 v17, v17, v12, s2
	v_cndmask_b32_e64 v9, v12, v9, s2
	;; [unrolled: 1-line block ×4, first 2 shown]
	s_delay_alu instid0(VALU_DEP_4) | instskip(NEXT) | instid1(VALU_DEP_4)
	v_cndmask_b32_e64 v13, v13, v17, s3
	v_cndmask_b32_e64 v9, v17, v9, s3
	s_delay_alu instid0(VALU_DEP_3) | instskip(NEXT) | instid1(VALU_DEP_3)
	v_alignbit_b32 v19, v16, v14, v18
	v_alignbit_b32 v20, v14, v13, v18
	s_delay_alu instid0(VALU_DEP_3) | instskip(NEXT) | instid1(VALU_DEP_3)
	v_alignbit_b32 v18, v13, v9, v18
	v_cndmask_b32_e64 v10, v19, v16, s4
	s_delay_alu instid0(VALU_DEP_3) | instskip(NEXT) | instid1(VALU_DEP_3)
	v_cndmask_b32_e64 v14, v20, v14, s4
	v_cndmask_b32_e64 v13, v18, v13, s4
	s_delay_alu instid0(VALU_DEP_3) | instskip(NEXT) | instid1(VALU_DEP_3)
	v_bfe_u32 v15, v10, 29, 1
	v_alignbit_b32 v12, v10, v14, 30
	s_delay_alu instid0(VALU_DEP_3) | instskip(SKIP_1) | instid1(VALU_DEP_4)
	v_alignbit_b32 v14, v14, v13, 30
	v_alignbit_b32 v9, v13, v9, 30
	v_sub_nc_u32_e32 v16, 0, v15
	s_delay_alu instid0(VALU_DEP_1) | instskip(SKIP_3) | instid1(VALU_DEP_4)
	v_xor_b32_e32 v17, v12, v16
	v_cmp_ne_u32_e32 vcc_lo, v12, v16
	v_xor_b32_e32 v13, v14, v16
	v_xor_b32_e32 v9, v9, v16
	v_clz_i32_u32_e32 v19, v17
	s_delay_alu instid0(VALU_DEP_1) | instskip(NEXT) | instid1(VALU_DEP_1)
	v_add_nc_u32_e32 v18, 1, v19
	v_cndmask_b32_e32 v12, 33, v18, vcc_lo
	s_delay_alu instid0(VALU_DEP_1) | instskip(NEXT) | instid1(VALU_DEP_1)
	v_sub_nc_u32_e32 v14, 32, v12
	v_alignbit_b32 v16, v17, v13, v14
	v_alignbit_b32 v9, v13, v9, v14
	v_lshrrev_b32_e32 v13, 29, v10
	v_lshrrev_b32_e32 v10, 30, v10
	s_delay_alu instid0(VALU_DEP_3) | instskip(NEXT) | instid1(VALU_DEP_3)
	v_alignbit_b32 v14, v16, v9, 9
	v_lshlrev_b32_e32 v13, 31, v13
	v_alignbit_b32 v16, v12, v16, 9
	s_delay_alu instid0(VALU_DEP_4) | instskip(NEXT) | instid1(VALU_DEP_4)
	v_add_nc_u32_e32 v10, v15, v10
	v_clz_i32_u32_e32 v17, v14
	s_delay_alu instid0(VALU_DEP_3) | instskip(SKIP_1) | instid1(VALU_DEP_3)
	v_or_b32_e32 v16, v16, v13
	v_or_b32_e32 v13, 0x33800000, v13
	v_min_u32_e32 v17, 32, v17
	s_delay_alu instid0(VALU_DEP_3) | instskip(NEXT) | instid1(VALU_DEP_2)
	v_xor_b32_e32 v16, 1.0, v16
	v_sub_nc_u32_e32 v18, 31, v17
	v_add_lshl_u32 v12, v17, v12, 23
	s_delay_alu instid0(VALU_DEP_3) | instskip(NEXT) | instid1(VALU_DEP_3)
	v_mul_f32_e32 v17, 0x3fc90fda, v16
	v_alignbit_b32 v9, v14, v9, v18
	s_delay_alu instid0(VALU_DEP_3) | instskip(NEXT) | instid1(VALU_DEP_3)
	v_sub_nc_u32_e32 v12, v13, v12
	v_fma_f32 v13, 0x3fc90fda, v16, -v17
	s_delay_alu instid0(VALU_DEP_3) | instskip(NEXT) | instid1(VALU_DEP_2)
	v_lshrrev_b32_e32 v9, 9, v9
	v_fmamk_f32 v13, v16, 0x33a22168, v13
	s_delay_alu instid0(VALU_DEP_2) | instskip(NEXT) | instid1(VALU_DEP_1)
	v_or_b32_e32 v9, v12, v9
	v_fmac_f32_e32 v13, 0x3fc90fda, v9
	s_delay_alu instid0(VALU_DEP_1)
	v_add_f32_e32 v9, v17, v13
	s_or_saveexec_b32 s2, s31
	v_mul_f32_e64 v14, 0x3f22f983, |v2|
	s_xor_b32 exec_lo, exec_lo, s2
	s_branch .LBB141_153
.LBB141_152:
	s_or_saveexec_b32 s2, s31
	v_mul_f32_e64 v14, 0x3f22f983, |v2|
	s_xor_b32 exec_lo, exec_lo, s2
.LBB141_153:
	s_delay_alu instid0(VALU_DEP_1) | instskip(NEXT) | instid1(VALU_DEP_1)
	v_rndne_f32_e32 v10, v14
	v_fma_f32 v9, 0xbfc90fda, v10, |v2|
	s_delay_alu instid0(VALU_DEP_1) | instskip(NEXT) | instid1(VALU_DEP_1)
	v_fmamk_f32 v9, v10, 0xb3a22168, v9
	v_fmamk_f32 v9, v10, 0xa7c234c4, v9
	v_cvt_i32_f32_e32 v10, v10
; %bb.154:
	s_or_b32 exec_lo, exec_lo, s2
                                        ; implicit-def: $vgpr13
                                        ; implicit-def: $vgpr12
	s_and_saveexec_b32 s2, s5
	s_delay_alu instid0(SALU_CYCLE_1)
	s_xor_b32 s5, exec_lo, s2
	s_cbranch_execz .LBB141_156
; %bb.155:
	s_mov_b32 s2, 0x7fffff
	v_mov_b32_e32 v14, 0
	v_and_or_b32 v22, v7, s2, 0x800000
	s_delay_alu instid0(VALU_DEP_1) | instskip(NEXT) | instid1(VALU_DEP_1)
	v_mad_u64_u32 v[12:13], null, 0xfe5163ab, v22, 0
	v_mad_u64_u32 v[15:16], null, 0x3c439041, v22, v[13:14]
	s_delay_alu instid0(VALU_DEP_1) | instskip(NEXT) | instid1(VALU_DEP_1)
	v_mov_b32_e32 v13, v16
	v_mad_u64_u32 v[16:17], null, 0xdb629599, v22, v[13:14]
	v_add_nc_u32_e32 v11, 0xffffff88, v11
	s_delay_alu instid0(VALU_DEP_1) | instskip(NEXT) | instid1(VALU_DEP_3)
	v_cmp_lt_u32_e32 vcc_lo, 63, v11
	v_mov_b32_e32 v13, v17
	v_cndmask_b32_e64 v20, 0, 0xffffffc0, vcc_lo
	s_delay_alu instid0(VALU_DEP_2) | instskip(SKIP_1) | instid1(VALU_DEP_3)
	v_mad_u64_u32 v[17:18], null, 0xf534ddc0, v22, v[13:14]
	v_cndmask_b32_e32 v12, v16, v12, vcc_lo
	v_add_nc_u32_e32 v11, v20, v11
	s_delay_alu instid0(VALU_DEP_3) | instskip(NEXT) | instid1(VALU_DEP_2)
	v_mov_b32_e32 v13, v18
	v_cmp_lt_u32_e64 s2, 31, v11
	s_delay_alu instid0(VALU_DEP_2) | instskip(NEXT) | instid1(VALU_DEP_2)
	v_mad_u64_u32 v[18:19], null, 0xfc2757d1, v22, v[13:14]
	v_cndmask_b32_e64 v21, 0, 0xffffffe0, s2
	s_delay_alu instid0(VALU_DEP_1) | instskip(NEXT) | instid1(VALU_DEP_3)
	v_add_nc_u32_e32 v11, v21, v11
	v_mov_b32_e32 v13, v19
	s_delay_alu instid0(VALU_DEP_2) | instskip(NEXT) | instid1(VALU_DEP_2)
	v_cmp_lt_u32_e64 s3, 31, v11
	v_mad_u64_u32 v[19:20], null, 0x4e441529, v22, v[13:14]
	s_delay_alu instid0(VALU_DEP_1) | instskip(NEXT) | instid1(VALU_DEP_1)
	v_mov_b32_e32 v13, v20
	v_mad_u64_u32 v[20:21], null, 0xa2f9836e, v22, v[13:14]
	s_delay_alu instid0(VALU_DEP_4) | instskip(NEXT) | instid1(VALU_DEP_1)
	v_cndmask_b32_e64 v13, 0, 0xffffffe0, s3
	v_dual_cndmask_b32 v14, v19, v17 :: v_dual_add_nc_u32 v11, v13, v11
	s_delay_alu instid0(VALU_DEP_3) | instskip(SKIP_1) | instid1(VALU_DEP_3)
	v_dual_cndmask_b32 v20, v20, v18 :: v_dual_cndmask_b32 v19, v21, v19
	v_dual_cndmask_b32 v18, v18, v16 :: v_dual_cndmask_b32 v13, v17, v15
	v_cmp_eq_u32_e64 s4, 0, v11
	s_delay_alu instid0(VALU_DEP_3) | instskip(NEXT) | instid1(VALU_DEP_4)
	v_cndmask_b32_e64 v15, v20, v14, s2
	v_cndmask_b32_e64 v17, v19, v20, s2
	s_delay_alu instid0(VALU_DEP_4)
	v_cndmask_b32_e64 v14, v14, v18, s2
	v_sub_nc_u32_e32 v19, 32, v11
	v_cndmask_b32_e64 v18, v18, v13, s2
	v_cndmask_b32_e64 v12, v13, v12, s2
	;; [unrolled: 1-line block ×4, first 2 shown]
	s_delay_alu instid0(VALU_DEP_4) | instskip(NEXT) | instid1(VALU_DEP_4)
	v_cndmask_b32_e64 v14, v14, v18, s3
	v_cndmask_b32_e64 v12, v18, v12, s3
	s_delay_alu instid0(VALU_DEP_3) | instskip(NEXT) | instid1(VALU_DEP_3)
	v_alignbit_b32 v20, v17, v15, v19
	v_alignbit_b32 v21, v15, v14, v19
	s_delay_alu instid0(VALU_DEP_3) | instskip(NEXT) | instid1(VALU_DEP_3)
	v_alignbit_b32 v19, v14, v12, v19
	v_cndmask_b32_e64 v11, v20, v17, s4
	s_delay_alu instid0(VALU_DEP_3) | instskip(NEXT) | instid1(VALU_DEP_3)
	v_cndmask_b32_e64 v15, v21, v15, s4
	v_cndmask_b32_e64 v14, v19, v14, s4
	s_delay_alu instid0(VALU_DEP_3) | instskip(NEXT) | instid1(VALU_DEP_3)
	v_bfe_u32 v16, v11, 29, 1
	v_alignbit_b32 v13, v11, v15, 30
	s_delay_alu instid0(VALU_DEP_3) | instskip(SKIP_1) | instid1(VALU_DEP_4)
	v_alignbit_b32 v15, v15, v14, 30
	v_alignbit_b32 v12, v14, v12, 30
	v_sub_nc_u32_e32 v17, 0, v16
	s_delay_alu instid0(VALU_DEP_1) | instskip(SKIP_3) | instid1(VALU_DEP_4)
	v_xor_b32_e32 v18, v13, v17
	v_cmp_ne_u32_e32 vcc_lo, v13, v17
	v_xor_b32_e32 v14, v15, v17
	v_xor_b32_e32 v12, v12, v17
	v_clz_i32_u32_e32 v20, v18
	s_delay_alu instid0(VALU_DEP_1) | instskip(NEXT) | instid1(VALU_DEP_1)
	v_add_nc_u32_e32 v19, 1, v20
	v_cndmask_b32_e32 v13, 33, v19, vcc_lo
	s_delay_alu instid0(VALU_DEP_1) | instskip(NEXT) | instid1(VALU_DEP_1)
	v_sub_nc_u32_e32 v15, 32, v13
	v_alignbit_b32 v17, v18, v14, v15
	v_alignbit_b32 v12, v14, v12, v15
	v_lshrrev_b32_e32 v14, 29, v11
	v_lshrrev_b32_e32 v11, 30, v11
	s_delay_alu instid0(VALU_DEP_3) | instskip(NEXT) | instid1(VALU_DEP_3)
	v_alignbit_b32 v15, v17, v12, 9
	v_lshlrev_b32_e32 v14, 31, v14
	v_alignbit_b32 v17, v13, v17, 9
	s_delay_alu instid0(VALU_DEP_3) | instskip(NEXT) | instid1(VALU_DEP_2)
	v_clz_i32_u32_e32 v18, v15
	v_or_b32_e32 v17, v17, v14
	v_or_b32_e32 v14, 0x33800000, v14
	s_delay_alu instid0(VALU_DEP_3) | instskip(NEXT) | instid1(VALU_DEP_3)
	v_min_u32_e32 v18, 32, v18
	v_xor_b32_e32 v17, 1.0, v17
	s_delay_alu instid0(VALU_DEP_2) | instskip(SKIP_1) | instid1(VALU_DEP_3)
	v_sub_nc_u32_e32 v19, 31, v18
	v_add_lshl_u32 v13, v18, v13, 23
	v_mul_f32_e32 v18, 0x3fc90fda, v17
	s_delay_alu instid0(VALU_DEP_3) | instskip(NEXT) | instid1(VALU_DEP_3)
	v_alignbit_b32 v12, v15, v12, v19
	v_sub_nc_u32_e32 v13, v14, v13
	s_delay_alu instid0(VALU_DEP_3) | instskip(NEXT) | instid1(VALU_DEP_3)
	v_fma_f32 v14, 0x3fc90fda, v17, -v18
	v_lshrrev_b32_e32 v12, 9, v12
	s_delay_alu instid0(VALU_DEP_2) | instskip(NEXT) | instid1(VALU_DEP_2)
	v_fmamk_f32 v14, v17, 0x33a22168, v14
	v_or_b32_e32 v12, v13, v12
	s_delay_alu instid0(VALU_DEP_1) | instskip(NEXT) | instid1(VALU_DEP_1)
	v_dual_fmac_f32 v14, 0x3fc90fda, v12 :: v_dual_add_nc_u32 v13, v16, v11
	v_add_f32_e32 v12, v18, v14
                                        ; implicit-def: $vgpr14
	s_and_not1_saveexec_b32 s2, s5
	s_cbranch_execnz .LBB141_157
	s_branch .LBB141_158
.LBB141_156:
	s_and_not1_saveexec_b32 s2, s5
.LBB141_157:
	v_rndne_f32_e32 v11, v14
	s_delay_alu instid0(VALU_DEP_1) | instskip(SKIP_1) | instid1(VALU_DEP_2)
	v_fma_f32 v12, 0xbfc90fda, v11, |v2|
	v_cvt_i32_f32_e32 v13, v11
	v_fmamk_f32 v12, v11, 0xb3a22168, v12
	s_delay_alu instid0(VALU_DEP_1)
	v_fmamk_f32 v12, v11, 0xa7c234c4, v12
.LBB141_158:
	s_or_b32 exec_lo, exec_lo, s2
	v_dual_mul_f32 v11, 0x3fb8aa3b, v1 :: v_dual_lshlrev_b32 v14, 30, v10
	s_mov_b32 s2, 0x395133b1
	v_dual_mul_f32 v16, v9, v9 :: v_dual_mul_f32 v19, v6, v6
	s_delay_alu instid0(VALU_DEP_2)
	v_rndne_f32_e32 v15, v11
	v_and_b32_e32 v10, 1, v10
	s_mov_b32 s4, 0xb94c1982
	v_mul_f32_e32 v20, v12, v12
	v_fma_f32 v21, 0x3fb8aa3b, v1, -v11
	v_sub_f32_e32 v11, v11, v15
	v_dual_fmamk_f32 v17, v15, 0xbf317218, v1 :: v_dual_lshlrev_b32 v18, 30, v8
	v_dual_fmaak_f32 v25, s4, v19, 0x3c0881c4 :: v_dual_and_b32 v8, 1, v8
	v_cmp_eq_f32_e32 vcc_lo, 0x43000000, v15
	s_delay_alu instid0(VALU_DEP_3)
	v_fmamk_f32 v17, v15, 0x3102e308, v17
	v_cvt_i32_f32_e32 v29, v15
	s_mov_b32 s3, 0x37d75334
	v_fmaak_f32 v25, v19, v25, 0xbe2aaa9d
	v_and_b32_e32 v18, 0x80000000, v18
	v_fmaak_f32 v24, s2, v17, 0x3ab69700
	v_cndmask_b32_e64 v15, v29, 0x7f, vcc_lo
	s_delay_alu instid0(VALU_DEP_4) | instskip(SKIP_1) | instid1(VALU_DEP_4)
	v_dual_fmaak_f32 v28, s3, v20, 0xbab64f3b :: v_dual_mul_f32 v25, v19, v25
	v_fmamk_f32 v21, v1, 0x32a5705f, v21
	v_fmaak_f32 v24, v17, v24, 0x3c0887f9
	s_delay_alu instid0(VALU_DEP_4) | instskip(NEXT) | instid1(VALU_DEP_4)
	v_ldexp_f32 v15, 1.0, v15
	v_dual_fmaak_f32 v23, s4, v16, 0x3c0881c4 :: v_dual_fmac_f32 v6, v6, v25
	s_delay_alu instid0(VALU_DEP_4) | instskip(NEXT) | instid1(VALU_DEP_4)
	v_dual_add_f32 v11, v11, v21 :: v_dual_and_b32 v14, 0x80000000, v14
	v_fmaak_f32 v24, v17, v24, 0x3d2aaa81
	v_cmp_ngt_f32_e64 s2, 0xc2ce8ed0, v1
	v_xor_b32_e32 v5, v5, v4
	v_add_nc_u32_e32 v3, 0x80, v3
	v_exp_f32_e32 v11, v11
	v_fmaak_f32 v24, v17, v24, 0x3e2aaaab
	s_delay_alu instid0(VALU_DEP_1)
	v_fma_f32 v21, v17, v24, 0.5
	v_fmaak_f32 v22, s3, v16, 0xbab64f3b
	v_fmaak_f32 v24, v20, v28, 0x3d2aabf7
	v_add_f32_e32 v28, -1.0, v15
	s_waitcnt_depctr 0xfff
	v_ldexp_f32 v11, v11, v29
	v_dual_mul_f32 v21, v17, v21 :: v_dual_fmaak_f32 v26, s3, v19, 0xbab64f3b
	v_fmaak_f32 v22, v16, v22, 0x3d2aabf7
	v_fmaak_f32 v23, v16, v23, 0xbe2aaa9d
	s_delay_alu instid0(VALU_DEP_4) | instskip(NEXT) | instid1(VALU_DEP_4)
	v_cndmask_b32_e64 v11, 0, v11, s2
	v_fmac_f32_e32 v17, v17, v21
	v_fmaak_f32 v27, s4, v20, 0x3c0881c4
	v_cmp_eq_u32_e64 s2, 0, v8
	s_delay_alu instid0(VALU_DEP_3) | instskip(SKIP_1) | instid1(VALU_DEP_4)
	v_fmac_f32_e32 v28, v15, v17
	v_fmaak_f32 v26, v19, v26, 0x3d2aabf7
	v_fmaak_f32 v27, v20, v27, 0xbe2aaa9d
	s_delay_alu instid0(VALU_DEP_2) | instskip(NEXT) | instid1(VALU_DEP_2)
	v_dual_add_f32 v17, v28, v28 :: v_dual_fmaak_f32 v26, v19, v26, 0xbf000004
	v_mul_f32_e32 v21, v20, v27
	s_delay_alu instid0(VALU_DEP_2) | instskip(NEXT) | instid1(VALU_DEP_1)
	v_fma_f32 v15, v19, v26, 1.0
	v_cndmask_b32_e64 v6, v15, v6, s2
	v_cmp_nlt_f32_e64 s2, 0x42b17218, v1
	v_lshlrev_b32_e32 v15, 30, v13
	v_fmac_f32_e32 v12, v12, v21
	s_delay_alu instid0(VALU_DEP_4) | instskip(NEXT) | instid1(VALU_DEP_4)
	v_xor3_b32 v5, v5, v18, v6
	v_cndmask_b32_e64 v8, 0x7f800000, v11, s2
	v_cndmask_b32_e32 v11, v28, v17, vcc_lo
	v_cmp_eq_u32_e32 vcc_lo, 0, v10
	v_fmaak_f32 v10, v20, v24, 0xbf000004
	v_and_b32_e32 v6, 1, v13
	v_and_b32_e32 v13, 0x80000000, v15
	v_mul_f32_e32 v23, v16, v23
	v_cmp_ngt_f32_e64 s2, 0xc1880000, v1
	v_fma_f32 v10, v20, v10, 1.0
	s_delay_alu instid0(VALU_DEP_3) | instskip(NEXT) | instid1(VALU_DEP_1)
	v_dual_fmaak_f32 v22, v16, v22, 0xbf000004 :: v_dual_fmac_f32 v9, v9, v23
	v_fma_f32 v16, v16, v22, 1.0
	s_delay_alu instid0(VALU_DEP_1) | instskip(SKIP_1) | instid1(VALU_DEP_2)
	v_cndmask_b32_e64 v9, -v9, v16, vcc_lo
	v_cmp_class_f32_e64 vcc_lo, v4, 0x1f8
	v_xor_b32_e32 v9, v14, v9
	v_cndmask_b32_e32 v4, 0x7fc00000, v5, vcc_lo
	v_cmp_eq_u32_e32 vcc_lo, 0, v6
	v_xor_b32_e32 v6, v7, v13
	v_cndmask_b32_e32 v5, v10, v12, vcc_lo
	v_cmp_nlt_f32_e32 vcc_lo, 0x42b17217, v1
	v_dual_add_f32 v10, v4, v4 :: v_dual_cndmask_b32 v7, 0x7f800000, v11
	s_delay_alu instid0(VALU_DEP_1) | instskip(SKIP_2) | instid1(VALU_DEP_4)
	v_mul_f32_e32 v4, v4, v10
	v_cmp_class_f32_e64 vcc_lo, v2, 0x1f8
	v_xor3_b32 v2, v6, v5, v2
	v_cndmask_b32_e64 v1, -1.0, v7, s2
	s_delay_alu instid0(VALU_DEP_2) | instskip(NEXT) | instid1(VALU_DEP_1)
	v_cndmask_b32_e32 v2, 0x7fc00000, v2, vcc_lo
	v_dual_cndmask_b32 v5, 0x7fc00000, v9 :: v_dual_mul_f32 v2, v8, v2
	s_delay_alu instid0(VALU_DEP_1) | instskip(SKIP_2) | instid1(SALU_CYCLE_1)
	v_fma_f32 v1, v1, v5, -v4
	global_store_b64 v0, v[1:2], s[8:9]
	s_or_b32 exec_lo, exec_lo, s30
	s_mov_b32 s30, exec_lo
	v_cmpx_gt_i32_e64 s27, v3
	s_cbranch_execz .LBB141_185
.LBB141_159:
	s_and_not1_b32 vcc_lo, exec_lo, s24
	s_cbranch_vccnz .LBB141_164
; %bb.160:
	v_dual_mov_b32 v0, 0 :: v_dual_mov_b32 v1, 0
	s_and_not1_b32 vcc_lo, exec_lo, s29
	s_mov_b32 s31, 0
	s_cbranch_vccnz .LBB141_169
; %bb.161:
	v_mov_b32_e32 v0, 0
	s_add_i32 s34, s28, 1
	s_cmp_eq_u32 s23, 2
	s_mov_b32 s33, 0
	s_cbranch_scc1 .LBB141_165
; %bb.162:
	v_dual_mov_b32 v1, 0 :: v_dual_mov_b32 v0, 0
	v_mov_b32_e32 v2, v3
	s_and_b32 s33, s34, 28
	s_mov_b32 s35, 0
	s_mov_b64 s[2:3], s[20:21]
	s_mov_b64 s[4:5], s[0:1]
.LBB141_163:                            ; =>This Inner Loop Header: Depth=1
	s_clause 0x1
	s_load_b256 s[36:43], s[4:5], 0x4
	s_load_b128 s[52:55], s[4:5], 0x24
	s_load_b256 s[44:51], s[2:3], 0x0
	s_add_u32 s4, s4, 48
	s_addc_u32 s5, s5, 0
	s_add_i32 s35, s35, 4
	s_add_u32 s2, s2, 32
	s_addc_u32 s3, s3, 0
	s_cmp_eq_u32 s33, s35
	s_waitcnt lgkmcnt(0)
	v_mul_hi_u32 v4, s37, v2
	s_delay_alu instid0(VALU_DEP_1) | instskip(NEXT) | instid1(VALU_DEP_1)
	v_add_nc_u32_e32 v4, v2, v4
	v_lshrrev_b32_e32 v4, s38, v4
	s_delay_alu instid0(VALU_DEP_1) | instskip(SKIP_1) | instid1(VALU_DEP_2)
	v_mul_hi_u32 v5, s40, v4
	v_mul_lo_u32 v7, v4, s36
	v_add_nc_u32_e32 v5, v4, v5
	s_delay_alu instid0(VALU_DEP_2) | instskip(NEXT) | instid1(VALU_DEP_2)
	v_sub_nc_u32_e32 v2, v2, v7
	v_lshrrev_b32_e32 v5, s41, v5
	s_delay_alu instid0(VALU_DEP_2) | instskip(SKIP_1) | instid1(VALU_DEP_3)
	v_mul_lo_u32 v7, v2, s44
	v_mul_lo_u32 v9, v2, s45
	v_mul_hi_u32 v6, s43, v5
	s_delay_alu instid0(VALU_DEP_1) | instskip(NEXT) | instid1(VALU_DEP_1)
	v_add_nc_u32_e32 v6, v5, v6
	v_lshrrev_b32_e32 v6, s52, v6
	s_delay_alu instid0(VALU_DEP_1) | instskip(SKIP_1) | instid1(VALU_DEP_2)
	v_mul_hi_u32 v8, s54, v6
	v_mul_lo_u32 v10, v6, s42
	v_add_nc_u32_e32 v2, v6, v8
	v_mul_lo_u32 v8, v5, s39
	s_delay_alu instid0(VALU_DEP_3) | instskip(NEXT) | instid1(VALU_DEP_3)
	v_sub_nc_u32_e32 v5, v5, v10
	v_lshrrev_b32_e32 v2, s55, v2
	s_delay_alu instid0(VALU_DEP_2) | instskip(SKIP_2) | instid1(VALU_DEP_4)
	v_mul_lo_u32 v10, v5, s48
	v_mul_lo_u32 v5, v5, s49
	v_sub_nc_u32_e32 v4, v4, v8
	v_mul_lo_u32 v11, v2, s53
	s_delay_alu instid0(VALU_DEP_2) | instskip(SKIP_1) | instid1(VALU_DEP_3)
	v_mul_lo_u32 v8, v4, s46
	v_mul_lo_u32 v4, v4, s47
	v_sub_nc_u32_e32 v6, v6, v11
	s_delay_alu instid0(VALU_DEP_3) | instskip(NEXT) | instid1(VALU_DEP_2)
	v_add3_u32 v0, v7, v0, v8
	v_mul_lo_u32 v11, v6, s50
	v_mul_lo_u32 v6, v6, s51
	v_add3_u32 v1, v9, v1, v4
	s_delay_alu instid0(VALU_DEP_3) | instskip(NEXT) | instid1(VALU_DEP_2)
	v_add3_u32 v0, v10, v0, v11
	v_add3_u32 v1, v5, v1, v6
	s_cbranch_scc0 .LBB141_163
	s_branch .LBB141_166
.LBB141_164:
	s_mov_b32 s31, -1
                                        ; implicit-def: $vgpr0
                                        ; implicit-def: $vgpr1
	s_branch .LBB141_169
.LBB141_165:
	v_dual_mov_b32 v2, v3 :: v_dual_mov_b32 v1, 0
.LBB141_166:
	s_and_b32 s34, s34, 3
	s_delay_alu instid0(SALU_CYCLE_1)
	s_cmp_eq_u32 s34, 0
	s_cbranch_scc1 .LBB141_169
; %bb.167:
	s_lshl_b32 s2, s33, 3
	s_mul_i32 s4, s33, 12
	s_add_u32 s2, s2, s0
	s_addc_u32 s3, s1, 0
	s_add_u32 s2, s2, 0xc4
	s_addc_u32 s3, s3, 0
	s_add_u32 s4, s0, s4
	s_addc_u32 s5, s1, 0
	.p2align	6
.LBB141_168:                            ; =>This Inner Loop Header: Depth=1
	s_clause 0x1
	s_load_b64 s[36:37], s[4:5], 0x4
	s_load_b32 s33, s[4:5], 0xc
	s_load_b64 s[38:39], s[2:3], 0x0
	s_add_u32 s4, s4, 12
	s_addc_u32 s5, s5, 0
	s_add_u32 s2, s2, 8
	s_addc_u32 s3, s3, 0
	s_add_i32 s34, s34, -1
	s_delay_alu instid0(SALU_CYCLE_1) | instskip(SKIP_2) | instid1(VALU_DEP_1)
	s_cmp_lg_u32 s34, 0
	s_waitcnt lgkmcnt(0)
	v_mul_hi_u32 v4, s37, v2
	v_add_nc_u32_e32 v4, v2, v4
	s_delay_alu instid0(VALU_DEP_1) | instskip(NEXT) | instid1(VALU_DEP_1)
	v_lshrrev_b32_e32 v7, s33, v4
	v_mul_lo_u32 v4, v7, s36
	s_delay_alu instid0(VALU_DEP_1) | instskip(NEXT) | instid1(VALU_DEP_1)
	v_sub_nc_u32_e32 v2, v2, v4
	v_mad_u64_u32 v[4:5], null, v2, s38, v[0:1]
	v_mad_u64_u32 v[5:6], null, v2, s39, v[1:2]
	v_mov_b32_e32 v2, v7
	s_delay_alu instid0(VALU_DEP_2)
	v_dual_mov_b32 v0, v4 :: v_dual_mov_b32 v1, v5
	s_cbranch_scc1 .LBB141_168
.LBB141_169:
	s_and_not1_b32 vcc_lo, exec_lo, s31
	s_cbranch_vccnz .LBB141_172
; %bb.170:
	s_waitcnt lgkmcnt(0)
	v_mul_hi_u32 v0, s17, v3
	s_and_not1_b32 vcc_lo, exec_lo, s26
	s_delay_alu instid0(VALU_DEP_1) | instskip(NEXT) | instid1(VALU_DEP_1)
	v_add_nc_u32_e32 v0, v3, v0
	v_lshrrev_b32_e32 v2, s18, v0
	s_delay_alu instid0(VALU_DEP_1) | instskip(NEXT) | instid1(VALU_DEP_1)
	v_mul_lo_u32 v0, v2, s16
	v_sub_nc_u32_e32 v1, v3, v0
	s_delay_alu instid0(VALU_DEP_1)
	v_mul_lo_u32 v0, v1, s12
	v_mul_lo_u32 v1, v1, s13
	s_cbranch_vccnz .LBB141_172
; %bb.171:
	v_mul_hi_u32 v4, s6, v2
	s_delay_alu instid0(VALU_DEP_1) | instskip(NEXT) | instid1(VALU_DEP_1)
	v_add_nc_u32_e32 v4, v2, v4
	v_lshrrev_b32_e32 v4, s7, v4
	s_delay_alu instid0(VALU_DEP_1) | instskip(NEXT) | instid1(VALU_DEP_1)
	v_mul_lo_u32 v4, v4, s19
	v_sub_nc_u32_e32 v2, v2, v4
	s_delay_alu instid0(VALU_DEP_1) | instskip(SKIP_1) | instid1(VALU_DEP_1)
	v_mad_u64_u32 v[4:5], null, v2, s14, v[0:1]
	v_mad_u64_u32 v[5:6], null, v2, s15, v[1:2]
	v_dual_mov_b32 v0, v4 :: v_dual_mov_b32 v1, v5
.LBB141_172:
	s_waitcnt lgkmcnt(0)
	global_load_b64 v[1:2], v1, s[10:11]
                                        ; implicit-def: $vgpr8
                                        ; implicit-def: $vgpr6
	s_mov_b32 s3, exec_lo
	s_waitcnt vmcnt(0)
	v_mul_f32_e32 v4, 0.5, v2
	s_delay_alu instid0(VALU_DEP_1)
	v_and_b32_e32 v5, 0x7fffffff, v4
	v_cmpx_ngt_f32_e64 0x48000000, |v4|
	s_xor_b32 s5, exec_lo, s3
	s_cbranch_execz .LBB141_174
; %bb.173:
	s_mov_b32 s2, 0x7fffff
	v_mov_b32_e32 v8, 0
	v_and_or_b32 v16, v5, s2, 0x800000
	v_lshrrev_b32_e32 v13, 23, v5
	s_delay_alu instid0(VALU_DEP_2) | instskip(NEXT) | instid1(VALU_DEP_2)
	v_mad_u64_u32 v[6:7], null, 0xfe5163ab, v16, 0
	v_add_nc_u32_e32 v14, 0xffffff88, v13
	s_delay_alu instid0(VALU_DEP_1) | instskip(NEXT) | instid1(VALU_DEP_3)
	v_cmp_lt_u32_e32 vcc_lo, 63, v14
	v_mad_u64_u32 v[9:10], null, 0x3c439041, v16, v[7:8]
	v_cndmask_b32_e64 v15, 0, 0xffffffc0, vcc_lo
	s_delay_alu instid0(VALU_DEP_2) | instskip(NEXT) | instid1(VALU_DEP_2)
	v_mov_b32_e32 v7, v10
	v_add_nc_u32_e32 v15, v15, v14
	s_delay_alu instid0(VALU_DEP_2) | instskip(NEXT) | instid1(VALU_DEP_2)
	v_mad_u64_u32 v[10:11], null, 0xdb629599, v16, v[7:8]
	v_cmp_lt_u32_e64 s2, 31, v15
	s_delay_alu instid0(VALU_DEP_1) | instskip(NEXT) | instid1(VALU_DEP_3)
	v_cndmask_b32_e64 v17, 0, 0xffffffe0, s2
	v_dual_mov_b32 v7, v11 :: v_dual_cndmask_b32 v6, v10, v6
	s_delay_alu instid0(VALU_DEP_2) | instskip(NEXT) | instid1(VALU_DEP_2)
	v_add_nc_u32_e32 v17, v17, v15
	v_mad_u64_u32 v[11:12], null, 0xf534ddc0, v16, v[7:8]
	s_delay_alu instid0(VALU_DEP_2) | instskip(NEXT) | instid1(VALU_DEP_2)
	v_cmp_lt_u32_e64 s3, 31, v17
	v_mov_b32_e32 v7, v12
	s_delay_alu instid0(VALU_DEP_3) | instskip(NEXT) | instid1(VALU_DEP_2)
	v_cndmask_b32_e32 v9, v11, v9, vcc_lo
	v_mad_u64_u32 v[12:13], null, 0xfc2757d1, v16, v[7:8]
	s_delay_alu instid0(VALU_DEP_2) | instskip(NEXT) | instid1(VALU_DEP_2)
	v_cndmask_b32_e64 v6, v9, v6, s2
	v_mov_b32_e32 v7, v13
	s_delay_alu instid0(VALU_DEP_1) | instskip(NEXT) | instid1(VALU_DEP_1)
	v_mad_u64_u32 v[13:14], null, 0x4e441529, v16, v[7:8]
	v_mov_b32_e32 v7, v14
	s_delay_alu instid0(VALU_DEP_1) | instskip(SKIP_1) | instid1(VALU_DEP_1)
	v_mad_u64_u32 v[14:15], null, 0xa2f9836e, v16, v[7:8]
	v_cndmask_b32_e64 v7, 0, 0xffffffe0, s3
	v_dual_cndmask_b32 v8, v13, v11 :: v_dual_add_nc_u32 v7, v7, v17
	s_delay_alu instid0(VALU_DEP_3) | instskip(NEXT) | instid1(VALU_DEP_4)
	v_cndmask_b32_e32 v14, v14, v12, vcc_lo
	v_dual_cndmask_b32 v12, v12, v10 :: v_dual_cndmask_b32 v13, v15, v13
	s_delay_alu instid0(VALU_DEP_3) | instskip(NEXT) | instid1(VALU_DEP_3)
	v_cmp_eq_u32_e64 s4, 0, v7
	v_cndmask_b32_e64 v11, v14, v8, s2
	s_delay_alu instid0(VALU_DEP_3) | instskip(NEXT) | instid1(VALU_DEP_4)
	v_cndmask_b32_e64 v8, v8, v12, s2
	v_cndmask_b32_e64 v13, v13, v14, s2
	v_sub_nc_u32_e32 v14, 32, v7
	v_cndmask_b32_e64 v12, v12, v9, s2
	s_delay_alu instid0(VALU_DEP_3) | instskip(SKIP_1) | instid1(VALU_DEP_3)
	v_cndmask_b32_e64 v13, v13, v11, s3
	v_cndmask_b32_e64 v11, v11, v8, s3
	;; [unrolled: 1-line block ×4, first 2 shown]
	s_delay_alu instid0(VALU_DEP_3) | instskip(NEXT) | instid1(VALU_DEP_3)
	v_alignbit_b32 v15, v13, v11, v14
	v_alignbit_b32 v16, v11, v8, v14
	s_delay_alu instid0(VALU_DEP_3) | instskip(NEXT) | instid1(VALU_DEP_3)
	v_alignbit_b32 v14, v8, v6, v14
	v_cndmask_b32_e64 v7, v15, v13, s4
	s_delay_alu instid0(VALU_DEP_3) | instskip(NEXT) | instid1(VALU_DEP_3)
	v_cndmask_b32_e64 v10, v16, v11, s4
	v_cndmask_b32_e64 v8, v14, v8, s4
	s_delay_alu instid0(VALU_DEP_3) | instskip(NEXT) | instid1(VALU_DEP_3)
	v_bfe_u32 v11, v7, 29, 1
	v_alignbit_b32 v9, v7, v10, 30
	s_delay_alu instid0(VALU_DEP_3) | instskip(SKIP_1) | instid1(VALU_DEP_4)
	v_alignbit_b32 v10, v10, v8, 30
	v_alignbit_b32 v6, v8, v6, 30
	v_sub_nc_u32_e32 v13, 0, v11
	s_delay_alu instid0(VALU_DEP_1) | instskip(SKIP_3) | instid1(VALU_DEP_4)
	v_xor_b32_e32 v12, v9, v13
	v_cmp_ne_u32_e32 vcc_lo, v9, v13
	v_xor_b32_e32 v8, v10, v13
	v_xor_b32_e32 v6, v6, v13
	v_clz_i32_u32_e32 v15, v12
	s_delay_alu instid0(VALU_DEP_1) | instskip(NEXT) | instid1(VALU_DEP_1)
	v_add_nc_u32_e32 v14, 1, v15
	v_cndmask_b32_e32 v9, 33, v14, vcc_lo
	s_delay_alu instid0(VALU_DEP_1) | instskip(NEXT) | instid1(VALU_DEP_1)
	v_sub_nc_u32_e32 v10, 32, v9
	v_alignbit_b32 v12, v12, v8, v10
	v_alignbit_b32 v6, v8, v6, v10
	v_lshrrev_b32_e32 v8, 29, v7
	v_lshrrev_b32_e32 v7, 30, v7
	s_delay_alu instid0(VALU_DEP_3) | instskip(NEXT) | instid1(VALU_DEP_3)
	v_alignbit_b32 v10, v12, v6, 9
	v_lshlrev_b32_e32 v8, 31, v8
	v_alignbit_b32 v12, v9, v12, 9
	s_delay_alu instid0(VALU_DEP_3) | instskip(NEXT) | instid1(VALU_DEP_2)
	v_clz_i32_u32_e32 v13, v10
	v_or_b32_e32 v12, v12, v8
	v_or_b32_e32 v8, 0x33800000, v8
	s_delay_alu instid0(VALU_DEP_3) | instskip(NEXT) | instid1(VALU_DEP_3)
	v_min_u32_e32 v13, 32, v13
	v_xor_b32_e32 v12, 1.0, v12
	s_delay_alu instid0(VALU_DEP_2) | instskip(SKIP_1) | instid1(VALU_DEP_3)
	v_sub_nc_u32_e32 v14, 31, v13
	v_add_lshl_u32 v9, v13, v9, 23
	v_mul_f32_e32 v13, 0x3fc90fda, v12
	s_delay_alu instid0(VALU_DEP_3) | instskip(NEXT) | instid1(VALU_DEP_3)
	v_alignbit_b32 v6, v10, v6, v14
	v_sub_nc_u32_e32 v8, v8, v9
	s_delay_alu instid0(VALU_DEP_3) | instskip(NEXT) | instid1(VALU_DEP_3)
	v_fma_f32 v9, 0x3fc90fda, v12, -v13
	v_lshrrev_b32_e32 v6, 9, v6
	s_delay_alu instid0(VALU_DEP_2) | instskip(NEXT) | instid1(VALU_DEP_2)
	v_fmamk_f32 v9, v12, 0x33a22168, v9
	v_or_b32_e32 v6, v8, v6
	s_delay_alu instid0(VALU_DEP_1) | instskip(NEXT) | instid1(VALU_DEP_1)
	v_dual_fmac_f32 v9, 0x3fc90fda, v6 :: v_dual_add_nc_u32 v8, v11, v7
	v_add_f32_e32 v6, v13, v9
.LBB141_174:
	s_and_not1_saveexec_b32 s2, s5
; %bb.175:
	v_mul_f32_e64 v6, 0x3f22f983, |v4|
	s_delay_alu instid0(VALU_DEP_1) | instskip(NEXT) | instid1(VALU_DEP_1)
	v_rndne_f32_e32 v7, v6
	v_fma_f32 v6, 0xbfc90fda, v7, |v4|
	v_cvt_i32_f32_e32 v8, v7
	s_delay_alu instid0(VALU_DEP_2) | instskip(NEXT) | instid1(VALU_DEP_1)
	v_fmamk_f32 v6, v7, 0xb3a22168, v6
	v_fmamk_f32 v6, v7, 0xa7c234c4, v6
; %bb.176:
	s_or_b32 exec_lo, exec_lo, s2
	v_and_b32_e32 v7, 0x7fffffff, v2
	v_cmp_ngt_f32_e64 s5, 0x48000000, |v2|
                                        ; implicit-def: $vgpr10
                                        ; implicit-def: $vgpr9
	s_delay_alu instid0(VALU_DEP_2) | instskip(NEXT) | instid1(VALU_DEP_2)
	v_lshrrev_b32_e32 v11, 23, v7
	s_and_saveexec_b32 s2, s5
	s_delay_alu instid0(SALU_CYCLE_1)
	s_xor_b32 s31, exec_lo, s2
	s_cbranch_execz .LBB141_178
; %bb.177:
	s_mov_b32 s2, 0x7fffff
	s_delay_alu instid0(SALU_CYCLE_1) | instskip(NEXT) | instid1(VALU_DEP_1)
	v_and_or_b32 v21, v7, s2, 0x800000
	v_mad_u64_u32 v[9:10], null, 0xfe5163ab, v21, 0
	s_delay_alu instid0(VALU_DEP_1) | instskip(SKIP_1) | instid1(VALU_DEP_2)
	v_dual_mov_b32 v13, 0 :: v_dual_mov_b32 v12, v10
	v_add_nc_u32_e32 v10, 0xffffff88, v11
	v_mad_u64_u32 v[14:15], null, 0x3c439041, v21, v[12:13]
	s_delay_alu instid0(VALU_DEP_2) | instskip(SKIP_1) | instid1(VALU_DEP_3)
	v_cmp_lt_u32_e32 vcc_lo, 63, v10
	v_cndmask_b32_e64 v19, 0, 0xffffffc0, vcc_lo
	v_mov_b32_e32 v12, v15
	s_delay_alu instid0(VALU_DEP_2) | instskip(NEXT) | instid1(VALU_DEP_2)
	v_add_nc_u32_e32 v10, v19, v10
	v_mad_u64_u32 v[15:16], null, 0xdb629599, v21, v[12:13]
	s_delay_alu instid0(VALU_DEP_2) | instskip(NEXT) | instid1(VALU_DEP_2)
	v_cmp_lt_u32_e64 s2, 31, v10
	v_mov_b32_e32 v12, v16
	s_delay_alu instid0(VALU_DEP_2) | instskip(NEXT) | instid1(VALU_DEP_4)
	v_cndmask_b32_e64 v20, 0, 0xffffffe0, s2
	v_cndmask_b32_e32 v9, v15, v9, vcc_lo
	s_delay_alu instid0(VALU_DEP_3) | instskip(NEXT) | instid1(VALU_DEP_3)
	v_mad_u64_u32 v[16:17], null, 0xf534ddc0, v21, v[12:13]
	v_add_nc_u32_e32 v10, v20, v10
	s_delay_alu instid0(VALU_DEP_1) | instskip(NEXT) | instid1(VALU_DEP_3)
	v_cmp_lt_u32_e64 s3, 31, v10
	v_mov_b32_e32 v12, v17
	s_delay_alu instid0(VALU_DEP_1) | instskip(NEXT) | instid1(VALU_DEP_1)
	v_mad_u64_u32 v[17:18], null, 0xfc2757d1, v21, v[12:13]
	v_mov_b32_e32 v12, v18
	s_delay_alu instid0(VALU_DEP_1) | instskip(NEXT) | instid1(VALU_DEP_1)
	v_mad_u64_u32 v[18:19], null, 0x4e441529, v21, v[12:13]
	v_mov_b32_e32 v12, v19
	s_delay_alu instid0(VALU_DEP_1) | instskip(SKIP_1) | instid1(VALU_DEP_1)
	v_mad_u64_u32 v[19:20], null, 0xa2f9836e, v21, v[12:13]
	v_cndmask_b32_e64 v12, 0, 0xffffffe0, s3
	v_dual_cndmask_b32 v13, v18, v16 :: v_dual_add_nc_u32 v10, v12, v10
	s_delay_alu instid0(VALU_DEP_3) | instskip(SKIP_1) | instid1(VALU_DEP_3)
	v_dual_cndmask_b32 v19, v19, v17 :: v_dual_cndmask_b32 v18, v20, v18
	v_dual_cndmask_b32 v17, v17, v15 :: v_dual_cndmask_b32 v12, v16, v14
	v_cmp_eq_u32_e64 s4, 0, v10
	s_delay_alu instid0(VALU_DEP_3) | instskip(NEXT) | instid1(VALU_DEP_4)
	v_cndmask_b32_e64 v14, v19, v13, s2
	v_cndmask_b32_e64 v16, v18, v19, s2
	s_delay_alu instid0(VALU_DEP_4)
	v_cndmask_b32_e64 v13, v13, v17, s2
	v_sub_nc_u32_e32 v18, 32, v10
	v_cndmask_b32_e64 v17, v17, v12, s2
	v_cndmask_b32_e64 v9, v12, v9, s2
	;; [unrolled: 1-line block ×4, first 2 shown]
	s_delay_alu instid0(VALU_DEP_4) | instskip(NEXT) | instid1(VALU_DEP_4)
	v_cndmask_b32_e64 v13, v13, v17, s3
	v_cndmask_b32_e64 v9, v17, v9, s3
	s_delay_alu instid0(VALU_DEP_3) | instskip(NEXT) | instid1(VALU_DEP_3)
	v_alignbit_b32 v19, v16, v14, v18
	v_alignbit_b32 v20, v14, v13, v18
	s_delay_alu instid0(VALU_DEP_3) | instskip(NEXT) | instid1(VALU_DEP_3)
	v_alignbit_b32 v18, v13, v9, v18
	v_cndmask_b32_e64 v10, v19, v16, s4
	s_delay_alu instid0(VALU_DEP_3) | instskip(NEXT) | instid1(VALU_DEP_3)
	v_cndmask_b32_e64 v14, v20, v14, s4
	v_cndmask_b32_e64 v13, v18, v13, s4
	s_delay_alu instid0(VALU_DEP_3) | instskip(NEXT) | instid1(VALU_DEP_3)
	v_bfe_u32 v15, v10, 29, 1
	v_alignbit_b32 v12, v10, v14, 30
	s_delay_alu instid0(VALU_DEP_3) | instskip(SKIP_1) | instid1(VALU_DEP_4)
	v_alignbit_b32 v14, v14, v13, 30
	v_alignbit_b32 v9, v13, v9, 30
	v_sub_nc_u32_e32 v16, 0, v15
	s_delay_alu instid0(VALU_DEP_1) | instskip(SKIP_3) | instid1(VALU_DEP_4)
	v_xor_b32_e32 v17, v12, v16
	v_cmp_ne_u32_e32 vcc_lo, v12, v16
	v_xor_b32_e32 v13, v14, v16
	v_xor_b32_e32 v9, v9, v16
	v_clz_i32_u32_e32 v19, v17
	s_delay_alu instid0(VALU_DEP_1) | instskip(NEXT) | instid1(VALU_DEP_1)
	v_add_nc_u32_e32 v18, 1, v19
	v_cndmask_b32_e32 v12, 33, v18, vcc_lo
	s_delay_alu instid0(VALU_DEP_1) | instskip(NEXT) | instid1(VALU_DEP_1)
	v_sub_nc_u32_e32 v14, 32, v12
	v_alignbit_b32 v16, v17, v13, v14
	v_alignbit_b32 v9, v13, v9, v14
	v_lshrrev_b32_e32 v13, 29, v10
	v_lshrrev_b32_e32 v10, 30, v10
	s_delay_alu instid0(VALU_DEP_3) | instskip(NEXT) | instid1(VALU_DEP_3)
	v_alignbit_b32 v14, v16, v9, 9
	v_lshlrev_b32_e32 v13, 31, v13
	v_alignbit_b32 v16, v12, v16, 9
	s_delay_alu instid0(VALU_DEP_4) | instskip(NEXT) | instid1(VALU_DEP_4)
	v_add_nc_u32_e32 v10, v15, v10
	v_clz_i32_u32_e32 v17, v14
	s_delay_alu instid0(VALU_DEP_3) | instskip(SKIP_1) | instid1(VALU_DEP_3)
	v_or_b32_e32 v16, v16, v13
	v_or_b32_e32 v13, 0x33800000, v13
	v_min_u32_e32 v17, 32, v17
	s_delay_alu instid0(VALU_DEP_3) | instskip(NEXT) | instid1(VALU_DEP_2)
	v_xor_b32_e32 v16, 1.0, v16
	v_sub_nc_u32_e32 v18, 31, v17
	v_add_lshl_u32 v12, v17, v12, 23
	s_delay_alu instid0(VALU_DEP_3) | instskip(NEXT) | instid1(VALU_DEP_3)
	v_mul_f32_e32 v17, 0x3fc90fda, v16
	v_alignbit_b32 v9, v14, v9, v18
	s_delay_alu instid0(VALU_DEP_3) | instskip(NEXT) | instid1(VALU_DEP_3)
	v_sub_nc_u32_e32 v12, v13, v12
	v_fma_f32 v13, 0x3fc90fda, v16, -v17
	s_delay_alu instid0(VALU_DEP_3) | instskip(NEXT) | instid1(VALU_DEP_2)
	v_lshrrev_b32_e32 v9, 9, v9
	v_fmamk_f32 v13, v16, 0x33a22168, v13
	s_delay_alu instid0(VALU_DEP_2) | instskip(NEXT) | instid1(VALU_DEP_1)
	v_or_b32_e32 v9, v12, v9
	v_fmac_f32_e32 v13, 0x3fc90fda, v9
	s_delay_alu instid0(VALU_DEP_1)
	v_add_f32_e32 v9, v17, v13
	s_or_saveexec_b32 s2, s31
	v_mul_f32_e64 v14, 0x3f22f983, |v2|
	s_xor_b32 exec_lo, exec_lo, s2
	s_branch .LBB141_179
.LBB141_178:
	s_or_saveexec_b32 s2, s31
	v_mul_f32_e64 v14, 0x3f22f983, |v2|
	s_xor_b32 exec_lo, exec_lo, s2
.LBB141_179:
	s_delay_alu instid0(VALU_DEP_1) | instskip(NEXT) | instid1(VALU_DEP_1)
	v_rndne_f32_e32 v10, v14
	v_fma_f32 v9, 0xbfc90fda, v10, |v2|
	s_delay_alu instid0(VALU_DEP_1) | instskip(NEXT) | instid1(VALU_DEP_1)
	v_fmamk_f32 v9, v10, 0xb3a22168, v9
	v_fmamk_f32 v9, v10, 0xa7c234c4, v9
	v_cvt_i32_f32_e32 v10, v10
; %bb.180:
	s_or_b32 exec_lo, exec_lo, s2
                                        ; implicit-def: $vgpr13
                                        ; implicit-def: $vgpr12
	s_and_saveexec_b32 s2, s5
	s_delay_alu instid0(SALU_CYCLE_1)
	s_xor_b32 s5, exec_lo, s2
	s_cbranch_execz .LBB141_182
; %bb.181:
	s_mov_b32 s2, 0x7fffff
	v_mov_b32_e32 v14, 0
	v_and_or_b32 v22, v7, s2, 0x800000
	s_delay_alu instid0(VALU_DEP_1) | instskip(NEXT) | instid1(VALU_DEP_1)
	v_mad_u64_u32 v[12:13], null, 0xfe5163ab, v22, 0
	v_mad_u64_u32 v[15:16], null, 0x3c439041, v22, v[13:14]
	s_delay_alu instid0(VALU_DEP_1) | instskip(NEXT) | instid1(VALU_DEP_1)
	v_mov_b32_e32 v13, v16
	v_mad_u64_u32 v[16:17], null, 0xdb629599, v22, v[13:14]
	v_add_nc_u32_e32 v11, 0xffffff88, v11
	s_delay_alu instid0(VALU_DEP_1) | instskip(NEXT) | instid1(VALU_DEP_3)
	v_cmp_lt_u32_e32 vcc_lo, 63, v11
	v_mov_b32_e32 v13, v17
	v_cndmask_b32_e64 v20, 0, 0xffffffc0, vcc_lo
	s_delay_alu instid0(VALU_DEP_2) | instskip(SKIP_1) | instid1(VALU_DEP_3)
	v_mad_u64_u32 v[17:18], null, 0xf534ddc0, v22, v[13:14]
	v_cndmask_b32_e32 v12, v16, v12, vcc_lo
	v_add_nc_u32_e32 v11, v20, v11
	s_delay_alu instid0(VALU_DEP_3) | instskip(NEXT) | instid1(VALU_DEP_2)
	v_mov_b32_e32 v13, v18
	v_cmp_lt_u32_e64 s2, 31, v11
	s_delay_alu instid0(VALU_DEP_2) | instskip(NEXT) | instid1(VALU_DEP_2)
	v_mad_u64_u32 v[18:19], null, 0xfc2757d1, v22, v[13:14]
	v_cndmask_b32_e64 v21, 0, 0xffffffe0, s2
	s_delay_alu instid0(VALU_DEP_1) | instskip(NEXT) | instid1(VALU_DEP_3)
	v_add_nc_u32_e32 v11, v21, v11
	v_mov_b32_e32 v13, v19
	s_delay_alu instid0(VALU_DEP_2) | instskip(NEXT) | instid1(VALU_DEP_2)
	v_cmp_lt_u32_e64 s3, 31, v11
	v_mad_u64_u32 v[19:20], null, 0x4e441529, v22, v[13:14]
	s_delay_alu instid0(VALU_DEP_1) | instskip(NEXT) | instid1(VALU_DEP_1)
	v_mov_b32_e32 v13, v20
	v_mad_u64_u32 v[20:21], null, 0xa2f9836e, v22, v[13:14]
	s_delay_alu instid0(VALU_DEP_4) | instskip(NEXT) | instid1(VALU_DEP_1)
	v_cndmask_b32_e64 v13, 0, 0xffffffe0, s3
	v_dual_cndmask_b32 v14, v19, v17 :: v_dual_add_nc_u32 v11, v13, v11
	s_delay_alu instid0(VALU_DEP_3) | instskip(SKIP_1) | instid1(VALU_DEP_3)
	v_dual_cndmask_b32 v20, v20, v18 :: v_dual_cndmask_b32 v19, v21, v19
	v_dual_cndmask_b32 v18, v18, v16 :: v_dual_cndmask_b32 v13, v17, v15
	v_cmp_eq_u32_e64 s4, 0, v11
	s_delay_alu instid0(VALU_DEP_3) | instskip(NEXT) | instid1(VALU_DEP_4)
	v_cndmask_b32_e64 v15, v20, v14, s2
	v_cndmask_b32_e64 v17, v19, v20, s2
	s_delay_alu instid0(VALU_DEP_4)
	v_cndmask_b32_e64 v14, v14, v18, s2
	v_sub_nc_u32_e32 v19, 32, v11
	v_cndmask_b32_e64 v18, v18, v13, s2
	v_cndmask_b32_e64 v12, v13, v12, s2
	;; [unrolled: 1-line block ×4, first 2 shown]
	s_delay_alu instid0(VALU_DEP_4) | instskip(NEXT) | instid1(VALU_DEP_4)
	v_cndmask_b32_e64 v14, v14, v18, s3
	v_cndmask_b32_e64 v12, v18, v12, s3
	s_delay_alu instid0(VALU_DEP_3) | instskip(NEXT) | instid1(VALU_DEP_3)
	v_alignbit_b32 v20, v17, v15, v19
	v_alignbit_b32 v21, v15, v14, v19
	s_delay_alu instid0(VALU_DEP_3) | instskip(NEXT) | instid1(VALU_DEP_3)
	v_alignbit_b32 v19, v14, v12, v19
	v_cndmask_b32_e64 v11, v20, v17, s4
	s_delay_alu instid0(VALU_DEP_3) | instskip(NEXT) | instid1(VALU_DEP_3)
	v_cndmask_b32_e64 v15, v21, v15, s4
	v_cndmask_b32_e64 v14, v19, v14, s4
	s_delay_alu instid0(VALU_DEP_3) | instskip(NEXT) | instid1(VALU_DEP_3)
	v_bfe_u32 v16, v11, 29, 1
	v_alignbit_b32 v13, v11, v15, 30
	s_delay_alu instid0(VALU_DEP_3) | instskip(SKIP_1) | instid1(VALU_DEP_4)
	v_alignbit_b32 v15, v15, v14, 30
	v_alignbit_b32 v12, v14, v12, 30
	v_sub_nc_u32_e32 v17, 0, v16
	s_delay_alu instid0(VALU_DEP_1) | instskip(SKIP_3) | instid1(VALU_DEP_4)
	v_xor_b32_e32 v18, v13, v17
	v_cmp_ne_u32_e32 vcc_lo, v13, v17
	v_xor_b32_e32 v14, v15, v17
	v_xor_b32_e32 v12, v12, v17
	v_clz_i32_u32_e32 v20, v18
	s_delay_alu instid0(VALU_DEP_1) | instskip(NEXT) | instid1(VALU_DEP_1)
	v_add_nc_u32_e32 v19, 1, v20
	v_cndmask_b32_e32 v13, 33, v19, vcc_lo
	s_delay_alu instid0(VALU_DEP_1) | instskip(NEXT) | instid1(VALU_DEP_1)
	v_sub_nc_u32_e32 v15, 32, v13
	v_alignbit_b32 v17, v18, v14, v15
	v_alignbit_b32 v12, v14, v12, v15
	v_lshrrev_b32_e32 v14, 29, v11
	v_lshrrev_b32_e32 v11, 30, v11
	s_delay_alu instid0(VALU_DEP_3) | instskip(NEXT) | instid1(VALU_DEP_3)
	v_alignbit_b32 v15, v17, v12, 9
	v_lshlrev_b32_e32 v14, 31, v14
	v_alignbit_b32 v17, v13, v17, 9
	s_delay_alu instid0(VALU_DEP_3) | instskip(NEXT) | instid1(VALU_DEP_2)
	v_clz_i32_u32_e32 v18, v15
	v_or_b32_e32 v17, v17, v14
	v_or_b32_e32 v14, 0x33800000, v14
	s_delay_alu instid0(VALU_DEP_3) | instskip(NEXT) | instid1(VALU_DEP_3)
	v_min_u32_e32 v18, 32, v18
	v_xor_b32_e32 v17, 1.0, v17
	s_delay_alu instid0(VALU_DEP_2) | instskip(SKIP_1) | instid1(VALU_DEP_3)
	v_sub_nc_u32_e32 v19, 31, v18
	v_add_lshl_u32 v13, v18, v13, 23
	v_mul_f32_e32 v18, 0x3fc90fda, v17
	s_delay_alu instid0(VALU_DEP_3) | instskip(NEXT) | instid1(VALU_DEP_3)
	v_alignbit_b32 v12, v15, v12, v19
	v_sub_nc_u32_e32 v13, v14, v13
	s_delay_alu instid0(VALU_DEP_3) | instskip(NEXT) | instid1(VALU_DEP_3)
	v_fma_f32 v14, 0x3fc90fda, v17, -v18
	v_lshrrev_b32_e32 v12, 9, v12
	s_delay_alu instid0(VALU_DEP_2) | instskip(NEXT) | instid1(VALU_DEP_2)
	v_fmamk_f32 v14, v17, 0x33a22168, v14
	v_or_b32_e32 v12, v13, v12
	s_delay_alu instid0(VALU_DEP_1) | instskip(NEXT) | instid1(VALU_DEP_1)
	v_dual_fmac_f32 v14, 0x3fc90fda, v12 :: v_dual_add_nc_u32 v13, v16, v11
	v_add_f32_e32 v12, v18, v14
                                        ; implicit-def: $vgpr14
	s_and_not1_saveexec_b32 s2, s5
	s_cbranch_execnz .LBB141_183
	s_branch .LBB141_184
.LBB141_182:
	s_and_not1_saveexec_b32 s2, s5
.LBB141_183:
	v_rndne_f32_e32 v11, v14
	s_delay_alu instid0(VALU_DEP_1) | instskip(SKIP_1) | instid1(VALU_DEP_2)
	v_fma_f32 v12, 0xbfc90fda, v11, |v2|
	v_cvt_i32_f32_e32 v13, v11
	v_fmamk_f32 v12, v11, 0xb3a22168, v12
	s_delay_alu instid0(VALU_DEP_1)
	v_fmamk_f32 v12, v11, 0xa7c234c4, v12
.LBB141_184:
	s_or_b32 exec_lo, exec_lo, s2
	v_dual_mul_f32 v11, 0x3fb8aa3b, v1 :: v_dual_lshlrev_b32 v14, 30, v10
	s_mov_b32 s2, 0x395133b1
	v_dual_mul_f32 v16, v9, v9 :: v_dual_mul_f32 v19, v6, v6
	s_delay_alu instid0(VALU_DEP_2)
	v_rndne_f32_e32 v15, v11
	v_and_b32_e32 v10, 1, v10
	s_mov_b32 s4, 0xb94c1982
	v_mul_f32_e32 v20, v12, v12
	v_fma_f32 v21, 0x3fb8aa3b, v1, -v11
	v_sub_f32_e32 v11, v11, v15
	v_dual_fmamk_f32 v17, v15, 0xbf317218, v1 :: v_dual_lshlrev_b32 v18, 30, v8
	v_dual_fmaak_f32 v25, s4, v19, 0x3c0881c4 :: v_dual_and_b32 v8, 1, v8
	v_cmp_eq_f32_e32 vcc_lo, 0x43000000, v15
	s_delay_alu instid0(VALU_DEP_3)
	v_fmamk_f32 v17, v15, 0x3102e308, v17
	v_cvt_i32_f32_e32 v29, v15
	s_mov_b32 s3, 0x37d75334
	v_fmaak_f32 v25, v19, v25, 0xbe2aaa9d
	v_and_b32_e32 v18, 0x80000000, v18
	v_fmaak_f32 v24, s2, v17, 0x3ab69700
	v_cndmask_b32_e64 v15, v29, 0x7f, vcc_lo
	s_delay_alu instid0(VALU_DEP_4) | instskip(SKIP_1) | instid1(VALU_DEP_4)
	v_dual_fmaak_f32 v28, s3, v20, 0xbab64f3b :: v_dual_mul_f32 v25, v19, v25
	v_fmamk_f32 v21, v1, 0x32a5705f, v21
	v_fmaak_f32 v24, v17, v24, 0x3c0887f9
	s_delay_alu instid0(VALU_DEP_4) | instskip(NEXT) | instid1(VALU_DEP_4)
	v_ldexp_f32 v15, 1.0, v15
	v_dual_fmaak_f32 v23, s4, v16, 0x3c0881c4 :: v_dual_fmac_f32 v6, v6, v25
	s_delay_alu instid0(VALU_DEP_4) | instskip(NEXT) | instid1(VALU_DEP_4)
	v_dual_add_f32 v11, v11, v21 :: v_dual_and_b32 v14, 0x80000000, v14
	v_fmaak_f32 v24, v17, v24, 0x3d2aaa81
	v_cmp_ngt_f32_e64 s2, 0xc2ce8ed0, v1
	v_xor_b32_e32 v5, v5, v4
	v_add_nc_u32_e32 v3, 0x80, v3
	v_exp_f32_e32 v11, v11
	v_fmaak_f32 v24, v17, v24, 0x3e2aaaab
	s_delay_alu instid0(VALU_DEP_1)
	v_fma_f32 v21, v17, v24, 0.5
	v_fmaak_f32 v22, s3, v16, 0xbab64f3b
	v_fmaak_f32 v24, v20, v28, 0x3d2aabf7
	v_add_f32_e32 v28, -1.0, v15
	s_waitcnt_depctr 0xfff
	v_ldexp_f32 v11, v11, v29
	v_dual_mul_f32 v21, v17, v21 :: v_dual_fmaak_f32 v26, s3, v19, 0xbab64f3b
	v_fmaak_f32 v22, v16, v22, 0x3d2aabf7
	v_fmaak_f32 v23, v16, v23, 0xbe2aaa9d
	s_delay_alu instid0(VALU_DEP_4) | instskip(NEXT) | instid1(VALU_DEP_4)
	v_cndmask_b32_e64 v11, 0, v11, s2
	v_fmac_f32_e32 v17, v17, v21
	v_fmaak_f32 v27, s4, v20, 0x3c0881c4
	v_cmp_eq_u32_e64 s2, 0, v8
	s_delay_alu instid0(VALU_DEP_3) | instskip(SKIP_1) | instid1(VALU_DEP_4)
	v_fmac_f32_e32 v28, v15, v17
	v_fmaak_f32 v26, v19, v26, 0x3d2aabf7
	v_fmaak_f32 v27, v20, v27, 0xbe2aaa9d
	s_delay_alu instid0(VALU_DEP_2) | instskip(NEXT) | instid1(VALU_DEP_2)
	v_dual_add_f32 v17, v28, v28 :: v_dual_fmaak_f32 v26, v19, v26, 0xbf000004
	v_mul_f32_e32 v21, v20, v27
	s_delay_alu instid0(VALU_DEP_2) | instskip(NEXT) | instid1(VALU_DEP_1)
	v_fma_f32 v15, v19, v26, 1.0
	v_cndmask_b32_e64 v6, v15, v6, s2
	v_cmp_nlt_f32_e64 s2, 0x42b17218, v1
	v_lshlrev_b32_e32 v15, 30, v13
	v_fmac_f32_e32 v12, v12, v21
	s_delay_alu instid0(VALU_DEP_4) | instskip(NEXT) | instid1(VALU_DEP_4)
	v_xor3_b32 v5, v5, v18, v6
	v_cndmask_b32_e64 v8, 0x7f800000, v11, s2
	v_cndmask_b32_e32 v11, v28, v17, vcc_lo
	v_cmp_eq_u32_e32 vcc_lo, 0, v10
	v_fmaak_f32 v10, v20, v24, 0xbf000004
	v_and_b32_e32 v6, 1, v13
	v_and_b32_e32 v13, 0x80000000, v15
	v_mul_f32_e32 v23, v16, v23
	v_cmp_ngt_f32_e64 s2, 0xc1880000, v1
	v_fma_f32 v10, v20, v10, 1.0
	s_delay_alu instid0(VALU_DEP_3) | instskip(NEXT) | instid1(VALU_DEP_1)
	v_dual_fmaak_f32 v22, v16, v22, 0xbf000004 :: v_dual_fmac_f32 v9, v9, v23
	v_fma_f32 v16, v16, v22, 1.0
	s_delay_alu instid0(VALU_DEP_1) | instskip(SKIP_1) | instid1(VALU_DEP_2)
	v_cndmask_b32_e64 v9, -v9, v16, vcc_lo
	v_cmp_class_f32_e64 vcc_lo, v4, 0x1f8
	v_xor_b32_e32 v9, v14, v9
	v_cndmask_b32_e32 v4, 0x7fc00000, v5, vcc_lo
	v_cmp_eq_u32_e32 vcc_lo, 0, v6
	v_xor_b32_e32 v6, v7, v13
	v_cndmask_b32_e32 v5, v10, v12, vcc_lo
	v_cmp_nlt_f32_e32 vcc_lo, 0x42b17217, v1
	v_dual_add_f32 v10, v4, v4 :: v_dual_cndmask_b32 v7, 0x7f800000, v11
	s_delay_alu instid0(VALU_DEP_1) | instskip(SKIP_2) | instid1(VALU_DEP_4)
	v_mul_f32_e32 v4, v4, v10
	v_cmp_class_f32_e64 vcc_lo, v2, 0x1f8
	v_xor3_b32 v2, v6, v5, v2
	v_cndmask_b32_e64 v1, -1.0, v7, s2
	s_delay_alu instid0(VALU_DEP_2) | instskip(NEXT) | instid1(VALU_DEP_1)
	v_cndmask_b32_e32 v2, 0x7fc00000, v2, vcc_lo
	v_dual_cndmask_b32 v5, 0x7fc00000, v9 :: v_dual_mul_f32 v2, v8, v2
	s_delay_alu instid0(VALU_DEP_1)
	v_fma_f32 v1, v1, v5, -v4
	global_store_b64 v0, v[1:2], s[8:9]
.LBB141_185:
	s_or_b32 exec_lo, exec_lo, s30
	v_cmp_gt_i32_e32 vcc_lo, s27, v3
	s_mov_b32 s3, 0
                                        ; implicit-def: $vgpr6
                                        ; implicit-def: $vgpr4_vgpr5
	s_and_saveexec_b32 s27, vcc_lo
	s_cbranch_execz .LBB141_212
; %bb.186:
	s_and_not1_b32 vcc_lo, exec_lo, s24
	s_cbranch_vccnz .LBB141_191
; %bb.187:
	v_dual_mov_b32 v0, 0 :: v_dual_mov_b32 v1, 0
	s_and_not1_b32 vcc_lo, exec_lo, s29
	s_mov_b32 s29, 0
	s_cbranch_vccnz .LBB141_196
; %bb.188:
	v_mov_b32_e32 v0, 0
	s_add_i32 s28, s28, 1
	s_cmp_eq_u32 s23, 2
	s_mov_b32 s4, 0
	s_cbranch_scc1 .LBB141_192
; %bb.189:
	v_dual_mov_b32 v1, 0 :: v_dual_mov_b32 v0, 0
	v_mov_b32_e32 v2, v3
	s_and_b32 s4, s28, 28
	s_mov_b32 s5, 0
	s_mov_b64 s[2:3], s[0:1]
.LBB141_190:                            ; =>This Inner Loop Header: Depth=1
	s_clause 0x1
	s_load_b256 s[36:43], s[2:3], 0x4
	s_load_b128 s[52:55], s[2:3], 0x24
	s_load_b256 s[44:51], s[20:21], 0x0
	s_add_u32 s2, s2, 48
	s_addc_u32 s3, s3, 0
	s_add_i32 s5, s5, 4
	s_add_u32 s20, s20, 32
	s_addc_u32 s21, s21, 0
	s_cmp_eq_u32 s4, s5
	s_waitcnt lgkmcnt(0)
	v_mul_hi_u32 v4, s37, v2
	s_delay_alu instid0(VALU_DEP_1) | instskip(NEXT) | instid1(VALU_DEP_1)
	v_add_nc_u32_e32 v4, v2, v4
	v_lshrrev_b32_e32 v4, s38, v4
	s_delay_alu instid0(VALU_DEP_1) | instskip(SKIP_1) | instid1(VALU_DEP_2)
	v_mul_hi_u32 v5, s40, v4
	v_mul_lo_u32 v7, v4, s36
	v_add_nc_u32_e32 v5, v4, v5
	s_delay_alu instid0(VALU_DEP_2) | instskip(NEXT) | instid1(VALU_DEP_2)
	v_sub_nc_u32_e32 v2, v2, v7
	v_lshrrev_b32_e32 v5, s41, v5
	s_delay_alu instid0(VALU_DEP_2) | instskip(SKIP_1) | instid1(VALU_DEP_3)
	v_mul_lo_u32 v7, v2, s44
	v_mul_lo_u32 v9, v2, s45
	v_mul_hi_u32 v6, s43, v5
	s_delay_alu instid0(VALU_DEP_1) | instskip(NEXT) | instid1(VALU_DEP_1)
	v_add_nc_u32_e32 v6, v5, v6
	v_lshrrev_b32_e32 v6, s52, v6
	s_delay_alu instid0(VALU_DEP_1) | instskip(SKIP_1) | instid1(VALU_DEP_2)
	v_mul_hi_u32 v8, s54, v6
	v_mul_lo_u32 v10, v6, s42
	v_add_nc_u32_e32 v2, v6, v8
	v_mul_lo_u32 v8, v5, s39
	s_delay_alu instid0(VALU_DEP_3) | instskip(NEXT) | instid1(VALU_DEP_3)
	v_sub_nc_u32_e32 v5, v5, v10
	v_lshrrev_b32_e32 v2, s55, v2
	s_delay_alu instid0(VALU_DEP_2) | instskip(SKIP_2) | instid1(VALU_DEP_4)
	v_mul_lo_u32 v10, v5, s48
	v_mul_lo_u32 v5, v5, s49
	v_sub_nc_u32_e32 v4, v4, v8
	v_mul_lo_u32 v11, v2, s53
	s_delay_alu instid0(VALU_DEP_2) | instskip(SKIP_1) | instid1(VALU_DEP_3)
	v_mul_lo_u32 v8, v4, s46
	v_mul_lo_u32 v4, v4, s47
	v_sub_nc_u32_e32 v6, v6, v11
	s_delay_alu instid0(VALU_DEP_3) | instskip(NEXT) | instid1(VALU_DEP_2)
	v_add3_u32 v0, v7, v0, v8
	v_mul_lo_u32 v11, v6, s50
	v_mul_lo_u32 v6, v6, s51
	v_add3_u32 v1, v9, v1, v4
	s_delay_alu instid0(VALU_DEP_3) | instskip(NEXT) | instid1(VALU_DEP_2)
	v_add3_u32 v0, v10, v0, v11
	v_add3_u32 v1, v5, v1, v6
	s_cbranch_scc0 .LBB141_190
	s_branch .LBB141_193
.LBB141_191:
	s_mov_b32 s29, -1
                                        ; implicit-def: $vgpr0
                                        ; implicit-def: $vgpr1
	s_branch .LBB141_196
.LBB141_192:
	v_dual_mov_b32 v2, v3 :: v_dual_mov_b32 v1, 0
.LBB141_193:
	s_and_b32 s20, s28, 3
	s_delay_alu instid0(SALU_CYCLE_1)
	s_cmp_eq_u32 s20, 0
	s_cbranch_scc1 .LBB141_196
; %bb.194:
	s_lshl_b32 s2, s4, 3
	s_mul_i32 s4, s4, 12
	s_add_u32 s2, s2, s0
	s_addc_u32 s3, s1, 0
	s_add_u32 s2, s2, 0xc4
	s_addc_u32 s3, s3, 0
	;; [unrolled: 2-line block ×3, first 2 shown]
	.p2align	6
.LBB141_195:                            ; =>This Inner Loop Header: Depth=1
	s_clause 0x1
	s_load_b64 s[30:31], s[4:5], 0x4
	s_load_b32 s21, s[4:5], 0xc
	s_load_b64 s[34:35], s[2:3], 0x0
	s_add_u32 s4, s4, 12
	s_addc_u32 s5, s5, 0
	s_add_u32 s2, s2, 8
	s_addc_u32 s3, s3, 0
	s_add_i32 s20, s20, -1
	s_delay_alu instid0(SALU_CYCLE_1) | instskip(SKIP_2) | instid1(VALU_DEP_1)
	s_cmp_lg_u32 s20, 0
	s_waitcnt lgkmcnt(0)
	v_mul_hi_u32 v4, s31, v2
	v_add_nc_u32_e32 v4, v2, v4
	s_delay_alu instid0(VALU_DEP_1) | instskip(NEXT) | instid1(VALU_DEP_1)
	v_lshrrev_b32_e32 v7, s21, v4
	v_mul_lo_u32 v4, v7, s30
	s_delay_alu instid0(VALU_DEP_1) | instskip(NEXT) | instid1(VALU_DEP_1)
	v_sub_nc_u32_e32 v2, v2, v4
	v_mad_u64_u32 v[4:5], null, v2, s34, v[0:1]
	v_mad_u64_u32 v[5:6], null, v2, s35, v[1:2]
	v_mov_b32_e32 v2, v7
	s_delay_alu instid0(VALU_DEP_2)
	v_dual_mov_b32 v0, v4 :: v_dual_mov_b32 v1, v5
	s_cbranch_scc1 .LBB141_195
.LBB141_196:
	s_and_not1_b32 vcc_lo, exec_lo, s29
	s_cbranch_vccnz .LBB141_199
; %bb.197:
	s_waitcnt lgkmcnt(0)
	v_mul_hi_u32 v0, s17, v3
	s_and_not1_b32 vcc_lo, exec_lo, s26
	s_delay_alu instid0(VALU_DEP_1) | instskip(NEXT) | instid1(VALU_DEP_1)
	v_add_nc_u32_e32 v0, v3, v0
	v_lshrrev_b32_e32 v2, s18, v0
	s_delay_alu instid0(VALU_DEP_1) | instskip(NEXT) | instid1(VALU_DEP_1)
	v_mul_lo_u32 v0, v2, s16
	v_sub_nc_u32_e32 v1, v3, v0
	s_delay_alu instid0(VALU_DEP_1)
	v_mul_lo_u32 v0, v1, s12
	v_mul_lo_u32 v1, v1, s13
	s_cbranch_vccnz .LBB141_199
; %bb.198:
	v_mul_hi_u32 v3, s6, v2
	s_delay_alu instid0(VALU_DEP_1) | instskip(NEXT) | instid1(VALU_DEP_1)
	v_add_nc_u32_e32 v3, v2, v3
	v_lshrrev_b32_e32 v3, s7, v3
	s_delay_alu instid0(VALU_DEP_1) | instskip(NEXT) | instid1(VALU_DEP_1)
	v_mul_lo_u32 v3, v3, s19
	v_sub_nc_u32_e32 v5, v2, v3
	s_delay_alu instid0(VALU_DEP_1) | instskip(NEXT) | instid1(VALU_DEP_1)
	v_mad_u64_u32 v[2:3], null, v5, s14, v[0:1]
	v_mad_u64_u32 v[3:4], null, v5, s15, v[1:2]
	s_delay_alu instid0(VALU_DEP_1)
	v_dual_mov_b32 v0, v2 :: v_dual_mov_b32 v1, v3
.LBB141_199:
	s_waitcnt lgkmcnt(0)
	global_load_b64 v[1:2], v1, s[10:11]
                                        ; implicit-def: $vgpr7
                                        ; implicit-def: $vgpr5
	s_mov_b32 s3, exec_lo
	s_waitcnt vmcnt(0)
	v_mul_f32_e32 v3, 0.5, v2
	s_delay_alu instid0(VALU_DEP_1)
	v_and_b32_e32 v4, 0x7fffffff, v3
	v_cmpx_ngt_f32_e64 0x48000000, |v3|
	s_xor_b32 s5, exec_lo, s3
	s_cbranch_execz .LBB141_201
; %bb.200:
	s_mov_b32 s2, 0x7fffff
	v_mov_b32_e32 v7, 0
	v_and_or_b32 v15, v4, s2, 0x800000
	v_lshrrev_b32_e32 v12, 23, v4
	s_delay_alu instid0(VALU_DEP_2) | instskip(NEXT) | instid1(VALU_DEP_2)
	v_mad_u64_u32 v[5:6], null, 0xfe5163ab, v15, 0
	v_add_nc_u32_e32 v13, 0xffffff88, v12
	s_delay_alu instid0(VALU_DEP_1) | instskip(NEXT) | instid1(VALU_DEP_3)
	v_cmp_lt_u32_e32 vcc_lo, 63, v13
	v_mad_u64_u32 v[8:9], null, 0x3c439041, v15, v[6:7]
	v_cndmask_b32_e64 v14, 0, 0xffffffc0, vcc_lo
	s_delay_alu instid0(VALU_DEP_2) | instskip(NEXT) | instid1(VALU_DEP_2)
	v_mov_b32_e32 v6, v9
	v_add_nc_u32_e32 v14, v14, v13
	s_delay_alu instid0(VALU_DEP_2) | instskip(NEXT) | instid1(VALU_DEP_2)
	v_mad_u64_u32 v[9:10], null, 0xdb629599, v15, v[6:7]
	v_cmp_lt_u32_e64 s2, 31, v14
	s_delay_alu instid0(VALU_DEP_1) | instskip(NEXT) | instid1(VALU_DEP_3)
	v_cndmask_b32_e64 v16, 0, 0xffffffe0, s2
	v_dual_mov_b32 v6, v10 :: v_dual_cndmask_b32 v5, v9, v5
	s_delay_alu instid0(VALU_DEP_2) | instskip(NEXT) | instid1(VALU_DEP_2)
	v_add_nc_u32_e32 v16, v16, v14
	v_mad_u64_u32 v[10:11], null, 0xf534ddc0, v15, v[6:7]
	s_delay_alu instid0(VALU_DEP_2) | instskip(NEXT) | instid1(VALU_DEP_2)
	v_cmp_lt_u32_e64 s3, 31, v16
	v_mov_b32_e32 v6, v11
	s_delay_alu instid0(VALU_DEP_3) | instskip(NEXT) | instid1(VALU_DEP_2)
	v_cndmask_b32_e32 v8, v10, v8, vcc_lo
	v_mad_u64_u32 v[11:12], null, 0xfc2757d1, v15, v[6:7]
	s_delay_alu instid0(VALU_DEP_2) | instskip(NEXT) | instid1(VALU_DEP_2)
	v_cndmask_b32_e64 v5, v8, v5, s2
	v_mov_b32_e32 v6, v12
	s_delay_alu instid0(VALU_DEP_1) | instskip(NEXT) | instid1(VALU_DEP_1)
	v_mad_u64_u32 v[12:13], null, 0x4e441529, v15, v[6:7]
	v_mov_b32_e32 v6, v13
	s_delay_alu instid0(VALU_DEP_1) | instskip(SKIP_1) | instid1(VALU_DEP_1)
	v_mad_u64_u32 v[13:14], null, 0xa2f9836e, v15, v[6:7]
	v_cndmask_b32_e64 v6, 0, 0xffffffe0, s3
	v_dual_cndmask_b32 v7, v12, v10 :: v_dual_add_nc_u32 v6, v6, v16
	s_delay_alu instid0(VALU_DEP_3) | instskip(NEXT) | instid1(VALU_DEP_4)
	v_cndmask_b32_e32 v13, v13, v11, vcc_lo
	v_dual_cndmask_b32 v11, v11, v9 :: v_dual_cndmask_b32 v12, v14, v12
	s_delay_alu instid0(VALU_DEP_3) | instskip(NEXT) | instid1(VALU_DEP_3)
	v_cmp_eq_u32_e64 s4, 0, v6
	v_cndmask_b32_e64 v10, v13, v7, s2
	s_delay_alu instid0(VALU_DEP_3) | instskip(NEXT) | instid1(VALU_DEP_4)
	v_cndmask_b32_e64 v7, v7, v11, s2
	v_cndmask_b32_e64 v12, v12, v13, s2
	v_sub_nc_u32_e32 v13, 32, v6
	v_cndmask_b32_e64 v11, v11, v8, s2
	s_delay_alu instid0(VALU_DEP_3) | instskip(SKIP_1) | instid1(VALU_DEP_3)
	v_cndmask_b32_e64 v12, v12, v10, s3
	v_cndmask_b32_e64 v10, v10, v7, s3
	;; [unrolled: 1-line block ×4, first 2 shown]
	s_delay_alu instid0(VALU_DEP_3) | instskip(NEXT) | instid1(VALU_DEP_3)
	v_alignbit_b32 v14, v12, v10, v13
	v_alignbit_b32 v15, v10, v7, v13
	s_delay_alu instid0(VALU_DEP_3) | instskip(NEXT) | instid1(VALU_DEP_3)
	v_alignbit_b32 v13, v7, v5, v13
	v_cndmask_b32_e64 v6, v14, v12, s4
	s_delay_alu instid0(VALU_DEP_3) | instskip(NEXT) | instid1(VALU_DEP_3)
	v_cndmask_b32_e64 v9, v15, v10, s4
	v_cndmask_b32_e64 v7, v13, v7, s4
	s_delay_alu instid0(VALU_DEP_3) | instskip(NEXT) | instid1(VALU_DEP_3)
	v_bfe_u32 v10, v6, 29, 1
	v_alignbit_b32 v8, v6, v9, 30
	s_delay_alu instid0(VALU_DEP_3) | instskip(SKIP_1) | instid1(VALU_DEP_4)
	v_alignbit_b32 v9, v9, v7, 30
	v_alignbit_b32 v5, v7, v5, 30
	v_sub_nc_u32_e32 v12, 0, v10
	s_delay_alu instid0(VALU_DEP_1) | instskip(SKIP_3) | instid1(VALU_DEP_4)
	v_xor_b32_e32 v11, v8, v12
	v_cmp_ne_u32_e32 vcc_lo, v8, v12
	v_xor_b32_e32 v7, v9, v12
	v_xor_b32_e32 v5, v5, v12
	v_clz_i32_u32_e32 v14, v11
	s_delay_alu instid0(VALU_DEP_1) | instskip(NEXT) | instid1(VALU_DEP_1)
	v_add_nc_u32_e32 v13, 1, v14
	v_cndmask_b32_e32 v8, 33, v13, vcc_lo
	s_delay_alu instid0(VALU_DEP_1) | instskip(NEXT) | instid1(VALU_DEP_1)
	v_sub_nc_u32_e32 v9, 32, v8
	v_alignbit_b32 v11, v11, v7, v9
	v_alignbit_b32 v5, v7, v5, v9
	v_lshrrev_b32_e32 v7, 29, v6
	v_lshrrev_b32_e32 v6, 30, v6
	s_delay_alu instid0(VALU_DEP_3) | instskip(NEXT) | instid1(VALU_DEP_3)
	v_alignbit_b32 v9, v11, v5, 9
	v_lshlrev_b32_e32 v7, 31, v7
	v_alignbit_b32 v11, v8, v11, 9
	s_delay_alu instid0(VALU_DEP_3) | instskip(NEXT) | instid1(VALU_DEP_2)
	v_clz_i32_u32_e32 v12, v9
	v_or_b32_e32 v11, v11, v7
	v_or_b32_e32 v7, 0x33800000, v7
	s_delay_alu instid0(VALU_DEP_3) | instskip(NEXT) | instid1(VALU_DEP_3)
	v_min_u32_e32 v12, 32, v12
	v_xor_b32_e32 v11, 1.0, v11
	s_delay_alu instid0(VALU_DEP_2) | instskip(SKIP_1) | instid1(VALU_DEP_3)
	v_sub_nc_u32_e32 v13, 31, v12
	v_add_lshl_u32 v8, v12, v8, 23
	v_mul_f32_e32 v12, 0x3fc90fda, v11
	s_delay_alu instid0(VALU_DEP_3) | instskip(NEXT) | instid1(VALU_DEP_3)
	v_alignbit_b32 v5, v9, v5, v13
	v_sub_nc_u32_e32 v7, v7, v8
	s_delay_alu instid0(VALU_DEP_3) | instskip(NEXT) | instid1(VALU_DEP_3)
	v_fma_f32 v8, 0x3fc90fda, v11, -v12
	v_lshrrev_b32_e32 v5, 9, v5
	s_delay_alu instid0(VALU_DEP_2) | instskip(NEXT) | instid1(VALU_DEP_2)
	v_fmamk_f32 v8, v11, 0x33a22168, v8
	v_or_b32_e32 v5, v7, v5
	s_delay_alu instid0(VALU_DEP_1) | instskip(NEXT) | instid1(VALU_DEP_1)
	v_dual_fmac_f32 v8, 0x3fc90fda, v5 :: v_dual_add_nc_u32 v7, v10, v6
	v_add_f32_e32 v5, v12, v8
.LBB141_201:
	s_and_not1_saveexec_b32 s2, s5
; %bb.202:
	v_mul_f32_e64 v5, 0x3f22f983, |v3|
	s_delay_alu instid0(VALU_DEP_1) | instskip(NEXT) | instid1(VALU_DEP_1)
	v_rndne_f32_e32 v6, v5
	v_fma_f32 v5, 0xbfc90fda, v6, |v3|
	v_cvt_i32_f32_e32 v7, v6
	s_delay_alu instid0(VALU_DEP_2) | instskip(NEXT) | instid1(VALU_DEP_1)
	v_fmamk_f32 v5, v6, 0xb3a22168, v5
	v_fmamk_f32 v5, v6, 0xa7c234c4, v5
; %bb.203:
	s_or_b32 exec_lo, exec_lo, s2
	v_and_b32_e32 v6, 0x7fffffff, v2
	v_cmp_ngt_f32_e64 s5, 0x48000000, |v2|
                                        ; implicit-def: $vgpr9
                                        ; implicit-def: $vgpr8
	s_delay_alu instid0(VALU_DEP_2) | instskip(NEXT) | instid1(VALU_DEP_2)
	v_lshrrev_b32_e32 v10, 23, v6
	s_and_saveexec_b32 s2, s5
	s_delay_alu instid0(SALU_CYCLE_1)
	s_xor_b32 s6, exec_lo, s2
	s_cbranch_execz .LBB141_205
; %bb.204:
	s_mov_b32 s2, 0x7fffff
	s_delay_alu instid0(SALU_CYCLE_1) | instskip(NEXT) | instid1(VALU_DEP_1)
	v_and_or_b32 v20, v6, s2, 0x800000
	v_mad_u64_u32 v[8:9], null, 0xfe5163ab, v20, 0
	s_delay_alu instid0(VALU_DEP_1) | instskip(SKIP_1) | instid1(VALU_DEP_2)
	v_dual_mov_b32 v12, 0 :: v_dual_mov_b32 v11, v9
	v_add_nc_u32_e32 v9, 0xffffff88, v10
	v_mad_u64_u32 v[13:14], null, 0x3c439041, v20, v[11:12]
	s_delay_alu instid0(VALU_DEP_2) | instskip(SKIP_1) | instid1(VALU_DEP_3)
	v_cmp_lt_u32_e32 vcc_lo, 63, v9
	v_cndmask_b32_e64 v18, 0, 0xffffffc0, vcc_lo
	v_mov_b32_e32 v11, v14
	s_delay_alu instid0(VALU_DEP_2) | instskip(NEXT) | instid1(VALU_DEP_2)
	v_add_nc_u32_e32 v9, v18, v9
	v_mad_u64_u32 v[14:15], null, 0xdb629599, v20, v[11:12]
	s_delay_alu instid0(VALU_DEP_2) | instskip(NEXT) | instid1(VALU_DEP_2)
	v_cmp_lt_u32_e64 s2, 31, v9
	v_mov_b32_e32 v11, v15
	s_delay_alu instid0(VALU_DEP_2) | instskip(NEXT) | instid1(VALU_DEP_4)
	v_cndmask_b32_e64 v19, 0, 0xffffffe0, s2
	v_cndmask_b32_e32 v8, v14, v8, vcc_lo
	s_delay_alu instid0(VALU_DEP_3) | instskip(NEXT) | instid1(VALU_DEP_3)
	v_mad_u64_u32 v[15:16], null, 0xf534ddc0, v20, v[11:12]
	v_add_nc_u32_e32 v9, v19, v9
	s_delay_alu instid0(VALU_DEP_1) | instskip(NEXT) | instid1(VALU_DEP_3)
	v_cmp_lt_u32_e64 s3, 31, v9
	v_mov_b32_e32 v11, v16
	s_delay_alu instid0(VALU_DEP_1) | instskip(NEXT) | instid1(VALU_DEP_1)
	v_mad_u64_u32 v[16:17], null, 0xfc2757d1, v20, v[11:12]
	v_mov_b32_e32 v11, v17
	s_delay_alu instid0(VALU_DEP_1) | instskip(NEXT) | instid1(VALU_DEP_1)
	v_mad_u64_u32 v[17:18], null, 0x4e441529, v20, v[11:12]
	v_mov_b32_e32 v11, v18
	s_delay_alu instid0(VALU_DEP_1) | instskip(SKIP_1) | instid1(VALU_DEP_1)
	v_mad_u64_u32 v[18:19], null, 0xa2f9836e, v20, v[11:12]
	v_cndmask_b32_e64 v11, 0, 0xffffffe0, s3
	v_dual_cndmask_b32 v12, v17, v15 :: v_dual_add_nc_u32 v9, v11, v9
	s_delay_alu instid0(VALU_DEP_3) | instskip(SKIP_1) | instid1(VALU_DEP_3)
	v_dual_cndmask_b32 v18, v18, v16 :: v_dual_cndmask_b32 v17, v19, v17
	v_dual_cndmask_b32 v16, v16, v14 :: v_dual_cndmask_b32 v11, v15, v13
	v_cmp_eq_u32_e64 s4, 0, v9
	s_delay_alu instid0(VALU_DEP_3) | instskip(NEXT) | instid1(VALU_DEP_4)
	v_cndmask_b32_e64 v13, v18, v12, s2
	v_cndmask_b32_e64 v15, v17, v18, s2
	s_delay_alu instid0(VALU_DEP_4)
	v_cndmask_b32_e64 v12, v12, v16, s2
	v_sub_nc_u32_e32 v17, 32, v9
	v_cndmask_b32_e64 v16, v16, v11, s2
	v_cndmask_b32_e64 v8, v11, v8, s2
	;; [unrolled: 1-line block ×4, first 2 shown]
	s_delay_alu instid0(VALU_DEP_4) | instskip(NEXT) | instid1(VALU_DEP_4)
	v_cndmask_b32_e64 v12, v12, v16, s3
	v_cndmask_b32_e64 v8, v16, v8, s3
	s_delay_alu instid0(VALU_DEP_3) | instskip(NEXT) | instid1(VALU_DEP_3)
	v_alignbit_b32 v18, v15, v13, v17
	v_alignbit_b32 v19, v13, v12, v17
	s_delay_alu instid0(VALU_DEP_3) | instskip(NEXT) | instid1(VALU_DEP_3)
	v_alignbit_b32 v17, v12, v8, v17
	v_cndmask_b32_e64 v9, v18, v15, s4
	s_delay_alu instid0(VALU_DEP_3) | instskip(NEXT) | instid1(VALU_DEP_3)
	v_cndmask_b32_e64 v13, v19, v13, s4
	v_cndmask_b32_e64 v12, v17, v12, s4
	s_delay_alu instid0(VALU_DEP_3) | instskip(NEXT) | instid1(VALU_DEP_3)
	v_bfe_u32 v14, v9, 29, 1
	v_alignbit_b32 v11, v9, v13, 30
	s_delay_alu instid0(VALU_DEP_3) | instskip(SKIP_1) | instid1(VALU_DEP_4)
	v_alignbit_b32 v13, v13, v12, 30
	v_alignbit_b32 v8, v12, v8, 30
	v_sub_nc_u32_e32 v15, 0, v14
	s_delay_alu instid0(VALU_DEP_1) | instskip(SKIP_3) | instid1(VALU_DEP_4)
	v_xor_b32_e32 v16, v11, v15
	v_cmp_ne_u32_e32 vcc_lo, v11, v15
	v_xor_b32_e32 v12, v13, v15
	v_xor_b32_e32 v8, v8, v15
	v_clz_i32_u32_e32 v18, v16
	s_delay_alu instid0(VALU_DEP_1) | instskip(NEXT) | instid1(VALU_DEP_1)
	v_add_nc_u32_e32 v17, 1, v18
	v_cndmask_b32_e32 v11, 33, v17, vcc_lo
	s_delay_alu instid0(VALU_DEP_1) | instskip(NEXT) | instid1(VALU_DEP_1)
	v_sub_nc_u32_e32 v13, 32, v11
	v_alignbit_b32 v15, v16, v12, v13
	v_alignbit_b32 v8, v12, v8, v13
	v_lshrrev_b32_e32 v12, 29, v9
	v_lshrrev_b32_e32 v9, 30, v9
	s_delay_alu instid0(VALU_DEP_3) | instskip(NEXT) | instid1(VALU_DEP_3)
	v_alignbit_b32 v13, v15, v8, 9
	v_lshlrev_b32_e32 v12, 31, v12
	v_alignbit_b32 v15, v11, v15, 9
	s_delay_alu instid0(VALU_DEP_4) | instskip(NEXT) | instid1(VALU_DEP_4)
	v_add_nc_u32_e32 v9, v14, v9
	v_clz_i32_u32_e32 v16, v13
	s_delay_alu instid0(VALU_DEP_3) | instskip(SKIP_1) | instid1(VALU_DEP_3)
	v_or_b32_e32 v15, v15, v12
	v_or_b32_e32 v12, 0x33800000, v12
	v_min_u32_e32 v16, 32, v16
	s_delay_alu instid0(VALU_DEP_3) | instskip(NEXT) | instid1(VALU_DEP_2)
	v_xor_b32_e32 v15, 1.0, v15
	v_sub_nc_u32_e32 v17, 31, v16
	v_add_lshl_u32 v11, v16, v11, 23
	s_delay_alu instid0(VALU_DEP_3) | instskip(NEXT) | instid1(VALU_DEP_3)
	v_mul_f32_e32 v16, 0x3fc90fda, v15
	v_alignbit_b32 v8, v13, v8, v17
	s_delay_alu instid0(VALU_DEP_3) | instskip(NEXT) | instid1(VALU_DEP_3)
	v_sub_nc_u32_e32 v11, v12, v11
	v_fma_f32 v12, 0x3fc90fda, v15, -v16
	s_delay_alu instid0(VALU_DEP_3) | instskip(NEXT) | instid1(VALU_DEP_2)
	v_lshrrev_b32_e32 v8, 9, v8
	v_fmamk_f32 v12, v15, 0x33a22168, v12
	s_delay_alu instid0(VALU_DEP_2) | instskip(NEXT) | instid1(VALU_DEP_1)
	v_or_b32_e32 v8, v11, v8
	v_fmac_f32_e32 v12, 0x3fc90fda, v8
	s_delay_alu instid0(VALU_DEP_1)
	v_add_f32_e32 v8, v16, v12
	s_or_saveexec_b32 s2, s6
	v_mul_f32_e64 v13, 0x3f22f983, |v2|
	s_xor_b32 exec_lo, exec_lo, s2
	s_branch .LBB141_206
.LBB141_205:
	s_or_saveexec_b32 s2, s6
	v_mul_f32_e64 v13, 0x3f22f983, |v2|
	s_xor_b32 exec_lo, exec_lo, s2
.LBB141_206:
	s_delay_alu instid0(VALU_DEP_1) | instskip(NEXT) | instid1(VALU_DEP_1)
	v_rndne_f32_e32 v9, v13
	v_fma_f32 v8, 0xbfc90fda, v9, |v2|
	s_delay_alu instid0(VALU_DEP_1) | instskip(NEXT) | instid1(VALU_DEP_1)
	v_fmamk_f32 v8, v9, 0xb3a22168, v8
	v_fmamk_f32 v8, v9, 0xa7c234c4, v8
	v_cvt_i32_f32_e32 v9, v9
; %bb.207:
	s_or_b32 exec_lo, exec_lo, s2
                                        ; implicit-def: $vgpr12
                                        ; implicit-def: $vgpr11
	s_and_saveexec_b32 s2, s5
	s_delay_alu instid0(SALU_CYCLE_1)
	s_xor_b32 s5, exec_lo, s2
	s_cbranch_execz .LBB141_209
; %bb.208:
	s_mov_b32 s2, 0x7fffff
	v_mov_b32_e32 v13, 0
	v_and_or_b32 v21, v6, s2, 0x800000
	s_delay_alu instid0(VALU_DEP_1) | instskip(NEXT) | instid1(VALU_DEP_1)
	v_mad_u64_u32 v[11:12], null, 0xfe5163ab, v21, 0
	v_mad_u64_u32 v[14:15], null, 0x3c439041, v21, v[12:13]
	s_delay_alu instid0(VALU_DEP_1) | instskip(NEXT) | instid1(VALU_DEP_1)
	v_mov_b32_e32 v12, v15
	v_mad_u64_u32 v[15:16], null, 0xdb629599, v21, v[12:13]
	v_add_nc_u32_e32 v10, 0xffffff88, v10
	s_delay_alu instid0(VALU_DEP_1) | instskip(NEXT) | instid1(VALU_DEP_3)
	v_cmp_lt_u32_e32 vcc_lo, 63, v10
	v_mov_b32_e32 v12, v16
	v_cndmask_b32_e64 v19, 0, 0xffffffc0, vcc_lo
	s_delay_alu instid0(VALU_DEP_2) | instskip(SKIP_1) | instid1(VALU_DEP_3)
	v_mad_u64_u32 v[16:17], null, 0xf534ddc0, v21, v[12:13]
	v_cndmask_b32_e32 v11, v15, v11, vcc_lo
	v_add_nc_u32_e32 v10, v19, v10
	s_delay_alu instid0(VALU_DEP_3) | instskip(NEXT) | instid1(VALU_DEP_2)
	v_mov_b32_e32 v12, v17
	v_cmp_lt_u32_e64 s2, 31, v10
	s_delay_alu instid0(VALU_DEP_2) | instskip(NEXT) | instid1(VALU_DEP_2)
	v_mad_u64_u32 v[17:18], null, 0xfc2757d1, v21, v[12:13]
	v_cndmask_b32_e64 v20, 0, 0xffffffe0, s2
	s_delay_alu instid0(VALU_DEP_1) | instskip(NEXT) | instid1(VALU_DEP_3)
	v_add_nc_u32_e32 v10, v20, v10
	v_mov_b32_e32 v12, v18
	s_delay_alu instid0(VALU_DEP_2) | instskip(NEXT) | instid1(VALU_DEP_2)
	v_cmp_lt_u32_e64 s3, 31, v10
	v_mad_u64_u32 v[18:19], null, 0x4e441529, v21, v[12:13]
	s_delay_alu instid0(VALU_DEP_1) | instskip(NEXT) | instid1(VALU_DEP_1)
	v_mov_b32_e32 v12, v19
	v_mad_u64_u32 v[19:20], null, 0xa2f9836e, v21, v[12:13]
	s_delay_alu instid0(VALU_DEP_4) | instskip(NEXT) | instid1(VALU_DEP_1)
	v_cndmask_b32_e64 v12, 0, 0xffffffe0, s3
	v_dual_cndmask_b32 v13, v18, v16 :: v_dual_add_nc_u32 v10, v12, v10
	s_delay_alu instid0(VALU_DEP_3) | instskip(SKIP_1) | instid1(VALU_DEP_3)
	v_dual_cndmask_b32 v19, v19, v17 :: v_dual_cndmask_b32 v18, v20, v18
	v_dual_cndmask_b32 v17, v17, v15 :: v_dual_cndmask_b32 v12, v16, v14
	v_cmp_eq_u32_e64 s4, 0, v10
	s_delay_alu instid0(VALU_DEP_3) | instskip(NEXT) | instid1(VALU_DEP_4)
	v_cndmask_b32_e64 v14, v19, v13, s2
	v_cndmask_b32_e64 v16, v18, v19, s2
	s_delay_alu instid0(VALU_DEP_4)
	v_cndmask_b32_e64 v13, v13, v17, s2
	v_sub_nc_u32_e32 v18, 32, v10
	v_cndmask_b32_e64 v17, v17, v12, s2
	v_cndmask_b32_e64 v11, v12, v11, s2
	;; [unrolled: 1-line block ×4, first 2 shown]
	s_delay_alu instid0(VALU_DEP_4) | instskip(NEXT) | instid1(VALU_DEP_4)
	v_cndmask_b32_e64 v13, v13, v17, s3
	v_cndmask_b32_e64 v11, v17, v11, s3
	s_delay_alu instid0(VALU_DEP_3) | instskip(NEXT) | instid1(VALU_DEP_3)
	v_alignbit_b32 v19, v16, v14, v18
	v_alignbit_b32 v20, v14, v13, v18
	s_delay_alu instid0(VALU_DEP_3) | instskip(NEXT) | instid1(VALU_DEP_3)
	v_alignbit_b32 v18, v13, v11, v18
	v_cndmask_b32_e64 v10, v19, v16, s4
	s_delay_alu instid0(VALU_DEP_3) | instskip(NEXT) | instid1(VALU_DEP_3)
	v_cndmask_b32_e64 v14, v20, v14, s4
	v_cndmask_b32_e64 v13, v18, v13, s4
	s_delay_alu instid0(VALU_DEP_3) | instskip(NEXT) | instid1(VALU_DEP_3)
	v_bfe_u32 v15, v10, 29, 1
	v_alignbit_b32 v12, v10, v14, 30
	s_delay_alu instid0(VALU_DEP_3) | instskip(SKIP_1) | instid1(VALU_DEP_4)
	v_alignbit_b32 v14, v14, v13, 30
	v_alignbit_b32 v11, v13, v11, 30
	v_sub_nc_u32_e32 v16, 0, v15
	s_delay_alu instid0(VALU_DEP_1) | instskip(SKIP_3) | instid1(VALU_DEP_4)
	v_xor_b32_e32 v17, v12, v16
	v_cmp_ne_u32_e32 vcc_lo, v12, v16
	v_xor_b32_e32 v13, v14, v16
	v_xor_b32_e32 v11, v11, v16
	v_clz_i32_u32_e32 v19, v17
	s_delay_alu instid0(VALU_DEP_1) | instskip(NEXT) | instid1(VALU_DEP_1)
	v_add_nc_u32_e32 v18, 1, v19
	v_cndmask_b32_e32 v12, 33, v18, vcc_lo
	s_delay_alu instid0(VALU_DEP_1) | instskip(NEXT) | instid1(VALU_DEP_1)
	v_sub_nc_u32_e32 v14, 32, v12
	v_alignbit_b32 v16, v17, v13, v14
	v_alignbit_b32 v11, v13, v11, v14
	v_lshrrev_b32_e32 v13, 29, v10
	v_lshrrev_b32_e32 v10, 30, v10
	s_delay_alu instid0(VALU_DEP_3) | instskip(NEXT) | instid1(VALU_DEP_3)
	v_alignbit_b32 v14, v16, v11, 9
	v_lshlrev_b32_e32 v13, 31, v13
	v_alignbit_b32 v16, v12, v16, 9
	s_delay_alu instid0(VALU_DEP_3) | instskip(NEXT) | instid1(VALU_DEP_2)
	v_clz_i32_u32_e32 v17, v14
	v_or_b32_e32 v16, v16, v13
	v_or_b32_e32 v13, 0x33800000, v13
	s_delay_alu instid0(VALU_DEP_3) | instskip(NEXT) | instid1(VALU_DEP_3)
	v_min_u32_e32 v17, 32, v17
	v_xor_b32_e32 v16, 1.0, v16
	s_delay_alu instid0(VALU_DEP_2) | instskip(SKIP_1) | instid1(VALU_DEP_3)
	v_sub_nc_u32_e32 v18, 31, v17
	v_add_lshl_u32 v12, v17, v12, 23
	v_mul_f32_e32 v17, 0x3fc90fda, v16
	s_delay_alu instid0(VALU_DEP_3) | instskip(NEXT) | instid1(VALU_DEP_3)
	v_alignbit_b32 v11, v14, v11, v18
	v_sub_nc_u32_e32 v12, v13, v12
	s_delay_alu instid0(VALU_DEP_3) | instskip(NEXT) | instid1(VALU_DEP_3)
	v_fma_f32 v13, 0x3fc90fda, v16, -v17
	v_lshrrev_b32_e32 v11, 9, v11
	s_delay_alu instid0(VALU_DEP_2) | instskip(NEXT) | instid1(VALU_DEP_2)
	v_fmamk_f32 v13, v16, 0x33a22168, v13
	v_or_b32_e32 v11, v12, v11
	s_delay_alu instid0(VALU_DEP_1) | instskip(NEXT) | instid1(VALU_DEP_1)
	v_dual_fmac_f32 v13, 0x3fc90fda, v11 :: v_dual_add_nc_u32 v12, v15, v10
	v_add_f32_e32 v11, v17, v13
                                        ; implicit-def: $vgpr13
	s_and_not1_saveexec_b32 s2, s5
	s_cbranch_execnz .LBB141_210
	s_branch .LBB141_211
.LBB141_209:
	s_and_not1_saveexec_b32 s2, s5
.LBB141_210:
	v_rndne_f32_e32 v10, v13
	s_delay_alu instid0(VALU_DEP_1) | instskip(SKIP_1) | instid1(VALU_DEP_2)
	v_fma_f32 v11, 0xbfc90fda, v10, |v2|
	v_cvt_i32_f32_e32 v12, v10
	v_fmamk_f32 v11, v10, 0xb3a22168, v11
	s_delay_alu instid0(VALU_DEP_1)
	v_fmamk_f32 v11, v10, 0xa7c234c4, v11
.LBB141_211:
	s_or_b32 exec_lo, exec_lo, s2
	v_dual_mul_f32 v10, 0x3fb8aa3b, v1 :: v_dual_mul_f32 v15, v8, v8
	s_mov_b32 s2, 0x395133b1
	s_mov_b32 s4, 0x37d75334
	v_dual_mul_f32 v18, v5, v5 :: v_dual_lshlrev_b32 v17, 30, v7
	s_delay_alu instid0(VALU_DEP_2)
	v_rndne_f32_e32 v14, v10
	v_lshlrev_b32_e32 v13, 30, v9
	v_mul_f32_e32 v19, v11, v11
	v_fma_f32 v20, 0x3fb8aa3b, v1, -v10
	s_mov_b32 s5, 0xb94c1982
	v_sub_f32_e32 v10, v10, v14
	v_dual_fmamk_f32 v16, v14, 0xbf317218, v1 :: v_dual_and_b32 v9, 1, v9
	v_cmp_eq_f32_e32 vcc_lo, 0x43000000, v14
	v_fmamk_f32 v20, v1, 0x32a5705f, v20
	v_cvt_i32_f32_e32 v28, v14
	s_delay_alu instid0(VALU_DEP_4) | instskip(SKIP_1) | instid1(VALU_DEP_4)
	v_fmamk_f32 v16, v14, 0x3102e308, v16
	v_and_b32_e32 v13, 0x80000000, v13
	v_dual_fmaak_f32 v27, s4, v19, 0xbab64f3b :: v_dual_add_f32 v10, v10, v20
	s_delay_alu instid0(VALU_DEP_4) | instskip(NEXT) | instid1(VALU_DEP_4)
	v_cndmask_b32_e64 v14, v28, 0x7f, vcc_lo
	v_fmaak_f32 v23, s2, v16, 0x3ab69700
	v_dual_fmaak_f32 v24, s5, v18, 0x3c0881c4 :: v_dual_and_b32 v7, 1, v7
	s_delay_alu instid0(VALU_DEP_4) | instskip(NEXT) | instid1(VALU_DEP_3)
	v_exp_f32_e32 v10, v10
	v_ldexp_f32 v14, 1.0, v14
	s_delay_alu instid0(VALU_DEP_3)
	v_fmaak_f32 v23, v16, v23, 0x3c0887f9
	v_fmaak_f32 v22, s5, v15, 0x3c0881c4
	;; [unrolled: 1-line block ×3, first 2 shown]
	v_and_b32_e32 v17, 0x80000000, v17
	v_cmp_ngt_f32_e64 s2, 0xc2ce8ed0, v1
	v_fmaak_f32 v23, v16, v23, 0x3d2aaa81
	v_xor_b32_e32 v4, v4, v3
	v_mul_f32_e32 v24, v18, v24
	v_ldexp_f32 v10, v10, v28
	s_mov_b32 s3, exec_lo
	v_fmaak_f32 v23, v16, v23, 0x3e2aaaab
	s_delay_alu instid0(VALU_DEP_3) | instskip(NEXT) | instid1(VALU_DEP_3)
	v_fmac_f32_e32 v5, v5, v24
	v_cndmask_b32_e64 v10, 0, v10, s2
	v_cmp_eq_u32_e64 s2, 0, v7
	s_delay_alu instid0(VALU_DEP_4)
	v_fma_f32 v20, v16, v23, 0.5
	v_fmaak_f32 v21, s4, v15, 0xbab64f3b
	v_fmaak_f32 v23, v19, v27, 0x3d2aabf7
	v_add_f32_e32 v27, -1.0, v14
	v_fmaak_f32 v22, v15, v22, 0xbe2aaa9d
	v_dual_mul_f32 v20, v16, v20 :: v_dual_fmaak_f32 v25, s4, v18, 0xbab64f3b
	v_fmaak_f32 v21, v15, v21, 0x3d2aabf7
	s_delay_alu instid0(VALU_DEP_3) | instskip(NEXT) | instid1(VALU_DEP_3)
	v_mul_f32_e32 v22, v15, v22
	v_fmac_f32_e32 v16, v16, v20
	v_fmaak_f32 v26, s5, v19, 0x3c0881c4
	s_delay_alu instid0(VALU_DEP_2) | instskip(SKIP_1) | instid1(VALU_DEP_3)
	v_dual_fmac_f32 v8, v8, v22 :: v_dual_fmac_f32 v27, v14, v16
	v_fmaak_f32 v25, v18, v25, 0x3d2aabf7
	v_fmaak_f32 v26, v19, v26, 0xbe2aaa9d
	s_delay_alu instid0(VALU_DEP_2) | instskip(NEXT) | instid1(VALU_DEP_2)
	v_dual_add_f32 v16, v27, v27 :: v_dual_fmaak_f32 v25, v18, v25, 0xbf000004
	v_mul_f32_e32 v20, v19, v26
	s_delay_alu instid0(VALU_DEP_2) | instskip(NEXT) | instid1(VALU_DEP_1)
	v_fma_f32 v14, v18, v25, 1.0
	v_cndmask_b32_e64 v5, v14, v5, s2
	v_cmp_nlt_f32_e64 s2, 0x42b17218, v1
	v_lshlrev_b32_e32 v14, 30, v12
	v_fmac_f32_e32 v11, v11, v20
	s_delay_alu instid0(VALU_DEP_4) | instskip(NEXT) | instid1(VALU_DEP_4)
	v_xor3_b32 v4, v4, v17, v5
	v_cndmask_b32_e64 v7, 0x7f800000, v10, s2
	v_cndmask_b32_e32 v10, v27, v16, vcc_lo
	v_cmp_eq_u32_e32 vcc_lo, 0, v9
	v_fmaak_f32 v9, v19, v23, 0xbf000004
	v_and_b32_e32 v5, 1, v12
	v_and_b32_e32 v12, 0x80000000, v14
	v_cmp_ngt_f32_e64 s2, 0xc1880000, v1
	s_delay_alu instid0(VALU_DEP_4) | instskip(SKIP_1) | instid1(VALU_DEP_1)
	v_fma_f32 v9, v19, v9, 1.0
	v_fmaak_f32 v21, v15, v21, 0xbf000004
	v_fma_f32 v15, v15, v21, 1.0
	s_delay_alu instid0(VALU_DEP_1) | instskip(SKIP_1) | instid1(VALU_DEP_2)
	v_cndmask_b32_e64 v8, -v8, v15, vcc_lo
	v_cmp_class_f32_e64 vcc_lo, v3, 0x1f8
	v_xor_b32_e32 v8, v13, v8
	v_cndmask_b32_e32 v3, 0x7fc00000, v4, vcc_lo
	v_cmp_eq_u32_e32 vcc_lo, 0, v5
	v_xor_b32_e32 v5, v6, v12
	v_cndmask_b32_e32 v4, v9, v11, vcc_lo
	v_cmp_nlt_f32_e32 vcc_lo, 0x42b17217, v1
	v_dual_add_f32 v9, v3, v3 :: v_dual_cndmask_b32 v6, 0x7f800000, v10
	s_delay_alu instid0(VALU_DEP_1) | instskip(SKIP_2) | instid1(VALU_DEP_4)
	v_mul_f32_e32 v3, v3, v9
	v_cmp_class_f32_e64 vcc_lo, v2, 0x1f8
	v_xor3_b32 v2, v5, v4, v2
	v_cndmask_b32_e64 v1, -1.0, v6, s2
	v_add_co_u32 v4, s2, s8, v0
	v_cndmask_b32_e32 v6, 0x7fc00000, v8, vcc_lo
	s_delay_alu instid0(VALU_DEP_4) | instskip(SKIP_1) | instid1(VALU_DEP_3)
	v_cndmask_b32_e32 v2, 0x7fc00000, v2, vcc_lo
	v_add_co_ci_u32_e64 v5, null, s9, 0, s2
	v_fma_f32 v1, v1, v6, -v3
	s_delay_alu instid0(VALU_DEP_3)
	v_mul_f32_e32 v6, v7, v2
	global_store_b32 v0, v1, s[8:9]
.LBB141_212:
	s_or_b32 exec_lo, exec_lo, s27
	s_waitcnt lgkmcnt(0)
	s_and_b32 s8, s3, exec_lo
                                        ; implicit-def: $vgpr7
                                        ; implicit-def: $vgpr3
	s_and_not1_saveexec_b32 s9, s25
	s_cbranch_execnz .LBB141_8
.LBB141_213:
	s_or_b32 exec_lo, exec_lo, s9
	s_and_saveexec_b32 s0, s8
	s_cbranch_execz .LBB141_117
.LBB141_214:
	global_store_b32 v[4:5], v6, off offset:4
	s_nop 0
	s_sendmsg sendmsg(MSG_DEALLOC_VGPRS)
	s_endpgm
	.section	.rodata,"a",@progbits
	.p2align	6, 0x0
	.amdhsa_kernel _ZN2at6native32elementwise_kernel_manual_unrollILi128ELi4EZNS0_22gpu_kernel_impl_nocastIZZZNS0_17expm1_kernel_cudaERNS_18TensorIteratorBaseEENKUlvE_clEvENKUlvE2_clEvEUlN3c107complexIfEEE_EEvS4_RKT_EUlibE_EEviT1_
		.amdhsa_group_segment_fixed_size 0
		.amdhsa_private_segment_fixed_size 0
		.amdhsa_kernarg_size 360
		.amdhsa_user_sgpr_count 15
		.amdhsa_user_sgpr_dispatch_ptr 0
		.amdhsa_user_sgpr_queue_ptr 0
		.amdhsa_user_sgpr_kernarg_segment_ptr 1
		.amdhsa_user_sgpr_dispatch_id 0
		.amdhsa_user_sgpr_private_segment_size 0
		.amdhsa_wavefront_size32 1
		.amdhsa_uses_dynamic_stack 0
		.amdhsa_enable_private_segment 0
		.amdhsa_system_sgpr_workgroup_id_x 1
		.amdhsa_system_sgpr_workgroup_id_y 0
		.amdhsa_system_sgpr_workgroup_id_z 0
		.amdhsa_system_sgpr_workgroup_info 0
		.amdhsa_system_vgpr_workitem_id 0
		.amdhsa_next_free_vgpr 68
		.amdhsa_next_free_sgpr 56
		.amdhsa_reserve_vcc 1
		.amdhsa_float_round_mode_32 0
		.amdhsa_float_round_mode_16_64 0
		.amdhsa_float_denorm_mode_32 3
		.amdhsa_float_denorm_mode_16_64 3
		.amdhsa_dx10_clamp 1
		.amdhsa_ieee_mode 1
		.amdhsa_fp16_overflow 0
		.amdhsa_workgroup_processor_mode 1
		.amdhsa_memory_ordered 1
		.amdhsa_forward_progress 0
		.amdhsa_shared_vgpr_count 0
		.amdhsa_exception_fp_ieee_invalid_op 0
		.amdhsa_exception_fp_denorm_src 0
		.amdhsa_exception_fp_ieee_div_zero 0
		.amdhsa_exception_fp_ieee_overflow 0
		.amdhsa_exception_fp_ieee_underflow 0
		.amdhsa_exception_fp_ieee_inexact 0
		.amdhsa_exception_int_div_zero 0
	.end_amdhsa_kernel
	.section	.text._ZN2at6native32elementwise_kernel_manual_unrollILi128ELi4EZNS0_22gpu_kernel_impl_nocastIZZZNS0_17expm1_kernel_cudaERNS_18TensorIteratorBaseEENKUlvE_clEvENKUlvE2_clEvEUlN3c107complexIfEEE_EEvS4_RKT_EUlibE_EEviT1_,"axG",@progbits,_ZN2at6native32elementwise_kernel_manual_unrollILi128ELi4EZNS0_22gpu_kernel_impl_nocastIZZZNS0_17expm1_kernel_cudaERNS_18TensorIteratorBaseEENKUlvE_clEvENKUlvE2_clEvEUlN3c107complexIfEEE_EEvS4_RKT_EUlibE_EEviT1_,comdat
.Lfunc_end141:
	.size	_ZN2at6native32elementwise_kernel_manual_unrollILi128ELi4EZNS0_22gpu_kernel_impl_nocastIZZZNS0_17expm1_kernel_cudaERNS_18TensorIteratorBaseEENKUlvE_clEvENKUlvE2_clEvEUlN3c107complexIfEEE_EEvS4_RKT_EUlibE_EEviT1_, .Lfunc_end141-_ZN2at6native32elementwise_kernel_manual_unrollILi128ELi4EZNS0_22gpu_kernel_impl_nocastIZZZNS0_17expm1_kernel_cudaERNS_18TensorIteratorBaseEENKUlvE_clEvENKUlvE2_clEvEUlN3c107complexIfEEE_EEvS4_RKT_EUlibE_EEviT1_
                                        ; -- End function
	.section	.AMDGPU.csdata,"",@progbits
; Kernel info:
; codeLenInByte = 31564
; NumSgprs: 58
; NumVgprs: 68
; ScratchSize: 0
; MemoryBound: 0
; FloatMode: 240
; IeeeMode: 1
; LDSByteSize: 0 bytes/workgroup (compile time only)
; SGPRBlocks: 7
; VGPRBlocks: 8
; NumSGPRsForWavesPerEU: 58
; NumVGPRsForWavesPerEU: 68
; Occupancy: 16
; WaveLimiterHint : 1
; COMPUTE_PGM_RSRC2:SCRATCH_EN: 0
; COMPUTE_PGM_RSRC2:USER_SGPR: 15
; COMPUTE_PGM_RSRC2:TRAP_HANDLER: 0
; COMPUTE_PGM_RSRC2:TGID_X_EN: 1
; COMPUTE_PGM_RSRC2:TGID_Y_EN: 0
; COMPUTE_PGM_RSRC2:TGID_Z_EN: 0
; COMPUTE_PGM_RSRC2:TIDIG_COMP_CNT: 0
	.text
	.p2align	2                               ; -- Begin function _ZN2at6native6invokeIZZZNS0_17expm1_kernel_cudaERNS_18TensorIteratorBaseEENKUlvE_clEvENKUlvE2_clEvEUlN3c107complexIfEEE_i15function_traitsIS9_EEENT1_11result_typeERKT_PrKPcPKT0_PKNS6_10ScalarTypeEi
	.type	_ZN2at6native6invokeIZZZNS0_17expm1_kernel_cudaERNS_18TensorIteratorBaseEENKUlvE_clEvENKUlvE2_clEvEUlN3c107complexIfEEE_i15function_traitsIS9_EEENT1_11result_typeERKT_PrKPcPKT0_PKNS6_10ScalarTypeEi,@function
_ZN2at6native6invokeIZZZNS0_17expm1_kernel_cudaERNS_18TensorIteratorBaseEENKUlvE_clEvENKUlvE2_clEvEUlN3c107complexIfEEE_i15function_traitsIS9_EEENT1_11result_typeERKT_PrKPcPKT0_PKNS6_10ScalarTypeEi: ; @_ZN2at6native6invokeIZZZNS0_17expm1_kernel_cudaERNS_18TensorIteratorBaseEENKUlvE_clEvENKUlvE2_clEvEUlN3c107complexIfEEE_i15function_traitsIS9_EEENT1_11result_typeERKT_PrKPcPKT0_PKNS6_10ScalarTypeEi
; %bb.0:
	s_waitcnt vmcnt(0) expcnt(0) lgkmcnt(0)
	v_mul_lo_u32 v2, v4, v2
	v_and_b32_e32 v4, 0xff, v3
	s_mov_b32 s1, 0
	s_mov_b32 s0, exec_lo
                                        ; implicit-def: $vgpr3
	s_delay_alu instid0(VALU_DEP_2) | instskip(SKIP_1) | instid1(VALU_DEP_2)
	v_ashrrev_i32_e32 v5, 31, v2
	v_add_co_u32 v0, vcc_lo, v0, v2
	v_add_co_ci_u32_e32 v1, vcc_lo, v1, v5, vcc_lo
	v_cmpx_lt_i16_e32 10, v4
	s_xor_b32 s0, exec_lo, s0
	s_cbranch_execz .LBB142_41
; %bb.1:
	s_mov_b32 s4, 0
	s_mov_b32 s3, 0
	s_mov_b32 s2, exec_lo
                                        ; implicit-def: $vgpr3
	v_cmpx_lt_i16_e32 25, v4
	s_xor_b32 s2, exec_lo, s2
	s_cbranch_execz .LBB142_91
; %bb.2:
	s_mov_b32 s5, 0
	s_mov_b32 s3, exec_lo
                                        ; implicit-def: $vgpr3
	v_cmpx_lt_i16_e32 28, v4
	s_xor_b32 s3, exec_lo, s3
	s_cbranch_execz .LBB142_18
; %bb.3:
	s_mov_b32 s6, 0
	s_mov_b32 s7, 0
	s_mov_b32 s4, exec_lo
                                        ; implicit-def: $vgpr3
	v_cmpx_lt_i16_e32 43, v4
	s_xor_b32 s4, exec_lo, s4
	s_cbranch_execz .LBB142_13
; %bb.4:
	s_mov_b32 s7, exec_lo
                                        ; implicit-def: $vgpr3
	v_cmpx_lt_i16_e32 45, v4
	s_xor_b32 s7, exec_lo, s7
	s_cbranch_execz .LBB142_8
; %bb.5:
	s_mov_b32 s8, -1
	s_mov_b32 s6, exec_lo
                                        ; implicit-def: $vgpr3
	v_cmpx_eq_u16_e32 46, v4
	s_cbranch_execz .LBB142_7
; %bb.6:
	flat_load_b32 v2, v[0:1]
	s_mov_b32 s5, exec_lo
	s_xor_b32 s8, exec_lo, -1
	s_waitcnt vmcnt(0) lgkmcnt(0)
	v_and_b32_e32 v3, 0xffff0000, v2
	v_lshlrev_b32_e32 v2, 16, v2
.LBB142_7:
	s_or_b32 exec_lo, exec_lo, s6
	s_delay_alu instid0(SALU_CYCLE_1)
	s_and_b32 s6, s5, exec_lo
	s_and_b32 s5, s8, exec_lo
                                        ; implicit-def: $vgpr4
.LBB142_8:
	s_and_not1_saveexec_b32 s7, s7
	s_cbranch_execz .LBB142_12
; %bb.9:
	s_mov_b32 s8, -1
	s_mov_b32 s10, s6
	s_mov_b32 s9, exec_lo
                                        ; implicit-def: $sgpr11
                                        ; implicit-def: $vgpr2
	v_cmpx_eq_u16_e32 44, v4
	s_cbranch_execz .LBB142_11
; %bb.10:
	flat_load_u8 v2, v[0:1]
	s_mov_b32 s11, 0
	s_or_b32 s10, s6, exec_lo
	s_xor_b32 s8, exec_lo, -1
	s_waitcnt vmcnt(0) lgkmcnt(0)
	v_lshlrev_b32_e32 v3, 23, v2
	v_cmp_ne_u32_e32 vcc_lo, 0xff, v2
	s_delay_alu instid0(VALU_DEP_2) | instskip(SKIP_1) | instid1(VALU_DEP_2)
	v_cndmask_b32_e32 v3, 0x7f800001, v3, vcc_lo
	v_cmp_ne_u32_e32 vcc_lo, 0, v2
	v_cndmask_b32_e32 v2, 0x400000, v3, vcc_lo
.LBB142_11:
	s_or_b32 exec_lo, exec_lo, s9
	v_mov_b32_e32 v3, s11
	s_and_not1_b32 s6, s6, exec_lo
	s_and_b32 s9, s10, exec_lo
	s_and_not1_b32 s5, s5, exec_lo
	s_and_b32 s8, s8, exec_lo
	s_or_b32 s6, s6, s9
	s_or_b32 s5, s5, s8
.LBB142_12:
	s_or_b32 exec_lo, exec_lo, s7
	s_delay_alu instid0(SALU_CYCLE_1)
	s_and_b32 s7, s6, exec_lo
	s_and_b32 s6, s5, exec_lo
                                        ; implicit-def: $vgpr4
.LBB142_13:
	s_and_not1_saveexec_b32 s4, s4
	s_cbranch_execz .LBB142_17
; %bb.14:
	s_mov_b32 s5, -1
	s_mov_b32 s9, s7
	s_mov_b32 s8, exec_lo
                                        ; implicit-def: $sgpr10
                                        ; implicit-def: $vgpr2
	v_cmpx_eq_u16_e32 29, v4
	s_cbranch_execz .LBB142_16
; %bb.15:
	flat_load_b64 v[2:3], v[0:1]
	s_mov_b32 s10, 0
	s_or_b32 s9, s7, exec_lo
	s_xor_b32 s5, exec_lo, -1
	s_waitcnt vmcnt(0) lgkmcnt(0)
	v_clz_i32_u32_e32 v4, v3
	s_delay_alu instid0(VALU_DEP_1) | instskip(NEXT) | instid1(VALU_DEP_1)
	v_min_u32_e32 v4, 32, v4
	v_lshlrev_b64 v[2:3], v4, v[2:3]
	s_delay_alu instid0(VALU_DEP_1) | instskip(NEXT) | instid1(VALU_DEP_1)
	v_min_u32_e32 v2, 1, v2
	v_or_b32_e32 v2, v3, v2
	v_sub_nc_u32_e32 v3, 32, v4
	s_delay_alu instid0(VALU_DEP_2) | instskip(NEXT) | instid1(VALU_DEP_1)
	v_cvt_f32_u32_e32 v2, v2
	v_ldexp_f32 v2, v2, v3
.LBB142_16:
	s_or_b32 exec_lo, exec_lo, s8
	v_mov_b32_e32 v3, s10
	s_and_not1_b32 s7, s7, exec_lo
	s_and_b32 s8, s9, exec_lo
	s_and_not1_b32 s6, s6, exec_lo
	s_and_b32 s5, s5, exec_lo
	s_or_b32 s7, s7, s8
	s_or_b32 s6, s6, s5
.LBB142_17:
	s_or_b32 exec_lo, exec_lo, s4
	s_delay_alu instid0(SALU_CYCLE_1)
	s_and_b32 s5, s7, exec_lo
	s_and_b32 s4, s6, exec_lo
                                        ; implicit-def: $vgpr4
.LBB142_18:
	s_and_not1_saveexec_b32 s3, s3
	s_cbranch_execz .LBB142_36
; %bb.19:
	s_mov_b32 s6, exec_lo
                                        ; implicit-def: $vgpr3
	v_cmpx_lt_i16_e32 26, v4
	s_xor_b32 s6, exec_lo, s6
	s_cbranch_execz .LBB142_25
; %bb.20:
	s_mov_b32 s7, exec_lo
                                        ; implicit-def: $sgpr8
                                        ; implicit-def: $vgpr2
	v_cmpx_lt_i16_e32 27, v4
	s_xor_b32 s7, exec_lo, s7
	s_cbranch_execz .LBB142_22
; %bb.21:
	flat_load_b32 v2, v[0:1]
	s_mov_b32 s8, 0
	s_waitcnt vmcnt(0) lgkmcnt(0)
	v_cvt_f32_u32_e32 v2, v2
.LBB142_22:
	s_or_saveexec_b32 s7, s7
	v_mov_b32_e32 v3, s8
	s_xor_b32 exec_lo, exec_lo, s7
	s_cbranch_execz .LBB142_24
; %bb.23:
	flat_load_u16 v2, v[0:1]
	v_mov_b32_e32 v3, 0
	s_waitcnt vmcnt(0) lgkmcnt(0)
	v_cvt_f32_u32_e32 v2, v2
.LBB142_24:
	s_or_b32 exec_lo, exec_lo, s7
.LBB142_25:
	s_and_not1_saveexec_b32 s6, s6
	s_cbranch_execz .LBB142_35
; %bb.26:
	flat_load_u8 v4, v[0:1]
	s_mov_b32 s7, 0
	s_mov_b32 s10, exec_lo
                                        ; implicit-def: $sgpr9
                                        ; implicit-def: $sgpr8
	s_waitcnt vmcnt(0) lgkmcnt(0)
	v_cmpx_lt_i16_e32 0x7f, v4
	s_xor_b32 s10, exec_lo, s10
	s_cbranch_execz .LBB142_30
; %bb.27:
	s_mov_b32 s7, -1
	s_mov_b32 s11, exec_lo
                                        ; implicit-def: $sgpr9
                                        ; implicit-def: $sgpr8
	v_cmpx_eq_u16_e32 0x80, v4
; %bb.28:
	s_mov_b32 s8, 0x7f800001
	s_mov_b32 s9, 0
	s_xor_b32 s7, exec_lo, -1
; %bb.29:
	s_or_b32 exec_lo, exec_lo, s11
	s_delay_alu instid0(SALU_CYCLE_1)
	s_and_b32 s7, s7, exec_lo
.LBB142_30:
	s_or_saveexec_b32 s10, s10
	v_dual_mov_b32 v3, s9 :: v_dual_mov_b32 v2, s8
	s_xor_b32 exec_lo, exec_lo, s10
; %bb.31:
	v_mov_b32_e32 v3, 0
	v_cmp_ne_u16_e32 vcc_lo, 0, v4
	s_and_not1_b32 s7, s7, exec_lo
	s_delay_alu instid0(VALU_DEP_2) | instskip(SKIP_1) | instid1(SALU_CYCLE_1)
	v_mov_b32_e32 v2, v3
	s_and_b32 s8, vcc_lo, exec_lo
	s_or_b32 s7, s7, s8
; %bb.32:
	s_or_b32 exec_lo, exec_lo, s10
	s_and_saveexec_b32 s8, s7
	s_cbranch_execz .LBB142_34
; %bb.33:
	v_and_b32_e32 v2, 0xffff, v4
	v_lshlrev_b32_e32 v4, 24, v4
	s_delay_alu instid0(VALU_DEP_2) | instskip(NEXT) | instid1(VALU_DEP_2)
	v_and_b32_e32 v3, 7, v2
	v_and_b32_e32 v4, 0x80000000, v4
	s_delay_alu instid0(VALU_DEP_2) | instskip(NEXT) | instid1(VALU_DEP_1)
	v_clz_i32_u32_e32 v5, v3
	v_min_u32_e32 v5, 32, v5
	s_delay_alu instid0(VALU_DEP_1) | instskip(SKIP_1) | instid1(VALU_DEP_2)
	v_subrev_nc_u32_e32 v6, 28, v5
	v_sub_nc_u32_e32 v5, 29, v5
	v_lshlrev_b32_e32 v6, v6, v2
	v_bfe_u32 v2, v2, 3, 4
	s_delay_alu instid0(VALU_DEP_2) | instskip(NEXT) | instid1(VALU_DEP_2)
	v_and_b32_e32 v6, 7, v6
	v_cmp_eq_u32_e32 vcc_lo, 0, v2
	s_delay_alu instid0(VALU_DEP_2) | instskip(NEXT) | instid1(VALU_DEP_1)
	v_dual_cndmask_b32 v2, v2, v5 :: v_dual_cndmask_b32 v3, v3, v6
	v_lshl_add_u32 v2, v2, 23, 0x3b800000
	s_delay_alu instid0(VALU_DEP_2) | instskip(NEXT) | instid1(VALU_DEP_1)
	v_lshlrev_b32_e32 v3, 20, v3
	v_or3_b32 v2, v4, v2, v3
	v_mov_b32_e32 v3, 0
.LBB142_34:
	s_or_b32 exec_lo, exec_lo, s8
.LBB142_35:
	s_delay_alu instid0(SALU_CYCLE_1) | instskip(NEXT) | instid1(SALU_CYCLE_1)
	s_or_b32 exec_lo, exec_lo, s6
	s_or_b32 s5, s5, exec_lo
.LBB142_36:
	s_or_b32 exec_lo, exec_lo, s3
	s_delay_alu instid0(SALU_CYCLE_1)
	s_and_b32 s3, s5, exec_lo
	s_and_b32 s4, s4, exec_lo
                                        ; implicit-def: $vgpr4
	s_and_not1_saveexec_b32 s2, s2
	s_cbranch_execnz .LBB142_92
.LBB142_37:
	s_or_b32 exec_lo, exec_lo, s2
	s_and_saveexec_b32 s2, s4
	s_cbranch_execnz .LBB142_119
.LBB142_38:
	s_or_b32 exec_lo, exec_lo, s2
	s_and_saveexec_b32 s2, s1
	s_delay_alu instid0(SALU_CYCLE_1)
	s_xor_b32 s1, exec_lo, s2
	s_cbranch_execz .LBB142_40
.LBB142_39:
	flat_load_u8 v0, v[0:1]
	v_mov_b32_e32 v3, 0
	s_or_b32 s3, s3, exec_lo
	s_waitcnt vmcnt(0) lgkmcnt(0)
	v_cmp_ne_u16_e32 vcc_lo, 0, v0
	v_cndmask_b32_e64 v2, 0, 1.0, vcc_lo
.LBB142_40:
	s_or_b32 exec_lo, exec_lo, s1
	s_delay_alu instid0(SALU_CYCLE_1)
	s_and_b32 s1, s3, exec_lo
                                        ; implicit-def: $vgpr4
                                        ; implicit-def: $vgpr0_vgpr1
.LBB142_41:
	s_and_not1_saveexec_b32 s0, s0
	s_cbranch_execz .LBB142_83
; %bb.42:
	s_mov_b32 s2, exec_lo
                                        ; implicit-def: $vgpr3
	v_cmpx_lt_i16_e32 4, v4
	s_xor_b32 s2, exec_lo, s2
	s_cbranch_execz .LBB142_64
; %bb.43:
	s_mov_b32 s3, exec_lo
                                        ; implicit-def: $vgpr3
	v_cmpx_lt_i16_e32 7, v4
	s_xor_b32 s3, exec_lo, s3
	;; [unrolled: 6-line block ×4, first 2 shown]
	s_cbranch_execz .LBB142_47
; %bb.46:
	flat_load_b128 v[1:4], v[0:1]
	s_waitcnt vmcnt(0) lgkmcnt(0)
	v_cvt_f32_f64_e32 v2, v[1:2]
	v_cvt_f32_f64_e32 v3, v[3:4]
                                        ; implicit-def: $vgpr0_vgpr1
.LBB142_47:
	s_and_not1_saveexec_b32 s5, s5
	s_cbranch_execz .LBB142_49
; %bb.48:
	flat_load_b64 v[2:3], v[0:1]
.LBB142_49:
	s_or_b32 exec_lo, exec_lo, s5
                                        ; implicit-def: $vgpr0_vgpr1
.LBB142_50:
	s_and_not1_saveexec_b32 s4, s4
	s_cbranch_execz .LBB142_52
; %bb.51:
	flat_load_b32 v0, v[0:1]
	s_waitcnt vmcnt(0) lgkmcnt(0)
	v_lshrrev_b32_e32 v1, 16, v0
	v_cvt_f32_f16_e32 v2, v0
	s_delay_alu instid0(VALU_DEP_2)
	v_cvt_f32_f16_e32 v3, v1
.LBB142_52:
	s_or_b32 exec_lo, exec_lo, s4
                                        ; implicit-def: $vgpr0_vgpr1
                                        ; implicit-def: $vgpr4
.LBB142_53:
	s_and_not1_saveexec_b32 s3, s3
	s_cbranch_execz .LBB142_63
; %bb.54:
	s_mov_b32 s4, exec_lo
                                        ; implicit-def: $vgpr3
	v_cmpx_lt_i16_e32 5, v4
	s_xor_b32 s4, exec_lo, s4
	s_cbranch_execz .LBB142_60
; %bb.55:
	s_mov_b32 s6, exec_lo
                                        ; implicit-def: $sgpr5
                                        ; implicit-def: $vgpr2
	v_cmpx_lt_i16_e32 6, v4
	s_xor_b32 s6, exec_lo, s6
	s_cbranch_execz .LBB142_57
; %bb.56:
	flat_load_b64 v[0:1], v[0:1]
	s_mov_b32 s5, 0
	s_waitcnt vmcnt(0) lgkmcnt(0)
	v_cvt_f32_f64_e32 v2, v[0:1]
                                        ; implicit-def: $vgpr0_vgpr1
.LBB142_57:
	s_or_saveexec_b32 s6, s6
	s_waitcnt vmcnt(0) lgkmcnt(0)
	v_mov_b32_e32 v3, s5
	s_xor_b32 exec_lo, exec_lo, s6
	s_cbranch_execz .LBB142_59
; %bb.58:
	flat_load_b32 v2, v[0:1]
	v_mov_b32_e32 v3, 0
.LBB142_59:
	s_or_b32 exec_lo, exec_lo, s6
                                        ; implicit-def: $vgpr0_vgpr1
.LBB142_60:
	s_and_not1_saveexec_b32 s4, s4
	s_cbranch_execz .LBB142_62
; %bb.61:
	flat_load_u16 v0, v[0:1]
	s_waitcnt vmcnt(1) lgkmcnt(1)
	v_mov_b32_e32 v3, 0
	s_waitcnt vmcnt(0) lgkmcnt(0)
	v_cvt_f32_f16_e32 v2, v0
.LBB142_62:
	s_or_b32 exec_lo, exec_lo, s4
.LBB142_63:
	s_delay_alu instid0(SALU_CYCLE_1)
	s_or_b32 exec_lo, exec_lo, s3
                                        ; implicit-def: $vgpr4
                                        ; implicit-def: $vgpr0_vgpr1
.LBB142_64:
	s_and_not1_saveexec_b32 s2, s2
	s_cbranch_execz .LBB142_82
; %bb.65:
	s_mov_b32 s3, exec_lo
                                        ; implicit-def: $vgpr3
	v_cmpx_lt_i16_e32 1, v4
	s_xor_b32 s3, exec_lo, s3
	s_cbranch_execz .LBB142_75
; %bb.66:
	s_mov_b32 s4, exec_lo
                                        ; implicit-def: $vgpr3
	v_cmpx_lt_i16_e32 2, v4
	s_xor_b32 s4, exec_lo, s4
	s_cbranch_execz .LBB142_72
; %bb.67:
	s_mov_b32 s5, exec_lo
                                        ; implicit-def: $sgpr6
                                        ; implicit-def: $vgpr2
	v_cmpx_lt_i16_e32 3, v4
	s_xor_b32 s5, exec_lo, s5
	s_cbranch_execz .LBB142_69
; %bb.68:
	flat_load_b64 v[0:1], v[0:1]
	s_mov_b32 s6, 0
	s_waitcnt vmcnt(0) lgkmcnt(0)
	v_xor_b32_e32 v2, v0, v1
	v_cls_i32_e32 v3, v1
	s_delay_alu instid0(VALU_DEP_2) | instskip(NEXT) | instid1(VALU_DEP_2)
	v_ashrrev_i32_e32 v2, 31, v2
	v_add_nc_u32_e32 v3, -1, v3
	s_delay_alu instid0(VALU_DEP_2) | instskip(NEXT) | instid1(VALU_DEP_1)
	v_add_nc_u32_e32 v2, 32, v2
	v_min_u32_e32 v2, v3, v2
	s_delay_alu instid0(VALU_DEP_1) | instskip(NEXT) | instid1(VALU_DEP_1)
	v_lshlrev_b64 v[0:1], v2, v[0:1]
	v_min_u32_e32 v0, 1, v0
	s_delay_alu instid0(VALU_DEP_1) | instskip(SKIP_1) | instid1(VALU_DEP_2)
	v_or_b32_e32 v0, v1, v0
	v_sub_nc_u32_e32 v1, 32, v2
	v_cvt_f32_i32_e32 v0, v0
	s_delay_alu instid0(VALU_DEP_1)
	v_ldexp_f32 v2, v0, v1
                                        ; implicit-def: $vgpr0_vgpr1
.LBB142_69:
	s_or_saveexec_b32 s5, s5
	s_waitcnt vmcnt(0) lgkmcnt(0)
	v_mov_b32_e32 v3, s6
	s_xor_b32 exec_lo, exec_lo, s5
	s_cbranch_execz .LBB142_71
; %bb.70:
	flat_load_b32 v0, v[0:1]
	v_mov_b32_e32 v3, 0
	s_waitcnt vmcnt(0) lgkmcnt(0)
	v_cvt_f32_i32_e32 v2, v0
.LBB142_71:
	s_or_b32 exec_lo, exec_lo, s5
                                        ; implicit-def: $vgpr0_vgpr1
.LBB142_72:
	s_and_not1_saveexec_b32 s4, s4
	s_cbranch_execz .LBB142_74
; %bb.73:
	flat_load_i16 v0, v[0:1]
	s_waitcnt vmcnt(1) lgkmcnt(1)
	v_mov_b32_e32 v3, 0
	s_waitcnt vmcnt(0) lgkmcnt(0)
	v_cvt_f32_i32_e32 v2, v0
.LBB142_74:
	s_or_b32 exec_lo, exec_lo, s4
                                        ; implicit-def: $vgpr0_vgpr1
                                        ; implicit-def: $vgpr4
.LBB142_75:
	s_and_not1_saveexec_b32 s3, s3
	s_cbranch_execz .LBB142_81
; %bb.76:
	s_mov_b32 s4, 0
	s_mov_b32 s5, exec_lo
                                        ; implicit-def: $vgpr2
	v_cmpx_lt_i16_e32 0, v4
	s_xor_b32 s5, exec_lo, s5
	s_cbranch_execz .LBB142_78
; %bb.77:
	flat_load_i8 v0, v[0:1]
	s_waitcnt vmcnt(0) lgkmcnt(0)
	v_cvt_f32_i32_e32 v2, v0
                                        ; implicit-def: $vgpr0_vgpr1
.LBB142_78:
	s_or_saveexec_b32 s5, s5
	s_waitcnt vmcnt(0) lgkmcnt(0)
	v_mov_b32_e32 v3, s4
	s_xor_b32 exec_lo, exec_lo, s5
	s_cbranch_execz .LBB142_80
; %bb.79:
	flat_load_u8 v0, v[0:1]
	v_mov_b32_e32 v3, 0
	s_waitcnt vmcnt(0) lgkmcnt(0)
	v_cvt_f32_ubyte0_e32 v2, v0
.LBB142_80:
	s_or_b32 exec_lo, exec_lo, s5
.LBB142_81:
	s_delay_alu instid0(SALU_CYCLE_1)
	s_or_b32 exec_lo, exec_lo, s3
.LBB142_82:
	s_delay_alu instid0(SALU_CYCLE_1) | instskip(NEXT) | instid1(SALU_CYCLE_1)
	s_or_b32 exec_lo, exec_lo, s2
	s_or_b32 s1, s1, exec_lo
.LBB142_83:
	s_or_b32 exec_lo, exec_lo, s0
                                        ; implicit-def: $vgpr0
                                        ; implicit-def: $vgpr1
	s_and_saveexec_b32 s3, s1
	s_cbranch_execz .LBB142_90
; %bb.84:
	s_waitcnt vmcnt(0) lgkmcnt(0)
	s_delay_alu instid0(VALU_DEP_1) | instskip(SKIP_1) | instid1(VALU_DEP_1)
	v_mul_f32_e32 v0, 0.5, v3
                                        ; implicit-def: $vgpr6
                                        ; implicit-def: $vgpr4
	s_mov_b32 s1, exec_lo
	v_and_b32_e32 v1, 0x7fffffff, v0
	v_cmpx_ngt_f32_e64 0x48000000, |v0|
	s_xor_b32 s4, exec_lo, s1
	s_cbranch_execz .LBB142_86
; %bb.85:
	s_mov_b32 s0, 0x7fffff
	v_mov_b32_e32 v6, 0
	v_and_or_b32 v14, v1, s0, 0x800000
	v_lshrrev_b32_e32 v11, 23, v1
	s_delay_alu instid0(VALU_DEP_2) | instskip(NEXT) | instid1(VALU_DEP_2)
	v_mad_u64_u32 v[4:5], null, 0xfe5163ab, v14, 0
	v_add_nc_u32_e32 v12, 0xffffff88, v11
	s_delay_alu instid0(VALU_DEP_1) | instskip(NEXT) | instid1(VALU_DEP_3)
	v_cmp_lt_u32_e32 vcc_lo, 63, v12
	v_mad_u64_u32 v[7:8], null, 0x3c439041, v14, v[5:6]
	v_cndmask_b32_e64 v13, 0, 0xffffffc0, vcc_lo
	s_delay_alu instid0(VALU_DEP_2) | instskip(NEXT) | instid1(VALU_DEP_2)
	v_mov_b32_e32 v5, v8
	v_add_nc_u32_e32 v13, v13, v12
	s_delay_alu instid0(VALU_DEP_2) | instskip(NEXT) | instid1(VALU_DEP_2)
	v_mad_u64_u32 v[8:9], null, 0xdb629599, v14, v[5:6]
	v_cmp_lt_u32_e64 s0, 31, v13
	s_delay_alu instid0(VALU_DEP_1) | instskip(NEXT) | instid1(VALU_DEP_3)
	v_cndmask_b32_e64 v15, 0, 0xffffffe0, s0
	v_dual_mov_b32 v5, v9 :: v_dual_cndmask_b32 v4, v8, v4
	s_delay_alu instid0(VALU_DEP_2) | instskip(NEXT) | instid1(VALU_DEP_2)
	v_add_nc_u32_e32 v15, v15, v13
	v_mad_u64_u32 v[9:10], null, 0xf534ddc0, v14, v[5:6]
	s_delay_alu instid0(VALU_DEP_2) | instskip(NEXT) | instid1(VALU_DEP_2)
	v_cmp_lt_u32_e64 s1, 31, v15
	v_mov_b32_e32 v5, v10
	s_delay_alu instid0(VALU_DEP_3) | instskip(NEXT) | instid1(VALU_DEP_2)
	v_cndmask_b32_e32 v7, v9, v7, vcc_lo
	v_mad_u64_u32 v[10:11], null, 0xfc2757d1, v14, v[5:6]
	s_delay_alu instid0(VALU_DEP_2) | instskip(NEXT) | instid1(VALU_DEP_2)
	v_cndmask_b32_e64 v4, v7, v4, s0
	v_mov_b32_e32 v5, v11
	s_delay_alu instid0(VALU_DEP_1) | instskip(NEXT) | instid1(VALU_DEP_1)
	v_mad_u64_u32 v[11:12], null, 0x4e441529, v14, v[5:6]
	v_mov_b32_e32 v5, v12
	s_delay_alu instid0(VALU_DEP_1) | instskip(SKIP_1) | instid1(VALU_DEP_1)
	v_mad_u64_u32 v[12:13], null, 0xa2f9836e, v14, v[5:6]
	v_cndmask_b32_e64 v5, 0, 0xffffffe0, s1
	v_dual_cndmask_b32 v6, v11, v9 :: v_dual_add_nc_u32 v5, v5, v15
	s_delay_alu instid0(VALU_DEP_3) | instskip(NEXT) | instid1(VALU_DEP_4)
	v_cndmask_b32_e32 v12, v12, v10, vcc_lo
	v_dual_cndmask_b32 v10, v10, v8 :: v_dual_cndmask_b32 v11, v13, v11
	s_delay_alu instid0(VALU_DEP_3) | instskip(NEXT) | instid1(VALU_DEP_3)
	v_cmp_eq_u32_e64 s2, 0, v5
	v_cndmask_b32_e64 v9, v12, v6, s0
	s_delay_alu instid0(VALU_DEP_3) | instskip(NEXT) | instid1(VALU_DEP_4)
	v_cndmask_b32_e64 v6, v6, v10, s0
	v_cndmask_b32_e64 v11, v11, v12, s0
	v_sub_nc_u32_e32 v12, 32, v5
	v_cndmask_b32_e64 v10, v10, v7, s0
	s_delay_alu instid0(VALU_DEP_3) | instskip(SKIP_1) | instid1(VALU_DEP_3)
	v_cndmask_b32_e64 v11, v11, v9, s1
	v_cndmask_b32_e64 v9, v9, v6, s1
	;; [unrolled: 1-line block ×4, first 2 shown]
	s_delay_alu instid0(VALU_DEP_3) | instskip(NEXT) | instid1(VALU_DEP_3)
	v_alignbit_b32 v13, v11, v9, v12
	v_alignbit_b32 v14, v9, v6, v12
	s_delay_alu instid0(VALU_DEP_3) | instskip(NEXT) | instid1(VALU_DEP_3)
	v_alignbit_b32 v12, v6, v4, v12
	v_cndmask_b32_e64 v5, v13, v11, s2
	s_delay_alu instid0(VALU_DEP_3) | instskip(NEXT) | instid1(VALU_DEP_3)
	v_cndmask_b32_e64 v8, v14, v9, s2
	v_cndmask_b32_e64 v6, v12, v6, s2
	s_delay_alu instid0(VALU_DEP_3) | instskip(NEXT) | instid1(VALU_DEP_3)
	v_bfe_u32 v9, v5, 29, 1
	v_alignbit_b32 v7, v5, v8, 30
	s_delay_alu instid0(VALU_DEP_3) | instskip(SKIP_1) | instid1(VALU_DEP_4)
	v_alignbit_b32 v8, v8, v6, 30
	v_alignbit_b32 v4, v6, v4, 30
	v_sub_nc_u32_e32 v11, 0, v9
	s_delay_alu instid0(VALU_DEP_1) | instskip(SKIP_3) | instid1(VALU_DEP_4)
	v_xor_b32_e32 v10, v7, v11
	v_cmp_ne_u32_e32 vcc_lo, v7, v11
	v_xor_b32_e32 v6, v8, v11
	v_xor_b32_e32 v4, v4, v11
	v_clz_i32_u32_e32 v13, v10
	s_delay_alu instid0(VALU_DEP_1) | instskip(NEXT) | instid1(VALU_DEP_1)
	v_add_nc_u32_e32 v12, 1, v13
	v_cndmask_b32_e32 v7, 33, v12, vcc_lo
	s_delay_alu instid0(VALU_DEP_1) | instskip(NEXT) | instid1(VALU_DEP_1)
	v_sub_nc_u32_e32 v8, 32, v7
	v_alignbit_b32 v10, v10, v6, v8
	v_alignbit_b32 v4, v6, v4, v8
	v_lshrrev_b32_e32 v6, 29, v5
	v_lshrrev_b32_e32 v5, 30, v5
	s_delay_alu instid0(VALU_DEP_3) | instskip(NEXT) | instid1(VALU_DEP_3)
	v_alignbit_b32 v8, v10, v4, 9
	v_lshlrev_b32_e32 v6, 31, v6
	v_alignbit_b32 v10, v7, v10, 9
	s_delay_alu instid0(VALU_DEP_3) | instskip(NEXT) | instid1(VALU_DEP_2)
	v_clz_i32_u32_e32 v11, v8
	v_or_b32_e32 v10, v10, v6
	v_or_b32_e32 v6, 0x33800000, v6
	s_delay_alu instid0(VALU_DEP_3) | instskip(NEXT) | instid1(VALU_DEP_3)
	v_min_u32_e32 v11, 32, v11
	v_xor_b32_e32 v10, 1.0, v10
	s_delay_alu instid0(VALU_DEP_2) | instskip(SKIP_1) | instid1(VALU_DEP_3)
	v_sub_nc_u32_e32 v12, 31, v11
	v_add_lshl_u32 v7, v11, v7, 23
	v_mul_f32_e32 v11, 0x3fc90fda, v10
	s_delay_alu instid0(VALU_DEP_3) | instskip(NEXT) | instid1(VALU_DEP_3)
	v_alignbit_b32 v4, v8, v4, v12
	v_sub_nc_u32_e32 v6, v6, v7
	s_delay_alu instid0(VALU_DEP_3) | instskip(NEXT) | instid1(VALU_DEP_3)
	v_fma_f32 v7, 0x3fc90fda, v10, -v11
	v_lshrrev_b32_e32 v4, 9, v4
	s_delay_alu instid0(VALU_DEP_2) | instskip(NEXT) | instid1(VALU_DEP_2)
	v_fmamk_f32 v7, v10, 0x33a22168, v7
	v_or_b32_e32 v4, v6, v4
	s_delay_alu instid0(VALU_DEP_1) | instskip(NEXT) | instid1(VALU_DEP_1)
	v_dual_fmac_f32 v7, 0x3fc90fda, v4 :: v_dual_add_nc_u32 v6, v9, v5
	v_add_f32_e32 v4, v11, v7
.LBB142_86:
	s_and_not1_saveexec_b32 s0, s4
; %bb.87:
	v_mul_f32_e64 v4, 0x3f22f983, |v0|
	s_delay_alu instid0(VALU_DEP_1) | instskip(NEXT) | instid1(VALU_DEP_1)
	v_rndne_f32_e32 v5, v4
	v_fma_f32 v4, 0xbfc90fda, v5, |v0|
	v_cvt_i32_f32_e32 v6, v5
	s_delay_alu instid0(VALU_DEP_2) | instskip(NEXT) | instid1(VALU_DEP_1)
	v_fmamk_f32 v4, v5, 0xb3a22168, v4
	v_fmamk_f32 v4, v5, 0xa7c234c4, v4
; %bb.88:
	s_or_b32 exec_lo, exec_lo, s0
	v_and_b32_e32 v5, 0x7fffffff, v3
	v_cmp_ngt_f32_e64 s4, 0x48000000, |v3|
                                        ; implicit-def: $vgpr8
                                        ; implicit-def: $vgpr7
	s_delay_alu instid0(VALU_DEP_2) | instskip(NEXT) | instid1(VALU_DEP_2)
	v_lshrrev_b32_e32 v9, 23, v5
	s_and_saveexec_b32 s0, s4
	s_delay_alu instid0(SALU_CYCLE_1)
	s_xor_b32 s5, exec_lo, s0
	s_cbranch_execz .LBB142_121
; %bb.89:
	s_mov_b32 s0, 0x7fffff
	s_delay_alu instid0(SALU_CYCLE_1) | instskip(NEXT) | instid1(VALU_DEP_1)
	v_and_or_b32 v19, v5, s0, 0x800000
	v_mad_u64_u32 v[7:8], null, 0xfe5163ab, v19, 0
	s_delay_alu instid0(VALU_DEP_1) | instskip(SKIP_1) | instid1(VALU_DEP_2)
	v_dual_mov_b32 v11, 0 :: v_dual_mov_b32 v10, v8
	v_add_nc_u32_e32 v8, 0xffffff88, v9
	v_mad_u64_u32 v[12:13], null, 0x3c439041, v19, v[10:11]
	s_delay_alu instid0(VALU_DEP_2) | instskip(SKIP_1) | instid1(VALU_DEP_3)
	v_cmp_lt_u32_e32 vcc_lo, 63, v8
	v_cndmask_b32_e64 v17, 0, 0xffffffc0, vcc_lo
	v_mov_b32_e32 v10, v13
	s_delay_alu instid0(VALU_DEP_2) | instskip(NEXT) | instid1(VALU_DEP_2)
	v_add_nc_u32_e32 v8, v17, v8
	v_mad_u64_u32 v[13:14], null, 0xdb629599, v19, v[10:11]
	s_delay_alu instid0(VALU_DEP_2) | instskip(NEXT) | instid1(VALU_DEP_2)
	v_cmp_lt_u32_e64 s0, 31, v8
	v_mov_b32_e32 v10, v14
	s_delay_alu instid0(VALU_DEP_2) | instskip(NEXT) | instid1(VALU_DEP_4)
	v_cndmask_b32_e64 v18, 0, 0xffffffe0, s0
	v_cndmask_b32_e32 v7, v13, v7, vcc_lo
	s_delay_alu instid0(VALU_DEP_3) | instskip(NEXT) | instid1(VALU_DEP_3)
	v_mad_u64_u32 v[14:15], null, 0xf534ddc0, v19, v[10:11]
	v_add_nc_u32_e32 v8, v18, v8
	s_delay_alu instid0(VALU_DEP_1) | instskip(NEXT) | instid1(VALU_DEP_3)
	v_cmp_lt_u32_e64 s1, 31, v8
	v_mov_b32_e32 v10, v15
	s_delay_alu instid0(VALU_DEP_1) | instskip(NEXT) | instid1(VALU_DEP_1)
	v_mad_u64_u32 v[15:16], null, 0xfc2757d1, v19, v[10:11]
	v_mov_b32_e32 v10, v16
	s_delay_alu instid0(VALU_DEP_1) | instskip(NEXT) | instid1(VALU_DEP_1)
	v_mad_u64_u32 v[16:17], null, 0x4e441529, v19, v[10:11]
	v_mov_b32_e32 v10, v17
	s_delay_alu instid0(VALU_DEP_1) | instskip(SKIP_1) | instid1(VALU_DEP_1)
	v_mad_u64_u32 v[17:18], null, 0xa2f9836e, v19, v[10:11]
	v_cndmask_b32_e64 v10, 0, 0xffffffe0, s1
	v_dual_cndmask_b32 v11, v16, v14 :: v_dual_add_nc_u32 v8, v10, v8
	s_delay_alu instid0(VALU_DEP_3) | instskip(SKIP_1) | instid1(VALU_DEP_3)
	v_dual_cndmask_b32 v17, v17, v15 :: v_dual_cndmask_b32 v16, v18, v16
	v_dual_cndmask_b32 v15, v15, v13 :: v_dual_cndmask_b32 v10, v14, v12
	v_cmp_eq_u32_e64 s2, 0, v8
	s_delay_alu instid0(VALU_DEP_3) | instskip(NEXT) | instid1(VALU_DEP_4)
	v_cndmask_b32_e64 v12, v17, v11, s0
	v_cndmask_b32_e64 v14, v16, v17, s0
	s_delay_alu instid0(VALU_DEP_4)
	v_cndmask_b32_e64 v11, v11, v15, s0
	v_sub_nc_u32_e32 v16, 32, v8
	v_cndmask_b32_e64 v15, v15, v10, s0
	v_cndmask_b32_e64 v7, v10, v7, s0
	;; [unrolled: 1-line block ×4, first 2 shown]
	s_delay_alu instid0(VALU_DEP_4) | instskip(NEXT) | instid1(VALU_DEP_4)
	v_cndmask_b32_e64 v11, v11, v15, s1
	v_cndmask_b32_e64 v7, v15, v7, s1
	s_delay_alu instid0(VALU_DEP_3) | instskip(NEXT) | instid1(VALU_DEP_3)
	v_alignbit_b32 v17, v14, v12, v16
	v_alignbit_b32 v18, v12, v11, v16
	s_delay_alu instid0(VALU_DEP_3) | instskip(NEXT) | instid1(VALU_DEP_3)
	v_alignbit_b32 v16, v11, v7, v16
	v_cndmask_b32_e64 v8, v17, v14, s2
	s_delay_alu instid0(VALU_DEP_3) | instskip(NEXT) | instid1(VALU_DEP_3)
	v_cndmask_b32_e64 v12, v18, v12, s2
	v_cndmask_b32_e64 v11, v16, v11, s2
	s_delay_alu instid0(VALU_DEP_3) | instskip(NEXT) | instid1(VALU_DEP_3)
	v_bfe_u32 v13, v8, 29, 1
	v_alignbit_b32 v10, v8, v12, 30
	s_delay_alu instid0(VALU_DEP_3) | instskip(SKIP_1) | instid1(VALU_DEP_4)
	v_alignbit_b32 v12, v12, v11, 30
	v_alignbit_b32 v7, v11, v7, 30
	v_sub_nc_u32_e32 v14, 0, v13
	s_delay_alu instid0(VALU_DEP_1) | instskip(SKIP_3) | instid1(VALU_DEP_4)
	v_xor_b32_e32 v15, v10, v14
	v_cmp_ne_u32_e32 vcc_lo, v10, v14
	v_xor_b32_e32 v11, v12, v14
	v_xor_b32_e32 v7, v7, v14
	v_clz_i32_u32_e32 v17, v15
	s_delay_alu instid0(VALU_DEP_1) | instskip(NEXT) | instid1(VALU_DEP_1)
	v_add_nc_u32_e32 v16, 1, v17
	v_cndmask_b32_e32 v10, 33, v16, vcc_lo
	s_delay_alu instid0(VALU_DEP_1) | instskip(NEXT) | instid1(VALU_DEP_1)
	v_sub_nc_u32_e32 v12, 32, v10
	v_alignbit_b32 v14, v15, v11, v12
	v_alignbit_b32 v7, v11, v7, v12
	v_lshrrev_b32_e32 v11, 29, v8
	v_lshrrev_b32_e32 v8, 30, v8
	s_delay_alu instid0(VALU_DEP_3) | instskip(NEXT) | instid1(VALU_DEP_3)
	v_alignbit_b32 v12, v14, v7, 9
	v_lshlrev_b32_e32 v11, 31, v11
	v_alignbit_b32 v14, v10, v14, 9
	s_delay_alu instid0(VALU_DEP_4) | instskip(NEXT) | instid1(VALU_DEP_4)
	v_add_nc_u32_e32 v8, v13, v8
	v_clz_i32_u32_e32 v15, v12
	s_delay_alu instid0(VALU_DEP_3) | instskip(SKIP_1) | instid1(VALU_DEP_3)
	v_or_b32_e32 v14, v14, v11
	v_or_b32_e32 v11, 0x33800000, v11
	v_min_u32_e32 v15, 32, v15
	s_delay_alu instid0(VALU_DEP_3) | instskip(NEXT) | instid1(VALU_DEP_2)
	v_xor_b32_e32 v14, 1.0, v14
	v_sub_nc_u32_e32 v16, 31, v15
	v_add_lshl_u32 v10, v15, v10, 23
	s_delay_alu instid0(VALU_DEP_3) | instskip(NEXT) | instid1(VALU_DEP_3)
	v_mul_f32_e32 v15, 0x3fc90fda, v14
	v_alignbit_b32 v7, v12, v7, v16
	s_delay_alu instid0(VALU_DEP_3) | instskip(NEXT) | instid1(VALU_DEP_3)
	v_sub_nc_u32_e32 v10, v11, v10
	v_fma_f32 v11, 0x3fc90fda, v14, -v15
	s_delay_alu instid0(VALU_DEP_3) | instskip(NEXT) | instid1(VALU_DEP_2)
	v_lshrrev_b32_e32 v7, 9, v7
	v_fmamk_f32 v11, v14, 0x33a22168, v11
	s_delay_alu instid0(VALU_DEP_2) | instskip(NEXT) | instid1(VALU_DEP_1)
	v_or_b32_e32 v7, v10, v7
	v_fmac_f32_e32 v11, 0x3fc90fda, v7
	s_delay_alu instid0(VALU_DEP_1)
	v_add_f32_e32 v7, v15, v11
	s_or_saveexec_b32 s0, s5
	v_mul_f32_e64 v12, 0x3f22f983, |v3|
	s_xor_b32 exec_lo, exec_lo, s0
	s_branch .LBB142_122
.LBB142_90:
	s_or_b32 exec_lo, exec_lo, s3
	s_waitcnt vmcnt(0) lgkmcnt(0)
	s_setpc_b64 s[30:31]
.LBB142_91:
	s_and_not1_saveexec_b32 s2, s2
	s_cbranch_execz .LBB142_37
.LBB142_92:
	s_mov_b32 s5, s3
	s_mov_b32 s1, exec_lo
                                        ; implicit-def: $vgpr3
	v_cmpx_lt_i16_e32 22, v4
	s_xor_b32 s1, exec_lo, s1
	s_cbranch_execz .LBB142_110
; %bb.93:
	s_mov_b32 s5, exec_lo
                                        ; implicit-def: $vgpr3
	v_cmpx_lt_i16_e32 23, v4
	s_xor_b32 s5, exec_lo, s5
	s_cbranch_execz .LBB142_107
; %bb.94:
	;; [unrolled: 6-line block ×3, first 2 shown]
	flat_load_u8 v4, v[0:1]
	s_mov_b32 s7, 0
	s_mov_b32 s10, exec_lo
                                        ; implicit-def: $sgpr9
                                        ; implicit-def: $sgpr8
	s_waitcnt vmcnt(0) lgkmcnt(0)
	v_cmpx_lt_i16_e32 0x7f, v4
	s_xor_b32 s10, exec_lo, s10
	s_cbranch_execz .LBB142_99
; %bb.96:
	s_mov_b32 s7, -1
	s_mov_b32 s11, exec_lo
                                        ; implicit-def: $sgpr9
                                        ; implicit-def: $sgpr8
	v_cmpx_eq_u16_e32 0x80, v4
; %bb.97:
	s_mov_b32 s8, 0x7f800001
	s_mov_b32 s9, 0
	s_xor_b32 s7, exec_lo, -1
; %bb.98:
	s_or_b32 exec_lo, exec_lo, s11
	s_delay_alu instid0(SALU_CYCLE_1)
	s_and_b32 s7, s7, exec_lo
.LBB142_99:
	s_or_saveexec_b32 s10, s10
	v_dual_mov_b32 v3, s9 :: v_dual_mov_b32 v2, s8
	s_xor_b32 exec_lo, exec_lo, s10
; %bb.100:
	v_mov_b32_e32 v3, 0
	v_cmp_ne_u16_e32 vcc_lo, 0, v4
	s_and_not1_b32 s7, s7, exec_lo
	s_delay_alu instid0(VALU_DEP_2) | instskip(SKIP_1) | instid1(SALU_CYCLE_1)
	v_mov_b32_e32 v2, v3
	s_and_b32 s8, vcc_lo, exec_lo
	s_or_b32 s7, s7, s8
; %bb.101:
	s_or_b32 exec_lo, exec_lo, s10
	s_and_saveexec_b32 s8, s7
	s_cbranch_execz .LBB142_103
; %bb.102:
	v_and_b32_e32 v2, 0xffff, v4
	v_lshlrev_b32_e32 v4, 24, v4
	s_delay_alu instid0(VALU_DEP_2) | instskip(NEXT) | instid1(VALU_DEP_2)
	v_and_b32_e32 v3, 3, v2
	v_and_b32_e32 v4, 0x80000000, v4
	s_delay_alu instid0(VALU_DEP_2) | instskip(NEXT) | instid1(VALU_DEP_1)
	v_clz_i32_u32_e32 v5, v3
	v_min_u32_e32 v5, 32, v5
	s_delay_alu instid0(VALU_DEP_1) | instskip(SKIP_1) | instid1(VALU_DEP_2)
	v_subrev_nc_u32_e32 v6, 29, v5
	v_sub_nc_u32_e32 v5, 30, v5
	v_lshlrev_b32_e32 v6, v6, v2
	v_bfe_u32 v2, v2, 2, 5
	s_delay_alu instid0(VALU_DEP_2) | instskip(NEXT) | instid1(VALU_DEP_2)
	v_and_b32_e32 v6, 3, v6
	v_cmp_eq_u32_e32 vcc_lo, 0, v2
	s_delay_alu instid0(VALU_DEP_2) | instskip(NEXT) | instid1(VALU_DEP_1)
	v_dual_cndmask_b32 v2, v2, v5 :: v_dual_cndmask_b32 v3, v3, v6
	v_lshl_add_u32 v2, v2, 23, 0x37800000
	s_delay_alu instid0(VALU_DEP_2) | instskip(NEXT) | instid1(VALU_DEP_1)
	v_lshlrev_b32_e32 v3, 21, v3
	v_or3_b32 v2, v4, v2, v3
	v_mov_b32_e32 v3, 0
.LBB142_103:
	s_or_b32 exec_lo, exec_lo, s8
.LBB142_104:
	s_and_not1_saveexec_b32 s6, s6
	s_cbranch_execz .LBB142_106
; %bb.105:
	flat_load_u8 v2, v[0:1]
	s_waitcnt vmcnt(0) lgkmcnt(0)
	v_lshlrev_b32_e32 v2, 24, v2
	s_delay_alu instid0(VALU_DEP_1) | instskip(NEXT) | instid1(VALU_DEP_1)
	v_and_b32_e32 v3, 0x7f000000, v2
	v_clz_i32_u32_e32 v4, v3
	v_add_nc_u32_e32 v6, 0x1000000, v3
	v_cmp_ne_u32_e32 vcc_lo, 0, v3
	s_delay_alu instid0(VALU_DEP_3) | instskip(NEXT) | instid1(VALU_DEP_1)
	v_min_u32_e32 v4, 32, v4
	v_sub_nc_u32_e64 v4, v4, 4 clamp
	s_delay_alu instid0(VALU_DEP_1) | instskip(SKIP_1) | instid1(VALU_DEP_2)
	v_lshlrev_b32_e32 v5, v4, v3
	v_lshlrev_b32_e32 v4, 23, v4
	v_lshrrev_b32_e32 v5, 4, v5
	s_delay_alu instid0(VALU_DEP_1) | instskip(SKIP_1) | instid1(VALU_DEP_2)
	v_sub_nc_u32_e32 v4, v5, v4
	v_ashrrev_i32_e32 v5, 8, v6
	v_add_nc_u32_e32 v4, 0x3c000000, v4
	s_delay_alu instid0(VALU_DEP_1) | instskip(NEXT) | instid1(VALU_DEP_1)
	v_and_or_b32 v4, 0x7f800000, v5, v4
	v_cndmask_b32_e32 v3, 0, v4, vcc_lo
	s_delay_alu instid0(VALU_DEP_1)
	v_and_or_b32 v2, 0x80000000, v2, v3
	v_mov_b32_e32 v3, 0
.LBB142_106:
	s_or_b32 exec_lo, exec_lo, s6
.LBB142_107:
	s_and_not1_saveexec_b32 s5, s5
	s_cbranch_execz .LBB142_109
; %bb.108:
	flat_load_u8 v2, v[0:1]
	s_waitcnt vmcnt(0) lgkmcnt(0)
	v_lshlrev_b32_e32 v3, 25, v2
	v_lshlrev_b16 v2, 8, v2
	s_delay_alu instid0(VALU_DEP_2) | instskip(NEXT) | instid1(VALU_DEP_2)
	v_lshrrev_b32_e32 v4, 4, v3
	v_and_or_b32 v5, 0x7f00, v2, 0.5
	v_bfe_i32 v2, v2, 0, 16
	s_delay_alu instid0(VALU_DEP_3) | instskip(NEXT) | instid1(VALU_DEP_1)
	v_or_b32_e32 v4, 0x70000000, v4
	v_dual_add_f32 v5, -0.5, v5 :: v_dual_mul_f32 v4, 0x7800000, v4
	v_cmp_gt_u32_e32 vcc_lo, 0x8000000, v3
	s_delay_alu instid0(VALU_DEP_2) | instskip(NEXT) | instid1(VALU_DEP_1)
	v_cndmask_b32_e32 v3, v4, v5, vcc_lo
	v_and_or_b32 v2, 0x80000000, v2, v3
	v_mov_b32_e32 v3, 0
.LBB142_109:
	s_or_b32 exec_lo, exec_lo, s5
	s_delay_alu instid0(SALU_CYCLE_1)
	s_or_b32 s5, s3, exec_lo
                                        ; implicit-def: $vgpr4
.LBB142_110:
	s_or_saveexec_b32 s1, s1
	s_mov_b32 s6, 0
	s_mov_b32 s7, s4
	s_xor_b32 exec_lo, exec_lo, s1
	s_cbranch_execz .LBB142_118
; %bb.111:
	s_mov_b32 s7, s4
	s_mov_b32 s8, s5
	s_mov_b32 s9, exec_lo
                                        ; implicit-def: $sgpr6
                                        ; implicit-def: $vgpr2
	v_cmpx_lt_i16_e32 14, v4
	s_xor_b32 s9, exec_lo, s9
	s_cbranch_execz .LBB142_115
; %bb.112:
	s_mov_b32 s7, -1
	s_mov_b32 s8, s5
	s_mov_b32 s10, exec_lo
                                        ; implicit-def: $sgpr6
                                        ; implicit-def: $vgpr2
	v_cmpx_eq_u16_e32 15, v4
	s_cbranch_execz .LBB142_114
; %bb.113:
	flat_load_u16 v2, v[0:1]
	s_mov_b32 s6, 0
	s_or_b32 s8, s5, exec_lo
	s_xor_b32 s7, exec_lo, -1
	s_waitcnt vmcnt(0) lgkmcnt(0)
	v_lshlrev_b32_e32 v2, 16, v2
.LBB142_114:
	s_or_b32 exec_lo, exec_lo, s10
	s_delay_alu instid0(SALU_CYCLE_1)
	s_and_not1_b32 s10, s5, exec_lo
	s_and_b32 s8, s8, exec_lo
	s_and_not1_b32 s11, s4, exec_lo
	s_and_b32 s7, s7, exec_lo
	s_or_b32 s8, s10, s8
	s_or_b32 s7, s11, s7
                                        ; implicit-def: $vgpr4
.LBB142_115:
	s_or_saveexec_b32 s10, s9
	s_mov_b32 s9, 0
	s_xor_b32 exec_lo, exec_lo, s10
; %bb.116:
	v_cmp_ne_u16_e32 vcc_lo, 11, v4
	s_and_not1_b32 s7, s7, exec_lo
	s_mov_b32 s9, exec_lo
                                        ; implicit-def: $vgpr2
	s_and_b32 s11, vcc_lo, exec_lo
	s_delay_alu instid0(SALU_CYCLE_1)
	s_or_b32 s7, s7, s11
; %bb.117:
	s_or_b32 exec_lo, exec_lo, s10
	s_delay_alu instid0(SALU_CYCLE_1)
	s_and_not1_b32 s5, s5, exec_lo
	s_and_b32 s8, s8, exec_lo
	v_mov_b32_e32 v3, s6
	s_or_b32 s5, s5, s8
	s_and_not1_b32 s8, s4, exec_lo
	s_and_b32 s7, s7, exec_lo
	s_and_b32 s6, s9, exec_lo
	s_or_b32 s7, s8, s7
.LBB142_118:
	s_or_b32 exec_lo, exec_lo, s1
	s_delay_alu instid0(SALU_CYCLE_1)
	s_and_not1_b32 s1, s3, exec_lo
	s_and_b32 s3, s5, exec_lo
	s_and_not1_b32 s4, s4, exec_lo
	s_and_b32 s5, s7, exec_lo
	s_or_b32 s3, s1, s3
	s_and_b32 s1, s6, exec_lo
	s_or_b32 s4, s4, s5
	s_or_b32 exec_lo, exec_lo, s2
	s_and_saveexec_b32 s2, s4
	s_cbranch_execz .LBB142_38
.LBB142_119:
	s_cbranch_execnz .LBB142_128
; %bb.120:
	; divergent unreachable
	s_and_not1_b32 s1, s1, exec_lo
                                        ; implicit-def: $vgpr3
	s_or_b32 exec_lo, exec_lo, s2
	s_and_saveexec_b32 s2, s1
	s_delay_alu instid0(SALU_CYCLE_1)
	s_xor_b32 s1, exec_lo, s2
	s_cbranch_execnz .LBB142_39
	s_branch .LBB142_40
.LBB142_121:
	s_or_saveexec_b32 s0, s5
	v_mul_f32_e64 v12, 0x3f22f983, |v3|
	s_xor_b32 exec_lo, exec_lo, s0
.LBB142_122:
	s_delay_alu instid0(VALU_DEP_1) | instskip(NEXT) | instid1(VALU_DEP_1)
	v_rndne_f32_e32 v8, v12
	v_fma_f32 v7, 0xbfc90fda, v8, |v3|
	s_delay_alu instid0(VALU_DEP_1) | instskip(NEXT) | instid1(VALU_DEP_1)
	v_fmamk_f32 v7, v8, 0xb3a22168, v7
	v_fmamk_f32 v7, v8, 0xa7c234c4, v7
	v_cvt_i32_f32_e32 v8, v8
; %bb.123:
	s_or_b32 exec_lo, exec_lo, s0
                                        ; implicit-def: $vgpr11
                                        ; implicit-def: $vgpr10
	s_and_saveexec_b32 s0, s4
	s_delay_alu instid0(SALU_CYCLE_1)
	s_xor_b32 s4, exec_lo, s0
	s_cbranch_execz .LBB142_125
; %bb.124:
	s_mov_b32 s0, 0x7fffff
	v_mov_b32_e32 v12, 0
	v_and_or_b32 v20, v5, s0, 0x800000
	s_delay_alu instid0(VALU_DEP_1) | instskip(NEXT) | instid1(VALU_DEP_1)
	v_mad_u64_u32 v[10:11], null, 0xfe5163ab, v20, 0
	v_mad_u64_u32 v[13:14], null, 0x3c439041, v20, v[11:12]
	s_delay_alu instid0(VALU_DEP_1) | instskip(NEXT) | instid1(VALU_DEP_1)
	v_mov_b32_e32 v11, v14
	v_mad_u64_u32 v[14:15], null, 0xdb629599, v20, v[11:12]
	v_add_nc_u32_e32 v9, 0xffffff88, v9
	s_delay_alu instid0(VALU_DEP_1) | instskip(NEXT) | instid1(VALU_DEP_3)
	v_cmp_lt_u32_e32 vcc_lo, 63, v9
	v_mov_b32_e32 v11, v15
	v_cndmask_b32_e64 v18, 0, 0xffffffc0, vcc_lo
	s_delay_alu instid0(VALU_DEP_2) | instskip(SKIP_1) | instid1(VALU_DEP_3)
	v_mad_u64_u32 v[15:16], null, 0xf534ddc0, v20, v[11:12]
	v_cndmask_b32_e32 v10, v14, v10, vcc_lo
	v_add_nc_u32_e32 v9, v18, v9
	s_delay_alu instid0(VALU_DEP_3) | instskip(NEXT) | instid1(VALU_DEP_2)
	v_mov_b32_e32 v11, v16
	v_cmp_lt_u32_e64 s0, 31, v9
	s_delay_alu instid0(VALU_DEP_2) | instskip(NEXT) | instid1(VALU_DEP_2)
	v_mad_u64_u32 v[16:17], null, 0xfc2757d1, v20, v[11:12]
	v_cndmask_b32_e64 v19, 0, 0xffffffe0, s0
	s_delay_alu instid0(VALU_DEP_1) | instskip(NEXT) | instid1(VALU_DEP_3)
	v_add_nc_u32_e32 v9, v19, v9
	v_mov_b32_e32 v11, v17
	s_delay_alu instid0(VALU_DEP_2) | instskip(NEXT) | instid1(VALU_DEP_2)
	v_cmp_lt_u32_e64 s1, 31, v9
	v_mad_u64_u32 v[17:18], null, 0x4e441529, v20, v[11:12]
	s_delay_alu instid0(VALU_DEP_1) | instskip(NEXT) | instid1(VALU_DEP_1)
	v_mov_b32_e32 v11, v18
	v_mad_u64_u32 v[18:19], null, 0xa2f9836e, v20, v[11:12]
	s_delay_alu instid0(VALU_DEP_4) | instskip(NEXT) | instid1(VALU_DEP_1)
	v_cndmask_b32_e64 v11, 0, 0xffffffe0, s1
	v_dual_cndmask_b32 v12, v17, v15 :: v_dual_add_nc_u32 v9, v11, v9
	s_delay_alu instid0(VALU_DEP_3) | instskip(SKIP_1) | instid1(VALU_DEP_3)
	v_dual_cndmask_b32 v18, v18, v16 :: v_dual_cndmask_b32 v17, v19, v17
	v_dual_cndmask_b32 v16, v16, v14 :: v_dual_cndmask_b32 v11, v15, v13
	v_cmp_eq_u32_e64 s2, 0, v9
	s_delay_alu instid0(VALU_DEP_3) | instskip(NEXT) | instid1(VALU_DEP_4)
	v_cndmask_b32_e64 v13, v18, v12, s0
	v_cndmask_b32_e64 v15, v17, v18, s0
	s_delay_alu instid0(VALU_DEP_4)
	v_cndmask_b32_e64 v12, v12, v16, s0
	v_sub_nc_u32_e32 v17, 32, v9
	v_cndmask_b32_e64 v16, v16, v11, s0
	v_cndmask_b32_e64 v10, v11, v10, s0
	;; [unrolled: 1-line block ×4, first 2 shown]
	s_delay_alu instid0(VALU_DEP_4) | instskip(NEXT) | instid1(VALU_DEP_4)
	v_cndmask_b32_e64 v12, v12, v16, s1
	v_cndmask_b32_e64 v10, v16, v10, s1
	s_delay_alu instid0(VALU_DEP_3) | instskip(NEXT) | instid1(VALU_DEP_3)
	v_alignbit_b32 v18, v15, v13, v17
	v_alignbit_b32 v19, v13, v12, v17
	s_delay_alu instid0(VALU_DEP_3) | instskip(NEXT) | instid1(VALU_DEP_3)
	v_alignbit_b32 v17, v12, v10, v17
	v_cndmask_b32_e64 v9, v18, v15, s2
	s_delay_alu instid0(VALU_DEP_3) | instskip(NEXT) | instid1(VALU_DEP_3)
	v_cndmask_b32_e64 v13, v19, v13, s2
	v_cndmask_b32_e64 v12, v17, v12, s2
	s_delay_alu instid0(VALU_DEP_3) | instskip(NEXT) | instid1(VALU_DEP_3)
	v_bfe_u32 v14, v9, 29, 1
	v_alignbit_b32 v11, v9, v13, 30
	s_delay_alu instid0(VALU_DEP_3) | instskip(SKIP_1) | instid1(VALU_DEP_4)
	v_alignbit_b32 v13, v13, v12, 30
	v_alignbit_b32 v10, v12, v10, 30
	v_sub_nc_u32_e32 v15, 0, v14
	s_delay_alu instid0(VALU_DEP_1) | instskip(SKIP_3) | instid1(VALU_DEP_4)
	v_xor_b32_e32 v16, v11, v15
	v_cmp_ne_u32_e32 vcc_lo, v11, v15
	v_xor_b32_e32 v12, v13, v15
	v_xor_b32_e32 v10, v10, v15
	v_clz_i32_u32_e32 v18, v16
	s_delay_alu instid0(VALU_DEP_1) | instskip(NEXT) | instid1(VALU_DEP_1)
	v_add_nc_u32_e32 v17, 1, v18
	v_cndmask_b32_e32 v11, 33, v17, vcc_lo
	s_delay_alu instid0(VALU_DEP_1) | instskip(NEXT) | instid1(VALU_DEP_1)
	v_sub_nc_u32_e32 v13, 32, v11
	v_alignbit_b32 v15, v16, v12, v13
	v_alignbit_b32 v10, v12, v10, v13
	v_lshrrev_b32_e32 v12, 29, v9
	v_lshrrev_b32_e32 v9, 30, v9
	s_delay_alu instid0(VALU_DEP_3) | instskip(NEXT) | instid1(VALU_DEP_3)
	v_alignbit_b32 v13, v15, v10, 9
	v_lshlrev_b32_e32 v12, 31, v12
	v_alignbit_b32 v15, v11, v15, 9
	s_delay_alu instid0(VALU_DEP_3) | instskip(NEXT) | instid1(VALU_DEP_2)
	v_clz_i32_u32_e32 v16, v13
	v_or_b32_e32 v15, v15, v12
	v_or_b32_e32 v12, 0x33800000, v12
	s_delay_alu instid0(VALU_DEP_3) | instskip(NEXT) | instid1(VALU_DEP_3)
	v_min_u32_e32 v16, 32, v16
	v_xor_b32_e32 v15, 1.0, v15
	s_delay_alu instid0(VALU_DEP_2) | instskip(SKIP_1) | instid1(VALU_DEP_3)
	v_sub_nc_u32_e32 v17, 31, v16
	v_add_lshl_u32 v11, v16, v11, 23
	v_mul_f32_e32 v16, 0x3fc90fda, v15
	s_delay_alu instid0(VALU_DEP_3) | instskip(NEXT) | instid1(VALU_DEP_3)
	v_alignbit_b32 v10, v13, v10, v17
	v_sub_nc_u32_e32 v11, v12, v11
	s_delay_alu instid0(VALU_DEP_3) | instskip(NEXT) | instid1(VALU_DEP_3)
	v_fma_f32 v12, 0x3fc90fda, v15, -v16
	v_lshrrev_b32_e32 v10, 9, v10
	s_delay_alu instid0(VALU_DEP_2) | instskip(NEXT) | instid1(VALU_DEP_2)
	v_fmamk_f32 v12, v15, 0x33a22168, v12
	v_or_b32_e32 v10, v11, v10
	s_delay_alu instid0(VALU_DEP_1) | instskip(NEXT) | instid1(VALU_DEP_1)
	v_dual_fmac_f32 v12, 0x3fc90fda, v10 :: v_dual_add_nc_u32 v11, v14, v9
	v_add_f32_e32 v10, v16, v12
                                        ; implicit-def: $vgpr12
	s_and_not1_saveexec_b32 s0, s4
	s_cbranch_execnz .LBB142_126
	s_branch .LBB142_127
.LBB142_125:
	s_and_not1_saveexec_b32 s0, s4
.LBB142_126:
	v_rndne_f32_e32 v9, v12
	s_delay_alu instid0(VALU_DEP_1) | instskip(SKIP_1) | instid1(VALU_DEP_2)
	v_fma_f32 v10, 0xbfc90fda, v9, |v3|
	v_cvt_i32_f32_e32 v11, v9
	v_fmamk_f32 v10, v9, 0xb3a22168, v10
	s_delay_alu instid0(VALU_DEP_1)
	v_fmamk_f32 v10, v9, 0xa7c234c4, v10
.LBB142_127:
	s_or_b32 exec_lo, exec_lo, s0
	v_dual_mul_f32 v9, 0x3fb8aa3b, v2 :: v_dual_lshlrev_b32 v12, 30, v8
	v_dual_mul_f32 v13, v7, v7 :: v_dual_and_b32 v8, 1, v8
	s_mov_b32 s2, 0xb94c1982
	s_delay_alu instid0(VALU_DEP_2) | instskip(SKIP_1) | instid1(VALU_DEP_3)
	v_rndne_f32_e32 v14, v9
	v_lshlrev_b32_e32 v15, 30, v6
	v_dual_mul_f32 v18, v10, v10 :: v_dual_fmaak_f32 v21, s2, v13, 0x3c0881c4
	s_mov_b32 s0, 0x395133b1
	s_delay_alu instid0(VALU_DEP_3)
	v_fmamk_f32 v16, v14, 0xbf317218, v2
	v_cvt_i32_f32_e32 v27, v14
	v_cmp_eq_f32_e32 vcc_lo, 0x43000000, v14
	v_fma_f32 v19, 0x3fb8aa3b, v2, -v9
	v_fmaak_f32 v21, v13, v21, 0xbe2aaa9d
	v_dual_fmamk_f32 v16, v14, 0x3102e308, v16 :: v_dual_sub_f32 v9, v9, v14
	v_cndmask_b32_e64 v14, v27, 0x7f, vcc_lo
	s_delay_alu instid0(VALU_DEP_4) | instskip(SKIP_1) | instid1(VALU_DEP_4)
	v_dual_fmamk_f32 v19, v2, 0x32a5705f, v19 :: v_dual_and_b32 v6, 1, v6
	v_mul_f32_e32 v17, v4, v4
	v_dual_fmaak_f32 v22, s0, v16, 0x3ab69700 :: v_dual_mul_f32 v21, v13, v21
	s_delay_alu instid0(VALU_DEP_4) | instskip(NEXT) | instid1(VALU_DEP_4)
	v_ldexp_f32 v14, 1.0, v14
	v_dual_add_f32 v9, v9, v19 :: v_dual_and_b32 v12, 0x80000000, v12
	s_delay_alu instid0(VALU_DEP_3)
	v_fmaak_f32 v22, v16, v22, 0x3c0887f9
	s_mov_b32 s1, 0x37d75334
	v_cmp_ngt_f32_e64 s0, 0xc2ce8ed0, v2
	v_fmaak_f32 v24, s1, v17, 0xbab64f3b
	v_exp_f32_e32 v9, v9
	v_fmaak_f32 v22, v16, v22, 0x3d2aaa81
	v_xor_b32_e32 v1, v1, v0
	v_dual_fmaak_f32 v26, s1, v18, 0xbab64f3b :: v_dual_fmac_f32 v7, v7, v21
	v_fmaak_f32 v24, v17, v24, 0x3d2aabf7
	s_delay_alu instid0(VALU_DEP_4) | instskip(SKIP_1) | instid1(TRANS32_DEP_1)
	v_fmaak_f32 v22, v16, v22, 0x3e2aaaab
	v_xor_b32_e32 v5, v5, v3
	v_ldexp_f32 v9, v9, v27
	s_delay_alu instid0(VALU_DEP_3) | instskip(SKIP_1) | instid1(VALU_DEP_3)
	v_fma_f32 v19, v16, v22, 0.5
	v_fmaak_f32 v20, s1, v13, 0xbab64f3b
	v_cndmask_b32_e64 v9, 0, v9, s0
	s_delay_alu instid0(VALU_DEP_3) | instskip(SKIP_3) | instid1(VALU_DEP_4)
	v_mul_f32_e32 v19, v16, v19
	v_fmaak_f32 v23, s2, v17, 0x3c0881c4
	v_cmp_eq_u32_e64 s0, 0, v6
	v_fmaak_f32 v20, v13, v20, 0x3d2aabf7
	v_fmac_f32_e32 v16, v16, v19
	s_delay_alu instid0(VALU_DEP_4) | instskip(NEXT) | instid1(VALU_DEP_1)
	v_fmaak_f32 v23, v17, v23, 0xbe2aaa9d
	v_dual_fmaak_f32 v25, s2, v18, 0x3c0881c4 :: v_dual_mul_f32 v22, v17, v23
	s_delay_alu instid0(VALU_DEP_1) | instskip(SKIP_1) | instid1(VALU_DEP_3)
	v_fmaak_f32 v25, v18, v25, 0xbe2aaa9d
	v_and_b32_e32 v15, 0x80000000, v15
	v_dual_fmaak_f32 v23, v17, v24, 0xbf000004 :: v_dual_fmac_f32 v4, v4, v22
	s_delay_alu instid0(VALU_DEP_3) | instskip(NEXT) | instid1(VALU_DEP_1)
	v_dual_mul_f32 v24, v18, v25 :: v_dual_add_f32 v25, -1.0, v14
	v_fmac_f32_e32 v10, v10, v24
	s_delay_alu instid0(VALU_DEP_2) | instskip(NEXT) | instid1(VALU_DEP_4)
	v_fmac_f32_e32 v25, v14, v16
	v_fma_f32 v14, v17, v23, 1.0
	s_delay_alu instid0(VALU_DEP_2) | instskip(NEXT) | instid1(VALU_DEP_2)
	v_add_f32_e32 v16, v25, v25
	v_cndmask_b32_e64 v4, v14, v4, s0
	v_cmp_nlt_f32_e64 s0, 0x42b17218, v2
	s_delay_alu instid0(VALU_DEP_2) | instskip(SKIP_2) | instid1(VALU_DEP_4)
	v_xor3_b32 v1, v1, v15, v4
	v_and_b32_e32 v4, 1, v11
	v_dual_fmaak_f32 v20, v13, v20, 0xbf000004 :: v_dual_lshlrev_b32 v11, 30, v11
	v_cndmask_b32_e64 v6, 0x7f800000, v9, s0
	v_cndmask_b32_e32 v9, v25, v16, vcc_lo
	v_cmp_eq_u32_e32 vcc_lo, 0, v8
	v_cmp_ngt_f32_e64 s0, 0xc1880000, v2
	v_fma_f32 v13, v13, v20, 1.0
	s_delay_alu instid0(VALU_DEP_1) | instskip(SKIP_1) | instid1(VALU_DEP_2)
	v_cndmask_b32_e64 v7, -v7, v13, vcc_lo
	v_cmp_class_f32_e64 vcc_lo, v0, 0x1f8
	v_xor_b32_e32 v7, v12, v7
	v_cndmask_b32_e32 v0, 0x7fc00000, v1, vcc_lo
	v_fmaak_f32 v26, v18, v26, 0x3d2aabf7
	v_cmp_eq_u32_e32 vcc_lo, 0, v4
	v_and_b32_e32 v4, 0x80000000, v11
	s_delay_alu instid0(VALU_DEP_3) | instskip(NEXT) | instid1(VALU_DEP_1)
	v_fmaak_f32 v19, v18, v26, 0xbf000004
	v_fma_f32 v8, v18, v19, 1.0
	s_delay_alu instid0(VALU_DEP_1) | instskip(SKIP_1) | instid1(VALU_DEP_2)
	v_cndmask_b32_e32 v1, v8, v10, vcc_lo
	v_cmp_nlt_f32_e32 vcc_lo, 0x42b17217, v2
	v_xor3_b32 v1, v5, v4, v1
	v_cndmask_b32_e32 v8, 0x7f800000, v9, vcc_lo
	v_cmp_class_f32_e64 vcc_lo, v3, 0x1f8
	v_add_f32_e32 v3, v0, v0
	s_delay_alu instid0(VALU_DEP_3) | instskip(SKIP_1) | instid1(VALU_DEP_3)
	v_cndmask_b32_e64 v2, -1.0, v8, s0
	v_cndmask_b32_e32 v4, 0x7fc00000, v7, vcc_lo
	v_dual_mul_f32 v0, v0, v3 :: v_dual_cndmask_b32 v1, 0x7fc00000, v1
	s_delay_alu instid0(VALU_DEP_1) | instskip(NEXT) | instid1(VALU_DEP_2)
	v_fma_f32 v0, v2, v4, -v0
	v_mul_f32_e32 v1, v6, v1
	s_or_b32 exec_lo, exec_lo, s3
	s_setpc_b64 s[30:31]
.LBB142_128:
	s_trap 2
	s_sendmsg_rtn_b32 s0, sendmsg(MSG_RTN_GET_DOORBELL)
	s_mov_b32 ttmp2, m0
	s_waitcnt lgkmcnt(0)
	s_and_b32 s0, s0, 0x3ff
	s_delay_alu instid0(SALU_CYCLE_1) | instskip(NEXT) | instid1(SALU_CYCLE_1)
	s_bitset1_b32 s0, 10
	s_mov_b32 m0, s0
	s_sendmsg sendmsg(MSG_INTERRUPT)
	s_mov_b32 m0, ttmp2
.LBB142_129:                            ; =>This Inner Loop Header: Depth=1
	s_sethalt 5
	s_branch .LBB142_129
.Lfunc_end142:
	.size	_ZN2at6native6invokeIZZZNS0_17expm1_kernel_cudaERNS_18TensorIteratorBaseEENKUlvE_clEvENKUlvE2_clEvEUlN3c107complexIfEEE_i15function_traitsIS9_EEENT1_11result_typeERKT_PrKPcPKT0_PKNS6_10ScalarTypeEi, .Lfunc_end142-_ZN2at6native6invokeIZZZNS0_17expm1_kernel_cudaERNS_18TensorIteratorBaseEENKUlvE_clEvENKUlvE2_clEvEUlN3c107complexIfEEE_i15function_traitsIS9_EEENT1_11result_typeERKT_PrKPcPKT0_PKNS6_10ScalarTypeEi
                                        ; -- End function
	.section	.AMDGPU.csdata,"",@progbits
; Function info:
; codeLenInByte = 5688
; NumSgprs: 34
; NumVgprs: 28
; ScratchSize: 0
; MemoryBound: 1
	.section	.text._ZN2at6native32elementwise_kernel_manual_unrollILi128ELi4EZNS0_15gpu_kernel_implIZZZNS0_17expm1_kernel_cudaERNS_18TensorIteratorBaseEENKUlvE_clEvENKUlvE2_clEvEUlN3c107complexIfEEE_EEvS4_RKT_EUlibE_EEviT1_,"axG",@progbits,_ZN2at6native32elementwise_kernel_manual_unrollILi128ELi4EZNS0_15gpu_kernel_implIZZZNS0_17expm1_kernel_cudaERNS_18TensorIteratorBaseEENKUlvE_clEvENKUlvE2_clEvEUlN3c107complexIfEEE_EEvS4_RKT_EUlibE_EEviT1_,comdat
	.globl	_ZN2at6native32elementwise_kernel_manual_unrollILi128ELi4EZNS0_15gpu_kernel_implIZZZNS0_17expm1_kernel_cudaERNS_18TensorIteratorBaseEENKUlvE_clEvENKUlvE2_clEvEUlN3c107complexIfEEE_EEvS4_RKT_EUlibE_EEviT1_ ; -- Begin function _ZN2at6native32elementwise_kernel_manual_unrollILi128ELi4EZNS0_15gpu_kernel_implIZZZNS0_17expm1_kernel_cudaERNS_18TensorIteratorBaseEENKUlvE_clEvENKUlvE2_clEvEUlN3c107complexIfEEE_EEvS4_RKT_EUlibE_EEviT1_
	.p2align	8
	.type	_ZN2at6native32elementwise_kernel_manual_unrollILi128ELi4EZNS0_15gpu_kernel_implIZZZNS0_17expm1_kernel_cudaERNS_18TensorIteratorBaseEENKUlvE_clEvENKUlvE2_clEvEUlN3c107complexIfEEE_EEvS4_RKT_EUlibE_EEviT1_,@function
_ZN2at6native32elementwise_kernel_manual_unrollILi128ELi4EZNS0_15gpu_kernel_implIZZZNS0_17expm1_kernel_cudaERNS_18TensorIteratorBaseEENKUlvE_clEvENKUlvE2_clEvEUlN3c107complexIfEEE_EEvS4_RKT_EUlibE_EEviT1_: ; @_ZN2at6native32elementwise_kernel_manual_unrollILi128ELi4EZNS0_15gpu_kernel_implIZZZNS0_17expm1_kernel_cudaERNS_18TensorIteratorBaseEENKUlvE_clEvENKUlvE2_clEvEUlN3c107complexIfEEE_EEvS4_RKT_EUlibE_EEviT1_
; %bb.0:
	v_mov_b32_e32 v1, 0
	s_clause 0x2
	s_load_b32 s21, s[0:1], 0x0
	s_load_b64 s[12:13], s[0:1], 0x18
	s_load_b128 s[16:19], s[0:1], 0x8
	v_lshl_or_b32 v34, s15, 9, v0
	s_mov_b32 s14, 0
	s_mov_b32 s20, 0
	global_load_u16 v37, v1, s[0:1] offset:33
	s_mov_b32 s32, 0
	v_or_b32_e32 v36, 0x180, v34
	s_mov_b32 s0, exec_lo
	s_waitcnt vmcnt(0)
	v_lshrrev_b16 v35, 8, v37
	s_waitcnt lgkmcnt(0)
	v_cmpx_le_i32_e64 s21, v36
	s_xor_b32 s15, exec_lo, s0
	s_cbranch_execz .LBB143_175
; %bb.1:
	s_mov_b32 s0, -1
	s_mov_b32 s23, 0
	s_mov_b32 s22, exec_lo
	v_cmpx_gt_i32_e64 s21, v34
                                        ; implicit-def: $vgpr1
	s_cbranch_execz .LBB143_124
; %bb.2:
	v_dual_mov_b32 v0, s18 :: v_dual_mov_b32 v1, s19
	v_dual_mov_b32 v2, s13 :: v_dual_mov_b32 v3, v35
	v_mov_b32_e32 v4, v34
	s_getpc_b64 s[0:1]
	s_add_u32 s0, s0, _ZN2at6native6invokeIZZZNS0_17expm1_kernel_cudaERNS_18TensorIteratorBaseEENKUlvE_clEvENKUlvE2_clEvEUlN3c107complexIfEEE_i15function_traitsIS9_EEENT1_11result_typeERKT_PrKPcPKT0_PKNS6_10ScalarTypeEi@rel32@lo+4
	s_addc_u32 s1, s1, _ZN2at6native6invokeIZZZNS0_17expm1_kernel_cudaERNS_18TensorIteratorBaseEENKUlvE_clEvENKUlvE2_clEvEUlN3c107complexIfEEE_i15function_traitsIS9_EEENT1_11result_typeERKT_PrKPcPKT0_PKNS6_10ScalarTypeEi@rel32@hi+12
	s_delay_alu instid0(SALU_CYCLE_1) | instskip(SKIP_2) | instid1(VALU_DEP_1)
	s_swappc_b64 s[30:31], s[0:1]
	v_mul_lo_u32 v2, v34, s12
	v_and_b32_e32 v4, 0xff, v37
	v_cmp_gt_i16_e32 vcc_lo, 11, v4
	s_delay_alu instid0(VALU_DEP_3) | instskip(SKIP_1) | instid1(VALU_DEP_1)
	v_ashrrev_i32_e32 v3, 31, v2
	v_add_co_u32 v2, s0, s16, v2
	v_add_co_ci_u32_e64 v3, s0, s17, v3, s0
	s_cbranch_vccnz .LBB143_9
; %bb.3:
	v_cmp_lt_i16_e32 vcc_lo, 25, v4
	s_cbranch_vccz .LBB143_12
; %bb.4:
	v_cmp_lt_i16_e32 vcc_lo, 28, v4
	s_cbranch_vccz .LBB143_13
	;; [unrolled: 3-line block ×4, first 2 shown]
; %bb.7:
	v_cmp_eq_u16_e32 vcc_lo, 46, v4
	s_mov_b32 s2, 0
	s_mov_b32 s0, -1
	s_mov_b32 s1, 0
	s_cbranch_vccz .LBB143_16
; %bb.8:
	v_bfe_u32 v5, v1, 16, 1
	v_bfe_u32 v6, v0, 16, 1
	v_cmp_o_f32_e32 vcc_lo, v1, v1
	s_mov_b32 s1, -1
	s_mov_b32 s0, 0
	v_add3_u32 v5, v1, v5, 0x7fff
	v_add3_u32 v6, v0, v6, 0x7fff
	s_delay_alu instid0(VALU_DEP_2) | instskip(NEXT) | instid1(VALU_DEP_2)
	v_and_b32_e32 v5, 0xffff0000, v5
	v_lshrrev_b32_e32 v6, 16, v6
	s_delay_alu instid0(VALU_DEP_2) | instskip(SKIP_1) | instid1(VALU_DEP_3)
	v_cndmask_b32_e32 v5, 0x7fc00000, v5, vcc_lo
	v_cmp_o_f32_e32 vcc_lo, v0, v0
	v_cndmask_b32_e32 v6, 0x7fc0, v6, vcc_lo
	s_delay_alu instid0(VALU_DEP_1)
	v_or_b32_e32 v5, v5, v6
	global_store_b32 v[2:3], v5, off
	s_branch .LBB143_16
.LBB143_9:
	s_mov_b32 s0, 0
	s_mov_b32 s1, 0
	s_cbranch_execnz .LBB143_84
.LBB143_10:
	s_and_not1_b32 vcc_lo, exec_lo, s1
	s_cbranch_vccnz .LBB143_122
.LBB143_11:
	v_add_nc_u32_e32 v34, 0x80, v34
	s_mov_b32 s1, -1
	s_branch .LBB143_123
.LBB143_12:
	s_mov_b32 s0, 0
	s_mov_b32 s1, 0
	s_cbranch_execnz .LBB143_43
	s_branch .LBB143_83
.LBB143_13:
	s_mov_b32 s2, -1
	s_mov_b32 s0, 0
	s_mov_b32 s1, 0
	s_branch .LBB143_26
.LBB143_14:
	s_mov_b32 s2, -1
	s_mov_b32 s0, 0
	s_mov_b32 s1, 0
	s_branch .LBB143_22
.LBB143_15:
	s_mov_b32 s2, -1
	s_mov_b32 s0, 0
	s_mov_b32 s1, 0
.LBB143_16:
	s_and_b32 vcc_lo, exec_lo, s2
	s_cbranch_vccz .LBB143_21
; %bb.17:
	v_cmp_eq_u16_e32 vcc_lo, 44, v4
	s_mov_b32 s0, -1
	s_cbranch_vccz .LBB143_21
; %bb.18:
	v_bfe_u32 v6, v0, 23, 8
	v_mov_b32_e32 v5, 0xff
	s_mov_b32 s1, exec_lo
	s_delay_alu instid0(VALU_DEP_2)
	v_cmpx_ne_u32_e32 0xff, v6
; %bb.19:
	v_and_b32_e32 v5, 0x400000, v0
	v_and_or_b32 v6, 0x3fffff, v0, v6
	s_delay_alu instid0(VALU_DEP_2) | instskip(NEXT) | instid1(VALU_DEP_2)
	v_cmp_ne_u32_e32 vcc_lo, 0, v5
	v_cmp_ne_u32_e64 s0, 0, v6
	v_lshrrev_b32_e32 v5, 23, v0
	s_delay_alu instid0(VALU_DEP_2) | instskip(NEXT) | instid1(SALU_CYCLE_1)
	s_and_b32 s0, vcc_lo, s0
	v_cndmask_b32_e64 v6, 0, 1, s0
	s_delay_alu instid0(VALU_DEP_1)
	v_add_nc_u32_e32 v5, v5, v6
; %bb.20:
	s_or_b32 exec_lo, exec_lo, s1
	s_mov_b32 s1, -1
	s_mov_b32 s0, 0
	global_store_b8 v[2:3], v5, off
.LBB143_21:
	s_mov_b32 s2, 0
.LBB143_22:
	s_delay_alu instid0(SALU_CYCLE_1)
	s_and_b32 vcc_lo, exec_lo, s2
	s_cbranch_vccz .LBB143_25
; %bb.23:
	v_cmp_eq_u16_e32 vcc_lo, 29, v4
	s_mov_b32 s0, -1
	s_cbranch_vccz .LBB143_25
; %bb.24:
	v_trunc_f32_e32 v5, v0
	s_mov_b32 s1, -1
	s_mov_b32 s0, 0
	s_mov_b32 s2, 0
	s_delay_alu instid0(VALU_DEP_1) | instskip(NEXT) | instid1(VALU_DEP_1)
	v_mul_f32_e32 v6, 0x2f800000, v5
	v_floor_f32_e32 v6, v6
	s_delay_alu instid0(VALU_DEP_1) | instskip(SKIP_1) | instid1(VALU_DEP_2)
	v_fmamk_f32 v5, v6, 0xcf800000, v5
	v_cvt_u32_f32_e32 v6, v6
	v_cvt_u32_f32_e32 v5, v5
	global_store_b64 v[2:3], v[5:6], off
	s_branch .LBB143_26
.LBB143_25:
	s_mov_b32 s2, 0
.LBB143_26:
	s_delay_alu instid0(SALU_CYCLE_1)
	s_and_b32 vcc_lo, exec_lo, s2
	s_cbranch_vccz .LBB143_42
; %bb.27:
	v_cmp_gt_i16_e32 vcc_lo, 27, v4
	s_mov_b32 s1, -1
	s_cbranch_vccnz .LBB143_33
; %bb.28:
	v_cmp_lt_i16_e32 vcc_lo, 27, v4
	v_cvt_u32_f32_e32 v5, v0
	s_cbranch_vccz .LBB143_30
; %bb.29:
	s_mov_b32 s1, 0
	global_store_b32 v[2:3], v5, off
.LBB143_30:
	s_and_not1_b32 vcc_lo, exec_lo, s1
	s_cbranch_vccnz .LBB143_32
; %bb.31:
	global_store_b16 v[2:3], v5, off
.LBB143_32:
	s_mov_b32 s1, 0
.LBB143_33:
	s_delay_alu instid0(SALU_CYCLE_1)
	s_and_not1_b32 vcc_lo, exec_lo, s1
	s_cbranch_vccnz .LBB143_41
; %bb.34:
	v_and_b32_e32 v5, 0x7fffffff, v0
	v_mov_b32_e32 v6, 0x80
	s_mov_b32 s1, exec_lo
	s_delay_alu instid0(VALU_DEP_2)
	v_cmpx_gt_u32_e32 0x43800000, v5
	s_cbranch_execz .LBB143_40
; %bb.35:
	v_cmp_lt_u32_e32 vcc_lo, 0x3bffffff, v5
	s_mov_b32 s2, 0
                                        ; implicit-def: $vgpr5
	s_and_saveexec_b32 s3, vcc_lo
	s_delay_alu instid0(SALU_CYCLE_1)
	s_xor_b32 s3, exec_lo, s3
	s_cbranch_execz .LBB143_661
; %bb.36:
	v_bfe_u32 v5, v0, 20, 1
	s_mov_b32 s2, exec_lo
	s_delay_alu instid0(VALU_DEP_1) | instskip(NEXT) | instid1(VALU_DEP_1)
	v_add3_u32 v5, v0, v5, 0x487ffff
	v_lshrrev_b32_e32 v5, 20, v5
	s_or_saveexec_b32 s3, s3
                                        ; implicit-def: $sgpr4
	s_delay_alu instid0(SALU_CYCLE_1)
	s_xor_b32 exec_lo, exec_lo, s3
	s_cbranch_execnz .LBB143_662
.LBB143_37:
	s_or_b32 exec_lo, exec_lo, s3
	v_mov_b32_e32 v6, s4
	s_and_saveexec_b32 s3, s2
.LBB143_38:
	v_lshrrev_b32_e32 v6, 24, v0
	s_delay_alu instid0(VALU_DEP_1)
	v_and_or_b32 v6, 0x80, v6, v5
.LBB143_39:
	s_or_b32 exec_lo, exec_lo, s3
.LBB143_40:
	s_delay_alu instid0(SALU_CYCLE_1)
	s_or_b32 exec_lo, exec_lo, s1
	global_store_b8 v[2:3], v6, off
.LBB143_41:
	s_mov_b32 s1, -1
.LBB143_42:
	s_branch .LBB143_83
.LBB143_43:
	v_cmp_lt_i16_e32 vcc_lo, 22, v4
	s_mov_b32 s2, -1
	s_cbranch_vccz .LBB143_75
; %bb.44:
	v_cmp_gt_i16_e32 vcc_lo, 24, v4
	s_mov_b32 s1, -1
	s_cbranch_vccnz .LBB143_64
; %bb.45:
	v_cmp_lt_i16_e32 vcc_lo, 24, v4
	s_cbranch_vccz .LBB143_53
; %bb.46:
	v_and_b32_e32 v5, 0x7fffffff, v0
	v_mov_b32_e32 v6, 0x80
	s_mov_b32 s1, exec_lo
	s_delay_alu instid0(VALU_DEP_2)
	v_cmpx_gt_u32_e32 0x47800000, v5
	s_cbranch_execz .LBB143_52
; %bb.47:
	v_cmp_lt_u32_e32 vcc_lo, 0x37ffffff, v5
	s_mov_b32 s2, 0
                                        ; implicit-def: $vgpr5
	s_and_saveexec_b32 s3, vcc_lo
	s_delay_alu instid0(SALU_CYCLE_1)
	s_xor_b32 s3, exec_lo, s3
	s_cbranch_execz .LBB143_672
; %bb.48:
	v_bfe_u32 v5, v0, 21, 1
	s_mov_b32 s2, exec_lo
	s_delay_alu instid0(VALU_DEP_1) | instskip(NEXT) | instid1(VALU_DEP_1)
	v_add3_u32 v5, v0, v5, 0x88fffff
	v_lshrrev_b32_e32 v5, 21, v5
	s_or_saveexec_b32 s3, s3
                                        ; implicit-def: $sgpr4
	s_delay_alu instid0(SALU_CYCLE_1)
	s_xor_b32 exec_lo, exec_lo, s3
	s_cbranch_execnz .LBB143_673
.LBB143_49:
	s_or_b32 exec_lo, exec_lo, s3
	v_mov_b32_e32 v6, s4
	s_and_saveexec_b32 s3, s2
.LBB143_50:
	v_lshrrev_b32_e32 v6, 24, v0
	s_delay_alu instid0(VALU_DEP_1)
	v_and_or_b32 v6, 0x80, v6, v5
.LBB143_51:
	s_or_b32 exec_lo, exec_lo, s3
.LBB143_52:
	s_delay_alu instid0(SALU_CYCLE_1)
	s_or_b32 exec_lo, exec_lo, s1
	s_mov_b32 s1, 0
	global_store_b8 v[2:3], v6, off
.LBB143_53:
	s_and_b32 vcc_lo, exec_lo, s1
	s_cbranch_vccz .LBB143_63
; %bb.54:
	v_and_b32_e32 v6, 0x7fffffff, v0
	s_mov_b32 s1, exec_lo
                                        ; implicit-def: $vgpr5
	s_delay_alu instid0(VALU_DEP_1)
	v_cmpx_gt_u32_e32 0x43f00000, v6
	s_xor_b32 s1, exec_lo, s1
	s_cbranch_execz .LBB143_60
; %bb.55:
	s_mov_b32 s2, exec_lo
                                        ; implicit-def: $vgpr5
	v_cmpx_lt_u32_e32 0x3c7fffff, v6
	s_xor_b32 s2, exec_lo, s2
; %bb.56:
	v_bfe_u32 v5, v0, 20, 1
	s_delay_alu instid0(VALU_DEP_1) | instskip(NEXT) | instid1(VALU_DEP_1)
	v_add3_u32 v5, v0, v5, 0x407ffff
	v_and_b32_e32 v6, 0xff00000, v5
	v_lshrrev_b32_e32 v5, 20, v5
	s_delay_alu instid0(VALU_DEP_2) | instskip(NEXT) | instid1(VALU_DEP_2)
	v_cmp_ne_u32_e32 vcc_lo, 0x7f00000, v6
	v_cndmask_b32_e32 v5, 0x7e, v5, vcc_lo
; %bb.57:
	s_and_not1_saveexec_b32 s2, s2
; %bb.58:
	v_add_f32_e64 v5, 0x46800000, |v0|
; %bb.59:
	s_or_b32 exec_lo, exec_lo, s2
                                        ; implicit-def: $vgpr6
.LBB143_60:
	s_and_not1_saveexec_b32 s1, s1
; %bb.61:
	v_mov_b32_e32 v5, 0x7f
	v_cmp_lt_u32_e32 vcc_lo, 0x7f800000, v6
	s_delay_alu instid0(VALU_DEP_2)
	v_cndmask_b32_e32 v5, 0x7e, v5, vcc_lo
; %bb.62:
	s_or_b32 exec_lo, exec_lo, s1
	v_lshrrev_b32_e32 v6, 24, v0
	s_delay_alu instid0(VALU_DEP_1)
	v_and_or_b32 v5, 0x80, v6, v5
	global_store_b8 v[2:3], v5, off
.LBB143_63:
	s_mov_b32 s1, 0
.LBB143_64:
	s_delay_alu instid0(SALU_CYCLE_1)
	s_and_not1_b32 vcc_lo, exec_lo, s1
	s_cbranch_vccnz .LBB143_74
; %bb.65:
	v_and_b32_e32 v6, 0x7fffffff, v0
	s_mov_b32 s1, exec_lo
                                        ; implicit-def: $vgpr5
	s_delay_alu instid0(VALU_DEP_1)
	v_cmpx_gt_u32_e32 0x47800000, v6
	s_xor_b32 s1, exec_lo, s1
	s_cbranch_execz .LBB143_71
; %bb.66:
	s_mov_b32 s2, exec_lo
                                        ; implicit-def: $vgpr5
	v_cmpx_lt_u32_e32 0x387fffff, v6
	s_xor_b32 s2, exec_lo, s2
; %bb.67:
	v_bfe_u32 v5, v0, 21, 1
	s_delay_alu instid0(VALU_DEP_1) | instskip(NEXT) | instid1(VALU_DEP_1)
	v_add3_u32 v5, v0, v5, 0x80fffff
	v_lshrrev_b32_e32 v5, 21, v5
; %bb.68:
	s_and_not1_saveexec_b32 s2, s2
; %bb.69:
	v_add_f32_e64 v5, 0x43000000, |v0|
; %bb.70:
	s_or_b32 exec_lo, exec_lo, s2
                                        ; implicit-def: $vgpr6
.LBB143_71:
	s_and_not1_saveexec_b32 s1, s1
; %bb.72:
	v_mov_b32_e32 v5, 0x7f
	v_cmp_lt_u32_e32 vcc_lo, 0x7f800000, v6
	s_delay_alu instid0(VALU_DEP_2)
	v_cndmask_b32_e32 v5, 0x7c, v5, vcc_lo
; %bb.73:
	s_or_b32 exec_lo, exec_lo, s1
	v_lshrrev_b32_e32 v6, 24, v0
	s_delay_alu instid0(VALU_DEP_1)
	v_and_or_b32 v5, 0x80, v6, v5
	global_store_b8 v[2:3], v5, off
.LBB143_74:
	s_mov_b32 s2, 0
	s_mov_b32 s1, -1
.LBB143_75:
	s_and_not1_b32 vcc_lo, exec_lo, s2
	s_cbranch_vccnz .LBB143_83
; %bb.76:
	v_cmp_lt_i16_e32 vcc_lo, 14, v4
	s_mov_b32 s2, -1
	s_cbranch_vccz .LBB143_80
; %bb.77:
	v_cmp_eq_u16_e32 vcc_lo, 15, v4
	s_mov_b32 s0, -1
	s_cbranch_vccz .LBB143_79
; %bb.78:
	v_bfe_u32 v5, v0, 16, 1
	v_cmp_o_f32_e32 vcc_lo, v0, v0
	s_mov_b32 s1, -1
	s_mov_b32 s0, 0
	s_delay_alu instid0(VALU_DEP_2) | instskip(NEXT) | instid1(VALU_DEP_1)
	v_add3_u32 v5, v0, v5, 0x7fff
	v_lshrrev_b32_e32 v5, 16, v5
	s_delay_alu instid0(VALU_DEP_1)
	v_cndmask_b32_e32 v5, 0x7fc0, v5, vcc_lo
	global_store_b16 v[2:3], v5, off
.LBB143_79:
	s_mov_b32 s2, 0
.LBB143_80:
	s_delay_alu instid0(SALU_CYCLE_1)
	s_and_b32 vcc_lo, exec_lo, s2
	s_cbranch_vccz .LBB143_83
; %bb.81:
	v_cmp_eq_u16_e32 vcc_lo, 11, v4
	s_mov_b32 s0, -1
	s_cbranch_vccz .LBB143_83
; %bb.82:
	v_or_b32_e32 v5, v0, v1
	s_mov_b32 s0, 0
	s_mov_b32 s1, -1
	s_delay_alu instid0(VALU_DEP_1) | instskip(NEXT) | instid1(VALU_DEP_1)
	v_and_b32_e32 v5, 0x7fffffff, v5
	v_cmp_ne_u32_e32 vcc_lo, 0, v5
	v_cndmask_b32_e64 v5, 0, 1, vcc_lo
	global_store_b8 v[2:3], v5, off
.LBB143_83:
	s_branch .LBB143_10
.LBB143_84:
	v_cmp_gt_i16_e32 vcc_lo, 5, v4
	s_mov_b32 s1, -1
	s_cbranch_vccnz .LBB143_105
; %bb.85:
	v_cmp_gt_i16_e32 vcc_lo, 8, v4
	s_cbranch_vccnz .LBB143_95
; %bb.86:
	v_cmp_gt_i16_e32 vcc_lo, 9, v4
	s_cbranch_vccnz .LBB143_92
; %bb.87:
	v_cmp_lt_i16_e32 vcc_lo, 9, v4
	s_cbranch_vccz .LBB143_89
; %bb.88:
	v_cvt_f64_f32_e32 v[5:6], v0
	v_cvt_f64_f32_e32 v[7:8], v1
	s_mov_b32 s1, 0
	global_store_b128 v[2:3], v[5:8], off
.LBB143_89:
	s_and_not1_b32 vcc_lo, exec_lo, s1
	s_cbranch_vccnz .LBB143_91
; %bb.90:
	global_store_b64 v[2:3], v[0:1], off
.LBB143_91:
	s_mov_b32 s1, 0
.LBB143_92:
	s_delay_alu instid0(SALU_CYCLE_1)
	s_and_not1_b32 vcc_lo, exec_lo, s1
	s_cbranch_vccnz .LBB143_94
; %bb.93:
	v_cvt_f16_f32_e32 v1, v1
	v_cvt_f16_f32_e32 v5, v0
	s_delay_alu instid0(VALU_DEP_2) | instskip(NEXT) | instid1(VALU_DEP_2)
	v_lshlrev_b32_e32 v1, 16, v1
	v_and_b32_e32 v5, 0xffff, v5
	s_delay_alu instid0(VALU_DEP_1)
	v_or_b32_e32 v1, v1, v5
	global_store_b32 v[2:3], v1, off
.LBB143_94:
	s_mov_b32 s1, 0
.LBB143_95:
	s_delay_alu instid0(SALU_CYCLE_1)
	s_and_not1_b32 vcc_lo, exec_lo, s1
	s_cbranch_vccnz .LBB143_104
; %bb.96:
	v_cmp_gt_i16_e32 vcc_lo, 6, v4
	s_mov_b32 s1, -1
	s_cbranch_vccnz .LBB143_102
; %bb.97:
	v_cmp_lt_i16_e32 vcc_lo, 6, v4
	s_cbranch_vccz .LBB143_99
; %bb.98:
	v_cvt_f64_f32_e32 v[5:6], v0
	s_mov_b32 s1, 0
	global_store_b64 v[2:3], v[5:6], off
.LBB143_99:
	s_and_not1_b32 vcc_lo, exec_lo, s1
	s_cbranch_vccnz .LBB143_101
; %bb.100:
	global_store_b32 v[2:3], v0, off
.LBB143_101:
	s_mov_b32 s1, 0
.LBB143_102:
	s_delay_alu instid0(SALU_CYCLE_1)
	s_and_not1_b32 vcc_lo, exec_lo, s1
	s_cbranch_vccnz .LBB143_104
; %bb.103:
	v_cvt_f16_f32_e32 v1, v0
	global_store_b16 v[2:3], v1, off
.LBB143_104:
	s_mov_b32 s1, 0
.LBB143_105:
	s_delay_alu instid0(SALU_CYCLE_1)
	s_and_not1_b32 vcc_lo, exec_lo, s1
	s_cbranch_vccnz .LBB143_121
; %bb.106:
	v_cmp_gt_i16_e32 vcc_lo, 2, v4
	s_mov_b32 s1, -1
	s_cbranch_vccnz .LBB143_116
; %bb.107:
	v_cmp_gt_i16_e32 vcc_lo, 3, v4
	s_cbranch_vccnz .LBB143_113
; %bb.108:
	v_cmp_lt_i16_e32 vcc_lo, 3, v4
	s_cbranch_vccz .LBB143_110
; %bb.109:
	v_trunc_f32_e32 v1, v0
	s_mov_b32 s1, 0
	s_delay_alu instid0(VALU_DEP_1) | instskip(NEXT) | instid1(VALU_DEP_1)
	v_mul_f32_e64 v5, 0x2f800000, |v1|
	v_floor_f32_e32 v5, v5
	s_delay_alu instid0(VALU_DEP_1) | instskip(SKIP_2) | instid1(VALU_DEP_3)
	v_fma_f32 v6, 0xcf800000, v5, |v1|
	v_ashrrev_i32_e32 v1, 31, v1
	v_cvt_u32_f32_e32 v5, v5
	v_cvt_u32_f32_e32 v6, v6
	s_delay_alu instid0(VALU_DEP_2) | instskip(NEXT) | instid1(VALU_DEP_2)
	v_xor_b32_e32 v7, v5, v1
	v_xor_b32_e32 v6, v6, v1
	s_delay_alu instid0(VALU_DEP_1) | instskip(NEXT) | instid1(VALU_DEP_3)
	v_sub_co_u32 v5, vcc_lo, v6, v1
	v_sub_co_ci_u32_e32 v6, vcc_lo, v7, v1, vcc_lo
	global_store_b64 v[2:3], v[5:6], off
.LBB143_110:
	s_and_not1_b32 vcc_lo, exec_lo, s1
	s_cbranch_vccnz .LBB143_112
; %bb.111:
	v_cvt_i32_f32_e32 v1, v0
	global_store_b32 v[2:3], v1, off
.LBB143_112:
	s_mov_b32 s1, 0
.LBB143_113:
	s_delay_alu instid0(SALU_CYCLE_1)
	s_and_not1_b32 vcc_lo, exec_lo, s1
	s_cbranch_vccnz .LBB143_115
; %bb.114:
	v_cvt_i32_f32_e32 v1, v0
	global_store_b16 v[2:3], v1, off
.LBB143_115:
	s_mov_b32 s1, 0
.LBB143_116:
	s_delay_alu instid0(SALU_CYCLE_1)
	s_and_not1_b32 vcc_lo, exec_lo, s1
	s_cbranch_vccnz .LBB143_121
; %bb.117:
	v_cmp_lt_i16_e32 vcc_lo, 0, v4
	s_mov_b32 s1, -1
	s_cbranch_vccz .LBB143_119
; %bb.118:
	v_cvt_i32_f32_e32 v1, v0
	s_mov_b32 s1, 0
	global_store_b8 v[2:3], v1, off
.LBB143_119:
	s_and_not1_b32 vcc_lo, exec_lo, s1
	s_cbranch_vccnz .LBB143_121
; %bb.120:
	v_trunc_f32_e32 v0, v0
	s_delay_alu instid0(VALU_DEP_1) | instskip(NEXT) | instid1(VALU_DEP_1)
	v_mul_f32_e64 v1, 0x2f800000, |v0|
	v_floor_f32_e32 v1, v1
	s_delay_alu instid0(VALU_DEP_1) | instskip(SKIP_1) | instid1(VALU_DEP_2)
	v_fma_f32 v1, 0xcf800000, v1, |v0|
	v_ashrrev_i32_e32 v0, 31, v0
	v_cvt_u32_f32_e32 v1, v1
	s_delay_alu instid0(VALU_DEP_1) | instskip(NEXT) | instid1(VALU_DEP_1)
	v_xor_b32_e32 v1, v1, v0
	v_sub_nc_u32_e32 v0, v1, v0
	global_store_b8 v[2:3], v0, off
.LBB143_121:
	s_branch .LBB143_11
.LBB143_122:
	s_mov_b32 s1, 0
                                        ; implicit-def: $vgpr34
.LBB143_123:
	s_and_b32 s20, s0, exec_lo
	s_or_not1_b32 s0, s1, exec_lo
.LBB143_124:
	s_or_b32 exec_lo, exec_lo, s22
	s_mov_b32 s1, 0
                                        ; implicit-def: $vgpr4
                                        ; implicit-def: $vgpr2_vgpr3
                                        ; implicit-def: $vgpr0
	s_and_saveexec_b32 s22, s0
	s_cbranch_execz .LBB143_133
; %bb.125:
	s_mov_b32 s2, -1
	s_mov_b32 s23, s20
	s_mov_b32 s24, exec_lo
	v_cmpx_gt_i32_e64 s21, v34
	s_cbranch_execz .LBB143_784
; %bb.126:
	v_dual_mov_b32 v0, s18 :: v_dual_mov_b32 v1, s19
	v_dual_mov_b32 v2, s13 :: v_dual_mov_b32 v3, v35
	v_mov_b32_e32 v4, v34
	s_getpc_b64 s[0:1]
	s_add_u32 s0, s0, _ZN2at6native6invokeIZZZNS0_17expm1_kernel_cudaERNS_18TensorIteratorBaseEENKUlvE_clEvENKUlvE2_clEvEUlN3c107complexIfEEE_i15function_traitsIS9_EEENT1_11result_typeERKT_PrKPcPKT0_PKNS6_10ScalarTypeEi@rel32@lo+4
	s_addc_u32 s1, s1, _ZN2at6native6invokeIZZZNS0_17expm1_kernel_cudaERNS_18TensorIteratorBaseEENKUlvE_clEvENKUlvE2_clEvEUlN3c107complexIfEEE_i15function_traitsIS9_EEENT1_11result_typeERKT_PrKPcPKT0_PKNS6_10ScalarTypeEi@rel32@hi+12
	s_delay_alu instid0(SALU_CYCLE_1) | instskip(SKIP_2) | instid1(VALU_DEP_1)
	s_swappc_b64 s[30:31], s[0:1]
	v_mul_lo_u32 v2, v34, s12
	v_and_b32_e32 v4, 0xff, v37
	v_cmp_gt_i16_e32 vcc_lo, 11, v4
	s_delay_alu instid0(VALU_DEP_3) | instskip(SKIP_1) | instid1(VALU_DEP_1)
	v_ashrrev_i32_e32 v3, 31, v2
	v_add_co_u32 v2, s0, s16, v2
	v_add_co_ci_u32_e64 v3, s0, s17, v3, s0
	s_cbranch_vccnz .LBB143_567
; %bb.127:
	v_cmp_lt_i16_e32 vcc_lo, 25, v4
	s_cbranch_vccz .LBB143_654
; %bb.128:
	v_cmp_lt_i16_e32 vcc_lo, 28, v4
	s_cbranch_vccz .LBB143_656
	;; [unrolled: 3-line block ×4, first 2 shown]
; %bb.131:
	v_cmp_eq_u16_e32 vcc_lo, 46, v4
	s_mov_b32 s2, 0
	s_mov_b32 s0, -1
	s_mov_b32 s1, 0
	s_cbranch_vccz .LBB143_675
; %bb.132:
	v_bfe_u32 v5, v1, 16, 1
	v_bfe_u32 v6, v0, 16, 1
	v_cmp_o_f32_e32 vcc_lo, v1, v1
	s_mov_b32 s1, -1
	s_mov_b32 s0, 0
	v_add3_u32 v5, v1, v5, 0x7fff
	v_add3_u32 v6, v0, v6, 0x7fff
	s_delay_alu instid0(VALU_DEP_2) | instskip(NEXT) | instid1(VALU_DEP_2)
	v_and_b32_e32 v5, 0xffff0000, v5
	v_lshrrev_b32_e32 v6, 16, v6
	s_delay_alu instid0(VALU_DEP_2) | instskip(SKIP_1) | instid1(VALU_DEP_3)
	v_cndmask_b32_e32 v5, 0x7fc00000, v5, vcc_lo
	v_cmp_o_f32_e32 vcc_lo, v0, v0
	v_cndmask_b32_e32 v6, 0x7fc0, v6, vcc_lo
	s_delay_alu instid0(VALU_DEP_1)
	v_or_b32_e32 v5, v5, v6
	global_store_b32 v[2:3], v5, off
	s_branch .LBB143_675
.LBB143_133:
	s_or_b32 exec_lo, exec_lo, s22
	s_mov_b32 s0, 0
	s_and_saveexec_b32 s2, s20
	s_cbranch_execnz .LBB143_1020
.LBB143_134:
	s_or_b32 exec_lo, exec_lo, s2
	s_and_saveexec_b32 s2, s23
	s_delay_alu instid0(SALU_CYCLE_1)
	s_xor_b32 s2, exec_lo, s2
	s_cbranch_execz .LBB143_136
.LBB143_135:
	v_or_b32_e32 v5, v0, v1
	s_delay_alu instid0(VALU_DEP_1) | instskip(NEXT) | instid1(VALU_DEP_1)
	v_and_b32_e32 v5, 0x7fffffff, v5
	v_cmp_ne_u32_e32 vcc_lo, 0, v5
	v_cndmask_b32_e64 v5, 0, 1, vcc_lo
	global_store_b8 v[2:3], v5, off
.LBB143_136:
	s_or_b32 exec_lo, exec_lo, s2
	s_and_saveexec_b32 s2, s1
	s_delay_alu instid0(SALU_CYCLE_1)
	s_xor_b32 s1, exec_lo, s2
	s_cbranch_execz .LBB143_174
; %bb.137:
	v_cmp_gt_i16_e32 vcc_lo, 5, v4
	s_mov_b32 s2, -1
	s_cbranch_vccnz .LBB143_158
; %bb.138:
	v_cmp_gt_i16_e32 vcc_lo, 8, v4
	s_cbranch_vccnz .LBB143_148
; %bb.139:
	v_cmp_gt_i16_e32 vcc_lo, 9, v4
	s_cbranch_vccnz .LBB143_145
; %bb.140:
	v_cmp_lt_i16_e32 vcc_lo, 9, v4
	s_cbranch_vccz .LBB143_142
; %bb.141:
	v_cvt_f64_f32_e32 v[5:6], v0
	v_cvt_f64_f32_e32 v[7:8], v1
	s_mov_b32 s2, 0
	global_store_b128 v[2:3], v[5:8], off
.LBB143_142:
	s_and_not1_b32 vcc_lo, exec_lo, s2
	s_cbranch_vccnz .LBB143_144
; %bb.143:
	global_store_b64 v[2:3], v[0:1], off
.LBB143_144:
	s_mov_b32 s2, 0
.LBB143_145:
	s_delay_alu instid0(SALU_CYCLE_1)
	s_and_not1_b32 vcc_lo, exec_lo, s2
	s_cbranch_vccnz .LBB143_147
; %bb.146:
	v_cvt_f16_f32_e32 v1, v1
	v_cvt_f16_f32_e32 v5, v0
	s_delay_alu instid0(VALU_DEP_2) | instskip(NEXT) | instid1(VALU_DEP_2)
	v_lshlrev_b32_e32 v1, 16, v1
	v_and_b32_e32 v5, 0xffff, v5
	s_delay_alu instid0(VALU_DEP_1)
	v_or_b32_e32 v1, v1, v5
	global_store_b32 v[2:3], v1, off
.LBB143_147:
	s_mov_b32 s2, 0
.LBB143_148:
	s_delay_alu instid0(SALU_CYCLE_1)
	s_and_not1_b32 vcc_lo, exec_lo, s2
	s_cbranch_vccnz .LBB143_157
; %bb.149:
	v_cmp_gt_i16_e32 vcc_lo, 6, v4
	s_mov_b32 s2, -1
	s_cbranch_vccnz .LBB143_155
; %bb.150:
	v_cmp_lt_i16_e32 vcc_lo, 6, v4
	s_cbranch_vccz .LBB143_152
; %bb.151:
	v_cvt_f64_f32_e32 v[5:6], v0
	s_mov_b32 s2, 0
	global_store_b64 v[2:3], v[5:6], off
.LBB143_152:
	s_and_not1_b32 vcc_lo, exec_lo, s2
	s_cbranch_vccnz .LBB143_154
; %bb.153:
	global_store_b32 v[2:3], v0, off
.LBB143_154:
	s_mov_b32 s2, 0
.LBB143_155:
	s_delay_alu instid0(SALU_CYCLE_1)
	s_and_not1_b32 vcc_lo, exec_lo, s2
	s_cbranch_vccnz .LBB143_157
; %bb.156:
	v_cvt_f16_f32_e32 v1, v0
	global_store_b16 v[2:3], v1, off
.LBB143_157:
	s_mov_b32 s2, 0
.LBB143_158:
	s_delay_alu instid0(SALU_CYCLE_1)
	s_and_not1_b32 vcc_lo, exec_lo, s2
	s_cbranch_vccnz .LBB143_174
; %bb.159:
	v_cmp_gt_i16_e32 vcc_lo, 2, v4
	s_mov_b32 s2, -1
	s_cbranch_vccnz .LBB143_169
; %bb.160:
	v_cmp_gt_i16_e32 vcc_lo, 3, v4
	s_cbranch_vccnz .LBB143_166
; %bb.161:
	v_cmp_lt_i16_e32 vcc_lo, 3, v4
	s_cbranch_vccz .LBB143_163
; %bb.162:
	v_trunc_f32_e32 v1, v0
	s_mov_b32 s2, 0
	s_delay_alu instid0(VALU_DEP_1) | instskip(NEXT) | instid1(VALU_DEP_1)
	v_mul_f32_e64 v5, 0x2f800000, |v1|
	v_floor_f32_e32 v5, v5
	s_delay_alu instid0(VALU_DEP_1) | instskip(SKIP_2) | instid1(VALU_DEP_3)
	v_fma_f32 v6, 0xcf800000, v5, |v1|
	v_ashrrev_i32_e32 v1, 31, v1
	v_cvt_u32_f32_e32 v5, v5
	v_cvt_u32_f32_e32 v6, v6
	s_delay_alu instid0(VALU_DEP_2) | instskip(NEXT) | instid1(VALU_DEP_2)
	v_xor_b32_e32 v7, v5, v1
	v_xor_b32_e32 v6, v6, v1
	s_delay_alu instid0(VALU_DEP_1) | instskip(NEXT) | instid1(VALU_DEP_3)
	v_sub_co_u32 v5, vcc_lo, v6, v1
	v_sub_co_ci_u32_e32 v6, vcc_lo, v7, v1, vcc_lo
	global_store_b64 v[2:3], v[5:6], off
.LBB143_163:
	s_and_not1_b32 vcc_lo, exec_lo, s2
	s_cbranch_vccnz .LBB143_165
; %bb.164:
	v_cvt_i32_f32_e32 v1, v0
	global_store_b32 v[2:3], v1, off
.LBB143_165:
	s_mov_b32 s2, 0
.LBB143_166:
	s_delay_alu instid0(SALU_CYCLE_1)
	s_and_not1_b32 vcc_lo, exec_lo, s2
	s_cbranch_vccnz .LBB143_168
; %bb.167:
	v_cvt_i32_f32_e32 v1, v0
	global_store_b16 v[2:3], v1, off
.LBB143_168:
	s_mov_b32 s2, 0
.LBB143_169:
	s_delay_alu instid0(SALU_CYCLE_1)
	s_and_not1_b32 vcc_lo, exec_lo, s2
	s_cbranch_vccnz .LBB143_174
; %bb.170:
	v_cmp_lt_i16_e32 vcc_lo, 0, v4
	s_mov_b32 s2, -1
	s_cbranch_vccz .LBB143_172
; %bb.171:
	v_cvt_i32_f32_e32 v1, v0
	s_mov_b32 s2, 0
	global_store_b8 v[2:3], v1, off
.LBB143_172:
	s_and_not1_b32 vcc_lo, exec_lo, s2
	s_cbranch_vccnz .LBB143_174
; %bb.173:
	v_trunc_f32_e32 v0, v0
	s_delay_alu instid0(VALU_DEP_1) | instskip(NEXT) | instid1(VALU_DEP_1)
	v_mul_f32_e64 v1, 0x2f800000, |v0|
	v_floor_f32_e32 v1, v1
	s_delay_alu instid0(VALU_DEP_1) | instskip(SKIP_1) | instid1(VALU_DEP_2)
	v_fma_f32 v1, 0xcf800000, v1, |v0|
	v_ashrrev_i32_e32 v0, 31, v0
	v_cvt_u32_f32_e32 v1, v1
	s_delay_alu instid0(VALU_DEP_1) | instskip(NEXT) | instid1(VALU_DEP_1)
	v_xor_b32_e32 v1, v1, v0
	v_sub_nc_u32_e32 v0, v1, v0
	global_store_b8 v[2:3], v0, off
.LBB143_174:
	s_or_b32 exec_lo, exec_lo, s1
	s_delay_alu instid0(SALU_CYCLE_1)
	s_and_b32 s20, s0, exec_lo
                                        ; implicit-def: $vgpr34
                                        ; implicit-def: $vgpr37
                                        ; implicit-def: $vgpr35
                                        ; implicit-def: $vgpr36
.LBB143_175:
	s_or_saveexec_b32 s15, s15
	s_mov_b32 s0, 0
                                        ; implicit-def: $vgpr4
                                        ; implicit-def: $vgpr2_vgpr3
                                        ; implicit-def: $vgpr0
	s_xor_b32 exec_lo, exec_lo, s15
	s_cbranch_execz .LBB143_611
; %bb.176:
	v_dual_mov_b32 v1, s19 :: v_dual_add_nc_u32 v28, 0x80, v34
	v_dual_mov_b32 v0, s18 :: v_dual_add_nc_u32 v29, 0x100, v34
	v_dual_mov_b32 v2, s13 :: v_dual_mov_b32 v3, v35
	v_mov_b32_e32 v4, v34
	s_getpc_b64 s[22:23]
	s_add_u32 s22, s22, _ZN2at6native6invokeIZZZNS0_17expm1_kernel_cudaERNS_18TensorIteratorBaseEENKUlvE_clEvENKUlvE2_clEvEUlN3c107complexIfEEE_i15function_traitsIS9_EEENT1_11result_typeERKT_PrKPcPKT0_PKNS6_10ScalarTypeEi@rel32@lo+4
	s_addc_u32 s23, s23, _ZN2at6native6invokeIZZZNS0_17expm1_kernel_cudaERNS_18TensorIteratorBaseEENKUlvE_clEvENKUlvE2_clEvEUlN3c107complexIfEEE_i15function_traitsIS9_EEENT1_11result_typeERKT_PrKPcPKT0_PKNS6_10ScalarTypeEi@rel32@hi+12
	s_delay_alu instid0(SALU_CYCLE_1)
	s_swappc_b64 s[30:31], s[22:23]
	v_dual_mov_b32 v32, v0 :: v_dual_mov_b32 v33, v1
	v_dual_mov_b32 v0, s18 :: v_dual_mov_b32 v1, s19
	;; [unrolled: 1-line block ×3, first 2 shown]
	v_mov_b32_e32 v4, v28
	s_swappc_b64 s[30:31], s[22:23]
	s_delay_alu instid0(VALU_DEP_3) | instskip(SKIP_4) | instid1(VALU_DEP_3)
	v_dual_mov_b32 v30, v0 :: v_dual_mov_b32 v31, v1
	v_dual_mov_b32 v0, s18 :: v_dual_mov_b32 v1, s19
	;; [unrolled: 1-line block ×3, first 2 shown]
	v_mov_b32_e32 v4, v29
	s_swappc_b64 s[30:31], s[22:23]
	v_dual_mov_b32 v28, v0 :: v_dual_mov_b32 v29, v1
	v_dual_mov_b32 v0, s18 :: v_dual_mov_b32 v1, s19
	;; [unrolled: 1-line block ×3, first 2 shown]
	v_mov_b32_e32 v4, v36
	s_swappc_b64 s[30:31], s[22:23]
	v_mul_lo_u32 v5, s12, v34
	v_and_b32_e32 v4, 0xff, v37
	s_delay_alu instid0(VALU_DEP_1) | instskip(NEXT) | instid1(VALU_DEP_3)
	v_cmp_gt_i16_e32 vcc_lo, 11, v4
	v_ashrrev_i32_e32 v3, 31, v5
	v_add_co_u32 v2, s0, s16, v5
	s_delay_alu instid0(VALU_DEP_1)
	v_add_co_ci_u32_e64 v3, s0, s17, v3, s0
	s_cbranch_vccnz .LBB143_255
; %bb.177:
	v_cmp_lt_i16_e32 vcc_lo, 25, v4
	s_mov_b32 s1, -1
	s_mov_b32 s2, 0
	s_mov_b32 s3, 0
	;; [unrolled: 1-line block ×3, first 2 shown]
	s_cbranch_vccz .LBB143_210
; %bb.178:
	v_cmp_lt_i16_e32 vcc_lo, 28, v4
	s_cbranch_vccz .LBB143_193
; %bb.179:
	v_cmp_lt_i16_e32 vcc_lo, 43, v4
	;; [unrolled: 3-line block ×3, first 2 shown]
	s_cbranch_vccz .LBB143_183
; %bb.181:
	v_cmp_eq_u16_e32 vcc_lo, 46, v4
	s_mov_b32 s0, -1
	s_mov_b32 s1, 0
	s_cbranch_vccz .LBB143_183
; %bb.182:
	v_bfe_u32 v6, v33, 16, 1
	v_bfe_u32 v7, v32, 16, 1
	v_cmp_o_f32_e32 vcc_lo, v33, v33
	s_mov_b32 s0, 0
	s_mov_b32 s3, -1
	v_add3_u32 v6, v33, v6, 0x7fff
	v_add3_u32 v7, v32, v7, 0x7fff
	s_delay_alu instid0(VALU_DEP_2) | instskip(NEXT) | instid1(VALU_DEP_2)
	v_and_b32_e32 v6, 0xffff0000, v6
	v_lshrrev_b32_e32 v7, 16, v7
	s_delay_alu instid0(VALU_DEP_2) | instskip(SKIP_1) | instid1(VALU_DEP_3)
	v_cndmask_b32_e32 v6, 0x7fc00000, v6, vcc_lo
	v_cmp_o_f32_e32 vcc_lo, v32, v32
	v_cndmask_b32_e32 v7, 0x7fc0, v7, vcc_lo
	s_delay_alu instid0(VALU_DEP_1)
	v_or_b32_e32 v6, v6, v7
	global_store_b32 v[2:3], v6, off
.LBB143_183:
	s_and_b32 vcc_lo, exec_lo, s1
	s_cbranch_vccz .LBB143_188
; %bb.184:
	v_cmp_eq_u16_e32 vcc_lo, 44, v4
	s_mov_b32 s0, -1
	s_cbranch_vccz .LBB143_188
; %bb.185:
	v_bfe_u32 v7, v32, 23, 8
	v_mov_b32_e32 v6, 0xff
	s_mov_b32 s1, exec_lo
	s_delay_alu instid0(VALU_DEP_2)
	v_cmpx_ne_u32_e32 0xff, v7
; %bb.186:
	v_and_b32_e32 v6, 0x400000, v32
	v_and_or_b32 v7, 0x3fffff, v32, v7
	s_delay_alu instid0(VALU_DEP_2) | instskip(NEXT) | instid1(VALU_DEP_2)
	v_cmp_ne_u32_e32 vcc_lo, 0, v6
	v_cmp_ne_u32_e64 s0, 0, v7
	v_lshrrev_b32_e32 v6, 23, v32
	s_delay_alu instid0(VALU_DEP_2) | instskip(NEXT) | instid1(SALU_CYCLE_1)
	s_and_b32 s0, vcc_lo, s0
	v_cndmask_b32_e64 v7, 0, 1, s0
	s_delay_alu instid0(VALU_DEP_1)
	v_add_nc_u32_e32 v6, v6, v7
; %bb.187:
	s_or_b32 exec_lo, exec_lo, s1
	s_mov_b32 s0, 0
	s_mov_b32 s3, -1
	global_store_b8 v[2:3], v6, off
.LBB143_188:
	s_mov_b32 s1, 0
.LBB143_189:
	s_delay_alu instid0(SALU_CYCLE_1)
	s_and_b32 vcc_lo, exec_lo, s1
	s_cbranch_vccz .LBB143_192
; %bb.190:
	v_cmp_eq_u16_e32 vcc_lo, 29, v4
	s_mov_b32 s0, -1
	s_cbranch_vccz .LBB143_192
; %bb.191:
	v_trunc_f32_e32 v6, v32
	s_mov_b32 s0, 0
	s_mov_b32 s3, -1
	s_delay_alu instid0(VALU_DEP_1) | instskip(NEXT) | instid1(VALU_DEP_1)
	v_mul_f32_e32 v7, 0x2f800000, v6
	v_floor_f32_e32 v7, v7
	s_delay_alu instid0(VALU_DEP_1) | instskip(SKIP_1) | instid1(VALU_DEP_2)
	v_fmamk_f32 v6, v7, 0xcf800000, v6
	v_cvt_u32_f32_e32 v7, v7
	v_cvt_u32_f32_e32 v6, v6
	global_store_b64 v[2:3], v[6:7], off
.LBB143_192:
	s_mov_b32 s1, 0
.LBB143_193:
	s_delay_alu instid0(SALU_CYCLE_1)
	s_and_b32 vcc_lo, exec_lo, s1
	s_cbranch_vccz .LBB143_209
; %bb.194:
	v_cmp_gt_i16_e32 vcc_lo, 27, v4
	s_mov_b32 s1, -1
	s_cbranch_vccnz .LBB143_200
; %bb.195:
	v_cmp_lt_i16_e32 vcc_lo, 27, v4
	s_cbranch_vccz .LBB143_197
; %bb.196:
	v_cvt_u32_f32_e32 v6, v32
	s_mov_b32 s1, 0
	global_store_b32 v[2:3], v6, off
.LBB143_197:
	s_and_not1_b32 vcc_lo, exec_lo, s1
	s_cbranch_vccnz .LBB143_199
; %bb.198:
	v_cvt_u32_f32_e32 v6, v32
	global_store_b16 v[2:3], v6, off
.LBB143_199:
	s_mov_b32 s1, 0
.LBB143_200:
	s_delay_alu instid0(SALU_CYCLE_1)
	s_and_not1_b32 vcc_lo, exec_lo, s1
	s_cbranch_vccnz .LBB143_208
; %bb.201:
	v_and_b32_e32 v6, 0x7fffffff, v32
	v_mov_b32_e32 v7, 0x80
	s_mov_b32 s1, exec_lo
	s_delay_alu instid0(VALU_DEP_2)
	v_cmpx_gt_u32_e32 0x43800000, v6
	s_cbranch_execz .LBB143_207
; %bb.202:
	v_cmp_lt_u32_e32 vcc_lo, 0x3bffffff, v6
	s_mov_b32 s3, 0
                                        ; implicit-def: $vgpr6
	s_and_saveexec_b32 s4, vcc_lo
	s_delay_alu instid0(SALU_CYCLE_1)
	s_xor_b32 s4, exec_lo, s4
	s_cbranch_execz .LBB143_657
; %bb.203:
	v_bfe_u32 v6, v32, 20, 1
	s_mov_b32 s3, exec_lo
	s_delay_alu instid0(VALU_DEP_1) | instskip(NEXT) | instid1(VALU_DEP_1)
	v_add3_u32 v6, v32, v6, 0x487ffff
	v_lshrrev_b32_e32 v6, 20, v6
	s_or_saveexec_b32 s4, s4
                                        ; implicit-def: $sgpr5
	s_delay_alu instid0(SALU_CYCLE_1)
	s_xor_b32 exec_lo, exec_lo, s4
	s_cbranch_execnz .LBB143_658
.LBB143_204:
	s_or_b32 exec_lo, exec_lo, s4
	v_mov_b32_e32 v7, s5
	s_and_saveexec_b32 s4, s3
.LBB143_205:
	v_lshrrev_b32_e32 v7, 24, v32
	s_delay_alu instid0(VALU_DEP_1)
	v_and_or_b32 v7, 0x80, v7, v6
.LBB143_206:
	s_or_b32 exec_lo, exec_lo, s4
.LBB143_207:
	s_delay_alu instid0(SALU_CYCLE_1)
	s_or_b32 exec_lo, exec_lo, s1
	global_store_b8 v[2:3], v7, off
.LBB143_208:
	s_mov_b32 s3, -1
.LBB143_209:
	s_mov_b32 s1, 0
.LBB143_210:
	s_delay_alu instid0(SALU_CYCLE_1)
	s_and_b32 vcc_lo, exec_lo, s1
	s_cbranch_vccz .LBB143_250
; %bb.211:
	v_cmp_lt_i16_e32 vcc_lo, 22, v4
	s_mov_b32 s1, -1
	s_cbranch_vccz .LBB143_243
; %bb.212:
	v_cmp_gt_i16_e32 vcc_lo, 24, v4
	s_cbranch_vccnz .LBB143_232
; %bb.213:
	v_cmp_lt_i16_e32 vcc_lo, 24, v4
	s_cbranch_vccz .LBB143_221
; %bb.214:
	v_and_b32_e32 v6, 0x7fffffff, v32
	v_mov_b32_e32 v7, 0x80
	s_mov_b32 s1, exec_lo
	s_delay_alu instid0(VALU_DEP_2)
	v_cmpx_gt_u32_e32 0x47800000, v6
	s_cbranch_execz .LBB143_220
; %bb.215:
	v_cmp_lt_u32_e32 vcc_lo, 0x37ffffff, v6
                                        ; implicit-def: $vgpr6
	s_and_saveexec_b32 s3, vcc_lo
	s_delay_alu instid0(SALU_CYCLE_1)
	s_xor_b32 s3, exec_lo, s3
	s_cbranch_execz .LBB143_664
; %bb.216:
	v_bfe_u32 v6, v32, 21, 1
	s_mov_b32 s2, exec_lo
	s_delay_alu instid0(VALU_DEP_1) | instskip(NEXT) | instid1(VALU_DEP_1)
	v_add3_u32 v6, v32, v6, 0x88fffff
	v_lshrrev_b32_e32 v6, 21, v6
	s_or_saveexec_b32 s3, s3
                                        ; implicit-def: $sgpr4
	s_delay_alu instid0(SALU_CYCLE_1)
	s_xor_b32 exec_lo, exec_lo, s3
	s_cbranch_execnz .LBB143_665
.LBB143_217:
	s_or_b32 exec_lo, exec_lo, s3
	v_mov_b32_e32 v7, s4
	s_and_saveexec_b32 s3, s2
.LBB143_218:
	v_lshrrev_b32_e32 v7, 24, v32
	s_delay_alu instid0(VALU_DEP_1)
	v_and_or_b32 v7, 0x80, v7, v6
.LBB143_219:
	s_or_b32 exec_lo, exec_lo, s3
.LBB143_220:
	s_delay_alu instid0(SALU_CYCLE_1)
	s_or_b32 exec_lo, exec_lo, s1
	s_mov_b32 s1, 0
	global_store_b8 v[2:3], v7, off
.LBB143_221:
	s_and_b32 vcc_lo, exec_lo, s1
	s_cbranch_vccz .LBB143_231
; %bb.222:
	v_and_b32_e32 v7, 0x7fffffff, v32
	s_mov_b32 s1, exec_lo
                                        ; implicit-def: $vgpr6
	s_delay_alu instid0(VALU_DEP_1)
	v_cmpx_gt_u32_e32 0x43f00000, v7
	s_xor_b32 s1, exec_lo, s1
	s_cbranch_execz .LBB143_228
; %bb.223:
	s_mov_b32 s2, exec_lo
                                        ; implicit-def: $vgpr6
	v_cmpx_lt_u32_e32 0x3c7fffff, v7
	s_xor_b32 s2, exec_lo, s2
; %bb.224:
	v_bfe_u32 v6, v32, 20, 1
	s_delay_alu instid0(VALU_DEP_1) | instskip(NEXT) | instid1(VALU_DEP_1)
	v_add3_u32 v6, v32, v6, 0x407ffff
	v_and_b32_e32 v7, 0xff00000, v6
	v_lshrrev_b32_e32 v6, 20, v6
	s_delay_alu instid0(VALU_DEP_2) | instskip(NEXT) | instid1(VALU_DEP_2)
	v_cmp_ne_u32_e32 vcc_lo, 0x7f00000, v7
	v_cndmask_b32_e32 v6, 0x7e, v6, vcc_lo
; %bb.225:
	s_and_not1_saveexec_b32 s2, s2
; %bb.226:
	v_add_f32_e64 v6, 0x46800000, |v32|
; %bb.227:
	s_or_b32 exec_lo, exec_lo, s2
                                        ; implicit-def: $vgpr7
.LBB143_228:
	s_and_not1_saveexec_b32 s1, s1
; %bb.229:
	v_mov_b32_e32 v6, 0x7f
	v_cmp_lt_u32_e32 vcc_lo, 0x7f800000, v7
	s_delay_alu instid0(VALU_DEP_2)
	v_cndmask_b32_e32 v6, 0x7e, v6, vcc_lo
; %bb.230:
	s_or_b32 exec_lo, exec_lo, s1
	v_lshrrev_b32_e32 v7, 24, v32
	s_delay_alu instid0(VALU_DEP_1)
	v_and_or_b32 v6, 0x80, v7, v6
	global_store_b8 v[2:3], v6, off
.LBB143_231:
	s_mov_b32 s1, 0
.LBB143_232:
	s_delay_alu instid0(SALU_CYCLE_1)
	s_and_not1_b32 vcc_lo, exec_lo, s1
	s_cbranch_vccnz .LBB143_242
; %bb.233:
	v_and_b32_e32 v7, 0x7fffffff, v32
	s_mov_b32 s1, exec_lo
                                        ; implicit-def: $vgpr6
	s_delay_alu instid0(VALU_DEP_1)
	v_cmpx_gt_u32_e32 0x47800000, v7
	s_xor_b32 s1, exec_lo, s1
	s_cbranch_execz .LBB143_239
; %bb.234:
	s_mov_b32 s2, exec_lo
                                        ; implicit-def: $vgpr6
	v_cmpx_lt_u32_e32 0x387fffff, v7
	s_xor_b32 s2, exec_lo, s2
; %bb.235:
	v_bfe_u32 v6, v32, 21, 1
	s_delay_alu instid0(VALU_DEP_1) | instskip(NEXT) | instid1(VALU_DEP_1)
	v_add3_u32 v6, v32, v6, 0x80fffff
	v_lshrrev_b32_e32 v6, 21, v6
; %bb.236:
	s_and_not1_saveexec_b32 s2, s2
; %bb.237:
	v_add_f32_e64 v6, 0x43000000, |v32|
; %bb.238:
	s_or_b32 exec_lo, exec_lo, s2
                                        ; implicit-def: $vgpr7
.LBB143_239:
	s_and_not1_saveexec_b32 s1, s1
; %bb.240:
	v_mov_b32_e32 v6, 0x7f
	v_cmp_lt_u32_e32 vcc_lo, 0x7f800000, v7
	s_delay_alu instid0(VALU_DEP_2)
	v_cndmask_b32_e32 v6, 0x7c, v6, vcc_lo
; %bb.241:
	s_or_b32 exec_lo, exec_lo, s1
	v_lshrrev_b32_e32 v7, 24, v32
	s_delay_alu instid0(VALU_DEP_1)
	v_and_or_b32 v6, 0x80, v7, v6
	global_store_b8 v[2:3], v6, off
.LBB143_242:
	s_mov_b32 s1, 0
	s_mov_b32 s3, -1
.LBB143_243:
	s_and_not1_b32 vcc_lo, exec_lo, s1
	s_mov_b32 s2, 0
	s_cbranch_vccnz .LBB143_250
; %bb.244:
	v_cmp_lt_i16_e32 vcc_lo, 14, v4
	s_mov_b32 s1, -1
	s_cbranch_vccz .LBB143_248
; %bb.245:
	v_cmp_eq_u16_e32 vcc_lo, 15, v4
	s_mov_b32 s0, -1
	s_cbranch_vccz .LBB143_247
; %bb.246:
	v_bfe_u32 v6, v32, 16, 1
	v_cmp_o_f32_e32 vcc_lo, v32, v32
	s_mov_b32 s0, 0
	s_mov_b32 s3, -1
	s_delay_alu instid0(VALU_DEP_2) | instskip(NEXT) | instid1(VALU_DEP_1)
	v_add3_u32 v6, v32, v6, 0x7fff
	v_lshrrev_b32_e32 v6, 16, v6
	s_delay_alu instid0(VALU_DEP_1)
	v_cndmask_b32_e32 v6, 0x7fc0, v6, vcc_lo
	global_store_b16 v[2:3], v6, off
.LBB143_247:
	s_mov_b32 s1, 0
.LBB143_248:
	s_delay_alu instid0(SALU_CYCLE_1)
	s_and_b32 vcc_lo, exec_lo, s1
	s_cbranch_vccz .LBB143_250
; %bb.249:
	v_cmp_ne_u16_e64 s0, 11, v4
	s_mov_b32 s2, -1
.LBB143_250:
	s_delay_alu instid0(VALU_DEP_1)
	s_and_b32 vcc_lo, exec_lo, s0
	s_mov_b32 s1, s20
	s_cbranch_vccnz .LBB143_659
; %bb.251:
	s_and_not1_b32 vcc_lo, exec_lo, s2
	s_cbranch_vccnz .LBB143_253
.LBB143_252:
	v_or_b32_e32 v6, v32, v33
	s_mov_b32 s3, -1
	s_delay_alu instid0(VALU_DEP_1) | instskip(NEXT) | instid1(VALU_DEP_1)
	v_and_b32_e32 v6, 0x7fffffff, v6
	v_cmp_ne_u32_e32 vcc_lo, 0, v6
	v_cndmask_b32_e64 v6, 0, 1, vcc_lo
	global_store_b8 v[2:3], v6, off
.LBB143_253:
.LBB143_254:
	s_and_not1_b32 vcc_lo, exec_lo, s3
	s_cbranch_vccz .LBB143_294
	s_branch .LBB143_609
.LBB143_255:
	s_mov_b32 s3, 0
	s_mov_b32 s1, s20
	s_cbranch_execz .LBB143_254
; %bb.256:
	v_cmp_gt_i16_e32 vcc_lo, 5, v4
	s_mov_b32 s0, -1
	s_cbranch_vccnz .LBB143_277
; %bb.257:
	v_cmp_gt_i16_e32 vcc_lo, 8, v4
	s_cbranch_vccnz .LBB143_267
; %bb.258:
	v_cmp_gt_i16_e32 vcc_lo, 9, v4
	s_cbranch_vccnz .LBB143_264
; %bb.259:
	v_cmp_lt_i16_e32 vcc_lo, 9, v4
	s_cbranch_vccz .LBB143_261
; %bb.260:
	v_cvt_f64_f32_e32 v[6:7], v32
	v_cvt_f64_f32_e32 v[8:9], v33
	s_mov_b32 s0, 0
	global_store_b128 v[2:3], v[6:9], off
.LBB143_261:
	s_and_not1_b32 vcc_lo, exec_lo, s0
	s_cbranch_vccnz .LBB143_263
; %bb.262:
	global_store_b64 v[2:3], v[32:33], off
.LBB143_263:
	s_mov_b32 s0, 0
.LBB143_264:
	s_delay_alu instid0(SALU_CYCLE_1)
	s_and_not1_b32 vcc_lo, exec_lo, s0
	s_cbranch_vccnz .LBB143_266
; %bb.265:
	v_cvt_f16_f32_e32 v6, v33
	v_cvt_f16_f32_e32 v7, v32
	s_delay_alu instid0(VALU_DEP_2) | instskip(NEXT) | instid1(VALU_DEP_2)
	v_lshlrev_b32_e32 v6, 16, v6
	v_and_b32_e32 v7, 0xffff, v7
	s_delay_alu instid0(VALU_DEP_1)
	v_or_b32_e32 v6, v6, v7
	global_store_b32 v[2:3], v6, off
.LBB143_266:
	s_mov_b32 s0, 0
.LBB143_267:
	s_delay_alu instid0(SALU_CYCLE_1)
	s_and_not1_b32 vcc_lo, exec_lo, s0
	s_cbranch_vccnz .LBB143_276
; %bb.268:
	v_cmp_gt_i16_e32 vcc_lo, 6, v4
	s_mov_b32 s0, -1
	s_cbranch_vccnz .LBB143_274
; %bb.269:
	v_cmp_lt_i16_e32 vcc_lo, 6, v4
	s_cbranch_vccz .LBB143_271
; %bb.270:
	v_cvt_f64_f32_e32 v[6:7], v32
	s_mov_b32 s0, 0
	global_store_b64 v[2:3], v[6:7], off
.LBB143_271:
	s_and_not1_b32 vcc_lo, exec_lo, s0
	s_cbranch_vccnz .LBB143_273
; %bb.272:
	global_store_b32 v[2:3], v32, off
.LBB143_273:
	s_mov_b32 s0, 0
.LBB143_274:
	s_delay_alu instid0(SALU_CYCLE_1)
	s_and_not1_b32 vcc_lo, exec_lo, s0
	s_cbranch_vccnz .LBB143_276
; %bb.275:
	v_cvt_f16_f32_e32 v6, v32
	global_store_b16 v[2:3], v6, off
.LBB143_276:
	s_mov_b32 s0, 0
.LBB143_277:
	s_delay_alu instid0(SALU_CYCLE_1)
	s_and_not1_b32 vcc_lo, exec_lo, s0
	s_cbranch_vccnz .LBB143_293
; %bb.278:
	v_cmp_gt_i16_e32 vcc_lo, 2, v4
	s_mov_b32 s0, -1
	s_cbranch_vccnz .LBB143_288
; %bb.279:
	v_cmp_gt_i16_e32 vcc_lo, 3, v4
	s_cbranch_vccnz .LBB143_285
; %bb.280:
	v_cmp_lt_i16_e32 vcc_lo, 3, v4
	s_cbranch_vccz .LBB143_282
; %bb.281:
	v_trunc_f32_e32 v6, v32
	s_mov_b32 s0, 0
	s_delay_alu instid0(VALU_DEP_1) | instskip(SKIP_1) | instid1(VALU_DEP_2)
	v_mul_f32_e64 v7, 0x2f800000, |v6|
	v_ashrrev_i32_e32 v9, 31, v6
	v_floor_f32_e32 v7, v7
	s_delay_alu instid0(VALU_DEP_1) | instskip(SKIP_1) | instid1(VALU_DEP_2)
	v_fma_f32 v8, 0xcf800000, v7, |v6|
	v_cvt_u32_f32_e32 v7, v7
	v_cvt_u32_f32_e32 v6, v8
	s_delay_alu instid0(VALU_DEP_2) | instskip(NEXT) | instid1(VALU_DEP_2)
	v_xor_b32_e32 v7, v7, v9
	v_xor_b32_e32 v6, v6, v9
	s_delay_alu instid0(VALU_DEP_1) | instskip(NEXT) | instid1(VALU_DEP_3)
	v_sub_co_u32 v6, vcc_lo, v6, v9
	v_sub_co_ci_u32_e32 v7, vcc_lo, v7, v9, vcc_lo
	global_store_b64 v[2:3], v[6:7], off
.LBB143_282:
	s_and_not1_b32 vcc_lo, exec_lo, s0
	s_cbranch_vccnz .LBB143_284
; %bb.283:
	v_cvt_i32_f32_e32 v6, v32
	global_store_b32 v[2:3], v6, off
.LBB143_284:
	s_mov_b32 s0, 0
.LBB143_285:
	s_delay_alu instid0(SALU_CYCLE_1)
	s_and_not1_b32 vcc_lo, exec_lo, s0
	s_cbranch_vccnz .LBB143_287
; %bb.286:
	v_cvt_i32_f32_e32 v6, v32
	global_store_b16 v[2:3], v6, off
.LBB143_287:
	s_mov_b32 s0, 0
.LBB143_288:
	s_delay_alu instid0(SALU_CYCLE_1)
	s_and_not1_b32 vcc_lo, exec_lo, s0
	s_cbranch_vccnz .LBB143_293
; %bb.289:
	v_cmp_lt_i16_e32 vcc_lo, 0, v4
	s_mov_b32 s0, -1
	s_cbranch_vccz .LBB143_291
; %bb.290:
	v_cvt_i32_f32_e32 v6, v32
	s_mov_b32 s0, 0
	global_store_b8 v[2:3], v6, off
.LBB143_291:
	s_and_not1_b32 vcc_lo, exec_lo, s0
	s_cbranch_vccnz .LBB143_293
; %bb.292:
	v_trunc_f32_e32 v6, v32
	s_delay_alu instid0(VALU_DEP_1) | instskip(NEXT) | instid1(VALU_DEP_1)
	v_mul_f32_e64 v7, 0x2f800000, |v6|
	v_floor_f32_e32 v7, v7
	s_delay_alu instid0(VALU_DEP_1) | instskip(SKIP_1) | instid1(VALU_DEP_2)
	v_fma_f32 v7, 0xcf800000, v7, |v6|
	v_ashrrev_i32_e32 v6, 31, v6
	v_cvt_u32_f32_e32 v7, v7
	s_delay_alu instid0(VALU_DEP_1) | instskip(NEXT) | instid1(VALU_DEP_1)
	v_xor_b32_e32 v7, v7, v6
	v_sub_nc_u32_e32 v6, v7, v6
	global_store_b8 v[2:3], v6, off
.LBB143_293:
.LBB143_294:
	s_lshl_b32 s2, s12, 7
	v_cmp_gt_i16_e32 vcc_lo, 11, v4
	v_add_nc_u32_e32 v5, s2, v5
	s_delay_alu instid0(VALU_DEP_1) | instskip(SKIP_1) | instid1(VALU_DEP_1)
	v_ashrrev_i32_e32 v3, 31, v5
	v_add_co_u32 v2, s0, s16, v5
	v_add_co_ci_u32_e64 v3, s0, s17, v3, s0
	s_cbranch_vccnz .LBB143_373
; %bb.295:
	v_cmp_lt_i16_e32 vcc_lo, 25, v4
	s_mov_b32 s5, -1
	s_mov_b32 s3, 0
	s_mov_b32 s4, 0
	;; [unrolled: 1-line block ×3, first 2 shown]
	s_cbranch_vccz .LBB143_328
; %bb.296:
	v_cmp_lt_i16_e32 vcc_lo, 28, v4
	s_cbranch_vccz .LBB143_311
; %bb.297:
	v_cmp_lt_i16_e32 vcc_lo, 43, v4
	s_cbranch_vccz .LBB143_307
; %bb.298:
	v_cmp_lt_i16_e32 vcc_lo, 45, v4
	s_cbranch_vccz .LBB143_301
; %bb.299:
	v_cmp_eq_u16_e32 vcc_lo, 46, v4
	s_mov_b32 s0, -1
	s_mov_b32 s5, 0
	s_cbranch_vccz .LBB143_301
; %bb.300:
	v_bfe_u32 v6, v31, 16, 1
	v_bfe_u32 v7, v30, 16, 1
	v_cmp_o_f32_e32 vcc_lo, v31, v31
	s_mov_b32 s0, 0
	s_mov_b32 s4, -1
	v_add3_u32 v6, v31, v6, 0x7fff
	v_add3_u32 v7, v30, v7, 0x7fff
	s_delay_alu instid0(VALU_DEP_2) | instskip(NEXT) | instid1(VALU_DEP_2)
	v_and_b32_e32 v6, 0xffff0000, v6
	v_lshrrev_b32_e32 v7, 16, v7
	s_delay_alu instid0(VALU_DEP_2) | instskip(SKIP_1) | instid1(VALU_DEP_3)
	v_cndmask_b32_e32 v6, 0x7fc00000, v6, vcc_lo
	v_cmp_o_f32_e32 vcc_lo, v30, v30
	v_cndmask_b32_e32 v7, 0x7fc0, v7, vcc_lo
	s_delay_alu instid0(VALU_DEP_1)
	v_or_b32_e32 v6, v6, v7
	global_store_b32 v[2:3], v6, off
.LBB143_301:
	s_and_b32 vcc_lo, exec_lo, s5
	s_cbranch_vccz .LBB143_306
; %bb.302:
	v_cmp_eq_u16_e32 vcc_lo, 44, v4
	s_mov_b32 s0, -1
	s_cbranch_vccz .LBB143_306
; %bb.303:
	v_bfe_u32 v7, v30, 23, 8
	v_mov_b32_e32 v6, 0xff
	s_mov_b32 s4, exec_lo
	s_delay_alu instid0(VALU_DEP_2)
	v_cmpx_ne_u32_e32 0xff, v7
; %bb.304:
	v_and_b32_e32 v6, 0x400000, v30
	v_and_or_b32 v7, 0x3fffff, v30, v7
	s_delay_alu instid0(VALU_DEP_2) | instskip(NEXT) | instid1(VALU_DEP_2)
	v_cmp_ne_u32_e32 vcc_lo, 0, v6
	v_cmp_ne_u32_e64 s0, 0, v7
	v_lshrrev_b32_e32 v6, 23, v30
	s_delay_alu instid0(VALU_DEP_2) | instskip(NEXT) | instid1(SALU_CYCLE_1)
	s_and_b32 s0, vcc_lo, s0
	v_cndmask_b32_e64 v7, 0, 1, s0
	s_delay_alu instid0(VALU_DEP_1)
	v_add_nc_u32_e32 v6, v6, v7
; %bb.305:
	s_or_b32 exec_lo, exec_lo, s4
	s_mov_b32 s0, 0
	s_mov_b32 s4, -1
	global_store_b8 v[2:3], v6, off
.LBB143_306:
	s_mov_b32 s5, 0
.LBB143_307:
	s_delay_alu instid0(SALU_CYCLE_1)
	s_and_b32 vcc_lo, exec_lo, s5
	s_cbranch_vccz .LBB143_310
; %bb.308:
	v_cmp_eq_u16_e32 vcc_lo, 29, v4
	s_mov_b32 s0, -1
	s_cbranch_vccz .LBB143_310
; %bb.309:
	v_trunc_f32_e32 v6, v30
	s_mov_b32 s0, 0
	s_mov_b32 s4, -1
	s_delay_alu instid0(VALU_DEP_1) | instskip(NEXT) | instid1(VALU_DEP_1)
	v_mul_f32_e32 v7, 0x2f800000, v6
	v_floor_f32_e32 v7, v7
	s_delay_alu instid0(VALU_DEP_1) | instskip(SKIP_1) | instid1(VALU_DEP_2)
	v_fmamk_f32 v6, v7, 0xcf800000, v6
	v_cvt_u32_f32_e32 v7, v7
	v_cvt_u32_f32_e32 v6, v6
	global_store_b64 v[2:3], v[6:7], off
.LBB143_310:
	s_mov_b32 s5, 0
.LBB143_311:
	s_delay_alu instid0(SALU_CYCLE_1)
	s_and_b32 vcc_lo, exec_lo, s5
	s_cbranch_vccz .LBB143_327
; %bb.312:
	v_cmp_gt_i16_e32 vcc_lo, 27, v4
	s_mov_b32 s4, -1
	s_cbranch_vccnz .LBB143_318
; %bb.313:
	v_cmp_lt_i16_e32 vcc_lo, 27, v4
	v_cvt_u32_f32_e32 v6, v30
	s_cbranch_vccz .LBB143_315
; %bb.314:
	s_mov_b32 s4, 0
	global_store_b32 v[2:3], v6, off
.LBB143_315:
	s_and_not1_b32 vcc_lo, exec_lo, s4
	s_cbranch_vccnz .LBB143_317
; %bb.316:
	global_store_b16 v[2:3], v6, off
.LBB143_317:
	s_mov_b32 s4, 0
.LBB143_318:
	s_delay_alu instid0(SALU_CYCLE_1)
	s_and_not1_b32 vcc_lo, exec_lo, s4
	s_cbranch_vccnz .LBB143_326
; %bb.319:
	v_and_b32_e32 v6, 0x7fffffff, v30
	v_mov_b32_e32 v7, 0x80
	s_mov_b32 s4, exec_lo
	s_delay_alu instid0(VALU_DEP_2)
	v_cmpx_gt_u32_e32 0x43800000, v6
	s_cbranch_execz .LBB143_325
; %bb.320:
	v_cmp_lt_u32_e32 vcc_lo, 0x3bffffff, v6
	s_mov_b32 s5, 0
                                        ; implicit-def: $vgpr6
	s_and_saveexec_b32 s6, vcc_lo
	s_delay_alu instid0(SALU_CYCLE_1)
	s_xor_b32 s6, exec_lo, s6
	s_cbranch_execz .LBB143_666
; %bb.321:
	v_bfe_u32 v6, v30, 20, 1
	s_mov_b32 s5, exec_lo
	s_delay_alu instid0(VALU_DEP_1) | instskip(NEXT) | instid1(VALU_DEP_1)
	v_add3_u32 v6, v30, v6, 0x487ffff
	v_lshrrev_b32_e32 v6, 20, v6
	s_or_saveexec_b32 s6, s6
                                        ; implicit-def: $sgpr7
	s_delay_alu instid0(SALU_CYCLE_1)
	s_xor_b32 exec_lo, exec_lo, s6
	s_cbranch_execnz .LBB143_667
.LBB143_322:
	s_or_b32 exec_lo, exec_lo, s6
	v_mov_b32_e32 v7, s7
	s_and_saveexec_b32 s6, s5
.LBB143_323:
	v_lshrrev_b32_e32 v7, 24, v30
	s_delay_alu instid0(VALU_DEP_1)
	v_and_or_b32 v7, 0x80, v7, v6
.LBB143_324:
	s_or_b32 exec_lo, exec_lo, s6
.LBB143_325:
	s_delay_alu instid0(SALU_CYCLE_1)
	s_or_b32 exec_lo, exec_lo, s4
	global_store_b8 v[2:3], v7, off
.LBB143_326:
	s_mov_b32 s4, -1
.LBB143_327:
	s_mov_b32 s5, 0
.LBB143_328:
	s_delay_alu instid0(SALU_CYCLE_1)
	s_and_b32 vcc_lo, exec_lo, s5
	s_cbranch_vccz .LBB143_368
; %bb.329:
	v_cmp_lt_i16_e32 vcc_lo, 22, v4
	s_mov_b32 s3, -1
	s_cbranch_vccz .LBB143_361
; %bb.330:
	v_cmp_gt_i16_e32 vcc_lo, 24, v4
	s_cbranch_vccnz .LBB143_350
; %bb.331:
	v_cmp_lt_i16_e32 vcc_lo, 24, v4
	s_cbranch_vccz .LBB143_339
; %bb.332:
	v_and_b32_e32 v6, 0x7fffffff, v30
	v_mov_b32_e32 v7, 0x80
	s_mov_b32 s3, exec_lo
	s_delay_alu instid0(VALU_DEP_2)
	v_cmpx_gt_u32_e32 0x47800000, v6
	s_cbranch_execz .LBB143_338
; %bb.333:
	v_cmp_lt_u32_e32 vcc_lo, 0x37ffffff, v6
	s_mov_b32 s4, 0
                                        ; implicit-def: $vgpr6
	s_and_saveexec_b32 s5, vcc_lo
	s_delay_alu instid0(SALU_CYCLE_1)
	s_xor_b32 s5, exec_lo, s5
	s_cbranch_execz .LBB143_799
; %bb.334:
	v_bfe_u32 v6, v30, 21, 1
	s_mov_b32 s4, exec_lo
	s_delay_alu instid0(VALU_DEP_1) | instskip(NEXT) | instid1(VALU_DEP_1)
	v_add3_u32 v6, v30, v6, 0x88fffff
	v_lshrrev_b32_e32 v6, 21, v6
	s_or_saveexec_b32 s5, s5
                                        ; implicit-def: $sgpr6
	s_delay_alu instid0(SALU_CYCLE_1)
	s_xor_b32 exec_lo, exec_lo, s5
	s_cbranch_execnz .LBB143_800
.LBB143_335:
	s_or_b32 exec_lo, exec_lo, s5
	v_mov_b32_e32 v7, s6
	s_and_saveexec_b32 s5, s4
.LBB143_336:
	v_lshrrev_b32_e32 v7, 24, v30
	s_delay_alu instid0(VALU_DEP_1)
	v_and_or_b32 v7, 0x80, v7, v6
.LBB143_337:
	s_or_b32 exec_lo, exec_lo, s5
.LBB143_338:
	s_delay_alu instid0(SALU_CYCLE_1)
	s_or_b32 exec_lo, exec_lo, s3
	s_mov_b32 s3, 0
	global_store_b8 v[2:3], v7, off
.LBB143_339:
	s_and_b32 vcc_lo, exec_lo, s3
	s_cbranch_vccz .LBB143_349
; %bb.340:
	v_and_b32_e32 v7, 0x7fffffff, v30
	s_mov_b32 s3, exec_lo
                                        ; implicit-def: $vgpr6
	s_delay_alu instid0(VALU_DEP_1)
	v_cmpx_gt_u32_e32 0x43f00000, v7
	s_xor_b32 s3, exec_lo, s3
	s_cbranch_execz .LBB143_346
; %bb.341:
	s_mov_b32 s4, exec_lo
                                        ; implicit-def: $vgpr6
	v_cmpx_lt_u32_e32 0x3c7fffff, v7
	s_xor_b32 s4, exec_lo, s4
; %bb.342:
	v_bfe_u32 v6, v30, 20, 1
	s_delay_alu instid0(VALU_DEP_1) | instskip(NEXT) | instid1(VALU_DEP_1)
	v_add3_u32 v6, v30, v6, 0x407ffff
	v_and_b32_e32 v7, 0xff00000, v6
	v_lshrrev_b32_e32 v6, 20, v6
	s_delay_alu instid0(VALU_DEP_2) | instskip(NEXT) | instid1(VALU_DEP_2)
	v_cmp_ne_u32_e32 vcc_lo, 0x7f00000, v7
	v_cndmask_b32_e32 v6, 0x7e, v6, vcc_lo
; %bb.343:
	s_and_not1_saveexec_b32 s4, s4
; %bb.344:
	v_add_f32_e64 v6, 0x46800000, |v30|
; %bb.345:
	s_or_b32 exec_lo, exec_lo, s4
                                        ; implicit-def: $vgpr7
.LBB143_346:
	s_and_not1_saveexec_b32 s3, s3
; %bb.347:
	v_mov_b32_e32 v6, 0x7f
	v_cmp_lt_u32_e32 vcc_lo, 0x7f800000, v7
	s_delay_alu instid0(VALU_DEP_2)
	v_cndmask_b32_e32 v6, 0x7e, v6, vcc_lo
; %bb.348:
	s_or_b32 exec_lo, exec_lo, s3
	v_lshrrev_b32_e32 v7, 24, v30
	s_delay_alu instid0(VALU_DEP_1)
	v_and_or_b32 v6, 0x80, v7, v6
	global_store_b8 v[2:3], v6, off
.LBB143_349:
	s_mov_b32 s3, 0
.LBB143_350:
	s_delay_alu instid0(SALU_CYCLE_1)
	s_and_not1_b32 vcc_lo, exec_lo, s3
	s_cbranch_vccnz .LBB143_360
; %bb.351:
	v_and_b32_e32 v7, 0x7fffffff, v30
	s_mov_b32 s3, exec_lo
                                        ; implicit-def: $vgpr6
	s_delay_alu instid0(VALU_DEP_1)
	v_cmpx_gt_u32_e32 0x47800000, v7
	s_xor_b32 s3, exec_lo, s3
	s_cbranch_execz .LBB143_357
; %bb.352:
	s_mov_b32 s4, exec_lo
                                        ; implicit-def: $vgpr6
	v_cmpx_lt_u32_e32 0x387fffff, v7
	s_xor_b32 s4, exec_lo, s4
; %bb.353:
	v_bfe_u32 v6, v30, 21, 1
	s_delay_alu instid0(VALU_DEP_1) | instskip(NEXT) | instid1(VALU_DEP_1)
	v_add3_u32 v6, v30, v6, 0x80fffff
	v_lshrrev_b32_e32 v6, 21, v6
; %bb.354:
	s_and_not1_saveexec_b32 s4, s4
; %bb.355:
	v_add_f32_e64 v6, 0x43000000, |v30|
; %bb.356:
	s_or_b32 exec_lo, exec_lo, s4
                                        ; implicit-def: $vgpr7
.LBB143_357:
	s_and_not1_saveexec_b32 s3, s3
; %bb.358:
	v_mov_b32_e32 v6, 0x7f
	v_cmp_lt_u32_e32 vcc_lo, 0x7f800000, v7
	s_delay_alu instid0(VALU_DEP_2)
	v_cndmask_b32_e32 v6, 0x7c, v6, vcc_lo
; %bb.359:
	s_or_b32 exec_lo, exec_lo, s3
	v_lshrrev_b32_e32 v7, 24, v30
	s_delay_alu instid0(VALU_DEP_1)
	v_and_or_b32 v6, 0x80, v7, v6
	global_store_b8 v[2:3], v6, off
.LBB143_360:
	s_mov_b32 s3, 0
	s_mov_b32 s4, -1
.LBB143_361:
	s_and_not1_b32 vcc_lo, exec_lo, s3
	s_mov_b32 s3, 0
	s_cbranch_vccnz .LBB143_368
; %bb.362:
	v_cmp_lt_i16_e32 vcc_lo, 14, v4
	s_mov_b32 s3, -1
	s_cbranch_vccz .LBB143_366
; %bb.363:
	v_cmp_eq_u16_e32 vcc_lo, 15, v4
	s_mov_b32 s0, -1
	s_cbranch_vccz .LBB143_365
; %bb.364:
	v_bfe_u32 v6, v30, 16, 1
	v_cmp_o_f32_e32 vcc_lo, v30, v30
	s_mov_b32 s0, 0
	s_mov_b32 s4, -1
	s_delay_alu instid0(VALU_DEP_2) | instskip(NEXT) | instid1(VALU_DEP_1)
	v_add3_u32 v6, v30, v6, 0x7fff
	v_lshrrev_b32_e32 v6, 16, v6
	s_delay_alu instid0(VALU_DEP_1)
	v_cndmask_b32_e32 v6, 0x7fc0, v6, vcc_lo
	global_store_b16 v[2:3], v6, off
.LBB143_365:
	s_mov_b32 s3, 0
.LBB143_366:
	s_delay_alu instid0(SALU_CYCLE_1)
	s_and_b32 vcc_lo, exec_lo, s3
	s_mov_b32 s3, 0
	s_cbranch_vccz .LBB143_368
; %bb.367:
	v_cmp_ne_u16_e64 s0, 11, v4
	s_mov_b32 s3, -1
.LBB143_368:
	s_delay_alu instid0(VALU_DEP_1)
	s_and_b32 vcc_lo, exec_lo, s0
	s_cbranch_vccnz .LBB143_670
; %bb.369:
	s_and_not1_b32 vcc_lo, exec_lo, s3
	s_cbranch_vccnz .LBB143_371
.LBB143_370:
	v_or_b32_e32 v6, v30, v31
	s_mov_b32 s4, -1
	s_delay_alu instid0(VALU_DEP_1) | instskip(NEXT) | instid1(VALU_DEP_1)
	v_and_b32_e32 v6, 0x7fffffff, v6
	v_cmp_ne_u32_e32 vcc_lo, 0, v6
	v_cndmask_b32_e64 v6, 0, 1, vcc_lo
	global_store_b8 v[2:3], v6, off
.LBB143_371:
.LBB143_372:
	s_and_not1_b32 vcc_lo, exec_lo, s4
	s_cbranch_vccz .LBB143_412
	s_branch .LBB143_609
.LBB143_373:
	s_mov_b32 s4, 0
	s_cbranch_execz .LBB143_372
; %bb.374:
	v_cmp_gt_i16_e32 vcc_lo, 5, v4
	s_mov_b32 s0, -1
	s_cbranch_vccnz .LBB143_395
; %bb.375:
	v_cmp_gt_i16_e32 vcc_lo, 8, v4
	s_cbranch_vccnz .LBB143_385
; %bb.376:
	v_cmp_gt_i16_e32 vcc_lo, 9, v4
	s_cbranch_vccnz .LBB143_382
; %bb.377:
	v_cmp_lt_i16_e32 vcc_lo, 9, v4
	s_cbranch_vccz .LBB143_379
; %bb.378:
	v_cvt_f64_f32_e32 v[6:7], v30
	v_cvt_f64_f32_e32 v[8:9], v31
	s_mov_b32 s0, 0
	global_store_b128 v[2:3], v[6:9], off
.LBB143_379:
	s_and_not1_b32 vcc_lo, exec_lo, s0
	s_cbranch_vccnz .LBB143_381
; %bb.380:
	global_store_b64 v[2:3], v[30:31], off
.LBB143_381:
	s_mov_b32 s0, 0
.LBB143_382:
	s_delay_alu instid0(SALU_CYCLE_1)
	s_and_not1_b32 vcc_lo, exec_lo, s0
	s_cbranch_vccnz .LBB143_384
; %bb.383:
	v_cvt_f16_f32_e32 v6, v31
	v_cvt_f16_f32_e32 v7, v30
	s_delay_alu instid0(VALU_DEP_2) | instskip(NEXT) | instid1(VALU_DEP_2)
	v_lshlrev_b32_e32 v6, 16, v6
	v_and_b32_e32 v7, 0xffff, v7
	s_delay_alu instid0(VALU_DEP_1)
	v_or_b32_e32 v6, v6, v7
	global_store_b32 v[2:3], v6, off
.LBB143_384:
	s_mov_b32 s0, 0
.LBB143_385:
	s_delay_alu instid0(SALU_CYCLE_1)
	s_and_not1_b32 vcc_lo, exec_lo, s0
	s_cbranch_vccnz .LBB143_394
; %bb.386:
	v_cmp_gt_i16_e32 vcc_lo, 6, v4
	s_mov_b32 s0, -1
	s_cbranch_vccnz .LBB143_392
; %bb.387:
	v_cmp_lt_i16_e32 vcc_lo, 6, v4
	s_cbranch_vccz .LBB143_389
; %bb.388:
	v_cvt_f64_f32_e32 v[6:7], v30
	s_mov_b32 s0, 0
	global_store_b64 v[2:3], v[6:7], off
.LBB143_389:
	s_and_not1_b32 vcc_lo, exec_lo, s0
	s_cbranch_vccnz .LBB143_391
; %bb.390:
	global_store_b32 v[2:3], v30, off
.LBB143_391:
	s_mov_b32 s0, 0
.LBB143_392:
	s_delay_alu instid0(SALU_CYCLE_1)
	s_and_not1_b32 vcc_lo, exec_lo, s0
	s_cbranch_vccnz .LBB143_394
; %bb.393:
	v_cvt_f16_f32_e32 v6, v30
	global_store_b16 v[2:3], v6, off
.LBB143_394:
	s_mov_b32 s0, 0
.LBB143_395:
	s_delay_alu instid0(SALU_CYCLE_1)
	s_and_not1_b32 vcc_lo, exec_lo, s0
	s_cbranch_vccnz .LBB143_411
; %bb.396:
	v_cmp_gt_i16_e32 vcc_lo, 2, v4
	s_mov_b32 s0, -1
	s_cbranch_vccnz .LBB143_406
; %bb.397:
	v_cmp_gt_i16_e32 vcc_lo, 3, v4
	s_cbranch_vccnz .LBB143_403
; %bb.398:
	v_cmp_lt_i16_e32 vcc_lo, 3, v4
	s_cbranch_vccz .LBB143_400
; %bb.399:
	v_trunc_f32_e32 v6, v30
	s_mov_b32 s0, 0
	s_delay_alu instid0(VALU_DEP_1) | instskip(SKIP_1) | instid1(VALU_DEP_2)
	v_mul_f32_e64 v7, 0x2f800000, |v6|
	v_ashrrev_i32_e32 v9, 31, v6
	v_floor_f32_e32 v7, v7
	s_delay_alu instid0(VALU_DEP_1) | instskip(SKIP_1) | instid1(VALU_DEP_2)
	v_fma_f32 v8, 0xcf800000, v7, |v6|
	v_cvt_u32_f32_e32 v7, v7
	v_cvt_u32_f32_e32 v6, v8
	s_delay_alu instid0(VALU_DEP_2) | instskip(NEXT) | instid1(VALU_DEP_2)
	v_xor_b32_e32 v7, v7, v9
	v_xor_b32_e32 v6, v6, v9
	s_delay_alu instid0(VALU_DEP_1) | instskip(NEXT) | instid1(VALU_DEP_3)
	v_sub_co_u32 v6, vcc_lo, v6, v9
	v_sub_co_ci_u32_e32 v7, vcc_lo, v7, v9, vcc_lo
	global_store_b64 v[2:3], v[6:7], off
.LBB143_400:
	s_and_not1_b32 vcc_lo, exec_lo, s0
	s_cbranch_vccnz .LBB143_402
; %bb.401:
	v_cvt_i32_f32_e32 v6, v30
	global_store_b32 v[2:3], v6, off
.LBB143_402:
	s_mov_b32 s0, 0
.LBB143_403:
	s_delay_alu instid0(SALU_CYCLE_1)
	s_and_not1_b32 vcc_lo, exec_lo, s0
	s_cbranch_vccnz .LBB143_405
; %bb.404:
	v_cvt_i32_f32_e32 v6, v30
	global_store_b16 v[2:3], v6, off
.LBB143_405:
	s_mov_b32 s0, 0
.LBB143_406:
	s_delay_alu instid0(SALU_CYCLE_1)
	s_and_not1_b32 vcc_lo, exec_lo, s0
	s_cbranch_vccnz .LBB143_411
; %bb.407:
	v_cmp_lt_i16_e32 vcc_lo, 0, v4
	s_mov_b32 s0, -1
	s_cbranch_vccz .LBB143_409
; %bb.408:
	v_cvt_i32_f32_e32 v6, v30
	s_mov_b32 s0, 0
	global_store_b8 v[2:3], v6, off
.LBB143_409:
	s_and_not1_b32 vcc_lo, exec_lo, s0
	s_cbranch_vccnz .LBB143_411
; %bb.410:
	v_trunc_f32_e32 v6, v30
	s_delay_alu instid0(VALU_DEP_1) | instskip(NEXT) | instid1(VALU_DEP_1)
	v_mul_f32_e64 v7, 0x2f800000, |v6|
	v_floor_f32_e32 v7, v7
	s_delay_alu instid0(VALU_DEP_1) | instskip(SKIP_1) | instid1(VALU_DEP_2)
	v_fma_f32 v7, 0xcf800000, v7, |v6|
	v_ashrrev_i32_e32 v6, 31, v6
	v_cvt_u32_f32_e32 v7, v7
	s_delay_alu instid0(VALU_DEP_1) | instskip(NEXT) | instid1(VALU_DEP_1)
	v_xor_b32_e32 v7, v7, v6
	v_sub_nc_u32_e32 v6, v7, v6
	global_store_b8 v[2:3], v6, off
.LBB143_411:
.LBB143_412:
	v_add_nc_u32_e32 v5, s2, v5
	v_cmp_gt_i16_e32 vcc_lo, 11, v4
	s_delay_alu instid0(VALU_DEP_2) | instskip(SKIP_1) | instid1(VALU_DEP_1)
	v_ashrrev_i32_e32 v3, 31, v5
	v_add_co_u32 v2, s0, s16, v5
	v_add_co_ci_u32_e64 v3, s0, s17, v3, s0
	s_cbranch_vccnz .LBB143_570
; %bb.413:
	v_cmp_lt_i16_e32 vcc_lo, 25, v4
	s_mov_b32 s5, -1
	s_mov_b32 s3, 0
	s_mov_b32 s4, 0
	;; [unrolled: 1-line block ×3, first 2 shown]
	s_cbranch_vccz .LBB143_446
; %bb.414:
	v_cmp_lt_i16_e32 vcc_lo, 28, v4
	s_cbranch_vccz .LBB143_429
; %bb.415:
	v_cmp_lt_i16_e32 vcc_lo, 43, v4
	;; [unrolled: 3-line block ×3, first 2 shown]
	s_cbranch_vccz .LBB143_419
; %bb.417:
	v_cmp_eq_u16_e32 vcc_lo, 46, v4
	s_mov_b32 s0, -1
	s_mov_b32 s5, 0
	s_cbranch_vccz .LBB143_419
; %bb.418:
	v_bfe_u32 v6, v29, 16, 1
	v_bfe_u32 v7, v28, 16, 1
	v_cmp_o_f32_e32 vcc_lo, v29, v29
	s_mov_b32 s0, 0
	s_mov_b32 s4, -1
	v_add3_u32 v6, v29, v6, 0x7fff
	v_add3_u32 v7, v28, v7, 0x7fff
	s_delay_alu instid0(VALU_DEP_2) | instskip(NEXT) | instid1(VALU_DEP_2)
	v_and_b32_e32 v6, 0xffff0000, v6
	v_lshrrev_b32_e32 v7, 16, v7
	s_delay_alu instid0(VALU_DEP_2) | instskip(SKIP_1) | instid1(VALU_DEP_3)
	v_cndmask_b32_e32 v6, 0x7fc00000, v6, vcc_lo
	v_cmp_o_f32_e32 vcc_lo, v28, v28
	v_cndmask_b32_e32 v7, 0x7fc0, v7, vcc_lo
	s_delay_alu instid0(VALU_DEP_1)
	v_or_b32_e32 v6, v6, v7
	global_store_b32 v[2:3], v6, off
.LBB143_419:
	s_and_b32 vcc_lo, exec_lo, s5
	s_cbranch_vccz .LBB143_424
; %bb.420:
	v_cmp_eq_u16_e32 vcc_lo, 44, v4
	s_mov_b32 s0, -1
	s_cbranch_vccz .LBB143_424
; %bb.421:
	v_bfe_u32 v7, v28, 23, 8
	v_mov_b32_e32 v6, 0xff
	s_mov_b32 s4, exec_lo
	s_delay_alu instid0(VALU_DEP_2)
	v_cmpx_ne_u32_e32 0xff, v7
; %bb.422:
	v_and_b32_e32 v6, 0x400000, v28
	v_and_or_b32 v7, 0x3fffff, v28, v7
	s_delay_alu instid0(VALU_DEP_2) | instskip(NEXT) | instid1(VALU_DEP_2)
	v_cmp_ne_u32_e32 vcc_lo, 0, v6
	v_cmp_ne_u32_e64 s0, 0, v7
	v_lshrrev_b32_e32 v6, 23, v28
	s_delay_alu instid0(VALU_DEP_2) | instskip(NEXT) | instid1(SALU_CYCLE_1)
	s_and_b32 s0, vcc_lo, s0
	v_cndmask_b32_e64 v7, 0, 1, s0
	s_delay_alu instid0(VALU_DEP_1)
	v_add_nc_u32_e32 v6, v6, v7
; %bb.423:
	s_or_b32 exec_lo, exec_lo, s4
	s_mov_b32 s0, 0
	s_mov_b32 s4, -1
	global_store_b8 v[2:3], v6, off
.LBB143_424:
	s_mov_b32 s5, 0
.LBB143_425:
	s_delay_alu instid0(SALU_CYCLE_1)
	s_and_b32 vcc_lo, exec_lo, s5
	s_cbranch_vccz .LBB143_428
; %bb.426:
	v_cmp_eq_u16_e32 vcc_lo, 29, v4
	s_mov_b32 s0, -1
	s_cbranch_vccz .LBB143_428
; %bb.427:
	v_trunc_f32_e32 v6, v28
	s_mov_b32 s0, 0
	s_mov_b32 s4, -1
	s_delay_alu instid0(VALU_DEP_1) | instskip(NEXT) | instid1(VALU_DEP_1)
	v_mul_f32_e32 v7, 0x2f800000, v6
	v_floor_f32_e32 v7, v7
	s_delay_alu instid0(VALU_DEP_1) | instskip(SKIP_1) | instid1(VALU_DEP_2)
	v_fmamk_f32 v6, v7, 0xcf800000, v6
	v_cvt_u32_f32_e32 v7, v7
	v_cvt_u32_f32_e32 v6, v6
	global_store_b64 v[2:3], v[6:7], off
.LBB143_428:
	s_mov_b32 s5, 0
.LBB143_429:
	s_delay_alu instid0(SALU_CYCLE_1)
	s_and_b32 vcc_lo, exec_lo, s5
	s_cbranch_vccz .LBB143_445
; %bb.430:
	v_cmp_gt_i16_e32 vcc_lo, 27, v4
	s_mov_b32 s4, -1
	s_cbranch_vccnz .LBB143_436
; %bb.431:
	v_cmp_lt_i16_e32 vcc_lo, 27, v4
	v_cvt_u32_f32_e32 v6, v28
	s_cbranch_vccz .LBB143_433
; %bb.432:
	s_mov_b32 s4, 0
	global_store_b32 v[2:3], v6, off
.LBB143_433:
	s_and_not1_b32 vcc_lo, exec_lo, s4
	s_cbranch_vccnz .LBB143_435
; %bb.434:
	global_store_b16 v[2:3], v6, off
.LBB143_435:
	s_mov_b32 s4, 0
.LBB143_436:
	s_delay_alu instid0(SALU_CYCLE_1)
	s_and_not1_b32 vcc_lo, exec_lo, s4
	s_cbranch_vccnz .LBB143_444
; %bb.437:
	v_and_b32_e32 v6, 0x7fffffff, v28
	v_mov_b32_e32 v7, 0x80
	s_mov_b32 s4, exec_lo
	s_delay_alu instid0(VALU_DEP_2)
	v_cmpx_gt_u32_e32 0x43800000, v6
	s_cbranch_execz .LBB143_443
; %bb.438:
	v_cmp_lt_u32_e32 vcc_lo, 0x3bffffff, v6
	s_mov_b32 s5, 0
                                        ; implicit-def: $vgpr6
	s_and_saveexec_b32 s6, vcc_lo
	s_delay_alu instid0(SALU_CYCLE_1)
	s_xor_b32 s6, exec_lo, s6
	s_cbranch_execz .LBB143_801
; %bb.439:
	v_bfe_u32 v6, v28, 20, 1
	s_mov_b32 s5, exec_lo
	s_delay_alu instid0(VALU_DEP_1) | instskip(NEXT) | instid1(VALU_DEP_1)
	v_add3_u32 v6, v28, v6, 0x487ffff
	v_lshrrev_b32_e32 v6, 20, v6
	s_or_saveexec_b32 s6, s6
                                        ; implicit-def: $sgpr7
	s_delay_alu instid0(SALU_CYCLE_1)
	s_xor_b32 exec_lo, exec_lo, s6
	s_cbranch_execnz .LBB143_802
.LBB143_440:
	s_or_b32 exec_lo, exec_lo, s6
	v_mov_b32_e32 v7, s7
	s_and_saveexec_b32 s6, s5
.LBB143_441:
	v_lshrrev_b32_e32 v7, 24, v28
	s_delay_alu instid0(VALU_DEP_1)
	v_and_or_b32 v7, 0x80, v7, v6
.LBB143_442:
	s_or_b32 exec_lo, exec_lo, s6
.LBB143_443:
	s_delay_alu instid0(SALU_CYCLE_1)
	s_or_b32 exec_lo, exec_lo, s4
	global_store_b8 v[2:3], v7, off
.LBB143_444:
	s_mov_b32 s4, -1
.LBB143_445:
	s_mov_b32 s5, 0
.LBB143_446:
	s_delay_alu instid0(SALU_CYCLE_1)
	s_and_b32 vcc_lo, exec_lo, s5
	s_cbranch_vccz .LBB143_486
; %bb.447:
	v_cmp_lt_i16_e32 vcc_lo, 22, v4
	s_mov_b32 s3, -1
	s_cbranch_vccz .LBB143_479
; %bb.448:
	v_cmp_gt_i16_e32 vcc_lo, 24, v4
	s_cbranch_vccnz .LBB143_468
; %bb.449:
	v_cmp_lt_i16_e32 vcc_lo, 24, v4
	s_cbranch_vccz .LBB143_457
; %bb.450:
	v_and_b32_e32 v6, 0x7fffffff, v28
	v_mov_b32_e32 v7, 0x80
	s_mov_b32 s3, exec_lo
	s_delay_alu instid0(VALU_DEP_2)
	v_cmpx_gt_u32_e32 0x47800000, v6
	s_cbranch_execz .LBB143_456
; %bb.451:
	v_cmp_lt_u32_e32 vcc_lo, 0x37ffffff, v6
	s_mov_b32 s4, 0
                                        ; implicit-def: $vgpr6
	s_and_saveexec_b32 s5, vcc_lo
	s_delay_alu instid0(SALU_CYCLE_1)
	s_xor_b32 s5, exec_lo, s5
	s_cbranch_execz .LBB143_934
; %bb.452:
	v_bfe_u32 v6, v28, 21, 1
	s_mov_b32 s4, exec_lo
	s_delay_alu instid0(VALU_DEP_1) | instskip(NEXT) | instid1(VALU_DEP_1)
	v_add3_u32 v6, v28, v6, 0x88fffff
	v_lshrrev_b32_e32 v6, 21, v6
	s_or_saveexec_b32 s5, s5
                                        ; implicit-def: $sgpr6
	s_delay_alu instid0(SALU_CYCLE_1)
	s_xor_b32 exec_lo, exec_lo, s5
	s_cbranch_execnz .LBB143_935
.LBB143_453:
	s_or_b32 exec_lo, exec_lo, s5
	v_mov_b32_e32 v7, s6
	s_and_saveexec_b32 s5, s4
.LBB143_454:
	v_lshrrev_b32_e32 v7, 24, v28
	s_delay_alu instid0(VALU_DEP_1)
	v_and_or_b32 v7, 0x80, v7, v6
.LBB143_455:
	s_or_b32 exec_lo, exec_lo, s5
.LBB143_456:
	s_delay_alu instid0(SALU_CYCLE_1)
	s_or_b32 exec_lo, exec_lo, s3
	s_mov_b32 s3, 0
	global_store_b8 v[2:3], v7, off
.LBB143_457:
	s_and_b32 vcc_lo, exec_lo, s3
	s_cbranch_vccz .LBB143_467
; %bb.458:
	v_and_b32_e32 v7, 0x7fffffff, v28
	s_mov_b32 s3, exec_lo
                                        ; implicit-def: $vgpr6
	s_delay_alu instid0(VALU_DEP_1)
	v_cmpx_gt_u32_e32 0x43f00000, v7
	s_xor_b32 s3, exec_lo, s3
	s_cbranch_execz .LBB143_464
; %bb.459:
	s_mov_b32 s4, exec_lo
                                        ; implicit-def: $vgpr6
	v_cmpx_lt_u32_e32 0x3c7fffff, v7
	s_xor_b32 s4, exec_lo, s4
; %bb.460:
	v_bfe_u32 v6, v28, 20, 1
	s_delay_alu instid0(VALU_DEP_1) | instskip(NEXT) | instid1(VALU_DEP_1)
	v_add3_u32 v6, v28, v6, 0x407ffff
	v_and_b32_e32 v7, 0xff00000, v6
	v_lshrrev_b32_e32 v6, 20, v6
	s_delay_alu instid0(VALU_DEP_2) | instskip(NEXT) | instid1(VALU_DEP_2)
	v_cmp_ne_u32_e32 vcc_lo, 0x7f00000, v7
	v_cndmask_b32_e32 v6, 0x7e, v6, vcc_lo
; %bb.461:
	s_and_not1_saveexec_b32 s4, s4
; %bb.462:
	v_add_f32_e64 v6, 0x46800000, |v28|
; %bb.463:
	s_or_b32 exec_lo, exec_lo, s4
                                        ; implicit-def: $vgpr7
.LBB143_464:
	s_and_not1_saveexec_b32 s3, s3
; %bb.465:
	v_mov_b32_e32 v6, 0x7f
	v_cmp_lt_u32_e32 vcc_lo, 0x7f800000, v7
	s_delay_alu instid0(VALU_DEP_2)
	v_cndmask_b32_e32 v6, 0x7e, v6, vcc_lo
; %bb.466:
	s_or_b32 exec_lo, exec_lo, s3
	v_lshrrev_b32_e32 v7, 24, v28
	s_delay_alu instid0(VALU_DEP_1)
	v_and_or_b32 v6, 0x80, v7, v6
	global_store_b8 v[2:3], v6, off
.LBB143_467:
	s_mov_b32 s3, 0
.LBB143_468:
	s_delay_alu instid0(SALU_CYCLE_1)
	s_and_not1_b32 vcc_lo, exec_lo, s3
	s_cbranch_vccnz .LBB143_478
; %bb.469:
	v_and_b32_e32 v7, 0x7fffffff, v28
	s_mov_b32 s3, exec_lo
                                        ; implicit-def: $vgpr6
	s_delay_alu instid0(VALU_DEP_1)
	v_cmpx_gt_u32_e32 0x47800000, v7
	s_xor_b32 s3, exec_lo, s3
	s_cbranch_execz .LBB143_475
; %bb.470:
	s_mov_b32 s4, exec_lo
                                        ; implicit-def: $vgpr6
	v_cmpx_lt_u32_e32 0x387fffff, v7
	s_xor_b32 s4, exec_lo, s4
; %bb.471:
	v_bfe_u32 v6, v28, 21, 1
	s_delay_alu instid0(VALU_DEP_1) | instskip(NEXT) | instid1(VALU_DEP_1)
	v_add3_u32 v6, v28, v6, 0x80fffff
	v_lshrrev_b32_e32 v6, 21, v6
; %bb.472:
	s_and_not1_saveexec_b32 s4, s4
; %bb.473:
	v_add_f32_e64 v6, 0x43000000, |v28|
; %bb.474:
	s_or_b32 exec_lo, exec_lo, s4
                                        ; implicit-def: $vgpr7
.LBB143_475:
	s_and_not1_saveexec_b32 s3, s3
; %bb.476:
	v_mov_b32_e32 v6, 0x7f
	v_cmp_lt_u32_e32 vcc_lo, 0x7f800000, v7
	s_delay_alu instid0(VALU_DEP_2)
	v_cndmask_b32_e32 v6, 0x7c, v6, vcc_lo
; %bb.477:
	s_or_b32 exec_lo, exec_lo, s3
	v_lshrrev_b32_e32 v7, 24, v28
	s_delay_alu instid0(VALU_DEP_1)
	v_and_or_b32 v6, 0x80, v7, v6
	global_store_b8 v[2:3], v6, off
.LBB143_478:
	s_mov_b32 s3, 0
	s_mov_b32 s4, -1
.LBB143_479:
	s_and_not1_b32 vcc_lo, exec_lo, s3
	s_mov_b32 s3, 0
	s_cbranch_vccnz .LBB143_486
; %bb.480:
	v_cmp_lt_i16_e32 vcc_lo, 14, v4
	s_mov_b32 s3, -1
	s_cbranch_vccz .LBB143_484
; %bb.481:
	v_cmp_eq_u16_e32 vcc_lo, 15, v4
	s_mov_b32 s0, -1
	s_cbranch_vccz .LBB143_483
; %bb.482:
	v_bfe_u32 v6, v28, 16, 1
	v_cmp_o_f32_e32 vcc_lo, v28, v28
	s_mov_b32 s0, 0
	s_mov_b32 s4, -1
	s_delay_alu instid0(VALU_DEP_2) | instskip(NEXT) | instid1(VALU_DEP_1)
	v_add3_u32 v6, v28, v6, 0x7fff
	v_lshrrev_b32_e32 v6, 16, v6
	s_delay_alu instid0(VALU_DEP_1)
	v_cndmask_b32_e32 v6, 0x7fc0, v6, vcc_lo
	global_store_b16 v[2:3], v6, off
.LBB143_483:
	s_mov_b32 s3, 0
.LBB143_484:
	s_delay_alu instid0(SALU_CYCLE_1)
	s_and_b32 vcc_lo, exec_lo, s3
	s_mov_b32 s3, 0
	s_cbranch_vccz .LBB143_486
; %bb.485:
	v_cmp_ne_u16_e64 s0, 11, v4
	s_mov_b32 s3, -1
.LBB143_486:
	s_delay_alu instid0(VALU_DEP_1)
	s_and_b32 vcc_lo, exec_lo, s0
	s_cbranch_vccnz .LBB143_805
; %bb.487:
	s_and_not1_b32 vcc_lo, exec_lo, s3
	s_cbranch_vccnz .LBB143_489
.LBB143_488:
	v_or_b32_e32 v6, v28, v29
	s_mov_b32 s4, -1
	s_delay_alu instid0(VALU_DEP_1) | instskip(NEXT) | instid1(VALU_DEP_1)
	v_and_b32_e32 v6, 0x7fffffff, v6
	v_cmp_ne_u32_e32 vcc_lo, 0, v6
	v_cndmask_b32_e64 v6, 0, 1, vcc_lo
	global_store_b8 v[2:3], v6, off
.LBB143_489:
.LBB143_490:
	s_and_not1_b32 vcc_lo, exec_lo, s4
	s_cbranch_vccnz .LBB143_609
.LBB143_491:
	v_add_nc_u32_e32 v2, s2, v5
	v_cmp_gt_i16_e32 vcc_lo, 11, v4
	s_delay_alu instid0(VALU_DEP_2) | instskip(SKIP_1) | instid1(VALU_DEP_1)
	v_ashrrev_i32_e32 v3, 31, v2
	v_add_co_u32 v2, s0, s16, v2
	v_add_co_ci_u32_e64 v3, s0, s17, v3, s0
	s_cbranch_vccnz .LBB143_655
; %bb.492:
	v_cmp_lt_i16_e32 vcc_lo, 25, v4
	s_mov_b32 s3, -1
	s_mov_b32 s2, 0
	s_mov_b32 s0, 0
	s_cbranch_vccz .LBB143_525
; %bb.493:
	v_cmp_lt_i16_e32 vcc_lo, 28, v4
	s_cbranch_vccz .LBB143_509
; %bb.494:
	v_cmp_lt_i16_e32 vcc_lo, 43, v4
	;; [unrolled: 3-line block ×3, first 2 shown]
	s_cbranch_vccz .LBB143_499
; %bb.496:
	v_cmp_eq_u16_e32 vcc_lo, 46, v4
	s_mov_b32 s0, -1
	s_cbranch_vccz .LBB143_498
; %bb.497:
	v_bfe_u32 v5, v1, 16, 1
	v_bfe_u32 v6, v0, 16, 1
	v_cmp_o_f32_e32 vcc_lo, v1, v1
	s_mov_b32 s0, 0
	s_delay_alu instid0(VALU_DEP_3) | instskip(NEXT) | instid1(VALU_DEP_3)
	v_add3_u32 v5, v1, v5, 0x7fff
	v_add3_u32 v6, v0, v6, 0x7fff
	s_delay_alu instid0(VALU_DEP_2) | instskip(NEXT) | instid1(VALU_DEP_2)
	v_and_b32_e32 v5, 0xffff0000, v5
	v_lshrrev_b32_e32 v6, 16, v6
	s_delay_alu instid0(VALU_DEP_2) | instskip(SKIP_1) | instid1(VALU_DEP_3)
	v_cndmask_b32_e32 v5, 0x7fc00000, v5, vcc_lo
	v_cmp_o_f32_e32 vcc_lo, v0, v0
	v_cndmask_b32_e32 v6, 0x7fc0, v6, vcc_lo
	s_delay_alu instid0(VALU_DEP_1)
	v_or_b32_e32 v5, v5, v6
	global_store_b32 v[2:3], v5, off
.LBB143_498:
	s_mov_b32 s3, 0
.LBB143_499:
	s_delay_alu instid0(SALU_CYCLE_1)
	s_and_b32 vcc_lo, exec_lo, s3
	s_cbranch_vccz .LBB143_504
; %bb.500:
	v_cmp_eq_u16_e32 vcc_lo, 44, v4
	s_mov_b32 s0, -1
	s_cbranch_vccz .LBB143_504
; %bb.501:
	v_bfe_u32 v6, v0, 23, 8
	v_mov_b32_e32 v5, 0xff
	s_mov_b32 s3, exec_lo
	s_delay_alu instid0(VALU_DEP_2)
	v_cmpx_ne_u32_e32 0xff, v6
; %bb.502:
	v_and_b32_e32 v5, 0x400000, v0
	v_and_or_b32 v6, 0x3fffff, v0, v6
	s_delay_alu instid0(VALU_DEP_2) | instskip(NEXT) | instid1(VALU_DEP_2)
	v_cmp_ne_u32_e32 vcc_lo, 0, v5
	v_cmp_ne_u32_e64 s0, 0, v6
	v_lshrrev_b32_e32 v5, 23, v0
	s_delay_alu instid0(VALU_DEP_2) | instskip(NEXT) | instid1(SALU_CYCLE_1)
	s_and_b32 s0, vcc_lo, s0
	v_cndmask_b32_e64 v6, 0, 1, s0
	s_delay_alu instid0(VALU_DEP_1)
	v_add_nc_u32_e32 v5, v5, v6
; %bb.503:
	s_or_b32 exec_lo, exec_lo, s3
	s_mov_b32 s0, 0
	global_store_b8 v[2:3], v5, off
.LBB143_504:
	s_mov_b32 s3, 0
.LBB143_505:
	s_delay_alu instid0(SALU_CYCLE_1)
	s_and_b32 vcc_lo, exec_lo, s3
	s_cbranch_vccz .LBB143_508
; %bb.506:
	v_cmp_eq_u16_e32 vcc_lo, 29, v4
	s_mov_b32 s0, -1
	s_cbranch_vccz .LBB143_508
; %bb.507:
	v_trunc_f32_e32 v5, v0
	s_mov_b32 s0, 0
	s_delay_alu instid0(VALU_DEP_1) | instskip(NEXT) | instid1(VALU_DEP_1)
	v_mul_f32_e32 v6, 0x2f800000, v5
	v_floor_f32_e32 v6, v6
	s_delay_alu instid0(VALU_DEP_1) | instskip(SKIP_1) | instid1(VALU_DEP_2)
	v_fmamk_f32 v5, v6, 0xcf800000, v5
	v_cvt_u32_f32_e32 v6, v6
	v_cvt_u32_f32_e32 v5, v5
	global_store_b64 v[2:3], v[5:6], off
.LBB143_508:
	s_mov_b32 s3, 0
.LBB143_509:
	s_delay_alu instid0(SALU_CYCLE_1)
	s_and_b32 vcc_lo, exec_lo, s3
	s_cbranch_vccz .LBB143_524
; %bb.510:
	v_cmp_gt_i16_e32 vcc_lo, 27, v4
	s_mov_b32 s3, -1
	s_cbranch_vccnz .LBB143_516
; %bb.511:
	v_cmp_lt_i16_e32 vcc_lo, 27, v4
	v_cvt_u32_f32_e32 v5, v0
	s_cbranch_vccz .LBB143_513
; %bb.512:
	s_mov_b32 s3, 0
	global_store_b32 v[2:3], v5, off
.LBB143_513:
	s_and_not1_b32 vcc_lo, exec_lo, s3
	s_cbranch_vccnz .LBB143_515
; %bb.514:
	global_store_b16 v[2:3], v5, off
.LBB143_515:
	s_mov_b32 s3, 0
.LBB143_516:
	s_delay_alu instid0(SALU_CYCLE_1)
	s_and_not1_b32 vcc_lo, exec_lo, s3
	s_cbranch_vccnz .LBB143_524
; %bb.517:
	v_and_b32_e32 v5, 0x7fffffff, v0
	v_mov_b32_e32 v6, 0x80
	s_mov_b32 s3, exec_lo
	s_delay_alu instid0(VALU_DEP_2)
	v_cmpx_gt_u32_e32 0x43800000, v5
	s_cbranch_execz .LBB143_523
; %bb.518:
	v_cmp_lt_u32_e32 vcc_lo, 0x3bffffff, v5
	s_mov_b32 s4, 0
                                        ; implicit-def: $vgpr5
	s_and_saveexec_b32 s5, vcc_lo
	s_delay_alu instid0(SALU_CYCLE_1)
	s_xor_b32 s5, exec_lo, s5
	s_cbranch_execz .LBB143_936
; %bb.519:
	v_bfe_u32 v5, v0, 20, 1
	s_mov_b32 s4, exec_lo
	s_delay_alu instid0(VALU_DEP_1) | instskip(NEXT) | instid1(VALU_DEP_1)
	v_add3_u32 v5, v0, v5, 0x487ffff
	v_lshrrev_b32_e32 v5, 20, v5
	s_or_saveexec_b32 s5, s5
                                        ; implicit-def: $sgpr6
	s_delay_alu instid0(SALU_CYCLE_1)
	s_xor_b32 exec_lo, exec_lo, s5
	s_cbranch_execnz .LBB143_937
.LBB143_520:
	s_or_b32 exec_lo, exec_lo, s5
	v_mov_b32_e32 v6, s6
	s_and_saveexec_b32 s5, s4
.LBB143_521:
	v_lshrrev_b32_e32 v6, 24, v0
	s_delay_alu instid0(VALU_DEP_1)
	v_and_or_b32 v6, 0x80, v6, v5
.LBB143_522:
	s_or_b32 exec_lo, exec_lo, s5
.LBB143_523:
	s_delay_alu instid0(SALU_CYCLE_1)
	s_or_b32 exec_lo, exec_lo, s3
	global_store_b8 v[2:3], v6, off
.LBB143_524:
	s_mov_b32 s3, 0
.LBB143_525:
	s_delay_alu instid0(SALU_CYCLE_1)
	s_and_b32 vcc_lo, exec_lo, s3
	s_cbranch_vccz .LBB143_565
; %bb.526:
	v_cmp_lt_i16_e32 vcc_lo, 22, v4
	s_mov_b32 s2, -1
	s_cbranch_vccz .LBB143_558
; %bb.527:
	v_cmp_gt_i16_e32 vcc_lo, 24, v4
	s_cbranch_vccnz .LBB143_547
; %bb.528:
	v_cmp_lt_i16_e32 vcc_lo, 24, v4
	s_cbranch_vccz .LBB143_536
; %bb.529:
	v_and_b32_e32 v5, 0x7fffffff, v0
	v_mov_b32_e32 v6, 0x80
	s_mov_b32 s2, exec_lo
	s_delay_alu instid0(VALU_DEP_2)
	v_cmpx_gt_u32_e32 0x47800000, v5
	s_cbranch_execz .LBB143_535
; %bb.530:
	v_cmp_lt_u32_e32 vcc_lo, 0x37ffffff, v5
	s_mov_b32 s3, 0
                                        ; implicit-def: $vgpr5
	s_and_saveexec_b32 s4, vcc_lo
	s_delay_alu instid0(SALU_CYCLE_1)
	s_xor_b32 s4, exec_lo, s4
	s_cbranch_execz .LBB143_944
; %bb.531:
	v_bfe_u32 v5, v0, 21, 1
	s_mov_b32 s3, exec_lo
	s_delay_alu instid0(VALU_DEP_1) | instskip(NEXT) | instid1(VALU_DEP_1)
	v_add3_u32 v5, v0, v5, 0x88fffff
	v_lshrrev_b32_e32 v5, 21, v5
	s_or_saveexec_b32 s4, s4
                                        ; implicit-def: $sgpr5
	s_delay_alu instid0(SALU_CYCLE_1)
	s_xor_b32 exec_lo, exec_lo, s4
	s_cbranch_execnz .LBB143_945
.LBB143_532:
	s_or_b32 exec_lo, exec_lo, s4
	v_mov_b32_e32 v6, s5
	s_and_saveexec_b32 s4, s3
.LBB143_533:
	v_lshrrev_b32_e32 v6, 24, v0
	s_delay_alu instid0(VALU_DEP_1)
	v_and_or_b32 v6, 0x80, v6, v5
.LBB143_534:
	s_or_b32 exec_lo, exec_lo, s4
.LBB143_535:
	s_delay_alu instid0(SALU_CYCLE_1)
	s_or_b32 exec_lo, exec_lo, s2
	s_mov_b32 s2, 0
	global_store_b8 v[2:3], v6, off
.LBB143_536:
	s_and_b32 vcc_lo, exec_lo, s2
	s_cbranch_vccz .LBB143_546
; %bb.537:
	v_and_b32_e32 v6, 0x7fffffff, v0
	s_mov_b32 s2, exec_lo
                                        ; implicit-def: $vgpr5
	s_delay_alu instid0(VALU_DEP_1)
	v_cmpx_gt_u32_e32 0x43f00000, v6
	s_xor_b32 s2, exec_lo, s2
	s_cbranch_execz .LBB143_543
; %bb.538:
	s_mov_b32 s3, exec_lo
                                        ; implicit-def: $vgpr5
	v_cmpx_lt_u32_e32 0x3c7fffff, v6
	s_xor_b32 s3, exec_lo, s3
; %bb.539:
	v_bfe_u32 v5, v0, 20, 1
	s_delay_alu instid0(VALU_DEP_1) | instskip(NEXT) | instid1(VALU_DEP_1)
	v_add3_u32 v5, v0, v5, 0x407ffff
	v_and_b32_e32 v6, 0xff00000, v5
	v_lshrrev_b32_e32 v5, 20, v5
	s_delay_alu instid0(VALU_DEP_2) | instskip(NEXT) | instid1(VALU_DEP_2)
	v_cmp_ne_u32_e32 vcc_lo, 0x7f00000, v6
	v_cndmask_b32_e32 v5, 0x7e, v5, vcc_lo
; %bb.540:
	s_and_not1_saveexec_b32 s3, s3
; %bb.541:
	v_add_f32_e64 v5, 0x46800000, |v0|
; %bb.542:
	s_or_b32 exec_lo, exec_lo, s3
                                        ; implicit-def: $vgpr6
.LBB143_543:
	s_and_not1_saveexec_b32 s2, s2
; %bb.544:
	v_mov_b32_e32 v5, 0x7f
	v_cmp_lt_u32_e32 vcc_lo, 0x7f800000, v6
	s_delay_alu instid0(VALU_DEP_2)
	v_cndmask_b32_e32 v5, 0x7e, v5, vcc_lo
; %bb.545:
	s_or_b32 exec_lo, exec_lo, s2
	v_lshrrev_b32_e32 v6, 24, v0
	s_delay_alu instid0(VALU_DEP_1)
	v_and_or_b32 v5, 0x80, v6, v5
	global_store_b8 v[2:3], v5, off
.LBB143_546:
	s_mov_b32 s2, 0
.LBB143_547:
	s_delay_alu instid0(SALU_CYCLE_1)
	s_and_not1_b32 vcc_lo, exec_lo, s2
	s_cbranch_vccnz .LBB143_557
; %bb.548:
	v_and_b32_e32 v6, 0x7fffffff, v0
	s_mov_b32 s2, exec_lo
                                        ; implicit-def: $vgpr5
	s_delay_alu instid0(VALU_DEP_1)
	v_cmpx_gt_u32_e32 0x47800000, v6
	s_xor_b32 s2, exec_lo, s2
	s_cbranch_execz .LBB143_554
; %bb.549:
	s_mov_b32 s3, exec_lo
                                        ; implicit-def: $vgpr5
	v_cmpx_lt_u32_e32 0x387fffff, v6
	s_xor_b32 s3, exec_lo, s3
; %bb.550:
	v_bfe_u32 v5, v0, 21, 1
	s_delay_alu instid0(VALU_DEP_1) | instskip(NEXT) | instid1(VALU_DEP_1)
	v_add3_u32 v5, v0, v5, 0x80fffff
	v_lshrrev_b32_e32 v5, 21, v5
; %bb.551:
	s_and_not1_saveexec_b32 s3, s3
; %bb.552:
	v_add_f32_e64 v5, 0x43000000, |v0|
; %bb.553:
	s_or_b32 exec_lo, exec_lo, s3
                                        ; implicit-def: $vgpr6
.LBB143_554:
	s_and_not1_saveexec_b32 s2, s2
; %bb.555:
	v_mov_b32_e32 v5, 0x7f
	v_cmp_lt_u32_e32 vcc_lo, 0x7f800000, v6
	s_delay_alu instid0(VALU_DEP_2)
	v_cndmask_b32_e32 v5, 0x7c, v5, vcc_lo
; %bb.556:
	s_or_b32 exec_lo, exec_lo, s2
	v_lshrrev_b32_e32 v6, 24, v0
	s_delay_alu instid0(VALU_DEP_1)
	v_and_or_b32 v5, 0x80, v6, v5
	global_store_b8 v[2:3], v5, off
.LBB143_557:
	s_mov_b32 s2, 0
.LBB143_558:
	s_delay_alu instid0(SALU_CYCLE_1)
	s_and_not1_b32 vcc_lo, exec_lo, s2
	s_mov_b32 s2, 0
	s_cbranch_vccnz .LBB143_565
; %bb.559:
	v_cmp_lt_i16_e32 vcc_lo, 14, v4
	s_mov_b32 s2, -1
	s_cbranch_vccz .LBB143_563
; %bb.560:
	v_cmp_eq_u16_e32 vcc_lo, 15, v4
	s_mov_b32 s0, -1
	s_cbranch_vccz .LBB143_562
; %bb.561:
	v_bfe_u32 v5, v0, 16, 1
	v_cmp_o_f32_e32 vcc_lo, v0, v0
	s_mov_b32 s0, 0
	s_delay_alu instid0(VALU_DEP_2) | instskip(NEXT) | instid1(VALU_DEP_1)
	v_add3_u32 v5, v0, v5, 0x7fff
	v_lshrrev_b32_e32 v5, 16, v5
	s_delay_alu instid0(VALU_DEP_1)
	v_cndmask_b32_e32 v5, 0x7fc0, v5, vcc_lo
	global_store_b16 v[2:3], v5, off
.LBB143_562:
	s_mov_b32 s2, 0
.LBB143_563:
	s_delay_alu instid0(SALU_CYCLE_1)
	s_and_b32 vcc_lo, exec_lo, s2
	s_mov_b32 s2, 0
	s_cbranch_vccz .LBB143_565
; %bb.564:
	v_cmp_ne_u16_e64 s0, 11, v4
	s_mov_b32 s2, -1
.LBB143_565:
	s_delay_alu instid0(VALU_DEP_1)
	s_and_b32 vcc_lo, exec_lo, s0
	s_cbranch_vccnz .LBB143_940
.LBB143_566:
	s_mov_b32 s0, 0
	s_branch .LBB143_610
.LBB143_567:
	s_mov_b32 s1, 0
	s_mov_b32 s0, s20
	s_cbranch_execnz .LBB143_744
.LBB143_568:
	s_and_not1_b32 vcc_lo, exec_lo, s1
	s_cbranch_vccnz .LBB143_782
.LBB143_569:
	v_add_nc_u32_e32 v34, 0x80, v34
	s_mov_b32 s1, -1
	s_branch .LBB143_783
.LBB143_570:
	s_mov_b32 s4, 0
	s_cbranch_execz .LBB143_490
; %bb.571:
	v_cmp_gt_i16_e32 vcc_lo, 5, v4
	s_mov_b32 s0, -1
	s_cbranch_vccnz .LBB143_592
; %bb.572:
	v_cmp_gt_i16_e32 vcc_lo, 8, v4
	s_cbranch_vccnz .LBB143_582
; %bb.573:
	v_cmp_gt_i16_e32 vcc_lo, 9, v4
	s_cbranch_vccnz .LBB143_579
; %bb.574:
	v_cmp_lt_i16_e32 vcc_lo, 9, v4
	s_cbranch_vccz .LBB143_576
; %bb.575:
	v_cvt_f64_f32_e32 v[6:7], v28
	v_cvt_f64_f32_e32 v[8:9], v29
	s_mov_b32 s0, 0
	global_store_b128 v[2:3], v[6:9], off
.LBB143_576:
	s_and_not1_b32 vcc_lo, exec_lo, s0
	s_cbranch_vccnz .LBB143_578
; %bb.577:
	global_store_b64 v[2:3], v[28:29], off
.LBB143_578:
	s_mov_b32 s0, 0
.LBB143_579:
	s_delay_alu instid0(SALU_CYCLE_1)
	s_and_not1_b32 vcc_lo, exec_lo, s0
	s_cbranch_vccnz .LBB143_581
; %bb.580:
	v_cvt_f16_f32_e32 v6, v29
	v_cvt_f16_f32_e32 v7, v28
	s_delay_alu instid0(VALU_DEP_2) | instskip(NEXT) | instid1(VALU_DEP_2)
	v_lshlrev_b32_e32 v6, 16, v6
	v_and_b32_e32 v7, 0xffff, v7
	s_delay_alu instid0(VALU_DEP_1)
	v_or_b32_e32 v6, v6, v7
	global_store_b32 v[2:3], v6, off
.LBB143_581:
	s_mov_b32 s0, 0
.LBB143_582:
	s_delay_alu instid0(SALU_CYCLE_1)
	s_and_not1_b32 vcc_lo, exec_lo, s0
	s_cbranch_vccnz .LBB143_591
; %bb.583:
	v_cmp_gt_i16_e32 vcc_lo, 6, v4
	s_mov_b32 s0, -1
	s_cbranch_vccnz .LBB143_589
; %bb.584:
	v_cmp_lt_i16_e32 vcc_lo, 6, v4
	s_cbranch_vccz .LBB143_586
; %bb.585:
	v_cvt_f64_f32_e32 v[6:7], v28
	s_mov_b32 s0, 0
	global_store_b64 v[2:3], v[6:7], off
.LBB143_586:
	s_and_not1_b32 vcc_lo, exec_lo, s0
	s_cbranch_vccnz .LBB143_588
; %bb.587:
	global_store_b32 v[2:3], v28, off
.LBB143_588:
	s_mov_b32 s0, 0
.LBB143_589:
	s_delay_alu instid0(SALU_CYCLE_1)
	s_and_not1_b32 vcc_lo, exec_lo, s0
	s_cbranch_vccnz .LBB143_591
; %bb.590:
	v_cvt_f16_f32_e32 v6, v28
	global_store_b16 v[2:3], v6, off
.LBB143_591:
	s_mov_b32 s0, 0
.LBB143_592:
	s_delay_alu instid0(SALU_CYCLE_1)
	s_and_not1_b32 vcc_lo, exec_lo, s0
	s_cbranch_vccnz .LBB143_608
; %bb.593:
	v_cmp_gt_i16_e32 vcc_lo, 2, v4
	s_mov_b32 s0, -1
	s_cbranch_vccnz .LBB143_603
; %bb.594:
	v_cmp_gt_i16_e32 vcc_lo, 3, v4
	s_cbranch_vccnz .LBB143_600
; %bb.595:
	v_cmp_lt_i16_e32 vcc_lo, 3, v4
	s_cbranch_vccz .LBB143_597
; %bb.596:
	v_trunc_f32_e32 v6, v28
	s_mov_b32 s0, 0
	s_delay_alu instid0(VALU_DEP_1) | instskip(SKIP_1) | instid1(VALU_DEP_2)
	v_mul_f32_e64 v7, 0x2f800000, |v6|
	v_ashrrev_i32_e32 v9, 31, v6
	v_floor_f32_e32 v7, v7
	s_delay_alu instid0(VALU_DEP_1) | instskip(SKIP_1) | instid1(VALU_DEP_2)
	v_fma_f32 v8, 0xcf800000, v7, |v6|
	v_cvt_u32_f32_e32 v7, v7
	v_cvt_u32_f32_e32 v6, v8
	s_delay_alu instid0(VALU_DEP_2) | instskip(NEXT) | instid1(VALU_DEP_2)
	v_xor_b32_e32 v7, v7, v9
	v_xor_b32_e32 v6, v6, v9
	s_delay_alu instid0(VALU_DEP_1) | instskip(NEXT) | instid1(VALU_DEP_3)
	v_sub_co_u32 v6, vcc_lo, v6, v9
	v_sub_co_ci_u32_e32 v7, vcc_lo, v7, v9, vcc_lo
	global_store_b64 v[2:3], v[6:7], off
.LBB143_597:
	s_and_not1_b32 vcc_lo, exec_lo, s0
	s_cbranch_vccnz .LBB143_599
; %bb.598:
	v_cvt_i32_f32_e32 v6, v28
	global_store_b32 v[2:3], v6, off
.LBB143_599:
	s_mov_b32 s0, 0
.LBB143_600:
	s_delay_alu instid0(SALU_CYCLE_1)
	s_and_not1_b32 vcc_lo, exec_lo, s0
	s_cbranch_vccnz .LBB143_602
; %bb.601:
	v_cvt_i32_f32_e32 v6, v28
	global_store_b16 v[2:3], v6, off
.LBB143_602:
	s_mov_b32 s0, 0
.LBB143_603:
	s_delay_alu instid0(SALU_CYCLE_1)
	s_and_not1_b32 vcc_lo, exec_lo, s0
	s_cbranch_vccnz .LBB143_608
; %bb.604:
	v_cmp_lt_i16_e32 vcc_lo, 0, v4
	s_mov_b32 s0, -1
	s_cbranch_vccz .LBB143_606
; %bb.605:
	v_cvt_i32_f32_e32 v6, v28
	s_mov_b32 s0, 0
	global_store_b8 v[2:3], v6, off
.LBB143_606:
	s_and_not1_b32 vcc_lo, exec_lo, s0
	s_cbranch_vccnz .LBB143_608
; %bb.607:
	v_trunc_f32_e32 v6, v28
	s_delay_alu instid0(VALU_DEP_1) | instskip(NEXT) | instid1(VALU_DEP_1)
	v_mul_f32_e64 v7, 0x2f800000, |v6|
	v_floor_f32_e32 v7, v7
	s_delay_alu instid0(VALU_DEP_1) | instskip(SKIP_1) | instid1(VALU_DEP_2)
	v_fma_f32 v7, 0xcf800000, v7, |v6|
	v_ashrrev_i32_e32 v6, 31, v6
	v_cvt_u32_f32_e32 v7, v7
	s_delay_alu instid0(VALU_DEP_1) | instskip(NEXT) | instid1(VALU_DEP_1)
	v_xor_b32_e32 v7, v7, v6
	v_sub_nc_u32_e32 v6, v7, v6
	global_store_b8 v[2:3], v6, off
.LBB143_608:
	s_branch .LBB143_491
.LBB143_609:
	s_mov_b32 s0, 0
	s_mov_b32 s2, 0
                                        ; implicit-def: $vgpr4
                                        ; implicit-def: $vgpr2_vgpr3
.LBB143_610:
	s_and_not1_b32 s3, s20, exec_lo
	s_and_b32 s1, s1, exec_lo
	s_and_b32 s0, s0, exec_lo
	;; [unrolled: 1-line block ×3, first 2 shown]
	s_or_b32 s20, s3, s1
.LBB143_611:
	s_or_b32 exec_lo, exec_lo, s15
	s_and_saveexec_b32 s1, s20
	s_cbranch_execz .LBB143_614
; %bb.612:
	; divergent unreachable
	s_or_b32 exec_lo, exec_lo, s1
	s_and_saveexec_b32 s1, s14
	s_delay_alu instid0(SALU_CYCLE_1)
	s_xor_b32 s1, exec_lo, s1
	s_cbranch_execnz .LBB143_615
.LBB143_613:
	s_or_b32 exec_lo, exec_lo, s1
	s_and_saveexec_b32 s1, s0
	s_cbranch_execnz .LBB143_616
	s_branch .LBB143_653
.LBB143_614:
	s_or_b32 exec_lo, exec_lo, s1
	s_and_saveexec_b32 s1, s14
	s_delay_alu instid0(SALU_CYCLE_1)
	s_xor_b32 s1, exec_lo, s1
	s_cbranch_execz .LBB143_613
.LBB143_615:
	v_or_b32_e32 v5, v0, v1
	s_delay_alu instid0(VALU_DEP_1) | instskip(NEXT) | instid1(VALU_DEP_1)
	v_and_b32_e32 v5, 0x7fffffff, v5
	v_cmp_ne_u32_e32 vcc_lo, 0, v5
	v_cndmask_b32_e64 v5, 0, 1, vcc_lo
	global_store_b8 v[2:3], v5, off
	s_or_b32 exec_lo, exec_lo, s1
	s_and_saveexec_b32 s1, s0
	s_cbranch_execz .LBB143_653
.LBB143_616:
	v_cmp_gt_i16_e32 vcc_lo, 5, v4
	s_mov_b32 s0, -1
	s_cbranch_vccnz .LBB143_637
; %bb.617:
	v_cmp_gt_i16_e32 vcc_lo, 8, v4
	s_cbranch_vccnz .LBB143_627
; %bb.618:
	v_cmp_gt_i16_e32 vcc_lo, 9, v4
	s_cbranch_vccnz .LBB143_624
; %bb.619:
	v_cmp_lt_i16_e32 vcc_lo, 9, v4
	s_cbranch_vccz .LBB143_621
; %bb.620:
	v_cvt_f64_f32_e32 v[5:6], v0
	v_cvt_f64_f32_e32 v[7:8], v1
	s_mov_b32 s0, 0
	global_store_b128 v[2:3], v[5:8], off
.LBB143_621:
	s_and_not1_b32 vcc_lo, exec_lo, s0
	s_cbranch_vccnz .LBB143_623
; %bb.622:
	global_store_b64 v[2:3], v[0:1], off
.LBB143_623:
	s_mov_b32 s0, 0
.LBB143_624:
	s_delay_alu instid0(SALU_CYCLE_1)
	s_and_not1_b32 vcc_lo, exec_lo, s0
	s_cbranch_vccnz .LBB143_626
; %bb.625:
	v_cvt_f16_f32_e32 v1, v1
	v_cvt_f16_f32_e32 v5, v0
	s_delay_alu instid0(VALU_DEP_2) | instskip(NEXT) | instid1(VALU_DEP_2)
	v_lshlrev_b32_e32 v1, 16, v1
	v_and_b32_e32 v5, 0xffff, v5
	s_delay_alu instid0(VALU_DEP_1)
	v_or_b32_e32 v1, v1, v5
	global_store_b32 v[2:3], v1, off
.LBB143_626:
	s_mov_b32 s0, 0
.LBB143_627:
	s_delay_alu instid0(SALU_CYCLE_1)
	s_and_not1_b32 vcc_lo, exec_lo, s0
	s_cbranch_vccnz .LBB143_636
; %bb.628:
	v_cmp_gt_i16_e32 vcc_lo, 6, v4
	s_mov_b32 s0, -1
	s_cbranch_vccnz .LBB143_634
; %bb.629:
	v_cmp_lt_i16_e32 vcc_lo, 6, v4
	s_cbranch_vccz .LBB143_631
; %bb.630:
	v_cvt_f64_f32_e32 v[5:6], v0
	s_mov_b32 s0, 0
	global_store_b64 v[2:3], v[5:6], off
.LBB143_631:
	s_and_not1_b32 vcc_lo, exec_lo, s0
	s_cbranch_vccnz .LBB143_633
; %bb.632:
	global_store_b32 v[2:3], v0, off
.LBB143_633:
	s_mov_b32 s0, 0
.LBB143_634:
	s_delay_alu instid0(SALU_CYCLE_1)
	s_and_not1_b32 vcc_lo, exec_lo, s0
	s_cbranch_vccnz .LBB143_636
; %bb.635:
	v_cvt_f16_f32_e32 v1, v0
	global_store_b16 v[2:3], v1, off
.LBB143_636:
	s_mov_b32 s0, 0
.LBB143_637:
	s_delay_alu instid0(SALU_CYCLE_1)
	s_and_not1_b32 vcc_lo, exec_lo, s0
	s_cbranch_vccnz .LBB143_653
; %bb.638:
	v_cmp_gt_i16_e32 vcc_lo, 2, v4
	s_mov_b32 s0, -1
	s_cbranch_vccnz .LBB143_648
; %bb.639:
	v_cmp_gt_i16_e32 vcc_lo, 3, v4
	s_cbranch_vccnz .LBB143_645
; %bb.640:
	v_cmp_lt_i16_e32 vcc_lo, 3, v4
	s_cbranch_vccz .LBB143_642
; %bb.641:
	v_trunc_f32_e32 v1, v0
	s_mov_b32 s0, 0
	s_delay_alu instid0(VALU_DEP_1) | instskip(NEXT) | instid1(VALU_DEP_1)
	v_mul_f32_e64 v5, 0x2f800000, |v1|
	v_floor_f32_e32 v5, v5
	s_delay_alu instid0(VALU_DEP_1) | instskip(SKIP_2) | instid1(VALU_DEP_3)
	v_fma_f32 v6, 0xcf800000, v5, |v1|
	v_ashrrev_i32_e32 v1, 31, v1
	v_cvt_u32_f32_e32 v5, v5
	v_cvt_u32_f32_e32 v6, v6
	s_delay_alu instid0(VALU_DEP_2) | instskip(NEXT) | instid1(VALU_DEP_2)
	v_xor_b32_e32 v7, v5, v1
	v_xor_b32_e32 v6, v6, v1
	s_delay_alu instid0(VALU_DEP_1) | instskip(NEXT) | instid1(VALU_DEP_3)
	v_sub_co_u32 v5, vcc_lo, v6, v1
	v_sub_co_ci_u32_e32 v6, vcc_lo, v7, v1, vcc_lo
	global_store_b64 v[2:3], v[5:6], off
.LBB143_642:
	s_and_not1_b32 vcc_lo, exec_lo, s0
	s_cbranch_vccnz .LBB143_644
; %bb.643:
	v_cvt_i32_f32_e32 v1, v0
	global_store_b32 v[2:3], v1, off
.LBB143_644:
	s_mov_b32 s0, 0
.LBB143_645:
	s_delay_alu instid0(SALU_CYCLE_1)
	s_and_not1_b32 vcc_lo, exec_lo, s0
	s_cbranch_vccnz .LBB143_647
; %bb.646:
	v_cvt_i32_f32_e32 v1, v0
	global_store_b16 v[2:3], v1, off
.LBB143_647:
	s_mov_b32 s0, 0
.LBB143_648:
	s_delay_alu instid0(SALU_CYCLE_1)
	s_and_not1_b32 vcc_lo, exec_lo, s0
	s_cbranch_vccnz .LBB143_653
; %bb.649:
	v_cmp_lt_i16_e32 vcc_lo, 0, v4
	s_mov_b32 s0, -1
	s_cbranch_vccz .LBB143_651
; %bb.650:
	v_cvt_i32_f32_e32 v1, v0
	s_mov_b32 s0, 0
	global_store_b8 v[2:3], v1, off
.LBB143_651:
	s_and_not1_b32 vcc_lo, exec_lo, s0
	s_cbranch_vccnz .LBB143_653
; %bb.652:
	v_trunc_f32_e32 v0, v0
	s_delay_alu instid0(VALU_DEP_1) | instskip(NEXT) | instid1(VALU_DEP_1)
	v_mul_f32_e64 v1, 0x2f800000, |v0|
	v_floor_f32_e32 v1, v1
	s_delay_alu instid0(VALU_DEP_1) | instskip(SKIP_1) | instid1(VALU_DEP_2)
	v_fma_f32 v1, 0xcf800000, v1, |v0|
	v_ashrrev_i32_e32 v0, 31, v0
	v_cvt_u32_f32_e32 v1, v1
	s_delay_alu instid0(VALU_DEP_1) | instskip(NEXT) | instid1(VALU_DEP_1)
	v_xor_b32_e32 v1, v1, v0
	v_sub_nc_u32_e32 v0, v1, v0
	global_store_b8 v[2:3], v0, off
	s_endpgm
.LBB143_653:
	s_endpgm
.LBB143_654:
	s_mov_b32 s2, -1
	s_mov_b32 s1, 0
	s_mov_b32 s0, s20
	s_branch .LBB143_702
.LBB143_655:
	s_mov_b32 s2, 0
	s_mov_b32 s0, -1
	s_branch .LBB143_610
.LBB143_656:
	s_mov_b32 s2, -1
	s_mov_b32 s1, 0
	s_mov_b32 s0, s20
	s_branch .LBB143_685
.LBB143_657:
	s_or_saveexec_b32 s4, s4
                                        ; implicit-def: $sgpr5
	s_delay_alu instid0(SALU_CYCLE_1)
	s_xor_b32 exec_lo, exec_lo, s4
	s_cbranch_execz .LBB143_204
.LBB143_658:
	v_add_f32_e64 v6, 0x46000000, |v32|
	s_and_not1_b32 s3, s3, exec_lo
	s_mov_b32 s5, 0
	s_delay_alu instid0(VALU_DEP_1) | instskip(NEXT) | instid1(VALU_DEP_1)
	v_and_b32_e32 v6, 0xff, v6
	v_cmp_ne_u32_e32 vcc_lo, 0, v6
	s_and_b32 s6, vcc_lo, exec_lo
	s_delay_alu instid0(SALU_CYCLE_1)
	s_or_b32 s3, s3, s6
	s_or_b32 exec_lo, exec_lo, s4
	v_mov_b32_e32 v7, s5
	s_and_saveexec_b32 s4, s3
	s_cbranch_execnz .LBB143_205
	s_branch .LBB143_206
.LBB143_659:
	s_cbranch_execnz .LBB143_668
; %bb.660:
	s_or_b32 s1, s20, exec_lo
	s_cbranch_execz .LBB143_252
	s_branch .LBB143_253
.LBB143_661:
	s_or_saveexec_b32 s3, s3
                                        ; implicit-def: $sgpr4
	s_delay_alu instid0(SALU_CYCLE_1)
	s_xor_b32 exec_lo, exec_lo, s3
	s_cbranch_execz .LBB143_37
.LBB143_662:
	v_add_f32_e64 v5, 0x46000000, |v0|
	s_and_not1_b32 s2, s2, exec_lo
	s_mov_b32 s4, 0
	s_delay_alu instid0(VALU_DEP_1) | instskip(NEXT) | instid1(VALU_DEP_1)
	v_and_b32_e32 v5, 0xff, v5
	v_cmp_ne_u32_e32 vcc_lo, 0, v5
	s_and_b32 s5, vcc_lo, exec_lo
	s_delay_alu instid0(SALU_CYCLE_1)
	s_or_b32 s2, s2, s5
	s_or_b32 exec_lo, exec_lo, s3
	v_mov_b32_e32 v6, s4
	s_and_saveexec_b32 s3, s2
	s_cbranch_execnz .LBB143_38
	s_branch .LBB143_39
.LBB143_663:
	s_mov_b32 s2, -1
	s_mov_b32 s1, 0
	s_mov_b32 s0, s20
	s_branch .LBB143_681
.LBB143_664:
	s_or_saveexec_b32 s3, s3
                                        ; implicit-def: $sgpr4
	s_delay_alu instid0(SALU_CYCLE_1)
	s_xor_b32 exec_lo, exec_lo, s3
	s_cbranch_execz .LBB143_217
.LBB143_665:
	v_add_f32_e64 v6, 0x42800000, |v32|
	s_and_not1_b32 s2, s2, exec_lo
	s_mov_b32 s4, 0
	s_delay_alu instid0(VALU_DEP_1) | instskip(NEXT) | instid1(VALU_DEP_1)
	v_and_b32_e32 v6, 0xff, v6
	v_cmp_ne_u32_e32 vcc_lo, 0, v6
	s_and_b32 s5, vcc_lo, exec_lo
	s_delay_alu instid0(SALU_CYCLE_1)
	s_or_b32 s2, s2, s5
	s_or_b32 exec_lo, exec_lo, s3
	v_mov_b32_e32 v7, s4
	s_and_saveexec_b32 s3, s2
	s_cbranch_execnz .LBB143_218
	s_branch .LBB143_219
.LBB143_666:
	s_or_saveexec_b32 s6, s6
                                        ; implicit-def: $sgpr7
	s_delay_alu instid0(SALU_CYCLE_1)
	s_xor_b32 exec_lo, exec_lo, s6
	s_cbranch_execz .LBB143_322
.LBB143_667:
	v_add_f32_e64 v6, 0x46000000, |v30|
	s_and_not1_b32 s5, s5, exec_lo
	s_mov_b32 s7, 0
	s_delay_alu instid0(VALU_DEP_1) | instskip(NEXT) | instid1(VALU_DEP_1)
	v_and_b32_e32 v6, 0xff, v6
	v_cmp_ne_u32_e32 vcc_lo, 0, v6
	s_and_b32 s8, vcc_lo, exec_lo
	s_delay_alu instid0(SALU_CYCLE_1)
	s_or_b32 s5, s5, s8
	s_or_b32 exec_lo, exec_lo, s6
	v_mov_b32_e32 v7, s7
	s_and_saveexec_b32 s6, s5
	s_cbranch_execnz .LBB143_323
	s_branch .LBB143_324
.LBB143_668:
	s_trap 2
	s_sendmsg_rtn_b32 s0, sendmsg(MSG_RTN_GET_DOORBELL)
	s_mov_b32 ttmp2, m0
	s_waitcnt lgkmcnt(0)
	s_and_b32 s0, s0, 0x3ff
	s_delay_alu instid0(SALU_CYCLE_1) | instskip(NEXT) | instid1(SALU_CYCLE_1)
	s_bitset1_b32 s0, 10
	s_mov_b32 m0, s0
	s_sendmsg sendmsg(MSG_INTERRUPT)
	s_mov_b32 m0, ttmp2
.LBB143_669:                            ; =>This Inner Loop Header: Depth=1
	s_sethalt 5
	s_branch .LBB143_669
.LBB143_670:
	s_cbranch_execnz .LBB143_803
; %bb.671:
	s_or_b32 s1, s1, exec_lo
	s_cbranch_execz .LBB143_370
	s_branch .LBB143_371
.LBB143_672:
	s_or_saveexec_b32 s3, s3
                                        ; implicit-def: $sgpr4
	s_delay_alu instid0(SALU_CYCLE_1)
	s_xor_b32 exec_lo, exec_lo, s3
	s_cbranch_execz .LBB143_49
.LBB143_673:
	v_add_f32_e64 v5, 0x42800000, |v0|
	s_and_not1_b32 s2, s2, exec_lo
	s_mov_b32 s4, 0
	s_delay_alu instid0(VALU_DEP_1) | instskip(NEXT) | instid1(VALU_DEP_1)
	v_and_b32_e32 v5, 0xff, v5
	v_cmp_ne_u32_e32 vcc_lo, 0, v5
	s_and_b32 s5, vcc_lo, exec_lo
	s_delay_alu instid0(SALU_CYCLE_1)
	s_or_b32 s2, s2, s5
	s_or_b32 exec_lo, exec_lo, s3
	v_mov_b32_e32 v6, s4
	s_and_saveexec_b32 s3, s2
	s_cbranch_execnz .LBB143_50
	s_branch .LBB143_51
.LBB143_674:
	s_mov_b32 s2, -1
	s_mov_b32 s1, 0
	s_mov_b32 s0, s20
.LBB143_675:
	s_and_b32 vcc_lo, exec_lo, s2
	s_cbranch_vccz .LBB143_680
; %bb.676:
	v_cmp_eq_u16_e32 vcc_lo, 44, v4
	s_mov_b32 s0, -1
	s_cbranch_vccz .LBB143_680
; %bb.677:
	v_bfe_u32 v6, v0, 23, 8
	v_mov_b32_e32 v5, 0xff
	s_mov_b32 s1, exec_lo
	s_delay_alu instid0(VALU_DEP_2)
	v_cmpx_ne_u32_e32 0xff, v6
; %bb.678:
	v_and_b32_e32 v5, 0x400000, v0
	v_and_or_b32 v6, 0x3fffff, v0, v6
	s_delay_alu instid0(VALU_DEP_2) | instskip(NEXT) | instid1(VALU_DEP_2)
	v_cmp_ne_u32_e32 vcc_lo, 0, v5
	v_cmp_ne_u32_e64 s0, 0, v6
	v_lshrrev_b32_e32 v5, 23, v0
	s_delay_alu instid0(VALU_DEP_2) | instskip(NEXT) | instid1(SALU_CYCLE_1)
	s_and_b32 s0, vcc_lo, s0
	v_cndmask_b32_e64 v6, 0, 1, s0
	s_delay_alu instid0(VALU_DEP_1)
	v_add_nc_u32_e32 v5, v5, v6
; %bb.679:
	s_or_b32 exec_lo, exec_lo, s1
	s_mov_b32 s1, -1
	s_mov_b32 s0, 0
	global_store_b8 v[2:3], v5, off
.LBB143_680:
	s_mov_b32 s2, 0
.LBB143_681:
	s_delay_alu instid0(SALU_CYCLE_1)
	s_and_b32 vcc_lo, exec_lo, s2
	s_cbranch_vccz .LBB143_684
; %bb.682:
	v_cmp_eq_u16_e32 vcc_lo, 29, v4
	s_mov_b32 s0, -1
	s_cbranch_vccz .LBB143_684
; %bb.683:
	v_trunc_f32_e32 v5, v0
	s_mov_b32 s1, -1
	s_mov_b32 s0, 0
	s_mov_b32 s2, 0
	s_delay_alu instid0(VALU_DEP_1) | instskip(NEXT) | instid1(VALU_DEP_1)
	v_mul_f32_e32 v6, 0x2f800000, v5
	v_floor_f32_e32 v6, v6
	s_delay_alu instid0(VALU_DEP_1) | instskip(SKIP_1) | instid1(VALU_DEP_2)
	v_fmamk_f32 v5, v6, 0xcf800000, v5
	v_cvt_u32_f32_e32 v6, v6
	v_cvt_u32_f32_e32 v5, v5
	global_store_b64 v[2:3], v[5:6], off
	s_branch .LBB143_685
.LBB143_684:
	s_mov_b32 s2, 0
.LBB143_685:
	s_delay_alu instid0(SALU_CYCLE_1)
	s_and_b32 vcc_lo, exec_lo, s2
	s_cbranch_vccz .LBB143_701
; %bb.686:
	v_cmp_gt_i16_e32 vcc_lo, 27, v4
	s_mov_b32 s1, -1
	s_cbranch_vccnz .LBB143_692
; %bb.687:
	v_cmp_lt_i16_e32 vcc_lo, 27, v4
	s_cbranch_vccz .LBB143_689
; %bb.688:
	v_cvt_u32_f32_e32 v5, v0
	s_mov_b32 s1, 0
	global_store_b32 v[2:3], v5, off
.LBB143_689:
	s_and_not1_b32 vcc_lo, exec_lo, s1
	s_cbranch_vccnz .LBB143_691
; %bb.690:
	v_cvt_u32_f32_e32 v5, v0
	global_store_b16 v[2:3], v5, off
.LBB143_691:
	s_mov_b32 s1, 0
.LBB143_692:
	s_delay_alu instid0(SALU_CYCLE_1)
	s_and_not1_b32 vcc_lo, exec_lo, s1
	s_cbranch_vccnz .LBB143_700
; %bb.693:
	v_and_b32_e32 v5, 0x7fffffff, v0
	v_mov_b32_e32 v6, 0x80
	s_mov_b32 s1, exec_lo
	s_delay_alu instid0(VALU_DEP_2)
	v_cmpx_gt_u32_e32 0x43800000, v5
	s_cbranch_execz .LBB143_699
; %bb.694:
	v_cmp_lt_u32_e32 vcc_lo, 0x3bffffff, v5
	s_mov_b32 s2, 0
                                        ; implicit-def: $vgpr5
	s_and_saveexec_b32 s3, vcc_lo
	s_delay_alu instid0(SALU_CYCLE_1)
	s_xor_b32 s3, exec_lo, s3
	s_cbranch_execz .LBB143_796
; %bb.695:
	v_bfe_u32 v5, v0, 20, 1
	s_mov_b32 s2, exec_lo
	s_delay_alu instid0(VALU_DEP_1) | instskip(NEXT) | instid1(VALU_DEP_1)
	v_add3_u32 v5, v0, v5, 0x487ffff
	v_lshrrev_b32_e32 v5, 20, v5
	s_or_saveexec_b32 s3, s3
                                        ; implicit-def: $sgpr4
	s_delay_alu instid0(SALU_CYCLE_1)
	s_xor_b32 exec_lo, exec_lo, s3
	s_cbranch_execnz .LBB143_797
.LBB143_696:
	s_or_b32 exec_lo, exec_lo, s3
	v_mov_b32_e32 v6, s4
	s_and_saveexec_b32 s3, s2
.LBB143_697:
	v_lshrrev_b32_e32 v6, 24, v0
	s_delay_alu instid0(VALU_DEP_1)
	v_and_or_b32 v6, 0x80, v6, v5
.LBB143_698:
	s_or_b32 exec_lo, exec_lo, s3
.LBB143_699:
	s_delay_alu instid0(SALU_CYCLE_1)
	s_or_b32 exec_lo, exec_lo, s1
	global_store_b8 v[2:3], v6, off
.LBB143_700:
	s_mov_b32 s1, -1
.LBB143_701:
	s_mov_b32 s2, 0
.LBB143_702:
	s_delay_alu instid0(SALU_CYCLE_1)
	s_and_b32 vcc_lo, exec_lo, s2
	s_cbranch_vccz .LBB143_743
; %bb.703:
	v_cmp_lt_i16_e32 vcc_lo, 22, v4
	s_mov_b32 s2, -1
	s_cbranch_vccz .LBB143_735
; %bb.704:
	v_cmp_gt_i16_e32 vcc_lo, 24, v4
	s_mov_b32 s1, -1
	s_cbranch_vccnz .LBB143_724
; %bb.705:
	v_cmp_lt_i16_e32 vcc_lo, 24, v4
	s_cbranch_vccz .LBB143_713
; %bb.706:
	v_and_b32_e32 v5, 0x7fffffff, v0
	v_mov_b32_e32 v6, 0x80
	s_mov_b32 s1, exec_lo
	s_delay_alu instid0(VALU_DEP_2)
	v_cmpx_gt_u32_e32 0x47800000, v5
	s_cbranch_execz .LBB143_712
; %bb.707:
	v_cmp_lt_u32_e32 vcc_lo, 0x37ffffff, v5
	s_mov_b32 s2, 0
                                        ; implicit-def: $vgpr5
	s_and_saveexec_b32 s3, vcc_lo
	s_delay_alu instid0(SALU_CYCLE_1)
	s_xor_b32 s3, exec_lo, s3
	s_cbranch_execz .LBB143_807
; %bb.708:
	v_bfe_u32 v5, v0, 21, 1
	s_mov_b32 s2, exec_lo
	s_delay_alu instid0(VALU_DEP_1) | instskip(NEXT) | instid1(VALU_DEP_1)
	v_add3_u32 v5, v0, v5, 0x88fffff
	v_lshrrev_b32_e32 v5, 21, v5
	s_or_saveexec_b32 s3, s3
                                        ; implicit-def: $sgpr4
	s_delay_alu instid0(SALU_CYCLE_1)
	s_xor_b32 exec_lo, exec_lo, s3
	s_cbranch_execnz .LBB143_808
.LBB143_709:
	s_or_b32 exec_lo, exec_lo, s3
	v_mov_b32_e32 v6, s4
	s_and_saveexec_b32 s3, s2
.LBB143_710:
	v_lshrrev_b32_e32 v6, 24, v0
	s_delay_alu instid0(VALU_DEP_1)
	v_and_or_b32 v6, 0x80, v6, v5
.LBB143_711:
	s_or_b32 exec_lo, exec_lo, s3
.LBB143_712:
	s_delay_alu instid0(SALU_CYCLE_1)
	s_or_b32 exec_lo, exec_lo, s1
	s_mov_b32 s1, 0
	global_store_b8 v[2:3], v6, off
.LBB143_713:
	s_and_b32 vcc_lo, exec_lo, s1
	s_cbranch_vccz .LBB143_723
; %bb.714:
	v_and_b32_e32 v6, 0x7fffffff, v0
	s_mov_b32 s1, exec_lo
                                        ; implicit-def: $vgpr5
	s_delay_alu instid0(VALU_DEP_1)
	v_cmpx_gt_u32_e32 0x43f00000, v6
	s_xor_b32 s1, exec_lo, s1
	s_cbranch_execz .LBB143_720
; %bb.715:
	s_mov_b32 s2, exec_lo
                                        ; implicit-def: $vgpr5
	v_cmpx_lt_u32_e32 0x3c7fffff, v6
	s_xor_b32 s2, exec_lo, s2
; %bb.716:
	v_bfe_u32 v5, v0, 20, 1
	s_delay_alu instid0(VALU_DEP_1) | instskip(NEXT) | instid1(VALU_DEP_1)
	v_add3_u32 v5, v0, v5, 0x407ffff
	v_and_b32_e32 v6, 0xff00000, v5
	v_lshrrev_b32_e32 v5, 20, v5
	s_delay_alu instid0(VALU_DEP_2) | instskip(NEXT) | instid1(VALU_DEP_2)
	v_cmp_ne_u32_e32 vcc_lo, 0x7f00000, v6
	v_cndmask_b32_e32 v5, 0x7e, v5, vcc_lo
; %bb.717:
	s_and_not1_saveexec_b32 s2, s2
; %bb.718:
	v_add_f32_e64 v5, 0x46800000, |v0|
; %bb.719:
	s_or_b32 exec_lo, exec_lo, s2
                                        ; implicit-def: $vgpr6
.LBB143_720:
	s_and_not1_saveexec_b32 s1, s1
; %bb.721:
	v_mov_b32_e32 v5, 0x7f
	v_cmp_lt_u32_e32 vcc_lo, 0x7f800000, v6
	s_delay_alu instid0(VALU_DEP_2)
	v_cndmask_b32_e32 v5, 0x7e, v5, vcc_lo
; %bb.722:
	s_or_b32 exec_lo, exec_lo, s1
	v_lshrrev_b32_e32 v6, 24, v0
	s_delay_alu instid0(VALU_DEP_1)
	v_and_or_b32 v5, 0x80, v6, v5
	global_store_b8 v[2:3], v5, off
.LBB143_723:
	s_mov_b32 s1, 0
.LBB143_724:
	s_delay_alu instid0(SALU_CYCLE_1)
	s_and_not1_b32 vcc_lo, exec_lo, s1
	s_cbranch_vccnz .LBB143_734
; %bb.725:
	v_and_b32_e32 v6, 0x7fffffff, v0
	s_mov_b32 s1, exec_lo
                                        ; implicit-def: $vgpr5
	s_delay_alu instid0(VALU_DEP_1)
	v_cmpx_gt_u32_e32 0x47800000, v6
	s_xor_b32 s1, exec_lo, s1
	s_cbranch_execz .LBB143_731
; %bb.726:
	s_mov_b32 s2, exec_lo
                                        ; implicit-def: $vgpr5
	v_cmpx_lt_u32_e32 0x387fffff, v6
	s_xor_b32 s2, exec_lo, s2
; %bb.727:
	v_bfe_u32 v5, v0, 21, 1
	s_delay_alu instid0(VALU_DEP_1) | instskip(NEXT) | instid1(VALU_DEP_1)
	v_add3_u32 v5, v0, v5, 0x80fffff
	v_lshrrev_b32_e32 v5, 21, v5
; %bb.728:
	s_and_not1_saveexec_b32 s2, s2
; %bb.729:
	v_add_f32_e64 v5, 0x43000000, |v0|
; %bb.730:
	s_or_b32 exec_lo, exec_lo, s2
                                        ; implicit-def: $vgpr6
.LBB143_731:
	s_and_not1_saveexec_b32 s1, s1
; %bb.732:
	v_mov_b32_e32 v5, 0x7f
	v_cmp_lt_u32_e32 vcc_lo, 0x7f800000, v6
	s_delay_alu instid0(VALU_DEP_2)
	v_cndmask_b32_e32 v5, 0x7c, v5, vcc_lo
; %bb.733:
	s_or_b32 exec_lo, exec_lo, s1
	v_lshrrev_b32_e32 v6, 24, v0
	s_delay_alu instid0(VALU_DEP_1)
	v_and_or_b32 v5, 0x80, v6, v5
	global_store_b8 v[2:3], v5, off
.LBB143_734:
	s_mov_b32 s2, 0
	s_mov_b32 s1, -1
.LBB143_735:
	s_and_not1_b32 vcc_lo, exec_lo, s2
	s_cbranch_vccnz .LBB143_743
; %bb.736:
	v_cmp_lt_i16_e32 vcc_lo, 14, v4
	s_mov_b32 s2, -1
	s_cbranch_vccz .LBB143_740
; %bb.737:
	v_cmp_eq_u16_e32 vcc_lo, 15, v4
	s_mov_b32 s0, -1
	s_cbranch_vccz .LBB143_739
; %bb.738:
	v_bfe_u32 v5, v0, 16, 1
	v_cmp_o_f32_e32 vcc_lo, v0, v0
	s_mov_b32 s1, -1
	s_mov_b32 s0, 0
	s_delay_alu instid0(VALU_DEP_2) | instskip(NEXT) | instid1(VALU_DEP_1)
	v_add3_u32 v5, v0, v5, 0x7fff
	v_lshrrev_b32_e32 v5, 16, v5
	s_delay_alu instid0(VALU_DEP_1)
	v_cndmask_b32_e32 v5, 0x7fc0, v5, vcc_lo
	global_store_b16 v[2:3], v5, off
.LBB143_739:
	s_mov_b32 s2, 0
.LBB143_740:
	s_delay_alu instid0(SALU_CYCLE_1)
	s_and_b32 vcc_lo, exec_lo, s2
	s_cbranch_vccz .LBB143_743
; %bb.741:
	v_cmp_eq_u16_e32 vcc_lo, 11, v4
	s_mov_b32 s0, -1
	s_cbranch_vccz .LBB143_743
; %bb.742:
	v_or_b32_e32 v5, v0, v1
	s_mov_b32 s0, 0
	s_mov_b32 s1, -1
	s_delay_alu instid0(VALU_DEP_1) | instskip(NEXT) | instid1(VALU_DEP_1)
	v_and_b32_e32 v5, 0x7fffffff, v5
	v_cmp_ne_u32_e32 vcc_lo, 0, v5
	v_cndmask_b32_e64 v5, 0, 1, vcc_lo
	global_store_b8 v[2:3], v5, off
.LBB143_743:
	s_branch .LBB143_568
.LBB143_744:
	v_cmp_gt_i16_e32 vcc_lo, 5, v4
	s_mov_b32 s1, -1
	s_cbranch_vccnz .LBB143_765
; %bb.745:
	v_cmp_gt_i16_e32 vcc_lo, 8, v4
	s_cbranch_vccnz .LBB143_755
; %bb.746:
	v_cmp_gt_i16_e32 vcc_lo, 9, v4
	s_cbranch_vccnz .LBB143_752
; %bb.747:
	v_cmp_lt_i16_e32 vcc_lo, 9, v4
	s_cbranch_vccz .LBB143_749
; %bb.748:
	v_cvt_f64_f32_e32 v[5:6], v0
	v_cvt_f64_f32_e32 v[7:8], v1
	s_mov_b32 s1, 0
	global_store_b128 v[2:3], v[5:8], off
.LBB143_749:
	s_and_not1_b32 vcc_lo, exec_lo, s1
	s_cbranch_vccnz .LBB143_751
; %bb.750:
	global_store_b64 v[2:3], v[0:1], off
.LBB143_751:
	s_mov_b32 s1, 0
.LBB143_752:
	s_delay_alu instid0(SALU_CYCLE_1)
	s_and_not1_b32 vcc_lo, exec_lo, s1
	s_cbranch_vccnz .LBB143_754
; %bb.753:
	v_cvt_f16_f32_e32 v1, v1
	v_cvt_f16_f32_e32 v5, v0
	s_delay_alu instid0(VALU_DEP_2) | instskip(NEXT) | instid1(VALU_DEP_2)
	v_lshlrev_b32_e32 v1, 16, v1
	v_and_b32_e32 v5, 0xffff, v5
	s_delay_alu instid0(VALU_DEP_1)
	v_or_b32_e32 v1, v1, v5
	global_store_b32 v[2:3], v1, off
.LBB143_754:
	s_mov_b32 s1, 0
.LBB143_755:
	s_delay_alu instid0(SALU_CYCLE_1)
	s_and_not1_b32 vcc_lo, exec_lo, s1
	s_cbranch_vccnz .LBB143_764
; %bb.756:
	v_cmp_gt_i16_e32 vcc_lo, 6, v4
	s_mov_b32 s1, -1
	s_cbranch_vccnz .LBB143_762
; %bb.757:
	v_cmp_lt_i16_e32 vcc_lo, 6, v4
	s_cbranch_vccz .LBB143_759
; %bb.758:
	v_cvt_f64_f32_e32 v[5:6], v0
	s_mov_b32 s1, 0
	global_store_b64 v[2:3], v[5:6], off
.LBB143_759:
	s_and_not1_b32 vcc_lo, exec_lo, s1
	s_cbranch_vccnz .LBB143_761
; %bb.760:
	global_store_b32 v[2:3], v0, off
.LBB143_761:
	s_mov_b32 s1, 0
.LBB143_762:
	s_delay_alu instid0(SALU_CYCLE_1)
	s_and_not1_b32 vcc_lo, exec_lo, s1
	s_cbranch_vccnz .LBB143_764
; %bb.763:
	v_cvt_f16_f32_e32 v1, v0
	global_store_b16 v[2:3], v1, off
.LBB143_764:
	s_mov_b32 s1, 0
.LBB143_765:
	s_delay_alu instid0(SALU_CYCLE_1)
	s_and_not1_b32 vcc_lo, exec_lo, s1
	s_cbranch_vccnz .LBB143_781
; %bb.766:
	v_cmp_gt_i16_e32 vcc_lo, 2, v4
	s_mov_b32 s1, -1
	s_cbranch_vccnz .LBB143_776
; %bb.767:
	v_cmp_gt_i16_e32 vcc_lo, 3, v4
	s_cbranch_vccnz .LBB143_773
; %bb.768:
	v_cmp_lt_i16_e32 vcc_lo, 3, v4
	s_cbranch_vccz .LBB143_770
; %bb.769:
	v_trunc_f32_e32 v1, v0
	s_mov_b32 s1, 0
	s_delay_alu instid0(VALU_DEP_1) | instskip(NEXT) | instid1(VALU_DEP_1)
	v_mul_f32_e64 v5, 0x2f800000, |v1|
	v_floor_f32_e32 v5, v5
	s_delay_alu instid0(VALU_DEP_1) | instskip(SKIP_2) | instid1(VALU_DEP_3)
	v_fma_f32 v6, 0xcf800000, v5, |v1|
	v_ashrrev_i32_e32 v1, 31, v1
	v_cvt_u32_f32_e32 v5, v5
	v_cvt_u32_f32_e32 v6, v6
	s_delay_alu instid0(VALU_DEP_2) | instskip(NEXT) | instid1(VALU_DEP_2)
	v_xor_b32_e32 v7, v5, v1
	v_xor_b32_e32 v6, v6, v1
	s_delay_alu instid0(VALU_DEP_1) | instskip(NEXT) | instid1(VALU_DEP_3)
	v_sub_co_u32 v5, vcc_lo, v6, v1
	v_sub_co_ci_u32_e32 v6, vcc_lo, v7, v1, vcc_lo
	global_store_b64 v[2:3], v[5:6], off
.LBB143_770:
	s_and_not1_b32 vcc_lo, exec_lo, s1
	s_cbranch_vccnz .LBB143_772
; %bb.771:
	v_cvt_i32_f32_e32 v1, v0
	global_store_b32 v[2:3], v1, off
.LBB143_772:
	s_mov_b32 s1, 0
.LBB143_773:
	s_delay_alu instid0(SALU_CYCLE_1)
	s_and_not1_b32 vcc_lo, exec_lo, s1
	s_cbranch_vccnz .LBB143_775
; %bb.774:
	v_cvt_i32_f32_e32 v1, v0
	global_store_b16 v[2:3], v1, off
.LBB143_775:
	s_mov_b32 s1, 0
.LBB143_776:
	s_delay_alu instid0(SALU_CYCLE_1)
	s_and_not1_b32 vcc_lo, exec_lo, s1
	s_cbranch_vccnz .LBB143_781
; %bb.777:
	v_cmp_lt_i16_e32 vcc_lo, 0, v4
	s_mov_b32 s1, -1
	s_cbranch_vccz .LBB143_779
; %bb.778:
	v_cvt_i32_f32_e32 v1, v0
	s_mov_b32 s1, 0
	global_store_b8 v[2:3], v1, off
.LBB143_779:
	s_and_not1_b32 vcc_lo, exec_lo, s1
	s_cbranch_vccnz .LBB143_781
; %bb.780:
	v_trunc_f32_e32 v0, v0
	s_delay_alu instid0(VALU_DEP_1) | instskip(NEXT) | instid1(VALU_DEP_1)
	v_mul_f32_e64 v1, 0x2f800000, |v0|
	v_floor_f32_e32 v1, v1
	s_delay_alu instid0(VALU_DEP_1) | instskip(SKIP_1) | instid1(VALU_DEP_2)
	v_fma_f32 v1, 0xcf800000, v1, |v0|
	v_ashrrev_i32_e32 v0, 31, v0
	v_cvt_u32_f32_e32 v1, v1
	s_delay_alu instid0(VALU_DEP_1) | instskip(NEXT) | instid1(VALU_DEP_1)
	v_xor_b32_e32 v1, v1, v0
	v_sub_nc_u32_e32 v0, v1, v0
	global_store_b8 v[2:3], v0, off
.LBB143_781:
	s_branch .LBB143_569
.LBB143_782:
	s_mov_b32 s1, 0
                                        ; implicit-def: $vgpr34
.LBB143_783:
	s_and_not1_b32 s2, s20, exec_lo
	s_and_b32 s0, s0, exec_lo
	s_delay_alu instid0(SALU_CYCLE_1)
	s_or_b32 s23, s2, s0
	s_or_not1_b32 s2, s1, exec_lo
.LBB143_784:
	s_or_b32 exec_lo, exec_lo, s24
	s_mov_b32 s0, 0
	s_mov_b32 s1, 0
                                        ; implicit-def: $vgpr4
                                        ; implicit-def: $vgpr2_vgpr3
                                        ; implicit-def: $vgpr0
	s_and_saveexec_b32 s24, s2
	s_cbranch_execz .LBB143_1019
; %bb.785:
	s_mov_b32 s2, -1
	s_mov_b32 s26, s23
	s_mov_b32 s25, exec_lo
	v_cmpx_gt_i32_e64 s21, v34
	s_cbranch_execz .LBB143_922
; %bb.786:
	v_dual_mov_b32 v0, s18 :: v_dual_mov_b32 v1, s19
	v_dual_mov_b32 v2, s13 :: v_dual_mov_b32 v3, v35
	v_mov_b32_e32 v4, v34
	s_getpc_b64 s[0:1]
	s_add_u32 s0, s0, _ZN2at6native6invokeIZZZNS0_17expm1_kernel_cudaERNS_18TensorIteratorBaseEENKUlvE_clEvENKUlvE2_clEvEUlN3c107complexIfEEE_i15function_traitsIS9_EEENT1_11result_typeERKT_PrKPcPKT0_PKNS6_10ScalarTypeEi@rel32@lo+4
	s_addc_u32 s1, s1, _ZN2at6native6invokeIZZZNS0_17expm1_kernel_cudaERNS_18TensorIteratorBaseEENKUlvE_clEvENKUlvE2_clEvEUlN3c107complexIfEEE_i15function_traitsIS9_EEENT1_11result_typeERKT_PrKPcPKT0_PKNS6_10ScalarTypeEi@rel32@hi+12
	s_delay_alu instid0(SALU_CYCLE_1) | instskip(SKIP_2) | instid1(VALU_DEP_1)
	s_swappc_b64 s[30:31], s[0:1]
	v_mul_lo_u32 v2, v34, s12
	v_and_b32_e32 v4, 0xff, v37
	v_cmp_gt_i16_e32 vcc_lo, 11, v4
	s_delay_alu instid0(VALU_DEP_3) | instskip(SKIP_1) | instid1(VALU_DEP_1)
	v_ashrrev_i32_e32 v3, 31, v2
	v_add_co_u32 v2, s0, s16, v2
	v_add_co_ci_u32_e64 v3, s0, s17, v3, s0
	s_cbranch_vccnz .LBB143_793
; %bb.787:
	v_cmp_lt_i16_e32 vcc_lo, 25, v4
	s_cbranch_vccz .LBB143_794
; %bb.788:
	v_cmp_lt_i16_e32 vcc_lo, 28, v4
	s_cbranch_vccz .LBB143_795
	;; [unrolled: 3-line block ×4, first 2 shown]
; %bb.791:
	v_cmp_eq_u16_e32 vcc_lo, 46, v4
	s_mov_b32 s2, 0
	s_mov_b32 s0, -1
	s_mov_b32 s1, 0
	s_cbranch_vccz .LBB143_810
; %bb.792:
	v_bfe_u32 v5, v1, 16, 1
	v_bfe_u32 v6, v0, 16, 1
	v_cmp_o_f32_e32 vcc_lo, v1, v1
	s_mov_b32 s1, -1
	s_mov_b32 s0, 0
	v_add3_u32 v5, v1, v5, 0x7fff
	v_add3_u32 v6, v0, v6, 0x7fff
	s_delay_alu instid0(VALU_DEP_2) | instskip(NEXT) | instid1(VALU_DEP_2)
	v_and_b32_e32 v5, 0xffff0000, v5
	v_lshrrev_b32_e32 v6, 16, v6
	s_delay_alu instid0(VALU_DEP_2) | instskip(SKIP_1) | instid1(VALU_DEP_3)
	v_cndmask_b32_e32 v5, 0x7fc00000, v5, vcc_lo
	v_cmp_o_f32_e32 vcc_lo, v0, v0
	v_cndmask_b32_e32 v6, 0x7fc0, v6, vcc_lo
	s_delay_alu instid0(VALU_DEP_1)
	v_or_b32_e32 v5, v5, v6
	global_store_b32 v[2:3], v5, off
	s_branch .LBB143_810
.LBB143_793:
	s_mov_b32 s2, -1
	s_mov_b32 s1, 0
	s_mov_b32 s0, s23
	s_branch .LBB143_879
.LBB143_794:
	s_mov_b32 s2, -1
	s_mov_b32 s1, 0
	s_mov_b32 s0, s23
	s_branch .LBB143_837
.LBB143_795:
	s_mov_b32 s2, -1
	s_mov_b32 s1, 0
	s_mov_b32 s0, s23
	s_branch .LBB143_820
.LBB143_796:
	s_or_saveexec_b32 s3, s3
                                        ; implicit-def: $sgpr4
	s_delay_alu instid0(SALU_CYCLE_1)
	s_xor_b32 exec_lo, exec_lo, s3
	s_cbranch_execz .LBB143_696
.LBB143_797:
	v_add_f32_e64 v5, 0x46000000, |v0|
	s_and_not1_b32 s2, s2, exec_lo
	s_mov_b32 s4, 0
	s_delay_alu instid0(VALU_DEP_1) | instskip(NEXT) | instid1(VALU_DEP_1)
	v_and_b32_e32 v5, 0xff, v5
	v_cmp_ne_u32_e32 vcc_lo, 0, v5
	s_and_b32 s5, vcc_lo, exec_lo
	s_delay_alu instid0(SALU_CYCLE_1)
	s_or_b32 s2, s2, s5
	s_or_b32 exec_lo, exec_lo, s3
	v_mov_b32_e32 v6, s4
	s_and_saveexec_b32 s3, s2
	s_cbranch_execnz .LBB143_697
	s_branch .LBB143_698
.LBB143_798:
	s_mov_b32 s2, -1
	s_mov_b32 s1, 0
	s_mov_b32 s0, s23
	s_branch .LBB143_816
.LBB143_799:
	s_or_saveexec_b32 s5, s5
                                        ; implicit-def: $sgpr6
	s_delay_alu instid0(SALU_CYCLE_1)
	s_xor_b32 exec_lo, exec_lo, s5
	s_cbranch_execz .LBB143_335
.LBB143_800:
	v_add_f32_e64 v6, 0x42800000, |v30|
	s_and_not1_b32 s4, s4, exec_lo
	s_mov_b32 s6, 0
	s_delay_alu instid0(VALU_DEP_1) | instskip(NEXT) | instid1(VALU_DEP_1)
	v_and_b32_e32 v6, 0xff, v6
	v_cmp_ne_u32_e32 vcc_lo, 0, v6
	s_and_b32 s7, vcc_lo, exec_lo
	s_delay_alu instid0(SALU_CYCLE_1)
	s_or_b32 s4, s4, s7
	s_or_b32 exec_lo, exec_lo, s5
	v_mov_b32_e32 v7, s6
	s_and_saveexec_b32 s5, s4
	s_cbranch_execnz .LBB143_336
	s_branch .LBB143_337
.LBB143_801:
	s_or_saveexec_b32 s6, s6
                                        ; implicit-def: $sgpr7
	s_delay_alu instid0(SALU_CYCLE_1)
	s_xor_b32 exec_lo, exec_lo, s6
	s_cbranch_execz .LBB143_440
.LBB143_802:
	v_add_f32_e64 v6, 0x46000000, |v28|
	s_and_not1_b32 s5, s5, exec_lo
	s_mov_b32 s7, 0
	s_delay_alu instid0(VALU_DEP_1) | instskip(NEXT) | instid1(VALU_DEP_1)
	v_and_b32_e32 v6, 0xff, v6
	v_cmp_ne_u32_e32 vcc_lo, 0, v6
	s_and_b32 s8, vcc_lo, exec_lo
	s_delay_alu instid0(SALU_CYCLE_1)
	s_or_b32 s5, s5, s8
	s_or_b32 exec_lo, exec_lo, s6
	v_mov_b32_e32 v7, s7
	s_and_saveexec_b32 s6, s5
	s_cbranch_execnz .LBB143_441
	s_branch .LBB143_442
.LBB143_803:
	s_trap 2
	s_sendmsg_rtn_b32 s0, sendmsg(MSG_RTN_GET_DOORBELL)
	s_mov_b32 ttmp2, m0
	s_waitcnt lgkmcnt(0)
	s_and_b32 s0, s0, 0x3ff
	s_delay_alu instid0(SALU_CYCLE_1) | instskip(NEXT) | instid1(SALU_CYCLE_1)
	s_bitset1_b32 s0, 10
	s_mov_b32 m0, s0
	s_sendmsg sendmsg(MSG_INTERRUPT)
	s_mov_b32 m0, ttmp2
.LBB143_804:                            ; =>This Inner Loop Header: Depth=1
	s_sethalt 5
	s_branch .LBB143_804
.LBB143_805:
	s_cbranch_execnz .LBB143_938
; %bb.806:
	s_or_b32 s1, s1, exec_lo
	s_cbranch_execz .LBB143_488
	s_branch .LBB143_489
.LBB143_807:
	s_or_saveexec_b32 s3, s3
                                        ; implicit-def: $sgpr4
	s_delay_alu instid0(SALU_CYCLE_1)
	s_xor_b32 exec_lo, exec_lo, s3
	s_cbranch_execz .LBB143_709
.LBB143_808:
	v_add_f32_e64 v5, 0x42800000, |v0|
	s_and_not1_b32 s2, s2, exec_lo
	s_mov_b32 s4, 0
	s_delay_alu instid0(VALU_DEP_1) | instskip(NEXT) | instid1(VALU_DEP_1)
	v_and_b32_e32 v5, 0xff, v5
	v_cmp_ne_u32_e32 vcc_lo, 0, v5
	s_and_b32 s5, vcc_lo, exec_lo
	s_delay_alu instid0(SALU_CYCLE_1)
	s_or_b32 s2, s2, s5
	s_or_b32 exec_lo, exec_lo, s3
	v_mov_b32_e32 v6, s4
	s_and_saveexec_b32 s3, s2
	s_cbranch_execnz .LBB143_710
	s_branch .LBB143_711
.LBB143_809:
	s_mov_b32 s2, -1
	s_mov_b32 s1, 0
	s_mov_b32 s0, s23
.LBB143_810:
	s_and_b32 vcc_lo, exec_lo, s2
	s_cbranch_vccz .LBB143_815
; %bb.811:
	v_cmp_eq_u16_e32 vcc_lo, 44, v4
	s_mov_b32 s0, -1
	s_cbranch_vccz .LBB143_815
; %bb.812:
	v_bfe_u32 v6, v0, 23, 8
	v_mov_b32_e32 v5, 0xff
	s_mov_b32 s1, exec_lo
	s_delay_alu instid0(VALU_DEP_2)
	v_cmpx_ne_u32_e32 0xff, v6
; %bb.813:
	v_and_b32_e32 v5, 0x400000, v0
	v_and_or_b32 v6, 0x3fffff, v0, v6
	s_delay_alu instid0(VALU_DEP_2) | instskip(NEXT) | instid1(VALU_DEP_2)
	v_cmp_ne_u32_e32 vcc_lo, 0, v5
	v_cmp_ne_u32_e64 s0, 0, v6
	v_lshrrev_b32_e32 v5, 23, v0
	s_delay_alu instid0(VALU_DEP_2) | instskip(NEXT) | instid1(SALU_CYCLE_1)
	s_and_b32 s0, vcc_lo, s0
	v_cndmask_b32_e64 v6, 0, 1, s0
	s_delay_alu instid0(VALU_DEP_1)
	v_add_nc_u32_e32 v5, v5, v6
; %bb.814:
	s_or_b32 exec_lo, exec_lo, s1
	s_mov_b32 s1, -1
	s_mov_b32 s0, 0
	global_store_b8 v[2:3], v5, off
.LBB143_815:
	s_mov_b32 s2, 0
.LBB143_816:
	s_delay_alu instid0(SALU_CYCLE_1)
	s_and_b32 vcc_lo, exec_lo, s2
	s_cbranch_vccz .LBB143_819
; %bb.817:
	v_cmp_eq_u16_e32 vcc_lo, 29, v4
	s_mov_b32 s0, -1
	s_cbranch_vccz .LBB143_819
; %bb.818:
	v_trunc_f32_e32 v5, v0
	s_mov_b32 s1, -1
	s_mov_b32 s0, 0
	s_mov_b32 s2, 0
	s_delay_alu instid0(VALU_DEP_1) | instskip(NEXT) | instid1(VALU_DEP_1)
	v_mul_f32_e32 v6, 0x2f800000, v5
	v_floor_f32_e32 v6, v6
	s_delay_alu instid0(VALU_DEP_1) | instskip(SKIP_1) | instid1(VALU_DEP_2)
	v_fmamk_f32 v5, v6, 0xcf800000, v5
	v_cvt_u32_f32_e32 v6, v6
	v_cvt_u32_f32_e32 v5, v5
	global_store_b64 v[2:3], v[5:6], off
	s_branch .LBB143_820
.LBB143_819:
	s_mov_b32 s2, 0
.LBB143_820:
	s_delay_alu instid0(SALU_CYCLE_1)
	s_and_b32 vcc_lo, exec_lo, s2
	s_cbranch_vccz .LBB143_836
; %bb.821:
	v_cmp_gt_i16_e32 vcc_lo, 27, v4
	s_mov_b32 s1, -1
	s_cbranch_vccnz .LBB143_827
; %bb.822:
	v_cmp_lt_i16_e32 vcc_lo, 27, v4
	s_cbranch_vccz .LBB143_824
; %bb.823:
	v_cvt_u32_f32_e32 v5, v0
	s_mov_b32 s1, 0
	global_store_b32 v[2:3], v5, off
.LBB143_824:
	s_and_not1_b32 vcc_lo, exec_lo, s1
	s_cbranch_vccnz .LBB143_826
; %bb.825:
	v_cvt_u32_f32_e32 v5, v0
	global_store_b16 v[2:3], v5, off
.LBB143_826:
	s_mov_b32 s1, 0
.LBB143_827:
	s_delay_alu instid0(SALU_CYCLE_1)
	s_and_not1_b32 vcc_lo, exec_lo, s1
	s_cbranch_vccnz .LBB143_835
; %bb.828:
	v_and_b32_e32 v5, 0x7fffffff, v0
	v_mov_b32_e32 v6, 0x80
	s_mov_b32 s1, exec_lo
	s_delay_alu instid0(VALU_DEP_2)
	v_cmpx_gt_u32_e32 0x43800000, v5
	s_cbranch_execz .LBB143_834
; %bb.829:
	v_cmp_lt_u32_e32 vcc_lo, 0x3bffffff, v5
	s_mov_b32 s2, 0
                                        ; implicit-def: $vgpr5
	s_and_saveexec_b32 s3, vcc_lo
	s_delay_alu instid0(SALU_CYCLE_1)
	s_xor_b32 s3, exec_lo, s3
	s_cbranch_execz .LBB143_932
; %bb.830:
	v_bfe_u32 v5, v0, 20, 1
	s_mov_b32 s2, exec_lo
	s_delay_alu instid0(VALU_DEP_1) | instskip(NEXT) | instid1(VALU_DEP_1)
	v_add3_u32 v5, v0, v5, 0x487ffff
	v_lshrrev_b32_e32 v5, 20, v5
	s_or_saveexec_b32 s3, s3
                                        ; implicit-def: $sgpr4
	s_delay_alu instid0(SALU_CYCLE_1)
	s_xor_b32 exec_lo, exec_lo, s3
	s_cbranch_execnz .LBB143_933
.LBB143_831:
	s_or_b32 exec_lo, exec_lo, s3
	v_mov_b32_e32 v6, s4
	s_and_saveexec_b32 s3, s2
.LBB143_832:
	v_lshrrev_b32_e32 v6, 24, v0
	s_delay_alu instid0(VALU_DEP_1)
	v_and_or_b32 v6, 0x80, v6, v5
.LBB143_833:
	s_or_b32 exec_lo, exec_lo, s3
.LBB143_834:
	s_delay_alu instid0(SALU_CYCLE_1)
	s_or_b32 exec_lo, exec_lo, s1
	global_store_b8 v[2:3], v6, off
.LBB143_835:
	s_mov_b32 s1, -1
.LBB143_836:
	s_mov_b32 s2, 0
.LBB143_837:
	s_delay_alu instid0(SALU_CYCLE_1)
	s_and_b32 vcc_lo, exec_lo, s2
	s_cbranch_vccz .LBB143_878
; %bb.838:
	v_cmp_lt_i16_e32 vcc_lo, 22, v4
	s_mov_b32 s2, -1
	s_cbranch_vccz .LBB143_870
; %bb.839:
	v_cmp_gt_i16_e32 vcc_lo, 24, v4
	s_mov_b32 s1, -1
	s_cbranch_vccnz .LBB143_859
; %bb.840:
	v_cmp_lt_i16_e32 vcc_lo, 24, v4
	s_cbranch_vccz .LBB143_848
; %bb.841:
	v_and_b32_e32 v5, 0x7fffffff, v0
	v_mov_b32_e32 v6, 0x80
	s_mov_b32 s1, exec_lo
	s_delay_alu instid0(VALU_DEP_2)
	v_cmpx_gt_u32_e32 0x47800000, v5
	s_cbranch_execz .LBB143_847
; %bb.842:
	v_cmp_lt_u32_e32 vcc_lo, 0x37ffffff, v5
	s_mov_b32 s2, 0
                                        ; implicit-def: $vgpr5
	s_and_saveexec_b32 s3, vcc_lo
	s_delay_alu instid0(SALU_CYCLE_1)
	s_xor_b32 s3, exec_lo, s3
	s_cbranch_execz .LBB143_942
; %bb.843:
	v_bfe_u32 v5, v0, 21, 1
	s_mov_b32 s2, exec_lo
	s_delay_alu instid0(VALU_DEP_1) | instskip(NEXT) | instid1(VALU_DEP_1)
	v_add3_u32 v5, v0, v5, 0x88fffff
	v_lshrrev_b32_e32 v5, 21, v5
	s_or_saveexec_b32 s3, s3
                                        ; implicit-def: $sgpr4
	s_delay_alu instid0(SALU_CYCLE_1)
	s_xor_b32 exec_lo, exec_lo, s3
	s_cbranch_execnz .LBB143_943
.LBB143_844:
	s_or_b32 exec_lo, exec_lo, s3
	v_mov_b32_e32 v6, s4
	s_and_saveexec_b32 s3, s2
.LBB143_845:
	v_lshrrev_b32_e32 v6, 24, v0
	s_delay_alu instid0(VALU_DEP_1)
	v_and_or_b32 v6, 0x80, v6, v5
.LBB143_846:
	s_or_b32 exec_lo, exec_lo, s3
.LBB143_847:
	s_delay_alu instid0(SALU_CYCLE_1)
	s_or_b32 exec_lo, exec_lo, s1
	s_mov_b32 s1, 0
	global_store_b8 v[2:3], v6, off
.LBB143_848:
	s_and_b32 vcc_lo, exec_lo, s1
	s_cbranch_vccz .LBB143_858
; %bb.849:
	v_and_b32_e32 v6, 0x7fffffff, v0
	s_mov_b32 s1, exec_lo
                                        ; implicit-def: $vgpr5
	s_delay_alu instid0(VALU_DEP_1)
	v_cmpx_gt_u32_e32 0x43f00000, v6
	s_xor_b32 s1, exec_lo, s1
	s_cbranch_execz .LBB143_855
; %bb.850:
	s_mov_b32 s2, exec_lo
                                        ; implicit-def: $vgpr5
	v_cmpx_lt_u32_e32 0x3c7fffff, v6
	s_xor_b32 s2, exec_lo, s2
; %bb.851:
	v_bfe_u32 v5, v0, 20, 1
	s_delay_alu instid0(VALU_DEP_1) | instskip(NEXT) | instid1(VALU_DEP_1)
	v_add3_u32 v5, v0, v5, 0x407ffff
	v_and_b32_e32 v6, 0xff00000, v5
	v_lshrrev_b32_e32 v5, 20, v5
	s_delay_alu instid0(VALU_DEP_2) | instskip(NEXT) | instid1(VALU_DEP_2)
	v_cmp_ne_u32_e32 vcc_lo, 0x7f00000, v6
	v_cndmask_b32_e32 v5, 0x7e, v5, vcc_lo
; %bb.852:
	s_and_not1_saveexec_b32 s2, s2
; %bb.853:
	v_add_f32_e64 v5, 0x46800000, |v0|
; %bb.854:
	s_or_b32 exec_lo, exec_lo, s2
                                        ; implicit-def: $vgpr6
.LBB143_855:
	s_and_not1_saveexec_b32 s1, s1
; %bb.856:
	v_mov_b32_e32 v5, 0x7f
	v_cmp_lt_u32_e32 vcc_lo, 0x7f800000, v6
	s_delay_alu instid0(VALU_DEP_2)
	v_cndmask_b32_e32 v5, 0x7e, v5, vcc_lo
; %bb.857:
	s_or_b32 exec_lo, exec_lo, s1
	v_lshrrev_b32_e32 v6, 24, v0
	s_delay_alu instid0(VALU_DEP_1)
	v_and_or_b32 v5, 0x80, v6, v5
	global_store_b8 v[2:3], v5, off
.LBB143_858:
	s_mov_b32 s1, 0
.LBB143_859:
	s_delay_alu instid0(SALU_CYCLE_1)
	s_and_not1_b32 vcc_lo, exec_lo, s1
	s_cbranch_vccnz .LBB143_869
; %bb.860:
	v_and_b32_e32 v6, 0x7fffffff, v0
	s_mov_b32 s1, exec_lo
                                        ; implicit-def: $vgpr5
	s_delay_alu instid0(VALU_DEP_1)
	v_cmpx_gt_u32_e32 0x47800000, v6
	s_xor_b32 s1, exec_lo, s1
	s_cbranch_execz .LBB143_866
; %bb.861:
	s_mov_b32 s2, exec_lo
                                        ; implicit-def: $vgpr5
	v_cmpx_lt_u32_e32 0x387fffff, v6
	s_xor_b32 s2, exec_lo, s2
; %bb.862:
	v_bfe_u32 v5, v0, 21, 1
	s_delay_alu instid0(VALU_DEP_1) | instskip(NEXT) | instid1(VALU_DEP_1)
	v_add3_u32 v5, v0, v5, 0x80fffff
	v_lshrrev_b32_e32 v5, 21, v5
; %bb.863:
	s_and_not1_saveexec_b32 s2, s2
; %bb.864:
	v_add_f32_e64 v5, 0x43000000, |v0|
; %bb.865:
	s_or_b32 exec_lo, exec_lo, s2
                                        ; implicit-def: $vgpr6
.LBB143_866:
	s_and_not1_saveexec_b32 s1, s1
; %bb.867:
	v_mov_b32_e32 v5, 0x7f
	v_cmp_lt_u32_e32 vcc_lo, 0x7f800000, v6
	s_delay_alu instid0(VALU_DEP_2)
	v_cndmask_b32_e32 v5, 0x7c, v5, vcc_lo
; %bb.868:
	s_or_b32 exec_lo, exec_lo, s1
	v_lshrrev_b32_e32 v6, 24, v0
	s_delay_alu instid0(VALU_DEP_1)
	v_and_or_b32 v5, 0x80, v6, v5
	global_store_b8 v[2:3], v5, off
.LBB143_869:
	s_mov_b32 s2, 0
	s_mov_b32 s1, -1
.LBB143_870:
	s_and_not1_b32 vcc_lo, exec_lo, s2
	s_cbranch_vccnz .LBB143_878
; %bb.871:
	v_cmp_lt_i16_e32 vcc_lo, 14, v4
	s_mov_b32 s2, -1
	s_cbranch_vccz .LBB143_875
; %bb.872:
	v_cmp_eq_u16_e32 vcc_lo, 15, v4
	s_mov_b32 s0, -1
	s_cbranch_vccz .LBB143_874
; %bb.873:
	v_bfe_u32 v5, v0, 16, 1
	v_cmp_o_f32_e32 vcc_lo, v0, v0
	s_mov_b32 s1, -1
	s_mov_b32 s0, 0
	s_delay_alu instid0(VALU_DEP_2) | instskip(NEXT) | instid1(VALU_DEP_1)
	v_add3_u32 v5, v0, v5, 0x7fff
	v_lshrrev_b32_e32 v5, 16, v5
	s_delay_alu instid0(VALU_DEP_1)
	v_cndmask_b32_e32 v5, 0x7fc0, v5, vcc_lo
	global_store_b16 v[2:3], v5, off
.LBB143_874:
	s_mov_b32 s2, 0
.LBB143_875:
	s_delay_alu instid0(SALU_CYCLE_1)
	s_and_b32 vcc_lo, exec_lo, s2
	s_cbranch_vccz .LBB143_878
; %bb.876:
	v_cmp_eq_u16_e32 vcc_lo, 11, v4
	s_mov_b32 s0, -1
	s_cbranch_vccz .LBB143_878
; %bb.877:
	v_or_b32_e32 v5, v0, v1
	s_mov_b32 s0, 0
	s_mov_b32 s1, -1
	s_delay_alu instid0(VALU_DEP_1) | instskip(NEXT) | instid1(VALU_DEP_1)
	v_and_b32_e32 v5, 0x7fffffff, v5
	v_cmp_ne_u32_e32 vcc_lo, 0, v5
	v_cndmask_b32_e64 v5, 0, 1, vcc_lo
	global_store_b8 v[2:3], v5, off
.LBB143_878:
	s_mov_b32 s2, 0
.LBB143_879:
	s_delay_alu instid0(SALU_CYCLE_1)
	s_and_b32 vcc_lo, exec_lo, s2
	s_cbranch_vccz .LBB143_918
; %bb.880:
	v_cmp_gt_i16_e32 vcc_lo, 5, v4
	s_mov_b32 s1, -1
	s_cbranch_vccnz .LBB143_901
; %bb.881:
	v_cmp_gt_i16_e32 vcc_lo, 8, v4
	s_cbranch_vccnz .LBB143_891
; %bb.882:
	v_cmp_gt_i16_e32 vcc_lo, 9, v4
	s_cbranch_vccnz .LBB143_888
; %bb.883:
	v_cmp_lt_i16_e32 vcc_lo, 9, v4
	s_cbranch_vccz .LBB143_885
; %bb.884:
	v_cvt_f64_f32_e32 v[5:6], v0
	v_cvt_f64_f32_e32 v[7:8], v1
	s_mov_b32 s1, 0
	global_store_b128 v[2:3], v[5:8], off
.LBB143_885:
	s_and_not1_b32 vcc_lo, exec_lo, s1
	s_cbranch_vccnz .LBB143_887
; %bb.886:
	global_store_b64 v[2:3], v[0:1], off
.LBB143_887:
	s_mov_b32 s1, 0
.LBB143_888:
	s_delay_alu instid0(SALU_CYCLE_1)
	s_and_not1_b32 vcc_lo, exec_lo, s1
	s_cbranch_vccnz .LBB143_890
; %bb.889:
	v_cvt_f16_f32_e32 v1, v1
	v_cvt_f16_f32_e32 v5, v0
	s_delay_alu instid0(VALU_DEP_2) | instskip(NEXT) | instid1(VALU_DEP_2)
	v_lshlrev_b32_e32 v1, 16, v1
	v_and_b32_e32 v5, 0xffff, v5
	s_delay_alu instid0(VALU_DEP_1)
	v_or_b32_e32 v1, v1, v5
	global_store_b32 v[2:3], v1, off
.LBB143_890:
	s_mov_b32 s1, 0
.LBB143_891:
	s_delay_alu instid0(SALU_CYCLE_1)
	s_and_not1_b32 vcc_lo, exec_lo, s1
	s_cbranch_vccnz .LBB143_900
; %bb.892:
	v_cmp_gt_i16_e32 vcc_lo, 6, v4
	s_mov_b32 s1, -1
	s_cbranch_vccnz .LBB143_898
; %bb.893:
	v_cmp_lt_i16_e32 vcc_lo, 6, v4
	s_cbranch_vccz .LBB143_895
; %bb.894:
	v_cvt_f64_f32_e32 v[5:6], v0
	s_mov_b32 s1, 0
	global_store_b64 v[2:3], v[5:6], off
.LBB143_895:
	s_and_not1_b32 vcc_lo, exec_lo, s1
	s_cbranch_vccnz .LBB143_897
; %bb.896:
	global_store_b32 v[2:3], v0, off
.LBB143_897:
	s_mov_b32 s1, 0
.LBB143_898:
	s_delay_alu instid0(SALU_CYCLE_1)
	s_and_not1_b32 vcc_lo, exec_lo, s1
	s_cbranch_vccnz .LBB143_900
; %bb.899:
	v_cvt_f16_f32_e32 v1, v0
	global_store_b16 v[2:3], v1, off
.LBB143_900:
	s_mov_b32 s1, 0
.LBB143_901:
	s_delay_alu instid0(SALU_CYCLE_1)
	s_and_not1_b32 vcc_lo, exec_lo, s1
	s_cbranch_vccnz .LBB143_917
; %bb.902:
	v_cmp_gt_i16_e32 vcc_lo, 2, v4
	s_mov_b32 s1, -1
	s_cbranch_vccnz .LBB143_912
; %bb.903:
	v_cmp_gt_i16_e32 vcc_lo, 3, v4
	s_cbranch_vccnz .LBB143_909
; %bb.904:
	v_cmp_lt_i16_e32 vcc_lo, 3, v4
	s_cbranch_vccz .LBB143_906
; %bb.905:
	v_trunc_f32_e32 v1, v0
	s_mov_b32 s1, 0
	s_delay_alu instid0(VALU_DEP_1) | instskip(NEXT) | instid1(VALU_DEP_1)
	v_mul_f32_e64 v5, 0x2f800000, |v1|
	v_floor_f32_e32 v5, v5
	s_delay_alu instid0(VALU_DEP_1) | instskip(SKIP_2) | instid1(VALU_DEP_3)
	v_fma_f32 v6, 0xcf800000, v5, |v1|
	v_ashrrev_i32_e32 v1, 31, v1
	v_cvt_u32_f32_e32 v5, v5
	v_cvt_u32_f32_e32 v6, v6
	s_delay_alu instid0(VALU_DEP_2) | instskip(NEXT) | instid1(VALU_DEP_2)
	v_xor_b32_e32 v7, v5, v1
	v_xor_b32_e32 v6, v6, v1
	s_delay_alu instid0(VALU_DEP_1) | instskip(NEXT) | instid1(VALU_DEP_3)
	v_sub_co_u32 v5, vcc_lo, v6, v1
	v_sub_co_ci_u32_e32 v6, vcc_lo, v7, v1, vcc_lo
	global_store_b64 v[2:3], v[5:6], off
.LBB143_906:
	s_and_not1_b32 vcc_lo, exec_lo, s1
	s_cbranch_vccnz .LBB143_908
; %bb.907:
	v_cvt_i32_f32_e32 v1, v0
	global_store_b32 v[2:3], v1, off
.LBB143_908:
	s_mov_b32 s1, 0
.LBB143_909:
	s_delay_alu instid0(SALU_CYCLE_1)
	s_and_not1_b32 vcc_lo, exec_lo, s1
	s_cbranch_vccnz .LBB143_911
; %bb.910:
	v_cvt_i32_f32_e32 v1, v0
	global_store_b16 v[2:3], v1, off
.LBB143_911:
	s_mov_b32 s1, 0
.LBB143_912:
	s_delay_alu instid0(SALU_CYCLE_1)
	s_and_not1_b32 vcc_lo, exec_lo, s1
	s_cbranch_vccnz .LBB143_917
; %bb.913:
	v_cmp_lt_i16_e32 vcc_lo, 0, v4
	s_mov_b32 s1, -1
	s_cbranch_vccz .LBB143_915
; %bb.914:
	v_cvt_i32_f32_e32 v1, v0
	s_mov_b32 s1, 0
	global_store_b8 v[2:3], v1, off
.LBB143_915:
	s_and_not1_b32 vcc_lo, exec_lo, s1
	s_cbranch_vccnz .LBB143_917
; %bb.916:
	v_trunc_f32_e32 v0, v0
	s_delay_alu instid0(VALU_DEP_1) | instskip(NEXT) | instid1(VALU_DEP_1)
	v_mul_f32_e64 v1, 0x2f800000, |v0|
	v_floor_f32_e32 v1, v1
	s_delay_alu instid0(VALU_DEP_1) | instskip(SKIP_1) | instid1(VALU_DEP_2)
	v_fma_f32 v1, 0xcf800000, v1, |v0|
	v_ashrrev_i32_e32 v0, 31, v0
	v_cvt_u32_f32_e32 v1, v1
	s_delay_alu instid0(VALU_DEP_1) | instskip(NEXT) | instid1(VALU_DEP_1)
	v_xor_b32_e32 v1, v1, v0
	v_sub_nc_u32_e32 v0, v1, v0
	global_store_b8 v[2:3], v0, off
.LBB143_917:
	s_mov_b32 s1, -1
.LBB143_918:
	s_delay_alu instid0(SALU_CYCLE_1)
	s_and_not1_b32 vcc_lo, exec_lo, s1
	s_cbranch_vccnz .LBB143_920
; %bb.919:
	v_add_nc_u32_e32 v34, 0x80, v34
	s_mov_b32 s1, -1
	s_branch .LBB143_921
.LBB143_920:
	s_mov_b32 s1, 0
                                        ; implicit-def: $vgpr34
.LBB143_921:
	s_and_not1_b32 s2, s23, exec_lo
	s_and_b32 s0, s0, exec_lo
	s_delay_alu instid0(SALU_CYCLE_1)
	s_or_b32 s26, s2, s0
	s_or_not1_b32 s2, s1, exec_lo
.LBB143_922:
	s_or_b32 exec_lo, exec_lo, s25
	s_mov_b32 s0, 0
	s_mov_b32 s1, 0
                                        ; implicit-def: $vgpr4
                                        ; implicit-def: $vgpr2_vgpr3
                                        ; implicit-def: $vgpr0
	s_and_saveexec_b32 s25, s2
	s_cbranch_execz .LBB143_1018
; %bb.923:
	v_cmp_gt_i32_e32 vcc_lo, s21, v34
	s_mov_b32 s2, s26
                                        ; implicit-def: $vgpr4
                                        ; implicit-def: $vgpr2_vgpr3
                                        ; implicit-def: $vgpr0
	s_and_saveexec_b32 s21, vcc_lo
	s_cbranch_execz .LBB143_1017
; %bb.924:
	v_dual_mov_b32 v0, s18 :: v_dual_mov_b32 v1, s19
	v_dual_mov_b32 v2, s13 :: v_dual_mov_b32 v3, v35
	v_mov_b32_e32 v4, v34
	s_getpc_b64 s[0:1]
	s_add_u32 s0, s0, _ZN2at6native6invokeIZZZNS0_17expm1_kernel_cudaERNS_18TensorIteratorBaseEENKUlvE_clEvENKUlvE2_clEvEUlN3c107complexIfEEE_i15function_traitsIS9_EEENT1_11result_typeERKT_PrKPcPKT0_PKNS6_10ScalarTypeEi@rel32@lo+4
	s_addc_u32 s1, s1, _ZN2at6native6invokeIZZZNS0_17expm1_kernel_cudaERNS_18TensorIteratorBaseEENKUlvE_clEvENKUlvE2_clEvEUlN3c107complexIfEEE_i15function_traitsIS9_EEENT1_11result_typeERKT_PrKPcPKT0_PKNS6_10ScalarTypeEi@rel32@hi+12
	s_delay_alu instid0(SALU_CYCLE_1) | instskip(SKIP_2) | instid1(VALU_DEP_1)
	s_swappc_b64 s[30:31], s[0:1]
	v_mul_lo_u32 v2, v34, s12
	v_and_b32_e32 v4, 0xff, v37
	v_cmp_gt_i16_e32 vcc_lo, 11, v4
	s_delay_alu instid0(VALU_DEP_3) | instskip(SKIP_1) | instid1(VALU_DEP_1)
	v_ashrrev_i32_e32 v3, 31, v2
	v_add_co_u32 v2, s0, s16, v2
	v_add_co_ci_u32_e64 v3, s0, s17, v3, s0
	s_cbranch_vccnz .LBB143_931
; %bb.925:
	v_cmp_lt_i16_e32 vcc_lo, 25, v4
	s_mov_b32 s1, -1
	s_mov_b32 s0, s26
	s_cbranch_vccz .LBB143_975
; %bb.926:
	v_cmp_lt_i16_e32 vcc_lo, 28, v4
	s_mov_b32 s0, s26
	s_cbranch_vccz .LBB143_959
; %bb.927:
	v_cmp_lt_i16_e32 vcc_lo, 43, v4
	s_mov_b32 s0, s26
	s_cbranch_vccz .LBB143_955
; %bb.928:
	v_cmp_lt_i16_e32 vcc_lo, 45, v4
	s_mov_b32 s0, s26
	s_cbranch_vccz .LBB143_949
; %bb.929:
	v_cmp_eq_u16_e32 vcc_lo, 46, v4
	s_mov_b32 s0, -1
	s_cbranch_vccz .LBB143_948
; %bb.930:
	v_bfe_u32 v5, v1, 16, 1
	v_bfe_u32 v6, v0, 16, 1
	v_cmp_o_f32_e32 vcc_lo, v1, v1
	s_mov_b32 s0, 0
	s_mov_b32 s1, 0
	v_add3_u32 v5, v1, v5, 0x7fff
	v_add3_u32 v6, v0, v6, 0x7fff
	s_delay_alu instid0(VALU_DEP_2) | instskip(NEXT) | instid1(VALU_DEP_2)
	v_and_b32_e32 v5, 0xffff0000, v5
	v_lshrrev_b32_e32 v6, 16, v6
	s_delay_alu instid0(VALU_DEP_2) | instskip(SKIP_1) | instid1(VALU_DEP_3)
	v_cndmask_b32_e32 v5, 0x7fc00000, v5, vcc_lo
	v_cmp_o_f32_e32 vcc_lo, v0, v0
	v_cndmask_b32_e32 v6, 0x7fc0, v6, vcc_lo
	s_delay_alu instid0(VALU_DEP_1)
	v_or_b32_e32 v5, v5, v6
	global_store_b32 v[2:3], v5, off
	s_branch .LBB143_949
.LBB143_931:
	s_mov_b32 s2, 0
	s_mov_b32 s1, -1
	s_mov_b32 s0, s26
	s_branch .LBB143_1016
.LBB143_932:
	s_or_saveexec_b32 s3, s3
                                        ; implicit-def: $sgpr4
	s_delay_alu instid0(SALU_CYCLE_1)
	s_xor_b32 exec_lo, exec_lo, s3
	s_cbranch_execz .LBB143_831
.LBB143_933:
	v_add_f32_e64 v5, 0x46000000, |v0|
	s_and_not1_b32 s2, s2, exec_lo
	s_mov_b32 s4, 0
	s_delay_alu instid0(VALU_DEP_1) | instskip(NEXT) | instid1(VALU_DEP_1)
	v_and_b32_e32 v5, 0xff, v5
	v_cmp_ne_u32_e32 vcc_lo, 0, v5
	s_and_b32 s5, vcc_lo, exec_lo
	s_delay_alu instid0(SALU_CYCLE_1)
	s_or_b32 s2, s2, s5
	s_or_b32 exec_lo, exec_lo, s3
	v_mov_b32_e32 v6, s4
	s_and_saveexec_b32 s3, s2
	s_cbranch_execnz .LBB143_832
	s_branch .LBB143_833
.LBB143_934:
	s_or_saveexec_b32 s5, s5
                                        ; implicit-def: $sgpr6
	s_delay_alu instid0(SALU_CYCLE_1)
	s_xor_b32 exec_lo, exec_lo, s5
	s_cbranch_execz .LBB143_453
.LBB143_935:
	v_add_f32_e64 v6, 0x42800000, |v28|
	s_and_not1_b32 s4, s4, exec_lo
	s_mov_b32 s6, 0
	s_delay_alu instid0(VALU_DEP_1) | instskip(NEXT) | instid1(VALU_DEP_1)
	v_and_b32_e32 v6, 0xff, v6
	v_cmp_ne_u32_e32 vcc_lo, 0, v6
	s_and_b32 s7, vcc_lo, exec_lo
	s_delay_alu instid0(SALU_CYCLE_1)
	s_or_b32 s4, s4, s7
	s_or_b32 exec_lo, exec_lo, s5
	v_mov_b32_e32 v7, s6
	s_and_saveexec_b32 s5, s4
	s_cbranch_execnz .LBB143_454
	s_branch .LBB143_455
.LBB143_936:
	s_or_saveexec_b32 s5, s5
                                        ; implicit-def: $sgpr6
	s_delay_alu instid0(SALU_CYCLE_1)
	s_xor_b32 exec_lo, exec_lo, s5
	s_cbranch_execz .LBB143_520
.LBB143_937:
	v_add_f32_e64 v5, 0x46000000, |v0|
	s_and_not1_b32 s4, s4, exec_lo
	s_mov_b32 s6, 0
	s_delay_alu instid0(VALU_DEP_1) | instskip(NEXT) | instid1(VALU_DEP_1)
	v_and_b32_e32 v5, 0xff, v5
	v_cmp_ne_u32_e32 vcc_lo, 0, v5
	s_and_b32 s7, vcc_lo, exec_lo
	s_delay_alu instid0(SALU_CYCLE_1)
	s_or_b32 s4, s4, s7
	s_or_b32 exec_lo, exec_lo, s5
	v_mov_b32_e32 v6, s6
	s_and_saveexec_b32 s5, s4
	s_cbranch_execnz .LBB143_521
	s_branch .LBB143_522
.LBB143_938:
	s_trap 2
	s_sendmsg_rtn_b32 s0, sendmsg(MSG_RTN_GET_DOORBELL)
	s_mov_b32 ttmp2, m0
	s_waitcnt lgkmcnt(0)
	s_and_b32 s0, s0, 0x3ff
	s_delay_alu instid0(SALU_CYCLE_1) | instskip(NEXT) | instid1(SALU_CYCLE_1)
	s_bitset1_b32 s0, 10
	s_mov_b32 m0, s0
	s_sendmsg sendmsg(MSG_INTERRUPT)
	s_mov_b32 m0, ttmp2
.LBB143_939:                            ; =>This Inner Loop Header: Depth=1
	s_sethalt 5
	s_branch .LBB143_939
.LBB143_940:
	s_cbranch_execnz .LBB143_946
; %bb.941:
	s_mov_b32 s2, 0
	s_or_b32 s1, s1, exec_lo
	s_branch .LBB143_566
.LBB143_942:
	s_or_saveexec_b32 s3, s3
                                        ; implicit-def: $sgpr4
	s_delay_alu instid0(SALU_CYCLE_1)
	s_xor_b32 exec_lo, exec_lo, s3
	s_cbranch_execz .LBB143_844
.LBB143_943:
	v_add_f32_e64 v5, 0x42800000, |v0|
	s_and_not1_b32 s2, s2, exec_lo
	s_mov_b32 s4, 0
	s_delay_alu instid0(VALU_DEP_1) | instskip(NEXT) | instid1(VALU_DEP_1)
	v_and_b32_e32 v5, 0xff, v5
	v_cmp_ne_u32_e32 vcc_lo, 0, v5
	s_and_b32 s5, vcc_lo, exec_lo
	s_delay_alu instid0(SALU_CYCLE_1)
	s_or_b32 s2, s2, s5
	s_or_b32 exec_lo, exec_lo, s3
	v_mov_b32_e32 v6, s4
	s_and_saveexec_b32 s3, s2
	s_cbranch_execnz .LBB143_845
	s_branch .LBB143_846
.LBB143_944:
	s_or_saveexec_b32 s4, s4
                                        ; implicit-def: $sgpr5
	s_delay_alu instid0(SALU_CYCLE_1)
	s_xor_b32 exec_lo, exec_lo, s4
	s_cbranch_execz .LBB143_532
.LBB143_945:
	v_add_f32_e64 v5, 0x42800000, |v0|
	s_and_not1_b32 s3, s3, exec_lo
	s_mov_b32 s5, 0
	s_delay_alu instid0(VALU_DEP_1) | instskip(NEXT) | instid1(VALU_DEP_1)
	v_and_b32_e32 v5, 0xff, v5
	v_cmp_ne_u32_e32 vcc_lo, 0, v5
	s_and_b32 s6, vcc_lo, exec_lo
	s_delay_alu instid0(SALU_CYCLE_1)
	s_or_b32 s3, s3, s6
	s_or_b32 exec_lo, exec_lo, s4
	v_mov_b32_e32 v6, s5
	s_and_saveexec_b32 s4, s3
	s_cbranch_execnz .LBB143_533
	s_branch .LBB143_534
.LBB143_946:
	s_trap 2
	s_sendmsg_rtn_b32 s0, sendmsg(MSG_RTN_GET_DOORBELL)
	s_mov_b32 ttmp2, m0
	s_waitcnt lgkmcnt(0)
	s_and_b32 s0, s0, 0x3ff
	s_delay_alu instid0(SALU_CYCLE_1) | instskip(NEXT) | instid1(SALU_CYCLE_1)
	s_bitset1_b32 s0, 10
	s_mov_b32 m0, s0
	s_sendmsg sendmsg(MSG_INTERRUPT)
	s_mov_b32 m0, ttmp2
.LBB143_947:                            ; =>This Inner Loop Header: Depth=1
	s_sethalt 5
	s_branch .LBB143_947
.LBB143_948:
	s_mov_b32 s1, 0
.LBB143_949:
	s_delay_alu instid0(SALU_CYCLE_1)
	s_and_b32 vcc_lo, exec_lo, s1
	s_cbranch_vccz .LBB143_954
; %bb.950:
	v_cmp_eq_u16_e32 vcc_lo, 44, v4
	s_mov_b32 s0, -1
	s_cbranch_vccz .LBB143_954
; %bb.951:
	v_bfe_u32 v6, v0, 23, 8
	v_mov_b32_e32 v5, 0xff
	s_mov_b32 s1, exec_lo
	s_delay_alu instid0(VALU_DEP_2)
	v_cmpx_ne_u32_e32 0xff, v6
; %bb.952:
	v_and_b32_e32 v5, 0x400000, v0
	v_and_or_b32 v6, 0x3fffff, v0, v6
	s_delay_alu instid0(VALU_DEP_2) | instskip(NEXT) | instid1(VALU_DEP_2)
	v_cmp_ne_u32_e32 vcc_lo, 0, v5
	v_cmp_ne_u32_e64 s0, 0, v6
	v_lshrrev_b32_e32 v5, 23, v0
	s_delay_alu instid0(VALU_DEP_2) | instskip(NEXT) | instid1(SALU_CYCLE_1)
	s_and_b32 s0, vcc_lo, s0
	v_cndmask_b32_e64 v6, 0, 1, s0
	s_delay_alu instid0(VALU_DEP_1)
	v_add_nc_u32_e32 v5, v5, v6
; %bb.953:
	s_or_b32 exec_lo, exec_lo, s1
	s_mov_b32 s0, 0
	global_store_b8 v[2:3], v5, off
.LBB143_954:
	s_mov_b32 s1, 0
.LBB143_955:
	s_delay_alu instid0(SALU_CYCLE_1)
	s_and_b32 vcc_lo, exec_lo, s1
	s_cbranch_vccz .LBB143_958
; %bb.956:
	v_cmp_eq_u16_e32 vcc_lo, 29, v4
	s_mov_b32 s0, -1
	s_cbranch_vccz .LBB143_958
; %bb.957:
	v_trunc_f32_e32 v5, v0
	s_mov_b32 s0, 0
	s_mov_b32 s1, 0
	s_delay_alu instid0(VALU_DEP_1) | instskip(NEXT) | instid1(VALU_DEP_1)
	v_mul_f32_e32 v6, 0x2f800000, v5
	v_floor_f32_e32 v6, v6
	s_delay_alu instid0(VALU_DEP_1) | instskip(SKIP_1) | instid1(VALU_DEP_2)
	v_fmamk_f32 v5, v6, 0xcf800000, v5
	v_cvt_u32_f32_e32 v6, v6
	v_cvt_u32_f32_e32 v5, v5
	global_store_b64 v[2:3], v[5:6], off
	s_branch .LBB143_959
.LBB143_958:
	s_mov_b32 s1, 0
.LBB143_959:
	s_delay_alu instid0(SALU_CYCLE_1)
	s_and_b32 vcc_lo, exec_lo, s1
	s_cbranch_vccz .LBB143_974
; %bb.960:
	v_cmp_gt_i16_e32 vcc_lo, 27, v4
	s_mov_b32 s1, -1
	s_cbranch_vccnz .LBB143_966
; %bb.961:
	v_cmp_lt_i16_e32 vcc_lo, 27, v4
	s_cbranch_vccz .LBB143_963
; %bb.962:
	v_cvt_u32_f32_e32 v5, v0
	s_mov_b32 s1, 0
	global_store_b32 v[2:3], v5, off
.LBB143_963:
	s_and_not1_b32 vcc_lo, exec_lo, s1
	s_cbranch_vccnz .LBB143_965
; %bb.964:
	v_cvt_u32_f32_e32 v5, v0
	global_store_b16 v[2:3], v5, off
.LBB143_965:
	s_mov_b32 s1, 0
.LBB143_966:
	s_delay_alu instid0(SALU_CYCLE_1)
	s_and_not1_b32 vcc_lo, exec_lo, s1
	s_cbranch_vccnz .LBB143_974
; %bb.967:
	v_and_b32_e32 v5, 0x7fffffff, v0
	v_mov_b32_e32 v6, 0x80
	s_mov_b32 s1, exec_lo
	s_delay_alu instid0(VALU_DEP_2)
	v_cmpx_gt_u32_e32 0x43800000, v5
	s_cbranch_execz .LBB143_973
; %bb.968:
	v_cmp_lt_u32_e32 vcc_lo, 0x3bffffff, v5
	s_mov_b32 s2, 0
                                        ; implicit-def: $vgpr5
	s_and_saveexec_b32 s3, vcc_lo
	s_delay_alu instid0(SALU_CYCLE_1)
	s_xor_b32 s3, exec_lo, s3
	s_cbranch_execz .LBB143_1024
; %bb.969:
	v_bfe_u32 v5, v0, 20, 1
	s_mov_b32 s2, exec_lo
	s_delay_alu instid0(VALU_DEP_1) | instskip(NEXT) | instid1(VALU_DEP_1)
	v_add3_u32 v5, v0, v5, 0x487ffff
	v_lshrrev_b32_e32 v5, 20, v5
	s_or_saveexec_b32 s3, s3
                                        ; implicit-def: $sgpr4
	s_delay_alu instid0(SALU_CYCLE_1)
	s_xor_b32 exec_lo, exec_lo, s3
	s_cbranch_execnz .LBB143_1025
.LBB143_970:
	s_or_b32 exec_lo, exec_lo, s3
	v_mov_b32_e32 v6, s4
	s_and_saveexec_b32 s3, s2
.LBB143_971:
	v_lshrrev_b32_e32 v6, 24, v0
	s_delay_alu instid0(VALU_DEP_1)
	v_and_or_b32 v6, 0x80, v6, v5
.LBB143_972:
	s_or_b32 exec_lo, exec_lo, s3
.LBB143_973:
	s_delay_alu instid0(SALU_CYCLE_1)
	s_or_b32 exec_lo, exec_lo, s1
	global_store_b8 v[2:3], v6, off
.LBB143_974:
	s_mov_b32 s1, 0
.LBB143_975:
	s_delay_alu instid0(SALU_CYCLE_1)
	s_and_b32 vcc_lo, exec_lo, s1
	s_mov_b32 s1, 0
	s_cbranch_vccz .LBB143_1015
; %bb.976:
	v_cmp_lt_i16_e32 vcc_lo, 22, v4
	s_mov_b32 s2, -1
	s_cbranch_vccz .LBB143_1008
; %bb.977:
	v_cmp_gt_i16_e32 vcc_lo, 24, v4
	s_cbranch_vccnz .LBB143_997
; %bb.978:
	v_cmp_lt_i16_e32 vcc_lo, 24, v4
	s_cbranch_vccz .LBB143_986
; %bb.979:
	v_and_b32_e32 v5, 0x7fffffff, v0
	v_mov_b32_e32 v6, 0x80
	s_mov_b32 s2, exec_lo
	s_delay_alu instid0(VALU_DEP_2)
	v_cmpx_gt_u32_e32 0x47800000, v5
	s_cbranch_execz .LBB143_985
; %bb.980:
	v_cmp_lt_u32_e32 vcc_lo, 0x37ffffff, v5
	s_mov_b32 s3, 0
                                        ; implicit-def: $vgpr5
	s_and_saveexec_b32 s4, vcc_lo
	s_delay_alu instid0(SALU_CYCLE_1)
	s_xor_b32 s4, exec_lo, s4
	s_cbranch_execz .LBB143_1026
; %bb.981:
	v_bfe_u32 v5, v0, 21, 1
	s_mov_b32 s3, exec_lo
	s_delay_alu instid0(VALU_DEP_1) | instskip(NEXT) | instid1(VALU_DEP_1)
	v_add3_u32 v5, v0, v5, 0x88fffff
	v_lshrrev_b32_e32 v5, 21, v5
	s_or_saveexec_b32 s4, s4
                                        ; implicit-def: $sgpr5
	s_delay_alu instid0(SALU_CYCLE_1)
	s_xor_b32 exec_lo, exec_lo, s4
	s_cbranch_execnz .LBB143_1027
.LBB143_982:
	s_or_b32 exec_lo, exec_lo, s4
	v_mov_b32_e32 v6, s5
	s_and_saveexec_b32 s4, s3
.LBB143_983:
	v_lshrrev_b32_e32 v6, 24, v0
	s_delay_alu instid0(VALU_DEP_1)
	v_and_or_b32 v6, 0x80, v6, v5
.LBB143_984:
	s_or_b32 exec_lo, exec_lo, s4
.LBB143_985:
	s_delay_alu instid0(SALU_CYCLE_1)
	s_or_b32 exec_lo, exec_lo, s2
	s_mov_b32 s2, 0
	global_store_b8 v[2:3], v6, off
.LBB143_986:
	s_and_b32 vcc_lo, exec_lo, s2
	s_cbranch_vccz .LBB143_996
; %bb.987:
	v_and_b32_e32 v6, 0x7fffffff, v0
	s_mov_b32 s2, exec_lo
                                        ; implicit-def: $vgpr5
	s_delay_alu instid0(VALU_DEP_1)
	v_cmpx_gt_u32_e32 0x43f00000, v6
	s_xor_b32 s2, exec_lo, s2
	s_cbranch_execz .LBB143_993
; %bb.988:
	s_mov_b32 s3, exec_lo
                                        ; implicit-def: $vgpr5
	v_cmpx_lt_u32_e32 0x3c7fffff, v6
	s_xor_b32 s3, exec_lo, s3
; %bb.989:
	v_bfe_u32 v5, v0, 20, 1
	s_delay_alu instid0(VALU_DEP_1) | instskip(NEXT) | instid1(VALU_DEP_1)
	v_add3_u32 v5, v0, v5, 0x407ffff
	v_and_b32_e32 v6, 0xff00000, v5
	v_lshrrev_b32_e32 v5, 20, v5
	s_delay_alu instid0(VALU_DEP_2) | instskip(NEXT) | instid1(VALU_DEP_2)
	v_cmp_ne_u32_e32 vcc_lo, 0x7f00000, v6
	v_cndmask_b32_e32 v5, 0x7e, v5, vcc_lo
; %bb.990:
	s_and_not1_saveexec_b32 s3, s3
; %bb.991:
	v_add_f32_e64 v5, 0x46800000, |v0|
; %bb.992:
	s_or_b32 exec_lo, exec_lo, s3
                                        ; implicit-def: $vgpr6
.LBB143_993:
	s_and_not1_saveexec_b32 s2, s2
; %bb.994:
	v_mov_b32_e32 v5, 0x7f
	v_cmp_lt_u32_e32 vcc_lo, 0x7f800000, v6
	s_delay_alu instid0(VALU_DEP_2)
	v_cndmask_b32_e32 v5, 0x7e, v5, vcc_lo
; %bb.995:
	s_or_b32 exec_lo, exec_lo, s2
	v_lshrrev_b32_e32 v6, 24, v0
	s_delay_alu instid0(VALU_DEP_1)
	v_and_or_b32 v5, 0x80, v6, v5
	global_store_b8 v[2:3], v5, off
.LBB143_996:
	s_mov_b32 s2, 0
.LBB143_997:
	s_delay_alu instid0(SALU_CYCLE_1)
	s_and_not1_b32 vcc_lo, exec_lo, s2
	s_cbranch_vccnz .LBB143_1007
; %bb.998:
	v_and_b32_e32 v6, 0x7fffffff, v0
	s_mov_b32 s2, exec_lo
                                        ; implicit-def: $vgpr5
	s_delay_alu instid0(VALU_DEP_1)
	v_cmpx_gt_u32_e32 0x47800000, v6
	s_xor_b32 s2, exec_lo, s2
	s_cbranch_execz .LBB143_1004
; %bb.999:
	s_mov_b32 s3, exec_lo
                                        ; implicit-def: $vgpr5
	v_cmpx_lt_u32_e32 0x387fffff, v6
	s_xor_b32 s3, exec_lo, s3
; %bb.1000:
	v_bfe_u32 v5, v0, 21, 1
	s_delay_alu instid0(VALU_DEP_1) | instskip(NEXT) | instid1(VALU_DEP_1)
	v_add3_u32 v5, v0, v5, 0x80fffff
	v_lshrrev_b32_e32 v5, 21, v5
; %bb.1001:
	s_and_not1_saveexec_b32 s3, s3
; %bb.1002:
	v_add_f32_e64 v5, 0x43000000, |v0|
; %bb.1003:
	s_or_b32 exec_lo, exec_lo, s3
                                        ; implicit-def: $vgpr6
.LBB143_1004:
	s_and_not1_saveexec_b32 s2, s2
; %bb.1005:
	v_mov_b32_e32 v5, 0x7f
	v_cmp_lt_u32_e32 vcc_lo, 0x7f800000, v6
	s_delay_alu instid0(VALU_DEP_2)
	v_cndmask_b32_e32 v5, 0x7c, v5, vcc_lo
; %bb.1006:
	s_or_b32 exec_lo, exec_lo, s2
	v_lshrrev_b32_e32 v6, 24, v0
	s_delay_alu instid0(VALU_DEP_1)
	v_and_or_b32 v5, 0x80, v6, v5
	global_store_b8 v[2:3], v5, off
.LBB143_1007:
	s_mov_b32 s2, 0
.LBB143_1008:
	s_delay_alu instid0(SALU_CYCLE_1)
	s_and_not1_b32 vcc_lo, exec_lo, s2
	s_mov_b32 s2, 0
	s_cbranch_vccnz .LBB143_1016
; %bb.1009:
	v_cmp_lt_i16_e32 vcc_lo, 14, v4
	s_mov_b32 s2, -1
	s_cbranch_vccz .LBB143_1013
; %bb.1010:
	v_cmp_eq_u16_e32 vcc_lo, 15, v4
	s_mov_b32 s0, -1
	s_cbranch_vccz .LBB143_1012
; %bb.1011:
	v_bfe_u32 v5, v0, 16, 1
	v_cmp_o_f32_e32 vcc_lo, v0, v0
	s_mov_b32 s0, 0
	s_delay_alu instid0(VALU_DEP_2) | instskip(NEXT) | instid1(VALU_DEP_1)
	v_add3_u32 v5, v0, v5, 0x7fff
	v_lshrrev_b32_e32 v5, 16, v5
	s_delay_alu instid0(VALU_DEP_1)
	v_cndmask_b32_e32 v5, 0x7fc0, v5, vcc_lo
	global_store_b16 v[2:3], v5, off
.LBB143_1012:
	s_mov_b32 s2, 0
.LBB143_1013:
	s_delay_alu instid0(SALU_CYCLE_1)
	s_and_b32 vcc_lo, exec_lo, s2
	s_mov_b32 s2, 0
	s_cbranch_vccz .LBB143_1016
; %bb.1014:
	v_cmp_ne_u16_e32 vcc_lo, 11, v4
	s_and_not1_b32 s0, s0, exec_lo
	s_mov_b32 s2, -1
	s_and_b32 s3, vcc_lo, exec_lo
	s_delay_alu instid0(SALU_CYCLE_1)
	s_or_b32 s0, s0, s3
	s_branch .LBB143_1016
.LBB143_1015:
	s_mov_b32 s2, 0
.LBB143_1016:
	s_and_not1_b32 s3, s26, exec_lo
	s_and_b32 s4, s0, exec_lo
	s_and_b32 s1, s1, exec_lo
	;; [unrolled: 1-line block ×3, first 2 shown]
	s_or_b32 s2, s3, s4
.LBB143_1017:
	s_or_b32 exec_lo, exec_lo, s21
	s_delay_alu instid0(SALU_CYCLE_1)
	s_and_not1_b32 s3, s26, exec_lo
	s_and_b32 s2, s2, exec_lo
	s_and_b32 s1, s1, exec_lo
	s_and_b32 s0, s0, exec_lo
	s_or_b32 s26, s3, s2
.LBB143_1018:
	s_or_b32 exec_lo, exec_lo, s25
	s_delay_alu instid0(SALU_CYCLE_1)
	s_and_not1_b32 s2, s23, exec_lo
	s_and_b32 s3, s26, exec_lo
	s_and_b32 s1, s1, exec_lo
	;; [unrolled: 1-line block ×3, first 2 shown]
	s_or_b32 s23, s2, s3
.LBB143_1019:
	s_or_b32 exec_lo, exec_lo, s24
	s_delay_alu instid0(SALU_CYCLE_1)
	s_and_not1_b32 s2, s20, exec_lo
	s_and_b32 s3, s23, exec_lo
	s_and_b32 s1, s1, exec_lo
	;; [unrolled: 1-line block ×3, first 2 shown]
	s_or_b32 s20, s2, s3
	s_or_b32 exec_lo, exec_lo, s22
	s_mov_b32 s0, 0
	s_and_saveexec_b32 s2, s20
	s_cbranch_execz .LBB143_134
.LBB143_1020:
	s_cbranch_execnz .LBB143_1022
; %bb.1021:
	s_mov_b32 s0, exec_lo
	s_and_not1_b32 s23, s23, exec_lo
	s_or_b32 exec_lo, exec_lo, s2
	s_and_saveexec_b32 s2, s23
	s_delay_alu instid0(SALU_CYCLE_1)
	s_xor_b32 s2, exec_lo, s2
	s_cbranch_execnz .LBB143_135
	s_branch .LBB143_136
.LBB143_1022:
	s_trap 2
	s_sendmsg_rtn_b32 s0, sendmsg(MSG_RTN_GET_DOORBELL)
	s_mov_b32 ttmp2, m0
	s_waitcnt lgkmcnt(0)
	s_and_b32 s0, s0, 0x3ff
	s_delay_alu instid0(SALU_CYCLE_1) | instskip(NEXT) | instid1(SALU_CYCLE_1)
	s_bitset1_b32 s0, 10
	s_mov_b32 m0, s0
	s_sendmsg sendmsg(MSG_INTERRUPT)
	s_mov_b32 m0, ttmp2
.LBB143_1023:                           ; =>This Inner Loop Header: Depth=1
	s_sethalt 5
	s_branch .LBB143_1023
.LBB143_1024:
	s_or_saveexec_b32 s3, s3
                                        ; implicit-def: $sgpr4
	s_delay_alu instid0(SALU_CYCLE_1)
	s_xor_b32 exec_lo, exec_lo, s3
	s_cbranch_execz .LBB143_970
.LBB143_1025:
	v_add_f32_e64 v5, 0x46000000, |v0|
	s_and_not1_b32 s2, s2, exec_lo
	s_mov_b32 s4, 0
	s_delay_alu instid0(VALU_DEP_1) | instskip(NEXT) | instid1(VALU_DEP_1)
	v_and_b32_e32 v5, 0xff, v5
	v_cmp_ne_u32_e32 vcc_lo, 0, v5
	s_and_b32 s5, vcc_lo, exec_lo
	s_delay_alu instid0(SALU_CYCLE_1)
	s_or_b32 s2, s2, s5
	s_or_b32 exec_lo, exec_lo, s3
	v_mov_b32_e32 v6, s4
	s_and_saveexec_b32 s3, s2
	s_cbranch_execnz .LBB143_971
	s_branch .LBB143_972
.LBB143_1026:
	s_or_saveexec_b32 s4, s4
                                        ; implicit-def: $sgpr5
	s_delay_alu instid0(SALU_CYCLE_1)
	s_xor_b32 exec_lo, exec_lo, s4
	s_cbranch_execz .LBB143_982
.LBB143_1027:
	v_add_f32_e64 v5, 0x42800000, |v0|
	s_and_not1_b32 s3, s3, exec_lo
	s_mov_b32 s5, 0
	s_delay_alu instid0(VALU_DEP_1) | instskip(NEXT) | instid1(VALU_DEP_1)
	v_and_b32_e32 v5, 0xff, v5
	v_cmp_ne_u32_e32 vcc_lo, 0, v5
	s_and_b32 s6, vcc_lo, exec_lo
	s_delay_alu instid0(SALU_CYCLE_1)
	s_or_b32 s3, s3, s6
	s_or_b32 exec_lo, exec_lo, s4
	v_mov_b32_e32 v6, s5
	s_and_saveexec_b32 s4, s3
	s_cbranch_execnz .LBB143_983
	s_branch .LBB143_984
	.section	.rodata,"a",@progbits
	.p2align	6, 0x0
	.amdhsa_kernel _ZN2at6native32elementwise_kernel_manual_unrollILi128ELi4EZNS0_15gpu_kernel_implIZZZNS0_17expm1_kernel_cudaERNS_18TensorIteratorBaseEENKUlvE_clEvENKUlvE2_clEvEUlN3c107complexIfEEE_EEvS4_RKT_EUlibE_EEviT1_
		.amdhsa_group_segment_fixed_size 0
		.amdhsa_private_segment_fixed_size 0
		.amdhsa_kernarg_size 40
		.amdhsa_user_sgpr_count 15
		.amdhsa_user_sgpr_dispatch_ptr 0
		.amdhsa_user_sgpr_queue_ptr 0
		.amdhsa_user_sgpr_kernarg_segment_ptr 1
		.amdhsa_user_sgpr_dispatch_id 0
		.amdhsa_user_sgpr_private_segment_size 0
		.amdhsa_wavefront_size32 1
		.amdhsa_uses_dynamic_stack 0
		.amdhsa_enable_private_segment 0
		.amdhsa_system_sgpr_workgroup_id_x 1
		.amdhsa_system_sgpr_workgroup_id_y 0
		.amdhsa_system_sgpr_workgroup_id_z 0
		.amdhsa_system_sgpr_workgroup_info 0
		.amdhsa_system_vgpr_workitem_id 0
		.amdhsa_next_free_vgpr 38
		.amdhsa_next_free_sgpr 33
		.amdhsa_reserve_vcc 1
		.amdhsa_float_round_mode_32 0
		.amdhsa_float_round_mode_16_64 0
		.amdhsa_float_denorm_mode_32 3
		.amdhsa_float_denorm_mode_16_64 3
		.amdhsa_dx10_clamp 1
		.amdhsa_ieee_mode 1
		.amdhsa_fp16_overflow 0
		.amdhsa_workgroup_processor_mode 1
		.amdhsa_memory_ordered 1
		.amdhsa_forward_progress 0
		.amdhsa_shared_vgpr_count 0
		.amdhsa_exception_fp_ieee_invalid_op 0
		.amdhsa_exception_fp_denorm_src 0
		.amdhsa_exception_fp_ieee_div_zero 0
		.amdhsa_exception_fp_ieee_overflow 0
		.amdhsa_exception_fp_ieee_underflow 0
		.amdhsa_exception_fp_ieee_inexact 0
		.amdhsa_exception_int_div_zero 0
	.end_amdhsa_kernel
	.section	.text._ZN2at6native32elementwise_kernel_manual_unrollILi128ELi4EZNS0_15gpu_kernel_implIZZZNS0_17expm1_kernel_cudaERNS_18TensorIteratorBaseEENKUlvE_clEvENKUlvE2_clEvEUlN3c107complexIfEEE_EEvS4_RKT_EUlibE_EEviT1_,"axG",@progbits,_ZN2at6native32elementwise_kernel_manual_unrollILi128ELi4EZNS0_15gpu_kernel_implIZZZNS0_17expm1_kernel_cudaERNS_18TensorIteratorBaseEENKUlvE_clEvENKUlvE2_clEvEUlN3c107complexIfEEE_EEvS4_RKT_EUlibE_EEviT1_,comdat
.Lfunc_end143:
	.size	_ZN2at6native32elementwise_kernel_manual_unrollILi128ELi4EZNS0_15gpu_kernel_implIZZZNS0_17expm1_kernel_cudaERNS_18TensorIteratorBaseEENKUlvE_clEvENKUlvE2_clEvEUlN3c107complexIfEEE_EEvS4_RKT_EUlibE_EEviT1_, .Lfunc_end143-_ZN2at6native32elementwise_kernel_manual_unrollILi128ELi4EZNS0_15gpu_kernel_implIZZZNS0_17expm1_kernel_cudaERNS_18TensorIteratorBaseEENKUlvE_clEvENKUlvE2_clEvEUlN3c107complexIfEEE_EEvS4_RKT_EUlibE_EEviT1_
                                        ; -- End function
	.section	.AMDGPU.csdata,"",@progbits
; Kernel info:
; codeLenInByte = 19008
; NumSgprs: 35
; NumVgprs: 38
; ScratchSize: 0
; MemoryBound: 0
; FloatMode: 240
; IeeeMode: 1
; LDSByteSize: 0 bytes/workgroup (compile time only)
; SGPRBlocks: 4
; VGPRBlocks: 4
; NumSGPRsForWavesPerEU: 35
; NumVGPRsForWavesPerEU: 38
; Occupancy: 16
; WaveLimiterHint : 0
; COMPUTE_PGM_RSRC2:SCRATCH_EN: 0
; COMPUTE_PGM_RSRC2:USER_SGPR: 15
; COMPUTE_PGM_RSRC2:TRAP_HANDLER: 0
; COMPUTE_PGM_RSRC2:TGID_X_EN: 1
; COMPUTE_PGM_RSRC2:TGID_Y_EN: 0
; COMPUTE_PGM_RSRC2:TGID_Z_EN: 0
; COMPUTE_PGM_RSRC2:TIDIG_COMP_CNT: 0
	.text
	.p2align	2                               ; -- Begin function _ZN2at6native6invokeIZZZNS0_17expm1_kernel_cudaERNS_18TensorIteratorBaseEENKUlvE_clEvENKUlvE2_clEvEUlN3c107complexIfEEE_j15function_traitsIS9_EEENT1_11result_typeERKT_PrKPcPKT0_PKNS6_10ScalarTypeEi
	.type	_ZN2at6native6invokeIZZZNS0_17expm1_kernel_cudaERNS_18TensorIteratorBaseEENKUlvE_clEvENKUlvE2_clEvEUlN3c107complexIfEEE_j15function_traitsIS9_EEENT1_11result_typeERKT_PrKPcPKT0_PKNS6_10ScalarTypeEi,@function
_ZN2at6native6invokeIZZZNS0_17expm1_kernel_cudaERNS_18TensorIteratorBaseEENKUlvE_clEvENKUlvE2_clEvEUlN3c107complexIfEEE_j15function_traitsIS9_EEENT1_11result_typeERKT_PrKPcPKT0_PKNS6_10ScalarTypeEi: ; @_ZN2at6native6invokeIZZZNS0_17expm1_kernel_cudaERNS_18TensorIteratorBaseEENKUlvE_clEvENKUlvE2_clEvEUlN3c107complexIfEEE_j15function_traitsIS9_EEENT1_11result_typeERKT_PrKPcPKT0_PKNS6_10ScalarTypeEi
; %bb.0:
	s_waitcnt vmcnt(0) expcnt(0) lgkmcnt(0)
	v_add_co_u32 v0, vcc_lo, v0, v2
	v_and_b32_e32 v4, 0xff, v3
	v_add_co_ci_u32_e32 v1, vcc_lo, 0, v1, vcc_lo
	s_mov_b32 s1, 0
	s_mov_b32 s0, exec_lo
                                        ; implicit-def: $vgpr3
	s_delay_alu instid0(VALU_DEP_2)
	v_cmpx_lt_i16_e32 10, v4
	s_xor_b32 s0, exec_lo, s0
	s_cbranch_execz .LBB144_41
; %bb.1:
	s_mov_b32 s4, 0
	s_mov_b32 s3, 0
	s_mov_b32 s2, exec_lo
                                        ; implicit-def: $vgpr3
	v_cmpx_lt_i16_e32 25, v4
	s_xor_b32 s2, exec_lo, s2
	s_cbranch_execz .LBB144_91
; %bb.2:
	s_mov_b32 s5, 0
	s_mov_b32 s3, exec_lo
                                        ; implicit-def: $vgpr3
	v_cmpx_lt_i16_e32 28, v4
	s_xor_b32 s3, exec_lo, s3
	s_cbranch_execz .LBB144_18
; %bb.3:
	s_mov_b32 s6, 0
	s_mov_b32 s7, 0
	s_mov_b32 s4, exec_lo
                                        ; implicit-def: $vgpr3
	v_cmpx_lt_i16_e32 43, v4
	s_xor_b32 s4, exec_lo, s4
	s_cbranch_execz .LBB144_13
; %bb.4:
	s_mov_b32 s7, exec_lo
                                        ; implicit-def: $vgpr3
	v_cmpx_lt_i16_e32 45, v4
	s_xor_b32 s7, exec_lo, s7
	s_cbranch_execz .LBB144_8
; %bb.5:
	s_mov_b32 s8, -1
	s_mov_b32 s6, exec_lo
                                        ; implicit-def: $vgpr3
	v_cmpx_eq_u16_e32 46, v4
	s_cbranch_execz .LBB144_7
; %bb.6:
	flat_load_b32 v2, v[0:1]
	s_mov_b32 s5, exec_lo
	s_xor_b32 s8, exec_lo, -1
	s_waitcnt vmcnt(0) lgkmcnt(0)
	v_and_b32_e32 v3, 0xffff0000, v2
	v_lshlrev_b32_e32 v2, 16, v2
.LBB144_7:
	s_or_b32 exec_lo, exec_lo, s6
	s_delay_alu instid0(SALU_CYCLE_1)
	s_and_b32 s6, s5, exec_lo
	s_and_b32 s5, s8, exec_lo
                                        ; implicit-def: $vgpr4
.LBB144_8:
	s_and_not1_saveexec_b32 s7, s7
	s_cbranch_execz .LBB144_12
; %bb.9:
	s_mov_b32 s8, -1
	s_mov_b32 s10, s6
	s_mov_b32 s9, exec_lo
                                        ; implicit-def: $sgpr11
                                        ; implicit-def: $vgpr2
	v_cmpx_eq_u16_e32 44, v4
	s_cbranch_execz .LBB144_11
; %bb.10:
	flat_load_u8 v2, v[0:1]
	s_mov_b32 s11, 0
	s_or_b32 s10, s6, exec_lo
	s_xor_b32 s8, exec_lo, -1
	s_waitcnt vmcnt(0) lgkmcnt(0)
	v_lshlrev_b32_e32 v3, 23, v2
	v_cmp_ne_u32_e32 vcc_lo, 0xff, v2
	s_delay_alu instid0(VALU_DEP_2) | instskip(SKIP_1) | instid1(VALU_DEP_2)
	v_cndmask_b32_e32 v3, 0x7f800001, v3, vcc_lo
	v_cmp_ne_u32_e32 vcc_lo, 0, v2
	v_cndmask_b32_e32 v2, 0x400000, v3, vcc_lo
.LBB144_11:
	s_or_b32 exec_lo, exec_lo, s9
	v_mov_b32_e32 v3, s11
	s_and_not1_b32 s6, s6, exec_lo
	s_and_b32 s9, s10, exec_lo
	s_and_not1_b32 s5, s5, exec_lo
	s_and_b32 s8, s8, exec_lo
	s_or_b32 s6, s6, s9
	s_or_b32 s5, s5, s8
.LBB144_12:
	s_or_b32 exec_lo, exec_lo, s7
	s_delay_alu instid0(SALU_CYCLE_1)
	s_and_b32 s7, s6, exec_lo
	s_and_b32 s6, s5, exec_lo
                                        ; implicit-def: $vgpr4
.LBB144_13:
	s_and_not1_saveexec_b32 s4, s4
	s_cbranch_execz .LBB144_17
; %bb.14:
	s_mov_b32 s5, -1
	s_mov_b32 s9, s7
	s_mov_b32 s8, exec_lo
                                        ; implicit-def: $sgpr10
                                        ; implicit-def: $vgpr2
	v_cmpx_eq_u16_e32 29, v4
	s_cbranch_execz .LBB144_16
; %bb.15:
	flat_load_b64 v[2:3], v[0:1]
	s_mov_b32 s10, 0
	s_or_b32 s9, s7, exec_lo
	s_xor_b32 s5, exec_lo, -1
	s_waitcnt vmcnt(0) lgkmcnt(0)
	v_clz_i32_u32_e32 v4, v3
	s_delay_alu instid0(VALU_DEP_1) | instskip(NEXT) | instid1(VALU_DEP_1)
	v_min_u32_e32 v4, 32, v4
	v_lshlrev_b64 v[2:3], v4, v[2:3]
	s_delay_alu instid0(VALU_DEP_1) | instskip(NEXT) | instid1(VALU_DEP_1)
	v_min_u32_e32 v2, 1, v2
	v_or_b32_e32 v2, v3, v2
	v_sub_nc_u32_e32 v3, 32, v4
	s_delay_alu instid0(VALU_DEP_2) | instskip(NEXT) | instid1(VALU_DEP_1)
	v_cvt_f32_u32_e32 v2, v2
	v_ldexp_f32 v2, v2, v3
.LBB144_16:
	s_or_b32 exec_lo, exec_lo, s8
	v_mov_b32_e32 v3, s10
	s_and_not1_b32 s7, s7, exec_lo
	s_and_b32 s8, s9, exec_lo
	s_and_not1_b32 s6, s6, exec_lo
	s_and_b32 s5, s5, exec_lo
	s_or_b32 s7, s7, s8
	s_or_b32 s6, s6, s5
.LBB144_17:
	s_or_b32 exec_lo, exec_lo, s4
	s_delay_alu instid0(SALU_CYCLE_1)
	s_and_b32 s5, s7, exec_lo
	s_and_b32 s4, s6, exec_lo
                                        ; implicit-def: $vgpr4
.LBB144_18:
	s_and_not1_saveexec_b32 s3, s3
	s_cbranch_execz .LBB144_36
; %bb.19:
	s_mov_b32 s6, exec_lo
                                        ; implicit-def: $vgpr3
	v_cmpx_lt_i16_e32 26, v4
	s_xor_b32 s6, exec_lo, s6
	s_cbranch_execz .LBB144_25
; %bb.20:
	s_mov_b32 s7, exec_lo
                                        ; implicit-def: $sgpr8
                                        ; implicit-def: $vgpr2
	v_cmpx_lt_i16_e32 27, v4
	s_xor_b32 s7, exec_lo, s7
	s_cbranch_execz .LBB144_22
; %bb.21:
	flat_load_b32 v2, v[0:1]
	s_mov_b32 s8, 0
	s_waitcnt vmcnt(0) lgkmcnt(0)
	v_cvt_f32_u32_e32 v2, v2
.LBB144_22:
	s_or_saveexec_b32 s7, s7
	v_mov_b32_e32 v3, s8
	s_xor_b32 exec_lo, exec_lo, s7
	s_cbranch_execz .LBB144_24
; %bb.23:
	flat_load_u16 v2, v[0:1]
	v_mov_b32_e32 v3, 0
	s_waitcnt vmcnt(0) lgkmcnt(0)
	v_cvt_f32_u32_e32 v2, v2
.LBB144_24:
	s_or_b32 exec_lo, exec_lo, s7
.LBB144_25:
	s_and_not1_saveexec_b32 s6, s6
	s_cbranch_execz .LBB144_35
; %bb.26:
	flat_load_u8 v4, v[0:1]
	s_mov_b32 s7, 0
	s_mov_b32 s10, exec_lo
                                        ; implicit-def: $sgpr9
                                        ; implicit-def: $sgpr8
	s_waitcnt vmcnt(0) lgkmcnt(0)
	v_cmpx_lt_i16_e32 0x7f, v4
	s_xor_b32 s10, exec_lo, s10
	s_cbranch_execz .LBB144_30
; %bb.27:
	s_mov_b32 s7, -1
	s_mov_b32 s11, exec_lo
                                        ; implicit-def: $sgpr9
                                        ; implicit-def: $sgpr8
	v_cmpx_eq_u16_e32 0x80, v4
; %bb.28:
	s_mov_b32 s8, 0x7f800001
	s_mov_b32 s9, 0
	s_xor_b32 s7, exec_lo, -1
; %bb.29:
	s_or_b32 exec_lo, exec_lo, s11
	s_delay_alu instid0(SALU_CYCLE_1)
	s_and_b32 s7, s7, exec_lo
.LBB144_30:
	s_or_saveexec_b32 s10, s10
	v_dual_mov_b32 v3, s9 :: v_dual_mov_b32 v2, s8
	s_xor_b32 exec_lo, exec_lo, s10
; %bb.31:
	v_mov_b32_e32 v3, 0
	v_cmp_ne_u16_e32 vcc_lo, 0, v4
	s_and_not1_b32 s7, s7, exec_lo
	s_delay_alu instid0(VALU_DEP_2) | instskip(SKIP_1) | instid1(SALU_CYCLE_1)
	v_mov_b32_e32 v2, v3
	s_and_b32 s8, vcc_lo, exec_lo
	s_or_b32 s7, s7, s8
; %bb.32:
	s_or_b32 exec_lo, exec_lo, s10
	s_and_saveexec_b32 s8, s7
	s_cbranch_execz .LBB144_34
; %bb.33:
	v_and_b32_e32 v2, 0xffff, v4
	v_lshlrev_b32_e32 v4, 24, v4
	s_delay_alu instid0(VALU_DEP_2) | instskip(NEXT) | instid1(VALU_DEP_2)
	v_and_b32_e32 v3, 7, v2
	v_and_b32_e32 v4, 0x80000000, v4
	s_delay_alu instid0(VALU_DEP_2) | instskip(NEXT) | instid1(VALU_DEP_1)
	v_clz_i32_u32_e32 v5, v3
	v_min_u32_e32 v5, 32, v5
	s_delay_alu instid0(VALU_DEP_1) | instskip(SKIP_1) | instid1(VALU_DEP_2)
	v_subrev_nc_u32_e32 v6, 28, v5
	v_sub_nc_u32_e32 v5, 29, v5
	v_lshlrev_b32_e32 v6, v6, v2
	v_bfe_u32 v2, v2, 3, 4
	s_delay_alu instid0(VALU_DEP_2) | instskip(NEXT) | instid1(VALU_DEP_2)
	v_and_b32_e32 v6, 7, v6
	v_cmp_eq_u32_e32 vcc_lo, 0, v2
	s_delay_alu instid0(VALU_DEP_2) | instskip(NEXT) | instid1(VALU_DEP_1)
	v_dual_cndmask_b32 v2, v2, v5 :: v_dual_cndmask_b32 v3, v3, v6
	v_lshl_add_u32 v2, v2, 23, 0x3b800000
	s_delay_alu instid0(VALU_DEP_2) | instskip(NEXT) | instid1(VALU_DEP_1)
	v_lshlrev_b32_e32 v3, 20, v3
	v_or3_b32 v2, v4, v2, v3
	v_mov_b32_e32 v3, 0
.LBB144_34:
	s_or_b32 exec_lo, exec_lo, s8
.LBB144_35:
	s_delay_alu instid0(SALU_CYCLE_1) | instskip(NEXT) | instid1(SALU_CYCLE_1)
	s_or_b32 exec_lo, exec_lo, s6
	s_or_b32 s5, s5, exec_lo
.LBB144_36:
	s_or_b32 exec_lo, exec_lo, s3
	s_delay_alu instid0(SALU_CYCLE_1)
	s_and_b32 s3, s5, exec_lo
	s_and_b32 s4, s4, exec_lo
                                        ; implicit-def: $vgpr4
	s_and_not1_saveexec_b32 s2, s2
	s_cbranch_execnz .LBB144_92
.LBB144_37:
	s_or_b32 exec_lo, exec_lo, s2
	s_and_saveexec_b32 s2, s4
	s_cbranch_execnz .LBB144_119
.LBB144_38:
	s_or_b32 exec_lo, exec_lo, s2
	s_and_saveexec_b32 s2, s1
	s_delay_alu instid0(SALU_CYCLE_1)
	s_xor_b32 s1, exec_lo, s2
	s_cbranch_execz .LBB144_40
.LBB144_39:
	flat_load_u8 v0, v[0:1]
	v_mov_b32_e32 v3, 0
	s_or_b32 s3, s3, exec_lo
	s_waitcnt vmcnt(0) lgkmcnt(0)
	v_cmp_ne_u16_e32 vcc_lo, 0, v0
	v_cndmask_b32_e64 v2, 0, 1.0, vcc_lo
.LBB144_40:
	s_or_b32 exec_lo, exec_lo, s1
	s_delay_alu instid0(SALU_CYCLE_1)
	s_and_b32 s1, s3, exec_lo
                                        ; implicit-def: $vgpr4
                                        ; implicit-def: $vgpr0_vgpr1
.LBB144_41:
	s_and_not1_saveexec_b32 s0, s0
	s_cbranch_execz .LBB144_83
; %bb.42:
	s_mov_b32 s2, exec_lo
                                        ; implicit-def: $vgpr3
	v_cmpx_lt_i16_e32 4, v4
	s_xor_b32 s2, exec_lo, s2
	s_cbranch_execz .LBB144_64
; %bb.43:
	s_mov_b32 s3, exec_lo
                                        ; implicit-def: $vgpr3
	v_cmpx_lt_i16_e32 7, v4
	s_xor_b32 s3, exec_lo, s3
	;; [unrolled: 6-line block ×4, first 2 shown]
	s_cbranch_execz .LBB144_47
; %bb.46:
	flat_load_b128 v[1:4], v[0:1]
	s_waitcnt vmcnt(0) lgkmcnt(0)
	v_cvt_f32_f64_e32 v2, v[1:2]
	v_cvt_f32_f64_e32 v3, v[3:4]
                                        ; implicit-def: $vgpr0_vgpr1
.LBB144_47:
	s_and_not1_saveexec_b32 s5, s5
	s_cbranch_execz .LBB144_49
; %bb.48:
	flat_load_b64 v[2:3], v[0:1]
.LBB144_49:
	s_or_b32 exec_lo, exec_lo, s5
                                        ; implicit-def: $vgpr0_vgpr1
.LBB144_50:
	s_and_not1_saveexec_b32 s4, s4
	s_cbranch_execz .LBB144_52
; %bb.51:
	flat_load_b32 v0, v[0:1]
	s_waitcnt vmcnt(0) lgkmcnt(0)
	v_lshrrev_b32_e32 v1, 16, v0
	v_cvt_f32_f16_e32 v2, v0
	s_delay_alu instid0(VALU_DEP_2)
	v_cvt_f32_f16_e32 v3, v1
.LBB144_52:
	s_or_b32 exec_lo, exec_lo, s4
                                        ; implicit-def: $vgpr0_vgpr1
                                        ; implicit-def: $vgpr4
.LBB144_53:
	s_and_not1_saveexec_b32 s3, s3
	s_cbranch_execz .LBB144_63
; %bb.54:
	s_mov_b32 s4, exec_lo
                                        ; implicit-def: $vgpr3
	v_cmpx_lt_i16_e32 5, v4
	s_xor_b32 s4, exec_lo, s4
	s_cbranch_execz .LBB144_60
; %bb.55:
	s_mov_b32 s6, exec_lo
                                        ; implicit-def: $sgpr5
                                        ; implicit-def: $vgpr2
	v_cmpx_lt_i16_e32 6, v4
	s_xor_b32 s6, exec_lo, s6
	s_cbranch_execz .LBB144_57
; %bb.56:
	flat_load_b64 v[0:1], v[0:1]
	s_mov_b32 s5, 0
	s_waitcnt vmcnt(0) lgkmcnt(0)
	v_cvt_f32_f64_e32 v2, v[0:1]
                                        ; implicit-def: $vgpr0_vgpr1
.LBB144_57:
	s_or_saveexec_b32 s6, s6
	s_waitcnt vmcnt(0) lgkmcnt(0)
	v_mov_b32_e32 v3, s5
	s_xor_b32 exec_lo, exec_lo, s6
	s_cbranch_execz .LBB144_59
; %bb.58:
	flat_load_b32 v2, v[0:1]
	v_mov_b32_e32 v3, 0
.LBB144_59:
	s_or_b32 exec_lo, exec_lo, s6
                                        ; implicit-def: $vgpr0_vgpr1
.LBB144_60:
	s_and_not1_saveexec_b32 s4, s4
	s_cbranch_execz .LBB144_62
; %bb.61:
	flat_load_u16 v0, v[0:1]
	s_waitcnt vmcnt(1) lgkmcnt(1)
	v_mov_b32_e32 v3, 0
	s_waitcnt vmcnt(0) lgkmcnt(0)
	v_cvt_f32_f16_e32 v2, v0
.LBB144_62:
	s_or_b32 exec_lo, exec_lo, s4
.LBB144_63:
	s_delay_alu instid0(SALU_CYCLE_1)
	s_or_b32 exec_lo, exec_lo, s3
                                        ; implicit-def: $vgpr4
                                        ; implicit-def: $vgpr0_vgpr1
.LBB144_64:
	s_and_not1_saveexec_b32 s2, s2
	s_cbranch_execz .LBB144_82
; %bb.65:
	s_mov_b32 s3, exec_lo
                                        ; implicit-def: $vgpr3
	v_cmpx_lt_i16_e32 1, v4
	s_xor_b32 s3, exec_lo, s3
	s_cbranch_execz .LBB144_75
; %bb.66:
	s_mov_b32 s4, exec_lo
                                        ; implicit-def: $vgpr3
	v_cmpx_lt_i16_e32 2, v4
	s_xor_b32 s4, exec_lo, s4
	s_cbranch_execz .LBB144_72
; %bb.67:
	s_mov_b32 s5, exec_lo
                                        ; implicit-def: $sgpr6
                                        ; implicit-def: $vgpr2
	v_cmpx_lt_i16_e32 3, v4
	s_xor_b32 s5, exec_lo, s5
	s_cbranch_execz .LBB144_69
; %bb.68:
	flat_load_b64 v[0:1], v[0:1]
	s_mov_b32 s6, 0
	s_waitcnt vmcnt(0) lgkmcnt(0)
	v_xor_b32_e32 v2, v0, v1
	v_cls_i32_e32 v3, v1
	s_delay_alu instid0(VALU_DEP_2) | instskip(NEXT) | instid1(VALU_DEP_2)
	v_ashrrev_i32_e32 v2, 31, v2
	v_add_nc_u32_e32 v3, -1, v3
	s_delay_alu instid0(VALU_DEP_2) | instskip(NEXT) | instid1(VALU_DEP_1)
	v_add_nc_u32_e32 v2, 32, v2
	v_min_u32_e32 v2, v3, v2
	s_delay_alu instid0(VALU_DEP_1) | instskip(NEXT) | instid1(VALU_DEP_1)
	v_lshlrev_b64 v[0:1], v2, v[0:1]
	v_min_u32_e32 v0, 1, v0
	s_delay_alu instid0(VALU_DEP_1) | instskip(SKIP_1) | instid1(VALU_DEP_2)
	v_or_b32_e32 v0, v1, v0
	v_sub_nc_u32_e32 v1, 32, v2
	v_cvt_f32_i32_e32 v0, v0
	s_delay_alu instid0(VALU_DEP_1)
	v_ldexp_f32 v2, v0, v1
                                        ; implicit-def: $vgpr0_vgpr1
.LBB144_69:
	s_or_saveexec_b32 s5, s5
	s_waitcnt vmcnt(0) lgkmcnt(0)
	v_mov_b32_e32 v3, s6
	s_xor_b32 exec_lo, exec_lo, s5
	s_cbranch_execz .LBB144_71
; %bb.70:
	flat_load_b32 v0, v[0:1]
	v_mov_b32_e32 v3, 0
	s_waitcnt vmcnt(0) lgkmcnt(0)
	v_cvt_f32_i32_e32 v2, v0
.LBB144_71:
	s_or_b32 exec_lo, exec_lo, s5
                                        ; implicit-def: $vgpr0_vgpr1
.LBB144_72:
	s_and_not1_saveexec_b32 s4, s4
	s_cbranch_execz .LBB144_74
; %bb.73:
	flat_load_i16 v0, v[0:1]
	s_waitcnt vmcnt(1) lgkmcnt(1)
	v_mov_b32_e32 v3, 0
	s_waitcnt vmcnt(0) lgkmcnt(0)
	v_cvt_f32_i32_e32 v2, v0
.LBB144_74:
	s_or_b32 exec_lo, exec_lo, s4
                                        ; implicit-def: $vgpr0_vgpr1
                                        ; implicit-def: $vgpr4
.LBB144_75:
	s_and_not1_saveexec_b32 s3, s3
	s_cbranch_execz .LBB144_81
; %bb.76:
	s_mov_b32 s4, 0
	s_mov_b32 s5, exec_lo
                                        ; implicit-def: $vgpr2
	v_cmpx_lt_i16_e32 0, v4
	s_xor_b32 s5, exec_lo, s5
	s_cbranch_execz .LBB144_78
; %bb.77:
	flat_load_i8 v0, v[0:1]
	s_waitcnt vmcnt(0) lgkmcnt(0)
	v_cvt_f32_i32_e32 v2, v0
                                        ; implicit-def: $vgpr0_vgpr1
.LBB144_78:
	s_or_saveexec_b32 s5, s5
	s_waitcnt vmcnt(0) lgkmcnt(0)
	v_mov_b32_e32 v3, s4
	s_xor_b32 exec_lo, exec_lo, s5
	s_cbranch_execz .LBB144_80
; %bb.79:
	flat_load_u8 v0, v[0:1]
	v_mov_b32_e32 v3, 0
	s_waitcnt vmcnt(0) lgkmcnt(0)
	v_cvt_f32_ubyte0_e32 v2, v0
.LBB144_80:
	s_or_b32 exec_lo, exec_lo, s5
.LBB144_81:
	s_delay_alu instid0(SALU_CYCLE_1)
	s_or_b32 exec_lo, exec_lo, s3
.LBB144_82:
	s_delay_alu instid0(SALU_CYCLE_1) | instskip(NEXT) | instid1(SALU_CYCLE_1)
	s_or_b32 exec_lo, exec_lo, s2
	s_or_b32 s1, s1, exec_lo
.LBB144_83:
	s_or_b32 exec_lo, exec_lo, s0
                                        ; implicit-def: $vgpr0
                                        ; implicit-def: $vgpr1
	s_and_saveexec_b32 s3, s1
	s_cbranch_execz .LBB144_90
; %bb.84:
	s_waitcnt vmcnt(0) lgkmcnt(0)
	s_delay_alu instid0(VALU_DEP_1) | instskip(SKIP_1) | instid1(VALU_DEP_1)
	v_mul_f32_e32 v0, 0.5, v3
                                        ; implicit-def: $vgpr6
                                        ; implicit-def: $vgpr4
	s_mov_b32 s1, exec_lo
	v_and_b32_e32 v1, 0x7fffffff, v0
	v_cmpx_ngt_f32_e64 0x48000000, |v0|
	s_xor_b32 s4, exec_lo, s1
	s_cbranch_execz .LBB144_86
; %bb.85:
	s_mov_b32 s0, 0x7fffff
	v_mov_b32_e32 v6, 0
	v_and_or_b32 v14, v1, s0, 0x800000
	v_lshrrev_b32_e32 v11, 23, v1
	s_delay_alu instid0(VALU_DEP_2) | instskip(NEXT) | instid1(VALU_DEP_2)
	v_mad_u64_u32 v[4:5], null, 0xfe5163ab, v14, 0
	v_add_nc_u32_e32 v12, 0xffffff88, v11
	s_delay_alu instid0(VALU_DEP_1) | instskip(NEXT) | instid1(VALU_DEP_3)
	v_cmp_lt_u32_e32 vcc_lo, 63, v12
	v_mad_u64_u32 v[7:8], null, 0x3c439041, v14, v[5:6]
	v_cndmask_b32_e64 v13, 0, 0xffffffc0, vcc_lo
	s_delay_alu instid0(VALU_DEP_2) | instskip(NEXT) | instid1(VALU_DEP_2)
	v_mov_b32_e32 v5, v8
	v_add_nc_u32_e32 v13, v13, v12
	s_delay_alu instid0(VALU_DEP_2) | instskip(NEXT) | instid1(VALU_DEP_2)
	v_mad_u64_u32 v[8:9], null, 0xdb629599, v14, v[5:6]
	v_cmp_lt_u32_e64 s0, 31, v13
	s_delay_alu instid0(VALU_DEP_1) | instskip(NEXT) | instid1(VALU_DEP_3)
	v_cndmask_b32_e64 v15, 0, 0xffffffe0, s0
	v_dual_mov_b32 v5, v9 :: v_dual_cndmask_b32 v4, v8, v4
	s_delay_alu instid0(VALU_DEP_2) | instskip(NEXT) | instid1(VALU_DEP_2)
	v_add_nc_u32_e32 v15, v15, v13
	v_mad_u64_u32 v[9:10], null, 0xf534ddc0, v14, v[5:6]
	s_delay_alu instid0(VALU_DEP_2) | instskip(NEXT) | instid1(VALU_DEP_2)
	v_cmp_lt_u32_e64 s1, 31, v15
	v_mov_b32_e32 v5, v10
	s_delay_alu instid0(VALU_DEP_3) | instskip(NEXT) | instid1(VALU_DEP_2)
	v_cndmask_b32_e32 v7, v9, v7, vcc_lo
	v_mad_u64_u32 v[10:11], null, 0xfc2757d1, v14, v[5:6]
	s_delay_alu instid0(VALU_DEP_2) | instskip(NEXT) | instid1(VALU_DEP_2)
	v_cndmask_b32_e64 v4, v7, v4, s0
	v_mov_b32_e32 v5, v11
	s_delay_alu instid0(VALU_DEP_1) | instskip(NEXT) | instid1(VALU_DEP_1)
	v_mad_u64_u32 v[11:12], null, 0x4e441529, v14, v[5:6]
	v_mov_b32_e32 v5, v12
	s_delay_alu instid0(VALU_DEP_1) | instskip(SKIP_1) | instid1(VALU_DEP_1)
	v_mad_u64_u32 v[12:13], null, 0xa2f9836e, v14, v[5:6]
	v_cndmask_b32_e64 v5, 0, 0xffffffe0, s1
	v_dual_cndmask_b32 v6, v11, v9 :: v_dual_add_nc_u32 v5, v5, v15
	s_delay_alu instid0(VALU_DEP_3) | instskip(NEXT) | instid1(VALU_DEP_4)
	v_cndmask_b32_e32 v12, v12, v10, vcc_lo
	v_dual_cndmask_b32 v10, v10, v8 :: v_dual_cndmask_b32 v11, v13, v11
	s_delay_alu instid0(VALU_DEP_3) | instskip(NEXT) | instid1(VALU_DEP_3)
	v_cmp_eq_u32_e64 s2, 0, v5
	v_cndmask_b32_e64 v9, v12, v6, s0
	s_delay_alu instid0(VALU_DEP_3) | instskip(NEXT) | instid1(VALU_DEP_4)
	v_cndmask_b32_e64 v6, v6, v10, s0
	v_cndmask_b32_e64 v11, v11, v12, s0
	v_sub_nc_u32_e32 v12, 32, v5
	v_cndmask_b32_e64 v10, v10, v7, s0
	s_delay_alu instid0(VALU_DEP_3) | instskip(SKIP_1) | instid1(VALU_DEP_3)
	v_cndmask_b32_e64 v11, v11, v9, s1
	v_cndmask_b32_e64 v9, v9, v6, s1
	;; [unrolled: 1-line block ×4, first 2 shown]
	s_delay_alu instid0(VALU_DEP_3) | instskip(NEXT) | instid1(VALU_DEP_3)
	v_alignbit_b32 v13, v11, v9, v12
	v_alignbit_b32 v14, v9, v6, v12
	s_delay_alu instid0(VALU_DEP_3) | instskip(NEXT) | instid1(VALU_DEP_3)
	v_alignbit_b32 v12, v6, v4, v12
	v_cndmask_b32_e64 v5, v13, v11, s2
	s_delay_alu instid0(VALU_DEP_3) | instskip(NEXT) | instid1(VALU_DEP_3)
	v_cndmask_b32_e64 v8, v14, v9, s2
	v_cndmask_b32_e64 v6, v12, v6, s2
	s_delay_alu instid0(VALU_DEP_3) | instskip(NEXT) | instid1(VALU_DEP_3)
	v_bfe_u32 v9, v5, 29, 1
	v_alignbit_b32 v7, v5, v8, 30
	s_delay_alu instid0(VALU_DEP_3) | instskip(SKIP_1) | instid1(VALU_DEP_4)
	v_alignbit_b32 v8, v8, v6, 30
	v_alignbit_b32 v4, v6, v4, 30
	v_sub_nc_u32_e32 v11, 0, v9
	s_delay_alu instid0(VALU_DEP_1) | instskip(SKIP_3) | instid1(VALU_DEP_4)
	v_xor_b32_e32 v10, v7, v11
	v_cmp_ne_u32_e32 vcc_lo, v7, v11
	v_xor_b32_e32 v6, v8, v11
	v_xor_b32_e32 v4, v4, v11
	v_clz_i32_u32_e32 v13, v10
	s_delay_alu instid0(VALU_DEP_1) | instskip(NEXT) | instid1(VALU_DEP_1)
	v_add_nc_u32_e32 v12, 1, v13
	v_cndmask_b32_e32 v7, 33, v12, vcc_lo
	s_delay_alu instid0(VALU_DEP_1) | instskip(NEXT) | instid1(VALU_DEP_1)
	v_sub_nc_u32_e32 v8, 32, v7
	v_alignbit_b32 v10, v10, v6, v8
	v_alignbit_b32 v4, v6, v4, v8
	v_lshrrev_b32_e32 v6, 29, v5
	v_lshrrev_b32_e32 v5, 30, v5
	s_delay_alu instid0(VALU_DEP_3) | instskip(NEXT) | instid1(VALU_DEP_3)
	v_alignbit_b32 v8, v10, v4, 9
	v_lshlrev_b32_e32 v6, 31, v6
	v_alignbit_b32 v10, v7, v10, 9
	s_delay_alu instid0(VALU_DEP_3) | instskip(NEXT) | instid1(VALU_DEP_2)
	v_clz_i32_u32_e32 v11, v8
	v_or_b32_e32 v10, v10, v6
	v_or_b32_e32 v6, 0x33800000, v6
	s_delay_alu instid0(VALU_DEP_3) | instskip(NEXT) | instid1(VALU_DEP_3)
	v_min_u32_e32 v11, 32, v11
	v_xor_b32_e32 v10, 1.0, v10
	s_delay_alu instid0(VALU_DEP_2) | instskip(SKIP_1) | instid1(VALU_DEP_3)
	v_sub_nc_u32_e32 v12, 31, v11
	v_add_lshl_u32 v7, v11, v7, 23
	v_mul_f32_e32 v11, 0x3fc90fda, v10
	s_delay_alu instid0(VALU_DEP_3) | instskip(NEXT) | instid1(VALU_DEP_3)
	v_alignbit_b32 v4, v8, v4, v12
	v_sub_nc_u32_e32 v6, v6, v7
	s_delay_alu instid0(VALU_DEP_3) | instskip(NEXT) | instid1(VALU_DEP_3)
	v_fma_f32 v7, 0x3fc90fda, v10, -v11
	v_lshrrev_b32_e32 v4, 9, v4
	s_delay_alu instid0(VALU_DEP_2) | instskip(NEXT) | instid1(VALU_DEP_2)
	v_fmamk_f32 v7, v10, 0x33a22168, v7
	v_or_b32_e32 v4, v6, v4
	s_delay_alu instid0(VALU_DEP_1) | instskip(NEXT) | instid1(VALU_DEP_1)
	v_dual_fmac_f32 v7, 0x3fc90fda, v4 :: v_dual_add_nc_u32 v6, v9, v5
	v_add_f32_e32 v4, v11, v7
.LBB144_86:
	s_and_not1_saveexec_b32 s0, s4
; %bb.87:
	v_mul_f32_e64 v4, 0x3f22f983, |v0|
	s_delay_alu instid0(VALU_DEP_1) | instskip(NEXT) | instid1(VALU_DEP_1)
	v_rndne_f32_e32 v5, v4
	v_fma_f32 v4, 0xbfc90fda, v5, |v0|
	v_cvt_i32_f32_e32 v6, v5
	s_delay_alu instid0(VALU_DEP_2) | instskip(NEXT) | instid1(VALU_DEP_1)
	v_fmamk_f32 v4, v5, 0xb3a22168, v4
	v_fmamk_f32 v4, v5, 0xa7c234c4, v4
; %bb.88:
	s_or_b32 exec_lo, exec_lo, s0
	v_and_b32_e32 v5, 0x7fffffff, v3
	v_cmp_ngt_f32_e64 s4, 0x48000000, |v3|
                                        ; implicit-def: $vgpr8
                                        ; implicit-def: $vgpr7
	s_delay_alu instid0(VALU_DEP_2) | instskip(NEXT) | instid1(VALU_DEP_2)
	v_lshrrev_b32_e32 v9, 23, v5
	s_and_saveexec_b32 s0, s4
	s_delay_alu instid0(SALU_CYCLE_1)
	s_xor_b32 s5, exec_lo, s0
	s_cbranch_execz .LBB144_121
; %bb.89:
	s_mov_b32 s0, 0x7fffff
	s_delay_alu instid0(SALU_CYCLE_1) | instskip(NEXT) | instid1(VALU_DEP_1)
	v_and_or_b32 v19, v5, s0, 0x800000
	v_mad_u64_u32 v[7:8], null, 0xfe5163ab, v19, 0
	s_delay_alu instid0(VALU_DEP_1) | instskip(SKIP_1) | instid1(VALU_DEP_2)
	v_dual_mov_b32 v11, 0 :: v_dual_mov_b32 v10, v8
	v_add_nc_u32_e32 v8, 0xffffff88, v9
	v_mad_u64_u32 v[12:13], null, 0x3c439041, v19, v[10:11]
	s_delay_alu instid0(VALU_DEP_2) | instskip(SKIP_1) | instid1(VALU_DEP_3)
	v_cmp_lt_u32_e32 vcc_lo, 63, v8
	v_cndmask_b32_e64 v17, 0, 0xffffffc0, vcc_lo
	v_mov_b32_e32 v10, v13
	s_delay_alu instid0(VALU_DEP_2) | instskip(NEXT) | instid1(VALU_DEP_2)
	v_add_nc_u32_e32 v8, v17, v8
	v_mad_u64_u32 v[13:14], null, 0xdb629599, v19, v[10:11]
	s_delay_alu instid0(VALU_DEP_2) | instskip(NEXT) | instid1(VALU_DEP_2)
	v_cmp_lt_u32_e64 s0, 31, v8
	v_mov_b32_e32 v10, v14
	s_delay_alu instid0(VALU_DEP_2) | instskip(NEXT) | instid1(VALU_DEP_4)
	v_cndmask_b32_e64 v18, 0, 0xffffffe0, s0
	v_cndmask_b32_e32 v7, v13, v7, vcc_lo
	s_delay_alu instid0(VALU_DEP_3) | instskip(NEXT) | instid1(VALU_DEP_3)
	v_mad_u64_u32 v[14:15], null, 0xf534ddc0, v19, v[10:11]
	v_add_nc_u32_e32 v8, v18, v8
	s_delay_alu instid0(VALU_DEP_1) | instskip(NEXT) | instid1(VALU_DEP_3)
	v_cmp_lt_u32_e64 s1, 31, v8
	v_mov_b32_e32 v10, v15
	s_delay_alu instid0(VALU_DEP_1) | instskip(NEXT) | instid1(VALU_DEP_1)
	v_mad_u64_u32 v[15:16], null, 0xfc2757d1, v19, v[10:11]
	v_mov_b32_e32 v10, v16
	s_delay_alu instid0(VALU_DEP_1) | instskip(NEXT) | instid1(VALU_DEP_1)
	v_mad_u64_u32 v[16:17], null, 0x4e441529, v19, v[10:11]
	v_mov_b32_e32 v10, v17
	s_delay_alu instid0(VALU_DEP_1) | instskip(SKIP_1) | instid1(VALU_DEP_1)
	v_mad_u64_u32 v[17:18], null, 0xa2f9836e, v19, v[10:11]
	v_cndmask_b32_e64 v10, 0, 0xffffffe0, s1
	v_dual_cndmask_b32 v11, v16, v14 :: v_dual_add_nc_u32 v8, v10, v8
	s_delay_alu instid0(VALU_DEP_3) | instskip(SKIP_1) | instid1(VALU_DEP_3)
	v_dual_cndmask_b32 v17, v17, v15 :: v_dual_cndmask_b32 v16, v18, v16
	v_dual_cndmask_b32 v15, v15, v13 :: v_dual_cndmask_b32 v10, v14, v12
	v_cmp_eq_u32_e64 s2, 0, v8
	s_delay_alu instid0(VALU_DEP_3) | instskip(NEXT) | instid1(VALU_DEP_4)
	v_cndmask_b32_e64 v12, v17, v11, s0
	v_cndmask_b32_e64 v14, v16, v17, s0
	s_delay_alu instid0(VALU_DEP_4)
	v_cndmask_b32_e64 v11, v11, v15, s0
	v_sub_nc_u32_e32 v16, 32, v8
	v_cndmask_b32_e64 v15, v15, v10, s0
	v_cndmask_b32_e64 v7, v10, v7, s0
	;; [unrolled: 1-line block ×4, first 2 shown]
	s_delay_alu instid0(VALU_DEP_4) | instskip(NEXT) | instid1(VALU_DEP_4)
	v_cndmask_b32_e64 v11, v11, v15, s1
	v_cndmask_b32_e64 v7, v15, v7, s1
	s_delay_alu instid0(VALU_DEP_3) | instskip(NEXT) | instid1(VALU_DEP_3)
	v_alignbit_b32 v17, v14, v12, v16
	v_alignbit_b32 v18, v12, v11, v16
	s_delay_alu instid0(VALU_DEP_3) | instskip(NEXT) | instid1(VALU_DEP_3)
	v_alignbit_b32 v16, v11, v7, v16
	v_cndmask_b32_e64 v8, v17, v14, s2
	s_delay_alu instid0(VALU_DEP_3) | instskip(NEXT) | instid1(VALU_DEP_3)
	v_cndmask_b32_e64 v12, v18, v12, s2
	v_cndmask_b32_e64 v11, v16, v11, s2
	s_delay_alu instid0(VALU_DEP_3) | instskip(NEXT) | instid1(VALU_DEP_3)
	v_bfe_u32 v13, v8, 29, 1
	v_alignbit_b32 v10, v8, v12, 30
	s_delay_alu instid0(VALU_DEP_3) | instskip(SKIP_1) | instid1(VALU_DEP_4)
	v_alignbit_b32 v12, v12, v11, 30
	v_alignbit_b32 v7, v11, v7, 30
	v_sub_nc_u32_e32 v14, 0, v13
	s_delay_alu instid0(VALU_DEP_1) | instskip(SKIP_3) | instid1(VALU_DEP_4)
	v_xor_b32_e32 v15, v10, v14
	v_cmp_ne_u32_e32 vcc_lo, v10, v14
	v_xor_b32_e32 v11, v12, v14
	v_xor_b32_e32 v7, v7, v14
	v_clz_i32_u32_e32 v17, v15
	s_delay_alu instid0(VALU_DEP_1) | instskip(NEXT) | instid1(VALU_DEP_1)
	v_add_nc_u32_e32 v16, 1, v17
	v_cndmask_b32_e32 v10, 33, v16, vcc_lo
	s_delay_alu instid0(VALU_DEP_1) | instskip(NEXT) | instid1(VALU_DEP_1)
	v_sub_nc_u32_e32 v12, 32, v10
	v_alignbit_b32 v14, v15, v11, v12
	v_alignbit_b32 v7, v11, v7, v12
	v_lshrrev_b32_e32 v11, 29, v8
	v_lshrrev_b32_e32 v8, 30, v8
	s_delay_alu instid0(VALU_DEP_3) | instskip(NEXT) | instid1(VALU_DEP_3)
	v_alignbit_b32 v12, v14, v7, 9
	v_lshlrev_b32_e32 v11, 31, v11
	v_alignbit_b32 v14, v10, v14, 9
	s_delay_alu instid0(VALU_DEP_4) | instskip(NEXT) | instid1(VALU_DEP_4)
	v_add_nc_u32_e32 v8, v13, v8
	v_clz_i32_u32_e32 v15, v12
	s_delay_alu instid0(VALU_DEP_3) | instskip(SKIP_1) | instid1(VALU_DEP_3)
	v_or_b32_e32 v14, v14, v11
	v_or_b32_e32 v11, 0x33800000, v11
	v_min_u32_e32 v15, 32, v15
	s_delay_alu instid0(VALU_DEP_3) | instskip(NEXT) | instid1(VALU_DEP_2)
	v_xor_b32_e32 v14, 1.0, v14
	v_sub_nc_u32_e32 v16, 31, v15
	v_add_lshl_u32 v10, v15, v10, 23
	s_delay_alu instid0(VALU_DEP_3) | instskip(NEXT) | instid1(VALU_DEP_3)
	v_mul_f32_e32 v15, 0x3fc90fda, v14
	v_alignbit_b32 v7, v12, v7, v16
	s_delay_alu instid0(VALU_DEP_3) | instskip(NEXT) | instid1(VALU_DEP_3)
	v_sub_nc_u32_e32 v10, v11, v10
	v_fma_f32 v11, 0x3fc90fda, v14, -v15
	s_delay_alu instid0(VALU_DEP_3) | instskip(NEXT) | instid1(VALU_DEP_2)
	v_lshrrev_b32_e32 v7, 9, v7
	v_fmamk_f32 v11, v14, 0x33a22168, v11
	s_delay_alu instid0(VALU_DEP_2) | instskip(NEXT) | instid1(VALU_DEP_1)
	v_or_b32_e32 v7, v10, v7
	v_fmac_f32_e32 v11, 0x3fc90fda, v7
	s_delay_alu instid0(VALU_DEP_1)
	v_add_f32_e32 v7, v15, v11
	s_or_saveexec_b32 s0, s5
	v_mul_f32_e64 v12, 0x3f22f983, |v3|
	s_xor_b32 exec_lo, exec_lo, s0
	s_branch .LBB144_122
.LBB144_90:
	s_or_b32 exec_lo, exec_lo, s3
	s_waitcnt vmcnt(0) lgkmcnt(0)
	s_setpc_b64 s[30:31]
.LBB144_91:
	s_and_not1_saveexec_b32 s2, s2
	s_cbranch_execz .LBB144_37
.LBB144_92:
	s_mov_b32 s5, s3
	s_mov_b32 s1, exec_lo
                                        ; implicit-def: $vgpr3
	v_cmpx_lt_i16_e32 22, v4
	s_xor_b32 s1, exec_lo, s1
	s_cbranch_execz .LBB144_110
; %bb.93:
	s_mov_b32 s5, exec_lo
                                        ; implicit-def: $vgpr3
	v_cmpx_lt_i16_e32 23, v4
	s_xor_b32 s5, exec_lo, s5
	s_cbranch_execz .LBB144_107
; %bb.94:
	;; [unrolled: 6-line block ×3, first 2 shown]
	flat_load_u8 v4, v[0:1]
	s_mov_b32 s7, 0
	s_mov_b32 s10, exec_lo
                                        ; implicit-def: $sgpr9
                                        ; implicit-def: $sgpr8
	s_waitcnt vmcnt(0) lgkmcnt(0)
	v_cmpx_lt_i16_e32 0x7f, v4
	s_xor_b32 s10, exec_lo, s10
	s_cbranch_execz .LBB144_99
; %bb.96:
	s_mov_b32 s7, -1
	s_mov_b32 s11, exec_lo
                                        ; implicit-def: $sgpr9
                                        ; implicit-def: $sgpr8
	v_cmpx_eq_u16_e32 0x80, v4
; %bb.97:
	s_mov_b32 s8, 0x7f800001
	s_mov_b32 s9, 0
	s_xor_b32 s7, exec_lo, -1
; %bb.98:
	s_or_b32 exec_lo, exec_lo, s11
	s_delay_alu instid0(SALU_CYCLE_1)
	s_and_b32 s7, s7, exec_lo
.LBB144_99:
	s_or_saveexec_b32 s10, s10
	v_dual_mov_b32 v3, s9 :: v_dual_mov_b32 v2, s8
	s_xor_b32 exec_lo, exec_lo, s10
; %bb.100:
	v_mov_b32_e32 v3, 0
	v_cmp_ne_u16_e32 vcc_lo, 0, v4
	s_and_not1_b32 s7, s7, exec_lo
	s_delay_alu instid0(VALU_DEP_2) | instskip(SKIP_1) | instid1(SALU_CYCLE_1)
	v_mov_b32_e32 v2, v3
	s_and_b32 s8, vcc_lo, exec_lo
	s_or_b32 s7, s7, s8
; %bb.101:
	s_or_b32 exec_lo, exec_lo, s10
	s_and_saveexec_b32 s8, s7
	s_cbranch_execz .LBB144_103
; %bb.102:
	v_and_b32_e32 v2, 0xffff, v4
	v_lshlrev_b32_e32 v4, 24, v4
	s_delay_alu instid0(VALU_DEP_2) | instskip(NEXT) | instid1(VALU_DEP_2)
	v_and_b32_e32 v3, 3, v2
	v_and_b32_e32 v4, 0x80000000, v4
	s_delay_alu instid0(VALU_DEP_2) | instskip(NEXT) | instid1(VALU_DEP_1)
	v_clz_i32_u32_e32 v5, v3
	v_min_u32_e32 v5, 32, v5
	s_delay_alu instid0(VALU_DEP_1) | instskip(SKIP_1) | instid1(VALU_DEP_2)
	v_subrev_nc_u32_e32 v6, 29, v5
	v_sub_nc_u32_e32 v5, 30, v5
	v_lshlrev_b32_e32 v6, v6, v2
	v_bfe_u32 v2, v2, 2, 5
	s_delay_alu instid0(VALU_DEP_2) | instskip(NEXT) | instid1(VALU_DEP_2)
	v_and_b32_e32 v6, 3, v6
	v_cmp_eq_u32_e32 vcc_lo, 0, v2
	s_delay_alu instid0(VALU_DEP_2) | instskip(NEXT) | instid1(VALU_DEP_1)
	v_dual_cndmask_b32 v2, v2, v5 :: v_dual_cndmask_b32 v3, v3, v6
	v_lshl_add_u32 v2, v2, 23, 0x37800000
	s_delay_alu instid0(VALU_DEP_2) | instskip(NEXT) | instid1(VALU_DEP_1)
	v_lshlrev_b32_e32 v3, 21, v3
	v_or3_b32 v2, v4, v2, v3
	v_mov_b32_e32 v3, 0
.LBB144_103:
	s_or_b32 exec_lo, exec_lo, s8
.LBB144_104:
	s_and_not1_saveexec_b32 s6, s6
	s_cbranch_execz .LBB144_106
; %bb.105:
	flat_load_u8 v2, v[0:1]
	s_waitcnt vmcnt(0) lgkmcnt(0)
	v_lshlrev_b32_e32 v2, 24, v2
	s_delay_alu instid0(VALU_DEP_1) | instskip(NEXT) | instid1(VALU_DEP_1)
	v_and_b32_e32 v3, 0x7f000000, v2
	v_clz_i32_u32_e32 v4, v3
	v_add_nc_u32_e32 v6, 0x1000000, v3
	v_cmp_ne_u32_e32 vcc_lo, 0, v3
	s_delay_alu instid0(VALU_DEP_3) | instskip(NEXT) | instid1(VALU_DEP_1)
	v_min_u32_e32 v4, 32, v4
	v_sub_nc_u32_e64 v4, v4, 4 clamp
	s_delay_alu instid0(VALU_DEP_1) | instskip(SKIP_1) | instid1(VALU_DEP_2)
	v_lshlrev_b32_e32 v5, v4, v3
	v_lshlrev_b32_e32 v4, 23, v4
	v_lshrrev_b32_e32 v5, 4, v5
	s_delay_alu instid0(VALU_DEP_1) | instskip(SKIP_1) | instid1(VALU_DEP_2)
	v_sub_nc_u32_e32 v4, v5, v4
	v_ashrrev_i32_e32 v5, 8, v6
	v_add_nc_u32_e32 v4, 0x3c000000, v4
	s_delay_alu instid0(VALU_DEP_1) | instskip(NEXT) | instid1(VALU_DEP_1)
	v_and_or_b32 v4, 0x7f800000, v5, v4
	v_cndmask_b32_e32 v3, 0, v4, vcc_lo
	s_delay_alu instid0(VALU_DEP_1)
	v_and_or_b32 v2, 0x80000000, v2, v3
	v_mov_b32_e32 v3, 0
.LBB144_106:
	s_or_b32 exec_lo, exec_lo, s6
.LBB144_107:
	s_and_not1_saveexec_b32 s5, s5
	s_cbranch_execz .LBB144_109
; %bb.108:
	flat_load_u8 v2, v[0:1]
	s_waitcnt vmcnt(0) lgkmcnt(0)
	v_lshlrev_b32_e32 v3, 25, v2
	v_lshlrev_b16 v2, 8, v2
	s_delay_alu instid0(VALU_DEP_2) | instskip(NEXT) | instid1(VALU_DEP_2)
	v_lshrrev_b32_e32 v4, 4, v3
	v_and_or_b32 v5, 0x7f00, v2, 0.5
	v_bfe_i32 v2, v2, 0, 16
	s_delay_alu instid0(VALU_DEP_3) | instskip(NEXT) | instid1(VALU_DEP_1)
	v_or_b32_e32 v4, 0x70000000, v4
	v_dual_add_f32 v5, -0.5, v5 :: v_dual_mul_f32 v4, 0x7800000, v4
	v_cmp_gt_u32_e32 vcc_lo, 0x8000000, v3
	s_delay_alu instid0(VALU_DEP_2) | instskip(NEXT) | instid1(VALU_DEP_1)
	v_cndmask_b32_e32 v3, v4, v5, vcc_lo
	v_and_or_b32 v2, 0x80000000, v2, v3
	v_mov_b32_e32 v3, 0
.LBB144_109:
	s_or_b32 exec_lo, exec_lo, s5
	s_delay_alu instid0(SALU_CYCLE_1)
	s_or_b32 s5, s3, exec_lo
                                        ; implicit-def: $vgpr4
.LBB144_110:
	s_or_saveexec_b32 s1, s1
	s_mov_b32 s6, 0
	s_mov_b32 s7, s4
	s_xor_b32 exec_lo, exec_lo, s1
	s_cbranch_execz .LBB144_118
; %bb.111:
	s_mov_b32 s7, s4
	s_mov_b32 s8, s5
	s_mov_b32 s9, exec_lo
                                        ; implicit-def: $sgpr6
                                        ; implicit-def: $vgpr2
	v_cmpx_lt_i16_e32 14, v4
	s_xor_b32 s9, exec_lo, s9
	s_cbranch_execz .LBB144_115
; %bb.112:
	s_mov_b32 s7, -1
	s_mov_b32 s8, s5
	s_mov_b32 s10, exec_lo
                                        ; implicit-def: $sgpr6
                                        ; implicit-def: $vgpr2
	v_cmpx_eq_u16_e32 15, v4
	s_cbranch_execz .LBB144_114
; %bb.113:
	flat_load_u16 v2, v[0:1]
	s_mov_b32 s6, 0
	s_or_b32 s8, s5, exec_lo
	s_xor_b32 s7, exec_lo, -1
	s_waitcnt vmcnt(0) lgkmcnt(0)
	v_lshlrev_b32_e32 v2, 16, v2
.LBB144_114:
	s_or_b32 exec_lo, exec_lo, s10
	s_delay_alu instid0(SALU_CYCLE_1)
	s_and_not1_b32 s10, s5, exec_lo
	s_and_b32 s8, s8, exec_lo
	s_and_not1_b32 s11, s4, exec_lo
	s_and_b32 s7, s7, exec_lo
	s_or_b32 s8, s10, s8
	s_or_b32 s7, s11, s7
                                        ; implicit-def: $vgpr4
.LBB144_115:
	s_or_saveexec_b32 s10, s9
	s_mov_b32 s9, 0
	s_xor_b32 exec_lo, exec_lo, s10
; %bb.116:
	v_cmp_ne_u16_e32 vcc_lo, 11, v4
	s_and_not1_b32 s7, s7, exec_lo
	s_mov_b32 s9, exec_lo
                                        ; implicit-def: $vgpr2
	s_and_b32 s11, vcc_lo, exec_lo
	s_delay_alu instid0(SALU_CYCLE_1)
	s_or_b32 s7, s7, s11
; %bb.117:
	s_or_b32 exec_lo, exec_lo, s10
	s_delay_alu instid0(SALU_CYCLE_1)
	s_and_not1_b32 s5, s5, exec_lo
	s_and_b32 s8, s8, exec_lo
	v_mov_b32_e32 v3, s6
	s_or_b32 s5, s5, s8
	s_and_not1_b32 s8, s4, exec_lo
	s_and_b32 s7, s7, exec_lo
	s_and_b32 s6, s9, exec_lo
	s_or_b32 s7, s8, s7
.LBB144_118:
	s_or_b32 exec_lo, exec_lo, s1
	s_delay_alu instid0(SALU_CYCLE_1)
	s_and_not1_b32 s1, s3, exec_lo
	s_and_b32 s3, s5, exec_lo
	s_and_not1_b32 s4, s4, exec_lo
	s_and_b32 s5, s7, exec_lo
	s_or_b32 s3, s1, s3
	s_and_b32 s1, s6, exec_lo
	s_or_b32 s4, s4, s5
	s_or_b32 exec_lo, exec_lo, s2
	s_and_saveexec_b32 s2, s4
	s_cbranch_execz .LBB144_38
.LBB144_119:
	s_cbranch_execnz .LBB144_128
; %bb.120:
	; divergent unreachable
	s_and_not1_b32 s1, s1, exec_lo
                                        ; implicit-def: $vgpr3
	s_or_b32 exec_lo, exec_lo, s2
	s_and_saveexec_b32 s2, s1
	s_delay_alu instid0(SALU_CYCLE_1)
	s_xor_b32 s1, exec_lo, s2
	s_cbranch_execnz .LBB144_39
	s_branch .LBB144_40
.LBB144_121:
	s_or_saveexec_b32 s0, s5
	v_mul_f32_e64 v12, 0x3f22f983, |v3|
	s_xor_b32 exec_lo, exec_lo, s0
.LBB144_122:
	s_delay_alu instid0(VALU_DEP_1) | instskip(NEXT) | instid1(VALU_DEP_1)
	v_rndne_f32_e32 v8, v12
	v_fma_f32 v7, 0xbfc90fda, v8, |v3|
	s_delay_alu instid0(VALU_DEP_1) | instskip(NEXT) | instid1(VALU_DEP_1)
	v_fmamk_f32 v7, v8, 0xb3a22168, v7
	v_fmamk_f32 v7, v8, 0xa7c234c4, v7
	v_cvt_i32_f32_e32 v8, v8
; %bb.123:
	s_or_b32 exec_lo, exec_lo, s0
                                        ; implicit-def: $vgpr11
                                        ; implicit-def: $vgpr10
	s_and_saveexec_b32 s0, s4
	s_delay_alu instid0(SALU_CYCLE_1)
	s_xor_b32 s4, exec_lo, s0
	s_cbranch_execz .LBB144_125
; %bb.124:
	s_mov_b32 s0, 0x7fffff
	v_mov_b32_e32 v12, 0
	v_and_or_b32 v20, v5, s0, 0x800000
	s_delay_alu instid0(VALU_DEP_1) | instskip(NEXT) | instid1(VALU_DEP_1)
	v_mad_u64_u32 v[10:11], null, 0xfe5163ab, v20, 0
	v_mad_u64_u32 v[13:14], null, 0x3c439041, v20, v[11:12]
	s_delay_alu instid0(VALU_DEP_1) | instskip(NEXT) | instid1(VALU_DEP_1)
	v_mov_b32_e32 v11, v14
	v_mad_u64_u32 v[14:15], null, 0xdb629599, v20, v[11:12]
	v_add_nc_u32_e32 v9, 0xffffff88, v9
	s_delay_alu instid0(VALU_DEP_1) | instskip(NEXT) | instid1(VALU_DEP_3)
	v_cmp_lt_u32_e32 vcc_lo, 63, v9
	v_mov_b32_e32 v11, v15
	v_cndmask_b32_e64 v18, 0, 0xffffffc0, vcc_lo
	s_delay_alu instid0(VALU_DEP_2) | instskip(SKIP_1) | instid1(VALU_DEP_3)
	v_mad_u64_u32 v[15:16], null, 0xf534ddc0, v20, v[11:12]
	v_cndmask_b32_e32 v10, v14, v10, vcc_lo
	v_add_nc_u32_e32 v9, v18, v9
	s_delay_alu instid0(VALU_DEP_3) | instskip(NEXT) | instid1(VALU_DEP_2)
	v_mov_b32_e32 v11, v16
	v_cmp_lt_u32_e64 s0, 31, v9
	s_delay_alu instid0(VALU_DEP_2) | instskip(NEXT) | instid1(VALU_DEP_2)
	v_mad_u64_u32 v[16:17], null, 0xfc2757d1, v20, v[11:12]
	v_cndmask_b32_e64 v19, 0, 0xffffffe0, s0
	s_delay_alu instid0(VALU_DEP_1) | instskip(NEXT) | instid1(VALU_DEP_3)
	v_add_nc_u32_e32 v9, v19, v9
	v_mov_b32_e32 v11, v17
	s_delay_alu instid0(VALU_DEP_2) | instskip(NEXT) | instid1(VALU_DEP_2)
	v_cmp_lt_u32_e64 s1, 31, v9
	v_mad_u64_u32 v[17:18], null, 0x4e441529, v20, v[11:12]
	s_delay_alu instid0(VALU_DEP_1) | instskip(NEXT) | instid1(VALU_DEP_1)
	v_mov_b32_e32 v11, v18
	v_mad_u64_u32 v[18:19], null, 0xa2f9836e, v20, v[11:12]
	s_delay_alu instid0(VALU_DEP_4) | instskip(NEXT) | instid1(VALU_DEP_1)
	v_cndmask_b32_e64 v11, 0, 0xffffffe0, s1
	v_dual_cndmask_b32 v12, v17, v15 :: v_dual_add_nc_u32 v9, v11, v9
	s_delay_alu instid0(VALU_DEP_3) | instskip(SKIP_1) | instid1(VALU_DEP_3)
	v_dual_cndmask_b32 v18, v18, v16 :: v_dual_cndmask_b32 v17, v19, v17
	v_dual_cndmask_b32 v16, v16, v14 :: v_dual_cndmask_b32 v11, v15, v13
	v_cmp_eq_u32_e64 s2, 0, v9
	s_delay_alu instid0(VALU_DEP_3) | instskip(NEXT) | instid1(VALU_DEP_4)
	v_cndmask_b32_e64 v13, v18, v12, s0
	v_cndmask_b32_e64 v15, v17, v18, s0
	s_delay_alu instid0(VALU_DEP_4)
	v_cndmask_b32_e64 v12, v12, v16, s0
	v_sub_nc_u32_e32 v17, 32, v9
	v_cndmask_b32_e64 v16, v16, v11, s0
	v_cndmask_b32_e64 v10, v11, v10, s0
	v_cndmask_b32_e64 v15, v15, v13, s1
	v_cndmask_b32_e64 v13, v13, v12, s1
	s_delay_alu instid0(VALU_DEP_4) | instskip(NEXT) | instid1(VALU_DEP_4)
	v_cndmask_b32_e64 v12, v12, v16, s1
	v_cndmask_b32_e64 v10, v16, v10, s1
	s_delay_alu instid0(VALU_DEP_3) | instskip(NEXT) | instid1(VALU_DEP_3)
	v_alignbit_b32 v18, v15, v13, v17
	v_alignbit_b32 v19, v13, v12, v17
	s_delay_alu instid0(VALU_DEP_3) | instskip(NEXT) | instid1(VALU_DEP_3)
	v_alignbit_b32 v17, v12, v10, v17
	v_cndmask_b32_e64 v9, v18, v15, s2
	s_delay_alu instid0(VALU_DEP_3) | instskip(NEXT) | instid1(VALU_DEP_3)
	v_cndmask_b32_e64 v13, v19, v13, s2
	v_cndmask_b32_e64 v12, v17, v12, s2
	s_delay_alu instid0(VALU_DEP_3) | instskip(NEXT) | instid1(VALU_DEP_3)
	v_bfe_u32 v14, v9, 29, 1
	v_alignbit_b32 v11, v9, v13, 30
	s_delay_alu instid0(VALU_DEP_3) | instskip(SKIP_1) | instid1(VALU_DEP_4)
	v_alignbit_b32 v13, v13, v12, 30
	v_alignbit_b32 v10, v12, v10, 30
	v_sub_nc_u32_e32 v15, 0, v14
	s_delay_alu instid0(VALU_DEP_1) | instskip(SKIP_3) | instid1(VALU_DEP_4)
	v_xor_b32_e32 v16, v11, v15
	v_cmp_ne_u32_e32 vcc_lo, v11, v15
	v_xor_b32_e32 v12, v13, v15
	v_xor_b32_e32 v10, v10, v15
	v_clz_i32_u32_e32 v18, v16
	s_delay_alu instid0(VALU_DEP_1) | instskip(NEXT) | instid1(VALU_DEP_1)
	v_add_nc_u32_e32 v17, 1, v18
	v_cndmask_b32_e32 v11, 33, v17, vcc_lo
	s_delay_alu instid0(VALU_DEP_1) | instskip(NEXT) | instid1(VALU_DEP_1)
	v_sub_nc_u32_e32 v13, 32, v11
	v_alignbit_b32 v15, v16, v12, v13
	v_alignbit_b32 v10, v12, v10, v13
	v_lshrrev_b32_e32 v12, 29, v9
	v_lshrrev_b32_e32 v9, 30, v9
	s_delay_alu instid0(VALU_DEP_3) | instskip(NEXT) | instid1(VALU_DEP_3)
	v_alignbit_b32 v13, v15, v10, 9
	v_lshlrev_b32_e32 v12, 31, v12
	v_alignbit_b32 v15, v11, v15, 9
	s_delay_alu instid0(VALU_DEP_3) | instskip(NEXT) | instid1(VALU_DEP_2)
	v_clz_i32_u32_e32 v16, v13
	v_or_b32_e32 v15, v15, v12
	v_or_b32_e32 v12, 0x33800000, v12
	s_delay_alu instid0(VALU_DEP_3) | instskip(NEXT) | instid1(VALU_DEP_3)
	v_min_u32_e32 v16, 32, v16
	v_xor_b32_e32 v15, 1.0, v15
	s_delay_alu instid0(VALU_DEP_2) | instskip(SKIP_1) | instid1(VALU_DEP_3)
	v_sub_nc_u32_e32 v17, 31, v16
	v_add_lshl_u32 v11, v16, v11, 23
	v_mul_f32_e32 v16, 0x3fc90fda, v15
	s_delay_alu instid0(VALU_DEP_3) | instskip(NEXT) | instid1(VALU_DEP_3)
	v_alignbit_b32 v10, v13, v10, v17
	v_sub_nc_u32_e32 v11, v12, v11
	s_delay_alu instid0(VALU_DEP_3) | instskip(NEXT) | instid1(VALU_DEP_3)
	v_fma_f32 v12, 0x3fc90fda, v15, -v16
	v_lshrrev_b32_e32 v10, 9, v10
	s_delay_alu instid0(VALU_DEP_2) | instskip(NEXT) | instid1(VALU_DEP_2)
	v_fmamk_f32 v12, v15, 0x33a22168, v12
	v_or_b32_e32 v10, v11, v10
	s_delay_alu instid0(VALU_DEP_1) | instskip(NEXT) | instid1(VALU_DEP_1)
	v_dual_fmac_f32 v12, 0x3fc90fda, v10 :: v_dual_add_nc_u32 v11, v14, v9
	v_add_f32_e32 v10, v16, v12
                                        ; implicit-def: $vgpr12
	s_and_not1_saveexec_b32 s0, s4
	s_cbranch_execnz .LBB144_126
	s_branch .LBB144_127
.LBB144_125:
	s_and_not1_saveexec_b32 s0, s4
.LBB144_126:
	v_rndne_f32_e32 v9, v12
	s_delay_alu instid0(VALU_DEP_1) | instskip(SKIP_1) | instid1(VALU_DEP_2)
	v_fma_f32 v10, 0xbfc90fda, v9, |v3|
	v_cvt_i32_f32_e32 v11, v9
	v_fmamk_f32 v10, v9, 0xb3a22168, v10
	s_delay_alu instid0(VALU_DEP_1)
	v_fmamk_f32 v10, v9, 0xa7c234c4, v10
.LBB144_127:
	s_or_b32 exec_lo, exec_lo, s0
	v_dual_mul_f32 v9, 0x3fb8aa3b, v2 :: v_dual_lshlrev_b32 v12, 30, v8
	v_dual_mul_f32 v13, v7, v7 :: v_dual_and_b32 v8, 1, v8
	s_mov_b32 s2, 0xb94c1982
	s_delay_alu instid0(VALU_DEP_2) | instskip(SKIP_1) | instid1(VALU_DEP_3)
	v_rndne_f32_e32 v14, v9
	v_lshlrev_b32_e32 v15, 30, v6
	v_dual_mul_f32 v18, v10, v10 :: v_dual_fmaak_f32 v21, s2, v13, 0x3c0881c4
	s_mov_b32 s0, 0x395133b1
	s_delay_alu instid0(VALU_DEP_3)
	v_fmamk_f32 v16, v14, 0xbf317218, v2
	v_cvt_i32_f32_e32 v27, v14
	v_cmp_eq_f32_e32 vcc_lo, 0x43000000, v14
	v_fma_f32 v19, 0x3fb8aa3b, v2, -v9
	v_fmaak_f32 v21, v13, v21, 0xbe2aaa9d
	v_dual_fmamk_f32 v16, v14, 0x3102e308, v16 :: v_dual_sub_f32 v9, v9, v14
	v_cndmask_b32_e64 v14, v27, 0x7f, vcc_lo
	s_delay_alu instid0(VALU_DEP_4) | instskip(SKIP_1) | instid1(VALU_DEP_4)
	v_dual_fmamk_f32 v19, v2, 0x32a5705f, v19 :: v_dual_and_b32 v6, 1, v6
	v_mul_f32_e32 v17, v4, v4
	v_dual_fmaak_f32 v22, s0, v16, 0x3ab69700 :: v_dual_mul_f32 v21, v13, v21
	s_delay_alu instid0(VALU_DEP_4) | instskip(NEXT) | instid1(VALU_DEP_4)
	v_ldexp_f32 v14, 1.0, v14
	v_dual_add_f32 v9, v9, v19 :: v_dual_and_b32 v12, 0x80000000, v12
	s_delay_alu instid0(VALU_DEP_3)
	v_fmaak_f32 v22, v16, v22, 0x3c0887f9
	s_mov_b32 s1, 0x37d75334
	v_cmp_ngt_f32_e64 s0, 0xc2ce8ed0, v2
	v_fmaak_f32 v24, s1, v17, 0xbab64f3b
	v_exp_f32_e32 v9, v9
	v_fmaak_f32 v22, v16, v22, 0x3d2aaa81
	v_xor_b32_e32 v1, v1, v0
	v_dual_fmaak_f32 v26, s1, v18, 0xbab64f3b :: v_dual_fmac_f32 v7, v7, v21
	v_fmaak_f32 v24, v17, v24, 0x3d2aabf7
	s_delay_alu instid0(VALU_DEP_4) | instskip(SKIP_1) | instid1(TRANS32_DEP_1)
	v_fmaak_f32 v22, v16, v22, 0x3e2aaaab
	v_xor_b32_e32 v5, v5, v3
	v_ldexp_f32 v9, v9, v27
	s_delay_alu instid0(VALU_DEP_3) | instskip(SKIP_1) | instid1(VALU_DEP_3)
	v_fma_f32 v19, v16, v22, 0.5
	v_fmaak_f32 v20, s1, v13, 0xbab64f3b
	v_cndmask_b32_e64 v9, 0, v9, s0
	s_delay_alu instid0(VALU_DEP_3) | instskip(SKIP_3) | instid1(VALU_DEP_4)
	v_mul_f32_e32 v19, v16, v19
	v_fmaak_f32 v23, s2, v17, 0x3c0881c4
	v_cmp_eq_u32_e64 s0, 0, v6
	v_fmaak_f32 v20, v13, v20, 0x3d2aabf7
	v_fmac_f32_e32 v16, v16, v19
	s_delay_alu instid0(VALU_DEP_4) | instskip(NEXT) | instid1(VALU_DEP_1)
	v_fmaak_f32 v23, v17, v23, 0xbe2aaa9d
	v_dual_fmaak_f32 v25, s2, v18, 0x3c0881c4 :: v_dual_mul_f32 v22, v17, v23
	s_delay_alu instid0(VALU_DEP_1) | instskip(SKIP_1) | instid1(VALU_DEP_3)
	v_fmaak_f32 v25, v18, v25, 0xbe2aaa9d
	v_and_b32_e32 v15, 0x80000000, v15
	v_dual_fmaak_f32 v23, v17, v24, 0xbf000004 :: v_dual_fmac_f32 v4, v4, v22
	s_delay_alu instid0(VALU_DEP_3) | instskip(NEXT) | instid1(VALU_DEP_1)
	v_dual_mul_f32 v24, v18, v25 :: v_dual_add_f32 v25, -1.0, v14
	v_fmac_f32_e32 v10, v10, v24
	s_delay_alu instid0(VALU_DEP_2) | instskip(NEXT) | instid1(VALU_DEP_4)
	v_fmac_f32_e32 v25, v14, v16
	v_fma_f32 v14, v17, v23, 1.0
	s_delay_alu instid0(VALU_DEP_2) | instskip(NEXT) | instid1(VALU_DEP_2)
	v_add_f32_e32 v16, v25, v25
	v_cndmask_b32_e64 v4, v14, v4, s0
	v_cmp_nlt_f32_e64 s0, 0x42b17218, v2
	s_delay_alu instid0(VALU_DEP_2) | instskip(SKIP_2) | instid1(VALU_DEP_4)
	v_xor3_b32 v1, v1, v15, v4
	v_and_b32_e32 v4, 1, v11
	v_dual_fmaak_f32 v20, v13, v20, 0xbf000004 :: v_dual_lshlrev_b32 v11, 30, v11
	v_cndmask_b32_e64 v6, 0x7f800000, v9, s0
	v_cndmask_b32_e32 v9, v25, v16, vcc_lo
	v_cmp_eq_u32_e32 vcc_lo, 0, v8
	v_cmp_ngt_f32_e64 s0, 0xc1880000, v2
	v_fma_f32 v13, v13, v20, 1.0
	s_delay_alu instid0(VALU_DEP_1) | instskip(SKIP_1) | instid1(VALU_DEP_2)
	v_cndmask_b32_e64 v7, -v7, v13, vcc_lo
	v_cmp_class_f32_e64 vcc_lo, v0, 0x1f8
	v_xor_b32_e32 v7, v12, v7
	v_cndmask_b32_e32 v0, 0x7fc00000, v1, vcc_lo
	v_fmaak_f32 v26, v18, v26, 0x3d2aabf7
	v_cmp_eq_u32_e32 vcc_lo, 0, v4
	v_and_b32_e32 v4, 0x80000000, v11
	s_delay_alu instid0(VALU_DEP_3) | instskip(NEXT) | instid1(VALU_DEP_1)
	v_fmaak_f32 v19, v18, v26, 0xbf000004
	v_fma_f32 v8, v18, v19, 1.0
	s_delay_alu instid0(VALU_DEP_1) | instskip(SKIP_1) | instid1(VALU_DEP_2)
	v_cndmask_b32_e32 v1, v8, v10, vcc_lo
	v_cmp_nlt_f32_e32 vcc_lo, 0x42b17217, v2
	v_xor3_b32 v1, v5, v4, v1
	v_cndmask_b32_e32 v8, 0x7f800000, v9, vcc_lo
	v_cmp_class_f32_e64 vcc_lo, v3, 0x1f8
	v_add_f32_e32 v3, v0, v0
	s_delay_alu instid0(VALU_DEP_3) | instskip(SKIP_1) | instid1(VALU_DEP_3)
	v_cndmask_b32_e64 v2, -1.0, v8, s0
	v_cndmask_b32_e32 v4, 0x7fc00000, v7, vcc_lo
	v_dual_mul_f32 v0, v0, v3 :: v_dual_cndmask_b32 v1, 0x7fc00000, v1
	s_delay_alu instid0(VALU_DEP_1) | instskip(NEXT) | instid1(VALU_DEP_2)
	v_fma_f32 v0, v2, v4, -v0
	v_mul_f32_e32 v1, v6, v1
	s_or_b32 exec_lo, exec_lo, s3
	s_setpc_b64 s[30:31]
.LBB144_128:
	s_trap 2
	s_sendmsg_rtn_b32 s0, sendmsg(MSG_RTN_GET_DOORBELL)
	s_mov_b32 ttmp2, m0
	s_waitcnt lgkmcnt(0)
	s_and_b32 s0, s0, 0x3ff
	s_delay_alu instid0(SALU_CYCLE_1) | instskip(NEXT) | instid1(SALU_CYCLE_1)
	s_bitset1_b32 s0, 10
	s_mov_b32 m0, s0
	s_sendmsg sendmsg(MSG_INTERRUPT)
	s_mov_b32 m0, ttmp2
.LBB144_129:                            ; =>This Inner Loop Header: Depth=1
	s_sethalt 5
	s_branch .LBB144_129
.Lfunc_end144:
	.size	_ZN2at6native6invokeIZZZNS0_17expm1_kernel_cudaERNS_18TensorIteratorBaseEENKUlvE_clEvENKUlvE2_clEvEUlN3c107complexIfEEE_j15function_traitsIS9_EEENT1_11result_typeERKT_PrKPcPKT0_PKNS6_10ScalarTypeEi, .Lfunc_end144-_ZN2at6native6invokeIZZZNS0_17expm1_kernel_cudaERNS_18TensorIteratorBaseEENKUlvE_clEvENKUlvE2_clEvEUlN3c107complexIfEEE_j15function_traitsIS9_EEENT1_11result_typeERKT_PrKPcPKT0_PKNS6_10ScalarTypeEi
                                        ; -- End function
	.section	.AMDGPU.csdata,"",@progbits
; Function info:
; codeLenInByte = 5676
; NumSgprs: 34
; NumVgprs: 28
; ScratchSize: 0
; MemoryBound: 1
	.section	.text._ZN2at6native32elementwise_kernel_manual_unrollILi128ELi4EZNS0_15gpu_kernel_implIZZZNS0_17expm1_kernel_cudaERNS_18TensorIteratorBaseEENKUlvE_clEvENKUlvE2_clEvEUlN3c107complexIfEEE_EEvS4_RKT_EUlibE0_EEviT1_,"axG",@progbits,_ZN2at6native32elementwise_kernel_manual_unrollILi128ELi4EZNS0_15gpu_kernel_implIZZZNS0_17expm1_kernel_cudaERNS_18TensorIteratorBaseEENKUlvE_clEvENKUlvE2_clEvEUlN3c107complexIfEEE_EEvS4_RKT_EUlibE0_EEviT1_,comdat
	.globl	_ZN2at6native32elementwise_kernel_manual_unrollILi128ELi4EZNS0_15gpu_kernel_implIZZZNS0_17expm1_kernel_cudaERNS_18TensorIteratorBaseEENKUlvE_clEvENKUlvE2_clEvEUlN3c107complexIfEEE_EEvS4_RKT_EUlibE0_EEviT1_ ; -- Begin function _ZN2at6native32elementwise_kernel_manual_unrollILi128ELi4EZNS0_15gpu_kernel_implIZZZNS0_17expm1_kernel_cudaERNS_18TensorIteratorBaseEENKUlvE_clEvENKUlvE2_clEvEUlN3c107complexIfEEE_EEvS4_RKT_EUlibE0_EEviT1_
	.p2align	8
	.type	_ZN2at6native32elementwise_kernel_manual_unrollILi128ELi4EZNS0_15gpu_kernel_implIZZZNS0_17expm1_kernel_cudaERNS_18TensorIteratorBaseEENKUlvE_clEvENKUlvE2_clEvEUlN3c107complexIfEEE_EEvS4_RKT_EUlibE0_EEviT1_,@function
_ZN2at6native32elementwise_kernel_manual_unrollILi128ELi4EZNS0_15gpu_kernel_implIZZZNS0_17expm1_kernel_cudaERNS_18TensorIteratorBaseEENKUlvE_clEvENKUlvE2_clEvEUlN3c107complexIfEEE_EEvS4_RKT_EUlibE0_EEviT1_: ; @_ZN2at6native32elementwise_kernel_manual_unrollILi128ELi4EZNS0_15gpu_kernel_implIZZZNS0_17expm1_kernel_cudaERNS_18TensorIteratorBaseEENKUlvE_clEvENKUlvE2_clEvEUlN3c107complexIfEEE_EEvS4_RKT_EUlibE0_EEviT1_
; %bb.0:
	s_clause 0x1
	s_load_b32 s33, s[0:1], 0x8
	s_load_b32 s41, s[0:1], 0x0
	v_lshl_or_b32 v30, s15, 9, v0
	s_mov_b64 s[12:13], s[0:1]
	s_mov_b32 s0, -1
	s_or_b32 s14, s12, 8
	s_mov_b32 s37, 0
	v_or_b32_e32 v1, 0x180, v30
	s_mov_b32 s15, s13
	s_mov_b32 s16, 0
	;; [unrolled: 1-line block ×3, first 2 shown]
	s_mov_b32 s1, exec_lo
	s_waitcnt lgkmcnt(0)
	s_add_i32 s36, s33, -1
	s_delay_alu instid0(SALU_CYCLE_1)
	s_cmp_gt_u32 s36, 1
	s_cselect_b32 s38, -1, 0
	v_cmpx_le_i32_e64 s41, v1
	s_xor_b32 s39, exec_lo, s1
	s_cbranch_execz .LBB145_183
; %bb.1:
	v_mov_b32_e32 v0, 0
	s_clause 0x3
	s_load_b128 s[24:27], s[14:15], 0x4
	s_load_b64 s[28:29], s[14:15], 0x14
	s_load_b128 s[20:23], s[14:15], 0xc4
	s_load_b128 s[16:19], s[14:15], 0x148
	s_cmp_lg_u32 s33, 0
	s_mov_b32 s46, 0
	s_cselect_b32 s43, -1, 0
	global_load_u16 v31, v0, s[14:15] offset:345
	s_add_u32 s34, s14, 0xc4
	s_addc_u32 s35, s15, 0
	s_min_u32 s42, s36, 15
	s_cmp_gt_u32 s33, 1
	s_mov_b32 s44, 0
	s_cselect_b32 s40, -1, 0
	s_mov_b32 s45, exec_lo
	s_waitcnt vmcnt(0)
	v_lshrrev_b16 v28, 8, v31
	v_cmpx_gt_i32_e64 s41, v30
                                        ; implicit-def: $vgpr1
	s_cbranch_execz .LBB145_134
; %bb.2:
	s_and_not1_b32 vcc_lo, exec_lo, s38
	s_cbranch_vccnz .LBB145_7
; %bb.3:
	v_dual_mov_b32 v29, 0 :: v_dual_mov_b32 v2, 0
	s_and_not1_b32 vcc_lo, exec_lo, s43
	s_mov_b32 s4, 0
	s_cbranch_vccnz .LBB145_12
; %bb.4:
	v_mov_b32_e32 v29, 0
	s_add_i32 s6, s42, 1
	s_cmp_eq_u32 s36, 2
	s_mov_b32 s5, 0
	s_cbranch_scc1 .LBB145_8
; %bb.5:
	v_dual_mov_b32 v2, 0 :: v_dual_mov_b32 v29, 0
	v_mov_b32_e32 v0, v30
	s_and_b32 s5, s6, 28
	s_mov_b32 s7, 0
	s_mov_b64 s[0:1], s[34:35]
	s_mov_b64 s[2:3], s[14:15]
.LBB145_6:                              ; =>This Inner Loop Header: Depth=1
	s_clause 0x1
	s_load_b256 s[48:55], s[2:3], 0x4
	s_load_b128 s[8:11], s[2:3], 0x24
	s_load_b256 s[56:63], s[0:1], 0x0
	s_add_u32 s2, s2, 48
	s_addc_u32 s3, s3, 0
	s_add_i32 s7, s7, 4
	s_add_u32 s0, s0, 32
	s_addc_u32 s1, s1, 0
	s_cmp_lg_u32 s5, s7
	s_waitcnt lgkmcnt(0)
	v_mul_hi_u32 v1, s49, v0
	s_delay_alu instid0(VALU_DEP_1) | instskip(NEXT) | instid1(VALU_DEP_1)
	v_add_nc_u32_e32 v1, v0, v1
	v_lshrrev_b32_e32 v1, s50, v1
	s_delay_alu instid0(VALU_DEP_1) | instskip(SKIP_1) | instid1(VALU_DEP_2)
	v_mul_hi_u32 v3, s52, v1
	v_mul_lo_u32 v5, v1, s48
	v_add_nc_u32_e32 v3, v1, v3
	s_delay_alu instid0(VALU_DEP_2) | instskip(NEXT) | instid1(VALU_DEP_2)
	v_sub_nc_u32_e32 v0, v0, v5
	v_lshrrev_b32_e32 v3, s53, v3
	s_delay_alu instid0(VALU_DEP_2) | instskip(SKIP_1) | instid1(VALU_DEP_3)
	v_mul_lo_u32 v5, v0, s56
	v_mul_lo_u32 v7, v0, s57
	v_mul_hi_u32 v4, s55, v3
	s_delay_alu instid0(VALU_DEP_1) | instskip(NEXT) | instid1(VALU_DEP_1)
	v_add_nc_u32_e32 v4, v3, v4
	v_lshrrev_b32_e32 v4, s8, v4
	s_delay_alu instid0(VALU_DEP_1) | instskip(SKIP_1) | instid1(VALU_DEP_2)
	v_mul_hi_u32 v6, s10, v4
	v_mul_lo_u32 v8, v4, s54
	v_add_nc_u32_e32 v0, v4, v6
	v_mul_lo_u32 v6, v3, s51
	s_delay_alu instid0(VALU_DEP_3) | instskip(NEXT) | instid1(VALU_DEP_3)
	v_sub_nc_u32_e32 v3, v3, v8
	v_lshrrev_b32_e32 v0, s11, v0
	s_delay_alu instid0(VALU_DEP_2) | instskip(SKIP_2) | instid1(VALU_DEP_4)
	v_mul_lo_u32 v8, v3, s60
	v_mul_lo_u32 v3, v3, s61
	v_sub_nc_u32_e32 v1, v1, v6
	v_mul_lo_u32 v9, v0, s9
	s_delay_alu instid0(VALU_DEP_2) | instskip(SKIP_1) | instid1(VALU_DEP_3)
	v_mul_lo_u32 v6, v1, s58
	v_mul_lo_u32 v1, v1, s59
	v_sub_nc_u32_e32 v4, v4, v9
	s_delay_alu instid0(VALU_DEP_3) | instskip(NEXT) | instid1(VALU_DEP_2)
	v_add3_u32 v5, v5, v29, v6
	v_mul_lo_u32 v9, v4, s62
	v_mul_lo_u32 v4, v4, s63
	v_add3_u32 v1, v7, v2, v1
	s_delay_alu instid0(VALU_DEP_3) | instskip(NEXT) | instid1(VALU_DEP_2)
	v_add3_u32 v29, v8, v5, v9
	v_add3_u32 v2, v3, v1, v4
	s_cbranch_scc1 .LBB145_6
	s_branch .LBB145_9
.LBB145_7:
	s_mov_b32 s4, -1
                                        ; implicit-def: $vgpr29
                                        ; implicit-def: $vgpr2
	s_branch .LBB145_12
.LBB145_8:
	v_mov_b32_e32 v0, v30
	v_mov_b32_e32 v2, 0
.LBB145_9:
	s_and_b32 s6, s6, 3
	s_delay_alu instid0(SALU_CYCLE_1)
	s_cmp_eq_u32 s6, 0
	s_cbranch_scc1 .LBB145_12
; %bb.10:
	s_lshl_b32 s0, s5, 3
	s_mul_i32 s2, s5, 12
	s_add_u32 s0, s0, s14
	s_addc_u32 s1, s15, 0
	s_add_u32 s0, s0, 0xc4
	s_addc_u32 s1, s1, 0
	;; [unrolled: 2-line block ×3, first 2 shown]
	.p2align	6
.LBB145_11:                             ; =>This Inner Loop Header: Depth=1
	s_clause 0x1
	s_load_b64 s[8:9], s[2:3], 0x4
	s_load_b32 s5, s[2:3], 0xc
	s_load_b64 s[10:11], s[0:1], 0x0
	s_add_u32 s2, s2, 12
	s_addc_u32 s3, s3, 0
	s_add_u32 s0, s0, 8
	s_addc_u32 s1, s1, 0
	s_add_i32 s6, s6, -1
	s_delay_alu instid0(SALU_CYCLE_1) | instskip(SKIP_2) | instid1(VALU_DEP_1)
	s_cmp_lg_u32 s6, 0
	s_waitcnt lgkmcnt(0)
	v_mul_hi_u32 v1, s9, v0
	v_add_nc_u32_e32 v1, v0, v1
	s_delay_alu instid0(VALU_DEP_1) | instskip(NEXT) | instid1(VALU_DEP_1)
	v_lshrrev_b32_e32 v1, s5, v1
	v_mul_lo_u32 v3, v1, s8
	s_delay_alu instid0(VALU_DEP_1) | instskip(NEXT) | instid1(VALU_DEP_1)
	v_sub_nc_u32_e32 v0, v0, v3
	v_mad_u64_u32 v[3:4], null, v0, s10, v[29:30]
	s_delay_alu instid0(VALU_DEP_1) | instskip(SKIP_1) | instid1(VALU_DEP_2)
	v_mad_u64_u32 v[4:5], null, v0, s11, v[2:3]
	v_dual_mov_b32 v0, v1 :: v_dual_mov_b32 v29, v3
	v_mov_b32_e32 v2, v4
	s_cbranch_scc1 .LBB145_11
.LBB145_12:
	s_and_not1_b32 vcc_lo, exec_lo, s4
	s_cbranch_vccnz .LBB145_15
; %bb.13:
	s_waitcnt lgkmcnt(0)
	v_mul_hi_u32 v0, s25, v30
	s_and_not1_b32 vcc_lo, exec_lo, s40
	s_delay_alu instid0(VALU_DEP_1) | instskip(NEXT) | instid1(VALU_DEP_1)
	v_add_nc_u32_e32 v0, v30, v0
	v_lshrrev_b32_e32 v0, s26, v0
	s_delay_alu instid0(VALU_DEP_1) | instskip(NEXT) | instid1(VALU_DEP_1)
	v_mul_lo_u32 v1, v0, s24
	v_sub_nc_u32_e32 v1, v30, v1
	s_delay_alu instid0(VALU_DEP_1)
	v_mul_lo_u32 v29, v1, s20
	v_mul_lo_u32 v2, v1, s21
	s_cbranch_vccnz .LBB145_15
; %bb.14:
	v_mul_hi_u32 v1, s28, v0
	s_delay_alu instid0(VALU_DEP_1) | instskip(NEXT) | instid1(VALU_DEP_1)
	v_add_nc_u32_e32 v1, v0, v1
	v_lshrrev_b32_e32 v1, s29, v1
	s_delay_alu instid0(VALU_DEP_1) | instskip(NEXT) | instid1(VALU_DEP_1)
	v_mul_lo_u32 v1, v1, s27
	v_sub_nc_u32_e32 v5, v0, v1
	s_delay_alu instid0(VALU_DEP_1) | instskip(SKIP_1) | instid1(VALU_DEP_1)
	v_mad_u64_u32 v[0:1], null, v5, s22, v[29:30]
	v_mad_u64_u32 v[3:4], null, v5, s23, v[2:3]
	v_dual_mov_b32 v29, v0 :: v_dual_mov_b32 v2, v3
.LBB145_15:
	s_waitcnt lgkmcnt(0)
	v_dual_mov_b32 v0, s18 :: v_dual_mov_b32 v1, s19
	v_mov_b32_e32 v3, v28
	s_getpc_b64 s[0:1]
	s_add_u32 s0, s0, _ZN2at6native6invokeIZZZNS0_17expm1_kernel_cudaERNS_18TensorIteratorBaseEENKUlvE_clEvENKUlvE2_clEvEUlN3c107complexIfEEE_j15function_traitsIS9_EEENT1_11result_typeERKT_PrKPcPKT0_PKNS6_10ScalarTypeEi@rel32@lo+4
	s_addc_u32 s1, s1, _ZN2at6native6invokeIZZZNS0_17expm1_kernel_cudaERNS_18TensorIteratorBaseEENKUlvE_clEvENKUlvE2_clEvEUlN3c107complexIfEEE_j15function_traitsIS9_EEENT1_11result_typeERKT_PrKPcPKT0_PKNS6_10ScalarTypeEi@rel32@hi+12
	s_delay_alu instid0(SALU_CYCLE_1) | instskip(SKIP_2) | instid1(VALU_DEP_1)
	s_swappc_b64 s[30:31], s[0:1]
	v_and_b32_e32 v4, 0xff, v31
	v_add_co_u32 v2, s1, s16, v29
	v_add_co_ci_u32_e64 v3, null, s17, 0, s1
	s_delay_alu instid0(VALU_DEP_3)
	v_cmp_gt_i16_e32 vcc_lo, 11, v4
	s_mov_b32 s0, 0
	s_mov_b32 s2, -1
	s_mov_b32 s1, 0
	s_cbranch_vccnz .LBB145_93
; %bb.16:
	v_cmp_lt_i16_e32 vcc_lo, 25, v4
	s_cbranch_vccz .LBB145_49
; %bb.17:
	v_cmp_lt_i16_e32 vcc_lo, 28, v4
	s_cbranch_vccz .LBB145_32
	;; [unrolled: 3-line block ×4, first 2 shown]
; %bb.20:
	v_cmp_eq_u16_e32 vcc_lo, 46, v4
	s_mov_b32 s2, 0
	s_mov_b32 s0, -1
	s_cbranch_vccz .LBB145_22
; %bb.21:
	v_bfe_u32 v5, v1, 16, 1
	v_bfe_u32 v6, v0, 16, 1
	v_cmp_o_f32_e32 vcc_lo, v1, v1
	s_mov_b32 s1, -1
	s_mov_b32 s0, 0
	v_add3_u32 v5, v1, v5, 0x7fff
	v_add3_u32 v6, v0, v6, 0x7fff
	s_delay_alu instid0(VALU_DEP_2) | instskip(NEXT) | instid1(VALU_DEP_2)
	v_and_b32_e32 v5, 0xffff0000, v5
	v_lshrrev_b32_e32 v6, 16, v6
	s_delay_alu instid0(VALU_DEP_2) | instskip(SKIP_1) | instid1(VALU_DEP_3)
	v_cndmask_b32_e32 v5, 0x7fc00000, v5, vcc_lo
	v_cmp_o_f32_e32 vcc_lo, v0, v0
	v_cndmask_b32_e32 v6, 0x7fc0, v6, vcc_lo
	s_delay_alu instid0(VALU_DEP_1)
	v_or_b32_e32 v5, v5, v6
	global_store_b32 v[2:3], v5, off
.LBB145_22:
	s_and_b32 vcc_lo, exec_lo, s2
	s_cbranch_vccz .LBB145_27
; %bb.23:
	v_cmp_eq_u16_e32 vcc_lo, 44, v4
	s_mov_b32 s0, -1
	s_cbranch_vccz .LBB145_27
; %bb.24:
	v_bfe_u32 v6, v0, 23, 8
	v_mov_b32_e32 v5, 0xff
	s_mov_b32 s1, exec_lo
	s_delay_alu instid0(VALU_DEP_2)
	v_cmpx_ne_u32_e32 0xff, v6
; %bb.25:
	v_and_b32_e32 v5, 0x400000, v0
	v_and_or_b32 v6, 0x3fffff, v0, v6
	s_delay_alu instid0(VALU_DEP_2) | instskip(NEXT) | instid1(VALU_DEP_2)
	v_cmp_ne_u32_e32 vcc_lo, 0, v5
	v_cmp_ne_u32_e64 s0, 0, v6
	v_lshrrev_b32_e32 v5, 23, v0
	s_delay_alu instid0(VALU_DEP_2) | instskip(NEXT) | instid1(SALU_CYCLE_1)
	s_and_b32 s0, vcc_lo, s0
	v_cndmask_b32_e64 v6, 0, 1, s0
	s_delay_alu instid0(VALU_DEP_1)
	v_add_nc_u32_e32 v5, v5, v6
; %bb.26:
	s_or_b32 exec_lo, exec_lo, s1
	s_mov_b32 s1, -1
	s_mov_b32 s0, 0
	global_store_b8 v[2:3], v5, off
.LBB145_27:
	s_mov_b32 s2, 0
.LBB145_28:
	s_delay_alu instid0(SALU_CYCLE_1)
	s_and_b32 vcc_lo, exec_lo, s2
	s_cbranch_vccz .LBB145_31
; %bb.29:
	v_cmp_eq_u16_e32 vcc_lo, 29, v4
	s_mov_b32 s0, -1
	s_cbranch_vccz .LBB145_31
; %bb.30:
	v_trunc_f32_e32 v5, v0
	s_mov_b32 s1, -1
	s_mov_b32 s0, 0
	s_delay_alu instid0(VALU_DEP_1) | instskip(NEXT) | instid1(VALU_DEP_1)
	v_mul_f32_e32 v6, 0x2f800000, v5
	v_floor_f32_e32 v6, v6
	s_delay_alu instid0(VALU_DEP_1) | instskip(SKIP_1) | instid1(VALU_DEP_2)
	v_fmamk_f32 v5, v6, 0xcf800000, v5
	v_cvt_u32_f32_e32 v6, v6
	v_cvt_u32_f32_e32 v5, v5
	global_store_b64 v[2:3], v[5:6], off
.LBB145_31:
	s_mov_b32 s2, 0
.LBB145_32:
	s_delay_alu instid0(SALU_CYCLE_1)
	s_and_b32 vcc_lo, exec_lo, s2
	s_cbranch_vccz .LBB145_48
; %bb.33:
	v_cmp_gt_i16_e32 vcc_lo, 27, v4
	s_mov_b32 s1, -1
	s_cbranch_vccnz .LBB145_39
; %bb.34:
	v_cmp_lt_i16_e32 vcc_lo, 27, v4
	v_cvt_u32_f32_e32 v5, v0
	s_cbranch_vccz .LBB145_36
; %bb.35:
	s_mov_b32 s1, 0
	global_store_b32 v[2:3], v5, off
.LBB145_36:
	s_and_not1_b32 vcc_lo, exec_lo, s1
	s_cbranch_vccnz .LBB145_38
; %bb.37:
	global_store_b16 v[2:3], v5, off
.LBB145_38:
	s_mov_b32 s1, 0
.LBB145_39:
	s_delay_alu instid0(SALU_CYCLE_1)
	s_and_not1_b32 vcc_lo, exec_lo, s1
	s_cbranch_vccnz .LBB145_47
; %bb.40:
	v_and_b32_e32 v5, 0x7fffffff, v0
	v_mov_b32_e32 v6, 0x80
	s_mov_b32 s1, exec_lo
	s_delay_alu instid0(VALU_DEP_2)
	v_cmpx_gt_u32_e32 0x43800000, v5
	s_cbranch_execz .LBB145_46
; %bb.41:
	v_cmp_lt_u32_e32 vcc_lo, 0x3bffffff, v5
	s_mov_b32 s2, 0
                                        ; implicit-def: $vgpr5
	s_and_saveexec_b32 s3, vcc_lo
	s_delay_alu instid0(SALU_CYCLE_1)
	s_xor_b32 s3, exec_lo, s3
	s_cbranch_execz .LBB145_772
; %bb.42:
	v_bfe_u32 v5, v0, 20, 1
	s_mov_b32 s2, exec_lo
	s_delay_alu instid0(VALU_DEP_1) | instskip(NEXT) | instid1(VALU_DEP_1)
	v_add3_u32 v5, v0, v5, 0x487ffff
	v_lshrrev_b32_e32 v5, 20, v5
	s_or_saveexec_b32 s3, s3
                                        ; implicit-def: $sgpr4
	s_delay_alu instid0(SALU_CYCLE_1)
	s_xor_b32 exec_lo, exec_lo, s3
	s_cbranch_execnz .LBB145_773
.LBB145_43:
	s_or_b32 exec_lo, exec_lo, s3
	v_mov_b32_e32 v6, s4
	s_and_saveexec_b32 s3, s2
.LBB145_44:
	v_lshrrev_b32_e32 v6, 24, v0
	s_delay_alu instid0(VALU_DEP_1)
	v_and_or_b32 v6, 0x80, v6, v5
.LBB145_45:
	s_or_b32 exec_lo, exec_lo, s3
.LBB145_46:
	s_delay_alu instid0(SALU_CYCLE_1)
	s_or_b32 exec_lo, exec_lo, s1
	global_store_b8 v[2:3], v6, off
.LBB145_47:
	s_mov_b32 s1, -1
.LBB145_48:
	s_mov_b32 s2, 0
.LBB145_49:
	s_delay_alu instid0(SALU_CYCLE_1)
	s_and_b32 vcc_lo, exec_lo, s2
	s_cbranch_vccz .LBB145_90
; %bb.50:
	v_cmp_lt_i16_e32 vcc_lo, 22, v4
	s_mov_b32 s2, -1
	s_cbranch_vccz .LBB145_82
; %bb.51:
	v_cmp_gt_i16_e32 vcc_lo, 24, v4
	s_mov_b32 s1, -1
	s_cbranch_vccnz .LBB145_71
; %bb.52:
	v_cmp_lt_i16_e32 vcc_lo, 24, v4
	s_cbranch_vccz .LBB145_60
; %bb.53:
	v_and_b32_e32 v5, 0x7fffffff, v0
	v_mov_b32_e32 v6, 0x80
	s_mov_b32 s1, exec_lo
	s_delay_alu instid0(VALU_DEP_2)
	v_cmpx_gt_u32_e32 0x47800000, v5
	s_cbranch_execz .LBB145_59
; %bb.54:
	v_cmp_lt_u32_e32 vcc_lo, 0x37ffffff, v5
	s_mov_b32 s2, 0
                                        ; implicit-def: $vgpr5
	s_and_saveexec_b32 s3, vcc_lo
	s_delay_alu instid0(SALU_CYCLE_1)
	s_xor_b32 s3, exec_lo, s3
	s_cbranch_execz .LBB145_783
; %bb.55:
	v_bfe_u32 v5, v0, 21, 1
	s_mov_b32 s2, exec_lo
	s_delay_alu instid0(VALU_DEP_1) | instskip(NEXT) | instid1(VALU_DEP_1)
	v_add3_u32 v5, v0, v5, 0x88fffff
	v_lshrrev_b32_e32 v5, 21, v5
	s_or_saveexec_b32 s3, s3
                                        ; implicit-def: $sgpr4
	s_delay_alu instid0(SALU_CYCLE_1)
	s_xor_b32 exec_lo, exec_lo, s3
	s_cbranch_execnz .LBB145_784
.LBB145_56:
	s_or_b32 exec_lo, exec_lo, s3
	v_mov_b32_e32 v6, s4
	s_and_saveexec_b32 s3, s2
.LBB145_57:
	v_lshrrev_b32_e32 v6, 24, v0
	s_delay_alu instid0(VALU_DEP_1)
	v_and_or_b32 v6, 0x80, v6, v5
.LBB145_58:
	s_or_b32 exec_lo, exec_lo, s3
.LBB145_59:
	s_delay_alu instid0(SALU_CYCLE_1)
	s_or_b32 exec_lo, exec_lo, s1
	s_mov_b32 s1, 0
	global_store_b8 v[2:3], v6, off
.LBB145_60:
	s_and_b32 vcc_lo, exec_lo, s1
	s_cbranch_vccz .LBB145_70
; %bb.61:
	v_and_b32_e32 v6, 0x7fffffff, v0
	s_mov_b32 s1, exec_lo
                                        ; implicit-def: $vgpr5
	s_delay_alu instid0(VALU_DEP_1)
	v_cmpx_gt_u32_e32 0x43f00000, v6
	s_xor_b32 s1, exec_lo, s1
	s_cbranch_execz .LBB145_67
; %bb.62:
	s_mov_b32 s2, exec_lo
                                        ; implicit-def: $vgpr5
	v_cmpx_lt_u32_e32 0x3c7fffff, v6
	s_xor_b32 s2, exec_lo, s2
; %bb.63:
	v_bfe_u32 v5, v0, 20, 1
	s_delay_alu instid0(VALU_DEP_1) | instskip(NEXT) | instid1(VALU_DEP_1)
	v_add3_u32 v5, v0, v5, 0x407ffff
	v_and_b32_e32 v6, 0xff00000, v5
	v_lshrrev_b32_e32 v5, 20, v5
	s_delay_alu instid0(VALU_DEP_2) | instskip(NEXT) | instid1(VALU_DEP_2)
	v_cmp_ne_u32_e32 vcc_lo, 0x7f00000, v6
	v_cndmask_b32_e32 v5, 0x7e, v5, vcc_lo
; %bb.64:
	s_and_not1_saveexec_b32 s2, s2
; %bb.65:
	v_add_f32_e64 v5, 0x46800000, |v0|
; %bb.66:
	s_or_b32 exec_lo, exec_lo, s2
                                        ; implicit-def: $vgpr6
.LBB145_67:
	s_and_not1_saveexec_b32 s1, s1
; %bb.68:
	v_mov_b32_e32 v5, 0x7f
	v_cmp_lt_u32_e32 vcc_lo, 0x7f800000, v6
	s_delay_alu instid0(VALU_DEP_2)
	v_cndmask_b32_e32 v5, 0x7e, v5, vcc_lo
; %bb.69:
	s_or_b32 exec_lo, exec_lo, s1
	v_lshrrev_b32_e32 v6, 24, v0
	s_delay_alu instid0(VALU_DEP_1)
	v_and_or_b32 v5, 0x80, v6, v5
	global_store_b8 v[2:3], v5, off
.LBB145_70:
	s_mov_b32 s1, 0
.LBB145_71:
	s_delay_alu instid0(SALU_CYCLE_1)
	s_and_not1_b32 vcc_lo, exec_lo, s1
	s_cbranch_vccnz .LBB145_81
; %bb.72:
	v_and_b32_e32 v6, 0x7fffffff, v0
	s_mov_b32 s1, exec_lo
                                        ; implicit-def: $vgpr5
	s_delay_alu instid0(VALU_DEP_1)
	v_cmpx_gt_u32_e32 0x47800000, v6
	s_xor_b32 s1, exec_lo, s1
	s_cbranch_execz .LBB145_78
; %bb.73:
	s_mov_b32 s2, exec_lo
                                        ; implicit-def: $vgpr5
	v_cmpx_lt_u32_e32 0x387fffff, v6
	s_xor_b32 s2, exec_lo, s2
; %bb.74:
	v_bfe_u32 v5, v0, 21, 1
	s_delay_alu instid0(VALU_DEP_1) | instskip(NEXT) | instid1(VALU_DEP_1)
	v_add3_u32 v5, v0, v5, 0x80fffff
	v_lshrrev_b32_e32 v5, 21, v5
; %bb.75:
	s_and_not1_saveexec_b32 s2, s2
; %bb.76:
	v_add_f32_e64 v5, 0x43000000, |v0|
; %bb.77:
	s_or_b32 exec_lo, exec_lo, s2
                                        ; implicit-def: $vgpr6
.LBB145_78:
	s_and_not1_saveexec_b32 s1, s1
; %bb.79:
	v_mov_b32_e32 v5, 0x7f
	v_cmp_lt_u32_e32 vcc_lo, 0x7f800000, v6
	s_delay_alu instid0(VALU_DEP_2)
	v_cndmask_b32_e32 v5, 0x7c, v5, vcc_lo
; %bb.80:
	s_or_b32 exec_lo, exec_lo, s1
	v_lshrrev_b32_e32 v6, 24, v0
	s_delay_alu instid0(VALU_DEP_1)
	v_and_or_b32 v5, 0x80, v6, v5
	global_store_b8 v[2:3], v5, off
.LBB145_81:
	s_mov_b32 s2, 0
	s_mov_b32 s1, -1
.LBB145_82:
	s_and_not1_b32 vcc_lo, exec_lo, s2
	s_cbranch_vccnz .LBB145_90
; %bb.83:
	v_cmp_lt_i16_e32 vcc_lo, 14, v4
	s_mov_b32 s2, -1
	s_cbranch_vccz .LBB145_87
; %bb.84:
	v_cmp_eq_u16_e32 vcc_lo, 15, v4
	s_mov_b32 s0, -1
	s_cbranch_vccz .LBB145_86
; %bb.85:
	v_bfe_u32 v5, v0, 16, 1
	v_cmp_o_f32_e32 vcc_lo, v0, v0
	s_mov_b32 s1, -1
	s_mov_b32 s0, 0
	s_delay_alu instid0(VALU_DEP_2) | instskip(NEXT) | instid1(VALU_DEP_1)
	v_add3_u32 v5, v0, v5, 0x7fff
	v_lshrrev_b32_e32 v5, 16, v5
	s_delay_alu instid0(VALU_DEP_1)
	v_cndmask_b32_e32 v5, 0x7fc0, v5, vcc_lo
	global_store_b16 v[2:3], v5, off
.LBB145_86:
	s_mov_b32 s2, 0
.LBB145_87:
	s_delay_alu instid0(SALU_CYCLE_1)
	s_and_b32 vcc_lo, exec_lo, s2
	s_cbranch_vccz .LBB145_90
; %bb.88:
	v_cmp_eq_u16_e32 vcc_lo, 11, v4
	s_mov_b32 s0, -1
	s_cbranch_vccz .LBB145_90
; %bb.89:
	v_or_b32_e32 v5, v0, v1
	s_mov_b32 s0, 0
	s_mov_b32 s1, -1
	s_delay_alu instid0(VALU_DEP_1) | instskip(NEXT) | instid1(VALU_DEP_1)
	v_and_b32_e32 v5, 0x7fffffff, v5
	v_cmp_ne_u32_e32 vcc_lo, 0, v5
	v_cndmask_b32_e64 v5, 0, 1, vcc_lo
	global_store_b8 v[2:3], v5, off
.LBB145_90:
.LBB145_91:
	s_and_not1_b32 vcc_lo, exec_lo, s1
	s_cbranch_vccnz .LBB145_132
.LBB145_92:
	v_add_nc_u32_e32 v30, 0x80, v30
	s_mov_b32 s1, -1
	s_branch .LBB145_133
.LBB145_93:
	s_and_b32 vcc_lo, exec_lo, s2
	s_cbranch_vccz .LBB145_91
; %bb.94:
	v_cmp_gt_i16_e32 vcc_lo, 5, v4
	s_mov_b32 s1, -1
	s_cbranch_vccnz .LBB145_115
; %bb.95:
	v_cmp_gt_i16_e32 vcc_lo, 8, v4
	s_cbranch_vccnz .LBB145_105
; %bb.96:
	v_cmp_gt_i16_e32 vcc_lo, 9, v4
	s_cbranch_vccnz .LBB145_102
; %bb.97:
	v_cmp_lt_i16_e32 vcc_lo, 9, v4
	s_cbranch_vccz .LBB145_99
; %bb.98:
	v_cvt_f64_f32_e32 v[5:6], v0
	v_cvt_f64_f32_e32 v[7:8], v1
	s_mov_b32 s1, 0
	global_store_b128 v[2:3], v[5:8], off
.LBB145_99:
	s_and_not1_b32 vcc_lo, exec_lo, s1
	s_cbranch_vccnz .LBB145_101
; %bb.100:
	global_store_b64 v[2:3], v[0:1], off
.LBB145_101:
	s_mov_b32 s1, 0
.LBB145_102:
	s_delay_alu instid0(SALU_CYCLE_1)
	s_and_not1_b32 vcc_lo, exec_lo, s1
	s_cbranch_vccnz .LBB145_104
; %bb.103:
	v_cvt_f16_f32_e32 v1, v1
	v_cvt_f16_f32_e32 v5, v0
	s_delay_alu instid0(VALU_DEP_2) | instskip(NEXT) | instid1(VALU_DEP_2)
	v_lshlrev_b32_e32 v1, 16, v1
	v_and_b32_e32 v5, 0xffff, v5
	s_delay_alu instid0(VALU_DEP_1)
	v_or_b32_e32 v1, v1, v5
	global_store_b32 v[2:3], v1, off
.LBB145_104:
	s_mov_b32 s1, 0
.LBB145_105:
	s_delay_alu instid0(SALU_CYCLE_1)
	s_and_not1_b32 vcc_lo, exec_lo, s1
	s_cbranch_vccnz .LBB145_114
; %bb.106:
	v_cmp_gt_i16_e32 vcc_lo, 6, v4
	s_mov_b32 s1, -1
	s_cbranch_vccnz .LBB145_112
; %bb.107:
	v_cmp_lt_i16_e32 vcc_lo, 6, v4
	s_cbranch_vccz .LBB145_109
; %bb.108:
	v_cvt_f64_f32_e32 v[5:6], v0
	s_mov_b32 s1, 0
	global_store_b64 v[2:3], v[5:6], off
.LBB145_109:
	s_and_not1_b32 vcc_lo, exec_lo, s1
	s_cbranch_vccnz .LBB145_111
; %bb.110:
	global_store_b32 v[2:3], v0, off
.LBB145_111:
	s_mov_b32 s1, 0
.LBB145_112:
	s_delay_alu instid0(SALU_CYCLE_1)
	s_and_not1_b32 vcc_lo, exec_lo, s1
	s_cbranch_vccnz .LBB145_114
; %bb.113:
	v_cvt_f16_f32_e32 v1, v0
	global_store_b16 v[2:3], v1, off
.LBB145_114:
	s_mov_b32 s1, 0
.LBB145_115:
	s_delay_alu instid0(SALU_CYCLE_1)
	s_and_not1_b32 vcc_lo, exec_lo, s1
	s_cbranch_vccnz .LBB145_131
; %bb.116:
	v_cmp_gt_i16_e32 vcc_lo, 2, v4
	s_mov_b32 s1, -1
	s_cbranch_vccnz .LBB145_126
; %bb.117:
	v_cmp_gt_i16_e32 vcc_lo, 3, v4
	s_cbranch_vccnz .LBB145_123
; %bb.118:
	v_cmp_lt_i16_e32 vcc_lo, 3, v4
	s_cbranch_vccz .LBB145_120
; %bb.119:
	v_trunc_f32_e32 v1, v0
	s_mov_b32 s1, 0
	s_delay_alu instid0(VALU_DEP_1) | instskip(NEXT) | instid1(VALU_DEP_1)
	v_mul_f32_e64 v5, 0x2f800000, |v1|
	v_floor_f32_e32 v5, v5
	s_delay_alu instid0(VALU_DEP_1) | instskip(SKIP_2) | instid1(VALU_DEP_3)
	v_fma_f32 v6, 0xcf800000, v5, |v1|
	v_ashrrev_i32_e32 v1, 31, v1
	v_cvt_u32_f32_e32 v5, v5
	v_cvt_u32_f32_e32 v6, v6
	s_delay_alu instid0(VALU_DEP_2) | instskip(NEXT) | instid1(VALU_DEP_2)
	v_xor_b32_e32 v7, v5, v1
	v_xor_b32_e32 v6, v6, v1
	s_delay_alu instid0(VALU_DEP_1) | instskip(NEXT) | instid1(VALU_DEP_3)
	v_sub_co_u32 v5, vcc_lo, v6, v1
	v_sub_co_ci_u32_e32 v6, vcc_lo, v7, v1, vcc_lo
	global_store_b64 v[2:3], v[5:6], off
.LBB145_120:
	s_and_not1_b32 vcc_lo, exec_lo, s1
	s_cbranch_vccnz .LBB145_122
; %bb.121:
	v_cvt_i32_f32_e32 v1, v0
	global_store_b32 v[2:3], v1, off
.LBB145_122:
	s_mov_b32 s1, 0
.LBB145_123:
	s_delay_alu instid0(SALU_CYCLE_1)
	s_and_not1_b32 vcc_lo, exec_lo, s1
	s_cbranch_vccnz .LBB145_125
; %bb.124:
	v_cvt_i32_f32_e32 v1, v0
	global_store_b16 v[2:3], v1, off
.LBB145_125:
	s_mov_b32 s1, 0
.LBB145_126:
	s_delay_alu instid0(SALU_CYCLE_1)
	s_and_not1_b32 vcc_lo, exec_lo, s1
	s_cbranch_vccnz .LBB145_131
; %bb.127:
	v_cmp_lt_i16_e32 vcc_lo, 0, v4
	s_mov_b32 s1, -1
	s_cbranch_vccz .LBB145_129
; %bb.128:
	v_cvt_i32_f32_e32 v1, v0
	s_mov_b32 s1, 0
	global_store_b8 v[2:3], v1, off
.LBB145_129:
	s_and_not1_b32 vcc_lo, exec_lo, s1
	s_cbranch_vccnz .LBB145_131
; %bb.130:
	v_trunc_f32_e32 v0, v0
	s_delay_alu instid0(VALU_DEP_1) | instskip(NEXT) | instid1(VALU_DEP_1)
	v_mul_f32_e64 v1, 0x2f800000, |v0|
	v_floor_f32_e32 v1, v1
	s_delay_alu instid0(VALU_DEP_1) | instskip(SKIP_1) | instid1(VALU_DEP_2)
	v_fma_f32 v1, 0xcf800000, v1, |v0|
	v_ashrrev_i32_e32 v0, 31, v0
	v_cvt_u32_f32_e32 v1, v1
	s_delay_alu instid0(VALU_DEP_1) | instskip(NEXT) | instid1(VALU_DEP_1)
	v_xor_b32_e32 v1, v1, v0
	v_sub_nc_u32_e32 v0, v1, v0
	global_store_b8 v[2:3], v0, off
.LBB145_131:
	s_branch .LBB145_92
.LBB145_132:
	s_mov_b32 s1, 0
                                        ; implicit-def: $vgpr30
.LBB145_133:
	s_and_b32 s44, s0, exec_lo
	s_or_not1_b32 s0, s1, exec_lo
.LBB145_134:
	s_or_b32 exec_lo, exec_lo, s45
	s_mov_b32 s1, 0
                                        ; implicit-def: $vgpr4
                                        ; implicit-def: $vgpr2_vgpr3
                                        ; implicit-def: $vgpr0
	s_and_saveexec_b32 s45, s0
	s_cbranch_execz .LBB145_141
; %bb.135:
	s_mov_b32 s2, -1
	s_mov_b32 s46, s44
	s_mov_b32 s47, exec_lo
	v_cmpx_gt_i32_e64 s41, v30
	s_cbranch_execz .LBB145_858
; %bb.136:
	s_and_not1_b32 vcc_lo, exec_lo, s38
	s_cbranch_vccnz .LBB145_711
; %bb.137:
	v_dual_mov_b32 v29, 0 :: v_dual_mov_b32 v2, 0
	s_and_not1_b32 vcc_lo, exec_lo, s43
	s_mov_b32 s4, 0
	s_cbranch_vccnz .LBB145_716
; %bb.138:
	v_mov_b32_e32 v29, 0
	s_add_i32 s6, s42, 1
	s_cmp_eq_u32 s36, 2
	s_mov_b32 s5, 0
	s_cbranch_scc1 .LBB145_712
; %bb.139:
	v_dual_mov_b32 v2, 0 :: v_dual_mov_b32 v29, 0
	v_mov_b32_e32 v0, v30
	s_and_b32 s5, s6, 28
	s_mov_b32 s7, 0
	s_mov_b64 s[0:1], s[34:35]
	s_mov_b64 s[2:3], s[14:15]
.LBB145_140:                            ; =>This Inner Loop Header: Depth=1
	s_clause 0x1
	s_load_b256 s[48:55], s[2:3], 0x4
	s_load_b128 s[8:11], s[2:3], 0x24
	s_load_b256 s[56:63], s[0:1], 0x0
	s_add_u32 s2, s2, 48
	s_addc_u32 s3, s3, 0
	s_add_i32 s7, s7, 4
	s_add_u32 s0, s0, 32
	s_addc_u32 s1, s1, 0
	s_cmp_eq_u32 s5, s7
	s_waitcnt lgkmcnt(0)
	v_mul_hi_u32 v1, s49, v0
	s_delay_alu instid0(VALU_DEP_1) | instskip(NEXT) | instid1(VALU_DEP_1)
	v_add_nc_u32_e32 v1, v0, v1
	v_lshrrev_b32_e32 v1, s50, v1
	s_delay_alu instid0(VALU_DEP_1) | instskip(SKIP_1) | instid1(VALU_DEP_2)
	v_mul_hi_u32 v3, s52, v1
	v_mul_lo_u32 v5, v1, s48
	v_add_nc_u32_e32 v3, v1, v3
	s_delay_alu instid0(VALU_DEP_2) | instskip(NEXT) | instid1(VALU_DEP_2)
	v_sub_nc_u32_e32 v0, v0, v5
	v_lshrrev_b32_e32 v3, s53, v3
	s_delay_alu instid0(VALU_DEP_2) | instskip(SKIP_1) | instid1(VALU_DEP_3)
	v_mul_lo_u32 v5, v0, s56
	v_mul_lo_u32 v7, v0, s57
	v_mul_hi_u32 v4, s55, v3
	s_delay_alu instid0(VALU_DEP_1) | instskip(NEXT) | instid1(VALU_DEP_1)
	v_add_nc_u32_e32 v4, v3, v4
	v_lshrrev_b32_e32 v4, s8, v4
	s_delay_alu instid0(VALU_DEP_1) | instskip(SKIP_1) | instid1(VALU_DEP_2)
	v_mul_hi_u32 v6, s10, v4
	v_mul_lo_u32 v8, v4, s54
	v_add_nc_u32_e32 v0, v4, v6
	v_mul_lo_u32 v6, v3, s51
	s_delay_alu instid0(VALU_DEP_3) | instskip(NEXT) | instid1(VALU_DEP_3)
	v_sub_nc_u32_e32 v3, v3, v8
	v_lshrrev_b32_e32 v0, s11, v0
	s_delay_alu instid0(VALU_DEP_2) | instskip(SKIP_2) | instid1(VALU_DEP_4)
	v_mul_lo_u32 v8, v3, s60
	v_mul_lo_u32 v3, v3, s61
	v_sub_nc_u32_e32 v1, v1, v6
	v_mul_lo_u32 v9, v0, s9
	s_delay_alu instid0(VALU_DEP_2) | instskip(SKIP_1) | instid1(VALU_DEP_3)
	v_mul_lo_u32 v6, v1, s58
	v_mul_lo_u32 v1, v1, s59
	v_sub_nc_u32_e32 v4, v4, v9
	s_delay_alu instid0(VALU_DEP_3) | instskip(NEXT) | instid1(VALU_DEP_2)
	v_add3_u32 v5, v5, v29, v6
	v_mul_lo_u32 v9, v4, s62
	v_mul_lo_u32 v4, v4, s63
	v_add3_u32 v1, v7, v2, v1
	s_delay_alu instid0(VALU_DEP_3) | instskip(NEXT) | instid1(VALU_DEP_2)
	v_add3_u32 v29, v8, v5, v9
	v_add3_u32 v2, v3, v1, v4
	s_cbranch_scc0 .LBB145_140
	s_branch .LBB145_713
.LBB145_141:
	s_or_b32 exec_lo, exec_lo, s45
	s_mov_b32 s0, 0
	s_and_saveexec_b32 s2, s44
	s_cbranch_execnz .LBB145_1102
.LBB145_142:
	s_or_b32 exec_lo, exec_lo, s2
	s_and_saveexec_b32 s2, s46
	s_delay_alu instid0(SALU_CYCLE_1)
	s_xor_b32 s2, exec_lo, s2
	s_cbranch_execz .LBB145_144
.LBB145_143:
	v_or_b32_e32 v5, v0, v1
	s_delay_alu instid0(VALU_DEP_1) | instskip(NEXT) | instid1(VALU_DEP_1)
	v_and_b32_e32 v5, 0x7fffffff, v5
	v_cmp_ne_u32_e32 vcc_lo, 0, v5
	v_cndmask_b32_e64 v5, 0, 1, vcc_lo
	global_store_b8 v[2:3], v5, off
.LBB145_144:
	s_or_b32 exec_lo, exec_lo, s2
	s_and_saveexec_b32 s2, s1
	s_delay_alu instid0(SALU_CYCLE_1)
	s_xor_b32 s1, exec_lo, s2
	s_cbranch_execz .LBB145_182
; %bb.145:
	v_cmp_gt_i16_e32 vcc_lo, 5, v4
	s_mov_b32 s2, -1
	s_cbranch_vccnz .LBB145_166
; %bb.146:
	v_cmp_gt_i16_e32 vcc_lo, 8, v4
	s_cbranch_vccnz .LBB145_156
; %bb.147:
	v_cmp_gt_i16_e32 vcc_lo, 9, v4
	s_cbranch_vccnz .LBB145_153
; %bb.148:
	v_cmp_lt_i16_e32 vcc_lo, 9, v4
	s_cbranch_vccz .LBB145_150
; %bb.149:
	v_cvt_f64_f32_e32 v[5:6], v0
	v_cvt_f64_f32_e32 v[7:8], v1
	s_mov_b32 s2, 0
	global_store_b128 v[2:3], v[5:8], off
.LBB145_150:
	s_and_not1_b32 vcc_lo, exec_lo, s2
	s_cbranch_vccnz .LBB145_152
; %bb.151:
	global_store_b64 v[2:3], v[0:1], off
.LBB145_152:
	s_mov_b32 s2, 0
.LBB145_153:
	s_delay_alu instid0(SALU_CYCLE_1)
	s_and_not1_b32 vcc_lo, exec_lo, s2
	s_cbranch_vccnz .LBB145_155
; %bb.154:
	v_cvt_f16_f32_e32 v1, v1
	v_cvt_f16_f32_e32 v5, v0
	s_delay_alu instid0(VALU_DEP_2) | instskip(NEXT) | instid1(VALU_DEP_2)
	v_lshlrev_b32_e32 v1, 16, v1
	v_and_b32_e32 v5, 0xffff, v5
	s_delay_alu instid0(VALU_DEP_1)
	v_or_b32_e32 v1, v1, v5
	global_store_b32 v[2:3], v1, off
.LBB145_155:
	s_mov_b32 s2, 0
.LBB145_156:
	s_delay_alu instid0(SALU_CYCLE_1)
	s_and_not1_b32 vcc_lo, exec_lo, s2
	s_cbranch_vccnz .LBB145_165
; %bb.157:
	v_cmp_gt_i16_e32 vcc_lo, 6, v4
	s_mov_b32 s2, -1
	s_cbranch_vccnz .LBB145_163
; %bb.158:
	v_cmp_lt_i16_e32 vcc_lo, 6, v4
	s_cbranch_vccz .LBB145_160
; %bb.159:
	v_cvt_f64_f32_e32 v[5:6], v0
	s_mov_b32 s2, 0
	global_store_b64 v[2:3], v[5:6], off
.LBB145_160:
	s_and_not1_b32 vcc_lo, exec_lo, s2
	s_cbranch_vccnz .LBB145_162
; %bb.161:
	global_store_b32 v[2:3], v0, off
.LBB145_162:
	s_mov_b32 s2, 0
.LBB145_163:
	s_delay_alu instid0(SALU_CYCLE_1)
	s_and_not1_b32 vcc_lo, exec_lo, s2
	s_cbranch_vccnz .LBB145_165
; %bb.164:
	v_cvt_f16_f32_e32 v1, v0
	global_store_b16 v[2:3], v1, off
.LBB145_165:
	s_mov_b32 s2, 0
.LBB145_166:
	s_delay_alu instid0(SALU_CYCLE_1)
	s_and_not1_b32 vcc_lo, exec_lo, s2
	s_cbranch_vccnz .LBB145_182
; %bb.167:
	v_cmp_gt_i16_e32 vcc_lo, 2, v4
	s_mov_b32 s2, -1
	s_cbranch_vccnz .LBB145_177
; %bb.168:
	v_cmp_gt_i16_e32 vcc_lo, 3, v4
	s_cbranch_vccnz .LBB145_174
; %bb.169:
	v_cmp_lt_i16_e32 vcc_lo, 3, v4
	s_cbranch_vccz .LBB145_171
; %bb.170:
	v_trunc_f32_e32 v1, v0
	s_mov_b32 s2, 0
	s_delay_alu instid0(VALU_DEP_1) | instskip(NEXT) | instid1(VALU_DEP_1)
	v_mul_f32_e64 v5, 0x2f800000, |v1|
	v_floor_f32_e32 v5, v5
	s_delay_alu instid0(VALU_DEP_1) | instskip(SKIP_2) | instid1(VALU_DEP_3)
	v_fma_f32 v6, 0xcf800000, v5, |v1|
	v_ashrrev_i32_e32 v1, 31, v1
	v_cvt_u32_f32_e32 v5, v5
	v_cvt_u32_f32_e32 v6, v6
	s_delay_alu instid0(VALU_DEP_2) | instskip(NEXT) | instid1(VALU_DEP_2)
	v_xor_b32_e32 v7, v5, v1
	v_xor_b32_e32 v6, v6, v1
	s_delay_alu instid0(VALU_DEP_1) | instskip(NEXT) | instid1(VALU_DEP_3)
	v_sub_co_u32 v5, vcc_lo, v6, v1
	v_sub_co_ci_u32_e32 v6, vcc_lo, v7, v1, vcc_lo
	global_store_b64 v[2:3], v[5:6], off
.LBB145_171:
	s_and_not1_b32 vcc_lo, exec_lo, s2
	s_cbranch_vccnz .LBB145_173
; %bb.172:
	v_cvt_i32_f32_e32 v1, v0
	global_store_b32 v[2:3], v1, off
.LBB145_173:
	s_mov_b32 s2, 0
.LBB145_174:
	s_delay_alu instid0(SALU_CYCLE_1)
	s_and_not1_b32 vcc_lo, exec_lo, s2
	s_cbranch_vccnz .LBB145_176
; %bb.175:
	v_cvt_i32_f32_e32 v1, v0
	global_store_b16 v[2:3], v1, off
.LBB145_176:
	s_mov_b32 s2, 0
.LBB145_177:
	s_delay_alu instid0(SALU_CYCLE_1)
	s_and_not1_b32 vcc_lo, exec_lo, s2
	s_cbranch_vccnz .LBB145_182
; %bb.178:
	v_cmp_lt_i16_e32 vcc_lo, 0, v4
	s_mov_b32 s2, -1
	s_cbranch_vccz .LBB145_180
; %bb.179:
	v_cvt_i32_f32_e32 v1, v0
	s_mov_b32 s2, 0
	global_store_b8 v[2:3], v1, off
.LBB145_180:
	s_and_not1_b32 vcc_lo, exec_lo, s2
	s_cbranch_vccnz .LBB145_182
; %bb.181:
	v_trunc_f32_e32 v0, v0
	s_delay_alu instid0(VALU_DEP_1) | instskip(NEXT) | instid1(VALU_DEP_1)
	v_mul_f32_e64 v1, 0x2f800000, |v0|
	v_floor_f32_e32 v1, v1
	s_delay_alu instid0(VALU_DEP_1) | instskip(SKIP_1) | instid1(VALU_DEP_2)
	v_fma_f32 v1, 0xcf800000, v1, |v0|
	v_ashrrev_i32_e32 v0, 31, v0
	v_cvt_u32_f32_e32 v1, v1
	s_delay_alu instid0(VALU_DEP_1) | instskip(NEXT) | instid1(VALU_DEP_1)
	v_xor_b32_e32 v1, v1, v0
	v_sub_nc_u32_e32 v0, v1, v0
	global_store_b8 v[2:3], v0, off
.LBB145_182:
	s_or_b32 exec_lo, exec_lo, s1
	s_waitcnt lgkmcnt(0)
	s_and_b32 s16, s0, exec_lo
                                        ; implicit-def: $vgpr1
                                        ; implicit-def: $vgpr30
.LBB145_183:
	s_or_saveexec_b32 s17, s39
	s_mov_b32 s0, 0
                                        ; implicit-def: $vgpr4
                                        ; implicit-def: $vgpr2_vgpr3
                                        ; implicit-def: $vgpr0
	s_xor_b32 exec_lo, exec_lo, s17
	s_cbranch_execz .LBB145_668
; %bb.184:
	v_cndmask_b32_e64 v0, 0, 1, s38
	s_and_not1_b32 vcc_lo, exec_lo, s38
	s_cbranch_vccnz .LBB145_190
; %bb.185:
	v_mov_b32_e32 v38, 0
	v_mov_b32_e32 v2, 0
	s_cmp_lg_u32 s33, 0
	s_mov_b32 s4, 0
	s_cbranch_scc0 .LBB145_194
; %bb.186:
	s_min_u32 s5, s36, 15
	v_mov_b32_e32 v38, 0
	s_add_i32 s5, s5, 1
	s_cmp_eq_u32 s36, 2
	s_mov_b32 s6, 0
	s_cbranch_scc1 .LBB145_191
; %bb.187:
	v_dual_mov_b32 v2, 0 :: v_dual_mov_b32 v3, v30
	v_mov_b32_e32 v38, 0
	s_add_u32 s0, s14, 0xc4
	s_addc_u32 s1, s15, 0
	s_and_b32 s6, s5, 28
	s_mov_b32 s7, 0
	s_mov_b64 s[2:3], s[14:15]
.LBB145_188:                            ; =>This Inner Loop Header: Depth=1
	s_clause 0x1
	s_load_b256 s[20:27], s[2:3], 0x4
	s_load_b128 s[8:11], s[2:3], 0x24
	s_load_b256 s[40:47], s[0:1], 0x0
	s_add_u32 s2, s2, 48
	s_addc_u32 s3, s3, 0
	s_add_i32 s7, s7, 4
	s_add_u32 s0, s0, 32
	s_addc_u32 s1, s1, 0
	s_cmp_lg_u32 s6, s7
	s_waitcnt lgkmcnt(0)
	v_mul_hi_u32 v4, s21, v3
	s_delay_alu instid0(VALU_DEP_1) | instskip(NEXT) | instid1(VALU_DEP_1)
	v_add_nc_u32_e32 v4, v3, v4
	v_lshrrev_b32_e32 v4, s22, v4
	s_delay_alu instid0(VALU_DEP_1) | instskip(SKIP_1) | instid1(VALU_DEP_2)
	v_mul_hi_u32 v5, s24, v4
	v_mul_lo_u32 v7, v4, s20
	v_add_nc_u32_e32 v5, v4, v5
	s_delay_alu instid0(VALU_DEP_2) | instskip(NEXT) | instid1(VALU_DEP_2)
	v_sub_nc_u32_e32 v3, v3, v7
	v_lshrrev_b32_e32 v5, s25, v5
	s_delay_alu instid0(VALU_DEP_2) | instskip(SKIP_1) | instid1(VALU_DEP_3)
	v_mul_lo_u32 v7, v3, s40
	v_mul_lo_u32 v9, v3, s41
	v_mul_hi_u32 v6, s27, v5
	s_delay_alu instid0(VALU_DEP_1) | instskip(NEXT) | instid1(VALU_DEP_1)
	v_add_nc_u32_e32 v6, v5, v6
	v_lshrrev_b32_e32 v6, s8, v6
	s_delay_alu instid0(VALU_DEP_1) | instskip(SKIP_1) | instid1(VALU_DEP_2)
	v_mul_hi_u32 v8, s10, v6
	v_mul_lo_u32 v10, v6, s26
	v_add_nc_u32_e32 v3, v6, v8
	v_mul_lo_u32 v8, v5, s23
	s_delay_alu instid0(VALU_DEP_3) | instskip(NEXT) | instid1(VALU_DEP_3)
	v_sub_nc_u32_e32 v5, v5, v10
	v_lshrrev_b32_e32 v3, s11, v3
	s_delay_alu instid0(VALU_DEP_2) | instskip(SKIP_2) | instid1(VALU_DEP_4)
	v_mul_lo_u32 v10, v5, s44
	v_mul_lo_u32 v5, v5, s45
	v_sub_nc_u32_e32 v4, v4, v8
	v_mul_lo_u32 v11, v3, s9
	s_delay_alu instid0(VALU_DEP_2) | instskip(SKIP_1) | instid1(VALU_DEP_3)
	v_mul_lo_u32 v8, v4, s42
	v_mul_lo_u32 v4, v4, s43
	v_sub_nc_u32_e32 v6, v6, v11
	s_delay_alu instid0(VALU_DEP_3) | instskip(NEXT) | instid1(VALU_DEP_2)
	v_add3_u32 v7, v7, v38, v8
	v_mul_lo_u32 v11, v6, s46
	v_mul_lo_u32 v6, v6, s47
	v_add3_u32 v2, v9, v2, v4
	s_delay_alu instid0(VALU_DEP_3) | instskip(NEXT) | instid1(VALU_DEP_2)
	v_add3_u32 v38, v10, v7, v11
	v_add3_u32 v2, v5, v2, v6
	s_cbranch_scc1 .LBB145_188
; %bb.189:
	s_and_b32 s5, s5, 3
	s_delay_alu instid0(SALU_CYCLE_1)
	s_cmp_eq_u32 s5, 0
	s_cbranch_scc0 .LBB145_192
	s_branch .LBB145_194
.LBB145_190:
	s_mov_b32 s4, -1
                                        ; implicit-def: $vgpr38
                                        ; implicit-def: $vgpr2
	s_branch .LBB145_194
.LBB145_191:
	v_dual_mov_b32 v3, v30 :: v_dual_mov_b32 v2, 0
	s_and_b32 s5, s5, 3
	s_delay_alu instid0(SALU_CYCLE_1)
	s_cmp_eq_u32 s5, 0
	s_cbranch_scc1 .LBB145_194
.LBB145_192:
	s_lshl_b32 s0, s6, 3
	s_mul_i32 s2, s6, 12
	s_add_u32 s0, s0, s14
	s_addc_u32 s1, 0, s15
	s_add_u32 s0, s0, 0xc4
	s_addc_u32 s1, s1, 0
	;; [unrolled: 2-line block ×3, first 2 shown]
	.p2align	6
.LBB145_193:                            ; =>This Inner Loop Header: Depth=1
	s_clause 0x1
	s_load_b64 s[6:7], s[2:3], 0x4
	s_load_b32 s10, s[2:3], 0xc
	s_load_b64 s[8:9], s[0:1], 0x0
	s_add_u32 s2, s2, 12
	s_addc_u32 s3, s3, 0
	s_add_u32 s0, s0, 8
	s_addc_u32 s1, s1, 0
	s_add_i32 s5, s5, -1
	s_delay_alu instid0(SALU_CYCLE_1) | instskip(SKIP_2) | instid1(VALU_DEP_1)
	s_cmp_lg_u32 s5, 0
	s_waitcnt lgkmcnt(0)
	v_mul_hi_u32 v4, s7, v3
	v_add_nc_u32_e32 v4, v3, v4
	s_delay_alu instid0(VALU_DEP_1) | instskip(NEXT) | instid1(VALU_DEP_1)
	v_lshrrev_b32_e32 v7, s10, v4
	v_mul_lo_u32 v4, v7, s6
	s_delay_alu instid0(VALU_DEP_1) | instskip(NEXT) | instid1(VALU_DEP_1)
	v_sub_nc_u32_e32 v3, v3, v4
	v_mad_u64_u32 v[4:5], null, v3, s8, v[38:39]
	v_mad_u64_u32 v[5:6], null, v3, s9, v[2:3]
	s_delay_alu instid0(VALU_DEP_2) | instskip(NEXT) | instid1(VALU_DEP_2)
	v_dual_mov_b32 v3, v7 :: v_dual_mov_b32 v38, v4
	v_mov_b32_e32 v2, v5
	s_cbranch_scc1 .LBB145_193
.LBB145_194:
	s_and_not1_b32 vcc_lo, exec_lo, s4
	s_cbranch_vccnz .LBB145_197
; %bb.195:
	s_clause 0x1
	s_load_b128 s[0:3], s[14:15], 0x4
	s_load_b64 s[4:5], s[14:15], 0xc4
	s_cmp_lt_u32 s33, 2
	s_waitcnt lgkmcnt(0)
	v_mul_hi_u32 v2, s1, v30
	s_delay_alu instid0(VALU_DEP_1) | instskip(NEXT) | instid1(VALU_DEP_1)
	v_add_nc_u32_e32 v2, v30, v2
	v_lshrrev_b32_e32 v3, s2, v2
	s_delay_alu instid0(VALU_DEP_1) | instskip(NEXT) | instid1(VALU_DEP_1)
	v_mul_lo_u32 v2, v3, s0
	v_sub_nc_u32_e32 v2, v30, v2
	s_delay_alu instid0(VALU_DEP_1)
	v_mul_lo_u32 v38, v2, s4
	v_mul_lo_u32 v2, v2, s5
	s_cbranch_scc1 .LBB145_197
; %bb.196:
	s_clause 0x1
	s_load_b128 s[0:3], s[14:15], 0x10
	s_load_b64 s[4:5], s[14:15], 0xcc
	s_waitcnt lgkmcnt(0)
	v_mul_hi_u32 v4, s1, v3
	s_delay_alu instid0(VALU_DEP_1) | instskip(NEXT) | instid1(VALU_DEP_1)
	v_add_nc_u32_e32 v4, v3, v4
	v_lshrrev_b32_e32 v4, s2, v4
	s_delay_alu instid0(VALU_DEP_1) | instskip(NEXT) | instid1(VALU_DEP_1)
	v_mul_lo_u32 v4, v4, s0
	v_sub_nc_u32_e32 v6, v3, v4
	s_delay_alu instid0(VALU_DEP_1) | instskip(NEXT) | instid1(VALU_DEP_1)
	v_mad_u64_u32 v[3:4], null, v6, s4, v[38:39]
	v_mad_u64_u32 v[4:5], null, v6, s5, v[2:3]
	v_mov_b32_e32 v38, v3
	s_delay_alu instid0(VALU_DEP_2)
	v_mov_b32_e32 v2, v4
.LBB145_197:
	v_cmp_ne_u32_e32 vcc_lo, 1, v0
	v_add_nc_u32_e32 v3, 0x80, v30
	s_cbranch_vccnz .LBB145_203
; %bb.198:
	v_dual_mov_b32 v37, 0 :: v_dual_mov_b32 v28, 0
	s_cmp_lg_u32 s33, 0
	s_mov_b32 s4, 0
	s_cbranch_scc0 .LBB145_207
; %bb.199:
	s_min_u32 s5, s36, 15
	v_mov_b32_e32 v37, 0
	s_add_i32 s5, s5, 1
	s_cmp_eq_u32 s36, 2
	s_mov_b32 s6, 0
	s_cbranch_scc1 .LBB145_204
; %bb.200:
	v_dual_mov_b32 v28, 0 :: v_dual_mov_b32 v37, 0
	v_mov_b32_e32 v4, v3
	s_add_u32 s0, s14, 0xc4
	s_addc_u32 s1, s15, 0
	s_and_b32 s6, s5, 28
	s_mov_b32 s7, 0
	s_mov_b64 s[2:3], s[14:15]
.LBB145_201:                            ; =>This Inner Loop Header: Depth=1
	s_clause 0x1
	s_load_b256 s[20:27], s[2:3], 0x4
	s_load_b128 s[8:11], s[2:3], 0x24
	s_load_b256 s[40:47], s[0:1], 0x0
	s_add_u32 s2, s2, 48
	s_addc_u32 s3, s3, 0
	s_add_i32 s7, s7, 4
	s_add_u32 s0, s0, 32
	s_addc_u32 s1, s1, 0
	s_cmp_lg_u32 s6, s7
	s_waitcnt lgkmcnt(0)
	v_mul_hi_u32 v5, s21, v4
	s_delay_alu instid0(VALU_DEP_1) | instskip(NEXT) | instid1(VALU_DEP_1)
	v_add_nc_u32_e32 v5, v4, v5
	v_lshrrev_b32_e32 v5, s22, v5
	s_delay_alu instid0(VALU_DEP_1) | instskip(SKIP_1) | instid1(VALU_DEP_2)
	v_mul_hi_u32 v6, s24, v5
	v_mul_lo_u32 v8, v5, s20
	v_add_nc_u32_e32 v6, v5, v6
	s_delay_alu instid0(VALU_DEP_2) | instskip(NEXT) | instid1(VALU_DEP_2)
	v_sub_nc_u32_e32 v4, v4, v8
	v_lshrrev_b32_e32 v6, s25, v6
	s_delay_alu instid0(VALU_DEP_2) | instskip(SKIP_1) | instid1(VALU_DEP_3)
	v_mul_lo_u32 v8, v4, s40
	v_mul_lo_u32 v10, v4, s41
	v_mul_hi_u32 v7, s27, v6
	s_delay_alu instid0(VALU_DEP_1) | instskip(NEXT) | instid1(VALU_DEP_1)
	v_add_nc_u32_e32 v7, v6, v7
	v_lshrrev_b32_e32 v7, s8, v7
	s_delay_alu instid0(VALU_DEP_1) | instskip(SKIP_1) | instid1(VALU_DEP_2)
	v_mul_hi_u32 v9, s10, v7
	v_mul_lo_u32 v11, v7, s26
	v_add_nc_u32_e32 v4, v7, v9
	v_mul_lo_u32 v9, v6, s23
	s_delay_alu instid0(VALU_DEP_3) | instskip(NEXT) | instid1(VALU_DEP_3)
	v_sub_nc_u32_e32 v6, v6, v11
	v_lshrrev_b32_e32 v4, s11, v4
	s_delay_alu instid0(VALU_DEP_2) | instskip(SKIP_2) | instid1(VALU_DEP_4)
	v_mul_lo_u32 v11, v6, s44
	v_mul_lo_u32 v6, v6, s45
	v_sub_nc_u32_e32 v5, v5, v9
	v_mul_lo_u32 v12, v4, s9
	s_delay_alu instid0(VALU_DEP_2) | instskip(SKIP_1) | instid1(VALU_DEP_3)
	v_mul_lo_u32 v9, v5, s42
	v_mul_lo_u32 v5, v5, s43
	v_sub_nc_u32_e32 v7, v7, v12
	s_delay_alu instid0(VALU_DEP_3) | instskip(NEXT) | instid1(VALU_DEP_2)
	v_add3_u32 v8, v8, v37, v9
	v_mul_lo_u32 v12, v7, s46
	v_mul_lo_u32 v7, v7, s47
	v_add3_u32 v5, v10, v28, v5
	s_delay_alu instid0(VALU_DEP_3) | instskip(NEXT) | instid1(VALU_DEP_2)
	v_add3_u32 v37, v11, v8, v12
	v_add3_u32 v28, v6, v5, v7
	s_cbranch_scc1 .LBB145_201
; %bb.202:
	s_and_b32 s5, s5, 3
	s_delay_alu instid0(SALU_CYCLE_1)
	s_cmp_eq_u32 s5, 0
	s_cbranch_scc0 .LBB145_205
	s_branch .LBB145_207
.LBB145_203:
	s_mov_b32 s4, -1
                                        ; implicit-def: $vgpr37
                                        ; implicit-def: $vgpr28
	s_branch .LBB145_207
.LBB145_204:
	v_mov_b32_e32 v4, v3
	v_mov_b32_e32 v28, 0
	s_and_b32 s5, s5, 3
	s_delay_alu instid0(SALU_CYCLE_1)
	s_cmp_eq_u32 s5, 0
	s_cbranch_scc1 .LBB145_207
.LBB145_205:
	s_lshl_b32 s0, s6, 3
	s_mul_i32 s2, s6, 12
	s_add_u32 s0, s0, s14
	s_addc_u32 s1, 0, s15
	s_add_u32 s0, s0, 0xc4
	s_addc_u32 s1, s1, 0
	;; [unrolled: 2-line block ×3, first 2 shown]
	.p2align	6
.LBB145_206:                            ; =>This Inner Loop Header: Depth=1
	s_clause 0x1
	s_load_b64 s[6:7], s[2:3], 0x4
	s_load_b32 s10, s[2:3], 0xc
	s_load_b64 s[8:9], s[0:1], 0x0
	s_add_u32 s2, s2, 12
	s_addc_u32 s3, s3, 0
	s_add_u32 s0, s0, 8
	s_addc_u32 s1, s1, 0
	s_add_i32 s5, s5, -1
	s_delay_alu instid0(SALU_CYCLE_1) | instskip(SKIP_2) | instid1(VALU_DEP_1)
	s_cmp_lg_u32 s5, 0
	s_waitcnt lgkmcnt(0)
	v_mul_hi_u32 v5, s7, v4
	v_add_nc_u32_e32 v5, v4, v5
	s_delay_alu instid0(VALU_DEP_1) | instskip(NEXT) | instid1(VALU_DEP_1)
	v_lshrrev_b32_e32 v8, s10, v5
	v_mul_lo_u32 v5, v8, s6
	s_delay_alu instid0(VALU_DEP_1) | instskip(NEXT) | instid1(VALU_DEP_1)
	v_sub_nc_u32_e32 v4, v4, v5
	v_mad_u64_u32 v[5:6], null, v4, s8, v[37:38]
	v_mad_u64_u32 v[6:7], null, v4, s9, v[28:29]
	s_delay_alu instid0(VALU_DEP_2) | instskip(NEXT) | instid1(VALU_DEP_2)
	v_dual_mov_b32 v4, v8 :: v_dual_mov_b32 v37, v5
	v_mov_b32_e32 v28, v6
	s_cbranch_scc1 .LBB145_206
.LBB145_207:
	s_and_not1_b32 vcc_lo, exec_lo, s4
	s_cbranch_vccnz .LBB145_210
; %bb.208:
	s_clause 0x1
	s_load_b128 s[0:3], s[14:15], 0x4
	s_load_b64 s[4:5], s[14:15], 0xc4
	s_cmp_lt_u32 s33, 2
	s_waitcnt lgkmcnt(0)
	v_mul_hi_u32 v4, s1, v3
	s_delay_alu instid0(VALU_DEP_1) | instskip(NEXT) | instid1(VALU_DEP_1)
	v_add_nc_u32_e32 v4, v3, v4
	v_lshrrev_b32_e32 v4, s2, v4
	s_delay_alu instid0(VALU_DEP_1) | instskip(NEXT) | instid1(VALU_DEP_1)
	v_mul_lo_u32 v5, v4, s0
	v_sub_nc_u32_e32 v3, v3, v5
	s_delay_alu instid0(VALU_DEP_1)
	v_mul_lo_u32 v37, v3, s4
	v_mul_lo_u32 v28, v3, s5
	s_cbranch_scc1 .LBB145_210
; %bb.209:
	s_clause 0x1
	s_load_b128 s[0:3], s[14:15], 0x10
	s_load_b64 s[4:5], s[14:15], 0xcc
	s_waitcnt lgkmcnt(0)
	v_mul_hi_u32 v3, s1, v4
	s_delay_alu instid0(VALU_DEP_1) | instskip(NEXT) | instid1(VALU_DEP_1)
	v_add_nc_u32_e32 v3, v4, v3
	v_lshrrev_b32_e32 v3, s2, v3
	s_delay_alu instid0(VALU_DEP_1) | instskip(NEXT) | instid1(VALU_DEP_1)
	v_mul_lo_u32 v3, v3, s0
	v_sub_nc_u32_e32 v6, v4, v3
	s_delay_alu instid0(VALU_DEP_1) | instskip(SKIP_1) | instid1(VALU_DEP_1)
	v_mad_u64_u32 v[3:4], null, v6, s4, v[37:38]
	v_mad_u64_u32 v[4:5], null, v6, s5, v[28:29]
	v_dual_mov_b32 v37, v3 :: v_dual_mov_b32 v28, v4
.LBB145_210:
	v_cmp_ne_u32_e32 vcc_lo, 1, v0
	v_add_nc_u32_e32 v3, 0x100, v30
	s_cbranch_vccnz .LBB145_216
; %bb.211:
	v_dual_mov_b32 v36, 0 :: v_dual_mov_b32 v29, 0
	s_cmp_lg_u32 s33, 0
	s_mov_b32 s4, 0
	s_cbranch_scc0 .LBB145_220
; %bb.212:
	s_min_u32 s5, s36, 15
	v_mov_b32_e32 v36, 0
	s_add_i32 s5, s5, 1
	s_cmp_eq_u32 s36, 2
	s_mov_b32 s6, 0
	s_cbranch_scc1 .LBB145_217
; %bb.213:
	v_dual_mov_b32 v29, 0 :: v_dual_mov_b32 v36, 0
	v_mov_b32_e32 v4, v3
	s_add_u32 s0, s14, 0xc4
	s_addc_u32 s1, s15, 0
	s_and_b32 s6, s5, 28
	s_mov_b32 s7, 0
	s_mov_b64 s[2:3], s[14:15]
.LBB145_214:                            ; =>This Inner Loop Header: Depth=1
	s_clause 0x1
	s_load_b256 s[20:27], s[2:3], 0x4
	s_load_b128 s[8:11], s[2:3], 0x24
	s_load_b256 s[40:47], s[0:1], 0x0
	s_add_u32 s2, s2, 48
	s_addc_u32 s3, s3, 0
	s_add_i32 s7, s7, 4
	s_add_u32 s0, s0, 32
	s_addc_u32 s1, s1, 0
	s_cmp_lg_u32 s6, s7
	s_waitcnt lgkmcnt(0)
	v_mul_hi_u32 v5, s21, v4
	s_delay_alu instid0(VALU_DEP_1) | instskip(NEXT) | instid1(VALU_DEP_1)
	v_add_nc_u32_e32 v5, v4, v5
	v_lshrrev_b32_e32 v5, s22, v5
	s_delay_alu instid0(VALU_DEP_1) | instskip(SKIP_1) | instid1(VALU_DEP_2)
	v_mul_hi_u32 v6, s24, v5
	v_mul_lo_u32 v8, v5, s20
	v_add_nc_u32_e32 v6, v5, v6
	s_delay_alu instid0(VALU_DEP_2) | instskip(NEXT) | instid1(VALU_DEP_2)
	v_sub_nc_u32_e32 v4, v4, v8
	v_lshrrev_b32_e32 v6, s25, v6
	s_delay_alu instid0(VALU_DEP_2) | instskip(SKIP_1) | instid1(VALU_DEP_3)
	v_mul_lo_u32 v8, v4, s40
	v_mul_lo_u32 v10, v4, s41
	v_mul_hi_u32 v7, s27, v6
	s_delay_alu instid0(VALU_DEP_1) | instskip(NEXT) | instid1(VALU_DEP_1)
	v_add_nc_u32_e32 v7, v6, v7
	v_lshrrev_b32_e32 v7, s8, v7
	s_delay_alu instid0(VALU_DEP_1) | instskip(SKIP_1) | instid1(VALU_DEP_2)
	v_mul_hi_u32 v9, s10, v7
	v_mul_lo_u32 v11, v7, s26
	v_add_nc_u32_e32 v4, v7, v9
	v_mul_lo_u32 v9, v6, s23
	s_delay_alu instid0(VALU_DEP_3) | instskip(NEXT) | instid1(VALU_DEP_3)
	v_sub_nc_u32_e32 v6, v6, v11
	v_lshrrev_b32_e32 v4, s11, v4
	s_delay_alu instid0(VALU_DEP_2) | instskip(SKIP_2) | instid1(VALU_DEP_4)
	v_mul_lo_u32 v11, v6, s44
	v_mul_lo_u32 v6, v6, s45
	v_sub_nc_u32_e32 v5, v5, v9
	v_mul_lo_u32 v12, v4, s9
	s_delay_alu instid0(VALU_DEP_2) | instskip(SKIP_1) | instid1(VALU_DEP_3)
	v_mul_lo_u32 v9, v5, s42
	v_mul_lo_u32 v5, v5, s43
	v_sub_nc_u32_e32 v7, v7, v12
	s_delay_alu instid0(VALU_DEP_3) | instskip(NEXT) | instid1(VALU_DEP_2)
	v_add3_u32 v8, v8, v36, v9
	v_mul_lo_u32 v12, v7, s46
	v_mul_lo_u32 v7, v7, s47
	v_add3_u32 v5, v10, v29, v5
	s_delay_alu instid0(VALU_DEP_3) | instskip(NEXT) | instid1(VALU_DEP_2)
	v_add3_u32 v36, v11, v8, v12
	v_add3_u32 v29, v6, v5, v7
	s_cbranch_scc1 .LBB145_214
; %bb.215:
	s_and_b32 s5, s5, 3
	s_delay_alu instid0(SALU_CYCLE_1)
	s_cmp_eq_u32 s5, 0
	s_cbranch_scc0 .LBB145_218
	s_branch .LBB145_220
.LBB145_216:
	s_mov_b32 s4, -1
                                        ; implicit-def: $vgpr36
                                        ; implicit-def: $vgpr29
	s_branch .LBB145_220
.LBB145_217:
	v_dual_mov_b32 v4, v3 :: v_dual_mov_b32 v29, 0
	s_and_b32 s5, s5, 3
	s_delay_alu instid0(SALU_CYCLE_1)
	s_cmp_eq_u32 s5, 0
	s_cbranch_scc1 .LBB145_220
.LBB145_218:
	s_lshl_b32 s0, s6, 3
	s_mul_i32 s2, s6, 12
	s_add_u32 s0, s0, s14
	s_addc_u32 s1, 0, s15
	s_add_u32 s0, s0, 0xc4
	s_addc_u32 s1, s1, 0
	;; [unrolled: 2-line block ×3, first 2 shown]
	.p2align	6
.LBB145_219:                            ; =>This Inner Loop Header: Depth=1
	s_clause 0x1
	s_load_b64 s[6:7], s[2:3], 0x4
	s_load_b32 s10, s[2:3], 0xc
	s_load_b64 s[8:9], s[0:1], 0x0
	s_add_u32 s2, s2, 12
	s_addc_u32 s3, s3, 0
	s_add_u32 s0, s0, 8
	s_addc_u32 s1, s1, 0
	s_add_i32 s5, s5, -1
	s_delay_alu instid0(SALU_CYCLE_1) | instskip(SKIP_2) | instid1(VALU_DEP_1)
	s_cmp_lg_u32 s5, 0
	s_waitcnt lgkmcnt(0)
	v_mul_hi_u32 v5, s7, v4
	v_add_nc_u32_e32 v5, v4, v5
	s_delay_alu instid0(VALU_DEP_1) | instskip(NEXT) | instid1(VALU_DEP_1)
	v_lshrrev_b32_e32 v8, s10, v5
	v_mul_lo_u32 v5, v8, s6
	s_delay_alu instid0(VALU_DEP_1) | instskip(NEXT) | instid1(VALU_DEP_1)
	v_sub_nc_u32_e32 v4, v4, v5
	v_mad_u64_u32 v[5:6], null, v4, s8, v[36:37]
	v_mad_u64_u32 v[6:7], null, v4, s9, v[29:30]
	v_mov_b32_e32 v4, v8
	s_delay_alu instid0(VALU_DEP_2)
	v_dual_mov_b32 v36, v5 :: v_dual_mov_b32 v29, v6
	s_cbranch_scc1 .LBB145_219
.LBB145_220:
	s_and_not1_b32 vcc_lo, exec_lo, s4
	s_cbranch_vccnz .LBB145_223
; %bb.221:
	s_clause 0x1
	s_load_b128 s[0:3], s[14:15], 0x4
	s_load_b64 s[4:5], s[14:15], 0xc4
	s_cmp_lt_u32 s33, 2
	s_waitcnt lgkmcnt(0)
	v_mul_hi_u32 v4, s1, v3
	s_delay_alu instid0(VALU_DEP_1) | instskip(NEXT) | instid1(VALU_DEP_1)
	v_add_nc_u32_e32 v4, v3, v4
	v_lshrrev_b32_e32 v4, s2, v4
	s_delay_alu instid0(VALU_DEP_1) | instskip(NEXT) | instid1(VALU_DEP_1)
	v_mul_lo_u32 v5, v4, s0
	v_sub_nc_u32_e32 v3, v3, v5
	s_delay_alu instid0(VALU_DEP_1)
	v_mul_lo_u32 v36, v3, s4
	v_mul_lo_u32 v29, v3, s5
	s_cbranch_scc1 .LBB145_223
; %bb.222:
	s_clause 0x1
	s_load_b128 s[0:3], s[14:15], 0x10
	s_load_b64 s[4:5], s[14:15], 0xcc
	s_waitcnt lgkmcnt(0)
	v_mul_hi_u32 v3, s1, v4
	s_delay_alu instid0(VALU_DEP_1) | instskip(NEXT) | instid1(VALU_DEP_1)
	v_add_nc_u32_e32 v3, v4, v3
	v_lshrrev_b32_e32 v3, s2, v3
	s_delay_alu instid0(VALU_DEP_1) | instskip(NEXT) | instid1(VALU_DEP_1)
	v_mul_lo_u32 v3, v3, s0
	v_sub_nc_u32_e32 v6, v4, v3
	s_delay_alu instid0(VALU_DEP_1) | instskip(SKIP_1) | instid1(VALU_DEP_1)
	v_mad_u64_u32 v[3:4], null, v6, s4, v[36:37]
	v_mad_u64_u32 v[4:5], null, v6, s5, v[29:30]
	v_dual_mov_b32 v36, v3 :: v_dual_mov_b32 v29, v4
.LBB145_223:
	v_cmp_ne_u32_e32 vcc_lo, 1, v0
	s_cbranch_vccnz .LBB145_229
; %bb.224:
	v_dual_mov_b32 v35, 0 :: v_dual_mov_b32 v34, 0
	s_cmp_lg_u32 s33, 0
	s_mov_b32 s4, 0
	s_cbranch_scc0 .LBB145_233
; %bb.225:
	s_min_u32 s5, s36, 15
	v_mov_b32_e32 v35, 0
	s_add_i32 s5, s5, 1
	s_cmp_eq_u32 s36, 2
	s_mov_b32 s6, 0
	s_cbranch_scc1 .LBB145_230
; %bb.226:
	v_dual_mov_b32 v34, 0 :: v_dual_mov_b32 v35, 0
	v_mov_b32_e32 v0, v1
	s_add_u32 s0, s14, 0xc4
	s_addc_u32 s1, s15, 0
	s_and_b32 s6, s5, 28
	s_mov_b32 s7, 0
	s_mov_b64 s[2:3], s[14:15]
.LBB145_227:                            ; =>This Inner Loop Header: Depth=1
	s_clause 0x1
	s_load_b256 s[20:27], s[2:3], 0x4
	s_load_b128 s[8:11], s[2:3], 0x24
	s_load_b256 s[36:43], s[0:1], 0x0
	s_add_u32 s2, s2, 48
	s_addc_u32 s3, s3, 0
	s_add_i32 s7, s7, 4
	s_add_u32 s0, s0, 32
	s_addc_u32 s1, s1, 0
	s_cmp_lg_u32 s6, s7
	s_waitcnt lgkmcnt(0)
	v_mul_hi_u32 v3, s21, v0
	s_delay_alu instid0(VALU_DEP_1) | instskip(NEXT) | instid1(VALU_DEP_1)
	v_add_nc_u32_e32 v3, v0, v3
	v_lshrrev_b32_e32 v3, s22, v3
	s_delay_alu instid0(VALU_DEP_1) | instskip(SKIP_1) | instid1(VALU_DEP_2)
	v_mul_hi_u32 v4, s24, v3
	v_mul_lo_u32 v6, v3, s20
	v_add_nc_u32_e32 v4, v3, v4
	s_delay_alu instid0(VALU_DEP_2) | instskip(NEXT) | instid1(VALU_DEP_2)
	v_sub_nc_u32_e32 v0, v0, v6
	v_lshrrev_b32_e32 v4, s25, v4
	s_delay_alu instid0(VALU_DEP_2) | instskip(SKIP_1) | instid1(VALU_DEP_3)
	v_mul_lo_u32 v6, v0, s36
	v_mul_lo_u32 v8, v0, s37
	v_mul_hi_u32 v5, s27, v4
	s_delay_alu instid0(VALU_DEP_1) | instskip(NEXT) | instid1(VALU_DEP_1)
	v_add_nc_u32_e32 v5, v4, v5
	v_lshrrev_b32_e32 v5, s8, v5
	s_delay_alu instid0(VALU_DEP_1) | instskip(SKIP_1) | instid1(VALU_DEP_2)
	v_mul_hi_u32 v7, s10, v5
	v_mul_lo_u32 v9, v5, s26
	v_add_nc_u32_e32 v0, v5, v7
	v_mul_lo_u32 v7, v4, s23
	s_delay_alu instid0(VALU_DEP_3) | instskip(NEXT) | instid1(VALU_DEP_3)
	v_sub_nc_u32_e32 v4, v4, v9
	v_lshrrev_b32_e32 v0, s11, v0
	s_delay_alu instid0(VALU_DEP_2) | instskip(SKIP_2) | instid1(VALU_DEP_4)
	v_mul_lo_u32 v9, v4, s40
	v_mul_lo_u32 v4, v4, s41
	v_sub_nc_u32_e32 v3, v3, v7
	v_mul_lo_u32 v10, v0, s9
	s_delay_alu instid0(VALU_DEP_2) | instskip(SKIP_1) | instid1(VALU_DEP_3)
	v_mul_lo_u32 v7, v3, s38
	v_mul_lo_u32 v3, v3, s39
	v_sub_nc_u32_e32 v5, v5, v10
	s_delay_alu instid0(VALU_DEP_3) | instskip(NEXT) | instid1(VALU_DEP_2)
	v_add3_u32 v6, v6, v35, v7
	v_mul_lo_u32 v10, v5, s42
	v_mul_lo_u32 v5, v5, s43
	v_add3_u32 v3, v8, v34, v3
	s_delay_alu instid0(VALU_DEP_3) | instskip(NEXT) | instid1(VALU_DEP_2)
	v_add3_u32 v35, v9, v6, v10
	v_add3_u32 v34, v4, v3, v5
	s_cbranch_scc1 .LBB145_227
; %bb.228:
	s_and_b32 s5, s5, 3
	s_delay_alu instid0(SALU_CYCLE_1)
	s_cmp_eq_u32 s5, 0
	s_cbranch_scc0 .LBB145_231
	s_branch .LBB145_233
.LBB145_229:
	s_mov_b32 s4, -1
                                        ; implicit-def: $vgpr35
                                        ; implicit-def: $vgpr34
	s_branch .LBB145_233
.LBB145_230:
	v_mov_b32_e32 v0, v1
	v_mov_b32_e32 v34, 0
	s_and_b32 s5, s5, 3
	s_delay_alu instid0(SALU_CYCLE_1)
	s_cmp_eq_u32 s5, 0
	s_cbranch_scc1 .LBB145_233
.LBB145_231:
	s_lshl_b32 s0, s6, 3
	s_mul_i32 s2, s6, 12
	s_add_u32 s0, s0, s14
	s_addc_u32 s1, 0, s15
	s_add_u32 s0, s0, 0xc4
	s_addc_u32 s1, s1, 0
	;; [unrolled: 2-line block ×3, first 2 shown]
	.p2align	6
.LBB145_232:                            ; =>This Inner Loop Header: Depth=1
	s_clause 0x1
	s_load_b64 s[6:7], s[2:3], 0x4
	s_load_b32 s10, s[2:3], 0xc
	s_load_b64 s[8:9], s[0:1], 0x0
	s_add_u32 s2, s2, 12
	s_addc_u32 s3, s3, 0
	s_add_u32 s0, s0, 8
	s_addc_u32 s1, s1, 0
	s_add_i32 s5, s5, -1
	s_delay_alu instid0(SALU_CYCLE_1) | instskip(SKIP_2) | instid1(VALU_DEP_1)
	s_cmp_lg_u32 s5, 0
	s_waitcnt lgkmcnt(0)
	v_mul_hi_u32 v3, s7, v0
	v_add_nc_u32_e32 v3, v0, v3
	s_delay_alu instid0(VALU_DEP_1) | instskip(NEXT) | instid1(VALU_DEP_1)
	v_lshrrev_b32_e32 v6, s10, v3
	v_mul_lo_u32 v3, v6, s6
	s_delay_alu instid0(VALU_DEP_1) | instskip(NEXT) | instid1(VALU_DEP_1)
	v_sub_nc_u32_e32 v0, v0, v3
	v_mad_u64_u32 v[3:4], null, v0, s8, v[35:36]
	v_mad_u64_u32 v[4:5], null, v0, s9, v[34:35]
	s_delay_alu instid0(VALU_DEP_2) | instskip(NEXT) | instid1(VALU_DEP_2)
	v_dual_mov_b32 v0, v6 :: v_dual_mov_b32 v35, v3
	v_mov_b32_e32 v34, v4
	s_cbranch_scc1 .LBB145_232
.LBB145_233:
	s_and_not1_b32 vcc_lo, exec_lo, s4
	s_cbranch_vccnz .LBB145_236
; %bb.234:
	s_clause 0x1
	s_load_b128 s[0:3], s[14:15], 0x4
	s_load_b64 s[4:5], s[14:15], 0xc4
	s_cmp_lt_u32 s33, 2
	s_waitcnt lgkmcnt(0)
	v_mul_hi_u32 v0, s1, v1
	s_delay_alu instid0(VALU_DEP_1) | instskip(NEXT) | instid1(VALU_DEP_1)
	v_add_nc_u32_e32 v0, v1, v0
	v_lshrrev_b32_e32 v0, s2, v0
	s_delay_alu instid0(VALU_DEP_1) | instskip(NEXT) | instid1(VALU_DEP_1)
	v_mul_lo_u32 v3, v0, s0
	v_sub_nc_u32_e32 v1, v1, v3
	s_delay_alu instid0(VALU_DEP_1)
	v_mul_lo_u32 v35, v1, s4
	v_mul_lo_u32 v34, v1, s5
	s_cbranch_scc1 .LBB145_236
; %bb.235:
	s_clause 0x1
	s_load_b128 s[0:3], s[14:15], 0x10
	s_load_b64 s[4:5], s[14:15], 0xcc
	s_waitcnt lgkmcnt(0)
	v_mul_hi_u32 v1, s1, v0
	s_delay_alu instid0(VALU_DEP_1) | instskip(NEXT) | instid1(VALU_DEP_1)
	v_add_nc_u32_e32 v1, v0, v1
	v_lshrrev_b32_e32 v1, s2, v1
	s_delay_alu instid0(VALU_DEP_1) | instskip(NEXT) | instid1(VALU_DEP_1)
	v_mul_lo_u32 v1, v1, s0
	v_sub_nc_u32_e32 v5, v0, v1
	s_delay_alu instid0(VALU_DEP_1) | instskip(SKIP_1) | instid1(VALU_DEP_1)
	v_mad_u64_u32 v[0:1], null, v5, s4, v[35:36]
	v_mad_u64_u32 v[3:4], null, v5, s5, v[34:35]
	v_dual_mov_b32 v35, v0 :: v_dual_mov_b32 v34, v3
.LBB145_236:
	s_clause 0x1
	s_load_b32 s18, s[12:13], 0x160
	s_load_b128 s[12:15], s[14:15], 0x148
	s_getpc_b64 s[20:21]
	s_add_u32 s20, s20, _ZN2at6native6invokeIZZZNS0_17expm1_kernel_cudaERNS_18TensorIteratorBaseEENKUlvE_clEvENKUlvE2_clEvEUlN3c107complexIfEEE_j15function_traitsIS9_EEENT1_11result_typeERKT_PrKPcPKT0_PKNS6_10ScalarTypeEi@rel32@lo+4
	s_addc_u32 s21, s21, _ZN2at6native6invokeIZZZNS0_17expm1_kernel_cudaERNS_18TensorIteratorBaseEENKUlvE_clEvENKUlvE2_clEvEUlN3c107complexIfEEE_j15function_traitsIS9_EEENT1_11result_typeERKT_PrKPcPKT0_PKNS6_10ScalarTypeEi@rel32@hi+12
	s_waitcnt lgkmcnt(0)
	s_lshr_b32 s19, s18, 16
	v_dual_mov_b32 v0, s14 :: v_dual_mov_b32 v1, s15
	v_mov_b32_e32 v3, s19
	s_swappc_b64 s[30:31], s[20:21]
	s_delay_alu instid0(VALU_DEP_2) | instskip(SKIP_3) | instid1(VALU_DEP_2)
	v_dual_mov_b32 v32, v0 :: v_dual_mov_b32 v33, v1
	v_dual_mov_b32 v0, s14 :: v_dual_mov_b32 v1, s15
	;; [unrolled: 1-line block ×3, first 2 shown]
	s_swappc_b64 s[30:31], s[20:21]
	v_dual_mov_b32 v30, v0 :: v_dual_mov_b32 v31, v1
	v_dual_mov_b32 v0, s14 :: v_dual_mov_b32 v1, s15
	;; [unrolled: 1-line block ×3, first 2 shown]
	s_swappc_b64 s[30:31], s[20:21]
	s_delay_alu instid0(VALU_DEP_2)
	v_dual_mov_b32 v28, v0 :: v_dual_mov_b32 v29, v1
	v_dual_mov_b32 v0, s14 :: v_dual_mov_b32 v1, s15
	;; [unrolled: 1-line block ×3, first 2 shown]
	s_swappc_b64 s[30:31], s[20:21]
	s_lshr_b32 s0, s18, 8
	s_mov_b32 s3, 0
	v_and_b32_e64 v4, 0xff, s0
	v_add_co_u32 v2, s0, s12, v38
	s_delay_alu instid0(VALU_DEP_1) | instskip(NEXT) | instid1(VALU_DEP_3)
	v_add_co_ci_u32_e64 v3, null, s13, 0, s0
	v_cmp_gt_i16_e32 vcc_lo, 11, v4
	s_mov_b32 s0, -1
	s_mov_b32 s1, s16
	s_cbranch_vccnz .LBB145_314
; %bb.237:
	v_cmp_lt_i16_e32 vcc_lo, 25, v4
	s_mov_b32 s1, -1
	s_mov_b32 s2, 0
	s_mov_b32 s0, 0
	s_cbranch_vccz .LBB145_270
; %bb.238:
	v_cmp_lt_i16_e32 vcc_lo, 28, v4
	s_cbranch_vccz .LBB145_253
; %bb.239:
	v_cmp_lt_i16_e32 vcc_lo, 43, v4
	;; [unrolled: 3-line block ×3, first 2 shown]
	s_cbranch_vccz .LBB145_243
; %bb.241:
	v_cmp_eq_u16_e32 vcc_lo, 46, v4
	s_mov_b32 s0, -1
	s_mov_b32 s1, 0
	s_cbranch_vccz .LBB145_243
; %bb.242:
	v_bfe_u32 v5, v33, 16, 1
	v_bfe_u32 v6, v32, 16, 1
	v_cmp_o_f32_e32 vcc_lo, v33, v33
	s_mov_b32 s0, 0
	s_mov_b32 s3, -1
	v_add3_u32 v5, v33, v5, 0x7fff
	v_add3_u32 v6, v32, v6, 0x7fff
	s_delay_alu instid0(VALU_DEP_2) | instskip(NEXT) | instid1(VALU_DEP_2)
	v_and_b32_e32 v5, 0xffff0000, v5
	v_lshrrev_b32_e32 v6, 16, v6
	s_delay_alu instid0(VALU_DEP_2) | instskip(SKIP_1) | instid1(VALU_DEP_3)
	v_cndmask_b32_e32 v5, 0x7fc00000, v5, vcc_lo
	v_cmp_o_f32_e32 vcc_lo, v32, v32
	v_cndmask_b32_e32 v6, 0x7fc0, v6, vcc_lo
	s_delay_alu instid0(VALU_DEP_1)
	v_or_b32_e32 v5, v5, v6
	global_store_b32 v[2:3], v5, off
.LBB145_243:
	s_and_b32 vcc_lo, exec_lo, s1
	s_cbranch_vccz .LBB145_248
; %bb.244:
	v_cmp_eq_u16_e32 vcc_lo, 44, v4
	s_mov_b32 s0, -1
	s_cbranch_vccz .LBB145_248
; %bb.245:
	v_bfe_u32 v6, v32, 23, 8
	v_mov_b32_e32 v5, 0xff
	s_mov_b32 s1, exec_lo
	s_delay_alu instid0(VALU_DEP_2)
	v_cmpx_ne_u32_e32 0xff, v6
; %bb.246:
	v_and_b32_e32 v5, 0x400000, v32
	v_and_or_b32 v6, 0x3fffff, v32, v6
	s_delay_alu instid0(VALU_DEP_2) | instskip(NEXT) | instid1(VALU_DEP_2)
	v_cmp_ne_u32_e32 vcc_lo, 0, v5
	v_cmp_ne_u32_e64 s0, 0, v6
	v_lshrrev_b32_e32 v5, 23, v32
	s_delay_alu instid0(VALU_DEP_2) | instskip(NEXT) | instid1(SALU_CYCLE_1)
	s_and_b32 s0, vcc_lo, s0
	v_cndmask_b32_e64 v6, 0, 1, s0
	s_delay_alu instid0(VALU_DEP_1)
	v_add_nc_u32_e32 v5, v5, v6
; %bb.247:
	s_or_b32 exec_lo, exec_lo, s1
	s_mov_b32 s0, 0
	s_mov_b32 s3, -1
	global_store_b8 v[2:3], v5, off
.LBB145_248:
	s_mov_b32 s1, 0
.LBB145_249:
	s_delay_alu instid0(SALU_CYCLE_1)
	s_and_b32 vcc_lo, exec_lo, s1
	s_cbranch_vccz .LBB145_252
; %bb.250:
	v_cmp_eq_u16_e32 vcc_lo, 29, v4
	s_mov_b32 s0, -1
	s_cbranch_vccz .LBB145_252
; %bb.251:
	v_trunc_f32_e32 v5, v32
	s_mov_b32 s0, 0
	s_mov_b32 s3, -1
	s_delay_alu instid0(VALU_DEP_1) | instskip(NEXT) | instid1(VALU_DEP_1)
	v_mul_f32_e32 v6, 0x2f800000, v5
	v_floor_f32_e32 v6, v6
	s_delay_alu instid0(VALU_DEP_1) | instskip(SKIP_1) | instid1(VALU_DEP_2)
	v_fmamk_f32 v5, v6, 0xcf800000, v5
	v_cvt_u32_f32_e32 v6, v6
	v_cvt_u32_f32_e32 v5, v5
	global_store_b64 v[2:3], v[5:6], off
.LBB145_252:
	s_mov_b32 s1, 0
.LBB145_253:
	s_delay_alu instid0(SALU_CYCLE_1)
	s_and_b32 vcc_lo, exec_lo, s1
	s_cbranch_vccz .LBB145_269
; %bb.254:
	v_cmp_gt_i16_e32 vcc_lo, 27, v4
	s_mov_b32 s1, -1
	s_cbranch_vccnz .LBB145_260
; %bb.255:
	v_cmp_lt_i16_e32 vcc_lo, 27, v4
	s_cbranch_vccz .LBB145_257
; %bb.256:
	v_cvt_u32_f32_e32 v5, v32
	s_mov_b32 s1, 0
	global_store_b32 v[2:3], v5, off
.LBB145_257:
	s_and_not1_b32 vcc_lo, exec_lo, s1
	s_cbranch_vccnz .LBB145_259
; %bb.258:
	v_cvt_u32_f32_e32 v5, v32
	global_store_b16 v[2:3], v5, off
.LBB145_259:
	s_mov_b32 s1, 0
.LBB145_260:
	s_delay_alu instid0(SALU_CYCLE_1)
	s_and_not1_b32 vcc_lo, exec_lo, s1
	s_cbranch_vccnz .LBB145_268
; %bb.261:
	v_and_b32_e32 v5, 0x7fffffff, v32
	v_mov_b32_e32 v6, 0x80
	s_mov_b32 s1, exec_lo
	s_delay_alu instid0(VALU_DEP_2)
	v_cmpx_gt_u32_e32 0x43800000, v5
	s_cbranch_execz .LBB145_267
; %bb.262:
	v_cmp_lt_u32_e32 vcc_lo, 0x3bffffff, v5
	s_mov_b32 s3, 0
                                        ; implicit-def: $vgpr5
	s_and_saveexec_b32 s4, vcc_lo
	s_delay_alu instid0(SALU_CYCLE_1)
	s_xor_b32 s4, exec_lo, s4
	s_cbranch_execz .LBB145_768
; %bb.263:
	v_bfe_u32 v5, v32, 20, 1
	s_mov_b32 s3, exec_lo
	s_delay_alu instid0(VALU_DEP_1) | instskip(NEXT) | instid1(VALU_DEP_1)
	v_add3_u32 v5, v32, v5, 0x487ffff
	v_lshrrev_b32_e32 v5, 20, v5
	s_or_saveexec_b32 s4, s4
                                        ; implicit-def: $sgpr5
	s_delay_alu instid0(SALU_CYCLE_1)
	s_xor_b32 exec_lo, exec_lo, s4
	s_cbranch_execnz .LBB145_769
.LBB145_264:
	s_or_b32 exec_lo, exec_lo, s4
	v_mov_b32_e32 v6, s5
	s_and_saveexec_b32 s4, s3
.LBB145_265:
	v_lshrrev_b32_e32 v6, 24, v32
	s_delay_alu instid0(VALU_DEP_1)
	v_and_or_b32 v6, 0x80, v6, v5
.LBB145_266:
	s_or_b32 exec_lo, exec_lo, s4
.LBB145_267:
	s_delay_alu instid0(SALU_CYCLE_1)
	s_or_b32 exec_lo, exec_lo, s1
	global_store_b8 v[2:3], v6, off
.LBB145_268:
	s_mov_b32 s3, -1
.LBB145_269:
	s_mov_b32 s1, 0
.LBB145_270:
	s_delay_alu instid0(SALU_CYCLE_1)
	s_and_b32 vcc_lo, exec_lo, s1
	s_cbranch_vccz .LBB145_310
; %bb.271:
	v_cmp_lt_i16_e32 vcc_lo, 22, v4
	s_mov_b32 s1, -1
	s_cbranch_vccz .LBB145_303
; %bb.272:
	v_cmp_gt_i16_e32 vcc_lo, 24, v4
	s_cbranch_vccnz .LBB145_292
; %bb.273:
	v_cmp_lt_i16_e32 vcc_lo, 24, v4
	s_cbranch_vccz .LBB145_281
; %bb.274:
	v_and_b32_e32 v5, 0x7fffffff, v32
	v_mov_b32_e32 v6, 0x80
	s_mov_b32 s1, exec_lo
	s_delay_alu instid0(VALU_DEP_2)
	v_cmpx_gt_u32_e32 0x47800000, v5
	s_cbranch_execz .LBB145_280
; %bb.275:
	v_cmp_lt_u32_e32 vcc_lo, 0x37ffffff, v5
                                        ; implicit-def: $vgpr5
	s_and_saveexec_b32 s3, vcc_lo
	s_delay_alu instid0(SALU_CYCLE_1)
	s_xor_b32 s3, exec_lo, s3
	s_cbranch_execz .LBB145_775
; %bb.276:
	v_bfe_u32 v5, v32, 21, 1
	s_mov_b32 s2, exec_lo
	s_delay_alu instid0(VALU_DEP_1) | instskip(NEXT) | instid1(VALU_DEP_1)
	v_add3_u32 v5, v32, v5, 0x88fffff
	v_lshrrev_b32_e32 v5, 21, v5
	s_or_saveexec_b32 s3, s3
                                        ; implicit-def: $sgpr4
	s_delay_alu instid0(SALU_CYCLE_1)
	s_xor_b32 exec_lo, exec_lo, s3
	s_cbranch_execnz .LBB145_776
.LBB145_277:
	s_or_b32 exec_lo, exec_lo, s3
	v_mov_b32_e32 v6, s4
	s_and_saveexec_b32 s3, s2
.LBB145_278:
	v_lshrrev_b32_e32 v6, 24, v32
	s_delay_alu instid0(VALU_DEP_1)
	v_and_or_b32 v6, 0x80, v6, v5
.LBB145_279:
	s_or_b32 exec_lo, exec_lo, s3
.LBB145_280:
	s_delay_alu instid0(SALU_CYCLE_1)
	s_or_b32 exec_lo, exec_lo, s1
	s_mov_b32 s1, 0
	global_store_b8 v[2:3], v6, off
.LBB145_281:
	s_and_b32 vcc_lo, exec_lo, s1
	s_cbranch_vccz .LBB145_291
; %bb.282:
	v_and_b32_e32 v6, 0x7fffffff, v32
	s_mov_b32 s1, exec_lo
                                        ; implicit-def: $vgpr5
	s_delay_alu instid0(VALU_DEP_1)
	v_cmpx_gt_u32_e32 0x43f00000, v6
	s_xor_b32 s1, exec_lo, s1
	s_cbranch_execz .LBB145_288
; %bb.283:
	s_mov_b32 s2, exec_lo
                                        ; implicit-def: $vgpr5
	v_cmpx_lt_u32_e32 0x3c7fffff, v6
	s_xor_b32 s2, exec_lo, s2
; %bb.284:
	v_bfe_u32 v5, v32, 20, 1
	s_delay_alu instid0(VALU_DEP_1) | instskip(NEXT) | instid1(VALU_DEP_1)
	v_add3_u32 v5, v32, v5, 0x407ffff
	v_and_b32_e32 v6, 0xff00000, v5
	v_lshrrev_b32_e32 v5, 20, v5
	s_delay_alu instid0(VALU_DEP_2) | instskip(NEXT) | instid1(VALU_DEP_2)
	v_cmp_ne_u32_e32 vcc_lo, 0x7f00000, v6
	v_cndmask_b32_e32 v5, 0x7e, v5, vcc_lo
; %bb.285:
	s_and_not1_saveexec_b32 s2, s2
; %bb.286:
	v_add_f32_e64 v5, 0x46800000, |v32|
; %bb.287:
	s_or_b32 exec_lo, exec_lo, s2
                                        ; implicit-def: $vgpr6
.LBB145_288:
	s_and_not1_saveexec_b32 s1, s1
; %bb.289:
	v_mov_b32_e32 v5, 0x7f
	v_cmp_lt_u32_e32 vcc_lo, 0x7f800000, v6
	s_delay_alu instid0(VALU_DEP_2)
	v_cndmask_b32_e32 v5, 0x7e, v5, vcc_lo
; %bb.290:
	s_or_b32 exec_lo, exec_lo, s1
	v_lshrrev_b32_e32 v6, 24, v32
	s_delay_alu instid0(VALU_DEP_1)
	v_and_or_b32 v5, 0x80, v6, v5
	global_store_b8 v[2:3], v5, off
.LBB145_291:
	s_mov_b32 s1, 0
.LBB145_292:
	s_delay_alu instid0(SALU_CYCLE_1)
	s_and_not1_b32 vcc_lo, exec_lo, s1
	s_cbranch_vccnz .LBB145_302
; %bb.293:
	v_and_b32_e32 v6, 0x7fffffff, v32
	s_mov_b32 s1, exec_lo
                                        ; implicit-def: $vgpr5
	s_delay_alu instid0(VALU_DEP_1)
	v_cmpx_gt_u32_e32 0x47800000, v6
	s_xor_b32 s1, exec_lo, s1
	s_cbranch_execz .LBB145_299
; %bb.294:
	s_mov_b32 s2, exec_lo
                                        ; implicit-def: $vgpr5
	v_cmpx_lt_u32_e32 0x387fffff, v6
	s_xor_b32 s2, exec_lo, s2
; %bb.295:
	v_bfe_u32 v5, v32, 21, 1
	s_delay_alu instid0(VALU_DEP_1) | instskip(NEXT) | instid1(VALU_DEP_1)
	v_add3_u32 v5, v32, v5, 0x80fffff
	v_lshrrev_b32_e32 v5, 21, v5
; %bb.296:
	s_and_not1_saveexec_b32 s2, s2
; %bb.297:
	v_add_f32_e64 v5, 0x43000000, |v32|
; %bb.298:
	s_or_b32 exec_lo, exec_lo, s2
                                        ; implicit-def: $vgpr6
.LBB145_299:
	s_and_not1_saveexec_b32 s1, s1
; %bb.300:
	v_mov_b32_e32 v5, 0x7f
	v_cmp_lt_u32_e32 vcc_lo, 0x7f800000, v6
	s_delay_alu instid0(VALU_DEP_2)
	v_cndmask_b32_e32 v5, 0x7c, v5, vcc_lo
; %bb.301:
	s_or_b32 exec_lo, exec_lo, s1
	v_lshrrev_b32_e32 v6, 24, v32
	s_delay_alu instid0(VALU_DEP_1)
	v_and_or_b32 v5, 0x80, v6, v5
	global_store_b8 v[2:3], v5, off
.LBB145_302:
	s_mov_b32 s1, 0
	s_mov_b32 s3, -1
.LBB145_303:
	s_and_not1_b32 vcc_lo, exec_lo, s1
	s_mov_b32 s2, 0
	s_cbranch_vccnz .LBB145_310
; %bb.304:
	v_cmp_lt_i16_e32 vcc_lo, 14, v4
	s_mov_b32 s1, -1
	s_cbranch_vccz .LBB145_308
; %bb.305:
	v_cmp_eq_u16_e32 vcc_lo, 15, v4
	s_mov_b32 s0, -1
	s_cbranch_vccz .LBB145_307
; %bb.306:
	v_bfe_u32 v5, v32, 16, 1
	v_cmp_o_f32_e32 vcc_lo, v32, v32
	s_mov_b32 s0, 0
	s_mov_b32 s3, -1
	s_delay_alu instid0(VALU_DEP_2) | instskip(NEXT) | instid1(VALU_DEP_1)
	v_add3_u32 v5, v32, v5, 0x7fff
	v_lshrrev_b32_e32 v5, 16, v5
	s_delay_alu instid0(VALU_DEP_1)
	v_cndmask_b32_e32 v5, 0x7fc0, v5, vcc_lo
	global_store_b16 v[2:3], v5, off
.LBB145_307:
	s_mov_b32 s1, 0
.LBB145_308:
	s_delay_alu instid0(SALU_CYCLE_1)
	s_and_b32 vcc_lo, exec_lo, s1
	s_cbranch_vccz .LBB145_310
; %bb.309:
	v_cmp_ne_u16_e64 s0, 11, v4
	s_mov_b32 s2, -1
.LBB145_310:
	s_delay_alu instid0(VALU_DEP_1)
	s_and_b32 vcc_lo, exec_lo, s0
	s_mov_b32 s1, s16
	s_cbranch_vccnz .LBB145_770
; %bb.311:
	s_and_not1_b32 vcc_lo, exec_lo, s2
	s_cbranch_vccnz .LBB145_313
.LBB145_312:
	v_or_b32_e32 v5, v32, v33
	s_mov_b32 s3, -1
	s_delay_alu instid0(VALU_DEP_1) | instskip(NEXT) | instid1(VALU_DEP_1)
	v_and_b32_e32 v5, 0x7fffffff, v5
	v_cmp_ne_u32_e32 vcc_lo, 0, v5
	v_cndmask_b32_e64 v5, 0, 1, vcc_lo
	global_store_b8 v[2:3], v5, off
.LBB145_313:
	s_mov_b32 s0, 0
.LBB145_314:
	s_delay_alu instid0(SALU_CYCLE_1)
	s_and_b32 vcc_lo, exec_lo, s0
	s_cbranch_vccz .LBB145_353
; %bb.315:
	v_cmp_gt_i16_e32 vcc_lo, 5, v4
	s_mov_b32 s0, -1
	s_cbranch_vccnz .LBB145_336
; %bb.316:
	v_cmp_gt_i16_e32 vcc_lo, 8, v4
	s_cbranch_vccnz .LBB145_326
; %bb.317:
	v_cmp_gt_i16_e32 vcc_lo, 9, v4
	s_cbranch_vccnz .LBB145_323
; %bb.318:
	v_cmp_lt_i16_e32 vcc_lo, 9, v4
	s_cbranch_vccz .LBB145_320
; %bb.319:
	v_cvt_f64_f32_e32 v[5:6], v32
	v_cvt_f64_f32_e32 v[7:8], v33
	s_mov_b32 s0, 0
	global_store_b128 v[2:3], v[5:8], off
.LBB145_320:
	s_and_not1_b32 vcc_lo, exec_lo, s0
	s_cbranch_vccnz .LBB145_322
; %bb.321:
	global_store_b64 v[2:3], v[32:33], off
.LBB145_322:
	s_mov_b32 s0, 0
.LBB145_323:
	s_delay_alu instid0(SALU_CYCLE_1)
	s_and_not1_b32 vcc_lo, exec_lo, s0
	s_cbranch_vccnz .LBB145_325
; %bb.324:
	v_cvt_f16_f32_e32 v5, v33
	v_cvt_f16_f32_e32 v6, v32
	s_delay_alu instid0(VALU_DEP_2) | instskip(NEXT) | instid1(VALU_DEP_2)
	v_lshlrev_b32_e32 v5, 16, v5
	v_and_b32_e32 v6, 0xffff, v6
	s_delay_alu instid0(VALU_DEP_1)
	v_or_b32_e32 v5, v5, v6
	global_store_b32 v[2:3], v5, off
.LBB145_325:
	s_mov_b32 s0, 0
.LBB145_326:
	s_delay_alu instid0(SALU_CYCLE_1)
	s_and_not1_b32 vcc_lo, exec_lo, s0
	s_cbranch_vccnz .LBB145_335
; %bb.327:
	v_cmp_gt_i16_e32 vcc_lo, 6, v4
	s_mov_b32 s0, -1
	s_cbranch_vccnz .LBB145_333
; %bb.328:
	v_cmp_lt_i16_e32 vcc_lo, 6, v4
	s_cbranch_vccz .LBB145_330
; %bb.329:
	v_cvt_f64_f32_e32 v[5:6], v32
	s_mov_b32 s0, 0
	global_store_b64 v[2:3], v[5:6], off
.LBB145_330:
	s_and_not1_b32 vcc_lo, exec_lo, s0
	s_cbranch_vccnz .LBB145_332
; %bb.331:
	global_store_b32 v[2:3], v32, off
.LBB145_332:
	s_mov_b32 s0, 0
.LBB145_333:
	s_delay_alu instid0(SALU_CYCLE_1)
	s_and_not1_b32 vcc_lo, exec_lo, s0
	s_cbranch_vccnz .LBB145_335
; %bb.334:
	v_cvt_f16_f32_e32 v5, v32
	global_store_b16 v[2:3], v5, off
.LBB145_335:
	s_mov_b32 s0, 0
.LBB145_336:
	s_delay_alu instid0(SALU_CYCLE_1)
	s_and_not1_b32 vcc_lo, exec_lo, s0
	s_cbranch_vccnz .LBB145_352
; %bb.337:
	v_cmp_gt_i16_e32 vcc_lo, 2, v4
	s_mov_b32 s0, -1
	s_cbranch_vccnz .LBB145_347
; %bb.338:
	v_cmp_gt_i16_e32 vcc_lo, 3, v4
	s_cbranch_vccnz .LBB145_344
; %bb.339:
	v_cmp_lt_i16_e32 vcc_lo, 3, v4
	s_cbranch_vccz .LBB145_341
; %bb.340:
	v_trunc_f32_e32 v5, v32
	s_mov_b32 s0, 0
	s_delay_alu instid0(VALU_DEP_1) | instskip(SKIP_1) | instid1(VALU_DEP_2)
	v_mul_f32_e64 v6, 0x2f800000, |v5|
	v_ashrrev_i32_e32 v8, 31, v5
	v_floor_f32_e32 v6, v6
	s_delay_alu instid0(VALU_DEP_1) | instskip(SKIP_1) | instid1(VALU_DEP_2)
	v_fma_f32 v7, 0xcf800000, v6, |v5|
	v_cvt_u32_f32_e32 v6, v6
	v_cvt_u32_f32_e32 v5, v7
	s_delay_alu instid0(VALU_DEP_2) | instskip(NEXT) | instid1(VALU_DEP_2)
	v_xor_b32_e32 v6, v6, v8
	v_xor_b32_e32 v5, v5, v8
	s_delay_alu instid0(VALU_DEP_1) | instskip(NEXT) | instid1(VALU_DEP_3)
	v_sub_co_u32 v5, vcc_lo, v5, v8
	v_sub_co_ci_u32_e32 v6, vcc_lo, v6, v8, vcc_lo
	global_store_b64 v[2:3], v[5:6], off
.LBB145_341:
	s_and_not1_b32 vcc_lo, exec_lo, s0
	s_cbranch_vccnz .LBB145_343
; %bb.342:
	v_cvt_i32_f32_e32 v5, v32
	global_store_b32 v[2:3], v5, off
.LBB145_343:
	s_mov_b32 s0, 0
.LBB145_344:
	s_delay_alu instid0(SALU_CYCLE_1)
	s_and_not1_b32 vcc_lo, exec_lo, s0
	s_cbranch_vccnz .LBB145_346
; %bb.345:
	v_cvt_i32_f32_e32 v5, v32
	global_store_b16 v[2:3], v5, off
.LBB145_346:
	s_mov_b32 s0, 0
.LBB145_347:
	s_delay_alu instid0(SALU_CYCLE_1)
	s_and_not1_b32 vcc_lo, exec_lo, s0
	s_cbranch_vccnz .LBB145_352
; %bb.348:
	v_cmp_lt_i16_e32 vcc_lo, 0, v4
	s_mov_b32 s0, -1
	s_cbranch_vccz .LBB145_350
; %bb.349:
	v_cvt_i32_f32_e32 v5, v32
	s_mov_b32 s0, 0
	global_store_b8 v[2:3], v5, off
.LBB145_350:
	s_and_not1_b32 vcc_lo, exec_lo, s0
	s_cbranch_vccnz .LBB145_352
; %bb.351:
	v_trunc_f32_e32 v5, v32
	s_delay_alu instid0(VALU_DEP_1) | instskip(NEXT) | instid1(VALU_DEP_1)
	v_mul_f32_e64 v6, 0x2f800000, |v5|
	v_floor_f32_e32 v6, v6
	s_delay_alu instid0(VALU_DEP_1) | instskip(SKIP_1) | instid1(VALU_DEP_2)
	v_fma_f32 v6, 0xcf800000, v6, |v5|
	v_ashrrev_i32_e32 v5, 31, v5
	v_cvt_u32_f32_e32 v6, v6
	s_delay_alu instid0(VALU_DEP_1) | instskip(NEXT) | instid1(VALU_DEP_1)
	v_xor_b32_e32 v6, v6, v5
	v_sub_nc_u32_e32 v5, v6, v5
	global_store_b8 v[2:3], v5, off
.LBB145_352:
	s_mov_b32 s3, -1
.LBB145_353:
	s_delay_alu instid0(SALU_CYCLE_1)
	s_and_not1_b32 vcc_lo, exec_lo, s3
	s_cbranch_vccnz .LBB145_666
; %bb.354:
	v_cmp_gt_i16_e32 vcc_lo, 11, v4
	v_add_co_u32 v2, s0, s12, v37
	s_delay_alu instid0(VALU_DEP_1)
	v_add_co_ci_u32_e64 v3, null, s13, 0, s0
	s_mov_b32 s3, 0
	s_mov_b32 s0, -1
	s_cbranch_vccnz .LBB145_432
; %bb.355:
	v_cmp_lt_i16_e32 vcc_lo, 25, v4
	s_mov_b32 s4, -1
	s_mov_b32 s2, 0
	s_mov_b32 s0, 0
	s_cbranch_vccz .LBB145_388
; %bb.356:
	v_cmp_lt_i16_e32 vcc_lo, 28, v4
	s_cbranch_vccz .LBB145_371
; %bb.357:
	v_cmp_lt_i16_e32 vcc_lo, 43, v4
	;; [unrolled: 3-line block ×3, first 2 shown]
	s_cbranch_vccz .LBB145_361
; %bb.359:
	v_cmp_eq_u16_e32 vcc_lo, 46, v4
	s_mov_b32 s0, -1
	s_mov_b32 s4, 0
	s_cbranch_vccz .LBB145_361
; %bb.360:
	v_bfe_u32 v5, v31, 16, 1
	v_bfe_u32 v6, v30, 16, 1
	v_cmp_o_f32_e32 vcc_lo, v31, v31
	s_mov_b32 s0, 0
	s_mov_b32 s3, -1
	v_add3_u32 v5, v31, v5, 0x7fff
	v_add3_u32 v6, v30, v6, 0x7fff
	s_delay_alu instid0(VALU_DEP_2) | instskip(NEXT) | instid1(VALU_DEP_2)
	v_and_b32_e32 v5, 0xffff0000, v5
	v_lshrrev_b32_e32 v6, 16, v6
	s_delay_alu instid0(VALU_DEP_2) | instskip(SKIP_1) | instid1(VALU_DEP_3)
	v_cndmask_b32_e32 v5, 0x7fc00000, v5, vcc_lo
	v_cmp_o_f32_e32 vcc_lo, v30, v30
	v_cndmask_b32_e32 v6, 0x7fc0, v6, vcc_lo
	s_delay_alu instid0(VALU_DEP_1)
	v_or_b32_e32 v5, v5, v6
	global_store_b32 v[2:3], v5, off
.LBB145_361:
	s_and_b32 vcc_lo, exec_lo, s4
	s_cbranch_vccz .LBB145_366
; %bb.362:
	v_cmp_eq_u16_e32 vcc_lo, 44, v4
	s_mov_b32 s0, -1
	s_cbranch_vccz .LBB145_366
; %bb.363:
	v_bfe_u32 v6, v30, 23, 8
	v_mov_b32_e32 v5, 0xff
	s_mov_b32 s3, exec_lo
	s_delay_alu instid0(VALU_DEP_2)
	v_cmpx_ne_u32_e32 0xff, v6
; %bb.364:
	v_and_b32_e32 v5, 0x400000, v30
	v_and_or_b32 v6, 0x3fffff, v30, v6
	s_delay_alu instid0(VALU_DEP_2) | instskip(NEXT) | instid1(VALU_DEP_2)
	v_cmp_ne_u32_e32 vcc_lo, 0, v5
	v_cmp_ne_u32_e64 s0, 0, v6
	v_lshrrev_b32_e32 v5, 23, v30
	s_delay_alu instid0(VALU_DEP_2) | instskip(NEXT) | instid1(SALU_CYCLE_1)
	s_and_b32 s0, vcc_lo, s0
	v_cndmask_b32_e64 v6, 0, 1, s0
	s_delay_alu instid0(VALU_DEP_1)
	v_add_nc_u32_e32 v5, v5, v6
; %bb.365:
	s_or_b32 exec_lo, exec_lo, s3
	s_mov_b32 s0, 0
	s_mov_b32 s3, -1
	global_store_b8 v[2:3], v5, off
.LBB145_366:
	s_mov_b32 s4, 0
.LBB145_367:
	s_delay_alu instid0(SALU_CYCLE_1)
	s_and_b32 vcc_lo, exec_lo, s4
	s_cbranch_vccz .LBB145_370
; %bb.368:
	v_cmp_eq_u16_e32 vcc_lo, 29, v4
	s_mov_b32 s0, -1
	s_cbranch_vccz .LBB145_370
; %bb.369:
	v_trunc_f32_e32 v5, v30
	s_mov_b32 s0, 0
	s_mov_b32 s3, -1
	s_delay_alu instid0(VALU_DEP_1) | instskip(NEXT) | instid1(VALU_DEP_1)
	v_mul_f32_e32 v6, 0x2f800000, v5
	v_floor_f32_e32 v6, v6
	s_delay_alu instid0(VALU_DEP_1) | instskip(SKIP_1) | instid1(VALU_DEP_2)
	v_fmamk_f32 v5, v6, 0xcf800000, v5
	v_cvt_u32_f32_e32 v6, v6
	v_cvt_u32_f32_e32 v5, v5
	global_store_b64 v[2:3], v[5:6], off
.LBB145_370:
	s_mov_b32 s4, 0
.LBB145_371:
	s_delay_alu instid0(SALU_CYCLE_1)
	s_and_b32 vcc_lo, exec_lo, s4
	s_cbranch_vccz .LBB145_387
; %bb.372:
	v_cmp_gt_i16_e32 vcc_lo, 27, v4
	s_mov_b32 s3, -1
	s_cbranch_vccnz .LBB145_378
; %bb.373:
	v_cmp_lt_i16_e32 vcc_lo, 27, v4
	v_cvt_u32_f32_e32 v5, v30
	s_cbranch_vccz .LBB145_375
; %bb.374:
	s_mov_b32 s3, 0
	global_store_b32 v[2:3], v5, off
.LBB145_375:
	s_and_not1_b32 vcc_lo, exec_lo, s3
	s_cbranch_vccnz .LBB145_377
; %bb.376:
	global_store_b16 v[2:3], v5, off
.LBB145_377:
	s_mov_b32 s3, 0
.LBB145_378:
	s_delay_alu instid0(SALU_CYCLE_1)
	s_and_not1_b32 vcc_lo, exec_lo, s3
	s_cbranch_vccnz .LBB145_386
; %bb.379:
	v_and_b32_e32 v5, 0x7fffffff, v30
	v_mov_b32_e32 v6, 0x80
	s_mov_b32 s3, exec_lo
	s_delay_alu instid0(VALU_DEP_2)
	v_cmpx_gt_u32_e32 0x43800000, v5
	s_cbranch_execz .LBB145_385
; %bb.380:
	v_cmp_lt_u32_e32 vcc_lo, 0x3bffffff, v5
	s_mov_b32 s4, 0
                                        ; implicit-def: $vgpr5
	s_and_saveexec_b32 s5, vcc_lo
	s_delay_alu instid0(SALU_CYCLE_1)
	s_xor_b32 s5, exec_lo, s5
	s_cbranch_execz .LBB145_777
; %bb.381:
	v_bfe_u32 v5, v30, 20, 1
	s_mov_b32 s4, exec_lo
	s_delay_alu instid0(VALU_DEP_1) | instskip(NEXT) | instid1(VALU_DEP_1)
	v_add3_u32 v5, v30, v5, 0x487ffff
	v_lshrrev_b32_e32 v5, 20, v5
	s_or_saveexec_b32 s5, s5
                                        ; implicit-def: $sgpr6
	s_delay_alu instid0(SALU_CYCLE_1)
	s_xor_b32 exec_lo, exec_lo, s5
	s_cbranch_execnz .LBB145_778
.LBB145_382:
	s_or_b32 exec_lo, exec_lo, s5
	v_mov_b32_e32 v6, s6
	s_and_saveexec_b32 s5, s4
.LBB145_383:
	v_lshrrev_b32_e32 v6, 24, v30
	s_delay_alu instid0(VALU_DEP_1)
	v_and_or_b32 v6, 0x80, v6, v5
.LBB145_384:
	s_or_b32 exec_lo, exec_lo, s5
.LBB145_385:
	s_delay_alu instid0(SALU_CYCLE_1)
	s_or_b32 exec_lo, exec_lo, s3
	global_store_b8 v[2:3], v6, off
.LBB145_386:
	s_mov_b32 s3, -1
.LBB145_387:
	s_mov_b32 s4, 0
.LBB145_388:
	s_delay_alu instid0(SALU_CYCLE_1)
	s_and_b32 vcc_lo, exec_lo, s4
	s_cbranch_vccz .LBB145_428
; %bb.389:
	v_cmp_lt_i16_e32 vcc_lo, 22, v4
	s_mov_b32 s2, -1
	s_cbranch_vccz .LBB145_421
; %bb.390:
	v_cmp_gt_i16_e32 vcc_lo, 24, v4
	s_cbranch_vccnz .LBB145_410
; %bb.391:
	v_cmp_lt_i16_e32 vcc_lo, 24, v4
	s_cbranch_vccz .LBB145_399
; %bb.392:
	v_and_b32_e32 v5, 0x7fffffff, v30
	v_mov_b32_e32 v6, 0x80
	s_mov_b32 s2, exec_lo
	s_delay_alu instid0(VALU_DEP_2)
	v_cmpx_gt_u32_e32 0x47800000, v5
	s_cbranch_execz .LBB145_398
; %bb.393:
	v_cmp_lt_u32_e32 vcc_lo, 0x37ffffff, v5
	s_mov_b32 s3, 0
                                        ; implicit-def: $vgpr5
	s_and_saveexec_b32 s4, vcc_lo
	s_delay_alu instid0(SALU_CYCLE_1)
	s_xor_b32 s4, exec_lo, s4
	s_cbranch_execz .LBB145_925
; %bb.394:
	v_bfe_u32 v5, v30, 21, 1
	s_mov_b32 s3, exec_lo
	s_delay_alu instid0(VALU_DEP_1) | instskip(NEXT) | instid1(VALU_DEP_1)
	v_add3_u32 v5, v30, v5, 0x88fffff
	v_lshrrev_b32_e32 v5, 21, v5
	s_or_saveexec_b32 s4, s4
                                        ; implicit-def: $sgpr5
	s_delay_alu instid0(SALU_CYCLE_1)
	s_xor_b32 exec_lo, exec_lo, s4
	s_cbranch_execnz .LBB145_926
.LBB145_395:
	s_or_b32 exec_lo, exec_lo, s4
	v_mov_b32_e32 v6, s5
	s_and_saveexec_b32 s4, s3
.LBB145_396:
	v_lshrrev_b32_e32 v6, 24, v30
	s_delay_alu instid0(VALU_DEP_1)
	v_and_or_b32 v6, 0x80, v6, v5
.LBB145_397:
	s_or_b32 exec_lo, exec_lo, s4
.LBB145_398:
	s_delay_alu instid0(SALU_CYCLE_1)
	s_or_b32 exec_lo, exec_lo, s2
	s_mov_b32 s2, 0
	global_store_b8 v[2:3], v6, off
.LBB145_399:
	s_and_b32 vcc_lo, exec_lo, s2
	s_cbranch_vccz .LBB145_409
; %bb.400:
	v_and_b32_e32 v6, 0x7fffffff, v30
	s_mov_b32 s2, exec_lo
                                        ; implicit-def: $vgpr5
	s_delay_alu instid0(VALU_DEP_1)
	v_cmpx_gt_u32_e32 0x43f00000, v6
	s_xor_b32 s2, exec_lo, s2
	s_cbranch_execz .LBB145_406
; %bb.401:
	s_mov_b32 s3, exec_lo
                                        ; implicit-def: $vgpr5
	v_cmpx_lt_u32_e32 0x3c7fffff, v6
	s_xor_b32 s3, exec_lo, s3
; %bb.402:
	v_bfe_u32 v5, v30, 20, 1
	s_delay_alu instid0(VALU_DEP_1) | instskip(NEXT) | instid1(VALU_DEP_1)
	v_add3_u32 v5, v30, v5, 0x407ffff
	v_and_b32_e32 v6, 0xff00000, v5
	v_lshrrev_b32_e32 v5, 20, v5
	s_delay_alu instid0(VALU_DEP_2) | instskip(NEXT) | instid1(VALU_DEP_2)
	v_cmp_ne_u32_e32 vcc_lo, 0x7f00000, v6
	v_cndmask_b32_e32 v5, 0x7e, v5, vcc_lo
; %bb.403:
	s_and_not1_saveexec_b32 s3, s3
; %bb.404:
	v_add_f32_e64 v5, 0x46800000, |v30|
; %bb.405:
	s_or_b32 exec_lo, exec_lo, s3
                                        ; implicit-def: $vgpr6
.LBB145_406:
	s_and_not1_saveexec_b32 s2, s2
; %bb.407:
	v_mov_b32_e32 v5, 0x7f
	v_cmp_lt_u32_e32 vcc_lo, 0x7f800000, v6
	s_delay_alu instid0(VALU_DEP_2)
	v_cndmask_b32_e32 v5, 0x7e, v5, vcc_lo
; %bb.408:
	s_or_b32 exec_lo, exec_lo, s2
	v_lshrrev_b32_e32 v6, 24, v30
	s_delay_alu instid0(VALU_DEP_1)
	v_and_or_b32 v5, 0x80, v6, v5
	global_store_b8 v[2:3], v5, off
.LBB145_409:
	s_mov_b32 s2, 0
.LBB145_410:
	s_delay_alu instid0(SALU_CYCLE_1)
	s_and_not1_b32 vcc_lo, exec_lo, s2
	s_cbranch_vccnz .LBB145_420
; %bb.411:
	v_and_b32_e32 v6, 0x7fffffff, v30
	s_mov_b32 s2, exec_lo
                                        ; implicit-def: $vgpr5
	s_delay_alu instid0(VALU_DEP_1)
	v_cmpx_gt_u32_e32 0x47800000, v6
	s_xor_b32 s2, exec_lo, s2
	s_cbranch_execz .LBB145_417
; %bb.412:
	s_mov_b32 s3, exec_lo
                                        ; implicit-def: $vgpr5
	v_cmpx_lt_u32_e32 0x387fffff, v6
	s_xor_b32 s3, exec_lo, s3
; %bb.413:
	v_bfe_u32 v5, v30, 21, 1
	s_delay_alu instid0(VALU_DEP_1) | instskip(NEXT) | instid1(VALU_DEP_1)
	v_add3_u32 v5, v30, v5, 0x80fffff
	v_lshrrev_b32_e32 v5, 21, v5
; %bb.414:
	s_and_not1_saveexec_b32 s3, s3
; %bb.415:
	v_add_f32_e64 v5, 0x43000000, |v30|
; %bb.416:
	s_or_b32 exec_lo, exec_lo, s3
                                        ; implicit-def: $vgpr6
.LBB145_417:
	s_and_not1_saveexec_b32 s2, s2
; %bb.418:
	v_mov_b32_e32 v5, 0x7f
	v_cmp_lt_u32_e32 vcc_lo, 0x7f800000, v6
	s_delay_alu instid0(VALU_DEP_2)
	v_cndmask_b32_e32 v5, 0x7c, v5, vcc_lo
; %bb.419:
	s_or_b32 exec_lo, exec_lo, s2
	v_lshrrev_b32_e32 v6, 24, v30
	s_delay_alu instid0(VALU_DEP_1)
	v_and_or_b32 v5, 0x80, v6, v5
	global_store_b8 v[2:3], v5, off
.LBB145_420:
	s_mov_b32 s2, 0
	s_mov_b32 s3, -1
.LBB145_421:
	s_and_not1_b32 vcc_lo, exec_lo, s2
	s_mov_b32 s2, 0
	s_cbranch_vccnz .LBB145_428
; %bb.422:
	v_cmp_lt_i16_e32 vcc_lo, 14, v4
	s_mov_b32 s2, -1
	s_cbranch_vccz .LBB145_426
; %bb.423:
	v_cmp_eq_u16_e32 vcc_lo, 15, v4
	s_mov_b32 s0, -1
	s_cbranch_vccz .LBB145_425
; %bb.424:
	v_bfe_u32 v5, v30, 16, 1
	v_cmp_o_f32_e32 vcc_lo, v30, v30
	s_mov_b32 s0, 0
	s_mov_b32 s3, -1
	s_delay_alu instid0(VALU_DEP_2) | instskip(NEXT) | instid1(VALU_DEP_1)
	v_add3_u32 v5, v30, v5, 0x7fff
	v_lshrrev_b32_e32 v5, 16, v5
	s_delay_alu instid0(VALU_DEP_1)
	v_cndmask_b32_e32 v5, 0x7fc0, v5, vcc_lo
	global_store_b16 v[2:3], v5, off
.LBB145_425:
	s_mov_b32 s2, 0
.LBB145_426:
	s_delay_alu instid0(SALU_CYCLE_1)
	s_and_b32 vcc_lo, exec_lo, s2
	s_mov_b32 s2, 0
	s_cbranch_vccz .LBB145_428
; %bb.427:
	v_cmp_ne_u16_e64 s0, 11, v4
	s_mov_b32 s2, -1
.LBB145_428:
	s_delay_alu instid0(VALU_DEP_1)
	s_and_b32 vcc_lo, exec_lo, s0
	s_cbranch_vccnz .LBB145_781
; %bb.429:
	s_and_not1_b32 vcc_lo, exec_lo, s2
	s_cbranch_vccnz .LBB145_431
.LBB145_430:
	v_or_b32_e32 v5, v30, v31
	s_mov_b32 s3, -1
	s_delay_alu instid0(VALU_DEP_1) | instskip(NEXT) | instid1(VALU_DEP_1)
	v_and_b32_e32 v5, 0x7fffffff, v5
	v_cmp_ne_u32_e32 vcc_lo, 0, v5
	v_cndmask_b32_e64 v5, 0, 1, vcc_lo
	global_store_b8 v[2:3], v5, off
.LBB145_431:
	s_mov_b32 s0, 0
.LBB145_432:
	s_delay_alu instid0(SALU_CYCLE_1)
	s_and_b32 vcc_lo, exec_lo, s0
	s_cbranch_vccz .LBB145_471
; %bb.433:
	v_cmp_gt_i16_e32 vcc_lo, 5, v4
	s_mov_b32 s0, -1
	s_cbranch_vccnz .LBB145_454
; %bb.434:
	v_cmp_gt_i16_e32 vcc_lo, 8, v4
	s_cbranch_vccnz .LBB145_444
; %bb.435:
	v_cmp_gt_i16_e32 vcc_lo, 9, v4
	s_cbranch_vccnz .LBB145_441
; %bb.436:
	v_cmp_lt_i16_e32 vcc_lo, 9, v4
	s_cbranch_vccz .LBB145_438
; %bb.437:
	v_cvt_f64_f32_e32 v[5:6], v30
	v_cvt_f64_f32_e32 v[7:8], v31
	s_mov_b32 s0, 0
	global_store_b128 v[2:3], v[5:8], off
.LBB145_438:
	s_and_not1_b32 vcc_lo, exec_lo, s0
	s_cbranch_vccnz .LBB145_440
; %bb.439:
	global_store_b64 v[2:3], v[30:31], off
.LBB145_440:
	s_mov_b32 s0, 0
.LBB145_441:
	s_delay_alu instid0(SALU_CYCLE_1)
	s_and_not1_b32 vcc_lo, exec_lo, s0
	s_cbranch_vccnz .LBB145_443
; %bb.442:
	v_cvt_f16_f32_e32 v5, v31
	v_cvt_f16_f32_e32 v6, v30
	s_delay_alu instid0(VALU_DEP_2) | instskip(NEXT) | instid1(VALU_DEP_2)
	v_lshlrev_b32_e32 v5, 16, v5
	v_and_b32_e32 v6, 0xffff, v6
	s_delay_alu instid0(VALU_DEP_1)
	v_or_b32_e32 v5, v5, v6
	global_store_b32 v[2:3], v5, off
.LBB145_443:
	s_mov_b32 s0, 0
.LBB145_444:
	s_delay_alu instid0(SALU_CYCLE_1)
	s_and_not1_b32 vcc_lo, exec_lo, s0
	s_cbranch_vccnz .LBB145_453
; %bb.445:
	v_cmp_gt_i16_e32 vcc_lo, 6, v4
	s_mov_b32 s0, -1
	s_cbranch_vccnz .LBB145_451
; %bb.446:
	v_cmp_lt_i16_e32 vcc_lo, 6, v4
	s_cbranch_vccz .LBB145_448
; %bb.447:
	v_cvt_f64_f32_e32 v[5:6], v30
	s_mov_b32 s0, 0
	global_store_b64 v[2:3], v[5:6], off
.LBB145_448:
	s_and_not1_b32 vcc_lo, exec_lo, s0
	s_cbranch_vccnz .LBB145_450
; %bb.449:
	global_store_b32 v[2:3], v30, off
.LBB145_450:
	s_mov_b32 s0, 0
.LBB145_451:
	s_delay_alu instid0(SALU_CYCLE_1)
	s_and_not1_b32 vcc_lo, exec_lo, s0
	s_cbranch_vccnz .LBB145_453
; %bb.452:
	v_cvt_f16_f32_e32 v5, v30
	global_store_b16 v[2:3], v5, off
.LBB145_453:
	s_mov_b32 s0, 0
.LBB145_454:
	s_delay_alu instid0(SALU_CYCLE_1)
	s_and_not1_b32 vcc_lo, exec_lo, s0
	s_cbranch_vccnz .LBB145_470
; %bb.455:
	v_cmp_gt_i16_e32 vcc_lo, 2, v4
	s_mov_b32 s0, -1
	s_cbranch_vccnz .LBB145_465
; %bb.456:
	v_cmp_gt_i16_e32 vcc_lo, 3, v4
	s_cbranch_vccnz .LBB145_462
; %bb.457:
	v_cmp_lt_i16_e32 vcc_lo, 3, v4
	s_cbranch_vccz .LBB145_459
; %bb.458:
	v_trunc_f32_e32 v5, v30
	s_mov_b32 s0, 0
	s_delay_alu instid0(VALU_DEP_1) | instskip(SKIP_1) | instid1(VALU_DEP_2)
	v_mul_f32_e64 v6, 0x2f800000, |v5|
	v_ashrrev_i32_e32 v8, 31, v5
	v_floor_f32_e32 v6, v6
	s_delay_alu instid0(VALU_DEP_1) | instskip(SKIP_1) | instid1(VALU_DEP_2)
	v_fma_f32 v7, 0xcf800000, v6, |v5|
	v_cvt_u32_f32_e32 v6, v6
	v_cvt_u32_f32_e32 v5, v7
	s_delay_alu instid0(VALU_DEP_2) | instskip(NEXT) | instid1(VALU_DEP_2)
	v_xor_b32_e32 v6, v6, v8
	v_xor_b32_e32 v5, v5, v8
	s_delay_alu instid0(VALU_DEP_1) | instskip(NEXT) | instid1(VALU_DEP_3)
	v_sub_co_u32 v5, vcc_lo, v5, v8
	v_sub_co_ci_u32_e32 v6, vcc_lo, v6, v8, vcc_lo
	global_store_b64 v[2:3], v[5:6], off
.LBB145_459:
	s_and_not1_b32 vcc_lo, exec_lo, s0
	s_cbranch_vccnz .LBB145_461
; %bb.460:
	v_cvt_i32_f32_e32 v5, v30
	global_store_b32 v[2:3], v5, off
.LBB145_461:
	s_mov_b32 s0, 0
.LBB145_462:
	s_delay_alu instid0(SALU_CYCLE_1)
	s_and_not1_b32 vcc_lo, exec_lo, s0
	s_cbranch_vccnz .LBB145_464
; %bb.463:
	v_cvt_i32_f32_e32 v5, v30
	global_store_b16 v[2:3], v5, off
.LBB145_464:
	s_mov_b32 s0, 0
.LBB145_465:
	s_delay_alu instid0(SALU_CYCLE_1)
	s_and_not1_b32 vcc_lo, exec_lo, s0
	s_cbranch_vccnz .LBB145_470
; %bb.466:
	v_cmp_lt_i16_e32 vcc_lo, 0, v4
	s_mov_b32 s0, -1
	s_cbranch_vccz .LBB145_468
; %bb.467:
	v_cvt_i32_f32_e32 v5, v30
	s_mov_b32 s0, 0
	global_store_b8 v[2:3], v5, off
.LBB145_468:
	s_and_not1_b32 vcc_lo, exec_lo, s0
	s_cbranch_vccnz .LBB145_470
; %bb.469:
	v_trunc_f32_e32 v5, v30
	s_delay_alu instid0(VALU_DEP_1) | instskip(NEXT) | instid1(VALU_DEP_1)
	v_mul_f32_e64 v6, 0x2f800000, |v5|
	v_floor_f32_e32 v6, v6
	s_delay_alu instid0(VALU_DEP_1) | instskip(SKIP_1) | instid1(VALU_DEP_2)
	v_fma_f32 v6, 0xcf800000, v6, |v5|
	v_ashrrev_i32_e32 v5, 31, v5
	v_cvt_u32_f32_e32 v6, v6
	s_delay_alu instid0(VALU_DEP_1) | instskip(NEXT) | instid1(VALU_DEP_1)
	v_xor_b32_e32 v6, v6, v5
	v_sub_nc_u32_e32 v5, v6, v5
	global_store_b8 v[2:3], v5, off
.LBB145_470:
	s_mov_b32 s3, -1
.LBB145_471:
	s_delay_alu instid0(SALU_CYCLE_1)
	s_and_not1_b32 vcc_lo, exec_lo, s3
	s_cbranch_vccnz .LBB145_666
; %bb.472:
	v_cmp_gt_i16_e32 vcc_lo, 11, v4
	v_add_co_u32 v2, s0, s12, v36
	s_delay_alu instid0(VALU_DEP_1)
	v_add_co_ci_u32_e64 v3, null, s13, 0, s0
	s_mov_b32 s3, 0
	s_mov_b32 s0, -1
	s_cbranch_vccnz .LBB145_550
; %bb.473:
	v_cmp_lt_i16_e32 vcc_lo, 25, v4
	s_mov_b32 s4, -1
	s_mov_b32 s2, 0
	s_mov_b32 s0, 0
	s_cbranch_vccz .LBB145_506
; %bb.474:
	v_cmp_lt_i16_e32 vcc_lo, 28, v4
	s_cbranch_vccz .LBB145_489
; %bb.475:
	v_cmp_lt_i16_e32 vcc_lo, 43, v4
	;; [unrolled: 3-line block ×3, first 2 shown]
	s_cbranch_vccz .LBB145_479
; %bb.477:
	v_cmp_eq_u16_e32 vcc_lo, 46, v4
	s_mov_b32 s0, -1
	s_mov_b32 s4, 0
	s_cbranch_vccz .LBB145_479
; %bb.478:
	v_bfe_u32 v5, v29, 16, 1
	v_bfe_u32 v6, v28, 16, 1
	v_cmp_o_f32_e32 vcc_lo, v29, v29
	s_mov_b32 s0, 0
	s_mov_b32 s3, -1
	v_add3_u32 v5, v29, v5, 0x7fff
	v_add3_u32 v6, v28, v6, 0x7fff
	s_delay_alu instid0(VALU_DEP_2) | instskip(NEXT) | instid1(VALU_DEP_2)
	v_and_b32_e32 v5, 0xffff0000, v5
	v_lshrrev_b32_e32 v6, 16, v6
	s_delay_alu instid0(VALU_DEP_2) | instskip(SKIP_1) | instid1(VALU_DEP_3)
	v_cndmask_b32_e32 v5, 0x7fc00000, v5, vcc_lo
	v_cmp_o_f32_e32 vcc_lo, v28, v28
	v_cndmask_b32_e32 v6, 0x7fc0, v6, vcc_lo
	s_delay_alu instid0(VALU_DEP_1)
	v_or_b32_e32 v5, v5, v6
	global_store_b32 v[2:3], v5, off
.LBB145_479:
	s_and_b32 vcc_lo, exec_lo, s4
	s_cbranch_vccz .LBB145_484
; %bb.480:
	v_cmp_eq_u16_e32 vcc_lo, 44, v4
	s_mov_b32 s0, -1
	s_cbranch_vccz .LBB145_484
; %bb.481:
	v_bfe_u32 v6, v28, 23, 8
	v_mov_b32_e32 v5, 0xff
	s_mov_b32 s3, exec_lo
	s_delay_alu instid0(VALU_DEP_2)
	v_cmpx_ne_u32_e32 0xff, v6
; %bb.482:
	v_and_b32_e32 v5, 0x400000, v28
	v_and_or_b32 v6, 0x3fffff, v28, v6
	s_delay_alu instid0(VALU_DEP_2) | instskip(NEXT) | instid1(VALU_DEP_2)
	v_cmp_ne_u32_e32 vcc_lo, 0, v5
	v_cmp_ne_u32_e64 s0, 0, v6
	v_lshrrev_b32_e32 v5, 23, v28
	s_delay_alu instid0(VALU_DEP_2) | instskip(NEXT) | instid1(SALU_CYCLE_1)
	s_and_b32 s0, vcc_lo, s0
	v_cndmask_b32_e64 v6, 0, 1, s0
	s_delay_alu instid0(VALU_DEP_1)
	v_add_nc_u32_e32 v5, v5, v6
; %bb.483:
	s_or_b32 exec_lo, exec_lo, s3
	s_mov_b32 s0, 0
	s_mov_b32 s3, -1
	global_store_b8 v[2:3], v5, off
.LBB145_484:
	s_mov_b32 s4, 0
.LBB145_485:
	s_delay_alu instid0(SALU_CYCLE_1)
	s_and_b32 vcc_lo, exec_lo, s4
	s_cbranch_vccz .LBB145_488
; %bb.486:
	v_cmp_eq_u16_e32 vcc_lo, 29, v4
	s_mov_b32 s0, -1
	s_cbranch_vccz .LBB145_488
; %bb.487:
	v_trunc_f32_e32 v5, v28
	s_mov_b32 s0, 0
	s_mov_b32 s3, -1
	s_delay_alu instid0(VALU_DEP_1) | instskip(NEXT) | instid1(VALU_DEP_1)
	v_mul_f32_e32 v6, 0x2f800000, v5
	v_floor_f32_e32 v6, v6
	s_delay_alu instid0(VALU_DEP_1) | instskip(SKIP_1) | instid1(VALU_DEP_2)
	v_fmamk_f32 v5, v6, 0xcf800000, v5
	v_cvt_u32_f32_e32 v6, v6
	v_cvt_u32_f32_e32 v5, v5
	global_store_b64 v[2:3], v[5:6], off
.LBB145_488:
	s_mov_b32 s4, 0
.LBB145_489:
	s_delay_alu instid0(SALU_CYCLE_1)
	s_and_b32 vcc_lo, exec_lo, s4
	s_cbranch_vccz .LBB145_505
; %bb.490:
	v_cmp_gt_i16_e32 vcc_lo, 27, v4
	s_mov_b32 s3, -1
	s_cbranch_vccnz .LBB145_496
; %bb.491:
	v_cmp_lt_i16_e32 vcc_lo, 27, v4
	v_cvt_u32_f32_e32 v5, v28
	s_cbranch_vccz .LBB145_493
; %bb.492:
	s_mov_b32 s3, 0
	global_store_b32 v[2:3], v5, off
.LBB145_493:
	s_and_not1_b32 vcc_lo, exec_lo, s3
	s_cbranch_vccnz .LBB145_495
; %bb.494:
	global_store_b16 v[2:3], v5, off
.LBB145_495:
	s_mov_b32 s3, 0
.LBB145_496:
	s_delay_alu instid0(SALU_CYCLE_1)
	s_and_not1_b32 vcc_lo, exec_lo, s3
	s_cbranch_vccnz .LBB145_504
; %bb.497:
	v_and_b32_e32 v5, 0x7fffffff, v28
	v_mov_b32_e32 v6, 0x80
	s_mov_b32 s3, exec_lo
	s_delay_alu instid0(VALU_DEP_2)
	v_cmpx_gt_u32_e32 0x43800000, v5
	s_cbranch_execz .LBB145_503
; %bb.498:
	v_cmp_lt_u32_e32 vcc_lo, 0x3bffffff, v5
	s_mov_b32 s4, 0
                                        ; implicit-def: $vgpr5
	s_and_saveexec_b32 s5, vcc_lo
	s_delay_alu instid0(SALU_CYCLE_1)
	s_xor_b32 s5, exec_lo, s5
	s_cbranch_execz .LBB145_927
; %bb.499:
	v_bfe_u32 v5, v28, 20, 1
	s_mov_b32 s4, exec_lo
	s_delay_alu instid0(VALU_DEP_1) | instskip(NEXT) | instid1(VALU_DEP_1)
	v_add3_u32 v5, v28, v5, 0x487ffff
	v_lshrrev_b32_e32 v5, 20, v5
	s_or_saveexec_b32 s5, s5
                                        ; implicit-def: $sgpr6
	s_delay_alu instid0(SALU_CYCLE_1)
	s_xor_b32 exec_lo, exec_lo, s5
	s_cbranch_execnz .LBB145_928
.LBB145_500:
	s_or_b32 exec_lo, exec_lo, s5
	v_mov_b32_e32 v6, s6
	s_and_saveexec_b32 s5, s4
.LBB145_501:
	v_lshrrev_b32_e32 v6, 24, v28
	s_delay_alu instid0(VALU_DEP_1)
	v_and_or_b32 v6, 0x80, v6, v5
.LBB145_502:
	s_or_b32 exec_lo, exec_lo, s5
.LBB145_503:
	s_delay_alu instid0(SALU_CYCLE_1)
	s_or_b32 exec_lo, exec_lo, s3
	global_store_b8 v[2:3], v6, off
.LBB145_504:
	s_mov_b32 s3, -1
.LBB145_505:
	s_mov_b32 s4, 0
.LBB145_506:
	s_delay_alu instid0(SALU_CYCLE_1)
	s_and_b32 vcc_lo, exec_lo, s4
	s_cbranch_vccz .LBB145_546
; %bb.507:
	v_cmp_lt_i16_e32 vcc_lo, 22, v4
	s_mov_b32 s2, -1
	s_cbranch_vccz .LBB145_539
; %bb.508:
	v_cmp_gt_i16_e32 vcc_lo, 24, v4
	s_cbranch_vccnz .LBB145_528
; %bb.509:
	v_cmp_lt_i16_e32 vcc_lo, 24, v4
	s_cbranch_vccz .LBB145_517
; %bb.510:
	v_and_b32_e32 v5, 0x7fffffff, v28
	v_mov_b32_e32 v6, 0x80
	s_mov_b32 s2, exec_lo
	s_delay_alu instid0(VALU_DEP_2)
	v_cmpx_gt_u32_e32 0x47800000, v5
	s_cbranch_execz .LBB145_516
; %bb.511:
	v_cmp_lt_u32_e32 vcc_lo, 0x37ffffff, v5
	s_mov_b32 s3, 0
                                        ; implicit-def: $vgpr5
	s_and_saveexec_b32 s4, vcc_lo
	s_delay_alu instid0(SALU_CYCLE_1)
	s_xor_b32 s4, exec_lo, s4
	s_cbranch_execz .LBB145_1108
; %bb.512:
	v_bfe_u32 v5, v28, 21, 1
	s_mov_b32 s3, exec_lo
	s_delay_alu instid0(VALU_DEP_1) | instskip(NEXT) | instid1(VALU_DEP_1)
	v_add3_u32 v5, v28, v5, 0x88fffff
	v_lshrrev_b32_e32 v5, 21, v5
	s_or_saveexec_b32 s4, s4
                                        ; implicit-def: $sgpr5
	s_delay_alu instid0(SALU_CYCLE_1)
	s_xor_b32 exec_lo, exec_lo, s4
	s_cbranch_execnz .LBB145_1109
.LBB145_513:
	s_or_b32 exec_lo, exec_lo, s4
	v_mov_b32_e32 v6, s5
	s_and_saveexec_b32 s4, s3
.LBB145_514:
	v_lshrrev_b32_e32 v6, 24, v28
	s_delay_alu instid0(VALU_DEP_1)
	v_and_or_b32 v6, 0x80, v6, v5
.LBB145_515:
	s_or_b32 exec_lo, exec_lo, s4
.LBB145_516:
	s_delay_alu instid0(SALU_CYCLE_1)
	s_or_b32 exec_lo, exec_lo, s2
	s_mov_b32 s2, 0
	global_store_b8 v[2:3], v6, off
.LBB145_517:
	s_and_b32 vcc_lo, exec_lo, s2
	s_cbranch_vccz .LBB145_527
; %bb.518:
	v_and_b32_e32 v6, 0x7fffffff, v28
	s_mov_b32 s2, exec_lo
                                        ; implicit-def: $vgpr5
	s_delay_alu instid0(VALU_DEP_1)
	v_cmpx_gt_u32_e32 0x43f00000, v6
	s_xor_b32 s2, exec_lo, s2
	s_cbranch_execz .LBB145_524
; %bb.519:
	s_mov_b32 s3, exec_lo
                                        ; implicit-def: $vgpr5
	v_cmpx_lt_u32_e32 0x3c7fffff, v6
	s_xor_b32 s3, exec_lo, s3
; %bb.520:
	v_bfe_u32 v5, v28, 20, 1
	s_delay_alu instid0(VALU_DEP_1) | instskip(NEXT) | instid1(VALU_DEP_1)
	v_add3_u32 v5, v28, v5, 0x407ffff
	v_and_b32_e32 v6, 0xff00000, v5
	v_lshrrev_b32_e32 v5, 20, v5
	s_delay_alu instid0(VALU_DEP_2) | instskip(NEXT) | instid1(VALU_DEP_2)
	v_cmp_ne_u32_e32 vcc_lo, 0x7f00000, v6
	v_cndmask_b32_e32 v5, 0x7e, v5, vcc_lo
; %bb.521:
	s_and_not1_saveexec_b32 s3, s3
; %bb.522:
	v_add_f32_e64 v5, 0x46800000, |v28|
; %bb.523:
	s_or_b32 exec_lo, exec_lo, s3
                                        ; implicit-def: $vgpr6
.LBB145_524:
	s_and_not1_saveexec_b32 s2, s2
; %bb.525:
	v_mov_b32_e32 v5, 0x7f
	v_cmp_lt_u32_e32 vcc_lo, 0x7f800000, v6
	s_delay_alu instid0(VALU_DEP_2)
	v_cndmask_b32_e32 v5, 0x7e, v5, vcc_lo
; %bb.526:
	s_or_b32 exec_lo, exec_lo, s2
	v_lshrrev_b32_e32 v6, 24, v28
	s_delay_alu instid0(VALU_DEP_1)
	v_and_or_b32 v5, 0x80, v6, v5
	global_store_b8 v[2:3], v5, off
.LBB145_527:
	s_mov_b32 s2, 0
.LBB145_528:
	s_delay_alu instid0(SALU_CYCLE_1)
	s_and_not1_b32 vcc_lo, exec_lo, s2
	s_cbranch_vccnz .LBB145_538
; %bb.529:
	v_and_b32_e32 v6, 0x7fffffff, v28
	s_mov_b32 s2, exec_lo
                                        ; implicit-def: $vgpr5
	s_delay_alu instid0(VALU_DEP_1)
	v_cmpx_gt_u32_e32 0x47800000, v6
	s_xor_b32 s2, exec_lo, s2
	s_cbranch_execz .LBB145_535
; %bb.530:
	s_mov_b32 s3, exec_lo
                                        ; implicit-def: $vgpr5
	v_cmpx_lt_u32_e32 0x387fffff, v6
	s_xor_b32 s3, exec_lo, s3
; %bb.531:
	v_bfe_u32 v5, v28, 21, 1
	s_delay_alu instid0(VALU_DEP_1) | instskip(NEXT) | instid1(VALU_DEP_1)
	v_add3_u32 v5, v28, v5, 0x80fffff
	v_lshrrev_b32_e32 v5, 21, v5
; %bb.532:
	s_and_not1_saveexec_b32 s3, s3
; %bb.533:
	v_add_f32_e64 v5, 0x43000000, |v28|
; %bb.534:
	s_or_b32 exec_lo, exec_lo, s3
                                        ; implicit-def: $vgpr6
.LBB145_535:
	s_and_not1_saveexec_b32 s2, s2
; %bb.536:
	v_mov_b32_e32 v5, 0x7f
	v_cmp_lt_u32_e32 vcc_lo, 0x7f800000, v6
	s_delay_alu instid0(VALU_DEP_2)
	v_cndmask_b32_e32 v5, 0x7c, v5, vcc_lo
; %bb.537:
	s_or_b32 exec_lo, exec_lo, s2
	v_lshrrev_b32_e32 v6, 24, v28
	s_delay_alu instid0(VALU_DEP_1)
	v_and_or_b32 v5, 0x80, v6, v5
	global_store_b8 v[2:3], v5, off
.LBB145_538:
	s_mov_b32 s2, 0
	s_mov_b32 s3, -1
.LBB145_539:
	s_and_not1_b32 vcc_lo, exec_lo, s2
	s_mov_b32 s2, 0
	s_cbranch_vccnz .LBB145_546
; %bb.540:
	v_cmp_lt_i16_e32 vcc_lo, 14, v4
	s_mov_b32 s2, -1
	s_cbranch_vccz .LBB145_544
; %bb.541:
	v_cmp_eq_u16_e32 vcc_lo, 15, v4
	s_mov_b32 s0, -1
	s_cbranch_vccz .LBB145_543
; %bb.542:
	v_bfe_u32 v5, v28, 16, 1
	v_cmp_o_f32_e32 vcc_lo, v28, v28
	s_mov_b32 s0, 0
	s_mov_b32 s3, -1
	s_delay_alu instid0(VALU_DEP_2) | instskip(NEXT) | instid1(VALU_DEP_1)
	v_add3_u32 v5, v28, v5, 0x7fff
	v_lshrrev_b32_e32 v5, 16, v5
	s_delay_alu instid0(VALU_DEP_1)
	v_cndmask_b32_e32 v5, 0x7fc0, v5, vcc_lo
	global_store_b16 v[2:3], v5, off
.LBB145_543:
	s_mov_b32 s2, 0
.LBB145_544:
	s_delay_alu instid0(SALU_CYCLE_1)
	s_and_b32 vcc_lo, exec_lo, s2
	s_mov_b32 s2, 0
	s_cbranch_vccz .LBB145_546
; %bb.545:
	v_cmp_ne_u16_e64 s0, 11, v4
	s_mov_b32 s2, -1
.LBB145_546:
	s_delay_alu instid0(VALU_DEP_1)
	s_and_b32 vcc_lo, exec_lo, s0
	s_cbranch_vccnz .LBB145_931
; %bb.547:
	s_and_not1_b32 vcc_lo, exec_lo, s2
	s_cbranch_vccnz .LBB145_549
.LBB145_548:
	v_or_b32_e32 v5, v28, v29
	s_mov_b32 s3, -1
	s_delay_alu instid0(VALU_DEP_1) | instskip(NEXT) | instid1(VALU_DEP_1)
	v_and_b32_e32 v5, 0x7fffffff, v5
	v_cmp_ne_u32_e32 vcc_lo, 0, v5
	v_cndmask_b32_e64 v5, 0, 1, vcc_lo
	global_store_b8 v[2:3], v5, off
.LBB145_549:
	s_mov_b32 s0, 0
.LBB145_550:
	s_delay_alu instid0(SALU_CYCLE_1)
	s_and_b32 vcc_lo, exec_lo, s0
	s_cbranch_vccz .LBB145_589
; %bb.551:
	v_cmp_gt_i16_e32 vcc_lo, 5, v4
	s_mov_b32 s0, -1
	s_cbranch_vccnz .LBB145_572
; %bb.552:
	v_cmp_gt_i16_e32 vcc_lo, 8, v4
	s_cbranch_vccnz .LBB145_562
; %bb.553:
	v_cmp_gt_i16_e32 vcc_lo, 9, v4
	s_cbranch_vccnz .LBB145_559
; %bb.554:
	v_cmp_lt_i16_e32 vcc_lo, 9, v4
	s_cbranch_vccz .LBB145_556
; %bb.555:
	v_cvt_f64_f32_e32 v[5:6], v28
	v_cvt_f64_f32_e32 v[7:8], v29
	s_mov_b32 s0, 0
	global_store_b128 v[2:3], v[5:8], off
.LBB145_556:
	s_and_not1_b32 vcc_lo, exec_lo, s0
	s_cbranch_vccnz .LBB145_558
; %bb.557:
	global_store_b64 v[2:3], v[28:29], off
.LBB145_558:
	s_mov_b32 s0, 0
.LBB145_559:
	s_delay_alu instid0(SALU_CYCLE_1)
	s_and_not1_b32 vcc_lo, exec_lo, s0
	s_cbranch_vccnz .LBB145_561
; %bb.560:
	v_cvt_f16_f32_e32 v5, v29
	v_cvt_f16_f32_e32 v6, v28
	s_delay_alu instid0(VALU_DEP_2) | instskip(NEXT) | instid1(VALU_DEP_2)
	v_lshlrev_b32_e32 v5, 16, v5
	v_and_b32_e32 v6, 0xffff, v6
	s_delay_alu instid0(VALU_DEP_1)
	v_or_b32_e32 v5, v5, v6
	global_store_b32 v[2:3], v5, off
.LBB145_561:
	s_mov_b32 s0, 0
.LBB145_562:
	s_delay_alu instid0(SALU_CYCLE_1)
	s_and_not1_b32 vcc_lo, exec_lo, s0
	s_cbranch_vccnz .LBB145_571
; %bb.563:
	v_cmp_gt_i16_e32 vcc_lo, 6, v4
	s_mov_b32 s0, -1
	s_cbranch_vccnz .LBB145_569
; %bb.564:
	v_cmp_lt_i16_e32 vcc_lo, 6, v4
	s_cbranch_vccz .LBB145_566
; %bb.565:
	v_cvt_f64_f32_e32 v[5:6], v28
	s_mov_b32 s0, 0
	global_store_b64 v[2:3], v[5:6], off
.LBB145_566:
	s_and_not1_b32 vcc_lo, exec_lo, s0
	s_cbranch_vccnz .LBB145_568
; %bb.567:
	global_store_b32 v[2:3], v28, off
.LBB145_568:
	s_mov_b32 s0, 0
.LBB145_569:
	s_delay_alu instid0(SALU_CYCLE_1)
	s_and_not1_b32 vcc_lo, exec_lo, s0
	s_cbranch_vccnz .LBB145_571
; %bb.570:
	v_cvt_f16_f32_e32 v5, v28
	global_store_b16 v[2:3], v5, off
.LBB145_571:
	s_mov_b32 s0, 0
.LBB145_572:
	s_delay_alu instid0(SALU_CYCLE_1)
	s_and_not1_b32 vcc_lo, exec_lo, s0
	s_cbranch_vccnz .LBB145_588
; %bb.573:
	v_cmp_gt_i16_e32 vcc_lo, 2, v4
	s_mov_b32 s0, -1
	s_cbranch_vccnz .LBB145_583
; %bb.574:
	v_cmp_gt_i16_e32 vcc_lo, 3, v4
	s_cbranch_vccnz .LBB145_580
; %bb.575:
	v_cmp_lt_i16_e32 vcc_lo, 3, v4
	s_cbranch_vccz .LBB145_577
; %bb.576:
	v_trunc_f32_e32 v5, v28
	s_mov_b32 s0, 0
	s_delay_alu instid0(VALU_DEP_1) | instskip(SKIP_1) | instid1(VALU_DEP_2)
	v_mul_f32_e64 v6, 0x2f800000, |v5|
	v_ashrrev_i32_e32 v8, 31, v5
	v_floor_f32_e32 v6, v6
	s_delay_alu instid0(VALU_DEP_1) | instskip(SKIP_1) | instid1(VALU_DEP_2)
	v_fma_f32 v7, 0xcf800000, v6, |v5|
	v_cvt_u32_f32_e32 v6, v6
	v_cvt_u32_f32_e32 v5, v7
	s_delay_alu instid0(VALU_DEP_2) | instskip(NEXT) | instid1(VALU_DEP_2)
	v_xor_b32_e32 v6, v6, v8
	v_xor_b32_e32 v5, v5, v8
	s_delay_alu instid0(VALU_DEP_1) | instskip(NEXT) | instid1(VALU_DEP_3)
	v_sub_co_u32 v5, vcc_lo, v5, v8
	v_sub_co_ci_u32_e32 v6, vcc_lo, v6, v8, vcc_lo
	global_store_b64 v[2:3], v[5:6], off
.LBB145_577:
	s_and_not1_b32 vcc_lo, exec_lo, s0
	s_cbranch_vccnz .LBB145_579
; %bb.578:
	v_cvt_i32_f32_e32 v5, v28
	global_store_b32 v[2:3], v5, off
.LBB145_579:
	s_mov_b32 s0, 0
.LBB145_580:
	s_delay_alu instid0(SALU_CYCLE_1)
	s_and_not1_b32 vcc_lo, exec_lo, s0
	s_cbranch_vccnz .LBB145_582
; %bb.581:
	v_cvt_i32_f32_e32 v5, v28
	global_store_b16 v[2:3], v5, off
.LBB145_582:
	s_mov_b32 s0, 0
.LBB145_583:
	s_delay_alu instid0(SALU_CYCLE_1)
	s_and_not1_b32 vcc_lo, exec_lo, s0
	s_cbranch_vccnz .LBB145_588
; %bb.584:
	v_cmp_lt_i16_e32 vcc_lo, 0, v4
	s_mov_b32 s0, -1
	s_cbranch_vccz .LBB145_586
; %bb.585:
	v_cvt_i32_f32_e32 v5, v28
	s_mov_b32 s0, 0
	global_store_b8 v[2:3], v5, off
.LBB145_586:
	s_and_not1_b32 vcc_lo, exec_lo, s0
	s_cbranch_vccnz .LBB145_588
; %bb.587:
	v_trunc_f32_e32 v5, v28
	s_delay_alu instid0(VALU_DEP_1) | instskip(NEXT) | instid1(VALU_DEP_1)
	v_mul_f32_e64 v6, 0x2f800000, |v5|
	v_floor_f32_e32 v6, v6
	s_delay_alu instid0(VALU_DEP_1) | instskip(SKIP_1) | instid1(VALU_DEP_2)
	v_fma_f32 v6, 0xcf800000, v6, |v5|
	v_ashrrev_i32_e32 v5, 31, v5
	v_cvt_u32_f32_e32 v6, v6
	s_delay_alu instid0(VALU_DEP_1) | instskip(NEXT) | instid1(VALU_DEP_1)
	v_xor_b32_e32 v6, v6, v5
	v_sub_nc_u32_e32 v5, v6, v5
	global_store_b8 v[2:3], v5, off
.LBB145_588:
	s_mov_b32 s3, -1
.LBB145_589:
	s_delay_alu instid0(SALU_CYCLE_1)
	s_and_not1_b32 vcc_lo, exec_lo, s3
	s_cbranch_vccnz .LBB145_666
; %bb.590:
	v_cmp_gt_i16_e32 vcc_lo, 11, v4
	v_add_co_u32 v2, s0, s12, v35
	s_delay_alu instid0(VALU_DEP_1)
	v_add_co_ci_u32_e64 v3, null, s13, 0, s0
	s_mov_b32 s2, 0
	s_mov_b32 s0, -1
	s_cbranch_vccnz .LBB145_667
; %bb.591:
	v_cmp_lt_i16_e32 vcc_lo, 25, v4
	s_mov_b32 s3, -1
	s_mov_b32 s0, 0
	s_cbranch_vccz .LBB145_624
; %bb.592:
	v_cmp_lt_i16_e32 vcc_lo, 28, v4
	s_cbranch_vccz .LBB145_608
; %bb.593:
	v_cmp_lt_i16_e32 vcc_lo, 43, v4
	;; [unrolled: 3-line block ×3, first 2 shown]
	s_cbranch_vccz .LBB145_598
; %bb.595:
	v_cmp_eq_u16_e32 vcc_lo, 46, v4
	s_mov_b32 s0, -1
	s_cbranch_vccz .LBB145_597
; %bb.596:
	v_bfe_u32 v5, v1, 16, 1
	v_bfe_u32 v6, v0, 16, 1
	v_cmp_o_f32_e32 vcc_lo, v1, v1
	s_mov_b32 s0, 0
	s_delay_alu instid0(VALU_DEP_3) | instskip(NEXT) | instid1(VALU_DEP_3)
	v_add3_u32 v5, v1, v5, 0x7fff
	v_add3_u32 v6, v0, v6, 0x7fff
	s_delay_alu instid0(VALU_DEP_2) | instskip(NEXT) | instid1(VALU_DEP_2)
	v_and_b32_e32 v5, 0xffff0000, v5
	v_lshrrev_b32_e32 v6, 16, v6
	s_delay_alu instid0(VALU_DEP_2) | instskip(SKIP_1) | instid1(VALU_DEP_3)
	v_cndmask_b32_e32 v5, 0x7fc00000, v5, vcc_lo
	v_cmp_o_f32_e32 vcc_lo, v0, v0
	v_cndmask_b32_e32 v6, 0x7fc0, v6, vcc_lo
	s_delay_alu instid0(VALU_DEP_1)
	v_or_b32_e32 v5, v5, v6
	global_store_b32 v[2:3], v5, off
.LBB145_597:
	s_mov_b32 s3, 0
.LBB145_598:
	s_delay_alu instid0(SALU_CYCLE_1)
	s_and_b32 vcc_lo, exec_lo, s3
	s_cbranch_vccz .LBB145_603
; %bb.599:
	v_cmp_eq_u16_e32 vcc_lo, 44, v4
	s_mov_b32 s0, -1
	s_cbranch_vccz .LBB145_603
; %bb.600:
	v_bfe_u32 v6, v0, 23, 8
	v_mov_b32_e32 v5, 0xff
	s_mov_b32 s3, exec_lo
	s_delay_alu instid0(VALU_DEP_2)
	v_cmpx_ne_u32_e32 0xff, v6
; %bb.601:
	v_and_b32_e32 v5, 0x400000, v0
	v_and_or_b32 v6, 0x3fffff, v0, v6
	s_delay_alu instid0(VALU_DEP_2) | instskip(NEXT) | instid1(VALU_DEP_2)
	v_cmp_ne_u32_e32 vcc_lo, 0, v5
	v_cmp_ne_u32_e64 s0, 0, v6
	v_lshrrev_b32_e32 v5, 23, v0
	s_delay_alu instid0(VALU_DEP_2) | instskip(NEXT) | instid1(SALU_CYCLE_1)
	s_and_b32 s0, vcc_lo, s0
	v_cndmask_b32_e64 v6, 0, 1, s0
	s_delay_alu instid0(VALU_DEP_1)
	v_add_nc_u32_e32 v5, v5, v6
; %bb.602:
	s_or_b32 exec_lo, exec_lo, s3
	s_mov_b32 s0, 0
	global_store_b8 v[2:3], v5, off
.LBB145_603:
	s_mov_b32 s3, 0
.LBB145_604:
	s_delay_alu instid0(SALU_CYCLE_1)
	s_and_b32 vcc_lo, exec_lo, s3
	s_cbranch_vccz .LBB145_607
; %bb.605:
	v_cmp_eq_u16_e32 vcc_lo, 29, v4
	s_mov_b32 s0, -1
	s_cbranch_vccz .LBB145_607
; %bb.606:
	v_trunc_f32_e32 v5, v0
	s_mov_b32 s0, 0
	s_delay_alu instid0(VALU_DEP_1) | instskip(NEXT) | instid1(VALU_DEP_1)
	v_mul_f32_e32 v6, 0x2f800000, v5
	v_floor_f32_e32 v6, v6
	s_delay_alu instid0(VALU_DEP_1) | instskip(SKIP_1) | instid1(VALU_DEP_2)
	v_fmamk_f32 v5, v6, 0xcf800000, v5
	v_cvt_u32_f32_e32 v6, v6
	v_cvt_u32_f32_e32 v5, v5
	global_store_b64 v[2:3], v[5:6], off
.LBB145_607:
	s_mov_b32 s3, 0
.LBB145_608:
	s_delay_alu instid0(SALU_CYCLE_1)
	s_and_b32 vcc_lo, exec_lo, s3
	s_cbranch_vccz .LBB145_623
; %bb.609:
	v_cmp_gt_i16_e32 vcc_lo, 27, v4
	s_mov_b32 s3, -1
	s_cbranch_vccnz .LBB145_615
; %bb.610:
	v_cmp_lt_i16_e32 vcc_lo, 27, v4
	v_cvt_u32_f32_e32 v5, v0
	s_cbranch_vccz .LBB145_612
; %bb.611:
	s_mov_b32 s3, 0
	global_store_b32 v[2:3], v5, off
.LBB145_612:
	s_and_not1_b32 vcc_lo, exec_lo, s3
	s_cbranch_vccnz .LBB145_614
; %bb.613:
	global_store_b16 v[2:3], v5, off
.LBB145_614:
	s_mov_b32 s3, 0
.LBB145_615:
	s_delay_alu instid0(SALU_CYCLE_1)
	s_and_not1_b32 vcc_lo, exec_lo, s3
	s_cbranch_vccnz .LBB145_623
; %bb.616:
	v_and_b32_e32 v5, 0x7fffffff, v0
	v_mov_b32_e32 v6, 0x80
	s_mov_b32 s3, exec_lo
	s_delay_alu instid0(VALU_DEP_2)
	v_cmpx_gt_u32_e32 0x43800000, v5
	s_cbranch_execz .LBB145_622
; %bb.617:
	v_cmp_lt_u32_e32 vcc_lo, 0x3bffffff, v5
	s_mov_b32 s4, 0
                                        ; implicit-def: $vgpr5
	s_and_saveexec_b32 s5, vcc_lo
	s_delay_alu instid0(SALU_CYCLE_1)
	s_xor_b32 s5, exec_lo, s5
	s_cbranch_execz .LBB145_1110
; %bb.618:
	v_bfe_u32 v5, v0, 20, 1
	s_mov_b32 s4, exec_lo
	s_delay_alu instid0(VALU_DEP_1) | instskip(NEXT) | instid1(VALU_DEP_1)
	v_add3_u32 v5, v0, v5, 0x487ffff
	v_lshrrev_b32_e32 v5, 20, v5
	s_or_saveexec_b32 s5, s5
                                        ; implicit-def: $sgpr6
	s_delay_alu instid0(SALU_CYCLE_1)
	s_xor_b32 exec_lo, exec_lo, s5
	s_cbranch_execnz .LBB145_1111
.LBB145_619:
	s_or_b32 exec_lo, exec_lo, s5
	v_mov_b32_e32 v6, s6
	s_and_saveexec_b32 s5, s4
.LBB145_620:
	v_lshrrev_b32_e32 v6, 24, v0
	s_delay_alu instid0(VALU_DEP_1)
	v_and_or_b32 v6, 0x80, v6, v5
.LBB145_621:
	s_or_b32 exec_lo, exec_lo, s5
.LBB145_622:
	s_delay_alu instid0(SALU_CYCLE_1)
	s_or_b32 exec_lo, exec_lo, s3
	global_store_b8 v[2:3], v6, off
.LBB145_623:
	s_mov_b32 s3, 0
.LBB145_624:
	s_delay_alu instid0(SALU_CYCLE_1)
	s_and_b32 vcc_lo, exec_lo, s3
	s_cbranch_vccz .LBB145_664
; %bb.625:
	v_cmp_lt_i16_e32 vcc_lo, 22, v4
	s_mov_b32 s2, -1
	s_cbranch_vccz .LBB145_657
; %bb.626:
	v_cmp_gt_i16_e32 vcc_lo, 24, v4
	s_cbranch_vccnz .LBB145_646
; %bb.627:
	v_cmp_lt_i16_e32 vcc_lo, 24, v4
	s_cbranch_vccz .LBB145_635
; %bb.628:
	v_and_b32_e32 v5, 0x7fffffff, v0
	v_mov_b32_e32 v6, 0x80
	s_mov_b32 s2, exec_lo
	s_delay_alu instid0(VALU_DEP_2)
	v_cmpx_gt_u32_e32 0x47800000, v5
	s_cbranch_execz .LBB145_634
; %bb.629:
	v_cmp_lt_u32_e32 vcc_lo, 0x37ffffff, v5
	s_mov_b32 s3, 0
                                        ; implicit-def: $vgpr5
	s_and_saveexec_b32 s4, vcc_lo
	s_delay_alu instid0(SALU_CYCLE_1)
	s_xor_b32 s4, exec_lo, s4
	s_cbranch_execz .LBB145_1120
; %bb.630:
	v_bfe_u32 v5, v0, 21, 1
	s_mov_b32 s3, exec_lo
	s_delay_alu instid0(VALU_DEP_1) | instskip(NEXT) | instid1(VALU_DEP_1)
	v_add3_u32 v5, v0, v5, 0x88fffff
	v_lshrrev_b32_e32 v5, 21, v5
	s_or_saveexec_b32 s4, s4
                                        ; implicit-def: $sgpr5
	s_delay_alu instid0(SALU_CYCLE_1)
	s_xor_b32 exec_lo, exec_lo, s4
	s_cbranch_execnz .LBB145_1121
.LBB145_631:
	s_or_b32 exec_lo, exec_lo, s4
	v_mov_b32_e32 v6, s5
	s_and_saveexec_b32 s4, s3
.LBB145_632:
	v_lshrrev_b32_e32 v6, 24, v0
	s_delay_alu instid0(VALU_DEP_1)
	v_and_or_b32 v6, 0x80, v6, v5
.LBB145_633:
	s_or_b32 exec_lo, exec_lo, s4
.LBB145_634:
	s_delay_alu instid0(SALU_CYCLE_1)
	s_or_b32 exec_lo, exec_lo, s2
	s_mov_b32 s2, 0
	global_store_b8 v[2:3], v6, off
.LBB145_635:
	s_and_b32 vcc_lo, exec_lo, s2
	s_cbranch_vccz .LBB145_645
; %bb.636:
	v_and_b32_e32 v6, 0x7fffffff, v0
	s_mov_b32 s2, exec_lo
                                        ; implicit-def: $vgpr5
	s_delay_alu instid0(VALU_DEP_1)
	v_cmpx_gt_u32_e32 0x43f00000, v6
	s_xor_b32 s2, exec_lo, s2
	s_cbranch_execz .LBB145_642
; %bb.637:
	s_mov_b32 s3, exec_lo
                                        ; implicit-def: $vgpr5
	v_cmpx_lt_u32_e32 0x3c7fffff, v6
	s_xor_b32 s3, exec_lo, s3
; %bb.638:
	v_bfe_u32 v5, v0, 20, 1
	s_delay_alu instid0(VALU_DEP_1) | instskip(NEXT) | instid1(VALU_DEP_1)
	v_add3_u32 v5, v0, v5, 0x407ffff
	v_and_b32_e32 v6, 0xff00000, v5
	v_lshrrev_b32_e32 v5, 20, v5
	s_delay_alu instid0(VALU_DEP_2) | instskip(NEXT) | instid1(VALU_DEP_2)
	v_cmp_ne_u32_e32 vcc_lo, 0x7f00000, v6
	v_cndmask_b32_e32 v5, 0x7e, v5, vcc_lo
; %bb.639:
	s_and_not1_saveexec_b32 s3, s3
; %bb.640:
	v_add_f32_e64 v5, 0x46800000, |v0|
; %bb.641:
	s_or_b32 exec_lo, exec_lo, s3
                                        ; implicit-def: $vgpr6
.LBB145_642:
	s_and_not1_saveexec_b32 s2, s2
; %bb.643:
	v_mov_b32_e32 v5, 0x7f
	v_cmp_lt_u32_e32 vcc_lo, 0x7f800000, v6
	s_delay_alu instid0(VALU_DEP_2)
	v_cndmask_b32_e32 v5, 0x7e, v5, vcc_lo
; %bb.644:
	s_or_b32 exec_lo, exec_lo, s2
	v_lshrrev_b32_e32 v6, 24, v0
	s_delay_alu instid0(VALU_DEP_1)
	v_and_or_b32 v5, 0x80, v6, v5
	global_store_b8 v[2:3], v5, off
.LBB145_645:
	s_mov_b32 s2, 0
.LBB145_646:
	s_delay_alu instid0(SALU_CYCLE_1)
	s_and_not1_b32 vcc_lo, exec_lo, s2
	s_cbranch_vccnz .LBB145_656
; %bb.647:
	v_and_b32_e32 v6, 0x7fffffff, v0
	s_mov_b32 s2, exec_lo
                                        ; implicit-def: $vgpr5
	s_delay_alu instid0(VALU_DEP_1)
	v_cmpx_gt_u32_e32 0x47800000, v6
	s_xor_b32 s2, exec_lo, s2
	s_cbranch_execz .LBB145_653
; %bb.648:
	s_mov_b32 s3, exec_lo
                                        ; implicit-def: $vgpr5
	v_cmpx_lt_u32_e32 0x387fffff, v6
	s_xor_b32 s3, exec_lo, s3
; %bb.649:
	v_bfe_u32 v5, v0, 21, 1
	s_delay_alu instid0(VALU_DEP_1) | instskip(NEXT) | instid1(VALU_DEP_1)
	v_add3_u32 v5, v0, v5, 0x80fffff
	v_lshrrev_b32_e32 v5, 21, v5
; %bb.650:
	s_and_not1_saveexec_b32 s3, s3
; %bb.651:
	v_add_f32_e64 v5, 0x43000000, |v0|
; %bb.652:
	s_or_b32 exec_lo, exec_lo, s3
                                        ; implicit-def: $vgpr6
.LBB145_653:
	s_and_not1_saveexec_b32 s2, s2
; %bb.654:
	v_mov_b32_e32 v5, 0x7f
	v_cmp_lt_u32_e32 vcc_lo, 0x7f800000, v6
	s_delay_alu instid0(VALU_DEP_2)
	v_cndmask_b32_e32 v5, 0x7c, v5, vcc_lo
; %bb.655:
	s_or_b32 exec_lo, exec_lo, s2
	v_lshrrev_b32_e32 v6, 24, v0
	s_delay_alu instid0(VALU_DEP_1)
	v_and_or_b32 v5, 0x80, v6, v5
	global_store_b8 v[2:3], v5, off
.LBB145_656:
	s_mov_b32 s2, 0
.LBB145_657:
	s_delay_alu instid0(SALU_CYCLE_1)
	s_and_not1_b32 vcc_lo, exec_lo, s2
	s_mov_b32 s2, 0
	s_cbranch_vccnz .LBB145_664
; %bb.658:
	v_cmp_lt_i16_e32 vcc_lo, 14, v4
	s_mov_b32 s2, -1
	s_cbranch_vccz .LBB145_662
; %bb.659:
	v_cmp_eq_u16_e32 vcc_lo, 15, v4
	s_mov_b32 s0, -1
	s_cbranch_vccz .LBB145_661
; %bb.660:
	v_bfe_u32 v5, v0, 16, 1
	v_cmp_o_f32_e32 vcc_lo, v0, v0
	s_mov_b32 s0, 0
	s_delay_alu instid0(VALU_DEP_2) | instskip(NEXT) | instid1(VALU_DEP_1)
	v_add3_u32 v5, v0, v5, 0x7fff
	v_lshrrev_b32_e32 v5, 16, v5
	s_delay_alu instid0(VALU_DEP_1)
	v_cndmask_b32_e32 v5, 0x7fc0, v5, vcc_lo
	global_store_b16 v[2:3], v5, off
.LBB145_661:
	s_mov_b32 s2, 0
.LBB145_662:
	s_delay_alu instid0(SALU_CYCLE_1)
	s_and_b32 vcc_lo, exec_lo, s2
	s_mov_b32 s2, 0
	s_cbranch_vccz .LBB145_664
; %bb.663:
	v_cmp_ne_u16_e64 s0, 11, v4
	s_mov_b32 s2, -1
.LBB145_664:
	s_delay_alu instid0(VALU_DEP_1)
	s_and_b32 vcc_lo, exec_lo, s0
	s_cbranch_vccnz .LBB145_1114
.LBB145_665:
	s_mov_b32 s0, 0
	s_branch .LBB145_667
.LBB145_666:
	s_mov_b32 s0, 0
	s_mov_b32 s2, 0
                                        ; implicit-def: $vgpr4
                                        ; implicit-def: $vgpr2_vgpr3
.LBB145_667:
	s_and_not1_b32 s3, s16, exec_lo
	s_and_b32 s1, s1, exec_lo
	s_and_b32 s0, s0, exec_lo
	;; [unrolled: 1-line block ×3, first 2 shown]
	s_or_b32 s16, s3, s1
.LBB145_668:
	s_or_b32 exec_lo, exec_lo, s17
	s_and_saveexec_b32 s1, s16
	s_cbranch_execz .LBB145_671
; %bb.669:
	; divergent unreachable
	s_or_b32 exec_lo, exec_lo, s1
	s_and_saveexec_b32 s1, s37
	s_delay_alu instid0(SALU_CYCLE_1)
	s_xor_b32 s1, exec_lo, s1
	s_cbranch_execnz .LBB145_672
.LBB145_670:
	s_or_b32 exec_lo, exec_lo, s1
	s_and_saveexec_b32 s1, s0
	s_cbranch_execnz .LBB145_673
	s_branch .LBB145_710
.LBB145_671:
	s_or_b32 exec_lo, exec_lo, s1
	s_and_saveexec_b32 s1, s37
	s_delay_alu instid0(SALU_CYCLE_1)
	s_xor_b32 s1, exec_lo, s1
	s_cbranch_execz .LBB145_670
.LBB145_672:
	v_or_b32_e32 v5, v0, v1
	s_delay_alu instid0(VALU_DEP_1) | instskip(NEXT) | instid1(VALU_DEP_1)
	v_and_b32_e32 v5, 0x7fffffff, v5
	v_cmp_ne_u32_e32 vcc_lo, 0, v5
	v_cndmask_b32_e64 v5, 0, 1, vcc_lo
	global_store_b8 v[2:3], v5, off
	s_or_b32 exec_lo, exec_lo, s1
	s_and_saveexec_b32 s1, s0
	s_cbranch_execz .LBB145_710
.LBB145_673:
	v_cmp_gt_i16_e32 vcc_lo, 5, v4
	s_mov_b32 s0, -1
	s_cbranch_vccnz .LBB145_694
; %bb.674:
	v_cmp_gt_i16_e32 vcc_lo, 8, v4
	s_cbranch_vccnz .LBB145_684
; %bb.675:
	v_cmp_gt_i16_e32 vcc_lo, 9, v4
	s_cbranch_vccnz .LBB145_681
; %bb.676:
	v_cmp_lt_i16_e32 vcc_lo, 9, v4
	s_cbranch_vccz .LBB145_678
; %bb.677:
	v_cvt_f64_f32_e32 v[5:6], v0
	v_cvt_f64_f32_e32 v[7:8], v1
	s_mov_b32 s0, 0
	global_store_b128 v[2:3], v[5:8], off
.LBB145_678:
	s_and_not1_b32 vcc_lo, exec_lo, s0
	s_cbranch_vccnz .LBB145_680
; %bb.679:
	global_store_b64 v[2:3], v[0:1], off
.LBB145_680:
	s_mov_b32 s0, 0
.LBB145_681:
	s_delay_alu instid0(SALU_CYCLE_1)
	s_and_not1_b32 vcc_lo, exec_lo, s0
	s_cbranch_vccnz .LBB145_683
; %bb.682:
	v_cvt_f16_f32_e32 v1, v1
	v_cvt_f16_f32_e32 v5, v0
	s_delay_alu instid0(VALU_DEP_2) | instskip(NEXT) | instid1(VALU_DEP_2)
	v_lshlrev_b32_e32 v1, 16, v1
	v_and_b32_e32 v5, 0xffff, v5
	s_delay_alu instid0(VALU_DEP_1)
	v_or_b32_e32 v1, v1, v5
	global_store_b32 v[2:3], v1, off
.LBB145_683:
	s_mov_b32 s0, 0
.LBB145_684:
	s_delay_alu instid0(SALU_CYCLE_1)
	s_and_not1_b32 vcc_lo, exec_lo, s0
	s_cbranch_vccnz .LBB145_693
; %bb.685:
	v_cmp_gt_i16_e32 vcc_lo, 6, v4
	s_mov_b32 s0, -1
	s_cbranch_vccnz .LBB145_691
; %bb.686:
	v_cmp_lt_i16_e32 vcc_lo, 6, v4
	s_cbranch_vccz .LBB145_688
; %bb.687:
	v_cvt_f64_f32_e32 v[5:6], v0
	s_mov_b32 s0, 0
	global_store_b64 v[2:3], v[5:6], off
.LBB145_688:
	s_and_not1_b32 vcc_lo, exec_lo, s0
	s_cbranch_vccnz .LBB145_690
; %bb.689:
	global_store_b32 v[2:3], v0, off
.LBB145_690:
	s_mov_b32 s0, 0
.LBB145_691:
	s_delay_alu instid0(SALU_CYCLE_1)
	s_and_not1_b32 vcc_lo, exec_lo, s0
	s_cbranch_vccnz .LBB145_693
; %bb.692:
	v_cvt_f16_f32_e32 v1, v0
	global_store_b16 v[2:3], v1, off
.LBB145_693:
	s_mov_b32 s0, 0
.LBB145_694:
	s_delay_alu instid0(SALU_CYCLE_1)
	s_and_not1_b32 vcc_lo, exec_lo, s0
	s_cbranch_vccnz .LBB145_710
; %bb.695:
	v_cmp_gt_i16_e32 vcc_lo, 2, v4
	s_mov_b32 s0, -1
	s_cbranch_vccnz .LBB145_705
; %bb.696:
	v_cmp_gt_i16_e32 vcc_lo, 3, v4
	s_cbranch_vccnz .LBB145_702
; %bb.697:
	v_cmp_lt_i16_e32 vcc_lo, 3, v4
	s_cbranch_vccz .LBB145_699
; %bb.698:
	v_trunc_f32_e32 v1, v0
	s_mov_b32 s0, 0
	s_delay_alu instid0(VALU_DEP_1) | instskip(NEXT) | instid1(VALU_DEP_1)
	v_mul_f32_e64 v5, 0x2f800000, |v1|
	v_floor_f32_e32 v5, v5
	s_delay_alu instid0(VALU_DEP_1) | instskip(SKIP_2) | instid1(VALU_DEP_3)
	v_fma_f32 v6, 0xcf800000, v5, |v1|
	v_ashrrev_i32_e32 v1, 31, v1
	v_cvt_u32_f32_e32 v5, v5
	v_cvt_u32_f32_e32 v6, v6
	s_delay_alu instid0(VALU_DEP_2) | instskip(NEXT) | instid1(VALU_DEP_2)
	v_xor_b32_e32 v7, v5, v1
	v_xor_b32_e32 v6, v6, v1
	s_delay_alu instid0(VALU_DEP_1) | instskip(NEXT) | instid1(VALU_DEP_3)
	v_sub_co_u32 v5, vcc_lo, v6, v1
	v_sub_co_ci_u32_e32 v6, vcc_lo, v7, v1, vcc_lo
	global_store_b64 v[2:3], v[5:6], off
.LBB145_699:
	s_and_not1_b32 vcc_lo, exec_lo, s0
	s_cbranch_vccnz .LBB145_701
; %bb.700:
	v_cvt_i32_f32_e32 v1, v0
	global_store_b32 v[2:3], v1, off
.LBB145_701:
	s_mov_b32 s0, 0
.LBB145_702:
	s_delay_alu instid0(SALU_CYCLE_1)
	s_and_not1_b32 vcc_lo, exec_lo, s0
	s_cbranch_vccnz .LBB145_704
; %bb.703:
	v_cvt_i32_f32_e32 v1, v0
	global_store_b16 v[2:3], v1, off
.LBB145_704:
	s_mov_b32 s0, 0
.LBB145_705:
	s_delay_alu instid0(SALU_CYCLE_1)
	s_and_not1_b32 vcc_lo, exec_lo, s0
	s_cbranch_vccnz .LBB145_710
; %bb.706:
	v_cmp_lt_i16_e32 vcc_lo, 0, v4
	s_mov_b32 s0, -1
	s_cbranch_vccz .LBB145_708
; %bb.707:
	v_cvt_i32_f32_e32 v1, v0
	s_mov_b32 s0, 0
	global_store_b8 v[2:3], v1, off
.LBB145_708:
	s_and_not1_b32 vcc_lo, exec_lo, s0
	s_cbranch_vccnz .LBB145_710
; %bb.709:
	v_trunc_f32_e32 v0, v0
	s_delay_alu instid0(VALU_DEP_1) | instskip(NEXT) | instid1(VALU_DEP_1)
	v_mul_f32_e64 v1, 0x2f800000, |v0|
	v_floor_f32_e32 v1, v1
	s_delay_alu instid0(VALU_DEP_1) | instskip(SKIP_1) | instid1(VALU_DEP_2)
	v_fma_f32 v1, 0xcf800000, v1, |v0|
	v_ashrrev_i32_e32 v0, 31, v0
	v_cvt_u32_f32_e32 v1, v1
	s_delay_alu instid0(VALU_DEP_1) | instskip(NEXT) | instid1(VALU_DEP_1)
	v_xor_b32_e32 v1, v1, v0
	v_sub_nc_u32_e32 v0, v1, v0
	global_store_b8 v[2:3], v0, off
	s_endpgm
.LBB145_710:
	s_endpgm
.LBB145_711:
	s_mov_b32 s4, -1
                                        ; implicit-def: $vgpr29
                                        ; implicit-def: $vgpr2
	s_branch .LBB145_716
.LBB145_712:
	v_mov_b32_e32 v0, v30
	v_mov_b32_e32 v2, 0
.LBB145_713:
	s_and_b32 s6, s6, 3
	s_delay_alu instid0(SALU_CYCLE_1)
	s_cmp_eq_u32 s6, 0
	s_cbranch_scc1 .LBB145_716
; %bb.714:
	s_lshl_b32 s0, s5, 3
	s_mul_i32 s2, s5, 12
	s_add_u32 s0, s0, s14
	s_addc_u32 s1, s15, 0
	s_add_u32 s0, s0, 0xc4
	s_addc_u32 s1, s1, 0
	s_add_u32 s2, s14, s2
	s_addc_u32 s3, s15, 0
	.p2align	6
.LBB145_715:                            ; =>This Inner Loop Header: Depth=1
	s_clause 0x1
	s_load_b64 s[8:9], s[2:3], 0x4
	s_load_b32 s5, s[2:3], 0xc
	s_load_b64 s[10:11], s[0:1], 0x0
	s_add_u32 s2, s2, 12
	s_addc_u32 s3, s3, 0
	s_add_u32 s0, s0, 8
	s_addc_u32 s1, s1, 0
	s_add_i32 s6, s6, -1
	s_delay_alu instid0(SALU_CYCLE_1) | instskip(SKIP_2) | instid1(VALU_DEP_1)
	s_cmp_lg_u32 s6, 0
	s_waitcnt lgkmcnt(0)
	v_mul_hi_u32 v1, s9, v0
	v_add_nc_u32_e32 v1, v0, v1
	s_delay_alu instid0(VALU_DEP_1) | instskip(NEXT) | instid1(VALU_DEP_1)
	v_lshrrev_b32_e32 v1, s5, v1
	v_mul_lo_u32 v3, v1, s8
	s_delay_alu instid0(VALU_DEP_1) | instskip(NEXT) | instid1(VALU_DEP_1)
	v_sub_nc_u32_e32 v0, v0, v3
	v_mad_u64_u32 v[3:4], null, v0, s10, v[29:30]
	s_delay_alu instid0(VALU_DEP_1) | instskip(SKIP_1) | instid1(VALU_DEP_2)
	v_mad_u64_u32 v[4:5], null, v0, s11, v[2:3]
	v_dual_mov_b32 v0, v1 :: v_dual_mov_b32 v29, v3
	v_mov_b32_e32 v2, v4
	s_cbranch_scc1 .LBB145_715
.LBB145_716:
	s_and_not1_b32 vcc_lo, exec_lo, s4
	s_cbranch_vccnz .LBB145_719
; %bb.717:
	s_waitcnt lgkmcnt(0)
	v_mul_hi_u32 v0, s25, v30
	s_and_not1_b32 vcc_lo, exec_lo, s40
	s_delay_alu instid0(VALU_DEP_1) | instskip(NEXT) | instid1(VALU_DEP_1)
	v_add_nc_u32_e32 v0, v30, v0
	v_lshrrev_b32_e32 v0, s26, v0
	s_delay_alu instid0(VALU_DEP_1) | instskip(NEXT) | instid1(VALU_DEP_1)
	v_mul_lo_u32 v1, v0, s24
	v_sub_nc_u32_e32 v1, v30, v1
	s_delay_alu instid0(VALU_DEP_1)
	v_mul_lo_u32 v29, v1, s20
	v_mul_lo_u32 v2, v1, s21
	s_cbranch_vccnz .LBB145_719
; %bb.718:
	v_mul_hi_u32 v1, s28, v0
	s_delay_alu instid0(VALU_DEP_1) | instskip(NEXT) | instid1(VALU_DEP_1)
	v_add_nc_u32_e32 v1, v0, v1
	v_lshrrev_b32_e32 v1, s29, v1
	s_delay_alu instid0(VALU_DEP_1) | instskip(NEXT) | instid1(VALU_DEP_1)
	v_mul_lo_u32 v1, v1, s27
	v_sub_nc_u32_e32 v5, v0, v1
	s_delay_alu instid0(VALU_DEP_1) | instskip(SKIP_1) | instid1(VALU_DEP_1)
	v_mad_u64_u32 v[0:1], null, v5, s22, v[29:30]
	v_mad_u64_u32 v[3:4], null, v5, s23, v[2:3]
	v_dual_mov_b32 v29, v0 :: v_dual_mov_b32 v2, v3
.LBB145_719:
	s_waitcnt lgkmcnt(0)
	v_dual_mov_b32 v0, s18 :: v_dual_mov_b32 v1, s19
	v_mov_b32_e32 v3, v28
	s_getpc_b64 s[0:1]
	s_add_u32 s0, s0, _ZN2at6native6invokeIZZZNS0_17expm1_kernel_cudaERNS_18TensorIteratorBaseEENKUlvE_clEvENKUlvE2_clEvEUlN3c107complexIfEEE_j15function_traitsIS9_EEENT1_11result_typeERKT_PrKPcPKT0_PKNS6_10ScalarTypeEi@rel32@lo+4
	s_addc_u32 s1, s1, _ZN2at6native6invokeIZZZNS0_17expm1_kernel_cudaERNS_18TensorIteratorBaseEENKUlvE_clEvENKUlvE2_clEvEUlN3c107complexIfEEE_j15function_traitsIS9_EEENT1_11result_typeERKT_PrKPcPKT0_PKNS6_10ScalarTypeEi@rel32@hi+12
	s_delay_alu instid0(SALU_CYCLE_1) | instskip(SKIP_2) | instid1(VALU_DEP_1)
	s_swappc_b64 s[30:31], s[0:1]
	v_and_b32_e32 v4, 0xff, v31
	v_add_co_u32 v2, s0, s16, v29
	v_add_co_ci_u32_e64 v3, null, s17, 0, s0
	s_delay_alu instid0(VALU_DEP_3)
	v_cmp_gt_i16_e32 vcc_lo, 11, v4
	s_mov_b32 s1, 0
	s_mov_b32 s2, -1
	s_mov_b32 s0, s44
	s_cbranch_vccnz .LBB145_726
; %bb.720:
	v_cmp_lt_i16_e32 vcc_lo, 25, v4
	s_cbranch_vccz .LBB145_766
; %bb.721:
	v_cmp_lt_i16_e32 vcc_lo, 28, v4
	s_cbranch_vccz .LBB145_767
; %bb.722:
	v_cmp_lt_i16_e32 vcc_lo, 43, v4
	s_cbranch_vccz .LBB145_774
; %bb.723:
	v_cmp_lt_i16_e32 vcc_lo, 45, v4
	s_cbranch_vccz .LBB145_785
; %bb.724:
	v_cmp_eq_u16_e32 vcc_lo, 46, v4
	s_mov_b32 s2, 0
	s_mov_b32 s0, -1
	s_cbranch_vccz .LBB145_786
; %bb.725:
	v_bfe_u32 v5, v1, 16, 1
	v_bfe_u32 v6, v0, 16, 1
	v_cmp_o_f32_e32 vcc_lo, v1, v1
	s_mov_b32 s1, -1
	s_mov_b32 s0, 0
	v_add3_u32 v5, v1, v5, 0x7fff
	v_add3_u32 v6, v0, v6, 0x7fff
	s_delay_alu instid0(VALU_DEP_2) | instskip(NEXT) | instid1(VALU_DEP_2)
	v_and_b32_e32 v5, 0xffff0000, v5
	v_lshrrev_b32_e32 v6, 16, v6
	s_delay_alu instid0(VALU_DEP_2) | instskip(SKIP_1) | instid1(VALU_DEP_3)
	v_cndmask_b32_e32 v5, 0x7fc00000, v5, vcc_lo
	v_cmp_o_f32_e32 vcc_lo, v0, v0
	v_cndmask_b32_e32 v6, 0x7fc0, v6, vcc_lo
	s_delay_alu instid0(VALU_DEP_1)
	v_or_b32_e32 v5, v5, v6
	global_store_b32 v[2:3], v5, off
	s_branch .LBB145_786
.LBB145_726:
	s_and_b32 vcc_lo, exec_lo, s2
	s_cbranch_vccz .LBB145_855
; %bb.727:
	v_cmp_gt_i16_e32 vcc_lo, 5, v4
	s_mov_b32 s1, -1
	s_cbranch_vccnz .LBB145_748
; %bb.728:
	v_cmp_gt_i16_e32 vcc_lo, 8, v4
	s_cbranch_vccnz .LBB145_738
; %bb.729:
	v_cmp_gt_i16_e32 vcc_lo, 9, v4
	s_cbranch_vccnz .LBB145_735
; %bb.730:
	v_cmp_lt_i16_e32 vcc_lo, 9, v4
	s_cbranch_vccz .LBB145_732
; %bb.731:
	v_cvt_f64_f32_e32 v[5:6], v0
	v_cvt_f64_f32_e32 v[7:8], v1
	s_mov_b32 s1, 0
	global_store_b128 v[2:3], v[5:8], off
.LBB145_732:
	s_and_not1_b32 vcc_lo, exec_lo, s1
	s_cbranch_vccnz .LBB145_734
; %bb.733:
	global_store_b64 v[2:3], v[0:1], off
.LBB145_734:
	s_mov_b32 s1, 0
.LBB145_735:
	s_delay_alu instid0(SALU_CYCLE_1)
	s_and_not1_b32 vcc_lo, exec_lo, s1
	s_cbranch_vccnz .LBB145_737
; %bb.736:
	v_cvt_f16_f32_e32 v1, v1
	v_cvt_f16_f32_e32 v5, v0
	s_delay_alu instid0(VALU_DEP_2) | instskip(NEXT) | instid1(VALU_DEP_2)
	v_lshlrev_b32_e32 v1, 16, v1
	v_and_b32_e32 v5, 0xffff, v5
	s_delay_alu instid0(VALU_DEP_1)
	v_or_b32_e32 v1, v1, v5
	global_store_b32 v[2:3], v1, off
.LBB145_737:
	s_mov_b32 s1, 0
.LBB145_738:
	s_delay_alu instid0(SALU_CYCLE_1)
	s_and_not1_b32 vcc_lo, exec_lo, s1
	s_cbranch_vccnz .LBB145_747
; %bb.739:
	v_cmp_gt_i16_e32 vcc_lo, 6, v4
	s_mov_b32 s1, -1
	s_cbranch_vccnz .LBB145_745
; %bb.740:
	v_cmp_lt_i16_e32 vcc_lo, 6, v4
	s_cbranch_vccz .LBB145_742
; %bb.741:
	v_cvt_f64_f32_e32 v[5:6], v0
	s_mov_b32 s1, 0
	global_store_b64 v[2:3], v[5:6], off
.LBB145_742:
	s_and_not1_b32 vcc_lo, exec_lo, s1
	s_cbranch_vccnz .LBB145_744
; %bb.743:
	global_store_b32 v[2:3], v0, off
.LBB145_744:
	s_mov_b32 s1, 0
.LBB145_745:
	s_delay_alu instid0(SALU_CYCLE_1)
	s_and_not1_b32 vcc_lo, exec_lo, s1
	s_cbranch_vccnz .LBB145_747
; %bb.746:
	v_cvt_f16_f32_e32 v1, v0
	global_store_b16 v[2:3], v1, off
.LBB145_747:
	s_mov_b32 s1, 0
.LBB145_748:
	s_delay_alu instid0(SALU_CYCLE_1)
	s_and_not1_b32 vcc_lo, exec_lo, s1
	s_cbranch_vccnz .LBB145_764
; %bb.749:
	v_cmp_gt_i16_e32 vcc_lo, 2, v4
	s_mov_b32 s1, -1
	s_cbranch_vccnz .LBB145_759
; %bb.750:
	v_cmp_gt_i16_e32 vcc_lo, 3, v4
	s_cbranch_vccnz .LBB145_756
; %bb.751:
	v_cmp_lt_i16_e32 vcc_lo, 3, v4
	s_cbranch_vccz .LBB145_753
; %bb.752:
	v_trunc_f32_e32 v1, v0
	s_mov_b32 s1, 0
	s_delay_alu instid0(VALU_DEP_1) | instskip(NEXT) | instid1(VALU_DEP_1)
	v_mul_f32_e64 v5, 0x2f800000, |v1|
	v_floor_f32_e32 v5, v5
	s_delay_alu instid0(VALU_DEP_1) | instskip(SKIP_2) | instid1(VALU_DEP_3)
	v_fma_f32 v6, 0xcf800000, v5, |v1|
	v_ashrrev_i32_e32 v1, 31, v1
	v_cvt_u32_f32_e32 v5, v5
	v_cvt_u32_f32_e32 v6, v6
	s_delay_alu instid0(VALU_DEP_2) | instskip(NEXT) | instid1(VALU_DEP_2)
	v_xor_b32_e32 v7, v5, v1
	v_xor_b32_e32 v6, v6, v1
	s_delay_alu instid0(VALU_DEP_1) | instskip(NEXT) | instid1(VALU_DEP_3)
	v_sub_co_u32 v5, vcc_lo, v6, v1
	v_sub_co_ci_u32_e32 v6, vcc_lo, v7, v1, vcc_lo
	global_store_b64 v[2:3], v[5:6], off
.LBB145_753:
	s_and_not1_b32 vcc_lo, exec_lo, s1
	s_cbranch_vccnz .LBB145_755
; %bb.754:
	v_cvt_i32_f32_e32 v1, v0
	global_store_b32 v[2:3], v1, off
.LBB145_755:
	s_mov_b32 s1, 0
.LBB145_756:
	s_delay_alu instid0(SALU_CYCLE_1)
	s_and_not1_b32 vcc_lo, exec_lo, s1
	s_cbranch_vccnz .LBB145_758
; %bb.757:
	v_cvt_i32_f32_e32 v1, v0
	global_store_b16 v[2:3], v1, off
.LBB145_758:
	s_mov_b32 s1, 0
.LBB145_759:
	s_delay_alu instid0(SALU_CYCLE_1)
	s_and_not1_b32 vcc_lo, exec_lo, s1
	s_cbranch_vccnz .LBB145_764
; %bb.760:
	v_cmp_lt_i16_e32 vcc_lo, 0, v4
	s_mov_b32 s1, -1
	s_cbranch_vccz .LBB145_762
; %bb.761:
	v_cvt_i32_f32_e32 v1, v0
	s_mov_b32 s1, 0
	global_store_b8 v[2:3], v1, off
.LBB145_762:
	s_and_not1_b32 vcc_lo, exec_lo, s1
	s_cbranch_vccnz .LBB145_764
; %bb.763:
	v_trunc_f32_e32 v0, v0
	s_delay_alu instid0(VALU_DEP_1) | instskip(NEXT) | instid1(VALU_DEP_1)
	v_mul_f32_e64 v1, 0x2f800000, |v0|
	v_floor_f32_e32 v1, v1
	s_delay_alu instid0(VALU_DEP_1) | instskip(SKIP_1) | instid1(VALU_DEP_2)
	v_fma_f32 v1, 0xcf800000, v1, |v0|
	v_ashrrev_i32_e32 v0, 31, v0
	v_cvt_u32_f32_e32 v1, v1
	s_delay_alu instid0(VALU_DEP_1) | instskip(NEXT) | instid1(VALU_DEP_1)
	v_xor_b32_e32 v1, v1, v0
	v_sub_nc_u32_e32 v0, v1, v0
	global_store_b8 v[2:3], v0, off
.LBB145_764:
	s_branch .LBB145_856
.LBB145_765:
	s_mov_b32 s1, 0
                                        ; implicit-def: $vgpr30
	s_branch .LBB145_857
.LBB145_766:
	s_mov_b32 s0, s44
	s_branch .LBB145_813
.LBB145_767:
	s_mov_b32 s0, s44
	s_branch .LBB145_796
.LBB145_768:
	s_or_saveexec_b32 s4, s4
                                        ; implicit-def: $sgpr5
	s_delay_alu instid0(SALU_CYCLE_1)
	s_xor_b32 exec_lo, exec_lo, s4
	s_cbranch_execz .LBB145_264
.LBB145_769:
	v_add_f32_e64 v5, 0x46000000, |v32|
	s_and_not1_b32 s3, s3, exec_lo
	s_mov_b32 s5, 0
	s_delay_alu instid0(VALU_DEP_1) | instskip(NEXT) | instid1(VALU_DEP_1)
	v_and_b32_e32 v5, 0xff, v5
	v_cmp_ne_u32_e32 vcc_lo, 0, v5
	s_and_b32 s6, vcc_lo, exec_lo
	s_delay_alu instid0(SALU_CYCLE_1)
	s_or_b32 s3, s3, s6
	s_or_b32 exec_lo, exec_lo, s4
	v_mov_b32_e32 v6, s5
	s_and_saveexec_b32 s4, s3
	s_cbranch_execnz .LBB145_265
	s_branch .LBB145_266
.LBB145_770:
	s_cbranch_execnz .LBB145_779
; %bb.771:
	s_or_b32 s1, s16, exec_lo
	s_cbranch_execz .LBB145_312
	s_branch .LBB145_313
.LBB145_772:
	s_or_saveexec_b32 s3, s3
                                        ; implicit-def: $sgpr4
	s_delay_alu instid0(SALU_CYCLE_1)
	s_xor_b32 exec_lo, exec_lo, s3
	s_cbranch_execz .LBB145_43
.LBB145_773:
	v_add_f32_e64 v5, 0x46000000, |v0|
	s_and_not1_b32 s2, s2, exec_lo
	s_mov_b32 s4, 0
	s_delay_alu instid0(VALU_DEP_1) | instskip(NEXT) | instid1(VALU_DEP_1)
	v_and_b32_e32 v5, 0xff, v5
	v_cmp_ne_u32_e32 vcc_lo, 0, v5
	s_and_b32 s5, vcc_lo, exec_lo
	s_delay_alu instid0(SALU_CYCLE_1)
	s_or_b32 s2, s2, s5
	s_or_b32 exec_lo, exec_lo, s3
	v_mov_b32_e32 v6, s4
	s_and_saveexec_b32 s3, s2
	s_cbranch_execnz .LBB145_44
	s_branch .LBB145_45
.LBB145_774:
	s_mov_b32 s0, s44
	s_branch .LBB145_792
.LBB145_775:
	s_or_saveexec_b32 s3, s3
                                        ; implicit-def: $sgpr4
	s_delay_alu instid0(SALU_CYCLE_1)
	s_xor_b32 exec_lo, exec_lo, s3
	s_cbranch_execz .LBB145_277
.LBB145_776:
	v_add_f32_e64 v5, 0x42800000, |v32|
	s_and_not1_b32 s2, s2, exec_lo
	s_mov_b32 s4, 0
	s_delay_alu instid0(VALU_DEP_1) | instskip(NEXT) | instid1(VALU_DEP_1)
	v_and_b32_e32 v5, 0xff, v5
	v_cmp_ne_u32_e32 vcc_lo, 0, v5
	s_and_b32 s5, vcc_lo, exec_lo
	s_delay_alu instid0(SALU_CYCLE_1)
	s_or_b32 s2, s2, s5
	s_or_b32 exec_lo, exec_lo, s3
	v_mov_b32_e32 v6, s4
	s_and_saveexec_b32 s3, s2
	s_cbranch_execnz .LBB145_278
	s_branch .LBB145_279
.LBB145_777:
	s_or_saveexec_b32 s5, s5
                                        ; implicit-def: $sgpr6
	s_delay_alu instid0(SALU_CYCLE_1)
	s_xor_b32 exec_lo, exec_lo, s5
	s_cbranch_execz .LBB145_382
.LBB145_778:
	v_add_f32_e64 v5, 0x46000000, |v30|
	s_and_not1_b32 s4, s4, exec_lo
	s_mov_b32 s6, 0
	s_delay_alu instid0(VALU_DEP_1) | instskip(NEXT) | instid1(VALU_DEP_1)
	v_and_b32_e32 v5, 0xff, v5
	v_cmp_ne_u32_e32 vcc_lo, 0, v5
	s_and_b32 s7, vcc_lo, exec_lo
	s_delay_alu instid0(SALU_CYCLE_1)
	s_or_b32 s4, s4, s7
	s_or_b32 exec_lo, exec_lo, s5
	v_mov_b32_e32 v6, s6
	s_and_saveexec_b32 s5, s4
	s_cbranch_execnz .LBB145_383
	s_branch .LBB145_384
.LBB145_779:
	s_trap 2
	s_sendmsg_rtn_b32 s0, sendmsg(MSG_RTN_GET_DOORBELL)
	s_mov_b32 ttmp2, m0
	s_waitcnt lgkmcnt(0)
	s_and_b32 s0, s0, 0x3ff
	s_delay_alu instid0(SALU_CYCLE_1) | instskip(NEXT) | instid1(SALU_CYCLE_1)
	s_bitset1_b32 s0, 10
	s_mov_b32 m0, s0
	s_sendmsg sendmsg(MSG_INTERRUPT)
	s_mov_b32 m0, ttmp2
.LBB145_780:                            ; =>This Inner Loop Header: Depth=1
	s_sethalt 5
	s_branch .LBB145_780
.LBB145_781:
	s_cbranch_execnz .LBB145_929
; %bb.782:
	s_or_b32 s1, s1, exec_lo
	s_cbranch_execz .LBB145_430
	s_branch .LBB145_431
.LBB145_783:
	s_or_saveexec_b32 s3, s3
                                        ; implicit-def: $sgpr4
	s_delay_alu instid0(SALU_CYCLE_1)
	s_xor_b32 exec_lo, exec_lo, s3
	s_cbranch_execz .LBB145_56
.LBB145_784:
	v_add_f32_e64 v5, 0x42800000, |v0|
	s_and_not1_b32 s2, s2, exec_lo
	s_mov_b32 s4, 0
	s_delay_alu instid0(VALU_DEP_1) | instskip(NEXT) | instid1(VALU_DEP_1)
	v_and_b32_e32 v5, 0xff, v5
	v_cmp_ne_u32_e32 vcc_lo, 0, v5
	s_and_b32 s5, vcc_lo, exec_lo
	s_delay_alu instid0(SALU_CYCLE_1)
	s_or_b32 s2, s2, s5
	s_or_b32 exec_lo, exec_lo, s3
	v_mov_b32_e32 v6, s4
	s_and_saveexec_b32 s3, s2
	s_cbranch_execnz .LBB145_57
	s_branch .LBB145_58
.LBB145_785:
	s_mov_b32 s0, s44
.LBB145_786:
	s_and_b32 vcc_lo, exec_lo, s2
	s_cbranch_vccz .LBB145_791
; %bb.787:
	v_cmp_eq_u16_e32 vcc_lo, 44, v4
	s_mov_b32 s0, -1
	s_cbranch_vccz .LBB145_791
; %bb.788:
	v_bfe_u32 v6, v0, 23, 8
	v_mov_b32_e32 v5, 0xff
	s_mov_b32 s1, exec_lo
	s_delay_alu instid0(VALU_DEP_2)
	v_cmpx_ne_u32_e32 0xff, v6
; %bb.789:
	v_and_b32_e32 v5, 0x400000, v0
	v_and_or_b32 v6, 0x3fffff, v0, v6
	s_delay_alu instid0(VALU_DEP_2) | instskip(NEXT) | instid1(VALU_DEP_2)
	v_cmp_ne_u32_e32 vcc_lo, 0, v5
	v_cmp_ne_u32_e64 s0, 0, v6
	v_lshrrev_b32_e32 v5, 23, v0
	s_delay_alu instid0(VALU_DEP_2) | instskip(NEXT) | instid1(SALU_CYCLE_1)
	s_and_b32 s0, vcc_lo, s0
	v_cndmask_b32_e64 v6, 0, 1, s0
	s_delay_alu instid0(VALU_DEP_1)
	v_add_nc_u32_e32 v5, v5, v6
; %bb.790:
	s_or_b32 exec_lo, exec_lo, s1
	s_mov_b32 s1, -1
	s_mov_b32 s0, 0
	global_store_b8 v[2:3], v5, off
.LBB145_791:
	s_mov_b32 s2, 0
.LBB145_792:
	s_delay_alu instid0(SALU_CYCLE_1)
	s_and_b32 vcc_lo, exec_lo, s2
	s_cbranch_vccz .LBB145_795
; %bb.793:
	v_cmp_eq_u16_e32 vcc_lo, 29, v4
	s_mov_b32 s0, -1
	s_cbranch_vccz .LBB145_795
; %bb.794:
	v_trunc_f32_e32 v5, v0
	s_mov_b32 s1, -1
	s_mov_b32 s0, 0
	s_mov_b32 s2, 0
	s_delay_alu instid0(VALU_DEP_1) | instskip(NEXT) | instid1(VALU_DEP_1)
	v_mul_f32_e32 v6, 0x2f800000, v5
	v_floor_f32_e32 v6, v6
	s_delay_alu instid0(VALU_DEP_1) | instskip(SKIP_1) | instid1(VALU_DEP_2)
	v_fmamk_f32 v5, v6, 0xcf800000, v5
	v_cvt_u32_f32_e32 v6, v6
	v_cvt_u32_f32_e32 v5, v5
	global_store_b64 v[2:3], v[5:6], off
	s_branch .LBB145_796
.LBB145_795:
	s_mov_b32 s2, 0
.LBB145_796:
	s_delay_alu instid0(SALU_CYCLE_1)
	s_and_b32 vcc_lo, exec_lo, s2
	s_cbranch_vccz .LBB145_812
; %bb.797:
	v_cmp_gt_i16_e32 vcc_lo, 27, v4
	s_mov_b32 s1, -1
	s_cbranch_vccnz .LBB145_803
; %bb.798:
	v_cmp_lt_i16_e32 vcc_lo, 27, v4
	s_cbranch_vccz .LBB145_800
; %bb.799:
	v_cvt_u32_f32_e32 v5, v0
	s_mov_b32 s1, 0
	global_store_b32 v[2:3], v5, off
.LBB145_800:
	s_and_not1_b32 vcc_lo, exec_lo, s1
	s_cbranch_vccnz .LBB145_802
; %bb.801:
	v_cvt_u32_f32_e32 v5, v0
	global_store_b16 v[2:3], v5, off
.LBB145_802:
	s_mov_b32 s1, 0
.LBB145_803:
	s_delay_alu instid0(SALU_CYCLE_1)
	s_and_not1_b32 vcc_lo, exec_lo, s1
	s_cbranch_vccnz .LBB145_811
; %bb.804:
	v_and_b32_e32 v5, 0x7fffffff, v0
	v_mov_b32_e32 v6, 0x80
	s_mov_b32 s1, exec_lo
	s_delay_alu instid0(VALU_DEP_2)
	v_cmpx_gt_u32_e32 0x43800000, v5
	s_cbranch_execz .LBB145_810
; %bb.805:
	v_cmp_lt_u32_e32 vcc_lo, 0x3bffffff, v5
	s_mov_b32 s2, 0
                                        ; implicit-def: $vgpr5
	s_and_saveexec_b32 s3, vcc_lo
	s_delay_alu instid0(SALU_CYCLE_1)
	s_xor_b32 s3, exec_lo, s3
	s_cbranch_execz .LBB145_922
; %bb.806:
	v_bfe_u32 v5, v0, 20, 1
	s_mov_b32 s2, exec_lo
	s_delay_alu instid0(VALU_DEP_1) | instskip(NEXT) | instid1(VALU_DEP_1)
	v_add3_u32 v5, v0, v5, 0x487ffff
	v_lshrrev_b32_e32 v5, 20, v5
	s_or_saveexec_b32 s3, s3
                                        ; implicit-def: $sgpr4
	s_delay_alu instid0(SALU_CYCLE_1)
	s_xor_b32 exec_lo, exec_lo, s3
	s_cbranch_execnz .LBB145_923
.LBB145_807:
	s_or_b32 exec_lo, exec_lo, s3
	v_mov_b32_e32 v6, s4
	s_and_saveexec_b32 s3, s2
.LBB145_808:
	v_lshrrev_b32_e32 v6, 24, v0
	s_delay_alu instid0(VALU_DEP_1)
	v_and_or_b32 v6, 0x80, v6, v5
.LBB145_809:
	s_or_b32 exec_lo, exec_lo, s3
.LBB145_810:
	s_delay_alu instid0(SALU_CYCLE_1)
	s_or_b32 exec_lo, exec_lo, s1
	global_store_b8 v[2:3], v6, off
.LBB145_811:
	s_mov_b32 s1, -1
.LBB145_812:
	s_mov_b32 s2, 0
.LBB145_813:
	s_delay_alu instid0(SALU_CYCLE_1)
	s_and_b32 vcc_lo, exec_lo, s2
	s_cbranch_vccz .LBB145_854
; %bb.814:
	v_cmp_lt_i16_e32 vcc_lo, 22, v4
	s_mov_b32 s2, -1
	s_cbranch_vccz .LBB145_846
; %bb.815:
	v_cmp_gt_i16_e32 vcc_lo, 24, v4
	s_mov_b32 s1, -1
	s_cbranch_vccnz .LBB145_835
; %bb.816:
	v_cmp_lt_i16_e32 vcc_lo, 24, v4
	s_cbranch_vccz .LBB145_824
; %bb.817:
	v_and_b32_e32 v5, 0x7fffffff, v0
	v_mov_b32_e32 v6, 0x80
	s_mov_b32 s1, exec_lo
	s_delay_alu instid0(VALU_DEP_2)
	v_cmpx_gt_u32_e32 0x47800000, v5
	s_cbranch_execz .LBB145_823
; %bb.818:
	v_cmp_lt_u32_e32 vcc_lo, 0x37ffffff, v5
	s_mov_b32 s2, 0
                                        ; implicit-def: $vgpr5
	s_and_saveexec_b32 s3, vcc_lo
	s_delay_alu instid0(SALU_CYCLE_1)
	s_xor_b32 s3, exec_lo, s3
	s_cbranch_execz .LBB145_933
; %bb.819:
	v_bfe_u32 v5, v0, 21, 1
	s_mov_b32 s2, exec_lo
	s_delay_alu instid0(VALU_DEP_1) | instskip(NEXT) | instid1(VALU_DEP_1)
	v_add3_u32 v5, v0, v5, 0x88fffff
	v_lshrrev_b32_e32 v5, 21, v5
	s_or_saveexec_b32 s3, s3
                                        ; implicit-def: $sgpr4
	s_delay_alu instid0(SALU_CYCLE_1)
	s_xor_b32 exec_lo, exec_lo, s3
	s_cbranch_execnz .LBB145_934
.LBB145_820:
	s_or_b32 exec_lo, exec_lo, s3
	v_mov_b32_e32 v6, s4
	s_and_saveexec_b32 s3, s2
.LBB145_821:
	v_lshrrev_b32_e32 v6, 24, v0
	s_delay_alu instid0(VALU_DEP_1)
	v_and_or_b32 v6, 0x80, v6, v5
.LBB145_822:
	s_or_b32 exec_lo, exec_lo, s3
.LBB145_823:
	s_delay_alu instid0(SALU_CYCLE_1)
	s_or_b32 exec_lo, exec_lo, s1
	s_mov_b32 s1, 0
	global_store_b8 v[2:3], v6, off
.LBB145_824:
	s_and_b32 vcc_lo, exec_lo, s1
	s_cbranch_vccz .LBB145_834
; %bb.825:
	v_and_b32_e32 v6, 0x7fffffff, v0
	s_mov_b32 s1, exec_lo
                                        ; implicit-def: $vgpr5
	s_delay_alu instid0(VALU_DEP_1)
	v_cmpx_gt_u32_e32 0x43f00000, v6
	s_xor_b32 s1, exec_lo, s1
	s_cbranch_execz .LBB145_831
; %bb.826:
	s_mov_b32 s2, exec_lo
                                        ; implicit-def: $vgpr5
	v_cmpx_lt_u32_e32 0x3c7fffff, v6
	s_xor_b32 s2, exec_lo, s2
; %bb.827:
	v_bfe_u32 v5, v0, 20, 1
	s_delay_alu instid0(VALU_DEP_1) | instskip(NEXT) | instid1(VALU_DEP_1)
	v_add3_u32 v5, v0, v5, 0x407ffff
	v_and_b32_e32 v6, 0xff00000, v5
	v_lshrrev_b32_e32 v5, 20, v5
	s_delay_alu instid0(VALU_DEP_2) | instskip(NEXT) | instid1(VALU_DEP_2)
	v_cmp_ne_u32_e32 vcc_lo, 0x7f00000, v6
	v_cndmask_b32_e32 v5, 0x7e, v5, vcc_lo
; %bb.828:
	s_and_not1_saveexec_b32 s2, s2
; %bb.829:
	v_add_f32_e64 v5, 0x46800000, |v0|
; %bb.830:
	s_or_b32 exec_lo, exec_lo, s2
                                        ; implicit-def: $vgpr6
.LBB145_831:
	s_and_not1_saveexec_b32 s1, s1
; %bb.832:
	v_mov_b32_e32 v5, 0x7f
	v_cmp_lt_u32_e32 vcc_lo, 0x7f800000, v6
	s_delay_alu instid0(VALU_DEP_2)
	v_cndmask_b32_e32 v5, 0x7e, v5, vcc_lo
; %bb.833:
	s_or_b32 exec_lo, exec_lo, s1
	v_lshrrev_b32_e32 v6, 24, v0
	s_delay_alu instid0(VALU_DEP_1)
	v_and_or_b32 v5, 0x80, v6, v5
	global_store_b8 v[2:3], v5, off
.LBB145_834:
	s_mov_b32 s1, 0
.LBB145_835:
	s_delay_alu instid0(SALU_CYCLE_1)
	s_and_not1_b32 vcc_lo, exec_lo, s1
	s_cbranch_vccnz .LBB145_845
; %bb.836:
	v_and_b32_e32 v6, 0x7fffffff, v0
	s_mov_b32 s1, exec_lo
                                        ; implicit-def: $vgpr5
	s_delay_alu instid0(VALU_DEP_1)
	v_cmpx_gt_u32_e32 0x47800000, v6
	s_xor_b32 s1, exec_lo, s1
	s_cbranch_execz .LBB145_842
; %bb.837:
	s_mov_b32 s2, exec_lo
                                        ; implicit-def: $vgpr5
	v_cmpx_lt_u32_e32 0x387fffff, v6
	s_xor_b32 s2, exec_lo, s2
; %bb.838:
	v_bfe_u32 v5, v0, 21, 1
	s_delay_alu instid0(VALU_DEP_1) | instskip(NEXT) | instid1(VALU_DEP_1)
	v_add3_u32 v5, v0, v5, 0x80fffff
	v_lshrrev_b32_e32 v5, 21, v5
; %bb.839:
	s_and_not1_saveexec_b32 s2, s2
; %bb.840:
	v_add_f32_e64 v5, 0x43000000, |v0|
; %bb.841:
	s_or_b32 exec_lo, exec_lo, s2
                                        ; implicit-def: $vgpr6
.LBB145_842:
	s_and_not1_saveexec_b32 s1, s1
; %bb.843:
	v_mov_b32_e32 v5, 0x7f
	v_cmp_lt_u32_e32 vcc_lo, 0x7f800000, v6
	s_delay_alu instid0(VALU_DEP_2)
	v_cndmask_b32_e32 v5, 0x7c, v5, vcc_lo
; %bb.844:
	s_or_b32 exec_lo, exec_lo, s1
	v_lshrrev_b32_e32 v6, 24, v0
	s_delay_alu instid0(VALU_DEP_1)
	v_and_or_b32 v5, 0x80, v6, v5
	global_store_b8 v[2:3], v5, off
.LBB145_845:
	s_mov_b32 s2, 0
	s_mov_b32 s1, -1
.LBB145_846:
	s_and_not1_b32 vcc_lo, exec_lo, s2
	s_cbranch_vccnz .LBB145_854
; %bb.847:
	v_cmp_lt_i16_e32 vcc_lo, 14, v4
	s_mov_b32 s2, -1
	s_cbranch_vccz .LBB145_851
; %bb.848:
	v_cmp_eq_u16_e32 vcc_lo, 15, v4
	s_mov_b32 s0, -1
	s_cbranch_vccz .LBB145_850
; %bb.849:
	v_bfe_u32 v5, v0, 16, 1
	v_cmp_o_f32_e32 vcc_lo, v0, v0
	s_mov_b32 s1, -1
	s_mov_b32 s0, 0
	s_delay_alu instid0(VALU_DEP_2) | instskip(NEXT) | instid1(VALU_DEP_1)
	v_add3_u32 v5, v0, v5, 0x7fff
	v_lshrrev_b32_e32 v5, 16, v5
	s_delay_alu instid0(VALU_DEP_1)
	v_cndmask_b32_e32 v5, 0x7fc0, v5, vcc_lo
	global_store_b16 v[2:3], v5, off
.LBB145_850:
	s_mov_b32 s2, 0
.LBB145_851:
	s_delay_alu instid0(SALU_CYCLE_1)
	s_and_b32 vcc_lo, exec_lo, s2
	s_cbranch_vccz .LBB145_854
; %bb.852:
	v_cmp_eq_u16_e32 vcc_lo, 11, v4
	s_mov_b32 s0, -1
	s_cbranch_vccz .LBB145_854
; %bb.853:
	v_or_b32_e32 v5, v0, v1
	s_mov_b32 s0, 0
	s_mov_b32 s1, -1
	s_delay_alu instid0(VALU_DEP_1) | instskip(NEXT) | instid1(VALU_DEP_1)
	v_and_b32_e32 v5, 0x7fffffff, v5
	v_cmp_ne_u32_e32 vcc_lo, 0, v5
	v_cndmask_b32_e64 v5, 0, 1, vcc_lo
	global_store_b8 v[2:3], v5, off
.LBB145_854:
.LBB145_855:
	s_and_not1_b32 vcc_lo, exec_lo, s1
	s_cbranch_vccnz .LBB145_765
.LBB145_856:
	v_add_nc_u32_e32 v30, 0x80, v30
	s_mov_b32 s1, -1
.LBB145_857:
	s_and_not1_b32 s2, s44, exec_lo
	s_and_b32 s0, s0, exec_lo
	s_delay_alu instid0(SALU_CYCLE_1)
	s_or_b32 s46, s2, s0
	s_or_not1_b32 s2, s1, exec_lo
.LBB145_858:
	s_or_b32 exec_lo, exec_lo, s47
	s_mov_b32 s0, 0
	s_mov_b32 s1, 0
                                        ; implicit-def: $vgpr4
                                        ; implicit-def: $vgpr2_vgpr3
                                        ; implicit-def: $vgpr0
	s_and_saveexec_b32 s47, s2
	s_cbranch_execz .LBB145_1101
; %bb.859:
	s_mov_b32 s2, -1
	s_mov_b32 s49, s46
	s_mov_b32 s48, exec_lo
	v_cmpx_gt_i32_e64 s41, v30
	s_cbranch_execz .LBB145_1008
; %bb.860:
	s_and_not1_b32 vcc_lo, exec_lo, s38
	s_cbranch_vccnz .LBB145_865
; %bb.861:
	v_dual_mov_b32 v29, 0 :: v_dual_mov_b32 v2, 0
	s_and_not1_b32 vcc_lo, exec_lo, s43
	s_mov_b32 s4, 0
	s_cbranch_vccnz .LBB145_870
; %bb.862:
	v_mov_b32_e32 v29, 0
	s_add_i32 s6, s42, 1
	s_cmp_eq_u32 s36, 2
	s_mov_b32 s5, 0
	s_cbranch_scc1 .LBB145_866
; %bb.863:
	v_dual_mov_b32 v2, 0 :: v_dual_mov_b32 v29, 0
	v_mov_b32_e32 v0, v30
	s_and_b32 s5, s6, 28
	s_mov_b32 s7, 0
	s_mov_b64 s[0:1], s[34:35]
	s_mov_b64 s[2:3], s[14:15]
.LBB145_864:                            ; =>This Inner Loop Header: Depth=1
	s_clause 0x1
	s_load_b256 s[52:59], s[2:3], 0x4
	s_load_b128 s[8:11], s[2:3], 0x24
	s_load_b256 s[60:67], s[0:1], 0x0
	s_add_u32 s2, s2, 48
	s_addc_u32 s3, s3, 0
	s_add_i32 s7, s7, 4
	s_add_u32 s0, s0, 32
	s_addc_u32 s1, s1, 0
	s_cmp_eq_u32 s5, s7
	s_waitcnt lgkmcnt(0)
	v_mul_hi_u32 v1, s53, v0
	s_delay_alu instid0(VALU_DEP_1) | instskip(NEXT) | instid1(VALU_DEP_1)
	v_add_nc_u32_e32 v1, v0, v1
	v_lshrrev_b32_e32 v1, s54, v1
	s_delay_alu instid0(VALU_DEP_1) | instskip(SKIP_1) | instid1(VALU_DEP_2)
	v_mul_hi_u32 v3, s56, v1
	v_mul_lo_u32 v5, v1, s52
	v_add_nc_u32_e32 v3, v1, v3
	s_delay_alu instid0(VALU_DEP_2) | instskip(NEXT) | instid1(VALU_DEP_2)
	v_sub_nc_u32_e32 v0, v0, v5
	v_lshrrev_b32_e32 v3, s57, v3
	s_delay_alu instid0(VALU_DEP_2) | instskip(SKIP_1) | instid1(VALU_DEP_3)
	v_mul_lo_u32 v5, v0, s60
	v_mul_lo_u32 v7, v0, s61
	v_mul_hi_u32 v4, s59, v3
	s_delay_alu instid0(VALU_DEP_1) | instskip(NEXT) | instid1(VALU_DEP_1)
	v_add_nc_u32_e32 v4, v3, v4
	v_lshrrev_b32_e32 v4, s8, v4
	s_delay_alu instid0(VALU_DEP_1) | instskip(SKIP_1) | instid1(VALU_DEP_2)
	v_mul_hi_u32 v6, s10, v4
	v_mul_lo_u32 v8, v4, s58
	v_add_nc_u32_e32 v0, v4, v6
	v_mul_lo_u32 v6, v3, s55
	s_delay_alu instid0(VALU_DEP_3) | instskip(NEXT) | instid1(VALU_DEP_3)
	v_sub_nc_u32_e32 v3, v3, v8
	v_lshrrev_b32_e32 v0, s11, v0
	s_delay_alu instid0(VALU_DEP_2) | instskip(SKIP_2) | instid1(VALU_DEP_4)
	v_mul_lo_u32 v8, v3, s64
	v_mul_lo_u32 v3, v3, s65
	v_sub_nc_u32_e32 v1, v1, v6
	v_mul_lo_u32 v9, v0, s9
	s_delay_alu instid0(VALU_DEP_2) | instskip(SKIP_1) | instid1(VALU_DEP_3)
	v_mul_lo_u32 v6, v1, s62
	v_mul_lo_u32 v1, v1, s63
	v_sub_nc_u32_e32 v4, v4, v9
	s_delay_alu instid0(VALU_DEP_3) | instskip(NEXT) | instid1(VALU_DEP_2)
	v_add3_u32 v5, v5, v29, v6
	v_mul_lo_u32 v9, v4, s66
	v_mul_lo_u32 v4, v4, s67
	v_add3_u32 v1, v7, v2, v1
	s_delay_alu instid0(VALU_DEP_3) | instskip(NEXT) | instid1(VALU_DEP_2)
	v_add3_u32 v29, v8, v5, v9
	v_add3_u32 v2, v3, v1, v4
	s_cbranch_scc0 .LBB145_864
	s_branch .LBB145_867
.LBB145_865:
	s_mov_b32 s4, -1
                                        ; implicit-def: $vgpr29
                                        ; implicit-def: $vgpr2
	s_branch .LBB145_870
.LBB145_866:
	v_mov_b32_e32 v0, v30
	v_mov_b32_e32 v2, 0
.LBB145_867:
	s_and_b32 s6, s6, 3
	s_delay_alu instid0(SALU_CYCLE_1)
	s_cmp_eq_u32 s6, 0
	s_cbranch_scc1 .LBB145_870
; %bb.868:
	s_lshl_b32 s0, s5, 3
	s_mul_i32 s2, s5, 12
	s_add_u32 s0, s0, s14
	s_addc_u32 s1, s15, 0
	s_add_u32 s0, s0, 0xc4
	s_addc_u32 s1, s1, 0
	;; [unrolled: 2-line block ×3, first 2 shown]
	.p2align	6
.LBB145_869:                            ; =>This Inner Loop Header: Depth=1
	s_clause 0x1
	s_load_b64 s[8:9], s[2:3], 0x4
	s_load_b32 s5, s[2:3], 0xc
	s_load_b64 s[10:11], s[0:1], 0x0
	s_add_u32 s2, s2, 12
	s_addc_u32 s3, s3, 0
	s_add_u32 s0, s0, 8
	s_addc_u32 s1, s1, 0
	s_add_i32 s6, s6, -1
	s_delay_alu instid0(SALU_CYCLE_1) | instskip(SKIP_2) | instid1(VALU_DEP_1)
	s_cmp_lg_u32 s6, 0
	s_waitcnt lgkmcnt(0)
	v_mul_hi_u32 v1, s9, v0
	v_add_nc_u32_e32 v1, v0, v1
	s_delay_alu instid0(VALU_DEP_1) | instskip(NEXT) | instid1(VALU_DEP_1)
	v_lshrrev_b32_e32 v1, s5, v1
	v_mul_lo_u32 v3, v1, s8
	s_delay_alu instid0(VALU_DEP_1) | instskip(NEXT) | instid1(VALU_DEP_1)
	v_sub_nc_u32_e32 v0, v0, v3
	v_mad_u64_u32 v[3:4], null, v0, s10, v[29:30]
	s_delay_alu instid0(VALU_DEP_1) | instskip(SKIP_1) | instid1(VALU_DEP_2)
	v_mad_u64_u32 v[4:5], null, v0, s11, v[2:3]
	v_dual_mov_b32 v0, v1 :: v_dual_mov_b32 v29, v3
	v_mov_b32_e32 v2, v4
	s_cbranch_scc1 .LBB145_869
.LBB145_870:
	s_and_not1_b32 vcc_lo, exec_lo, s4
	s_cbranch_vccnz .LBB145_873
; %bb.871:
	s_waitcnt lgkmcnt(0)
	v_mul_hi_u32 v0, s25, v30
	s_and_not1_b32 vcc_lo, exec_lo, s40
	s_delay_alu instid0(VALU_DEP_1) | instskip(NEXT) | instid1(VALU_DEP_1)
	v_add_nc_u32_e32 v0, v30, v0
	v_lshrrev_b32_e32 v0, s26, v0
	s_delay_alu instid0(VALU_DEP_1) | instskip(NEXT) | instid1(VALU_DEP_1)
	v_mul_lo_u32 v1, v0, s24
	v_sub_nc_u32_e32 v1, v30, v1
	s_delay_alu instid0(VALU_DEP_1)
	v_mul_lo_u32 v29, v1, s20
	v_mul_lo_u32 v2, v1, s21
	s_cbranch_vccnz .LBB145_873
; %bb.872:
	v_mul_hi_u32 v1, s28, v0
	s_delay_alu instid0(VALU_DEP_1) | instskip(NEXT) | instid1(VALU_DEP_1)
	v_add_nc_u32_e32 v1, v0, v1
	v_lshrrev_b32_e32 v1, s29, v1
	s_delay_alu instid0(VALU_DEP_1) | instskip(NEXT) | instid1(VALU_DEP_1)
	v_mul_lo_u32 v1, v1, s27
	v_sub_nc_u32_e32 v5, v0, v1
	s_delay_alu instid0(VALU_DEP_1) | instskip(SKIP_1) | instid1(VALU_DEP_1)
	v_mad_u64_u32 v[0:1], null, v5, s22, v[29:30]
	v_mad_u64_u32 v[3:4], null, v5, s23, v[2:3]
	v_dual_mov_b32 v29, v0 :: v_dual_mov_b32 v2, v3
.LBB145_873:
	s_waitcnt lgkmcnt(0)
	v_dual_mov_b32 v0, s18 :: v_dual_mov_b32 v1, s19
	v_mov_b32_e32 v3, v28
	s_getpc_b64 s[0:1]
	s_add_u32 s0, s0, _ZN2at6native6invokeIZZZNS0_17expm1_kernel_cudaERNS_18TensorIteratorBaseEENKUlvE_clEvENKUlvE2_clEvEUlN3c107complexIfEEE_j15function_traitsIS9_EEENT1_11result_typeERKT_PrKPcPKT0_PKNS6_10ScalarTypeEi@rel32@lo+4
	s_addc_u32 s1, s1, _ZN2at6native6invokeIZZZNS0_17expm1_kernel_cudaERNS_18TensorIteratorBaseEENKUlvE_clEvENKUlvE2_clEvEUlN3c107complexIfEEE_j15function_traitsIS9_EEENT1_11result_typeERKT_PrKPcPKT0_PKNS6_10ScalarTypeEi@rel32@hi+12
	s_delay_alu instid0(SALU_CYCLE_1) | instskip(SKIP_2) | instid1(VALU_DEP_1)
	s_swappc_b64 s[30:31], s[0:1]
	v_and_b32_e32 v4, 0xff, v31
	v_add_co_u32 v2, s0, s16, v29
	v_add_co_ci_u32_e64 v3, null, s17, 0, s0
	s_delay_alu instid0(VALU_DEP_3)
	v_cmp_gt_i16_e32 vcc_lo, 11, v4
	s_mov_b32 s1, 0
	s_mov_b32 s2, -1
	s_mov_b32 s0, s46
	s_cbranch_vccnz .LBB145_880
; %bb.874:
	v_cmp_lt_i16_e32 vcc_lo, 25, v4
	s_cbranch_vccz .LBB145_920
; %bb.875:
	v_cmp_lt_i16_e32 vcc_lo, 28, v4
	s_cbranch_vccz .LBB145_921
	;; [unrolled: 3-line block ×4, first 2 shown]
; %bb.878:
	v_cmp_eq_u16_e32 vcc_lo, 46, v4
	s_mov_b32 s2, 0
	s_mov_b32 s0, -1
	s_cbranch_vccz .LBB145_936
; %bb.879:
	v_bfe_u32 v5, v1, 16, 1
	v_bfe_u32 v6, v0, 16, 1
	v_cmp_o_f32_e32 vcc_lo, v1, v1
	s_mov_b32 s1, -1
	s_mov_b32 s0, 0
	v_add3_u32 v5, v1, v5, 0x7fff
	v_add3_u32 v6, v0, v6, 0x7fff
	s_delay_alu instid0(VALU_DEP_2) | instskip(NEXT) | instid1(VALU_DEP_2)
	v_and_b32_e32 v5, 0xffff0000, v5
	v_lshrrev_b32_e32 v6, 16, v6
	s_delay_alu instid0(VALU_DEP_2) | instskip(SKIP_1) | instid1(VALU_DEP_3)
	v_cndmask_b32_e32 v5, 0x7fc00000, v5, vcc_lo
	v_cmp_o_f32_e32 vcc_lo, v0, v0
	v_cndmask_b32_e32 v6, 0x7fc0, v6, vcc_lo
	s_delay_alu instid0(VALU_DEP_1)
	v_or_b32_e32 v5, v5, v6
	global_store_b32 v[2:3], v5, off
	s_branch .LBB145_936
.LBB145_880:
	s_and_b32 vcc_lo, exec_lo, s2
	s_cbranch_vccz .LBB145_1005
; %bb.881:
	v_cmp_gt_i16_e32 vcc_lo, 5, v4
	s_mov_b32 s1, -1
	s_cbranch_vccnz .LBB145_902
; %bb.882:
	v_cmp_gt_i16_e32 vcc_lo, 8, v4
	s_cbranch_vccnz .LBB145_892
; %bb.883:
	v_cmp_gt_i16_e32 vcc_lo, 9, v4
	s_cbranch_vccnz .LBB145_889
; %bb.884:
	v_cmp_lt_i16_e32 vcc_lo, 9, v4
	s_cbranch_vccz .LBB145_886
; %bb.885:
	v_cvt_f64_f32_e32 v[5:6], v0
	v_cvt_f64_f32_e32 v[7:8], v1
	s_mov_b32 s1, 0
	global_store_b128 v[2:3], v[5:8], off
.LBB145_886:
	s_and_not1_b32 vcc_lo, exec_lo, s1
	s_cbranch_vccnz .LBB145_888
; %bb.887:
	global_store_b64 v[2:3], v[0:1], off
.LBB145_888:
	s_mov_b32 s1, 0
.LBB145_889:
	s_delay_alu instid0(SALU_CYCLE_1)
	s_and_not1_b32 vcc_lo, exec_lo, s1
	s_cbranch_vccnz .LBB145_891
; %bb.890:
	v_cvt_f16_f32_e32 v1, v1
	v_cvt_f16_f32_e32 v5, v0
	s_delay_alu instid0(VALU_DEP_2) | instskip(NEXT) | instid1(VALU_DEP_2)
	v_lshlrev_b32_e32 v1, 16, v1
	v_and_b32_e32 v5, 0xffff, v5
	s_delay_alu instid0(VALU_DEP_1)
	v_or_b32_e32 v1, v1, v5
	global_store_b32 v[2:3], v1, off
.LBB145_891:
	s_mov_b32 s1, 0
.LBB145_892:
	s_delay_alu instid0(SALU_CYCLE_1)
	s_and_not1_b32 vcc_lo, exec_lo, s1
	s_cbranch_vccnz .LBB145_901
; %bb.893:
	v_cmp_gt_i16_e32 vcc_lo, 6, v4
	s_mov_b32 s1, -1
	s_cbranch_vccnz .LBB145_899
; %bb.894:
	v_cmp_lt_i16_e32 vcc_lo, 6, v4
	s_cbranch_vccz .LBB145_896
; %bb.895:
	v_cvt_f64_f32_e32 v[5:6], v0
	s_mov_b32 s1, 0
	global_store_b64 v[2:3], v[5:6], off
.LBB145_896:
	s_and_not1_b32 vcc_lo, exec_lo, s1
	s_cbranch_vccnz .LBB145_898
; %bb.897:
	global_store_b32 v[2:3], v0, off
.LBB145_898:
	s_mov_b32 s1, 0
.LBB145_899:
	s_delay_alu instid0(SALU_CYCLE_1)
	s_and_not1_b32 vcc_lo, exec_lo, s1
	s_cbranch_vccnz .LBB145_901
; %bb.900:
	v_cvt_f16_f32_e32 v1, v0
	global_store_b16 v[2:3], v1, off
.LBB145_901:
	s_mov_b32 s1, 0
.LBB145_902:
	s_delay_alu instid0(SALU_CYCLE_1)
	s_and_not1_b32 vcc_lo, exec_lo, s1
	s_cbranch_vccnz .LBB145_918
; %bb.903:
	v_cmp_gt_i16_e32 vcc_lo, 2, v4
	s_mov_b32 s1, -1
	s_cbranch_vccnz .LBB145_913
; %bb.904:
	v_cmp_gt_i16_e32 vcc_lo, 3, v4
	s_cbranch_vccnz .LBB145_910
; %bb.905:
	v_cmp_lt_i16_e32 vcc_lo, 3, v4
	s_cbranch_vccz .LBB145_907
; %bb.906:
	v_trunc_f32_e32 v1, v0
	s_mov_b32 s1, 0
	s_delay_alu instid0(VALU_DEP_1) | instskip(NEXT) | instid1(VALU_DEP_1)
	v_mul_f32_e64 v5, 0x2f800000, |v1|
	v_floor_f32_e32 v5, v5
	s_delay_alu instid0(VALU_DEP_1) | instskip(SKIP_2) | instid1(VALU_DEP_3)
	v_fma_f32 v6, 0xcf800000, v5, |v1|
	v_ashrrev_i32_e32 v1, 31, v1
	v_cvt_u32_f32_e32 v5, v5
	v_cvt_u32_f32_e32 v6, v6
	s_delay_alu instid0(VALU_DEP_2) | instskip(NEXT) | instid1(VALU_DEP_2)
	v_xor_b32_e32 v7, v5, v1
	v_xor_b32_e32 v6, v6, v1
	s_delay_alu instid0(VALU_DEP_1) | instskip(NEXT) | instid1(VALU_DEP_3)
	v_sub_co_u32 v5, vcc_lo, v6, v1
	v_sub_co_ci_u32_e32 v6, vcc_lo, v7, v1, vcc_lo
	global_store_b64 v[2:3], v[5:6], off
.LBB145_907:
	s_and_not1_b32 vcc_lo, exec_lo, s1
	s_cbranch_vccnz .LBB145_909
; %bb.908:
	v_cvt_i32_f32_e32 v1, v0
	global_store_b32 v[2:3], v1, off
.LBB145_909:
	s_mov_b32 s1, 0
.LBB145_910:
	s_delay_alu instid0(SALU_CYCLE_1)
	s_and_not1_b32 vcc_lo, exec_lo, s1
	s_cbranch_vccnz .LBB145_912
; %bb.911:
	v_cvt_i32_f32_e32 v1, v0
	global_store_b16 v[2:3], v1, off
.LBB145_912:
	s_mov_b32 s1, 0
.LBB145_913:
	s_delay_alu instid0(SALU_CYCLE_1)
	s_and_not1_b32 vcc_lo, exec_lo, s1
	s_cbranch_vccnz .LBB145_918
; %bb.914:
	v_cmp_lt_i16_e32 vcc_lo, 0, v4
	s_mov_b32 s1, -1
	s_cbranch_vccz .LBB145_916
; %bb.915:
	v_cvt_i32_f32_e32 v1, v0
	s_mov_b32 s1, 0
	global_store_b8 v[2:3], v1, off
.LBB145_916:
	s_and_not1_b32 vcc_lo, exec_lo, s1
	s_cbranch_vccnz .LBB145_918
; %bb.917:
	v_trunc_f32_e32 v0, v0
	s_delay_alu instid0(VALU_DEP_1) | instskip(NEXT) | instid1(VALU_DEP_1)
	v_mul_f32_e64 v1, 0x2f800000, |v0|
	v_floor_f32_e32 v1, v1
	s_delay_alu instid0(VALU_DEP_1) | instskip(SKIP_1) | instid1(VALU_DEP_2)
	v_fma_f32 v1, 0xcf800000, v1, |v0|
	v_ashrrev_i32_e32 v0, 31, v0
	v_cvt_u32_f32_e32 v1, v1
	s_delay_alu instid0(VALU_DEP_1) | instskip(NEXT) | instid1(VALU_DEP_1)
	v_xor_b32_e32 v1, v1, v0
	v_sub_nc_u32_e32 v0, v1, v0
	global_store_b8 v[2:3], v0, off
.LBB145_918:
	s_branch .LBB145_1006
.LBB145_919:
	s_mov_b32 s1, 0
                                        ; implicit-def: $vgpr30
	s_branch .LBB145_1007
.LBB145_920:
	s_mov_b32 s0, s46
	s_branch .LBB145_963
.LBB145_921:
	s_mov_b32 s0, s46
	s_branch .LBB145_946
.LBB145_922:
	s_or_saveexec_b32 s3, s3
                                        ; implicit-def: $sgpr4
	s_delay_alu instid0(SALU_CYCLE_1)
	s_xor_b32 exec_lo, exec_lo, s3
	s_cbranch_execz .LBB145_807
.LBB145_923:
	v_add_f32_e64 v5, 0x46000000, |v0|
	s_and_not1_b32 s2, s2, exec_lo
	s_mov_b32 s4, 0
	s_delay_alu instid0(VALU_DEP_1) | instskip(NEXT) | instid1(VALU_DEP_1)
	v_and_b32_e32 v5, 0xff, v5
	v_cmp_ne_u32_e32 vcc_lo, 0, v5
	s_and_b32 s5, vcc_lo, exec_lo
	s_delay_alu instid0(SALU_CYCLE_1)
	s_or_b32 s2, s2, s5
	s_or_b32 exec_lo, exec_lo, s3
	v_mov_b32_e32 v6, s4
	s_and_saveexec_b32 s3, s2
	s_cbranch_execnz .LBB145_808
	s_branch .LBB145_809
.LBB145_924:
	s_mov_b32 s0, s46
	s_branch .LBB145_942
.LBB145_925:
	s_or_saveexec_b32 s4, s4
                                        ; implicit-def: $sgpr5
	s_delay_alu instid0(SALU_CYCLE_1)
	s_xor_b32 exec_lo, exec_lo, s4
	s_cbranch_execz .LBB145_395
.LBB145_926:
	v_add_f32_e64 v5, 0x42800000, |v30|
	s_and_not1_b32 s3, s3, exec_lo
	s_mov_b32 s5, 0
	s_delay_alu instid0(VALU_DEP_1) | instskip(NEXT) | instid1(VALU_DEP_1)
	v_and_b32_e32 v5, 0xff, v5
	v_cmp_ne_u32_e32 vcc_lo, 0, v5
	s_and_b32 s6, vcc_lo, exec_lo
	s_delay_alu instid0(SALU_CYCLE_1)
	s_or_b32 s3, s3, s6
	s_or_b32 exec_lo, exec_lo, s4
	v_mov_b32_e32 v6, s5
	s_and_saveexec_b32 s4, s3
	s_cbranch_execnz .LBB145_396
	s_branch .LBB145_397
.LBB145_927:
	s_or_saveexec_b32 s5, s5
                                        ; implicit-def: $sgpr6
	s_delay_alu instid0(SALU_CYCLE_1)
	s_xor_b32 exec_lo, exec_lo, s5
	s_cbranch_execz .LBB145_500
.LBB145_928:
	v_add_f32_e64 v5, 0x46000000, |v28|
	s_and_not1_b32 s4, s4, exec_lo
	s_mov_b32 s6, 0
	s_delay_alu instid0(VALU_DEP_1) | instskip(NEXT) | instid1(VALU_DEP_1)
	v_and_b32_e32 v5, 0xff, v5
	v_cmp_ne_u32_e32 vcc_lo, 0, v5
	s_and_b32 s7, vcc_lo, exec_lo
	s_delay_alu instid0(SALU_CYCLE_1)
	s_or_b32 s4, s4, s7
	s_or_b32 exec_lo, exec_lo, s5
	v_mov_b32_e32 v6, s6
	s_and_saveexec_b32 s5, s4
	s_cbranch_execnz .LBB145_501
	s_branch .LBB145_502
.LBB145_929:
	s_trap 2
	s_sendmsg_rtn_b32 s0, sendmsg(MSG_RTN_GET_DOORBELL)
	s_mov_b32 ttmp2, m0
	s_waitcnt lgkmcnt(0)
	s_and_b32 s0, s0, 0x3ff
	s_delay_alu instid0(SALU_CYCLE_1) | instskip(NEXT) | instid1(SALU_CYCLE_1)
	s_bitset1_b32 s0, 10
	s_mov_b32 m0, s0
	s_sendmsg sendmsg(MSG_INTERRUPT)
	s_mov_b32 m0, ttmp2
.LBB145_930:                            ; =>This Inner Loop Header: Depth=1
	s_sethalt 5
	s_branch .LBB145_930
.LBB145_931:
	s_cbranch_execnz .LBB145_1112
; %bb.932:
	s_or_b32 s1, s1, exec_lo
	s_cbranch_execz .LBB145_548
	s_branch .LBB145_549
.LBB145_933:
	s_or_saveexec_b32 s3, s3
                                        ; implicit-def: $sgpr4
	s_delay_alu instid0(SALU_CYCLE_1)
	s_xor_b32 exec_lo, exec_lo, s3
	s_cbranch_execz .LBB145_820
.LBB145_934:
	v_add_f32_e64 v5, 0x42800000, |v0|
	s_and_not1_b32 s2, s2, exec_lo
	s_mov_b32 s4, 0
	s_delay_alu instid0(VALU_DEP_1) | instskip(NEXT) | instid1(VALU_DEP_1)
	v_and_b32_e32 v5, 0xff, v5
	v_cmp_ne_u32_e32 vcc_lo, 0, v5
	s_and_b32 s5, vcc_lo, exec_lo
	s_delay_alu instid0(SALU_CYCLE_1)
	s_or_b32 s2, s2, s5
	s_or_b32 exec_lo, exec_lo, s3
	v_mov_b32_e32 v6, s4
	s_and_saveexec_b32 s3, s2
	s_cbranch_execnz .LBB145_821
	s_branch .LBB145_822
.LBB145_935:
	s_mov_b32 s0, s46
.LBB145_936:
	s_and_b32 vcc_lo, exec_lo, s2
	s_cbranch_vccz .LBB145_941
; %bb.937:
	v_cmp_eq_u16_e32 vcc_lo, 44, v4
	s_mov_b32 s0, -1
	s_cbranch_vccz .LBB145_941
; %bb.938:
	v_bfe_u32 v6, v0, 23, 8
	v_mov_b32_e32 v5, 0xff
	s_mov_b32 s1, exec_lo
	s_delay_alu instid0(VALU_DEP_2)
	v_cmpx_ne_u32_e32 0xff, v6
; %bb.939:
	v_and_b32_e32 v5, 0x400000, v0
	v_and_or_b32 v6, 0x3fffff, v0, v6
	s_delay_alu instid0(VALU_DEP_2) | instskip(NEXT) | instid1(VALU_DEP_2)
	v_cmp_ne_u32_e32 vcc_lo, 0, v5
	v_cmp_ne_u32_e64 s0, 0, v6
	v_lshrrev_b32_e32 v5, 23, v0
	s_delay_alu instid0(VALU_DEP_2) | instskip(NEXT) | instid1(SALU_CYCLE_1)
	s_and_b32 s0, vcc_lo, s0
	v_cndmask_b32_e64 v6, 0, 1, s0
	s_delay_alu instid0(VALU_DEP_1)
	v_add_nc_u32_e32 v5, v5, v6
; %bb.940:
	s_or_b32 exec_lo, exec_lo, s1
	s_mov_b32 s1, -1
	s_mov_b32 s0, 0
	global_store_b8 v[2:3], v5, off
.LBB145_941:
	s_mov_b32 s2, 0
.LBB145_942:
	s_delay_alu instid0(SALU_CYCLE_1)
	s_and_b32 vcc_lo, exec_lo, s2
	s_cbranch_vccz .LBB145_945
; %bb.943:
	v_cmp_eq_u16_e32 vcc_lo, 29, v4
	s_mov_b32 s0, -1
	s_cbranch_vccz .LBB145_945
; %bb.944:
	v_trunc_f32_e32 v5, v0
	s_mov_b32 s1, -1
	s_mov_b32 s0, 0
	s_mov_b32 s2, 0
	s_delay_alu instid0(VALU_DEP_1) | instskip(NEXT) | instid1(VALU_DEP_1)
	v_mul_f32_e32 v6, 0x2f800000, v5
	v_floor_f32_e32 v6, v6
	s_delay_alu instid0(VALU_DEP_1) | instskip(SKIP_1) | instid1(VALU_DEP_2)
	v_fmamk_f32 v5, v6, 0xcf800000, v5
	v_cvt_u32_f32_e32 v6, v6
	v_cvt_u32_f32_e32 v5, v5
	global_store_b64 v[2:3], v[5:6], off
	s_branch .LBB145_946
.LBB145_945:
	s_mov_b32 s2, 0
.LBB145_946:
	s_delay_alu instid0(SALU_CYCLE_1)
	s_and_b32 vcc_lo, exec_lo, s2
	s_cbranch_vccz .LBB145_962
; %bb.947:
	v_cmp_gt_i16_e32 vcc_lo, 27, v4
	s_mov_b32 s1, -1
	s_cbranch_vccnz .LBB145_953
; %bb.948:
	v_cmp_lt_i16_e32 vcc_lo, 27, v4
	s_cbranch_vccz .LBB145_950
; %bb.949:
	v_cvt_u32_f32_e32 v5, v0
	s_mov_b32 s1, 0
	global_store_b32 v[2:3], v5, off
.LBB145_950:
	s_and_not1_b32 vcc_lo, exec_lo, s1
	s_cbranch_vccnz .LBB145_952
; %bb.951:
	v_cvt_u32_f32_e32 v5, v0
	global_store_b16 v[2:3], v5, off
.LBB145_952:
	s_mov_b32 s1, 0
.LBB145_953:
	s_delay_alu instid0(SALU_CYCLE_1)
	s_and_not1_b32 vcc_lo, exec_lo, s1
	s_cbranch_vccnz .LBB145_961
; %bb.954:
	v_and_b32_e32 v5, 0x7fffffff, v0
	v_mov_b32_e32 v6, 0x80
	s_mov_b32 s1, exec_lo
	s_delay_alu instid0(VALU_DEP_2)
	v_cmpx_gt_u32_e32 0x43800000, v5
	s_cbranch_execz .LBB145_960
; %bb.955:
	v_cmp_lt_u32_e32 vcc_lo, 0x3bffffff, v5
	s_mov_b32 s2, 0
                                        ; implicit-def: $vgpr5
	s_and_saveexec_b32 s3, vcc_lo
	s_delay_alu instid0(SALU_CYCLE_1)
	s_xor_b32 s3, exec_lo, s3
	s_cbranch_execz .LBB145_1106
; %bb.956:
	v_bfe_u32 v5, v0, 20, 1
	s_mov_b32 s2, exec_lo
	s_delay_alu instid0(VALU_DEP_1) | instskip(NEXT) | instid1(VALU_DEP_1)
	v_add3_u32 v5, v0, v5, 0x487ffff
	v_lshrrev_b32_e32 v5, 20, v5
	s_or_saveexec_b32 s3, s3
                                        ; implicit-def: $sgpr4
	s_delay_alu instid0(SALU_CYCLE_1)
	s_xor_b32 exec_lo, exec_lo, s3
	s_cbranch_execnz .LBB145_1107
.LBB145_957:
	s_or_b32 exec_lo, exec_lo, s3
	v_mov_b32_e32 v6, s4
	s_and_saveexec_b32 s3, s2
.LBB145_958:
	v_lshrrev_b32_e32 v6, 24, v0
	s_delay_alu instid0(VALU_DEP_1)
	v_and_or_b32 v6, 0x80, v6, v5
.LBB145_959:
	s_or_b32 exec_lo, exec_lo, s3
.LBB145_960:
	s_delay_alu instid0(SALU_CYCLE_1)
	s_or_b32 exec_lo, exec_lo, s1
	global_store_b8 v[2:3], v6, off
.LBB145_961:
	s_mov_b32 s1, -1
.LBB145_962:
	s_mov_b32 s2, 0
.LBB145_963:
	s_delay_alu instid0(SALU_CYCLE_1)
	s_and_b32 vcc_lo, exec_lo, s2
	s_cbranch_vccz .LBB145_1004
; %bb.964:
	v_cmp_lt_i16_e32 vcc_lo, 22, v4
	s_mov_b32 s2, -1
	s_cbranch_vccz .LBB145_996
; %bb.965:
	v_cmp_gt_i16_e32 vcc_lo, 24, v4
	s_mov_b32 s1, -1
	s_cbranch_vccnz .LBB145_985
; %bb.966:
	v_cmp_lt_i16_e32 vcc_lo, 24, v4
	s_cbranch_vccz .LBB145_974
; %bb.967:
	v_and_b32_e32 v5, 0x7fffffff, v0
	v_mov_b32_e32 v6, 0x80
	s_mov_b32 s1, exec_lo
	s_delay_alu instid0(VALU_DEP_2)
	v_cmpx_gt_u32_e32 0x47800000, v5
	s_cbranch_execz .LBB145_973
; %bb.968:
	v_cmp_lt_u32_e32 vcc_lo, 0x37ffffff, v5
	s_mov_b32 s2, 0
                                        ; implicit-def: $vgpr5
	s_and_saveexec_b32 s3, vcc_lo
	s_delay_alu instid0(SALU_CYCLE_1)
	s_xor_b32 s3, exec_lo, s3
	s_cbranch_execz .LBB145_1116
; %bb.969:
	v_bfe_u32 v5, v0, 21, 1
	s_mov_b32 s2, exec_lo
	s_delay_alu instid0(VALU_DEP_1) | instskip(NEXT) | instid1(VALU_DEP_1)
	v_add3_u32 v5, v0, v5, 0x88fffff
	v_lshrrev_b32_e32 v5, 21, v5
	s_or_saveexec_b32 s3, s3
                                        ; implicit-def: $sgpr4
	s_delay_alu instid0(SALU_CYCLE_1)
	s_xor_b32 exec_lo, exec_lo, s3
	s_cbranch_execnz .LBB145_1117
.LBB145_970:
	s_or_b32 exec_lo, exec_lo, s3
	v_mov_b32_e32 v6, s4
	s_and_saveexec_b32 s3, s2
.LBB145_971:
	v_lshrrev_b32_e32 v6, 24, v0
	s_delay_alu instid0(VALU_DEP_1)
	v_and_or_b32 v6, 0x80, v6, v5
.LBB145_972:
	s_or_b32 exec_lo, exec_lo, s3
.LBB145_973:
	s_delay_alu instid0(SALU_CYCLE_1)
	s_or_b32 exec_lo, exec_lo, s1
	s_mov_b32 s1, 0
	global_store_b8 v[2:3], v6, off
.LBB145_974:
	s_and_b32 vcc_lo, exec_lo, s1
	s_cbranch_vccz .LBB145_984
; %bb.975:
	v_and_b32_e32 v6, 0x7fffffff, v0
	s_mov_b32 s1, exec_lo
                                        ; implicit-def: $vgpr5
	s_delay_alu instid0(VALU_DEP_1)
	v_cmpx_gt_u32_e32 0x43f00000, v6
	s_xor_b32 s1, exec_lo, s1
	s_cbranch_execz .LBB145_981
; %bb.976:
	s_mov_b32 s2, exec_lo
                                        ; implicit-def: $vgpr5
	v_cmpx_lt_u32_e32 0x3c7fffff, v6
	s_xor_b32 s2, exec_lo, s2
; %bb.977:
	v_bfe_u32 v5, v0, 20, 1
	s_delay_alu instid0(VALU_DEP_1) | instskip(NEXT) | instid1(VALU_DEP_1)
	v_add3_u32 v5, v0, v5, 0x407ffff
	v_and_b32_e32 v6, 0xff00000, v5
	v_lshrrev_b32_e32 v5, 20, v5
	s_delay_alu instid0(VALU_DEP_2) | instskip(NEXT) | instid1(VALU_DEP_2)
	v_cmp_ne_u32_e32 vcc_lo, 0x7f00000, v6
	v_cndmask_b32_e32 v5, 0x7e, v5, vcc_lo
; %bb.978:
	s_and_not1_saveexec_b32 s2, s2
; %bb.979:
	v_add_f32_e64 v5, 0x46800000, |v0|
; %bb.980:
	s_or_b32 exec_lo, exec_lo, s2
                                        ; implicit-def: $vgpr6
.LBB145_981:
	s_and_not1_saveexec_b32 s1, s1
; %bb.982:
	v_mov_b32_e32 v5, 0x7f
	v_cmp_lt_u32_e32 vcc_lo, 0x7f800000, v6
	s_delay_alu instid0(VALU_DEP_2)
	v_cndmask_b32_e32 v5, 0x7e, v5, vcc_lo
; %bb.983:
	s_or_b32 exec_lo, exec_lo, s1
	v_lshrrev_b32_e32 v6, 24, v0
	s_delay_alu instid0(VALU_DEP_1)
	v_and_or_b32 v5, 0x80, v6, v5
	global_store_b8 v[2:3], v5, off
.LBB145_984:
	s_mov_b32 s1, 0
.LBB145_985:
	s_delay_alu instid0(SALU_CYCLE_1)
	s_and_not1_b32 vcc_lo, exec_lo, s1
	s_cbranch_vccnz .LBB145_995
; %bb.986:
	v_and_b32_e32 v6, 0x7fffffff, v0
	s_mov_b32 s1, exec_lo
                                        ; implicit-def: $vgpr5
	s_delay_alu instid0(VALU_DEP_1)
	v_cmpx_gt_u32_e32 0x47800000, v6
	s_xor_b32 s1, exec_lo, s1
	s_cbranch_execz .LBB145_992
; %bb.987:
	s_mov_b32 s2, exec_lo
                                        ; implicit-def: $vgpr5
	v_cmpx_lt_u32_e32 0x387fffff, v6
	s_xor_b32 s2, exec_lo, s2
; %bb.988:
	v_bfe_u32 v5, v0, 21, 1
	s_delay_alu instid0(VALU_DEP_1) | instskip(NEXT) | instid1(VALU_DEP_1)
	v_add3_u32 v5, v0, v5, 0x80fffff
	v_lshrrev_b32_e32 v5, 21, v5
; %bb.989:
	s_and_not1_saveexec_b32 s2, s2
; %bb.990:
	v_add_f32_e64 v5, 0x43000000, |v0|
; %bb.991:
	s_or_b32 exec_lo, exec_lo, s2
                                        ; implicit-def: $vgpr6
.LBB145_992:
	s_and_not1_saveexec_b32 s1, s1
; %bb.993:
	v_mov_b32_e32 v5, 0x7f
	v_cmp_lt_u32_e32 vcc_lo, 0x7f800000, v6
	s_delay_alu instid0(VALU_DEP_2)
	v_cndmask_b32_e32 v5, 0x7c, v5, vcc_lo
; %bb.994:
	s_or_b32 exec_lo, exec_lo, s1
	v_lshrrev_b32_e32 v6, 24, v0
	s_delay_alu instid0(VALU_DEP_1)
	v_and_or_b32 v5, 0x80, v6, v5
	global_store_b8 v[2:3], v5, off
.LBB145_995:
	s_mov_b32 s2, 0
	s_mov_b32 s1, -1
.LBB145_996:
	s_and_not1_b32 vcc_lo, exec_lo, s2
	s_cbranch_vccnz .LBB145_1004
; %bb.997:
	v_cmp_lt_i16_e32 vcc_lo, 14, v4
	s_mov_b32 s2, -1
	s_cbranch_vccz .LBB145_1001
; %bb.998:
	v_cmp_eq_u16_e32 vcc_lo, 15, v4
	s_mov_b32 s0, -1
	s_cbranch_vccz .LBB145_1000
; %bb.999:
	v_bfe_u32 v5, v0, 16, 1
	v_cmp_o_f32_e32 vcc_lo, v0, v0
	s_mov_b32 s1, -1
	s_mov_b32 s0, 0
	s_delay_alu instid0(VALU_DEP_2) | instskip(NEXT) | instid1(VALU_DEP_1)
	v_add3_u32 v5, v0, v5, 0x7fff
	v_lshrrev_b32_e32 v5, 16, v5
	s_delay_alu instid0(VALU_DEP_1)
	v_cndmask_b32_e32 v5, 0x7fc0, v5, vcc_lo
	global_store_b16 v[2:3], v5, off
.LBB145_1000:
	s_mov_b32 s2, 0
.LBB145_1001:
	s_delay_alu instid0(SALU_CYCLE_1)
	s_and_b32 vcc_lo, exec_lo, s2
	s_cbranch_vccz .LBB145_1004
; %bb.1002:
	v_cmp_eq_u16_e32 vcc_lo, 11, v4
	s_mov_b32 s0, -1
	s_cbranch_vccz .LBB145_1004
; %bb.1003:
	v_or_b32_e32 v5, v0, v1
	s_mov_b32 s0, 0
	s_mov_b32 s1, -1
	s_delay_alu instid0(VALU_DEP_1) | instskip(NEXT) | instid1(VALU_DEP_1)
	v_and_b32_e32 v5, 0x7fffffff, v5
	v_cmp_ne_u32_e32 vcc_lo, 0, v5
	v_cndmask_b32_e64 v5, 0, 1, vcc_lo
	global_store_b8 v[2:3], v5, off
.LBB145_1004:
.LBB145_1005:
	s_and_not1_b32 vcc_lo, exec_lo, s1
	s_cbranch_vccnz .LBB145_919
.LBB145_1006:
	v_add_nc_u32_e32 v30, 0x80, v30
	s_mov_b32 s1, -1
.LBB145_1007:
	s_and_not1_b32 s2, s46, exec_lo
	s_and_b32 s0, s0, exec_lo
	s_delay_alu instid0(SALU_CYCLE_1)
	s_or_b32 s49, s2, s0
	s_or_not1_b32 s2, s1, exec_lo
.LBB145_1008:
	s_or_b32 exec_lo, exec_lo, s48
	s_mov_b32 s0, 0
	s_mov_b32 s1, 0
                                        ; implicit-def: $vgpr4
                                        ; implicit-def: $vgpr2_vgpr3
                                        ; implicit-def: $vgpr0
	s_and_saveexec_b32 s48, s2
	s_cbranch_execz .LBB145_1100
; %bb.1009:
	v_cmp_gt_i32_e32 vcc_lo, s41, v30
	s_mov_b32 s2, s49
                                        ; implicit-def: $vgpr4
                                        ; implicit-def: $vgpr2_vgpr3
                                        ; implicit-def: $vgpr0
	s_and_saveexec_b32 s41, vcc_lo
	s_cbranch_execz .LBB145_1099
; %bb.1010:
	s_and_not1_b32 vcc_lo, exec_lo, s38
	s_cbranch_vccnz .LBB145_1015
; %bb.1011:
	v_dual_mov_b32 v29, 0 :: v_dual_mov_b32 v2, 0
	s_and_not1_b32 vcc_lo, exec_lo, s43
	s_mov_b32 s4, 0
	s_cbranch_vccnz .LBB145_1020
; %bb.1012:
	v_mov_b32_e32 v29, 0
	s_add_i32 s42, s42, 1
	s_cmp_eq_u32 s36, 2
	s_mov_b32 s2, 0
	s_cbranch_scc1 .LBB145_1016
; %bb.1013:
	v_dual_mov_b32 v2, 0 :: v_dual_mov_b32 v29, 0
	v_mov_b32_e32 v0, v30
	s_and_b32 s2, s42, 28
	s_mov_b32 s3, 0
	s_mov_b64 s[0:1], s[14:15]
.LBB145_1014:                           ; =>This Inner Loop Header: Depth=1
	s_clause 0x1
	s_load_b256 s[52:59], s[0:1], 0x4
	s_load_b128 s[8:11], s[0:1], 0x24
	s_load_b256 s[60:67], s[34:35], 0x0
	s_add_u32 s0, s0, 48
	s_addc_u32 s1, s1, 0
	s_add_i32 s3, s3, 4
	s_add_u32 s34, s34, 32
	s_addc_u32 s35, s35, 0
	s_cmp_eq_u32 s2, s3
	s_waitcnt lgkmcnt(0)
	v_mul_hi_u32 v1, s53, v0
	s_delay_alu instid0(VALU_DEP_1) | instskip(NEXT) | instid1(VALU_DEP_1)
	v_add_nc_u32_e32 v1, v0, v1
	v_lshrrev_b32_e32 v1, s54, v1
	s_delay_alu instid0(VALU_DEP_1) | instskip(SKIP_1) | instid1(VALU_DEP_2)
	v_mul_hi_u32 v3, s56, v1
	v_mul_lo_u32 v5, v1, s52
	v_add_nc_u32_e32 v3, v1, v3
	s_delay_alu instid0(VALU_DEP_2) | instskip(NEXT) | instid1(VALU_DEP_2)
	v_sub_nc_u32_e32 v0, v0, v5
	v_lshrrev_b32_e32 v3, s57, v3
	s_delay_alu instid0(VALU_DEP_2) | instskip(SKIP_1) | instid1(VALU_DEP_3)
	v_mul_lo_u32 v5, v0, s60
	v_mul_lo_u32 v7, v0, s61
	v_mul_hi_u32 v4, s59, v3
	s_delay_alu instid0(VALU_DEP_1) | instskip(NEXT) | instid1(VALU_DEP_1)
	v_add_nc_u32_e32 v4, v3, v4
	v_lshrrev_b32_e32 v4, s8, v4
	s_delay_alu instid0(VALU_DEP_1) | instskip(SKIP_1) | instid1(VALU_DEP_2)
	v_mul_hi_u32 v6, s10, v4
	v_mul_lo_u32 v8, v4, s58
	v_add_nc_u32_e32 v0, v4, v6
	v_mul_lo_u32 v6, v3, s55
	s_delay_alu instid0(VALU_DEP_3) | instskip(NEXT) | instid1(VALU_DEP_3)
	v_sub_nc_u32_e32 v3, v3, v8
	v_lshrrev_b32_e32 v0, s11, v0
	s_delay_alu instid0(VALU_DEP_2) | instskip(SKIP_2) | instid1(VALU_DEP_4)
	v_mul_lo_u32 v8, v3, s64
	v_mul_lo_u32 v3, v3, s65
	v_sub_nc_u32_e32 v1, v1, v6
	v_mul_lo_u32 v9, v0, s9
	s_delay_alu instid0(VALU_DEP_2) | instskip(SKIP_1) | instid1(VALU_DEP_3)
	v_mul_lo_u32 v6, v1, s62
	v_mul_lo_u32 v1, v1, s63
	v_sub_nc_u32_e32 v4, v4, v9
	s_delay_alu instid0(VALU_DEP_3) | instskip(NEXT) | instid1(VALU_DEP_2)
	v_add3_u32 v5, v5, v29, v6
	v_mul_lo_u32 v9, v4, s66
	v_mul_lo_u32 v4, v4, s67
	v_add3_u32 v1, v7, v2, v1
	s_delay_alu instid0(VALU_DEP_3) | instskip(NEXT) | instid1(VALU_DEP_2)
	v_add3_u32 v29, v8, v5, v9
	v_add3_u32 v2, v3, v1, v4
	s_cbranch_scc0 .LBB145_1014
	s_branch .LBB145_1017
.LBB145_1015:
	s_mov_b32 s4, -1
                                        ; implicit-def: $vgpr29
                                        ; implicit-def: $vgpr2
	s_branch .LBB145_1020
.LBB145_1016:
	v_mov_b32_e32 v0, v30
	v_mov_b32_e32 v2, 0
.LBB145_1017:
	s_and_b32 s5, s42, 3
	s_delay_alu instid0(SALU_CYCLE_1)
	s_cmp_eq_u32 s5, 0
	s_cbranch_scc1 .LBB145_1020
; %bb.1018:
	s_lshl_b32 s0, s2, 3
	s_mul_i32 s2, s2, 12
	s_add_u32 s0, s0, s14
	s_addc_u32 s1, s15, 0
	s_add_u32 s0, s0, 0xc4
	s_addc_u32 s1, s1, 0
	s_add_u32 s2, s14, s2
	s_addc_u32 s3, s15, 0
.LBB145_1019:                           ; =>This Inner Loop Header: Depth=1
	s_clause 0x1
	s_load_b64 s[6:7], s[2:3], 0x4
	s_load_b32 s10, s[2:3], 0xc
	s_load_b64 s[8:9], s[0:1], 0x0
	s_add_u32 s2, s2, 12
	s_addc_u32 s3, s3, 0
	s_add_u32 s0, s0, 8
	s_addc_u32 s1, s1, 0
	s_add_i32 s5, s5, -1
	s_delay_alu instid0(SALU_CYCLE_1) | instskip(SKIP_2) | instid1(VALU_DEP_1)
	s_cmp_lg_u32 s5, 0
	s_waitcnt lgkmcnt(0)
	v_mul_hi_u32 v1, s7, v0
	v_add_nc_u32_e32 v1, v0, v1
	s_delay_alu instid0(VALU_DEP_1) | instskip(NEXT) | instid1(VALU_DEP_1)
	v_lshrrev_b32_e32 v1, s10, v1
	v_mul_lo_u32 v3, v1, s6
	s_delay_alu instid0(VALU_DEP_1) | instskip(NEXT) | instid1(VALU_DEP_1)
	v_sub_nc_u32_e32 v0, v0, v3
	v_mad_u64_u32 v[3:4], null, v0, s8, v[29:30]
	s_delay_alu instid0(VALU_DEP_1) | instskip(SKIP_1) | instid1(VALU_DEP_2)
	v_mad_u64_u32 v[4:5], null, v0, s9, v[2:3]
	v_dual_mov_b32 v0, v1 :: v_dual_mov_b32 v29, v3
	v_mov_b32_e32 v2, v4
	s_cbranch_scc1 .LBB145_1019
.LBB145_1020:
	s_and_not1_b32 vcc_lo, exec_lo, s4
	s_cbranch_vccnz .LBB145_1023
; %bb.1021:
	s_waitcnt lgkmcnt(0)
	v_mul_hi_u32 v0, s25, v30
	s_and_not1_b32 vcc_lo, exec_lo, s40
	s_delay_alu instid0(VALU_DEP_1) | instskip(NEXT) | instid1(VALU_DEP_1)
	v_add_nc_u32_e32 v0, v30, v0
	v_lshrrev_b32_e32 v0, s26, v0
	s_delay_alu instid0(VALU_DEP_1) | instskip(NEXT) | instid1(VALU_DEP_1)
	v_mul_lo_u32 v1, v0, s24
	v_sub_nc_u32_e32 v1, v30, v1
	s_delay_alu instid0(VALU_DEP_1)
	v_mul_lo_u32 v29, v1, s20
	v_mul_lo_u32 v2, v1, s21
	s_cbranch_vccnz .LBB145_1023
; %bb.1022:
	v_mul_hi_u32 v1, s28, v0
	s_delay_alu instid0(VALU_DEP_1) | instskip(NEXT) | instid1(VALU_DEP_1)
	v_add_nc_u32_e32 v1, v0, v1
	v_lshrrev_b32_e32 v1, s29, v1
	s_delay_alu instid0(VALU_DEP_1) | instskip(NEXT) | instid1(VALU_DEP_1)
	v_mul_lo_u32 v1, v1, s27
	v_sub_nc_u32_e32 v5, v0, v1
	s_delay_alu instid0(VALU_DEP_1) | instskip(SKIP_1) | instid1(VALU_DEP_1)
	v_mad_u64_u32 v[0:1], null, v5, s22, v[29:30]
	v_mad_u64_u32 v[3:4], null, v5, s23, v[2:3]
	v_dual_mov_b32 v29, v0 :: v_dual_mov_b32 v2, v3
.LBB145_1023:
	s_waitcnt lgkmcnt(0)
	v_dual_mov_b32 v0, s18 :: v_dual_mov_b32 v1, s19
	v_mov_b32_e32 v3, v28
	s_getpc_b64 s[0:1]
	s_add_u32 s0, s0, _ZN2at6native6invokeIZZZNS0_17expm1_kernel_cudaERNS_18TensorIteratorBaseEENKUlvE_clEvENKUlvE2_clEvEUlN3c107complexIfEEE_j15function_traitsIS9_EEENT1_11result_typeERKT_PrKPcPKT0_PKNS6_10ScalarTypeEi@rel32@lo+4
	s_addc_u32 s1, s1, _ZN2at6native6invokeIZZZNS0_17expm1_kernel_cudaERNS_18TensorIteratorBaseEENKUlvE_clEvENKUlvE2_clEvEUlN3c107complexIfEEE_j15function_traitsIS9_EEENT1_11result_typeERKT_PrKPcPKT0_PKNS6_10ScalarTypeEi@rel32@hi+12
	s_delay_alu instid0(SALU_CYCLE_1) | instskip(SKIP_2) | instid1(VALU_DEP_1)
	s_swappc_b64 s[30:31], s[0:1]
	v_and_b32_e32 v4, 0xff, v31
	v_add_co_u32 v2, s0, s16, v29
	v_add_co_ci_u32_e64 v3, null, s17, 0, s0
	s_delay_alu instid0(VALU_DEP_3)
	v_cmp_gt_i16_e32 vcc_lo, 11, v4
	s_mov_b32 s2, 0
	s_mov_b32 s1, -1
	s_mov_b32 s0, s49
	s_cbranch_vccnz .LBB145_1098
; %bb.1024:
	v_cmp_lt_i16_e32 vcc_lo, 25, v4
	s_mov_b32 s0, s49
	s_cbranch_vccz .LBB145_1057
; %bb.1025:
	v_cmp_lt_i16_e32 vcc_lo, 28, v4
	s_mov_b32 s0, s49
	s_cbranch_vccz .LBB145_1041
	;; [unrolled: 4-line block ×4, first 2 shown]
; %bb.1028:
	v_cmp_eq_u16_e32 vcc_lo, 46, v4
	s_mov_b32 s0, -1
	s_cbranch_vccz .LBB145_1030
; %bb.1029:
	v_bfe_u32 v5, v1, 16, 1
	v_bfe_u32 v6, v0, 16, 1
	v_cmp_o_f32_e32 vcc_lo, v1, v1
	s_mov_b32 s0, 0
	s_delay_alu instid0(VALU_DEP_3) | instskip(NEXT) | instid1(VALU_DEP_3)
	v_add3_u32 v5, v1, v5, 0x7fff
	v_add3_u32 v6, v0, v6, 0x7fff
	s_delay_alu instid0(VALU_DEP_2) | instskip(NEXT) | instid1(VALU_DEP_2)
	v_and_b32_e32 v5, 0xffff0000, v5
	v_lshrrev_b32_e32 v6, 16, v6
	s_delay_alu instid0(VALU_DEP_2) | instskip(SKIP_1) | instid1(VALU_DEP_3)
	v_cndmask_b32_e32 v5, 0x7fc00000, v5, vcc_lo
	v_cmp_o_f32_e32 vcc_lo, v0, v0
	v_cndmask_b32_e32 v6, 0x7fc0, v6, vcc_lo
	s_delay_alu instid0(VALU_DEP_1)
	v_or_b32_e32 v5, v5, v6
	global_store_b32 v[2:3], v5, off
.LBB145_1030:
	s_mov_b32 s1, 0
.LBB145_1031:
	s_delay_alu instid0(SALU_CYCLE_1)
	s_and_b32 vcc_lo, exec_lo, s1
	s_cbranch_vccz .LBB145_1036
; %bb.1032:
	v_cmp_eq_u16_e32 vcc_lo, 44, v4
	s_mov_b32 s0, -1
	s_cbranch_vccz .LBB145_1036
; %bb.1033:
	v_bfe_u32 v6, v0, 23, 8
	v_mov_b32_e32 v5, 0xff
	s_mov_b32 s1, exec_lo
	s_delay_alu instid0(VALU_DEP_2)
	v_cmpx_ne_u32_e32 0xff, v6
; %bb.1034:
	v_and_b32_e32 v5, 0x400000, v0
	v_and_or_b32 v6, 0x3fffff, v0, v6
	s_delay_alu instid0(VALU_DEP_2) | instskip(NEXT) | instid1(VALU_DEP_2)
	v_cmp_ne_u32_e32 vcc_lo, 0, v5
	v_cmp_ne_u32_e64 s0, 0, v6
	v_lshrrev_b32_e32 v5, 23, v0
	s_delay_alu instid0(VALU_DEP_2) | instskip(NEXT) | instid1(SALU_CYCLE_1)
	s_and_b32 s0, vcc_lo, s0
	v_cndmask_b32_e64 v6, 0, 1, s0
	s_delay_alu instid0(VALU_DEP_1)
	v_add_nc_u32_e32 v5, v5, v6
; %bb.1035:
	s_or_b32 exec_lo, exec_lo, s1
	s_mov_b32 s0, 0
	global_store_b8 v[2:3], v5, off
.LBB145_1036:
	s_mov_b32 s1, 0
.LBB145_1037:
	s_delay_alu instid0(SALU_CYCLE_1)
	s_and_b32 vcc_lo, exec_lo, s1
	s_cbranch_vccz .LBB145_1040
; %bb.1038:
	v_cmp_eq_u16_e32 vcc_lo, 29, v4
	s_mov_b32 s0, -1
	s_cbranch_vccz .LBB145_1040
; %bb.1039:
	v_trunc_f32_e32 v5, v0
	s_mov_b32 s0, 0
	s_delay_alu instid0(VALU_DEP_1) | instskip(NEXT) | instid1(VALU_DEP_1)
	v_mul_f32_e32 v6, 0x2f800000, v5
	v_floor_f32_e32 v6, v6
	s_delay_alu instid0(VALU_DEP_1) | instskip(SKIP_1) | instid1(VALU_DEP_2)
	v_fmamk_f32 v5, v6, 0xcf800000, v5
	v_cvt_u32_f32_e32 v6, v6
	v_cvt_u32_f32_e32 v5, v5
	global_store_b64 v[2:3], v[5:6], off
.LBB145_1040:
	s_mov_b32 s1, 0
.LBB145_1041:
	s_delay_alu instid0(SALU_CYCLE_1)
	s_and_b32 vcc_lo, exec_lo, s1
	s_cbranch_vccz .LBB145_1056
; %bb.1042:
	v_cmp_gt_i16_e32 vcc_lo, 27, v4
	s_mov_b32 s1, -1
	s_cbranch_vccnz .LBB145_1048
; %bb.1043:
	v_cmp_lt_i16_e32 vcc_lo, 27, v4
	s_cbranch_vccz .LBB145_1045
; %bb.1044:
	v_cvt_u32_f32_e32 v5, v0
	s_mov_b32 s1, 0
	global_store_b32 v[2:3], v5, off
.LBB145_1045:
	s_and_not1_b32 vcc_lo, exec_lo, s1
	s_cbranch_vccnz .LBB145_1047
; %bb.1046:
	v_cvt_u32_f32_e32 v5, v0
	global_store_b16 v[2:3], v5, off
.LBB145_1047:
	s_mov_b32 s1, 0
.LBB145_1048:
	s_delay_alu instid0(SALU_CYCLE_1)
	s_and_not1_b32 vcc_lo, exec_lo, s1
	s_cbranch_vccnz .LBB145_1056
; %bb.1049:
	v_and_b32_e32 v5, 0x7fffffff, v0
	v_mov_b32_e32 v6, 0x80
	s_mov_b32 s1, exec_lo
	s_delay_alu instid0(VALU_DEP_2)
	v_cmpx_gt_u32_e32 0x43800000, v5
	s_cbranch_execz .LBB145_1055
; %bb.1050:
	v_cmp_lt_u32_e32 vcc_lo, 0x3bffffff, v5
                                        ; implicit-def: $vgpr5
	s_and_saveexec_b32 s3, vcc_lo
	s_delay_alu instid0(SALU_CYCLE_1)
	s_xor_b32 s3, exec_lo, s3
	s_cbranch_execz .LBB145_1118
; %bb.1051:
	v_bfe_u32 v5, v0, 20, 1
	s_mov_b32 s2, exec_lo
	s_delay_alu instid0(VALU_DEP_1) | instskip(NEXT) | instid1(VALU_DEP_1)
	v_add3_u32 v5, v0, v5, 0x487ffff
	v_lshrrev_b32_e32 v5, 20, v5
	s_or_saveexec_b32 s3, s3
                                        ; implicit-def: $sgpr4
	s_delay_alu instid0(SALU_CYCLE_1)
	s_xor_b32 exec_lo, exec_lo, s3
	s_cbranch_execnz .LBB145_1119
.LBB145_1052:
	s_or_b32 exec_lo, exec_lo, s3
	v_mov_b32_e32 v6, s4
	s_and_saveexec_b32 s3, s2
.LBB145_1053:
	v_lshrrev_b32_e32 v6, 24, v0
	s_delay_alu instid0(VALU_DEP_1)
	v_and_or_b32 v6, 0x80, v6, v5
.LBB145_1054:
	s_or_b32 exec_lo, exec_lo, s3
.LBB145_1055:
	s_delay_alu instid0(SALU_CYCLE_1)
	s_or_b32 exec_lo, exec_lo, s1
	global_store_b8 v[2:3], v6, off
.LBB145_1056:
	s_mov_b32 s1, 0
.LBB145_1057:
	s_delay_alu instid0(SALU_CYCLE_1)
	s_and_b32 vcc_lo, exec_lo, s1
	s_mov_b32 s1, 0
	s_cbranch_vccz .LBB145_1097
; %bb.1058:
	v_cmp_lt_i16_e32 vcc_lo, 22, v4
	s_mov_b32 s2, -1
	s_cbranch_vccz .LBB145_1090
; %bb.1059:
	v_cmp_gt_i16_e32 vcc_lo, 24, v4
	s_cbranch_vccnz .LBB145_1079
; %bb.1060:
	v_cmp_lt_i16_e32 vcc_lo, 24, v4
	s_cbranch_vccz .LBB145_1068
; %bb.1061:
	v_and_b32_e32 v5, 0x7fffffff, v0
	v_mov_b32_e32 v6, 0x80
	s_mov_b32 s2, exec_lo
	s_delay_alu instid0(VALU_DEP_2)
	v_cmpx_gt_u32_e32 0x47800000, v5
	s_cbranch_execz .LBB145_1067
; %bb.1062:
	v_cmp_lt_u32_e32 vcc_lo, 0x37ffffff, v5
	s_mov_b32 s3, 0
                                        ; implicit-def: $vgpr5
	s_and_saveexec_b32 s4, vcc_lo
	s_delay_alu instid0(SALU_CYCLE_1)
	s_xor_b32 s4, exec_lo, s4
	s_cbranch_execz .LBB145_1124
; %bb.1063:
	v_bfe_u32 v5, v0, 21, 1
	s_mov_b32 s3, exec_lo
	s_delay_alu instid0(VALU_DEP_1) | instskip(NEXT) | instid1(VALU_DEP_1)
	v_add3_u32 v5, v0, v5, 0x88fffff
	v_lshrrev_b32_e32 v5, 21, v5
	s_or_saveexec_b32 s4, s4
                                        ; implicit-def: $sgpr5
	s_delay_alu instid0(SALU_CYCLE_1)
	s_xor_b32 exec_lo, exec_lo, s4
	s_cbranch_execnz .LBB145_1125
.LBB145_1064:
	s_or_b32 exec_lo, exec_lo, s4
	v_mov_b32_e32 v6, s5
	s_and_saveexec_b32 s4, s3
.LBB145_1065:
	v_lshrrev_b32_e32 v6, 24, v0
	s_delay_alu instid0(VALU_DEP_1)
	v_and_or_b32 v6, 0x80, v6, v5
.LBB145_1066:
	s_or_b32 exec_lo, exec_lo, s4
.LBB145_1067:
	s_delay_alu instid0(SALU_CYCLE_1)
	s_or_b32 exec_lo, exec_lo, s2
	s_mov_b32 s2, 0
	global_store_b8 v[2:3], v6, off
.LBB145_1068:
	s_and_b32 vcc_lo, exec_lo, s2
	s_cbranch_vccz .LBB145_1078
; %bb.1069:
	v_and_b32_e32 v6, 0x7fffffff, v0
	s_mov_b32 s2, exec_lo
                                        ; implicit-def: $vgpr5
	s_delay_alu instid0(VALU_DEP_1)
	v_cmpx_gt_u32_e32 0x43f00000, v6
	s_xor_b32 s2, exec_lo, s2
	s_cbranch_execz .LBB145_1075
; %bb.1070:
	s_mov_b32 s3, exec_lo
                                        ; implicit-def: $vgpr5
	v_cmpx_lt_u32_e32 0x3c7fffff, v6
	s_xor_b32 s3, exec_lo, s3
; %bb.1071:
	v_bfe_u32 v5, v0, 20, 1
	s_delay_alu instid0(VALU_DEP_1) | instskip(NEXT) | instid1(VALU_DEP_1)
	v_add3_u32 v5, v0, v5, 0x407ffff
	v_and_b32_e32 v6, 0xff00000, v5
	v_lshrrev_b32_e32 v5, 20, v5
	s_delay_alu instid0(VALU_DEP_2) | instskip(NEXT) | instid1(VALU_DEP_2)
	v_cmp_ne_u32_e32 vcc_lo, 0x7f00000, v6
	v_cndmask_b32_e32 v5, 0x7e, v5, vcc_lo
; %bb.1072:
	s_and_not1_saveexec_b32 s3, s3
; %bb.1073:
	v_add_f32_e64 v5, 0x46800000, |v0|
; %bb.1074:
	s_or_b32 exec_lo, exec_lo, s3
                                        ; implicit-def: $vgpr6
.LBB145_1075:
	s_and_not1_saveexec_b32 s2, s2
; %bb.1076:
	v_mov_b32_e32 v5, 0x7f
	v_cmp_lt_u32_e32 vcc_lo, 0x7f800000, v6
	s_delay_alu instid0(VALU_DEP_2)
	v_cndmask_b32_e32 v5, 0x7e, v5, vcc_lo
; %bb.1077:
	s_or_b32 exec_lo, exec_lo, s2
	v_lshrrev_b32_e32 v6, 24, v0
	s_delay_alu instid0(VALU_DEP_1)
	v_and_or_b32 v5, 0x80, v6, v5
	global_store_b8 v[2:3], v5, off
.LBB145_1078:
	s_mov_b32 s2, 0
.LBB145_1079:
	s_delay_alu instid0(SALU_CYCLE_1)
	s_and_not1_b32 vcc_lo, exec_lo, s2
	s_cbranch_vccnz .LBB145_1089
; %bb.1080:
	v_and_b32_e32 v6, 0x7fffffff, v0
	s_mov_b32 s2, exec_lo
                                        ; implicit-def: $vgpr5
	s_delay_alu instid0(VALU_DEP_1)
	v_cmpx_gt_u32_e32 0x47800000, v6
	s_xor_b32 s2, exec_lo, s2
	s_cbranch_execz .LBB145_1086
; %bb.1081:
	s_mov_b32 s3, exec_lo
                                        ; implicit-def: $vgpr5
	v_cmpx_lt_u32_e32 0x387fffff, v6
	s_xor_b32 s3, exec_lo, s3
; %bb.1082:
	v_bfe_u32 v5, v0, 21, 1
	s_delay_alu instid0(VALU_DEP_1) | instskip(NEXT) | instid1(VALU_DEP_1)
	v_add3_u32 v5, v0, v5, 0x80fffff
	v_lshrrev_b32_e32 v5, 21, v5
; %bb.1083:
	s_and_not1_saveexec_b32 s3, s3
; %bb.1084:
	v_add_f32_e64 v5, 0x43000000, |v0|
; %bb.1085:
	s_or_b32 exec_lo, exec_lo, s3
                                        ; implicit-def: $vgpr6
.LBB145_1086:
	s_and_not1_saveexec_b32 s2, s2
; %bb.1087:
	v_mov_b32_e32 v5, 0x7f
	v_cmp_lt_u32_e32 vcc_lo, 0x7f800000, v6
	s_delay_alu instid0(VALU_DEP_2)
	v_cndmask_b32_e32 v5, 0x7c, v5, vcc_lo
; %bb.1088:
	s_or_b32 exec_lo, exec_lo, s2
	v_lshrrev_b32_e32 v6, 24, v0
	s_delay_alu instid0(VALU_DEP_1)
	v_and_or_b32 v5, 0x80, v6, v5
	global_store_b8 v[2:3], v5, off
.LBB145_1089:
	s_mov_b32 s2, 0
.LBB145_1090:
	s_delay_alu instid0(SALU_CYCLE_1)
	s_and_not1_b32 vcc_lo, exec_lo, s2
	s_mov_b32 s2, 0
	s_cbranch_vccnz .LBB145_1098
; %bb.1091:
	v_cmp_lt_i16_e32 vcc_lo, 14, v4
	s_mov_b32 s2, -1
	s_cbranch_vccz .LBB145_1095
; %bb.1092:
	v_cmp_eq_u16_e32 vcc_lo, 15, v4
	s_mov_b32 s0, -1
	s_cbranch_vccz .LBB145_1094
; %bb.1093:
	v_bfe_u32 v5, v0, 16, 1
	v_cmp_o_f32_e32 vcc_lo, v0, v0
	s_mov_b32 s0, 0
	s_delay_alu instid0(VALU_DEP_2) | instskip(NEXT) | instid1(VALU_DEP_1)
	v_add3_u32 v5, v0, v5, 0x7fff
	v_lshrrev_b32_e32 v5, 16, v5
	s_delay_alu instid0(VALU_DEP_1)
	v_cndmask_b32_e32 v5, 0x7fc0, v5, vcc_lo
	global_store_b16 v[2:3], v5, off
.LBB145_1094:
	s_mov_b32 s2, 0
.LBB145_1095:
	s_delay_alu instid0(SALU_CYCLE_1)
	s_and_b32 vcc_lo, exec_lo, s2
	s_mov_b32 s2, 0
	s_cbranch_vccz .LBB145_1098
; %bb.1096:
	v_cmp_ne_u16_e32 vcc_lo, 11, v4
	s_and_not1_b32 s0, s0, exec_lo
	s_mov_b32 s2, -1
	s_and_b32 s3, vcc_lo, exec_lo
	s_delay_alu instid0(SALU_CYCLE_1)
	s_or_b32 s0, s0, s3
	s_branch .LBB145_1098
.LBB145_1097:
	s_mov_b32 s2, 0
.LBB145_1098:
	s_and_not1_b32 s3, s49, exec_lo
	s_and_b32 s4, s0, exec_lo
	s_and_b32 s1, s1, exec_lo
	;; [unrolled: 1-line block ×3, first 2 shown]
	s_or_b32 s2, s3, s4
.LBB145_1099:
	s_or_b32 exec_lo, exec_lo, s41
	s_delay_alu instid0(SALU_CYCLE_1)
	s_and_not1_b32 s3, s49, exec_lo
	s_and_b32 s2, s2, exec_lo
	s_and_b32 s1, s1, exec_lo
	;; [unrolled: 1-line block ×3, first 2 shown]
	s_or_b32 s49, s3, s2
.LBB145_1100:
	s_or_b32 exec_lo, exec_lo, s48
	s_delay_alu instid0(SALU_CYCLE_1)
	s_and_not1_b32 s2, s46, exec_lo
	s_and_b32 s3, s49, exec_lo
	s_and_b32 s1, s1, exec_lo
	;; [unrolled: 1-line block ×3, first 2 shown]
	s_or_b32 s46, s2, s3
.LBB145_1101:
	s_or_b32 exec_lo, exec_lo, s47
	s_delay_alu instid0(SALU_CYCLE_1)
	s_and_not1_b32 s2, s44, exec_lo
	s_and_b32 s3, s46, exec_lo
	s_and_b32 s1, s1, exec_lo
	;; [unrolled: 1-line block ×3, first 2 shown]
	s_or_b32 s44, s2, s3
	s_or_b32 exec_lo, exec_lo, s45
	s_mov_b32 s0, 0
	s_and_saveexec_b32 s2, s44
	s_cbranch_execz .LBB145_142
.LBB145_1102:
	s_cbranch_execnz .LBB145_1104
; %bb.1103:
	s_mov_b32 s0, exec_lo
	s_and_not1_b32 s46, s46, exec_lo
	s_or_b32 exec_lo, exec_lo, s2
	s_and_saveexec_b32 s2, s46
	s_delay_alu instid0(SALU_CYCLE_1)
	s_xor_b32 s2, exec_lo, s2
	s_cbranch_execnz .LBB145_143
	s_branch .LBB145_144
.LBB145_1104:
	s_trap 2
	s_sendmsg_rtn_b32 s0, sendmsg(MSG_RTN_GET_DOORBELL)
	s_mov_b32 ttmp2, m0
	s_waitcnt lgkmcnt(0)
	s_and_b32 s0, s0, 0x3ff
	s_delay_alu instid0(SALU_CYCLE_1) | instskip(NEXT) | instid1(SALU_CYCLE_1)
	s_bitset1_b32 s0, 10
	s_mov_b32 m0, s0
	s_sendmsg sendmsg(MSG_INTERRUPT)
	s_mov_b32 m0, ttmp2
.LBB145_1105:                           ; =>This Inner Loop Header: Depth=1
	s_sethalt 5
	s_branch .LBB145_1105
.LBB145_1106:
	s_or_saveexec_b32 s3, s3
                                        ; implicit-def: $sgpr4
	s_delay_alu instid0(SALU_CYCLE_1)
	s_xor_b32 exec_lo, exec_lo, s3
	s_cbranch_execz .LBB145_957
.LBB145_1107:
	v_add_f32_e64 v5, 0x46000000, |v0|
	s_and_not1_b32 s2, s2, exec_lo
	s_mov_b32 s4, 0
	s_delay_alu instid0(VALU_DEP_1) | instskip(NEXT) | instid1(VALU_DEP_1)
	v_and_b32_e32 v5, 0xff, v5
	v_cmp_ne_u32_e32 vcc_lo, 0, v5
	s_and_b32 s5, vcc_lo, exec_lo
	s_delay_alu instid0(SALU_CYCLE_1)
	s_or_b32 s2, s2, s5
	s_or_b32 exec_lo, exec_lo, s3
	v_mov_b32_e32 v6, s4
	s_and_saveexec_b32 s3, s2
	s_cbranch_execnz .LBB145_958
	s_branch .LBB145_959
.LBB145_1108:
	s_or_saveexec_b32 s4, s4
                                        ; implicit-def: $sgpr5
	s_delay_alu instid0(SALU_CYCLE_1)
	s_xor_b32 exec_lo, exec_lo, s4
	s_cbranch_execz .LBB145_513
.LBB145_1109:
	v_add_f32_e64 v5, 0x42800000, |v28|
	s_and_not1_b32 s3, s3, exec_lo
	s_mov_b32 s5, 0
	s_delay_alu instid0(VALU_DEP_1) | instskip(NEXT) | instid1(VALU_DEP_1)
	v_and_b32_e32 v5, 0xff, v5
	v_cmp_ne_u32_e32 vcc_lo, 0, v5
	s_and_b32 s6, vcc_lo, exec_lo
	s_delay_alu instid0(SALU_CYCLE_1)
	s_or_b32 s3, s3, s6
	s_or_b32 exec_lo, exec_lo, s4
	v_mov_b32_e32 v6, s5
	s_and_saveexec_b32 s4, s3
	s_cbranch_execnz .LBB145_514
	s_branch .LBB145_515
.LBB145_1110:
	s_or_saveexec_b32 s5, s5
                                        ; implicit-def: $sgpr6
	s_delay_alu instid0(SALU_CYCLE_1)
	s_xor_b32 exec_lo, exec_lo, s5
	s_cbranch_execz .LBB145_619
.LBB145_1111:
	v_add_f32_e64 v5, 0x46000000, |v0|
	s_and_not1_b32 s4, s4, exec_lo
	s_mov_b32 s6, 0
	s_delay_alu instid0(VALU_DEP_1) | instskip(NEXT) | instid1(VALU_DEP_1)
	v_and_b32_e32 v5, 0xff, v5
	v_cmp_ne_u32_e32 vcc_lo, 0, v5
	s_and_b32 s7, vcc_lo, exec_lo
	s_delay_alu instid0(SALU_CYCLE_1)
	s_or_b32 s4, s4, s7
	s_or_b32 exec_lo, exec_lo, s5
	v_mov_b32_e32 v6, s6
	s_and_saveexec_b32 s5, s4
	s_cbranch_execnz .LBB145_620
	s_branch .LBB145_621
.LBB145_1112:
	s_trap 2
	s_sendmsg_rtn_b32 s0, sendmsg(MSG_RTN_GET_DOORBELL)
	s_mov_b32 ttmp2, m0
	s_waitcnt lgkmcnt(0)
	s_and_b32 s0, s0, 0x3ff
	s_delay_alu instid0(SALU_CYCLE_1) | instskip(NEXT) | instid1(SALU_CYCLE_1)
	s_bitset1_b32 s0, 10
	s_mov_b32 m0, s0
	s_sendmsg sendmsg(MSG_INTERRUPT)
	s_mov_b32 m0, ttmp2
.LBB145_1113:                           ; =>This Inner Loop Header: Depth=1
	s_sethalt 5
	s_branch .LBB145_1113
.LBB145_1114:
	s_cbranch_execnz .LBB145_1122
; %bb.1115:
	s_mov_b32 s2, 0
	s_or_b32 s1, s1, exec_lo
	s_branch .LBB145_665
.LBB145_1116:
	s_or_saveexec_b32 s3, s3
                                        ; implicit-def: $sgpr4
	s_delay_alu instid0(SALU_CYCLE_1)
	s_xor_b32 exec_lo, exec_lo, s3
	s_cbranch_execz .LBB145_970
.LBB145_1117:
	v_add_f32_e64 v5, 0x42800000, |v0|
	s_and_not1_b32 s2, s2, exec_lo
	s_mov_b32 s4, 0
	s_delay_alu instid0(VALU_DEP_1) | instskip(NEXT) | instid1(VALU_DEP_1)
	v_and_b32_e32 v5, 0xff, v5
	v_cmp_ne_u32_e32 vcc_lo, 0, v5
	s_and_b32 s5, vcc_lo, exec_lo
	s_delay_alu instid0(SALU_CYCLE_1)
	s_or_b32 s2, s2, s5
	s_or_b32 exec_lo, exec_lo, s3
	v_mov_b32_e32 v6, s4
	s_and_saveexec_b32 s3, s2
	s_cbranch_execnz .LBB145_971
	s_branch .LBB145_972
.LBB145_1118:
	s_or_saveexec_b32 s3, s3
                                        ; implicit-def: $sgpr4
	s_delay_alu instid0(SALU_CYCLE_1)
	s_xor_b32 exec_lo, exec_lo, s3
	s_cbranch_execz .LBB145_1052
.LBB145_1119:
	v_add_f32_e64 v5, 0x46000000, |v0|
	s_and_not1_b32 s2, s2, exec_lo
	s_mov_b32 s4, 0
	s_delay_alu instid0(VALU_DEP_1) | instskip(NEXT) | instid1(VALU_DEP_1)
	v_and_b32_e32 v5, 0xff, v5
	v_cmp_ne_u32_e32 vcc_lo, 0, v5
	s_and_b32 s5, vcc_lo, exec_lo
	s_delay_alu instid0(SALU_CYCLE_1)
	s_or_b32 s2, s2, s5
	s_or_b32 exec_lo, exec_lo, s3
	v_mov_b32_e32 v6, s4
	s_and_saveexec_b32 s3, s2
	s_cbranch_execnz .LBB145_1053
	s_branch .LBB145_1054
.LBB145_1120:
	s_or_saveexec_b32 s4, s4
                                        ; implicit-def: $sgpr5
	s_delay_alu instid0(SALU_CYCLE_1)
	s_xor_b32 exec_lo, exec_lo, s4
	s_cbranch_execz .LBB145_631
.LBB145_1121:
	v_add_f32_e64 v5, 0x42800000, |v0|
	s_and_not1_b32 s3, s3, exec_lo
	s_mov_b32 s5, 0
	s_delay_alu instid0(VALU_DEP_1) | instskip(NEXT) | instid1(VALU_DEP_1)
	v_and_b32_e32 v5, 0xff, v5
	v_cmp_ne_u32_e32 vcc_lo, 0, v5
	s_and_b32 s6, vcc_lo, exec_lo
	s_delay_alu instid0(SALU_CYCLE_1)
	s_or_b32 s3, s3, s6
	s_or_b32 exec_lo, exec_lo, s4
	v_mov_b32_e32 v6, s5
	s_and_saveexec_b32 s4, s3
	s_cbranch_execnz .LBB145_632
	s_branch .LBB145_633
.LBB145_1122:
	s_trap 2
	s_sendmsg_rtn_b32 s0, sendmsg(MSG_RTN_GET_DOORBELL)
	s_mov_b32 ttmp2, m0
	s_waitcnt lgkmcnt(0)
	s_and_b32 s0, s0, 0x3ff
	s_delay_alu instid0(SALU_CYCLE_1) | instskip(NEXT) | instid1(SALU_CYCLE_1)
	s_bitset1_b32 s0, 10
	s_mov_b32 m0, s0
	s_sendmsg sendmsg(MSG_INTERRUPT)
	s_mov_b32 m0, ttmp2
.LBB145_1123:                           ; =>This Inner Loop Header: Depth=1
	s_sethalt 5
	s_branch .LBB145_1123
.LBB145_1124:
	s_or_saveexec_b32 s4, s4
                                        ; implicit-def: $sgpr5
	s_delay_alu instid0(SALU_CYCLE_1)
	s_xor_b32 exec_lo, exec_lo, s4
	s_cbranch_execz .LBB145_1064
.LBB145_1125:
	v_add_f32_e64 v5, 0x42800000, |v0|
	s_and_not1_b32 s3, s3, exec_lo
	s_mov_b32 s5, 0
	s_delay_alu instid0(VALU_DEP_1) | instskip(NEXT) | instid1(VALU_DEP_1)
	v_and_b32_e32 v5, 0xff, v5
	v_cmp_ne_u32_e32 vcc_lo, 0, v5
	s_and_b32 s6, vcc_lo, exec_lo
	s_delay_alu instid0(SALU_CYCLE_1)
	s_or_b32 s3, s3, s6
	s_or_b32 exec_lo, exec_lo, s4
	v_mov_b32_e32 v6, s5
	s_and_saveexec_b32 s4, s3
	s_cbranch_execnz .LBB145_1065
	s_branch .LBB145_1066
	.section	.rodata,"a",@progbits
	.p2align	6, 0x0
	.amdhsa_kernel _ZN2at6native32elementwise_kernel_manual_unrollILi128ELi4EZNS0_15gpu_kernel_implIZZZNS0_17expm1_kernel_cudaERNS_18TensorIteratorBaseEENKUlvE_clEvENKUlvE2_clEvEUlN3c107complexIfEEE_EEvS4_RKT_EUlibE0_EEviT1_
		.amdhsa_group_segment_fixed_size 0
		.amdhsa_private_segment_fixed_size 0
		.amdhsa_kernarg_size 360
		.amdhsa_user_sgpr_count 15
		.amdhsa_user_sgpr_dispatch_ptr 0
		.amdhsa_user_sgpr_queue_ptr 0
		.amdhsa_user_sgpr_kernarg_segment_ptr 1
		.amdhsa_user_sgpr_dispatch_id 0
		.amdhsa_user_sgpr_private_segment_size 0
		.amdhsa_wavefront_size32 1
		.amdhsa_uses_dynamic_stack 0
		.amdhsa_enable_private_segment 0
		.amdhsa_system_sgpr_workgroup_id_x 1
		.amdhsa_system_sgpr_workgroup_id_y 0
		.amdhsa_system_sgpr_workgroup_id_z 0
		.amdhsa_system_sgpr_workgroup_info 0
		.amdhsa_system_vgpr_workitem_id 0
		.amdhsa_next_free_vgpr 40
		.amdhsa_next_free_sgpr 68
		.amdhsa_reserve_vcc 1
		.amdhsa_float_round_mode_32 0
		.amdhsa_float_round_mode_16_64 0
		.amdhsa_float_denorm_mode_32 3
		.amdhsa_float_denorm_mode_16_64 3
		.amdhsa_dx10_clamp 1
		.amdhsa_ieee_mode 1
		.amdhsa_fp16_overflow 0
		.amdhsa_workgroup_processor_mode 1
		.amdhsa_memory_ordered 1
		.amdhsa_forward_progress 0
		.amdhsa_shared_vgpr_count 0
		.amdhsa_exception_fp_ieee_invalid_op 0
		.amdhsa_exception_fp_denorm_src 0
		.amdhsa_exception_fp_ieee_div_zero 0
		.amdhsa_exception_fp_ieee_overflow 0
		.amdhsa_exception_fp_ieee_underflow 0
		.amdhsa_exception_fp_ieee_inexact 0
		.amdhsa_exception_int_div_zero 0
	.end_amdhsa_kernel
	.section	.text._ZN2at6native32elementwise_kernel_manual_unrollILi128ELi4EZNS0_15gpu_kernel_implIZZZNS0_17expm1_kernel_cudaERNS_18TensorIteratorBaseEENKUlvE_clEvENKUlvE2_clEvEUlN3c107complexIfEEE_EEvS4_RKT_EUlibE0_EEviT1_,"axG",@progbits,_ZN2at6native32elementwise_kernel_manual_unrollILi128ELi4EZNS0_15gpu_kernel_implIZZZNS0_17expm1_kernel_cudaERNS_18TensorIteratorBaseEENKUlvE_clEvENKUlvE2_clEvEUlN3c107complexIfEEE_EEvS4_RKT_EUlibE0_EEviT1_,comdat
.Lfunc_end145:
	.size	_ZN2at6native32elementwise_kernel_manual_unrollILi128ELi4EZNS0_15gpu_kernel_implIZZZNS0_17expm1_kernel_cudaERNS_18TensorIteratorBaseEENKUlvE_clEvENKUlvE2_clEvEUlN3c107complexIfEEE_EEvS4_RKT_EUlibE0_EEviT1_, .Lfunc_end145-_ZN2at6native32elementwise_kernel_manual_unrollILi128ELi4EZNS0_15gpu_kernel_implIZZZNS0_17expm1_kernel_cudaERNS_18TensorIteratorBaseEENKUlvE_clEvENKUlvE2_clEvEUlN3c107complexIfEEE_EEvS4_RKT_EUlibE0_EEviT1_
                                        ; -- End function
	.section	.AMDGPU.csdata,"",@progbits
; Kernel info:
; codeLenInByte = 25032
; NumSgprs: 70
; NumVgprs: 40
; ScratchSize: 0
; MemoryBound: 0
; FloatMode: 240
; IeeeMode: 1
; LDSByteSize: 0 bytes/workgroup (compile time only)
; SGPRBlocks: 8
; VGPRBlocks: 4
; NumSGPRsForWavesPerEU: 70
; NumVGPRsForWavesPerEU: 40
; Occupancy: 16
; WaveLimiterHint : 1
; COMPUTE_PGM_RSRC2:SCRATCH_EN: 0
; COMPUTE_PGM_RSRC2:USER_SGPR: 15
; COMPUTE_PGM_RSRC2:TRAP_HANDLER: 0
; COMPUTE_PGM_RSRC2:TGID_X_EN: 1
; COMPUTE_PGM_RSRC2:TGID_Y_EN: 0
; COMPUTE_PGM_RSRC2:TGID_Z_EN: 0
; COMPUTE_PGM_RSRC2:TIDIG_COMP_CNT: 0
	.section	.text._ZN2at6native29vectorized_elementwise_kernelILi16EZZZNS0_17expm1_kernel_cudaERNS_18TensorIteratorBaseEENKUlvE_clEvENKUlvE3_clEvEUlN3c108BFloat16EE_St5arrayIPcLm2EEEEviT0_T1_,"axG",@progbits,_ZN2at6native29vectorized_elementwise_kernelILi16EZZZNS0_17expm1_kernel_cudaERNS_18TensorIteratorBaseEENKUlvE_clEvENKUlvE3_clEvEUlN3c108BFloat16EE_St5arrayIPcLm2EEEEviT0_T1_,comdat
	.globl	_ZN2at6native29vectorized_elementwise_kernelILi16EZZZNS0_17expm1_kernel_cudaERNS_18TensorIteratorBaseEENKUlvE_clEvENKUlvE3_clEvEUlN3c108BFloat16EE_St5arrayIPcLm2EEEEviT0_T1_ ; -- Begin function _ZN2at6native29vectorized_elementwise_kernelILi16EZZZNS0_17expm1_kernel_cudaERNS_18TensorIteratorBaseEENKUlvE_clEvENKUlvE3_clEvEUlN3c108BFloat16EE_St5arrayIPcLm2EEEEviT0_T1_
	.p2align	8
	.type	_ZN2at6native29vectorized_elementwise_kernelILi16EZZZNS0_17expm1_kernel_cudaERNS_18TensorIteratorBaseEENKUlvE_clEvENKUlvE3_clEvEUlN3c108BFloat16EE_St5arrayIPcLm2EEEEviT0_T1_,@function
_ZN2at6native29vectorized_elementwise_kernelILi16EZZZNS0_17expm1_kernel_cudaERNS_18TensorIteratorBaseEENKUlvE_clEvENKUlvE3_clEvEUlN3c108BFloat16EE_St5arrayIPcLm2EEEEviT0_T1_: ; @_ZN2at6native29vectorized_elementwise_kernelILi16EZZZNS0_17expm1_kernel_cudaERNS_18TensorIteratorBaseEENKUlvE_clEvENKUlvE3_clEvEUlN3c108BFloat16EE_St5arrayIPcLm2EEEEviT0_T1_
; %bb.0:
	s_clause 0x1
	s_load_b32 s2, s[0:1], 0x0
	s_load_b128 s[8:11], s[0:1], 0x8
	s_lshl_b32 s12, s15, 11
	s_mov_b32 s0, -1
	s_waitcnt lgkmcnt(0)
	s_sub_i32 s7, s2, s12
	s_delay_alu instid0(SALU_CYCLE_1)
	s_cmpk_gt_i32 s7, 0x7ff
	s_cbranch_scc0 .LBB146_2
; %bb.1:
	s_ashr_i32 s13, s12, 31
	v_lshlrev_b32_e32 v5, 4, v0
	s_lshl_b64 s[14:15], s[12:13], 1
	s_mov_b32 s13, 0x395133b1
	s_add_u32 s0, s10, s14
	s_addc_u32 s1, s11, s15
	global_load_b128 v[1:4], v5, s[0:1]
	s_waitcnt vmcnt(0)
	v_and_b32_e32 v6, 0xffff0000, v1
	v_and_b32_e32 v7, 0xffff0000, v2
	v_lshlrev_b32_e32 v2, 16, v2
	s_delay_alu instid0(VALU_DEP_1) | instskip(NEXT) | instid1(VALU_DEP_1)
	v_dual_mul_f32 v12, 0x3fb8aa3b, v2 :: v_dual_lshlrev_b32 v1, 16, v1
	v_mul_f32_e32 v10, 0x3fb8aa3b, v1
	s_delay_alu instid0(VALU_DEP_2) | instskip(NEXT) | instid1(VALU_DEP_2)
	v_rndne_f32_e32 v12, v12
	v_rndne_f32_e32 v10, v10
	s_delay_alu instid0(VALU_DEP_2) | instskip(NEXT) | instid1(VALU_DEP_2)
	v_cvt_i32_f32_e32 v24, v12
	v_fmamk_f32 v18, v10, 0xbf317218, v1
	v_cvt_i32_f32_e32 v20, v10
	v_cmp_eq_f32_e32 vcc_lo, 0x43000000, v10
	v_cmp_eq_f32_e64 s1, 0x43000000, v12
	s_delay_alu instid0(VALU_DEP_4) | instskip(NEXT) | instid1(VALU_DEP_4)
	v_fmac_f32_e32 v18, 0x3102e308, v10
	v_cndmask_b32_e64 v10, v20, 0x7f, vcc_lo
	s_delay_alu instid0(VALU_DEP_1) | instskip(NEXT) | instid1(VALU_DEP_1)
	v_ldexp_f32 v10, 1.0, v10
	v_add_f32_e32 v35, -1.0, v10
	v_mul_f32_e32 v11, 0x3fb8aa3b, v6
	s_delay_alu instid0(VALU_DEP_1) | instskip(NEXT) | instid1(VALU_DEP_1)
	v_rndne_f32_e32 v11, v11
	v_fmamk_f32 v19, v11, 0xbf317218, v6
	v_cvt_i32_f32_e32 v21, v11
	v_cmp_eq_f32_e64 s0, 0x43000000, v11
	s_delay_alu instid0(VALU_DEP_3) | instskip(NEXT) | instid1(VALU_DEP_2)
	v_fmac_f32_e32 v19, 0x3102e308, v11
	v_cndmask_b32_e64 v11, v21, 0x7f, s0
	s_delay_alu instid0(VALU_DEP_1) | instskip(NEXT) | instid1(VALU_DEP_1)
	v_ldexp_f32 v11, 1.0, v11
	v_add_f32_e32 v34, -1.0, v11
	v_mul_f32_e32 v13, 0x3fb8aa3b, v7
	s_delay_alu instid0(VALU_DEP_1) | instskip(NEXT) | instid1(VALU_DEP_1)
	v_rndne_f32_e32 v13, v13
	v_dual_fmamk_f32 v22, v12, 0xbf317218, v2 :: v_dual_fmamk_f32 v23, v13, 0xbf317218, v7
	v_cvt_i32_f32_e32 v25, v13
	v_cmp_eq_f32_e64 s2, 0x43000000, v13
	s_delay_alu instid0(VALU_DEP_3) | instskip(SKIP_4) | instid1(VALU_DEP_4)
	v_fmac_f32_e32 v22, 0x3102e308, v12
	v_cndmask_b32_e64 v12, v24, 0x7f, s1
	v_fmac_f32_e32 v23, 0x3102e308, v13
	v_dual_fmaak_f32 v20, s13, v18, 0x3ab69700 :: v_dual_fmaak_f32 v21, s13, v19, 0x3ab69700
	v_cndmask_b32_e64 v13, v25, 0x7f, s2
	v_ldexp_f32 v12, 1.0, v12
	v_and_b32_e32 v8, 0xffff0000, v3
	v_dual_fmaak_f32 v24, s13, v22, 0x3ab69700 :: v_dual_fmaak_f32 v25, s13, v23, 0x3ab69700
	s_delay_alu instid0(VALU_DEP_4) | instskip(SKIP_3) | instid1(VALU_DEP_4)
	v_ldexp_f32 v13, 1.0, v13
	v_and_b32_e32 v9, 0xffff0000, v4
	v_add_f32_e32 v37, -1.0, v12
	v_dual_fmaak_f32 v20, v18, v20, 0x3c0887f9 :: v_dual_fmaak_f32 v21, v19, v21, 0x3c0887f9
	v_add_f32_e32 v36, -1.0, v13
	s_delay_alu instid0(VALU_DEP_4) | instskip(SKIP_2) | instid1(VALU_DEP_3)
	v_dual_mul_f32 v17, 0x3fb8aa3b, v9 :: v_dual_lshlrev_b32 v4, 16, v4
	v_dual_fmaak_f32 v24, v22, v24, 0x3c0887f9 :: v_dual_lshlrev_b32 v3, 16, v3
	v_fmaak_f32 v25, v23, v25, 0x3c0887f9
	v_mul_f32_e32 v16, 0x3fb8aa3b, v4
	s_delay_alu instid0(VALU_DEP_4) | instskip(NEXT) | instid1(VALU_DEP_4)
	v_rndne_f32_e32 v17, v17
	v_mul_f32_e32 v14, 0x3fb8aa3b, v3
	v_dual_fmaak_f32 v20, v18, v20, 0x3d2aaa81 :: v_dual_fmaak_f32 v21, v19, v21, 0x3d2aaa81
	s_delay_alu instid0(VALU_DEP_4) | instskip(NEXT) | instid1(VALU_DEP_4)
	v_rndne_f32_e32 v16, v16
	v_fmamk_f32 v31, v17, 0xbf317218, v9
	v_cvt_i32_f32_e32 v33, v17
	v_cmp_eq_f32_e64 s6, 0x43000000, v17
	v_rndne_f32_e32 v14, v14
	v_fmamk_f32 v30, v16, 0xbf317218, v4
	v_fmac_f32_e32 v31, 0x3102e308, v17
	v_dual_fmaak_f32 v24, v22, v24, 0x3d2aaa81 :: v_dual_fmaak_f32 v25, v23, v25, 0x3d2aaa81
	v_cndmask_b32_e64 v17, v33, 0x7f, s6
	v_cvt_i32_f32_e32 v28, v14
	v_cmp_eq_f32_e64 s3, 0x43000000, v14
	v_dual_fmaak_f32 v20, v18, v20, 0x3e2aaaab :: v_dual_fmaak_f32 v21, v19, v21, 0x3e2aaaab
	s_delay_alu instid0(VALU_DEP_4)
	v_ldexp_f32 v17, 1.0, v17
	v_mul_f32_e32 v15, 0x3fb8aa3b, v8
	v_cvt_i32_f32_e32 v32, v16
	v_fmac_f32_e32 v30, 0x3102e308, v16
	v_cmp_eq_f32_e64 s5, 0x43000000, v16
	v_add_f32_e32 v40, -1.0, v17
	v_rndne_f32_e32 v15, v15
	v_fmamk_f32 v26, v14, 0xbf317218, v3
	v_dual_fmaak_f32 v24, v22, v24, 0x3e2aaaab :: v_dual_fmaak_f32 v25, v23, v25, 0x3e2aaaab
	v_fma_f32 v21, v19, v21, 0.5
	s_delay_alu instid0(VALU_DEP_4)
	v_fmamk_f32 v27, v15, 0xbf317218, v8
	v_cvt_i32_f32_e32 v29, v15
	v_fmac_f32_e32 v26, 0x3102e308, v14
	v_cmp_eq_f32_e64 s4, 0x43000000, v15
	v_cndmask_b32_e64 v14, v28, 0x7f, s3
	v_fmac_f32_e32 v27, 0x3102e308, v15
	v_fma_f32 v20, v18, v20, 0.5
	v_fmaak_f32 v28, s13, v26, 0x3ab69700
	v_cndmask_b32_e64 v15, v29, 0x7f, s4
	v_cndmask_b32_e64 v16, v32, 0x7f, s5
	v_dual_fmaak_f32 v29, s13, v27, 0x3ab69700 :: v_dual_fmaak_f32 v32, s13, v30, 0x3ab69700
	v_fmaak_f32 v33, s13, v31, 0x3ab69700
	v_fmaak_f32 v28, v26, v28, 0x3c0887f9
	v_fma_f32 v25, v23, v25, 0.5
	s_delay_alu instid0(VALU_DEP_4) | instskip(SKIP_2) | instid1(VALU_DEP_3)
	v_fmaak_f32 v29, v27, v29, 0x3c0887f9
	v_fma_f32 v24, v22, v24, 0.5
	v_dual_mul_f32 v20, v18, v20 :: v_dual_mul_f32 v21, v19, v21
	v_dual_fmaak_f32 v28, v26, v28, 0x3d2aaa81 :: v_dual_fmaak_f32 v29, v27, v29, 0x3d2aaa81
	v_ldexp_f32 v16, 1.0, v16
	v_dual_fmaak_f32 v32, v30, v32, 0x3c0887f9 :: v_dual_fmaak_f32 v33, v31, v33, 0x3c0887f9
	s_delay_alu instid0(VALU_DEP_3)
	v_dual_fmaak_f32 v28, v26, v28, 0x3e2aaaab :: v_dual_fmaak_f32 v29, v27, v29, 0x3e2aaaab
	v_dual_mul_f32 v24, v22, v24 :: v_dual_mul_f32 v25, v23, v25
	v_dual_fmac_f32 v19, v19, v21 :: v_dual_fmac_f32 v18, v18, v20
	v_add_f32_e32 v41, -1.0, v16
	v_dual_fmaak_f32 v32, v30, v32, 0x3d2aaa81 :: v_dual_fmaak_f32 v33, v31, v33, 0x3d2aaa81
	v_fma_f32 v29, v27, v29, 0.5
	v_fma_f32 v28, v26, v28, 0.5
	v_dual_fmac_f32 v23, v23, v25 :: v_dual_fmac_f32 v22, v22, v24
	v_dual_fmac_f32 v35, v10, v18 :: v_dual_fmac_f32 v34, v11, v19
	v_ldexp_f32 v15, 1.0, v15
	s_delay_alu instid0(VALU_DEP_3)
	v_fmac_f32_e32 v36, v13, v23
	v_dual_fmaak_f32 v32, v30, v32, 0x3e2aaaab :: v_dual_fmaak_f32 v33, v31, v33, 0x3e2aaaab
	v_dual_mul_f32 v28, v26, v28 :: v_dual_mul_f32 v29, v27, v29
	v_dual_add_f32 v10, v34, v34 :: v_dual_add_f32 v11, v35, v35
	v_ldexp_f32 v14, 1.0, v14
	v_add_f32_e32 v38, -1.0, v15
	v_fma_f32 v33, v31, v33, 0.5
	v_fma_f32 v32, v30, v32, 0.5
	v_dual_fmac_f32 v27, v27, v29 :: v_dual_fmac_f32 v26, v26, v28
	v_cndmask_b32_e32 v11, v35, v11, vcc_lo
	v_cndmask_b32_e64 v10, v34, v10, s0
	v_cmp_nlt_f32_e32 vcc_lo, 0x42b17217, v6
	v_dual_add_f32 v39, -1.0, v14 :: v_dual_mul_f32 v32, v30, v32
	v_mul_f32_e32 v33, v31, v33
	v_dual_fmac_f32 v37, v12, v22 :: v_dual_fmac_f32 v38, v15, v27
	v_add_f32_e32 v12, v36, v36
	v_cndmask_b32_e32 v10, 0x7f800000, v10, vcc_lo
	v_cmp_nlt_f32_e32 vcc_lo, 0x42b17217, v1
	s_delay_alu instid0(VALU_DEP_4) | instskip(SKIP_4) | instid1(VALU_DEP_4)
	v_add_f32_e32 v13, v37, v37
	v_dual_fmac_f32 v31, v31, v33 :: v_dual_fmac_f32 v30, v30, v32
	v_cndmask_b32_e64 v12, v36, v12, s2
	v_cndmask_b32_e32 v11, 0x7f800000, v11, vcc_lo
	v_cmp_nlt_f32_e32 vcc_lo, 0x42b17217, v7
	v_dual_fmac_f32 v39, v14, v26 :: v_dual_fmac_f32 v40, v17, v31
	v_fmac_f32_e32 v41, v16, v30
	v_add_f32_e32 v14, v38, v38
	v_cndmask_b32_e64 v13, v37, v13, s1
	s_delay_alu instid0(VALU_DEP_4) | instskip(SKIP_1) | instid1(VALU_DEP_4)
	v_dual_add_f32 v15, v39, v39 :: v_dual_cndmask_b32 v12, 0x7f800000, v12
	v_cmp_nlt_f32_e32 vcc_lo, 0x42b17217, v2
	v_cndmask_b32_e64 v14, v38, v14, s4
	v_dual_add_f32 v16, v40, v40 :: v_dual_add_f32 v17, v41, v41
	s_delay_alu instid0(VALU_DEP_4) | instskip(SKIP_2) | instid1(VALU_DEP_4)
	v_cndmask_b32_e64 v15, v39, v15, s3
	v_cndmask_b32_e32 v13, 0x7f800000, v13, vcc_lo
	v_cmp_nlt_f32_e32 vcc_lo, 0x42b17217, v8
	v_cndmask_b32_e64 v16, v40, v16, s6
	v_cndmask_b32_e64 v17, v41, v17, s5
	s_add_u32 s2, s8, s14
	s_addc_u32 s3, s9, s15
	v_cndmask_b32_e32 v14, 0x7f800000, v14, vcc_lo
	v_cmp_nlt_f32_e32 vcc_lo, 0x42b17217, v3
	s_mov_b32 s0, 0
	v_cndmask_b32_e32 v15, 0x7f800000, v15, vcc_lo
	v_cmp_nlt_f32_e32 vcc_lo, 0x42b17217, v9
	v_cndmask_b32_e32 v16, 0x7f800000, v16, vcc_lo
	v_cmp_nlt_f32_e32 vcc_lo, 0x42b17217, v4
	v_cndmask_b32_e32 v17, 0x7f800000, v17, vcc_lo
	v_cmp_ngt_f32_e32 vcc_lo, 0xc1880000, v1
	v_cndmask_b32_e32 v1, -1.0, v11, vcc_lo
	v_cmp_ngt_f32_e32 vcc_lo, 0xc1880000, v6
	v_cndmask_b32_e32 v6, -1.0, v10, vcc_lo
	v_cmp_ngt_f32_e32 vcc_lo, 0xc1880000, v2
	s_delay_alu instid0(VALU_DEP_2) | instskip(SKIP_3) | instid1(VALU_DEP_4)
	v_bfe_u32 v10, v6, 16, 1
	v_cndmask_b32_e32 v2, -1.0, v13, vcc_lo
	v_cmp_ngt_f32_e32 vcc_lo, 0xc1880000, v7
	v_bfe_u32 v11, v1, 16, 1
	v_add3_u32 v10, v6, v10, 0x7fff
	s_delay_alu instid0(VALU_DEP_4)
	v_bfe_u32 v13, v2, 16, 1
	v_cndmask_b32_e32 v7, -1.0, v12, vcc_lo
	v_cmp_ngt_f32_e32 vcc_lo, 0xc1880000, v3
	v_add3_u32 v11, v1, v11, 0x7fff
	v_lshrrev_b32_e32 v10, 16, v10
	v_add3_u32 v13, v2, v13, 0x7fff
	v_cndmask_b32_e32 v3, -1.0, v15, vcc_lo
	v_cmp_ngt_f32_e32 vcc_lo, 0xc1880000, v8
	v_lshrrev_b32_e32 v11, 16, v11
	s_delay_alu instid0(VALU_DEP_4) | instskip(SKIP_3) | instid1(VALU_DEP_3)
	v_lshrrev_b32_e32 v13, 16, v13
	v_cndmask_b32_e32 v8, -1.0, v14, vcc_lo
	v_cmp_ngt_f32_e32 vcc_lo, 0xc1880000, v4
	v_bfe_u32 v12, v7, 16, 1
	v_bfe_u32 v14, v8, 16, 1
	v_cndmask_b32_e32 v4, -1.0, v17, vcc_lo
	v_cmp_ngt_f32_e32 vcc_lo, 0xc1880000, v9
	s_delay_alu instid0(VALU_DEP_4)
	v_add3_u32 v12, v7, v12, 0x7fff
	v_bfe_u32 v15, v3, 16, 1
	v_add3_u32 v14, v8, v14, 0x7fff
	v_bfe_u32 v17, v4, 16, 1
	v_cndmask_b32_e32 v9, -1.0, v16, vcc_lo
	v_cmp_o_f32_e32 vcc_lo, v6, v6
	v_lshrrev_b32_e32 v12, 16, v12
	v_lshrrev_b32_e32 v14, 16, v14
	v_add3_u32 v17, v4, v17, 0x7fff
	v_bfe_u32 v16, v9, 16, 1
	v_cndmask_b32_e32 v6, 0x7fc0, v10, vcc_lo
	v_cmp_o_f32_e32 vcc_lo, v7, v7
	v_add3_u32 v15, v3, v15, 0x7fff
	v_lshrrev_b32_e32 v17, 16, v17
	v_add3_u32 v16, v9, v16, 0x7fff
	v_cndmask_b32_e32 v7, 0x7fc0, v12, vcc_lo
	v_cmp_o_f32_e32 vcc_lo, v2, v2
	v_lshrrev_b32_e32 v15, 16, v15
	s_delay_alu instid0(VALU_DEP_4) | instskip(SKIP_2) | instid1(VALU_DEP_2)
	v_lshrrev_b32_e32 v16, 16, v16
	v_cndmask_b32_e32 v2, 0x7fc0, v13, vcc_lo
	v_cmp_o_f32_e32 vcc_lo, v8, v8
	v_perm_b32 v2, v7, v2, 0x5040100
	v_cndmask_b32_e32 v8, 0x7fc0, v14, vcc_lo
	v_cmp_o_f32_e32 vcc_lo, v9, v9
	v_cndmask_b32_e32 v9, 0x7fc0, v16, vcc_lo
	v_cmp_o_f32_e32 vcc_lo, v4, v4
	;; [unrolled: 2-line block ×3, first 2 shown]
	s_delay_alu instid0(VALU_DEP_2) | instskip(SKIP_2) | instid1(VALU_DEP_2)
	v_perm_b32 v4, v9, v4, 0x5040100
	v_cndmask_b32_e32 v3, 0x7fc0, v15, vcc_lo
	v_cmp_o_f32_e32 vcc_lo, v1, v1
	v_perm_b32 v3, v8, v3, 0x5040100
	v_cndmask_b32_e32 v1, 0x7fc0, v11, vcc_lo
	s_delay_alu instid0(VALU_DEP_1)
	v_perm_b32 v1, v6, v1, 0x5040100
	global_store_b128 v5, v[1:4], s[2:3]
.LBB146_2:
	s_and_not1_b32 vcc_lo, exec_lo, s0
	s_cbranch_vccnz .LBB146_41
; %bb.3:
	v_cmp_gt_i32_e32 vcc_lo, s7, v0
	v_dual_mov_b32 v8, 0 :: v_dual_mov_b32 v5, 0
	v_or_b32_e32 v1, s12, v0
	v_or_b32_e32 v3, 0x100, v0
	v_mov_b32_e32 v4, v0
	s_and_saveexec_b32 s1, vcc_lo
	s_cbranch_execz .LBB146_5
; %bb.4:
	v_mov_b32_e32 v2, 0
	s_delay_alu instid0(VALU_DEP_1) | instskip(NEXT) | instid1(VALU_DEP_1)
	v_lshlrev_b64 v[4:5], 1, v[1:2]
	v_add_co_u32 v4, s0, s10, v4
	s_delay_alu instid0(VALU_DEP_1)
	v_add_co_ci_u32_e64 v5, s0, s11, v5, s0
	global_load_u16 v5, v[4:5], off
	v_or_b32_e32 v4, 0x100, v0
.LBB146_5:
	s_or_b32 exec_lo, exec_lo, s1
	s_delay_alu instid0(SALU_CYCLE_1) | instskip(NEXT) | instid1(VALU_DEP_1)
	s_mov_b32 s1, exec_lo
	v_cmpx_gt_i32_e64 s7, v4
	s_cbranch_execz .LBB146_7
; %bb.6:
	v_dual_mov_b32 v7, 0 :: v_dual_add_nc_u32 v6, s12, v4
	v_add_nc_u32_e32 v4, 0x100, v4
	s_delay_alu instid0(VALU_DEP_2) | instskip(NEXT) | instid1(VALU_DEP_1)
	v_lshlrev_b64 v[6:7], 1, v[6:7]
	v_add_co_u32 v6, s0, s10, v6
	s_delay_alu instid0(VALU_DEP_1)
	v_add_co_ci_u32_e64 v7, s0, s11, v7, s0
	global_load_u16 v8, v[6:7], off
.LBB146_7:
	s_or_b32 exec_lo, exec_lo, s1
	v_mov_b32_e32 v9, 0
	v_mov_b32_e32 v11, 0
	s_mov_b32 s1, exec_lo
	v_cmpx_gt_i32_e64 s7, v4
	s_cbranch_execz .LBB146_9
; %bb.8:
	v_dual_mov_b32 v7, 0 :: v_dual_add_nc_u32 v6, s12, v4
	v_add_nc_u32_e32 v4, 0x100, v4
	s_delay_alu instid0(VALU_DEP_2) | instskip(NEXT) | instid1(VALU_DEP_1)
	v_lshlrev_b64 v[6:7], 1, v[6:7]
	v_add_co_u32 v6, s0, s10, v6
	s_delay_alu instid0(VALU_DEP_1)
	v_add_co_ci_u32_e64 v7, s0, s11, v7, s0
	global_load_u16 v11, v[6:7], off
.LBB146_9:
	s_or_b32 exec_lo, exec_lo, s1
	s_delay_alu instid0(SALU_CYCLE_1)
	s_mov_b32 s1, exec_lo
	v_cmpx_gt_i32_e64 s7, v4
	s_cbranch_execz .LBB146_11
; %bb.10:
	v_dual_mov_b32 v7, 0 :: v_dual_add_nc_u32 v6, s12, v4
	v_add_nc_u32_e32 v4, 0x100, v4
	s_delay_alu instid0(VALU_DEP_2) | instskip(NEXT) | instid1(VALU_DEP_1)
	v_lshlrev_b64 v[6:7], 1, v[6:7]
	v_add_co_u32 v6, s0, s10, v6
	s_delay_alu instid0(VALU_DEP_1)
	v_add_co_ci_u32_e64 v7, s0, s11, v7, s0
	global_load_u16 v9, v[6:7], off
.LBB146_11:
	s_or_b32 exec_lo, exec_lo, s1
	v_mov_b32_e32 v6, 0
	v_mov_b32_e32 v10, 0
	s_mov_b32 s1, exec_lo
	v_cmpx_gt_i32_e64 s7, v4
	s_cbranch_execz .LBB146_13
; %bb.12:
	v_dual_mov_b32 v13, 0 :: v_dual_add_nc_u32 v12, s12, v4
	v_add_nc_u32_e32 v4, 0x100, v4
	s_delay_alu instid0(VALU_DEP_2) | instskip(NEXT) | instid1(VALU_DEP_1)
	v_lshlrev_b64 v[12:13], 1, v[12:13]
	v_add_co_u32 v12, s0, s10, v12
	s_delay_alu instid0(VALU_DEP_1)
	v_add_co_ci_u32_e64 v13, s0, s11, v13, s0
	global_load_u16 v10, v[12:13], off
.LBB146_13:
	s_or_b32 exec_lo, exec_lo, s1
	s_delay_alu instid0(SALU_CYCLE_1)
	s_mov_b32 s1, exec_lo
	v_cmpx_gt_i32_e64 s7, v4
	s_cbranch_execz .LBB146_15
; %bb.14:
	v_dual_mov_b32 v7, 0 :: v_dual_add_nc_u32 v6, s12, v4
	v_add_nc_u32_e32 v4, 0x100, v4
	s_delay_alu instid0(VALU_DEP_2) | instskip(NEXT) | instid1(VALU_DEP_1)
	v_lshlrev_b64 v[6:7], 1, v[6:7]
	v_add_co_u32 v6, s0, s10, v6
	s_delay_alu instid0(VALU_DEP_1)
	v_add_co_ci_u32_e64 v7, s0, s11, v7, s0
	global_load_u16 v6, v[6:7], off
.LBB146_15:
	s_or_b32 exec_lo, exec_lo, s1
	v_dual_mov_b32 v2, 0 :: v_dual_mov_b32 v7, 0
	s_mov_b32 s1, exec_lo
	v_cmpx_gt_i32_e64 s7, v4
	s_cbranch_execz .LBB146_42
; %bb.16:
	v_dual_mov_b32 v13, 0 :: v_dual_add_nc_u32 v12, s12, v4
	v_add_nc_u32_e32 v4, 0x100, v4
	s_delay_alu instid0(VALU_DEP_2) | instskip(NEXT) | instid1(VALU_DEP_1)
	v_lshlrev_b64 v[12:13], 1, v[12:13]
	v_add_co_u32 v12, s0, s10, v12
	s_delay_alu instid0(VALU_DEP_1) | instskip(SKIP_2) | instid1(SALU_CYCLE_1)
	v_add_co_ci_u32_e64 v13, s0, s11, v13, s0
	global_load_u16 v7, v[12:13], off
	s_or_b32 exec_lo, exec_lo, s1
	s_mov_b32 s1, exec_lo
	v_cmpx_gt_i32_e64 s7, v4
	s_cbranch_execnz .LBB146_43
.LBB146_17:
	s_or_b32 exec_lo, exec_lo, s1
                                        ; implicit-def: $vgpr4
	s_and_saveexec_b32 s1, vcc_lo
	s_cbranch_execz .LBB146_19
.LBB146_18:
	s_mov_b32 s0, 0x395133b1
	s_waitcnt vmcnt(0)
	v_lshlrev_b32_e32 v4, 16, v5
	s_delay_alu instid0(VALU_DEP_1) | instskip(NEXT) | instid1(VALU_DEP_1)
	v_mul_f32_e32 v5, 0x3fb8aa3b, v4
	v_rndne_f32_e32 v5, v5
	s_delay_alu instid0(VALU_DEP_1) | instskip(SKIP_1) | instid1(VALU_DEP_2)
	v_fmamk_f32 v12, v5, 0xbf317218, v4
	v_cvt_i32_f32_e32 v14, v5
	v_fmamk_f32 v12, v5, 0x3102e308, v12
	s_delay_alu instid0(VALU_DEP_1) | instskip(SKIP_1) | instid1(VALU_DEP_2)
	v_fmaak_f32 v13, s0, v12, 0x3ab69700
	v_cmp_eq_f32_e64 s0, 0x43000000, v5
	v_fmaak_f32 v13, v12, v13, 0x3c0887f9
	s_delay_alu instid0(VALU_DEP_2) | instskip(NEXT) | instid1(VALU_DEP_2)
	v_cndmask_b32_e64 v5, v14, 0x7f, s0
	v_fmaak_f32 v13, v12, v13, 0x3d2aaa81
	s_delay_alu instid0(VALU_DEP_2) | instskip(NEXT) | instid1(VALU_DEP_2)
	v_ldexp_f32 v5, 1.0, v5
	v_fmaak_f32 v13, v12, v13, 0x3e2aaaab
	s_delay_alu instid0(VALU_DEP_1) | instskip(NEXT) | instid1(VALU_DEP_1)
	v_fma_f32 v13, v12, v13, 0.5
	v_mul_f32_e32 v13, v12, v13
	s_delay_alu instid0(VALU_DEP_1) | instskip(SKIP_1) | instid1(VALU_DEP_1)
	v_fmac_f32_e32 v12, v12, v13
	v_add_f32_e32 v13, -1.0, v5
	v_fmac_f32_e32 v13, v5, v12
	s_delay_alu instid0(VALU_DEP_1) | instskip(NEXT) | instid1(VALU_DEP_1)
	v_add_f32_e32 v5, v13, v13
	v_cndmask_b32_e64 v5, v13, v5, s0
	v_cmp_nlt_f32_e64 s0, 0x42b17217, v4
	s_delay_alu instid0(VALU_DEP_1) | instskip(SKIP_1) | instid1(VALU_DEP_1)
	v_cndmask_b32_e64 v5, 0x7f800000, v5, s0
	v_cmp_ngt_f32_e64 s0, 0xc1880000, v4
	v_cndmask_b32_e64 v4, -1.0, v5, s0
	s_delay_alu instid0(VALU_DEP_1) | instskip(SKIP_1) | instid1(VALU_DEP_2)
	v_bfe_u32 v5, v4, 16, 1
	v_cmp_o_f32_e64 s0, v4, v4
	v_add3_u32 v5, v4, v5, 0x7fff
	s_delay_alu instid0(VALU_DEP_1) | instskip(NEXT) | instid1(VALU_DEP_1)
	v_lshrrev_b32_e32 v5, 16, v5
	v_cndmask_b32_e64 v4, 0x7fc0, v5, s0
.LBB146_19:
	s_or_b32 exec_lo, exec_lo, s1
	s_delay_alu instid0(SALU_CYCLE_1)
	s_mov_b32 s1, exec_lo
                                        ; implicit-def: $vgpr5
	v_cmpx_gt_i32_e64 s7, v3
	s_cbranch_execz .LBB146_21
; %bb.20:
	s_waitcnt vmcnt(0)
	v_lshlrev_b32_e32 v5, 16, v8
	s_mov_b32 s0, 0x395133b1
	s_delay_alu instid0(VALU_DEP_1) | instskip(NEXT) | instid1(VALU_DEP_1)
	v_mul_f32_e32 v8, 0x3fb8aa3b, v5
	v_rndne_f32_e32 v8, v8
	s_delay_alu instid0(VALU_DEP_1) | instskip(SKIP_1) | instid1(VALU_DEP_2)
	v_fmamk_f32 v12, v8, 0xbf317218, v5
	v_cvt_i32_f32_e32 v14, v8
	v_fmamk_f32 v12, v8, 0x3102e308, v12
	s_delay_alu instid0(VALU_DEP_1) | instskip(SKIP_1) | instid1(VALU_DEP_2)
	v_fmaak_f32 v13, s0, v12, 0x3ab69700
	v_cmp_eq_f32_e64 s0, 0x43000000, v8
	v_fmaak_f32 v13, v12, v13, 0x3c0887f9
	s_delay_alu instid0(VALU_DEP_2) | instskip(NEXT) | instid1(VALU_DEP_2)
	v_cndmask_b32_e64 v8, v14, 0x7f, s0
	v_fmaak_f32 v13, v12, v13, 0x3d2aaa81
	s_delay_alu instid0(VALU_DEP_2) | instskip(NEXT) | instid1(VALU_DEP_2)
	v_ldexp_f32 v8, 1.0, v8
	v_fmaak_f32 v13, v12, v13, 0x3e2aaaab
	s_delay_alu instid0(VALU_DEP_1) | instskip(NEXT) | instid1(VALU_DEP_1)
	v_fma_f32 v13, v12, v13, 0.5
	v_mul_f32_e32 v13, v12, v13
	s_delay_alu instid0(VALU_DEP_1) | instskip(NEXT) | instid1(VALU_DEP_1)
	v_dual_fmac_f32 v12, v12, v13 :: v_dual_add_f32 v13, -1.0, v8
	v_fmac_f32_e32 v13, v8, v12
	s_delay_alu instid0(VALU_DEP_1) | instskip(NEXT) | instid1(VALU_DEP_1)
	v_add_f32_e32 v8, v13, v13
	v_cndmask_b32_e64 v8, v13, v8, s0
	v_cmp_nlt_f32_e64 s0, 0x42b17217, v5
	s_delay_alu instid0(VALU_DEP_1) | instskip(SKIP_1) | instid1(VALU_DEP_1)
	v_cndmask_b32_e64 v8, 0x7f800000, v8, s0
	v_cmp_ngt_f32_e64 s0, 0xc1880000, v5
	v_cndmask_b32_e64 v5, -1.0, v8, s0
	s_delay_alu instid0(VALU_DEP_1) | instskip(SKIP_1) | instid1(VALU_DEP_2)
	v_bfe_u32 v8, v5, 16, 1
	v_cmp_o_f32_e64 s0, v5, v5
	v_add3_u32 v8, v5, v8, 0x7fff
	s_delay_alu instid0(VALU_DEP_1) | instskip(NEXT) | instid1(VALU_DEP_1)
	v_lshrrev_b32_e32 v8, 16, v8
	v_cndmask_b32_e64 v5, 0x7fc0, v8, s0
.LBB146_21:
	s_or_b32 exec_lo, exec_lo, s1
	s_waitcnt vmcnt(0)
	v_or_b32_e32 v8, 0x200, v0
	s_delay_alu instid0(VALU_DEP_1) | instskip(NEXT) | instid1(VALU_DEP_1)
	v_cmp_gt_i32_e64 s0, s7, v8
                                        ; implicit-def: $vgpr8
	s_and_saveexec_b32 s1, s0
	s_cbranch_execz .LBB146_23
; %bb.22:
	s_mov_b32 s0, 0x395133b1
	v_lshlrev_b32_e32 v8, 16, v11
	s_delay_alu instid0(VALU_DEP_1) | instskip(NEXT) | instid1(VALU_DEP_1)
	v_mul_f32_e32 v11, 0x3fb8aa3b, v8
	v_rndne_f32_e32 v11, v11
	s_delay_alu instid0(VALU_DEP_1) | instskip(SKIP_1) | instid1(VALU_DEP_2)
	v_fmamk_f32 v12, v11, 0xbf317218, v8
	v_cvt_i32_f32_e32 v14, v11
	v_fmamk_f32 v12, v11, 0x3102e308, v12
	s_delay_alu instid0(VALU_DEP_1) | instskip(SKIP_1) | instid1(VALU_DEP_2)
	v_fmaak_f32 v13, s0, v12, 0x3ab69700
	v_cmp_eq_f32_e64 s0, 0x43000000, v11
	v_fmaak_f32 v13, v12, v13, 0x3c0887f9
	s_delay_alu instid0(VALU_DEP_2) | instskip(NEXT) | instid1(VALU_DEP_2)
	v_cndmask_b32_e64 v11, v14, 0x7f, s0
	v_fmaak_f32 v13, v12, v13, 0x3d2aaa81
	s_delay_alu instid0(VALU_DEP_2) | instskip(NEXT) | instid1(VALU_DEP_2)
	v_ldexp_f32 v11, 1.0, v11
	v_fmaak_f32 v13, v12, v13, 0x3e2aaaab
	s_delay_alu instid0(VALU_DEP_1) | instskip(NEXT) | instid1(VALU_DEP_1)
	v_fma_f32 v13, v12, v13, 0.5
	v_mul_f32_e32 v13, v12, v13
	s_delay_alu instid0(VALU_DEP_1) | instskip(NEXT) | instid1(VALU_DEP_1)
	v_dual_fmac_f32 v12, v12, v13 :: v_dual_add_f32 v13, -1.0, v11
	v_fmac_f32_e32 v13, v11, v12
	s_delay_alu instid0(VALU_DEP_1) | instskip(NEXT) | instid1(VALU_DEP_1)
	v_add_f32_e32 v11, v13, v13
	v_cndmask_b32_e64 v11, v13, v11, s0
	v_cmp_nlt_f32_e64 s0, 0x42b17217, v8
	s_delay_alu instid0(VALU_DEP_1) | instskip(SKIP_1) | instid1(VALU_DEP_1)
	v_cndmask_b32_e64 v11, 0x7f800000, v11, s0
	v_cmp_ngt_f32_e64 s0, 0xc1880000, v8
	v_cndmask_b32_e64 v8, -1.0, v11, s0
	s_delay_alu instid0(VALU_DEP_1) | instskip(SKIP_1) | instid1(VALU_DEP_2)
	v_bfe_u32 v11, v8, 16, 1
	v_cmp_o_f32_e64 s0, v8, v8
	v_add3_u32 v11, v8, v11, 0x7fff
	s_delay_alu instid0(VALU_DEP_1) | instskip(NEXT) | instid1(VALU_DEP_1)
	v_lshrrev_b32_e32 v11, 16, v11
	v_cndmask_b32_e64 v8, 0x7fc0, v11, s0
.LBB146_23:
	s_or_b32 exec_lo, exec_lo, s1
	v_or_b32_e32 v11, 0x300, v0
	s_delay_alu instid0(VALU_DEP_1) | instskip(NEXT) | instid1(VALU_DEP_1)
	v_cmp_gt_i32_e64 s0, s7, v11
                                        ; implicit-def: $vgpr11
	s_and_saveexec_b32 s1, s0
	s_cbranch_execz .LBB146_25
; %bb.24:
	v_lshlrev_b32_e32 v9, 16, v9
	s_mov_b32 s0, 0x395133b1
	s_delay_alu instid0(VALU_DEP_1) | instskip(NEXT) | instid1(VALU_DEP_1)
	v_mul_f32_e32 v11, 0x3fb8aa3b, v9
	v_rndne_f32_e32 v11, v11
	s_delay_alu instid0(VALU_DEP_1) | instskip(SKIP_1) | instid1(VALU_DEP_2)
	v_fmamk_f32 v12, v11, 0xbf317218, v9
	v_cvt_i32_f32_e32 v14, v11
	v_fmamk_f32 v12, v11, 0x3102e308, v12
	s_delay_alu instid0(VALU_DEP_1) | instskip(SKIP_1) | instid1(VALU_DEP_2)
	v_fmaak_f32 v13, s0, v12, 0x3ab69700
	v_cmp_eq_f32_e64 s0, 0x43000000, v11
	v_fmaak_f32 v13, v12, v13, 0x3c0887f9
	s_delay_alu instid0(VALU_DEP_2) | instskip(NEXT) | instid1(VALU_DEP_2)
	v_cndmask_b32_e64 v11, v14, 0x7f, s0
	v_fmaak_f32 v13, v12, v13, 0x3d2aaa81
	s_delay_alu instid0(VALU_DEP_2) | instskip(NEXT) | instid1(VALU_DEP_2)
	v_ldexp_f32 v11, 1.0, v11
	v_fmaak_f32 v13, v12, v13, 0x3e2aaaab
	s_delay_alu instid0(VALU_DEP_1) | instskip(NEXT) | instid1(VALU_DEP_1)
	v_fma_f32 v13, v12, v13, 0.5
	v_mul_f32_e32 v13, v12, v13
	s_delay_alu instid0(VALU_DEP_1) | instskip(NEXT) | instid1(VALU_DEP_1)
	v_dual_fmac_f32 v12, v12, v13 :: v_dual_add_f32 v13, -1.0, v11
	v_fmac_f32_e32 v13, v11, v12
	s_delay_alu instid0(VALU_DEP_1) | instskip(NEXT) | instid1(VALU_DEP_1)
	v_add_f32_e32 v11, v13, v13
	v_cndmask_b32_e64 v11, v13, v11, s0
	v_cmp_nlt_f32_e64 s0, 0x42b17217, v9
	s_delay_alu instid0(VALU_DEP_1) | instskip(SKIP_1) | instid1(VALU_DEP_1)
	v_cndmask_b32_e64 v11, 0x7f800000, v11, s0
	v_cmp_ngt_f32_e64 s0, 0xc1880000, v9
	v_cndmask_b32_e64 v9, -1.0, v11, s0
	s_delay_alu instid0(VALU_DEP_1) | instskip(SKIP_1) | instid1(VALU_DEP_2)
	v_bfe_u32 v11, v9, 16, 1
	v_cmp_o_f32_e64 s0, v9, v9
	v_add3_u32 v11, v9, v11, 0x7fff
	s_delay_alu instid0(VALU_DEP_1) | instskip(NEXT) | instid1(VALU_DEP_1)
	v_lshrrev_b32_e32 v11, 16, v11
	v_cndmask_b32_e64 v11, 0x7fc0, v11, s0
.LBB146_25:
	s_or_b32 exec_lo, exec_lo, s1
	v_or_b32_e32 v9, 0x400, v0
	s_delay_alu instid0(VALU_DEP_1) | instskip(NEXT) | instid1(VALU_DEP_1)
	v_cmp_gt_i32_e64 s0, s7, v9
                                        ; implicit-def: $vgpr9
	s_and_saveexec_b32 s1, s0
	s_cbranch_execz .LBB146_27
; %bb.26:
	v_lshlrev_b32_e32 v9, 16, v10
	s_mov_b32 s0, 0x395133b1
	s_delay_alu instid0(VALU_DEP_1) | instskip(NEXT) | instid1(VALU_DEP_1)
	v_mul_f32_e32 v10, 0x3fb8aa3b, v9
	v_rndne_f32_e32 v10, v10
	s_delay_alu instid0(VALU_DEP_1) | instskip(SKIP_1) | instid1(VALU_DEP_2)
	v_fmamk_f32 v12, v10, 0xbf317218, v9
	v_cvt_i32_f32_e32 v14, v10
	v_fmamk_f32 v12, v10, 0x3102e308, v12
	s_delay_alu instid0(VALU_DEP_1) | instskip(SKIP_1) | instid1(VALU_DEP_2)
	v_fmaak_f32 v13, s0, v12, 0x3ab69700
	v_cmp_eq_f32_e64 s0, 0x43000000, v10
	v_fmaak_f32 v13, v12, v13, 0x3c0887f9
	s_delay_alu instid0(VALU_DEP_2) | instskip(NEXT) | instid1(VALU_DEP_2)
	v_cndmask_b32_e64 v10, v14, 0x7f, s0
	v_fmaak_f32 v13, v12, v13, 0x3d2aaa81
	s_delay_alu instid0(VALU_DEP_2) | instskip(NEXT) | instid1(VALU_DEP_2)
	v_ldexp_f32 v10, 1.0, v10
	v_fmaak_f32 v13, v12, v13, 0x3e2aaaab
	s_delay_alu instid0(VALU_DEP_1) | instskip(NEXT) | instid1(VALU_DEP_1)
	v_fma_f32 v13, v12, v13, 0.5
	v_mul_f32_e32 v13, v12, v13
	s_delay_alu instid0(VALU_DEP_1) | instskip(NEXT) | instid1(VALU_DEP_1)
	v_dual_fmac_f32 v12, v12, v13 :: v_dual_add_f32 v13, -1.0, v10
	v_fmac_f32_e32 v13, v10, v12
	s_delay_alu instid0(VALU_DEP_1) | instskip(NEXT) | instid1(VALU_DEP_1)
	v_add_f32_e32 v10, v13, v13
	v_cndmask_b32_e64 v10, v13, v10, s0
	v_cmp_nlt_f32_e64 s0, 0x42b17217, v9
	s_delay_alu instid0(VALU_DEP_1) | instskip(SKIP_1) | instid1(VALU_DEP_1)
	v_cndmask_b32_e64 v10, 0x7f800000, v10, s0
	v_cmp_ngt_f32_e64 s0, 0xc1880000, v9
	v_cndmask_b32_e64 v9, -1.0, v10, s0
	s_delay_alu instid0(VALU_DEP_1) | instskip(SKIP_1) | instid1(VALU_DEP_2)
	v_bfe_u32 v10, v9, 16, 1
	v_cmp_o_f32_e64 s0, v9, v9
	v_add3_u32 v10, v9, v10, 0x7fff
	s_delay_alu instid0(VALU_DEP_1) | instskip(NEXT) | instid1(VALU_DEP_1)
	v_lshrrev_b32_e32 v10, 16, v10
	v_cndmask_b32_e64 v9, 0x7fc0, v10, s0
.LBB146_27:
	s_or_b32 exec_lo, exec_lo, s1
	v_or_b32_e32 v10, 0x500, v0
	s_delay_alu instid0(VALU_DEP_1) | instskip(NEXT) | instid1(VALU_DEP_1)
	v_cmp_gt_i32_e64 s0, s7, v10
                                        ; implicit-def: $vgpr10
	s_and_saveexec_b32 s1, s0
	s_cbranch_execz .LBB146_29
; %bb.28:
	s_mov_b32 s0, 0x395133b1
	v_lshlrev_b32_e32 v6, 16, v6
	s_delay_alu instid0(VALU_DEP_1) | instskip(NEXT) | instid1(VALU_DEP_1)
	v_mul_f32_e32 v10, 0x3fb8aa3b, v6
	v_rndne_f32_e32 v10, v10
	s_delay_alu instid0(VALU_DEP_1) | instskip(SKIP_1) | instid1(VALU_DEP_2)
	v_fmamk_f32 v12, v10, 0xbf317218, v6
	v_cvt_i32_f32_e32 v14, v10
	v_fmamk_f32 v12, v10, 0x3102e308, v12
	s_delay_alu instid0(VALU_DEP_1) | instskip(SKIP_1) | instid1(VALU_DEP_2)
	v_fmaak_f32 v13, s0, v12, 0x3ab69700
	v_cmp_eq_f32_e64 s0, 0x43000000, v10
	v_fmaak_f32 v13, v12, v13, 0x3c0887f9
	s_delay_alu instid0(VALU_DEP_2) | instskip(NEXT) | instid1(VALU_DEP_2)
	v_cndmask_b32_e64 v10, v14, 0x7f, s0
	v_fmaak_f32 v13, v12, v13, 0x3d2aaa81
	s_delay_alu instid0(VALU_DEP_2) | instskip(NEXT) | instid1(VALU_DEP_2)
	v_ldexp_f32 v10, 1.0, v10
	v_fmaak_f32 v13, v12, v13, 0x3e2aaaab
	s_delay_alu instid0(VALU_DEP_1) | instskip(NEXT) | instid1(VALU_DEP_1)
	v_fma_f32 v13, v12, v13, 0.5
	v_mul_f32_e32 v13, v12, v13
	s_delay_alu instid0(VALU_DEP_1) | instskip(NEXT) | instid1(VALU_DEP_1)
	v_dual_fmac_f32 v12, v12, v13 :: v_dual_add_f32 v13, -1.0, v10
	v_fmac_f32_e32 v13, v10, v12
	s_delay_alu instid0(VALU_DEP_1) | instskip(NEXT) | instid1(VALU_DEP_1)
	v_add_f32_e32 v10, v13, v13
	v_cndmask_b32_e64 v10, v13, v10, s0
	v_cmp_nlt_f32_e64 s0, 0x42b17217, v6
	s_delay_alu instid0(VALU_DEP_1) | instskip(SKIP_1) | instid1(VALU_DEP_1)
	v_cndmask_b32_e64 v10, 0x7f800000, v10, s0
	v_cmp_ngt_f32_e64 s0, 0xc1880000, v6
	v_cndmask_b32_e64 v6, -1.0, v10, s0
	s_delay_alu instid0(VALU_DEP_1) | instskip(SKIP_1) | instid1(VALU_DEP_2)
	v_bfe_u32 v10, v6, 16, 1
	v_cmp_o_f32_e64 s0, v6, v6
	v_add3_u32 v10, v6, v10, 0x7fff
	s_delay_alu instid0(VALU_DEP_1) | instskip(NEXT) | instid1(VALU_DEP_1)
	v_lshrrev_b32_e32 v10, 16, v10
	v_cndmask_b32_e64 v10, 0x7fc0, v10, s0
.LBB146_29:
	s_or_b32 exec_lo, exec_lo, s1
	v_or_b32_e32 v6, 0x600, v0
	s_delay_alu instid0(VALU_DEP_1) | instskip(NEXT) | instid1(VALU_DEP_1)
	v_cmp_gt_i32_e64 s0, s7, v6
                                        ; implicit-def: $vgpr6
	s_and_saveexec_b32 s1, s0
	s_cbranch_execz .LBB146_31
; %bb.30:
	s_mov_b32 s0, 0x395133b1
	v_lshlrev_b32_e32 v6, 16, v7
	s_delay_alu instid0(VALU_DEP_1) | instskip(NEXT) | instid1(VALU_DEP_1)
	v_mul_f32_e32 v7, 0x3fb8aa3b, v6
	v_rndne_f32_e32 v7, v7
	s_delay_alu instid0(VALU_DEP_1) | instskip(SKIP_1) | instid1(VALU_DEP_2)
	v_fmamk_f32 v12, v7, 0xbf317218, v6
	v_cvt_i32_f32_e32 v14, v7
	v_fmamk_f32 v12, v7, 0x3102e308, v12
	s_delay_alu instid0(VALU_DEP_1) | instskip(SKIP_1) | instid1(VALU_DEP_2)
	v_fmaak_f32 v13, s0, v12, 0x3ab69700
	v_cmp_eq_f32_e64 s0, 0x43000000, v7
	v_fmaak_f32 v13, v12, v13, 0x3c0887f9
	s_delay_alu instid0(VALU_DEP_2) | instskip(NEXT) | instid1(VALU_DEP_2)
	v_cndmask_b32_e64 v7, v14, 0x7f, s0
	v_fmaak_f32 v13, v12, v13, 0x3d2aaa81
	s_delay_alu instid0(VALU_DEP_2) | instskip(NEXT) | instid1(VALU_DEP_2)
	v_ldexp_f32 v7, 1.0, v7
	v_fmaak_f32 v13, v12, v13, 0x3e2aaaab
	s_delay_alu instid0(VALU_DEP_1) | instskip(NEXT) | instid1(VALU_DEP_1)
	v_fma_f32 v13, v12, v13, 0.5
	v_mul_f32_e32 v13, v12, v13
	s_delay_alu instid0(VALU_DEP_1) | instskip(NEXT) | instid1(VALU_DEP_1)
	v_dual_fmac_f32 v12, v12, v13 :: v_dual_add_f32 v13, -1.0, v7
	v_fmac_f32_e32 v13, v7, v12
	s_delay_alu instid0(VALU_DEP_1) | instskip(NEXT) | instid1(VALU_DEP_1)
	v_add_f32_e32 v7, v13, v13
	v_cndmask_b32_e64 v7, v13, v7, s0
	v_cmp_nlt_f32_e64 s0, 0x42b17217, v6
	s_delay_alu instid0(VALU_DEP_1) | instskip(SKIP_1) | instid1(VALU_DEP_1)
	v_cndmask_b32_e64 v7, 0x7f800000, v7, s0
	v_cmp_ngt_f32_e64 s0, 0xc1880000, v6
	v_cndmask_b32_e64 v6, -1.0, v7, s0
	s_delay_alu instid0(VALU_DEP_1) | instskip(SKIP_1) | instid1(VALU_DEP_2)
	v_bfe_u32 v7, v6, 16, 1
	v_cmp_o_f32_e64 s0, v6, v6
	v_add3_u32 v7, v6, v7, 0x7fff
	s_delay_alu instid0(VALU_DEP_1) | instskip(NEXT) | instid1(VALU_DEP_1)
	v_lshrrev_b32_e32 v7, 16, v7
	v_cndmask_b32_e64 v6, 0x7fc0, v7, s0
.LBB146_31:
	s_or_b32 exec_lo, exec_lo, s1
	v_or_b32_e32 v7, 0x700, v0
	s_delay_alu instid0(VALU_DEP_1) | instskip(NEXT) | instid1(VALU_DEP_1)
	v_cmp_gt_i32_e64 s0, s7, v7
                                        ; implicit-def: $vgpr7
	s_and_saveexec_b32 s1, s0
	s_cbranch_execz .LBB146_44
; %bb.32:
	s_mov_b32 s0, 0x395133b1
	v_lshlrev_b32_e32 v2, 16, v2
	s_delay_alu instid0(VALU_DEP_1) | instskip(NEXT) | instid1(VALU_DEP_1)
	v_mul_f32_e32 v7, 0x3fb8aa3b, v2
	v_rndne_f32_e32 v7, v7
	s_delay_alu instid0(VALU_DEP_1) | instskip(SKIP_1) | instid1(VALU_DEP_2)
	v_fmamk_f32 v12, v7, 0xbf317218, v2
	v_cvt_i32_f32_e32 v14, v7
	v_fmamk_f32 v12, v7, 0x3102e308, v12
	s_delay_alu instid0(VALU_DEP_1) | instskip(SKIP_1) | instid1(VALU_DEP_2)
	v_fmaak_f32 v13, s0, v12, 0x3ab69700
	v_cmp_eq_f32_e64 s0, 0x43000000, v7
	v_fmaak_f32 v13, v12, v13, 0x3c0887f9
	s_delay_alu instid0(VALU_DEP_2) | instskip(NEXT) | instid1(VALU_DEP_2)
	v_cndmask_b32_e64 v7, v14, 0x7f, s0
	v_fmaak_f32 v13, v12, v13, 0x3d2aaa81
	s_delay_alu instid0(VALU_DEP_2) | instskip(NEXT) | instid1(VALU_DEP_2)
	v_ldexp_f32 v7, 1.0, v7
	v_fmaak_f32 v13, v12, v13, 0x3e2aaaab
	s_delay_alu instid0(VALU_DEP_1) | instskip(NEXT) | instid1(VALU_DEP_1)
	v_fma_f32 v13, v12, v13, 0.5
	v_mul_f32_e32 v13, v12, v13
	s_delay_alu instid0(VALU_DEP_1) | instskip(NEXT) | instid1(VALU_DEP_1)
	v_dual_fmac_f32 v12, v12, v13 :: v_dual_add_f32 v13, -1.0, v7
	v_fmac_f32_e32 v13, v7, v12
	s_delay_alu instid0(VALU_DEP_1) | instskip(NEXT) | instid1(VALU_DEP_1)
	v_add_f32_e32 v7, v13, v13
	v_cndmask_b32_e64 v7, v13, v7, s0
	v_cmp_nlt_f32_e64 s0, 0x42b17217, v2
	s_delay_alu instid0(VALU_DEP_1) | instskip(SKIP_1) | instid1(VALU_DEP_1)
	v_cndmask_b32_e64 v7, 0x7f800000, v7, s0
	v_cmp_ngt_f32_e64 s0, 0xc1880000, v2
	v_cndmask_b32_e64 v2, -1.0, v7, s0
	s_delay_alu instid0(VALU_DEP_1) | instskip(SKIP_1) | instid1(VALU_DEP_2)
	v_bfe_u32 v7, v2, 16, 1
	v_cmp_o_f32_e64 s0, v2, v2
	v_add3_u32 v7, v2, v7, 0x7fff
	s_delay_alu instid0(VALU_DEP_1) | instskip(NEXT) | instid1(VALU_DEP_1)
	v_lshrrev_b32_e32 v7, 16, v7
	v_cndmask_b32_e64 v7, 0x7fc0, v7, s0
	s_or_b32 exec_lo, exec_lo, s1
	s_and_saveexec_b32 s0, vcc_lo
	s_delay_alu instid0(SALU_CYCLE_1)
	s_xor_b32 s0, exec_lo, s0
	s_cbranch_execnz .LBB146_45
.LBB146_33:
	s_or_b32 exec_lo, exec_lo, s0
	s_delay_alu instid0(SALU_CYCLE_1)
	s_mov_b32 s0, exec_lo
	v_cmpx_gt_i32_e64 s7, v0
	s_cbranch_execz .LBB146_46
.LBB146_34:
	v_dual_mov_b32 v2, 0 :: v_dual_add_nc_u32 v1, s12, v0
	v_add_nc_u32_e32 v0, 0x100, v0
	s_delay_alu instid0(VALU_DEP_2) | instskip(NEXT) | instid1(VALU_DEP_1)
	v_lshlrev_b64 v[1:2], 1, v[1:2]
	v_add_co_u32 v1, vcc_lo, s8, v1
	s_delay_alu instid0(VALU_DEP_2) | instskip(SKIP_2) | instid1(SALU_CYCLE_1)
	v_add_co_ci_u32_e32 v2, vcc_lo, s9, v2, vcc_lo
	global_store_b16 v[1:2], v5, off
	s_or_b32 exec_lo, exec_lo, s0
	s_mov_b32 s0, exec_lo
	v_cmpx_gt_i32_e64 s7, v0
	s_cbranch_execnz .LBB146_47
.LBB146_35:
	s_or_b32 exec_lo, exec_lo, s0
	s_delay_alu instid0(SALU_CYCLE_1)
	s_mov_b32 s0, exec_lo
	v_cmpx_gt_i32_e64 s7, v0
	s_cbranch_execz .LBB146_48
.LBB146_36:
	v_dual_mov_b32 v2, 0 :: v_dual_add_nc_u32 v1, s12, v0
	v_add_nc_u32_e32 v0, 0x100, v0
	s_delay_alu instid0(VALU_DEP_2) | instskip(NEXT) | instid1(VALU_DEP_1)
	v_lshlrev_b64 v[1:2], 1, v[1:2]
	v_add_co_u32 v1, vcc_lo, s8, v1
	s_delay_alu instid0(VALU_DEP_2) | instskip(SKIP_2) | instid1(SALU_CYCLE_1)
	v_add_co_ci_u32_e32 v2, vcc_lo, s9, v2, vcc_lo
	global_store_b16 v[1:2], v11, off
	s_or_b32 exec_lo, exec_lo, s0
	s_mov_b32 s0, exec_lo
	v_cmpx_gt_i32_e64 s7, v0
	s_cbranch_execnz .LBB146_49
.LBB146_37:
	s_or_b32 exec_lo, exec_lo, s0
	s_delay_alu instid0(SALU_CYCLE_1)
	s_mov_b32 s0, exec_lo
	v_cmpx_gt_i32_e64 s7, v0
	s_cbranch_execz .LBB146_50
.LBB146_38:
	v_dual_mov_b32 v2, 0 :: v_dual_add_nc_u32 v1, s12, v0
	v_add_nc_u32_e32 v0, 0x100, v0
	s_delay_alu instid0(VALU_DEP_2) | instskip(NEXT) | instid1(VALU_DEP_1)
	v_lshlrev_b64 v[1:2], 1, v[1:2]
	v_add_co_u32 v1, vcc_lo, s8, v1
	s_delay_alu instid0(VALU_DEP_2) | instskip(SKIP_2) | instid1(SALU_CYCLE_1)
	v_add_co_ci_u32_e32 v2, vcc_lo, s9, v2, vcc_lo
	global_store_b16 v[1:2], v10, off
	s_or_b32 exec_lo, exec_lo, s0
	s_mov_b32 s0, exec_lo
	v_cmpx_gt_i32_e64 s7, v0
	s_cbranch_execnz .LBB146_51
.LBB146_39:
	s_or_b32 exec_lo, exec_lo, s0
	s_delay_alu instid0(SALU_CYCLE_1)
	s_mov_b32 s0, exec_lo
	v_cmpx_gt_i32_e64 s7, v0
	s_cbranch_execz .LBB146_41
.LBB146_40:
	v_dual_mov_b32 v1, 0 :: v_dual_add_nc_u32 v0, s12, v0
	s_delay_alu instid0(VALU_DEP_1) | instskip(NEXT) | instid1(VALU_DEP_1)
	v_lshlrev_b64 v[0:1], 1, v[0:1]
	v_add_co_u32 v0, vcc_lo, s8, v0
	s_delay_alu instid0(VALU_DEP_2)
	v_add_co_ci_u32_e32 v1, vcc_lo, s9, v1, vcc_lo
	global_store_b16 v[0:1], v7, off
.LBB146_41:
	s_nop 0
	s_sendmsg sendmsg(MSG_DEALLOC_VGPRS)
	s_endpgm
.LBB146_42:
	s_or_b32 exec_lo, exec_lo, s1
	s_delay_alu instid0(SALU_CYCLE_1)
	s_mov_b32 s1, exec_lo
	v_cmpx_gt_i32_e64 s7, v4
	s_cbranch_execz .LBB146_17
.LBB146_43:
	v_dual_mov_b32 v13, 0 :: v_dual_add_nc_u32 v12, s12, v4
	s_delay_alu instid0(VALU_DEP_1) | instskip(NEXT) | instid1(VALU_DEP_1)
	v_lshlrev_b64 v[12:13], 1, v[12:13]
	v_add_co_u32 v12, s0, s10, v12
	s_delay_alu instid0(VALU_DEP_1)
	v_add_co_ci_u32_e64 v13, s0, s11, v13, s0
	global_load_u16 v2, v[12:13], off
	s_or_b32 exec_lo, exec_lo, s1
                                        ; implicit-def: $vgpr4
	s_and_saveexec_b32 s1, vcc_lo
	s_cbranch_execz .LBB146_19
	s_branch .LBB146_18
.LBB146_44:
	s_or_b32 exec_lo, exec_lo, s1
	s_and_saveexec_b32 s0, vcc_lo
	s_delay_alu instid0(SALU_CYCLE_1)
	s_xor_b32 s0, exec_lo, s0
	s_cbranch_execz .LBB146_33
.LBB146_45:
	v_mov_b32_e32 v2, 0
	s_delay_alu instid0(VALU_DEP_1) | instskip(NEXT) | instid1(VALU_DEP_1)
	v_lshlrev_b64 v[0:1], 1, v[1:2]
	v_add_co_u32 v12, vcc_lo, s8, v0
	s_delay_alu instid0(VALU_DEP_2) | instskip(SKIP_3) | instid1(SALU_CYCLE_1)
	v_add_co_ci_u32_e32 v13, vcc_lo, s9, v1, vcc_lo
	v_mov_b32_e32 v0, v3
	global_store_b16 v[12:13], v4, off
	s_or_b32 exec_lo, exec_lo, s0
	s_mov_b32 s0, exec_lo
	v_cmpx_gt_i32_e64 s7, v0
	s_cbranch_execnz .LBB146_34
.LBB146_46:
	s_or_b32 exec_lo, exec_lo, s0
	s_delay_alu instid0(SALU_CYCLE_1)
	s_mov_b32 s0, exec_lo
	v_cmpx_gt_i32_e64 s7, v0
	s_cbranch_execz .LBB146_35
.LBB146_47:
	v_dual_mov_b32 v2, 0 :: v_dual_add_nc_u32 v1, s12, v0
	v_add_nc_u32_e32 v0, 0x100, v0
	s_delay_alu instid0(VALU_DEP_2) | instskip(NEXT) | instid1(VALU_DEP_1)
	v_lshlrev_b64 v[1:2], 1, v[1:2]
	v_add_co_u32 v1, vcc_lo, s8, v1
	s_delay_alu instid0(VALU_DEP_2) | instskip(SKIP_2) | instid1(SALU_CYCLE_1)
	v_add_co_ci_u32_e32 v2, vcc_lo, s9, v2, vcc_lo
	global_store_b16 v[1:2], v8, off
	s_or_b32 exec_lo, exec_lo, s0
	s_mov_b32 s0, exec_lo
	v_cmpx_gt_i32_e64 s7, v0
	s_cbranch_execnz .LBB146_36
.LBB146_48:
	s_or_b32 exec_lo, exec_lo, s0
	s_delay_alu instid0(SALU_CYCLE_1)
	s_mov_b32 s0, exec_lo
	v_cmpx_gt_i32_e64 s7, v0
	s_cbranch_execz .LBB146_37
.LBB146_49:
	v_dual_mov_b32 v2, 0 :: v_dual_add_nc_u32 v1, s12, v0
	v_add_nc_u32_e32 v0, 0x100, v0
	s_delay_alu instid0(VALU_DEP_2) | instskip(NEXT) | instid1(VALU_DEP_1)
	v_lshlrev_b64 v[1:2], 1, v[1:2]
	v_add_co_u32 v1, vcc_lo, s8, v1
	s_delay_alu instid0(VALU_DEP_2) | instskip(SKIP_2) | instid1(SALU_CYCLE_1)
	v_add_co_ci_u32_e32 v2, vcc_lo, s9, v2, vcc_lo
	global_store_b16 v[1:2], v9, off
	s_or_b32 exec_lo, exec_lo, s0
	s_mov_b32 s0, exec_lo
	v_cmpx_gt_i32_e64 s7, v0
	s_cbranch_execnz .LBB146_38
.LBB146_50:
	s_or_b32 exec_lo, exec_lo, s0
	s_delay_alu instid0(SALU_CYCLE_1)
	s_mov_b32 s0, exec_lo
	v_cmpx_gt_i32_e64 s7, v0
	s_cbranch_execz .LBB146_39
.LBB146_51:
	v_dual_mov_b32 v2, 0 :: v_dual_add_nc_u32 v1, s12, v0
	v_add_nc_u32_e32 v0, 0x100, v0
	s_delay_alu instid0(VALU_DEP_2) | instskip(NEXT) | instid1(VALU_DEP_1)
	v_lshlrev_b64 v[1:2], 1, v[1:2]
	v_add_co_u32 v1, vcc_lo, s8, v1
	s_delay_alu instid0(VALU_DEP_2) | instskip(SKIP_2) | instid1(SALU_CYCLE_1)
	v_add_co_ci_u32_e32 v2, vcc_lo, s9, v2, vcc_lo
	global_store_b16 v[1:2], v6, off
	s_or_b32 exec_lo, exec_lo, s0
	s_mov_b32 s0, exec_lo
	v_cmpx_gt_i32_e64 s7, v0
	s_cbranch_execnz .LBB146_40
	s_branch .LBB146_41
	.section	.rodata,"a",@progbits
	.p2align	6, 0x0
	.amdhsa_kernel _ZN2at6native29vectorized_elementwise_kernelILi16EZZZNS0_17expm1_kernel_cudaERNS_18TensorIteratorBaseEENKUlvE_clEvENKUlvE3_clEvEUlN3c108BFloat16EE_St5arrayIPcLm2EEEEviT0_T1_
		.amdhsa_group_segment_fixed_size 0
		.amdhsa_private_segment_fixed_size 0
		.amdhsa_kernarg_size 24
		.amdhsa_user_sgpr_count 15
		.amdhsa_user_sgpr_dispatch_ptr 0
		.amdhsa_user_sgpr_queue_ptr 0
		.amdhsa_user_sgpr_kernarg_segment_ptr 1
		.amdhsa_user_sgpr_dispatch_id 0
		.amdhsa_user_sgpr_private_segment_size 0
		.amdhsa_wavefront_size32 1
		.amdhsa_uses_dynamic_stack 0
		.amdhsa_enable_private_segment 0
		.amdhsa_system_sgpr_workgroup_id_x 1
		.amdhsa_system_sgpr_workgroup_id_y 0
		.amdhsa_system_sgpr_workgroup_id_z 0
		.amdhsa_system_sgpr_workgroup_info 0
		.amdhsa_system_vgpr_workitem_id 0
		.amdhsa_next_free_vgpr 42
		.amdhsa_next_free_sgpr 16
		.amdhsa_reserve_vcc 1
		.amdhsa_float_round_mode_32 0
		.amdhsa_float_round_mode_16_64 0
		.amdhsa_float_denorm_mode_32 3
		.amdhsa_float_denorm_mode_16_64 3
		.amdhsa_dx10_clamp 1
		.amdhsa_ieee_mode 1
		.amdhsa_fp16_overflow 0
		.amdhsa_workgroup_processor_mode 1
		.amdhsa_memory_ordered 1
		.amdhsa_forward_progress 0
		.amdhsa_shared_vgpr_count 0
		.amdhsa_exception_fp_ieee_invalid_op 0
		.amdhsa_exception_fp_denorm_src 0
		.amdhsa_exception_fp_ieee_div_zero 0
		.amdhsa_exception_fp_ieee_overflow 0
		.amdhsa_exception_fp_ieee_underflow 0
		.amdhsa_exception_fp_ieee_inexact 0
		.amdhsa_exception_int_div_zero 0
	.end_amdhsa_kernel
	.section	.text._ZN2at6native29vectorized_elementwise_kernelILi16EZZZNS0_17expm1_kernel_cudaERNS_18TensorIteratorBaseEENKUlvE_clEvENKUlvE3_clEvEUlN3c108BFloat16EE_St5arrayIPcLm2EEEEviT0_T1_,"axG",@progbits,_ZN2at6native29vectorized_elementwise_kernelILi16EZZZNS0_17expm1_kernel_cudaERNS_18TensorIteratorBaseEENKUlvE_clEvENKUlvE3_clEvEUlN3c108BFloat16EE_St5arrayIPcLm2EEEEviT0_T1_,comdat
.Lfunc_end146:
	.size	_ZN2at6native29vectorized_elementwise_kernelILi16EZZZNS0_17expm1_kernel_cudaERNS_18TensorIteratorBaseEENKUlvE_clEvENKUlvE3_clEvEUlN3c108BFloat16EE_St5arrayIPcLm2EEEEviT0_T1_, .Lfunc_end146-_ZN2at6native29vectorized_elementwise_kernelILi16EZZZNS0_17expm1_kernel_cudaERNS_18TensorIteratorBaseEENKUlvE_clEvENKUlvE3_clEvEUlN3c108BFloat16EE_St5arrayIPcLm2EEEEviT0_T1_
                                        ; -- End function
	.section	.AMDGPU.csdata,"",@progbits
; Kernel info:
; codeLenInByte = 5732
; NumSgprs: 18
; NumVgprs: 42
; ScratchSize: 0
; MemoryBound: 0
; FloatMode: 240
; IeeeMode: 1
; LDSByteSize: 0 bytes/workgroup (compile time only)
; SGPRBlocks: 2
; VGPRBlocks: 5
; NumSGPRsForWavesPerEU: 18
; NumVGPRsForWavesPerEU: 42
; Occupancy: 16
; WaveLimiterHint : 0
; COMPUTE_PGM_RSRC2:SCRATCH_EN: 0
; COMPUTE_PGM_RSRC2:USER_SGPR: 15
; COMPUTE_PGM_RSRC2:TRAP_HANDLER: 0
; COMPUTE_PGM_RSRC2:TGID_X_EN: 1
; COMPUTE_PGM_RSRC2:TGID_Y_EN: 0
; COMPUTE_PGM_RSRC2:TGID_Z_EN: 0
; COMPUTE_PGM_RSRC2:TIDIG_COMP_CNT: 0
	.section	.text._ZN2at6native29vectorized_elementwise_kernelILi8EZZZNS0_17expm1_kernel_cudaERNS_18TensorIteratorBaseEENKUlvE_clEvENKUlvE3_clEvEUlN3c108BFloat16EE_St5arrayIPcLm2EEEEviT0_T1_,"axG",@progbits,_ZN2at6native29vectorized_elementwise_kernelILi8EZZZNS0_17expm1_kernel_cudaERNS_18TensorIteratorBaseEENKUlvE_clEvENKUlvE3_clEvEUlN3c108BFloat16EE_St5arrayIPcLm2EEEEviT0_T1_,comdat
	.globl	_ZN2at6native29vectorized_elementwise_kernelILi8EZZZNS0_17expm1_kernel_cudaERNS_18TensorIteratorBaseEENKUlvE_clEvENKUlvE3_clEvEUlN3c108BFloat16EE_St5arrayIPcLm2EEEEviT0_T1_ ; -- Begin function _ZN2at6native29vectorized_elementwise_kernelILi8EZZZNS0_17expm1_kernel_cudaERNS_18TensorIteratorBaseEENKUlvE_clEvENKUlvE3_clEvEUlN3c108BFloat16EE_St5arrayIPcLm2EEEEviT0_T1_
	.p2align	8
	.type	_ZN2at6native29vectorized_elementwise_kernelILi8EZZZNS0_17expm1_kernel_cudaERNS_18TensorIteratorBaseEENKUlvE_clEvENKUlvE3_clEvEUlN3c108BFloat16EE_St5arrayIPcLm2EEEEviT0_T1_,@function
_ZN2at6native29vectorized_elementwise_kernelILi8EZZZNS0_17expm1_kernel_cudaERNS_18TensorIteratorBaseEENKUlvE_clEvENKUlvE3_clEvEUlN3c108BFloat16EE_St5arrayIPcLm2EEEEviT0_T1_: ; @_ZN2at6native29vectorized_elementwise_kernelILi8EZZZNS0_17expm1_kernel_cudaERNS_18TensorIteratorBaseEENKUlvE_clEvENKUlvE3_clEvEUlN3c108BFloat16EE_St5arrayIPcLm2EEEEviT0_T1_
; %bb.0:
	s_clause 0x1
	s_load_b32 s2, s[0:1], 0x0
	s_load_b128 s[8:11], s[0:1], 0x8
	s_lshl_b32 s12, s15, 11
	s_mov_b32 s0, -1
	s_waitcnt lgkmcnt(0)
	s_sub_i32 s7, s2, s12
	s_delay_alu instid0(SALU_CYCLE_1)
	s_cmpk_gt_i32 s7, 0x7ff
	s_cbranch_scc0 .LBB147_2
; %bb.1:
	s_ashr_i32 s13, s12, 31
	v_lshlrev_b32_e32 v5, 4, v0
	s_lshl_b64 s[14:15], s[12:13], 1
	s_mov_b32 s13, 0x395133b1
	s_add_u32 s0, s10, s14
	s_addc_u32 s1, s11, s15
	global_load_b128 v[1:4], v5, s[0:1]
	s_waitcnt vmcnt(0)
	v_and_b32_e32 v6, 0xffff0000, v1
	v_and_b32_e32 v7, 0xffff0000, v2
	v_lshlrev_b32_e32 v2, 16, v2
	s_delay_alu instid0(VALU_DEP_1) | instskip(NEXT) | instid1(VALU_DEP_1)
	v_dual_mul_f32 v12, 0x3fb8aa3b, v2 :: v_dual_lshlrev_b32 v1, 16, v1
	v_mul_f32_e32 v10, 0x3fb8aa3b, v1
	s_delay_alu instid0(VALU_DEP_2) | instskip(NEXT) | instid1(VALU_DEP_2)
	v_rndne_f32_e32 v12, v12
	v_rndne_f32_e32 v10, v10
	s_delay_alu instid0(VALU_DEP_2) | instskip(NEXT) | instid1(VALU_DEP_2)
	v_cvt_i32_f32_e32 v24, v12
	v_fmamk_f32 v18, v10, 0xbf317218, v1
	v_cvt_i32_f32_e32 v20, v10
	v_cmp_eq_f32_e32 vcc_lo, 0x43000000, v10
	v_cmp_eq_f32_e64 s1, 0x43000000, v12
	s_delay_alu instid0(VALU_DEP_4) | instskip(NEXT) | instid1(VALU_DEP_4)
	v_fmac_f32_e32 v18, 0x3102e308, v10
	v_cndmask_b32_e64 v10, v20, 0x7f, vcc_lo
	s_delay_alu instid0(VALU_DEP_1) | instskip(NEXT) | instid1(VALU_DEP_1)
	v_ldexp_f32 v10, 1.0, v10
	v_add_f32_e32 v35, -1.0, v10
	v_mul_f32_e32 v11, 0x3fb8aa3b, v6
	s_delay_alu instid0(VALU_DEP_1) | instskip(NEXT) | instid1(VALU_DEP_1)
	v_rndne_f32_e32 v11, v11
	v_fmamk_f32 v19, v11, 0xbf317218, v6
	v_cvt_i32_f32_e32 v21, v11
	v_cmp_eq_f32_e64 s0, 0x43000000, v11
	s_delay_alu instid0(VALU_DEP_3) | instskip(NEXT) | instid1(VALU_DEP_2)
	v_fmac_f32_e32 v19, 0x3102e308, v11
	v_cndmask_b32_e64 v11, v21, 0x7f, s0
	s_delay_alu instid0(VALU_DEP_1) | instskip(NEXT) | instid1(VALU_DEP_1)
	v_ldexp_f32 v11, 1.0, v11
	v_add_f32_e32 v34, -1.0, v11
	v_mul_f32_e32 v13, 0x3fb8aa3b, v7
	s_delay_alu instid0(VALU_DEP_1) | instskip(NEXT) | instid1(VALU_DEP_1)
	v_rndne_f32_e32 v13, v13
	v_dual_fmamk_f32 v22, v12, 0xbf317218, v2 :: v_dual_fmamk_f32 v23, v13, 0xbf317218, v7
	v_cvt_i32_f32_e32 v25, v13
	v_cmp_eq_f32_e64 s2, 0x43000000, v13
	s_delay_alu instid0(VALU_DEP_3) | instskip(SKIP_4) | instid1(VALU_DEP_4)
	v_fmac_f32_e32 v22, 0x3102e308, v12
	v_cndmask_b32_e64 v12, v24, 0x7f, s1
	v_fmac_f32_e32 v23, 0x3102e308, v13
	v_dual_fmaak_f32 v20, s13, v18, 0x3ab69700 :: v_dual_fmaak_f32 v21, s13, v19, 0x3ab69700
	v_cndmask_b32_e64 v13, v25, 0x7f, s2
	v_ldexp_f32 v12, 1.0, v12
	v_and_b32_e32 v8, 0xffff0000, v3
	v_dual_fmaak_f32 v24, s13, v22, 0x3ab69700 :: v_dual_fmaak_f32 v25, s13, v23, 0x3ab69700
	s_delay_alu instid0(VALU_DEP_4) | instskip(SKIP_3) | instid1(VALU_DEP_4)
	v_ldexp_f32 v13, 1.0, v13
	v_and_b32_e32 v9, 0xffff0000, v4
	v_add_f32_e32 v37, -1.0, v12
	v_dual_fmaak_f32 v20, v18, v20, 0x3c0887f9 :: v_dual_fmaak_f32 v21, v19, v21, 0x3c0887f9
	v_add_f32_e32 v36, -1.0, v13
	s_delay_alu instid0(VALU_DEP_4) | instskip(SKIP_2) | instid1(VALU_DEP_3)
	v_dual_mul_f32 v17, 0x3fb8aa3b, v9 :: v_dual_lshlrev_b32 v4, 16, v4
	v_dual_fmaak_f32 v24, v22, v24, 0x3c0887f9 :: v_dual_lshlrev_b32 v3, 16, v3
	v_fmaak_f32 v25, v23, v25, 0x3c0887f9
	v_mul_f32_e32 v16, 0x3fb8aa3b, v4
	s_delay_alu instid0(VALU_DEP_4) | instskip(NEXT) | instid1(VALU_DEP_4)
	v_rndne_f32_e32 v17, v17
	v_mul_f32_e32 v14, 0x3fb8aa3b, v3
	v_dual_fmaak_f32 v20, v18, v20, 0x3d2aaa81 :: v_dual_fmaak_f32 v21, v19, v21, 0x3d2aaa81
	s_delay_alu instid0(VALU_DEP_4) | instskip(NEXT) | instid1(VALU_DEP_4)
	v_rndne_f32_e32 v16, v16
	v_fmamk_f32 v31, v17, 0xbf317218, v9
	v_cvt_i32_f32_e32 v33, v17
	v_cmp_eq_f32_e64 s6, 0x43000000, v17
	v_rndne_f32_e32 v14, v14
	v_fmamk_f32 v30, v16, 0xbf317218, v4
	v_fmac_f32_e32 v31, 0x3102e308, v17
	v_dual_fmaak_f32 v24, v22, v24, 0x3d2aaa81 :: v_dual_fmaak_f32 v25, v23, v25, 0x3d2aaa81
	v_cndmask_b32_e64 v17, v33, 0x7f, s6
	v_cvt_i32_f32_e32 v28, v14
	v_cmp_eq_f32_e64 s3, 0x43000000, v14
	v_dual_fmaak_f32 v20, v18, v20, 0x3e2aaaab :: v_dual_fmaak_f32 v21, v19, v21, 0x3e2aaaab
	s_delay_alu instid0(VALU_DEP_4)
	v_ldexp_f32 v17, 1.0, v17
	v_mul_f32_e32 v15, 0x3fb8aa3b, v8
	v_cvt_i32_f32_e32 v32, v16
	v_fmac_f32_e32 v30, 0x3102e308, v16
	v_cmp_eq_f32_e64 s5, 0x43000000, v16
	v_add_f32_e32 v40, -1.0, v17
	v_rndne_f32_e32 v15, v15
	v_fmamk_f32 v26, v14, 0xbf317218, v3
	v_dual_fmaak_f32 v24, v22, v24, 0x3e2aaaab :: v_dual_fmaak_f32 v25, v23, v25, 0x3e2aaaab
	v_fma_f32 v21, v19, v21, 0.5
	s_delay_alu instid0(VALU_DEP_4)
	v_fmamk_f32 v27, v15, 0xbf317218, v8
	v_cvt_i32_f32_e32 v29, v15
	v_fmac_f32_e32 v26, 0x3102e308, v14
	v_cmp_eq_f32_e64 s4, 0x43000000, v15
	v_cndmask_b32_e64 v14, v28, 0x7f, s3
	v_fmac_f32_e32 v27, 0x3102e308, v15
	v_fma_f32 v20, v18, v20, 0.5
	v_fmaak_f32 v28, s13, v26, 0x3ab69700
	v_cndmask_b32_e64 v15, v29, 0x7f, s4
	v_cndmask_b32_e64 v16, v32, 0x7f, s5
	v_dual_fmaak_f32 v29, s13, v27, 0x3ab69700 :: v_dual_fmaak_f32 v32, s13, v30, 0x3ab69700
	v_fmaak_f32 v33, s13, v31, 0x3ab69700
	v_fmaak_f32 v28, v26, v28, 0x3c0887f9
	v_fma_f32 v25, v23, v25, 0.5
	s_delay_alu instid0(VALU_DEP_4) | instskip(SKIP_2) | instid1(VALU_DEP_3)
	v_fmaak_f32 v29, v27, v29, 0x3c0887f9
	v_fma_f32 v24, v22, v24, 0.5
	v_dual_mul_f32 v20, v18, v20 :: v_dual_mul_f32 v21, v19, v21
	v_dual_fmaak_f32 v28, v26, v28, 0x3d2aaa81 :: v_dual_fmaak_f32 v29, v27, v29, 0x3d2aaa81
	v_ldexp_f32 v16, 1.0, v16
	v_dual_fmaak_f32 v32, v30, v32, 0x3c0887f9 :: v_dual_fmaak_f32 v33, v31, v33, 0x3c0887f9
	s_delay_alu instid0(VALU_DEP_3)
	v_dual_fmaak_f32 v28, v26, v28, 0x3e2aaaab :: v_dual_fmaak_f32 v29, v27, v29, 0x3e2aaaab
	v_dual_mul_f32 v24, v22, v24 :: v_dual_mul_f32 v25, v23, v25
	v_dual_fmac_f32 v19, v19, v21 :: v_dual_fmac_f32 v18, v18, v20
	v_add_f32_e32 v41, -1.0, v16
	v_dual_fmaak_f32 v32, v30, v32, 0x3d2aaa81 :: v_dual_fmaak_f32 v33, v31, v33, 0x3d2aaa81
	v_fma_f32 v29, v27, v29, 0.5
	v_fma_f32 v28, v26, v28, 0.5
	v_dual_fmac_f32 v23, v23, v25 :: v_dual_fmac_f32 v22, v22, v24
	v_dual_fmac_f32 v35, v10, v18 :: v_dual_fmac_f32 v34, v11, v19
	v_ldexp_f32 v15, 1.0, v15
	s_delay_alu instid0(VALU_DEP_3)
	v_fmac_f32_e32 v36, v13, v23
	v_dual_fmaak_f32 v32, v30, v32, 0x3e2aaaab :: v_dual_fmaak_f32 v33, v31, v33, 0x3e2aaaab
	v_dual_mul_f32 v28, v26, v28 :: v_dual_mul_f32 v29, v27, v29
	v_dual_add_f32 v10, v34, v34 :: v_dual_add_f32 v11, v35, v35
	v_ldexp_f32 v14, 1.0, v14
	v_add_f32_e32 v38, -1.0, v15
	v_fma_f32 v33, v31, v33, 0.5
	v_fma_f32 v32, v30, v32, 0.5
	v_dual_fmac_f32 v27, v27, v29 :: v_dual_fmac_f32 v26, v26, v28
	v_cndmask_b32_e32 v11, v35, v11, vcc_lo
	v_cndmask_b32_e64 v10, v34, v10, s0
	v_cmp_nlt_f32_e32 vcc_lo, 0x42b17217, v6
	v_dual_add_f32 v39, -1.0, v14 :: v_dual_mul_f32 v32, v30, v32
	v_mul_f32_e32 v33, v31, v33
	v_dual_fmac_f32 v37, v12, v22 :: v_dual_fmac_f32 v38, v15, v27
	v_add_f32_e32 v12, v36, v36
	v_cndmask_b32_e32 v10, 0x7f800000, v10, vcc_lo
	v_cmp_nlt_f32_e32 vcc_lo, 0x42b17217, v1
	s_delay_alu instid0(VALU_DEP_4) | instskip(SKIP_4) | instid1(VALU_DEP_4)
	v_add_f32_e32 v13, v37, v37
	v_dual_fmac_f32 v31, v31, v33 :: v_dual_fmac_f32 v30, v30, v32
	v_cndmask_b32_e64 v12, v36, v12, s2
	v_cndmask_b32_e32 v11, 0x7f800000, v11, vcc_lo
	v_cmp_nlt_f32_e32 vcc_lo, 0x42b17217, v7
	v_dual_fmac_f32 v39, v14, v26 :: v_dual_fmac_f32 v40, v17, v31
	v_fmac_f32_e32 v41, v16, v30
	v_add_f32_e32 v14, v38, v38
	v_cndmask_b32_e64 v13, v37, v13, s1
	s_delay_alu instid0(VALU_DEP_4) | instskip(SKIP_1) | instid1(VALU_DEP_4)
	v_dual_add_f32 v15, v39, v39 :: v_dual_cndmask_b32 v12, 0x7f800000, v12
	v_cmp_nlt_f32_e32 vcc_lo, 0x42b17217, v2
	v_cndmask_b32_e64 v14, v38, v14, s4
	v_dual_add_f32 v16, v40, v40 :: v_dual_add_f32 v17, v41, v41
	s_delay_alu instid0(VALU_DEP_4) | instskip(SKIP_2) | instid1(VALU_DEP_4)
	v_cndmask_b32_e64 v15, v39, v15, s3
	v_cndmask_b32_e32 v13, 0x7f800000, v13, vcc_lo
	v_cmp_nlt_f32_e32 vcc_lo, 0x42b17217, v8
	v_cndmask_b32_e64 v16, v40, v16, s6
	v_cndmask_b32_e64 v17, v41, v17, s5
	s_add_u32 s2, s8, s14
	s_addc_u32 s3, s9, s15
	v_cndmask_b32_e32 v14, 0x7f800000, v14, vcc_lo
	v_cmp_nlt_f32_e32 vcc_lo, 0x42b17217, v3
	s_mov_b32 s0, 0
	v_cndmask_b32_e32 v15, 0x7f800000, v15, vcc_lo
	v_cmp_nlt_f32_e32 vcc_lo, 0x42b17217, v9
	v_cndmask_b32_e32 v16, 0x7f800000, v16, vcc_lo
	v_cmp_nlt_f32_e32 vcc_lo, 0x42b17217, v4
	v_cndmask_b32_e32 v17, 0x7f800000, v17, vcc_lo
	v_cmp_ngt_f32_e32 vcc_lo, 0xc1880000, v1
	v_cndmask_b32_e32 v1, -1.0, v11, vcc_lo
	v_cmp_ngt_f32_e32 vcc_lo, 0xc1880000, v6
	v_cndmask_b32_e32 v6, -1.0, v10, vcc_lo
	v_cmp_ngt_f32_e32 vcc_lo, 0xc1880000, v2
	s_delay_alu instid0(VALU_DEP_2) | instskip(SKIP_3) | instid1(VALU_DEP_4)
	v_bfe_u32 v10, v6, 16, 1
	v_cndmask_b32_e32 v2, -1.0, v13, vcc_lo
	v_cmp_ngt_f32_e32 vcc_lo, 0xc1880000, v7
	v_bfe_u32 v11, v1, 16, 1
	v_add3_u32 v10, v6, v10, 0x7fff
	s_delay_alu instid0(VALU_DEP_4)
	v_bfe_u32 v13, v2, 16, 1
	v_cndmask_b32_e32 v7, -1.0, v12, vcc_lo
	v_cmp_ngt_f32_e32 vcc_lo, 0xc1880000, v3
	v_add3_u32 v11, v1, v11, 0x7fff
	v_lshrrev_b32_e32 v10, 16, v10
	v_add3_u32 v13, v2, v13, 0x7fff
	v_cndmask_b32_e32 v3, -1.0, v15, vcc_lo
	v_cmp_ngt_f32_e32 vcc_lo, 0xc1880000, v8
	v_lshrrev_b32_e32 v11, 16, v11
	s_delay_alu instid0(VALU_DEP_4) | instskip(SKIP_3) | instid1(VALU_DEP_3)
	v_lshrrev_b32_e32 v13, 16, v13
	v_cndmask_b32_e32 v8, -1.0, v14, vcc_lo
	v_cmp_ngt_f32_e32 vcc_lo, 0xc1880000, v4
	v_bfe_u32 v12, v7, 16, 1
	v_bfe_u32 v14, v8, 16, 1
	v_cndmask_b32_e32 v4, -1.0, v17, vcc_lo
	v_cmp_ngt_f32_e32 vcc_lo, 0xc1880000, v9
	s_delay_alu instid0(VALU_DEP_4)
	v_add3_u32 v12, v7, v12, 0x7fff
	v_bfe_u32 v15, v3, 16, 1
	v_add3_u32 v14, v8, v14, 0x7fff
	v_bfe_u32 v17, v4, 16, 1
	v_cndmask_b32_e32 v9, -1.0, v16, vcc_lo
	v_cmp_o_f32_e32 vcc_lo, v6, v6
	v_lshrrev_b32_e32 v12, 16, v12
	v_lshrrev_b32_e32 v14, 16, v14
	v_add3_u32 v17, v4, v17, 0x7fff
	v_bfe_u32 v16, v9, 16, 1
	v_cndmask_b32_e32 v6, 0x7fc0, v10, vcc_lo
	v_cmp_o_f32_e32 vcc_lo, v7, v7
	v_add3_u32 v15, v3, v15, 0x7fff
	v_lshrrev_b32_e32 v17, 16, v17
	v_add3_u32 v16, v9, v16, 0x7fff
	v_cndmask_b32_e32 v7, 0x7fc0, v12, vcc_lo
	v_cmp_o_f32_e32 vcc_lo, v2, v2
	v_lshrrev_b32_e32 v15, 16, v15
	s_delay_alu instid0(VALU_DEP_4) | instskip(SKIP_2) | instid1(VALU_DEP_2)
	v_lshrrev_b32_e32 v16, 16, v16
	v_cndmask_b32_e32 v2, 0x7fc0, v13, vcc_lo
	v_cmp_o_f32_e32 vcc_lo, v8, v8
	v_perm_b32 v2, v7, v2, 0x5040100
	v_cndmask_b32_e32 v8, 0x7fc0, v14, vcc_lo
	v_cmp_o_f32_e32 vcc_lo, v9, v9
	v_cndmask_b32_e32 v9, 0x7fc0, v16, vcc_lo
	v_cmp_o_f32_e32 vcc_lo, v4, v4
	;; [unrolled: 2-line block ×3, first 2 shown]
	s_delay_alu instid0(VALU_DEP_2) | instskip(SKIP_2) | instid1(VALU_DEP_2)
	v_perm_b32 v4, v9, v4, 0x5040100
	v_cndmask_b32_e32 v3, 0x7fc0, v15, vcc_lo
	v_cmp_o_f32_e32 vcc_lo, v1, v1
	v_perm_b32 v3, v8, v3, 0x5040100
	v_cndmask_b32_e32 v1, 0x7fc0, v11, vcc_lo
	s_delay_alu instid0(VALU_DEP_1)
	v_perm_b32 v1, v6, v1, 0x5040100
	global_store_b128 v5, v[1:4], s[2:3]
.LBB147_2:
	s_and_not1_b32 vcc_lo, exec_lo, s0
	s_cbranch_vccnz .LBB147_41
; %bb.3:
	v_cmp_gt_i32_e32 vcc_lo, s7, v0
	v_dual_mov_b32 v8, 0 :: v_dual_mov_b32 v5, 0
	v_or_b32_e32 v1, s12, v0
	v_or_b32_e32 v3, 0x100, v0
	v_mov_b32_e32 v4, v0
	s_and_saveexec_b32 s1, vcc_lo
	s_cbranch_execz .LBB147_5
; %bb.4:
	v_mov_b32_e32 v2, 0
	s_delay_alu instid0(VALU_DEP_1) | instskip(NEXT) | instid1(VALU_DEP_1)
	v_lshlrev_b64 v[4:5], 1, v[1:2]
	v_add_co_u32 v4, s0, s10, v4
	s_delay_alu instid0(VALU_DEP_1)
	v_add_co_ci_u32_e64 v5, s0, s11, v5, s0
	global_load_u16 v5, v[4:5], off
	v_or_b32_e32 v4, 0x100, v0
.LBB147_5:
	s_or_b32 exec_lo, exec_lo, s1
	s_delay_alu instid0(SALU_CYCLE_1) | instskip(NEXT) | instid1(VALU_DEP_1)
	s_mov_b32 s1, exec_lo
	v_cmpx_gt_i32_e64 s7, v4
	s_cbranch_execz .LBB147_7
; %bb.6:
	v_dual_mov_b32 v7, 0 :: v_dual_add_nc_u32 v6, s12, v4
	v_add_nc_u32_e32 v4, 0x100, v4
	s_delay_alu instid0(VALU_DEP_2) | instskip(NEXT) | instid1(VALU_DEP_1)
	v_lshlrev_b64 v[6:7], 1, v[6:7]
	v_add_co_u32 v6, s0, s10, v6
	s_delay_alu instid0(VALU_DEP_1)
	v_add_co_ci_u32_e64 v7, s0, s11, v7, s0
	global_load_u16 v8, v[6:7], off
.LBB147_7:
	s_or_b32 exec_lo, exec_lo, s1
	v_mov_b32_e32 v9, 0
	v_mov_b32_e32 v11, 0
	s_mov_b32 s1, exec_lo
	v_cmpx_gt_i32_e64 s7, v4
	s_cbranch_execz .LBB147_9
; %bb.8:
	v_dual_mov_b32 v7, 0 :: v_dual_add_nc_u32 v6, s12, v4
	v_add_nc_u32_e32 v4, 0x100, v4
	s_delay_alu instid0(VALU_DEP_2) | instskip(NEXT) | instid1(VALU_DEP_1)
	v_lshlrev_b64 v[6:7], 1, v[6:7]
	v_add_co_u32 v6, s0, s10, v6
	s_delay_alu instid0(VALU_DEP_1)
	v_add_co_ci_u32_e64 v7, s0, s11, v7, s0
	global_load_u16 v11, v[6:7], off
.LBB147_9:
	s_or_b32 exec_lo, exec_lo, s1
	s_delay_alu instid0(SALU_CYCLE_1)
	s_mov_b32 s1, exec_lo
	v_cmpx_gt_i32_e64 s7, v4
	s_cbranch_execz .LBB147_11
; %bb.10:
	v_dual_mov_b32 v7, 0 :: v_dual_add_nc_u32 v6, s12, v4
	v_add_nc_u32_e32 v4, 0x100, v4
	s_delay_alu instid0(VALU_DEP_2) | instskip(NEXT) | instid1(VALU_DEP_1)
	v_lshlrev_b64 v[6:7], 1, v[6:7]
	v_add_co_u32 v6, s0, s10, v6
	s_delay_alu instid0(VALU_DEP_1)
	v_add_co_ci_u32_e64 v7, s0, s11, v7, s0
	global_load_u16 v9, v[6:7], off
.LBB147_11:
	s_or_b32 exec_lo, exec_lo, s1
	v_mov_b32_e32 v6, 0
	v_mov_b32_e32 v10, 0
	s_mov_b32 s1, exec_lo
	v_cmpx_gt_i32_e64 s7, v4
	s_cbranch_execz .LBB147_13
; %bb.12:
	v_dual_mov_b32 v13, 0 :: v_dual_add_nc_u32 v12, s12, v4
	v_add_nc_u32_e32 v4, 0x100, v4
	s_delay_alu instid0(VALU_DEP_2) | instskip(NEXT) | instid1(VALU_DEP_1)
	v_lshlrev_b64 v[12:13], 1, v[12:13]
	v_add_co_u32 v12, s0, s10, v12
	s_delay_alu instid0(VALU_DEP_1)
	v_add_co_ci_u32_e64 v13, s0, s11, v13, s0
	global_load_u16 v10, v[12:13], off
.LBB147_13:
	s_or_b32 exec_lo, exec_lo, s1
	s_delay_alu instid0(SALU_CYCLE_1)
	s_mov_b32 s1, exec_lo
	v_cmpx_gt_i32_e64 s7, v4
	s_cbranch_execz .LBB147_15
; %bb.14:
	v_dual_mov_b32 v7, 0 :: v_dual_add_nc_u32 v6, s12, v4
	v_add_nc_u32_e32 v4, 0x100, v4
	s_delay_alu instid0(VALU_DEP_2) | instskip(NEXT) | instid1(VALU_DEP_1)
	v_lshlrev_b64 v[6:7], 1, v[6:7]
	v_add_co_u32 v6, s0, s10, v6
	s_delay_alu instid0(VALU_DEP_1)
	v_add_co_ci_u32_e64 v7, s0, s11, v7, s0
	global_load_u16 v6, v[6:7], off
.LBB147_15:
	s_or_b32 exec_lo, exec_lo, s1
	v_dual_mov_b32 v2, 0 :: v_dual_mov_b32 v7, 0
	s_mov_b32 s1, exec_lo
	v_cmpx_gt_i32_e64 s7, v4
	s_cbranch_execz .LBB147_42
; %bb.16:
	v_dual_mov_b32 v13, 0 :: v_dual_add_nc_u32 v12, s12, v4
	v_add_nc_u32_e32 v4, 0x100, v4
	s_delay_alu instid0(VALU_DEP_2) | instskip(NEXT) | instid1(VALU_DEP_1)
	v_lshlrev_b64 v[12:13], 1, v[12:13]
	v_add_co_u32 v12, s0, s10, v12
	s_delay_alu instid0(VALU_DEP_1) | instskip(SKIP_2) | instid1(SALU_CYCLE_1)
	v_add_co_ci_u32_e64 v13, s0, s11, v13, s0
	global_load_u16 v7, v[12:13], off
	s_or_b32 exec_lo, exec_lo, s1
	s_mov_b32 s1, exec_lo
	v_cmpx_gt_i32_e64 s7, v4
	s_cbranch_execnz .LBB147_43
.LBB147_17:
	s_or_b32 exec_lo, exec_lo, s1
                                        ; implicit-def: $vgpr4
	s_and_saveexec_b32 s1, vcc_lo
	s_cbranch_execz .LBB147_19
.LBB147_18:
	s_mov_b32 s0, 0x395133b1
	s_waitcnt vmcnt(0)
	v_lshlrev_b32_e32 v4, 16, v5
	s_delay_alu instid0(VALU_DEP_1) | instskip(NEXT) | instid1(VALU_DEP_1)
	v_mul_f32_e32 v5, 0x3fb8aa3b, v4
	v_rndne_f32_e32 v5, v5
	s_delay_alu instid0(VALU_DEP_1) | instskip(SKIP_1) | instid1(VALU_DEP_2)
	v_fmamk_f32 v12, v5, 0xbf317218, v4
	v_cvt_i32_f32_e32 v14, v5
	v_fmamk_f32 v12, v5, 0x3102e308, v12
	s_delay_alu instid0(VALU_DEP_1) | instskip(SKIP_1) | instid1(VALU_DEP_2)
	v_fmaak_f32 v13, s0, v12, 0x3ab69700
	v_cmp_eq_f32_e64 s0, 0x43000000, v5
	v_fmaak_f32 v13, v12, v13, 0x3c0887f9
	s_delay_alu instid0(VALU_DEP_2) | instskip(NEXT) | instid1(VALU_DEP_2)
	v_cndmask_b32_e64 v5, v14, 0x7f, s0
	v_fmaak_f32 v13, v12, v13, 0x3d2aaa81
	s_delay_alu instid0(VALU_DEP_2) | instskip(NEXT) | instid1(VALU_DEP_2)
	v_ldexp_f32 v5, 1.0, v5
	v_fmaak_f32 v13, v12, v13, 0x3e2aaaab
	s_delay_alu instid0(VALU_DEP_1) | instskip(NEXT) | instid1(VALU_DEP_1)
	v_fma_f32 v13, v12, v13, 0.5
	v_mul_f32_e32 v13, v12, v13
	s_delay_alu instid0(VALU_DEP_1) | instskip(SKIP_1) | instid1(VALU_DEP_1)
	v_fmac_f32_e32 v12, v12, v13
	v_add_f32_e32 v13, -1.0, v5
	v_fmac_f32_e32 v13, v5, v12
	s_delay_alu instid0(VALU_DEP_1) | instskip(NEXT) | instid1(VALU_DEP_1)
	v_add_f32_e32 v5, v13, v13
	v_cndmask_b32_e64 v5, v13, v5, s0
	v_cmp_nlt_f32_e64 s0, 0x42b17217, v4
	s_delay_alu instid0(VALU_DEP_1) | instskip(SKIP_1) | instid1(VALU_DEP_1)
	v_cndmask_b32_e64 v5, 0x7f800000, v5, s0
	v_cmp_ngt_f32_e64 s0, 0xc1880000, v4
	v_cndmask_b32_e64 v4, -1.0, v5, s0
	s_delay_alu instid0(VALU_DEP_1) | instskip(SKIP_1) | instid1(VALU_DEP_2)
	v_bfe_u32 v5, v4, 16, 1
	v_cmp_o_f32_e64 s0, v4, v4
	v_add3_u32 v5, v4, v5, 0x7fff
	s_delay_alu instid0(VALU_DEP_1) | instskip(NEXT) | instid1(VALU_DEP_1)
	v_lshrrev_b32_e32 v5, 16, v5
	v_cndmask_b32_e64 v4, 0x7fc0, v5, s0
.LBB147_19:
	s_or_b32 exec_lo, exec_lo, s1
	s_delay_alu instid0(SALU_CYCLE_1)
	s_mov_b32 s1, exec_lo
                                        ; implicit-def: $vgpr5
	v_cmpx_gt_i32_e64 s7, v3
	s_cbranch_execz .LBB147_21
; %bb.20:
	s_waitcnt vmcnt(0)
	v_lshlrev_b32_e32 v5, 16, v8
	s_mov_b32 s0, 0x395133b1
	s_delay_alu instid0(VALU_DEP_1) | instskip(NEXT) | instid1(VALU_DEP_1)
	v_mul_f32_e32 v8, 0x3fb8aa3b, v5
	v_rndne_f32_e32 v8, v8
	s_delay_alu instid0(VALU_DEP_1) | instskip(SKIP_1) | instid1(VALU_DEP_2)
	v_fmamk_f32 v12, v8, 0xbf317218, v5
	v_cvt_i32_f32_e32 v14, v8
	v_fmamk_f32 v12, v8, 0x3102e308, v12
	s_delay_alu instid0(VALU_DEP_1) | instskip(SKIP_1) | instid1(VALU_DEP_2)
	v_fmaak_f32 v13, s0, v12, 0x3ab69700
	v_cmp_eq_f32_e64 s0, 0x43000000, v8
	v_fmaak_f32 v13, v12, v13, 0x3c0887f9
	s_delay_alu instid0(VALU_DEP_2) | instskip(NEXT) | instid1(VALU_DEP_2)
	v_cndmask_b32_e64 v8, v14, 0x7f, s0
	v_fmaak_f32 v13, v12, v13, 0x3d2aaa81
	s_delay_alu instid0(VALU_DEP_2) | instskip(NEXT) | instid1(VALU_DEP_2)
	v_ldexp_f32 v8, 1.0, v8
	v_fmaak_f32 v13, v12, v13, 0x3e2aaaab
	s_delay_alu instid0(VALU_DEP_1) | instskip(NEXT) | instid1(VALU_DEP_1)
	v_fma_f32 v13, v12, v13, 0.5
	v_mul_f32_e32 v13, v12, v13
	s_delay_alu instid0(VALU_DEP_1) | instskip(NEXT) | instid1(VALU_DEP_1)
	v_dual_fmac_f32 v12, v12, v13 :: v_dual_add_f32 v13, -1.0, v8
	v_fmac_f32_e32 v13, v8, v12
	s_delay_alu instid0(VALU_DEP_1) | instskip(NEXT) | instid1(VALU_DEP_1)
	v_add_f32_e32 v8, v13, v13
	v_cndmask_b32_e64 v8, v13, v8, s0
	v_cmp_nlt_f32_e64 s0, 0x42b17217, v5
	s_delay_alu instid0(VALU_DEP_1) | instskip(SKIP_1) | instid1(VALU_DEP_1)
	v_cndmask_b32_e64 v8, 0x7f800000, v8, s0
	v_cmp_ngt_f32_e64 s0, 0xc1880000, v5
	v_cndmask_b32_e64 v5, -1.0, v8, s0
	s_delay_alu instid0(VALU_DEP_1) | instskip(SKIP_1) | instid1(VALU_DEP_2)
	v_bfe_u32 v8, v5, 16, 1
	v_cmp_o_f32_e64 s0, v5, v5
	v_add3_u32 v8, v5, v8, 0x7fff
	s_delay_alu instid0(VALU_DEP_1) | instskip(NEXT) | instid1(VALU_DEP_1)
	v_lshrrev_b32_e32 v8, 16, v8
	v_cndmask_b32_e64 v5, 0x7fc0, v8, s0
.LBB147_21:
	s_or_b32 exec_lo, exec_lo, s1
	s_waitcnt vmcnt(0)
	v_or_b32_e32 v8, 0x200, v0
	s_delay_alu instid0(VALU_DEP_1) | instskip(NEXT) | instid1(VALU_DEP_1)
	v_cmp_gt_i32_e64 s0, s7, v8
                                        ; implicit-def: $vgpr8
	s_and_saveexec_b32 s1, s0
	s_cbranch_execz .LBB147_23
; %bb.22:
	s_mov_b32 s0, 0x395133b1
	v_lshlrev_b32_e32 v8, 16, v11
	s_delay_alu instid0(VALU_DEP_1) | instskip(NEXT) | instid1(VALU_DEP_1)
	v_mul_f32_e32 v11, 0x3fb8aa3b, v8
	v_rndne_f32_e32 v11, v11
	s_delay_alu instid0(VALU_DEP_1) | instskip(SKIP_1) | instid1(VALU_DEP_2)
	v_fmamk_f32 v12, v11, 0xbf317218, v8
	v_cvt_i32_f32_e32 v14, v11
	v_fmamk_f32 v12, v11, 0x3102e308, v12
	s_delay_alu instid0(VALU_DEP_1) | instskip(SKIP_1) | instid1(VALU_DEP_2)
	v_fmaak_f32 v13, s0, v12, 0x3ab69700
	v_cmp_eq_f32_e64 s0, 0x43000000, v11
	v_fmaak_f32 v13, v12, v13, 0x3c0887f9
	s_delay_alu instid0(VALU_DEP_2) | instskip(NEXT) | instid1(VALU_DEP_2)
	v_cndmask_b32_e64 v11, v14, 0x7f, s0
	v_fmaak_f32 v13, v12, v13, 0x3d2aaa81
	s_delay_alu instid0(VALU_DEP_2) | instskip(NEXT) | instid1(VALU_DEP_2)
	v_ldexp_f32 v11, 1.0, v11
	v_fmaak_f32 v13, v12, v13, 0x3e2aaaab
	s_delay_alu instid0(VALU_DEP_1) | instskip(NEXT) | instid1(VALU_DEP_1)
	v_fma_f32 v13, v12, v13, 0.5
	v_mul_f32_e32 v13, v12, v13
	s_delay_alu instid0(VALU_DEP_1) | instskip(NEXT) | instid1(VALU_DEP_1)
	v_dual_fmac_f32 v12, v12, v13 :: v_dual_add_f32 v13, -1.0, v11
	v_fmac_f32_e32 v13, v11, v12
	s_delay_alu instid0(VALU_DEP_1) | instskip(NEXT) | instid1(VALU_DEP_1)
	v_add_f32_e32 v11, v13, v13
	v_cndmask_b32_e64 v11, v13, v11, s0
	v_cmp_nlt_f32_e64 s0, 0x42b17217, v8
	s_delay_alu instid0(VALU_DEP_1) | instskip(SKIP_1) | instid1(VALU_DEP_1)
	v_cndmask_b32_e64 v11, 0x7f800000, v11, s0
	v_cmp_ngt_f32_e64 s0, 0xc1880000, v8
	v_cndmask_b32_e64 v8, -1.0, v11, s0
	s_delay_alu instid0(VALU_DEP_1) | instskip(SKIP_1) | instid1(VALU_DEP_2)
	v_bfe_u32 v11, v8, 16, 1
	v_cmp_o_f32_e64 s0, v8, v8
	v_add3_u32 v11, v8, v11, 0x7fff
	s_delay_alu instid0(VALU_DEP_1) | instskip(NEXT) | instid1(VALU_DEP_1)
	v_lshrrev_b32_e32 v11, 16, v11
	v_cndmask_b32_e64 v8, 0x7fc0, v11, s0
.LBB147_23:
	s_or_b32 exec_lo, exec_lo, s1
	v_or_b32_e32 v11, 0x300, v0
	s_delay_alu instid0(VALU_DEP_1) | instskip(NEXT) | instid1(VALU_DEP_1)
	v_cmp_gt_i32_e64 s0, s7, v11
                                        ; implicit-def: $vgpr11
	s_and_saveexec_b32 s1, s0
	s_cbranch_execz .LBB147_25
; %bb.24:
	v_lshlrev_b32_e32 v9, 16, v9
	s_mov_b32 s0, 0x395133b1
	s_delay_alu instid0(VALU_DEP_1) | instskip(NEXT) | instid1(VALU_DEP_1)
	v_mul_f32_e32 v11, 0x3fb8aa3b, v9
	v_rndne_f32_e32 v11, v11
	s_delay_alu instid0(VALU_DEP_1) | instskip(SKIP_1) | instid1(VALU_DEP_2)
	v_fmamk_f32 v12, v11, 0xbf317218, v9
	v_cvt_i32_f32_e32 v14, v11
	v_fmamk_f32 v12, v11, 0x3102e308, v12
	s_delay_alu instid0(VALU_DEP_1) | instskip(SKIP_1) | instid1(VALU_DEP_2)
	v_fmaak_f32 v13, s0, v12, 0x3ab69700
	v_cmp_eq_f32_e64 s0, 0x43000000, v11
	v_fmaak_f32 v13, v12, v13, 0x3c0887f9
	s_delay_alu instid0(VALU_DEP_2) | instskip(NEXT) | instid1(VALU_DEP_2)
	v_cndmask_b32_e64 v11, v14, 0x7f, s0
	v_fmaak_f32 v13, v12, v13, 0x3d2aaa81
	s_delay_alu instid0(VALU_DEP_2) | instskip(NEXT) | instid1(VALU_DEP_2)
	v_ldexp_f32 v11, 1.0, v11
	v_fmaak_f32 v13, v12, v13, 0x3e2aaaab
	s_delay_alu instid0(VALU_DEP_1) | instskip(NEXT) | instid1(VALU_DEP_1)
	v_fma_f32 v13, v12, v13, 0.5
	v_mul_f32_e32 v13, v12, v13
	s_delay_alu instid0(VALU_DEP_1) | instskip(NEXT) | instid1(VALU_DEP_1)
	v_dual_fmac_f32 v12, v12, v13 :: v_dual_add_f32 v13, -1.0, v11
	v_fmac_f32_e32 v13, v11, v12
	s_delay_alu instid0(VALU_DEP_1) | instskip(NEXT) | instid1(VALU_DEP_1)
	v_add_f32_e32 v11, v13, v13
	v_cndmask_b32_e64 v11, v13, v11, s0
	v_cmp_nlt_f32_e64 s0, 0x42b17217, v9
	s_delay_alu instid0(VALU_DEP_1) | instskip(SKIP_1) | instid1(VALU_DEP_1)
	v_cndmask_b32_e64 v11, 0x7f800000, v11, s0
	v_cmp_ngt_f32_e64 s0, 0xc1880000, v9
	v_cndmask_b32_e64 v9, -1.0, v11, s0
	s_delay_alu instid0(VALU_DEP_1) | instskip(SKIP_1) | instid1(VALU_DEP_2)
	v_bfe_u32 v11, v9, 16, 1
	v_cmp_o_f32_e64 s0, v9, v9
	v_add3_u32 v11, v9, v11, 0x7fff
	s_delay_alu instid0(VALU_DEP_1) | instskip(NEXT) | instid1(VALU_DEP_1)
	v_lshrrev_b32_e32 v11, 16, v11
	v_cndmask_b32_e64 v11, 0x7fc0, v11, s0
.LBB147_25:
	s_or_b32 exec_lo, exec_lo, s1
	v_or_b32_e32 v9, 0x400, v0
	s_delay_alu instid0(VALU_DEP_1) | instskip(NEXT) | instid1(VALU_DEP_1)
	v_cmp_gt_i32_e64 s0, s7, v9
                                        ; implicit-def: $vgpr9
	s_and_saveexec_b32 s1, s0
	s_cbranch_execz .LBB147_27
; %bb.26:
	v_lshlrev_b32_e32 v9, 16, v10
	s_mov_b32 s0, 0x395133b1
	s_delay_alu instid0(VALU_DEP_1) | instskip(NEXT) | instid1(VALU_DEP_1)
	v_mul_f32_e32 v10, 0x3fb8aa3b, v9
	v_rndne_f32_e32 v10, v10
	s_delay_alu instid0(VALU_DEP_1) | instskip(SKIP_1) | instid1(VALU_DEP_2)
	v_fmamk_f32 v12, v10, 0xbf317218, v9
	v_cvt_i32_f32_e32 v14, v10
	v_fmamk_f32 v12, v10, 0x3102e308, v12
	s_delay_alu instid0(VALU_DEP_1) | instskip(SKIP_1) | instid1(VALU_DEP_2)
	v_fmaak_f32 v13, s0, v12, 0x3ab69700
	v_cmp_eq_f32_e64 s0, 0x43000000, v10
	v_fmaak_f32 v13, v12, v13, 0x3c0887f9
	s_delay_alu instid0(VALU_DEP_2) | instskip(NEXT) | instid1(VALU_DEP_2)
	v_cndmask_b32_e64 v10, v14, 0x7f, s0
	v_fmaak_f32 v13, v12, v13, 0x3d2aaa81
	s_delay_alu instid0(VALU_DEP_2) | instskip(NEXT) | instid1(VALU_DEP_2)
	v_ldexp_f32 v10, 1.0, v10
	v_fmaak_f32 v13, v12, v13, 0x3e2aaaab
	s_delay_alu instid0(VALU_DEP_1) | instskip(NEXT) | instid1(VALU_DEP_1)
	v_fma_f32 v13, v12, v13, 0.5
	v_mul_f32_e32 v13, v12, v13
	s_delay_alu instid0(VALU_DEP_1) | instskip(NEXT) | instid1(VALU_DEP_1)
	v_dual_fmac_f32 v12, v12, v13 :: v_dual_add_f32 v13, -1.0, v10
	v_fmac_f32_e32 v13, v10, v12
	s_delay_alu instid0(VALU_DEP_1) | instskip(NEXT) | instid1(VALU_DEP_1)
	v_add_f32_e32 v10, v13, v13
	v_cndmask_b32_e64 v10, v13, v10, s0
	v_cmp_nlt_f32_e64 s0, 0x42b17217, v9
	s_delay_alu instid0(VALU_DEP_1) | instskip(SKIP_1) | instid1(VALU_DEP_1)
	v_cndmask_b32_e64 v10, 0x7f800000, v10, s0
	v_cmp_ngt_f32_e64 s0, 0xc1880000, v9
	v_cndmask_b32_e64 v9, -1.0, v10, s0
	s_delay_alu instid0(VALU_DEP_1) | instskip(SKIP_1) | instid1(VALU_DEP_2)
	v_bfe_u32 v10, v9, 16, 1
	v_cmp_o_f32_e64 s0, v9, v9
	v_add3_u32 v10, v9, v10, 0x7fff
	s_delay_alu instid0(VALU_DEP_1) | instskip(NEXT) | instid1(VALU_DEP_1)
	v_lshrrev_b32_e32 v10, 16, v10
	v_cndmask_b32_e64 v9, 0x7fc0, v10, s0
.LBB147_27:
	s_or_b32 exec_lo, exec_lo, s1
	v_or_b32_e32 v10, 0x500, v0
	s_delay_alu instid0(VALU_DEP_1) | instskip(NEXT) | instid1(VALU_DEP_1)
	v_cmp_gt_i32_e64 s0, s7, v10
                                        ; implicit-def: $vgpr10
	s_and_saveexec_b32 s1, s0
	s_cbranch_execz .LBB147_29
; %bb.28:
	s_mov_b32 s0, 0x395133b1
	v_lshlrev_b32_e32 v6, 16, v6
	s_delay_alu instid0(VALU_DEP_1) | instskip(NEXT) | instid1(VALU_DEP_1)
	v_mul_f32_e32 v10, 0x3fb8aa3b, v6
	v_rndne_f32_e32 v10, v10
	s_delay_alu instid0(VALU_DEP_1) | instskip(SKIP_1) | instid1(VALU_DEP_2)
	v_fmamk_f32 v12, v10, 0xbf317218, v6
	v_cvt_i32_f32_e32 v14, v10
	v_fmamk_f32 v12, v10, 0x3102e308, v12
	s_delay_alu instid0(VALU_DEP_1) | instskip(SKIP_1) | instid1(VALU_DEP_2)
	v_fmaak_f32 v13, s0, v12, 0x3ab69700
	v_cmp_eq_f32_e64 s0, 0x43000000, v10
	v_fmaak_f32 v13, v12, v13, 0x3c0887f9
	s_delay_alu instid0(VALU_DEP_2) | instskip(NEXT) | instid1(VALU_DEP_2)
	v_cndmask_b32_e64 v10, v14, 0x7f, s0
	v_fmaak_f32 v13, v12, v13, 0x3d2aaa81
	s_delay_alu instid0(VALU_DEP_2) | instskip(NEXT) | instid1(VALU_DEP_2)
	v_ldexp_f32 v10, 1.0, v10
	v_fmaak_f32 v13, v12, v13, 0x3e2aaaab
	s_delay_alu instid0(VALU_DEP_1) | instskip(NEXT) | instid1(VALU_DEP_1)
	v_fma_f32 v13, v12, v13, 0.5
	v_mul_f32_e32 v13, v12, v13
	s_delay_alu instid0(VALU_DEP_1) | instskip(NEXT) | instid1(VALU_DEP_1)
	v_dual_fmac_f32 v12, v12, v13 :: v_dual_add_f32 v13, -1.0, v10
	v_fmac_f32_e32 v13, v10, v12
	s_delay_alu instid0(VALU_DEP_1) | instskip(NEXT) | instid1(VALU_DEP_1)
	v_add_f32_e32 v10, v13, v13
	v_cndmask_b32_e64 v10, v13, v10, s0
	v_cmp_nlt_f32_e64 s0, 0x42b17217, v6
	s_delay_alu instid0(VALU_DEP_1) | instskip(SKIP_1) | instid1(VALU_DEP_1)
	v_cndmask_b32_e64 v10, 0x7f800000, v10, s0
	v_cmp_ngt_f32_e64 s0, 0xc1880000, v6
	v_cndmask_b32_e64 v6, -1.0, v10, s0
	s_delay_alu instid0(VALU_DEP_1) | instskip(SKIP_1) | instid1(VALU_DEP_2)
	v_bfe_u32 v10, v6, 16, 1
	v_cmp_o_f32_e64 s0, v6, v6
	v_add3_u32 v10, v6, v10, 0x7fff
	s_delay_alu instid0(VALU_DEP_1) | instskip(NEXT) | instid1(VALU_DEP_1)
	v_lshrrev_b32_e32 v10, 16, v10
	v_cndmask_b32_e64 v10, 0x7fc0, v10, s0
.LBB147_29:
	s_or_b32 exec_lo, exec_lo, s1
	v_or_b32_e32 v6, 0x600, v0
	s_delay_alu instid0(VALU_DEP_1) | instskip(NEXT) | instid1(VALU_DEP_1)
	v_cmp_gt_i32_e64 s0, s7, v6
                                        ; implicit-def: $vgpr6
	s_and_saveexec_b32 s1, s0
	s_cbranch_execz .LBB147_31
; %bb.30:
	s_mov_b32 s0, 0x395133b1
	v_lshlrev_b32_e32 v6, 16, v7
	s_delay_alu instid0(VALU_DEP_1) | instskip(NEXT) | instid1(VALU_DEP_1)
	v_mul_f32_e32 v7, 0x3fb8aa3b, v6
	v_rndne_f32_e32 v7, v7
	s_delay_alu instid0(VALU_DEP_1) | instskip(SKIP_1) | instid1(VALU_DEP_2)
	v_fmamk_f32 v12, v7, 0xbf317218, v6
	v_cvt_i32_f32_e32 v14, v7
	v_fmamk_f32 v12, v7, 0x3102e308, v12
	s_delay_alu instid0(VALU_DEP_1) | instskip(SKIP_1) | instid1(VALU_DEP_2)
	v_fmaak_f32 v13, s0, v12, 0x3ab69700
	v_cmp_eq_f32_e64 s0, 0x43000000, v7
	v_fmaak_f32 v13, v12, v13, 0x3c0887f9
	s_delay_alu instid0(VALU_DEP_2) | instskip(NEXT) | instid1(VALU_DEP_2)
	v_cndmask_b32_e64 v7, v14, 0x7f, s0
	v_fmaak_f32 v13, v12, v13, 0x3d2aaa81
	s_delay_alu instid0(VALU_DEP_2) | instskip(NEXT) | instid1(VALU_DEP_2)
	v_ldexp_f32 v7, 1.0, v7
	v_fmaak_f32 v13, v12, v13, 0x3e2aaaab
	s_delay_alu instid0(VALU_DEP_1) | instskip(NEXT) | instid1(VALU_DEP_1)
	v_fma_f32 v13, v12, v13, 0.5
	v_mul_f32_e32 v13, v12, v13
	s_delay_alu instid0(VALU_DEP_1) | instskip(NEXT) | instid1(VALU_DEP_1)
	v_dual_fmac_f32 v12, v12, v13 :: v_dual_add_f32 v13, -1.0, v7
	v_fmac_f32_e32 v13, v7, v12
	s_delay_alu instid0(VALU_DEP_1) | instskip(NEXT) | instid1(VALU_DEP_1)
	v_add_f32_e32 v7, v13, v13
	v_cndmask_b32_e64 v7, v13, v7, s0
	v_cmp_nlt_f32_e64 s0, 0x42b17217, v6
	s_delay_alu instid0(VALU_DEP_1) | instskip(SKIP_1) | instid1(VALU_DEP_1)
	v_cndmask_b32_e64 v7, 0x7f800000, v7, s0
	v_cmp_ngt_f32_e64 s0, 0xc1880000, v6
	v_cndmask_b32_e64 v6, -1.0, v7, s0
	s_delay_alu instid0(VALU_DEP_1) | instskip(SKIP_1) | instid1(VALU_DEP_2)
	v_bfe_u32 v7, v6, 16, 1
	v_cmp_o_f32_e64 s0, v6, v6
	v_add3_u32 v7, v6, v7, 0x7fff
	s_delay_alu instid0(VALU_DEP_1) | instskip(NEXT) | instid1(VALU_DEP_1)
	v_lshrrev_b32_e32 v7, 16, v7
	v_cndmask_b32_e64 v6, 0x7fc0, v7, s0
.LBB147_31:
	s_or_b32 exec_lo, exec_lo, s1
	v_or_b32_e32 v7, 0x700, v0
	s_delay_alu instid0(VALU_DEP_1) | instskip(NEXT) | instid1(VALU_DEP_1)
	v_cmp_gt_i32_e64 s0, s7, v7
                                        ; implicit-def: $vgpr7
	s_and_saveexec_b32 s1, s0
	s_cbranch_execz .LBB147_44
; %bb.32:
	s_mov_b32 s0, 0x395133b1
	v_lshlrev_b32_e32 v2, 16, v2
	s_delay_alu instid0(VALU_DEP_1) | instskip(NEXT) | instid1(VALU_DEP_1)
	v_mul_f32_e32 v7, 0x3fb8aa3b, v2
	v_rndne_f32_e32 v7, v7
	s_delay_alu instid0(VALU_DEP_1) | instskip(SKIP_1) | instid1(VALU_DEP_2)
	v_fmamk_f32 v12, v7, 0xbf317218, v2
	v_cvt_i32_f32_e32 v14, v7
	v_fmamk_f32 v12, v7, 0x3102e308, v12
	s_delay_alu instid0(VALU_DEP_1) | instskip(SKIP_1) | instid1(VALU_DEP_2)
	v_fmaak_f32 v13, s0, v12, 0x3ab69700
	v_cmp_eq_f32_e64 s0, 0x43000000, v7
	v_fmaak_f32 v13, v12, v13, 0x3c0887f9
	s_delay_alu instid0(VALU_DEP_2) | instskip(NEXT) | instid1(VALU_DEP_2)
	v_cndmask_b32_e64 v7, v14, 0x7f, s0
	v_fmaak_f32 v13, v12, v13, 0x3d2aaa81
	s_delay_alu instid0(VALU_DEP_2) | instskip(NEXT) | instid1(VALU_DEP_2)
	v_ldexp_f32 v7, 1.0, v7
	v_fmaak_f32 v13, v12, v13, 0x3e2aaaab
	s_delay_alu instid0(VALU_DEP_1) | instskip(NEXT) | instid1(VALU_DEP_1)
	v_fma_f32 v13, v12, v13, 0.5
	v_mul_f32_e32 v13, v12, v13
	s_delay_alu instid0(VALU_DEP_1) | instskip(NEXT) | instid1(VALU_DEP_1)
	v_dual_fmac_f32 v12, v12, v13 :: v_dual_add_f32 v13, -1.0, v7
	v_fmac_f32_e32 v13, v7, v12
	s_delay_alu instid0(VALU_DEP_1) | instskip(NEXT) | instid1(VALU_DEP_1)
	v_add_f32_e32 v7, v13, v13
	v_cndmask_b32_e64 v7, v13, v7, s0
	v_cmp_nlt_f32_e64 s0, 0x42b17217, v2
	s_delay_alu instid0(VALU_DEP_1) | instskip(SKIP_1) | instid1(VALU_DEP_1)
	v_cndmask_b32_e64 v7, 0x7f800000, v7, s0
	v_cmp_ngt_f32_e64 s0, 0xc1880000, v2
	v_cndmask_b32_e64 v2, -1.0, v7, s0
	s_delay_alu instid0(VALU_DEP_1) | instskip(SKIP_1) | instid1(VALU_DEP_2)
	v_bfe_u32 v7, v2, 16, 1
	v_cmp_o_f32_e64 s0, v2, v2
	v_add3_u32 v7, v2, v7, 0x7fff
	s_delay_alu instid0(VALU_DEP_1) | instskip(NEXT) | instid1(VALU_DEP_1)
	v_lshrrev_b32_e32 v7, 16, v7
	v_cndmask_b32_e64 v7, 0x7fc0, v7, s0
	s_or_b32 exec_lo, exec_lo, s1
	s_and_saveexec_b32 s0, vcc_lo
	s_delay_alu instid0(SALU_CYCLE_1)
	s_xor_b32 s0, exec_lo, s0
	s_cbranch_execnz .LBB147_45
.LBB147_33:
	s_or_b32 exec_lo, exec_lo, s0
	s_delay_alu instid0(SALU_CYCLE_1)
	s_mov_b32 s0, exec_lo
	v_cmpx_gt_i32_e64 s7, v0
	s_cbranch_execz .LBB147_46
.LBB147_34:
	v_dual_mov_b32 v2, 0 :: v_dual_add_nc_u32 v1, s12, v0
	v_add_nc_u32_e32 v0, 0x100, v0
	s_delay_alu instid0(VALU_DEP_2) | instskip(NEXT) | instid1(VALU_DEP_1)
	v_lshlrev_b64 v[1:2], 1, v[1:2]
	v_add_co_u32 v1, vcc_lo, s8, v1
	s_delay_alu instid0(VALU_DEP_2) | instskip(SKIP_2) | instid1(SALU_CYCLE_1)
	v_add_co_ci_u32_e32 v2, vcc_lo, s9, v2, vcc_lo
	global_store_b16 v[1:2], v5, off
	s_or_b32 exec_lo, exec_lo, s0
	s_mov_b32 s0, exec_lo
	v_cmpx_gt_i32_e64 s7, v0
	s_cbranch_execnz .LBB147_47
.LBB147_35:
	s_or_b32 exec_lo, exec_lo, s0
	s_delay_alu instid0(SALU_CYCLE_1)
	s_mov_b32 s0, exec_lo
	v_cmpx_gt_i32_e64 s7, v0
	s_cbranch_execz .LBB147_48
.LBB147_36:
	v_dual_mov_b32 v2, 0 :: v_dual_add_nc_u32 v1, s12, v0
	v_add_nc_u32_e32 v0, 0x100, v0
	s_delay_alu instid0(VALU_DEP_2) | instskip(NEXT) | instid1(VALU_DEP_1)
	v_lshlrev_b64 v[1:2], 1, v[1:2]
	v_add_co_u32 v1, vcc_lo, s8, v1
	s_delay_alu instid0(VALU_DEP_2) | instskip(SKIP_2) | instid1(SALU_CYCLE_1)
	v_add_co_ci_u32_e32 v2, vcc_lo, s9, v2, vcc_lo
	global_store_b16 v[1:2], v11, off
	s_or_b32 exec_lo, exec_lo, s0
	s_mov_b32 s0, exec_lo
	v_cmpx_gt_i32_e64 s7, v0
	s_cbranch_execnz .LBB147_49
.LBB147_37:
	s_or_b32 exec_lo, exec_lo, s0
	s_delay_alu instid0(SALU_CYCLE_1)
	s_mov_b32 s0, exec_lo
	v_cmpx_gt_i32_e64 s7, v0
	s_cbranch_execz .LBB147_50
.LBB147_38:
	v_dual_mov_b32 v2, 0 :: v_dual_add_nc_u32 v1, s12, v0
	v_add_nc_u32_e32 v0, 0x100, v0
	s_delay_alu instid0(VALU_DEP_2) | instskip(NEXT) | instid1(VALU_DEP_1)
	v_lshlrev_b64 v[1:2], 1, v[1:2]
	v_add_co_u32 v1, vcc_lo, s8, v1
	s_delay_alu instid0(VALU_DEP_2) | instskip(SKIP_2) | instid1(SALU_CYCLE_1)
	v_add_co_ci_u32_e32 v2, vcc_lo, s9, v2, vcc_lo
	global_store_b16 v[1:2], v10, off
	s_or_b32 exec_lo, exec_lo, s0
	s_mov_b32 s0, exec_lo
	v_cmpx_gt_i32_e64 s7, v0
	s_cbranch_execnz .LBB147_51
.LBB147_39:
	s_or_b32 exec_lo, exec_lo, s0
	s_delay_alu instid0(SALU_CYCLE_1)
	s_mov_b32 s0, exec_lo
	v_cmpx_gt_i32_e64 s7, v0
	s_cbranch_execz .LBB147_41
.LBB147_40:
	v_dual_mov_b32 v1, 0 :: v_dual_add_nc_u32 v0, s12, v0
	s_delay_alu instid0(VALU_DEP_1) | instskip(NEXT) | instid1(VALU_DEP_1)
	v_lshlrev_b64 v[0:1], 1, v[0:1]
	v_add_co_u32 v0, vcc_lo, s8, v0
	s_delay_alu instid0(VALU_DEP_2)
	v_add_co_ci_u32_e32 v1, vcc_lo, s9, v1, vcc_lo
	global_store_b16 v[0:1], v7, off
.LBB147_41:
	s_nop 0
	s_sendmsg sendmsg(MSG_DEALLOC_VGPRS)
	s_endpgm
.LBB147_42:
	s_or_b32 exec_lo, exec_lo, s1
	s_delay_alu instid0(SALU_CYCLE_1)
	s_mov_b32 s1, exec_lo
	v_cmpx_gt_i32_e64 s7, v4
	s_cbranch_execz .LBB147_17
.LBB147_43:
	v_dual_mov_b32 v13, 0 :: v_dual_add_nc_u32 v12, s12, v4
	s_delay_alu instid0(VALU_DEP_1) | instskip(NEXT) | instid1(VALU_DEP_1)
	v_lshlrev_b64 v[12:13], 1, v[12:13]
	v_add_co_u32 v12, s0, s10, v12
	s_delay_alu instid0(VALU_DEP_1)
	v_add_co_ci_u32_e64 v13, s0, s11, v13, s0
	global_load_u16 v2, v[12:13], off
	s_or_b32 exec_lo, exec_lo, s1
                                        ; implicit-def: $vgpr4
	s_and_saveexec_b32 s1, vcc_lo
	s_cbranch_execz .LBB147_19
	s_branch .LBB147_18
.LBB147_44:
	s_or_b32 exec_lo, exec_lo, s1
	s_and_saveexec_b32 s0, vcc_lo
	s_delay_alu instid0(SALU_CYCLE_1)
	s_xor_b32 s0, exec_lo, s0
	s_cbranch_execz .LBB147_33
.LBB147_45:
	v_mov_b32_e32 v2, 0
	s_delay_alu instid0(VALU_DEP_1) | instskip(NEXT) | instid1(VALU_DEP_1)
	v_lshlrev_b64 v[0:1], 1, v[1:2]
	v_add_co_u32 v12, vcc_lo, s8, v0
	s_delay_alu instid0(VALU_DEP_2) | instskip(SKIP_3) | instid1(SALU_CYCLE_1)
	v_add_co_ci_u32_e32 v13, vcc_lo, s9, v1, vcc_lo
	v_mov_b32_e32 v0, v3
	global_store_b16 v[12:13], v4, off
	s_or_b32 exec_lo, exec_lo, s0
	s_mov_b32 s0, exec_lo
	v_cmpx_gt_i32_e64 s7, v0
	s_cbranch_execnz .LBB147_34
.LBB147_46:
	s_or_b32 exec_lo, exec_lo, s0
	s_delay_alu instid0(SALU_CYCLE_1)
	s_mov_b32 s0, exec_lo
	v_cmpx_gt_i32_e64 s7, v0
	s_cbranch_execz .LBB147_35
.LBB147_47:
	v_dual_mov_b32 v2, 0 :: v_dual_add_nc_u32 v1, s12, v0
	v_add_nc_u32_e32 v0, 0x100, v0
	s_delay_alu instid0(VALU_DEP_2) | instskip(NEXT) | instid1(VALU_DEP_1)
	v_lshlrev_b64 v[1:2], 1, v[1:2]
	v_add_co_u32 v1, vcc_lo, s8, v1
	s_delay_alu instid0(VALU_DEP_2) | instskip(SKIP_2) | instid1(SALU_CYCLE_1)
	v_add_co_ci_u32_e32 v2, vcc_lo, s9, v2, vcc_lo
	global_store_b16 v[1:2], v8, off
	s_or_b32 exec_lo, exec_lo, s0
	s_mov_b32 s0, exec_lo
	v_cmpx_gt_i32_e64 s7, v0
	s_cbranch_execnz .LBB147_36
.LBB147_48:
	s_or_b32 exec_lo, exec_lo, s0
	s_delay_alu instid0(SALU_CYCLE_1)
	s_mov_b32 s0, exec_lo
	v_cmpx_gt_i32_e64 s7, v0
	s_cbranch_execz .LBB147_37
.LBB147_49:
	v_dual_mov_b32 v2, 0 :: v_dual_add_nc_u32 v1, s12, v0
	v_add_nc_u32_e32 v0, 0x100, v0
	s_delay_alu instid0(VALU_DEP_2) | instskip(NEXT) | instid1(VALU_DEP_1)
	v_lshlrev_b64 v[1:2], 1, v[1:2]
	v_add_co_u32 v1, vcc_lo, s8, v1
	s_delay_alu instid0(VALU_DEP_2) | instskip(SKIP_2) | instid1(SALU_CYCLE_1)
	v_add_co_ci_u32_e32 v2, vcc_lo, s9, v2, vcc_lo
	global_store_b16 v[1:2], v9, off
	s_or_b32 exec_lo, exec_lo, s0
	s_mov_b32 s0, exec_lo
	v_cmpx_gt_i32_e64 s7, v0
	s_cbranch_execnz .LBB147_38
.LBB147_50:
	s_or_b32 exec_lo, exec_lo, s0
	s_delay_alu instid0(SALU_CYCLE_1)
	s_mov_b32 s0, exec_lo
	v_cmpx_gt_i32_e64 s7, v0
	s_cbranch_execz .LBB147_39
.LBB147_51:
	v_dual_mov_b32 v2, 0 :: v_dual_add_nc_u32 v1, s12, v0
	v_add_nc_u32_e32 v0, 0x100, v0
	s_delay_alu instid0(VALU_DEP_2) | instskip(NEXT) | instid1(VALU_DEP_1)
	v_lshlrev_b64 v[1:2], 1, v[1:2]
	v_add_co_u32 v1, vcc_lo, s8, v1
	s_delay_alu instid0(VALU_DEP_2) | instskip(SKIP_2) | instid1(SALU_CYCLE_1)
	v_add_co_ci_u32_e32 v2, vcc_lo, s9, v2, vcc_lo
	global_store_b16 v[1:2], v6, off
	s_or_b32 exec_lo, exec_lo, s0
	s_mov_b32 s0, exec_lo
	v_cmpx_gt_i32_e64 s7, v0
	s_cbranch_execnz .LBB147_40
	s_branch .LBB147_41
	.section	.rodata,"a",@progbits
	.p2align	6, 0x0
	.amdhsa_kernel _ZN2at6native29vectorized_elementwise_kernelILi8EZZZNS0_17expm1_kernel_cudaERNS_18TensorIteratorBaseEENKUlvE_clEvENKUlvE3_clEvEUlN3c108BFloat16EE_St5arrayIPcLm2EEEEviT0_T1_
		.amdhsa_group_segment_fixed_size 0
		.amdhsa_private_segment_fixed_size 0
		.amdhsa_kernarg_size 24
		.amdhsa_user_sgpr_count 15
		.amdhsa_user_sgpr_dispatch_ptr 0
		.amdhsa_user_sgpr_queue_ptr 0
		.amdhsa_user_sgpr_kernarg_segment_ptr 1
		.amdhsa_user_sgpr_dispatch_id 0
		.amdhsa_user_sgpr_private_segment_size 0
		.amdhsa_wavefront_size32 1
		.amdhsa_uses_dynamic_stack 0
		.amdhsa_enable_private_segment 0
		.amdhsa_system_sgpr_workgroup_id_x 1
		.amdhsa_system_sgpr_workgroup_id_y 0
		.amdhsa_system_sgpr_workgroup_id_z 0
		.amdhsa_system_sgpr_workgroup_info 0
		.amdhsa_system_vgpr_workitem_id 0
		.amdhsa_next_free_vgpr 42
		.amdhsa_next_free_sgpr 16
		.amdhsa_reserve_vcc 1
		.amdhsa_float_round_mode_32 0
		.amdhsa_float_round_mode_16_64 0
		.amdhsa_float_denorm_mode_32 3
		.amdhsa_float_denorm_mode_16_64 3
		.amdhsa_dx10_clamp 1
		.amdhsa_ieee_mode 1
		.amdhsa_fp16_overflow 0
		.amdhsa_workgroup_processor_mode 1
		.amdhsa_memory_ordered 1
		.amdhsa_forward_progress 0
		.amdhsa_shared_vgpr_count 0
		.amdhsa_exception_fp_ieee_invalid_op 0
		.amdhsa_exception_fp_denorm_src 0
		.amdhsa_exception_fp_ieee_div_zero 0
		.amdhsa_exception_fp_ieee_overflow 0
		.amdhsa_exception_fp_ieee_underflow 0
		.amdhsa_exception_fp_ieee_inexact 0
		.amdhsa_exception_int_div_zero 0
	.end_amdhsa_kernel
	.section	.text._ZN2at6native29vectorized_elementwise_kernelILi8EZZZNS0_17expm1_kernel_cudaERNS_18TensorIteratorBaseEENKUlvE_clEvENKUlvE3_clEvEUlN3c108BFloat16EE_St5arrayIPcLm2EEEEviT0_T1_,"axG",@progbits,_ZN2at6native29vectorized_elementwise_kernelILi8EZZZNS0_17expm1_kernel_cudaERNS_18TensorIteratorBaseEENKUlvE_clEvENKUlvE3_clEvEUlN3c108BFloat16EE_St5arrayIPcLm2EEEEviT0_T1_,comdat
.Lfunc_end147:
	.size	_ZN2at6native29vectorized_elementwise_kernelILi8EZZZNS0_17expm1_kernel_cudaERNS_18TensorIteratorBaseEENKUlvE_clEvENKUlvE3_clEvEUlN3c108BFloat16EE_St5arrayIPcLm2EEEEviT0_T1_, .Lfunc_end147-_ZN2at6native29vectorized_elementwise_kernelILi8EZZZNS0_17expm1_kernel_cudaERNS_18TensorIteratorBaseEENKUlvE_clEvENKUlvE3_clEvEUlN3c108BFloat16EE_St5arrayIPcLm2EEEEviT0_T1_
                                        ; -- End function
	.section	.AMDGPU.csdata,"",@progbits
; Kernel info:
; codeLenInByte = 5732
; NumSgprs: 18
; NumVgprs: 42
; ScratchSize: 0
; MemoryBound: 0
; FloatMode: 240
; IeeeMode: 1
; LDSByteSize: 0 bytes/workgroup (compile time only)
; SGPRBlocks: 2
; VGPRBlocks: 5
; NumSGPRsForWavesPerEU: 18
; NumVGPRsForWavesPerEU: 42
; Occupancy: 16
; WaveLimiterHint : 0
; COMPUTE_PGM_RSRC2:SCRATCH_EN: 0
; COMPUTE_PGM_RSRC2:USER_SGPR: 15
; COMPUTE_PGM_RSRC2:TRAP_HANDLER: 0
; COMPUTE_PGM_RSRC2:TGID_X_EN: 1
; COMPUTE_PGM_RSRC2:TGID_Y_EN: 0
; COMPUTE_PGM_RSRC2:TGID_Z_EN: 0
; COMPUTE_PGM_RSRC2:TIDIG_COMP_CNT: 0
	.section	.text._ZN2at6native29vectorized_elementwise_kernelILi4EZZZNS0_17expm1_kernel_cudaERNS_18TensorIteratorBaseEENKUlvE_clEvENKUlvE3_clEvEUlN3c108BFloat16EE_St5arrayIPcLm2EEEEviT0_T1_,"axG",@progbits,_ZN2at6native29vectorized_elementwise_kernelILi4EZZZNS0_17expm1_kernel_cudaERNS_18TensorIteratorBaseEENKUlvE_clEvENKUlvE3_clEvEUlN3c108BFloat16EE_St5arrayIPcLm2EEEEviT0_T1_,comdat
	.globl	_ZN2at6native29vectorized_elementwise_kernelILi4EZZZNS0_17expm1_kernel_cudaERNS_18TensorIteratorBaseEENKUlvE_clEvENKUlvE3_clEvEUlN3c108BFloat16EE_St5arrayIPcLm2EEEEviT0_T1_ ; -- Begin function _ZN2at6native29vectorized_elementwise_kernelILi4EZZZNS0_17expm1_kernel_cudaERNS_18TensorIteratorBaseEENKUlvE_clEvENKUlvE3_clEvEUlN3c108BFloat16EE_St5arrayIPcLm2EEEEviT0_T1_
	.p2align	8
	.type	_ZN2at6native29vectorized_elementwise_kernelILi4EZZZNS0_17expm1_kernel_cudaERNS_18TensorIteratorBaseEENKUlvE_clEvENKUlvE3_clEvEUlN3c108BFloat16EE_St5arrayIPcLm2EEEEviT0_T1_,@function
_ZN2at6native29vectorized_elementwise_kernelILi4EZZZNS0_17expm1_kernel_cudaERNS_18TensorIteratorBaseEENKUlvE_clEvENKUlvE3_clEvEUlN3c108BFloat16EE_St5arrayIPcLm2EEEEviT0_T1_: ; @_ZN2at6native29vectorized_elementwise_kernelILi4EZZZNS0_17expm1_kernel_cudaERNS_18TensorIteratorBaseEENKUlvE_clEvENKUlvE3_clEvEUlN3c108BFloat16EE_St5arrayIPcLm2EEEEviT0_T1_
; %bb.0:
	s_clause 0x1
	s_load_b32 s2, s[0:1], 0x0
	s_load_b128 s[8:11], s[0:1], 0x8
	s_lshl_b32 s12, s15, 11
	s_mov_b32 s0, -1
	s_waitcnt lgkmcnt(0)
	s_sub_i32 s7, s2, s12
	s_delay_alu instid0(SALU_CYCLE_1)
	s_cmpk_gt_i32 s7, 0x7ff
	s_cbranch_scc0 .LBB148_2
; %bb.1:
	s_ashr_i32 s13, s12, 31
	v_lshlrev_b32_e32 v5, 3, v0
	s_lshl_b64 s[14:15], s[12:13], 1
	s_mov_b32 s13, 0x395133b1
	s_add_u32 s0, s10, s14
	s_addc_u32 s1, s11, s15
	s_clause 0x1
	global_load_b64 v[1:2], v5, s[0:1]
	global_load_b64 v[3:4], v5, s[0:1] offset:2048
	s_waitcnt vmcnt(1)
	v_and_b32_e32 v6, 0xffff0000, v1
	v_and_b32_e32 v7, 0xffff0000, v2
	v_lshlrev_b32_e32 v2, 16, v2
	v_lshlrev_b32_e32 v1, 16, v1
	s_delay_alu instid0(VALU_DEP_4) | instskip(NEXT) | instid1(VALU_DEP_3)
	v_mul_f32_e32 v11, 0x3fb8aa3b, v6
	v_mul_f32_e32 v12, 0x3fb8aa3b, v2
	s_delay_alu instid0(VALU_DEP_3) | instskip(NEXT) | instid1(VALU_DEP_3)
	v_mul_f32_e32 v10, 0x3fb8aa3b, v1
	v_rndne_f32_e32 v11, v11
	s_delay_alu instid0(VALU_DEP_3) | instskip(NEXT) | instid1(VALU_DEP_3)
	v_rndne_f32_e32 v12, v12
	v_rndne_f32_e32 v10, v10
	s_delay_alu instid0(VALU_DEP_3) | instskip(SKIP_1) | instid1(VALU_DEP_4)
	v_cvt_i32_f32_e32 v21, v11
	v_cmp_eq_f32_e64 s0, 0x43000000, v11
	v_cvt_i32_f32_e32 v23, v12
	s_delay_alu instid0(VALU_DEP_4) | instskip(SKIP_3) | instid1(VALU_DEP_4)
	v_fmamk_f32 v18, v10, 0xbf317218, v1
	v_cvt_i32_f32_e32 v19, v10
	v_cmp_eq_f32_e32 vcc_lo, 0x43000000, v10
	v_cmp_eq_f32_e64 s1, 0x43000000, v12
	v_fmac_f32_e32 v18, 0x3102e308, v10
	s_delay_alu instid0(VALU_DEP_4) | instskip(NEXT) | instid1(VALU_DEP_2)
	v_cndmask_b32_e64 v10, v19, 0x7f, vcc_lo
	v_fmaak_f32 v19, s13, v18, 0x3ab69700
	s_delay_alu instid0(VALU_DEP_2) | instskip(SKIP_2) | instid1(VALU_DEP_3)
	v_ldexp_f32 v10, 1.0, v10
	s_waitcnt vmcnt(0)
	v_and_b32_e32 v9, 0xffff0000, v4
	v_dual_fmaak_f32 v19, v18, v19, 0x3c0887f9 :: v_dual_lshlrev_b32 v4, 16, v4
	s_delay_alu instid0(VALU_DEP_3) | instskip(NEXT) | instid1(VALU_DEP_2)
	v_add_f32_e32 v34, -1.0, v10
	v_mul_f32_e32 v16, 0x3fb8aa3b, v4
	s_delay_alu instid0(VALU_DEP_3) | instskip(NEXT) | instid1(VALU_DEP_2)
	v_fmaak_f32 v19, v18, v19, 0x3d2aaa81
	v_rndne_f32_e32 v16, v16
	s_delay_alu instid0(VALU_DEP_2) | instskip(NEXT) | instid1(VALU_DEP_2)
	v_fmaak_f32 v19, v18, v19, 0x3e2aaaab
	v_cvt_i32_f32_e32 v31, v16
	s_delay_alu instid0(VALU_DEP_2) | instskip(SKIP_2) | instid1(VALU_DEP_2)
	v_fma_f32 v19, v18, v19, 0.5
	v_fmamk_f32 v22, v12, 0xbf317218, v2
	v_cmp_eq_f32_e64 s5, 0x43000000, v16
	v_dual_mul_f32 v19, v18, v19 :: v_dual_fmac_f32 v22, 0x3102e308, v12
	v_cndmask_b32_e64 v12, v23, 0x7f, s1
	s_delay_alu instid0(VALU_DEP_2) | instskip(NEXT) | instid1(VALU_DEP_2)
	v_fmaak_f32 v23, s13, v22, 0x3ab69700
	v_ldexp_f32 v12, 1.0, v12
	s_delay_alu instid0(VALU_DEP_1) | instskip(NEXT) | instid1(VALU_DEP_3)
	v_dual_add_f32 v36, -1.0, v12 :: v_dual_mul_f32 v13, 0x3fb8aa3b, v7
	v_fmaak_f32 v23, v22, v23, 0x3c0887f9
	s_delay_alu instid0(VALU_DEP_2) | instskip(NEXT) | instid1(VALU_DEP_2)
	v_rndne_f32_e32 v13, v13
	v_fmaak_f32 v23, v22, v23, 0x3d2aaa81
	s_delay_alu instid0(VALU_DEP_2) | instskip(SKIP_2) | instid1(VALU_DEP_4)
	v_fmamk_f32 v24, v13, 0xbf317218, v7
	v_cvt_i32_f32_e32 v25, v13
	v_cmp_eq_f32_e64 s2, 0x43000000, v13
	v_fmaak_f32 v23, v22, v23, 0x3e2aaaab
	s_delay_alu instid0(VALU_DEP_4) | instskip(NEXT) | instid1(VALU_DEP_3)
	v_fmac_f32_e32 v24, 0x3102e308, v13
	v_cndmask_b32_e64 v13, v25, 0x7f, s2
	s_delay_alu instid0(VALU_DEP_3) | instskip(NEXT) | instid1(VALU_DEP_2)
	v_fma_f32 v23, v22, v23, 0.5
	v_ldexp_f32 v13, 1.0, v13
	v_and_b32_e32 v8, 0xffff0000, v3
	v_lshlrev_b32_e32 v3, 16, v3
	s_delay_alu instid0(VALU_DEP_4) | instskip(SKIP_2) | instid1(VALU_DEP_4)
	v_mul_f32_e32 v23, v22, v23
	v_fmaak_f32 v25, s13, v24, 0x3ab69700
	v_add_f32_e32 v37, -1.0, v13
	v_dual_mul_f32 v15, 0x3fb8aa3b, v8 :: v_dual_mul_f32 v14, 0x3fb8aa3b, v3
	s_delay_alu instid0(VALU_DEP_3) | instskip(NEXT) | instid1(VALU_DEP_2)
	v_fmaak_f32 v25, v24, v25, 0x3c0887f9
	v_rndne_f32_e32 v15, v15
	s_delay_alu instid0(VALU_DEP_3) | instskip(NEXT) | instid1(VALU_DEP_3)
	v_rndne_f32_e32 v14, v14
	v_fmaak_f32 v25, v24, v25, 0x3d2aaa81
	s_delay_alu instid0(VALU_DEP_3)
	v_fmamk_f32 v28, v15, 0xbf317218, v8
	v_cvt_i32_f32_e32 v29, v15
	v_cmp_eq_f32_e64 s4, 0x43000000, v15
	v_cvt_i32_f32_e32 v27, v14
	v_cmp_eq_f32_e64 s3, 0x43000000, v14
	v_fmac_f32_e32 v28, 0x3102e308, v15
	v_fmaak_f32 v25, v24, v25, 0x3e2aaaab
	v_cndmask_b32_e64 v15, v29, 0x7f, s4
	s_delay_alu instid0(VALU_DEP_2) | instskip(SKIP_1) | instid1(VALU_DEP_3)
	v_fma_f32 v25, v24, v25, 0.5
	v_fmamk_f32 v26, v14, 0xbf317218, v3
	v_ldexp_f32 v15, 1.0, v15
	s_delay_alu instid0(VALU_DEP_3) | instskip(SKIP_1) | instid1(VALU_DEP_4)
	v_mul_f32_e32 v25, v24, v25
	v_fmaak_f32 v29, s13, v28, 0x3ab69700
	v_fmac_f32_e32 v26, 0x3102e308, v14
	v_cndmask_b32_e64 v14, v27, 0x7f, s3
	v_add_f32_e32 v39, -1.0, v15
	s_delay_alu instid0(VALU_DEP_4) | instskip(NEXT) | instid1(VALU_DEP_3)
	v_fmaak_f32 v29, v28, v29, 0x3c0887f9
	v_ldexp_f32 v14, 1.0, v14
	v_mul_f32_e32 v17, 0x3fb8aa3b, v9
	s_delay_alu instid0(VALU_DEP_2) | instskip(NEXT) | instid1(VALU_DEP_2)
	v_dual_fmaak_f32 v29, v28, v29, 0x3d2aaa81 :: v_dual_add_f32 v38, -1.0, v14
	v_rndne_f32_e32 v17, v17
	s_delay_alu instid0(VALU_DEP_2) | instskip(NEXT) | instid1(VALU_DEP_2)
	v_fmaak_f32 v29, v28, v29, 0x3e2aaaab
	v_cvt_i32_f32_e32 v33, v17
	v_cmp_eq_f32_e64 s6, 0x43000000, v17
	s_delay_alu instid0(VALU_DEP_3) | instskip(NEXT) | instid1(VALU_DEP_1)
	v_fma_f32 v29, v28, v29, 0.5
	v_dual_fmamk_f32 v32, v17, 0xbf317218, v9 :: v_dual_mul_f32 v29, v28, v29
	s_delay_alu instid0(VALU_DEP_1) | instskip(NEXT) | instid1(VALU_DEP_4)
	v_fmac_f32_e32 v32, 0x3102e308, v17
	v_cndmask_b32_e64 v17, v33, 0x7f, s6
	s_delay_alu instid0(VALU_DEP_2) | instskip(NEXT) | instid1(VALU_DEP_2)
	v_fmaak_f32 v33, s13, v32, 0x3ab69700
	v_ldexp_f32 v17, 1.0, v17
	v_fmamk_f32 v20, v11, 0xbf317218, v6
	s_delay_alu instid0(VALU_DEP_3) | instskip(NEXT) | instid1(VALU_DEP_3)
	v_fmaak_f32 v33, v32, v33, 0x3c0887f9
	v_add_f32_e32 v41, -1.0, v17
	s_delay_alu instid0(VALU_DEP_2) | instskip(NEXT) | instid1(VALU_DEP_1)
	v_fmaak_f32 v33, v32, v33, 0x3d2aaa81
	v_fmaak_f32 v33, v32, v33, 0x3e2aaaab
	s_delay_alu instid0(VALU_DEP_1) | instskip(SKIP_2) | instid1(VALU_DEP_3)
	v_fma_f32 v33, v32, v33, 0.5
	v_fmac_f32_e32 v20, 0x3102e308, v11
	v_cndmask_b32_e64 v11, v21, 0x7f, s0
	v_mul_f32_e32 v33, v32, v33
	s_delay_alu instid0(VALU_DEP_3) | instskip(NEXT) | instid1(VALU_DEP_3)
	v_fmaak_f32 v21, s13, v20, 0x3ab69700
	v_ldexp_f32 v11, 1.0, v11
	s_delay_alu instid0(VALU_DEP_3) | instskip(NEXT) | instid1(VALU_DEP_3)
	v_fmac_f32_e32 v32, v32, v33
	v_fmaak_f32 v21, v20, v21, 0x3c0887f9
	s_delay_alu instid0(VALU_DEP_3) | instskip(NEXT) | instid1(VALU_DEP_3)
	v_add_f32_e32 v35, -1.0, v11
	v_fmac_f32_e32 v41, v17, v32
	s_delay_alu instid0(VALU_DEP_3) | instskip(SKIP_1) | instid1(VALU_DEP_2)
	v_fmaak_f32 v21, v20, v21, 0x3d2aaa81
	v_fmac_f32_e32 v28, v28, v29
	v_fmaak_f32 v21, v20, v21, 0x3e2aaaab
	s_delay_alu instid0(VALU_DEP_2) | instskip(NEXT) | instid1(VALU_DEP_2)
	v_fmac_f32_e32 v39, v15, v28
	v_fma_f32 v21, v20, v21, 0.5
	s_delay_alu instid0(VALU_DEP_1) | instskip(NEXT) | instid1(VALU_DEP_1)
	v_mul_f32_e32 v21, v20, v21
	v_fmac_f32_e32 v20, v20, v21
	s_delay_alu instid0(VALU_DEP_1) | instskip(NEXT) | instid1(VALU_DEP_1)
	v_dual_fmac_f32 v35, v11, v20 :: v_dual_fmac_f32 v24, v24, v25
	v_add_f32_e32 v11, v35, v35
	s_delay_alu instid0(VALU_DEP_2) | instskip(SKIP_1) | instid1(VALU_DEP_3)
	v_fmac_f32_e32 v37, v13, v24
	v_dual_fmaak_f32 v27, s13, v26, 0x3ab69700 :: v_dual_fmac_f32 v22, v22, v23
	v_cndmask_b32_e64 v11, v35, v11, s0
	s_mov_b32 s0, 0
	s_delay_alu instid0(VALU_DEP_2) | instskip(SKIP_1) | instid1(VALU_DEP_2)
	v_dual_fmaak_f32 v27, v26, v27, 0x3c0887f9 :: v_dual_fmac_f32 v36, v12, v22
	v_add_f32_e32 v13, v37, v37
	v_dual_fmaak_f32 v27, v26, v27, 0x3d2aaa81 :: v_dual_add_f32 v12, v36, v36
	s_delay_alu instid0(VALU_DEP_2) | instskip(SKIP_1) | instid1(VALU_DEP_2)
	v_cndmask_b32_e64 v13, v37, v13, s2
	s_add_u32 s2, s8, s14
	v_fmaak_f32 v27, v26, v27, 0x3e2aaaab
	s_delay_alu instid0(VALU_DEP_3) | instskip(NEXT) | instid1(VALU_DEP_2)
	v_cndmask_b32_e64 v12, v36, v12, s1
	v_fma_f32 v27, v26, v27, 0.5
	s_delay_alu instid0(VALU_DEP_1) | instskip(NEXT) | instid1(VALU_DEP_1)
	v_dual_fmamk_f32 v30, v16, 0xbf317218, v4 :: v_dual_mul_f32 v27, v26, v27
	v_fmac_f32_e32 v30, 0x3102e308, v16
	v_cndmask_b32_e64 v16, v31, 0x7f, s5
	s_delay_alu instid0(VALU_DEP_2) | instskip(NEXT) | instid1(VALU_DEP_2)
	v_dual_fmac_f32 v26, v26, v27 :: v_dual_fmaak_f32 v31, s13, v30, 0x3ab69700
	v_ldexp_f32 v16, 1.0, v16
	s_delay_alu instid0(VALU_DEP_2) | instskip(NEXT) | instid1(VALU_DEP_2)
	v_fmac_f32_e32 v38, v14, v26
	v_dual_fmaak_f32 v31, v30, v31, 0x3c0887f9 :: v_dual_add_f32 v40, -1.0, v16
	s_delay_alu instid0(VALU_DEP_2) | instskip(NEXT) | instid1(VALU_DEP_2)
	v_add_f32_e32 v14, v38, v38
	v_fmaak_f32 v31, v30, v31, 0x3d2aaa81
	s_delay_alu instid0(VALU_DEP_2) | instskip(NEXT) | instid1(VALU_DEP_2)
	v_cndmask_b32_e64 v14, v38, v14, s3
	v_fmaak_f32 v31, v30, v31, 0x3e2aaaab
	s_addc_u32 s3, s9, s15
	s_delay_alu instid0(VALU_DEP_1) | instskip(NEXT) | instid1(VALU_DEP_1)
	v_fma_f32 v31, v30, v31, 0.5
	v_mul_f32_e32 v31, v30, v31
	v_fmac_f32_e32 v18, v18, v19
	s_delay_alu instid0(VALU_DEP_2) | instskip(NEXT) | instid1(VALU_DEP_2)
	v_fmac_f32_e32 v30, v30, v31
	v_fmac_f32_e32 v34, v10, v18
	s_delay_alu instid0(VALU_DEP_2) | instskip(NEXT) | instid1(VALU_DEP_2)
	v_fmac_f32_e32 v40, v16, v30
	v_add_f32_e32 v10, v34, v34
	s_delay_alu instid0(VALU_DEP_2) | instskip(NEXT) | instid1(VALU_DEP_2)
	v_add_f32_e32 v16, v40, v40
	v_cndmask_b32_e32 v10, v34, v10, vcc_lo
	v_cmp_nlt_f32_e32 vcc_lo, 0x42b17217, v1
	v_add_f32_e32 v15, v39, v39
	s_delay_alu instid0(VALU_DEP_4) | instskip(NEXT) | instid1(VALU_DEP_4)
	v_cndmask_b32_e64 v16, v40, v16, s5
	v_cndmask_b32_e32 v10, 0x7f800000, v10, vcc_lo
	v_cmp_nlt_f32_e32 vcc_lo, 0x42b17217, v6
	s_delay_alu instid0(VALU_DEP_4) | instskip(SKIP_4) | instid1(VALU_DEP_2)
	v_cndmask_b32_e64 v15, v39, v15, s4
	v_cndmask_b32_e32 v11, 0x7f800000, v11, vcc_lo
	v_cmp_nlt_f32_e32 vcc_lo, 0x42b17217, v2
	v_dual_add_f32 v17, v41, v41 :: v_dual_cndmask_b32 v12, 0x7f800000, v12
	v_cmp_nlt_f32_e32 vcc_lo, 0x42b17217, v7
	v_cndmask_b32_e64 v17, v41, v17, s6
	v_cndmask_b32_e32 v13, 0x7f800000, v13, vcc_lo
	v_cmp_nlt_f32_e32 vcc_lo, 0x42b17217, v3
	v_cndmask_b32_e32 v14, 0x7f800000, v14, vcc_lo
	v_cmp_nlt_f32_e32 vcc_lo, 0x42b17217, v8
	;; [unrolled: 2-line block ×4, first 2 shown]
	v_cndmask_b32_e32 v17, 0x7f800000, v17, vcc_lo
	v_cmp_ngt_f32_e32 vcc_lo, 0xc1880000, v1
	v_cndmask_b32_e32 v1, -1.0, v10, vcc_lo
	v_cmp_ngt_f32_e32 vcc_lo, 0xc1880000, v6
	s_delay_alu instid0(VALU_DEP_2) | instskip(SKIP_2) | instid1(VALU_DEP_3)
	v_bfe_u32 v10, v1, 16, 1
	v_cndmask_b32_e32 v6, -1.0, v11, vcc_lo
	v_cmp_ngt_f32_e32 vcc_lo, 0xc1880000, v2
	v_add3_u32 v10, v1, v10, 0x7fff
	s_delay_alu instid0(VALU_DEP_3) | instskip(SKIP_2) | instid1(VALU_DEP_4)
	v_bfe_u32 v11, v6, 16, 1
	v_cndmask_b32_e32 v2, -1.0, v12, vcc_lo
	v_cmp_ngt_f32_e32 vcc_lo, 0xc1880000, v7
	v_lshrrev_b32_e32 v10, 16, v10
	s_delay_alu instid0(VALU_DEP_4) | instskip(NEXT) | instid1(VALU_DEP_4)
	v_add3_u32 v11, v6, v11, 0x7fff
	v_bfe_u32 v12, v2, 16, 1
	v_cndmask_b32_e32 v7, -1.0, v13, vcc_lo
	v_cmp_ngt_f32_e32 vcc_lo, 0xc1880000, v3
	s_delay_alu instid0(VALU_DEP_4) | instskip(NEXT) | instid1(VALU_DEP_4)
	v_and_b32_e32 v11, 0xffff0000, v11
	v_add3_u32 v12, v2, v12, 0x7fff
	s_delay_alu instid0(VALU_DEP_4) | instskip(SKIP_2) | instid1(VALU_DEP_4)
	v_bfe_u32 v13, v7, 16, 1
	v_cndmask_b32_e32 v3, -1.0, v14, vcc_lo
	v_cmp_ngt_f32_e32 vcc_lo, 0xc1880000, v8
	v_lshrrev_b32_e32 v12, 16, v12
	s_delay_alu instid0(VALU_DEP_4) | instskip(NEXT) | instid1(VALU_DEP_4)
	v_add3_u32 v13, v7, v13, 0x7fff
	v_bfe_u32 v14, v3, 16, 1
	v_cndmask_b32_e32 v8, -1.0, v15, vcc_lo
	v_cmp_ngt_f32_e32 vcc_lo, 0xc1880000, v4
	s_delay_alu instid0(VALU_DEP_4) | instskip(NEXT) | instid1(VALU_DEP_4)
	v_and_b32_e32 v13, 0xffff0000, v13
	v_add3_u32 v14, v3, v14, 0x7fff
	s_delay_alu instid0(VALU_DEP_4) | instskip(SKIP_2) | instid1(VALU_DEP_4)
	v_bfe_u32 v15, v8, 16, 1
	v_cndmask_b32_e32 v4, -1.0, v16, vcc_lo
	v_cmp_ngt_f32_e32 vcc_lo, 0xc1880000, v9
	v_lshrrev_b32_e32 v14, 16, v14
	s_delay_alu instid0(VALU_DEP_4) | instskip(NEXT) | instid1(VALU_DEP_4)
	v_add3_u32 v15, v8, v15, 0x7fff
	v_bfe_u32 v16, v4, 16, 1
	v_cndmask_b32_e32 v9, -1.0, v17, vcc_lo
	v_cmp_o_f32_e32 vcc_lo, v7, v7
	s_delay_alu instid0(VALU_DEP_4) | instskip(NEXT) | instid1(VALU_DEP_4)
	v_and_b32_e32 v15, 0xffff0000, v15
	v_add3_u32 v16, v4, v16, 0x7fff
	s_delay_alu instid0(VALU_DEP_4) | instskip(SKIP_2) | instid1(VALU_DEP_4)
	v_bfe_u32 v17, v9, 16, 1
	v_cndmask_b32_e32 v7, 0x7fc00000, v13, vcc_lo
	v_cmp_o_f32_e32 vcc_lo, v2, v2
	v_lshrrev_b32_e32 v16, 16, v16
	s_delay_alu instid0(VALU_DEP_4) | instskip(SKIP_2) | instid1(VALU_DEP_3)
	v_add3_u32 v17, v9, v17, 0x7fff
	v_cndmask_b32_e32 v2, 0x7fc0, v12, vcc_lo
	v_cmp_o_f32_e32 vcc_lo, v6, v6
	v_and_b32_e32 v17, 0xffff0000, v17
	s_delay_alu instid0(VALU_DEP_3) | instskip(SKIP_4) | instid1(VALU_DEP_2)
	v_or3_b32 v2, 0, v2, v7
	v_cndmask_b32_e32 v6, 0x7fc00000, v11, vcc_lo
	v_cmp_o_f32_e32 vcc_lo, v1, v1
	v_cndmask_b32_e32 v1, 0x7fc0, v10, vcc_lo
	v_cmp_o_f32_e32 vcc_lo, v8, v8
	v_or_b32_e32 v1, v6, v1
	v_cndmask_b32_e32 v8, 0x7fc00000, v15, vcc_lo
	v_cmp_o_f32_e32 vcc_lo, v3, v3
	s_delay_alu instid0(VALU_DEP_3) | instskip(SKIP_2) | instid1(VALU_DEP_2)
	v_or3_b32 v1, v1, 0, 0
	v_cndmask_b32_e32 v3, 0x7fc0, v14, vcc_lo
	v_cmp_o_f32_e32 vcc_lo, v9, v9
	v_or_b32_e32 v3, v8, v3
	v_cndmask_b32_e32 v9, 0x7fc00000, v17, vcc_lo
	v_cmp_o_f32_e32 vcc_lo, v4, v4
	s_delay_alu instid0(VALU_DEP_3) | instskip(SKIP_1) | instid1(VALU_DEP_1)
	v_or3_b32 v3, v3, 0, 0
	v_cndmask_b32_e32 v4, 0x7fc0, v16, vcc_lo
	v_or3_b32 v4, 0, v4, v9
	s_clause 0x1
	global_store_b64 v5, v[1:2], s[2:3]
	global_store_b64 v5, v[3:4], s[2:3] offset:2048
.LBB148_2:
	s_and_not1_b32 vcc_lo, exec_lo, s0
	s_cbranch_vccnz .LBB148_41
; %bb.3:
	v_cmp_gt_i32_e32 vcc_lo, s7, v0
	v_dual_mov_b32 v8, 0 :: v_dual_mov_b32 v5, 0
	v_or_b32_e32 v1, s12, v0
	v_or_b32_e32 v3, 0x100, v0
	v_mov_b32_e32 v4, v0
	s_and_saveexec_b32 s1, vcc_lo
	s_cbranch_execz .LBB148_5
; %bb.4:
	v_mov_b32_e32 v2, 0
	s_delay_alu instid0(VALU_DEP_1) | instskip(NEXT) | instid1(VALU_DEP_1)
	v_lshlrev_b64 v[4:5], 1, v[1:2]
	v_add_co_u32 v4, s0, s10, v4
	s_delay_alu instid0(VALU_DEP_1)
	v_add_co_ci_u32_e64 v5, s0, s11, v5, s0
	global_load_u16 v5, v[4:5], off
	v_or_b32_e32 v4, 0x100, v0
.LBB148_5:
	s_or_b32 exec_lo, exec_lo, s1
	s_delay_alu instid0(SALU_CYCLE_1) | instskip(NEXT) | instid1(VALU_DEP_1)
	s_mov_b32 s1, exec_lo
	v_cmpx_gt_i32_e64 s7, v4
	s_cbranch_execz .LBB148_7
; %bb.6:
	v_dual_mov_b32 v7, 0 :: v_dual_add_nc_u32 v6, s12, v4
	v_add_nc_u32_e32 v4, 0x100, v4
	s_delay_alu instid0(VALU_DEP_2) | instskip(NEXT) | instid1(VALU_DEP_1)
	v_lshlrev_b64 v[6:7], 1, v[6:7]
	v_add_co_u32 v6, s0, s10, v6
	s_delay_alu instid0(VALU_DEP_1)
	v_add_co_ci_u32_e64 v7, s0, s11, v7, s0
	global_load_u16 v8, v[6:7], off
.LBB148_7:
	s_or_b32 exec_lo, exec_lo, s1
	v_mov_b32_e32 v9, 0
	v_mov_b32_e32 v11, 0
	s_mov_b32 s1, exec_lo
	v_cmpx_gt_i32_e64 s7, v4
	s_cbranch_execz .LBB148_9
; %bb.8:
	v_dual_mov_b32 v7, 0 :: v_dual_add_nc_u32 v6, s12, v4
	v_add_nc_u32_e32 v4, 0x100, v4
	s_delay_alu instid0(VALU_DEP_2) | instskip(NEXT) | instid1(VALU_DEP_1)
	v_lshlrev_b64 v[6:7], 1, v[6:7]
	v_add_co_u32 v6, s0, s10, v6
	s_delay_alu instid0(VALU_DEP_1)
	v_add_co_ci_u32_e64 v7, s0, s11, v7, s0
	global_load_u16 v11, v[6:7], off
.LBB148_9:
	s_or_b32 exec_lo, exec_lo, s1
	s_delay_alu instid0(SALU_CYCLE_1)
	s_mov_b32 s1, exec_lo
	v_cmpx_gt_i32_e64 s7, v4
	s_cbranch_execz .LBB148_11
; %bb.10:
	v_dual_mov_b32 v7, 0 :: v_dual_add_nc_u32 v6, s12, v4
	v_add_nc_u32_e32 v4, 0x100, v4
	s_delay_alu instid0(VALU_DEP_2) | instskip(NEXT) | instid1(VALU_DEP_1)
	v_lshlrev_b64 v[6:7], 1, v[6:7]
	v_add_co_u32 v6, s0, s10, v6
	s_delay_alu instid0(VALU_DEP_1)
	v_add_co_ci_u32_e64 v7, s0, s11, v7, s0
	global_load_u16 v9, v[6:7], off
.LBB148_11:
	s_or_b32 exec_lo, exec_lo, s1
	v_mov_b32_e32 v6, 0
	v_mov_b32_e32 v10, 0
	s_mov_b32 s1, exec_lo
	v_cmpx_gt_i32_e64 s7, v4
	s_cbranch_execz .LBB148_13
; %bb.12:
	v_dual_mov_b32 v13, 0 :: v_dual_add_nc_u32 v12, s12, v4
	v_add_nc_u32_e32 v4, 0x100, v4
	s_delay_alu instid0(VALU_DEP_2) | instskip(NEXT) | instid1(VALU_DEP_1)
	v_lshlrev_b64 v[12:13], 1, v[12:13]
	v_add_co_u32 v12, s0, s10, v12
	s_delay_alu instid0(VALU_DEP_1)
	v_add_co_ci_u32_e64 v13, s0, s11, v13, s0
	global_load_u16 v10, v[12:13], off
.LBB148_13:
	s_or_b32 exec_lo, exec_lo, s1
	s_delay_alu instid0(SALU_CYCLE_1)
	s_mov_b32 s1, exec_lo
	v_cmpx_gt_i32_e64 s7, v4
	s_cbranch_execz .LBB148_15
; %bb.14:
	v_dual_mov_b32 v7, 0 :: v_dual_add_nc_u32 v6, s12, v4
	v_add_nc_u32_e32 v4, 0x100, v4
	s_delay_alu instid0(VALU_DEP_2) | instskip(NEXT) | instid1(VALU_DEP_1)
	v_lshlrev_b64 v[6:7], 1, v[6:7]
	v_add_co_u32 v6, s0, s10, v6
	s_delay_alu instid0(VALU_DEP_1)
	v_add_co_ci_u32_e64 v7, s0, s11, v7, s0
	global_load_u16 v6, v[6:7], off
.LBB148_15:
	s_or_b32 exec_lo, exec_lo, s1
	v_dual_mov_b32 v2, 0 :: v_dual_mov_b32 v7, 0
	s_mov_b32 s1, exec_lo
	v_cmpx_gt_i32_e64 s7, v4
	s_cbranch_execz .LBB148_42
; %bb.16:
	v_dual_mov_b32 v13, 0 :: v_dual_add_nc_u32 v12, s12, v4
	v_add_nc_u32_e32 v4, 0x100, v4
	s_delay_alu instid0(VALU_DEP_2) | instskip(NEXT) | instid1(VALU_DEP_1)
	v_lshlrev_b64 v[12:13], 1, v[12:13]
	v_add_co_u32 v12, s0, s10, v12
	s_delay_alu instid0(VALU_DEP_1) | instskip(SKIP_2) | instid1(SALU_CYCLE_1)
	v_add_co_ci_u32_e64 v13, s0, s11, v13, s0
	global_load_u16 v7, v[12:13], off
	s_or_b32 exec_lo, exec_lo, s1
	s_mov_b32 s1, exec_lo
	v_cmpx_gt_i32_e64 s7, v4
	s_cbranch_execnz .LBB148_43
.LBB148_17:
	s_or_b32 exec_lo, exec_lo, s1
                                        ; implicit-def: $vgpr4
	s_and_saveexec_b32 s1, vcc_lo
	s_cbranch_execz .LBB148_19
.LBB148_18:
	s_mov_b32 s0, 0x395133b1
	s_waitcnt vmcnt(0)
	v_lshlrev_b32_e32 v4, 16, v5
	s_delay_alu instid0(VALU_DEP_1) | instskip(NEXT) | instid1(VALU_DEP_1)
	v_mul_f32_e32 v5, 0x3fb8aa3b, v4
	v_rndne_f32_e32 v5, v5
	s_delay_alu instid0(VALU_DEP_1) | instskip(SKIP_1) | instid1(VALU_DEP_2)
	v_fmamk_f32 v12, v5, 0xbf317218, v4
	v_cvt_i32_f32_e32 v14, v5
	v_fmamk_f32 v12, v5, 0x3102e308, v12
	s_delay_alu instid0(VALU_DEP_1) | instskip(SKIP_1) | instid1(VALU_DEP_2)
	v_fmaak_f32 v13, s0, v12, 0x3ab69700
	v_cmp_eq_f32_e64 s0, 0x43000000, v5
	v_fmaak_f32 v13, v12, v13, 0x3c0887f9
	s_delay_alu instid0(VALU_DEP_2) | instskip(NEXT) | instid1(VALU_DEP_2)
	v_cndmask_b32_e64 v5, v14, 0x7f, s0
	v_fmaak_f32 v13, v12, v13, 0x3d2aaa81
	s_delay_alu instid0(VALU_DEP_2) | instskip(NEXT) | instid1(VALU_DEP_2)
	v_ldexp_f32 v5, 1.0, v5
	v_fmaak_f32 v13, v12, v13, 0x3e2aaaab
	s_delay_alu instid0(VALU_DEP_1) | instskip(NEXT) | instid1(VALU_DEP_1)
	v_fma_f32 v13, v12, v13, 0.5
	v_mul_f32_e32 v13, v12, v13
	s_delay_alu instid0(VALU_DEP_1) | instskip(SKIP_1) | instid1(VALU_DEP_1)
	v_fmac_f32_e32 v12, v12, v13
	v_add_f32_e32 v13, -1.0, v5
	v_fmac_f32_e32 v13, v5, v12
	s_delay_alu instid0(VALU_DEP_1) | instskip(NEXT) | instid1(VALU_DEP_1)
	v_add_f32_e32 v5, v13, v13
	v_cndmask_b32_e64 v5, v13, v5, s0
	v_cmp_nlt_f32_e64 s0, 0x42b17217, v4
	s_delay_alu instid0(VALU_DEP_1) | instskip(SKIP_1) | instid1(VALU_DEP_1)
	v_cndmask_b32_e64 v5, 0x7f800000, v5, s0
	v_cmp_ngt_f32_e64 s0, 0xc1880000, v4
	v_cndmask_b32_e64 v4, -1.0, v5, s0
	s_delay_alu instid0(VALU_DEP_1) | instskip(SKIP_1) | instid1(VALU_DEP_2)
	v_bfe_u32 v5, v4, 16, 1
	v_cmp_o_f32_e64 s0, v4, v4
	v_add3_u32 v5, v4, v5, 0x7fff
	s_delay_alu instid0(VALU_DEP_1) | instskip(NEXT) | instid1(VALU_DEP_1)
	v_lshrrev_b32_e32 v5, 16, v5
	v_cndmask_b32_e64 v4, 0x7fc0, v5, s0
.LBB148_19:
	s_or_b32 exec_lo, exec_lo, s1
	s_delay_alu instid0(SALU_CYCLE_1)
	s_mov_b32 s1, exec_lo
                                        ; implicit-def: $vgpr5
	v_cmpx_gt_i32_e64 s7, v3
	s_cbranch_execz .LBB148_21
; %bb.20:
	s_waitcnt vmcnt(0)
	v_lshlrev_b32_e32 v5, 16, v8
	s_mov_b32 s0, 0x395133b1
	s_delay_alu instid0(VALU_DEP_1) | instskip(NEXT) | instid1(VALU_DEP_1)
	v_mul_f32_e32 v8, 0x3fb8aa3b, v5
	v_rndne_f32_e32 v8, v8
	s_delay_alu instid0(VALU_DEP_1) | instskip(SKIP_1) | instid1(VALU_DEP_2)
	v_fmamk_f32 v12, v8, 0xbf317218, v5
	v_cvt_i32_f32_e32 v14, v8
	v_fmamk_f32 v12, v8, 0x3102e308, v12
	s_delay_alu instid0(VALU_DEP_1) | instskip(SKIP_1) | instid1(VALU_DEP_2)
	v_fmaak_f32 v13, s0, v12, 0x3ab69700
	v_cmp_eq_f32_e64 s0, 0x43000000, v8
	v_fmaak_f32 v13, v12, v13, 0x3c0887f9
	s_delay_alu instid0(VALU_DEP_2) | instskip(NEXT) | instid1(VALU_DEP_2)
	v_cndmask_b32_e64 v8, v14, 0x7f, s0
	v_fmaak_f32 v13, v12, v13, 0x3d2aaa81
	s_delay_alu instid0(VALU_DEP_2) | instskip(NEXT) | instid1(VALU_DEP_2)
	v_ldexp_f32 v8, 1.0, v8
	v_fmaak_f32 v13, v12, v13, 0x3e2aaaab
	s_delay_alu instid0(VALU_DEP_1) | instskip(NEXT) | instid1(VALU_DEP_1)
	v_fma_f32 v13, v12, v13, 0.5
	v_mul_f32_e32 v13, v12, v13
	s_delay_alu instid0(VALU_DEP_1) | instskip(NEXT) | instid1(VALU_DEP_1)
	v_dual_fmac_f32 v12, v12, v13 :: v_dual_add_f32 v13, -1.0, v8
	v_fmac_f32_e32 v13, v8, v12
	s_delay_alu instid0(VALU_DEP_1) | instskip(NEXT) | instid1(VALU_DEP_1)
	v_add_f32_e32 v8, v13, v13
	v_cndmask_b32_e64 v8, v13, v8, s0
	v_cmp_nlt_f32_e64 s0, 0x42b17217, v5
	s_delay_alu instid0(VALU_DEP_1) | instskip(SKIP_1) | instid1(VALU_DEP_1)
	v_cndmask_b32_e64 v8, 0x7f800000, v8, s0
	v_cmp_ngt_f32_e64 s0, 0xc1880000, v5
	v_cndmask_b32_e64 v5, -1.0, v8, s0
	s_delay_alu instid0(VALU_DEP_1) | instskip(SKIP_1) | instid1(VALU_DEP_2)
	v_bfe_u32 v8, v5, 16, 1
	v_cmp_o_f32_e64 s0, v5, v5
	v_add3_u32 v8, v5, v8, 0x7fff
	s_delay_alu instid0(VALU_DEP_1) | instskip(NEXT) | instid1(VALU_DEP_1)
	v_lshrrev_b32_e32 v8, 16, v8
	v_cndmask_b32_e64 v5, 0x7fc0, v8, s0
.LBB148_21:
	s_or_b32 exec_lo, exec_lo, s1
	s_waitcnt vmcnt(0)
	v_or_b32_e32 v8, 0x200, v0
	s_delay_alu instid0(VALU_DEP_1) | instskip(NEXT) | instid1(VALU_DEP_1)
	v_cmp_gt_i32_e64 s0, s7, v8
                                        ; implicit-def: $vgpr8
	s_and_saveexec_b32 s1, s0
	s_cbranch_execz .LBB148_23
; %bb.22:
	s_mov_b32 s0, 0x395133b1
	v_lshlrev_b32_e32 v8, 16, v11
	s_delay_alu instid0(VALU_DEP_1) | instskip(NEXT) | instid1(VALU_DEP_1)
	v_mul_f32_e32 v11, 0x3fb8aa3b, v8
	v_rndne_f32_e32 v11, v11
	s_delay_alu instid0(VALU_DEP_1) | instskip(SKIP_1) | instid1(VALU_DEP_2)
	v_fmamk_f32 v12, v11, 0xbf317218, v8
	v_cvt_i32_f32_e32 v14, v11
	v_fmamk_f32 v12, v11, 0x3102e308, v12
	s_delay_alu instid0(VALU_DEP_1) | instskip(SKIP_1) | instid1(VALU_DEP_2)
	v_fmaak_f32 v13, s0, v12, 0x3ab69700
	v_cmp_eq_f32_e64 s0, 0x43000000, v11
	v_fmaak_f32 v13, v12, v13, 0x3c0887f9
	s_delay_alu instid0(VALU_DEP_2) | instskip(NEXT) | instid1(VALU_DEP_2)
	v_cndmask_b32_e64 v11, v14, 0x7f, s0
	v_fmaak_f32 v13, v12, v13, 0x3d2aaa81
	s_delay_alu instid0(VALU_DEP_2) | instskip(NEXT) | instid1(VALU_DEP_2)
	v_ldexp_f32 v11, 1.0, v11
	v_fmaak_f32 v13, v12, v13, 0x3e2aaaab
	s_delay_alu instid0(VALU_DEP_1) | instskip(NEXT) | instid1(VALU_DEP_1)
	v_fma_f32 v13, v12, v13, 0.5
	v_mul_f32_e32 v13, v12, v13
	s_delay_alu instid0(VALU_DEP_1) | instskip(NEXT) | instid1(VALU_DEP_1)
	v_dual_fmac_f32 v12, v12, v13 :: v_dual_add_f32 v13, -1.0, v11
	v_fmac_f32_e32 v13, v11, v12
	s_delay_alu instid0(VALU_DEP_1) | instskip(NEXT) | instid1(VALU_DEP_1)
	v_add_f32_e32 v11, v13, v13
	v_cndmask_b32_e64 v11, v13, v11, s0
	v_cmp_nlt_f32_e64 s0, 0x42b17217, v8
	s_delay_alu instid0(VALU_DEP_1) | instskip(SKIP_1) | instid1(VALU_DEP_1)
	v_cndmask_b32_e64 v11, 0x7f800000, v11, s0
	v_cmp_ngt_f32_e64 s0, 0xc1880000, v8
	v_cndmask_b32_e64 v8, -1.0, v11, s0
	s_delay_alu instid0(VALU_DEP_1) | instskip(SKIP_1) | instid1(VALU_DEP_2)
	v_bfe_u32 v11, v8, 16, 1
	v_cmp_o_f32_e64 s0, v8, v8
	v_add3_u32 v11, v8, v11, 0x7fff
	s_delay_alu instid0(VALU_DEP_1) | instskip(NEXT) | instid1(VALU_DEP_1)
	v_lshrrev_b32_e32 v11, 16, v11
	v_cndmask_b32_e64 v8, 0x7fc0, v11, s0
.LBB148_23:
	s_or_b32 exec_lo, exec_lo, s1
	v_or_b32_e32 v11, 0x300, v0
	s_delay_alu instid0(VALU_DEP_1) | instskip(NEXT) | instid1(VALU_DEP_1)
	v_cmp_gt_i32_e64 s0, s7, v11
                                        ; implicit-def: $vgpr11
	s_and_saveexec_b32 s1, s0
	s_cbranch_execz .LBB148_25
; %bb.24:
	v_lshlrev_b32_e32 v9, 16, v9
	s_mov_b32 s0, 0x395133b1
	s_delay_alu instid0(VALU_DEP_1) | instskip(NEXT) | instid1(VALU_DEP_1)
	v_mul_f32_e32 v11, 0x3fb8aa3b, v9
	v_rndne_f32_e32 v11, v11
	s_delay_alu instid0(VALU_DEP_1) | instskip(SKIP_1) | instid1(VALU_DEP_2)
	v_fmamk_f32 v12, v11, 0xbf317218, v9
	v_cvt_i32_f32_e32 v14, v11
	v_fmamk_f32 v12, v11, 0x3102e308, v12
	s_delay_alu instid0(VALU_DEP_1) | instskip(SKIP_1) | instid1(VALU_DEP_2)
	v_fmaak_f32 v13, s0, v12, 0x3ab69700
	v_cmp_eq_f32_e64 s0, 0x43000000, v11
	v_fmaak_f32 v13, v12, v13, 0x3c0887f9
	s_delay_alu instid0(VALU_DEP_2) | instskip(NEXT) | instid1(VALU_DEP_2)
	v_cndmask_b32_e64 v11, v14, 0x7f, s0
	v_fmaak_f32 v13, v12, v13, 0x3d2aaa81
	s_delay_alu instid0(VALU_DEP_2) | instskip(NEXT) | instid1(VALU_DEP_2)
	v_ldexp_f32 v11, 1.0, v11
	v_fmaak_f32 v13, v12, v13, 0x3e2aaaab
	s_delay_alu instid0(VALU_DEP_1) | instskip(NEXT) | instid1(VALU_DEP_1)
	v_fma_f32 v13, v12, v13, 0.5
	v_mul_f32_e32 v13, v12, v13
	s_delay_alu instid0(VALU_DEP_1) | instskip(NEXT) | instid1(VALU_DEP_1)
	v_dual_fmac_f32 v12, v12, v13 :: v_dual_add_f32 v13, -1.0, v11
	v_fmac_f32_e32 v13, v11, v12
	s_delay_alu instid0(VALU_DEP_1) | instskip(NEXT) | instid1(VALU_DEP_1)
	v_add_f32_e32 v11, v13, v13
	v_cndmask_b32_e64 v11, v13, v11, s0
	v_cmp_nlt_f32_e64 s0, 0x42b17217, v9
	s_delay_alu instid0(VALU_DEP_1) | instskip(SKIP_1) | instid1(VALU_DEP_1)
	v_cndmask_b32_e64 v11, 0x7f800000, v11, s0
	v_cmp_ngt_f32_e64 s0, 0xc1880000, v9
	v_cndmask_b32_e64 v9, -1.0, v11, s0
	s_delay_alu instid0(VALU_DEP_1) | instskip(SKIP_1) | instid1(VALU_DEP_2)
	v_bfe_u32 v11, v9, 16, 1
	v_cmp_o_f32_e64 s0, v9, v9
	v_add3_u32 v11, v9, v11, 0x7fff
	s_delay_alu instid0(VALU_DEP_1) | instskip(NEXT) | instid1(VALU_DEP_1)
	v_lshrrev_b32_e32 v11, 16, v11
	v_cndmask_b32_e64 v11, 0x7fc0, v11, s0
.LBB148_25:
	s_or_b32 exec_lo, exec_lo, s1
	v_or_b32_e32 v9, 0x400, v0
	s_delay_alu instid0(VALU_DEP_1) | instskip(NEXT) | instid1(VALU_DEP_1)
	v_cmp_gt_i32_e64 s0, s7, v9
                                        ; implicit-def: $vgpr9
	s_and_saveexec_b32 s1, s0
	s_cbranch_execz .LBB148_27
; %bb.26:
	v_lshlrev_b32_e32 v9, 16, v10
	s_mov_b32 s0, 0x395133b1
	s_delay_alu instid0(VALU_DEP_1) | instskip(NEXT) | instid1(VALU_DEP_1)
	v_mul_f32_e32 v10, 0x3fb8aa3b, v9
	v_rndne_f32_e32 v10, v10
	s_delay_alu instid0(VALU_DEP_1) | instskip(SKIP_1) | instid1(VALU_DEP_2)
	v_fmamk_f32 v12, v10, 0xbf317218, v9
	v_cvt_i32_f32_e32 v14, v10
	v_fmamk_f32 v12, v10, 0x3102e308, v12
	s_delay_alu instid0(VALU_DEP_1) | instskip(SKIP_1) | instid1(VALU_DEP_2)
	v_fmaak_f32 v13, s0, v12, 0x3ab69700
	v_cmp_eq_f32_e64 s0, 0x43000000, v10
	v_fmaak_f32 v13, v12, v13, 0x3c0887f9
	s_delay_alu instid0(VALU_DEP_2) | instskip(NEXT) | instid1(VALU_DEP_2)
	v_cndmask_b32_e64 v10, v14, 0x7f, s0
	v_fmaak_f32 v13, v12, v13, 0x3d2aaa81
	s_delay_alu instid0(VALU_DEP_2) | instskip(NEXT) | instid1(VALU_DEP_2)
	v_ldexp_f32 v10, 1.0, v10
	v_fmaak_f32 v13, v12, v13, 0x3e2aaaab
	s_delay_alu instid0(VALU_DEP_1) | instskip(NEXT) | instid1(VALU_DEP_1)
	v_fma_f32 v13, v12, v13, 0.5
	v_mul_f32_e32 v13, v12, v13
	s_delay_alu instid0(VALU_DEP_1) | instskip(NEXT) | instid1(VALU_DEP_1)
	v_dual_fmac_f32 v12, v12, v13 :: v_dual_add_f32 v13, -1.0, v10
	v_fmac_f32_e32 v13, v10, v12
	s_delay_alu instid0(VALU_DEP_1) | instskip(NEXT) | instid1(VALU_DEP_1)
	v_add_f32_e32 v10, v13, v13
	v_cndmask_b32_e64 v10, v13, v10, s0
	v_cmp_nlt_f32_e64 s0, 0x42b17217, v9
	s_delay_alu instid0(VALU_DEP_1) | instskip(SKIP_1) | instid1(VALU_DEP_1)
	v_cndmask_b32_e64 v10, 0x7f800000, v10, s0
	v_cmp_ngt_f32_e64 s0, 0xc1880000, v9
	v_cndmask_b32_e64 v9, -1.0, v10, s0
	s_delay_alu instid0(VALU_DEP_1) | instskip(SKIP_1) | instid1(VALU_DEP_2)
	v_bfe_u32 v10, v9, 16, 1
	v_cmp_o_f32_e64 s0, v9, v9
	v_add3_u32 v10, v9, v10, 0x7fff
	s_delay_alu instid0(VALU_DEP_1) | instskip(NEXT) | instid1(VALU_DEP_1)
	v_lshrrev_b32_e32 v10, 16, v10
	v_cndmask_b32_e64 v9, 0x7fc0, v10, s0
.LBB148_27:
	s_or_b32 exec_lo, exec_lo, s1
	v_or_b32_e32 v10, 0x500, v0
	s_delay_alu instid0(VALU_DEP_1) | instskip(NEXT) | instid1(VALU_DEP_1)
	v_cmp_gt_i32_e64 s0, s7, v10
                                        ; implicit-def: $vgpr10
	s_and_saveexec_b32 s1, s0
	s_cbranch_execz .LBB148_29
; %bb.28:
	s_mov_b32 s0, 0x395133b1
	v_lshlrev_b32_e32 v6, 16, v6
	s_delay_alu instid0(VALU_DEP_1) | instskip(NEXT) | instid1(VALU_DEP_1)
	v_mul_f32_e32 v10, 0x3fb8aa3b, v6
	v_rndne_f32_e32 v10, v10
	s_delay_alu instid0(VALU_DEP_1) | instskip(SKIP_1) | instid1(VALU_DEP_2)
	v_fmamk_f32 v12, v10, 0xbf317218, v6
	v_cvt_i32_f32_e32 v14, v10
	v_fmamk_f32 v12, v10, 0x3102e308, v12
	s_delay_alu instid0(VALU_DEP_1) | instskip(SKIP_1) | instid1(VALU_DEP_2)
	v_fmaak_f32 v13, s0, v12, 0x3ab69700
	v_cmp_eq_f32_e64 s0, 0x43000000, v10
	v_fmaak_f32 v13, v12, v13, 0x3c0887f9
	s_delay_alu instid0(VALU_DEP_2) | instskip(NEXT) | instid1(VALU_DEP_2)
	v_cndmask_b32_e64 v10, v14, 0x7f, s0
	v_fmaak_f32 v13, v12, v13, 0x3d2aaa81
	s_delay_alu instid0(VALU_DEP_2) | instskip(NEXT) | instid1(VALU_DEP_2)
	v_ldexp_f32 v10, 1.0, v10
	v_fmaak_f32 v13, v12, v13, 0x3e2aaaab
	s_delay_alu instid0(VALU_DEP_1) | instskip(NEXT) | instid1(VALU_DEP_1)
	v_fma_f32 v13, v12, v13, 0.5
	v_mul_f32_e32 v13, v12, v13
	s_delay_alu instid0(VALU_DEP_1) | instskip(NEXT) | instid1(VALU_DEP_1)
	v_dual_fmac_f32 v12, v12, v13 :: v_dual_add_f32 v13, -1.0, v10
	v_fmac_f32_e32 v13, v10, v12
	s_delay_alu instid0(VALU_DEP_1) | instskip(NEXT) | instid1(VALU_DEP_1)
	v_add_f32_e32 v10, v13, v13
	v_cndmask_b32_e64 v10, v13, v10, s0
	v_cmp_nlt_f32_e64 s0, 0x42b17217, v6
	s_delay_alu instid0(VALU_DEP_1) | instskip(SKIP_1) | instid1(VALU_DEP_1)
	v_cndmask_b32_e64 v10, 0x7f800000, v10, s0
	v_cmp_ngt_f32_e64 s0, 0xc1880000, v6
	v_cndmask_b32_e64 v6, -1.0, v10, s0
	s_delay_alu instid0(VALU_DEP_1) | instskip(SKIP_1) | instid1(VALU_DEP_2)
	v_bfe_u32 v10, v6, 16, 1
	v_cmp_o_f32_e64 s0, v6, v6
	v_add3_u32 v10, v6, v10, 0x7fff
	s_delay_alu instid0(VALU_DEP_1) | instskip(NEXT) | instid1(VALU_DEP_1)
	v_lshrrev_b32_e32 v10, 16, v10
	v_cndmask_b32_e64 v10, 0x7fc0, v10, s0
.LBB148_29:
	s_or_b32 exec_lo, exec_lo, s1
	v_or_b32_e32 v6, 0x600, v0
	s_delay_alu instid0(VALU_DEP_1) | instskip(NEXT) | instid1(VALU_DEP_1)
	v_cmp_gt_i32_e64 s0, s7, v6
                                        ; implicit-def: $vgpr6
	s_and_saveexec_b32 s1, s0
	s_cbranch_execz .LBB148_31
; %bb.30:
	s_mov_b32 s0, 0x395133b1
	v_lshlrev_b32_e32 v6, 16, v7
	s_delay_alu instid0(VALU_DEP_1) | instskip(NEXT) | instid1(VALU_DEP_1)
	v_mul_f32_e32 v7, 0x3fb8aa3b, v6
	v_rndne_f32_e32 v7, v7
	s_delay_alu instid0(VALU_DEP_1) | instskip(SKIP_1) | instid1(VALU_DEP_2)
	v_fmamk_f32 v12, v7, 0xbf317218, v6
	v_cvt_i32_f32_e32 v14, v7
	v_fmamk_f32 v12, v7, 0x3102e308, v12
	s_delay_alu instid0(VALU_DEP_1) | instskip(SKIP_1) | instid1(VALU_DEP_2)
	v_fmaak_f32 v13, s0, v12, 0x3ab69700
	v_cmp_eq_f32_e64 s0, 0x43000000, v7
	v_fmaak_f32 v13, v12, v13, 0x3c0887f9
	s_delay_alu instid0(VALU_DEP_2) | instskip(NEXT) | instid1(VALU_DEP_2)
	v_cndmask_b32_e64 v7, v14, 0x7f, s0
	v_fmaak_f32 v13, v12, v13, 0x3d2aaa81
	s_delay_alu instid0(VALU_DEP_2) | instskip(NEXT) | instid1(VALU_DEP_2)
	v_ldexp_f32 v7, 1.0, v7
	v_fmaak_f32 v13, v12, v13, 0x3e2aaaab
	s_delay_alu instid0(VALU_DEP_1) | instskip(NEXT) | instid1(VALU_DEP_1)
	v_fma_f32 v13, v12, v13, 0.5
	v_mul_f32_e32 v13, v12, v13
	s_delay_alu instid0(VALU_DEP_1) | instskip(NEXT) | instid1(VALU_DEP_1)
	v_dual_fmac_f32 v12, v12, v13 :: v_dual_add_f32 v13, -1.0, v7
	v_fmac_f32_e32 v13, v7, v12
	s_delay_alu instid0(VALU_DEP_1) | instskip(NEXT) | instid1(VALU_DEP_1)
	v_add_f32_e32 v7, v13, v13
	v_cndmask_b32_e64 v7, v13, v7, s0
	v_cmp_nlt_f32_e64 s0, 0x42b17217, v6
	s_delay_alu instid0(VALU_DEP_1) | instskip(SKIP_1) | instid1(VALU_DEP_1)
	v_cndmask_b32_e64 v7, 0x7f800000, v7, s0
	v_cmp_ngt_f32_e64 s0, 0xc1880000, v6
	v_cndmask_b32_e64 v6, -1.0, v7, s0
	s_delay_alu instid0(VALU_DEP_1) | instskip(SKIP_1) | instid1(VALU_DEP_2)
	v_bfe_u32 v7, v6, 16, 1
	v_cmp_o_f32_e64 s0, v6, v6
	v_add3_u32 v7, v6, v7, 0x7fff
	s_delay_alu instid0(VALU_DEP_1) | instskip(NEXT) | instid1(VALU_DEP_1)
	v_lshrrev_b32_e32 v7, 16, v7
	v_cndmask_b32_e64 v6, 0x7fc0, v7, s0
.LBB148_31:
	s_or_b32 exec_lo, exec_lo, s1
	v_or_b32_e32 v7, 0x700, v0
	s_delay_alu instid0(VALU_DEP_1) | instskip(NEXT) | instid1(VALU_DEP_1)
	v_cmp_gt_i32_e64 s0, s7, v7
                                        ; implicit-def: $vgpr7
	s_and_saveexec_b32 s1, s0
	s_cbranch_execz .LBB148_44
; %bb.32:
	s_mov_b32 s0, 0x395133b1
	v_lshlrev_b32_e32 v2, 16, v2
	s_delay_alu instid0(VALU_DEP_1) | instskip(NEXT) | instid1(VALU_DEP_1)
	v_mul_f32_e32 v7, 0x3fb8aa3b, v2
	v_rndne_f32_e32 v7, v7
	s_delay_alu instid0(VALU_DEP_1) | instskip(SKIP_1) | instid1(VALU_DEP_2)
	v_fmamk_f32 v12, v7, 0xbf317218, v2
	v_cvt_i32_f32_e32 v14, v7
	v_fmamk_f32 v12, v7, 0x3102e308, v12
	s_delay_alu instid0(VALU_DEP_1) | instskip(SKIP_1) | instid1(VALU_DEP_2)
	v_fmaak_f32 v13, s0, v12, 0x3ab69700
	v_cmp_eq_f32_e64 s0, 0x43000000, v7
	v_fmaak_f32 v13, v12, v13, 0x3c0887f9
	s_delay_alu instid0(VALU_DEP_2) | instskip(NEXT) | instid1(VALU_DEP_2)
	v_cndmask_b32_e64 v7, v14, 0x7f, s0
	v_fmaak_f32 v13, v12, v13, 0x3d2aaa81
	s_delay_alu instid0(VALU_DEP_2) | instskip(NEXT) | instid1(VALU_DEP_2)
	v_ldexp_f32 v7, 1.0, v7
	v_fmaak_f32 v13, v12, v13, 0x3e2aaaab
	s_delay_alu instid0(VALU_DEP_1) | instskip(NEXT) | instid1(VALU_DEP_1)
	v_fma_f32 v13, v12, v13, 0.5
	v_mul_f32_e32 v13, v12, v13
	s_delay_alu instid0(VALU_DEP_1) | instskip(NEXT) | instid1(VALU_DEP_1)
	v_dual_fmac_f32 v12, v12, v13 :: v_dual_add_f32 v13, -1.0, v7
	v_fmac_f32_e32 v13, v7, v12
	s_delay_alu instid0(VALU_DEP_1) | instskip(NEXT) | instid1(VALU_DEP_1)
	v_add_f32_e32 v7, v13, v13
	v_cndmask_b32_e64 v7, v13, v7, s0
	v_cmp_nlt_f32_e64 s0, 0x42b17217, v2
	s_delay_alu instid0(VALU_DEP_1) | instskip(SKIP_1) | instid1(VALU_DEP_1)
	v_cndmask_b32_e64 v7, 0x7f800000, v7, s0
	v_cmp_ngt_f32_e64 s0, 0xc1880000, v2
	v_cndmask_b32_e64 v2, -1.0, v7, s0
	s_delay_alu instid0(VALU_DEP_1) | instskip(SKIP_1) | instid1(VALU_DEP_2)
	v_bfe_u32 v7, v2, 16, 1
	v_cmp_o_f32_e64 s0, v2, v2
	v_add3_u32 v7, v2, v7, 0x7fff
	s_delay_alu instid0(VALU_DEP_1) | instskip(NEXT) | instid1(VALU_DEP_1)
	v_lshrrev_b32_e32 v7, 16, v7
	v_cndmask_b32_e64 v7, 0x7fc0, v7, s0
	s_or_b32 exec_lo, exec_lo, s1
	s_and_saveexec_b32 s0, vcc_lo
	s_delay_alu instid0(SALU_CYCLE_1)
	s_xor_b32 s0, exec_lo, s0
	s_cbranch_execnz .LBB148_45
.LBB148_33:
	s_or_b32 exec_lo, exec_lo, s0
	s_delay_alu instid0(SALU_CYCLE_1)
	s_mov_b32 s0, exec_lo
	v_cmpx_gt_i32_e64 s7, v0
	s_cbranch_execz .LBB148_46
.LBB148_34:
	v_dual_mov_b32 v2, 0 :: v_dual_add_nc_u32 v1, s12, v0
	v_add_nc_u32_e32 v0, 0x100, v0
	s_delay_alu instid0(VALU_DEP_2) | instskip(NEXT) | instid1(VALU_DEP_1)
	v_lshlrev_b64 v[1:2], 1, v[1:2]
	v_add_co_u32 v1, vcc_lo, s8, v1
	s_delay_alu instid0(VALU_DEP_2) | instskip(SKIP_2) | instid1(SALU_CYCLE_1)
	v_add_co_ci_u32_e32 v2, vcc_lo, s9, v2, vcc_lo
	global_store_b16 v[1:2], v5, off
	s_or_b32 exec_lo, exec_lo, s0
	s_mov_b32 s0, exec_lo
	v_cmpx_gt_i32_e64 s7, v0
	s_cbranch_execnz .LBB148_47
.LBB148_35:
	s_or_b32 exec_lo, exec_lo, s0
	s_delay_alu instid0(SALU_CYCLE_1)
	s_mov_b32 s0, exec_lo
	v_cmpx_gt_i32_e64 s7, v0
	s_cbranch_execz .LBB148_48
.LBB148_36:
	v_dual_mov_b32 v2, 0 :: v_dual_add_nc_u32 v1, s12, v0
	v_add_nc_u32_e32 v0, 0x100, v0
	s_delay_alu instid0(VALU_DEP_2) | instskip(NEXT) | instid1(VALU_DEP_1)
	v_lshlrev_b64 v[1:2], 1, v[1:2]
	v_add_co_u32 v1, vcc_lo, s8, v1
	s_delay_alu instid0(VALU_DEP_2) | instskip(SKIP_2) | instid1(SALU_CYCLE_1)
	v_add_co_ci_u32_e32 v2, vcc_lo, s9, v2, vcc_lo
	global_store_b16 v[1:2], v11, off
	s_or_b32 exec_lo, exec_lo, s0
	s_mov_b32 s0, exec_lo
	v_cmpx_gt_i32_e64 s7, v0
	s_cbranch_execnz .LBB148_49
.LBB148_37:
	s_or_b32 exec_lo, exec_lo, s0
	s_delay_alu instid0(SALU_CYCLE_1)
	s_mov_b32 s0, exec_lo
	v_cmpx_gt_i32_e64 s7, v0
	s_cbranch_execz .LBB148_50
.LBB148_38:
	v_dual_mov_b32 v2, 0 :: v_dual_add_nc_u32 v1, s12, v0
	v_add_nc_u32_e32 v0, 0x100, v0
	s_delay_alu instid0(VALU_DEP_2) | instskip(NEXT) | instid1(VALU_DEP_1)
	v_lshlrev_b64 v[1:2], 1, v[1:2]
	v_add_co_u32 v1, vcc_lo, s8, v1
	s_delay_alu instid0(VALU_DEP_2) | instskip(SKIP_2) | instid1(SALU_CYCLE_1)
	v_add_co_ci_u32_e32 v2, vcc_lo, s9, v2, vcc_lo
	global_store_b16 v[1:2], v10, off
	s_or_b32 exec_lo, exec_lo, s0
	s_mov_b32 s0, exec_lo
	v_cmpx_gt_i32_e64 s7, v0
	s_cbranch_execnz .LBB148_51
.LBB148_39:
	s_or_b32 exec_lo, exec_lo, s0
	s_delay_alu instid0(SALU_CYCLE_1)
	s_mov_b32 s0, exec_lo
	v_cmpx_gt_i32_e64 s7, v0
	s_cbranch_execz .LBB148_41
.LBB148_40:
	v_dual_mov_b32 v1, 0 :: v_dual_add_nc_u32 v0, s12, v0
	s_delay_alu instid0(VALU_DEP_1) | instskip(NEXT) | instid1(VALU_DEP_1)
	v_lshlrev_b64 v[0:1], 1, v[0:1]
	v_add_co_u32 v0, vcc_lo, s8, v0
	s_delay_alu instid0(VALU_DEP_2)
	v_add_co_ci_u32_e32 v1, vcc_lo, s9, v1, vcc_lo
	global_store_b16 v[0:1], v7, off
.LBB148_41:
	s_nop 0
	s_sendmsg sendmsg(MSG_DEALLOC_VGPRS)
	s_endpgm
.LBB148_42:
	s_or_b32 exec_lo, exec_lo, s1
	s_delay_alu instid0(SALU_CYCLE_1)
	s_mov_b32 s1, exec_lo
	v_cmpx_gt_i32_e64 s7, v4
	s_cbranch_execz .LBB148_17
.LBB148_43:
	v_dual_mov_b32 v13, 0 :: v_dual_add_nc_u32 v12, s12, v4
	s_delay_alu instid0(VALU_DEP_1) | instskip(NEXT) | instid1(VALU_DEP_1)
	v_lshlrev_b64 v[12:13], 1, v[12:13]
	v_add_co_u32 v12, s0, s10, v12
	s_delay_alu instid0(VALU_DEP_1)
	v_add_co_ci_u32_e64 v13, s0, s11, v13, s0
	global_load_u16 v2, v[12:13], off
	s_or_b32 exec_lo, exec_lo, s1
                                        ; implicit-def: $vgpr4
	s_and_saveexec_b32 s1, vcc_lo
	s_cbranch_execz .LBB148_19
	s_branch .LBB148_18
.LBB148_44:
	s_or_b32 exec_lo, exec_lo, s1
	s_and_saveexec_b32 s0, vcc_lo
	s_delay_alu instid0(SALU_CYCLE_1)
	s_xor_b32 s0, exec_lo, s0
	s_cbranch_execz .LBB148_33
.LBB148_45:
	v_mov_b32_e32 v2, 0
	s_delay_alu instid0(VALU_DEP_1) | instskip(NEXT) | instid1(VALU_DEP_1)
	v_lshlrev_b64 v[0:1], 1, v[1:2]
	v_add_co_u32 v12, vcc_lo, s8, v0
	s_delay_alu instid0(VALU_DEP_2) | instskip(SKIP_3) | instid1(SALU_CYCLE_1)
	v_add_co_ci_u32_e32 v13, vcc_lo, s9, v1, vcc_lo
	v_mov_b32_e32 v0, v3
	global_store_b16 v[12:13], v4, off
	s_or_b32 exec_lo, exec_lo, s0
	s_mov_b32 s0, exec_lo
	v_cmpx_gt_i32_e64 s7, v0
	s_cbranch_execnz .LBB148_34
.LBB148_46:
	s_or_b32 exec_lo, exec_lo, s0
	s_delay_alu instid0(SALU_CYCLE_1)
	s_mov_b32 s0, exec_lo
	v_cmpx_gt_i32_e64 s7, v0
	s_cbranch_execz .LBB148_35
.LBB148_47:
	v_dual_mov_b32 v2, 0 :: v_dual_add_nc_u32 v1, s12, v0
	v_add_nc_u32_e32 v0, 0x100, v0
	s_delay_alu instid0(VALU_DEP_2) | instskip(NEXT) | instid1(VALU_DEP_1)
	v_lshlrev_b64 v[1:2], 1, v[1:2]
	v_add_co_u32 v1, vcc_lo, s8, v1
	s_delay_alu instid0(VALU_DEP_2) | instskip(SKIP_2) | instid1(SALU_CYCLE_1)
	v_add_co_ci_u32_e32 v2, vcc_lo, s9, v2, vcc_lo
	global_store_b16 v[1:2], v8, off
	s_or_b32 exec_lo, exec_lo, s0
	s_mov_b32 s0, exec_lo
	v_cmpx_gt_i32_e64 s7, v0
	s_cbranch_execnz .LBB148_36
.LBB148_48:
	s_or_b32 exec_lo, exec_lo, s0
	s_delay_alu instid0(SALU_CYCLE_1)
	s_mov_b32 s0, exec_lo
	v_cmpx_gt_i32_e64 s7, v0
	s_cbranch_execz .LBB148_37
.LBB148_49:
	v_dual_mov_b32 v2, 0 :: v_dual_add_nc_u32 v1, s12, v0
	v_add_nc_u32_e32 v0, 0x100, v0
	s_delay_alu instid0(VALU_DEP_2) | instskip(NEXT) | instid1(VALU_DEP_1)
	v_lshlrev_b64 v[1:2], 1, v[1:2]
	v_add_co_u32 v1, vcc_lo, s8, v1
	s_delay_alu instid0(VALU_DEP_2) | instskip(SKIP_2) | instid1(SALU_CYCLE_1)
	v_add_co_ci_u32_e32 v2, vcc_lo, s9, v2, vcc_lo
	global_store_b16 v[1:2], v9, off
	s_or_b32 exec_lo, exec_lo, s0
	s_mov_b32 s0, exec_lo
	v_cmpx_gt_i32_e64 s7, v0
	s_cbranch_execnz .LBB148_38
.LBB148_50:
	s_or_b32 exec_lo, exec_lo, s0
	s_delay_alu instid0(SALU_CYCLE_1)
	s_mov_b32 s0, exec_lo
	v_cmpx_gt_i32_e64 s7, v0
	s_cbranch_execz .LBB148_39
.LBB148_51:
	v_dual_mov_b32 v2, 0 :: v_dual_add_nc_u32 v1, s12, v0
	v_add_nc_u32_e32 v0, 0x100, v0
	s_delay_alu instid0(VALU_DEP_2) | instskip(NEXT) | instid1(VALU_DEP_1)
	v_lshlrev_b64 v[1:2], 1, v[1:2]
	v_add_co_u32 v1, vcc_lo, s8, v1
	s_delay_alu instid0(VALU_DEP_2) | instskip(SKIP_2) | instid1(SALU_CYCLE_1)
	v_add_co_ci_u32_e32 v2, vcc_lo, s9, v2, vcc_lo
	global_store_b16 v[1:2], v6, off
	s_or_b32 exec_lo, exec_lo, s0
	s_mov_b32 s0, exec_lo
	v_cmpx_gt_i32_e64 s7, v0
	s_cbranch_execnz .LBB148_40
	s_branch .LBB148_41
	.section	.rodata,"a",@progbits
	.p2align	6, 0x0
	.amdhsa_kernel _ZN2at6native29vectorized_elementwise_kernelILi4EZZZNS0_17expm1_kernel_cudaERNS_18TensorIteratorBaseEENKUlvE_clEvENKUlvE3_clEvEUlN3c108BFloat16EE_St5arrayIPcLm2EEEEviT0_T1_
		.amdhsa_group_segment_fixed_size 0
		.amdhsa_private_segment_fixed_size 0
		.amdhsa_kernarg_size 24
		.amdhsa_user_sgpr_count 15
		.amdhsa_user_sgpr_dispatch_ptr 0
		.amdhsa_user_sgpr_queue_ptr 0
		.amdhsa_user_sgpr_kernarg_segment_ptr 1
		.amdhsa_user_sgpr_dispatch_id 0
		.amdhsa_user_sgpr_private_segment_size 0
		.amdhsa_wavefront_size32 1
		.amdhsa_uses_dynamic_stack 0
		.amdhsa_enable_private_segment 0
		.amdhsa_system_sgpr_workgroup_id_x 1
		.amdhsa_system_sgpr_workgroup_id_y 0
		.amdhsa_system_sgpr_workgroup_id_z 0
		.amdhsa_system_sgpr_workgroup_info 0
		.amdhsa_system_vgpr_workitem_id 0
		.amdhsa_next_free_vgpr 42
		.amdhsa_next_free_sgpr 16
		.amdhsa_reserve_vcc 1
		.amdhsa_float_round_mode_32 0
		.amdhsa_float_round_mode_16_64 0
		.amdhsa_float_denorm_mode_32 3
		.amdhsa_float_denorm_mode_16_64 3
		.amdhsa_dx10_clamp 1
		.amdhsa_ieee_mode 1
		.amdhsa_fp16_overflow 0
		.amdhsa_workgroup_processor_mode 1
		.amdhsa_memory_ordered 1
		.amdhsa_forward_progress 0
		.amdhsa_shared_vgpr_count 0
		.amdhsa_exception_fp_ieee_invalid_op 0
		.amdhsa_exception_fp_denorm_src 0
		.amdhsa_exception_fp_ieee_div_zero 0
		.amdhsa_exception_fp_ieee_overflow 0
		.amdhsa_exception_fp_ieee_underflow 0
		.amdhsa_exception_fp_ieee_inexact 0
		.amdhsa_exception_int_div_zero 0
	.end_amdhsa_kernel
	.section	.text._ZN2at6native29vectorized_elementwise_kernelILi4EZZZNS0_17expm1_kernel_cudaERNS_18TensorIteratorBaseEENKUlvE_clEvENKUlvE3_clEvEUlN3c108BFloat16EE_St5arrayIPcLm2EEEEviT0_T1_,"axG",@progbits,_ZN2at6native29vectorized_elementwise_kernelILi4EZZZNS0_17expm1_kernel_cudaERNS_18TensorIteratorBaseEENKUlvE_clEvENKUlvE3_clEvEUlN3c108BFloat16EE_St5arrayIPcLm2EEEEviT0_T1_,comdat
.Lfunc_end148:
	.size	_ZN2at6native29vectorized_elementwise_kernelILi4EZZZNS0_17expm1_kernel_cudaERNS_18TensorIteratorBaseEENKUlvE_clEvENKUlvE3_clEvEUlN3c108BFloat16EE_St5arrayIPcLm2EEEEviT0_T1_, .Lfunc_end148-_ZN2at6native29vectorized_elementwise_kernelILi4EZZZNS0_17expm1_kernel_cudaERNS_18TensorIteratorBaseEENKUlvE_clEvENKUlvE3_clEvEUlN3c108BFloat16EE_St5arrayIPcLm2EEEEviT0_T1_
                                        ; -- End function
	.section	.AMDGPU.csdata,"",@progbits
; Kernel info:
; codeLenInByte = 5980
; NumSgprs: 18
; NumVgprs: 42
; ScratchSize: 0
; MemoryBound: 0
; FloatMode: 240
; IeeeMode: 1
; LDSByteSize: 0 bytes/workgroup (compile time only)
; SGPRBlocks: 2
; VGPRBlocks: 5
; NumSGPRsForWavesPerEU: 18
; NumVGPRsForWavesPerEU: 42
; Occupancy: 16
; WaveLimiterHint : 1
; COMPUTE_PGM_RSRC2:SCRATCH_EN: 0
; COMPUTE_PGM_RSRC2:USER_SGPR: 15
; COMPUTE_PGM_RSRC2:TRAP_HANDLER: 0
; COMPUTE_PGM_RSRC2:TGID_X_EN: 1
; COMPUTE_PGM_RSRC2:TGID_Y_EN: 0
; COMPUTE_PGM_RSRC2:TGID_Z_EN: 0
; COMPUTE_PGM_RSRC2:TIDIG_COMP_CNT: 0
	.section	.text._ZN2at6native29vectorized_elementwise_kernelILi2EZZZNS0_17expm1_kernel_cudaERNS_18TensorIteratorBaseEENKUlvE_clEvENKUlvE3_clEvEUlN3c108BFloat16EE_St5arrayIPcLm2EEEEviT0_T1_,"axG",@progbits,_ZN2at6native29vectorized_elementwise_kernelILi2EZZZNS0_17expm1_kernel_cudaERNS_18TensorIteratorBaseEENKUlvE_clEvENKUlvE3_clEvEUlN3c108BFloat16EE_St5arrayIPcLm2EEEEviT0_T1_,comdat
	.globl	_ZN2at6native29vectorized_elementwise_kernelILi2EZZZNS0_17expm1_kernel_cudaERNS_18TensorIteratorBaseEENKUlvE_clEvENKUlvE3_clEvEUlN3c108BFloat16EE_St5arrayIPcLm2EEEEviT0_T1_ ; -- Begin function _ZN2at6native29vectorized_elementwise_kernelILi2EZZZNS0_17expm1_kernel_cudaERNS_18TensorIteratorBaseEENKUlvE_clEvENKUlvE3_clEvEUlN3c108BFloat16EE_St5arrayIPcLm2EEEEviT0_T1_
	.p2align	8
	.type	_ZN2at6native29vectorized_elementwise_kernelILi2EZZZNS0_17expm1_kernel_cudaERNS_18TensorIteratorBaseEENKUlvE_clEvENKUlvE3_clEvEUlN3c108BFloat16EE_St5arrayIPcLm2EEEEviT0_T1_,@function
_ZN2at6native29vectorized_elementwise_kernelILi2EZZZNS0_17expm1_kernel_cudaERNS_18TensorIteratorBaseEENKUlvE_clEvENKUlvE3_clEvEUlN3c108BFloat16EE_St5arrayIPcLm2EEEEviT0_T1_: ; @_ZN2at6native29vectorized_elementwise_kernelILi2EZZZNS0_17expm1_kernel_cudaERNS_18TensorIteratorBaseEENKUlvE_clEvENKUlvE3_clEvEUlN3c108BFloat16EE_St5arrayIPcLm2EEEEviT0_T1_
; %bb.0:
	s_clause 0x1
	s_load_b32 s2, s[0:1], 0x0
	s_load_b128 s[8:11], s[0:1], 0x8
	s_lshl_b32 s12, s15, 11
	s_mov_b32 s0, -1
	s_waitcnt lgkmcnt(0)
	s_sub_i32 s16, s2, s12
	s_delay_alu instid0(SALU_CYCLE_1)
	s_cmpk_gt_i32 s16, 0x7ff
	s_cbranch_scc0 .LBB149_2
; %bb.1:
	s_ashr_i32 s13, s12, 31
	v_lshlrev_b32_e32 v1, 2, v0
	s_lshl_b64 s[6:7], s[12:13], 1
	s_mov_b32 s13, 0x395133b1
	s_add_u32 s0, s10, s6
	s_addc_u32 s1, s11, s7
	s_add_u32 s14, s8, s6
	s_clause 0x3
	global_load_b32 v2, v1, s[0:1]
	global_load_b32 v3, v1, s[0:1] offset:1024
	global_load_b32 v4, v1, s[0:1] offset:2048
	;; [unrolled: 1-line block ×3, first 2 shown]
	s_addc_u32 s15, s9, s7
	s_waitcnt vmcnt(3)
	v_and_b32_e32 v6, 0xffff0000, v2
	v_lshlrev_b32_e32 v2, 16, v2
	s_delay_alu instid0(VALU_DEP_2) | instskip(NEXT) | instid1(VALU_DEP_2)
	v_mul_f32_e32 v11, 0x3fb8aa3b, v6
	v_mul_f32_e32 v10, 0x3fb8aa3b, v2
	s_delay_alu instid0(VALU_DEP_2) | instskip(NEXT) | instid1(VALU_DEP_2)
	v_rndne_f32_e32 v11, v11
	v_rndne_f32_e32 v10, v10
	s_delay_alu instid0(VALU_DEP_2) | instskip(NEXT) | instid1(VALU_DEP_2)
	v_cvt_i32_f32_e32 v21, v11
	v_fmamk_f32 v18, v10, 0xbf317218, v2
	v_cvt_i32_f32_e32 v19, v10
	v_cmp_eq_f32_e32 vcc_lo, 0x43000000, v10
	v_cmp_eq_f32_e64 s0, 0x43000000, v11
	v_fmamk_f32 v20, v11, 0xbf317218, v6
	v_fmac_f32_e32 v18, 0x3102e308, v10
	v_cndmask_b32_e64 v10, v19, 0x7f, vcc_lo
	s_delay_alu instid0(VALU_DEP_2) | instskip(NEXT) | instid1(VALU_DEP_2)
	v_fmaak_f32 v19, s13, v18, 0x3ab69700
	v_ldexp_f32 v10, 1.0, v10
	s_waitcnt vmcnt(2)
	v_and_b32_e32 v7, 0xffff0000, v3
	s_delay_alu instid0(VALU_DEP_2) | instskip(NEXT) | instid1(VALU_DEP_2)
	v_dual_fmaak_f32 v19, v18, v19, 0x3c0887f9 :: v_dual_add_f32 v34, -1.0, v10
	v_mul_f32_e32 v13, 0x3fb8aa3b, v7
	s_delay_alu instid0(VALU_DEP_2) | instskip(NEXT) | instid1(VALU_DEP_2)
	v_fmaak_f32 v19, v18, v19, 0x3d2aaa81
	v_rndne_f32_e32 v13, v13
	s_delay_alu instid0(VALU_DEP_2) | instskip(NEXT) | instid1(VALU_DEP_2)
	v_fmaak_f32 v19, v18, v19, 0x3e2aaaab
	v_fmamk_f32 v24, v13, 0xbf317218, v7
	v_cvt_i32_f32_e32 v25, v13
	v_cmp_eq_f32_e64 s2, 0x43000000, v13
	s_delay_alu instid0(VALU_DEP_4) | instskip(NEXT) | instid1(VALU_DEP_4)
	v_fma_f32 v19, v18, v19, 0.5
	v_fmac_f32_e32 v24, 0x3102e308, v13
	s_delay_alu instid0(VALU_DEP_3) | instskip(NEXT) | instid1(VALU_DEP_3)
	v_cndmask_b32_e64 v13, v25, 0x7f, s2
	v_mul_f32_e32 v19, v18, v19
	s_delay_alu instid0(VALU_DEP_2)
	v_ldexp_f32 v13, 1.0, v13
	s_waitcnt vmcnt(1)
	v_and_b32_e32 v8, 0xffff0000, v4
	v_lshlrev_b32_e32 v4, 16, v4
	v_lshlrev_b32_e32 v3, 16, v3
	v_add_f32_e32 v37, -1.0, v13
	s_delay_alu instid0(VALU_DEP_4) | instskip(NEXT) | instid1(VALU_DEP_4)
	v_mul_f32_e32 v15, 0x3fb8aa3b, v8
	v_mul_f32_e32 v14, 0x3fb8aa3b, v4
	s_delay_alu instid0(VALU_DEP_4) | instskip(NEXT) | instid1(VALU_DEP_3)
	v_mul_f32_e32 v12, 0x3fb8aa3b, v3
	v_rndne_f32_e32 v15, v15
	s_delay_alu instid0(VALU_DEP_3) | instskip(NEXT) | instid1(VALU_DEP_3)
	v_rndne_f32_e32 v14, v14
	v_rndne_f32_e32 v12, v12
	s_delay_alu instid0(VALU_DEP_3) | instskip(SKIP_1) | instid1(VALU_DEP_3)
	v_cvt_i32_f32_e32 v29, v15
	v_cmp_eq_f32_e64 s4, 0x43000000, v15
	v_fmamk_f32 v22, v12, 0xbf317218, v3
	v_cvt_i32_f32_e32 v23, v12
	v_cmp_eq_f32_e64 s1, 0x43000000, v12
	v_cvt_i32_f32_e32 v27, v14
	v_cmp_eq_f32_e64 s3, 0x43000000, v14
	v_fmac_f32_e32 v22, 0x3102e308, v12
	s_delay_alu instid0(VALU_DEP_4) | instskip(NEXT) | instid1(VALU_DEP_2)
	v_cndmask_b32_e64 v12, v23, 0x7f, s1
	v_fmaak_f32 v23, s13, v22, 0x3ab69700
	s_delay_alu instid0(VALU_DEP_2) | instskip(SKIP_2) | instid1(VALU_DEP_2)
	v_ldexp_f32 v12, 1.0, v12
	s_waitcnt vmcnt(0)
	v_and_b32_e32 v9, 0xffff0000, v5
	v_dual_add_f32 v36, -1.0, v12 :: v_dual_lshlrev_b32 v5, 16, v5
	v_fmaak_f32 v23, v22, v23, 0x3c0887f9
	s_delay_alu instid0(VALU_DEP_1) | instskip(NEXT) | instid1(VALU_DEP_1)
	v_fmaak_f32 v23, v22, v23, 0x3d2aaa81
	v_fmaak_f32 v23, v22, v23, 0x3e2aaaab
	s_delay_alu instid0(VALU_DEP_1) | instskip(NEXT) | instid1(VALU_DEP_1)
	v_fma_f32 v23, v22, v23, 0.5
	v_dual_fmamk_f32 v28, v15, 0xbf317218, v8 :: v_dual_mul_f32 v23, v22, v23
	v_fmaak_f32 v25, s13, v24, 0x3ab69700
	s_delay_alu instid0(VALU_DEP_2) | instskip(SKIP_1) | instid1(VALU_DEP_3)
	v_fmac_f32_e32 v28, 0x3102e308, v15
	v_cndmask_b32_e64 v15, v29, 0x7f, s4
	v_fmaak_f32 v25, v24, v25, 0x3c0887f9
	s_delay_alu instid0(VALU_DEP_2) | instskip(SKIP_1) | instid1(VALU_DEP_3)
	v_ldexp_f32 v15, 1.0, v15
	v_mul_f32_e32 v16, 0x3fb8aa3b, v5
	v_fmaak_f32 v25, v24, v25, 0x3d2aaa81
	s_delay_alu instid0(VALU_DEP_3) | instskip(NEXT) | instid1(VALU_DEP_3)
	v_add_f32_e32 v39, -1.0, v15
	v_rndne_f32_e32 v16, v16
	s_delay_alu instid0(VALU_DEP_3) | instskip(NEXT) | instid1(VALU_DEP_2)
	v_fmaak_f32 v25, v24, v25, 0x3e2aaaab
	v_cvt_i32_f32_e32 v31, v16
	v_cmp_eq_f32_e64 s5, 0x43000000, v16
	s_delay_alu instid0(VALU_DEP_3) | instskip(NEXT) | instid1(VALU_DEP_1)
	v_fma_f32 v25, v24, v25, 0.5
	v_dual_fmamk_f32 v26, v14, 0xbf317218, v4 :: v_dual_mul_f32 v25, v24, v25
	v_fmaak_f32 v29, s13, v28, 0x3ab69700
	s_delay_alu instid0(VALU_DEP_2) | instskip(SKIP_1) | instid1(VALU_DEP_3)
	v_fmac_f32_e32 v26, 0x3102e308, v14
	v_cndmask_b32_e64 v14, v27, 0x7f, s3
	v_fmaak_f32 v29, v28, v29, 0x3c0887f9
	s_delay_alu instid0(VALU_DEP_2) | instskip(SKIP_1) | instid1(VALU_DEP_2)
	v_ldexp_f32 v14, 1.0, v14
	v_mul_f32_e32 v17, 0x3fb8aa3b, v9
	v_dual_fmaak_f32 v29, v28, v29, 0x3d2aaa81 :: v_dual_add_f32 v38, -1.0, v14
	s_delay_alu instid0(VALU_DEP_2) | instskip(NEXT) | instid1(VALU_DEP_2)
	v_rndne_f32_e32 v17, v17
	v_fmaak_f32 v29, v28, v29, 0x3e2aaaab
	s_delay_alu instid0(VALU_DEP_2) | instskip(SKIP_1) | instid1(VALU_DEP_3)
	v_cvt_i32_f32_e32 v33, v17
	v_cmp_eq_f32_e64 s6, 0x43000000, v17
	v_fma_f32 v29, v28, v29, 0.5
	s_delay_alu instid0(VALU_DEP_1) | instskip(NEXT) | instid1(VALU_DEP_1)
	v_dual_fmamk_f32 v32, v17, 0xbf317218, v9 :: v_dual_mul_f32 v29, v28, v29
	v_fmac_f32_e32 v32, 0x3102e308, v17
	s_delay_alu instid0(VALU_DEP_4) | instskip(NEXT) | instid1(VALU_DEP_2)
	v_cndmask_b32_e64 v17, v33, 0x7f, s6
	v_fmaak_f32 v33, s13, v32, 0x3ab69700
	s_delay_alu instid0(VALU_DEP_2) | instskip(NEXT) | instid1(VALU_DEP_2)
	v_ldexp_f32 v17, 1.0, v17
	v_fmaak_f32 v33, v32, v33, 0x3c0887f9
	s_delay_alu instid0(VALU_DEP_2) | instskip(NEXT) | instid1(VALU_DEP_2)
	v_add_f32_e32 v41, -1.0, v17
	v_fmaak_f32 v33, v32, v33, 0x3d2aaa81
	s_delay_alu instid0(VALU_DEP_1) | instskip(NEXT) | instid1(VALU_DEP_1)
	v_fmaak_f32 v33, v32, v33, 0x3e2aaaab
	v_fma_f32 v33, v32, v33, 0.5
	v_fmac_f32_e32 v20, 0x3102e308, v11
	v_cndmask_b32_e64 v11, v21, 0x7f, s0
	s_delay_alu instid0(VALU_DEP_3) | instskip(NEXT) | instid1(VALU_DEP_3)
	v_mul_f32_e32 v33, v32, v33
	v_fmaak_f32 v21, s13, v20, 0x3ab69700
	s_delay_alu instid0(VALU_DEP_3) | instskip(NEXT) | instid1(VALU_DEP_3)
	v_ldexp_f32 v11, 1.0, v11
	v_fmac_f32_e32 v32, v32, v33
	s_delay_alu instid0(VALU_DEP_3) | instskip(NEXT) | instid1(VALU_DEP_3)
	v_fmaak_f32 v21, v20, v21, 0x3c0887f9
	v_add_f32_e32 v35, -1.0, v11
	s_delay_alu instid0(VALU_DEP_3) | instskip(NEXT) | instid1(VALU_DEP_3)
	v_fmac_f32_e32 v41, v17, v32
	v_fmaak_f32 v21, v20, v21, 0x3d2aaa81
	v_fmac_f32_e32 v28, v28, v29
	s_delay_alu instid0(VALU_DEP_2) | instskip(NEXT) | instid1(VALU_DEP_2)
	v_fmaak_f32 v21, v20, v21, 0x3e2aaaab
	v_fmac_f32_e32 v39, v15, v28
	s_delay_alu instid0(VALU_DEP_2) | instskip(NEXT) | instid1(VALU_DEP_1)
	v_fma_f32 v21, v20, v21, 0.5
	v_mul_f32_e32 v21, v20, v21
	s_delay_alu instid0(VALU_DEP_1) | instskip(NEXT) | instid1(VALU_DEP_1)
	v_fmac_f32_e32 v20, v20, v21
	v_dual_fmac_f32 v35, v11, v20 :: v_dual_fmac_f32 v24, v24, v25
	s_delay_alu instid0(VALU_DEP_1) | instskip(NEXT) | instid1(VALU_DEP_2)
	v_add_f32_e32 v11, v35, v35
	v_fmac_f32_e32 v37, v13, v24
	v_dual_fmaak_f32 v27, s13, v26, 0x3ab69700 :: v_dual_fmac_f32 v22, v22, v23
	s_delay_alu instid0(VALU_DEP_3) | instskip(SKIP_1) | instid1(VALU_DEP_2)
	v_cndmask_b32_e64 v11, v35, v11, s0
	s_mov_b32 s0, 0
	v_dual_fmaak_f32 v27, v26, v27, 0x3c0887f9 :: v_dual_fmac_f32 v36, v12, v22
	v_add_f32_e32 v13, v37, v37
	s_delay_alu instid0(VALU_DEP_2) | instskip(NEXT) | instid1(VALU_DEP_2)
	v_dual_fmaak_f32 v27, v26, v27, 0x3d2aaa81 :: v_dual_add_f32 v12, v36, v36
	v_cndmask_b32_e64 v13, v37, v13, s2
	s_delay_alu instid0(VALU_DEP_2) | instskip(NEXT) | instid1(VALU_DEP_3)
	v_fmaak_f32 v27, v26, v27, 0x3e2aaaab
	v_cndmask_b32_e64 v12, v36, v12, s1
	s_delay_alu instid0(VALU_DEP_2) | instskip(NEXT) | instid1(VALU_DEP_1)
	v_fma_f32 v27, v26, v27, 0.5
	v_dual_fmamk_f32 v30, v16, 0xbf317218, v5 :: v_dual_mul_f32 v27, v26, v27
	s_delay_alu instid0(VALU_DEP_1) | instskip(SKIP_1) | instid1(VALU_DEP_2)
	v_fmac_f32_e32 v30, 0x3102e308, v16
	v_cndmask_b32_e64 v16, v31, 0x7f, s5
	v_dual_fmac_f32 v26, v26, v27 :: v_dual_fmaak_f32 v31, s13, v30, 0x3ab69700
	s_delay_alu instid0(VALU_DEP_2) | instskip(NEXT) | instid1(VALU_DEP_2)
	v_ldexp_f32 v16, 1.0, v16
	v_fmac_f32_e32 v38, v14, v26
	s_delay_alu instid0(VALU_DEP_2) | instskip(NEXT) | instid1(VALU_DEP_2)
	v_dual_fmaak_f32 v31, v30, v31, 0x3c0887f9 :: v_dual_add_f32 v40, -1.0, v16
	v_add_f32_e32 v14, v38, v38
	s_delay_alu instid0(VALU_DEP_2) | instskip(NEXT) | instid1(VALU_DEP_2)
	v_fmaak_f32 v31, v30, v31, 0x3d2aaa81
	v_cndmask_b32_e64 v14, v38, v14, s3
	s_delay_alu instid0(VALU_DEP_2) | instskip(NEXT) | instid1(VALU_DEP_1)
	v_fmaak_f32 v31, v30, v31, 0x3e2aaaab
	v_fma_f32 v31, v30, v31, 0.5
	s_delay_alu instid0(VALU_DEP_1) | instskip(SKIP_1) | instid1(VALU_DEP_2)
	v_mul_f32_e32 v31, v30, v31
	v_fmac_f32_e32 v18, v18, v19
	v_fmac_f32_e32 v30, v30, v31
	s_delay_alu instid0(VALU_DEP_2) | instskip(NEXT) | instid1(VALU_DEP_2)
	v_fmac_f32_e32 v34, v10, v18
	v_fmac_f32_e32 v40, v16, v30
	s_delay_alu instid0(VALU_DEP_2) | instskip(NEXT) | instid1(VALU_DEP_2)
	v_add_f32_e32 v10, v34, v34
	v_add_f32_e32 v16, v40, v40
	s_delay_alu instid0(VALU_DEP_2) | instskip(SKIP_2) | instid1(VALU_DEP_4)
	v_cndmask_b32_e32 v10, v34, v10, vcc_lo
	v_cmp_nlt_f32_e32 vcc_lo, 0x42b17217, v2
	v_add_f32_e32 v15, v39, v39
	v_cndmask_b32_e64 v16, v40, v16, s5
	s_delay_alu instid0(VALU_DEP_4) | instskip(SKIP_1) | instid1(VALU_DEP_4)
	v_cndmask_b32_e32 v10, 0x7f800000, v10, vcc_lo
	v_cmp_nlt_f32_e32 vcc_lo, 0x42b17217, v6
	v_cndmask_b32_e64 v15, v39, v15, s4
	v_cndmask_b32_e32 v11, 0x7f800000, v11, vcc_lo
	v_cmp_nlt_f32_e32 vcc_lo, 0x42b17217, v3
	v_dual_add_f32 v17, v41, v41 :: v_dual_cndmask_b32 v12, 0x7f800000, v12
	v_cmp_nlt_f32_e32 vcc_lo, 0x42b17217, v7
	s_delay_alu instid0(VALU_DEP_2)
	v_cndmask_b32_e64 v17, v41, v17, s6
	v_cndmask_b32_e32 v13, 0x7f800000, v13, vcc_lo
	v_cmp_nlt_f32_e32 vcc_lo, 0x42b17217, v4
	v_cndmask_b32_e32 v14, 0x7f800000, v14, vcc_lo
	v_cmp_nlt_f32_e32 vcc_lo, 0x42b17217, v8
	;; [unrolled: 2-line block ×4, first 2 shown]
	v_cndmask_b32_e32 v17, 0x7f800000, v17, vcc_lo
	v_cmp_ngt_f32_e32 vcc_lo, 0xc1880000, v2
	v_cndmask_b32_e32 v2, -1.0, v10, vcc_lo
	v_cmp_ngt_f32_e32 vcc_lo, 0xc1880000, v6
	s_delay_alu instid0(VALU_DEP_2) | instskip(SKIP_2) | instid1(VALU_DEP_3)
	v_bfe_u32 v10, v2, 16, 1
	v_cndmask_b32_e32 v6, -1.0, v11, vcc_lo
	v_cmp_ngt_f32_e32 vcc_lo, 0xc1880000, v3
	v_add3_u32 v10, v2, v10, 0x7fff
	s_delay_alu instid0(VALU_DEP_3) | instskip(SKIP_2) | instid1(VALU_DEP_4)
	v_bfe_u32 v11, v6, 16, 1
	v_cndmask_b32_e32 v3, -1.0, v12, vcc_lo
	v_cmp_ngt_f32_e32 vcc_lo, 0xc1880000, v7
	v_lshrrev_b32_e32 v10, 16, v10
	s_delay_alu instid0(VALU_DEP_4) | instskip(NEXT) | instid1(VALU_DEP_4)
	v_add3_u32 v11, v6, v11, 0x7fff
	v_bfe_u32 v12, v3, 16, 1
	v_cndmask_b32_e32 v7, -1.0, v13, vcc_lo
	v_cmp_ngt_f32_e32 vcc_lo, 0xc1880000, v4
	s_delay_alu instid0(VALU_DEP_4) | instskip(NEXT) | instid1(VALU_DEP_4)
	v_and_b32_e32 v11, 0xffff0000, v11
	v_add3_u32 v12, v3, v12, 0x7fff
	s_delay_alu instid0(VALU_DEP_4) | instskip(SKIP_2) | instid1(VALU_DEP_4)
	v_bfe_u32 v13, v7, 16, 1
	v_cndmask_b32_e32 v4, -1.0, v14, vcc_lo
	v_cmp_ngt_f32_e32 vcc_lo, 0xc1880000, v8
	v_lshrrev_b32_e32 v12, 16, v12
	s_delay_alu instid0(VALU_DEP_4) | instskip(NEXT) | instid1(VALU_DEP_4)
	v_add3_u32 v13, v7, v13, 0x7fff
	v_bfe_u32 v14, v4, 16, 1
	v_cndmask_b32_e32 v8, -1.0, v15, vcc_lo
	v_cmp_ngt_f32_e32 vcc_lo, 0xc1880000, v5
	s_delay_alu instid0(VALU_DEP_4) | instskip(NEXT) | instid1(VALU_DEP_4)
	v_and_b32_e32 v13, 0xffff0000, v13
	v_add3_u32 v14, v4, v14, 0x7fff
	s_delay_alu instid0(VALU_DEP_4) | instskip(SKIP_2) | instid1(VALU_DEP_4)
	v_bfe_u32 v15, v8, 16, 1
	v_cndmask_b32_e32 v5, -1.0, v16, vcc_lo
	v_cmp_ngt_f32_e32 vcc_lo, 0xc1880000, v9
	v_lshrrev_b32_e32 v14, 16, v14
	s_delay_alu instid0(VALU_DEP_4) | instskip(NEXT) | instid1(VALU_DEP_4)
	v_add3_u32 v15, v8, v15, 0x7fff
	v_bfe_u32 v16, v5, 16, 1
	v_cndmask_b32_e32 v9, -1.0, v17, vcc_lo
	v_cmp_o_f32_e32 vcc_lo, v6, v6
	s_delay_alu instid0(VALU_DEP_4) | instskip(NEXT) | instid1(VALU_DEP_4)
	v_and_b32_e32 v15, 0xffff0000, v15
	v_add3_u32 v16, v5, v16, 0x7fff
	s_delay_alu instid0(VALU_DEP_4) | instskip(SKIP_2) | instid1(VALU_DEP_4)
	v_bfe_u32 v17, v9, 16, 1
	v_cndmask_b32_e32 v6, 0x7fc00000, v11, vcc_lo
	v_cmp_o_f32_e32 vcc_lo, v2, v2
	v_lshrrev_b32_e32 v16, 16, v16
	s_delay_alu instid0(VALU_DEP_4) | instskip(SKIP_2) | instid1(VALU_DEP_3)
	v_add3_u32 v17, v9, v17, 0x7fff
	v_cndmask_b32_e32 v2, 0x7fc0, v10, vcc_lo
	v_cmp_o_f32_e32 vcc_lo, v7, v7
	v_and_b32_e32 v17, 0xffff0000, v17
	s_delay_alu instid0(VALU_DEP_3) | instskip(SKIP_4) | instid1(VALU_DEP_2)
	v_or_b32_e32 v2, v6, v2
	v_cndmask_b32_e32 v7, 0x7fc00000, v13, vcc_lo
	v_cmp_o_f32_e32 vcc_lo, v3, v3
	v_cndmask_b32_e32 v3, 0x7fc0, v12, vcc_lo
	v_cmp_o_f32_e32 vcc_lo, v8, v8
	v_or_b32_e32 v3, v7, v3
	v_cndmask_b32_e32 v8, 0x7fc00000, v15, vcc_lo
	v_cmp_o_f32_e32 vcc_lo, v4, v4
	v_cndmask_b32_e32 v4, 0x7fc0, v14, vcc_lo
	v_cmp_o_f32_e32 vcc_lo, v9, v9
	s_delay_alu instid0(VALU_DEP_2) | instskip(SKIP_3) | instid1(VALU_DEP_1)
	v_or_b32_e32 v4, v8, v4
	v_cndmask_b32_e32 v9, 0x7fc00000, v17, vcc_lo
	v_cmp_o_f32_e32 vcc_lo, v5, v5
	v_cndmask_b32_e32 v5, 0x7fc0, v16, vcc_lo
	v_or_b32_e32 v5, v9, v5
	s_clause 0x3
	global_store_b32 v1, v2, s[14:15]
	global_store_b32 v1, v3, s[14:15] offset:1024
	global_store_b32 v1, v4, s[14:15] offset:2048
	;; [unrolled: 1-line block ×3, first 2 shown]
.LBB149_2:
	s_and_not1_b32 vcc_lo, exec_lo, s0
	s_cbranch_vccnz .LBB149_41
; %bb.3:
	v_cmp_gt_i32_e32 vcc_lo, s16, v0
	v_dual_mov_b32 v8, 0 :: v_dual_mov_b32 v5, 0
	v_or_b32_e32 v1, s12, v0
	v_or_b32_e32 v3, 0x100, v0
	v_mov_b32_e32 v4, v0
	s_and_saveexec_b32 s1, vcc_lo
	s_cbranch_execz .LBB149_5
; %bb.4:
	v_mov_b32_e32 v2, 0
	s_delay_alu instid0(VALU_DEP_1) | instskip(NEXT) | instid1(VALU_DEP_1)
	v_lshlrev_b64 v[4:5], 1, v[1:2]
	v_add_co_u32 v4, s0, s10, v4
	s_delay_alu instid0(VALU_DEP_1)
	v_add_co_ci_u32_e64 v5, s0, s11, v5, s0
	global_load_u16 v5, v[4:5], off
	v_or_b32_e32 v4, 0x100, v0
.LBB149_5:
	s_or_b32 exec_lo, exec_lo, s1
	s_delay_alu instid0(SALU_CYCLE_1) | instskip(NEXT) | instid1(VALU_DEP_1)
	s_mov_b32 s1, exec_lo
	v_cmpx_gt_i32_e64 s16, v4
	s_cbranch_execz .LBB149_7
; %bb.6:
	v_dual_mov_b32 v7, 0 :: v_dual_add_nc_u32 v6, s12, v4
	v_add_nc_u32_e32 v4, 0x100, v4
	s_delay_alu instid0(VALU_DEP_2) | instskip(NEXT) | instid1(VALU_DEP_1)
	v_lshlrev_b64 v[6:7], 1, v[6:7]
	v_add_co_u32 v6, s0, s10, v6
	s_delay_alu instid0(VALU_DEP_1)
	v_add_co_ci_u32_e64 v7, s0, s11, v7, s0
	global_load_u16 v8, v[6:7], off
.LBB149_7:
	s_or_b32 exec_lo, exec_lo, s1
	v_mov_b32_e32 v9, 0
	v_mov_b32_e32 v11, 0
	s_mov_b32 s1, exec_lo
	v_cmpx_gt_i32_e64 s16, v4
	s_cbranch_execz .LBB149_9
; %bb.8:
	v_dual_mov_b32 v7, 0 :: v_dual_add_nc_u32 v6, s12, v4
	v_add_nc_u32_e32 v4, 0x100, v4
	s_delay_alu instid0(VALU_DEP_2) | instskip(NEXT) | instid1(VALU_DEP_1)
	v_lshlrev_b64 v[6:7], 1, v[6:7]
	v_add_co_u32 v6, s0, s10, v6
	s_delay_alu instid0(VALU_DEP_1)
	v_add_co_ci_u32_e64 v7, s0, s11, v7, s0
	global_load_u16 v11, v[6:7], off
.LBB149_9:
	s_or_b32 exec_lo, exec_lo, s1
	s_delay_alu instid0(SALU_CYCLE_1)
	s_mov_b32 s1, exec_lo
	v_cmpx_gt_i32_e64 s16, v4
	s_cbranch_execz .LBB149_11
; %bb.10:
	v_dual_mov_b32 v7, 0 :: v_dual_add_nc_u32 v6, s12, v4
	v_add_nc_u32_e32 v4, 0x100, v4
	s_delay_alu instid0(VALU_DEP_2) | instskip(NEXT) | instid1(VALU_DEP_1)
	v_lshlrev_b64 v[6:7], 1, v[6:7]
	v_add_co_u32 v6, s0, s10, v6
	s_delay_alu instid0(VALU_DEP_1)
	v_add_co_ci_u32_e64 v7, s0, s11, v7, s0
	global_load_u16 v9, v[6:7], off
.LBB149_11:
	s_or_b32 exec_lo, exec_lo, s1
	v_mov_b32_e32 v6, 0
	v_mov_b32_e32 v10, 0
	s_mov_b32 s1, exec_lo
	v_cmpx_gt_i32_e64 s16, v4
	s_cbranch_execz .LBB149_13
; %bb.12:
	v_dual_mov_b32 v13, 0 :: v_dual_add_nc_u32 v12, s12, v4
	v_add_nc_u32_e32 v4, 0x100, v4
	s_delay_alu instid0(VALU_DEP_2) | instskip(NEXT) | instid1(VALU_DEP_1)
	v_lshlrev_b64 v[12:13], 1, v[12:13]
	v_add_co_u32 v12, s0, s10, v12
	s_delay_alu instid0(VALU_DEP_1)
	v_add_co_ci_u32_e64 v13, s0, s11, v13, s0
	global_load_u16 v10, v[12:13], off
.LBB149_13:
	s_or_b32 exec_lo, exec_lo, s1
	s_delay_alu instid0(SALU_CYCLE_1)
	s_mov_b32 s1, exec_lo
	v_cmpx_gt_i32_e64 s16, v4
	s_cbranch_execz .LBB149_15
; %bb.14:
	v_dual_mov_b32 v7, 0 :: v_dual_add_nc_u32 v6, s12, v4
	v_add_nc_u32_e32 v4, 0x100, v4
	s_delay_alu instid0(VALU_DEP_2) | instskip(NEXT) | instid1(VALU_DEP_1)
	v_lshlrev_b64 v[6:7], 1, v[6:7]
	v_add_co_u32 v6, s0, s10, v6
	s_delay_alu instid0(VALU_DEP_1)
	v_add_co_ci_u32_e64 v7, s0, s11, v7, s0
	global_load_u16 v6, v[6:7], off
.LBB149_15:
	s_or_b32 exec_lo, exec_lo, s1
	v_dual_mov_b32 v2, 0 :: v_dual_mov_b32 v7, 0
	s_mov_b32 s1, exec_lo
	v_cmpx_gt_i32_e64 s16, v4
	s_cbranch_execz .LBB149_42
; %bb.16:
	v_dual_mov_b32 v13, 0 :: v_dual_add_nc_u32 v12, s12, v4
	v_add_nc_u32_e32 v4, 0x100, v4
	s_delay_alu instid0(VALU_DEP_2) | instskip(NEXT) | instid1(VALU_DEP_1)
	v_lshlrev_b64 v[12:13], 1, v[12:13]
	v_add_co_u32 v12, s0, s10, v12
	s_delay_alu instid0(VALU_DEP_1) | instskip(SKIP_2) | instid1(SALU_CYCLE_1)
	v_add_co_ci_u32_e64 v13, s0, s11, v13, s0
	global_load_u16 v7, v[12:13], off
	s_or_b32 exec_lo, exec_lo, s1
	s_mov_b32 s1, exec_lo
	v_cmpx_gt_i32_e64 s16, v4
	s_cbranch_execnz .LBB149_43
.LBB149_17:
	s_or_b32 exec_lo, exec_lo, s1
                                        ; implicit-def: $vgpr4
	s_and_saveexec_b32 s1, vcc_lo
	s_cbranch_execz .LBB149_19
.LBB149_18:
	s_mov_b32 s0, 0x395133b1
	s_waitcnt vmcnt(0)
	v_lshlrev_b32_e32 v4, 16, v5
	s_delay_alu instid0(VALU_DEP_1) | instskip(NEXT) | instid1(VALU_DEP_1)
	v_mul_f32_e32 v5, 0x3fb8aa3b, v4
	v_rndne_f32_e32 v5, v5
	s_delay_alu instid0(VALU_DEP_1) | instskip(SKIP_1) | instid1(VALU_DEP_2)
	v_fmamk_f32 v12, v5, 0xbf317218, v4
	v_cvt_i32_f32_e32 v14, v5
	v_fmamk_f32 v12, v5, 0x3102e308, v12
	s_delay_alu instid0(VALU_DEP_1) | instskip(SKIP_1) | instid1(VALU_DEP_2)
	v_fmaak_f32 v13, s0, v12, 0x3ab69700
	v_cmp_eq_f32_e64 s0, 0x43000000, v5
	v_fmaak_f32 v13, v12, v13, 0x3c0887f9
	s_delay_alu instid0(VALU_DEP_2) | instskip(NEXT) | instid1(VALU_DEP_2)
	v_cndmask_b32_e64 v5, v14, 0x7f, s0
	v_fmaak_f32 v13, v12, v13, 0x3d2aaa81
	s_delay_alu instid0(VALU_DEP_2) | instskip(NEXT) | instid1(VALU_DEP_2)
	v_ldexp_f32 v5, 1.0, v5
	v_fmaak_f32 v13, v12, v13, 0x3e2aaaab
	s_delay_alu instid0(VALU_DEP_1) | instskip(NEXT) | instid1(VALU_DEP_1)
	v_fma_f32 v13, v12, v13, 0.5
	v_mul_f32_e32 v13, v12, v13
	s_delay_alu instid0(VALU_DEP_1) | instskip(SKIP_1) | instid1(VALU_DEP_1)
	v_fmac_f32_e32 v12, v12, v13
	v_add_f32_e32 v13, -1.0, v5
	v_fmac_f32_e32 v13, v5, v12
	s_delay_alu instid0(VALU_DEP_1) | instskip(NEXT) | instid1(VALU_DEP_1)
	v_add_f32_e32 v5, v13, v13
	v_cndmask_b32_e64 v5, v13, v5, s0
	v_cmp_nlt_f32_e64 s0, 0x42b17217, v4
	s_delay_alu instid0(VALU_DEP_1) | instskip(SKIP_1) | instid1(VALU_DEP_1)
	v_cndmask_b32_e64 v5, 0x7f800000, v5, s0
	v_cmp_ngt_f32_e64 s0, 0xc1880000, v4
	v_cndmask_b32_e64 v4, -1.0, v5, s0
	s_delay_alu instid0(VALU_DEP_1) | instskip(SKIP_1) | instid1(VALU_DEP_2)
	v_bfe_u32 v5, v4, 16, 1
	v_cmp_o_f32_e64 s0, v4, v4
	v_add3_u32 v5, v4, v5, 0x7fff
	s_delay_alu instid0(VALU_DEP_1) | instskip(NEXT) | instid1(VALU_DEP_1)
	v_lshrrev_b32_e32 v5, 16, v5
	v_cndmask_b32_e64 v4, 0x7fc0, v5, s0
.LBB149_19:
	s_or_b32 exec_lo, exec_lo, s1
	s_delay_alu instid0(SALU_CYCLE_1)
	s_mov_b32 s1, exec_lo
                                        ; implicit-def: $vgpr5
	v_cmpx_gt_i32_e64 s16, v3
	s_cbranch_execz .LBB149_21
; %bb.20:
	s_waitcnt vmcnt(0)
	v_lshlrev_b32_e32 v5, 16, v8
	s_mov_b32 s0, 0x395133b1
	s_delay_alu instid0(VALU_DEP_1) | instskip(NEXT) | instid1(VALU_DEP_1)
	v_mul_f32_e32 v8, 0x3fb8aa3b, v5
	v_rndne_f32_e32 v8, v8
	s_delay_alu instid0(VALU_DEP_1) | instskip(SKIP_1) | instid1(VALU_DEP_2)
	v_fmamk_f32 v12, v8, 0xbf317218, v5
	v_cvt_i32_f32_e32 v14, v8
	v_fmamk_f32 v12, v8, 0x3102e308, v12
	s_delay_alu instid0(VALU_DEP_1) | instskip(SKIP_1) | instid1(VALU_DEP_2)
	v_fmaak_f32 v13, s0, v12, 0x3ab69700
	v_cmp_eq_f32_e64 s0, 0x43000000, v8
	v_fmaak_f32 v13, v12, v13, 0x3c0887f9
	s_delay_alu instid0(VALU_DEP_2) | instskip(NEXT) | instid1(VALU_DEP_2)
	v_cndmask_b32_e64 v8, v14, 0x7f, s0
	v_fmaak_f32 v13, v12, v13, 0x3d2aaa81
	s_delay_alu instid0(VALU_DEP_2) | instskip(NEXT) | instid1(VALU_DEP_2)
	v_ldexp_f32 v8, 1.0, v8
	v_fmaak_f32 v13, v12, v13, 0x3e2aaaab
	s_delay_alu instid0(VALU_DEP_1) | instskip(NEXT) | instid1(VALU_DEP_1)
	v_fma_f32 v13, v12, v13, 0.5
	v_mul_f32_e32 v13, v12, v13
	s_delay_alu instid0(VALU_DEP_1) | instskip(NEXT) | instid1(VALU_DEP_1)
	v_dual_fmac_f32 v12, v12, v13 :: v_dual_add_f32 v13, -1.0, v8
	v_fmac_f32_e32 v13, v8, v12
	s_delay_alu instid0(VALU_DEP_1) | instskip(NEXT) | instid1(VALU_DEP_1)
	v_add_f32_e32 v8, v13, v13
	v_cndmask_b32_e64 v8, v13, v8, s0
	v_cmp_nlt_f32_e64 s0, 0x42b17217, v5
	s_delay_alu instid0(VALU_DEP_1) | instskip(SKIP_1) | instid1(VALU_DEP_1)
	v_cndmask_b32_e64 v8, 0x7f800000, v8, s0
	v_cmp_ngt_f32_e64 s0, 0xc1880000, v5
	v_cndmask_b32_e64 v5, -1.0, v8, s0
	s_delay_alu instid0(VALU_DEP_1) | instskip(SKIP_1) | instid1(VALU_DEP_2)
	v_bfe_u32 v8, v5, 16, 1
	v_cmp_o_f32_e64 s0, v5, v5
	v_add3_u32 v8, v5, v8, 0x7fff
	s_delay_alu instid0(VALU_DEP_1) | instskip(NEXT) | instid1(VALU_DEP_1)
	v_lshrrev_b32_e32 v8, 16, v8
	v_cndmask_b32_e64 v5, 0x7fc0, v8, s0
.LBB149_21:
	s_or_b32 exec_lo, exec_lo, s1
	s_waitcnt vmcnt(0)
	v_or_b32_e32 v8, 0x200, v0
	s_delay_alu instid0(VALU_DEP_1) | instskip(NEXT) | instid1(VALU_DEP_1)
	v_cmp_gt_i32_e64 s0, s16, v8
                                        ; implicit-def: $vgpr8
	s_and_saveexec_b32 s1, s0
	s_cbranch_execz .LBB149_23
; %bb.22:
	s_mov_b32 s0, 0x395133b1
	v_lshlrev_b32_e32 v8, 16, v11
	s_delay_alu instid0(VALU_DEP_1) | instskip(NEXT) | instid1(VALU_DEP_1)
	v_mul_f32_e32 v11, 0x3fb8aa3b, v8
	v_rndne_f32_e32 v11, v11
	s_delay_alu instid0(VALU_DEP_1) | instskip(SKIP_1) | instid1(VALU_DEP_2)
	v_fmamk_f32 v12, v11, 0xbf317218, v8
	v_cvt_i32_f32_e32 v14, v11
	v_fmamk_f32 v12, v11, 0x3102e308, v12
	s_delay_alu instid0(VALU_DEP_1) | instskip(SKIP_1) | instid1(VALU_DEP_2)
	v_fmaak_f32 v13, s0, v12, 0x3ab69700
	v_cmp_eq_f32_e64 s0, 0x43000000, v11
	v_fmaak_f32 v13, v12, v13, 0x3c0887f9
	s_delay_alu instid0(VALU_DEP_2) | instskip(NEXT) | instid1(VALU_DEP_2)
	v_cndmask_b32_e64 v11, v14, 0x7f, s0
	v_fmaak_f32 v13, v12, v13, 0x3d2aaa81
	s_delay_alu instid0(VALU_DEP_2) | instskip(NEXT) | instid1(VALU_DEP_2)
	v_ldexp_f32 v11, 1.0, v11
	v_fmaak_f32 v13, v12, v13, 0x3e2aaaab
	s_delay_alu instid0(VALU_DEP_1) | instskip(NEXT) | instid1(VALU_DEP_1)
	v_fma_f32 v13, v12, v13, 0.5
	v_mul_f32_e32 v13, v12, v13
	s_delay_alu instid0(VALU_DEP_1) | instskip(NEXT) | instid1(VALU_DEP_1)
	v_dual_fmac_f32 v12, v12, v13 :: v_dual_add_f32 v13, -1.0, v11
	v_fmac_f32_e32 v13, v11, v12
	s_delay_alu instid0(VALU_DEP_1) | instskip(NEXT) | instid1(VALU_DEP_1)
	v_add_f32_e32 v11, v13, v13
	v_cndmask_b32_e64 v11, v13, v11, s0
	v_cmp_nlt_f32_e64 s0, 0x42b17217, v8
	s_delay_alu instid0(VALU_DEP_1) | instskip(SKIP_1) | instid1(VALU_DEP_1)
	v_cndmask_b32_e64 v11, 0x7f800000, v11, s0
	v_cmp_ngt_f32_e64 s0, 0xc1880000, v8
	v_cndmask_b32_e64 v8, -1.0, v11, s0
	s_delay_alu instid0(VALU_DEP_1) | instskip(SKIP_1) | instid1(VALU_DEP_2)
	v_bfe_u32 v11, v8, 16, 1
	v_cmp_o_f32_e64 s0, v8, v8
	v_add3_u32 v11, v8, v11, 0x7fff
	s_delay_alu instid0(VALU_DEP_1) | instskip(NEXT) | instid1(VALU_DEP_1)
	v_lshrrev_b32_e32 v11, 16, v11
	v_cndmask_b32_e64 v8, 0x7fc0, v11, s0
.LBB149_23:
	s_or_b32 exec_lo, exec_lo, s1
	v_or_b32_e32 v11, 0x300, v0
	s_delay_alu instid0(VALU_DEP_1) | instskip(NEXT) | instid1(VALU_DEP_1)
	v_cmp_gt_i32_e64 s0, s16, v11
                                        ; implicit-def: $vgpr11
	s_and_saveexec_b32 s1, s0
	s_cbranch_execz .LBB149_25
; %bb.24:
	v_lshlrev_b32_e32 v9, 16, v9
	s_mov_b32 s0, 0x395133b1
	s_delay_alu instid0(VALU_DEP_1) | instskip(NEXT) | instid1(VALU_DEP_1)
	v_mul_f32_e32 v11, 0x3fb8aa3b, v9
	v_rndne_f32_e32 v11, v11
	s_delay_alu instid0(VALU_DEP_1) | instskip(SKIP_1) | instid1(VALU_DEP_2)
	v_fmamk_f32 v12, v11, 0xbf317218, v9
	v_cvt_i32_f32_e32 v14, v11
	v_fmamk_f32 v12, v11, 0x3102e308, v12
	s_delay_alu instid0(VALU_DEP_1) | instskip(SKIP_1) | instid1(VALU_DEP_2)
	v_fmaak_f32 v13, s0, v12, 0x3ab69700
	v_cmp_eq_f32_e64 s0, 0x43000000, v11
	v_fmaak_f32 v13, v12, v13, 0x3c0887f9
	s_delay_alu instid0(VALU_DEP_2) | instskip(NEXT) | instid1(VALU_DEP_2)
	v_cndmask_b32_e64 v11, v14, 0x7f, s0
	v_fmaak_f32 v13, v12, v13, 0x3d2aaa81
	s_delay_alu instid0(VALU_DEP_2) | instskip(NEXT) | instid1(VALU_DEP_2)
	v_ldexp_f32 v11, 1.0, v11
	v_fmaak_f32 v13, v12, v13, 0x3e2aaaab
	s_delay_alu instid0(VALU_DEP_1) | instskip(NEXT) | instid1(VALU_DEP_1)
	v_fma_f32 v13, v12, v13, 0.5
	v_mul_f32_e32 v13, v12, v13
	s_delay_alu instid0(VALU_DEP_1) | instskip(NEXT) | instid1(VALU_DEP_1)
	v_dual_fmac_f32 v12, v12, v13 :: v_dual_add_f32 v13, -1.0, v11
	v_fmac_f32_e32 v13, v11, v12
	s_delay_alu instid0(VALU_DEP_1) | instskip(NEXT) | instid1(VALU_DEP_1)
	v_add_f32_e32 v11, v13, v13
	v_cndmask_b32_e64 v11, v13, v11, s0
	v_cmp_nlt_f32_e64 s0, 0x42b17217, v9
	s_delay_alu instid0(VALU_DEP_1) | instskip(SKIP_1) | instid1(VALU_DEP_1)
	v_cndmask_b32_e64 v11, 0x7f800000, v11, s0
	v_cmp_ngt_f32_e64 s0, 0xc1880000, v9
	v_cndmask_b32_e64 v9, -1.0, v11, s0
	s_delay_alu instid0(VALU_DEP_1) | instskip(SKIP_1) | instid1(VALU_DEP_2)
	v_bfe_u32 v11, v9, 16, 1
	v_cmp_o_f32_e64 s0, v9, v9
	v_add3_u32 v11, v9, v11, 0x7fff
	s_delay_alu instid0(VALU_DEP_1) | instskip(NEXT) | instid1(VALU_DEP_1)
	v_lshrrev_b32_e32 v11, 16, v11
	v_cndmask_b32_e64 v11, 0x7fc0, v11, s0
.LBB149_25:
	s_or_b32 exec_lo, exec_lo, s1
	v_or_b32_e32 v9, 0x400, v0
	s_delay_alu instid0(VALU_DEP_1) | instskip(NEXT) | instid1(VALU_DEP_1)
	v_cmp_gt_i32_e64 s0, s16, v9
                                        ; implicit-def: $vgpr9
	s_and_saveexec_b32 s1, s0
	s_cbranch_execz .LBB149_27
; %bb.26:
	v_lshlrev_b32_e32 v9, 16, v10
	s_mov_b32 s0, 0x395133b1
	s_delay_alu instid0(VALU_DEP_1) | instskip(NEXT) | instid1(VALU_DEP_1)
	v_mul_f32_e32 v10, 0x3fb8aa3b, v9
	v_rndne_f32_e32 v10, v10
	s_delay_alu instid0(VALU_DEP_1) | instskip(SKIP_1) | instid1(VALU_DEP_2)
	v_fmamk_f32 v12, v10, 0xbf317218, v9
	v_cvt_i32_f32_e32 v14, v10
	v_fmamk_f32 v12, v10, 0x3102e308, v12
	s_delay_alu instid0(VALU_DEP_1) | instskip(SKIP_1) | instid1(VALU_DEP_2)
	v_fmaak_f32 v13, s0, v12, 0x3ab69700
	v_cmp_eq_f32_e64 s0, 0x43000000, v10
	v_fmaak_f32 v13, v12, v13, 0x3c0887f9
	s_delay_alu instid0(VALU_DEP_2) | instskip(NEXT) | instid1(VALU_DEP_2)
	v_cndmask_b32_e64 v10, v14, 0x7f, s0
	v_fmaak_f32 v13, v12, v13, 0x3d2aaa81
	s_delay_alu instid0(VALU_DEP_2) | instskip(NEXT) | instid1(VALU_DEP_2)
	v_ldexp_f32 v10, 1.0, v10
	v_fmaak_f32 v13, v12, v13, 0x3e2aaaab
	s_delay_alu instid0(VALU_DEP_1) | instskip(NEXT) | instid1(VALU_DEP_1)
	v_fma_f32 v13, v12, v13, 0.5
	v_mul_f32_e32 v13, v12, v13
	s_delay_alu instid0(VALU_DEP_1) | instskip(NEXT) | instid1(VALU_DEP_1)
	v_dual_fmac_f32 v12, v12, v13 :: v_dual_add_f32 v13, -1.0, v10
	v_fmac_f32_e32 v13, v10, v12
	s_delay_alu instid0(VALU_DEP_1) | instskip(NEXT) | instid1(VALU_DEP_1)
	v_add_f32_e32 v10, v13, v13
	v_cndmask_b32_e64 v10, v13, v10, s0
	v_cmp_nlt_f32_e64 s0, 0x42b17217, v9
	s_delay_alu instid0(VALU_DEP_1) | instskip(SKIP_1) | instid1(VALU_DEP_1)
	v_cndmask_b32_e64 v10, 0x7f800000, v10, s0
	v_cmp_ngt_f32_e64 s0, 0xc1880000, v9
	v_cndmask_b32_e64 v9, -1.0, v10, s0
	s_delay_alu instid0(VALU_DEP_1) | instskip(SKIP_1) | instid1(VALU_DEP_2)
	v_bfe_u32 v10, v9, 16, 1
	v_cmp_o_f32_e64 s0, v9, v9
	v_add3_u32 v10, v9, v10, 0x7fff
	s_delay_alu instid0(VALU_DEP_1) | instskip(NEXT) | instid1(VALU_DEP_1)
	v_lshrrev_b32_e32 v10, 16, v10
	v_cndmask_b32_e64 v9, 0x7fc0, v10, s0
.LBB149_27:
	s_or_b32 exec_lo, exec_lo, s1
	v_or_b32_e32 v10, 0x500, v0
	s_delay_alu instid0(VALU_DEP_1) | instskip(NEXT) | instid1(VALU_DEP_1)
	v_cmp_gt_i32_e64 s0, s16, v10
                                        ; implicit-def: $vgpr10
	s_and_saveexec_b32 s1, s0
	s_cbranch_execz .LBB149_29
; %bb.28:
	s_mov_b32 s0, 0x395133b1
	v_lshlrev_b32_e32 v6, 16, v6
	s_delay_alu instid0(VALU_DEP_1) | instskip(NEXT) | instid1(VALU_DEP_1)
	v_mul_f32_e32 v10, 0x3fb8aa3b, v6
	v_rndne_f32_e32 v10, v10
	s_delay_alu instid0(VALU_DEP_1) | instskip(SKIP_1) | instid1(VALU_DEP_2)
	v_fmamk_f32 v12, v10, 0xbf317218, v6
	v_cvt_i32_f32_e32 v14, v10
	v_fmamk_f32 v12, v10, 0x3102e308, v12
	s_delay_alu instid0(VALU_DEP_1) | instskip(SKIP_1) | instid1(VALU_DEP_2)
	v_fmaak_f32 v13, s0, v12, 0x3ab69700
	v_cmp_eq_f32_e64 s0, 0x43000000, v10
	v_fmaak_f32 v13, v12, v13, 0x3c0887f9
	s_delay_alu instid0(VALU_DEP_2) | instskip(NEXT) | instid1(VALU_DEP_2)
	v_cndmask_b32_e64 v10, v14, 0x7f, s0
	v_fmaak_f32 v13, v12, v13, 0x3d2aaa81
	s_delay_alu instid0(VALU_DEP_2) | instskip(NEXT) | instid1(VALU_DEP_2)
	v_ldexp_f32 v10, 1.0, v10
	v_fmaak_f32 v13, v12, v13, 0x3e2aaaab
	s_delay_alu instid0(VALU_DEP_1) | instskip(NEXT) | instid1(VALU_DEP_1)
	v_fma_f32 v13, v12, v13, 0.5
	v_mul_f32_e32 v13, v12, v13
	s_delay_alu instid0(VALU_DEP_1) | instskip(NEXT) | instid1(VALU_DEP_1)
	v_dual_fmac_f32 v12, v12, v13 :: v_dual_add_f32 v13, -1.0, v10
	v_fmac_f32_e32 v13, v10, v12
	s_delay_alu instid0(VALU_DEP_1) | instskip(NEXT) | instid1(VALU_DEP_1)
	v_add_f32_e32 v10, v13, v13
	v_cndmask_b32_e64 v10, v13, v10, s0
	v_cmp_nlt_f32_e64 s0, 0x42b17217, v6
	s_delay_alu instid0(VALU_DEP_1) | instskip(SKIP_1) | instid1(VALU_DEP_1)
	v_cndmask_b32_e64 v10, 0x7f800000, v10, s0
	v_cmp_ngt_f32_e64 s0, 0xc1880000, v6
	v_cndmask_b32_e64 v6, -1.0, v10, s0
	s_delay_alu instid0(VALU_DEP_1) | instskip(SKIP_1) | instid1(VALU_DEP_2)
	v_bfe_u32 v10, v6, 16, 1
	v_cmp_o_f32_e64 s0, v6, v6
	v_add3_u32 v10, v6, v10, 0x7fff
	s_delay_alu instid0(VALU_DEP_1) | instskip(NEXT) | instid1(VALU_DEP_1)
	v_lshrrev_b32_e32 v10, 16, v10
	v_cndmask_b32_e64 v10, 0x7fc0, v10, s0
.LBB149_29:
	s_or_b32 exec_lo, exec_lo, s1
	v_or_b32_e32 v6, 0x600, v0
	s_delay_alu instid0(VALU_DEP_1) | instskip(NEXT) | instid1(VALU_DEP_1)
	v_cmp_gt_i32_e64 s0, s16, v6
                                        ; implicit-def: $vgpr6
	s_and_saveexec_b32 s1, s0
	s_cbranch_execz .LBB149_31
; %bb.30:
	s_mov_b32 s0, 0x395133b1
	v_lshlrev_b32_e32 v6, 16, v7
	s_delay_alu instid0(VALU_DEP_1) | instskip(NEXT) | instid1(VALU_DEP_1)
	v_mul_f32_e32 v7, 0x3fb8aa3b, v6
	v_rndne_f32_e32 v7, v7
	s_delay_alu instid0(VALU_DEP_1) | instskip(SKIP_1) | instid1(VALU_DEP_2)
	v_fmamk_f32 v12, v7, 0xbf317218, v6
	v_cvt_i32_f32_e32 v14, v7
	v_fmamk_f32 v12, v7, 0x3102e308, v12
	s_delay_alu instid0(VALU_DEP_1) | instskip(SKIP_1) | instid1(VALU_DEP_2)
	v_fmaak_f32 v13, s0, v12, 0x3ab69700
	v_cmp_eq_f32_e64 s0, 0x43000000, v7
	v_fmaak_f32 v13, v12, v13, 0x3c0887f9
	s_delay_alu instid0(VALU_DEP_2) | instskip(NEXT) | instid1(VALU_DEP_2)
	v_cndmask_b32_e64 v7, v14, 0x7f, s0
	v_fmaak_f32 v13, v12, v13, 0x3d2aaa81
	s_delay_alu instid0(VALU_DEP_2) | instskip(NEXT) | instid1(VALU_DEP_2)
	v_ldexp_f32 v7, 1.0, v7
	v_fmaak_f32 v13, v12, v13, 0x3e2aaaab
	s_delay_alu instid0(VALU_DEP_1) | instskip(NEXT) | instid1(VALU_DEP_1)
	v_fma_f32 v13, v12, v13, 0.5
	v_mul_f32_e32 v13, v12, v13
	s_delay_alu instid0(VALU_DEP_1) | instskip(NEXT) | instid1(VALU_DEP_1)
	v_dual_fmac_f32 v12, v12, v13 :: v_dual_add_f32 v13, -1.0, v7
	v_fmac_f32_e32 v13, v7, v12
	s_delay_alu instid0(VALU_DEP_1) | instskip(NEXT) | instid1(VALU_DEP_1)
	v_add_f32_e32 v7, v13, v13
	v_cndmask_b32_e64 v7, v13, v7, s0
	v_cmp_nlt_f32_e64 s0, 0x42b17217, v6
	s_delay_alu instid0(VALU_DEP_1) | instskip(SKIP_1) | instid1(VALU_DEP_1)
	v_cndmask_b32_e64 v7, 0x7f800000, v7, s0
	v_cmp_ngt_f32_e64 s0, 0xc1880000, v6
	v_cndmask_b32_e64 v6, -1.0, v7, s0
	s_delay_alu instid0(VALU_DEP_1) | instskip(SKIP_1) | instid1(VALU_DEP_2)
	v_bfe_u32 v7, v6, 16, 1
	v_cmp_o_f32_e64 s0, v6, v6
	v_add3_u32 v7, v6, v7, 0x7fff
	s_delay_alu instid0(VALU_DEP_1) | instskip(NEXT) | instid1(VALU_DEP_1)
	v_lshrrev_b32_e32 v7, 16, v7
	v_cndmask_b32_e64 v6, 0x7fc0, v7, s0
.LBB149_31:
	s_or_b32 exec_lo, exec_lo, s1
	v_or_b32_e32 v7, 0x700, v0
	s_delay_alu instid0(VALU_DEP_1) | instskip(NEXT) | instid1(VALU_DEP_1)
	v_cmp_gt_i32_e64 s0, s16, v7
                                        ; implicit-def: $vgpr7
	s_and_saveexec_b32 s1, s0
	s_cbranch_execz .LBB149_44
; %bb.32:
	s_mov_b32 s0, 0x395133b1
	v_lshlrev_b32_e32 v2, 16, v2
	s_delay_alu instid0(VALU_DEP_1) | instskip(NEXT) | instid1(VALU_DEP_1)
	v_mul_f32_e32 v7, 0x3fb8aa3b, v2
	v_rndne_f32_e32 v7, v7
	s_delay_alu instid0(VALU_DEP_1) | instskip(SKIP_1) | instid1(VALU_DEP_2)
	v_fmamk_f32 v12, v7, 0xbf317218, v2
	v_cvt_i32_f32_e32 v14, v7
	v_fmamk_f32 v12, v7, 0x3102e308, v12
	s_delay_alu instid0(VALU_DEP_1) | instskip(SKIP_1) | instid1(VALU_DEP_2)
	v_fmaak_f32 v13, s0, v12, 0x3ab69700
	v_cmp_eq_f32_e64 s0, 0x43000000, v7
	v_fmaak_f32 v13, v12, v13, 0x3c0887f9
	s_delay_alu instid0(VALU_DEP_2) | instskip(NEXT) | instid1(VALU_DEP_2)
	v_cndmask_b32_e64 v7, v14, 0x7f, s0
	v_fmaak_f32 v13, v12, v13, 0x3d2aaa81
	s_delay_alu instid0(VALU_DEP_2) | instskip(NEXT) | instid1(VALU_DEP_2)
	v_ldexp_f32 v7, 1.0, v7
	v_fmaak_f32 v13, v12, v13, 0x3e2aaaab
	s_delay_alu instid0(VALU_DEP_1) | instskip(NEXT) | instid1(VALU_DEP_1)
	v_fma_f32 v13, v12, v13, 0.5
	v_mul_f32_e32 v13, v12, v13
	s_delay_alu instid0(VALU_DEP_1) | instskip(NEXT) | instid1(VALU_DEP_1)
	v_dual_fmac_f32 v12, v12, v13 :: v_dual_add_f32 v13, -1.0, v7
	v_fmac_f32_e32 v13, v7, v12
	s_delay_alu instid0(VALU_DEP_1) | instskip(NEXT) | instid1(VALU_DEP_1)
	v_add_f32_e32 v7, v13, v13
	v_cndmask_b32_e64 v7, v13, v7, s0
	v_cmp_nlt_f32_e64 s0, 0x42b17217, v2
	s_delay_alu instid0(VALU_DEP_1) | instskip(SKIP_1) | instid1(VALU_DEP_1)
	v_cndmask_b32_e64 v7, 0x7f800000, v7, s0
	v_cmp_ngt_f32_e64 s0, 0xc1880000, v2
	v_cndmask_b32_e64 v2, -1.0, v7, s0
	s_delay_alu instid0(VALU_DEP_1) | instskip(SKIP_1) | instid1(VALU_DEP_2)
	v_bfe_u32 v7, v2, 16, 1
	v_cmp_o_f32_e64 s0, v2, v2
	v_add3_u32 v7, v2, v7, 0x7fff
	s_delay_alu instid0(VALU_DEP_1) | instskip(NEXT) | instid1(VALU_DEP_1)
	v_lshrrev_b32_e32 v7, 16, v7
	v_cndmask_b32_e64 v7, 0x7fc0, v7, s0
	s_or_b32 exec_lo, exec_lo, s1
	s_and_saveexec_b32 s0, vcc_lo
	s_delay_alu instid0(SALU_CYCLE_1)
	s_xor_b32 s0, exec_lo, s0
	s_cbranch_execnz .LBB149_45
.LBB149_33:
	s_or_b32 exec_lo, exec_lo, s0
	s_delay_alu instid0(SALU_CYCLE_1)
	s_mov_b32 s0, exec_lo
	v_cmpx_gt_i32_e64 s16, v0
	s_cbranch_execz .LBB149_46
.LBB149_34:
	v_dual_mov_b32 v2, 0 :: v_dual_add_nc_u32 v1, s12, v0
	v_add_nc_u32_e32 v0, 0x100, v0
	s_delay_alu instid0(VALU_DEP_2) | instskip(NEXT) | instid1(VALU_DEP_1)
	v_lshlrev_b64 v[1:2], 1, v[1:2]
	v_add_co_u32 v1, vcc_lo, s8, v1
	s_delay_alu instid0(VALU_DEP_2) | instskip(SKIP_2) | instid1(SALU_CYCLE_1)
	v_add_co_ci_u32_e32 v2, vcc_lo, s9, v2, vcc_lo
	global_store_b16 v[1:2], v5, off
	s_or_b32 exec_lo, exec_lo, s0
	s_mov_b32 s0, exec_lo
	v_cmpx_gt_i32_e64 s16, v0
	s_cbranch_execnz .LBB149_47
.LBB149_35:
	s_or_b32 exec_lo, exec_lo, s0
	s_delay_alu instid0(SALU_CYCLE_1)
	s_mov_b32 s0, exec_lo
	v_cmpx_gt_i32_e64 s16, v0
	s_cbranch_execz .LBB149_48
.LBB149_36:
	v_dual_mov_b32 v2, 0 :: v_dual_add_nc_u32 v1, s12, v0
	v_add_nc_u32_e32 v0, 0x100, v0
	s_delay_alu instid0(VALU_DEP_2) | instskip(NEXT) | instid1(VALU_DEP_1)
	v_lshlrev_b64 v[1:2], 1, v[1:2]
	v_add_co_u32 v1, vcc_lo, s8, v1
	s_delay_alu instid0(VALU_DEP_2) | instskip(SKIP_2) | instid1(SALU_CYCLE_1)
	v_add_co_ci_u32_e32 v2, vcc_lo, s9, v2, vcc_lo
	global_store_b16 v[1:2], v11, off
	s_or_b32 exec_lo, exec_lo, s0
	s_mov_b32 s0, exec_lo
	v_cmpx_gt_i32_e64 s16, v0
	s_cbranch_execnz .LBB149_49
.LBB149_37:
	s_or_b32 exec_lo, exec_lo, s0
	s_delay_alu instid0(SALU_CYCLE_1)
	s_mov_b32 s0, exec_lo
	v_cmpx_gt_i32_e64 s16, v0
	s_cbranch_execz .LBB149_50
.LBB149_38:
	v_dual_mov_b32 v2, 0 :: v_dual_add_nc_u32 v1, s12, v0
	v_add_nc_u32_e32 v0, 0x100, v0
	s_delay_alu instid0(VALU_DEP_2) | instskip(NEXT) | instid1(VALU_DEP_1)
	v_lshlrev_b64 v[1:2], 1, v[1:2]
	v_add_co_u32 v1, vcc_lo, s8, v1
	s_delay_alu instid0(VALU_DEP_2) | instskip(SKIP_2) | instid1(SALU_CYCLE_1)
	v_add_co_ci_u32_e32 v2, vcc_lo, s9, v2, vcc_lo
	global_store_b16 v[1:2], v10, off
	s_or_b32 exec_lo, exec_lo, s0
	s_mov_b32 s0, exec_lo
	v_cmpx_gt_i32_e64 s16, v0
	s_cbranch_execnz .LBB149_51
.LBB149_39:
	s_or_b32 exec_lo, exec_lo, s0
	s_delay_alu instid0(SALU_CYCLE_1)
	s_mov_b32 s0, exec_lo
	v_cmpx_gt_i32_e64 s16, v0
	s_cbranch_execz .LBB149_41
.LBB149_40:
	v_dual_mov_b32 v1, 0 :: v_dual_add_nc_u32 v0, s12, v0
	s_delay_alu instid0(VALU_DEP_1) | instskip(NEXT) | instid1(VALU_DEP_1)
	v_lshlrev_b64 v[0:1], 1, v[0:1]
	v_add_co_u32 v0, vcc_lo, s8, v0
	s_delay_alu instid0(VALU_DEP_2)
	v_add_co_ci_u32_e32 v1, vcc_lo, s9, v1, vcc_lo
	global_store_b16 v[0:1], v7, off
.LBB149_41:
	s_nop 0
	s_sendmsg sendmsg(MSG_DEALLOC_VGPRS)
	s_endpgm
.LBB149_42:
	s_or_b32 exec_lo, exec_lo, s1
	s_delay_alu instid0(SALU_CYCLE_1)
	s_mov_b32 s1, exec_lo
	v_cmpx_gt_i32_e64 s16, v4
	s_cbranch_execz .LBB149_17
.LBB149_43:
	v_dual_mov_b32 v13, 0 :: v_dual_add_nc_u32 v12, s12, v4
	s_delay_alu instid0(VALU_DEP_1) | instskip(NEXT) | instid1(VALU_DEP_1)
	v_lshlrev_b64 v[12:13], 1, v[12:13]
	v_add_co_u32 v12, s0, s10, v12
	s_delay_alu instid0(VALU_DEP_1)
	v_add_co_ci_u32_e64 v13, s0, s11, v13, s0
	global_load_u16 v2, v[12:13], off
	s_or_b32 exec_lo, exec_lo, s1
                                        ; implicit-def: $vgpr4
	s_and_saveexec_b32 s1, vcc_lo
	s_cbranch_execz .LBB149_19
	s_branch .LBB149_18
.LBB149_44:
	s_or_b32 exec_lo, exec_lo, s1
	s_and_saveexec_b32 s0, vcc_lo
	s_delay_alu instid0(SALU_CYCLE_1)
	s_xor_b32 s0, exec_lo, s0
	s_cbranch_execz .LBB149_33
.LBB149_45:
	v_mov_b32_e32 v2, 0
	s_delay_alu instid0(VALU_DEP_1) | instskip(NEXT) | instid1(VALU_DEP_1)
	v_lshlrev_b64 v[0:1], 1, v[1:2]
	v_add_co_u32 v12, vcc_lo, s8, v0
	s_delay_alu instid0(VALU_DEP_2) | instskip(SKIP_3) | instid1(SALU_CYCLE_1)
	v_add_co_ci_u32_e32 v13, vcc_lo, s9, v1, vcc_lo
	v_mov_b32_e32 v0, v3
	global_store_b16 v[12:13], v4, off
	s_or_b32 exec_lo, exec_lo, s0
	s_mov_b32 s0, exec_lo
	v_cmpx_gt_i32_e64 s16, v0
	s_cbranch_execnz .LBB149_34
.LBB149_46:
	s_or_b32 exec_lo, exec_lo, s0
	s_delay_alu instid0(SALU_CYCLE_1)
	s_mov_b32 s0, exec_lo
	v_cmpx_gt_i32_e64 s16, v0
	s_cbranch_execz .LBB149_35
.LBB149_47:
	v_dual_mov_b32 v2, 0 :: v_dual_add_nc_u32 v1, s12, v0
	v_add_nc_u32_e32 v0, 0x100, v0
	s_delay_alu instid0(VALU_DEP_2) | instskip(NEXT) | instid1(VALU_DEP_1)
	v_lshlrev_b64 v[1:2], 1, v[1:2]
	v_add_co_u32 v1, vcc_lo, s8, v1
	s_delay_alu instid0(VALU_DEP_2) | instskip(SKIP_2) | instid1(SALU_CYCLE_1)
	v_add_co_ci_u32_e32 v2, vcc_lo, s9, v2, vcc_lo
	global_store_b16 v[1:2], v8, off
	s_or_b32 exec_lo, exec_lo, s0
	s_mov_b32 s0, exec_lo
	v_cmpx_gt_i32_e64 s16, v0
	s_cbranch_execnz .LBB149_36
.LBB149_48:
	s_or_b32 exec_lo, exec_lo, s0
	s_delay_alu instid0(SALU_CYCLE_1)
	s_mov_b32 s0, exec_lo
	v_cmpx_gt_i32_e64 s16, v0
	s_cbranch_execz .LBB149_37
.LBB149_49:
	v_dual_mov_b32 v2, 0 :: v_dual_add_nc_u32 v1, s12, v0
	v_add_nc_u32_e32 v0, 0x100, v0
	s_delay_alu instid0(VALU_DEP_2) | instskip(NEXT) | instid1(VALU_DEP_1)
	v_lshlrev_b64 v[1:2], 1, v[1:2]
	v_add_co_u32 v1, vcc_lo, s8, v1
	s_delay_alu instid0(VALU_DEP_2) | instskip(SKIP_2) | instid1(SALU_CYCLE_1)
	v_add_co_ci_u32_e32 v2, vcc_lo, s9, v2, vcc_lo
	global_store_b16 v[1:2], v9, off
	s_or_b32 exec_lo, exec_lo, s0
	s_mov_b32 s0, exec_lo
	v_cmpx_gt_i32_e64 s16, v0
	s_cbranch_execnz .LBB149_38
.LBB149_50:
	s_or_b32 exec_lo, exec_lo, s0
	s_delay_alu instid0(SALU_CYCLE_1)
	s_mov_b32 s0, exec_lo
	v_cmpx_gt_i32_e64 s16, v0
	s_cbranch_execz .LBB149_39
.LBB149_51:
	v_dual_mov_b32 v2, 0 :: v_dual_add_nc_u32 v1, s12, v0
	v_add_nc_u32_e32 v0, 0x100, v0
	s_delay_alu instid0(VALU_DEP_2) | instskip(NEXT) | instid1(VALU_DEP_1)
	v_lshlrev_b64 v[1:2], 1, v[1:2]
	v_add_co_u32 v1, vcc_lo, s8, v1
	s_delay_alu instid0(VALU_DEP_2) | instskip(SKIP_2) | instid1(SALU_CYCLE_1)
	v_add_co_ci_u32_e32 v2, vcc_lo, s9, v2, vcc_lo
	global_store_b16 v[1:2], v6, off
	s_or_b32 exec_lo, exec_lo, s0
	s_mov_b32 s0, exec_lo
	v_cmpx_gt_i32_e64 s16, v0
	s_cbranch_execnz .LBB149_40
	s_branch .LBB149_41
	.section	.rodata,"a",@progbits
	.p2align	6, 0x0
	.amdhsa_kernel _ZN2at6native29vectorized_elementwise_kernelILi2EZZZNS0_17expm1_kernel_cudaERNS_18TensorIteratorBaseEENKUlvE_clEvENKUlvE3_clEvEUlN3c108BFloat16EE_St5arrayIPcLm2EEEEviT0_T1_
		.amdhsa_group_segment_fixed_size 0
		.amdhsa_private_segment_fixed_size 0
		.amdhsa_kernarg_size 24
		.amdhsa_user_sgpr_count 15
		.amdhsa_user_sgpr_dispatch_ptr 0
		.amdhsa_user_sgpr_queue_ptr 0
		.amdhsa_user_sgpr_kernarg_segment_ptr 1
		.amdhsa_user_sgpr_dispatch_id 0
		.amdhsa_user_sgpr_private_segment_size 0
		.amdhsa_wavefront_size32 1
		.amdhsa_uses_dynamic_stack 0
		.amdhsa_enable_private_segment 0
		.amdhsa_system_sgpr_workgroup_id_x 1
		.amdhsa_system_sgpr_workgroup_id_y 0
		.amdhsa_system_sgpr_workgroup_id_z 0
		.amdhsa_system_sgpr_workgroup_info 0
		.amdhsa_system_vgpr_workitem_id 0
		.amdhsa_next_free_vgpr 42
		.amdhsa_next_free_sgpr 17
		.amdhsa_reserve_vcc 1
		.amdhsa_float_round_mode_32 0
		.amdhsa_float_round_mode_16_64 0
		.amdhsa_float_denorm_mode_32 3
		.amdhsa_float_denorm_mode_16_64 3
		.amdhsa_dx10_clamp 1
		.amdhsa_ieee_mode 1
		.amdhsa_fp16_overflow 0
		.amdhsa_workgroup_processor_mode 1
		.amdhsa_memory_ordered 1
		.amdhsa_forward_progress 0
		.amdhsa_shared_vgpr_count 0
		.amdhsa_exception_fp_ieee_invalid_op 0
		.amdhsa_exception_fp_denorm_src 0
		.amdhsa_exception_fp_ieee_div_zero 0
		.amdhsa_exception_fp_ieee_overflow 0
		.amdhsa_exception_fp_ieee_underflow 0
		.amdhsa_exception_fp_ieee_inexact 0
		.amdhsa_exception_int_div_zero 0
	.end_amdhsa_kernel
	.section	.text._ZN2at6native29vectorized_elementwise_kernelILi2EZZZNS0_17expm1_kernel_cudaERNS_18TensorIteratorBaseEENKUlvE_clEvENKUlvE3_clEvEUlN3c108BFloat16EE_St5arrayIPcLm2EEEEviT0_T1_,"axG",@progbits,_ZN2at6native29vectorized_elementwise_kernelILi2EZZZNS0_17expm1_kernel_cudaERNS_18TensorIteratorBaseEENKUlvE_clEvENKUlvE3_clEvEUlN3c108BFloat16EE_St5arrayIPcLm2EEEEviT0_T1_,comdat
.Lfunc_end149:
	.size	_ZN2at6native29vectorized_elementwise_kernelILi2EZZZNS0_17expm1_kernel_cudaERNS_18TensorIteratorBaseEENKUlvE_clEvENKUlvE3_clEvEUlN3c108BFloat16EE_St5arrayIPcLm2EEEEviT0_T1_, .Lfunc_end149-_ZN2at6native29vectorized_elementwise_kernelILi2EZZZNS0_17expm1_kernel_cudaERNS_18TensorIteratorBaseEENKUlvE_clEvENKUlvE3_clEvEUlN3c108BFloat16EE_St5arrayIPcLm2EEEEviT0_T1_
                                        ; -- End function
	.section	.AMDGPU.csdata,"",@progbits
; Kernel info:
; codeLenInByte = 6000
; NumSgprs: 19
; NumVgprs: 42
; ScratchSize: 0
; MemoryBound: 0
; FloatMode: 240
; IeeeMode: 1
; LDSByteSize: 0 bytes/workgroup (compile time only)
; SGPRBlocks: 2
; VGPRBlocks: 5
; NumSGPRsForWavesPerEU: 19
; NumVGPRsForWavesPerEU: 42
; Occupancy: 16
; WaveLimiterHint : 1
; COMPUTE_PGM_RSRC2:SCRATCH_EN: 0
; COMPUTE_PGM_RSRC2:USER_SGPR: 15
; COMPUTE_PGM_RSRC2:TRAP_HANDLER: 0
; COMPUTE_PGM_RSRC2:TGID_X_EN: 1
; COMPUTE_PGM_RSRC2:TGID_Y_EN: 0
; COMPUTE_PGM_RSRC2:TGID_Z_EN: 0
; COMPUTE_PGM_RSRC2:TIDIG_COMP_CNT: 0
	.section	.text._ZN2at6native27unrolled_elementwise_kernelIZZZNS0_17expm1_kernel_cudaERNS_18TensorIteratorBaseEENKUlvE_clEvENKUlvE3_clEvEUlN3c108BFloat16EE_St5arrayIPcLm2EELi4E23TrivialOffsetCalculatorILi1EjESD_NS0_6memory15LoadWithoutCastENSE_16StoreWithoutCastEEEviT_T0_T2_T3_T4_T5_,"axG",@progbits,_ZN2at6native27unrolled_elementwise_kernelIZZZNS0_17expm1_kernel_cudaERNS_18TensorIteratorBaseEENKUlvE_clEvENKUlvE3_clEvEUlN3c108BFloat16EE_St5arrayIPcLm2EELi4E23TrivialOffsetCalculatorILi1EjESD_NS0_6memory15LoadWithoutCastENSE_16StoreWithoutCastEEEviT_T0_T2_T3_T4_T5_,comdat
	.globl	_ZN2at6native27unrolled_elementwise_kernelIZZZNS0_17expm1_kernel_cudaERNS_18TensorIteratorBaseEENKUlvE_clEvENKUlvE3_clEvEUlN3c108BFloat16EE_St5arrayIPcLm2EELi4E23TrivialOffsetCalculatorILi1EjESD_NS0_6memory15LoadWithoutCastENSE_16StoreWithoutCastEEEviT_T0_T2_T3_T4_T5_ ; -- Begin function _ZN2at6native27unrolled_elementwise_kernelIZZZNS0_17expm1_kernel_cudaERNS_18TensorIteratorBaseEENKUlvE_clEvENKUlvE3_clEvEUlN3c108BFloat16EE_St5arrayIPcLm2EELi4E23TrivialOffsetCalculatorILi1EjESD_NS0_6memory15LoadWithoutCastENSE_16StoreWithoutCastEEEviT_T0_T2_T3_T4_T5_
	.p2align	8
	.type	_ZN2at6native27unrolled_elementwise_kernelIZZZNS0_17expm1_kernel_cudaERNS_18TensorIteratorBaseEENKUlvE_clEvENKUlvE3_clEvEUlN3c108BFloat16EE_St5arrayIPcLm2EELi4E23TrivialOffsetCalculatorILi1EjESD_NS0_6memory15LoadWithoutCastENSE_16StoreWithoutCastEEEviT_T0_T2_T3_T4_T5_,@function
_ZN2at6native27unrolled_elementwise_kernelIZZZNS0_17expm1_kernel_cudaERNS_18TensorIteratorBaseEENKUlvE_clEvENKUlvE3_clEvEUlN3c108BFloat16EE_St5arrayIPcLm2EELi4E23TrivialOffsetCalculatorILi1EjESD_NS0_6memory15LoadWithoutCastENSE_16StoreWithoutCastEEEviT_T0_T2_T3_T4_T5_: ; @_ZN2at6native27unrolled_elementwise_kernelIZZZNS0_17expm1_kernel_cudaERNS_18TensorIteratorBaseEENKUlvE_clEvENKUlvE3_clEvEUlN3c108BFloat16EE_St5arrayIPcLm2EELi4E23TrivialOffsetCalculatorILi1EjESD_NS0_6memory15LoadWithoutCastENSE_16StoreWithoutCastEEEviT_T0_T2_T3_T4_T5_
; %bb.0:
	s_clause 0x1
	s_load_b32 s2, s[0:1], 0x0
	s_load_b128 s[4:7], s[0:1], 0x8
	s_lshl_b32 s1, s15, 10
	v_dual_mov_b32 v4, 0 :: v_dual_mov_b32 v7, 0
	v_or_b32_e32 v1, s1, v0
	v_or_b32_e32 v3, 0x100, v0
	v_mov_b32_e32 v5, v0
	s_waitcnt lgkmcnt(0)
	s_sub_i32 s2, s2, s1
	s_delay_alu instid0(SALU_CYCLE_1)
	v_cmp_gt_i32_e32 vcc_lo, s2, v0
	s_and_saveexec_b32 s3, vcc_lo
	s_cbranch_execz .LBB150_2
; %bb.1:
	v_mov_b32_e32 v2, 0
	s_delay_alu instid0(VALU_DEP_1) | instskip(NEXT) | instid1(VALU_DEP_1)
	v_lshlrev_b64 v[5:6], 1, v[1:2]
	v_add_co_u32 v5, s0, s6, v5
	s_delay_alu instid0(VALU_DEP_1)
	v_add_co_ci_u32_e64 v6, s0, s7, v6, s0
	global_load_u16 v2, v[5:6], off
	v_or_b32_e32 v5, 0x100, v0
	s_waitcnt vmcnt(0)
	v_lshlrev_b32_e32 v7, 16, v2
.LBB150_2:
	s_or_b32 exec_lo, exec_lo, s3
	s_delay_alu instid0(SALU_CYCLE_1)
	s_mov_b32 s3, exec_lo
	v_cmpx_gt_i32_e64 s2, v5
	s_cbranch_execz .LBB150_4
; %bb.3:
	v_dual_mov_b32 v9, 0 :: v_dual_add_nc_u32 v8, s1, v5
	v_add_nc_u32_e32 v5, 0x100, v5
	s_delay_alu instid0(VALU_DEP_2) | instskip(NEXT) | instid1(VALU_DEP_1)
	v_lshlrev_b64 v[8:9], 1, v[8:9]
	v_add_co_u32 v8, s0, s6, v8
	s_delay_alu instid0(VALU_DEP_1)
	v_add_co_ci_u32_e64 v9, s0, s7, v9, s0
	global_load_u16 v2, v[8:9], off
	s_waitcnt vmcnt(0)
	v_lshlrev_b32_e32 v4, 16, v2
.LBB150_4:
	s_or_b32 exec_lo, exec_lo, s3
	v_mov_b32_e32 v2, 0
	v_mov_b32_e32 v6, 0
	s_mov_b32 s3, exec_lo
	v_cmpx_gt_i32_e64 s2, v5
	s_cbranch_execz .LBB150_18
; %bb.5:
	v_dual_mov_b32 v9, 0 :: v_dual_add_nc_u32 v8, s1, v5
	v_add_nc_u32_e32 v5, 0x100, v5
	s_delay_alu instid0(VALU_DEP_2) | instskip(NEXT) | instid1(VALU_DEP_1)
	v_lshlrev_b64 v[8:9], 1, v[8:9]
	v_add_co_u32 v8, s0, s6, v8
	s_delay_alu instid0(VALU_DEP_1) | instskip(SKIP_4) | instid1(SALU_CYCLE_1)
	v_add_co_ci_u32_e64 v9, s0, s7, v9, s0
	global_load_u16 v6, v[8:9], off
	s_waitcnt vmcnt(0)
	v_lshlrev_b32_e32 v6, 16, v6
	s_or_b32 exec_lo, exec_lo, s3
	s_mov_b32 s3, exec_lo
	v_cmpx_gt_i32_e64 s2, v5
	s_cbranch_execnz .LBB150_19
.LBB150_6:
	s_or_b32 exec_lo, exec_lo, s3
                                        ; implicit-def: $vgpr5
	s_and_saveexec_b32 s3, vcc_lo
	s_cbranch_execz .LBB150_8
.LBB150_7:
	v_mul_f32_e32 v5, 0x3fb8aa3b, v7
	s_mov_b32 s0, 0x395133b1
	s_delay_alu instid0(VALU_DEP_1) | instskip(NEXT) | instid1(VALU_DEP_1)
	v_rndne_f32_e32 v5, v5
	v_fmamk_f32 v8, v5, 0xbf317218, v7
	v_cvt_i32_f32_e32 v10, v5
	s_delay_alu instid0(VALU_DEP_2) | instskip(NEXT) | instid1(VALU_DEP_1)
	v_fmamk_f32 v8, v5, 0x3102e308, v8
	v_fmaak_f32 v9, s0, v8, 0x3ab69700
	v_cmp_eq_f32_e64 s0, 0x43000000, v5
	s_delay_alu instid0(VALU_DEP_2) | instskip(NEXT) | instid1(VALU_DEP_2)
	v_fmaak_f32 v9, v8, v9, 0x3c0887f9
	v_cndmask_b32_e64 v5, v10, 0x7f, s0
	s_delay_alu instid0(VALU_DEP_2) | instskip(NEXT) | instid1(VALU_DEP_2)
	v_fmaak_f32 v9, v8, v9, 0x3d2aaa81
	v_ldexp_f32 v5, 1.0, v5
	s_delay_alu instid0(VALU_DEP_2) | instskip(NEXT) | instid1(VALU_DEP_1)
	v_fmaak_f32 v9, v8, v9, 0x3e2aaaab
	v_fma_f32 v9, v8, v9, 0.5
	s_delay_alu instid0(VALU_DEP_1) | instskip(NEXT) | instid1(VALU_DEP_1)
	v_mul_f32_e32 v9, v8, v9
	v_fmac_f32_e32 v8, v8, v9
	v_add_f32_e32 v9, -1.0, v5
	s_delay_alu instid0(VALU_DEP_1) | instskip(NEXT) | instid1(VALU_DEP_1)
	v_fmac_f32_e32 v9, v5, v8
	v_add_f32_e32 v5, v9, v9
	s_delay_alu instid0(VALU_DEP_1) | instskip(SKIP_1) | instid1(VALU_DEP_1)
	v_cndmask_b32_e64 v5, v9, v5, s0
	v_cmp_nlt_f32_e64 s0, 0x42b17217, v7
	v_cndmask_b32_e64 v5, 0x7f800000, v5, s0
	v_cmp_ngt_f32_e64 s0, 0xc1880000, v7
	s_delay_alu instid0(VALU_DEP_1) | instskip(NEXT) | instid1(VALU_DEP_1)
	v_cndmask_b32_e64 v5, -1.0, v5, s0
	v_bfe_u32 v7, v5, 16, 1
	v_cmp_o_f32_e64 s0, v5, v5
	s_delay_alu instid0(VALU_DEP_2) | instskip(NEXT) | instid1(VALU_DEP_1)
	v_add3_u32 v7, v5, v7, 0x7fff
	v_lshrrev_b32_e32 v7, 16, v7
	s_delay_alu instid0(VALU_DEP_1)
	v_cndmask_b32_e64 v5, 0x7fc0, v7, s0
.LBB150_8:
	s_or_b32 exec_lo, exec_lo, s3
	s_delay_alu instid0(SALU_CYCLE_1)
	s_mov_b32 s3, exec_lo
                                        ; implicit-def: $vgpr7
	v_cmpx_gt_i32_e64 s2, v3
	s_cbranch_execz .LBB150_10
; %bb.9:
	v_mul_f32_e32 v7, 0x3fb8aa3b, v4
	s_mov_b32 s0, 0x395133b1
	s_delay_alu instid0(VALU_DEP_1) | instskip(NEXT) | instid1(VALU_DEP_1)
	v_rndne_f32_e32 v7, v7
	v_fmamk_f32 v8, v7, 0xbf317218, v4
	v_cvt_i32_f32_e32 v10, v7
	s_delay_alu instid0(VALU_DEP_2) | instskip(NEXT) | instid1(VALU_DEP_1)
	v_fmamk_f32 v8, v7, 0x3102e308, v8
	v_fmaak_f32 v9, s0, v8, 0x3ab69700
	v_cmp_eq_f32_e64 s0, 0x43000000, v7
	s_delay_alu instid0(VALU_DEP_2) | instskip(NEXT) | instid1(VALU_DEP_2)
	v_fmaak_f32 v9, v8, v9, 0x3c0887f9
	v_cndmask_b32_e64 v7, v10, 0x7f, s0
	s_delay_alu instid0(VALU_DEP_2) | instskip(NEXT) | instid1(VALU_DEP_2)
	v_fmaak_f32 v9, v8, v9, 0x3d2aaa81
	v_ldexp_f32 v7, 1.0, v7
	s_delay_alu instid0(VALU_DEP_2) | instskip(NEXT) | instid1(VALU_DEP_1)
	v_fmaak_f32 v9, v8, v9, 0x3e2aaaab
	v_fma_f32 v9, v8, v9, 0.5
	s_delay_alu instid0(VALU_DEP_1) | instskip(NEXT) | instid1(VALU_DEP_1)
	v_mul_f32_e32 v9, v8, v9
	v_dual_fmac_f32 v8, v8, v9 :: v_dual_add_f32 v9, -1.0, v7
	s_delay_alu instid0(VALU_DEP_1) | instskip(NEXT) | instid1(VALU_DEP_1)
	v_fmac_f32_e32 v9, v7, v8
	v_add_f32_e32 v7, v9, v9
	s_delay_alu instid0(VALU_DEP_1) | instskip(SKIP_1) | instid1(VALU_DEP_1)
	v_cndmask_b32_e64 v7, v9, v7, s0
	v_cmp_nlt_f32_e64 s0, 0x42b17217, v4
	v_cndmask_b32_e64 v7, 0x7f800000, v7, s0
	v_cmp_ngt_f32_e64 s0, 0xc1880000, v4
	s_delay_alu instid0(VALU_DEP_1) | instskip(NEXT) | instid1(VALU_DEP_1)
	v_cndmask_b32_e64 v4, -1.0, v7, s0
	v_bfe_u32 v7, v4, 16, 1
	v_cmp_o_f32_e64 s0, v4, v4
	s_delay_alu instid0(VALU_DEP_2) | instskip(NEXT) | instid1(VALU_DEP_1)
	v_add3_u32 v7, v4, v7, 0x7fff
	v_lshrrev_b32_e32 v7, 16, v7
	s_delay_alu instid0(VALU_DEP_1)
	v_cndmask_b32_e64 v7, 0x7fc0, v7, s0
.LBB150_10:
	s_or_b32 exec_lo, exec_lo, s3
	v_or_b32_e32 v4, 0x200, v0
	s_delay_alu instid0(VALU_DEP_1) | instskip(NEXT) | instid1(VALU_DEP_1)
	v_cmp_gt_i32_e64 s0, s2, v4
                                        ; implicit-def: $vgpr4
	s_and_saveexec_b32 s3, s0
	s_cbranch_execz .LBB150_12
; %bb.11:
	v_mul_f32_e32 v4, 0x3fb8aa3b, v6
	s_mov_b32 s0, 0x395133b1
	s_delay_alu instid0(VALU_DEP_1) | instskip(NEXT) | instid1(VALU_DEP_1)
	v_rndne_f32_e32 v4, v4
	v_fmamk_f32 v8, v4, 0xbf317218, v6
	v_cvt_i32_f32_e32 v10, v4
	s_delay_alu instid0(VALU_DEP_2) | instskip(NEXT) | instid1(VALU_DEP_1)
	v_fmamk_f32 v8, v4, 0x3102e308, v8
	v_fmaak_f32 v9, s0, v8, 0x3ab69700
	v_cmp_eq_f32_e64 s0, 0x43000000, v4
	s_delay_alu instid0(VALU_DEP_2) | instskip(NEXT) | instid1(VALU_DEP_2)
	v_fmaak_f32 v9, v8, v9, 0x3c0887f9
	v_cndmask_b32_e64 v4, v10, 0x7f, s0
	s_delay_alu instid0(VALU_DEP_2) | instskip(NEXT) | instid1(VALU_DEP_2)
	v_fmaak_f32 v9, v8, v9, 0x3d2aaa81
	v_ldexp_f32 v4, 1.0, v4
	s_delay_alu instid0(VALU_DEP_2) | instskip(NEXT) | instid1(VALU_DEP_1)
	v_fmaak_f32 v9, v8, v9, 0x3e2aaaab
	v_fma_f32 v9, v8, v9, 0.5
	s_delay_alu instid0(VALU_DEP_1) | instskip(NEXT) | instid1(VALU_DEP_1)
	v_mul_f32_e32 v9, v8, v9
	v_dual_fmac_f32 v8, v8, v9 :: v_dual_add_f32 v9, -1.0, v4
	s_delay_alu instid0(VALU_DEP_1) | instskip(NEXT) | instid1(VALU_DEP_1)
	v_fmac_f32_e32 v9, v4, v8
	v_add_f32_e32 v4, v9, v9
	s_delay_alu instid0(VALU_DEP_1) | instskip(SKIP_1) | instid1(VALU_DEP_1)
	v_cndmask_b32_e64 v4, v9, v4, s0
	v_cmp_nlt_f32_e64 s0, 0x42b17217, v6
	v_cndmask_b32_e64 v4, 0x7f800000, v4, s0
	v_cmp_ngt_f32_e64 s0, 0xc1880000, v6
	s_delay_alu instid0(VALU_DEP_1) | instskip(NEXT) | instid1(VALU_DEP_1)
	v_cndmask_b32_e64 v4, -1.0, v4, s0
	v_bfe_u32 v6, v4, 16, 1
	v_cmp_o_f32_e64 s0, v4, v4
	s_delay_alu instid0(VALU_DEP_2) | instskip(NEXT) | instid1(VALU_DEP_1)
	v_add3_u32 v6, v4, v6, 0x7fff
	v_lshrrev_b32_e32 v6, 16, v6
	s_delay_alu instid0(VALU_DEP_1)
	v_cndmask_b32_e64 v4, 0x7fc0, v6, s0
.LBB150_12:
	s_or_b32 exec_lo, exec_lo, s3
	v_or_b32_e32 v6, 0x300, v0
	s_delay_alu instid0(VALU_DEP_1) | instskip(NEXT) | instid1(VALU_DEP_1)
	v_cmp_gt_i32_e64 s0, s2, v6
                                        ; implicit-def: $vgpr6
	s_and_saveexec_b32 s3, s0
	s_cbranch_execz .LBB150_20
; %bb.13:
	v_mul_f32_e32 v6, 0x3fb8aa3b, v2
	s_mov_b32 s0, 0x395133b1
	s_delay_alu instid0(VALU_DEP_1) | instskip(NEXT) | instid1(VALU_DEP_1)
	v_rndne_f32_e32 v6, v6
	v_fmamk_f32 v8, v6, 0xbf317218, v2
	v_cvt_i32_f32_e32 v10, v6
	s_delay_alu instid0(VALU_DEP_2) | instskip(NEXT) | instid1(VALU_DEP_1)
	v_fmamk_f32 v8, v6, 0x3102e308, v8
	v_fmaak_f32 v9, s0, v8, 0x3ab69700
	v_cmp_eq_f32_e64 s0, 0x43000000, v6
	s_delay_alu instid0(VALU_DEP_2) | instskip(NEXT) | instid1(VALU_DEP_2)
	v_fmaak_f32 v9, v8, v9, 0x3c0887f9
	v_cndmask_b32_e64 v6, v10, 0x7f, s0
	s_delay_alu instid0(VALU_DEP_2) | instskip(NEXT) | instid1(VALU_DEP_2)
	v_fmaak_f32 v9, v8, v9, 0x3d2aaa81
	v_ldexp_f32 v6, 1.0, v6
	s_delay_alu instid0(VALU_DEP_2) | instskip(NEXT) | instid1(VALU_DEP_1)
	v_fmaak_f32 v9, v8, v9, 0x3e2aaaab
	v_fma_f32 v9, v8, v9, 0.5
	s_delay_alu instid0(VALU_DEP_1) | instskip(NEXT) | instid1(VALU_DEP_1)
	v_mul_f32_e32 v9, v8, v9
	v_dual_fmac_f32 v8, v8, v9 :: v_dual_add_f32 v9, -1.0, v6
	s_delay_alu instid0(VALU_DEP_1) | instskip(NEXT) | instid1(VALU_DEP_1)
	v_fmac_f32_e32 v9, v6, v8
	v_add_f32_e32 v6, v9, v9
	s_delay_alu instid0(VALU_DEP_1) | instskip(SKIP_1) | instid1(VALU_DEP_1)
	v_cndmask_b32_e64 v6, v9, v6, s0
	v_cmp_nlt_f32_e64 s0, 0x42b17217, v2
	v_cndmask_b32_e64 v6, 0x7f800000, v6, s0
	v_cmp_ngt_f32_e64 s0, 0xc1880000, v2
	s_delay_alu instid0(VALU_DEP_1) | instskip(NEXT) | instid1(VALU_DEP_1)
	v_cndmask_b32_e64 v2, -1.0, v6, s0
	v_bfe_u32 v6, v2, 16, 1
	v_cmp_o_f32_e64 s0, v2, v2
	s_delay_alu instid0(VALU_DEP_2) | instskip(NEXT) | instid1(VALU_DEP_1)
	v_add3_u32 v6, v2, v6, 0x7fff
	v_lshrrev_b32_e32 v6, 16, v6
	s_delay_alu instid0(VALU_DEP_1) | instskip(SKIP_2) | instid1(SALU_CYCLE_1)
	v_cndmask_b32_e64 v6, 0x7fc0, v6, s0
	s_or_b32 exec_lo, exec_lo, s3
	s_and_saveexec_b32 s0, vcc_lo
	s_xor_b32 s0, exec_lo, s0
	s_cbranch_execnz .LBB150_21
.LBB150_14:
	s_or_b32 exec_lo, exec_lo, s0
	s_delay_alu instid0(SALU_CYCLE_1)
	s_mov_b32 s0, exec_lo
	v_cmpx_gt_i32_e64 s2, v0
	s_cbranch_execz .LBB150_22
.LBB150_15:
	v_dual_mov_b32 v2, 0 :: v_dual_add_nc_u32 v1, s1, v0
	v_add_nc_u32_e32 v0, 0x100, v0
	s_delay_alu instid0(VALU_DEP_2) | instskip(NEXT) | instid1(VALU_DEP_1)
	v_lshlrev_b64 v[1:2], 1, v[1:2]
	v_add_co_u32 v1, vcc_lo, s4, v1
	s_delay_alu instid0(VALU_DEP_2) | instskip(SKIP_2) | instid1(SALU_CYCLE_1)
	v_add_co_ci_u32_e32 v2, vcc_lo, s5, v2, vcc_lo
	global_store_b16 v[1:2], v7, off
	s_or_b32 exec_lo, exec_lo, s0
	s_mov_b32 s0, exec_lo
	v_cmpx_gt_i32_e64 s2, v0
	s_cbranch_execnz .LBB150_23
.LBB150_16:
	s_or_b32 exec_lo, exec_lo, s0
	s_delay_alu instid0(SALU_CYCLE_1)
	s_mov_b32 s0, exec_lo
	v_cmpx_gt_i32_e64 s2, v0
	s_cbranch_execz .LBB150_24
.LBB150_17:
	v_dual_mov_b32 v1, 0 :: v_dual_add_nc_u32 v0, s1, v0
	s_delay_alu instid0(VALU_DEP_1) | instskip(NEXT) | instid1(VALU_DEP_1)
	v_lshlrev_b64 v[0:1], 1, v[0:1]
	v_add_co_u32 v0, vcc_lo, s4, v0
	s_delay_alu instid0(VALU_DEP_2)
	v_add_co_ci_u32_e32 v1, vcc_lo, s5, v1, vcc_lo
	global_store_b16 v[0:1], v6, off
	s_nop 0
	s_sendmsg sendmsg(MSG_DEALLOC_VGPRS)
	s_endpgm
.LBB150_18:
	s_or_b32 exec_lo, exec_lo, s3
	s_delay_alu instid0(SALU_CYCLE_1)
	s_mov_b32 s3, exec_lo
	v_cmpx_gt_i32_e64 s2, v5
	s_cbranch_execz .LBB150_6
.LBB150_19:
	v_dual_mov_b32 v9, 0 :: v_dual_add_nc_u32 v8, s1, v5
	s_delay_alu instid0(VALU_DEP_1) | instskip(NEXT) | instid1(VALU_DEP_1)
	v_lshlrev_b64 v[8:9], 1, v[8:9]
	v_add_co_u32 v8, s0, s6, v8
	s_delay_alu instid0(VALU_DEP_1)
	v_add_co_ci_u32_e64 v9, s0, s7, v9, s0
	global_load_u16 v2, v[8:9], off
	s_waitcnt vmcnt(0)
	v_lshlrev_b32_e32 v2, 16, v2
	s_or_b32 exec_lo, exec_lo, s3
                                        ; implicit-def: $vgpr5
	s_and_saveexec_b32 s3, vcc_lo
	s_cbranch_execz .LBB150_8
	s_branch .LBB150_7
.LBB150_20:
	s_or_b32 exec_lo, exec_lo, s3
	s_and_saveexec_b32 s0, vcc_lo
	s_delay_alu instid0(SALU_CYCLE_1)
	s_xor_b32 s0, exec_lo, s0
	s_cbranch_execz .LBB150_14
.LBB150_21:
	v_mov_b32_e32 v2, 0
	s_delay_alu instid0(VALU_DEP_1) | instskip(NEXT) | instid1(VALU_DEP_1)
	v_lshlrev_b64 v[0:1], 1, v[1:2]
	v_add_co_u32 v8, vcc_lo, s4, v0
	s_delay_alu instid0(VALU_DEP_2) | instskip(SKIP_3) | instid1(SALU_CYCLE_1)
	v_add_co_ci_u32_e32 v9, vcc_lo, s5, v1, vcc_lo
	v_mov_b32_e32 v0, v3
	global_store_b16 v[8:9], v5, off
	s_or_b32 exec_lo, exec_lo, s0
	s_mov_b32 s0, exec_lo
	v_cmpx_gt_i32_e64 s2, v0
	s_cbranch_execnz .LBB150_15
.LBB150_22:
	s_or_b32 exec_lo, exec_lo, s0
	s_delay_alu instid0(SALU_CYCLE_1)
	s_mov_b32 s0, exec_lo
	v_cmpx_gt_i32_e64 s2, v0
	s_cbranch_execz .LBB150_16
.LBB150_23:
	v_dual_mov_b32 v2, 0 :: v_dual_add_nc_u32 v1, s1, v0
	v_add_nc_u32_e32 v0, 0x100, v0
	s_delay_alu instid0(VALU_DEP_2) | instskip(NEXT) | instid1(VALU_DEP_1)
	v_lshlrev_b64 v[1:2], 1, v[1:2]
	v_add_co_u32 v1, vcc_lo, s4, v1
	s_delay_alu instid0(VALU_DEP_2) | instskip(SKIP_2) | instid1(SALU_CYCLE_1)
	v_add_co_ci_u32_e32 v2, vcc_lo, s5, v2, vcc_lo
	global_store_b16 v[1:2], v4, off
	s_or_b32 exec_lo, exec_lo, s0
	s_mov_b32 s0, exec_lo
	v_cmpx_gt_i32_e64 s2, v0
	s_cbranch_execnz .LBB150_17
.LBB150_24:
	s_nop 0
	s_sendmsg sendmsg(MSG_DEALLOC_VGPRS)
	s_endpgm
	.section	.rodata,"a",@progbits
	.p2align	6, 0x0
	.amdhsa_kernel _ZN2at6native27unrolled_elementwise_kernelIZZZNS0_17expm1_kernel_cudaERNS_18TensorIteratorBaseEENKUlvE_clEvENKUlvE3_clEvEUlN3c108BFloat16EE_St5arrayIPcLm2EELi4E23TrivialOffsetCalculatorILi1EjESD_NS0_6memory15LoadWithoutCastENSE_16StoreWithoutCastEEEviT_T0_T2_T3_T4_T5_
		.amdhsa_group_segment_fixed_size 0
		.amdhsa_private_segment_fixed_size 0
		.amdhsa_kernarg_size 28
		.amdhsa_user_sgpr_count 15
		.amdhsa_user_sgpr_dispatch_ptr 0
		.amdhsa_user_sgpr_queue_ptr 0
		.amdhsa_user_sgpr_kernarg_segment_ptr 1
		.amdhsa_user_sgpr_dispatch_id 0
		.amdhsa_user_sgpr_private_segment_size 0
		.amdhsa_wavefront_size32 1
		.amdhsa_uses_dynamic_stack 0
		.amdhsa_enable_private_segment 0
		.amdhsa_system_sgpr_workgroup_id_x 1
		.amdhsa_system_sgpr_workgroup_id_y 0
		.amdhsa_system_sgpr_workgroup_id_z 0
		.amdhsa_system_sgpr_workgroup_info 0
		.amdhsa_system_vgpr_workitem_id 0
		.amdhsa_next_free_vgpr 11
		.amdhsa_next_free_sgpr 16
		.amdhsa_reserve_vcc 1
		.amdhsa_float_round_mode_32 0
		.amdhsa_float_round_mode_16_64 0
		.amdhsa_float_denorm_mode_32 3
		.amdhsa_float_denorm_mode_16_64 3
		.amdhsa_dx10_clamp 1
		.amdhsa_ieee_mode 1
		.amdhsa_fp16_overflow 0
		.amdhsa_workgroup_processor_mode 1
		.amdhsa_memory_ordered 1
		.amdhsa_forward_progress 0
		.amdhsa_shared_vgpr_count 0
		.amdhsa_exception_fp_ieee_invalid_op 0
		.amdhsa_exception_fp_denorm_src 0
		.amdhsa_exception_fp_ieee_div_zero 0
		.amdhsa_exception_fp_ieee_overflow 0
		.amdhsa_exception_fp_ieee_underflow 0
		.amdhsa_exception_fp_ieee_inexact 0
		.amdhsa_exception_int_div_zero 0
	.end_amdhsa_kernel
	.section	.text._ZN2at6native27unrolled_elementwise_kernelIZZZNS0_17expm1_kernel_cudaERNS_18TensorIteratorBaseEENKUlvE_clEvENKUlvE3_clEvEUlN3c108BFloat16EE_St5arrayIPcLm2EELi4E23TrivialOffsetCalculatorILi1EjESD_NS0_6memory15LoadWithoutCastENSE_16StoreWithoutCastEEEviT_T0_T2_T3_T4_T5_,"axG",@progbits,_ZN2at6native27unrolled_elementwise_kernelIZZZNS0_17expm1_kernel_cudaERNS_18TensorIteratorBaseEENKUlvE_clEvENKUlvE3_clEvEUlN3c108BFloat16EE_St5arrayIPcLm2EELi4E23TrivialOffsetCalculatorILi1EjESD_NS0_6memory15LoadWithoutCastENSE_16StoreWithoutCastEEEviT_T0_T2_T3_T4_T5_,comdat
.Lfunc_end150:
	.size	_ZN2at6native27unrolled_elementwise_kernelIZZZNS0_17expm1_kernel_cudaERNS_18TensorIteratorBaseEENKUlvE_clEvENKUlvE3_clEvEUlN3c108BFloat16EE_St5arrayIPcLm2EELi4E23TrivialOffsetCalculatorILi1EjESD_NS0_6memory15LoadWithoutCastENSE_16StoreWithoutCastEEEviT_T0_T2_T3_T4_T5_, .Lfunc_end150-_ZN2at6native27unrolled_elementwise_kernelIZZZNS0_17expm1_kernel_cudaERNS_18TensorIteratorBaseEENKUlvE_clEvENKUlvE3_clEvEUlN3c108BFloat16EE_St5arrayIPcLm2EELi4E23TrivialOffsetCalculatorILi1EjESD_NS0_6memory15LoadWithoutCastENSE_16StoreWithoutCastEEEviT_T0_T2_T3_T4_T5_
                                        ; -- End function
	.section	.AMDGPU.csdata,"",@progbits
; Kernel info:
; codeLenInByte = 2000
; NumSgprs: 18
; NumVgprs: 11
; ScratchSize: 0
; MemoryBound: 0
; FloatMode: 240
; IeeeMode: 1
; LDSByteSize: 0 bytes/workgroup (compile time only)
; SGPRBlocks: 2
; VGPRBlocks: 1
; NumSGPRsForWavesPerEU: 18
; NumVGPRsForWavesPerEU: 11
; Occupancy: 16
; WaveLimiterHint : 0
; COMPUTE_PGM_RSRC2:SCRATCH_EN: 0
; COMPUTE_PGM_RSRC2:USER_SGPR: 15
; COMPUTE_PGM_RSRC2:TRAP_HANDLER: 0
; COMPUTE_PGM_RSRC2:TGID_X_EN: 1
; COMPUTE_PGM_RSRC2:TGID_Y_EN: 0
; COMPUTE_PGM_RSRC2:TGID_Z_EN: 0
; COMPUTE_PGM_RSRC2:TIDIG_COMP_CNT: 0
	.section	.text._ZN2at6native32elementwise_kernel_manual_unrollILi128ELi8EZNS0_22gpu_kernel_impl_nocastIZZZNS0_17expm1_kernel_cudaERNS_18TensorIteratorBaseEENKUlvE_clEvENKUlvE3_clEvEUlN3c108BFloat16EE_EEvS4_RKT_EUlibE_EEviT1_,"axG",@progbits,_ZN2at6native32elementwise_kernel_manual_unrollILi128ELi8EZNS0_22gpu_kernel_impl_nocastIZZZNS0_17expm1_kernel_cudaERNS_18TensorIteratorBaseEENKUlvE_clEvENKUlvE3_clEvEUlN3c108BFloat16EE_EEvS4_RKT_EUlibE_EEviT1_,comdat
	.globl	_ZN2at6native32elementwise_kernel_manual_unrollILi128ELi8EZNS0_22gpu_kernel_impl_nocastIZZZNS0_17expm1_kernel_cudaERNS_18TensorIteratorBaseEENKUlvE_clEvENKUlvE3_clEvEUlN3c108BFloat16EE_EEvS4_RKT_EUlibE_EEviT1_ ; -- Begin function _ZN2at6native32elementwise_kernel_manual_unrollILi128ELi8EZNS0_22gpu_kernel_impl_nocastIZZZNS0_17expm1_kernel_cudaERNS_18TensorIteratorBaseEENKUlvE_clEvENKUlvE3_clEvEUlN3c108BFloat16EE_EEvS4_RKT_EUlibE_EEviT1_
	.p2align	8
	.type	_ZN2at6native32elementwise_kernel_manual_unrollILi128ELi8EZNS0_22gpu_kernel_impl_nocastIZZZNS0_17expm1_kernel_cudaERNS_18TensorIteratorBaseEENKUlvE_clEvENKUlvE3_clEvEUlN3c108BFloat16EE_EEvS4_RKT_EUlibE_EEviT1_,@function
_ZN2at6native32elementwise_kernel_manual_unrollILi128ELi8EZNS0_22gpu_kernel_impl_nocastIZZZNS0_17expm1_kernel_cudaERNS_18TensorIteratorBaseEENKUlvE_clEvENKUlvE3_clEvEUlN3c108BFloat16EE_EEvS4_RKT_EUlibE_EEviT1_: ; @_ZN2at6native32elementwise_kernel_manual_unrollILi128ELi8EZNS0_22gpu_kernel_impl_nocastIZZZNS0_17expm1_kernel_cudaERNS_18TensorIteratorBaseEENKUlvE_clEvENKUlvE3_clEvEUlN3c108BFloat16EE_EEvS4_RKT_EUlibE_EEviT1_
; %bb.0:
	s_clause 0x1
	s_load_b32 s22, s[0:1], 0x8
	s_load_b32 s27, s[0:1], 0x0
	v_lshl_or_b32 v11, s15, 10, v0
	s_or_b32 s0, s0, 8
	s_mov_b32 s2, exec_lo
	s_delay_alu instid0(VALU_DEP_1) | instskip(SKIP_2) | instid1(SALU_CYCLE_1)
	v_or_b32_e32 v16, 0x380, v11
	s_waitcnt lgkmcnt(0)
	s_add_i32 s23, s22, -1
	s_cmp_gt_u32 s23, 1
	s_cselect_b32 s24, -1, 0
	v_cmpx_le_i32_e64 s27, v16
	s_xor_b32 s25, exec_lo, s2
	s_cbranch_execz .LBB151_7
; %bb.1:
	s_clause 0x3
	s_load_b128 s[12:15], s[0:1], 0x4
	s_load_b64 s[2:3], s[0:1], 0x14
	s_load_b128 s[8:11], s[0:1], 0xc4
	s_load_b128 s[4:7], s[0:1], 0x148
	s_cmp_lg_u32 s22, 0
	s_mov_b32 s30, exec_lo
	s_cselect_b32 s29, -1, 0
	s_add_u32 s16, s0, 0xc4
	s_addc_u32 s17, s1, 0
	s_min_u32 s28, s23, 15
	s_cmp_gt_u32 s22, 1
	s_cselect_b32 s26, -1, 0
	v_cmpx_gt_i32_e64 s27, v11
	s_cbranch_execz .LBB151_14
; %bb.2:
	s_and_not1_b32 vcc_lo, exec_lo, s24
	s_cbranch_vccnz .LBB151_21
; %bb.3:
	v_dual_mov_b32 v0, 0 :: v_dual_mov_b32 v1, 0
	s_and_not1_b32 vcc_lo, exec_lo, s29
	s_mov_b32 s31, 0
	s_cbranch_vccnz .LBB151_125
; %bb.4:
	v_mov_b32_e32 v0, 0
	s_add_i32 s34, s28, 1
	s_cmp_eq_u32 s23, 2
	s_mov_b32 s33, 0
	s_cbranch_scc1 .LBB151_121
; %bb.5:
	v_dual_mov_b32 v1, 0 :: v_dual_mov_b32 v0, 0
	v_mov_b32_e32 v2, v11
	s_and_b32 s33, s34, 28
	s_mov_b32 s35, 0
	s_mov_b64 s[18:19], s[16:17]
	s_mov_b64 s[20:21], s[0:1]
.LBB151_6:                              ; =>This Inner Loop Header: Depth=1
	s_clause 0x1
	s_load_b256 s[36:43], s[20:21], 0x4
	s_load_b128 s[52:55], s[20:21], 0x24
	s_load_b256 s[44:51], s[18:19], 0x0
	s_add_u32 s20, s20, 48
	s_addc_u32 s21, s21, 0
	s_add_i32 s35, s35, 4
	s_add_u32 s18, s18, 32
	s_addc_u32 s19, s19, 0
	s_cmp_lg_u32 s33, s35
	s_waitcnt lgkmcnt(0)
	v_mul_hi_u32 v3, s37, v2
	s_delay_alu instid0(VALU_DEP_1) | instskip(NEXT) | instid1(VALU_DEP_1)
	v_add_nc_u32_e32 v3, v2, v3
	v_lshrrev_b32_e32 v3, s38, v3
	s_delay_alu instid0(VALU_DEP_1) | instskip(SKIP_1) | instid1(VALU_DEP_2)
	v_mul_hi_u32 v4, s40, v3
	v_mul_lo_u32 v6, v3, s36
	v_add_nc_u32_e32 v4, v3, v4
	s_delay_alu instid0(VALU_DEP_2) | instskip(NEXT) | instid1(VALU_DEP_2)
	v_sub_nc_u32_e32 v2, v2, v6
	v_lshrrev_b32_e32 v4, s41, v4
	s_delay_alu instid0(VALU_DEP_2) | instskip(SKIP_1) | instid1(VALU_DEP_3)
	v_mul_lo_u32 v6, v2, s44
	v_mul_lo_u32 v8, v2, s45
	v_mul_hi_u32 v5, s43, v4
	s_delay_alu instid0(VALU_DEP_1) | instskip(NEXT) | instid1(VALU_DEP_1)
	v_add_nc_u32_e32 v5, v4, v5
	v_lshrrev_b32_e32 v5, s52, v5
	s_delay_alu instid0(VALU_DEP_1) | instskip(SKIP_1) | instid1(VALU_DEP_2)
	v_mul_hi_u32 v7, s54, v5
	v_mul_lo_u32 v9, v5, s42
	v_add_nc_u32_e32 v2, v5, v7
	v_mul_lo_u32 v7, v4, s39
	s_delay_alu instid0(VALU_DEP_3) | instskip(NEXT) | instid1(VALU_DEP_3)
	v_sub_nc_u32_e32 v4, v4, v9
	v_lshrrev_b32_e32 v2, s55, v2
	s_delay_alu instid0(VALU_DEP_2) | instskip(SKIP_2) | instid1(VALU_DEP_4)
	v_mul_lo_u32 v9, v4, s48
	v_mul_lo_u32 v4, v4, s49
	v_sub_nc_u32_e32 v3, v3, v7
	v_mul_lo_u32 v10, v2, s53
	s_delay_alu instid0(VALU_DEP_2) | instskip(SKIP_1) | instid1(VALU_DEP_3)
	v_mul_lo_u32 v7, v3, s46
	v_mul_lo_u32 v3, v3, s47
	v_sub_nc_u32_e32 v5, v5, v10
	s_delay_alu instid0(VALU_DEP_3) | instskip(NEXT) | instid1(VALU_DEP_2)
	v_add3_u32 v0, v6, v0, v7
	v_mul_lo_u32 v10, v5, s50
	v_mul_lo_u32 v5, v5, s51
	v_add3_u32 v1, v8, v1, v3
	s_delay_alu instid0(VALU_DEP_3) | instskip(NEXT) | instid1(VALU_DEP_2)
	v_add3_u32 v0, v9, v0, v10
	v_add3_u32 v1, v4, v1, v5
	s_cbranch_scc1 .LBB151_6
	s_branch .LBB151_122
.LBB151_7:
	s_and_not1_saveexec_b32 s2, s25
	s_cbranch_execz .LBB151_206
.LBB151_8:
	v_cndmask_b32_e64 v14, 0, 1, s24
	s_and_not1_b32 vcc_lo, exec_lo, s24
	s_cbranch_vccnz .LBB151_20
; %bb.9:
	v_mov_b32_e32 v0, 0
	v_mov_b32_e32 v2, 0
	s_cmp_lg_u32 s22, 0
	s_mov_b32 s6, 0
	s_cbranch_scc0 .LBB151_26
; %bb.10:
	s_min_u32 s7, s23, 15
	v_mov_b32_e32 v0, 0
	s_add_i32 s7, s7, 1
	s_cmp_eq_u32 s23, 2
	s_mov_b32 s8, 0
	s_cbranch_scc1 .LBB151_23
; %bb.11:
	v_dual_mov_b32 v2, 0 :: v_dual_mov_b32 v1, v11
	v_mov_b32_e32 v0, 0
	s_add_u32 s2, s0, 0xc4
	s_addc_u32 s3, s1, 0
	s_and_b32 s8, s7, 28
	s_mov_b32 s9, 0
	s_mov_b64 s[4:5], s[0:1]
.LBB151_12:                             ; =>This Inner Loop Header: Depth=1
	s_clause 0x1
	s_load_b256 s[12:19], s[4:5], 0x4
	s_load_b128 s[36:39], s[4:5], 0x24
	s_load_b256 s[24:31], s[2:3], 0x0
	s_add_u32 s4, s4, 48
	s_addc_u32 s5, s5, 0
	s_add_i32 s9, s9, 4
	s_add_u32 s2, s2, 32
	s_addc_u32 s3, s3, 0
	s_cmp_lg_u32 s8, s9
	s_waitcnt lgkmcnt(0)
	v_mul_hi_u32 v3, s13, v1
	s_delay_alu instid0(VALU_DEP_1) | instskip(NEXT) | instid1(VALU_DEP_1)
	v_add_nc_u32_e32 v3, v1, v3
	v_lshrrev_b32_e32 v3, s14, v3
	s_delay_alu instid0(VALU_DEP_1) | instskip(SKIP_1) | instid1(VALU_DEP_2)
	v_mul_hi_u32 v4, s16, v3
	v_mul_lo_u32 v6, v3, s12
	v_add_nc_u32_e32 v4, v3, v4
	s_delay_alu instid0(VALU_DEP_2) | instskip(NEXT) | instid1(VALU_DEP_2)
	v_sub_nc_u32_e32 v1, v1, v6
	v_lshrrev_b32_e32 v4, s17, v4
	s_delay_alu instid0(VALU_DEP_2) | instskip(SKIP_1) | instid1(VALU_DEP_3)
	v_mul_lo_u32 v6, v1, s24
	v_mul_lo_u32 v8, v1, s25
	v_mul_hi_u32 v5, s19, v4
	s_delay_alu instid0(VALU_DEP_1) | instskip(NEXT) | instid1(VALU_DEP_1)
	v_add_nc_u32_e32 v5, v4, v5
	v_lshrrev_b32_e32 v5, s36, v5
	s_delay_alu instid0(VALU_DEP_1) | instskip(SKIP_1) | instid1(VALU_DEP_2)
	v_mul_hi_u32 v7, s38, v5
	v_mul_lo_u32 v9, v5, s18
	v_add_nc_u32_e32 v1, v5, v7
	v_mul_lo_u32 v7, v4, s15
	s_delay_alu instid0(VALU_DEP_3) | instskip(NEXT) | instid1(VALU_DEP_3)
	v_sub_nc_u32_e32 v4, v4, v9
	v_lshrrev_b32_e32 v1, s39, v1
	s_delay_alu instid0(VALU_DEP_2) | instskip(SKIP_2) | instid1(VALU_DEP_4)
	v_mul_lo_u32 v9, v4, s28
	v_mul_lo_u32 v4, v4, s29
	v_sub_nc_u32_e32 v3, v3, v7
	v_mul_lo_u32 v10, v1, s37
	s_delay_alu instid0(VALU_DEP_2) | instskip(SKIP_1) | instid1(VALU_DEP_3)
	v_mul_lo_u32 v7, v3, s26
	v_mul_lo_u32 v3, v3, s27
	v_sub_nc_u32_e32 v5, v5, v10
	s_delay_alu instid0(VALU_DEP_3) | instskip(NEXT) | instid1(VALU_DEP_2)
	v_add3_u32 v0, v6, v0, v7
	v_mul_lo_u32 v10, v5, s30
	v_mul_lo_u32 v5, v5, s31
	v_add3_u32 v2, v8, v2, v3
	s_delay_alu instid0(VALU_DEP_3) | instskip(NEXT) | instid1(VALU_DEP_2)
	v_add3_u32 v0, v9, v0, v10
	v_add3_u32 v2, v4, v2, v5
	s_cbranch_scc1 .LBB151_12
; %bb.13:
	s_and_b32 s7, s7, 3
	s_delay_alu instid0(SALU_CYCLE_1)
	s_cmp_eq_u32 s7, 0
	s_cbranch_scc0 .LBB151_24
	s_branch .LBB151_26
.LBB151_14:
	s_or_b32 exec_lo, exec_lo, s30
	s_delay_alu instid0(SALU_CYCLE_1)
	s_mov_b32 s30, exec_lo
	v_cmpx_gt_i32_e64 s27, v11
	s_cbranch_execz .LBB151_129
.LBB151_15:
	s_and_not1_b32 vcc_lo, exec_lo, s24
	s_cbranch_vccnz .LBB151_22
; %bb.16:
	v_dual_mov_b32 v0, 0 :: v_dual_mov_b32 v1, 0
	s_and_not1_b32 vcc_lo, exec_lo, s29
	s_mov_b32 s31, 0
	s_cbranch_vccnz .LBB151_140
; %bb.17:
	v_mov_b32_e32 v0, 0
	s_add_i32 s34, s28, 1
	s_cmp_eq_u32 s23, 2
	s_mov_b32 s33, 0
	s_cbranch_scc1 .LBB151_136
; %bb.18:
	v_dual_mov_b32 v1, 0 :: v_dual_mov_b32 v0, 0
	v_mov_b32_e32 v2, v11
	s_and_b32 s33, s34, 28
	s_mov_b32 s35, 0
	s_mov_b64 s[18:19], s[16:17]
	s_mov_b64 s[20:21], s[0:1]
.LBB151_19:                             ; =>This Inner Loop Header: Depth=1
	s_clause 0x1
	s_load_b256 s[36:43], s[20:21], 0x4
	s_load_b128 s[52:55], s[20:21], 0x24
	s_load_b256 s[44:51], s[18:19], 0x0
	s_add_u32 s20, s20, 48
	s_addc_u32 s21, s21, 0
	s_add_i32 s35, s35, 4
	s_add_u32 s18, s18, 32
	s_addc_u32 s19, s19, 0
	s_cmp_eq_u32 s33, s35
	s_waitcnt lgkmcnt(0)
	v_mul_hi_u32 v3, s37, v2
	s_delay_alu instid0(VALU_DEP_1) | instskip(NEXT) | instid1(VALU_DEP_1)
	v_add_nc_u32_e32 v3, v2, v3
	v_lshrrev_b32_e32 v3, s38, v3
	s_delay_alu instid0(VALU_DEP_1) | instskip(SKIP_1) | instid1(VALU_DEP_2)
	v_mul_hi_u32 v4, s40, v3
	v_mul_lo_u32 v6, v3, s36
	v_add_nc_u32_e32 v4, v3, v4
	s_delay_alu instid0(VALU_DEP_2) | instskip(NEXT) | instid1(VALU_DEP_2)
	v_sub_nc_u32_e32 v2, v2, v6
	v_lshrrev_b32_e32 v4, s41, v4
	s_delay_alu instid0(VALU_DEP_2) | instskip(SKIP_1) | instid1(VALU_DEP_3)
	v_mul_lo_u32 v6, v2, s44
	v_mul_lo_u32 v8, v2, s45
	v_mul_hi_u32 v5, s43, v4
	s_delay_alu instid0(VALU_DEP_1) | instskip(NEXT) | instid1(VALU_DEP_1)
	v_add_nc_u32_e32 v5, v4, v5
	v_lshrrev_b32_e32 v5, s52, v5
	s_delay_alu instid0(VALU_DEP_1) | instskip(SKIP_1) | instid1(VALU_DEP_2)
	v_mul_hi_u32 v7, s54, v5
	v_mul_lo_u32 v9, v5, s42
	v_add_nc_u32_e32 v2, v5, v7
	v_mul_lo_u32 v7, v4, s39
	s_delay_alu instid0(VALU_DEP_3) | instskip(NEXT) | instid1(VALU_DEP_3)
	v_sub_nc_u32_e32 v4, v4, v9
	v_lshrrev_b32_e32 v2, s55, v2
	s_delay_alu instid0(VALU_DEP_2) | instskip(SKIP_2) | instid1(VALU_DEP_4)
	v_mul_lo_u32 v9, v4, s48
	v_mul_lo_u32 v4, v4, s49
	v_sub_nc_u32_e32 v3, v3, v7
	v_mul_lo_u32 v10, v2, s53
	s_delay_alu instid0(VALU_DEP_2) | instskip(SKIP_1) | instid1(VALU_DEP_3)
	v_mul_lo_u32 v7, v3, s46
	v_mul_lo_u32 v3, v3, s47
	v_sub_nc_u32_e32 v5, v5, v10
	s_delay_alu instid0(VALU_DEP_3) | instskip(NEXT) | instid1(VALU_DEP_2)
	v_add3_u32 v0, v6, v0, v7
	v_mul_lo_u32 v10, v5, s50
	v_mul_lo_u32 v5, v5, s51
	v_add3_u32 v1, v8, v1, v3
	s_delay_alu instid0(VALU_DEP_3) | instskip(NEXT) | instid1(VALU_DEP_2)
	v_add3_u32 v0, v9, v0, v10
	v_add3_u32 v1, v4, v1, v5
	s_cbranch_scc0 .LBB151_19
	s_branch .LBB151_137
.LBB151_20:
	s_mov_b32 s6, -1
                                        ; implicit-def: $vgpr0
                                        ; implicit-def: $vgpr2
	s_branch .LBB151_26
.LBB151_21:
	s_mov_b32 s31, -1
                                        ; implicit-def: $vgpr0
                                        ; implicit-def: $vgpr1
	s_branch .LBB151_125
.LBB151_22:
	s_mov_b32 s31, -1
                                        ; implicit-def: $vgpr0
                                        ; implicit-def: $vgpr1
	s_branch .LBB151_140
.LBB151_23:
	v_dual_mov_b32 v1, v11 :: v_dual_mov_b32 v2, 0
	s_and_b32 s7, s7, 3
	s_delay_alu instid0(SALU_CYCLE_1)
	s_cmp_eq_u32 s7, 0
	s_cbranch_scc1 .LBB151_26
.LBB151_24:
	s_lshl_b32 s2, s8, 3
	s_mul_i32 s4, s8, 12
	s_add_u32 s2, s2, s0
	s_addc_u32 s3, 0, s1
	s_add_u32 s2, s2, 0xc4
	s_addc_u32 s3, s3, 0
	;; [unrolled: 2-line block ×3, first 2 shown]
	.p2align	6
.LBB151_25:                             ; =>This Inner Loop Header: Depth=1
	s_clause 0x1
	s_load_b64 s[8:9], s[4:5], 0x4
	s_load_b32 s12, s[4:5], 0xc
	s_load_b64 s[10:11], s[2:3], 0x0
	s_add_u32 s4, s4, 12
	s_addc_u32 s5, s5, 0
	s_add_u32 s2, s2, 8
	s_addc_u32 s3, s3, 0
	s_add_i32 s7, s7, -1
	s_delay_alu instid0(SALU_CYCLE_1) | instskip(SKIP_2) | instid1(VALU_DEP_1)
	s_cmp_lg_u32 s7, 0
	s_waitcnt lgkmcnt(0)
	v_mul_hi_u32 v3, s9, v1
	v_add_nc_u32_e32 v3, v1, v3
	s_delay_alu instid0(VALU_DEP_1) | instskip(NEXT) | instid1(VALU_DEP_1)
	v_lshrrev_b32_e32 v6, s12, v3
	v_mul_lo_u32 v3, v6, s8
	s_delay_alu instid0(VALU_DEP_1) | instskip(NEXT) | instid1(VALU_DEP_1)
	v_sub_nc_u32_e32 v1, v1, v3
	v_mad_u64_u32 v[3:4], null, v1, s10, v[0:1]
	s_delay_alu instid0(VALU_DEP_1) | instskip(SKIP_1) | instid1(VALU_DEP_2)
	v_mad_u64_u32 v[4:5], null, v1, s11, v[2:3]
	v_dual_mov_b32 v1, v6 :: v_dual_mov_b32 v0, v3
	v_mov_b32_e32 v2, v4
	s_cbranch_scc1 .LBB151_25
.LBB151_26:
	s_and_not1_b32 vcc_lo, exec_lo, s6
	s_cbranch_vccnz .LBB151_29
; %bb.27:
	s_clause 0x1
	s_load_b128 s[4:7], s[0:1], 0x4
	s_load_b64 s[2:3], s[0:1], 0xc4
	s_cmp_lt_u32 s22, 2
	s_waitcnt lgkmcnt(0)
	v_mul_hi_u32 v0, s5, v11
	s_delay_alu instid0(VALU_DEP_1) | instskip(NEXT) | instid1(VALU_DEP_1)
	v_add_nc_u32_e32 v0, v11, v0
	v_lshrrev_b32_e32 v1, s6, v0
	s_delay_alu instid0(VALU_DEP_1) | instskip(NEXT) | instid1(VALU_DEP_1)
	v_mul_lo_u32 v0, v1, s4
	v_sub_nc_u32_e32 v2, v11, v0
	s_delay_alu instid0(VALU_DEP_1)
	v_mul_lo_u32 v0, v2, s2
	v_mul_lo_u32 v2, v2, s3
	s_cbranch_scc1 .LBB151_29
; %bb.28:
	s_clause 0x1
	s_load_b128 s[4:7], s[0:1], 0x10
	s_load_b64 s[2:3], s[0:1], 0xcc
	s_waitcnt lgkmcnt(0)
	v_mul_hi_u32 v3, s5, v1
	s_delay_alu instid0(VALU_DEP_1) | instskip(NEXT) | instid1(VALU_DEP_1)
	v_add_nc_u32_e32 v3, v1, v3
	v_lshrrev_b32_e32 v3, s6, v3
	s_delay_alu instid0(VALU_DEP_1) | instskip(NEXT) | instid1(VALU_DEP_1)
	v_mul_lo_u32 v3, v3, s4
	v_sub_nc_u32_e32 v1, v1, v3
	s_delay_alu instid0(VALU_DEP_1) | instskip(NEXT) | instid1(VALU_DEP_1)
	v_mad_u64_u32 v[3:4], null, v1, s2, v[0:1]
	v_mad_u64_u32 v[4:5], null, v1, s3, v[2:3]
	v_mov_b32_e32 v0, v3
	s_delay_alu instid0(VALU_DEP_2)
	v_mov_b32_e32 v2, v4
.LBB151_29:
	v_cmp_ne_u32_e32 vcc_lo, 1, v14
	v_add_nc_u32_e32 v3, 0x80, v11
	s_cbranch_vccnz .LBB151_35
; %bb.30:
	v_dual_mov_b32 v1, 0 :: v_dual_mov_b32 v4, 0
	s_cmp_lg_u32 s22, 0
	s_mov_b32 s6, 0
	s_cbranch_scc0 .LBB151_39
; %bb.31:
	s_min_u32 s7, s23, 15
	v_mov_b32_e32 v1, 0
	s_add_i32 s7, s7, 1
	s_cmp_eq_u32 s23, 2
	s_mov_b32 s8, 0
	s_cbranch_scc1 .LBB151_36
; %bb.32:
	v_dual_mov_b32 v4, 0 :: v_dual_mov_b32 v1, 0
	v_mov_b32_e32 v5, v3
	s_add_u32 s2, s0, 0xc4
	s_addc_u32 s3, s1, 0
	s_and_b32 s8, s7, 28
	s_mov_b32 s9, 0
	s_mov_b64 s[4:5], s[0:1]
.LBB151_33:                             ; =>This Inner Loop Header: Depth=1
	s_clause 0x1
	s_load_b256 s[12:19], s[4:5], 0x4
	s_load_b128 s[36:39], s[4:5], 0x24
	s_load_b256 s[24:31], s[2:3], 0x0
	s_add_u32 s4, s4, 48
	s_addc_u32 s5, s5, 0
	s_add_i32 s9, s9, 4
	s_add_u32 s2, s2, 32
	s_addc_u32 s3, s3, 0
	s_cmp_lg_u32 s8, s9
	s_waitcnt lgkmcnt(0)
	v_mul_hi_u32 v6, s13, v5
	s_delay_alu instid0(VALU_DEP_1) | instskip(NEXT) | instid1(VALU_DEP_1)
	v_add_nc_u32_e32 v6, v5, v6
	v_lshrrev_b32_e32 v6, s14, v6
	s_delay_alu instid0(VALU_DEP_1) | instskip(SKIP_1) | instid1(VALU_DEP_2)
	v_mul_hi_u32 v7, s16, v6
	v_mul_lo_u32 v9, v6, s12
	v_add_nc_u32_e32 v7, v6, v7
	s_delay_alu instid0(VALU_DEP_2) | instskip(NEXT) | instid1(VALU_DEP_2)
	v_sub_nc_u32_e32 v5, v5, v9
	v_lshrrev_b32_e32 v7, s17, v7
	s_delay_alu instid0(VALU_DEP_2) | instskip(SKIP_1) | instid1(VALU_DEP_3)
	v_mul_lo_u32 v9, v5, s24
	v_mul_lo_u32 v12, v5, s25
	v_mul_hi_u32 v8, s19, v7
	s_delay_alu instid0(VALU_DEP_1) | instskip(NEXT) | instid1(VALU_DEP_1)
	v_add_nc_u32_e32 v8, v7, v8
	v_lshrrev_b32_e32 v8, s36, v8
	s_delay_alu instid0(VALU_DEP_1) | instskip(SKIP_1) | instid1(VALU_DEP_2)
	v_mul_hi_u32 v10, s38, v8
	v_mul_lo_u32 v13, v8, s18
	v_add_nc_u32_e32 v5, v8, v10
	v_mul_lo_u32 v10, v7, s15
	s_delay_alu instid0(VALU_DEP_3) | instskip(NEXT) | instid1(VALU_DEP_3)
	v_sub_nc_u32_e32 v7, v7, v13
	v_lshrrev_b32_e32 v5, s39, v5
	s_delay_alu instid0(VALU_DEP_2) | instskip(SKIP_2) | instid1(VALU_DEP_4)
	v_mul_lo_u32 v13, v7, s28
	v_mul_lo_u32 v7, v7, s29
	v_sub_nc_u32_e32 v6, v6, v10
	v_mul_lo_u32 v15, v5, s37
	s_delay_alu instid0(VALU_DEP_2) | instskip(SKIP_1) | instid1(VALU_DEP_3)
	v_mul_lo_u32 v10, v6, s26
	v_mul_lo_u32 v6, v6, s27
	v_sub_nc_u32_e32 v8, v8, v15
	s_delay_alu instid0(VALU_DEP_3) | instskip(NEXT) | instid1(VALU_DEP_2)
	v_add3_u32 v1, v9, v1, v10
	v_mul_lo_u32 v15, v8, s30
	v_mul_lo_u32 v8, v8, s31
	v_add3_u32 v4, v12, v4, v6
	s_delay_alu instid0(VALU_DEP_3) | instskip(NEXT) | instid1(VALU_DEP_2)
	v_add3_u32 v1, v13, v1, v15
	v_add3_u32 v4, v7, v4, v8
	s_cbranch_scc1 .LBB151_33
; %bb.34:
	s_and_b32 s7, s7, 3
	s_delay_alu instid0(SALU_CYCLE_1)
	s_cmp_eq_u32 s7, 0
	s_cbranch_scc0 .LBB151_37
	s_branch .LBB151_39
.LBB151_35:
	s_mov_b32 s6, -1
                                        ; implicit-def: $vgpr1
                                        ; implicit-def: $vgpr4
	s_branch .LBB151_39
.LBB151_36:
	v_dual_mov_b32 v5, v3 :: v_dual_mov_b32 v4, 0
	s_and_b32 s7, s7, 3
	s_delay_alu instid0(SALU_CYCLE_1)
	s_cmp_eq_u32 s7, 0
	s_cbranch_scc1 .LBB151_39
.LBB151_37:
	s_lshl_b32 s2, s8, 3
	s_mul_i32 s4, s8, 12
	s_add_u32 s2, s2, s0
	s_addc_u32 s3, 0, s1
	s_add_u32 s2, s2, 0xc4
	s_addc_u32 s3, s3, 0
	;; [unrolled: 2-line block ×3, first 2 shown]
	.p2align	6
.LBB151_38:                             ; =>This Inner Loop Header: Depth=1
	s_clause 0x1
	s_load_b64 s[8:9], s[4:5], 0x4
	s_load_b32 s12, s[4:5], 0xc
	s_load_b64 s[10:11], s[2:3], 0x0
	s_add_u32 s4, s4, 12
	s_addc_u32 s5, s5, 0
	s_add_u32 s2, s2, 8
	s_addc_u32 s3, s3, 0
	s_add_i32 s7, s7, -1
	s_delay_alu instid0(SALU_CYCLE_1) | instskip(SKIP_2) | instid1(VALU_DEP_1)
	s_cmp_lg_u32 s7, 0
	s_waitcnt lgkmcnt(0)
	v_mul_hi_u32 v6, s9, v5
	v_add_nc_u32_e32 v6, v5, v6
	s_delay_alu instid0(VALU_DEP_1) | instskip(NEXT) | instid1(VALU_DEP_1)
	v_lshrrev_b32_e32 v9, s12, v6
	v_mul_lo_u32 v6, v9, s8
	s_delay_alu instid0(VALU_DEP_1) | instskip(NEXT) | instid1(VALU_DEP_1)
	v_sub_nc_u32_e32 v5, v5, v6
	v_mad_u64_u32 v[6:7], null, v5, s10, v[1:2]
	v_mad_u64_u32 v[7:8], null, v5, s11, v[4:5]
	v_mov_b32_e32 v5, v9
	s_delay_alu instid0(VALU_DEP_2)
	v_dual_mov_b32 v1, v6 :: v_dual_mov_b32 v4, v7
	s_cbranch_scc1 .LBB151_38
.LBB151_39:
	s_and_not1_b32 vcc_lo, exec_lo, s6
	s_cbranch_vccnz .LBB151_42
; %bb.40:
	s_clause 0x1
	s_load_b128 s[4:7], s[0:1], 0x4
	s_load_b64 s[2:3], s[0:1], 0xc4
	s_cmp_lt_u32 s22, 2
	s_waitcnt lgkmcnt(0)
	v_mul_hi_u32 v1, s5, v3
	s_delay_alu instid0(VALU_DEP_1) | instskip(NEXT) | instid1(VALU_DEP_1)
	v_add_nc_u32_e32 v1, v3, v1
	v_lshrrev_b32_e32 v5, s6, v1
	s_delay_alu instid0(VALU_DEP_1) | instskip(NEXT) | instid1(VALU_DEP_1)
	v_mul_lo_u32 v1, v5, s4
	v_sub_nc_u32_e32 v3, v3, v1
	s_delay_alu instid0(VALU_DEP_1)
	v_mul_lo_u32 v1, v3, s2
	v_mul_lo_u32 v4, v3, s3
	s_cbranch_scc1 .LBB151_42
; %bb.41:
	s_clause 0x1
	s_load_b128 s[4:7], s[0:1], 0x10
	s_load_b64 s[2:3], s[0:1], 0xcc
	s_waitcnt lgkmcnt(0)
	v_mul_hi_u32 v3, s5, v5
	s_delay_alu instid0(VALU_DEP_1) | instskip(NEXT) | instid1(VALU_DEP_1)
	v_add_nc_u32_e32 v3, v5, v3
	v_lshrrev_b32_e32 v3, s6, v3
	s_delay_alu instid0(VALU_DEP_1) | instskip(NEXT) | instid1(VALU_DEP_1)
	v_mul_lo_u32 v3, v3, s4
	v_sub_nc_u32_e32 v3, v5, v3
	s_delay_alu instid0(VALU_DEP_1) | instskip(NEXT) | instid1(VALU_DEP_1)
	v_mad_u64_u32 v[5:6], null, v3, s2, v[1:2]
	v_mad_u64_u32 v[6:7], null, v3, s3, v[4:5]
	s_delay_alu instid0(VALU_DEP_1)
	v_dual_mov_b32 v1, v5 :: v_dual_mov_b32 v4, v6
.LBB151_42:
	v_cmp_ne_u32_e32 vcc_lo, 1, v14
	v_add_nc_u32_e32 v5, 0x100, v11
	s_cbranch_vccnz .LBB151_48
; %bb.43:
	v_dual_mov_b32 v3, 0 :: v_dual_mov_b32 v6, 0
	s_cmp_lg_u32 s22, 0
	s_mov_b32 s6, 0
	s_cbranch_scc0 .LBB151_52
; %bb.44:
	s_min_u32 s7, s23, 15
	v_mov_b32_e32 v3, 0
	s_add_i32 s7, s7, 1
	s_cmp_eq_u32 s23, 2
	s_mov_b32 s8, 0
	s_cbranch_scc1 .LBB151_49
; %bb.45:
	v_dual_mov_b32 v6, 0 :: v_dual_mov_b32 v3, 0
	v_mov_b32_e32 v7, v5
	s_add_u32 s2, s0, 0xc4
	s_addc_u32 s3, s1, 0
	s_and_b32 s8, s7, 28
	s_mov_b32 s9, 0
	s_mov_b64 s[4:5], s[0:1]
.LBB151_46:                             ; =>This Inner Loop Header: Depth=1
	s_clause 0x1
	s_load_b256 s[12:19], s[4:5], 0x4
	s_load_b128 s[36:39], s[4:5], 0x24
	s_load_b256 s[24:31], s[2:3], 0x0
	s_add_u32 s4, s4, 48
	s_addc_u32 s5, s5, 0
	s_add_i32 s9, s9, 4
	s_add_u32 s2, s2, 32
	s_addc_u32 s3, s3, 0
	s_cmp_lg_u32 s8, s9
	s_waitcnt lgkmcnt(0)
	v_mul_hi_u32 v8, s13, v7
	s_delay_alu instid0(VALU_DEP_1) | instskip(NEXT) | instid1(VALU_DEP_1)
	v_add_nc_u32_e32 v8, v7, v8
	v_lshrrev_b32_e32 v8, s14, v8
	s_delay_alu instid0(VALU_DEP_1) | instskip(SKIP_1) | instid1(VALU_DEP_2)
	v_mul_hi_u32 v9, s16, v8
	v_mul_lo_u32 v12, v8, s12
	v_add_nc_u32_e32 v9, v8, v9
	s_delay_alu instid0(VALU_DEP_2) | instskip(NEXT) | instid1(VALU_DEP_2)
	v_sub_nc_u32_e32 v7, v7, v12
	v_lshrrev_b32_e32 v9, s17, v9
	s_delay_alu instid0(VALU_DEP_2) | instskip(SKIP_1) | instid1(VALU_DEP_3)
	v_mul_lo_u32 v12, v7, s24
	v_mul_lo_u32 v15, v7, s25
	v_mul_hi_u32 v10, s19, v9
	s_delay_alu instid0(VALU_DEP_1) | instskip(NEXT) | instid1(VALU_DEP_1)
	v_add_nc_u32_e32 v10, v9, v10
	v_lshrrev_b32_e32 v10, s36, v10
	s_delay_alu instid0(VALU_DEP_1) | instskip(SKIP_1) | instid1(VALU_DEP_2)
	v_mul_hi_u32 v13, s38, v10
	v_mul_lo_u32 v17, v10, s18
	v_add_nc_u32_e32 v7, v10, v13
	v_mul_lo_u32 v13, v9, s15
	s_delay_alu instid0(VALU_DEP_3) | instskip(NEXT) | instid1(VALU_DEP_3)
	v_sub_nc_u32_e32 v9, v9, v17
	v_lshrrev_b32_e32 v7, s39, v7
	s_delay_alu instid0(VALU_DEP_2) | instskip(SKIP_2) | instid1(VALU_DEP_4)
	v_mul_lo_u32 v17, v9, s28
	v_mul_lo_u32 v9, v9, s29
	v_sub_nc_u32_e32 v8, v8, v13
	v_mul_lo_u32 v18, v7, s37
	s_delay_alu instid0(VALU_DEP_2) | instskip(SKIP_1) | instid1(VALU_DEP_3)
	v_mul_lo_u32 v13, v8, s26
	v_mul_lo_u32 v8, v8, s27
	v_sub_nc_u32_e32 v10, v10, v18
	s_delay_alu instid0(VALU_DEP_3) | instskip(NEXT) | instid1(VALU_DEP_2)
	v_add3_u32 v3, v12, v3, v13
	v_mul_lo_u32 v18, v10, s30
	v_mul_lo_u32 v10, v10, s31
	v_add3_u32 v6, v15, v6, v8
	s_delay_alu instid0(VALU_DEP_3) | instskip(NEXT) | instid1(VALU_DEP_2)
	v_add3_u32 v3, v17, v3, v18
	v_add3_u32 v6, v9, v6, v10
	s_cbranch_scc1 .LBB151_46
; %bb.47:
	s_and_b32 s7, s7, 3
	s_delay_alu instid0(SALU_CYCLE_1)
	s_cmp_eq_u32 s7, 0
	s_cbranch_scc0 .LBB151_50
	s_branch .LBB151_52
.LBB151_48:
	s_mov_b32 s6, -1
                                        ; implicit-def: $vgpr3
                                        ; implicit-def: $vgpr6
	s_branch .LBB151_52
.LBB151_49:
	v_dual_mov_b32 v7, v5 :: v_dual_mov_b32 v6, 0
	s_and_b32 s7, s7, 3
	s_delay_alu instid0(SALU_CYCLE_1)
	s_cmp_eq_u32 s7, 0
	s_cbranch_scc1 .LBB151_52
.LBB151_50:
	s_lshl_b32 s2, s8, 3
	s_mul_i32 s4, s8, 12
	s_add_u32 s2, s2, s0
	s_addc_u32 s3, 0, s1
	s_add_u32 s2, s2, 0xc4
	s_addc_u32 s3, s3, 0
	;; [unrolled: 2-line block ×3, first 2 shown]
	.p2align	6
.LBB151_51:                             ; =>This Inner Loop Header: Depth=1
	s_clause 0x1
	s_load_b64 s[8:9], s[4:5], 0x4
	s_load_b32 s12, s[4:5], 0xc
	s_load_b64 s[10:11], s[2:3], 0x0
	s_add_u32 s4, s4, 12
	s_addc_u32 s5, s5, 0
	s_add_u32 s2, s2, 8
	s_addc_u32 s3, s3, 0
	s_add_i32 s7, s7, -1
	s_delay_alu instid0(SALU_CYCLE_1) | instskip(SKIP_2) | instid1(VALU_DEP_1)
	s_cmp_lg_u32 s7, 0
	s_waitcnt lgkmcnt(0)
	v_mul_hi_u32 v8, s9, v7
	v_add_nc_u32_e32 v8, v7, v8
	s_delay_alu instid0(VALU_DEP_1) | instskip(NEXT) | instid1(VALU_DEP_1)
	v_lshrrev_b32_e32 v12, s12, v8
	v_mul_lo_u32 v8, v12, s8
	s_delay_alu instid0(VALU_DEP_1) | instskip(NEXT) | instid1(VALU_DEP_1)
	v_sub_nc_u32_e32 v7, v7, v8
	v_mad_u64_u32 v[8:9], null, v7, s10, v[3:4]
	v_mad_u64_u32 v[9:10], null, v7, s11, v[6:7]
	v_mov_b32_e32 v7, v12
	s_delay_alu instid0(VALU_DEP_2)
	v_dual_mov_b32 v3, v8 :: v_dual_mov_b32 v6, v9
	s_cbranch_scc1 .LBB151_51
.LBB151_52:
	s_and_not1_b32 vcc_lo, exec_lo, s6
	s_cbranch_vccnz .LBB151_55
; %bb.53:
	s_clause 0x1
	s_load_b128 s[4:7], s[0:1], 0x4
	s_load_b64 s[2:3], s[0:1], 0xc4
	s_cmp_lt_u32 s22, 2
	s_waitcnt lgkmcnt(0)
	v_mul_hi_u32 v3, s5, v5
	s_delay_alu instid0(VALU_DEP_1) | instskip(NEXT) | instid1(VALU_DEP_1)
	v_add_nc_u32_e32 v3, v5, v3
	v_lshrrev_b32_e32 v7, s6, v3
	s_delay_alu instid0(VALU_DEP_1) | instskip(NEXT) | instid1(VALU_DEP_1)
	v_mul_lo_u32 v3, v7, s4
	v_sub_nc_u32_e32 v5, v5, v3
	s_delay_alu instid0(VALU_DEP_1)
	v_mul_lo_u32 v3, v5, s2
	v_mul_lo_u32 v6, v5, s3
	s_cbranch_scc1 .LBB151_55
; %bb.54:
	s_clause 0x1
	s_load_b128 s[4:7], s[0:1], 0x10
	s_load_b64 s[2:3], s[0:1], 0xcc
	s_waitcnt lgkmcnt(0)
	v_mul_hi_u32 v5, s5, v7
	s_delay_alu instid0(VALU_DEP_1) | instskip(NEXT) | instid1(VALU_DEP_1)
	v_add_nc_u32_e32 v5, v7, v5
	v_lshrrev_b32_e32 v5, s6, v5
	s_delay_alu instid0(VALU_DEP_1) | instskip(NEXT) | instid1(VALU_DEP_1)
	v_mul_lo_u32 v5, v5, s4
	v_sub_nc_u32_e32 v5, v7, v5
	s_delay_alu instid0(VALU_DEP_1) | instskip(NEXT) | instid1(VALU_DEP_1)
	v_mad_u64_u32 v[7:8], null, v5, s2, v[3:4]
	v_mad_u64_u32 v[8:9], null, v5, s3, v[6:7]
	s_delay_alu instid0(VALU_DEP_1)
	v_dual_mov_b32 v3, v7 :: v_dual_mov_b32 v6, v8
.LBB151_55:
	v_cmp_ne_u32_e32 vcc_lo, 1, v14
	v_add_nc_u32_e32 v7, 0x180, v11
	s_cbranch_vccnz .LBB151_61
; %bb.56:
	v_dual_mov_b32 v5, 0 :: v_dual_mov_b32 v8, 0
	s_cmp_lg_u32 s22, 0
	s_mov_b32 s6, 0
	s_cbranch_scc0 .LBB151_65
; %bb.57:
	s_min_u32 s7, s23, 15
	v_mov_b32_e32 v5, 0
	s_add_i32 s7, s7, 1
	s_cmp_eq_u32 s23, 2
	s_mov_b32 s8, 0
	s_cbranch_scc1 .LBB151_62
; %bb.58:
	v_dual_mov_b32 v8, 0 :: v_dual_mov_b32 v5, 0
	v_mov_b32_e32 v9, v7
	s_add_u32 s2, s0, 0xc4
	s_addc_u32 s3, s1, 0
	s_and_b32 s8, s7, 28
	s_mov_b32 s9, 0
	s_mov_b64 s[4:5], s[0:1]
.LBB151_59:                             ; =>This Inner Loop Header: Depth=1
	s_clause 0x1
	s_load_b256 s[12:19], s[4:5], 0x4
	s_load_b128 s[36:39], s[4:5], 0x24
	s_load_b256 s[24:31], s[2:3], 0x0
	s_add_u32 s4, s4, 48
	s_addc_u32 s5, s5, 0
	s_add_i32 s9, s9, 4
	s_add_u32 s2, s2, 32
	s_addc_u32 s3, s3, 0
	s_cmp_lg_u32 s8, s9
	s_waitcnt lgkmcnt(0)
	v_mul_hi_u32 v10, s13, v9
	s_delay_alu instid0(VALU_DEP_1) | instskip(NEXT) | instid1(VALU_DEP_1)
	v_add_nc_u32_e32 v10, v9, v10
	v_lshrrev_b32_e32 v10, s14, v10
	s_delay_alu instid0(VALU_DEP_1) | instskip(SKIP_1) | instid1(VALU_DEP_2)
	v_mul_hi_u32 v12, s16, v10
	v_mul_lo_u32 v15, v10, s12
	v_add_nc_u32_e32 v12, v10, v12
	s_delay_alu instid0(VALU_DEP_2) | instskip(NEXT) | instid1(VALU_DEP_2)
	v_sub_nc_u32_e32 v9, v9, v15
	v_lshrrev_b32_e32 v12, s17, v12
	s_delay_alu instid0(VALU_DEP_2) | instskip(SKIP_1) | instid1(VALU_DEP_3)
	v_mul_lo_u32 v15, v9, s24
	v_mul_lo_u32 v18, v9, s25
	v_mul_hi_u32 v13, s19, v12
	s_delay_alu instid0(VALU_DEP_1) | instskip(NEXT) | instid1(VALU_DEP_1)
	v_add_nc_u32_e32 v13, v12, v13
	v_lshrrev_b32_e32 v13, s36, v13
	s_delay_alu instid0(VALU_DEP_1) | instskip(SKIP_1) | instid1(VALU_DEP_2)
	v_mul_hi_u32 v17, s38, v13
	v_mul_lo_u32 v19, v13, s18
	v_add_nc_u32_e32 v9, v13, v17
	v_mul_lo_u32 v17, v12, s15
	s_delay_alu instid0(VALU_DEP_3) | instskip(NEXT) | instid1(VALU_DEP_3)
	v_sub_nc_u32_e32 v12, v12, v19
	v_lshrrev_b32_e32 v9, s39, v9
	s_delay_alu instid0(VALU_DEP_2) | instskip(SKIP_2) | instid1(VALU_DEP_4)
	v_mul_lo_u32 v19, v12, s28
	v_mul_lo_u32 v12, v12, s29
	v_sub_nc_u32_e32 v10, v10, v17
	v_mul_lo_u32 v20, v9, s37
	s_delay_alu instid0(VALU_DEP_2) | instskip(SKIP_1) | instid1(VALU_DEP_3)
	v_mul_lo_u32 v17, v10, s26
	v_mul_lo_u32 v10, v10, s27
	v_sub_nc_u32_e32 v13, v13, v20
	s_delay_alu instid0(VALU_DEP_3) | instskip(NEXT) | instid1(VALU_DEP_2)
	v_add3_u32 v5, v15, v5, v17
	v_mul_lo_u32 v20, v13, s30
	v_mul_lo_u32 v13, v13, s31
	v_add3_u32 v8, v18, v8, v10
	s_delay_alu instid0(VALU_DEP_3) | instskip(NEXT) | instid1(VALU_DEP_2)
	v_add3_u32 v5, v19, v5, v20
	v_add3_u32 v8, v12, v8, v13
	s_cbranch_scc1 .LBB151_59
; %bb.60:
	s_and_b32 s7, s7, 3
	s_delay_alu instid0(SALU_CYCLE_1)
	s_cmp_eq_u32 s7, 0
	s_cbranch_scc0 .LBB151_63
	s_branch .LBB151_65
.LBB151_61:
	s_mov_b32 s6, -1
                                        ; implicit-def: $vgpr5
                                        ; implicit-def: $vgpr8
	s_branch .LBB151_65
.LBB151_62:
	v_dual_mov_b32 v9, v7 :: v_dual_mov_b32 v8, 0
	s_and_b32 s7, s7, 3
	s_delay_alu instid0(SALU_CYCLE_1)
	s_cmp_eq_u32 s7, 0
	s_cbranch_scc1 .LBB151_65
.LBB151_63:
	s_lshl_b32 s2, s8, 3
	s_mul_i32 s4, s8, 12
	s_add_u32 s2, s2, s0
	s_addc_u32 s3, 0, s1
	s_add_u32 s2, s2, 0xc4
	s_addc_u32 s3, s3, 0
	;; [unrolled: 2-line block ×3, first 2 shown]
	.p2align	6
.LBB151_64:                             ; =>This Inner Loop Header: Depth=1
	s_clause 0x1
	s_load_b64 s[8:9], s[4:5], 0x4
	s_load_b32 s12, s[4:5], 0xc
	s_load_b64 s[10:11], s[2:3], 0x0
	s_add_u32 s4, s4, 12
	s_addc_u32 s5, s5, 0
	s_add_u32 s2, s2, 8
	s_addc_u32 s3, s3, 0
	s_add_i32 s7, s7, -1
	s_delay_alu instid0(SALU_CYCLE_1) | instskip(SKIP_2) | instid1(VALU_DEP_1)
	s_cmp_lg_u32 s7, 0
	s_waitcnt lgkmcnt(0)
	v_mul_hi_u32 v10, s9, v9
	v_add_nc_u32_e32 v10, v9, v10
	s_delay_alu instid0(VALU_DEP_1) | instskip(NEXT) | instid1(VALU_DEP_1)
	v_lshrrev_b32_e32 v10, s12, v10
	v_mul_lo_u32 v12, v10, s8
	s_delay_alu instid0(VALU_DEP_1) | instskip(NEXT) | instid1(VALU_DEP_1)
	v_sub_nc_u32_e32 v9, v9, v12
	v_mad_u64_u32 v[12:13], null, v9, s10, v[5:6]
	v_mad_u64_u32 v[17:18], null, v9, s11, v[8:9]
	v_mov_b32_e32 v9, v10
	s_delay_alu instid0(VALU_DEP_2)
	v_dual_mov_b32 v5, v12 :: v_dual_mov_b32 v8, v17
	s_cbranch_scc1 .LBB151_64
.LBB151_65:
	s_and_not1_b32 vcc_lo, exec_lo, s6
	s_cbranch_vccnz .LBB151_68
; %bb.66:
	s_clause 0x1
	s_load_b128 s[4:7], s[0:1], 0x4
	s_load_b64 s[2:3], s[0:1], 0xc4
	s_cmp_lt_u32 s22, 2
	s_waitcnt lgkmcnt(0)
	v_mul_hi_u32 v5, s5, v7
	s_delay_alu instid0(VALU_DEP_1) | instskip(NEXT) | instid1(VALU_DEP_1)
	v_add_nc_u32_e32 v5, v7, v5
	v_lshrrev_b32_e32 v9, s6, v5
	s_delay_alu instid0(VALU_DEP_1) | instskip(NEXT) | instid1(VALU_DEP_1)
	v_mul_lo_u32 v5, v9, s4
	v_sub_nc_u32_e32 v7, v7, v5
	s_delay_alu instid0(VALU_DEP_1)
	v_mul_lo_u32 v5, v7, s2
	v_mul_lo_u32 v8, v7, s3
	s_cbranch_scc1 .LBB151_68
; %bb.67:
	s_clause 0x1
	s_load_b128 s[4:7], s[0:1], 0x10
	s_load_b64 s[2:3], s[0:1], 0xcc
	s_waitcnt lgkmcnt(0)
	v_mul_hi_u32 v7, s5, v9
	s_delay_alu instid0(VALU_DEP_1) | instskip(NEXT) | instid1(VALU_DEP_1)
	v_add_nc_u32_e32 v7, v9, v7
	v_lshrrev_b32_e32 v7, s6, v7
	s_delay_alu instid0(VALU_DEP_1) | instskip(NEXT) | instid1(VALU_DEP_1)
	v_mul_lo_u32 v7, v7, s4
	v_sub_nc_u32_e32 v7, v9, v7
	s_delay_alu instid0(VALU_DEP_1) | instskip(NEXT) | instid1(VALU_DEP_1)
	v_mad_u64_u32 v[9:10], null, v7, s2, v[5:6]
	v_mad_u64_u32 v[12:13], null, v7, s3, v[8:9]
	s_delay_alu instid0(VALU_DEP_1)
	v_dual_mov_b32 v5, v9 :: v_dual_mov_b32 v8, v12
.LBB151_68:
	v_cmp_ne_u32_e32 vcc_lo, 1, v14
	v_add_nc_u32_e32 v9, 0x200, v11
	s_cbranch_vccnz .LBB151_74
; %bb.69:
	v_dual_mov_b32 v7, 0 :: v_dual_mov_b32 v10, 0
	s_cmp_lg_u32 s22, 0
	s_mov_b32 s6, 0
	s_cbranch_scc0 .LBB151_78
; %bb.70:
	s_min_u32 s7, s23, 15
	v_mov_b32_e32 v7, 0
	s_add_i32 s7, s7, 1
	s_cmp_eq_u32 s23, 2
	s_mov_b32 s8, 0
	s_cbranch_scc1 .LBB151_75
; %bb.71:
	v_dual_mov_b32 v10, 0 :: v_dual_mov_b32 v7, 0
	v_mov_b32_e32 v12, v9
	s_add_u32 s2, s0, 0xc4
	s_addc_u32 s3, s1, 0
	s_and_b32 s8, s7, 28
	s_mov_b32 s9, 0
	s_mov_b64 s[4:5], s[0:1]
.LBB151_72:                             ; =>This Inner Loop Header: Depth=1
	s_clause 0x1
	s_load_b256 s[12:19], s[4:5], 0x4
	s_load_b128 s[36:39], s[4:5], 0x24
	s_load_b256 s[24:31], s[2:3], 0x0
	s_add_u32 s4, s4, 48
	s_addc_u32 s5, s5, 0
	s_add_i32 s9, s9, 4
	s_add_u32 s2, s2, 32
	s_addc_u32 s3, s3, 0
	s_cmp_lg_u32 s8, s9
	s_waitcnt lgkmcnt(0)
	v_mul_hi_u32 v13, s13, v12
	s_delay_alu instid0(VALU_DEP_1) | instskip(NEXT) | instid1(VALU_DEP_1)
	v_add_nc_u32_e32 v13, v12, v13
	v_lshrrev_b32_e32 v13, s14, v13
	s_delay_alu instid0(VALU_DEP_1) | instskip(SKIP_1) | instid1(VALU_DEP_2)
	v_mul_hi_u32 v15, s16, v13
	v_mul_lo_u32 v18, v13, s12
	v_add_nc_u32_e32 v15, v13, v15
	s_delay_alu instid0(VALU_DEP_2) | instskip(NEXT) | instid1(VALU_DEP_2)
	v_sub_nc_u32_e32 v12, v12, v18
	v_lshrrev_b32_e32 v15, s17, v15
	s_delay_alu instid0(VALU_DEP_2) | instskip(SKIP_1) | instid1(VALU_DEP_3)
	v_mul_lo_u32 v18, v12, s24
	v_mul_lo_u32 v20, v12, s25
	v_mul_hi_u32 v17, s19, v15
	s_delay_alu instid0(VALU_DEP_1) | instskip(NEXT) | instid1(VALU_DEP_1)
	v_add_nc_u32_e32 v17, v15, v17
	v_lshrrev_b32_e32 v17, s36, v17
	s_delay_alu instid0(VALU_DEP_1) | instskip(SKIP_1) | instid1(VALU_DEP_2)
	v_mul_hi_u32 v19, s38, v17
	v_mul_lo_u32 v21, v17, s18
	v_add_nc_u32_e32 v12, v17, v19
	v_mul_lo_u32 v19, v15, s15
	s_delay_alu instid0(VALU_DEP_3) | instskip(NEXT) | instid1(VALU_DEP_3)
	v_sub_nc_u32_e32 v15, v15, v21
	v_lshrrev_b32_e32 v12, s39, v12
	s_delay_alu instid0(VALU_DEP_2) | instskip(SKIP_2) | instid1(VALU_DEP_4)
	v_mul_lo_u32 v21, v15, s28
	v_mul_lo_u32 v15, v15, s29
	v_sub_nc_u32_e32 v13, v13, v19
	v_mul_lo_u32 v22, v12, s37
	s_delay_alu instid0(VALU_DEP_2) | instskip(SKIP_1) | instid1(VALU_DEP_3)
	v_mul_lo_u32 v19, v13, s26
	v_mul_lo_u32 v13, v13, s27
	v_sub_nc_u32_e32 v17, v17, v22
	s_delay_alu instid0(VALU_DEP_3) | instskip(NEXT) | instid1(VALU_DEP_2)
	v_add3_u32 v7, v18, v7, v19
	v_mul_lo_u32 v22, v17, s30
	v_mul_lo_u32 v17, v17, s31
	v_add3_u32 v10, v20, v10, v13
	s_delay_alu instid0(VALU_DEP_3) | instskip(NEXT) | instid1(VALU_DEP_2)
	v_add3_u32 v7, v21, v7, v22
	v_add3_u32 v10, v15, v10, v17
	s_cbranch_scc1 .LBB151_72
; %bb.73:
	s_and_b32 s7, s7, 3
	s_delay_alu instid0(SALU_CYCLE_1)
	s_cmp_eq_u32 s7, 0
	s_cbranch_scc0 .LBB151_76
	s_branch .LBB151_78
.LBB151_74:
	s_mov_b32 s6, -1
                                        ; implicit-def: $vgpr7
                                        ; implicit-def: $vgpr10
	s_branch .LBB151_78
.LBB151_75:
	v_mov_b32_e32 v12, v9
	v_mov_b32_e32 v10, 0
	s_and_b32 s7, s7, 3
	s_delay_alu instid0(SALU_CYCLE_1)
	s_cmp_eq_u32 s7, 0
	s_cbranch_scc1 .LBB151_78
.LBB151_76:
	s_lshl_b32 s2, s8, 3
	s_mul_i32 s4, s8, 12
	s_add_u32 s2, s2, s0
	s_addc_u32 s3, 0, s1
	s_add_u32 s2, s2, 0xc4
	s_addc_u32 s3, s3, 0
	;; [unrolled: 2-line block ×3, first 2 shown]
	.p2align	6
.LBB151_77:                             ; =>This Inner Loop Header: Depth=1
	s_clause 0x1
	s_load_b64 s[8:9], s[4:5], 0x4
	s_load_b32 s12, s[4:5], 0xc
	s_load_b64 s[10:11], s[2:3], 0x0
	s_add_u32 s4, s4, 12
	s_addc_u32 s5, s5, 0
	s_add_u32 s2, s2, 8
	s_addc_u32 s3, s3, 0
	s_add_i32 s7, s7, -1
	s_delay_alu instid0(SALU_CYCLE_1) | instskip(SKIP_2) | instid1(VALU_DEP_1)
	s_cmp_lg_u32 s7, 0
	s_waitcnt lgkmcnt(0)
	v_mul_hi_u32 v13, s9, v12
	v_add_nc_u32_e32 v13, v12, v13
	s_delay_alu instid0(VALU_DEP_1) | instskip(NEXT) | instid1(VALU_DEP_1)
	v_lshrrev_b32_e32 v13, s12, v13
	v_mul_lo_u32 v15, v13, s8
	s_delay_alu instid0(VALU_DEP_1) | instskip(NEXT) | instid1(VALU_DEP_1)
	v_sub_nc_u32_e32 v12, v12, v15
	v_mad_u64_u32 v[17:18], null, v12, s10, v[7:8]
	v_mad_u64_u32 v[18:19], null, v12, s11, v[10:11]
	v_mov_b32_e32 v12, v13
	s_delay_alu instid0(VALU_DEP_2)
	v_dual_mov_b32 v7, v17 :: v_dual_mov_b32 v10, v18
	s_cbranch_scc1 .LBB151_77
.LBB151_78:
	s_and_not1_b32 vcc_lo, exec_lo, s6
	s_cbranch_vccnz .LBB151_81
; %bb.79:
	s_clause 0x1
	s_load_b128 s[4:7], s[0:1], 0x4
	s_load_b64 s[2:3], s[0:1], 0xc4
	s_cmp_lt_u32 s22, 2
	s_waitcnt lgkmcnt(0)
	v_mul_hi_u32 v7, s5, v9
	s_delay_alu instid0(VALU_DEP_1) | instskip(NEXT) | instid1(VALU_DEP_1)
	v_add_nc_u32_e32 v7, v9, v7
	v_lshrrev_b32_e32 v12, s6, v7
	s_delay_alu instid0(VALU_DEP_1) | instskip(NEXT) | instid1(VALU_DEP_1)
	v_mul_lo_u32 v7, v12, s4
	v_sub_nc_u32_e32 v9, v9, v7
	s_delay_alu instid0(VALU_DEP_1)
	v_mul_lo_u32 v7, v9, s2
	v_mul_lo_u32 v10, v9, s3
	s_cbranch_scc1 .LBB151_81
; %bb.80:
	s_clause 0x1
	s_load_b128 s[4:7], s[0:1], 0x10
	s_load_b64 s[2:3], s[0:1], 0xcc
	s_waitcnt lgkmcnt(0)
	v_mul_hi_u32 v9, s5, v12
	s_delay_alu instid0(VALU_DEP_1) | instskip(NEXT) | instid1(VALU_DEP_1)
	v_add_nc_u32_e32 v9, v12, v9
	v_lshrrev_b32_e32 v9, s6, v9
	s_delay_alu instid0(VALU_DEP_1) | instskip(NEXT) | instid1(VALU_DEP_1)
	v_mul_lo_u32 v9, v9, s4
	v_sub_nc_u32_e32 v9, v12, v9
	s_delay_alu instid0(VALU_DEP_1) | instskip(SKIP_1) | instid1(VALU_DEP_1)
	v_mad_u64_u32 v[12:13], null, v9, s2, v[7:8]
	v_mad_u64_u32 v[17:18], null, v9, s3, v[10:11]
	v_dual_mov_b32 v7, v12 :: v_dual_mov_b32 v10, v17
.LBB151_81:
	v_cmp_ne_u32_e32 vcc_lo, 1, v14
	v_add_nc_u32_e32 v13, 0x280, v11
	s_cbranch_vccnz .LBB151_87
; %bb.82:
	v_dual_mov_b32 v9, 0 :: v_dual_mov_b32 v12, 0
	s_cmp_lg_u32 s22, 0
	s_mov_b32 s6, 0
	s_cbranch_scc0 .LBB151_91
; %bb.83:
	s_min_u32 s7, s23, 15
	v_mov_b32_e32 v9, 0
	s_add_i32 s7, s7, 1
	s_cmp_eq_u32 s23, 2
	s_mov_b32 s8, 0
	s_cbranch_scc1 .LBB151_88
; %bb.84:
	v_dual_mov_b32 v12, 0 :: v_dual_mov_b32 v9, 0
	v_mov_b32_e32 v15, v13
	s_add_u32 s2, s0, 0xc4
	s_addc_u32 s3, s1, 0
	s_and_b32 s8, s7, 28
	s_mov_b32 s9, 0
	s_mov_b64 s[4:5], s[0:1]
.LBB151_85:                             ; =>This Inner Loop Header: Depth=1
	s_clause 0x1
	s_load_b256 s[12:19], s[4:5], 0x4
	s_load_b128 s[36:39], s[4:5], 0x24
	s_load_b256 s[24:31], s[2:3], 0x0
	s_add_u32 s4, s4, 48
	s_addc_u32 s5, s5, 0
	s_add_i32 s9, s9, 4
	s_add_u32 s2, s2, 32
	s_addc_u32 s3, s3, 0
	s_cmp_lg_u32 s8, s9
	s_waitcnt lgkmcnt(0)
	v_mul_hi_u32 v17, s13, v15
	s_delay_alu instid0(VALU_DEP_1) | instskip(NEXT) | instid1(VALU_DEP_1)
	v_add_nc_u32_e32 v17, v15, v17
	v_lshrrev_b32_e32 v17, s14, v17
	s_delay_alu instid0(VALU_DEP_1) | instskip(SKIP_1) | instid1(VALU_DEP_2)
	v_mul_hi_u32 v18, s16, v17
	v_mul_lo_u32 v20, v17, s12
	v_add_nc_u32_e32 v18, v17, v18
	s_delay_alu instid0(VALU_DEP_2) | instskip(NEXT) | instid1(VALU_DEP_2)
	v_sub_nc_u32_e32 v15, v15, v20
	v_lshrrev_b32_e32 v18, s17, v18
	s_delay_alu instid0(VALU_DEP_2) | instskip(SKIP_1) | instid1(VALU_DEP_3)
	v_mul_lo_u32 v20, v15, s24
	v_mul_lo_u32 v22, v15, s25
	v_mul_hi_u32 v19, s19, v18
	s_delay_alu instid0(VALU_DEP_1) | instskip(NEXT) | instid1(VALU_DEP_1)
	v_add_nc_u32_e32 v19, v18, v19
	v_lshrrev_b32_e32 v19, s36, v19
	s_delay_alu instid0(VALU_DEP_1) | instskip(SKIP_1) | instid1(VALU_DEP_2)
	v_mul_hi_u32 v21, s38, v19
	v_mul_lo_u32 v23, v19, s18
	v_add_nc_u32_e32 v15, v19, v21
	v_mul_lo_u32 v21, v18, s15
	s_delay_alu instid0(VALU_DEP_3) | instskip(NEXT) | instid1(VALU_DEP_3)
	v_sub_nc_u32_e32 v18, v18, v23
	v_lshrrev_b32_e32 v15, s39, v15
	s_delay_alu instid0(VALU_DEP_2) | instskip(SKIP_2) | instid1(VALU_DEP_4)
	v_mul_lo_u32 v23, v18, s28
	v_mul_lo_u32 v18, v18, s29
	v_sub_nc_u32_e32 v17, v17, v21
	v_mul_lo_u32 v24, v15, s37
	s_delay_alu instid0(VALU_DEP_2) | instskip(SKIP_1) | instid1(VALU_DEP_3)
	v_mul_lo_u32 v21, v17, s26
	v_mul_lo_u32 v17, v17, s27
	v_sub_nc_u32_e32 v19, v19, v24
	s_delay_alu instid0(VALU_DEP_3) | instskip(NEXT) | instid1(VALU_DEP_2)
	v_add3_u32 v9, v20, v9, v21
	v_mul_lo_u32 v24, v19, s30
	v_mul_lo_u32 v19, v19, s31
	v_add3_u32 v12, v22, v12, v17
	s_delay_alu instid0(VALU_DEP_3) | instskip(NEXT) | instid1(VALU_DEP_2)
	v_add3_u32 v9, v23, v9, v24
	v_add3_u32 v12, v18, v12, v19
	s_cbranch_scc1 .LBB151_85
; %bb.86:
	s_and_b32 s7, s7, 3
	s_delay_alu instid0(SALU_CYCLE_1)
	s_cmp_eq_u32 s7, 0
	s_cbranch_scc0 .LBB151_89
	s_branch .LBB151_91
.LBB151_87:
	s_mov_b32 s6, -1
                                        ; implicit-def: $vgpr9
                                        ; implicit-def: $vgpr12
	s_branch .LBB151_91
.LBB151_88:
	v_dual_mov_b32 v15, v13 :: v_dual_mov_b32 v12, 0
	s_and_b32 s7, s7, 3
	s_delay_alu instid0(SALU_CYCLE_1)
	s_cmp_eq_u32 s7, 0
	s_cbranch_scc1 .LBB151_91
.LBB151_89:
	s_lshl_b32 s2, s8, 3
	s_mul_i32 s4, s8, 12
	s_add_u32 s2, s2, s0
	s_addc_u32 s3, 0, s1
	s_add_u32 s2, s2, 0xc4
	s_addc_u32 s3, s3, 0
	;; [unrolled: 2-line block ×3, first 2 shown]
	.p2align	6
.LBB151_90:                             ; =>This Inner Loop Header: Depth=1
	s_clause 0x1
	s_load_b64 s[8:9], s[4:5], 0x4
	s_load_b32 s12, s[4:5], 0xc
	s_load_b64 s[10:11], s[2:3], 0x0
	s_add_u32 s4, s4, 12
	s_addc_u32 s5, s5, 0
	s_add_u32 s2, s2, 8
	s_addc_u32 s3, s3, 0
	s_add_i32 s7, s7, -1
	s_delay_alu instid0(SALU_CYCLE_1) | instskip(SKIP_2) | instid1(VALU_DEP_1)
	s_cmp_lg_u32 s7, 0
	s_waitcnt lgkmcnt(0)
	v_mul_hi_u32 v17, s9, v15
	v_add_nc_u32_e32 v17, v15, v17
	s_delay_alu instid0(VALU_DEP_1) | instskip(NEXT) | instid1(VALU_DEP_1)
	v_lshrrev_b32_e32 v20, s12, v17
	v_mul_lo_u32 v17, v20, s8
	s_delay_alu instid0(VALU_DEP_1) | instskip(NEXT) | instid1(VALU_DEP_1)
	v_sub_nc_u32_e32 v15, v15, v17
	v_mad_u64_u32 v[17:18], null, v15, s10, v[9:10]
	v_mad_u64_u32 v[18:19], null, v15, s11, v[12:13]
	v_mov_b32_e32 v15, v20
	s_delay_alu instid0(VALU_DEP_2)
	v_dual_mov_b32 v9, v17 :: v_dual_mov_b32 v12, v18
	s_cbranch_scc1 .LBB151_90
.LBB151_91:
	s_and_not1_b32 vcc_lo, exec_lo, s6
	s_cbranch_vccnz .LBB151_94
; %bb.92:
	s_clause 0x1
	s_load_b128 s[4:7], s[0:1], 0x4
	s_load_b64 s[2:3], s[0:1], 0xc4
	s_cmp_lt_u32 s22, 2
	s_waitcnt lgkmcnt(0)
	v_mul_hi_u32 v9, s5, v13
	s_delay_alu instid0(VALU_DEP_1) | instskip(NEXT) | instid1(VALU_DEP_1)
	v_add_nc_u32_e32 v9, v13, v9
	v_lshrrev_b32_e32 v15, s6, v9
	s_delay_alu instid0(VALU_DEP_1) | instskip(NEXT) | instid1(VALU_DEP_1)
	v_mul_lo_u32 v9, v15, s4
	v_sub_nc_u32_e32 v12, v13, v9
	s_delay_alu instid0(VALU_DEP_1)
	v_mul_lo_u32 v9, v12, s2
	v_mul_lo_u32 v12, v12, s3
	s_cbranch_scc1 .LBB151_94
; %bb.93:
	s_clause 0x1
	s_load_b128 s[4:7], s[0:1], 0x10
	s_load_b64 s[2:3], s[0:1], 0xcc
	s_waitcnt lgkmcnt(0)
	v_mul_hi_u32 v13, s5, v15
	s_delay_alu instid0(VALU_DEP_1) | instskip(NEXT) | instid1(VALU_DEP_1)
	v_add_nc_u32_e32 v13, v15, v13
	v_lshrrev_b32_e32 v13, s6, v13
	s_delay_alu instid0(VALU_DEP_1) | instskip(NEXT) | instid1(VALU_DEP_1)
	v_mul_lo_u32 v13, v13, s4
	v_sub_nc_u32_e32 v13, v15, v13
	s_delay_alu instid0(VALU_DEP_1) | instskip(SKIP_1) | instid1(VALU_DEP_1)
	v_mad_u64_u32 v[17:18], null, v13, s2, v[9:10]
	v_mad_u64_u32 v[18:19], null, v13, s3, v[12:13]
	v_dual_mov_b32 v9, v17 :: v_dual_mov_b32 v12, v18
.LBB151_94:
	v_cmp_ne_u32_e32 vcc_lo, 1, v14
	v_add_nc_u32_e32 v15, 0x300, v11
	s_cbranch_vccnz .LBB151_100
; %bb.95:
	v_mov_b32_e32 v11, 0
	v_mov_b32_e32 v13, 0
	s_cmp_lg_u32 s22, 0
	s_mov_b32 s6, 0
	s_cbranch_scc0 .LBB151_104
; %bb.96:
	s_min_u32 s7, s23, 15
	v_mov_b32_e32 v11, 0
	s_add_i32 s7, s7, 1
	s_cmp_eq_u32 s23, 2
	s_mov_b32 s8, 0
	s_cbranch_scc1 .LBB151_101
; %bb.97:
	v_mov_b32_e32 v13, 0
	v_mov_b32_e32 v11, 0
	v_mov_b32_e32 v17, v15
	s_add_u32 s2, s0, 0xc4
	s_addc_u32 s3, s1, 0
	s_and_b32 s8, s7, 28
	s_mov_b32 s9, 0
	s_mov_b64 s[4:5], s[0:1]
.LBB151_98:                             ; =>This Inner Loop Header: Depth=1
	s_clause 0x1
	s_load_b256 s[12:19], s[4:5], 0x4
	s_load_b128 s[36:39], s[4:5], 0x24
	s_load_b256 s[24:31], s[2:3], 0x0
	s_add_u32 s4, s4, 48
	s_addc_u32 s5, s5, 0
	s_add_i32 s9, s9, 4
	s_add_u32 s2, s2, 32
	s_addc_u32 s3, s3, 0
	s_cmp_lg_u32 s8, s9
	s_waitcnt lgkmcnt(0)
	v_mul_hi_u32 v18, s13, v17
	s_delay_alu instid0(VALU_DEP_1) | instskip(NEXT) | instid1(VALU_DEP_1)
	v_add_nc_u32_e32 v18, v17, v18
	v_lshrrev_b32_e32 v18, s14, v18
	s_delay_alu instid0(VALU_DEP_1) | instskip(SKIP_1) | instid1(VALU_DEP_2)
	v_mul_hi_u32 v19, s16, v18
	v_mul_lo_u32 v21, v18, s12
	v_add_nc_u32_e32 v19, v18, v19
	s_delay_alu instid0(VALU_DEP_2) | instskip(NEXT) | instid1(VALU_DEP_2)
	v_sub_nc_u32_e32 v17, v17, v21
	v_lshrrev_b32_e32 v19, s17, v19
	s_delay_alu instid0(VALU_DEP_2) | instskip(SKIP_1) | instid1(VALU_DEP_3)
	v_mul_lo_u32 v21, v17, s24
	v_mul_lo_u32 v23, v17, s25
	v_mul_hi_u32 v20, s19, v19
	s_delay_alu instid0(VALU_DEP_1) | instskip(NEXT) | instid1(VALU_DEP_1)
	v_add_nc_u32_e32 v20, v19, v20
	v_lshrrev_b32_e32 v20, s36, v20
	s_delay_alu instid0(VALU_DEP_1) | instskip(SKIP_1) | instid1(VALU_DEP_2)
	v_mul_hi_u32 v22, s38, v20
	v_mul_lo_u32 v24, v20, s18
	v_add_nc_u32_e32 v17, v20, v22
	v_mul_lo_u32 v22, v19, s15
	s_delay_alu instid0(VALU_DEP_3) | instskip(NEXT) | instid1(VALU_DEP_3)
	v_sub_nc_u32_e32 v19, v19, v24
	v_lshrrev_b32_e32 v17, s39, v17
	s_delay_alu instid0(VALU_DEP_2) | instskip(SKIP_2) | instid1(VALU_DEP_4)
	v_mul_lo_u32 v24, v19, s28
	v_mul_lo_u32 v19, v19, s29
	v_sub_nc_u32_e32 v18, v18, v22
	v_mul_lo_u32 v25, v17, s37
	s_delay_alu instid0(VALU_DEP_2) | instskip(SKIP_1) | instid1(VALU_DEP_3)
	v_mul_lo_u32 v22, v18, s26
	v_mul_lo_u32 v18, v18, s27
	v_sub_nc_u32_e32 v20, v20, v25
	s_delay_alu instid0(VALU_DEP_3) | instskip(NEXT) | instid1(VALU_DEP_2)
	v_add3_u32 v11, v21, v11, v22
	v_mul_lo_u32 v25, v20, s30
	v_mul_lo_u32 v20, v20, s31
	v_add3_u32 v13, v23, v13, v18
	s_delay_alu instid0(VALU_DEP_3) | instskip(NEXT) | instid1(VALU_DEP_2)
	v_add3_u32 v11, v24, v11, v25
	v_add3_u32 v13, v19, v13, v20
	s_cbranch_scc1 .LBB151_98
; %bb.99:
	s_and_b32 s7, s7, 3
	s_delay_alu instid0(SALU_CYCLE_1)
	s_cmp_eq_u32 s7, 0
	s_cbranch_scc0 .LBB151_102
	s_branch .LBB151_104
.LBB151_100:
	s_mov_b32 s6, -1
                                        ; implicit-def: $vgpr11
                                        ; implicit-def: $vgpr13
	s_branch .LBB151_104
.LBB151_101:
	v_mov_b32_e32 v17, v15
	v_mov_b32_e32 v13, 0
	s_and_b32 s7, s7, 3
	s_delay_alu instid0(SALU_CYCLE_1)
	s_cmp_eq_u32 s7, 0
	s_cbranch_scc1 .LBB151_104
.LBB151_102:
	s_lshl_b32 s2, s8, 3
	s_mul_i32 s4, s8, 12
	s_add_u32 s2, s2, s0
	s_addc_u32 s3, 0, s1
	s_add_u32 s2, s2, 0xc4
	s_addc_u32 s3, s3, 0
	s_add_u32 s4, s0, s4
	s_addc_u32 s5, 0, s1
	.p2align	6
.LBB151_103:                            ; =>This Inner Loop Header: Depth=1
	s_clause 0x1
	s_load_b64 s[8:9], s[4:5], 0x4
	s_load_b32 s12, s[4:5], 0xc
	s_load_b64 s[10:11], s[2:3], 0x0
	s_add_u32 s4, s4, 12
	s_addc_u32 s5, s5, 0
	s_add_u32 s2, s2, 8
	s_addc_u32 s3, s3, 0
	s_add_i32 s7, s7, -1
	s_delay_alu instid0(SALU_CYCLE_1) | instskip(SKIP_2) | instid1(VALU_DEP_1)
	s_cmp_lg_u32 s7, 0
	s_waitcnt lgkmcnt(0)
	v_mul_hi_u32 v18, s9, v17
	v_add_nc_u32_e32 v18, v17, v18
	s_delay_alu instid0(VALU_DEP_1) | instskip(NEXT) | instid1(VALU_DEP_1)
	v_lshrrev_b32_e32 v21, s12, v18
	v_mul_lo_u32 v18, v21, s8
	s_delay_alu instid0(VALU_DEP_1) | instskip(NEXT) | instid1(VALU_DEP_1)
	v_sub_nc_u32_e32 v17, v17, v18
	v_mad_u64_u32 v[18:19], null, v17, s10, v[11:12]
	v_mad_u64_u32 v[19:20], null, v17, s11, v[13:14]
	v_mov_b32_e32 v17, v21
	s_delay_alu instid0(VALU_DEP_3) | instskip(NEXT) | instid1(VALU_DEP_3)
	v_mov_b32_e32 v11, v18
	v_mov_b32_e32 v13, v19
	s_cbranch_scc1 .LBB151_103
.LBB151_104:
	s_and_not1_b32 vcc_lo, exec_lo, s6
	s_cbranch_vccnz .LBB151_107
; %bb.105:
	s_clause 0x1
	s_load_b128 s[4:7], s[0:1], 0x4
	s_load_b64 s[2:3], s[0:1], 0xc4
	s_cmp_lt_u32 s22, 2
	s_waitcnt lgkmcnt(0)
	v_mul_hi_u32 v11, s5, v15
	s_delay_alu instid0(VALU_DEP_1) | instskip(NEXT) | instid1(VALU_DEP_1)
	v_add_nc_u32_e32 v11, v15, v11
	v_lshrrev_b32_e32 v17, s6, v11
	s_delay_alu instid0(VALU_DEP_1) | instskip(NEXT) | instid1(VALU_DEP_1)
	v_mul_lo_u32 v11, v17, s4
	v_sub_nc_u32_e32 v13, v15, v11
	s_delay_alu instid0(VALU_DEP_1)
	v_mul_lo_u32 v11, v13, s2
	v_mul_lo_u32 v13, v13, s3
	s_cbranch_scc1 .LBB151_107
; %bb.106:
	s_clause 0x1
	s_load_b128 s[4:7], s[0:1], 0x10
	s_load_b64 s[2:3], s[0:1], 0xcc
	s_waitcnt lgkmcnt(0)
	v_mul_hi_u32 v15, s5, v17
	s_delay_alu instid0(VALU_DEP_1) | instskip(NEXT) | instid1(VALU_DEP_1)
	v_add_nc_u32_e32 v15, v17, v15
	v_lshrrev_b32_e32 v15, s6, v15
	s_delay_alu instid0(VALU_DEP_1) | instskip(NEXT) | instid1(VALU_DEP_1)
	v_mul_lo_u32 v15, v15, s4
	v_sub_nc_u32_e32 v15, v17, v15
	s_delay_alu instid0(VALU_DEP_1) | instskip(SKIP_1) | instid1(VALU_DEP_2)
	v_mad_u64_u32 v[17:18], null, v15, s2, v[11:12]
	v_mad_u64_u32 v[18:19], null, v15, s3, v[13:14]
	v_mov_b32_e32 v11, v17
	s_delay_alu instid0(VALU_DEP_2)
	v_mov_b32_e32 v13, v18
.LBB151_107:
	v_cmp_ne_u32_e32 vcc_lo, 1, v14
	s_cbranch_vccnz .LBB151_113
; %bb.108:
	v_dual_mov_b32 v14, 0 :: v_dual_mov_b32 v15, 0
	s_cmp_lg_u32 s22, 0
	s_mov_b32 s6, 0
	s_cbranch_scc0 .LBB151_117
; %bb.109:
	s_min_u32 s7, s23, 15
	v_mov_b32_e32 v14, 0
	s_add_i32 s7, s7, 1
	s_cmp_eq_u32 s23, 2
	s_mov_b32 s8, 0
	s_cbranch_scc1 .LBB151_114
; %bb.110:
	v_dual_mov_b32 v15, 0 :: v_dual_mov_b32 v14, 0
	v_mov_b32_e32 v17, v16
	s_add_u32 s2, s0, 0xc4
	s_addc_u32 s3, s1, 0
	s_and_b32 s8, s7, 28
	s_mov_b32 s9, 0
	s_mov_b64 s[4:5], s[0:1]
.LBB151_111:                            ; =>This Inner Loop Header: Depth=1
	s_clause 0x1
	s_load_b256 s[12:19], s[4:5], 0x4
	s_load_b128 s[36:39], s[4:5], 0x24
	s_load_b256 s[24:31], s[2:3], 0x0
	s_add_u32 s4, s4, 48
	s_addc_u32 s5, s5, 0
	s_add_i32 s9, s9, 4
	s_add_u32 s2, s2, 32
	s_addc_u32 s3, s3, 0
	s_cmp_lg_u32 s8, s9
	s_waitcnt lgkmcnt(0)
	v_mul_hi_u32 v18, s13, v17
	s_delay_alu instid0(VALU_DEP_1) | instskip(NEXT) | instid1(VALU_DEP_1)
	v_add_nc_u32_e32 v18, v17, v18
	v_lshrrev_b32_e32 v18, s14, v18
	s_delay_alu instid0(VALU_DEP_1) | instskip(SKIP_1) | instid1(VALU_DEP_2)
	v_mul_hi_u32 v19, s16, v18
	v_mul_lo_u32 v21, v18, s12
	v_add_nc_u32_e32 v19, v18, v19
	s_delay_alu instid0(VALU_DEP_2) | instskip(NEXT) | instid1(VALU_DEP_2)
	v_sub_nc_u32_e32 v17, v17, v21
	v_lshrrev_b32_e32 v19, s17, v19
	s_delay_alu instid0(VALU_DEP_2) | instskip(SKIP_1) | instid1(VALU_DEP_3)
	v_mul_lo_u32 v21, v17, s24
	v_mul_lo_u32 v23, v17, s25
	v_mul_hi_u32 v20, s19, v19
	s_delay_alu instid0(VALU_DEP_1) | instskip(NEXT) | instid1(VALU_DEP_1)
	v_add_nc_u32_e32 v20, v19, v20
	v_lshrrev_b32_e32 v20, s36, v20
	s_delay_alu instid0(VALU_DEP_1) | instskip(SKIP_1) | instid1(VALU_DEP_2)
	v_mul_hi_u32 v22, s38, v20
	v_mul_lo_u32 v24, v20, s18
	v_add_nc_u32_e32 v17, v20, v22
	v_mul_lo_u32 v22, v19, s15
	s_delay_alu instid0(VALU_DEP_3) | instskip(NEXT) | instid1(VALU_DEP_3)
	v_sub_nc_u32_e32 v19, v19, v24
	v_lshrrev_b32_e32 v17, s39, v17
	s_delay_alu instid0(VALU_DEP_2) | instskip(SKIP_2) | instid1(VALU_DEP_4)
	v_mul_lo_u32 v24, v19, s28
	v_mul_lo_u32 v19, v19, s29
	v_sub_nc_u32_e32 v18, v18, v22
	v_mul_lo_u32 v25, v17, s37
	s_delay_alu instid0(VALU_DEP_2) | instskip(SKIP_1) | instid1(VALU_DEP_3)
	v_mul_lo_u32 v22, v18, s26
	v_mul_lo_u32 v18, v18, s27
	v_sub_nc_u32_e32 v20, v20, v25
	s_delay_alu instid0(VALU_DEP_3) | instskip(NEXT) | instid1(VALU_DEP_2)
	v_add3_u32 v14, v21, v14, v22
	v_mul_lo_u32 v25, v20, s30
	v_mul_lo_u32 v20, v20, s31
	v_add3_u32 v15, v23, v15, v18
	s_delay_alu instid0(VALU_DEP_3) | instskip(NEXT) | instid1(VALU_DEP_2)
	v_add3_u32 v14, v24, v14, v25
	v_add3_u32 v15, v19, v15, v20
	s_cbranch_scc1 .LBB151_111
; %bb.112:
	s_and_b32 s7, s7, 3
	s_delay_alu instid0(SALU_CYCLE_1)
	s_cmp_eq_u32 s7, 0
	s_cbranch_scc0 .LBB151_115
	s_branch .LBB151_117
.LBB151_113:
	s_mov_b32 s6, -1
                                        ; implicit-def: $vgpr14
                                        ; implicit-def: $vgpr15
	s_branch .LBB151_117
.LBB151_114:
	v_mov_b32_e32 v17, v16
	v_mov_b32_e32 v15, 0
	s_and_b32 s7, s7, 3
	s_delay_alu instid0(SALU_CYCLE_1)
	s_cmp_eq_u32 s7, 0
	s_cbranch_scc1 .LBB151_117
.LBB151_115:
	s_lshl_b32 s2, s8, 3
	s_mul_i32 s4, s8, 12
	s_add_u32 s2, s2, s0
	s_addc_u32 s3, 0, s1
	s_add_u32 s2, s2, 0xc4
	s_addc_u32 s3, s3, 0
	;; [unrolled: 2-line block ×3, first 2 shown]
	.p2align	6
.LBB151_116:                            ; =>This Inner Loop Header: Depth=1
	s_clause 0x1
	s_load_b64 s[8:9], s[4:5], 0x4
	s_load_b32 s12, s[4:5], 0xc
	s_load_b64 s[10:11], s[2:3], 0x0
	s_add_u32 s4, s4, 12
	s_addc_u32 s5, s5, 0
	s_add_u32 s2, s2, 8
	s_addc_u32 s3, s3, 0
	s_add_i32 s7, s7, -1
	s_delay_alu instid0(SALU_CYCLE_1) | instskip(SKIP_2) | instid1(VALU_DEP_1)
	s_cmp_lg_u32 s7, 0
	s_waitcnt lgkmcnt(0)
	v_mul_hi_u32 v18, s9, v17
	v_add_nc_u32_e32 v18, v17, v18
	s_delay_alu instid0(VALU_DEP_1) | instskip(NEXT) | instid1(VALU_DEP_1)
	v_lshrrev_b32_e32 v21, s12, v18
	v_mul_lo_u32 v18, v21, s8
	s_delay_alu instid0(VALU_DEP_1) | instskip(NEXT) | instid1(VALU_DEP_1)
	v_sub_nc_u32_e32 v17, v17, v18
	v_mad_u64_u32 v[18:19], null, v17, s10, v[14:15]
	v_mad_u64_u32 v[19:20], null, v17, s11, v[15:16]
	s_delay_alu instid0(VALU_DEP_2) | instskip(NEXT) | instid1(VALU_DEP_2)
	v_dual_mov_b32 v17, v21 :: v_dual_mov_b32 v14, v18
	v_mov_b32_e32 v15, v19
	s_cbranch_scc1 .LBB151_116
.LBB151_117:
	s_and_not1_b32 vcc_lo, exec_lo, s6
	s_cbranch_vccnz .LBB151_120
; %bb.118:
	s_clause 0x1
	s_load_b128 s[4:7], s[0:1], 0x4
	s_load_b64 s[2:3], s[0:1], 0xc4
	s_cmp_lt_u32 s22, 2
	s_waitcnt lgkmcnt(0)
	v_mul_hi_u32 v14, s5, v16
	s_delay_alu instid0(VALU_DEP_1) | instskip(NEXT) | instid1(VALU_DEP_1)
	v_add_nc_u32_e32 v14, v16, v14
	v_lshrrev_b32_e32 v17, s6, v14
	s_delay_alu instid0(VALU_DEP_1) | instskip(NEXT) | instid1(VALU_DEP_1)
	v_mul_lo_u32 v14, v17, s4
	v_sub_nc_u32_e32 v15, v16, v14
	s_delay_alu instid0(VALU_DEP_1)
	v_mul_lo_u32 v14, v15, s2
	v_mul_lo_u32 v15, v15, s3
	s_cbranch_scc1 .LBB151_120
; %bb.119:
	s_clause 0x1
	s_load_b128 s[4:7], s[0:1], 0x10
	s_load_b64 s[2:3], s[0:1], 0xcc
	s_waitcnt lgkmcnt(0)
	v_mul_hi_u32 v16, s5, v17
	s_delay_alu instid0(VALU_DEP_1) | instskip(NEXT) | instid1(VALU_DEP_1)
	v_add_nc_u32_e32 v16, v17, v16
	v_lshrrev_b32_e32 v16, s6, v16
	s_delay_alu instid0(VALU_DEP_1) | instskip(NEXT) | instid1(VALU_DEP_1)
	v_mul_lo_u32 v16, v16, s4
	v_sub_nc_u32_e32 v19, v17, v16
	s_delay_alu instid0(VALU_DEP_1) | instskip(NEXT) | instid1(VALU_DEP_1)
	v_mad_u64_u32 v[16:17], null, v19, s2, v[14:15]
	v_mad_u64_u32 v[17:18], null, v19, s3, v[15:16]
	s_delay_alu instid0(VALU_DEP_1)
	v_dual_mov_b32 v14, v16 :: v_dual_mov_b32 v15, v17
.LBB151_120:
	s_load_b128 s[8:11], s[0:1], 0x148
	s_mov_b32 s7, 0x395133b1
	s_waitcnt lgkmcnt(0)
	s_clause 0x7
	global_load_u16 v2, v2, s[10:11]
	global_load_u16 v4, v4, s[10:11]
	;; [unrolled: 1-line block ×8, first 2 shown]
	s_waitcnt vmcnt(0)
	v_lshlrev_b32_e32 v15, 16, v15
	s_delay_alu instid0(VALU_DEP_1) | instskip(NEXT) | instid1(VALU_DEP_1)
	v_dual_mul_f32 v23, 0x3fb8aa3b, v15 :: v_dual_lshlrev_b32 v4, 16, v4
	v_dual_mul_f32 v17, 0x3fb8aa3b, v4 :: v_dual_lshlrev_b32 v2, 16, v2
	v_lshlrev_b32_e32 v13, 16, v13
	s_delay_alu instid0(VALU_DEP_3) | instskip(NEXT) | instid1(VALU_DEP_3)
	v_rndne_f32_e32 v23, v23
	v_mul_f32_e32 v16, 0x3fb8aa3b, v2
	s_delay_alu instid0(VALU_DEP_4) | instskip(NEXT) | instid1(VALU_DEP_3)
	v_rndne_f32_e32 v17, v17
	v_cvt_i32_f32_e32 v39, v23
	s_delay_alu instid0(VALU_DEP_3) | instskip(NEXT) | instid1(VALU_DEP_3)
	v_rndne_f32_e32 v16, v16
	v_fmamk_f32 v26, v17, 0xbf317218, v4
	v_cvt_i32_f32_e32 v27, v17
	v_cmp_eq_f32_e64 s0, 0x43000000, v17
	v_cmp_eq_f32_e64 s6, 0x43000000, v23
	v_cmp_eq_f32_e32 vcc_lo, 0x43000000, v16
	v_fmac_f32_e32 v26, 0x3102e308, v17
	v_lshlrev_b32_e32 v8, 16, v8
	v_cndmask_b32_e64 v17, v27, 0x7f, s0
	v_cvt_i32_f32_e32 v25, v16
	s_delay_alu instid0(VALU_DEP_4) | instskip(NEXT) | instid1(VALU_DEP_4)
	v_fmaak_f32 v27, s7, v26, 0x3ab69700
	v_dual_mul_f32 v19, 0x3fb8aa3b, v8 :: v_dual_lshlrev_b32 v6, 16, v6
	s_delay_alu instid0(VALU_DEP_4) | instskip(NEXT) | instid1(VALU_DEP_3)
	v_ldexp_f32 v17, 1.0, v17
	v_fmaak_f32 v27, v26, v27, 0x3c0887f9
	s_delay_alu instid0(VALU_DEP_3) | instskip(NEXT) | instid1(VALU_DEP_4)
	v_mul_f32_e32 v18, 0x3fb8aa3b, v6
	v_rndne_f32_e32 v19, v19
	s_delay_alu instid0(VALU_DEP_4) | instskip(NEXT) | instid1(VALU_DEP_4)
	v_add_f32_e32 v41, -1.0, v17
	v_fmaak_f32 v27, v26, v27, 0x3d2aaa81
	s_delay_alu instid0(VALU_DEP_4) | instskip(NEXT) | instid1(VALU_DEP_4)
	v_rndne_f32_e32 v18, v18
	v_cvt_i32_f32_e32 v31, v19
	v_cmp_eq_f32_e64 s2, 0x43000000, v19
	s_delay_alu instid0(VALU_DEP_4) | instskip(NEXT) | instid1(VALU_DEP_4)
	v_fmaak_f32 v27, v26, v27, 0x3e2aaaab
	v_cvt_i32_f32_e32 v29, v18
	v_cmp_eq_f32_e64 s1, 0x43000000, v18
	s_delay_alu instid0(VALU_DEP_3) | instskip(NEXT) | instid1(VALU_DEP_1)
	v_fma_f32 v27, v26, v27, 0.5
	v_dual_fmamk_f32 v30, v19, 0xbf317218, v8 :: v_dual_mul_f32 v27, v26, v27
	s_delay_alu instid0(VALU_DEP_1) | instskip(SKIP_2) | instid1(VALU_DEP_3)
	v_fmac_f32_e32 v30, 0x3102e308, v19
	v_lshlrev_b32_e32 v12, 16, v12
	v_cndmask_b32_e64 v19, v31, 0x7f, s2
	v_fmaak_f32 v31, s7, v30, 0x3ab69700
	s_delay_alu instid0(VALU_DEP_3) | instskip(NEXT) | instid1(VALU_DEP_3)
	v_dual_mul_f32 v21, 0x3fb8aa3b, v12 :: v_dual_lshlrev_b32 v10, 16, v10
	v_ldexp_f32 v19, 1.0, v19
	v_mul_f32_e32 v22, 0x3fb8aa3b, v13
	s_delay_alu instid0(VALU_DEP_3) | instskip(NEXT) | instid1(VALU_DEP_4)
	v_mul_f32_e32 v20, 0x3fb8aa3b, v10
	v_rndne_f32_e32 v21, v21
	s_delay_alu instid0(VALU_DEP_4) | instskip(NEXT) | instid1(VALU_DEP_4)
	v_add_f32_e32 v43, -1.0, v19
	v_rndne_f32_e32 v22, v22
	s_delay_alu instid0(VALU_DEP_4) | instskip(NEXT) | instid1(VALU_DEP_4)
	v_rndne_f32_e32 v20, v20
	v_fmamk_f32 v34, v21, 0xbf317218, v12
	v_cvt_i32_f32_e32 v35, v21
	v_cmp_eq_f32_e64 s4, 0x43000000, v21
	v_cvt_i32_f32_e32 v37, v22
	v_cvt_i32_f32_e32 v33, v20
	v_fmac_f32_e32 v34, 0x3102e308, v21
	v_cmp_eq_f32_e64 s3, 0x43000000, v20
	v_cndmask_b32_e64 v21, v35, 0x7f, s4
	v_cmp_eq_f32_e64 s5, 0x43000000, v22
	s_delay_alu instid0(VALU_DEP_4) | instskip(NEXT) | instid1(VALU_DEP_3)
	v_fmaak_f32 v35, s7, v34, 0x3ab69700
	v_ldexp_f32 v21, 1.0, v21
	v_fmamk_f32 v24, v16, 0xbf317218, v2
	s_delay_alu instid0(VALU_DEP_3) | instskip(NEXT) | instid1(VALU_DEP_3)
	v_fmaak_f32 v35, v34, v35, 0x3c0887f9
	v_add_f32_e32 v45, -1.0, v21
	s_delay_alu instid0(VALU_DEP_2) | instskip(NEXT) | instid1(VALU_DEP_1)
	v_fmaak_f32 v35, v34, v35, 0x3d2aaa81
	v_fmaak_f32 v35, v34, v35, 0x3e2aaaab
	s_delay_alu instid0(VALU_DEP_1) | instskip(NEXT) | instid1(VALU_DEP_1)
	v_fma_f32 v35, v34, v35, 0.5
	v_dual_fmamk_f32 v38, v23, 0xbf317218, v15 :: v_dual_mul_f32 v35, v34, v35
	s_delay_alu instid0(VALU_DEP_1) | instskip(SKIP_1) | instid1(VALU_DEP_2)
	v_fmac_f32_e32 v38, 0x3102e308, v23
	v_cndmask_b32_e64 v23, v39, 0x7f, s6
	v_fmaak_f32 v39, s7, v38, 0x3ab69700
	s_delay_alu instid0(VALU_DEP_2) | instskip(NEXT) | instid1(VALU_DEP_2)
	v_ldexp_f32 v23, 1.0, v23
	v_fmaak_f32 v39, v38, v39, 0x3c0887f9
	s_delay_alu instid0(VALU_DEP_2) | instskip(NEXT) | instid1(VALU_DEP_2)
	v_add_f32_e32 v47, -1.0, v23
	v_fmaak_f32 v39, v38, v39, 0x3d2aaa81
	s_delay_alu instid0(VALU_DEP_1) | instskip(NEXT) | instid1(VALU_DEP_1)
	v_fmaak_f32 v39, v38, v39, 0x3e2aaaab
	v_fma_f32 v39, v38, v39, 0.5
	s_delay_alu instid0(VALU_DEP_1) | instskip(SKIP_1) | instid1(VALU_DEP_1)
	v_mul_f32_e32 v39, v38, v39
	v_fmac_f32_e32 v26, v26, v27
	v_dual_fmac_f32 v38, v38, v39 :: v_dual_fmac_f32 v41, v17, v26
	v_fmaak_f32 v31, v30, v31, 0x3c0887f9
	s_delay_alu instid0(VALU_DEP_2) | instskip(NEXT) | instid1(VALU_DEP_2)
	v_dual_fmac_f32 v47, v23, v38 :: v_dual_fmac_f32 v34, v34, v35
	v_fmaak_f32 v31, v30, v31, 0x3d2aaa81
	s_delay_alu instid0(VALU_DEP_4) | instskip(NEXT) | instid1(VALU_DEP_3)
	v_add_f32_e32 v17, v41, v41
	v_fmac_f32_e32 v45, v21, v34
	s_delay_alu instid0(VALU_DEP_3) | instskip(NEXT) | instid1(VALU_DEP_3)
	v_fmaak_f32 v31, v30, v31, 0x3e2aaaab
	v_cndmask_b32_e64 v17, v41, v17, s0
	s_delay_alu instid0(VALU_DEP_3) | instskip(NEXT) | instid1(VALU_DEP_3)
	v_add_f32_e32 v21, v45, v45
	v_fma_f32 v31, v30, v31, 0.5
	v_fmamk_f32 v32, v20, 0xbf317218, v10
	s_delay_alu instid0(VALU_DEP_3) | instskip(NEXT) | instid1(VALU_DEP_3)
	v_cndmask_b32_e64 v21, v45, v21, s4
	v_mul_f32_e32 v31, v30, v31
	s_delay_alu instid0(VALU_DEP_1) | instskip(NEXT) | instid1(VALU_DEP_4)
	v_fmac_f32_e32 v30, v30, v31
	v_fmac_f32_e32 v32, 0x3102e308, v20
	v_cndmask_b32_e64 v20, v33, 0x7f, s3
	s_delay_alu instid0(VALU_DEP_3) | instskip(NEXT) | instid1(VALU_DEP_3)
	v_fmac_f32_e32 v43, v19, v30
	v_fmaak_f32 v33, s7, v32, 0x3ab69700
	s_delay_alu instid0(VALU_DEP_3) | instskip(NEXT) | instid1(VALU_DEP_3)
	v_ldexp_f32 v20, 1.0, v20
	v_add_f32_e32 v19, v43, v43
	s_delay_alu instid0(VALU_DEP_2) | instskip(NEXT) | instid1(VALU_DEP_2)
	v_dual_fmaak_f32 v33, v32, v33, 0x3c0887f9 :: v_dual_add_f32 v44, -1.0, v20
	v_cndmask_b32_e64 v19, v43, v19, s2
	s_delay_alu instid0(VALU_DEP_2) | instskip(NEXT) | instid1(VALU_DEP_1)
	v_fmaak_f32 v33, v32, v33, 0x3d2aaa81
	v_fmaak_f32 v33, v32, v33, 0x3e2aaaab
	s_delay_alu instid0(VALU_DEP_1) | instskip(NEXT) | instid1(VALU_DEP_1)
	v_fma_f32 v33, v32, v33, 0.5
	v_dual_fmamk_f32 v36, v22, 0xbf317218, v13 :: v_dual_mul_f32 v33, v32, v33
	s_delay_alu instid0(VALU_DEP_1) | instskip(SKIP_1) | instid1(VALU_DEP_2)
	v_fmac_f32_e32 v36, 0x3102e308, v22
	v_cndmask_b32_e64 v22, v37, 0x7f, s5
	v_dual_fmac_f32 v32, v32, v33 :: v_dual_fmaak_f32 v37, s7, v36, 0x3ab69700
	s_delay_alu instid0(VALU_DEP_2) | instskip(NEXT) | instid1(VALU_DEP_2)
	v_ldexp_f32 v22, 1.0, v22
	v_fmac_f32_e32 v44, v20, v32
	s_delay_alu instid0(VALU_DEP_2) | instskip(NEXT) | instid1(VALU_DEP_2)
	v_dual_fmaak_f32 v37, v36, v37, 0x3c0887f9 :: v_dual_add_f32 v46, -1.0, v22
	v_add_f32_e32 v20, v44, v44
	s_delay_alu instid0(VALU_DEP_2) | instskip(NEXT) | instid1(VALU_DEP_2)
	v_fmaak_f32 v37, v36, v37, 0x3d2aaa81
	v_cndmask_b32_e64 v20, v44, v20, s3
	s_delay_alu instid0(VALU_DEP_2) | instskip(NEXT) | instid1(VALU_DEP_1)
	v_fmaak_f32 v37, v36, v37, 0x3e2aaaab
	v_fma_f32 v37, v36, v37, 0.5
	v_fmac_f32_e32 v24, 0x3102e308, v16
	v_cndmask_b32_e64 v16, v25, 0x7f, vcc_lo
	s_delay_alu instid0(VALU_DEP_3) | instskip(NEXT) | instid1(VALU_DEP_3)
	v_mul_f32_e32 v37, v36, v37
	v_fmaak_f32 v25, s7, v24, 0x3ab69700
	s_delay_alu instid0(VALU_DEP_3) | instskip(NEXT) | instid1(VALU_DEP_3)
	v_ldexp_f32 v16, 1.0, v16
	v_fmac_f32_e32 v36, v36, v37
	s_delay_alu instid0(VALU_DEP_2) | instskip(NEXT) | instid1(VALU_DEP_1)
	v_dual_fmaak_f32 v25, v24, v25, 0x3c0887f9 :: v_dual_add_f32 v40, -1.0, v16
	v_dual_fmac_f32 v46, v22, v36 :: v_dual_fmaak_f32 v25, v24, v25, 0x3d2aaa81
	s_delay_alu instid0(VALU_DEP_1) | instskip(NEXT) | instid1(VALU_DEP_1)
	v_dual_add_f32 v22, v46, v46 :: v_dual_fmaak_f32 v25, v24, v25, 0x3e2aaaab
	v_cndmask_b32_e64 v22, v46, v22, s5
	s_delay_alu instid0(VALU_DEP_2) | instskip(NEXT) | instid1(VALU_DEP_1)
	v_fma_f32 v25, v24, v25, 0.5
	v_dual_fmamk_f32 v28, v18, 0xbf317218, v6 :: v_dual_mul_f32 v25, v24, v25
	s_delay_alu instid0(VALU_DEP_1) | instskip(SKIP_1) | instid1(VALU_DEP_2)
	v_fmac_f32_e32 v28, 0x3102e308, v18
	v_cndmask_b32_e64 v18, v29, 0x7f, s1
	v_dual_fmac_f32 v24, v24, v25 :: v_dual_fmaak_f32 v29, s7, v28, 0x3ab69700
	s_delay_alu instid0(VALU_DEP_2) | instskip(NEXT) | instid1(VALU_DEP_2)
	v_ldexp_f32 v18, 1.0, v18
	v_fmac_f32_e32 v40, v16, v24
	s_delay_alu instid0(VALU_DEP_2) | instskip(NEXT) | instid1(VALU_DEP_2)
	v_dual_add_f32 v42, -1.0, v18 :: v_dual_fmaak_f32 v29, v28, v29, 0x3c0887f9
	v_add_f32_e32 v16, v40, v40
	s_delay_alu instid0(VALU_DEP_2) | instskip(NEXT) | instid1(VALU_DEP_2)
	v_fmaak_f32 v29, v28, v29, 0x3d2aaa81
	v_cndmask_b32_e32 v16, v40, v16, vcc_lo
	v_cmp_nlt_f32_e32 vcc_lo, 0x42b17217, v2
	v_add_f32_e32 v23, v47, v47
	s_delay_alu instid0(VALU_DEP_4) | instskip(NEXT) | instid1(VALU_DEP_4)
	v_fmaak_f32 v29, v28, v29, 0x3e2aaaab
	v_cndmask_b32_e32 v16, 0x7f800000, v16, vcc_lo
	v_cmp_nlt_f32_e32 vcc_lo, 0x42b17217, v4
	s_delay_alu instid0(VALU_DEP_3) | instskip(SKIP_2) | instid1(VALU_DEP_3)
	v_fma_f32 v29, v28, v29, 0.5
	v_cndmask_b32_e64 v23, v47, v23, s6
	v_cndmask_b32_e32 v17, 0x7f800000, v17, vcc_lo
	v_mul_f32_e32 v29, v28, v29
	v_cmp_nlt_f32_e32 vcc_lo, 0x42b17217, v6
	s_delay_alu instid0(VALU_DEP_2) | instskip(NEXT) | instid1(VALU_DEP_1)
	v_fmac_f32_e32 v28, v28, v29
	v_fmac_f32_e32 v42, v18, v28
	s_delay_alu instid0(VALU_DEP_1) | instskip(NEXT) | instid1(VALU_DEP_1)
	v_add_f32_e32 v18, v42, v42
	v_cndmask_b32_e64 v18, v42, v18, s1
	s_delay_alu instid0(VALU_DEP_1)
	v_cndmask_b32_e32 v18, 0x7f800000, v18, vcc_lo
	v_cmp_nlt_f32_e32 vcc_lo, 0x42b17217, v8
	v_cndmask_b32_e32 v19, 0x7f800000, v19, vcc_lo
	v_cmp_nlt_f32_e32 vcc_lo, 0x42b17217, v10
	;; [unrolled: 2-line block ×5, first 2 shown]
	v_cndmask_b32_e32 v23, 0x7f800000, v23, vcc_lo
	v_cmp_ngt_f32_e32 vcc_lo, 0xc1880000, v2
	v_cndmask_b32_e32 v2, -1.0, v16, vcc_lo
	v_cmp_ngt_f32_e32 vcc_lo, 0xc1880000, v4
	s_delay_alu instid0(VALU_DEP_2) | instskip(SKIP_2) | instid1(VALU_DEP_3)
	v_bfe_u32 v16, v2, 16, 1
	v_cndmask_b32_e32 v4, -1.0, v17, vcc_lo
	v_cmp_ngt_f32_e32 vcc_lo, 0xc1880000, v6
	v_add3_u32 v16, v2, v16, 0x7fff
	s_delay_alu instid0(VALU_DEP_3) | instskip(SKIP_2) | instid1(VALU_DEP_4)
	v_bfe_u32 v17, v4, 16, 1
	v_cndmask_b32_e32 v6, -1.0, v18, vcc_lo
	v_cmp_ngt_f32_e32 vcc_lo, 0xc1880000, v8
	v_lshrrev_b32_e32 v16, 16, v16
	s_delay_alu instid0(VALU_DEP_4) | instskip(NEXT) | instid1(VALU_DEP_4)
	v_add3_u32 v17, v4, v17, 0x7fff
	v_bfe_u32 v18, v6, 16, 1
	v_cndmask_b32_e32 v8, -1.0, v19, vcc_lo
	v_cmp_ngt_f32_e32 vcc_lo, 0xc1880000, v10
	s_delay_alu instid0(VALU_DEP_4) | instskip(NEXT) | instid1(VALU_DEP_4)
	v_lshrrev_b32_e32 v17, 16, v17
	v_add3_u32 v18, v6, v18, 0x7fff
	s_delay_alu instid0(VALU_DEP_4) | instskip(SKIP_2) | instid1(VALU_DEP_4)
	v_bfe_u32 v19, v8, 16, 1
	v_cndmask_b32_e32 v10, -1.0, v20, vcc_lo
	v_cmp_ngt_f32_e32 vcc_lo, 0xc1880000, v12
	v_lshrrev_b32_e32 v18, 16, v18
	s_delay_alu instid0(VALU_DEP_4) | instskip(NEXT) | instid1(VALU_DEP_4)
	v_add3_u32 v19, v8, v19, 0x7fff
	v_bfe_u32 v20, v10, 16, 1
	v_cndmask_b32_e32 v12, -1.0, v21, vcc_lo
	v_cmp_ngt_f32_e32 vcc_lo, 0xc1880000, v13
	s_delay_alu instid0(VALU_DEP_4) | instskip(NEXT) | instid1(VALU_DEP_4)
	v_lshrrev_b32_e32 v19, 16, v19
	v_add3_u32 v20, v10, v20, 0x7fff
	s_delay_alu instid0(VALU_DEP_4) | instskip(SKIP_2) | instid1(VALU_DEP_4)
	v_bfe_u32 v21, v12, 16, 1
	v_cndmask_b32_e32 v13, -1.0, v22, vcc_lo
	v_cmp_ngt_f32_e32 vcc_lo, 0xc1880000, v15
	v_lshrrev_b32_e32 v20, 16, v20
	s_delay_alu instid0(VALU_DEP_4) | instskip(NEXT) | instid1(VALU_DEP_4)
	v_add3_u32 v21, v12, v21, 0x7fff
	v_bfe_u32 v22, v13, 16, 1
	v_cndmask_b32_e32 v15, -1.0, v23, vcc_lo
	v_cmp_o_f32_e32 vcc_lo, v2, v2
	s_delay_alu instid0(VALU_DEP_4) | instskip(NEXT) | instid1(VALU_DEP_4)
	v_lshrrev_b32_e32 v21, 16, v21
	v_add3_u32 v22, v13, v22, 0x7fff
	s_delay_alu instid0(VALU_DEP_4) | instskip(SKIP_2) | instid1(VALU_DEP_4)
	v_bfe_u32 v23, v15, 16, 1
	v_cndmask_b32_e32 v2, 0x7fc0, v16, vcc_lo
	v_cmp_o_f32_e32 vcc_lo, v4, v4
	v_lshrrev_b32_e32 v22, 16, v22
	s_delay_alu instid0(VALU_DEP_4) | instskip(SKIP_2) | instid1(VALU_DEP_3)
	v_add3_u32 v23, v15, v23, 0x7fff
	v_cndmask_b32_e32 v4, 0x7fc0, v17, vcc_lo
	v_cmp_o_f32_e32 vcc_lo, v6, v6
	v_lshrrev_b32_e32 v23, 16, v23
	v_cndmask_b32_e32 v6, 0x7fc0, v18, vcc_lo
	v_cmp_o_f32_e32 vcc_lo, v8, v8
	v_cndmask_b32_e32 v8, 0x7fc0, v19, vcc_lo
	v_cmp_o_f32_e32 vcc_lo, v10, v10
	;; [unrolled: 2-line block ×5, first 2 shown]
	v_cndmask_b32_e32 v15, 0x7fc0, v23, vcc_lo
	s_clause 0x7
	global_store_b16 v0, v2, s[8:9]
	global_store_b16 v1, v4, s[8:9]
	;; [unrolled: 1-line block ×8, first 2 shown]
	s_nop 0
	s_sendmsg sendmsg(MSG_DEALLOC_VGPRS)
	s_endpgm
.LBB151_121:
	v_dual_mov_b32 v2, v11 :: v_dual_mov_b32 v1, 0
.LBB151_122:
	s_and_b32 s34, s34, 3
	s_delay_alu instid0(SALU_CYCLE_1)
	s_cmp_eq_u32 s34, 0
	s_cbranch_scc1 .LBB151_125
; %bb.123:
	s_lshl_b32 s18, s33, 3
	s_mul_i32 s20, s33, 12
	s_add_u32 s18, s18, s0
	s_addc_u32 s19, s1, 0
	s_add_u32 s18, s18, 0xc4
	s_addc_u32 s19, s19, 0
	;; [unrolled: 2-line block ×3, first 2 shown]
	.p2align	6
.LBB151_124:                            ; =>This Inner Loop Header: Depth=1
	s_clause 0x1
	s_load_b64 s[36:37], s[20:21], 0x4
	s_load_b32 s33, s[20:21], 0xc
	s_load_b64 s[38:39], s[18:19], 0x0
	s_add_u32 s20, s20, 12
	s_addc_u32 s21, s21, 0
	s_add_u32 s18, s18, 8
	s_addc_u32 s19, s19, 0
	s_add_i32 s34, s34, -1
	s_delay_alu instid0(SALU_CYCLE_1) | instskip(SKIP_2) | instid1(VALU_DEP_1)
	s_cmp_lg_u32 s34, 0
	s_waitcnt lgkmcnt(0)
	v_mul_hi_u32 v3, s37, v2
	v_add_nc_u32_e32 v3, v2, v3
	s_delay_alu instid0(VALU_DEP_1) | instskip(NEXT) | instid1(VALU_DEP_1)
	v_lshrrev_b32_e32 v6, s33, v3
	v_mul_lo_u32 v3, v6, s36
	s_delay_alu instid0(VALU_DEP_1) | instskip(NEXT) | instid1(VALU_DEP_1)
	v_sub_nc_u32_e32 v2, v2, v3
	v_mad_u64_u32 v[3:4], null, v2, s38, v[0:1]
	v_mad_u64_u32 v[4:5], null, v2, s39, v[1:2]
	v_mov_b32_e32 v2, v6
	s_delay_alu instid0(VALU_DEP_2)
	v_dual_mov_b32 v0, v3 :: v_dual_mov_b32 v1, v4
	s_cbranch_scc1 .LBB151_124
.LBB151_125:
	s_and_not1_b32 vcc_lo, exec_lo, s31
	s_cbranch_vccnz .LBB151_128
; %bb.126:
	s_waitcnt lgkmcnt(0)
	v_mul_hi_u32 v0, s13, v11
	s_and_not1_b32 vcc_lo, exec_lo, s26
	s_delay_alu instid0(VALU_DEP_1) | instskip(NEXT) | instid1(VALU_DEP_1)
	v_add_nc_u32_e32 v0, v11, v0
	v_lshrrev_b32_e32 v2, s14, v0
	s_delay_alu instid0(VALU_DEP_1) | instskip(NEXT) | instid1(VALU_DEP_1)
	v_mul_lo_u32 v0, v2, s12
	v_sub_nc_u32_e32 v1, v11, v0
	s_delay_alu instid0(VALU_DEP_1)
	v_mul_lo_u32 v0, v1, s8
	v_mul_lo_u32 v1, v1, s9
	s_cbranch_vccnz .LBB151_128
; %bb.127:
	v_mul_hi_u32 v3, s2, v2
	s_delay_alu instid0(VALU_DEP_1) | instskip(NEXT) | instid1(VALU_DEP_1)
	v_add_nc_u32_e32 v3, v2, v3
	v_lshrrev_b32_e32 v3, s3, v3
	s_delay_alu instid0(VALU_DEP_1) | instskip(NEXT) | instid1(VALU_DEP_1)
	v_mul_lo_u32 v3, v3, s15
	v_sub_nc_u32_e32 v5, v2, v3
	s_delay_alu instid0(VALU_DEP_1) | instskip(NEXT) | instid1(VALU_DEP_1)
	v_mad_u64_u32 v[2:3], null, v5, s10, v[0:1]
	v_mad_u64_u32 v[3:4], null, v5, s11, v[1:2]
	s_delay_alu instid0(VALU_DEP_1)
	v_dual_mov_b32 v0, v2 :: v_dual_mov_b32 v1, v3
.LBB151_128:
	s_waitcnt lgkmcnt(0)
	global_load_u16 v1, v1, s[6:7]
	s_mov_b32 s18, 0x395133b1
	v_add_nc_u32_e32 v11, 0x80, v11
	s_waitcnt vmcnt(0)
	v_lshlrev_b32_e32 v1, 16, v1
	s_delay_alu instid0(VALU_DEP_1) | instskip(NEXT) | instid1(VALU_DEP_1)
	v_mul_f32_e32 v2, 0x3fb8aa3b, v1
	v_rndne_f32_e32 v2, v2
	s_delay_alu instid0(VALU_DEP_1) | instskip(SKIP_2) | instid1(VALU_DEP_3)
	v_fmamk_f32 v3, v2, 0xbf317218, v1
	v_cvt_i32_f32_e32 v5, v2
	v_cmp_eq_f32_e32 vcc_lo, 0x43000000, v2
	v_fmamk_f32 v3, v2, 0x3102e308, v3
	s_delay_alu instid0(VALU_DEP_3) | instskip(NEXT) | instid1(VALU_DEP_2)
	v_cndmask_b32_e64 v2, v5, 0x7f, vcc_lo
	v_fmaak_f32 v4, s18, v3, 0x3ab69700
	s_delay_alu instid0(VALU_DEP_2) | instskip(NEXT) | instid1(VALU_DEP_2)
	v_ldexp_f32 v2, 1.0, v2
	v_fmaak_f32 v4, v3, v4, 0x3c0887f9
	s_delay_alu instid0(VALU_DEP_1) | instskip(NEXT) | instid1(VALU_DEP_1)
	v_fmaak_f32 v4, v3, v4, 0x3d2aaa81
	v_fmaak_f32 v4, v3, v4, 0x3e2aaaab
	s_delay_alu instid0(VALU_DEP_1) | instskip(NEXT) | instid1(VALU_DEP_1)
	v_fma_f32 v4, v3, v4, 0.5
	v_mul_f32_e32 v4, v3, v4
	s_delay_alu instid0(VALU_DEP_1) | instskip(NEXT) | instid1(VALU_DEP_1)
	v_dual_fmac_f32 v3, v3, v4 :: v_dual_add_f32 v4, -1.0, v2
	v_fmac_f32_e32 v4, v2, v3
	s_delay_alu instid0(VALU_DEP_1) | instskip(NEXT) | instid1(VALU_DEP_1)
	v_add_f32_e32 v2, v4, v4
	v_cndmask_b32_e32 v2, v4, v2, vcc_lo
	v_cmp_nlt_f32_e32 vcc_lo, 0x42b17217, v1
	s_delay_alu instid0(VALU_DEP_2) | instskip(SKIP_1) | instid1(VALU_DEP_2)
	v_cndmask_b32_e32 v2, 0x7f800000, v2, vcc_lo
	v_cmp_ngt_f32_e32 vcc_lo, 0xc1880000, v1
	v_cndmask_b32_e32 v1, -1.0, v2, vcc_lo
	s_delay_alu instid0(VALU_DEP_1) | instskip(SKIP_1) | instid1(VALU_DEP_2)
	v_bfe_u32 v2, v1, 16, 1
	v_cmp_o_f32_e32 vcc_lo, v1, v1
	v_add3_u32 v2, v1, v2, 0x7fff
	s_delay_alu instid0(VALU_DEP_1) | instskip(NEXT) | instid1(VALU_DEP_1)
	v_lshrrev_b32_e32 v2, 16, v2
	v_cndmask_b32_e32 v1, 0x7fc0, v2, vcc_lo
	global_store_b16 v0, v1, s[4:5]
	s_or_b32 exec_lo, exec_lo, s30
	s_delay_alu instid0(SALU_CYCLE_1)
	s_mov_b32 s30, exec_lo
	v_cmpx_gt_i32_e64 s27, v11
	s_cbranch_execnz .LBB151_15
.LBB151_129:
	s_or_b32 exec_lo, exec_lo, s30
	s_delay_alu instid0(SALU_CYCLE_1)
	s_mov_b32 s30, exec_lo
	v_cmpx_gt_i32_e64 s27, v11
	s_cbranch_execz .LBB151_144
.LBB151_130:
	s_and_not1_b32 vcc_lo, exec_lo, s24
	s_cbranch_vccnz .LBB151_135
; %bb.131:
	v_dual_mov_b32 v0, 0 :: v_dual_mov_b32 v1, 0
	s_and_not1_b32 vcc_lo, exec_lo, s29
	s_mov_b32 s31, 0
	s_cbranch_vccnz .LBB151_155
; %bb.132:
	v_mov_b32_e32 v0, 0
	s_add_i32 s34, s28, 1
	s_cmp_eq_u32 s23, 2
	s_mov_b32 s33, 0
	s_cbranch_scc1 .LBB151_151
; %bb.133:
	v_dual_mov_b32 v1, 0 :: v_dual_mov_b32 v0, 0
	v_mov_b32_e32 v2, v11
	s_and_b32 s33, s34, 28
	s_mov_b32 s35, 0
	s_mov_b64 s[18:19], s[16:17]
	s_mov_b64 s[20:21], s[0:1]
.LBB151_134:                            ; =>This Inner Loop Header: Depth=1
	s_clause 0x1
	s_load_b256 s[36:43], s[20:21], 0x4
	s_load_b128 s[52:55], s[20:21], 0x24
	s_load_b256 s[44:51], s[18:19], 0x0
	s_add_u32 s20, s20, 48
	s_addc_u32 s21, s21, 0
	s_add_i32 s35, s35, 4
	s_add_u32 s18, s18, 32
	s_addc_u32 s19, s19, 0
	s_cmp_eq_u32 s33, s35
	s_waitcnt lgkmcnt(0)
	v_mul_hi_u32 v3, s37, v2
	s_delay_alu instid0(VALU_DEP_1) | instskip(NEXT) | instid1(VALU_DEP_1)
	v_add_nc_u32_e32 v3, v2, v3
	v_lshrrev_b32_e32 v3, s38, v3
	s_delay_alu instid0(VALU_DEP_1) | instskip(SKIP_1) | instid1(VALU_DEP_2)
	v_mul_hi_u32 v4, s40, v3
	v_mul_lo_u32 v6, v3, s36
	v_add_nc_u32_e32 v4, v3, v4
	s_delay_alu instid0(VALU_DEP_2) | instskip(NEXT) | instid1(VALU_DEP_2)
	v_sub_nc_u32_e32 v2, v2, v6
	v_lshrrev_b32_e32 v4, s41, v4
	s_delay_alu instid0(VALU_DEP_2) | instskip(SKIP_1) | instid1(VALU_DEP_3)
	v_mul_lo_u32 v6, v2, s44
	v_mul_lo_u32 v8, v2, s45
	v_mul_hi_u32 v5, s43, v4
	s_delay_alu instid0(VALU_DEP_1) | instskip(NEXT) | instid1(VALU_DEP_1)
	v_add_nc_u32_e32 v5, v4, v5
	v_lshrrev_b32_e32 v5, s52, v5
	s_delay_alu instid0(VALU_DEP_1) | instskip(SKIP_1) | instid1(VALU_DEP_2)
	v_mul_hi_u32 v7, s54, v5
	v_mul_lo_u32 v9, v5, s42
	v_add_nc_u32_e32 v2, v5, v7
	v_mul_lo_u32 v7, v4, s39
	s_delay_alu instid0(VALU_DEP_3) | instskip(NEXT) | instid1(VALU_DEP_3)
	v_sub_nc_u32_e32 v4, v4, v9
	v_lshrrev_b32_e32 v2, s55, v2
	s_delay_alu instid0(VALU_DEP_2) | instskip(SKIP_2) | instid1(VALU_DEP_4)
	v_mul_lo_u32 v9, v4, s48
	v_mul_lo_u32 v4, v4, s49
	v_sub_nc_u32_e32 v3, v3, v7
	v_mul_lo_u32 v10, v2, s53
	s_delay_alu instid0(VALU_DEP_2) | instskip(SKIP_1) | instid1(VALU_DEP_3)
	v_mul_lo_u32 v7, v3, s46
	v_mul_lo_u32 v3, v3, s47
	v_sub_nc_u32_e32 v5, v5, v10
	s_delay_alu instid0(VALU_DEP_3) | instskip(NEXT) | instid1(VALU_DEP_2)
	v_add3_u32 v0, v6, v0, v7
	v_mul_lo_u32 v10, v5, s50
	v_mul_lo_u32 v5, v5, s51
	v_add3_u32 v1, v8, v1, v3
	s_delay_alu instid0(VALU_DEP_3) | instskip(NEXT) | instid1(VALU_DEP_2)
	v_add3_u32 v0, v9, v0, v10
	v_add3_u32 v1, v4, v1, v5
	s_cbranch_scc0 .LBB151_134
	s_branch .LBB151_152
.LBB151_135:
	s_mov_b32 s31, -1
                                        ; implicit-def: $vgpr0
                                        ; implicit-def: $vgpr1
	s_branch .LBB151_155
.LBB151_136:
	v_dual_mov_b32 v2, v11 :: v_dual_mov_b32 v1, 0
.LBB151_137:
	s_and_b32 s34, s34, 3
	s_delay_alu instid0(SALU_CYCLE_1)
	s_cmp_eq_u32 s34, 0
	s_cbranch_scc1 .LBB151_140
; %bb.138:
	s_lshl_b32 s18, s33, 3
	s_mul_i32 s20, s33, 12
	s_add_u32 s18, s18, s0
	s_addc_u32 s19, s1, 0
	s_add_u32 s18, s18, 0xc4
	s_addc_u32 s19, s19, 0
	;; [unrolled: 2-line block ×3, first 2 shown]
	.p2align	6
.LBB151_139:                            ; =>This Inner Loop Header: Depth=1
	s_clause 0x1
	s_load_b64 s[36:37], s[20:21], 0x4
	s_load_b32 s33, s[20:21], 0xc
	s_load_b64 s[38:39], s[18:19], 0x0
	s_add_u32 s20, s20, 12
	s_addc_u32 s21, s21, 0
	s_add_u32 s18, s18, 8
	s_addc_u32 s19, s19, 0
	s_add_i32 s34, s34, -1
	s_delay_alu instid0(SALU_CYCLE_1) | instskip(SKIP_2) | instid1(VALU_DEP_1)
	s_cmp_lg_u32 s34, 0
	s_waitcnt lgkmcnt(0)
	v_mul_hi_u32 v3, s37, v2
	v_add_nc_u32_e32 v3, v2, v3
	s_delay_alu instid0(VALU_DEP_1) | instskip(NEXT) | instid1(VALU_DEP_1)
	v_lshrrev_b32_e32 v6, s33, v3
	v_mul_lo_u32 v3, v6, s36
	s_delay_alu instid0(VALU_DEP_1) | instskip(NEXT) | instid1(VALU_DEP_1)
	v_sub_nc_u32_e32 v2, v2, v3
	v_mad_u64_u32 v[3:4], null, v2, s38, v[0:1]
	v_mad_u64_u32 v[4:5], null, v2, s39, v[1:2]
	v_mov_b32_e32 v2, v6
	s_delay_alu instid0(VALU_DEP_2)
	v_dual_mov_b32 v0, v3 :: v_dual_mov_b32 v1, v4
	s_cbranch_scc1 .LBB151_139
.LBB151_140:
	s_and_not1_b32 vcc_lo, exec_lo, s31
	s_cbranch_vccnz .LBB151_143
; %bb.141:
	s_waitcnt lgkmcnt(0)
	v_mul_hi_u32 v0, s13, v11
	s_and_not1_b32 vcc_lo, exec_lo, s26
	s_delay_alu instid0(VALU_DEP_1) | instskip(NEXT) | instid1(VALU_DEP_1)
	v_add_nc_u32_e32 v0, v11, v0
	v_lshrrev_b32_e32 v2, s14, v0
	s_delay_alu instid0(VALU_DEP_1) | instskip(NEXT) | instid1(VALU_DEP_1)
	v_mul_lo_u32 v0, v2, s12
	v_sub_nc_u32_e32 v1, v11, v0
	s_delay_alu instid0(VALU_DEP_1)
	v_mul_lo_u32 v0, v1, s8
	v_mul_lo_u32 v1, v1, s9
	s_cbranch_vccnz .LBB151_143
; %bb.142:
	v_mul_hi_u32 v3, s2, v2
	s_delay_alu instid0(VALU_DEP_1) | instskip(NEXT) | instid1(VALU_DEP_1)
	v_add_nc_u32_e32 v3, v2, v3
	v_lshrrev_b32_e32 v3, s3, v3
	s_delay_alu instid0(VALU_DEP_1) | instskip(NEXT) | instid1(VALU_DEP_1)
	v_mul_lo_u32 v3, v3, s15
	v_sub_nc_u32_e32 v5, v2, v3
	s_delay_alu instid0(VALU_DEP_1) | instskip(NEXT) | instid1(VALU_DEP_1)
	v_mad_u64_u32 v[2:3], null, v5, s10, v[0:1]
	v_mad_u64_u32 v[3:4], null, v5, s11, v[1:2]
	s_delay_alu instid0(VALU_DEP_1)
	v_dual_mov_b32 v0, v2 :: v_dual_mov_b32 v1, v3
.LBB151_143:
	s_waitcnt lgkmcnt(0)
	global_load_u16 v1, v1, s[6:7]
	s_mov_b32 s18, 0x395133b1
	v_add_nc_u32_e32 v11, 0x80, v11
	s_waitcnt vmcnt(0)
	v_lshlrev_b32_e32 v1, 16, v1
	s_delay_alu instid0(VALU_DEP_1) | instskip(NEXT) | instid1(VALU_DEP_1)
	v_mul_f32_e32 v2, 0x3fb8aa3b, v1
	v_rndne_f32_e32 v2, v2
	s_delay_alu instid0(VALU_DEP_1) | instskip(SKIP_2) | instid1(VALU_DEP_3)
	v_fmamk_f32 v3, v2, 0xbf317218, v1
	v_cvt_i32_f32_e32 v5, v2
	v_cmp_eq_f32_e32 vcc_lo, 0x43000000, v2
	v_fmamk_f32 v3, v2, 0x3102e308, v3
	s_delay_alu instid0(VALU_DEP_3) | instskip(NEXT) | instid1(VALU_DEP_2)
	v_cndmask_b32_e64 v2, v5, 0x7f, vcc_lo
	v_fmaak_f32 v4, s18, v3, 0x3ab69700
	s_delay_alu instid0(VALU_DEP_2) | instskip(NEXT) | instid1(VALU_DEP_2)
	v_ldexp_f32 v2, 1.0, v2
	v_fmaak_f32 v4, v3, v4, 0x3c0887f9
	s_delay_alu instid0(VALU_DEP_1) | instskip(NEXT) | instid1(VALU_DEP_1)
	v_fmaak_f32 v4, v3, v4, 0x3d2aaa81
	v_fmaak_f32 v4, v3, v4, 0x3e2aaaab
	s_delay_alu instid0(VALU_DEP_1) | instskip(NEXT) | instid1(VALU_DEP_1)
	v_fma_f32 v4, v3, v4, 0.5
	v_mul_f32_e32 v4, v3, v4
	s_delay_alu instid0(VALU_DEP_1) | instskip(NEXT) | instid1(VALU_DEP_1)
	v_dual_fmac_f32 v3, v3, v4 :: v_dual_add_f32 v4, -1.0, v2
	v_fmac_f32_e32 v4, v2, v3
	s_delay_alu instid0(VALU_DEP_1) | instskip(NEXT) | instid1(VALU_DEP_1)
	v_add_f32_e32 v2, v4, v4
	v_cndmask_b32_e32 v2, v4, v2, vcc_lo
	v_cmp_nlt_f32_e32 vcc_lo, 0x42b17217, v1
	s_delay_alu instid0(VALU_DEP_2) | instskip(SKIP_1) | instid1(VALU_DEP_2)
	v_cndmask_b32_e32 v2, 0x7f800000, v2, vcc_lo
	v_cmp_ngt_f32_e32 vcc_lo, 0xc1880000, v1
	v_cndmask_b32_e32 v1, -1.0, v2, vcc_lo
	s_delay_alu instid0(VALU_DEP_1) | instskip(SKIP_1) | instid1(VALU_DEP_2)
	v_bfe_u32 v2, v1, 16, 1
	v_cmp_o_f32_e32 vcc_lo, v1, v1
	v_add3_u32 v2, v1, v2, 0x7fff
	s_delay_alu instid0(VALU_DEP_1) | instskip(NEXT) | instid1(VALU_DEP_1)
	v_lshrrev_b32_e32 v2, 16, v2
	v_cndmask_b32_e32 v1, 0x7fc0, v2, vcc_lo
	global_store_b16 v0, v1, s[4:5]
	s_or_b32 exec_lo, exec_lo, s30
	s_delay_alu instid0(SALU_CYCLE_1)
	s_mov_b32 s30, exec_lo
	v_cmpx_gt_i32_e64 s27, v11
	s_cbranch_execnz .LBB151_130
.LBB151_144:
	s_or_b32 exec_lo, exec_lo, s30
	s_delay_alu instid0(SALU_CYCLE_1)
	s_mov_b32 s30, exec_lo
	v_cmpx_gt_i32_e64 s27, v11
	s_cbranch_execz .LBB151_159
.LBB151_145:
	s_and_not1_b32 vcc_lo, exec_lo, s24
	s_cbranch_vccnz .LBB151_150
; %bb.146:
	v_dual_mov_b32 v0, 0 :: v_dual_mov_b32 v1, 0
	s_and_not1_b32 vcc_lo, exec_lo, s29
	s_mov_b32 s31, 0
	s_cbranch_vccnz .LBB151_170
; %bb.147:
	v_mov_b32_e32 v0, 0
	s_add_i32 s34, s28, 1
	s_cmp_eq_u32 s23, 2
	s_mov_b32 s33, 0
	s_cbranch_scc1 .LBB151_166
; %bb.148:
	v_dual_mov_b32 v1, 0 :: v_dual_mov_b32 v0, 0
	v_mov_b32_e32 v2, v11
	s_and_b32 s33, s34, 28
	s_mov_b32 s35, 0
	s_mov_b64 s[18:19], s[16:17]
	s_mov_b64 s[20:21], s[0:1]
.LBB151_149:                            ; =>This Inner Loop Header: Depth=1
	s_clause 0x1
	s_load_b256 s[36:43], s[20:21], 0x4
	s_load_b128 s[52:55], s[20:21], 0x24
	s_load_b256 s[44:51], s[18:19], 0x0
	s_add_u32 s20, s20, 48
	s_addc_u32 s21, s21, 0
	s_add_i32 s35, s35, 4
	s_add_u32 s18, s18, 32
	s_addc_u32 s19, s19, 0
	s_cmp_eq_u32 s33, s35
	s_waitcnt lgkmcnt(0)
	v_mul_hi_u32 v3, s37, v2
	s_delay_alu instid0(VALU_DEP_1) | instskip(NEXT) | instid1(VALU_DEP_1)
	v_add_nc_u32_e32 v3, v2, v3
	v_lshrrev_b32_e32 v3, s38, v3
	s_delay_alu instid0(VALU_DEP_1) | instskip(SKIP_1) | instid1(VALU_DEP_2)
	v_mul_hi_u32 v4, s40, v3
	v_mul_lo_u32 v6, v3, s36
	v_add_nc_u32_e32 v4, v3, v4
	s_delay_alu instid0(VALU_DEP_2) | instskip(NEXT) | instid1(VALU_DEP_2)
	v_sub_nc_u32_e32 v2, v2, v6
	v_lshrrev_b32_e32 v4, s41, v4
	s_delay_alu instid0(VALU_DEP_2) | instskip(SKIP_1) | instid1(VALU_DEP_3)
	v_mul_lo_u32 v6, v2, s44
	v_mul_lo_u32 v8, v2, s45
	v_mul_hi_u32 v5, s43, v4
	s_delay_alu instid0(VALU_DEP_1) | instskip(NEXT) | instid1(VALU_DEP_1)
	v_add_nc_u32_e32 v5, v4, v5
	v_lshrrev_b32_e32 v5, s52, v5
	s_delay_alu instid0(VALU_DEP_1) | instskip(SKIP_1) | instid1(VALU_DEP_2)
	v_mul_hi_u32 v7, s54, v5
	v_mul_lo_u32 v9, v5, s42
	v_add_nc_u32_e32 v2, v5, v7
	v_mul_lo_u32 v7, v4, s39
	s_delay_alu instid0(VALU_DEP_3) | instskip(NEXT) | instid1(VALU_DEP_3)
	v_sub_nc_u32_e32 v4, v4, v9
	v_lshrrev_b32_e32 v2, s55, v2
	s_delay_alu instid0(VALU_DEP_2) | instskip(SKIP_2) | instid1(VALU_DEP_4)
	v_mul_lo_u32 v9, v4, s48
	v_mul_lo_u32 v4, v4, s49
	v_sub_nc_u32_e32 v3, v3, v7
	v_mul_lo_u32 v10, v2, s53
	s_delay_alu instid0(VALU_DEP_2) | instskip(SKIP_1) | instid1(VALU_DEP_3)
	v_mul_lo_u32 v7, v3, s46
	v_mul_lo_u32 v3, v3, s47
	v_sub_nc_u32_e32 v5, v5, v10
	s_delay_alu instid0(VALU_DEP_3) | instskip(NEXT) | instid1(VALU_DEP_2)
	v_add3_u32 v0, v6, v0, v7
	v_mul_lo_u32 v10, v5, s50
	v_mul_lo_u32 v5, v5, s51
	v_add3_u32 v1, v8, v1, v3
	s_delay_alu instid0(VALU_DEP_3) | instskip(NEXT) | instid1(VALU_DEP_2)
	v_add3_u32 v0, v9, v0, v10
	v_add3_u32 v1, v4, v1, v5
	s_cbranch_scc0 .LBB151_149
	s_branch .LBB151_167
.LBB151_150:
	s_mov_b32 s31, -1
                                        ; implicit-def: $vgpr0
                                        ; implicit-def: $vgpr1
	s_branch .LBB151_170
.LBB151_151:
	v_dual_mov_b32 v2, v11 :: v_dual_mov_b32 v1, 0
.LBB151_152:
	s_and_b32 s34, s34, 3
	s_delay_alu instid0(SALU_CYCLE_1)
	s_cmp_eq_u32 s34, 0
	s_cbranch_scc1 .LBB151_155
; %bb.153:
	s_lshl_b32 s18, s33, 3
	s_mul_i32 s20, s33, 12
	s_add_u32 s18, s18, s0
	s_addc_u32 s19, s1, 0
	s_add_u32 s18, s18, 0xc4
	s_addc_u32 s19, s19, 0
	;; [unrolled: 2-line block ×3, first 2 shown]
	.p2align	6
.LBB151_154:                            ; =>This Inner Loop Header: Depth=1
	s_clause 0x1
	s_load_b64 s[36:37], s[20:21], 0x4
	s_load_b32 s33, s[20:21], 0xc
	s_load_b64 s[38:39], s[18:19], 0x0
	s_add_u32 s20, s20, 12
	s_addc_u32 s21, s21, 0
	s_add_u32 s18, s18, 8
	s_addc_u32 s19, s19, 0
	s_add_i32 s34, s34, -1
	s_delay_alu instid0(SALU_CYCLE_1) | instskip(SKIP_2) | instid1(VALU_DEP_1)
	s_cmp_lg_u32 s34, 0
	s_waitcnt lgkmcnt(0)
	v_mul_hi_u32 v3, s37, v2
	v_add_nc_u32_e32 v3, v2, v3
	s_delay_alu instid0(VALU_DEP_1) | instskip(NEXT) | instid1(VALU_DEP_1)
	v_lshrrev_b32_e32 v6, s33, v3
	v_mul_lo_u32 v3, v6, s36
	s_delay_alu instid0(VALU_DEP_1) | instskip(NEXT) | instid1(VALU_DEP_1)
	v_sub_nc_u32_e32 v2, v2, v3
	v_mad_u64_u32 v[3:4], null, v2, s38, v[0:1]
	v_mad_u64_u32 v[4:5], null, v2, s39, v[1:2]
	v_mov_b32_e32 v2, v6
	s_delay_alu instid0(VALU_DEP_2)
	v_dual_mov_b32 v0, v3 :: v_dual_mov_b32 v1, v4
	s_cbranch_scc1 .LBB151_154
.LBB151_155:
	s_and_not1_b32 vcc_lo, exec_lo, s31
	s_cbranch_vccnz .LBB151_158
; %bb.156:
	s_waitcnt lgkmcnt(0)
	v_mul_hi_u32 v0, s13, v11
	s_and_not1_b32 vcc_lo, exec_lo, s26
	s_delay_alu instid0(VALU_DEP_1) | instskip(NEXT) | instid1(VALU_DEP_1)
	v_add_nc_u32_e32 v0, v11, v0
	v_lshrrev_b32_e32 v2, s14, v0
	s_delay_alu instid0(VALU_DEP_1) | instskip(NEXT) | instid1(VALU_DEP_1)
	v_mul_lo_u32 v0, v2, s12
	v_sub_nc_u32_e32 v1, v11, v0
	s_delay_alu instid0(VALU_DEP_1)
	v_mul_lo_u32 v0, v1, s8
	v_mul_lo_u32 v1, v1, s9
	s_cbranch_vccnz .LBB151_158
; %bb.157:
	v_mul_hi_u32 v3, s2, v2
	s_delay_alu instid0(VALU_DEP_1) | instskip(NEXT) | instid1(VALU_DEP_1)
	v_add_nc_u32_e32 v3, v2, v3
	v_lshrrev_b32_e32 v3, s3, v3
	s_delay_alu instid0(VALU_DEP_1) | instskip(NEXT) | instid1(VALU_DEP_1)
	v_mul_lo_u32 v3, v3, s15
	v_sub_nc_u32_e32 v5, v2, v3
	s_delay_alu instid0(VALU_DEP_1) | instskip(NEXT) | instid1(VALU_DEP_1)
	v_mad_u64_u32 v[2:3], null, v5, s10, v[0:1]
	v_mad_u64_u32 v[3:4], null, v5, s11, v[1:2]
	s_delay_alu instid0(VALU_DEP_1)
	v_dual_mov_b32 v0, v2 :: v_dual_mov_b32 v1, v3
.LBB151_158:
	s_waitcnt lgkmcnt(0)
	global_load_u16 v1, v1, s[6:7]
	s_mov_b32 s18, 0x395133b1
	v_add_nc_u32_e32 v11, 0x80, v11
	s_waitcnt vmcnt(0)
	v_lshlrev_b32_e32 v1, 16, v1
	s_delay_alu instid0(VALU_DEP_1) | instskip(NEXT) | instid1(VALU_DEP_1)
	v_mul_f32_e32 v2, 0x3fb8aa3b, v1
	v_rndne_f32_e32 v2, v2
	s_delay_alu instid0(VALU_DEP_1) | instskip(SKIP_2) | instid1(VALU_DEP_3)
	v_fmamk_f32 v3, v2, 0xbf317218, v1
	v_cvt_i32_f32_e32 v5, v2
	v_cmp_eq_f32_e32 vcc_lo, 0x43000000, v2
	v_fmamk_f32 v3, v2, 0x3102e308, v3
	s_delay_alu instid0(VALU_DEP_3) | instskip(NEXT) | instid1(VALU_DEP_2)
	v_cndmask_b32_e64 v2, v5, 0x7f, vcc_lo
	v_fmaak_f32 v4, s18, v3, 0x3ab69700
	s_delay_alu instid0(VALU_DEP_2) | instskip(NEXT) | instid1(VALU_DEP_2)
	v_ldexp_f32 v2, 1.0, v2
	v_fmaak_f32 v4, v3, v4, 0x3c0887f9
	s_delay_alu instid0(VALU_DEP_1) | instskip(NEXT) | instid1(VALU_DEP_1)
	v_fmaak_f32 v4, v3, v4, 0x3d2aaa81
	v_fmaak_f32 v4, v3, v4, 0x3e2aaaab
	s_delay_alu instid0(VALU_DEP_1) | instskip(NEXT) | instid1(VALU_DEP_1)
	v_fma_f32 v4, v3, v4, 0.5
	v_mul_f32_e32 v4, v3, v4
	s_delay_alu instid0(VALU_DEP_1) | instskip(NEXT) | instid1(VALU_DEP_1)
	v_dual_fmac_f32 v3, v3, v4 :: v_dual_add_f32 v4, -1.0, v2
	v_fmac_f32_e32 v4, v2, v3
	s_delay_alu instid0(VALU_DEP_1) | instskip(NEXT) | instid1(VALU_DEP_1)
	v_add_f32_e32 v2, v4, v4
	v_cndmask_b32_e32 v2, v4, v2, vcc_lo
	v_cmp_nlt_f32_e32 vcc_lo, 0x42b17217, v1
	s_delay_alu instid0(VALU_DEP_2) | instskip(SKIP_1) | instid1(VALU_DEP_2)
	v_cndmask_b32_e32 v2, 0x7f800000, v2, vcc_lo
	v_cmp_ngt_f32_e32 vcc_lo, 0xc1880000, v1
	v_cndmask_b32_e32 v1, -1.0, v2, vcc_lo
	s_delay_alu instid0(VALU_DEP_1) | instskip(SKIP_1) | instid1(VALU_DEP_2)
	v_bfe_u32 v2, v1, 16, 1
	v_cmp_o_f32_e32 vcc_lo, v1, v1
	v_add3_u32 v2, v1, v2, 0x7fff
	s_delay_alu instid0(VALU_DEP_1) | instskip(NEXT) | instid1(VALU_DEP_1)
	v_lshrrev_b32_e32 v2, 16, v2
	v_cndmask_b32_e32 v1, 0x7fc0, v2, vcc_lo
	global_store_b16 v0, v1, s[4:5]
	s_or_b32 exec_lo, exec_lo, s30
	s_delay_alu instid0(SALU_CYCLE_1)
	s_mov_b32 s30, exec_lo
	v_cmpx_gt_i32_e64 s27, v11
	s_cbranch_execnz .LBB151_145
.LBB151_159:
	s_or_b32 exec_lo, exec_lo, s30
	s_delay_alu instid0(SALU_CYCLE_1)
	s_mov_b32 s30, exec_lo
	v_cmpx_gt_i32_e64 s27, v11
	s_cbranch_execz .LBB151_174
.LBB151_160:
	s_and_not1_b32 vcc_lo, exec_lo, s24
	s_cbranch_vccnz .LBB151_165
; %bb.161:
	v_dual_mov_b32 v0, 0 :: v_dual_mov_b32 v1, 0
	s_and_not1_b32 vcc_lo, exec_lo, s29
	s_mov_b32 s31, 0
	s_cbranch_vccnz .LBB151_185
; %bb.162:
	v_mov_b32_e32 v0, 0
	s_add_i32 s34, s28, 1
	s_cmp_eq_u32 s23, 2
	s_mov_b32 s33, 0
	s_cbranch_scc1 .LBB151_181
; %bb.163:
	v_dual_mov_b32 v1, 0 :: v_dual_mov_b32 v0, 0
	v_mov_b32_e32 v2, v11
	s_and_b32 s33, s34, 28
	s_mov_b32 s35, 0
	s_mov_b64 s[18:19], s[16:17]
	s_mov_b64 s[20:21], s[0:1]
.LBB151_164:                            ; =>This Inner Loop Header: Depth=1
	s_clause 0x1
	s_load_b256 s[36:43], s[20:21], 0x4
	s_load_b128 s[52:55], s[20:21], 0x24
	s_load_b256 s[44:51], s[18:19], 0x0
	s_add_u32 s20, s20, 48
	s_addc_u32 s21, s21, 0
	s_add_i32 s35, s35, 4
	s_add_u32 s18, s18, 32
	s_addc_u32 s19, s19, 0
	s_cmp_eq_u32 s33, s35
	s_waitcnt lgkmcnt(0)
	v_mul_hi_u32 v3, s37, v2
	s_delay_alu instid0(VALU_DEP_1) | instskip(NEXT) | instid1(VALU_DEP_1)
	v_add_nc_u32_e32 v3, v2, v3
	v_lshrrev_b32_e32 v3, s38, v3
	s_delay_alu instid0(VALU_DEP_1) | instskip(SKIP_1) | instid1(VALU_DEP_2)
	v_mul_hi_u32 v4, s40, v3
	v_mul_lo_u32 v6, v3, s36
	v_add_nc_u32_e32 v4, v3, v4
	s_delay_alu instid0(VALU_DEP_2) | instskip(NEXT) | instid1(VALU_DEP_2)
	v_sub_nc_u32_e32 v2, v2, v6
	v_lshrrev_b32_e32 v4, s41, v4
	s_delay_alu instid0(VALU_DEP_2) | instskip(SKIP_1) | instid1(VALU_DEP_3)
	v_mul_lo_u32 v6, v2, s44
	v_mul_lo_u32 v8, v2, s45
	v_mul_hi_u32 v5, s43, v4
	s_delay_alu instid0(VALU_DEP_1) | instskip(NEXT) | instid1(VALU_DEP_1)
	v_add_nc_u32_e32 v5, v4, v5
	v_lshrrev_b32_e32 v5, s52, v5
	s_delay_alu instid0(VALU_DEP_1) | instskip(SKIP_1) | instid1(VALU_DEP_2)
	v_mul_hi_u32 v7, s54, v5
	v_mul_lo_u32 v9, v5, s42
	v_add_nc_u32_e32 v2, v5, v7
	v_mul_lo_u32 v7, v4, s39
	s_delay_alu instid0(VALU_DEP_3) | instskip(NEXT) | instid1(VALU_DEP_3)
	v_sub_nc_u32_e32 v4, v4, v9
	v_lshrrev_b32_e32 v2, s55, v2
	s_delay_alu instid0(VALU_DEP_2) | instskip(SKIP_2) | instid1(VALU_DEP_4)
	v_mul_lo_u32 v9, v4, s48
	v_mul_lo_u32 v4, v4, s49
	v_sub_nc_u32_e32 v3, v3, v7
	v_mul_lo_u32 v10, v2, s53
	s_delay_alu instid0(VALU_DEP_2) | instskip(SKIP_1) | instid1(VALU_DEP_3)
	v_mul_lo_u32 v7, v3, s46
	v_mul_lo_u32 v3, v3, s47
	v_sub_nc_u32_e32 v5, v5, v10
	s_delay_alu instid0(VALU_DEP_3) | instskip(NEXT) | instid1(VALU_DEP_2)
	v_add3_u32 v0, v6, v0, v7
	v_mul_lo_u32 v10, v5, s50
	v_mul_lo_u32 v5, v5, s51
	v_add3_u32 v1, v8, v1, v3
	s_delay_alu instid0(VALU_DEP_3) | instskip(NEXT) | instid1(VALU_DEP_2)
	v_add3_u32 v0, v9, v0, v10
	v_add3_u32 v1, v4, v1, v5
	s_cbranch_scc0 .LBB151_164
	s_branch .LBB151_182
.LBB151_165:
	s_mov_b32 s31, -1
                                        ; implicit-def: $vgpr0
                                        ; implicit-def: $vgpr1
	s_branch .LBB151_185
.LBB151_166:
	v_dual_mov_b32 v2, v11 :: v_dual_mov_b32 v1, 0
.LBB151_167:
	s_and_b32 s34, s34, 3
	s_delay_alu instid0(SALU_CYCLE_1)
	s_cmp_eq_u32 s34, 0
	s_cbranch_scc1 .LBB151_170
; %bb.168:
	s_lshl_b32 s18, s33, 3
	s_mul_i32 s20, s33, 12
	s_add_u32 s18, s18, s0
	s_addc_u32 s19, s1, 0
	s_add_u32 s18, s18, 0xc4
	s_addc_u32 s19, s19, 0
	;; [unrolled: 2-line block ×3, first 2 shown]
	.p2align	6
.LBB151_169:                            ; =>This Inner Loop Header: Depth=1
	s_clause 0x1
	s_load_b64 s[36:37], s[20:21], 0x4
	s_load_b32 s33, s[20:21], 0xc
	s_load_b64 s[38:39], s[18:19], 0x0
	s_add_u32 s20, s20, 12
	s_addc_u32 s21, s21, 0
	s_add_u32 s18, s18, 8
	s_addc_u32 s19, s19, 0
	s_add_i32 s34, s34, -1
	s_delay_alu instid0(SALU_CYCLE_1) | instskip(SKIP_2) | instid1(VALU_DEP_1)
	s_cmp_lg_u32 s34, 0
	s_waitcnt lgkmcnt(0)
	v_mul_hi_u32 v3, s37, v2
	v_add_nc_u32_e32 v3, v2, v3
	s_delay_alu instid0(VALU_DEP_1) | instskip(NEXT) | instid1(VALU_DEP_1)
	v_lshrrev_b32_e32 v6, s33, v3
	v_mul_lo_u32 v3, v6, s36
	s_delay_alu instid0(VALU_DEP_1) | instskip(NEXT) | instid1(VALU_DEP_1)
	v_sub_nc_u32_e32 v2, v2, v3
	v_mad_u64_u32 v[3:4], null, v2, s38, v[0:1]
	v_mad_u64_u32 v[4:5], null, v2, s39, v[1:2]
	v_mov_b32_e32 v2, v6
	s_delay_alu instid0(VALU_DEP_2)
	v_dual_mov_b32 v0, v3 :: v_dual_mov_b32 v1, v4
	s_cbranch_scc1 .LBB151_169
.LBB151_170:
	s_and_not1_b32 vcc_lo, exec_lo, s31
	s_cbranch_vccnz .LBB151_173
; %bb.171:
	s_waitcnt lgkmcnt(0)
	v_mul_hi_u32 v0, s13, v11
	s_and_not1_b32 vcc_lo, exec_lo, s26
	s_delay_alu instid0(VALU_DEP_1) | instskip(NEXT) | instid1(VALU_DEP_1)
	v_add_nc_u32_e32 v0, v11, v0
	v_lshrrev_b32_e32 v2, s14, v0
	s_delay_alu instid0(VALU_DEP_1) | instskip(NEXT) | instid1(VALU_DEP_1)
	v_mul_lo_u32 v0, v2, s12
	v_sub_nc_u32_e32 v1, v11, v0
	s_delay_alu instid0(VALU_DEP_1)
	v_mul_lo_u32 v0, v1, s8
	v_mul_lo_u32 v1, v1, s9
	s_cbranch_vccnz .LBB151_173
; %bb.172:
	v_mul_hi_u32 v3, s2, v2
	s_delay_alu instid0(VALU_DEP_1) | instskip(NEXT) | instid1(VALU_DEP_1)
	v_add_nc_u32_e32 v3, v2, v3
	v_lshrrev_b32_e32 v3, s3, v3
	s_delay_alu instid0(VALU_DEP_1) | instskip(NEXT) | instid1(VALU_DEP_1)
	v_mul_lo_u32 v3, v3, s15
	v_sub_nc_u32_e32 v5, v2, v3
	s_delay_alu instid0(VALU_DEP_1) | instskip(NEXT) | instid1(VALU_DEP_1)
	v_mad_u64_u32 v[2:3], null, v5, s10, v[0:1]
	v_mad_u64_u32 v[3:4], null, v5, s11, v[1:2]
	s_delay_alu instid0(VALU_DEP_1)
	v_dual_mov_b32 v0, v2 :: v_dual_mov_b32 v1, v3
.LBB151_173:
	s_waitcnt lgkmcnt(0)
	global_load_u16 v1, v1, s[6:7]
	s_mov_b32 s18, 0x395133b1
	v_add_nc_u32_e32 v11, 0x80, v11
	s_waitcnt vmcnt(0)
	v_lshlrev_b32_e32 v1, 16, v1
	s_delay_alu instid0(VALU_DEP_1) | instskip(NEXT) | instid1(VALU_DEP_1)
	v_mul_f32_e32 v2, 0x3fb8aa3b, v1
	v_rndne_f32_e32 v2, v2
	s_delay_alu instid0(VALU_DEP_1) | instskip(SKIP_2) | instid1(VALU_DEP_3)
	v_fmamk_f32 v3, v2, 0xbf317218, v1
	v_cvt_i32_f32_e32 v5, v2
	v_cmp_eq_f32_e32 vcc_lo, 0x43000000, v2
	v_fmamk_f32 v3, v2, 0x3102e308, v3
	s_delay_alu instid0(VALU_DEP_3) | instskip(NEXT) | instid1(VALU_DEP_2)
	v_cndmask_b32_e64 v2, v5, 0x7f, vcc_lo
	v_fmaak_f32 v4, s18, v3, 0x3ab69700
	s_delay_alu instid0(VALU_DEP_2) | instskip(NEXT) | instid1(VALU_DEP_2)
	v_ldexp_f32 v2, 1.0, v2
	v_fmaak_f32 v4, v3, v4, 0x3c0887f9
	s_delay_alu instid0(VALU_DEP_1) | instskip(NEXT) | instid1(VALU_DEP_1)
	v_fmaak_f32 v4, v3, v4, 0x3d2aaa81
	v_fmaak_f32 v4, v3, v4, 0x3e2aaaab
	s_delay_alu instid0(VALU_DEP_1) | instskip(NEXT) | instid1(VALU_DEP_1)
	v_fma_f32 v4, v3, v4, 0.5
	v_mul_f32_e32 v4, v3, v4
	s_delay_alu instid0(VALU_DEP_1) | instskip(NEXT) | instid1(VALU_DEP_1)
	v_dual_fmac_f32 v3, v3, v4 :: v_dual_add_f32 v4, -1.0, v2
	v_fmac_f32_e32 v4, v2, v3
	s_delay_alu instid0(VALU_DEP_1) | instskip(NEXT) | instid1(VALU_DEP_1)
	v_add_f32_e32 v2, v4, v4
	v_cndmask_b32_e32 v2, v4, v2, vcc_lo
	v_cmp_nlt_f32_e32 vcc_lo, 0x42b17217, v1
	s_delay_alu instid0(VALU_DEP_2) | instskip(SKIP_1) | instid1(VALU_DEP_2)
	v_cndmask_b32_e32 v2, 0x7f800000, v2, vcc_lo
	v_cmp_ngt_f32_e32 vcc_lo, 0xc1880000, v1
	v_cndmask_b32_e32 v1, -1.0, v2, vcc_lo
	s_delay_alu instid0(VALU_DEP_1) | instskip(SKIP_1) | instid1(VALU_DEP_2)
	v_bfe_u32 v2, v1, 16, 1
	v_cmp_o_f32_e32 vcc_lo, v1, v1
	v_add3_u32 v2, v1, v2, 0x7fff
	s_delay_alu instid0(VALU_DEP_1) | instskip(NEXT) | instid1(VALU_DEP_1)
	v_lshrrev_b32_e32 v2, 16, v2
	v_cndmask_b32_e32 v1, 0x7fc0, v2, vcc_lo
	global_store_b16 v0, v1, s[4:5]
	s_or_b32 exec_lo, exec_lo, s30
	s_delay_alu instid0(SALU_CYCLE_1)
	s_mov_b32 s30, exec_lo
	v_cmpx_gt_i32_e64 s27, v11
	s_cbranch_execnz .LBB151_160
.LBB151_174:
	s_or_b32 exec_lo, exec_lo, s30
	s_delay_alu instid0(SALU_CYCLE_1)
	s_mov_b32 s30, exec_lo
	v_cmpx_gt_i32_e64 s27, v11
	s_cbranch_execz .LBB151_189
.LBB151_175:
	s_and_not1_b32 vcc_lo, exec_lo, s24
	s_cbranch_vccnz .LBB151_180
; %bb.176:
	v_dual_mov_b32 v0, 0 :: v_dual_mov_b32 v1, 0
	s_and_not1_b32 vcc_lo, exec_lo, s29
	s_mov_b32 s31, 0
	s_cbranch_vccnz .LBB151_200
; %bb.177:
	v_mov_b32_e32 v0, 0
	s_add_i32 s34, s28, 1
	s_cmp_eq_u32 s23, 2
	s_mov_b32 s33, 0
	s_cbranch_scc1 .LBB151_196
; %bb.178:
	v_dual_mov_b32 v1, 0 :: v_dual_mov_b32 v0, 0
	v_mov_b32_e32 v2, v11
	s_and_b32 s33, s34, 28
	s_mov_b32 s35, 0
	s_mov_b64 s[18:19], s[16:17]
	s_mov_b64 s[20:21], s[0:1]
.LBB151_179:                            ; =>This Inner Loop Header: Depth=1
	s_clause 0x1
	s_load_b256 s[36:43], s[20:21], 0x4
	s_load_b128 s[52:55], s[20:21], 0x24
	s_load_b256 s[44:51], s[18:19], 0x0
	s_add_u32 s20, s20, 48
	s_addc_u32 s21, s21, 0
	s_add_i32 s35, s35, 4
	s_add_u32 s18, s18, 32
	s_addc_u32 s19, s19, 0
	s_cmp_eq_u32 s33, s35
	s_waitcnt lgkmcnt(0)
	v_mul_hi_u32 v3, s37, v2
	s_delay_alu instid0(VALU_DEP_1) | instskip(NEXT) | instid1(VALU_DEP_1)
	v_add_nc_u32_e32 v3, v2, v3
	v_lshrrev_b32_e32 v3, s38, v3
	s_delay_alu instid0(VALU_DEP_1) | instskip(SKIP_1) | instid1(VALU_DEP_2)
	v_mul_hi_u32 v4, s40, v3
	v_mul_lo_u32 v6, v3, s36
	v_add_nc_u32_e32 v4, v3, v4
	s_delay_alu instid0(VALU_DEP_2) | instskip(NEXT) | instid1(VALU_DEP_2)
	v_sub_nc_u32_e32 v2, v2, v6
	v_lshrrev_b32_e32 v4, s41, v4
	s_delay_alu instid0(VALU_DEP_2) | instskip(SKIP_1) | instid1(VALU_DEP_3)
	v_mul_lo_u32 v6, v2, s44
	v_mul_lo_u32 v8, v2, s45
	v_mul_hi_u32 v5, s43, v4
	s_delay_alu instid0(VALU_DEP_1) | instskip(NEXT) | instid1(VALU_DEP_1)
	v_add_nc_u32_e32 v5, v4, v5
	v_lshrrev_b32_e32 v5, s52, v5
	s_delay_alu instid0(VALU_DEP_1) | instskip(SKIP_1) | instid1(VALU_DEP_2)
	v_mul_hi_u32 v7, s54, v5
	v_mul_lo_u32 v9, v5, s42
	v_add_nc_u32_e32 v2, v5, v7
	v_mul_lo_u32 v7, v4, s39
	s_delay_alu instid0(VALU_DEP_3) | instskip(NEXT) | instid1(VALU_DEP_3)
	v_sub_nc_u32_e32 v4, v4, v9
	v_lshrrev_b32_e32 v2, s55, v2
	s_delay_alu instid0(VALU_DEP_2) | instskip(SKIP_2) | instid1(VALU_DEP_4)
	v_mul_lo_u32 v9, v4, s48
	v_mul_lo_u32 v4, v4, s49
	v_sub_nc_u32_e32 v3, v3, v7
	v_mul_lo_u32 v10, v2, s53
	s_delay_alu instid0(VALU_DEP_2) | instskip(SKIP_1) | instid1(VALU_DEP_3)
	v_mul_lo_u32 v7, v3, s46
	v_mul_lo_u32 v3, v3, s47
	v_sub_nc_u32_e32 v5, v5, v10
	s_delay_alu instid0(VALU_DEP_3) | instskip(NEXT) | instid1(VALU_DEP_2)
	v_add3_u32 v0, v6, v0, v7
	v_mul_lo_u32 v10, v5, s50
	v_mul_lo_u32 v5, v5, s51
	v_add3_u32 v1, v8, v1, v3
	s_delay_alu instid0(VALU_DEP_3) | instskip(NEXT) | instid1(VALU_DEP_2)
	v_add3_u32 v0, v9, v0, v10
	v_add3_u32 v1, v4, v1, v5
	s_cbranch_scc0 .LBB151_179
	s_branch .LBB151_197
.LBB151_180:
	s_mov_b32 s31, -1
                                        ; implicit-def: $vgpr0
                                        ; implicit-def: $vgpr1
	s_branch .LBB151_200
.LBB151_181:
	v_dual_mov_b32 v2, v11 :: v_dual_mov_b32 v1, 0
.LBB151_182:
	s_and_b32 s34, s34, 3
	s_delay_alu instid0(SALU_CYCLE_1)
	s_cmp_eq_u32 s34, 0
	s_cbranch_scc1 .LBB151_185
; %bb.183:
	s_lshl_b32 s18, s33, 3
	s_mul_i32 s20, s33, 12
	s_add_u32 s18, s18, s0
	s_addc_u32 s19, s1, 0
	s_add_u32 s18, s18, 0xc4
	s_addc_u32 s19, s19, 0
	;; [unrolled: 2-line block ×3, first 2 shown]
	.p2align	6
.LBB151_184:                            ; =>This Inner Loop Header: Depth=1
	s_clause 0x1
	s_load_b64 s[36:37], s[20:21], 0x4
	s_load_b32 s33, s[20:21], 0xc
	s_load_b64 s[38:39], s[18:19], 0x0
	s_add_u32 s20, s20, 12
	s_addc_u32 s21, s21, 0
	s_add_u32 s18, s18, 8
	s_addc_u32 s19, s19, 0
	s_add_i32 s34, s34, -1
	s_delay_alu instid0(SALU_CYCLE_1) | instskip(SKIP_2) | instid1(VALU_DEP_1)
	s_cmp_lg_u32 s34, 0
	s_waitcnt lgkmcnt(0)
	v_mul_hi_u32 v3, s37, v2
	v_add_nc_u32_e32 v3, v2, v3
	s_delay_alu instid0(VALU_DEP_1) | instskip(NEXT) | instid1(VALU_DEP_1)
	v_lshrrev_b32_e32 v6, s33, v3
	v_mul_lo_u32 v3, v6, s36
	s_delay_alu instid0(VALU_DEP_1) | instskip(NEXT) | instid1(VALU_DEP_1)
	v_sub_nc_u32_e32 v2, v2, v3
	v_mad_u64_u32 v[3:4], null, v2, s38, v[0:1]
	v_mad_u64_u32 v[4:5], null, v2, s39, v[1:2]
	v_mov_b32_e32 v2, v6
	s_delay_alu instid0(VALU_DEP_2)
	v_dual_mov_b32 v0, v3 :: v_dual_mov_b32 v1, v4
	s_cbranch_scc1 .LBB151_184
.LBB151_185:
	s_and_not1_b32 vcc_lo, exec_lo, s31
	s_cbranch_vccnz .LBB151_188
; %bb.186:
	s_waitcnt lgkmcnt(0)
	v_mul_hi_u32 v0, s13, v11
	s_and_not1_b32 vcc_lo, exec_lo, s26
	s_delay_alu instid0(VALU_DEP_1) | instskip(NEXT) | instid1(VALU_DEP_1)
	v_add_nc_u32_e32 v0, v11, v0
	v_lshrrev_b32_e32 v2, s14, v0
	s_delay_alu instid0(VALU_DEP_1) | instskip(NEXT) | instid1(VALU_DEP_1)
	v_mul_lo_u32 v0, v2, s12
	v_sub_nc_u32_e32 v1, v11, v0
	s_delay_alu instid0(VALU_DEP_1)
	v_mul_lo_u32 v0, v1, s8
	v_mul_lo_u32 v1, v1, s9
	s_cbranch_vccnz .LBB151_188
; %bb.187:
	v_mul_hi_u32 v3, s2, v2
	s_delay_alu instid0(VALU_DEP_1) | instskip(NEXT) | instid1(VALU_DEP_1)
	v_add_nc_u32_e32 v3, v2, v3
	v_lshrrev_b32_e32 v3, s3, v3
	s_delay_alu instid0(VALU_DEP_1) | instskip(NEXT) | instid1(VALU_DEP_1)
	v_mul_lo_u32 v3, v3, s15
	v_sub_nc_u32_e32 v5, v2, v3
	s_delay_alu instid0(VALU_DEP_1) | instskip(NEXT) | instid1(VALU_DEP_1)
	v_mad_u64_u32 v[2:3], null, v5, s10, v[0:1]
	v_mad_u64_u32 v[3:4], null, v5, s11, v[1:2]
	s_delay_alu instid0(VALU_DEP_1)
	v_dual_mov_b32 v0, v2 :: v_dual_mov_b32 v1, v3
.LBB151_188:
	s_waitcnt lgkmcnt(0)
	global_load_u16 v1, v1, s[6:7]
	s_mov_b32 s18, 0x395133b1
	v_add_nc_u32_e32 v11, 0x80, v11
	s_waitcnt vmcnt(0)
	v_lshlrev_b32_e32 v1, 16, v1
	s_delay_alu instid0(VALU_DEP_1) | instskip(NEXT) | instid1(VALU_DEP_1)
	v_mul_f32_e32 v2, 0x3fb8aa3b, v1
	v_rndne_f32_e32 v2, v2
	s_delay_alu instid0(VALU_DEP_1) | instskip(SKIP_2) | instid1(VALU_DEP_3)
	v_fmamk_f32 v3, v2, 0xbf317218, v1
	v_cvt_i32_f32_e32 v5, v2
	v_cmp_eq_f32_e32 vcc_lo, 0x43000000, v2
	v_fmamk_f32 v3, v2, 0x3102e308, v3
	s_delay_alu instid0(VALU_DEP_3) | instskip(NEXT) | instid1(VALU_DEP_2)
	v_cndmask_b32_e64 v2, v5, 0x7f, vcc_lo
	v_fmaak_f32 v4, s18, v3, 0x3ab69700
	s_delay_alu instid0(VALU_DEP_2) | instskip(NEXT) | instid1(VALU_DEP_2)
	v_ldexp_f32 v2, 1.0, v2
	v_fmaak_f32 v4, v3, v4, 0x3c0887f9
	s_delay_alu instid0(VALU_DEP_1) | instskip(NEXT) | instid1(VALU_DEP_1)
	v_fmaak_f32 v4, v3, v4, 0x3d2aaa81
	v_fmaak_f32 v4, v3, v4, 0x3e2aaaab
	s_delay_alu instid0(VALU_DEP_1) | instskip(NEXT) | instid1(VALU_DEP_1)
	v_fma_f32 v4, v3, v4, 0.5
	v_mul_f32_e32 v4, v3, v4
	s_delay_alu instid0(VALU_DEP_1) | instskip(NEXT) | instid1(VALU_DEP_1)
	v_dual_fmac_f32 v3, v3, v4 :: v_dual_add_f32 v4, -1.0, v2
	v_fmac_f32_e32 v4, v2, v3
	s_delay_alu instid0(VALU_DEP_1) | instskip(NEXT) | instid1(VALU_DEP_1)
	v_add_f32_e32 v2, v4, v4
	v_cndmask_b32_e32 v2, v4, v2, vcc_lo
	v_cmp_nlt_f32_e32 vcc_lo, 0x42b17217, v1
	s_delay_alu instid0(VALU_DEP_2) | instskip(SKIP_1) | instid1(VALU_DEP_2)
	v_cndmask_b32_e32 v2, 0x7f800000, v2, vcc_lo
	v_cmp_ngt_f32_e32 vcc_lo, 0xc1880000, v1
	v_cndmask_b32_e32 v1, -1.0, v2, vcc_lo
	s_delay_alu instid0(VALU_DEP_1) | instskip(SKIP_1) | instid1(VALU_DEP_2)
	v_bfe_u32 v2, v1, 16, 1
	v_cmp_o_f32_e32 vcc_lo, v1, v1
	v_add3_u32 v2, v1, v2, 0x7fff
	s_delay_alu instid0(VALU_DEP_1) | instskip(NEXT) | instid1(VALU_DEP_1)
	v_lshrrev_b32_e32 v2, 16, v2
	v_cndmask_b32_e32 v1, 0x7fc0, v2, vcc_lo
	global_store_b16 v0, v1, s[4:5]
	s_or_b32 exec_lo, exec_lo, s30
	s_delay_alu instid0(SALU_CYCLE_1)
	s_mov_b32 s30, exec_lo
	v_cmpx_gt_i32_e64 s27, v11
	s_cbranch_execnz .LBB151_175
.LBB151_189:
	s_or_b32 exec_lo, exec_lo, s30
	s_delay_alu instid0(SALU_CYCLE_1)
	s_mov_b32 s30, exec_lo
	v_cmpx_gt_i32_e64 s27, v11
	s_cbranch_execz .LBB151_204
.LBB151_190:
	s_and_not1_b32 vcc_lo, exec_lo, s24
	s_cbranch_vccnz .LBB151_195
; %bb.191:
	v_dual_mov_b32 v0, 0 :: v_dual_mov_b32 v1, 0
	s_and_not1_b32 vcc_lo, exec_lo, s29
	s_mov_b32 s31, 0
	s_cbranch_vccnz .LBB151_211
; %bb.192:
	v_mov_b32_e32 v0, 0
	s_add_i32 s34, s28, 1
	s_cmp_eq_u32 s23, 2
	s_mov_b32 s33, 0
	s_cbranch_scc1 .LBB151_207
; %bb.193:
	v_dual_mov_b32 v1, 0 :: v_dual_mov_b32 v0, 0
	v_mov_b32_e32 v2, v11
	s_and_b32 s33, s34, 28
	s_mov_b32 s35, 0
	s_mov_b64 s[18:19], s[16:17]
	s_mov_b64 s[20:21], s[0:1]
.LBB151_194:                            ; =>This Inner Loop Header: Depth=1
	s_clause 0x1
	s_load_b256 s[36:43], s[20:21], 0x4
	s_load_b128 s[52:55], s[20:21], 0x24
	s_load_b256 s[44:51], s[18:19], 0x0
	s_add_u32 s20, s20, 48
	s_addc_u32 s21, s21, 0
	s_add_i32 s35, s35, 4
	s_add_u32 s18, s18, 32
	s_addc_u32 s19, s19, 0
	s_cmp_eq_u32 s33, s35
	s_waitcnt lgkmcnt(0)
	v_mul_hi_u32 v3, s37, v2
	s_delay_alu instid0(VALU_DEP_1) | instskip(NEXT) | instid1(VALU_DEP_1)
	v_add_nc_u32_e32 v3, v2, v3
	v_lshrrev_b32_e32 v3, s38, v3
	s_delay_alu instid0(VALU_DEP_1) | instskip(SKIP_1) | instid1(VALU_DEP_2)
	v_mul_hi_u32 v4, s40, v3
	v_mul_lo_u32 v6, v3, s36
	v_add_nc_u32_e32 v4, v3, v4
	s_delay_alu instid0(VALU_DEP_2) | instskip(NEXT) | instid1(VALU_DEP_2)
	v_sub_nc_u32_e32 v2, v2, v6
	v_lshrrev_b32_e32 v4, s41, v4
	s_delay_alu instid0(VALU_DEP_2) | instskip(SKIP_1) | instid1(VALU_DEP_3)
	v_mul_lo_u32 v6, v2, s44
	v_mul_lo_u32 v8, v2, s45
	v_mul_hi_u32 v5, s43, v4
	s_delay_alu instid0(VALU_DEP_1) | instskip(NEXT) | instid1(VALU_DEP_1)
	v_add_nc_u32_e32 v5, v4, v5
	v_lshrrev_b32_e32 v5, s52, v5
	s_delay_alu instid0(VALU_DEP_1) | instskip(SKIP_1) | instid1(VALU_DEP_2)
	v_mul_hi_u32 v7, s54, v5
	v_mul_lo_u32 v9, v5, s42
	v_add_nc_u32_e32 v2, v5, v7
	v_mul_lo_u32 v7, v4, s39
	s_delay_alu instid0(VALU_DEP_3) | instskip(NEXT) | instid1(VALU_DEP_3)
	v_sub_nc_u32_e32 v4, v4, v9
	v_lshrrev_b32_e32 v2, s55, v2
	s_delay_alu instid0(VALU_DEP_2) | instskip(SKIP_2) | instid1(VALU_DEP_4)
	v_mul_lo_u32 v9, v4, s48
	v_mul_lo_u32 v4, v4, s49
	v_sub_nc_u32_e32 v3, v3, v7
	v_mul_lo_u32 v10, v2, s53
	s_delay_alu instid0(VALU_DEP_2) | instskip(SKIP_1) | instid1(VALU_DEP_3)
	v_mul_lo_u32 v7, v3, s46
	v_mul_lo_u32 v3, v3, s47
	v_sub_nc_u32_e32 v5, v5, v10
	s_delay_alu instid0(VALU_DEP_3) | instskip(NEXT) | instid1(VALU_DEP_2)
	v_add3_u32 v0, v6, v0, v7
	v_mul_lo_u32 v10, v5, s50
	v_mul_lo_u32 v5, v5, s51
	v_add3_u32 v1, v8, v1, v3
	s_delay_alu instid0(VALU_DEP_3) | instskip(NEXT) | instid1(VALU_DEP_2)
	v_add3_u32 v0, v9, v0, v10
	v_add3_u32 v1, v4, v1, v5
	s_cbranch_scc0 .LBB151_194
	s_branch .LBB151_208
.LBB151_195:
	s_mov_b32 s31, -1
                                        ; implicit-def: $vgpr0
                                        ; implicit-def: $vgpr1
	s_branch .LBB151_211
.LBB151_196:
	v_dual_mov_b32 v2, v11 :: v_dual_mov_b32 v1, 0
.LBB151_197:
	s_and_b32 s34, s34, 3
	s_delay_alu instid0(SALU_CYCLE_1)
	s_cmp_eq_u32 s34, 0
	s_cbranch_scc1 .LBB151_200
; %bb.198:
	s_lshl_b32 s18, s33, 3
	s_mul_i32 s20, s33, 12
	s_add_u32 s18, s18, s0
	s_addc_u32 s19, s1, 0
	s_add_u32 s18, s18, 0xc4
	s_addc_u32 s19, s19, 0
	;; [unrolled: 2-line block ×3, first 2 shown]
	.p2align	6
.LBB151_199:                            ; =>This Inner Loop Header: Depth=1
	s_clause 0x1
	s_load_b64 s[36:37], s[20:21], 0x4
	s_load_b32 s33, s[20:21], 0xc
	s_load_b64 s[38:39], s[18:19], 0x0
	s_add_u32 s20, s20, 12
	s_addc_u32 s21, s21, 0
	s_add_u32 s18, s18, 8
	s_addc_u32 s19, s19, 0
	s_add_i32 s34, s34, -1
	s_delay_alu instid0(SALU_CYCLE_1) | instskip(SKIP_2) | instid1(VALU_DEP_1)
	s_cmp_lg_u32 s34, 0
	s_waitcnt lgkmcnt(0)
	v_mul_hi_u32 v3, s37, v2
	v_add_nc_u32_e32 v3, v2, v3
	s_delay_alu instid0(VALU_DEP_1) | instskip(NEXT) | instid1(VALU_DEP_1)
	v_lshrrev_b32_e32 v6, s33, v3
	v_mul_lo_u32 v3, v6, s36
	s_delay_alu instid0(VALU_DEP_1) | instskip(NEXT) | instid1(VALU_DEP_1)
	v_sub_nc_u32_e32 v2, v2, v3
	v_mad_u64_u32 v[3:4], null, v2, s38, v[0:1]
	v_mad_u64_u32 v[4:5], null, v2, s39, v[1:2]
	v_mov_b32_e32 v2, v6
	s_delay_alu instid0(VALU_DEP_2)
	v_dual_mov_b32 v0, v3 :: v_dual_mov_b32 v1, v4
	s_cbranch_scc1 .LBB151_199
.LBB151_200:
	s_and_not1_b32 vcc_lo, exec_lo, s31
	s_cbranch_vccnz .LBB151_203
; %bb.201:
	s_waitcnt lgkmcnt(0)
	v_mul_hi_u32 v0, s13, v11
	s_and_not1_b32 vcc_lo, exec_lo, s26
	s_delay_alu instid0(VALU_DEP_1) | instskip(NEXT) | instid1(VALU_DEP_1)
	v_add_nc_u32_e32 v0, v11, v0
	v_lshrrev_b32_e32 v2, s14, v0
	s_delay_alu instid0(VALU_DEP_1) | instskip(NEXT) | instid1(VALU_DEP_1)
	v_mul_lo_u32 v0, v2, s12
	v_sub_nc_u32_e32 v1, v11, v0
	s_delay_alu instid0(VALU_DEP_1)
	v_mul_lo_u32 v0, v1, s8
	v_mul_lo_u32 v1, v1, s9
	s_cbranch_vccnz .LBB151_203
; %bb.202:
	v_mul_hi_u32 v3, s2, v2
	s_delay_alu instid0(VALU_DEP_1) | instskip(NEXT) | instid1(VALU_DEP_1)
	v_add_nc_u32_e32 v3, v2, v3
	v_lshrrev_b32_e32 v3, s3, v3
	s_delay_alu instid0(VALU_DEP_1) | instskip(NEXT) | instid1(VALU_DEP_1)
	v_mul_lo_u32 v3, v3, s15
	v_sub_nc_u32_e32 v5, v2, v3
	s_delay_alu instid0(VALU_DEP_1) | instskip(NEXT) | instid1(VALU_DEP_1)
	v_mad_u64_u32 v[2:3], null, v5, s10, v[0:1]
	v_mad_u64_u32 v[3:4], null, v5, s11, v[1:2]
	s_delay_alu instid0(VALU_DEP_1)
	v_dual_mov_b32 v0, v2 :: v_dual_mov_b32 v1, v3
.LBB151_203:
	s_waitcnt lgkmcnt(0)
	global_load_u16 v1, v1, s[6:7]
	s_mov_b32 s18, 0x395133b1
	v_add_nc_u32_e32 v11, 0x80, v11
	s_waitcnt vmcnt(0)
	v_lshlrev_b32_e32 v1, 16, v1
	s_delay_alu instid0(VALU_DEP_1) | instskip(NEXT) | instid1(VALU_DEP_1)
	v_mul_f32_e32 v2, 0x3fb8aa3b, v1
	v_rndne_f32_e32 v2, v2
	s_delay_alu instid0(VALU_DEP_1) | instskip(SKIP_2) | instid1(VALU_DEP_3)
	v_fmamk_f32 v3, v2, 0xbf317218, v1
	v_cvt_i32_f32_e32 v5, v2
	v_cmp_eq_f32_e32 vcc_lo, 0x43000000, v2
	v_fmamk_f32 v3, v2, 0x3102e308, v3
	s_delay_alu instid0(VALU_DEP_3) | instskip(NEXT) | instid1(VALU_DEP_2)
	v_cndmask_b32_e64 v2, v5, 0x7f, vcc_lo
	v_fmaak_f32 v4, s18, v3, 0x3ab69700
	s_delay_alu instid0(VALU_DEP_2) | instskip(NEXT) | instid1(VALU_DEP_2)
	v_ldexp_f32 v2, 1.0, v2
	v_fmaak_f32 v4, v3, v4, 0x3c0887f9
	s_delay_alu instid0(VALU_DEP_1) | instskip(NEXT) | instid1(VALU_DEP_1)
	v_fmaak_f32 v4, v3, v4, 0x3d2aaa81
	v_fmaak_f32 v4, v3, v4, 0x3e2aaaab
	s_delay_alu instid0(VALU_DEP_1) | instskip(NEXT) | instid1(VALU_DEP_1)
	v_fma_f32 v4, v3, v4, 0.5
	v_mul_f32_e32 v4, v3, v4
	s_delay_alu instid0(VALU_DEP_1) | instskip(NEXT) | instid1(VALU_DEP_1)
	v_dual_fmac_f32 v3, v3, v4 :: v_dual_add_f32 v4, -1.0, v2
	v_fmac_f32_e32 v4, v2, v3
	s_delay_alu instid0(VALU_DEP_1) | instskip(NEXT) | instid1(VALU_DEP_1)
	v_add_f32_e32 v2, v4, v4
	v_cndmask_b32_e32 v2, v4, v2, vcc_lo
	v_cmp_nlt_f32_e32 vcc_lo, 0x42b17217, v1
	s_delay_alu instid0(VALU_DEP_2) | instskip(SKIP_1) | instid1(VALU_DEP_2)
	v_cndmask_b32_e32 v2, 0x7f800000, v2, vcc_lo
	v_cmp_ngt_f32_e32 vcc_lo, 0xc1880000, v1
	v_cndmask_b32_e32 v1, -1.0, v2, vcc_lo
	s_delay_alu instid0(VALU_DEP_1) | instskip(SKIP_1) | instid1(VALU_DEP_2)
	v_bfe_u32 v2, v1, 16, 1
	v_cmp_o_f32_e32 vcc_lo, v1, v1
	v_add3_u32 v2, v1, v2, 0x7fff
	s_delay_alu instid0(VALU_DEP_1) | instskip(NEXT) | instid1(VALU_DEP_1)
	v_lshrrev_b32_e32 v2, 16, v2
	v_cndmask_b32_e32 v1, 0x7fc0, v2, vcc_lo
	global_store_b16 v0, v1, s[4:5]
	s_or_b32 exec_lo, exec_lo, s30
	s_delay_alu instid0(SALU_CYCLE_1)
	s_mov_b32 s30, exec_lo
	v_cmpx_gt_i32_e64 s27, v11
	s_cbranch_execnz .LBB151_190
.LBB151_204:
	s_or_b32 exec_lo, exec_lo, s30
	s_delay_alu instid0(SALU_CYCLE_1)
	s_mov_b32 s20, exec_lo
	v_cmpx_gt_i32_e64 s27, v11
	s_cbranch_execnz .LBB151_215
.LBB151_205:
	s_or_b32 exec_lo, exec_lo, s20
                                        ; implicit-def: $vgpr16
                                        ; implicit-def: $vgpr11
	s_waitcnt lgkmcnt(0)
	s_and_not1_saveexec_b32 s2, s25
	s_cbranch_execnz .LBB151_8
.LBB151_206:
	s_nop 0
	s_sendmsg sendmsg(MSG_DEALLOC_VGPRS)
	s_endpgm
.LBB151_207:
	v_dual_mov_b32 v2, v11 :: v_dual_mov_b32 v1, 0
.LBB151_208:
	s_and_b32 s34, s34, 3
	s_delay_alu instid0(SALU_CYCLE_1)
	s_cmp_eq_u32 s34, 0
	s_cbranch_scc1 .LBB151_211
; %bb.209:
	s_lshl_b32 s18, s33, 3
	s_mul_i32 s20, s33, 12
	s_add_u32 s18, s18, s0
	s_addc_u32 s19, s1, 0
	s_add_u32 s18, s18, 0xc4
	s_addc_u32 s19, s19, 0
	;; [unrolled: 2-line block ×3, first 2 shown]
	.p2align	6
.LBB151_210:                            ; =>This Inner Loop Header: Depth=1
	s_clause 0x1
	s_load_b64 s[36:37], s[20:21], 0x4
	s_load_b32 s33, s[20:21], 0xc
	s_load_b64 s[38:39], s[18:19], 0x0
	s_add_u32 s20, s20, 12
	s_addc_u32 s21, s21, 0
	s_add_u32 s18, s18, 8
	s_addc_u32 s19, s19, 0
	s_add_i32 s34, s34, -1
	s_delay_alu instid0(SALU_CYCLE_1) | instskip(SKIP_2) | instid1(VALU_DEP_1)
	s_cmp_lg_u32 s34, 0
	s_waitcnt lgkmcnt(0)
	v_mul_hi_u32 v3, s37, v2
	v_add_nc_u32_e32 v3, v2, v3
	s_delay_alu instid0(VALU_DEP_1) | instskip(NEXT) | instid1(VALU_DEP_1)
	v_lshrrev_b32_e32 v6, s33, v3
	v_mul_lo_u32 v3, v6, s36
	s_delay_alu instid0(VALU_DEP_1) | instskip(NEXT) | instid1(VALU_DEP_1)
	v_sub_nc_u32_e32 v2, v2, v3
	v_mad_u64_u32 v[3:4], null, v2, s38, v[0:1]
	v_mad_u64_u32 v[4:5], null, v2, s39, v[1:2]
	v_mov_b32_e32 v2, v6
	s_delay_alu instid0(VALU_DEP_2)
	v_dual_mov_b32 v0, v3 :: v_dual_mov_b32 v1, v4
	s_cbranch_scc1 .LBB151_210
.LBB151_211:
	s_and_not1_b32 vcc_lo, exec_lo, s31
	s_cbranch_vccnz .LBB151_214
; %bb.212:
	s_waitcnt lgkmcnt(0)
	v_mul_hi_u32 v0, s13, v11
	s_and_not1_b32 vcc_lo, exec_lo, s26
	s_delay_alu instid0(VALU_DEP_1) | instskip(NEXT) | instid1(VALU_DEP_1)
	v_add_nc_u32_e32 v0, v11, v0
	v_lshrrev_b32_e32 v2, s14, v0
	s_delay_alu instid0(VALU_DEP_1) | instskip(NEXT) | instid1(VALU_DEP_1)
	v_mul_lo_u32 v0, v2, s12
	v_sub_nc_u32_e32 v1, v11, v0
	s_delay_alu instid0(VALU_DEP_1)
	v_mul_lo_u32 v0, v1, s8
	v_mul_lo_u32 v1, v1, s9
	s_cbranch_vccnz .LBB151_214
; %bb.213:
	v_mul_hi_u32 v3, s2, v2
	s_delay_alu instid0(VALU_DEP_1) | instskip(NEXT) | instid1(VALU_DEP_1)
	v_add_nc_u32_e32 v3, v2, v3
	v_lshrrev_b32_e32 v3, s3, v3
	s_delay_alu instid0(VALU_DEP_1) | instskip(NEXT) | instid1(VALU_DEP_1)
	v_mul_lo_u32 v3, v3, s15
	v_sub_nc_u32_e32 v5, v2, v3
	s_delay_alu instid0(VALU_DEP_1) | instskip(NEXT) | instid1(VALU_DEP_1)
	v_mad_u64_u32 v[2:3], null, v5, s10, v[0:1]
	v_mad_u64_u32 v[3:4], null, v5, s11, v[1:2]
	s_delay_alu instid0(VALU_DEP_1)
	v_dual_mov_b32 v0, v2 :: v_dual_mov_b32 v1, v3
.LBB151_214:
	s_waitcnt lgkmcnt(0)
	global_load_u16 v1, v1, s[6:7]
	s_mov_b32 s18, 0x395133b1
	v_add_nc_u32_e32 v11, 0x80, v11
	s_waitcnt vmcnt(0)
	v_lshlrev_b32_e32 v1, 16, v1
	s_delay_alu instid0(VALU_DEP_1) | instskip(NEXT) | instid1(VALU_DEP_1)
	v_mul_f32_e32 v2, 0x3fb8aa3b, v1
	v_rndne_f32_e32 v2, v2
	s_delay_alu instid0(VALU_DEP_1) | instskip(SKIP_2) | instid1(VALU_DEP_3)
	v_fmamk_f32 v3, v2, 0xbf317218, v1
	v_cvt_i32_f32_e32 v5, v2
	v_cmp_eq_f32_e32 vcc_lo, 0x43000000, v2
	v_fmamk_f32 v3, v2, 0x3102e308, v3
	s_delay_alu instid0(VALU_DEP_3) | instskip(NEXT) | instid1(VALU_DEP_2)
	v_cndmask_b32_e64 v2, v5, 0x7f, vcc_lo
	v_fmaak_f32 v4, s18, v3, 0x3ab69700
	s_delay_alu instid0(VALU_DEP_2) | instskip(NEXT) | instid1(VALU_DEP_2)
	v_ldexp_f32 v2, 1.0, v2
	v_fmaak_f32 v4, v3, v4, 0x3c0887f9
	s_delay_alu instid0(VALU_DEP_1) | instskip(NEXT) | instid1(VALU_DEP_1)
	v_fmaak_f32 v4, v3, v4, 0x3d2aaa81
	v_fmaak_f32 v4, v3, v4, 0x3e2aaaab
	s_delay_alu instid0(VALU_DEP_1) | instskip(NEXT) | instid1(VALU_DEP_1)
	v_fma_f32 v4, v3, v4, 0.5
	v_mul_f32_e32 v4, v3, v4
	s_delay_alu instid0(VALU_DEP_1) | instskip(NEXT) | instid1(VALU_DEP_1)
	v_dual_fmac_f32 v3, v3, v4 :: v_dual_add_f32 v4, -1.0, v2
	v_fmac_f32_e32 v4, v2, v3
	s_delay_alu instid0(VALU_DEP_1) | instskip(NEXT) | instid1(VALU_DEP_1)
	v_add_f32_e32 v2, v4, v4
	v_cndmask_b32_e32 v2, v4, v2, vcc_lo
	v_cmp_nlt_f32_e32 vcc_lo, 0x42b17217, v1
	s_delay_alu instid0(VALU_DEP_2) | instskip(SKIP_1) | instid1(VALU_DEP_2)
	v_cndmask_b32_e32 v2, 0x7f800000, v2, vcc_lo
	v_cmp_ngt_f32_e32 vcc_lo, 0xc1880000, v1
	v_cndmask_b32_e32 v1, -1.0, v2, vcc_lo
	s_delay_alu instid0(VALU_DEP_1) | instskip(SKIP_1) | instid1(VALU_DEP_2)
	v_bfe_u32 v2, v1, 16, 1
	v_cmp_o_f32_e32 vcc_lo, v1, v1
	v_add3_u32 v2, v1, v2, 0x7fff
	s_delay_alu instid0(VALU_DEP_1) | instskip(NEXT) | instid1(VALU_DEP_1)
	v_lshrrev_b32_e32 v2, 16, v2
	v_cndmask_b32_e32 v1, 0x7fc0, v2, vcc_lo
	global_store_b16 v0, v1, s[4:5]
	s_or_b32 exec_lo, exec_lo, s30
	s_delay_alu instid0(SALU_CYCLE_1)
	s_mov_b32 s20, exec_lo
	v_cmpx_gt_i32_e64 s27, v11
	s_cbranch_execz .LBB151_205
.LBB151_215:
	s_and_not1_b32 vcc_lo, exec_lo, s24
	s_cbranch_vccnz .LBB151_220
; %bb.216:
	v_dual_mov_b32 v0, 0 :: v_dual_mov_b32 v1, 0
	s_and_not1_b32 vcc_lo, exec_lo, s29
	s_mov_b32 s21, 0
	s_cbranch_vccnz .LBB151_225
; %bb.217:
	v_mov_b32_e32 v0, 0
	s_add_i32 s28, s28, 1
	s_cmp_eq_u32 s23, 2
	s_mov_b32 s27, 0
	s_cbranch_scc1 .LBB151_221
; %bb.218:
	v_dual_mov_b32 v1, 0 :: v_dual_mov_b32 v0, 0
	v_mov_b32_e32 v2, v11
	s_and_b32 s27, s28, 28
	s_mov_b32 s29, 0
	s_mov_b64 s[18:19], s[0:1]
.LBB151_219:                            ; =>This Inner Loop Header: Depth=1
	s_clause 0x1
	s_load_b256 s[36:43], s[18:19], 0x4
	s_load_b128 s[52:55], s[18:19], 0x24
	s_load_b256 s[44:51], s[16:17], 0x0
	s_add_u32 s18, s18, 48
	s_addc_u32 s19, s19, 0
	s_add_i32 s29, s29, 4
	s_add_u32 s16, s16, 32
	s_addc_u32 s17, s17, 0
	s_cmp_eq_u32 s27, s29
	s_waitcnt lgkmcnt(0)
	v_mul_hi_u32 v3, s37, v2
	s_delay_alu instid0(VALU_DEP_1) | instskip(NEXT) | instid1(VALU_DEP_1)
	v_add_nc_u32_e32 v3, v2, v3
	v_lshrrev_b32_e32 v3, s38, v3
	s_delay_alu instid0(VALU_DEP_1) | instskip(SKIP_1) | instid1(VALU_DEP_2)
	v_mul_hi_u32 v4, s40, v3
	v_mul_lo_u32 v6, v3, s36
	v_add_nc_u32_e32 v4, v3, v4
	s_delay_alu instid0(VALU_DEP_2) | instskip(NEXT) | instid1(VALU_DEP_2)
	v_sub_nc_u32_e32 v2, v2, v6
	v_lshrrev_b32_e32 v4, s41, v4
	s_delay_alu instid0(VALU_DEP_2) | instskip(SKIP_1) | instid1(VALU_DEP_3)
	v_mul_lo_u32 v6, v2, s44
	v_mul_lo_u32 v8, v2, s45
	v_mul_hi_u32 v5, s43, v4
	s_delay_alu instid0(VALU_DEP_1) | instskip(NEXT) | instid1(VALU_DEP_1)
	v_add_nc_u32_e32 v5, v4, v5
	v_lshrrev_b32_e32 v5, s52, v5
	s_delay_alu instid0(VALU_DEP_1) | instskip(SKIP_1) | instid1(VALU_DEP_2)
	v_mul_hi_u32 v7, s54, v5
	v_mul_lo_u32 v9, v5, s42
	v_add_nc_u32_e32 v2, v5, v7
	v_mul_lo_u32 v7, v4, s39
	s_delay_alu instid0(VALU_DEP_3) | instskip(NEXT) | instid1(VALU_DEP_3)
	v_sub_nc_u32_e32 v4, v4, v9
	v_lshrrev_b32_e32 v2, s55, v2
	s_delay_alu instid0(VALU_DEP_2) | instskip(SKIP_2) | instid1(VALU_DEP_4)
	v_mul_lo_u32 v9, v4, s48
	v_mul_lo_u32 v4, v4, s49
	v_sub_nc_u32_e32 v3, v3, v7
	v_mul_lo_u32 v10, v2, s53
	s_delay_alu instid0(VALU_DEP_2) | instskip(SKIP_1) | instid1(VALU_DEP_3)
	v_mul_lo_u32 v7, v3, s46
	v_mul_lo_u32 v3, v3, s47
	v_sub_nc_u32_e32 v5, v5, v10
	s_delay_alu instid0(VALU_DEP_3) | instskip(NEXT) | instid1(VALU_DEP_2)
	v_add3_u32 v0, v6, v0, v7
	v_mul_lo_u32 v10, v5, s50
	v_mul_lo_u32 v5, v5, s51
	v_add3_u32 v1, v8, v1, v3
	s_delay_alu instid0(VALU_DEP_3) | instskip(NEXT) | instid1(VALU_DEP_2)
	v_add3_u32 v0, v9, v0, v10
	v_add3_u32 v1, v4, v1, v5
	s_cbranch_scc0 .LBB151_219
	s_branch .LBB151_222
.LBB151_220:
	s_mov_b32 s21, -1
                                        ; implicit-def: $vgpr0
                                        ; implicit-def: $vgpr1
	s_branch .LBB151_225
.LBB151_221:
	v_dual_mov_b32 v2, v11 :: v_dual_mov_b32 v1, 0
.LBB151_222:
	s_and_b32 s28, s28, 3
	s_delay_alu instid0(SALU_CYCLE_1)
	s_cmp_eq_u32 s28, 0
	s_cbranch_scc1 .LBB151_225
; %bb.223:
	s_lshl_b32 s16, s27, 3
	s_mul_i32 s18, s27, 12
	s_add_u32 s16, s16, s0
	s_addc_u32 s17, s1, 0
	s_add_u32 s16, s16, 0xc4
	s_addc_u32 s17, s17, 0
	;; [unrolled: 2-line block ×3, first 2 shown]
	.p2align	6
.LBB151_224:                            ; =>This Inner Loop Header: Depth=1
	s_clause 0x1
	s_load_b64 s[30:31], s[18:19], 0x4
	s_load_b32 s27, s[18:19], 0xc
	s_load_b64 s[34:35], s[16:17], 0x0
	s_add_u32 s18, s18, 12
	s_addc_u32 s19, s19, 0
	s_add_u32 s16, s16, 8
	s_addc_u32 s17, s17, 0
	s_add_i32 s28, s28, -1
	s_delay_alu instid0(SALU_CYCLE_1) | instskip(SKIP_2) | instid1(VALU_DEP_1)
	s_cmp_lg_u32 s28, 0
	s_waitcnt lgkmcnt(0)
	v_mul_hi_u32 v3, s31, v2
	v_add_nc_u32_e32 v3, v2, v3
	s_delay_alu instid0(VALU_DEP_1) | instskip(NEXT) | instid1(VALU_DEP_1)
	v_lshrrev_b32_e32 v6, s27, v3
	v_mul_lo_u32 v3, v6, s30
	s_delay_alu instid0(VALU_DEP_1) | instskip(NEXT) | instid1(VALU_DEP_1)
	v_sub_nc_u32_e32 v2, v2, v3
	v_mad_u64_u32 v[3:4], null, v2, s34, v[0:1]
	v_mad_u64_u32 v[4:5], null, v2, s35, v[1:2]
	v_mov_b32_e32 v2, v6
	s_delay_alu instid0(VALU_DEP_2)
	v_dual_mov_b32 v0, v3 :: v_dual_mov_b32 v1, v4
	s_cbranch_scc1 .LBB151_224
.LBB151_225:
	s_and_not1_b32 vcc_lo, exec_lo, s21
	s_cbranch_vccnz .LBB151_228
; %bb.226:
	s_waitcnt lgkmcnt(0)
	v_mul_hi_u32 v0, s13, v11
	s_and_not1_b32 vcc_lo, exec_lo, s26
	s_delay_alu instid0(VALU_DEP_1) | instskip(NEXT) | instid1(VALU_DEP_1)
	v_add_nc_u32_e32 v0, v11, v0
	v_lshrrev_b32_e32 v2, s14, v0
	s_delay_alu instid0(VALU_DEP_1) | instskip(NEXT) | instid1(VALU_DEP_1)
	v_mul_lo_u32 v0, v2, s12
	v_sub_nc_u32_e32 v1, v11, v0
	s_delay_alu instid0(VALU_DEP_1)
	v_mul_lo_u32 v0, v1, s8
	v_mul_lo_u32 v1, v1, s9
	s_cbranch_vccnz .LBB151_228
; %bb.227:
	v_mul_hi_u32 v3, s2, v2
	s_delay_alu instid0(VALU_DEP_1) | instskip(NEXT) | instid1(VALU_DEP_1)
	v_add_nc_u32_e32 v3, v2, v3
	v_lshrrev_b32_e32 v3, s3, v3
	s_delay_alu instid0(VALU_DEP_1) | instskip(NEXT) | instid1(VALU_DEP_1)
	v_mul_lo_u32 v3, v3, s15
	v_sub_nc_u32_e32 v5, v2, v3
	s_delay_alu instid0(VALU_DEP_1) | instskip(NEXT) | instid1(VALU_DEP_1)
	v_mad_u64_u32 v[2:3], null, v5, s10, v[0:1]
	v_mad_u64_u32 v[3:4], null, v5, s11, v[1:2]
	s_delay_alu instid0(VALU_DEP_1)
	v_dual_mov_b32 v0, v2 :: v_dual_mov_b32 v1, v3
.LBB151_228:
	s_waitcnt lgkmcnt(0)
	global_load_u16 v1, v1, s[6:7]
	s_mov_b32 s2, 0x395133b1
	s_waitcnt vmcnt(0)
	v_lshlrev_b32_e32 v1, 16, v1
	s_delay_alu instid0(VALU_DEP_1) | instskip(NEXT) | instid1(VALU_DEP_1)
	v_mul_f32_e32 v2, 0x3fb8aa3b, v1
	v_rndne_f32_e32 v2, v2
	s_delay_alu instid0(VALU_DEP_1) | instskip(SKIP_2) | instid1(VALU_DEP_3)
	v_fmamk_f32 v3, v2, 0xbf317218, v1
	v_cvt_i32_f32_e32 v5, v2
	v_cmp_eq_f32_e32 vcc_lo, 0x43000000, v2
	v_fmamk_f32 v3, v2, 0x3102e308, v3
	s_delay_alu instid0(VALU_DEP_3) | instskip(NEXT) | instid1(VALU_DEP_2)
	v_cndmask_b32_e64 v2, v5, 0x7f, vcc_lo
	v_fmaak_f32 v4, s2, v3, 0x3ab69700
	s_delay_alu instid0(VALU_DEP_2) | instskip(NEXT) | instid1(VALU_DEP_2)
	v_ldexp_f32 v2, 1.0, v2
	v_fmaak_f32 v4, v3, v4, 0x3c0887f9
	s_delay_alu instid0(VALU_DEP_1) | instskip(NEXT) | instid1(VALU_DEP_1)
	v_fmaak_f32 v4, v3, v4, 0x3d2aaa81
	v_fmaak_f32 v4, v3, v4, 0x3e2aaaab
	s_delay_alu instid0(VALU_DEP_1) | instskip(NEXT) | instid1(VALU_DEP_1)
	v_fma_f32 v4, v3, v4, 0.5
	v_mul_f32_e32 v4, v3, v4
	s_delay_alu instid0(VALU_DEP_1) | instskip(NEXT) | instid1(VALU_DEP_1)
	v_dual_fmac_f32 v3, v3, v4 :: v_dual_add_f32 v4, -1.0, v2
	v_fmac_f32_e32 v4, v2, v3
	s_delay_alu instid0(VALU_DEP_1) | instskip(NEXT) | instid1(VALU_DEP_1)
	v_add_f32_e32 v2, v4, v4
	v_cndmask_b32_e32 v2, v4, v2, vcc_lo
	v_cmp_nlt_f32_e32 vcc_lo, 0x42b17217, v1
	s_delay_alu instid0(VALU_DEP_2) | instskip(SKIP_1) | instid1(VALU_DEP_2)
	v_cndmask_b32_e32 v2, 0x7f800000, v2, vcc_lo
	v_cmp_ngt_f32_e32 vcc_lo, 0xc1880000, v1
	v_cndmask_b32_e32 v1, -1.0, v2, vcc_lo
	s_delay_alu instid0(VALU_DEP_1) | instskip(SKIP_1) | instid1(VALU_DEP_2)
	v_bfe_u32 v2, v1, 16, 1
	v_cmp_o_f32_e32 vcc_lo, v1, v1
	v_add3_u32 v2, v1, v2, 0x7fff
	s_delay_alu instid0(VALU_DEP_1) | instskip(NEXT) | instid1(VALU_DEP_1)
	v_lshrrev_b32_e32 v2, 16, v2
	v_cndmask_b32_e32 v1, 0x7fc0, v2, vcc_lo
	global_store_b16 v0, v1, s[4:5]
	s_or_b32 exec_lo, exec_lo, s20
                                        ; implicit-def: $vgpr16
                                        ; implicit-def: $vgpr11
	s_and_not1_saveexec_b32 s2, s25
	s_cbranch_execz .LBB151_206
	s_branch .LBB151_8
	.section	.rodata,"a",@progbits
	.p2align	6, 0x0
	.amdhsa_kernel _ZN2at6native32elementwise_kernel_manual_unrollILi128ELi8EZNS0_22gpu_kernel_impl_nocastIZZZNS0_17expm1_kernel_cudaERNS_18TensorIteratorBaseEENKUlvE_clEvENKUlvE3_clEvEUlN3c108BFloat16EE_EEvS4_RKT_EUlibE_EEviT1_
		.amdhsa_group_segment_fixed_size 0
		.amdhsa_private_segment_fixed_size 0
		.amdhsa_kernarg_size 360
		.amdhsa_user_sgpr_count 15
		.amdhsa_user_sgpr_dispatch_ptr 0
		.amdhsa_user_sgpr_queue_ptr 0
		.amdhsa_user_sgpr_kernarg_segment_ptr 1
		.amdhsa_user_sgpr_dispatch_id 0
		.amdhsa_user_sgpr_private_segment_size 0
		.amdhsa_wavefront_size32 1
		.amdhsa_uses_dynamic_stack 0
		.amdhsa_enable_private_segment 0
		.amdhsa_system_sgpr_workgroup_id_x 1
		.amdhsa_system_sgpr_workgroup_id_y 0
		.amdhsa_system_sgpr_workgroup_id_z 0
		.amdhsa_system_sgpr_workgroup_info 0
		.amdhsa_system_vgpr_workitem_id 0
		.amdhsa_next_free_vgpr 48
		.amdhsa_next_free_sgpr 56
		.amdhsa_reserve_vcc 1
		.amdhsa_float_round_mode_32 0
		.amdhsa_float_round_mode_16_64 0
		.amdhsa_float_denorm_mode_32 3
		.amdhsa_float_denorm_mode_16_64 3
		.amdhsa_dx10_clamp 1
		.amdhsa_ieee_mode 1
		.amdhsa_fp16_overflow 0
		.amdhsa_workgroup_processor_mode 1
		.amdhsa_memory_ordered 1
		.amdhsa_forward_progress 0
		.amdhsa_shared_vgpr_count 0
		.amdhsa_exception_fp_ieee_invalid_op 0
		.amdhsa_exception_fp_denorm_src 0
		.amdhsa_exception_fp_ieee_div_zero 0
		.amdhsa_exception_fp_ieee_overflow 0
		.amdhsa_exception_fp_ieee_underflow 0
		.amdhsa_exception_fp_ieee_inexact 0
		.amdhsa_exception_int_div_zero 0
	.end_amdhsa_kernel
	.section	.text._ZN2at6native32elementwise_kernel_manual_unrollILi128ELi8EZNS0_22gpu_kernel_impl_nocastIZZZNS0_17expm1_kernel_cudaERNS_18TensorIteratorBaseEENKUlvE_clEvENKUlvE3_clEvEUlN3c108BFloat16EE_EEvS4_RKT_EUlibE_EEviT1_,"axG",@progbits,_ZN2at6native32elementwise_kernel_manual_unrollILi128ELi8EZNS0_22gpu_kernel_impl_nocastIZZZNS0_17expm1_kernel_cudaERNS_18TensorIteratorBaseEENKUlvE_clEvENKUlvE3_clEvEUlN3c108BFloat16EE_EEvS4_RKT_EUlibE_EEviT1_,comdat
.Lfunc_end151:
	.size	_ZN2at6native32elementwise_kernel_manual_unrollILi128ELi8EZNS0_22gpu_kernel_impl_nocastIZZZNS0_17expm1_kernel_cudaERNS_18TensorIteratorBaseEENKUlvE_clEvENKUlvE3_clEvEUlN3c108BFloat16EE_EEvS4_RKT_EUlibE_EEviT1_, .Lfunc_end151-_ZN2at6native32elementwise_kernel_manual_unrollILi128ELi8EZNS0_22gpu_kernel_impl_nocastIZZZNS0_17expm1_kernel_cudaERNS_18TensorIteratorBaseEENKUlvE_clEvENKUlvE3_clEvEUlN3c108BFloat16EE_EEvS4_RKT_EUlibE_EEviT1_
                                        ; -- End function
	.section	.AMDGPU.csdata,"",@progbits
; Kernel info:
; codeLenInByte = 17180
; NumSgprs: 58
; NumVgprs: 48
; ScratchSize: 0
; MemoryBound: 0
; FloatMode: 240
; IeeeMode: 1
; LDSByteSize: 0 bytes/workgroup (compile time only)
; SGPRBlocks: 7
; VGPRBlocks: 5
; NumSGPRsForWavesPerEU: 58
; NumVGPRsForWavesPerEU: 48
; Occupancy: 16
; WaveLimiterHint : 1
; COMPUTE_PGM_RSRC2:SCRATCH_EN: 0
; COMPUTE_PGM_RSRC2:USER_SGPR: 15
; COMPUTE_PGM_RSRC2:TRAP_HANDLER: 0
; COMPUTE_PGM_RSRC2:TGID_X_EN: 1
; COMPUTE_PGM_RSRC2:TGID_Y_EN: 0
; COMPUTE_PGM_RSRC2:TGID_Z_EN: 0
; COMPUTE_PGM_RSRC2:TIDIG_COMP_CNT: 0
	.section	.text._ZN2at6native32elementwise_kernel_manual_unrollILi128ELi4EZNS0_15gpu_kernel_implIZZZNS0_17expm1_kernel_cudaERNS_18TensorIteratorBaseEENKUlvE_clEvENKUlvE3_clEvEUlN3c108BFloat16EE_EEvS4_RKT_EUlibE_EEviT1_,"axG",@progbits,_ZN2at6native32elementwise_kernel_manual_unrollILi128ELi4EZNS0_15gpu_kernel_implIZZZNS0_17expm1_kernel_cudaERNS_18TensorIteratorBaseEENKUlvE_clEvENKUlvE3_clEvEUlN3c108BFloat16EE_EEvS4_RKT_EUlibE_EEviT1_,comdat
	.globl	_ZN2at6native32elementwise_kernel_manual_unrollILi128ELi4EZNS0_15gpu_kernel_implIZZZNS0_17expm1_kernel_cudaERNS_18TensorIteratorBaseEENKUlvE_clEvENKUlvE3_clEvEUlN3c108BFloat16EE_EEvS4_RKT_EUlibE_EEviT1_ ; -- Begin function _ZN2at6native32elementwise_kernel_manual_unrollILi128ELi4EZNS0_15gpu_kernel_implIZZZNS0_17expm1_kernel_cudaERNS_18TensorIteratorBaseEENKUlvE_clEvENKUlvE3_clEvEUlN3c108BFloat16EE_EEvS4_RKT_EUlibE_EEviT1_
	.p2align	8
	.type	_ZN2at6native32elementwise_kernel_manual_unrollILi128ELi4EZNS0_15gpu_kernel_implIZZZNS0_17expm1_kernel_cudaERNS_18TensorIteratorBaseEENKUlvE_clEvENKUlvE3_clEvEUlN3c108BFloat16EE_EEvS4_RKT_EUlibE_EEviT1_,@function
_ZN2at6native32elementwise_kernel_manual_unrollILi128ELi4EZNS0_15gpu_kernel_implIZZZNS0_17expm1_kernel_cudaERNS_18TensorIteratorBaseEENKUlvE_clEvENKUlvE3_clEvEUlN3c108BFloat16EE_EEvS4_RKT_EUlibE_EEviT1_: ; @_ZN2at6native32elementwise_kernel_manual_unrollILi128ELi4EZNS0_15gpu_kernel_implIZZZNS0_17expm1_kernel_cudaERNS_18TensorIteratorBaseEENKUlvE_clEvENKUlvE3_clEvEUlN3c108BFloat16EE_EEvS4_RKT_EUlibE_EEviT1_
; %bb.0:
	v_mov_b32_e32 v1, 0
	s_clause 0x2
	s_load_b32 s10, s[0:1], 0x0
	s_load_b64 s[2:3], s[0:1], 0x18
	s_load_b128 s[4:7], s[0:1], 0x8
	v_lshl_or_b32 v3, s15, 9, v0
	s_mov_b32 s9, 0
	global_load_u16 v2, v1, s[0:1] offset:33
	s_mov_b32 s1, 0
	v_or_b32_e32 v0, 0x180, v3
	s_mov_b32 s0, exec_lo
	s_waitcnt vmcnt(0)
	v_lshrrev_b16 v4, 8, v2
	s_waitcnt lgkmcnt(0)
	v_cmpx_le_i32_e64 s10, v0
	s_xor_b32 s8, exec_lo, s0
	s_cbranch_execz .LBB152_1033
; %bb.1:
	s_mov_b32 s15, -1
	s_mov_b32 s13, 0
	s_mov_b32 s11, 0
	s_mov_b32 s12, exec_lo
	v_cmpx_gt_i32_e64 s10, v3
	s_cbranch_execz .LBB152_252
; %bb.2:
	v_mul_lo_u32 v0, v3, s3
	v_cmp_gt_i16_e32 vcc_lo, 11, v4
	s_delay_alu instid0(VALU_DEP_2) | instskip(SKIP_1) | instid1(VALU_DEP_1)
	v_ashrrev_i32_e32 v1, 31, v0
	v_add_co_u32 v0, s0, s6, v0
	v_add_co_ci_u32_e64 v1, s0, s7, v1, s0
	s_cbranch_vccnz .LBB152_9
; %bb.3:
	v_cmp_lt_i16_e32 vcc_lo, 25, v4
	s_cbranch_vccz .LBB152_18
; %bb.4:
	v_cmp_lt_i16_e32 vcc_lo, 28, v4
	s_cbranch_vccz .LBB152_21
	;; [unrolled: 3-line block ×4, first 2 shown]
; %bb.7:
	v_cmp_eq_u16_e32 vcc_lo, 46, v4
	s_cbranch_vccz .LBB152_27
; %bb.8:
	global_load_b32 v5, v[0:1], off
	s_mov_b32 s0, -1
	s_branch .LBB152_29
.LBB152_9:
	s_mov_b32 s0, 0
                                        ; implicit-def: $vgpr5
	s_cbranch_execnz .LBB152_202
.LBB152_10:
	s_and_not1_b32 vcc_lo, exec_lo, s0
	s_cbranch_vccnz .LBB152_249
.LBB152_11:
	s_waitcnt vmcnt(0)
	s_delay_alu instid0(VALU_DEP_1) | instskip(SKIP_1) | instid1(VALU_DEP_1)
	v_lshlrev_b32_e32 v0, 16, v5
	s_mov_b32 s0, 0x395133b1
	v_mul_f32_e32 v1, 0x3fb8aa3b, v0
	s_delay_alu instid0(VALU_DEP_1) | instskip(NEXT) | instid1(VALU_DEP_1)
	v_rndne_f32_e32 v1, v1
	v_fmamk_f32 v5, v1, 0xbf317218, v0
	v_cvt_i32_f32_e32 v7, v1
	v_cmp_eq_f32_e32 vcc_lo, 0x43000000, v1
	s_delay_alu instid0(VALU_DEP_3) | instskip(NEXT) | instid1(VALU_DEP_3)
	v_fmamk_f32 v5, v1, 0x3102e308, v5
	v_cndmask_b32_e64 v1, v7, 0x7f, vcc_lo
	s_delay_alu instid0(VALU_DEP_2) | instskip(NEXT) | instid1(VALU_DEP_2)
	v_fmaak_f32 v6, s0, v5, 0x3ab69700
	v_ldexp_f32 v1, 1.0, v1
	s_delay_alu instid0(VALU_DEP_1) | instskip(NEXT) | instid1(VALU_DEP_1)
	v_dual_fmaak_f32 v6, v5, v6, 0x3c0887f9 :: v_dual_add_f32 v7, -1.0, v1
	v_fmaak_f32 v6, v5, v6, 0x3d2aaa81
	s_delay_alu instid0(VALU_DEP_1) | instskip(NEXT) | instid1(VALU_DEP_1)
	v_fmaak_f32 v6, v5, v6, 0x3e2aaaab
	v_fma_f32 v6, v5, v6, 0.5
	s_delay_alu instid0(VALU_DEP_1) | instskip(NEXT) | instid1(VALU_DEP_1)
	v_mul_f32_e32 v6, v5, v6
	v_fmac_f32_e32 v5, v5, v6
	s_delay_alu instid0(VALU_DEP_1) | instskip(SKIP_1) | instid1(VALU_DEP_2)
	v_fmac_f32_e32 v7, v1, v5
	v_and_b32_e32 v5, 0xff, v2
	v_add_f32_e32 v1, v7, v7
	s_delay_alu instid0(VALU_DEP_1) | instskip(SKIP_1) | instid1(VALU_DEP_2)
	v_cndmask_b32_e32 v1, v7, v1, vcc_lo
	v_cmp_nlt_f32_e32 vcc_lo, 0x42b17217, v0
	v_cndmask_b32_e32 v1, 0x7f800000, v1, vcc_lo
	v_cmp_ngt_f32_e32 vcc_lo, 0xc1880000, v0
	s_delay_alu instid0(VALU_DEP_2) | instskip(SKIP_2) | instid1(VALU_DEP_3)
	v_cndmask_b32_e32 v6, -1.0, v1, vcc_lo
	v_mul_lo_u32 v1, v3, s2
	v_cmp_gt_i16_e32 vcc_lo, 11, v5
	v_bfe_u32 v0, v6, 16, 1
	s_and_b32 vcc_lo, exec_lo, vcc_lo
	s_delay_alu instid0(VALU_DEP_3) | instskip(NEXT) | instid1(VALU_DEP_2)
	v_ashrrev_i32_e32 v7, 31, v1
	v_add3_u32 v0, v6, v0, 0x7fff
	s_delay_alu instid0(VALU_DEP_1) | instskip(SKIP_1) | instid1(VALU_DEP_1)
	v_lshrrev_b32_e32 v8, 16, v0
	v_add_co_u32 v0, s0, s4, v1
	v_add_co_ci_u32_e64 v1, s0, s5, v7, s0
	v_cmp_o_f32_e64 s0, v6, v6
	s_delay_alu instid0(VALU_DEP_1)
	v_cndmask_b32_e64 v6, 0x7fc0, v8, s0
	s_cbranch_vccnz .LBB152_19
; %bb.12:
	v_cmp_lt_i16_e32 vcc_lo, 25, v5
	s_cbranch_vccz .LBB152_22
; %bb.13:
	v_cmp_lt_i16_e32 vcc_lo, 28, v5
	s_cbranch_vccz .LBB152_24
	;; [unrolled: 3-line block ×4, first 2 shown]
; %bb.16:
	v_cmp_eq_u16_e32 vcc_lo, 46, v5
	s_mov_b32 s14, 0
	s_mov_b32 s0, -1
	s_mov_b32 s9, 0
	s_cbranch_vccz .LBB152_33
; %bb.17:
	v_and_b32_e32 v7, 0xffff, v6
	s_mov_b32 s9, -1
	s_mov_b32 s0, 0
	global_store_b32 v[0:1], v7, off
	s_branch .LBB152_33
.LBB152_18:
	s_mov_b32 s0, 0
                                        ; implicit-def: $vgpr5
	s_cbranch_execnz .LBB152_167
	s_branch .LBB152_201
.LBB152_19:
	s_mov_b32 s0, 0
	s_mov_b32 s9, 0
	s_cbranch_execnz .LBB152_102
.LBB152_20:
	s_and_not1_b32 vcc_lo, exec_lo, s9
	s_cbranch_vccnz .LBB152_250
	s_branch .LBB152_140
.LBB152_21:
	s_mov_b32 s9, -1
	s_mov_b32 s0, 0
                                        ; implicit-def: $vgpr5
	s_branch .LBB152_148
.LBB152_22:
	s_mov_b32 s14, -1
	s_mov_b32 s0, 0
	s_mov_b32 s9, 0
	s_branch .LBB152_60
.LBB152_23:
	s_mov_b32 s9, -1
	s_mov_b32 s0, 0
                                        ; implicit-def: $vgpr5
	s_branch .LBB152_143
.LBB152_24:
	s_mov_b32 s14, -1
	s_mov_b32 s0, 0
	s_mov_b32 s9, 0
	s_branch .LBB152_43
.LBB152_25:
	s_mov_b32 s9, -1
	s_branch .LBB152_28
.LBB152_26:
	s_mov_b32 s14, -1
	s_mov_b32 s0, 0
	s_mov_b32 s9, 0
	s_branch .LBB152_39
.LBB152_27:
	s_mov_b32 s11, -1
.LBB152_28:
	s_mov_b32 s0, 0
                                        ; implicit-def: $vgpr5
.LBB152_29:
	s_and_b32 vcc_lo, exec_lo, s9
	s_cbranch_vccz .LBB152_142
; %bb.30:
	v_cmp_eq_u16_e32 vcc_lo, 44, v4
	s_cbranch_vccz .LBB152_141
; %bb.31:
	global_load_u8 v5, v[0:1], off
	s_mov_b32 s11, 0
	s_mov_b32 s0, -1
	s_waitcnt vmcnt(0)
	v_lshlrev_b32_e32 v6, 23, v5
	v_cmp_ne_u32_e32 vcc_lo, 0xff, v5
	s_delay_alu instid0(VALU_DEP_2) | instskip(SKIP_1) | instid1(VALU_DEP_2)
	v_cndmask_b32_e32 v6, 0x7f800001, v6, vcc_lo
	v_cmp_ne_u32_e32 vcc_lo, 0, v5
	v_cndmask_b32_e32 v5, 0x400000, v6, vcc_lo
	s_delay_alu instid0(VALU_DEP_1) | instskip(SKIP_1) | instid1(VALU_DEP_2)
	v_add_nc_u32_e32 v6, 0x7fff, v5
	v_cmp_o_f32_e32 vcc_lo, v5, v5
	v_lshrrev_b32_e32 v6, 16, v6
	s_delay_alu instid0(VALU_DEP_1)
	v_cndmask_b32_e32 v5, 0x7fc0, v6, vcc_lo
	s_branch .LBB152_142
.LBB152_32:
	s_mov_b32 s14, -1
	s_mov_b32 s0, 0
	s_mov_b32 s9, 0
.LBB152_33:
	s_and_b32 vcc_lo, exec_lo, s14
	s_cbranch_vccz .LBB152_38
; %bb.34:
	v_cmp_eq_u16_e32 vcc_lo, 44, v5
	s_mov_b32 s0, -1
	s_cbranch_vccz .LBB152_38
; %bb.35:
	v_and_b32_e32 v7, 0xffff, v6
	v_mov_b32_e32 v8, 0xff
	s_mov_b32 s9, exec_lo
	s_delay_alu instid0(VALU_DEP_2) | instskip(NEXT) | instid1(VALU_DEP_1)
	v_bfe_u32 v9, v7, 7, 8
	v_cmpx_ne_u32_e32 0xff, v9
; %bb.36:
	v_lshlrev_b32_e32 v8, 16, v7
	v_and_b32_e32 v10, 64, v7
	v_lshrrev_b32_e32 v7, 7, v7
	s_delay_alu instid0(VALU_DEP_3) | instskip(NEXT) | instid1(VALU_DEP_3)
	v_and_or_b32 v8, 0x3f0000, v8, v9
	v_cmp_ne_u32_e32 vcc_lo, 0, v10
	s_delay_alu instid0(VALU_DEP_2) | instskip(NEXT) | instid1(VALU_DEP_1)
	v_cmp_ne_u32_e64 s0, 0, v8
	s_and_b32 s0, vcc_lo, s0
	s_delay_alu instid0(SALU_CYCLE_1) | instskip(NEXT) | instid1(VALU_DEP_1)
	v_cndmask_b32_e64 v8, 0, 1, s0
	v_add_nc_u32_e32 v8, v7, v8
; %bb.37:
	s_or_b32 exec_lo, exec_lo, s9
	s_mov_b32 s9, -1
	s_mov_b32 s0, 0
	global_store_b8 v[0:1], v8, off
.LBB152_38:
	s_mov_b32 s14, 0
.LBB152_39:
	s_delay_alu instid0(SALU_CYCLE_1)
	s_and_b32 vcc_lo, exec_lo, s14
	s_cbranch_vccz .LBB152_42
; %bb.40:
	v_cmp_eq_u16_e32 vcc_lo, 29, v5
	s_mov_b32 s0, -1
	s_cbranch_vccz .LBB152_42
; %bb.41:
	v_lshlrev_b32_e32 v7, 16, v6
	s_mov_b32 s9, -1
	s_mov_b32 s0, 0
	s_mov_b32 s14, 0
	s_delay_alu instid0(VALU_DEP_1) | instskip(NEXT) | instid1(VALU_DEP_1)
	v_trunc_f32_e32 v7, v7
	v_mul_f32_e32 v8, 0x2f800000, v7
	s_delay_alu instid0(VALU_DEP_1) | instskip(NEXT) | instid1(VALU_DEP_1)
	v_floor_f32_e32 v8, v8
	v_fmamk_f32 v7, v8, 0xcf800000, v7
	v_cvt_u32_f32_e32 v8, v8
	s_delay_alu instid0(VALU_DEP_2)
	v_cvt_u32_f32_e32 v7, v7
	global_store_b64 v[0:1], v[7:8], off
	s_branch .LBB152_43
.LBB152_42:
	s_mov_b32 s14, 0
.LBB152_43:
	s_delay_alu instid0(SALU_CYCLE_1)
	s_and_b32 vcc_lo, exec_lo, s14
	s_cbranch_vccz .LBB152_59
; %bb.44:
	v_cmp_gt_i16_e32 vcc_lo, 27, v5
	s_mov_b32 s9, -1
	s_cbranch_vccnz .LBB152_50
; %bb.45:
	v_cmp_lt_i16_e32 vcc_lo, 27, v5
	s_cbranch_vccz .LBB152_47
; %bb.46:
	v_lshlrev_b32_e32 v7, 16, v6
	s_mov_b32 s9, 0
	s_delay_alu instid0(VALU_DEP_1)
	v_cvt_u32_f32_e32 v7, v7
	global_store_b32 v[0:1], v7, off
.LBB152_47:
	s_and_not1_b32 vcc_lo, exec_lo, s9
	s_cbranch_vccnz .LBB152_49
; %bb.48:
	v_lshlrev_b32_e32 v7, 16, v6
	s_delay_alu instid0(VALU_DEP_1)
	v_cvt_u32_f32_e32 v7, v7
	global_store_b16 v[0:1], v7, off
.LBB152_49:
	s_mov_b32 s9, 0
.LBB152_50:
	s_delay_alu instid0(SALU_CYCLE_1)
	s_and_not1_b32 vcc_lo, exec_lo, s9
	s_cbranch_vccnz .LBB152_58
; %bb.51:
	v_dual_mov_b32 v10, 0x80 :: v_dual_lshlrev_b32 v9, 16, v6
	s_mov_b32 s9, exec_lo
	s_delay_alu instid0(VALU_DEP_1) | instskip(NEXT) | instid1(VALU_DEP_1)
	v_and_b32_e32 v8, 0x7fffffff, v9
	v_cmpx_gt_u32_e32 0x43800000, v8
	s_cbranch_execz .LBB152_57
; %bb.52:
	v_and_b32_e32 v7, 0xffff, v6
	v_cmp_lt_u32_e32 vcc_lo, 0x3bffffff, v8
	s_mov_b32 s14, 0
                                        ; implicit-def: $vgpr8
	s_and_saveexec_b32 s15, vcc_lo
	s_delay_alu instid0(SALU_CYCLE_1)
	s_xor_b32 s15, exec_lo, s15
	s_cbranch_execz .LBB152_276
; %bb.53:
	v_bfe_u32 v8, v7, 4, 1
	s_mov_b32 s14, exec_lo
	s_delay_alu instid0(VALU_DEP_1) | instskip(NEXT) | instid1(VALU_DEP_1)
	v_add3_u32 v8, v9, v8, 0x487ffff
                                        ; implicit-def: $vgpr9
	v_lshrrev_b32_e32 v8, 20, v8
	s_or_saveexec_b32 s15, s15
                                        ; implicit-def: $sgpr16
	s_delay_alu instid0(SALU_CYCLE_1)
	s_xor_b32 exec_lo, exec_lo, s15
	s_cbranch_execnz .LBB152_277
.LBB152_54:
	s_or_b32 exec_lo, exec_lo, s15
	v_mov_b32_e32 v10, s16
	s_and_saveexec_b32 s15, s14
.LBB152_55:
	v_lshrrev_b32_e32 v7, 8, v7
	s_delay_alu instid0(VALU_DEP_1)
	v_and_or_b32 v10, 0x80, v7, v8
.LBB152_56:
	s_or_b32 exec_lo, exec_lo, s15
.LBB152_57:
	s_delay_alu instid0(SALU_CYCLE_1)
	s_or_b32 exec_lo, exec_lo, s9
	global_store_b8 v[0:1], v10, off
.LBB152_58:
	s_mov_b32 s9, -1
.LBB152_59:
	s_mov_b32 s14, 0
.LBB152_60:
	s_delay_alu instid0(SALU_CYCLE_1)
	s_and_b32 vcc_lo, exec_lo, s14
	s_cbranch_vccz .LBB152_101
; %bb.61:
	v_cmp_lt_i16_e32 vcc_lo, 22, v5
	s_mov_b32 s14, -1
	s_cbranch_vccz .LBB152_93
; %bb.62:
	v_cmp_gt_i16_e32 vcc_lo, 24, v5
	s_mov_b32 s9, -1
	s_cbranch_vccnz .LBB152_82
; %bb.63:
	v_cmp_lt_i16_e32 vcc_lo, 24, v5
	s_cbranch_vccz .LBB152_71
; %bb.64:
	v_dual_mov_b32 v10, 0x80 :: v_dual_lshlrev_b32 v9, 16, v6
	s_mov_b32 s9, exec_lo
	s_delay_alu instid0(VALU_DEP_1) | instskip(NEXT) | instid1(VALU_DEP_1)
	v_and_b32_e32 v8, 0x7fffffff, v9
	v_cmpx_gt_u32_e32 0x47800000, v8
	s_cbranch_execz .LBB152_70
; %bb.65:
	v_and_b32_e32 v7, 0xffff, v6
	v_cmp_lt_u32_e32 vcc_lo, 0x37ffffff, v8
	s_mov_b32 s14, 0
                                        ; implicit-def: $vgpr8
	s_and_saveexec_b32 s15, vcc_lo
	s_delay_alu instid0(SALU_CYCLE_1)
	s_xor_b32 s15, exec_lo, s15
	s_cbranch_execz .LBB152_280
; %bb.66:
	v_bfe_u32 v8, v7, 5, 1
	s_mov_b32 s14, exec_lo
	s_delay_alu instid0(VALU_DEP_1) | instskip(NEXT) | instid1(VALU_DEP_1)
	v_add3_u32 v8, v9, v8, 0x88fffff
                                        ; implicit-def: $vgpr9
	v_lshrrev_b32_e32 v8, 21, v8
	s_or_saveexec_b32 s15, s15
                                        ; implicit-def: $sgpr16
	s_delay_alu instid0(SALU_CYCLE_1)
	s_xor_b32 exec_lo, exec_lo, s15
	s_cbranch_execnz .LBB152_281
.LBB152_67:
	s_or_b32 exec_lo, exec_lo, s15
	v_mov_b32_e32 v10, s16
	s_and_saveexec_b32 s15, s14
.LBB152_68:
	v_lshrrev_b32_e32 v7, 8, v7
	s_delay_alu instid0(VALU_DEP_1)
	v_and_or_b32 v10, 0x80, v7, v8
.LBB152_69:
	s_or_b32 exec_lo, exec_lo, s15
.LBB152_70:
	s_delay_alu instid0(SALU_CYCLE_1)
	s_or_b32 exec_lo, exec_lo, s9
	s_mov_b32 s9, 0
	global_store_b8 v[0:1], v10, off
.LBB152_71:
	s_and_b32 vcc_lo, exec_lo, s9
	s_cbranch_vccz .LBB152_81
; %bb.72:
	v_lshlrev_b32_e32 v9, 16, v6
	v_and_b32_e32 v7, 0xffff, v6
	s_mov_b32 s9, exec_lo
                                        ; implicit-def: $vgpr8
	s_delay_alu instid0(VALU_DEP_2) | instskip(NEXT) | instid1(VALU_DEP_1)
	v_and_b32_e32 v10, 0x7fffffff, v9
	v_cmpx_gt_u32_e32 0x43f00000, v10
	s_xor_b32 s9, exec_lo, s9
	s_cbranch_execz .LBB152_78
; %bb.73:
	s_mov_b32 s14, exec_lo
                                        ; implicit-def: $vgpr8
	v_cmpx_lt_u32_e32 0x3c7fffff, v10
	s_xor_b32 s14, exec_lo, s14
; %bb.74:
	v_bfe_u32 v8, v7, 4, 1
	s_delay_alu instid0(VALU_DEP_1) | instskip(NEXT) | instid1(VALU_DEP_1)
	v_add3_u32 v8, v9, v8, 0x407ffff
	v_and_b32_e32 v9, 0xff00000, v8
	v_lshrrev_b32_e32 v8, 20, v8
	s_delay_alu instid0(VALU_DEP_2) | instskip(NEXT) | instid1(VALU_DEP_2)
	v_cmp_ne_u32_e32 vcc_lo, 0x7f00000, v9
                                        ; implicit-def: $vgpr9
	v_cndmask_b32_e32 v8, 0x7e, v8, vcc_lo
; %bb.75:
	s_and_not1_saveexec_b32 s14, s14
; %bb.76:
	v_add_f32_e64 v8, 0x46800000, |v9|
; %bb.77:
	s_or_b32 exec_lo, exec_lo, s14
                                        ; implicit-def: $vgpr10
.LBB152_78:
	s_and_not1_saveexec_b32 s9, s9
; %bb.79:
	v_mov_b32_e32 v8, 0x7f
	v_cmp_lt_u32_e32 vcc_lo, 0x7f800000, v10
	s_delay_alu instid0(VALU_DEP_2)
	v_cndmask_b32_e32 v8, 0x7e, v8, vcc_lo
; %bb.80:
	s_or_b32 exec_lo, exec_lo, s9
	v_lshrrev_b32_e32 v7, 8, v7
	s_delay_alu instid0(VALU_DEP_1)
	v_and_or_b32 v7, 0x80, v7, v8
	global_store_b8 v[0:1], v7, off
.LBB152_81:
	s_mov_b32 s9, 0
.LBB152_82:
	s_delay_alu instid0(SALU_CYCLE_1)
	s_and_not1_b32 vcc_lo, exec_lo, s9
	s_cbranch_vccnz .LBB152_92
; %bb.83:
	v_lshlrev_b32_e32 v9, 16, v6
	v_and_b32_e32 v7, 0xffff, v6
	s_mov_b32 s9, exec_lo
                                        ; implicit-def: $vgpr8
	s_delay_alu instid0(VALU_DEP_2) | instskip(NEXT) | instid1(VALU_DEP_1)
	v_and_b32_e32 v10, 0x7fffffff, v9
	v_cmpx_gt_u32_e32 0x47800000, v10
	s_xor_b32 s9, exec_lo, s9
	s_cbranch_execz .LBB152_89
; %bb.84:
	s_mov_b32 s14, exec_lo
                                        ; implicit-def: $vgpr8
	v_cmpx_lt_u32_e32 0x387fffff, v10
	s_xor_b32 s14, exec_lo, s14
; %bb.85:
	v_bfe_u32 v8, v7, 5, 1
	s_delay_alu instid0(VALU_DEP_1) | instskip(NEXT) | instid1(VALU_DEP_1)
	v_add3_u32 v8, v9, v8, 0x80fffff
                                        ; implicit-def: $vgpr9
	v_lshrrev_b32_e32 v8, 21, v8
; %bb.86:
	s_and_not1_saveexec_b32 s14, s14
; %bb.87:
	v_add_f32_e64 v8, 0x43000000, |v9|
; %bb.88:
	s_or_b32 exec_lo, exec_lo, s14
                                        ; implicit-def: $vgpr10
.LBB152_89:
	s_and_not1_saveexec_b32 s9, s9
; %bb.90:
	v_mov_b32_e32 v8, 0x7f
	v_cmp_lt_u32_e32 vcc_lo, 0x7f800000, v10
	s_delay_alu instid0(VALU_DEP_2)
	v_cndmask_b32_e32 v8, 0x7c, v8, vcc_lo
; %bb.91:
	s_or_b32 exec_lo, exec_lo, s9
	v_lshrrev_b32_e32 v7, 8, v7
	s_delay_alu instid0(VALU_DEP_1)
	v_and_or_b32 v7, 0x80, v7, v8
	global_store_b8 v[0:1], v7, off
.LBB152_92:
	s_mov_b32 s14, 0
	s_mov_b32 s9, -1
.LBB152_93:
	s_and_not1_b32 vcc_lo, exec_lo, s14
	s_cbranch_vccnz .LBB152_101
; %bb.94:
	v_cmp_lt_i16_e32 vcc_lo, 14, v5
	s_mov_b32 s14, -1
	s_cbranch_vccz .LBB152_98
; %bb.95:
	v_cmp_eq_u16_e32 vcc_lo, 15, v5
	s_mov_b32 s0, -1
	s_cbranch_vccz .LBB152_97
; %bb.96:
	s_mov_b32 s9, -1
	s_mov_b32 s0, 0
	global_store_b16 v[0:1], v6, off
.LBB152_97:
	s_mov_b32 s14, 0
.LBB152_98:
	s_delay_alu instid0(SALU_CYCLE_1)
	s_and_b32 vcc_lo, exec_lo, s14
	s_cbranch_vccz .LBB152_101
; %bb.99:
	v_cmp_eq_u16_e32 vcc_lo, 11, v5
	s_mov_b32 s0, -1
	s_cbranch_vccz .LBB152_101
; %bb.100:
	v_and_b32_e32 v7, 0x7fff, v6
	s_mov_b32 s0, 0
	s_mov_b32 s9, -1
	s_delay_alu instid0(VALU_DEP_1)
	v_cmp_ne_u16_e32 vcc_lo, 0, v7
	v_cndmask_b32_e64 v7, 0, 1, vcc_lo
	global_store_b8 v[0:1], v7, off
.LBB152_101:
	s_branch .LBB152_20
.LBB152_102:
	v_cmp_gt_i16_e32 vcc_lo, 5, v5
	s_mov_b32 s9, -1
	s_cbranch_vccnz .LBB152_123
; %bb.103:
	v_cmp_gt_i16_e32 vcc_lo, 8, v5
	s_cbranch_vccnz .LBB152_113
; %bb.104:
	v_cmp_gt_i16_e32 vcc_lo, 9, v5
	s_cbranch_vccnz .LBB152_110
; %bb.105:
	v_cmp_lt_i16_e32 vcc_lo, 9, v5
	s_cbranch_vccz .LBB152_107
; %bb.106:
	v_mov_b32_e32 v9, 0
	v_lshlrev_b32_e32 v7, 16, v6
	s_mov_b32 s9, 0
	s_delay_alu instid0(VALU_DEP_2) | instskip(NEXT) | instid1(VALU_DEP_2)
	v_mov_b32_e32 v10, v9
	v_cvt_f64_f32_e32 v[7:8], v7
	global_store_b128 v[0:1], v[7:10], off
.LBB152_107:
	s_and_not1_b32 vcc_lo, exec_lo, s9
	s_cbranch_vccnz .LBB152_109
; %bb.108:
	v_dual_mov_b32 v8, 0 :: v_dual_lshlrev_b32 v7, 16, v6
	global_store_b64 v[0:1], v[7:8], off
.LBB152_109:
	s_mov_b32 s9, 0
.LBB152_110:
	s_delay_alu instid0(SALU_CYCLE_1)
	s_and_not1_b32 vcc_lo, exec_lo, s9
	s_cbranch_vccnz .LBB152_112
; %bb.111:
	v_lshlrev_b32_e32 v7, 16, v6
	s_delay_alu instid0(VALU_DEP_1) | instskip(NEXT) | instid1(VALU_DEP_1)
	v_cvt_f16_f32_e32 v7, v7
	v_and_b32_e32 v7, 0xffff, v7
	global_store_b32 v[0:1], v7, off
.LBB152_112:
	s_mov_b32 s9, 0
.LBB152_113:
	s_delay_alu instid0(SALU_CYCLE_1)
	s_and_not1_b32 vcc_lo, exec_lo, s9
	s_cbranch_vccnz .LBB152_122
; %bb.114:
	v_cmp_gt_i16_e32 vcc_lo, 6, v5
	s_mov_b32 s9, -1
	s_cbranch_vccnz .LBB152_120
; %bb.115:
	v_cmp_lt_i16_e32 vcc_lo, 6, v5
	s_cbranch_vccz .LBB152_117
; %bb.116:
	v_lshlrev_b32_e32 v7, 16, v6
	s_mov_b32 s9, 0
	s_delay_alu instid0(VALU_DEP_1)
	v_cvt_f64_f32_e32 v[7:8], v7
	global_store_b64 v[0:1], v[7:8], off
.LBB152_117:
	s_and_not1_b32 vcc_lo, exec_lo, s9
	s_cbranch_vccnz .LBB152_119
; %bb.118:
	v_lshlrev_b32_e32 v7, 16, v6
	global_store_b32 v[0:1], v7, off
.LBB152_119:
	s_mov_b32 s9, 0
.LBB152_120:
	s_delay_alu instid0(SALU_CYCLE_1)
	s_and_not1_b32 vcc_lo, exec_lo, s9
	s_cbranch_vccnz .LBB152_122
; %bb.121:
	v_lshlrev_b32_e32 v7, 16, v6
	s_delay_alu instid0(VALU_DEP_1)
	v_cvt_f16_f32_e32 v7, v7
	global_store_b16 v[0:1], v7, off
.LBB152_122:
	s_mov_b32 s9, 0
.LBB152_123:
	s_delay_alu instid0(SALU_CYCLE_1)
	s_and_not1_b32 vcc_lo, exec_lo, s9
	s_cbranch_vccnz .LBB152_139
; %bb.124:
	v_cmp_gt_i16_e32 vcc_lo, 2, v5
	s_mov_b32 s9, -1
	s_cbranch_vccnz .LBB152_134
; %bb.125:
	v_cmp_gt_i16_e32 vcc_lo, 3, v5
	s_cbranch_vccnz .LBB152_131
; %bb.126:
	v_cmp_lt_i16_e32 vcc_lo, 3, v5
	s_cbranch_vccz .LBB152_128
; %bb.127:
	v_lshlrev_b32_e32 v7, 16, v6
	s_mov_b32 s9, 0
	s_delay_alu instid0(VALU_DEP_1) | instskip(NEXT) | instid1(VALU_DEP_1)
	v_trunc_f32_e32 v7, v7
	v_mul_f32_e64 v8, 0x2f800000, |v7|
	v_ashrrev_i32_e32 v10, 31, v7
	s_delay_alu instid0(VALU_DEP_2) | instskip(NEXT) | instid1(VALU_DEP_1)
	v_floor_f32_e32 v8, v8
	v_fma_f32 v9, 0xcf800000, v8, |v7|
	v_cvt_u32_f32_e32 v8, v8
	s_delay_alu instid0(VALU_DEP_2) | instskip(NEXT) | instid1(VALU_DEP_2)
	v_cvt_u32_f32_e32 v7, v9
	v_xor_b32_e32 v8, v8, v10
	s_delay_alu instid0(VALU_DEP_2) | instskip(NEXT) | instid1(VALU_DEP_1)
	v_xor_b32_e32 v7, v7, v10
	v_sub_co_u32 v7, vcc_lo, v7, v10
	s_delay_alu instid0(VALU_DEP_3)
	v_sub_co_ci_u32_e32 v8, vcc_lo, v8, v10, vcc_lo
	global_store_b64 v[0:1], v[7:8], off
.LBB152_128:
	s_and_not1_b32 vcc_lo, exec_lo, s9
	s_cbranch_vccnz .LBB152_130
; %bb.129:
	v_lshlrev_b32_e32 v7, 16, v6
	s_delay_alu instid0(VALU_DEP_1)
	v_cvt_i32_f32_e32 v7, v7
	global_store_b32 v[0:1], v7, off
.LBB152_130:
	s_mov_b32 s9, 0
.LBB152_131:
	s_delay_alu instid0(SALU_CYCLE_1)
	s_and_not1_b32 vcc_lo, exec_lo, s9
	s_cbranch_vccnz .LBB152_133
; %bb.132:
	v_lshlrev_b32_e32 v7, 16, v6
	s_delay_alu instid0(VALU_DEP_1)
	v_cvt_i32_f32_e32 v7, v7
	global_store_b16 v[0:1], v7, off
.LBB152_133:
	s_mov_b32 s9, 0
.LBB152_134:
	s_delay_alu instid0(SALU_CYCLE_1)
	s_and_not1_b32 vcc_lo, exec_lo, s9
	s_cbranch_vccnz .LBB152_139
; %bb.135:
	v_cmp_lt_i16_e32 vcc_lo, 0, v5
	v_lshlrev_b32_e32 v5, 16, v6
	s_mov_b32 s9, -1
	s_cbranch_vccz .LBB152_137
; %bb.136:
	s_delay_alu instid0(VALU_DEP_1)
	v_cvt_i32_f32_e32 v6, v5
	s_mov_b32 s9, 0
	global_store_b8 v[0:1], v6, off
.LBB152_137:
	s_and_not1_b32 vcc_lo, exec_lo, s9
	s_cbranch_vccnz .LBB152_139
; %bb.138:
	v_trunc_f32_e32 v5, v5
	s_delay_alu instid0(VALU_DEP_1) | instskip(NEXT) | instid1(VALU_DEP_1)
	v_mul_f32_e64 v6, 0x2f800000, |v5|
	v_floor_f32_e32 v6, v6
	s_delay_alu instid0(VALU_DEP_1) | instskip(SKIP_1) | instid1(VALU_DEP_2)
	v_fma_f32 v6, 0xcf800000, v6, |v5|
	v_ashrrev_i32_e32 v5, 31, v5
	v_cvt_u32_f32_e32 v6, v6
	s_delay_alu instid0(VALU_DEP_1) | instskip(NEXT) | instid1(VALU_DEP_1)
	v_xor_b32_e32 v6, v6, v5
	v_sub_nc_u32_e32 v5, v6, v5
	global_store_b8 v[0:1], v5, off
.LBB152_139:
.LBB152_140:
	v_add_nc_u32_e32 v3, 0x80, v3
	s_mov_b32 s14, -1
	s_branch .LBB152_251
.LBB152_141:
	s_mov_b32 s11, -1
                                        ; implicit-def: $vgpr5
.LBB152_142:
	s_mov_b32 s9, 0
.LBB152_143:
	s_delay_alu instid0(SALU_CYCLE_1)
	s_and_b32 vcc_lo, exec_lo, s9
	s_cbranch_vccz .LBB152_147
; %bb.144:
	v_cmp_eq_u16_e32 vcc_lo, 29, v4
	s_cbranch_vccz .LBB152_146
; %bb.145:
	global_load_b64 v[5:6], v[0:1], off
	s_mov_b32 s0, -1
	s_mov_b32 s11, 0
	s_mov_b32 s9, 0
	s_waitcnt vmcnt(0)
	v_clz_i32_u32_e32 v7, v6
	s_delay_alu instid0(VALU_DEP_1) | instskip(NEXT) | instid1(VALU_DEP_1)
	v_min_u32_e32 v7, 32, v7
	v_lshlrev_b64 v[5:6], v7, v[5:6]
	s_delay_alu instid0(VALU_DEP_1) | instskip(NEXT) | instid1(VALU_DEP_1)
	v_min_u32_e32 v5, 1, v5
	v_or_b32_e32 v5, v6, v5
	v_sub_nc_u32_e32 v6, 32, v7
	s_delay_alu instid0(VALU_DEP_2) | instskip(NEXT) | instid1(VALU_DEP_1)
	v_cvt_f32_u32_e32 v5, v5
	v_ldexp_f32 v5, v5, v6
	s_delay_alu instid0(VALU_DEP_1) | instskip(NEXT) | instid1(VALU_DEP_1)
	v_bfe_u32 v6, v5, 16, 1
	v_add3_u32 v5, v5, v6, 0x7fff
	s_delay_alu instid0(VALU_DEP_1)
	v_lshrrev_b32_e32 v5, 16, v5
	s_branch .LBB152_148
.LBB152_146:
	s_mov_b32 s11, -1
                                        ; implicit-def: $vgpr5
.LBB152_147:
	s_mov_b32 s9, 0
.LBB152_148:
	s_delay_alu instid0(SALU_CYCLE_1)
	s_and_b32 vcc_lo, exec_lo, s9
	s_cbranch_vccz .LBB152_166
; %bb.149:
	v_cmp_gt_i16_e32 vcc_lo, 27, v4
	s_cbranch_vccnz .LBB152_152
; %bb.150:
	v_cmp_lt_i16_e32 vcc_lo, 27, v4
	s_cbranch_vccz .LBB152_153
; %bb.151:
	global_load_b32 v5, v[0:1], off
	s_mov_b32 s0, 0
	s_waitcnt vmcnt(0)
	v_cvt_f32_u32_e32 v5, v5
	s_delay_alu instid0(VALU_DEP_1) | instskip(NEXT) | instid1(VALU_DEP_1)
	v_bfe_u32 v6, v5, 16, 1
	v_add3_u32 v5, v5, v6, 0x7fff
	s_delay_alu instid0(VALU_DEP_1)
	v_lshrrev_b32_e32 v5, 16, v5
	s_branch .LBB152_154
.LBB152_152:
	s_mov_b32 s0, -1
                                        ; implicit-def: $vgpr5
	s_branch .LBB152_157
.LBB152_153:
	s_mov_b32 s0, -1
                                        ; implicit-def: $vgpr5
.LBB152_154:
	s_delay_alu instid0(SALU_CYCLE_1)
	s_and_not1_b32 vcc_lo, exec_lo, s0
	s_cbranch_vccnz .LBB152_156
; %bb.155:
	global_load_u16 v5, v[0:1], off
	s_waitcnt vmcnt(0)
	v_cvt_f32_u32_e32 v5, v5
	s_delay_alu instid0(VALU_DEP_1) | instskip(NEXT) | instid1(VALU_DEP_1)
	v_bfe_u32 v6, v5, 16, 1
	v_add3_u32 v5, v5, v6, 0x7fff
	s_delay_alu instid0(VALU_DEP_1)
	v_lshrrev_b32_e32 v5, 16, v5
.LBB152_156:
	s_mov_b32 s0, 0
.LBB152_157:
	s_delay_alu instid0(SALU_CYCLE_1)
	s_and_not1_b32 vcc_lo, exec_lo, s0
	s_cbranch_vccnz .LBB152_165
; %bb.158:
	global_load_u8 v5, v[0:1], off
	s_mov_b32 s0, 0
	s_mov_b32 s14, exec_lo
                                        ; implicit-def: $sgpr9
	s_waitcnt vmcnt(0)
	v_cmpx_lt_i16_e32 0x7f, v5
	s_xor_b32 s14, exec_lo, s14
	s_cbranch_execz .LBB152_178
; %bb.159:
	s_mov_b32 s0, -1
	s_mov_b32 s15, exec_lo
                                        ; implicit-def: $sgpr9
	v_cmpx_eq_u16_e32 0x80, v5
; %bb.160:
	s_mov_b32 s9, 0x7f800001
	s_xor_b32 s0, exec_lo, -1
; %bb.161:
	s_or_b32 exec_lo, exec_lo, s15
	s_delay_alu instid0(SALU_CYCLE_1)
	s_and_b32 s0, s0, exec_lo
	s_or_saveexec_b32 s14, s14
	v_mov_b32_e32 v6, s9
	s_xor_b32 exec_lo, exec_lo, s14
	s_cbranch_execnz .LBB152_179
.LBB152_162:
	s_or_b32 exec_lo, exec_lo, s14
	s_and_saveexec_b32 s9, s0
	s_cbranch_execz .LBB152_164
.LBB152_163:
	v_and_b32_e32 v6, 0xffff, v5
	v_lshlrev_b32_e32 v5, 24, v5
	s_delay_alu instid0(VALU_DEP_2) | instskip(NEXT) | instid1(VALU_DEP_2)
	v_and_b32_e32 v7, 7, v6
	v_and_b32_e32 v5, 0x80000000, v5
	s_delay_alu instid0(VALU_DEP_2) | instskip(NEXT) | instid1(VALU_DEP_1)
	v_clz_i32_u32_e32 v8, v7
	v_min_u32_e32 v8, 32, v8
	s_delay_alu instid0(VALU_DEP_1) | instskip(SKIP_1) | instid1(VALU_DEP_2)
	v_subrev_nc_u32_e32 v9, 28, v8
	v_sub_nc_u32_e32 v8, 29, v8
	v_lshlrev_b32_e32 v9, v9, v6
	v_bfe_u32 v6, v6, 3, 4
	s_delay_alu instid0(VALU_DEP_2) | instskip(NEXT) | instid1(VALU_DEP_2)
	v_and_b32_e32 v9, 7, v9
	v_cmp_eq_u32_e32 vcc_lo, 0, v6
	s_delay_alu instid0(VALU_DEP_2) | instskip(NEXT) | instid1(VALU_DEP_1)
	v_dual_cndmask_b32 v6, v6, v8 :: v_dual_cndmask_b32 v7, v7, v9
	v_lshl_add_u32 v6, v6, 23, 0x3b800000
	s_delay_alu instid0(VALU_DEP_2) | instskip(NEXT) | instid1(VALU_DEP_1)
	v_lshlrev_b32_e32 v7, 20, v7
	v_or3_b32 v6, v5, v6, v7
.LBB152_164:
	s_or_b32 exec_lo, exec_lo, s9
	s_delay_alu instid0(VALU_DEP_1) | instskip(SKIP_1) | instid1(VALU_DEP_2)
	v_bfe_u32 v5, v6, 16, 1
	v_cmp_o_f32_e32 vcc_lo, v6, v6
	v_add3_u32 v5, v6, v5, 0x7fff
	s_delay_alu instid0(VALU_DEP_1) | instskip(NEXT) | instid1(VALU_DEP_1)
	v_lshrrev_b32_e32 v5, 16, v5
	v_cndmask_b32_e32 v5, 0x7fc0, v5, vcc_lo
.LBB152_165:
	s_mov_b32 s0, -1
.LBB152_166:
	s_branch .LBB152_201
.LBB152_167:
	v_cmp_lt_i16_e32 vcc_lo, 22, v4
	s_cbranch_vccz .LBB152_177
; %bb.168:
	v_cmp_gt_i16_e32 vcc_lo, 24, v4
	s_cbranch_vccnz .LBB152_180
; %bb.169:
	v_cmp_lt_i16_e32 vcc_lo, 24, v4
	s_cbranch_vccz .LBB152_181
; %bb.170:
	global_load_u8 v5, v[0:1], off
	s_mov_b32 s0, 0
	s_mov_b32 s14, exec_lo
                                        ; implicit-def: $sgpr9
	s_waitcnt vmcnt(0)
	v_cmpx_lt_i16_e32 0x7f, v5
	s_xor_b32 s14, exec_lo, s14
	s_cbranch_execz .LBB152_193
; %bb.171:
	s_mov_b32 s0, -1
	s_mov_b32 s15, exec_lo
                                        ; implicit-def: $sgpr9
	v_cmpx_eq_u16_e32 0x80, v5
; %bb.172:
	s_mov_b32 s9, 0x7f800001
	s_xor_b32 s0, exec_lo, -1
; %bb.173:
	s_or_b32 exec_lo, exec_lo, s15
	s_delay_alu instid0(SALU_CYCLE_1)
	s_and_b32 s0, s0, exec_lo
	s_or_saveexec_b32 s14, s14
	v_mov_b32_e32 v6, s9
	s_xor_b32 exec_lo, exec_lo, s14
	s_cbranch_execnz .LBB152_194
.LBB152_174:
	s_or_b32 exec_lo, exec_lo, s14
	s_and_saveexec_b32 s9, s0
	s_cbranch_execz .LBB152_176
.LBB152_175:
	v_and_b32_e32 v6, 0xffff, v5
	v_lshlrev_b32_e32 v5, 24, v5
	s_delay_alu instid0(VALU_DEP_2) | instskip(NEXT) | instid1(VALU_DEP_2)
	v_and_b32_e32 v7, 3, v6
	v_and_b32_e32 v5, 0x80000000, v5
	s_delay_alu instid0(VALU_DEP_2) | instskip(NEXT) | instid1(VALU_DEP_1)
	v_clz_i32_u32_e32 v8, v7
	v_min_u32_e32 v8, 32, v8
	s_delay_alu instid0(VALU_DEP_1) | instskip(SKIP_1) | instid1(VALU_DEP_2)
	v_subrev_nc_u32_e32 v9, 29, v8
	v_sub_nc_u32_e32 v8, 30, v8
	v_lshlrev_b32_e32 v9, v9, v6
	v_bfe_u32 v6, v6, 2, 5
	s_delay_alu instid0(VALU_DEP_2) | instskip(NEXT) | instid1(VALU_DEP_2)
	v_and_b32_e32 v9, 3, v9
	v_cmp_eq_u32_e32 vcc_lo, 0, v6
	s_delay_alu instid0(VALU_DEP_2) | instskip(NEXT) | instid1(VALU_DEP_1)
	v_dual_cndmask_b32 v6, v6, v8 :: v_dual_cndmask_b32 v7, v7, v9
	v_lshl_add_u32 v6, v6, 23, 0x37800000
	s_delay_alu instid0(VALU_DEP_2) | instskip(NEXT) | instid1(VALU_DEP_1)
	v_lshlrev_b32_e32 v7, 21, v7
	v_or3_b32 v6, v5, v6, v7
.LBB152_176:
	s_or_b32 exec_lo, exec_lo, s9
	s_delay_alu instid0(VALU_DEP_1) | instskip(SKIP_2) | instid1(VALU_DEP_2)
	v_bfe_u32 v5, v6, 16, 1
	v_cmp_o_f32_e32 vcc_lo, v6, v6
	s_mov_b32 s0, 0
	v_add3_u32 v5, v6, v5, 0x7fff
	s_delay_alu instid0(VALU_DEP_1) | instskip(NEXT) | instid1(VALU_DEP_1)
	v_lshrrev_b32_e32 v5, 16, v5
	v_cndmask_b32_e32 v5, 0x7fc0, v5, vcc_lo
	s_branch .LBB152_182
.LBB152_177:
	s_mov_b32 s9, -1
                                        ; implicit-def: $vgpr5
	s_branch .LBB152_188
.LBB152_178:
	s_or_saveexec_b32 s14, s14
	v_mov_b32_e32 v6, s9
	s_xor_b32 exec_lo, exec_lo, s14
	s_cbranch_execz .LBB152_162
.LBB152_179:
	v_cmp_ne_u16_e32 vcc_lo, 0, v5
	v_mov_b32_e32 v6, 0
	s_and_not1_b32 s0, s0, exec_lo
	s_and_b32 s9, vcc_lo, exec_lo
	s_delay_alu instid0(SALU_CYCLE_1)
	s_or_b32 s0, s0, s9
	s_or_b32 exec_lo, exec_lo, s14
	s_and_saveexec_b32 s9, s0
	s_cbranch_execnz .LBB152_163
	s_branch .LBB152_164
.LBB152_180:
	s_mov_b32 s0, -1
                                        ; implicit-def: $vgpr5
	s_branch .LBB152_185
.LBB152_181:
	s_mov_b32 s0, -1
                                        ; implicit-def: $vgpr5
.LBB152_182:
	s_delay_alu instid0(SALU_CYCLE_1)
	s_and_b32 vcc_lo, exec_lo, s0
	s_cbranch_vccz .LBB152_184
; %bb.183:
	global_load_u8 v5, v[0:1], off
	s_waitcnt vmcnt(0)
	v_lshlrev_b32_e32 v5, 24, v5
	s_delay_alu instid0(VALU_DEP_1) | instskip(NEXT) | instid1(VALU_DEP_1)
	v_and_b32_e32 v6, 0x7f000000, v5
	v_clz_i32_u32_e32 v7, v6
	v_add_nc_u32_e32 v9, 0x1000000, v6
	v_cmp_ne_u32_e32 vcc_lo, 0, v6
	s_delay_alu instid0(VALU_DEP_3) | instskip(NEXT) | instid1(VALU_DEP_1)
	v_min_u32_e32 v7, 32, v7
	v_sub_nc_u32_e64 v7, v7, 4 clamp
	s_delay_alu instid0(VALU_DEP_1) | instskip(SKIP_1) | instid1(VALU_DEP_2)
	v_lshlrev_b32_e32 v8, v7, v6
	v_lshlrev_b32_e32 v7, 23, v7
	v_lshrrev_b32_e32 v8, 4, v8
	s_delay_alu instid0(VALU_DEP_1) | instskip(SKIP_1) | instid1(VALU_DEP_2)
	v_sub_nc_u32_e32 v7, v8, v7
	v_ashrrev_i32_e32 v8, 8, v9
	v_add_nc_u32_e32 v7, 0x3c000000, v7
	s_delay_alu instid0(VALU_DEP_1) | instskip(NEXT) | instid1(VALU_DEP_1)
	v_and_or_b32 v7, 0x7f800000, v8, v7
	v_cndmask_b32_e32 v6, 0, v7, vcc_lo
	s_delay_alu instid0(VALU_DEP_1) | instskip(SKIP_1) | instid1(VALU_DEP_2)
	v_and_or_b32 v5, 0x80000000, v5, v6
	v_bfe_u32 v6, v6, 16, 1
	v_cmp_o_f32_e32 vcc_lo, v5, v5
	s_delay_alu instid0(VALU_DEP_2) | instskip(NEXT) | instid1(VALU_DEP_1)
	v_add3_u32 v6, v5, v6, 0x7fff
	v_lshrrev_b32_e32 v6, 16, v6
	s_delay_alu instid0(VALU_DEP_1)
	v_cndmask_b32_e32 v5, 0x7fc0, v6, vcc_lo
.LBB152_184:
	s_mov_b32 s0, 0
.LBB152_185:
	s_delay_alu instid0(SALU_CYCLE_1)
	s_and_not1_b32 vcc_lo, exec_lo, s0
	s_cbranch_vccnz .LBB152_187
; %bb.186:
	global_load_u8 v5, v[0:1], off
	s_waitcnt vmcnt(0)
	v_lshlrev_b32_e32 v6, 25, v5
	v_lshlrev_b16 v5, 8, v5
	s_delay_alu instid0(VALU_DEP_2) | instskip(NEXT) | instid1(VALU_DEP_2)
	v_lshrrev_b32_e32 v7, 4, v6
	v_and_or_b32 v8, 0x7f00, v5, 0.5
	v_bfe_i32 v5, v5, 0, 16
	s_delay_alu instid0(VALU_DEP_3) | instskip(NEXT) | instid1(VALU_DEP_1)
	v_or_b32_e32 v7, 0x70000000, v7
	v_dual_add_f32 v8, -0.5, v8 :: v_dual_mul_f32 v7, 0x7800000, v7
	v_cmp_gt_u32_e32 vcc_lo, 0x8000000, v6
	s_delay_alu instid0(VALU_DEP_2) | instskip(NEXT) | instid1(VALU_DEP_1)
	v_cndmask_b32_e32 v6, v7, v8, vcc_lo
	v_and_or_b32 v5, 0x80000000, v5, v6
	v_bfe_u32 v6, v6, 16, 1
	s_delay_alu instid0(VALU_DEP_2) | instskip(NEXT) | instid1(VALU_DEP_2)
	v_cmp_o_f32_e32 vcc_lo, v5, v5
	v_add3_u32 v6, v5, v6, 0x7fff
	s_delay_alu instid0(VALU_DEP_1) | instskip(NEXT) | instid1(VALU_DEP_1)
	v_lshrrev_b32_e32 v6, 16, v6
	v_cndmask_b32_e32 v5, 0x7fc0, v6, vcc_lo
.LBB152_187:
	s_mov_b32 s9, 0
	s_mov_b32 s0, -1
.LBB152_188:
	s_and_not1_b32 vcc_lo, exec_lo, s9
	s_cbranch_vccnz .LBB152_201
; %bb.189:
	v_cmp_lt_i16_e32 vcc_lo, 14, v4
	s_cbranch_vccz .LBB152_192
; %bb.190:
	v_cmp_eq_u16_e32 vcc_lo, 15, v4
	s_cbranch_vccz .LBB152_195
; %bb.191:
	global_load_u16 v5, v[0:1], off
	s_mov_b32 s0, -1
	s_mov_b32 s11, 0
	s_branch .LBB152_196
.LBB152_192:
	s_mov_b32 s9, -1
                                        ; implicit-def: $vgpr5
	s_branch .LBB152_197
.LBB152_193:
	s_or_saveexec_b32 s14, s14
	v_mov_b32_e32 v6, s9
	s_xor_b32 exec_lo, exec_lo, s14
	s_cbranch_execz .LBB152_174
.LBB152_194:
	v_cmp_ne_u16_e32 vcc_lo, 0, v5
	v_mov_b32_e32 v6, 0
	s_and_not1_b32 s0, s0, exec_lo
	s_and_b32 s9, vcc_lo, exec_lo
	s_delay_alu instid0(SALU_CYCLE_1)
	s_or_b32 s0, s0, s9
	s_or_b32 exec_lo, exec_lo, s14
	s_and_saveexec_b32 s9, s0
	s_cbranch_execnz .LBB152_175
	s_branch .LBB152_176
.LBB152_195:
	s_mov_b32 s11, -1
                                        ; implicit-def: $vgpr5
.LBB152_196:
	s_mov_b32 s9, 0
.LBB152_197:
	s_delay_alu instid0(SALU_CYCLE_1)
	s_and_b32 vcc_lo, exec_lo, s9
	s_cbranch_vccz .LBB152_201
; %bb.198:
	v_cmp_eq_u16_e32 vcc_lo, 11, v4
	s_cbranch_vccz .LBB152_200
; %bb.199:
	global_load_u8 v5, v[0:1], off
	s_mov_b32 s11, 0
	s_mov_b32 s0, -1
	s_waitcnt vmcnt(0)
	v_cmp_ne_u16_e32 vcc_lo, 0, v5
	v_cndmask_b32_e64 v5, 0, 1.0, vcc_lo
	s_delay_alu instid0(VALU_DEP_1)
	v_lshrrev_b32_e32 v5, 16, v5
	s_branch .LBB152_201
.LBB152_200:
	s_mov_b32 s11, -1
                                        ; implicit-def: $vgpr5
.LBB152_201:
	s_branch .LBB152_10
.LBB152_202:
	v_cmp_gt_i16_e32 vcc_lo, 5, v4
	s_cbranch_vccnz .LBB152_207
; %bb.203:
	v_cmp_gt_i16_e32 vcc_lo, 8, v4
	s_cbranch_vccnz .LBB152_208
; %bb.204:
	;; [unrolled: 3-line block ×3, first 2 shown]
	v_cmp_lt_i16_e32 vcc_lo, 9, v4
	s_cbranch_vccz .LBB152_210
; %bb.206:
	global_load_b64 v[5:6], v[0:1], off
	s_mov_b32 s0, 0
	s_waitcnt vmcnt(0)
	v_cvt_f32_f64_e32 v5, v[5:6]
	s_delay_alu instid0(VALU_DEP_1) | instskip(SKIP_1) | instid1(VALU_DEP_2)
	v_bfe_u32 v6, v5, 16, 1
	v_cmp_o_f32_e32 vcc_lo, v5, v5
	v_add3_u32 v6, v5, v6, 0x7fff
	s_delay_alu instid0(VALU_DEP_1) | instskip(NEXT) | instid1(VALU_DEP_1)
	v_lshrrev_b32_e32 v6, 16, v6
	v_cndmask_b32_e32 v5, 0x7fc0, v6, vcc_lo
	s_branch .LBB152_211
.LBB152_207:
                                        ; implicit-def: $vgpr5
	s_branch .LBB152_229
.LBB152_208:
	s_mov_b32 s0, -1
                                        ; implicit-def: $vgpr5
	s_branch .LBB152_217
.LBB152_209:
	s_mov_b32 s0, -1
                                        ; implicit-def: $vgpr5
	s_branch .LBB152_214
.LBB152_210:
	s_mov_b32 s0, -1
                                        ; implicit-def: $vgpr5
.LBB152_211:
	s_delay_alu instid0(SALU_CYCLE_1)
	s_and_not1_b32 vcc_lo, exec_lo, s0
	s_cbranch_vccnz .LBB152_213
; %bb.212:
	global_load_b32 v5, v[0:1], off
	s_waitcnt vmcnt(0)
	v_bfe_u32 v6, v5, 16, 1
	v_cmp_o_f32_e32 vcc_lo, v5, v5
	s_delay_alu instid0(VALU_DEP_2) | instskip(NEXT) | instid1(VALU_DEP_1)
	v_add3_u32 v6, v5, v6, 0x7fff
	v_lshrrev_b32_e32 v6, 16, v6
	s_delay_alu instid0(VALU_DEP_1)
	v_cndmask_b32_e32 v5, 0x7fc0, v6, vcc_lo
.LBB152_213:
	s_mov_b32 s0, 0
.LBB152_214:
	s_delay_alu instid0(SALU_CYCLE_1)
	s_and_not1_b32 vcc_lo, exec_lo, s0
	s_cbranch_vccnz .LBB152_216
; %bb.215:
	global_load_b32 v5, v[0:1], off
	s_waitcnt vmcnt(0)
	v_cvt_f32_f16_e32 v6, v5
	v_cmp_o_f16_e32 vcc_lo, v5, v5
	s_delay_alu instid0(VALU_DEP_2) | instskip(NEXT) | instid1(VALU_DEP_1)
	v_bfe_u32 v7, v6, 16, 1
	v_add3_u32 v6, v6, v7, 0x7fff
	s_delay_alu instid0(VALU_DEP_1) | instskip(NEXT) | instid1(VALU_DEP_1)
	v_lshrrev_b32_e32 v6, 16, v6
	v_cndmask_b32_e32 v5, 0x7fc0, v6, vcc_lo
.LBB152_216:
	s_mov_b32 s0, 0
.LBB152_217:
	s_delay_alu instid0(SALU_CYCLE_1)
	s_and_not1_b32 vcc_lo, exec_lo, s0
	s_cbranch_vccnz .LBB152_228
; %bb.218:
	v_cmp_gt_i16_e32 vcc_lo, 6, v4
	s_cbranch_vccnz .LBB152_221
; %bb.219:
	v_cmp_lt_i16_e32 vcc_lo, 6, v4
	s_cbranch_vccz .LBB152_222
; %bb.220:
	global_load_b64 v[5:6], v[0:1], off
	s_mov_b32 s0, 0
	s_waitcnt vmcnt(0)
	v_cvt_f32_f64_e32 v5, v[5:6]
	s_delay_alu instid0(VALU_DEP_1) | instskip(SKIP_1) | instid1(VALU_DEP_2)
	v_bfe_u32 v6, v5, 16, 1
	v_cmp_o_f32_e32 vcc_lo, v5, v5
	v_add3_u32 v6, v5, v6, 0x7fff
	s_delay_alu instid0(VALU_DEP_1) | instskip(NEXT) | instid1(VALU_DEP_1)
	v_lshrrev_b32_e32 v6, 16, v6
	v_cndmask_b32_e32 v5, 0x7fc0, v6, vcc_lo
	s_branch .LBB152_223
.LBB152_221:
	s_mov_b32 s0, -1
                                        ; implicit-def: $vgpr5
	s_branch .LBB152_226
.LBB152_222:
	s_mov_b32 s0, -1
                                        ; implicit-def: $vgpr5
.LBB152_223:
	s_delay_alu instid0(SALU_CYCLE_1)
	s_and_not1_b32 vcc_lo, exec_lo, s0
	s_cbranch_vccnz .LBB152_225
; %bb.224:
	global_load_b32 v5, v[0:1], off
	s_waitcnt vmcnt(0)
	v_bfe_u32 v6, v5, 16, 1
	v_cmp_o_f32_e32 vcc_lo, v5, v5
	s_delay_alu instid0(VALU_DEP_2) | instskip(NEXT) | instid1(VALU_DEP_1)
	v_add3_u32 v6, v5, v6, 0x7fff
	v_lshrrev_b32_e32 v6, 16, v6
	s_delay_alu instid0(VALU_DEP_1)
	v_cndmask_b32_e32 v5, 0x7fc0, v6, vcc_lo
.LBB152_225:
	s_mov_b32 s0, 0
.LBB152_226:
	s_delay_alu instid0(SALU_CYCLE_1)
	s_and_not1_b32 vcc_lo, exec_lo, s0
	s_cbranch_vccnz .LBB152_228
; %bb.227:
	global_load_u16 v5, v[0:1], off
	s_waitcnt vmcnt(0)
	v_cvt_f32_f16_e32 v6, v5
	v_cmp_o_f16_e32 vcc_lo, v5, v5
	s_delay_alu instid0(VALU_DEP_2) | instskip(NEXT) | instid1(VALU_DEP_1)
	v_bfe_u32 v7, v6, 16, 1
	v_add3_u32 v6, v6, v7, 0x7fff
	s_delay_alu instid0(VALU_DEP_1) | instskip(NEXT) | instid1(VALU_DEP_1)
	v_lshrrev_b32_e32 v6, 16, v6
	v_cndmask_b32_e32 v5, 0x7fc0, v6, vcc_lo
.LBB152_228:
	s_cbranch_execnz .LBB152_248
.LBB152_229:
	v_cmp_gt_i16_e32 vcc_lo, 2, v4
	s_cbranch_vccnz .LBB152_233
; %bb.230:
	v_cmp_gt_i16_e32 vcc_lo, 3, v4
	s_cbranch_vccnz .LBB152_234
; %bb.231:
	v_cmp_lt_i16_e32 vcc_lo, 3, v4
	s_cbranch_vccz .LBB152_235
; %bb.232:
	global_load_b64 v[5:6], v[0:1], off
	s_mov_b32 s0, 0
	s_waitcnt vmcnt(0)
	v_xor_b32_e32 v7, v5, v6
	v_cls_i32_e32 v8, v6
	s_delay_alu instid0(VALU_DEP_2) | instskip(NEXT) | instid1(VALU_DEP_2)
	v_ashrrev_i32_e32 v7, 31, v7
	v_add_nc_u32_e32 v8, -1, v8
	s_delay_alu instid0(VALU_DEP_2) | instskip(NEXT) | instid1(VALU_DEP_1)
	v_add_nc_u32_e32 v7, 32, v7
	v_min_u32_e32 v7, v8, v7
	s_delay_alu instid0(VALU_DEP_1) | instskip(NEXT) | instid1(VALU_DEP_1)
	v_lshlrev_b64 v[5:6], v7, v[5:6]
	v_min_u32_e32 v5, 1, v5
	s_delay_alu instid0(VALU_DEP_1) | instskip(SKIP_1) | instid1(VALU_DEP_2)
	v_or_b32_e32 v5, v6, v5
	v_sub_nc_u32_e32 v6, 32, v7
	v_cvt_f32_i32_e32 v5, v5
	s_delay_alu instid0(VALU_DEP_1) | instskip(NEXT) | instid1(VALU_DEP_1)
	v_ldexp_f32 v5, v5, v6
	v_bfe_u32 v6, v5, 16, 1
	s_delay_alu instid0(VALU_DEP_1) | instskip(NEXT) | instid1(VALU_DEP_1)
	v_add3_u32 v5, v5, v6, 0x7fff
	v_lshrrev_b32_e32 v5, 16, v5
	s_branch .LBB152_236
.LBB152_233:
	s_mov_b32 s0, -1
                                        ; implicit-def: $vgpr5
	s_branch .LBB152_242
.LBB152_234:
	s_mov_b32 s0, -1
                                        ; implicit-def: $vgpr5
	s_branch .LBB152_239
.LBB152_235:
	s_mov_b32 s0, -1
                                        ; implicit-def: $vgpr5
.LBB152_236:
	s_delay_alu instid0(SALU_CYCLE_1)
	s_and_not1_b32 vcc_lo, exec_lo, s0
	s_cbranch_vccnz .LBB152_238
; %bb.237:
	global_load_b32 v5, v[0:1], off
	s_waitcnt vmcnt(0)
	v_cvt_f32_i32_e32 v5, v5
	s_delay_alu instid0(VALU_DEP_1) | instskip(NEXT) | instid1(VALU_DEP_1)
	v_bfe_u32 v6, v5, 16, 1
	v_add3_u32 v5, v5, v6, 0x7fff
	s_delay_alu instid0(VALU_DEP_1)
	v_lshrrev_b32_e32 v5, 16, v5
.LBB152_238:
	s_mov_b32 s0, 0
.LBB152_239:
	s_delay_alu instid0(SALU_CYCLE_1)
	s_and_not1_b32 vcc_lo, exec_lo, s0
	s_cbranch_vccnz .LBB152_241
; %bb.240:
	global_load_i16 v5, v[0:1], off
	s_waitcnt vmcnt(0)
	v_cvt_f32_i32_e32 v5, v5
	s_delay_alu instid0(VALU_DEP_1) | instskip(NEXT) | instid1(VALU_DEP_1)
	v_bfe_u32 v6, v5, 16, 1
	v_add3_u32 v5, v5, v6, 0x7fff
	s_delay_alu instid0(VALU_DEP_1)
	v_lshrrev_b32_e32 v5, 16, v5
.LBB152_241:
	s_mov_b32 s0, 0
.LBB152_242:
	s_delay_alu instid0(SALU_CYCLE_1)
	s_and_not1_b32 vcc_lo, exec_lo, s0
	s_cbranch_vccnz .LBB152_248
; %bb.243:
	v_cmp_lt_i16_e32 vcc_lo, 0, v4
	s_mov_b32 s0, 0
	s_cbranch_vccz .LBB152_245
; %bb.244:
	global_load_i8 v5, v[0:1], off
	s_waitcnt vmcnt(0)
	v_cvt_f32_i32_e32 v5, v5
	s_delay_alu instid0(VALU_DEP_1) | instskip(NEXT) | instid1(VALU_DEP_1)
	v_bfe_u32 v6, v5, 16, 1
	v_add3_u32 v5, v5, v6, 0x7fff
	s_delay_alu instid0(VALU_DEP_1)
	v_lshrrev_b32_e32 v5, 16, v5
	s_branch .LBB152_246
.LBB152_245:
	s_mov_b32 s0, -1
                                        ; implicit-def: $vgpr5
.LBB152_246:
	s_delay_alu instid0(SALU_CYCLE_1)
	s_and_not1_b32 vcc_lo, exec_lo, s0
	s_cbranch_vccnz .LBB152_248
; %bb.247:
	global_load_u8 v0, v[0:1], off
	s_waitcnt vmcnt(0)
	v_cvt_f32_ubyte0_e32 v0, v0
	s_delay_alu instid0(VALU_DEP_1) | instskip(NEXT) | instid1(VALU_DEP_1)
	v_bfe_u32 v1, v0, 16, 1
	v_add3_u32 v0, v0, v1, 0x7fff
	s_delay_alu instid0(VALU_DEP_1)
	v_lshrrev_b32_e32 v5, 16, v0
.LBB152_248:
	s_branch .LBB152_11
.LBB152_249:
	s_mov_b32 s0, 0
.LBB152_250:
	s_mov_b32 s14, 0
                                        ; implicit-def: $vgpr3
.LBB152_251:
	s_and_b32 s9, s0, exec_lo
	s_and_b32 s11, s11, exec_lo
	s_or_not1_b32 s15, s14, exec_lo
.LBB152_252:
	s_or_b32 exec_lo, exec_lo, s12
	s_mov_b32 s14, 0
	s_mov_b32 s0, 0
                                        ; implicit-def: $vgpr0_vgpr1
                                        ; implicit-def: $vgpr6
	s_and_saveexec_b32 s12, s15
	s_cbranch_execz .LBB152_860
; %bb.253:
	s_mov_b32 s17, -1
	s_mov_b32 s13, s11
	s_mov_b32 s14, s9
	s_mov_b32 s15, exec_lo
	v_cmpx_gt_i32_e64 s10, v3
	s_cbranch_execz .LBB152_512
; %bb.254:
	v_mul_lo_u32 v0, v3, s3
	v_cmp_gt_i16_e32 vcc_lo, 11, v4
	s_delay_alu instid0(VALU_DEP_2) | instskip(SKIP_1) | instid1(VALU_DEP_1)
	v_ashrrev_i32_e32 v1, 31, v0
	v_add_co_u32 v0, s0, s6, v0
	v_add_co_ci_u32_e64 v1, s0, s7, v1, s0
	s_cbranch_vccnz .LBB152_261
; %bb.255:
	v_cmp_lt_i16_e32 vcc_lo, 25, v4
	s_cbranch_vccz .LBB152_270
; %bb.256:
	v_cmp_lt_i16_e32 vcc_lo, 28, v4
	s_cbranch_vccz .LBB152_272
	;; [unrolled: 3-line block ×4, first 2 shown]
; %bb.259:
	v_cmp_eq_u16_e32 vcc_lo, 46, v4
	s_mov_b32 s14, 0
	s_cbranch_vccz .LBB152_282
; %bb.260:
	global_load_b32 v5, v[0:1], off
	s_mov_b32 s0, -1
	s_mov_b32 s13, 0
	s_branch .LBB152_284
.LBB152_261:
	s_mov_b32 s0, 0
	s_mov_b32 s13, s11
                                        ; implicit-def: $vgpr5
	s_cbranch_execnz .LBB152_461
.LBB152_262:
	s_and_not1_b32 vcc_lo, exec_lo, s0
	s_cbranch_vccnz .LBB152_509
.LBB152_263:
	s_waitcnt vmcnt(0)
	s_delay_alu instid0(VALU_DEP_1) | instskip(SKIP_1) | instid1(VALU_DEP_1)
	v_lshlrev_b32_e32 v0, 16, v5
	s_mov_b32 s0, 0x395133b1
	v_mul_f32_e32 v1, 0x3fb8aa3b, v0
	s_delay_alu instid0(VALU_DEP_1) | instskip(NEXT) | instid1(VALU_DEP_1)
	v_rndne_f32_e32 v1, v1
	v_fmamk_f32 v5, v1, 0xbf317218, v0
	v_cvt_i32_f32_e32 v7, v1
	v_cmp_eq_f32_e32 vcc_lo, 0x43000000, v1
	s_delay_alu instid0(VALU_DEP_3) | instskip(NEXT) | instid1(VALU_DEP_3)
	v_fmamk_f32 v5, v1, 0x3102e308, v5
	v_cndmask_b32_e64 v1, v7, 0x7f, vcc_lo
	s_delay_alu instid0(VALU_DEP_2) | instskip(NEXT) | instid1(VALU_DEP_2)
	v_fmaak_f32 v6, s0, v5, 0x3ab69700
	v_ldexp_f32 v1, 1.0, v1
	s_delay_alu instid0(VALU_DEP_1) | instskip(NEXT) | instid1(VALU_DEP_1)
	v_dual_fmaak_f32 v6, v5, v6, 0x3c0887f9 :: v_dual_add_f32 v7, -1.0, v1
	v_fmaak_f32 v6, v5, v6, 0x3d2aaa81
	s_delay_alu instid0(VALU_DEP_1) | instskip(NEXT) | instid1(VALU_DEP_1)
	v_fmaak_f32 v6, v5, v6, 0x3e2aaaab
	v_fma_f32 v6, v5, v6, 0.5
	s_delay_alu instid0(VALU_DEP_1) | instskip(NEXT) | instid1(VALU_DEP_1)
	v_mul_f32_e32 v6, v5, v6
	v_fmac_f32_e32 v5, v5, v6
	s_delay_alu instid0(VALU_DEP_1) | instskip(NEXT) | instid1(VALU_DEP_1)
	v_dual_fmac_f32 v7, v1, v5 :: v_dual_and_b32 v6, 0xff, v2
	v_add_f32_e32 v1, v7, v7
	s_delay_alu instid0(VALU_DEP_1) | instskip(SKIP_1) | instid1(VALU_DEP_2)
	v_cndmask_b32_e32 v1, v7, v1, vcc_lo
	v_cmp_nlt_f32_e32 vcc_lo, 0x42b17217, v0
	v_cndmask_b32_e32 v1, 0x7f800000, v1, vcc_lo
	v_cmp_ngt_f32_e32 vcc_lo, 0xc1880000, v0
	s_delay_alu instid0(VALU_DEP_2) | instskip(SKIP_2) | instid1(VALU_DEP_3)
	v_cndmask_b32_e32 v5, -1.0, v1, vcc_lo
	v_mul_lo_u32 v1, v3, s2
	v_cmp_gt_i16_e32 vcc_lo, 11, v6
	v_bfe_u32 v0, v5, 16, 1
	s_and_b32 vcc_lo, exec_lo, vcc_lo
	s_delay_alu instid0(VALU_DEP_3) | instskip(NEXT) | instid1(VALU_DEP_2)
	v_ashrrev_i32_e32 v7, 31, v1
	v_add3_u32 v0, v5, v0, 0x7fff
	s_delay_alu instid0(VALU_DEP_1) | instskip(SKIP_1) | instid1(VALU_DEP_1)
	v_lshrrev_b32_e32 v8, 16, v0
	v_add_co_u32 v0, s0, s4, v1
	v_add_co_ci_u32_e64 v1, s0, s5, v7, s0
	v_cmp_o_f32_e64 s0, v5, v5
	s_delay_alu instid0(VALU_DEP_1)
	v_cndmask_b32_e64 v5, 0x7fc0, v8, s0
	s_cbranch_vccnz .LBB152_271
; %bb.264:
	v_cmp_lt_i16_e32 vcc_lo, 25, v6
	s_cbranch_vccz .LBB152_273
; %bb.265:
	v_cmp_lt_i16_e32 vcc_lo, 28, v6
	s_cbranch_vccz .LBB152_275
	;; [unrolled: 3-line block ×4, first 2 shown]
; %bb.268:
	v_cmp_eq_u16_e32 vcc_lo, 46, v6
	s_mov_b32 s16, 0
	s_mov_b32 s0, -1
	s_mov_b32 s14, 0
	s_cbranch_vccz .LBB152_288
; %bb.269:
	v_and_b32_e32 v7, 0xffff, v5
	s_mov_b32 s14, -1
	s_mov_b32 s0, 0
	global_store_b32 v[0:1], v7, off
	s_branch .LBB152_288
.LBB152_270:
	s_mov_b32 s14, -1
	s_mov_b32 s0, 0
	s_mov_b32 s13, s11
                                        ; implicit-def: $vgpr5
	s_branch .LBB152_425
.LBB152_271:
	s_mov_b32 s16, -1
	s_mov_b32 s14, 0
	s_mov_b32 s0, s9
	s_branch .LBB152_357
.LBB152_272:
	s_mov_b32 s14, -1
	s_mov_b32 s0, 0
	s_mov_b32 s13, s11
                                        ; implicit-def: $vgpr5
	s_branch .LBB152_406
.LBB152_273:
	s_mov_b32 s16, -1
	s_mov_b32 s14, 0
	s_mov_b32 s0, s9
	s_branch .LBB152_315
.LBB152_274:
	s_mov_b32 s14, -1
	s_mov_b32 s0, 0
	s_mov_b32 s13, s11
                                        ; implicit-def: $vgpr5
	s_branch .LBB152_401
.LBB152_275:
	s_mov_b32 s16, -1
	s_mov_b32 s14, 0
	s_mov_b32 s0, s9
	s_branch .LBB152_298
.LBB152_276:
	s_or_saveexec_b32 s15, s15
                                        ; implicit-def: $sgpr16
	s_delay_alu instid0(SALU_CYCLE_1)
	s_xor_b32 exec_lo, exec_lo, s15
	s_cbranch_execz .LBB152_54
.LBB152_277:
	v_add_f32_e64 v8, 0x46000000, |v9|
	s_and_not1_b32 s14, s14, exec_lo
	s_mov_b32 s16, 0
	s_delay_alu instid0(VALU_DEP_1) | instskip(NEXT) | instid1(VALU_DEP_1)
	v_and_b32_e32 v8, 0xff, v8
	v_cmp_ne_u32_e32 vcc_lo, 0, v8
	s_and_b32 s17, vcc_lo, exec_lo
	s_delay_alu instid0(SALU_CYCLE_1)
	s_or_b32 s14, s14, s17
	s_or_b32 exec_lo, exec_lo, s15
	v_mov_b32_e32 v10, s16
	s_and_saveexec_b32 s15, s14
	s_cbranch_execnz .LBB152_55
	s_branch .LBB152_56
.LBB152_278:
	s_mov_b32 s14, -1
	s_mov_b32 s0, 0
	s_mov_b32 s13, s11
	s_branch .LBB152_283
.LBB152_279:
	s_mov_b32 s16, -1
	s_mov_b32 s14, 0
	s_mov_b32 s0, s9
	s_branch .LBB152_294
.LBB152_280:
	s_or_saveexec_b32 s15, s15
                                        ; implicit-def: $sgpr16
	s_delay_alu instid0(SALU_CYCLE_1)
	s_xor_b32 exec_lo, exec_lo, s15
	s_cbranch_execz .LBB152_67
.LBB152_281:
	v_add_f32_e64 v8, 0x42800000, |v9|
	s_and_not1_b32 s14, s14, exec_lo
	s_mov_b32 s16, 0
	s_delay_alu instid0(VALU_DEP_1) | instskip(NEXT) | instid1(VALU_DEP_1)
	v_and_b32_e32 v8, 0xff, v8
	v_cmp_ne_u32_e32 vcc_lo, 0, v8
	s_and_b32 s17, vcc_lo, exec_lo
	s_delay_alu instid0(SALU_CYCLE_1)
	s_or_b32 s14, s14, s17
	s_or_b32 exec_lo, exec_lo, s15
	v_mov_b32_e32 v10, s16
	s_and_saveexec_b32 s15, s14
	s_cbranch_execnz .LBB152_68
	s_branch .LBB152_69
.LBB152_282:
	s_mov_b32 s13, -1
	s_mov_b32 s0, 0
.LBB152_283:
                                        ; implicit-def: $vgpr5
.LBB152_284:
	s_and_b32 vcc_lo, exec_lo, s14
	s_cbranch_vccz .LBB152_400
; %bb.285:
	v_cmp_eq_u16_e32 vcc_lo, 44, v4
	s_cbranch_vccz .LBB152_399
; %bb.286:
	global_load_u8 v5, v[0:1], off
	s_mov_b32 s13, 0
	s_mov_b32 s0, -1
	s_waitcnt vmcnt(0)
	v_lshlrev_b32_e32 v6, 23, v5
	v_cmp_ne_u32_e32 vcc_lo, 0xff, v5
	s_delay_alu instid0(VALU_DEP_2) | instskip(SKIP_1) | instid1(VALU_DEP_2)
	v_cndmask_b32_e32 v6, 0x7f800001, v6, vcc_lo
	v_cmp_ne_u32_e32 vcc_lo, 0, v5
	v_cndmask_b32_e32 v5, 0x400000, v6, vcc_lo
	s_delay_alu instid0(VALU_DEP_1) | instskip(SKIP_1) | instid1(VALU_DEP_2)
	v_add_nc_u32_e32 v6, 0x7fff, v5
	v_cmp_o_f32_e32 vcc_lo, v5, v5
	v_lshrrev_b32_e32 v6, 16, v6
	s_delay_alu instid0(VALU_DEP_1)
	v_cndmask_b32_e32 v5, 0x7fc0, v6, vcc_lo
	s_branch .LBB152_400
.LBB152_287:
	s_mov_b32 s16, -1
	s_mov_b32 s14, 0
	s_mov_b32 s0, s9
.LBB152_288:
	s_and_b32 vcc_lo, exec_lo, s16
	s_cbranch_vccz .LBB152_293
; %bb.289:
	v_cmp_eq_u16_e32 vcc_lo, 44, v6
	s_mov_b32 s0, -1
	s_cbranch_vccz .LBB152_293
; %bb.290:
	v_and_b32_e32 v7, 0xffff, v5
	v_mov_b32_e32 v8, 0xff
	s_mov_b32 s14, exec_lo
	s_delay_alu instid0(VALU_DEP_2) | instskip(NEXT) | instid1(VALU_DEP_1)
	v_bfe_u32 v9, v7, 7, 8
	v_cmpx_ne_u32_e32 0xff, v9
; %bb.291:
	v_lshlrev_b32_e32 v8, 16, v7
	v_and_b32_e32 v10, 64, v7
	v_lshrrev_b32_e32 v7, 7, v7
	s_delay_alu instid0(VALU_DEP_3) | instskip(NEXT) | instid1(VALU_DEP_3)
	v_and_or_b32 v8, 0x3f0000, v8, v9
	v_cmp_ne_u32_e32 vcc_lo, 0, v10
	s_delay_alu instid0(VALU_DEP_2) | instskip(NEXT) | instid1(VALU_DEP_1)
	v_cmp_ne_u32_e64 s0, 0, v8
	s_and_b32 s0, vcc_lo, s0
	s_delay_alu instid0(SALU_CYCLE_1) | instskip(NEXT) | instid1(VALU_DEP_1)
	v_cndmask_b32_e64 v8, 0, 1, s0
	v_add_nc_u32_e32 v8, v7, v8
; %bb.292:
	s_or_b32 exec_lo, exec_lo, s14
	s_mov_b32 s14, -1
	s_mov_b32 s0, 0
	global_store_b8 v[0:1], v8, off
.LBB152_293:
	s_mov_b32 s16, 0
.LBB152_294:
	s_delay_alu instid0(SALU_CYCLE_1)
	s_and_b32 vcc_lo, exec_lo, s16
	s_cbranch_vccz .LBB152_297
; %bb.295:
	v_cmp_eq_u16_e32 vcc_lo, 29, v6
	s_mov_b32 s0, -1
	s_cbranch_vccz .LBB152_297
; %bb.296:
	v_lshlrev_b32_e32 v7, 16, v5
	s_mov_b32 s14, -1
	s_mov_b32 s0, 0
	s_mov_b32 s16, 0
	s_delay_alu instid0(VALU_DEP_1) | instskip(NEXT) | instid1(VALU_DEP_1)
	v_trunc_f32_e32 v7, v7
	v_mul_f32_e32 v8, 0x2f800000, v7
	s_delay_alu instid0(VALU_DEP_1) | instskip(NEXT) | instid1(VALU_DEP_1)
	v_floor_f32_e32 v8, v8
	v_fmamk_f32 v7, v8, 0xcf800000, v7
	v_cvt_u32_f32_e32 v8, v8
	s_delay_alu instid0(VALU_DEP_2)
	v_cvt_u32_f32_e32 v7, v7
	global_store_b64 v[0:1], v[7:8], off
	s_branch .LBB152_298
.LBB152_297:
	s_mov_b32 s16, 0
.LBB152_298:
	s_delay_alu instid0(SALU_CYCLE_1)
	s_and_b32 vcc_lo, exec_lo, s16
	s_cbranch_vccz .LBB152_314
; %bb.299:
	v_cmp_gt_i16_e32 vcc_lo, 27, v6
	s_mov_b32 s14, -1
	s_cbranch_vccnz .LBB152_305
; %bb.300:
	v_cmp_lt_i16_e32 vcc_lo, 27, v6
	s_cbranch_vccz .LBB152_302
; %bb.301:
	v_lshlrev_b32_e32 v7, 16, v5
	s_mov_b32 s14, 0
	s_delay_alu instid0(VALU_DEP_1)
	v_cvt_u32_f32_e32 v7, v7
	global_store_b32 v[0:1], v7, off
.LBB152_302:
	s_and_not1_b32 vcc_lo, exec_lo, s14
	s_cbranch_vccnz .LBB152_304
; %bb.303:
	v_lshlrev_b32_e32 v7, 16, v5
	s_delay_alu instid0(VALU_DEP_1)
	v_cvt_u32_f32_e32 v7, v7
	global_store_b16 v[0:1], v7, off
.LBB152_304:
	s_mov_b32 s14, 0
.LBB152_305:
	s_delay_alu instid0(SALU_CYCLE_1)
	s_and_not1_b32 vcc_lo, exec_lo, s14
	s_cbranch_vccnz .LBB152_313
; %bb.306:
	v_dual_mov_b32 v10, 0x80 :: v_dual_lshlrev_b32 v9, 16, v5
	s_mov_b32 s14, exec_lo
	s_delay_alu instid0(VALU_DEP_1) | instskip(NEXT) | instid1(VALU_DEP_1)
	v_and_b32_e32 v8, 0x7fffffff, v9
	v_cmpx_gt_u32_e32 0x43800000, v8
	s_cbranch_execz .LBB152_312
; %bb.307:
	v_and_b32_e32 v7, 0xffff, v5
	v_cmp_lt_u32_e32 vcc_lo, 0x3bffffff, v8
	s_mov_b32 s16, 0
                                        ; implicit-def: $vgpr8
	s_and_saveexec_b32 s17, vcc_lo
	s_delay_alu instid0(SALU_CYCLE_1)
	s_xor_b32 s17, exec_lo, s17
	s_cbranch_execz .LBB152_525
; %bb.308:
	v_bfe_u32 v8, v7, 4, 1
	s_mov_b32 s16, exec_lo
	s_delay_alu instid0(VALU_DEP_1) | instskip(NEXT) | instid1(VALU_DEP_1)
	v_add3_u32 v8, v9, v8, 0x487ffff
                                        ; implicit-def: $vgpr9
	v_lshrrev_b32_e32 v8, 20, v8
	s_or_saveexec_b32 s17, s17
                                        ; implicit-def: $sgpr18
	s_delay_alu instid0(SALU_CYCLE_1)
	s_xor_b32 exec_lo, exec_lo, s17
	s_cbranch_execnz .LBB152_526
.LBB152_309:
	s_or_b32 exec_lo, exec_lo, s17
	v_mov_b32_e32 v10, s18
	s_and_saveexec_b32 s17, s16
.LBB152_310:
	v_lshrrev_b32_e32 v7, 8, v7
	s_delay_alu instid0(VALU_DEP_1)
	v_and_or_b32 v10, 0x80, v7, v8
.LBB152_311:
	s_or_b32 exec_lo, exec_lo, s17
.LBB152_312:
	s_delay_alu instid0(SALU_CYCLE_1)
	s_or_b32 exec_lo, exec_lo, s14
	global_store_b8 v[0:1], v10, off
.LBB152_313:
	s_mov_b32 s14, -1
.LBB152_314:
	s_mov_b32 s16, 0
.LBB152_315:
	s_delay_alu instid0(SALU_CYCLE_1)
	s_and_b32 vcc_lo, exec_lo, s16
	s_cbranch_vccz .LBB152_356
; %bb.316:
	v_cmp_lt_i16_e32 vcc_lo, 22, v6
	s_mov_b32 s16, -1
	s_cbranch_vccz .LBB152_348
; %bb.317:
	v_cmp_gt_i16_e32 vcc_lo, 24, v6
	s_mov_b32 s14, -1
	s_cbranch_vccnz .LBB152_337
; %bb.318:
	v_cmp_lt_i16_e32 vcc_lo, 24, v6
	s_cbranch_vccz .LBB152_326
; %bb.319:
	v_dual_mov_b32 v10, 0x80 :: v_dual_lshlrev_b32 v9, 16, v5
	s_mov_b32 s14, exec_lo
	s_delay_alu instid0(VALU_DEP_1) | instskip(NEXT) | instid1(VALU_DEP_1)
	v_and_b32_e32 v8, 0x7fffffff, v9
	v_cmpx_gt_u32_e32 0x47800000, v8
	s_cbranch_execz .LBB152_325
; %bb.320:
	v_and_b32_e32 v7, 0xffff, v5
	v_cmp_lt_u32_e32 vcc_lo, 0x37ffffff, v8
	s_mov_b32 s16, 0
                                        ; implicit-def: $vgpr8
	s_and_saveexec_b32 s17, vcc_lo
	s_delay_alu instid0(SALU_CYCLE_1)
	s_xor_b32 s17, exec_lo, s17
	s_cbranch_execz .LBB152_528
; %bb.321:
	v_bfe_u32 v8, v7, 5, 1
	s_mov_b32 s16, exec_lo
	s_delay_alu instid0(VALU_DEP_1) | instskip(NEXT) | instid1(VALU_DEP_1)
	v_add3_u32 v8, v9, v8, 0x88fffff
                                        ; implicit-def: $vgpr9
	v_lshrrev_b32_e32 v8, 21, v8
	s_or_saveexec_b32 s17, s17
                                        ; implicit-def: $sgpr18
	s_delay_alu instid0(SALU_CYCLE_1)
	s_xor_b32 exec_lo, exec_lo, s17
	s_cbranch_execnz .LBB152_529
.LBB152_322:
	s_or_b32 exec_lo, exec_lo, s17
	v_mov_b32_e32 v10, s18
	s_and_saveexec_b32 s17, s16
.LBB152_323:
	v_lshrrev_b32_e32 v7, 8, v7
	s_delay_alu instid0(VALU_DEP_1)
	v_and_or_b32 v10, 0x80, v7, v8
.LBB152_324:
	s_or_b32 exec_lo, exec_lo, s17
.LBB152_325:
	s_delay_alu instid0(SALU_CYCLE_1)
	s_or_b32 exec_lo, exec_lo, s14
	s_mov_b32 s14, 0
	global_store_b8 v[0:1], v10, off
.LBB152_326:
	s_and_b32 vcc_lo, exec_lo, s14
	s_cbranch_vccz .LBB152_336
; %bb.327:
	v_lshlrev_b32_e32 v9, 16, v5
	v_and_b32_e32 v7, 0xffff, v5
	s_mov_b32 s14, exec_lo
                                        ; implicit-def: $vgpr8
	s_delay_alu instid0(VALU_DEP_2) | instskip(NEXT) | instid1(VALU_DEP_1)
	v_and_b32_e32 v10, 0x7fffffff, v9
	v_cmpx_gt_u32_e32 0x43f00000, v10
	s_xor_b32 s14, exec_lo, s14
	s_cbranch_execz .LBB152_333
; %bb.328:
	s_mov_b32 s16, exec_lo
                                        ; implicit-def: $vgpr8
	v_cmpx_lt_u32_e32 0x3c7fffff, v10
	s_xor_b32 s16, exec_lo, s16
; %bb.329:
	v_bfe_u32 v8, v7, 4, 1
	s_delay_alu instid0(VALU_DEP_1) | instskip(NEXT) | instid1(VALU_DEP_1)
	v_add3_u32 v8, v9, v8, 0x407ffff
	v_and_b32_e32 v9, 0xff00000, v8
	v_lshrrev_b32_e32 v8, 20, v8
	s_delay_alu instid0(VALU_DEP_2) | instskip(NEXT) | instid1(VALU_DEP_2)
	v_cmp_ne_u32_e32 vcc_lo, 0x7f00000, v9
                                        ; implicit-def: $vgpr9
	v_cndmask_b32_e32 v8, 0x7e, v8, vcc_lo
; %bb.330:
	s_and_not1_saveexec_b32 s16, s16
; %bb.331:
	v_add_f32_e64 v8, 0x46800000, |v9|
; %bb.332:
	s_or_b32 exec_lo, exec_lo, s16
                                        ; implicit-def: $vgpr10
.LBB152_333:
	s_and_not1_saveexec_b32 s14, s14
; %bb.334:
	v_mov_b32_e32 v8, 0x7f
	v_cmp_lt_u32_e32 vcc_lo, 0x7f800000, v10
	s_delay_alu instid0(VALU_DEP_2)
	v_cndmask_b32_e32 v8, 0x7e, v8, vcc_lo
; %bb.335:
	s_or_b32 exec_lo, exec_lo, s14
	v_lshrrev_b32_e32 v7, 8, v7
	s_delay_alu instid0(VALU_DEP_1)
	v_and_or_b32 v7, 0x80, v7, v8
	global_store_b8 v[0:1], v7, off
.LBB152_336:
	s_mov_b32 s14, 0
.LBB152_337:
	s_delay_alu instid0(SALU_CYCLE_1)
	s_and_not1_b32 vcc_lo, exec_lo, s14
	s_cbranch_vccnz .LBB152_347
; %bb.338:
	v_lshlrev_b32_e32 v9, 16, v5
	v_and_b32_e32 v7, 0xffff, v5
	s_mov_b32 s14, exec_lo
                                        ; implicit-def: $vgpr8
	s_delay_alu instid0(VALU_DEP_2) | instskip(NEXT) | instid1(VALU_DEP_1)
	v_and_b32_e32 v10, 0x7fffffff, v9
	v_cmpx_gt_u32_e32 0x47800000, v10
	s_xor_b32 s14, exec_lo, s14
	s_cbranch_execz .LBB152_344
; %bb.339:
	s_mov_b32 s16, exec_lo
                                        ; implicit-def: $vgpr8
	v_cmpx_lt_u32_e32 0x387fffff, v10
	s_xor_b32 s16, exec_lo, s16
; %bb.340:
	v_bfe_u32 v8, v7, 5, 1
	s_delay_alu instid0(VALU_DEP_1) | instskip(NEXT) | instid1(VALU_DEP_1)
	v_add3_u32 v8, v9, v8, 0x80fffff
                                        ; implicit-def: $vgpr9
	v_lshrrev_b32_e32 v8, 21, v8
; %bb.341:
	s_and_not1_saveexec_b32 s16, s16
; %bb.342:
	v_add_f32_e64 v8, 0x43000000, |v9|
; %bb.343:
	s_or_b32 exec_lo, exec_lo, s16
                                        ; implicit-def: $vgpr10
.LBB152_344:
	s_and_not1_saveexec_b32 s14, s14
; %bb.345:
	v_mov_b32_e32 v8, 0x7f
	v_cmp_lt_u32_e32 vcc_lo, 0x7f800000, v10
	s_delay_alu instid0(VALU_DEP_2)
	v_cndmask_b32_e32 v8, 0x7c, v8, vcc_lo
; %bb.346:
	s_or_b32 exec_lo, exec_lo, s14
	v_lshrrev_b32_e32 v7, 8, v7
	s_delay_alu instid0(VALU_DEP_1)
	v_and_or_b32 v7, 0x80, v7, v8
	global_store_b8 v[0:1], v7, off
.LBB152_347:
	s_mov_b32 s16, 0
	s_mov_b32 s14, -1
.LBB152_348:
	s_and_not1_b32 vcc_lo, exec_lo, s16
	s_cbranch_vccnz .LBB152_356
; %bb.349:
	v_cmp_lt_i16_e32 vcc_lo, 14, v6
	s_mov_b32 s16, -1
	s_cbranch_vccz .LBB152_353
; %bb.350:
	v_cmp_eq_u16_e32 vcc_lo, 15, v6
	s_mov_b32 s0, -1
	s_cbranch_vccz .LBB152_352
; %bb.351:
	s_mov_b32 s14, -1
	s_mov_b32 s0, 0
	global_store_b16 v[0:1], v5, off
.LBB152_352:
	s_mov_b32 s16, 0
.LBB152_353:
	s_delay_alu instid0(SALU_CYCLE_1)
	s_and_b32 vcc_lo, exec_lo, s16
	s_cbranch_vccz .LBB152_356
; %bb.354:
	v_cmp_eq_u16_e32 vcc_lo, 11, v6
	s_mov_b32 s0, -1
	s_cbranch_vccz .LBB152_356
; %bb.355:
	v_and_b32_e32 v7, 0x7fff, v5
	s_mov_b32 s0, 0
	s_mov_b32 s14, -1
	s_delay_alu instid0(VALU_DEP_1)
	v_cmp_ne_u16_e32 vcc_lo, 0, v7
	v_cndmask_b32_e64 v7, 0, 1, vcc_lo
	global_store_b8 v[0:1], v7, off
.LBB152_356:
	s_mov_b32 s16, 0
.LBB152_357:
	s_delay_alu instid0(SALU_CYCLE_1)
	s_and_b32 vcc_lo, exec_lo, s16
	s_cbranch_vccz .LBB152_396
; %bb.358:
	v_cmp_gt_i16_e32 vcc_lo, 5, v6
	s_mov_b32 s14, -1
	s_cbranch_vccnz .LBB152_379
; %bb.359:
	v_cmp_gt_i16_e32 vcc_lo, 8, v6
	s_cbranch_vccnz .LBB152_369
; %bb.360:
	v_cmp_gt_i16_e32 vcc_lo, 9, v6
	s_cbranch_vccnz .LBB152_366
; %bb.361:
	v_cmp_lt_i16_e32 vcc_lo, 9, v6
	s_cbranch_vccz .LBB152_363
; %bb.362:
	v_mov_b32_e32 v9, 0
	v_lshlrev_b32_e32 v7, 16, v5
	s_mov_b32 s14, 0
	s_delay_alu instid0(VALU_DEP_2) | instskip(NEXT) | instid1(VALU_DEP_2)
	v_mov_b32_e32 v10, v9
	v_cvt_f64_f32_e32 v[7:8], v7
	global_store_b128 v[0:1], v[7:10], off
.LBB152_363:
	s_and_not1_b32 vcc_lo, exec_lo, s14
	s_cbranch_vccnz .LBB152_365
; %bb.364:
	v_dual_mov_b32 v8, 0 :: v_dual_lshlrev_b32 v7, 16, v5
	global_store_b64 v[0:1], v[7:8], off
.LBB152_365:
	s_mov_b32 s14, 0
.LBB152_366:
	s_delay_alu instid0(SALU_CYCLE_1)
	s_and_not1_b32 vcc_lo, exec_lo, s14
	s_cbranch_vccnz .LBB152_368
; %bb.367:
	v_lshlrev_b32_e32 v7, 16, v5
	s_delay_alu instid0(VALU_DEP_1) | instskip(NEXT) | instid1(VALU_DEP_1)
	v_cvt_f16_f32_e32 v7, v7
	v_and_b32_e32 v7, 0xffff, v7
	global_store_b32 v[0:1], v7, off
.LBB152_368:
	s_mov_b32 s14, 0
.LBB152_369:
	s_delay_alu instid0(SALU_CYCLE_1)
	s_and_not1_b32 vcc_lo, exec_lo, s14
	s_cbranch_vccnz .LBB152_378
; %bb.370:
	v_cmp_gt_i16_e32 vcc_lo, 6, v6
	s_mov_b32 s14, -1
	s_cbranch_vccnz .LBB152_376
; %bb.371:
	v_cmp_lt_i16_e32 vcc_lo, 6, v6
	s_cbranch_vccz .LBB152_373
; %bb.372:
	v_lshlrev_b32_e32 v7, 16, v5
	s_mov_b32 s14, 0
	s_delay_alu instid0(VALU_DEP_1)
	v_cvt_f64_f32_e32 v[7:8], v7
	global_store_b64 v[0:1], v[7:8], off
.LBB152_373:
	s_and_not1_b32 vcc_lo, exec_lo, s14
	s_cbranch_vccnz .LBB152_375
; %bb.374:
	v_lshlrev_b32_e32 v7, 16, v5
	global_store_b32 v[0:1], v7, off
.LBB152_375:
	s_mov_b32 s14, 0
.LBB152_376:
	s_delay_alu instid0(SALU_CYCLE_1)
	s_and_not1_b32 vcc_lo, exec_lo, s14
	s_cbranch_vccnz .LBB152_378
; %bb.377:
	v_lshlrev_b32_e32 v7, 16, v5
	s_delay_alu instid0(VALU_DEP_1)
	v_cvt_f16_f32_e32 v7, v7
	global_store_b16 v[0:1], v7, off
.LBB152_378:
	s_mov_b32 s14, 0
.LBB152_379:
	s_delay_alu instid0(SALU_CYCLE_1)
	s_and_not1_b32 vcc_lo, exec_lo, s14
	s_cbranch_vccnz .LBB152_395
; %bb.380:
	v_cmp_gt_i16_e32 vcc_lo, 2, v6
	s_mov_b32 s14, -1
	s_cbranch_vccnz .LBB152_390
; %bb.381:
	v_cmp_gt_i16_e32 vcc_lo, 3, v6
	s_cbranch_vccnz .LBB152_387
; %bb.382:
	v_cmp_lt_i16_e32 vcc_lo, 3, v6
	s_cbranch_vccz .LBB152_384
; %bb.383:
	v_lshlrev_b32_e32 v7, 16, v5
	s_mov_b32 s14, 0
	s_delay_alu instid0(VALU_DEP_1) | instskip(NEXT) | instid1(VALU_DEP_1)
	v_trunc_f32_e32 v7, v7
	v_mul_f32_e64 v8, 0x2f800000, |v7|
	v_ashrrev_i32_e32 v10, 31, v7
	s_delay_alu instid0(VALU_DEP_2) | instskip(NEXT) | instid1(VALU_DEP_1)
	v_floor_f32_e32 v8, v8
	v_fma_f32 v9, 0xcf800000, v8, |v7|
	v_cvt_u32_f32_e32 v8, v8
	s_delay_alu instid0(VALU_DEP_2) | instskip(NEXT) | instid1(VALU_DEP_2)
	v_cvt_u32_f32_e32 v7, v9
	v_xor_b32_e32 v8, v8, v10
	s_delay_alu instid0(VALU_DEP_2) | instskip(NEXT) | instid1(VALU_DEP_1)
	v_xor_b32_e32 v7, v7, v10
	v_sub_co_u32 v7, vcc_lo, v7, v10
	s_delay_alu instid0(VALU_DEP_3)
	v_sub_co_ci_u32_e32 v8, vcc_lo, v8, v10, vcc_lo
	global_store_b64 v[0:1], v[7:8], off
.LBB152_384:
	s_and_not1_b32 vcc_lo, exec_lo, s14
	s_cbranch_vccnz .LBB152_386
; %bb.385:
	v_lshlrev_b32_e32 v7, 16, v5
	s_delay_alu instid0(VALU_DEP_1)
	v_cvt_i32_f32_e32 v7, v7
	global_store_b32 v[0:1], v7, off
.LBB152_386:
	s_mov_b32 s14, 0
.LBB152_387:
	s_delay_alu instid0(SALU_CYCLE_1)
	s_and_not1_b32 vcc_lo, exec_lo, s14
	s_cbranch_vccnz .LBB152_389
; %bb.388:
	v_lshlrev_b32_e32 v7, 16, v5
	s_delay_alu instid0(VALU_DEP_1)
	v_cvt_i32_f32_e32 v7, v7
	global_store_b16 v[0:1], v7, off
.LBB152_389:
	s_mov_b32 s14, 0
.LBB152_390:
	s_delay_alu instid0(SALU_CYCLE_1)
	s_and_not1_b32 vcc_lo, exec_lo, s14
	s_cbranch_vccnz .LBB152_395
; %bb.391:
	v_cmp_lt_i16_e32 vcc_lo, 0, v6
	s_mov_b32 s14, -1
	s_cbranch_vccz .LBB152_393
; %bb.392:
	v_lshlrev_b32_e32 v6, 16, v5
	s_mov_b32 s14, 0
	s_delay_alu instid0(VALU_DEP_1)
	v_cvt_i32_f32_e32 v6, v6
	global_store_b8 v[0:1], v6, off
.LBB152_393:
	s_and_not1_b32 vcc_lo, exec_lo, s14
	s_cbranch_vccnz .LBB152_395
; %bb.394:
	v_lshlrev_b32_e32 v5, 16, v5
	s_delay_alu instid0(VALU_DEP_1) | instskip(NEXT) | instid1(VALU_DEP_1)
	v_trunc_f32_e32 v5, v5
	v_mul_f32_e64 v6, 0x2f800000, |v5|
	s_delay_alu instid0(VALU_DEP_1) | instskip(NEXT) | instid1(VALU_DEP_1)
	v_floor_f32_e32 v6, v6
	v_fma_f32 v6, 0xcf800000, v6, |v5|
	v_ashrrev_i32_e32 v5, 31, v5
	s_delay_alu instid0(VALU_DEP_2) | instskip(NEXT) | instid1(VALU_DEP_1)
	v_cvt_u32_f32_e32 v6, v6
	v_xor_b32_e32 v6, v6, v5
	s_delay_alu instid0(VALU_DEP_1)
	v_sub_nc_u32_e32 v5, v6, v5
	global_store_b8 v[0:1], v5, off
.LBB152_395:
	s_mov_b32 s14, -1
.LBB152_396:
	s_delay_alu instid0(SALU_CYCLE_1)
	s_and_not1_b32 vcc_lo, exec_lo, s14
	s_cbranch_vccnz .LBB152_398
; %bb.397:
	v_add_nc_u32_e32 v3, 0x80, v3
	s_mov_b32 s16, -1
	s_branch .LBB152_511
.LBB152_398:
	s_mov_b32 s16, 0
	s_branch .LBB152_510
.LBB152_399:
	s_mov_b32 s13, -1
                                        ; implicit-def: $vgpr5
.LBB152_400:
	s_mov_b32 s14, 0
.LBB152_401:
	s_delay_alu instid0(SALU_CYCLE_1)
	s_and_b32 vcc_lo, exec_lo, s14
	s_cbranch_vccz .LBB152_405
; %bb.402:
	v_cmp_eq_u16_e32 vcc_lo, 29, v4
	s_cbranch_vccz .LBB152_404
; %bb.403:
	global_load_b64 v[5:6], v[0:1], off
	s_mov_b32 s0, -1
	s_mov_b32 s13, 0
	s_mov_b32 s14, 0
	s_waitcnt vmcnt(0)
	v_clz_i32_u32_e32 v7, v6
	s_delay_alu instid0(VALU_DEP_1) | instskip(NEXT) | instid1(VALU_DEP_1)
	v_min_u32_e32 v7, 32, v7
	v_lshlrev_b64 v[5:6], v7, v[5:6]
	s_delay_alu instid0(VALU_DEP_1) | instskip(NEXT) | instid1(VALU_DEP_1)
	v_min_u32_e32 v5, 1, v5
	v_or_b32_e32 v5, v6, v5
	v_sub_nc_u32_e32 v6, 32, v7
	s_delay_alu instid0(VALU_DEP_2) | instskip(NEXT) | instid1(VALU_DEP_1)
	v_cvt_f32_u32_e32 v5, v5
	v_ldexp_f32 v5, v5, v6
	s_delay_alu instid0(VALU_DEP_1) | instskip(NEXT) | instid1(VALU_DEP_1)
	v_bfe_u32 v6, v5, 16, 1
	v_add3_u32 v5, v5, v6, 0x7fff
	s_delay_alu instid0(VALU_DEP_1)
	v_lshrrev_b32_e32 v5, 16, v5
	s_branch .LBB152_406
.LBB152_404:
	s_mov_b32 s13, -1
                                        ; implicit-def: $vgpr5
.LBB152_405:
	s_mov_b32 s14, 0
.LBB152_406:
	s_delay_alu instid0(SALU_CYCLE_1)
	s_and_b32 vcc_lo, exec_lo, s14
	s_cbranch_vccz .LBB152_424
; %bb.407:
	v_cmp_gt_i16_e32 vcc_lo, 27, v4
	s_cbranch_vccnz .LBB152_410
; %bb.408:
	v_cmp_lt_i16_e32 vcc_lo, 27, v4
	s_cbranch_vccz .LBB152_411
; %bb.409:
	global_load_b32 v5, v[0:1], off
	s_mov_b32 s0, 0
	s_waitcnt vmcnt(0)
	v_cvt_f32_u32_e32 v5, v5
	s_delay_alu instid0(VALU_DEP_1) | instskip(NEXT) | instid1(VALU_DEP_1)
	v_bfe_u32 v6, v5, 16, 1
	v_add3_u32 v5, v5, v6, 0x7fff
	s_delay_alu instid0(VALU_DEP_1)
	v_lshrrev_b32_e32 v5, 16, v5
	s_branch .LBB152_412
.LBB152_410:
	s_mov_b32 s0, -1
                                        ; implicit-def: $vgpr5
	s_branch .LBB152_415
.LBB152_411:
	s_mov_b32 s0, -1
                                        ; implicit-def: $vgpr5
.LBB152_412:
	s_delay_alu instid0(SALU_CYCLE_1)
	s_and_not1_b32 vcc_lo, exec_lo, s0
	s_cbranch_vccnz .LBB152_414
; %bb.413:
	global_load_u16 v5, v[0:1], off
	s_waitcnt vmcnt(0)
	v_cvt_f32_u32_e32 v5, v5
	s_delay_alu instid0(VALU_DEP_1) | instskip(NEXT) | instid1(VALU_DEP_1)
	v_bfe_u32 v6, v5, 16, 1
	v_add3_u32 v5, v5, v6, 0x7fff
	s_delay_alu instid0(VALU_DEP_1)
	v_lshrrev_b32_e32 v5, 16, v5
.LBB152_414:
	s_mov_b32 s0, 0
.LBB152_415:
	s_delay_alu instid0(SALU_CYCLE_1)
	s_and_not1_b32 vcc_lo, exec_lo, s0
	s_cbranch_vccnz .LBB152_423
; %bb.416:
	global_load_u8 v5, v[0:1], off
	s_mov_b32 s0, 0
	s_mov_b32 s16, exec_lo
                                        ; implicit-def: $sgpr14
	s_waitcnt vmcnt(0)
	v_cmpx_lt_i16_e32 0x7f, v5
	s_xor_b32 s16, exec_lo, s16
	s_cbranch_execz .LBB152_437
; %bb.417:
	s_mov_b32 s0, -1
	s_mov_b32 s17, exec_lo
                                        ; implicit-def: $sgpr14
	v_cmpx_eq_u16_e32 0x80, v5
; %bb.418:
	s_mov_b32 s14, 0x7f800001
	s_xor_b32 s0, exec_lo, -1
; %bb.419:
	s_or_b32 exec_lo, exec_lo, s17
	s_delay_alu instid0(SALU_CYCLE_1)
	s_and_b32 s0, s0, exec_lo
	s_or_saveexec_b32 s16, s16
	v_mov_b32_e32 v6, s14
	s_xor_b32 exec_lo, exec_lo, s16
	s_cbranch_execnz .LBB152_438
.LBB152_420:
	s_or_b32 exec_lo, exec_lo, s16
	s_and_saveexec_b32 s14, s0
	s_cbranch_execz .LBB152_422
.LBB152_421:
	v_and_b32_e32 v6, 0xffff, v5
	v_lshlrev_b32_e32 v5, 24, v5
	s_delay_alu instid0(VALU_DEP_2) | instskip(NEXT) | instid1(VALU_DEP_2)
	v_and_b32_e32 v7, 7, v6
	v_and_b32_e32 v5, 0x80000000, v5
	s_delay_alu instid0(VALU_DEP_2) | instskip(NEXT) | instid1(VALU_DEP_1)
	v_clz_i32_u32_e32 v8, v7
	v_min_u32_e32 v8, 32, v8
	s_delay_alu instid0(VALU_DEP_1) | instskip(SKIP_1) | instid1(VALU_DEP_2)
	v_subrev_nc_u32_e32 v9, 28, v8
	v_sub_nc_u32_e32 v8, 29, v8
	v_lshlrev_b32_e32 v9, v9, v6
	v_bfe_u32 v6, v6, 3, 4
	s_delay_alu instid0(VALU_DEP_2) | instskip(NEXT) | instid1(VALU_DEP_2)
	v_and_b32_e32 v9, 7, v9
	v_cmp_eq_u32_e32 vcc_lo, 0, v6
	s_delay_alu instid0(VALU_DEP_2) | instskip(NEXT) | instid1(VALU_DEP_1)
	v_dual_cndmask_b32 v6, v6, v8 :: v_dual_cndmask_b32 v7, v7, v9
	v_lshl_add_u32 v6, v6, 23, 0x3b800000
	s_delay_alu instid0(VALU_DEP_2) | instskip(NEXT) | instid1(VALU_DEP_1)
	v_lshlrev_b32_e32 v7, 20, v7
	v_or3_b32 v6, v5, v6, v7
.LBB152_422:
	s_or_b32 exec_lo, exec_lo, s14
	s_delay_alu instid0(VALU_DEP_1) | instskip(SKIP_1) | instid1(VALU_DEP_2)
	v_bfe_u32 v5, v6, 16, 1
	v_cmp_o_f32_e32 vcc_lo, v6, v6
	v_add3_u32 v5, v6, v5, 0x7fff
	s_delay_alu instid0(VALU_DEP_1) | instskip(NEXT) | instid1(VALU_DEP_1)
	v_lshrrev_b32_e32 v5, 16, v5
	v_cndmask_b32_e32 v5, 0x7fc0, v5, vcc_lo
.LBB152_423:
	s_mov_b32 s0, -1
.LBB152_424:
	s_mov_b32 s14, 0
.LBB152_425:
	s_delay_alu instid0(SALU_CYCLE_1)
	s_and_b32 vcc_lo, exec_lo, s14
	s_cbranch_vccz .LBB152_460
; %bb.426:
	v_cmp_lt_i16_e32 vcc_lo, 22, v4
	s_cbranch_vccz .LBB152_436
; %bb.427:
	v_cmp_gt_i16_e32 vcc_lo, 24, v4
	s_cbranch_vccnz .LBB152_439
; %bb.428:
	v_cmp_lt_i16_e32 vcc_lo, 24, v4
	s_cbranch_vccz .LBB152_440
; %bb.429:
	global_load_u8 v5, v[0:1], off
	s_mov_b32 s0, 0
	s_mov_b32 s16, exec_lo
                                        ; implicit-def: $sgpr14
	s_waitcnt vmcnt(0)
	v_cmpx_lt_i16_e32 0x7f, v5
	s_xor_b32 s16, exec_lo, s16
	s_cbranch_execz .LBB152_452
; %bb.430:
	s_mov_b32 s0, -1
	s_mov_b32 s17, exec_lo
                                        ; implicit-def: $sgpr14
	v_cmpx_eq_u16_e32 0x80, v5
; %bb.431:
	s_mov_b32 s14, 0x7f800001
	s_xor_b32 s0, exec_lo, -1
; %bb.432:
	s_or_b32 exec_lo, exec_lo, s17
	s_delay_alu instid0(SALU_CYCLE_1)
	s_and_b32 s0, s0, exec_lo
	s_or_saveexec_b32 s16, s16
	v_mov_b32_e32 v6, s14
	s_xor_b32 exec_lo, exec_lo, s16
	s_cbranch_execnz .LBB152_453
.LBB152_433:
	s_or_b32 exec_lo, exec_lo, s16
	s_and_saveexec_b32 s14, s0
	s_cbranch_execz .LBB152_435
.LBB152_434:
	v_and_b32_e32 v6, 0xffff, v5
	v_lshlrev_b32_e32 v5, 24, v5
	s_delay_alu instid0(VALU_DEP_2) | instskip(NEXT) | instid1(VALU_DEP_2)
	v_and_b32_e32 v7, 3, v6
	v_and_b32_e32 v5, 0x80000000, v5
	s_delay_alu instid0(VALU_DEP_2) | instskip(NEXT) | instid1(VALU_DEP_1)
	v_clz_i32_u32_e32 v8, v7
	v_min_u32_e32 v8, 32, v8
	s_delay_alu instid0(VALU_DEP_1) | instskip(SKIP_1) | instid1(VALU_DEP_2)
	v_subrev_nc_u32_e32 v9, 29, v8
	v_sub_nc_u32_e32 v8, 30, v8
	v_lshlrev_b32_e32 v9, v9, v6
	v_bfe_u32 v6, v6, 2, 5
	s_delay_alu instid0(VALU_DEP_2) | instskip(NEXT) | instid1(VALU_DEP_2)
	v_and_b32_e32 v9, 3, v9
	v_cmp_eq_u32_e32 vcc_lo, 0, v6
	s_delay_alu instid0(VALU_DEP_2) | instskip(NEXT) | instid1(VALU_DEP_1)
	v_dual_cndmask_b32 v6, v6, v8 :: v_dual_cndmask_b32 v7, v7, v9
	v_lshl_add_u32 v6, v6, 23, 0x37800000
	s_delay_alu instid0(VALU_DEP_2) | instskip(NEXT) | instid1(VALU_DEP_1)
	v_lshlrev_b32_e32 v7, 21, v7
	v_or3_b32 v6, v5, v6, v7
.LBB152_435:
	s_or_b32 exec_lo, exec_lo, s14
	s_delay_alu instid0(VALU_DEP_1) | instskip(SKIP_2) | instid1(VALU_DEP_2)
	v_bfe_u32 v5, v6, 16, 1
	v_cmp_o_f32_e32 vcc_lo, v6, v6
	s_mov_b32 s0, 0
	v_add3_u32 v5, v6, v5, 0x7fff
	s_delay_alu instid0(VALU_DEP_1) | instskip(NEXT) | instid1(VALU_DEP_1)
	v_lshrrev_b32_e32 v5, 16, v5
	v_cndmask_b32_e32 v5, 0x7fc0, v5, vcc_lo
	s_branch .LBB152_441
.LBB152_436:
	s_mov_b32 s14, -1
                                        ; implicit-def: $vgpr5
	s_branch .LBB152_447
.LBB152_437:
	s_or_saveexec_b32 s16, s16
	v_mov_b32_e32 v6, s14
	s_xor_b32 exec_lo, exec_lo, s16
	s_cbranch_execz .LBB152_420
.LBB152_438:
	v_cmp_ne_u16_e32 vcc_lo, 0, v5
	v_mov_b32_e32 v6, 0
	s_and_not1_b32 s0, s0, exec_lo
	s_and_b32 s14, vcc_lo, exec_lo
	s_delay_alu instid0(SALU_CYCLE_1)
	s_or_b32 s0, s0, s14
	s_or_b32 exec_lo, exec_lo, s16
	s_and_saveexec_b32 s14, s0
	s_cbranch_execnz .LBB152_421
	s_branch .LBB152_422
.LBB152_439:
	s_mov_b32 s0, -1
                                        ; implicit-def: $vgpr5
	s_branch .LBB152_444
.LBB152_440:
	s_mov_b32 s0, -1
                                        ; implicit-def: $vgpr5
.LBB152_441:
	s_delay_alu instid0(SALU_CYCLE_1)
	s_and_b32 vcc_lo, exec_lo, s0
	s_cbranch_vccz .LBB152_443
; %bb.442:
	global_load_u8 v5, v[0:1], off
	s_waitcnt vmcnt(0)
	v_lshlrev_b32_e32 v5, 24, v5
	s_delay_alu instid0(VALU_DEP_1) | instskip(NEXT) | instid1(VALU_DEP_1)
	v_and_b32_e32 v6, 0x7f000000, v5
	v_clz_i32_u32_e32 v7, v6
	v_add_nc_u32_e32 v9, 0x1000000, v6
	v_cmp_ne_u32_e32 vcc_lo, 0, v6
	s_delay_alu instid0(VALU_DEP_3) | instskip(NEXT) | instid1(VALU_DEP_1)
	v_min_u32_e32 v7, 32, v7
	v_sub_nc_u32_e64 v7, v7, 4 clamp
	s_delay_alu instid0(VALU_DEP_1) | instskip(SKIP_1) | instid1(VALU_DEP_2)
	v_lshlrev_b32_e32 v8, v7, v6
	v_lshlrev_b32_e32 v7, 23, v7
	v_lshrrev_b32_e32 v8, 4, v8
	s_delay_alu instid0(VALU_DEP_1) | instskip(SKIP_1) | instid1(VALU_DEP_2)
	v_sub_nc_u32_e32 v7, v8, v7
	v_ashrrev_i32_e32 v8, 8, v9
	v_add_nc_u32_e32 v7, 0x3c000000, v7
	s_delay_alu instid0(VALU_DEP_1) | instskip(NEXT) | instid1(VALU_DEP_1)
	v_and_or_b32 v7, 0x7f800000, v8, v7
	v_cndmask_b32_e32 v6, 0, v7, vcc_lo
	s_delay_alu instid0(VALU_DEP_1) | instskip(SKIP_1) | instid1(VALU_DEP_2)
	v_and_or_b32 v5, 0x80000000, v5, v6
	v_bfe_u32 v6, v6, 16, 1
	v_cmp_o_f32_e32 vcc_lo, v5, v5
	s_delay_alu instid0(VALU_DEP_2) | instskip(NEXT) | instid1(VALU_DEP_1)
	v_add3_u32 v6, v5, v6, 0x7fff
	v_lshrrev_b32_e32 v6, 16, v6
	s_delay_alu instid0(VALU_DEP_1)
	v_cndmask_b32_e32 v5, 0x7fc0, v6, vcc_lo
.LBB152_443:
	s_mov_b32 s0, 0
.LBB152_444:
	s_delay_alu instid0(SALU_CYCLE_1)
	s_and_not1_b32 vcc_lo, exec_lo, s0
	s_cbranch_vccnz .LBB152_446
; %bb.445:
	global_load_u8 v5, v[0:1], off
	s_waitcnt vmcnt(0)
	v_lshlrev_b32_e32 v6, 25, v5
	v_lshlrev_b16 v5, 8, v5
	s_delay_alu instid0(VALU_DEP_2) | instskip(NEXT) | instid1(VALU_DEP_2)
	v_lshrrev_b32_e32 v7, 4, v6
	v_and_or_b32 v8, 0x7f00, v5, 0.5
	v_bfe_i32 v5, v5, 0, 16
	s_delay_alu instid0(VALU_DEP_3) | instskip(NEXT) | instid1(VALU_DEP_1)
	v_or_b32_e32 v7, 0x70000000, v7
	v_dual_add_f32 v8, -0.5, v8 :: v_dual_mul_f32 v7, 0x7800000, v7
	v_cmp_gt_u32_e32 vcc_lo, 0x8000000, v6
	s_delay_alu instid0(VALU_DEP_2) | instskip(NEXT) | instid1(VALU_DEP_1)
	v_cndmask_b32_e32 v6, v7, v8, vcc_lo
	v_and_or_b32 v5, 0x80000000, v5, v6
	v_bfe_u32 v6, v6, 16, 1
	s_delay_alu instid0(VALU_DEP_2) | instskip(NEXT) | instid1(VALU_DEP_2)
	v_cmp_o_f32_e32 vcc_lo, v5, v5
	v_add3_u32 v6, v5, v6, 0x7fff
	s_delay_alu instid0(VALU_DEP_1) | instskip(NEXT) | instid1(VALU_DEP_1)
	v_lshrrev_b32_e32 v6, 16, v6
	v_cndmask_b32_e32 v5, 0x7fc0, v6, vcc_lo
.LBB152_446:
	s_mov_b32 s14, 0
	s_mov_b32 s0, -1
.LBB152_447:
	s_and_not1_b32 vcc_lo, exec_lo, s14
	s_cbranch_vccnz .LBB152_460
; %bb.448:
	v_cmp_lt_i16_e32 vcc_lo, 14, v4
	s_cbranch_vccz .LBB152_451
; %bb.449:
	v_cmp_eq_u16_e32 vcc_lo, 15, v4
	s_cbranch_vccz .LBB152_454
; %bb.450:
	global_load_u16 v5, v[0:1], off
	s_mov_b32 s0, -1
	s_mov_b32 s13, 0
	s_branch .LBB152_455
.LBB152_451:
	s_mov_b32 s14, -1
                                        ; implicit-def: $vgpr5
	s_branch .LBB152_456
.LBB152_452:
	s_or_saveexec_b32 s16, s16
	v_mov_b32_e32 v6, s14
	s_xor_b32 exec_lo, exec_lo, s16
	s_cbranch_execz .LBB152_433
.LBB152_453:
	v_cmp_ne_u16_e32 vcc_lo, 0, v5
	v_mov_b32_e32 v6, 0
	s_and_not1_b32 s0, s0, exec_lo
	s_and_b32 s14, vcc_lo, exec_lo
	s_delay_alu instid0(SALU_CYCLE_1)
	s_or_b32 s0, s0, s14
	s_or_b32 exec_lo, exec_lo, s16
	s_and_saveexec_b32 s14, s0
	s_cbranch_execnz .LBB152_434
	s_branch .LBB152_435
.LBB152_454:
	s_mov_b32 s13, -1
                                        ; implicit-def: $vgpr5
.LBB152_455:
	s_mov_b32 s14, 0
.LBB152_456:
	s_delay_alu instid0(SALU_CYCLE_1)
	s_and_b32 vcc_lo, exec_lo, s14
	s_cbranch_vccz .LBB152_460
; %bb.457:
	v_cmp_eq_u16_e32 vcc_lo, 11, v4
	s_cbranch_vccz .LBB152_459
; %bb.458:
	global_load_u8 v5, v[0:1], off
	s_mov_b32 s13, 0
	s_mov_b32 s0, -1
	s_waitcnt vmcnt(0)
	v_cmp_ne_u16_e32 vcc_lo, 0, v5
	v_cndmask_b32_e64 v5, 0, 1.0, vcc_lo
	s_delay_alu instid0(VALU_DEP_1)
	v_lshrrev_b32_e32 v5, 16, v5
	s_branch .LBB152_460
.LBB152_459:
	s_mov_b32 s13, -1
                                        ; implicit-def: $vgpr5
.LBB152_460:
	s_branch .LBB152_262
.LBB152_461:
	v_cmp_gt_i16_e32 vcc_lo, 5, v4
	s_cbranch_vccnz .LBB152_466
; %bb.462:
	v_cmp_gt_i16_e32 vcc_lo, 8, v4
	s_cbranch_vccnz .LBB152_467
; %bb.463:
	;; [unrolled: 3-line block ×3, first 2 shown]
	v_cmp_lt_i16_e32 vcc_lo, 9, v4
	s_cbranch_vccz .LBB152_469
; %bb.465:
	global_load_b64 v[5:6], v[0:1], off
	s_mov_b32 s0, 0
	s_waitcnt vmcnt(0)
	v_cvt_f32_f64_e32 v5, v[5:6]
	s_delay_alu instid0(VALU_DEP_1) | instskip(SKIP_1) | instid1(VALU_DEP_2)
	v_bfe_u32 v6, v5, 16, 1
	v_cmp_o_f32_e32 vcc_lo, v5, v5
	v_add3_u32 v6, v5, v6, 0x7fff
	s_delay_alu instid0(VALU_DEP_1) | instskip(NEXT) | instid1(VALU_DEP_1)
	v_lshrrev_b32_e32 v6, 16, v6
	v_cndmask_b32_e32 v5, 0x7fc0, v6, vcc_lo
	s_branch .LBB152_470
.LBB152_466:
	s_mov_b32 s0, -1
                                        ; implicit-def: $vgpr5
	s_branch .LBB152_488
.LBB152_467:
	s_mov_b32 s0, -1
                                        ; implicit-def: $vgpr5
	s_branch .LBB152_476
.LBB152_468:
	s_mov_b32 s0, -1
                                        ; implicit-def: $vgpr5
	s_branch .LBB152_473
.LBB152_469:
	s_mov_b32 s0, -1
                                        ; implicit-def: $vgpr5
.LBB152_470:
	s_delay_alu instid0(SALU_CYCLE_1)
	s_and_not1_b32 vcc_lo, exec_lo, s0
	s_cbranch_vccnz .LBB152_472
; %bb.471:
	global_load_b32 v5, v[0:1], off
	s_waitcnt vmcnt(0)
	v_bfe_u32 v6, v5, 16, 1
	v_cmp_o_f32_e32 vcc_lo, v5, v5
	s_delay_alu instid0(VALU_DEP_2) | instskip(NEXT) | instid1(VALU_DEP_1)
	v_add3_u32 v6, v5, v6, 0x7fff
	v_lshrrev_b32_e32 v6, 16, v6
	s_delay_alu instid0(VALU_DEP_1)
	v_cndmask_b32_e32 v5, 0x7fc0, v6, vcc_lo
.LBB152_472:
	s_mov_b32 s0, 0
.LBB152_473:
	s_delay_alu instid0(SALU_CYCLE_1)
	s_and_not1_b32 vcc_lo, exec_lo, s0
	s_cbranch_vccnz .LBB152_475
; %bb.474:
	global_load_b32 v5, v[0:1], off
	s_waitcnt vmcnt(0)
	v_cvt_f32_f16_e32 v6, v5
	v_cmp_o_f16_e32 vcc_lo, v5, v5
	s_delay_alu instid0(VALU_DEP_2) | instskip(NEXT) | instid1(VALU_DEP_1)
	v_bfe_u32 v7, v6, 16, 1
	v_add3_u32 v6, v6, v7, 0x7fff
	s_delay_alu instid0(VALU_DEP_1) | instskip(NEXT) | instid1(VALU_DEP_1)
	v_lshrrev_b32_e32 v6, 16, v6
	v_cndmask_b32_e32 v5, 0x7fc0, v6, vcc_lo
.LBB152_475:
	s_mov_b32 s0, 0
.LBB152_476:
	s_delay_alu instid0(SALU_CYCLE_1)
	s_and_not1_b32 vcc_lo, exec_lo, s0
	s_cbranch_vccnz .LBB152_487
; %bb.477:
	v_cmp_gt_i16_e32 vcc_lo, 6, v4
	s_cbranch_vccnz .LBB152_480
; %bb.478:
	v_cmp_lt_i16_e32 vcc_lo, 6, v4
	s_cbranch_vccz .LBB152_481
; %bb.479:
	global_load_b64 v[5:6], v[0:1], off
	s_mov_b32 s0, 0
	s_waitcnt vmcnt(0)
	v_cvt_f32_f64_e32 v5, v[5:6]
	s_delay_alu instid0(VALU_DEP_1) | instskip(SKIP_1) | instid1(VALU_DEP_2)
	v_bfe_u32 v6, v5, 16, 1
	v_cmp_o_f32_e32 vcc_lo, v5, v5
	v_add3_u32 v6, v5, v6, 0x7fff
	s_delay_alu instid0(VALU_DEP_1) | instskip(NEXT) | instid1(VALU_DEP_1)
	v_lshrrev_b32_e32 v6, 16, v6
	v_cndmask_b32_e32 v5, 0x7fc0, v6, vcc_lo
	s_branch .LBB152_482
.LBB152_480:
	s_mov_b32 s0, -1
                                        ; implicit-def: $vgpr5
	s_branch .LBB152_485
.LBB152_481:
	s_mov_b32 s0, -1
                                        ; implicit-def: $vgpr5
.LBB152_482:
	s_delay_alu instid0(SALU_CYCLE_1)
	s_and_not1_b32 vcc_lo, exec_lo, s0
	s_cbranch_vccnz .LBB152_484
; %bb.483:
	global_load_b32 v5, v[0:1], off
	s_waitcnt vmcnt(0)
	v_bfe_u32 v6, v5, 16, 1
	v_cmp_o_f32_e32 vcc_lo, v5, v5
	s_delay_alu instid0(VALU_DEP_2) | instskip(NEXT) | instid1(VALU_DEP_1)
	v_add3_u32 v6, v5, v6, 0x7fff
	v_lshrrev_b32_e32 v6, 16, v6
	s_delay_alu instid0(VALU_DEP_1)
	v_cndmask_b32_e32 v5, 0x7fc0, v6, vcc_lo
.LBB152_484:
	s_mov_b32 s0, 0
.LBB152_485:
	s_delay_alu instid0(SALU_CYCLE_1)
	s_and_not1_b32 vcc_lo, exec_lo, s0
	s_cbranch_vccnz .LBB152_487
; %bb.486:
	global_load_u16 v5, v[0:1], off
	s_waitcnt vmcnt(0)
	v_cvt_f32_f16_e32 v6, v5
	v_cmp_o_f16_e32 vcc_lo, v5, v5
	s_delay_alu instid0(VALU_DEP_2) | instskip(NEXT) | instid1(VALU_DEP_1)
	v_bfe_u32 v7, v6, 16, 1
	v_add3_u32 v6, v6, v7, 0x7fff
	s_delay_alu instid0(VALU_DEP_1) | instskip(NEXT) | instid1(VALU_DEP_1)
	v_lshrrev_b32_e32 v6, 16, v6
	v_cndmask_b32_e32 v5, 0x7fc0, v6, vcc_lo
.LBB152_487:
	s_mov_b32 s0, 0
.LBB152_488:
	s_delay_alu instid0(SALU_CYCLE_1)
	s_and_not1_b32 vcc_lo, exec_lo, s0
	s_cbranch_vccnz .LBB152_508
; %bb.489:
	v_cmp_gt_i16_e32 vcc_lo, 2, v4
	s_cbranch_vccnz .LBB152_493
; %bb.490:
	v_cmp_gt_i16_e32 vcc_lo, 3, v4
	s_cbranch_vccnz .LBB152_494
; %bb.491:
	v_cmp_lt_i16_e32 vcc_lo, 3, v4
	s_cbranch_vccz .LBB152_495
; %bb.492:
	global_load_b64 v[5:6], v[0:1], off
	s_mov_b32 s0, 0
	s_waitcnt vmcnt(0)
	v_xor_b32_e32 v7, v5, v6
	v_cls_i32_e32 v8, v6
	s_delay_alu instid0(VALU_DEP_2) | instskip(NEXT) | instid1(VALU_DEP_2)
	v_ashrrev_i32_e32 v7, 31, v7
	v_add_nc_u32_e32 v8, -1, v8
	s_delay_alu instid0(VALU_DEP_2) | instskip(NEXT) | instid1(VALU_DEP_1)
	v_add_nc_u32_e32 v7, 32, v7
	v_min_u32_e32 v7, v8, v7
	s_delay_alu instid0(VALU_DEP_1) | instskip(NEXT) | instid1(VALU_DEP_1)
	v_lshlrev_b64 v[5:6], v7, v[5:6]
	v_min_u32_e32 v5, 1, v5
	s_delay_alu instid0(VALU_DEP_1) | instskip(SKIP_1) | instid1(VALU_DEP_2)
	v_or_b32_e32 v5, v6, v5
	v_sub_nc_u32_e32 v6, 32, v7
	v_cvt_f32_i32_e32 v5, v5
	s_delay_alu instid0(VALU_DEP_1) | instskip(NEXT) | instid1(VALU_DEP_1)
	v_ldexp_f32 v5, v5, v6
	v_bfe_u32 v6, v5, 16, 1
	s_delay_alu instid0(VALU_DEP_1) | instskip(NEXT) | instid1(VALU_DEP_1)
	v_add3_u32 v5, v5, v6, 0x7fff
	v_lshrrev_b32_e32 v5, 16, v5
	s_branch .LBB152_496
.LBB152_493:
	s_mov_b32 s0, -1
                                        ; implicit-def: $vgpr5
	s_branch .LBB152_502
.LBB152_494:
	s_mov_b32 s0, -1
                                        ; implicit-def: $vgpr5
	s_branch .LBB152_499
.LBB152_495:
	s_mov_b32 s0, -1
                                        ; implicit-def: $vgpr5
.LBB152_496:
	s_delay_alu instid0(SALU_CYCLE_1)
	s_and_not1_b32 vcc_lo, exec_lo, s0
	s_cbranch_vccnz .LBB152_498
; %bb.497:
	global_load_b32 v5, v[0:1], off
	s_waitcnt vmcnt(0)
	v_cvt_f32_i32_e32 v5, v5
	s_delay_alu instid0(VALU_DEP_1) | instskip(NEXT) | instid1(VALU_DEP_1)
	v_bfe_u32 v6, v5, 16, 1
	v_add3_u32 v5, v5, v6, 0x7fff
	s_delay_alu instid0(VALU_DEP_1)
	v_lshrrev_b32_e32 v5, 16, v5
.LBB152_498:
	s_mov_b32 s0, 0
.LBB152_499:
	s_delay_alu instid0(SALU_CYCLE_1)
	s_and_not1_b32 vcc_lo, exec_lo, s0
	s_cbranch_vccnz .LBB152_501
; %bb.500:
	global_load_i16 v5, v[0:1], off
	s_waitcnt vmcnt(0)
	v_cvt_f32_i32_e32 v5, v5
	s_delay_alu instid0(VALU_DEP_1) | instskip(NEXT) | instid1(VALU_DEP_1)
	v_bfe_u32 v6, v5, 16, 1
	v_add3_u32 v5, v5, v6, 0x7fff
	s_delay_alu instid0(VALU_DEP_1)
	v_lshrrev_b32_e32 v5, 16, v5
.LBB152_501:
	s_mov_b32 s0, 0
.LBB152_502:
	s_delay_alu instid0(SALU_CYCLE_1)
	s_and_not1_b32 vcc_lo, exec_lo, s0
	s_cbranch_vccnz .LBB152_508
; %bb.503:
	v_cmp_lt_i16_e32 vcc_lo, 0, v4
	s_mov_b32 s0, 0
	s_cbranch_vccz .LBB152_505
; %bb.504:
	global_load_i8 v5, v[0:1], off
	s_waitcnt vmcnt(0)
	v_cvt_f32_i32_e32 v5, v5
	s_delay_alu instid0(VALU_DEP_1) | instskip(NEXT) | instid1(VALU_DEP_1)
	v_bfe_u32 v6, v5, 16, 1
	v_add3_u32 v5, v5, v6, 0x7fff
	s_delay_alu instid0(VALU_DEP_1)
	v_lshrrev_b32_e32 v5, 16, v5
	s_branch .LBB152_506
.LBB152_505:
	s_mov_b32 s0, -1
                                        ; implicit-def: $vgpr5
.LBB152_506:
	s_delay_alu instid0(SALU_CYCLE_1)
	s_and_not1_b32 vcc_lo, exec_lo, s0
	s_cbranch_vccnz .LBB152_508
; %bb.507:
	global_load_u8 v0, v[0:1], off
	s_waitcnt vmcnt(0)
	v_cvt_f32_ubyte0_e32 v0, v0
	s_delay_alu instid0(VALU_DEP_1) | instskip(NEXT) | instid1(VALU_DEP_1)
	v_bfe_u32 v1, v0, 16, 1
	v_add3_u32 v0, v0, v1, 0x7fff
	s_delay_alu instid0(VALU_DEP_1)
	v_lshrrev_b32_e32 v5, 16, v0
.LBB152_508:
	s_branch .LBB152_263
.LBB152_509:
	s_mov_b32 s16, 0
	s_mov_b32 s0, s9
.LBB152_510:
                                        ; implicit-def: $vgpr3
.LBB152_511:
	s_and_not1_b32 s14, s9, exec_lo
	s_and_b32 s0, s0, exec_lo
	s_and_not1_b32 s17, s11, exec_lo
	s_and_b32 s13, s13, exec_lo
	s_or_b32 s14, s14, s0
	s_or_b32 s13, s17, s13
	s_or_not1_b32 s17, s16, exec_lo
.LBB152_512:
	s_or_b32 exec_lo, exec_lo, s15
	s_mov_b32 s16, 0
	s_mov_b32 s18, 0
	;; [unrolled: 1-line block ×3, first 2 shown]
                                        ; implicit-def: $vgpr0_vgpr1
                                        ; implicit-def: $vgpr6
	s_and_saveexec_b32 s15, s17
	s_cbranch_execz .LBB152_859
; %bb.513:
	s_mov_b32 s0, -1
	s_mov_b32 s17, s13
	s_mov_b32 s18, s14
	s_mov_b32 s16, exec_lo
	v_cmpx_gt_i32_e64 s10, v3
	s_cbranch_execz .LBB152_773
; %bb.514:
	v_mul_lo_u32 v0, v3, s3
	v_cmp_gt_i16_e32 vcc_lo, 11, v4
	s_delay_alu instid0(VALU_DEP_2) | instskip(SKIP_1) | instid1(VALU_DEP_1)
	v_ashrrev_i32_e32 v1, 31, v0
	v_add_co_u32 v0, s0, s6, v0
	v_add_co_ci_u32_e64 v1, s0, s7, v1, s0
	s_cbranch_vccnz .LBB152_521
; %bb.515:
	v_cmp_lt_i16_e32 vcc_lo, 25, v4
	s_cbranch_vccz .LBB152_522
; %bb.516:
	v_cmp_lt_i16_e32 vcc_lo, 28, v4
	s_cbranch_vccz .LBB152_523
	;; [unrolled: 3-line block ×4, first 2 shown]
; %bb.519:
	v_cmp_eq_u16_e32 vcc_lo, 46, v4
	s_mov_b32 s18, 0
	s_cbranch_vccz .LBB152_530
; %bb.520:
	global_load_b32 v5, v[0:1], off
	s_mov_b32 s0, -1
	s_mov_b32 s17, 0
	s_branch .LBB152_532
.LBB152_521:
	s_mov_b32 s18, -1
	s_mov_b32 s0, 0
	s_mov_b32 s17, s13
                                        ; implicit-def: $vgpr5
	s_branch .LBB152_597
.LBB152_522:
	s_mov_b32 s18, -1
	s_mov_b32 s0, 0
	s_mov_b32 s17, s13
                                        ; implicit-def: $vgpr5
	s_branch .LBB152_561
.LBB152_523:
	s_mov_b32 s18, -1
	s_mov_b32 s0, 0
	s_mov_b32 s17, s13
                                        ; implicit-def: $vgpr5
	s_branch .LBB152_542
.LBB152_524:
	s_mov_b32 s18, -1
	s_mov_b32 s0, 0
	s_mov_b32 s17, s13
                                        ; implicit-def: $vgpr5
	s_branch .LBB152_537
.LBB152_525:
	s_or_saveexec_b32 s17, s17
                                        ; implicit-def: $sgpr18
	s_delay_alu instid0(SALU_CYCLE_1)
	s_xor_b32 exec_lo, exec_lo, s17
	s_cbranch_execz .LBB152_309
.LBB152_526:
	v_add_f32_e64 v8, 0x46000000, |v9|
	s_and_not1_b32 s16, s16, exec_lo
	s_mov_b32 s18, 0
	s_delay_alu instid0(VALU_DEP_1) | instskip(NEXT) | instid1(VALU_DEP_1)
	v_and_b32_e32 v8, 0xff, v8
	v_cmp_ne_u32_e32 vcc_lo, 0, v8
	s_and_b32 s19, vcc_lo, exec_lo
	s_delay_alu instid0(SALU_CYCLE_1)
	s_or_b32 s16, s16, s19
	s_or_b32 exec_lo, exec_lo, s17
	v_mov_b32_e32 v10, s18
	s_and_saveexec_b32 s17, s16
	s_cbranch_execnz .LBB152_310
	s_branch .LBB152_311
.LBB152_527:
	s_mov_b32 s18, -1
	s_mov_b32 s0, 0
	s_mov_b32 s17, s13
	s_branch .LBB152_531
.LBB152_528:
	s_or_saveexec_b32 s17, s17
                                        ; implicit-def: $sgpr18
	s_delay_alu instid0(SALU_CYCLE_1)
	s_xor_b32 exec_lo, exec_lo, s17
	s_cbranch_execz .LBB152_322
.LBB152_529:
	v_add_f32_e64 v8, 0x42800000, |v9|
	s_and_not1_b32 s16, s16, exec_lo
	s_mov_b32 s18, 0
	s_delay_alu instid0(VALU_DEP_1) | instskip(NEXT) | instid1(VALU_DEP_1)
	v_and_b32_e32 v8, 0xff, v8
	v_cmp_ne_u32_e32 vcc_lo, 0, v8
	s_and_b32 s19, vcc_lo, exec_lo
	s_delay_alu instid0(SALU_CYCLE_1)
	s_or_b32 s16, s16, s19
	s_or_b32 exec_lo, exec_lo, s17
	v_mov_b32_e32 v10, s18
	s_and_saveexec_b32 s17, s16
	s_cbranch_execnz .LBB152_323
	s_branch .LBB152_324
.LBB152_530:
	s_mov_b32 s17, -1
	s_mov_b32 s0, 0
.LBB152_531:
                                        ; implicit-def: $vgpr5
.LBB152_532:
	s_and_b32 vcc_lo, exec_lo, s18
	s_cbranch_vccz .LBB152_536
; %bb.533:
	v_cmp_eq_u16_e32 vcc_lo, 44, v4
	s_cbranch_vccz .LBB152_535
; %bb.534:
	global_load_u8 v5, v[0:1], off
	s_mov_b32 s17, 0
	s_mov_b32 s0, -1
	s_waitcnt vmcnt(0)
	v_lshlrev_b32_e32 v6, 23, v5
	v_cmp_ne_u32_e32 vcc_lo, 0xff, v5
	s_delay_alu instid0(VALU_DEP_2) | instskip(SKIP_1) | instid1(VALU_DEP_2)
	v_cndmask_b32_e32 v6, 0x7f800001, v6, vcc_lo
	v_cmp_ne_u32_e32 vcc_lo, 0, v5
	v_cndmask_b32_e32 v5, 0x400000, v6, vcc_lo
	s_delay_alu instid0(VALU_DEP_1) | instskip(SKIP_1) | instid1(VALU_DEP_2)
	v_add_nc_u32_e32 v6, 0x7fff, v5
	v_cmp_o_f32_e32 vcc_lo, v5, v5
	v_lshrrev_b32_e32 v6, 16, v6
	s_delay_alu instid0(VALU_DEP_1)
	v_cndmask_b32_e32 v5, 0x7fc0, v6, vcc_lo
	s_branch .LBB152_536
.LBB152_535:
	s_mov_b32 s17, -1
                                        ; implicit-def: $vgpr5
.LBB152_536:
	s_mov_b32 s18, 0
.LBB152_537:
	s_delay_alu instid0(SALU_CYCLE_1)
	s_and_b32 vcc_lo, exec_lo, s18
	s_cbranch_vccz .LBB152_541
; %bb.538:
	v_cmp_eq_u16_e32 vcc_lo, 29, v4
	s_cbranch_vccz .LBB152_540
; %bb.539:
	global_load_b64 v[5:6], v[0:1], off
	s_mov_b32 s0, -1
	s_mov_b32 s17, 0
	s_mov_b32 s18, 0
	s_waitcnt vmcnt(0)
	v_clz_i32_u32_e32 v7, v6
	s_delay_alu instid0(VALU_DEP_1) | instskip(NEXT) | instid1(VALU_DEP_1)
	v_min_u32_e32 v7, 32, v7
	v_lshlrev_b64 v[5:6], v7, v[5:6]
	s_delay_alu instid0(VALU_DEP_1) | instskip(NEXT) | instid1(VALU_DEP_1)
	v_min_u32_e32 v5, 1, v5
	v_or_b32_e32 v5, v6, v5
	v_sub_nc_u32_e32 v6, 32, v7
	s_delay_alu instid0(VALU_DEP_2) | instskip(NEXT) | instid1(VALU_DEP_1)
	v_cvt_f32_u32_e32 v5, v5
	v_ldexp_f32 v5, v5, v6
	s_delay_alu instid0(VALU_DEP_1) | instskip(NEXT) | instid1(VALU_DEP_1)
	v_bfe_u32 v6, v5, 16, 1
	v_add3_u32 v5, v5, v6, 0x7fff
	s_delay_alu instid0(VALU_DEP_1)
	v_lshrrev_b32_e32 v5, 16, v5
	s_branch .LBB152_542
.LBB152_540:
	s_mov_b32 s17, -1
                                        ; implicit-def: $vgpr5
.LBB152_541:
	s_mov_b32 s18, 0
.LBB152_542:
	s_delay_alu instid0(SALU_CYCLE_1)
	s_and_b32 vcc_lo, exec_lo, s18
	s_cbranch_vccz .LBB152_560
; %bb.543:
	v_cmp_gt_i16_e32 vcc_lo, 27, v4
	s_cbranch_vccnz .LBB152_546
; %bb.544:
	v_cmp_lt_i16_e32 vcc_lo, 27, v4
	s_cbranch_vccz .LBB152_547
; %bb.545:
	global_load_b32 v5, v[0:1], off
	s_mov_b32 s0, 0
	s_waitcnt vmcnt(0)
	v_cvt_f32_u32_e32 v5, v5
	s_delay_alu instid0(VALU_DEP_1) | instskip(NEXT) | instid1(VALU_DEP_1)
	v_bfe_u32 v6, v5, 16, 1
	v_add3_u32 v5, v5, v6, 0x7fff
	s_delay_alu instid0(VALU_DEP_1)
	v_lshrrev_b32_e32 v5, 16, v5
	s_branch .LBB152_548
.LBB152_546:
	s_mov_b32 s0, -1
                                        ; implicit-def: $vgpr5
	s_branch .LBB152_551
.LBB152_547:
	s_mov_b32 s0, -1
                                        ; implicit-def: $vgpr5
.LBB152_548:
	s_delay_alu instid0(SALU_CYCLE_1)
	s_and_not1_b32 vcc_lo, exec_lo, s0
	s_cbranch_vccnz .LBB152_550
; %bb.549:
	global_load_u16 v5, v[0:1], off
	s_waitcnt vmcnt(0)
	v_cvt_f32_u32_e32 v5, v5
	s_delay_alu instid0(VALU_DEP_1) | instskip(NEXT) | instid1(VALU_DEP_1)
	v_bfe_u32 v6, v5, 16, 1
	v_add3_u32 v5, v5, v6, 0x7fff
	s_delay_alu instid0(VALU_DEP_1)
	v_lshrrev_b32_e32 v5, 16, v5
.LBB152_550:
	s_mov_b32 s0, 0
.LBB152_551:
	s_delay_alu instid0(SALU_CYCLE_1)
	s_and_not1_b32 vcc_lo, exec_lo, s0
	s_cbranch_vccnz .LBB152_559
; %bb.552:
	global_load_u8 v5, v[0:1], off
	s_mov_b32 s0, 0
	s_mov_b32 s19, exec_lo
                                        ; implicit-def: $sgpr18
	s_waitcnt vmcnt(0)
	v_cmpx_lt_i16_e32 0x7f, v5
	s_xor_b32 s19, exec_lo, s19
	s_cbranch_execz .LBB152_573
; %bb.553:
	s_mov_b32 s0, -1
	s_mov_b32 s20, exec_lo
                                        ; implicit-def: $sgpr18
	v_cmpx_eq_u16_e32 0x80, v5
; %bb.554:
	s_mov_b32 s18, 0x7f800001
	s_xor_b32 s0, exec_lo, -1
; %bb.555:
	s_or_b32 exec_lo, exec_lo, s20
	s_delay_alu instid0(SALU_CYCLE_1)
	s_and_b32 s0, s0, exec_lo
	s_or_saveexec_b32 s19, s19
	v_mov_b32_e32 v6, s18
	s_xor_b32 exec_lo, exec_lo, s19
	s_cbranch_execnz .LBB152_574
.LBB152_556:
	s_or_b32 exec_lo, exec_lo, s19
	s_and_saveexec_b32 s18, s0
	s_cbranch_execz .LBB152_558
.LBB152_557:
	v_and_b32_e32 v6, 0xffff, v5
	v_lshlrev_b32_e32 v5, 24, v5
	s_delay_alu instid0(VALU_DEP_2) | instskip(NEXT) | instid1(VALU_DEP_2)
	v_and_b32_e32 v7, 7, v6
	v_and_b32_e32 v5, 0x80000000, v5
	s_delay_alu instid0(VALU_DEP_2) | instskip(NEXT) | instid1(VALU_DEP_1)
	v_clz_i32_u32_e32 v8, v7
	v_min_u32_e32 v8, 32, v8
	s_delay_alu instid0(VALU_DEP_1) | instskip(SKIP_1) | instid1(VALU_DEP_2)
	v_subrev_nc_u32_e32 v9, 28, v8
	v_sub_nc_u32_e32 v8, 29, v8
	v_lshlrev_b32_e32 v9, v9, v6
	v_bfe_u32 v6, v6, 3, 4
	s_delay_alu instid0(VALU_DEP_2) | instskip(NEXT) | instid1(VALU_DEP_2)
	v_and_b32_e32 v9, 7, v9
	v_cmp_eq_u32_e32 vcc_lo, 0, v6
	s_delay_alu instid0(VALU_DEP_2) | instskip(NEXT) | instid1(VALU_DEP_1)
	v_dual_cndmask_b32 v6, v6, v8 :: v_dual_cndmask_b32 v7, v7, v9
	v_lshl_add_u32 v6, v6, 23, 0x3b800000
	s_delay_alu instid0(VALU_DEP_2) | instskip(NEXT) | instid1(VALU_DEP_1)
	v_lshlrev_b32_e32 v7, 20, v7
	v_or3_b32 v6, v5, v6, v7
.LBB152_558:
	s_or_b32 exec_lo, exec_lo, s18
	s_delay_alu instid0(VALU_DEP_1) | instskip(SKIP_1) | instid1(VALU_DEP_2)
	v_bfe_u32 v5, v6, 16, 1
	v_cmp_o_f32_e32 vcc_lo, v6, v6
	v_add3_u32 v5, v6, v5, 0x7fff
	s_delay_alu instid0(VALU_DEP_1) | instskip(NEXT) | instid1(VALU_DEP_1)
	v_lshrrev_b32_e32 v5, 16, v5
	v_cndmask_b32_e32 v5, 0x7fc0, v5, vcc_lo
.LBB152_559:
	s_mov_b32 s0, -1
.LBB152_560:
	s_mov_b32 s18, 0
.LBB152_561:
	s_delay_alu instid0(SALU_CYCLE_1)
	s_and_b32 vcc_lo, exec_lo, s18
	s_cbranch_vccz .LBB152_596
; %bb.562:
	v_cmp_lt_i16_e32 vcc_lo, 22, v4
	s_cbranch_vccz .LBB152_572
; %bb.563:
	v_cmp_gt_i16_e32 vcc_lo, 24, v4
	s_cbranch_vccnz .LBB152_575
; %bb.564:
	v_cmp_lt_i16_e32 vcc_lo, 24, v4
	s_cbranch_vccz .LBB152_576
; %bb.565:
	global_load_u8 v5, v[0:1], off
	s_mov_b32 s0, 0
	s_mov_b32 s19, exec_lo
                                        ; implicit-def: $sgpr18
	s_waitcnt vmcnt(0)
	v_cmpx_lt_i16_e32 0x7f, v5
	s_xor_b32 s19, exec_lo, s19
	s_cbranch_execz .LBB152_588
; %bb.566:
	s_mov_b32 s0, -1
	s_mov_b32 s20, exec_lo
                                        ; implicit-def: $sgpr18
	v_cmpx_eq_u16_e32 0x80, v5
; %bb.567:
	s_mov_b32 s18, 0x7f800001
	s_xor_b32 s0, exec_lo, -1
; %bb.568:
	s_or_b32 exec_lo, exec_lo, s20
	s_delay_alu instid0(SALU_CYCLE_1)
	s_and_b32 s0, s0, exec_lo
	s_or_saveexec_b32 s19, s19
	v_mov_b32_e32 v6, s18
	s_xor_b32 exec_lo, exec_lo, s19
	s_cbranch_execnz .LBB152_589
.LBB152_569:
	s_or_b32 exec_lo, exec_lo, s19
	s_and_saveexec_b32 s18, s0
	s_cbranch_execz .LBB152_571
.LBB152_570:
	v_and_b32_e32 v6, 0xffff, v5
	v_lshlrev_b32_e32 v5, 24, v5
	s_delay_alu instid0(VALU_DEP_2) | instskip(NEXT) | instid1(VALU_DEP_2)
	v_and_b32_e32 v7, 3, v6
	v_and_b32_e32 v5, 0x80000000, v5
	s_delay_alu instid0(VALU_DEP_2) | instskip(NEXT) | instid1(VALU_DEP_1)
	v_clz_i32_u32_e32 v8, v7
	v_min_u32_e32 v8, 32, v8
	s_delay_alu instid0(VALU_DEP_1) | instskip(SKIP_1) | instid1(VALU_DEP_2)
	v_subrev_nc_u32_e32 v9, 29, v8
	v_sub_nc_u32_e32 v8, 30, v8
	v_lshlrev_b32_e32 v9, v9, v6
	v_bfe_u32 v6, v6, 2, 5
	s_delay_alu instid0(VALU_DEP_2) | instskip(NEXT) | instid1(VALU_DEP_2)
	v_and_b32_e32 v9, 3, v9
	v_cmp_eq_u32_e32 vcc_lo, 0, v6
	s_delay_alu instid0(VALU_DEP_2) | instskip(NEXT) | instid1(VALU_DEP_1)
	v_dual_cndmask_b32 v6, v6, v8 :: v_dual_cndmask_b32 v7, v7, v9
	v_lshl_add_u32 v6, v6, 23, 0x37800000
	s_delay_alu instid0(VALU_DEP_2) | instskip(NEXT) | instid1(VALU_DEP_1)
	v_lshlrev_b32_e32 v7, 21, v7
	v_or3_b32 v6, v5, v6, v7
.LBB152_571:
	s_or_b32 exec_lo, exec_lo, s18
	s_delay_alu instid0(VALU_DEP_1) | instskip(SKIP_2) | instid1(VALU_DEP_2)
	v_bfe_u32 v5, v6, 16, 1
	v_cmp_o_f32_e32 vcc_lo, v6, v6
	s_mov_b32 s0, 0
	v_add3_u32 v5, v6, v5, 0x7fff
	s_delay_alu instid0(VALU_DEP_1) | instskip(NEXT) | instid1(VALU_DEP_1)
	v_lshrrev_b32_e32 v5, 16, v5
	v_cndmask_b32_e32 v5, 0x7fc0, v5, vcc_lo
	s_branch .LBB152_577
.LBB152_572:
	s_mov_b32 s18, -1
                                        ; implicit-def: $vgpr5
	s_branch .LBB152_583
.LBB152_573:
	s_or_saveexec_b32 s19, s19
	v_mov_b32_e32 v6, s18
	s_xor_b32 exec_lo, exec_lo, s19
	s_cbranch_execz .LBB152_556
.LBB152_574:
	v_cmp_ne_u16_e32 vcc_lo, 0, v5
	v_mov_b32_e32 v6, 0
	s_and_not1_b32 s0, s0, exec_lo
	s_and_b32 s18, vcc_lo, exec_lo
	s_delay_alu instid0(SALU_CYCLE_1)
	s_or_b32 s0, s0, s18
	s_or_b32 exec_lo, exec_lo, s19
	s_and_saveexec_b32 s18, s0
	s_cbranch_execnz .LBB152_557
	s_branch .LBB152_558
.LBB152_575:
	s_mov_b32 s0, -1
                                        ; implicit-def: $vgpr5
	s_branch .LBB152_580
.LBB152_576:
	s_mov_b32 s0, -1
                                        ; implicit-def: $vgpr5
.LBB152_577:
	s_delay_alu instid0(SALU_CYCLE_1)
	s_and_b32 vcc_lo, exec_lo, s0
	s_cbranch_vccz .LBB152_579
; %bb.578:
	global_load_u8 v5, v[0:1], off
	s_waitcnt vmcnt(0)
	v_lshlrev_b32_e32 v5, 24, v5
	s_delay_alu instid0(VALU_DEP_1) | instskip(NEXT) | instid1(VALU_DEP_1)
	v_and_b32_e32 v6, 0x7f000000, v5
	v_clz_i32_u32_e32 v7, v6
	v_add_nc_u32_e32 v9, 0x1000000, v6
	v_cmp_ne_u32_e32 vcc_lo, 0, v6
	s_delay_alu instid0(VALU_DEP_3) | instskip(NEXT) | instid1(VALU_DEP_1)
	v_min_u32_e32 v7, 32, v7
	v_sub_nc_u32_e64 v7, v7, 4 clamp
	s_delay_alu instid0(VALU_DEP_1) | instskip(SKIP_1) | instid1(VALU_DEP_2)
	v_lshlrev_b32_e32 v8, v7, v6
	v_lshlrev_b32_e32 v7, 23, v7
	v_lshrrev_b32_e32 v8, 4, v8
	s_delay_alu instid0(VALU_DEP_1) | instskip(SKIP_1) | instid1(VALU_DEP_2)
	v_sub_nc_u32_e32 v7, v8, v7
	v_ashrrev_i32_e32 v8, 8, v9
	v_add_nc_u32_e32 v7, 0x3c000000, v7
	s_delay_alu instid0(VALU_DEP_1) | instskip(NEXT) | instid1(VALU_DEP_1)
	v_and_or_b32 v7, 0x7f800000, v8, v7
	v_cndmask_b32_e32 v6, 0, v7, vcc_lo
	s_delay_alu instid0(VALU_DEP_1) | instskip(SKIP_1) | instid1(VALU_DEP_2)
	v_and_or_b32 v5, 0x80000000, v5, v6
	v_bfe_u32 v6, v6, 16, 1
	v_cmp_o_f32_e32 vcc_lo, v5, v5
	s_delay_alu instid0(VALU_DEP_2) | instskip(NEXT) | instid1(VALU_DEP_1)
	v_add3_u32 v6, v5, v6, 0x7fff
	v_lshrrev_b32_e32 v6, 16, v6
	s_delay_alu instid0(VALU_DEP_1)
	v_cndmask_b32_e32 v5, 0x7fc0, v6, vcc_lo
.LBB152_579:
	s_mov_b32 s0, 0
.LBB152_580:
	s_delay_alu instid0(SALU_CYCLE_1)
	s_and_not1_b32 vcc_lo, exec_lo, s0
	s_cbranch_vccnz .LBB152_582
; %bb.581:
	global_load_u8 v5, v[0:1], off
	s_waitcnt vmcnt(0)
	v_lshlrev_b32_e32 v6, 25, v5
	v_lshlrev_b16 v5, 8, v5
	s_delay_alu instid0(VALU_DEP_2) | instskip(NEXT) | instid1(VALU_DEP_2)
	v_lshrrev_b32_e32 v7, 4, v6
	v_and_or_b32 v8, 0x7f00, v5, 0.5
	v_bfe_i32 v5, v5, 0, 16
	s_delay_alu instid0(VALU_DEP_3) | instskip(NEXT) | instid1(VALU_DEP_1)
	v_or_b32_e32 v7, 0x70000000, v7
	v_dual_add_f32 v8, -0.5, v8 :: v_dual_mul_f32 v7, 0x7800000, v7
	v_cmp_gt_u32_e32 vcc_lo, 0x8000000, v6
	s_delay_alu instid0(VALU_DEP_2) | instskip(NEXT) | instid1(VALU_DEP_1)
	v_cndmask_b32_e32 v6, v7, v8, vcc_lo
	v_and_or_b32 v5, 0x80000000, v5, v6
	v_bfe_u32 v6, v6, 16, 1
	s_delay_alu instid0(VALU_DEP_2) | instskip(NEXT) | instid1(VALU_DEP_2)
	v_cmp_o_f32_e32 vcc_lo, v5, v5
	v_add3_u32 v6, v5, v6, 0x7fff
	s_delay_alu instid0(VALU_DEP_1) | instskip(NEXT) | instid1(VALU_DEP_1)
	v_lshrrev_b32_e32 v6, 16, v6
	v_cndmask_b32_e32 v5, 0x7fc0, v6, vcc_lo
.LBB152_582:
	s_mov_b32 s18, 0
	s_mov_b32 s0, -1
.LBB152_583:
	s_and_not1_b32 vcc_lo, exec_lo, s18
	s_cbranch_vccnz .LBB152_596
; %bb.584:
	v_cmp_lt_i16_e32 vcc_lo, 14, v4
	s_cbranch_vccz .LBB152_587
; %bb.585:
	v_cmp_eq_u16_e32 vcc_lo, 15, v4
	s_cbranch_vccz .LBB152_590
; %bb.586:
	global_load_u16 v5, v[0:1], off
	s_mov_b32 s0, -1
	s_mov_b32 s17, 0
	s_branch .LBB152_591
.LBB152_587:
	s_mov_b32 s18, -1
                                        ; implicit-def: $vgpr5
	s_branch .LBB152_592
.LBB152_588:
	s_or_saveexec_b32 s19, s19
	v_mov_b32_e32 v6, s18
	s_xor_b32 exec_lo, exec_lo, s19
	s_cbranch_execz .LBB152_569
.LBB152_589:
	v_cmp_ne_u16_e32 vcc_lo, 0, v5
	v_mov_b32_e32 v6, 0
	s_and_not1_b32 s0, s0, exec_lo
	s_and_b32 s18, vcc_lo, exec_lo
	s_delay_alu instid0(SALU_CYCLE_1)
	s_or_b32 s0, s0, s18
	s_or_b32 exec_lo, exec_lo, s19
	s_and_saveexec_b32 s18, s0
	s_cbranch_execnz .LBB152_570
	s_branch .LBB152_571
.LBB152_590:
	s_mov_b32 s17, -1
                                        ; implicit-def: $vgpr5
.LBB152_591:
	s_mov_b32 s18, 0
.LBB152_592:
	s_delay_alu instid0(SALU_CYCLE_1)
	s_and_b32 vcc_lo, exec_lo, s18
	s_cbranch_vccz .LBB152_596
; %bb.593:
	v_cmp_eq_u16_e32 vcc_lo, 11, v4
	s_cbranch_vccz .LBB152_595
; %bb.594:
	global_load_u8 v5, v[0:1], off
	s_mov_b32 s17, 0
	s_mov_b32 s0, -1
	s_waitcnt vmcnt(0)
	v_cmp_ne_u16_e32 vcc_lo, 0, v5
	v_cndmask_b32_e64 v5, 0, 1.0, vcc_lo
	s_delay_alu instid0(VALU_DEP_1)
	v_lshrrev_b32_e32 v5, 16, v5
	s_branch .LBB152_596
.LBB152_595:
	s_mov_b32 s17, -1
                                        ; implicit-def: $vgpr5
.LBB152_596:
	s_mov_b32 s18, 0
.LBB152_597:
	s_delay_alu instid0(SALU_CYCLE_1)
	s_and_b32 vcc_lo, exec_lo, s18
	s_cbranch_vccz .LBB152_646
; %bb.598:
	v_cmp_gt_i16_e32 vcc_lo, 5, v4
	s_cbranch_vccnz .LBB152_603
; %bb.599:
	v_cmp_gt_i16_e32 vcc_lo, 8, v4
	s_cbranch_vccnz .LBB152_604
	;; [unrolled: 3-line block ×3, first 2 shown]
; %bb.601:
	v_cmp_lt_i16_e32 vcc_lo, 9, v4
	s_cbranch_vccz .LBB152_606
; %bb.602:
	global_load_b64 v[5:6], v[0:1], off
	s_mov_b32 s0, 0
	s_waitcnt vmcnt(0)
	v_cvt_f32_f64_e32 v5, v[5:6]
	s_delay_alu instid0(VALU_DEP_1) | instskip(SKIP_1) | instid1(VALU_DEP_2)
	v_bfe_u32 v6, v5, 16, 1
	v_cmp_o_f32_e32 vcc_lo, v5, v5
	v_add3_u32 v6, v5, v6, 0x7fff
	s_delay_alu instid0(VALU_DEP_1) | instskip(NEXT) | instid1(VALU_DEP_1)
	v_lshrrev_b32_e32 v6, 16, v6
	v_cndmask_b32_e32 v5, 0x7fc0, v6, vcc_lo
	s_branch .LBB152_607
.LBB152_603:
	s_mov_b32 s0, -1
                                        ; implicit-def: $vgpr5
	s_branch .LBB152_625
.LBB152_604:
	s_mov_b32 s0, -1
                                        ; implicit-def: $vgpr5
	s_branch .LBB152_613
.LBB152_605:
	s_mov_b32 s0, -1
                                        ; implicit-def: $vgpr5
	s_branch .LBB152_610
.LBB152_606:
	s_mov_b32 s0, -1
                                        ; implicit-def: $vgpr5
.LBB152_607:
	s_delay_alu instid0(SALU_CYCLE_1)
	s_and_not1_b32 vcc_lo, exec_lo, s0
	s_cbranch_vccnz .LBB152_609
; %bb.608:
	global_load_b32 v5, v[0:1], off
	s_waitcnt vmcnt(0)
	v_bfe_u32 v6, v5, 16, 1
	v_cmp_o_f32_e32 vcc_lo, v5, v5
	s_delay_alu instid0(VALU_DEP_2) | instskip(NEXT) | instid1(VALU_DEP_1)
	v_add3_u32 v6, v5, v6, 0x7fff
	v_lshrrev_b32_e32 v6, 16, v6
	s_delay_alu instid0(VALU_DEP_1)
	v_cndmask_b32_e32 v5, 0x7fc0, v6, vcc_lo
.LBB152_609:
	s_mov_b32 s0, 0
.LBB152_610:
	s_delay_alu instid0(SALU_CYCLE_1)
	s_and_not1_b32 vcc_lo, exec_lo, s0
	s_cbranch_vccnz .LBB152_612
; %bb.611:
	global_load_b32 v5, v[0:1], off
	s_waitcnt vmcnt(0)
	v_cvt_f32_f16_e32 v6, v5
	v_cmp_o_f16_e32 vcc_lo, v5, v5
	s_delay_alu instid0(VALU_DEP_2) | instskip(NEXT) | instid1(VALU_DEP_1)
	v_bfe_u32 v7, v6, 16, 1
	v_add3_u32 v6, v6, v7, 0x7fff
	s_delay_alu instid0(VALU_DEP_1) | instskip(NEXT) | instid1(VALU_DEP_1)
	v_lshrrev_b32_e32 v6, 16, v6
	v_cndmask_b32_e32 v5, 0x7fc0, v6, vcc_lo
.LBB152_612:
	s_mov_b32 s0, 0
.LBB152_613:
	s_delay_alu instid0(SALU_CYCLE_1)
	s_and_not1_b32 vcc_lo, exec_lo, s0
	s_cbranch_vccnz .LBB152_624
; %bb.614:
	v_cmp_gt_i16_e32 vcc_lo, 6, v4
	s_cbranch_vccnz .LBB152_617
; %bb.615:
	v_cmp_lt_i16_e32 vcc_lo, 6, v4
	s_cbranch_vccz .LBB152_618
; %bb.616:
	global_load_b64 v[5:6], v[0:1], off
	s_mov_b32 s0, 0
	s_waitcnt vmcnt(0)
	v_cvt_f32_f64_e32 v5, v[5:6]
	s_delay_alu instid0(VALU_DEP_1) | instskip(SKIP_1) | instid1(VALU_DEP_2)
	v_bfe_u32 v6, v5, 16, 1
	v_cmp_o_f32_e32 vcc_lo, v5, v5
	v_add3_u32 v6, v5, v6, 0x7fff
	s_delay_alu instid0(VALU_DEP_1) | instskip(NEXT) | instid1(VALU_DEP_1)
	v_lshrrev_b32_e32 v6, 16, v6
	v_cndmask_b32_e32 v5, 0x7fc0, v6, vcc_lo
	s_branch .LBB152_619
.LBB152_617:
	s_mov_b32 s0, -1
                                        ; implicit-def: $vgpr5
	s_branch .LBB152_622
.LBB152_618:
	s_mov_b32 s0, -1
                                        ; implicit-def: $vgpr5
.LBB152_619:
	s_delay_alu instid0(SALU_CYCLE_1)
	s_and_not1_b32 vcc_lo, exec_lo, s0
	s_cbranch_vccnz .LBB152_621
; %bb.620:
	global_load_b32 v5, v[0:1], off
	s_waitcnt vmcnt(0)
	v_bfe_u32 v6, v5, 16, 1
	v_cmp_o_f32_e32 vcc_lo, v5, v5
	s_delay_alu instid0(VALU_DEP_2) | instskip(NEXT) | instid1(VALU_DEP_1)
	v_add3_u32 v6, v5, v6, 0x7fff
	v_lshrrev_b32_e32 v6, 16, v6
	s_delay_alu instid0(VALU_DEP_1)
	v_cndmask_b32_e32 v5, 0x7fc0, v6, vcc_lo
.LBB152_621:
	s_mov_b32 s0, 0
.LBB152_622:
	s_delay_alu instid0(SALU_CYCLE_1)
	s_and_not1_b32 vcc_lo, exec_lo, s0
	s_cbranch_vccnz .LBB152_624
; %bb.623:
	global_load_u16 v5, v[0:1], off
	s_waitcnt vmcnt(0)
	v_cvt_f32_f16_e32 v6, v5
	v_cmp_o_f16_e32 vcc_lo, v5, v5
	s_delay_alu instid0(VALU_DEP_2) | instskip(NEXT) | instid1(VALU_DEP_1)
	v_bfe_u32 v7, v6, 16, 1
	v_add3_u32 v6, v6, v7, 0x7fff
	s_delay_alu instid0(VALU_DEP_1) | instskip(NEXT) | instid1(VALU_DEP_1)
	v_lshrrev_b32_e32 v6, 16, v6
	v_cndmask_b32_e32 v5, 0x7fc0, v6, vcc_lo
.LBB152_624:
	s_mov_b32 s0, 0
.LBB152_625:
	s_delay_alu instid0(SALU_CYCLE_1)
	s_and_not1_b32 vcc_lo, exec_lo, s0
	s_cbranch_vccnz .LBB152_645
; %bb.626:
	v_cmp_gt_i16_e32 vcc_lo, 2, v4
	s_cbranch_vccnz .LBB152_630
; %bb.627:
	v_cmp_gt_i16_e32 vcc_lo, 3, v4
	s_cbranch_vccnz .LBB152_631
; %bb.628:
	v_cmp_lt_i16_e32 vcc_lo, 3, v4
	s_cbranch_vccz .LBB152_632
; %bb.629:
	global_load_b64 v[5:6], v[0:1], off
	s_mov_b32 s0, 0
	s_waitcnt vmcnt(0)
	v_xor_b32_e32 v7, v5, v6
	v_cls_i32_e32 v8, v6
	s_delay_alu instid0(VALU_DEP_2) | instskip(NEXT) | instid1(VALU_DEP_2)
	v_ashrrev_i32_e32 v7, 31, v7
	v_add_nc_u32_e32 v8, -1, v8
	s_delay_alu instid0(VALU_DEP_2) | instskip(NEXT) | instid1(VALU_DEP_1)
	v_add_nc_u32_e32 v7, 32, v7
	v_min_u32_e32 v7, v8, v7
	s_delay_alu instid0(VALU_DEP_1) | instskip(NEXT) | instid1(VALU_DEP_1)
	v_lshlrev_b64 v[5:6], v7, v[5:6]
	v_min_u32_e32 v5, 1, v5
	s_delay_alu instid0(VALU_DEP_1) | instskip(SKIP_1) | instid1(VALU_DEP_2)
	v_or_b32_e32 v5, v6, v5
	v_sub_nc_u32_e32 v6, 32, v7
	v_cvt_f32_i32_e32 v5, v5
	s_delay_alu instid0(VALU_DEP_1) | instskip(NEXT) | instid1(VALU_DEP_1)
	v_ldexp_f32 v5, v5, v6
	v_bfe_u32 v6, v5, 16, 1
	s_delay_alu instid0(VALU_DEP_1) | instskip(NEXT) | instid1(VALU_DEP_1)
	v_add3_u32 v5, v5, v6, 0x7fff
	v_lshrrev_b32_e32 v5, 16, v5
	s_branch .LBB152_633
.LBB152_630:
	s_mov_b32 s0, -1
                                        ; implicit-def: $vgpr5
	s_branch .LBB152_639
.LBB152_631:
	s_mov_b32 s0, -1
                                        ; implicit-def: $vgpr5
	s_branch .LBB152_636
.LBB152_632:
	s_mov_b32 s0, -1
                                        ; implicit-def: $vgpr5
.LBB152_633:
	s_delay_alu instid0(SALU_CYCLE_1)
	s_and_not1_b32 vcc_lo, exec_lo, s0
	s_cbranch_vccnz .LBB152_635
; %bb.634:
	global_load_b32 v5, v[0:1], off
	s_waitcnt vmcnt(0)
	v_cvt_f32_i32_e32 v5, v5
	s_delay_alu instid0(VALU_DEP_1) | instskip(NEXT) | instid1(VALU_DEP_1)
	v_bfe_u32 v6, v5, 16, 1
	v_add3_u32 v5, v5, v6, 0x7fff
	s_delay_alu instid0(VALU_DEP_1)
	v_lshrrev_b32_e32 v5, 16, v5
.LBB152_635:
	s_mov_b32 s0, 0
.LBB152_636:
	s_delay_alu instid0(SALU_CYCLE_1)
	s_and_not1_b32 vcc_lo, exec_lo, s0
	s_cbranch_vccnz .LBB152_638
; %bb.637:
	global_load_i16 v5, v[0:1], off
	s_waitcnt vmcnt(0)
	v_cvt_f32_i32_e32 v5, v5
	s_delay_alu instid0(VALU_DEP_1) | instskip(NEXT) | instid1(VALU_DEP_1)
	v_bfe_u32 v6, v5, 16, 1
	v_add3_u32 v5, v5, v6, 0x7fff
	s_delay_alu instid0(VALU_DEP_1)
	v_lshrrev_b32_e32 v5, 16, v5
.LBB152_638:
	s_mov_b32 s0, 0
.LBB152_639:
	s_delay_alu instid0(SALU_CYCLE_1)
	s_and_not1_b32 vcc_lo, exec_lo, s0
	s_cbranch_vccnz .LBB152_645
; %bb.640:
	v_cmp_lt_i16_e32 vcc_lo, 0, v4
	s_mov_b32 s0, 0
	s_cbranch_vccz .LBB152_642
; %bb.641:
	global_load_i8 v5, v[0:1], off
	s_waitcnt vmcnt(0)
	v_cvt_f32_i32_e32 v5, v5
	s_delay_alu instid0(VALU_DEP_1) | instskip(NEXT) | instid1(VALU_DEP_1)
	v_bfe_u32 v6, v5, 16, 1
	v_add3_u32 v5, v5, v6, 0x7fff
	s_delay_alu instid0(VALU_DEP_1)
	v_lshrrev_b32_e32 v5, 16, v5
	s_branch .LBB152_643
.LBB152_642:
	s_mov_b32 s0, -1
                                        ; implicit-def: $vgpr5
.LBB152_643:
	s_delay_alu instid0(SALU_CYCLE_1)
	s_and_not1_b32 vcc_lo, exec_lo, s0
	s_cbranch_vccnz .LBB152_645
; %bb.644:
	global_load_u8 v0, v[0:1], off
	s_waitcnt vmcnt(0)
	v_cvt_f32_ubyte0_e32 v0, v0
	s_delay_alu instid0(VALU_DEP_1) | instskip(NEXT) | instid1(VALU_DEP_1)
	v_bfe_u32 v1, v0, 16, 1
	v_add3_u32 v0, v0, v1, 0x7fff
	s_delay_alu instid0(VALU_DEP_1)
	v_lshrrev_b32_e32 v5, 16, v0
.LBB152_645:
	s_mov_b32 s0, -1
.LBB152_646:
	s_delay_alu instid0(SALU_CYCLE_1)
	s_and_not1_b32 vcc_lo, exec_lo, s0
	s_cbranch_vccnz .LBB152_654
; %bb.647:
	s_waitcnt vmcnt(0)
	v_lshlrev_b32_e32 v0, 16, v5
	s_mov_b32 s0, 0x395133b1
	s_delay_alu instid0(VALU_DEP_1) | instskip(NEXT) | instid1(VALU_DEP_1)
	v_mul_f32_e32 v1, 0x3fb8aa3b, v0
	v_rndne_f32_e32 v1, v1
	s_delay_alu instid0(VALU_DEP_1) | instskip(SKIP_2) | instid1(VALU_DEP_3)
	v_fmamk_f32 v5, v1, 0xbf317218, v0
	v_cvt_i32_f32_e32 v7, v1
	v_cmp_eq_f32_e32 vcc_lo, 0x43000000, v1
	v_fmamk_f32 v5, v1, 0x3102e308, v5
	s_delay_alu instid0(VALU_DEP_3) | instskip(NEXT) | instid1(VALU_DEP_2)
	v_cndmask_b32_e64 v1, v7, 0x7f, vcc_lo
	v_fmaak_f32 v6, s0, v5, 0x3ab69700
	s_delay_alu instid0(VALU_DEP_2) | instskip(NEXT) | instid1(VALU_DEP_1)
	v_ldexp_f32 v1, 1.0, v1
	v_dual_fmaak_f32 v6, v5, v6, 0x3c0887f9 :: v_dual_add_f32 v7, -1.0, v1
	s_delay_alu instid0(VALU_DEP_1) | instskip(NEXT) | instid1(VALU_DEP_1)
	v_fmaak_f32 v6, v5, v6, 0x3d2aaa81
	v_fmaak_f32 v6, v5, v6, 0x3e2aaaab
	s_delay_alu instid0(VALU_DEP_1) | instskip(NEXT) | instid1(VALU_DEP_1)
	v_fma_f32 v6, v5, v6, 0.5
	v_mul_f32_e32 v6, v5, v6
	s_delay_alu instid0(VALU_DEP_1) | instskip(NEXT) | instid1(VALU_DEP_1)
	v_fmac_f32_e32 v5, v5, v6
	v_dual_fmac_f32 v7, v1, v5 :: v_dual_and_b32 v6, 0xff, v2
	s_delay_alu instid0(VALU_DEP_1) | instskip(NEXT) | instid1(VALU_DEP_1)
	v_add_f32_e32 v1, v7, v7
	v_cndmask_b32_e32 v1, v7, v1, vcc_lo
	v_cmp_nlt_f32_e32 vcc_lo, 0x42b17217, v0
	s_delay_alu instid0(VALU_DEP_2) | instskip(SKIP_1) | instid1(VALU_DEP_2)
	v_cndmask_b32_e32 v1, 0x7f800000, v1, vcc_lo
	v_cmp_ngt_f32_e32 vcc_lo, 0xc1880000, v0
	v_cndmask_b32_e32 v5, -1.0, v1, vcc_lo
	v_mul_lo_u32 v1, v3, s2
	v_cmp_gt_i16_e32 vcc_lo, 11, v6
	s_delay_alu instid0(VALU_DEP_3) | instskip(SKIP_1) | instid1(VALU_DEP_3)
	v_bfe_u32 v0, v5, 16, 1
	s_and_b32 vcc_lo, exec_lo, vcc_lo
	v_ashrrev_i32_e32 v7, 31, v1
	s_delay_alu instid0(VALU_DEP_2) | instskip(NEXT) | instid1(VALU_DEP_1)
	v_add3_u32 v0, v5, v0, 0x7fff
	v_lshrrev_b32_e32 v8, 16, v0
	v_add_co_u32 v0, s0, s4, v1
	s_delay_alu instid0(VALU_DEP_1) | instskip(SKIP_1) | instid1(VALU_DEP_1)
	v_add_co_ci_u32_e64 v1, s0, s5, v7, s0
	v_cmp_o_f32_e64 s0, v5, v5
	v_cndmask_b32_e64 v5, 0x7fc0, v8, s0
	s_cbranch_vccnz .LBB152_655
; %bb.648:
	v_cmp_lt_i16_e32 vcc_lo, 25, v6
	s_cbranch_vccz .LBB152_656
; %bb.649:
	v_cmp_lt_i16_e32 vcc_lo, 28, v6
	s_cbranch_vccz .LBB152_657
	;; [unrolled: 3-line block ×4, first 2 shown]
; %bb.652:
	v_cmp_eq_u16_e32 vcc_lo, 46, v6
	s_mov_b32 s19, 0
	s_mov_b32 s0, -1
	s_mov_b32 s18, 0
	s_cbranch_vccz .LBB152_660
; %bb.653:
	v_and_b32_e32 v7, 0xffff, v5
	s_mov_b32 s18, -1
	s_mov_b32 s0, 0
	global_store_b32 v[0:1], v7, off
	s_branch .LBB152_660
.LBB152_654:
	s_mov_b32 s19, 0
	s_mov_b32 s0, s14
	s_branch .LBB152_771
.LBB152_655:
	s_mov_b32 s19, -1
	s_mov_b32 s18, 0
	s_mov_b32 s0, s14
	s_branch .LBB152_729
.LBB152_656:
	s_mov_b32 s19, -1
	s_mov_b32 s18, 0
	s_mov_b32 s0, s14
	s_branch .LBB152_687
.LBB152_657:
	s_mov_b32 s19, -1
	s_mov_b32 s18, 0
	s_mov_b32 s0, s14
	s_branch .LBB152_670
.LBB152_658:
	s_mov_b32 s19, -1
	s_mov_b32 s18, 0
	s_mov_b32 s0, s14
	s_branch .LBB152_666
.LBB152_659:
	s_mov_b32 s19, -1
	s_mov_b32 s18, 0
	s_mov_b32 s0, s14
.LBB152_660:
	s_and_b32 vcc_lo, exec_lo, s19
	s_cbranch_vccz .LBB152_665
; %bb.661:
	v_cmp_eq_u16_e32 vcc_lo, 44, v6
	s_mov_b32 s0, -1
	s_cbranch_vccz .LBB152_665
; %bb.662:
	v_and_b32_e32 v7, 0xffff, v5
	v_mov_b32_e32 v8, 0xff
	s_mov_b32 s18, exec_lo
	s_delay_alu instid0(VALU_DEP_2) | instskip(NEXT) | instid1(VALU_DEP_1)
	v_bfe_u32 v9, v7, 7, 8
	v_cmpx_ne_u32_e32 0xff, v9
; %bb.663:
	v_lshlrev_b32_e32 v8, 16, v7
	v_and_b32_e32 v10, 64, v7
	v_lshrrev_b32_e32 v7, 7, v7
	s_delay_alu instid0(VALU_DEP_3) | instskip(NEXT) | instid1(VALU_DEP_3)
	v_and_or_b32 v8, 0x3f0000, v8, v9
	v_cmp_ne_u32_e32 vcc_lo, 0, v10
	s_delay_alu instid0(VALU_DEP_2) | instskip(NEXT) | instid1(VALU_DEP_1)
	v_cmp_ne_u32_e64 s0, 0, v8
	s_and_b32 s0, vcc_lo, s0
	s_delay_alu instid0(SALU_CYCLE_1) | instskip(NEXT) | instid1(VALU_DEP_1)
	v_cndmask_b32_e64 v8, 0, 1, s0
	v_add_nc_u32_e32 v8, v7, v8
; %bb.664:
	s_or_b32 exec_lo, exec_lo, s18
	s_mov_b32 s18, -1
	s_mov_b32 s0, 0
	global_store_b8 v[0:1], v8, off
.LBB152_665:
	s_mov_b32 s19, 0
.LBB152_666:
	s_delay_alu instid0(SALU_CYCLE_1)
	s_and_b32 vcc_lo, exec_lo, s19
	s_cbranch_vccz .LBB152_669
; %bb.667:
	v_cmp_eq_u16_e32 vcc_lo, 29, v6
	s_mov_b32 s0, -1
	s_cbranch_vccz .LBB152_669
; %bb.668:
	v_lshlrev_b32_e32 v7, 16, v5
	s_mov_b32 s18, -1
	s_mov_b32 s0, 0
	s_mov_b32 s19, 0
	s_delay_alu instid0(VALU_DEP_1) | instskip(NEXT) | instid1(VALU_DEP_1)
	v_trunc_f32_e32 v7, v7
	v_mul_f32_e32 v8, 0x2f800000, v7
	s_delay_alu instid0(VALU_DEP_1) | instskip(NEXT) | instid1(VALU_DEP_1)
	v_floor_f32_e32 v8, v8
	v_fmamk_f32 v7, v8, 0xcf800000, v7
	v_cvt_u32_f32_e32 v8, v8
	s_delay_alu instid0(VALU_DEP_2)
	v_cvt_u32_f32_e32 v7, v7
	global_store_b64 v[0:1], v[7:8], off
	s_branch .LBB152_670
.LBB152_669:
	s_mov_b32 s19, 0
.LBB152_670:
	s_delay_alu instid0(SALU_CYCLE_1)
	s_and_b32 vcc_lo, exec_lo, s19
	s_cbranch_vccz .LBB152_686
; %bb.671:
	v_cmp_gt_i16_e32 vcc_lo, 27, v6
	s_mov_b32 s18, -1
	s_cbranch_vccnz .LBB152_677
; %bb.672:
	v_cmp_lt_i16_e32 vcc_lo, 27, v6
	s_cbranch_vccz .LBB152_674
; %bb.673:
	v_lshlrev_b32_e32 v7, 16, v5
	s_mov_b32 s18, 0
	s_delay_alu instid0(VALU_DEP_1)
	v_cvt_u32_f32_e32 v7, v7
	global_store_b32 v[0:1], v7, off
.LBB152_674:
	s_and_not1_b32 vcc_lo, exec_lo, s18
	s_cbranch_vccnz .LBB152_676
; %bb.675:
	v_lshlrev_b32_e32 v7, 16, v5
	s_delay_alu instid0(VALU_DEP_1)
	v_cvt_u32_f32_e32 v7, v7
	global_store_b16 v[0:1], v7, off
.LBB152_676:
	s_mov_b32 s18, 0
.LBB152_677:
	s_delay_alu instid0(SALU_CYCLE_1)
	s_and_not1_b32 vcc_lo, exec_lo, s18
	s_cbranch_vccnz .LBB152_685
; %bb.678:
	v_dual_mov_b32 v10, 0x80 :: v_dual_lshlrev_b32 v9, 16, v5
	s_mov_b32 s18, exec_lo
	s_delay_alu instid0(VALU_DEP_1) | instskip(NEXT) | instid1(VALU_DEP_1)
	v_and_b32_e32 v8, 0x7fffffff, v9
	v_cmpx_gt_u32_e32 0x43800000, v8
	s_cbranch_execz .LBB152_684
; %bb.679:
	v_and_b32_e32 v7, 0xffff, v5
	v_cmp_lt_u32_e32 vcc_lo, 0x3bffffff, v8
	s_mov_b32 s19, 0
                                        ; implicit-def: $vgpr8
	s_and_saveexec_b32 s20, vcc_lo
	s_delay_alu instid0(SALU_CYCLE_1)
	s_xor_b32 s20, exec_lo, s20
	s_cbranch_execz .LBB152_786
; %bb.680:
	v_bfe_u32 v8, v7, 4, 1
	s_mov_b32 s19, exec_lo
	s_delay_alu instid0(VALU_DEP_1) | instskip(NEXT) | instid1(VALU_DEP_1)
	v_add3_u32 v8, v9, v8, 0x487ffff
                                        ; implicit-def: $vgpr9
	v_lshrrev_b32_e32 v8, 20, v8
	s_or_saveexec_b32 s20, s20
                                        ; implicit-def: $sgpr21
	s_delay_alu instid0(SALU_CYCLE_1)
	s_xor_b32 exec_lo, exec_lo, s20
	s_cbranch_execnz .LBB152_787
.LBB152_681:
	s_or_b32 exec_lo, exec_lo, s20
	v_mov_b32_e32 v10, s21
	s_and_saveexec_b32 s20, s19
.LBB152_682:
	v_lshrrev_b32_e32 v7, 8, v7
	s_delay_alu instid0(VALU_DEP_1)
	v_and_or_b32 v10, 0x80, v7, v8
.LBB152_683:
	s_or_b32 exec_lo, exec_lo, s20
.LBB152_684:
	s_delay_alu instid0(SALU_CYCLE_1)
	s_or_b32 exec_lo, exec_lo, s18
	global_store_b8 v[0:1], v10, off
.LBB152_685:
	s_mov_b32 s18, -1
.LBB152_686:
	s_mov_b32 s19, 0
.LBB152_687:
	s_delay_alu instid0(SALU_CYCLE_1)
	s_and_b32 vcc_lo, exec_lo, s19
	s_cbranch_vccz .LBB152_728
; %bb.688:
	v_cmp_lt_i16_e32 vcc_lo, 22, v6
	s_mov_b32 s19, -1
	s_cbranch_vccz .LBB152_720
; %bb.689:
	v_cmp_gt_i16_e32 vcc_lo, 24, v6
	s_mov_b32 s18, -1
	s_cbranch_vccnz .LBB152_709
; %bb.690:
	v_cmp_lt_i16_e32 vcc_lo, 24, v6
	s_cbranch_vccz .LBB152_698
; %bb.691:
	v_dual_mov_b32 v10, 0x80 :: v_dual_lshlrev_b32 v9, 16, v5
	s_mov_b32 s18, exec_lo
	s_delay_alu instid0(VALU_DEP_1) | instskip(NEXT) | instid1(VALU_DEP_1)
	v_and_b32_e32 v8, 0x7fffffff, v9
	v_cmpx_gt_u32_e32 0x47800000, v8
	s_cbranch_execz .LBB152_697
; %bb.692:
	v_and_b32_e32 v7, 0xffff, v5
	v_cmp_lt_u32_e32 vcc_lo, 0x37ffffff, v8
	s_mov_b32 s19, 0
                                        ; implicit-def: $vgpr8
	s_and_saveexec_b32 s20, vcc_lo
	s_delay_alu instid0(SALU_CYCLE_1)
	s_xor_b32 s20, exec_lo, s20
	s_cbranch_execz .LBB152_789
; %bb.693:
	v_bfe_u32 v8, v7, 5, 1
	s_mov_b32 s19, exec_lo
	s_delay_alu instid0(VALU_DEP_1) | instskip(NEXT) | instid1(VALU_DEP_1)
	v_add3_u32 v8, v9, v8, 0x88fffff
                                        ; implicit-def: $vgpr9
	v_lshrrev_b32_e32 v8, 21, v8
	s_or_saveexec_b32 s20, s20
                                        ; implicit-def: $sgpr21
	s_delay_alu instid0(SALU_CYCLE_1)
	s_xor_b32 exec_lo, exec_lo, s20
	s_cbranch_execnz .LBB152_790
.LBB152_694:
	s_or_b32 exec_lo, exec_lo, s20
	v_mov_b32_e32 v10, s21
	s_and_saveexec_b32 s20, s19
.LBB152_695:
	v_lshrrev_b32_e32 v7, 8, v7
	s_delay_alu instid0(VALU_DEP_1)
	v_and_or_b32 v10, 0x80, v7, v8
.LBB152_696:
	s_or_b32 exec_lo, exec_lo, s20
.LBB152_697:
	s_delay_alu instid0(SALU_CYCLE_1)
	s_or_b32 exec_lo, exec_lo, s18
	s_mov_b32 s18, 0
	global_store_b8 v[0:1], v10, off
.LBB152_698:
	s_and_b32 vcc_lo, exec_lo, s18
	s_cbranch_vccz .LBB152_708
; %bb.699:
	v_lshlrev_b32_e32 v9, 16, v5
	v_and_b32_e32 v7, 0xffff, v5
	s_mov_b32 s18, exec_lo
                                        ; implicit-def: $vgpr8
	s_delay_alu instid0(VALU_DEP_2) | instskip(NEXT) | instid1(VALU_DEP_1)
	v_and_b32_e32 v10, 0x7fffffff, v9
	v_cmpx_gt_u32_e32 0x43f00000, v10
	s_xor_b32 s18, exec_lo, s18
	s_cbranch_execz .LBB152_705
; %bb.700:
	s_mov_b32 s19, exec_lo
                                        ; implicit-def: $vgpr8
	v_cmpx_lt_u32_e32 0x3c7fffff, v10
	s_xor_b32 s19, exec_lo, s19
; %bb.701:
	v_bfe_u32 v8, v7, 4, 1
	s_delay_alu instid0(VALU_DEP_1) | instskip(NEXT) | instid1(VALU_DEP_1)
	v_add3_u32 v8, v9, v8, 0x407ffff
	v_and_b32_e32 v9, 0xff00000, v8
	v_lshrrev_b32_e32 v8, 20, v8
	s_delay_alu instid0(VALU_DEP_2) | instskip(NEXT) | instid1(VALU_DEP_2)
	v_cmp_ne_u32_e32 vcc_lo, 0x7f00000, v9
                                        ; implicit-def: $vgpr9
	v_cndmask_b32_e32 v8, 0x7e, v8, vcc_lo
; %bb.702:
	s_and_not1_saveexec_b32 s19, s19
; %bb.703:
	v_add_f32_e64 v8, 0x46800000, |v9|
; %bb.704:
	s_or_b32 exec_lo, exec_lo, s19
                                        ; implicit-def: $vgpr10
.LBB152_705:
	s_and_not1_saveexec_b32 s18, s18
; %bb.706:
	v_mov_b32_e32 v8, 0x7f
	v_cmp_lt_u32_e32 vcc_lo, 0x7f800000, v10
	s_delay_alu instid0(VALU_DEP_2)
	v_cndmask_b32_e32 v8, 0x7e, v8, vcc_lo
; %bb.707:
	s_or_b32 exec_lo, exec_lo, s18
	v_lshrrev_b32_e32 v7, 8, v7
	s_delay_alu instid0(VALU_DEP_1)
	v_and_or_b32 v7, 0x80, v7, v8
	global_store_b8 v[0:1], v7, off
.LBB152_708:
	s_mov_b32 s18, 0
.LBB152_709:
	s_delay_alu instid0(SALU_CYCLE_1)
	s_and_not1_b32 vcc_lo, exec_lo, s18
	s_cbranch_vccnz .LBB152_719
; %bb.710:
	v_lshlrev_b32_e32 v9, 16, v5
	v_and_b32_e32 v7, 0xffff, v5
	s_mov_b32 s18, exec_lo
                                        ; implicit-def: $vgpr8
	s_delay_alu instid0(VALU_DEP_2) | instskip(NEXT) | instid1(VALU_DEP_1)
	v_and_b32_e32 v10, 0x7fffffff, v9
	v_cmpx_gt_u32_e32 0x47800000, v10
	s_xor_b32 s18, exec_lo, s18
	s_cbranch_execz .LBB152_716
; %bb.711:
	s_mov_b32 s19, exec_lo
                                        ; implicit-def: $vgpr8
	v_cmpx_lt_u32_e32 0x387fffff, v10
	s_xor_b32 s19, exec_lo, s19
; %bb.712:
	v_bfe_u32 v8, v7, 5, 1
	s_delay_alu instid0(VALU_DEP_1) | instskip(NEXT) | instid1(VALU_DEP_1)
	v_add3_u32 v8, v9, v8, 0x80fffff
                                        ; implicit-def: $vgpr9
	v_lshrrev_b32_e32 v8, 21, v8
; %bb.713:
	s_and_not1_saveexec_b32 s19, s19
; %bb.714:
	v_add_f32_e64 v8, 0x43000000, |v9|
; %bb.715:
	s_or_b32 exec_lo, exec_lo, s19
                                        ; implicit-def: $vgpr10
.LBB152_716:
	s_and_not1_saveexec_b32 s18, s18
; %bb.717:
	v_mov_b32_e32 v8, 0x7f
	v_cmp_lt_u32_e32 vcc_lo, 0x7f800000, v10
	s_delay_alu instid0(VALU_DEP_2)
	v_cndmask_b32_e32 v8, 0x7c, v8, vcc_lo
; %bb.718:
	s_or_b32 exec_lo, exec_lo, s18
	v_lshrrev_b32_e32 v7, 8, v7
	s_delay_alu instid0(VALU_DEP_1)
	v_and_or_b32 v7, 0x80, v7, v8
	global_store_b8 v[0:1], v7, off
.LBB152_719:
	s_mov_b32 s19, 0
	s_mov_b32 s18, -1
.LBB152_720:
	s_and_not1_b32 vcc_lo, exec_lo, s19
	s_cbranch_vccnz .LBB152_728
; %bb.721:
	v_cmp_lt_i16_e32 vcc_lo, 14, v6
	s_mov_b32 s19, -1
	s_cbranch_vccz .LBB152_725
; %bb.722:
	v_cmp_eq_u16_e32 vcc_lo, 15, v6
	s_mov_b32 s0, -1
	s_cbranch_vccz .LBB152_724
; %bb.723:
	s_mov_b32 s18, -1
	s_mov_b32 s0, 0
	global_store_b16 v[0:1], v5, off
.LBB152_724:
	s_mov_b32 s19, 0
.LBB152_725:
	s_delay_alu instid0(SALU_CYCLE_1)
	s_and_b32 vcc_lo, exec_lo, s19
	s_cbranch_vccz .LBB152_728
; %bb.726:
	v_cmp_eq_u16_e32 vcc_lo, 11, v6
	s_mov_b32 s0, -1
	s_cbranch_vccz .LBB152_728
; %bb.727:
	v_and_b32_e32 v7, 0x7fff, v5
	s_mov_b32 s0, 0
	s_mov_b32 s18, -1
	s_delay_alu instid0(VALU_DEP_1)
	v_cmp_ne_u16_e32 vcc_lo, 0, v7
	v_cndmask_b32_e64 v7, 0, 1, vcc_lo
	global_store_b8 v[0:1], v7, off
.LBB152_728:
	s_mov_b32 s19, 0
.LBB152_729:
	s_delay_alu instid0(SALU_CYCLE_1)
	s_and_b32 vcc_lo, exec_lo, s19
	s_cbranch_vccz .LBB152_768
; %bb.730:
	v_cmp_gt_i16_e32 vcc_lo, 5, v6
	s_mov_b32 s18, -1
	s_cbranch_vccnz .LBB152_751
; %bb.731:
	v_cmp_gt_i16_e32 vcc_lo, 8, v6
	s_cbranch_vccnz .LBB152_741
; %bb.732:
	v_cmp_gt_i16_e32 vcc_lo, 9, v6
	s_cbranch_vccnz .LBB152_738
; %bb.733:
	v_cmp_lt_i16_e32 vcc_lo, 9, v6
	s_cbranch_vccz .LBB152_735
; %bb.734:
	v_mov_b32_e32 v9, 0
	v_lshlrev_b32_e32 v7, 16, v5
	s_mov_b32 s18, 0
	s_delay_alu instid0(VALU_DEP_2) | instskip(NEXT) | instid1(VALU_DEP_2)
	v_mov_b32_e32 v10, v9
	v_cvt_f64_f32_e32 v[7:8], v7
	global_store_b128 v[0:1], v[7:10], off
.LBB152_735:
	s_and_not1_b32 vcc_lo, exec_lo, s18
	s_cbranch_vccnz .LBB152_737
; %bb.736:
	v_dual_mov_b32 v8, 0 :: v_dual_lshlrev_b32 v7, 16, v5
	global_store_b64 v[0:1], v[7:8], off
.LBB152_737:
	s_mov_b32 s18, 0
.LBB152_738:
	s_delay_alu instid0(SALU_CYCLE_1)
	s_and_not1_b32 vcc_lo, exec_lo, s18
	s_cbranch_vccnz .LBB152_740
; %bb.739:
	v_lshlrev_b32_e32 v7, 16, v5
	s_delay_alu instid0(VALU_DEP_1) | instskip(NEXT) | instid1(VALU_DEP_1)
	v_cvt_f16_f32_e32 v7, v7
	v_and_b32_e32 v7, 0xffff, v7
	global_store_b32 v[0:1], v7, off
.LBB152_740:
	s_mov_b32 s18, 0
.LBB152_741:
	s_delay_alu instid0(SALU_CYCLE_1)
	s_and_not1_b32 vcc_lo, exec_lo, s18
	s_cbranch_vccnz .LBB152_750
; %bb.742:
	v_cmp_gt_i16_e32 vcc_lo, 6, v6
	s_mov_b32 s18, -1
	s_cbranch_vccnz .LBB152_748
; %bb.743:
	v_cmp_lt_i16_e32 vcc_lo, 6, v6
	s_cbranch_vccz .LBB152_745
; %bb.744:
	v_lshlrev_b32_e32 v7, 16, v5
	s_mov_b32 s18, 0
	s_delay_alu instid0(VALU_DEP_1)
	v_cvt_f64_f32_e32 v[7:8], v7
	global_store_b64 v[0:1], v[7:8], off
.LBB152_745:
	s_and_not1_b32 vcc_lo, exec_lo, s18
	s_cbranch_vccnz .LBB152_747
; %bb.746:
	v_lshlrev_b32_e32 v7, 16, v5
	global_store_b32 v[0:1], v7, off
.LBB152_747:
	s_mov_b32 s18, 0
.LBB152_748:
	s_delay_alu instid0(SALU_CYCLE_1)
	s_and_not1_b32 vcc_lo, exec_lo, s18
	s_cbranch_vccnz .LBB152_750
; %bb.749:
	v_lshlrev_b32_e32 v7, 16, v5
	s_delay_alu instid0(VALU_DEP_1)
	v_cvt_f16_f32_e32 v7, v7
	global_store_b16 v[0:1], v7, off
.LBB152_750:
	s_mov_b32 s18, 0
.LBB152_751:
	s_delay_alu instid0(SALU_CYCLE_1)
	s_and_not1_b32 vcc_lo, exec_lo, s18
	s_cbranch_vccnz .LBB152_767
; %bb.752:
	v_cmp_gt_i16_e32 vcc_lo, 2, v6
	s_mov_b32 s18, -1
	s_cbranch_vccnz .LBB152_762
; %bb.753:
	v_cmp_gt_i16_e32 vcc_lo, 3, v6
	s_cbranch_vccnz .LBB152_759
; %bb.754:
	v_cmp_lt_i16_e32 vcc_lo, 3, v6
	s_cbranch_vccz .LBB152_756
; %bb.755:
	v_lshlrev_b32_e32 v7, 16, v5
	s_mov_b32 s18, 0
	s_delay_alu instid0(VALU_DEP_1) | instskip(NEXT) | instid1(VALU_DEP_1)
	v_trunc_f32_e32 v7, v7
	v_mul_f32_e64 v8, 0x2f800000, |v7|
	v_ashrrev_i32_e32 v10, 31, v7
	s_delay_alu instid0(VALU_DEP_2) | instskip(NEXT) | instid1(VALU_DEP_1)
	v_floor_f32_e32 v8, v8
	v_fma_f32 v9, 0xcf800000, v8, |v7|
	v_cvt_u32_f32_e32 v8, v8
	s_delay_alu instid0(VALU_DEP_2) | instskip(NEXT) | instid1(VALU_DEP_2)
	v_cvt_u32_f32_e32 v7, v9
	v_xor_b32_e32 v8, v8, v10
	s_delay_alu instid0(VALU_DEP_2) | instskip(NEXT) | instid1(VALU_DEP_1)
	v_xor_b32_e32 v7, v7, v10
	v_sub_co_u32 v7, vcc_lo, v7, v10
	s_delay_alu instid0(VALU_DEP_3)
	v_sub_co_ci_u32_e32 v8, vcc_lo, v8, v10, vcc_lo
	global_store_b64 v[0:1], v[7:8], off
.LBB152_756:
	s_and_not1_b32 vcc_lo, exec_lo, s18
	s_cbranch_vccnz .LBB152_758
; %bb.757:
	v_lshlrev_b32_e32 v7, 16, v5
	s_delay_alu instid0(VALU_DEP_1)
	v_cvt_i32_f32_e32 v7, v7
	global_store_b32 v[0:1], v7, off
.LBB152_758:
	s_mov_b32 s18, 0
.LBB152_759:
	s_delay_alu instid0(SALU_CYCLE_1)
	s_and_not1_b32 vcc_lo, exec_lo, s18
	s_cbranch_vccnz .LBB152_761
; %bb.760:
	v_lshlrev_b32_e32 v7, 16, v5
	s_delay_alu instid0(VALU_DEP_1)
	v_cvt_i32_f32_e32 v7, v7
	global_store_b16 v[0:1], v7, off
.LBB152_761:
	s_mov_b32 s18, 0
.LBB152_762:
	s_delay_alu instid0(SALU_CYCLE_1)
	s_and_not1_b32 vcc_lo, exec_lo, s18
	s_cbranch_vccnz .LBB152_767
; %bb.763:
	v_cmp_lt_i16_e32 vcc_lo, 0, v6
	s_mov_b32 s18, -1
	s_cbranch_vccz .LBB152_765
; %bb.764:
	v_lshlrev_b32_e32 v6, 16, v5
	s_mov_b32 s18, 0
	s_delay_alu instid0(VALU_DEP_1)
	v_cvt_i32_f32_e32 v6, v6
	global_store_b8 v[0:1], v6, off
.LBB152_765:
	s_and_not1_b32 vcc_lo, exec_lo, s18
	s_cbranch_vccnz .LBB152_767
; %bb.766:
	v_lshlrev_b32_e32 v5, 16, v5
	s_delay_alu instid0(VALU_DEP_1) | instskip(NEXT) | instid1(VALU_DEP_1)
	v_trunc_f32_e32 v5, v5
	v_mul_f32_e64 v6, 0x2f800000, |v5|
	s_delay_alu instid0(VALU_DEP_1) | instskip(NEXT) | instid1(VALU_DEP_1)
	v_floor_f32_e32 v6, v6
	v_fma_f32 v6, 0xcf800000, v6, |v5|
	v_ashrrev_i32_e32 v5, 31, v5
	s_delay_alu instid0(VALU_DEP_2) | instskip(NEXT) | instid1(VALU_DEP_1)
	v_cvt_u32_f32_e32 v6, v6
	v_xor_b32_e32 v6, v6, v5
	s_delay_alu instid0(VALU_DEP_1)
	v_sub_nc_u32_e32 v5, v6, v5
	global_store_b8 v[0:1], v5, off
.LBB152_767:
	s_mov_b32 s18, -1
.LBB152_768:
	s_delay_alu instid0(SALU_CYCLE_1)
	s_and_not1_b32 vcc_lo, exec_lo, s18
	s_cbranch_vccnz .LBB152_770
; %bb.769:
	v_add_nc_u32_e32 v3, 0x80, v3
	s_mov_b32 s19, -1
	s_branch .LBB152_772
.LBB152_770:
	s_mov_b32 s19, 0
.LBB152_771:
                                        ; implicit-def: $vgpr3
.LBB152_772:
	s_and_not1_b32 s18, s14, exec_lo
	s_and_b32 s0, s0, exec_lo
	s_and_not1_b32 s20, s13, exec_lo
	s_and_b32 s17, s17, exec_lo
	s_or_b32 s18, s18, s0
	s_or_b32 s17, s20, s17
	s_or_not1_b32 s0, s19, exec_lo
.LBB152_773:
	s_or_b32 exec_lo, exec_lo, s16
	s_mov_b32 s19, 0
	s_mov_b32 s20, 0
	s_mov_b32 s21, 0
                                        ; implicit-def: $vgpr0_vgpr1
                                        ; implicit-def: $vgpr6
	s_and_saveexec_b32 s16, s0
	s_cbranch_execz .LBB152_858
; %bb.774:
	v_cmp_gt_i32_e32 vcc_lo, s10, v3
	s_mov_b32 s0, 0
	s_mov_b32 s19, s17
                                        ; implicit-def: $vgpr0_vgpr1
                                        ; implicit-def: $vgpr6
	s_and_saveexec_b32 s10, vcc_lo
	s_cbranch_execz .LBB152_857
; %bb.775:
	v_mul_lo_u32 v0, v3, s3
	v_cmp_gt_i16_e32 vcc_lo, 11, v4
	s_delay_alu instid0(VALU_DEP_2) | instskip(SKIP_1) | instid1(VALU_DEP_1)
	v_ashrrev_i32_e32 v1, 31, v0
	v_add_co_u32 v0, s0, s6, v0
	v_add_co_ci_u32_e64 v1, s0, s7, v1, s0
	s_cbranch_vccnz .LBB152_782
; %bb.776:
	v_cmp_lt_i16_e32 vcc_lo, 25, v4
	s_mov_b32 s19, 0
	s_cbranch_vccz .LBB152_783
; %bb.777:
	v_cmp_lt_i16_e32 vcc_lo, 28, v4
	s_cbranch_vccz .LBB152_784
; %bb.778:
	v_cmp_lt_i16_e32 vcc_lo, 43, v4
	;; [unrolled: 3-line block ×3, first 2 shown]
	s_cbranch_vccz .LBB152_788
; %bb.780:
	v_cmp_eq_u16_e32 vcc_lo, 46, v4
	s_cbranch_vccz .LBB152_791
; %bb.781:
	global_load_b32 v6, v[0:1], off
	s_mov_b32 s0, 0
	s_mov_b32 s20, -1
	s_branch .LBB152_793
.LBB152_782:
	s_mov_b32 s22, -1
	s_mov_b32 s19, 0
	s_mov_b32 s0, s17
                                        ; implicit-def: $vgpr6
	s_branch .LBB152_856
.LBB152_783:
	s_mov_b32 s21, -1
	s_mov_b32 s0, s17
                                        ; implicit-def: $vgpr6
	s_branch .LBB152_822
.LBB152_784:
	s_mov_b32 s21, -1
	s_mov_b32 s0, s17
                                        ; implicit-def: $vgpr6
	s_branch .LBB152_803
.LBB152_785:
	s_mov_b32 s21, -1
	s_mov_b32 s0, s17
                                        ; implicit-def: $vgpr6
	s_branch .LBB152_798
.LBB152_786:
	s_or_saveexec_b32 s20, s20
                                        ; implicit-def: $sgpr21
	s_delay_alu instid0(SALU_CYCLE_1)
	s_xor_b32 exec_lo, exec_lo, s20
	s_cbranch_execz .LBB152_681
.LBB152_787:
	v_add_f32_e64 v8, 0x46000000, |v9|
	s_and_not1_b32 s19, s19, exec_lo
	s_mov_b32 s21, 0
	s_delay_alu instid0(VALU_DEP_1) | instskip(NEXT) | instid1(VALU_DEP_1)
	v_and_b32_e32 v8, 0xff, v8
	v_cmp_ne_u32_e32 vcc_lo, 0, v8
	s_and_b32 s22, vcc_lo, exec_lo
	s_delay_alu instid0(SALU_CYCLE_1)
	s_or_b32 s19, s19, s22
	s_or_b32 exec_lo, exec_lo, s20
	v_mov_b32_e32 v10, s21
	s_and_saveexec_b32 s20, s19
	s_cbranch_execnz .LBB152_682
	s_branch .LBB152_683
.LBB152_788:
	s_mov_b32 s21, -1
	s_mov_b32 s0, s17
	s_branch .LBB152_792
.LBB152_789:
	s_or_saveexec_b32 s20, s20
                                        ; implicit-def: $sgpr21
	s_delay_alu instid0(SALU_CYCLE_1)
	s_xor_b32 exec_lo, exec_lo, s20
	s_cbranch_execz .LBB152_694
.LBB152_790:
	v_add_f32_e64 v8, 0x42800000, |v9|
	s_and_not1_b32 s19, s19, exec_lo
	s_mov_b32 s21, 0
	s_delay_alu instid0(VALU_DEP_1) | instskip(NEXT) | instid1(VALU_DEP_1)
	v_and_b32_e32 v8, 0xff, v8
	v_cmp_ne_u32_e32 vcc_lo, 0, v8
	s_and_b32 s22, vcc_lo, exec_lo
	s_delay_alu instid0(SALU_CYCLE_1)
	s_or_b32 s19, s19, s22
	s_or_b32 exec_lo, exec_lo, s20
	v_mov_b32_e32 v10, s21
	s_and_saveexec_b32 s20, s19
	s_cbranch_execnz .LBB152_695
	s_branch .LBB152_696
.LBB152_791:
	s_mov_b32 s0, -1
.LBB152_792:
                                        ; implicit-def: $vgpr6
.LBB152_793:
	s_and_b32 vcc_lo, exec_lo, s21
	s_cbranch_vccz .LBB152_797
; %bb.794:
	v_cmp_eq_u16_e32 vcc_lo, 44, v4
	s_cbranch_vccz .LBB152_796
; %bb.795:
	global_load_u8 v5, v[0:1], off
	s_mov_b32 s0, 0
	s_mov_b32 s20, -1
	s_waitcnt vmcnt(0)
	v_lshlrev_b32_e32 v6, 23, v5
	v_cmp_ne_u32_e32 vcc_lo, 0xff, v5
	s_delay_alu instid0(VALU_DEP_2) | instskip(SKIP_1) | instid1(VALU_DEP_2)
	v_cndmask_b32_e32 v6, 0x7f800001, v6, vcc_lo
	v_cmp_ne_u32_e32 vcc_lo, 0, v5
	v_cndmask_b32_e32 v5, 0x400000, v6, vcc_lo
	s_delay_alu instid0(VALU_DEP_1) | instskip(SKIP_1) | instid1(VALU_DEP_2)
	v_add_nc_u32_e32 v6, 0x7fff, v5
	v_cmp_o_f32_e32 vcc_lo, v5, v5
	v_lshrrev_b32_e32 v6, 16, v6
	s_delay_alu instid0(VALU_DEP_1)
	v_cndmask_b32_e32 v6, 0x7fc0, v6, vcc_lo
	s_branch .LBB152_797
.LBB152_796:
	s_mov_b32 s0, -1
                                        ; implicit-def: $vgpr6
.LBB152_797:
	s_mov_b32 s21, 0
.LBB152_798:
	s_delay_alu instid0(SALU_CYCLE_1)
	s_and_b32 vcc_lo, exec_lo, s21
	s_cbranch_vccz .LBB152_802
; %bb.799:
	v_cmp_eq_u16_e32 vcc_lo, 29, v4
	s_cbranch_vccz .LBB152_801
; %bb.800:
	global_load_b64 v[5:6], v[0:1], off
	s_mov_b32 s0, 0
	s_mov_b32 s20, -1
	s_mov_b32 s21, 0
	s_waitcnt vmcnt(0)
	v_clz_i32_u32_e32 v7, v6
	s_delay_alu instid0(VALU_DEP_1) | instskip(NEXT) | instid1(VALU_DEP_1)
	v_min_u32_e32 v7, 32, v7
	v_lshlrev_b64 v[5:6], v7, v[5:6]
	s_delay_alu instid0(VALU_DEP_1) | instskip(NEXT) | instid1(VALU_DEP_1)
	v_min_u32_e32 v5, 1, v5
	v_or_b32_e32 v5, v6, v5
	v_sub_nc_u32_e32 v6, 32, v7
	s_delay_alu instid0(VALU_DEP_2) | instskip(NEXT) | instid1(VALU_DEP_1)
	v_cvt_f32_u32_e32 v5, v5
	v_ldexp_f32 v5, v5, v6
	s_delay_alu instid0(VALU_DEP_1) | instskip(NEXT) | instid1(VALU_DEP_1)
	v_bfe_u32 v6, v5, 16, 1
	v_add3_u32 v5, v5, v6, 0x7fff
	s_delay_alu instid0(VALU_DEP_1)
	v_lshrrev_b32_e32 v6, 16, v5
	s_branch .LBB152_803
.LBB152_801:
	s_mov_b32 s0, -1
                                        ; implicit-def: $vgpr6
.LBB152_802:
	s_mov_b32 s21, 0
.LBB152_803:
	s_delay_alu instid0(SALU_CYCLE_1)
	s_and_b32 vcc_lo, exec_lo, s21
	s_cbranch_vccz .LBB152_821
; %bb.804:
	v_cmp_gt_i16_e32 vcc_lo, 27, v4
	s_cbranch_vccnz .LBB152_807
; %bb.805:
	v_cmp_lt_i16_e32 vcc_lo, 27, v4
	s_cbranch_vccz .LBB152_808
; %bb.806:
	global_load_b32 v5, v[0:1], off
	s_mov_b32 s20, 0
	s_waitcnt vmcnt(0)
	v_cvt_f32_u32_e32 v5, v5
	s_delay_alu instid0(VALU_DEP_1) | instskip(NEXT) | instid1(VALU_DEP_1)
	v_bfe_u32 v6, v5, 16, 1
	v_add3_u32 v5, v5, v6, 0x7fff
	s_delay_alu instid0(VALU_DEP_1)
	v_lshrrev_b32_e32 v6, 16, v5
	s_branch .LBB152_809
.LBB152_807:
	s_mov_b32 s20, -1
                                        ; implicit-def: $vgpr6
	s_branch .LBB152_812
.LBB152_808:
	s_mov_b32 s20, -1
                                        ; implicit-def: $vgpr6
.LBB152_809:
	s_delay_alu instid0(SALU_CYCLE_1)
	s_and_not1_b32 vcc_lo, exec_lo, s20
	s_cbranch_vccnz .LBB152_811
; %bb.810:
	global_load_u16 v5, v[0:1], off
	s_waitcnt vmcnt(0)
	v_cvt_f32_u32_e32 v5, v5
	s_delay_alu instid0(VALU_DEP_1) | instskip(NEXT) | instid1(VALU_DEP_1)
	v_bfe_u32 v6, v5, 16, 1
	v_add3_u32 v5, v5, v6, 0x7fff
	s_delay_alu instid0(VALU_DEP_1)
	v_lshrrev_b32_e32 v6, 16, v5
.LBB152_811:
	s_mov_b32 s20, 0
.LBB152_812:
	s_delay_alu instid0(SALU_CYCLE_1)
	s_and_not1_b32 vcc_lo, exec_lo, s20
	s_cbranch_vccnz .LBB152_820
; %bb.813:
	global_load_u8 v5, v[0:1], off
	s_mov_b32 s20, 0
	s_mov_b32 s22, exec_lo
                                        ; implicit-def: $sgpr21
	s_waitcnt vmcnt(0)
	v_cmpx_lt_i16_e32 0x7f, v5
	s_xor_b32 s22, exec_lo, s22
	s_cbranch_execz .LBB152_834
; %bb.814:
	s_mov_b32 s20, -1
	s_mov_b32 s23, exec_lo
                                        ; implicit-def: $sgpr21
	v_cmpx_eq_u16_e32 0x80, v5
; %bb.815:
	s_mov_b32 s21, 0x7f800001
	s_xor_b32 s20, exec_lo, -1
; %bb.816:
	s_or_b32 exec_lo, exec_lo, s23
	s_delay_alu instid0(SALU_CYCLE_1)
	s_and_b32 s20, s20, exec_lo
	s_or_saveexec_b32 s22, s22
	v_mov_b32_e32 v6, s21
	s_xor_b32 exec_lo, exec_lo, s22
	s_cbranch_execnz .LBB152_835
.LBB152_817:
	s_or_b32 exec_lo, exec_lo, s22
	s_and_saveexec_b32 s21, s20
	s_cbranch_execz .LBB152_819
.LBB152_818:
	v_and_b32_e32 v6, 0xffff, v5
	v_lshlrev_b32_e32 v5, 24, v5
	s_delay_alu instid0(VALU_DEP_2) | instskip(NEXT) | instid1(VALU_DEP_2)
	v_and_b32_e32 v7, 7, v6
	v_and_b32_e32 v5, 0x80000000, v5
	s_delay_alu instid0(VALU_DEP_2) | instskip(NEXT) | instid1(VALU_DEP_1)
	v_clz_i32_u32_e32 v8, v7
	v_min_u32_e32 v8, 32, v8
	s_delay_alu instid0(VALU_DEP_1) | instskip(SKIP_1) | instid1(VALU_DEP_2)
	v_subrev_nc_u32_e32 v9, 28, v8
	v_sub_nc_u32_e32 v8, 29, v8
	v_lshlrev_b32_e32 v9, v9, v6
	v_bfe_u32 v6, v6, 3, 4
	s_delay_alu instid0(VALU_DEP_2) | instskip(NEXT) | instid1(VALU_DEP_2)
	v_and_b32_e32 v9, 7, v9
	v_cmp_eq_u32_e32 vcc_lo, 0, v6
	s_delay_alu instid0(VALU_DEP_2) | instskip(NEXT) | instid1(VALU_DEP_1)
	v_dual_cndmask_b32 v6, v6, v8 :: v_dual_cndmask_b32 v7, v7, v9
	v_lshl_add_u32 v6, v6, 23, 0x3b800000
	s_delay_alu instid0(VALU_DEP_2) | instskip(NEXT) | instid1(VALU_DEP_1)
	v_lshlrev_b32_e32 v7, 20, v7
	v_or3_b32 v6, v5, v6, v7
.LBB152_819:
	s_or_b32 exec_lo, exec_lo, s21
	s_delay_alu instid0(VALU_DEP_1) | instskip(SKIP_1) | instid1(VALU_DEP_2)
	v_bfe_u32 v5, v6, 16, 1
	v_cmp_o_f32_e32 vcc_lo, v6, v6
	v_add3_u32 v5, v6, v5, 0x7fff
	s_delay_alu instid0(VALU_DEP_1) | instskip(NEXT) | instid1(VALU_DEP_1)
	v_lshrrev_b32_e32 v5, 16, v5
	v_cndmask_b32_e32 v6, 0x7fc0, v5, vcc_lo
.LBB152_820:
	s_mov_b32 s20, -1
.LBB152_821:
	s_mov_b32 s21, 0
.LBB152_822:
	s_delay_alu instid0(SALU_CYCLE_1)
	s_and_b32 vcc_lo, exec_lo, s21
	s_cbranch_vccz .LBB152_855
; %bb.823:
	v_cmp_lt_i16_e32 vcc_lo, 22, v4
	s_cbranch_vccz .LBB152_833
; %bb.824:
	v_cmp_gt_i16_e32 vcc_lo, 24, v4
	s_cbranch_vccnz .LBB152_836
; %bb.825:
	v_cmp_lt_i16_e32 vcc_lo, 24, v4
	s_cbranch_vccz .LBB152_837
; %bb.826:
	global_load_u8 v5, v[0:1], off
	s_mov_b32 s21, exec_lo
                                        ; implicit-def: $sgpr20
	s_waitcnt vmcnt(0)
	v_cmpx_lt_i16_e32 0x7f, v5
	s_xor_b32 s21, exec_lo, s21
	s_cbranch_execz .LBB152_849
; %bb.827:
	s_mov_b32 s19, -1
	s_mov_b32 s22, exec_lo
                                        ; implicit-def: $sgpr20
	v_cmpx_eq_u16_e32 0x80, v5
; %bb.828:
	s_mov_b32 s20, 0x7f800001
	s_xor_b32 s19, exec_lo, -1
; %bb.829:
	s_or_b32 exec_lo, exec_lo, s22
	s_delay_alu instid0(SALU_CYCLE_1)
	s_and_b32 s19, s19, exec_lo
	s_or_saveexec_b32 s21, s21
	v_mov_b32_e32 v6, s20
	s_xor_b32 exec_lo, exec_lo, s21
	s_cbranch_execnz .LBB152_850
.LBB152_830:
	s_or_b32 exec_lo, exec_lo, s21
	s_and_saveexec_b32 s20, s19
	s_cbranch_execz .LBB152_832
.LBB152_831:
	v_and_b32_e32 v6, 0xffff, v5
	v_lshlrev_b32_e32 v5, 24, v5
	s_delay_alu instid0(VALU_DEP_2) | instskip(NEXT) | instid1(VALU_DEP_2)
	v_and_b32_e32 v7, 3, v6
	v_and_b32_e32 v5, 0x80000000, v5
	s_delay_alu instid0(VALU_DEP_2) | instskip(NEXT) | instid1(VALU_DEP_1)
	v_clz_i32_u32_e32 v8, v7
	v_min_u32_e32 v8, 32, v8
	s_delay_alu instid0(VALU_DEP_1) | instskip(SKIP_1) | instid1(VALU_DEP_2)
	v_subrev_nc_u32_e32 v9, 29, v8
	v_sub_nc_u32_e32 v8, 30, v8
	v_lshlrev_b32_e32 v9, v9, v6
	v_bfe_u32 v6, v6, 2, 5
	s_delay_alu instid0(VALU_DEP_2) | instskip(NEXT) | instid1(VALU_DEP_2)
	v_and_b32_e32 v9, 3, v9
	v_cmp_eq_u32_e32 vcc_lo, 0, v6
	s_delay_alu instid0(VALU_DEP_2) | instskip(NEXT) | instid1(VALU_DEP_1)
	v_dual_cndmask_b32 v6, v6, v8 :: v_dual_cndmask_b32 v7, v7, v9
	v_lshl_add_u32 v6, v6, 23, 0x37800000
	s_delay_alu instid0(VALU_DEP_2) | instskip(NEXT) | instid1(VALU_DEP_1)
	v_lshlrev_b32_e32 v7, 21, v7
	v_or3_b32 v6, v5, v6, v7
.LBB152_832:
	s_or_b32 exec_lo, exec_lo, s20
	s_delay_alu instid0(VALU_DEP_1) | instskip(SKIP_2) | instid1(VALU_DEP_2)
	v_bfe_u32 v5, v6, 16, 1
	v_cmp_o_f32_e32 vcc_lo, v6, v6
	s_mov_b32 s19, 0
	v_add3_u32 v5, v6, v5, 0x7fff
	s_delay_alu instid0(VALU_DEP_1) | instskip(NEXT) | instid1(VALU_DEP_1)
	v_lshrrev_b32_e32 v5, 16, v5
	v_cndmask_b32_e32 v6, 0x7fc0, v5, vcc_lo
	s_branch .LBB152_838
.LBB152_833:
	s_mov_b32 s19, -1
                                        ; implicit-def: $vgpr6
	s_branch .LBB152_844
.LBB152_834:
	s_or_saveexec_b32 s22, s22
	v_mov_b32_e32 v6, s21
	s_xor_b32 exec_lo, exec_lo, s22
	s_cbranch_execz .LBB152_817
.LBB152_835:
	v_cmp_ne_u16_e32 vcc_lo, 0, v5
	v_mov_b32_e32 v6, 0
	s_and_not1_b32 s20, s20, exec_lo
	s_and_b32 s21, vcc_lo, exec_lo
	s_delay_alu instid0(SALU_CYCLE_1)
	s_or_b32 s20, s20, s21
	s_or_b32 exec_lo, exec_lo, s22
	s_and_saveexec_b32 s21, s20
	s_cbranch_execnz .LBB152_818
	s_branch .LBB152_819
.LBB152_836:
	s_mov_b32 s19, -1
                                        ; implicit-def: $vgpr6
	s_branch .LBB152_841
.LBB152_837:
	s_mov_b32 s19, -1
                                        ; implicit-def: $vgpr6
.LBB152_838:
	s_delay_alu instid0(SALU_CYCLE_1)
	s_and_b32 vcc_lo, exec_lo, s19
	s_cbranch_vccz .LBB152_840
; %bb.839:
	global_load_u8 v5, v[0:1], off
	s_waitcnt vmcnt(0)
	v_lshlrev_b32_e32 v5, 24, v5
	s_delay_alu instid0(VALU_DEP_1) | instskip(NEXT) | instid1(VALU_DEP_1)
	v_and_b32_e32 v6, 0x7f000000, v5
	v_clz_i32_u32_e32 v7, v6
	v_add_nc_u32_e32 v9, 0x1000000, v6
	v_cmp_ne_u32_e32 vcc_lo, 0, v6
	s_delay_alu instid0(VALU_DEP_3) | instskip(NEXT) | instid1(VALU_DEP_1)
	v_min_u32_e32 v7, 32, v7
	v_sub_nc_u32_e64 v7, v7, 4 clamp
	s_delay_alu instid0(VALU_DEP_1) | instskip(SKIP_1) | instid1(VALU_DEP_2)
	v_lshlrev_b32_e32 v8, v7, v6
	v_lshlrev_b32_e32 v7, 23, v7
	v_lshrrev_b32_e32 v8, 4, v8
	s_delay_alu instid0(VALU_DEP_1) | instskip(SKIP_1) | instid1(VALU_DEP_2)
	v_sub_nc_u32_e32 v7, v8, v7
	v_ashrrev_i32_e32 v8, 8, v9
	v_add_nc_u32_e32 v7, 0x3c000000, v7
	s_delay_alu instid0(VALU_DEP_1) | instskip(NEXT) | instid1(VALU_DEP_1)
	v_and_or_b32 v7, 0x7f800000, v8, v7
	v_cndmask_b32_e32 v6, 0, v7, vcc_lo
	s_delay_alu instid0(VALU_DEP_1) | instskip(SKIP_1) | instid1(VALU_DEP_2)
	v_and_or_b32 v5, 0x80000000, v5, v6
	v_bfe_u32 v6, v6, 16, 1
	v_cmp_o_f32_e32 vcc_lo, v5, v5
	s_delay_alu instid0(VALU_DEP_2) | instskip(NEXT) | instid1(VALU_DEP_1)
	v_add3_u32 v6, v5, v6, 0x7fff
	v_lshrrev_b32_e32 v6, 16, v6
	s_delay_alu instid0(VALU_DEP_1)
	v_cndmask_b32_e32 v6, 0x7fc0, v6, vcc_lo
.LBB152_840:
	s_mov_b32 s19, 0
.LBB152_841:
	s_delay_alu instid0(SALU_CYCLE_1)
	s_and_not1_b32 vcc_lo, exec_lo, s19
	s_cbranch_vccnz .LBB152_843
; %bb.842:
	global_load_u8 v5, v[0:1], off
	s_waitcnt vmcnt(0)
	v_lshlrev_b32_e32 v6, 25, v5
	v_lshlrev_b16 v5, 8, v5
	s_delay_alu instid0(VALU_DEP_2) | instskip(NEXT) | instid1(VALU_DEP_2)
	v_lshrrev_b32_e32 v7, 4, v6
	v_and_or_b32 v8, 0x7f00, v5, 0.5
	v_bfe_i32 v5, v5, 0, 16
	s_delay_alu instid0(VALU_DEP_3) | instskip(NEXT) | instid1(VALU_DEP_1)
	v_or_b32_e32 v7, 0x70000000, v7
	v_dual_add_f32 v8, -0.5, v8 :: v_dual_mul_f32 v7, 0x7800000, v7
	v_cmp_gt_u32_e32 vcc_lo, 0x8000000, v6
	s_delay_alu instid0(VALU_DEP_2) | instskip(NEXT) | instid1(VALU_DEP_1)
	v_cndmask_b32_e32 v6, v7, v8, vcc_lo
	v_and_or_b32 v5, 0x80000000, v5, v6
	v_bfe_u32 v6, v6, 16, 1
	s_delay_alu instid0(VALU_DEP_2) | instskip(NEXT) | instid1(VALU_DEP_2)
	v_cmp_o_f32_e32 vcc_lo, v5, v5
	v_add3_u32 v6, v5, v6, 0x7fff
	s_delay_alu instid0(VALU_DEP_1) | instskip(NEXT) | instid1(VALU_DEP_1)
	v_lshrrev_b32_e32 v6, 16, v6
	v_cndmask_b32_e32 v6, 0x7fc0, v6, vcc_lo
.LBB152_843:
	s_mov_b32 s19, 0
	s_mov_b32 s20, -1
.LBB152_844:
	s_and_not1_b32 vcc_lo, exec_lo, s19
	s_mov_b32 s19, 0
	s_cbranch_vccnz .LBB152_855
; %bb.845:
	v_cmp_lt_i16_e32 vcc_lo, 14, v4
	s_cbranch_vccz .LBB152_848
; %bb.846:
	v_cmp_eq_u16_e32 vcc_lo, 15, v4
	s_cbranch_vccz .LBB152_851
; %bb.847:
	global_load_u16 v6, v[0:1], off
	s_mov_b32 s0, 0
	s_mov_b32 s20, -1
	s_branch .LBB152_853
.LBB152_848:
	s_mov_b32 s19, -1
	s_branch .LBB152_852
.LBB152_849:
	s_or_saveexec_b32 s21, s21
	v_mov_b32_e32 v6, s20
	s_xor_b32 exec_lo, exec_lo, s21
	s_cbranch_execz .LBB152_830
.LBB152_850:
	v_cmp_ne_u16_e32 vcc_lo, 0, v5
	v_mov_b32_e32 v6, 0
	s_and_not1_b32 s19, s19, exec_lo
	s_and_b32 s20, vcc_lo, exec_lo
	s_delay_alu instid0(SALU_CYCLE_1)
	s_or_b32 s19, s19, s20
	s_or_b32 exec_lo, exec_lo, s21
	s_and_saveexec_b32 s20, s19
	s_cbranch_execnz .LBB152_831
	s_branch .LBB152_832
.LBB152_851:
	s_mov_b32 s0, -1
.LBB152_852:
                                        ; implicit-def: $vgpr6
.LBB152_853:
	s_and_b32 vcc_lo, exec_lo, s19
	s_mov_b32 s19, 0
	s_cbranch_vccz .LBB152_855
; %bb.854:
	v_cmp_ne_u16_e32 vcc_lo, 11, v4
	s_and_not1_b32 s0, s0, exec_lo
	s_mov_b32 s19, -1
                                        ; implicit-def: $vgpr6
	s_and_b32 s21, vcc_lo, exec_lo
	s_delay_alu instid0(SALU_CYCLE_1)
	s_or_b32 s0, s0, s21
.LBB152_855:
	s_mov_b32 s22, 0
.LBB152_856:
	s_and_b32 s21, s20, exec_lo
	s_and_b32 s20, s22, exec_lo
	s_and_not1_b32 s22, s17, exec_lo
	s_and_b32 s23, s0, exec_lo
	s_and_b32 s0, s19, exec_lo
	s_or_b32 s19, s22, s23
.LBB152_857:
	s_or_b32 exec_lo, exec_lo, s10
	s_delay_alu instid0(SALU_CYCLE_1)
	s_and_not1_b32 s10, s17, exec_lo
	s_and_b32 s17, s19, exec_lo
	s_and_b32 s21, s21, exec_lo
	;; [unrolled: 1-line block ×4, first 2 shown]
	s_or_b32 s17, s10, s17
.LBB152_858:
	s_or_b32 exec_lo, exec_lo, s16
	s_delay_alu instid0(SALU_CYCLE_1)
	s_and_not1_b32 s0, s14, exec_lo
	s_and_b32 s10, s18, exec_lo
	s_and_b32 s18, s20, exec_lo
	s_or_b32 s14, s0, s10
	s_and_not1_b32 s10, s13, exec_lo
	s_and_b32 s13, s17, exec_lo
	s_and_b32 s0, s21, exec_lo
	;; [unrolled: 1-line block ×3, first 2 shown]
	s_or_b32 s13, s10, s13
.LBB152_859:
	s_or_b32 exec_lo, exec_lo, s15
	s_delay_alu instid0(SALU_CYCLE_1)
	s_and_not1_b32 s9, s9, exec_lo
	s_and_b32 s10, s14, exec_lo
	s_and_b32 s0, s0, exec_lo
	s_or_b32 s9, s9, s10
	s_and_not1_b32 s10, s11, exec_lo
	s_and_b32 s11, s13, exec_lo
	s_and_b32 s14, s18, exec_lo
	;; [unrolled: 1-line block ×3, first 2 shown]
	s_or_b32 s11, s10, s11
.LBB152_860:
	s_or_b32 exec_lo, exec_lo, s12
	s_mov_b32 s10, 0
	s_and_saveexec_b32 s12, s11
	s_cbranch_execnz .LBB152_872
; %bb.861:
	s_or_b32 exec_lo, exec_lo, s12
	s_and_saveexec_b32 s11, s13
	s_delay_alu instid0(SALU_CYCLE_1)
	s_xor_b32 s11, exec_lo, s11
	s_cbranch_execz .LBB152_863
.LBB152_862:
	global_load_u8 v5, v[0:1], off
	s_or_b32 s0, s0, exec_lo
	s_waitcnt vmcnt(0)
	v_cmp_ne_u16_e32 vcc_lo, 0, v5
	v_cndmask_b32_e64 v5, 0, 1.0, vcc_lo
	s_delay_alu instid0(VALU_DEP_1)
	v_lshrrev_b32_e32 v6, 16, v5
.LBB152_863:
	s_or_b32 exec_lo, exec_lo, s11
	s_and_saveexec_b32 s11, s14
	s_cbranch_execz .LBB152_911
; %bb.864:
	v_cmp_gt_i16_e32 vcc_lo, 5, v4
	s_cbranch_vccnz .LBB152_869
; %bb.865:
	v_cmp_gt_i16_e32 vcc_lo, 8, v4
	s_cbranch_vccnz .LBB152_870
	;; [unrolled: 3-line block ×3, first 2 shown]
; %bb.867:
	v_cmp_lt_i16_e32 vcc_lo, 9, v4
	s_cbranch_vccz .LBB152_874
; %bb.868:
	global_load_b64 v[5:6], v[0:1], off
	s_mov_b32 s12, 0
	s_waitcnt vmcnt(0)
	v_cvt_f32_f64_e32 v5, v[5:6]
	s_delay_alu instid0(VALU_DEP_1) | instskip(SKIP_1) | instid1(VALU_DEP_2)
	v_bfe_u32 v6, v5, 16, 1
	v_cmp_o_f32_e32 vcc_lo, v5, v5
	v_add3_u32 v6, v5, v6, 0x7fff
	s_delay_alu instid0(VALU_DEP_1) | instskip(NEXT) | instid1(VALU_DEP_1)
	v_lshrrev_b32_e32 v6, 16, v6
	v_cndmask_b32_e32 v6, 0x7fc0, v6, vcc_lo
	s_branch .LBB152_875
.LBB152_869:
                                        ; implicit-def: $vgpr6
	s_branch .LBB152_892
.LBB152_870:
                                        ; implicit-def: $vgpr6
	s_branch .LBB152_881
.LBB152_871:
	s_mov_b32 s12, -1
                                        ; implicit-def: $vgpr6
	s_branch .LBB152_878
.LBB152_872:
	s_cbranch_execnz .LBB152_920
; %bb.873:
	s_mov_b32 s10, exec_lo
	s_and_not1_b32 s13, s13, exec_lo
                                        ; implicit-def: $vgpr6
	s_or_b32 exec_lo, exec_lo, s12
	s_and_saveexec_b32 s11, s13
	s_delay_alu instid0(SALU_CYCLE_1)
	s_xor_b32 s11, exec_lo, s11
	s_cbranch_execnz .LBB152_862
	s_branch .LBB152_863
.LBB152_874:
	s_mov_b32 s12, -1
                                        ; implicit-def: $vgpr6
.LBB152_875:
	s_delay_alu instid0(SALU_CYCLE_1)
	s_and_not1_b32 vcc_lo, exec_lo, s12
	s_cbranch_vccnz .LBB152_877
; %bb.876:
	global_load_b32 v5, v[0:1], off
	s_waitcnt vmcnt(0)
	v_bfe_u32 v6, v5, 16, 1
	v_cmp_o_f32_e32 vcc_lo, v5, v5
	s_delay_alu instid0(VALU_DEP_2) | instskip(NEXT) | instid1(VALU_DEP_1)
	v_add3_u32 v6, v5, v6, 0x7fff
	v_lshrrev_b32_e32 v6, 16, v6
	s_delay_alu instid0(VALU_DEP_1)
	v_cndmask_b32_e32 v6, 0x7fc0, v6, vcc_lo
.LBB152_877:
	s_mov_b32 s12, 0
.LBB152_878:
	s_delay_alu instid0(SALU_CYCLE_1)
	s_and_not1_b32 vcc_lo, exec_lo, s12
	s_cbranch_vccnz .LBB152_880
; %bb.879:
	global_load_b32 v5, v[0:1], off
	s_waitcnt vmcnt(0)
	v_cvt_f32_f16_e32 v6, v5
	v_cmp_o_f16_e32 vcc_lo, v5, v5
	s_delay_alu instid0(VALU_DEP_2) | instskip(NEXT) | instid1(VALU_DEP_1)
	v_bfe_u32 v7, v6, 16, 1
	v_add3_u32 v6, v6, v7, 0x7fff
	s_delay_alu instid0(VALU_DEP_1) | instskip(NEXT) | instid1(VALU_DEP_1)
	v_lshrrev_b32_e32 v6, 16, v6
	v_cndmask_b32_e32 v6, 0x7fc0, v6, vcc_lo
.LBB152_880:
	s_cbranch_execnz .LBB152_891
.LBB152_881:
	v_cmp_gt_i16_e32 vcc_lo, 6, v4
	s_cbranch_vccnz .LBB152_884
; %bb.882:
	v_cmp_lt_i16_e32 vcc_lo, 6, v4
	s_cbranch_vccz .LBB152_885
; %bb.883:
	global_load_b64 v[5:6], v[0:1], off
	s_mov_b32 s12, 0
	s_waitcnt vmcnt(0)
	v_cvt_f32_f64_e32 v5, v[5:6]
	s_delay_alu instid0(VALU_DEP_1) | instskip(SKIP_1) | instid1(VALU_DEP_2)
	v_bfe_u32 v6, v5, 16, 1
	v_cmp_o_f32_e32 vcc_lo, v5, v5
	v_add3_u32 v6, v5, v6, 0x7fff
	s_delay_alu instid0(VALU_DEP_1) | instskip(NEXT) | instid1(VALU_DEP_1)
	v_lshrrev_b32_e32 v6, 16, v6
	v_cndmask_b32_e32 v6, 0x7fc0, v6, vcc_lo
	s_branch .LBB152_886
.LBB152_884:
	s_mov_b32 s12, -1
                                        ; implicit-def: $vgpr6
	s_branch .LBB152_889
.LBB152_885:
	s_mov_b32 s12, -1
                                        ; implicit-def: $vgpr6
.LBB152_886:
	s_delay_alu instid0(SALU_CYCLE_1)
	s_and_not1_b32 vcc_lo, exec_lo, s12
	s_cbranch_vccnz .LBB152_888
; %bb.887:
	global_load_b32 v5, v[0:1], off
	s_waitcnt vmcnt(0)
	v_bfe_u32 v6, v5, 16, 1
	v_cmp_o_f32_e32 vcc_lo, v5, v5
	s_delay_alu instid0(VALU_DEP_2) | instskip(NEXT) | instid1(VALU_DEP_1)
	v_add3_u32 v6, v5, v6, 0x7fff
	v_lshrrev_b32_e32 v6, 16, v6
	s_delay_alu instid0(VALU_DEP_1)
	v_cndmask_b32_e32 v6, 0x7fc0, v6, vcc_lo
.LBB152_888:
	s_mov_b32 s12, 0
.LBB152_889:
	s_delay_alu instid0(SALU_CYCLE_1)
	s_and_not1_b32 vcc_lo, exec_lo, s12
	s_cbranch_vccnz .LBB152_891
; %bb.890:
	global_load_u16 v5, v[0:1], off
	s_waitcnt vmcnt(0)
	v_cvt_f32_f16_e32 v6, v5
	v_cmp_o_f16_e32 vcc_lo, v5, v5
	s_delay_alu instid0(VALU_DEP_2) | instskip(NEXT) | instid1(VALU_DEP_1)
	v_bfe_u32 v7, v6, 16, 1
	v_add3_u32 v6, v6, v7, 0x7fff
	s_delay_alu instid0(VALU_DEP_1) | instskip(NEXT) | instid1(VALU_DEP_1)
	v_lshrrev_b32_e32 v6, 16, v6
	v_cndmask_b32_e32 v6, 0x7fc0, v6, vcc_lo
.LBB152_891:
	s_cbranch_execnz .LBB152_910
.LBB152_892:
	v_cmp_gt_i16_e32 vcc_lo, 2, v4
	s_cbranch_vccnz .LBB152_896
; %bb.893:
	v_cmp_gt_i16_e32 vcc_lo, 3, v4
	s_cbranch_vccnz .LBB152_897
; %bb.894:
	v_cmp_lt_i16_e32 vcc_lo, 3, v4
	s_cbranch_vccz .LBB152_898
; %bb.895:
	global_load_b64 v[5:6], v[0:1], off
	s_mov_b32 s12, 0
	s_waitcnt vmcnt(0)
	v_xor_b32_e32 v7, v5, v6
	v_cls_i32_e32 v8, v6
	s_delay_alu instid0(VALU_DEP_2) | instskip(NEXT) | instid1(VALU_DEP_2)
	v_ashrrev_i32_e32 v7, 31, v7
	v_add_nc_u32_e32 v8, -1, v8
	s_delay_alu instid0(VALU_DEP_2) | instskip(NEXT) | instid1(VALU_DEP_1)
	v_add_nc_u32_e32 v7, 32, v7
	v_min_u32_e32 v7, v8, v7
	s_delay_alu instid0(VALU_DEP_1) | instskip(NEXT) | instid1(VALU_DEP_1)
	v_lshlrev_b64 v[5:6], v7, v[5:6]
	v_min_u32_e32 v5, 1, v5
	s_delay_alu instid0(VALU_DEP_1) | instskip(SKIP_1) | instid1(VALU_DEP_2)
	v_or_b32_e32 v5, v6, v5
	v_sub_nc_u32_e32 v6, 32, v7
	v_cvt_f32_i32_e32 v5, v5
	s_delay_alu instid0(VALU_DEP_1) | instskip(NEXT) | instid1(VALU_DEP_1)
	v_ldexp_f32 v5, v5, v6
	v_bfe_u32 v6, v5, 16, 1
	s_delay_alu instid0(VALU_DEP_1) | instskip(NEXT) | instid1(VALU_DEP_1)
	v_add3_u32 v5, v5, v6, 0x7fff
	v_lshrrev_b32_e32 v6, 16, v5
	s_branch .LBB152_899
.LBB152_896:
                                        ; implicit-def: $vgpr6
	s_branch .LBB152_905
.LBB152_897:
	s_mov_b32 s12, -1
                                        ; implicit-def: $vgpr6
	s_branch .LBB152_902
.LBB152_898:
	s_mov_b32 s12, -1
                                        ; implicit-def: $vgpr6
.LBB152_899:
	s_delay_alu instid0(SALU_CYCLE_1)
	s_and_not1_b32 vcc_lo, exec_lo, s12
	s_cbranch_vccnz .LBB152_901
; %bb.900:
	global_load_b32 v5, v[0:1], off
	s_waitcnt vmcnt(0)
	v_cvt_f32_i32_e32 v5, v5
	s_delay_alu instid0(VALU_DEP_1) | instskip(NEXT) | instid1(VALU_DEP_1)
	v_bfe_u32 v6, v5, 16, 1
	v_add3_u32 v5, v5, v6, 0x7fff
	s_delay_alu instid0(VALU_DEP_1)
	v_lshrrev_b32_e32 v6, 16, v5
.LBB152_901:
	s_mov_b32 s12, 0
.LBB152_902:
	s_delay_alu instid0(SALU_CYCLE_1)
	s_and_not1_b32 vcc_lo, exec_lo, s12
	s_cbranch_vccnz .LBB152_904
; %bb.903:
	global_load_i16 v5, v[0:1], off
	s_waitcnt vmcnt(0)
	v_cvt_f32_i32_e32 v5, v5
	s_delay_alu instid0(VALU_DEP_1) | instskip(NEXT) | instid1(VALU_DEP_1)
	v_bfe_u32 v6, v5, 16, 1
	v_add3_u32 v5, v5, v6, 0x7fff
	s_delay_alu instid0(VALU_DEP_1)
	v_lshrrev_b32_e32 v6, 16, v5
.LBB152_904:
	s_cbranch_execnz .LBB152_910
.LBB152_905:
	v_cmp_lt_i16_e32 vcc_lo, 0, v4
	s_mov_b32 s12, 0
	s_cbranch_vccz .LBB152_907
; %bb.906:
	global_load_i8 v4, v[0:1], off
	s_waitcnt vmcnt(0)
	v_cvt_f32_i32_e32 v4, v4
	s_delay_alu instid0(VALU_DEP_1) | instskip(NEXT) | instid1(VALU_DEP_1)
	v_bfe_u32 v5, v4, 16, 1
	v_add3_u32 v4, v4, v5, 0x7fff
	s_delay_alu instid0(VALU_DEP_1)
	v_lshrrev_b32_e32 v6, 16, v4
	s_branch .LBB152_908
.LBB152_907:
	s_mov_b32 s12, -1
                                        ; implicit-def: $vgpr6
.LBB152_908:
	s_delay_alu instid0(SALU_CYCLE_1)
	s_and_not1_b32 vcc_lo, exec_lo, s12
	s_cbranch_vccnz .LBB152_910
; %bb.909:
	global_load_u8 v0, v[0:1], off
	s_waitcnt vmcnt(0)
	v_cvt_f32_ubyte0_e32 v0, v0
	s_delay_alu instid0(VALU_DEP_1) | instskip(NEXT) | instid1(VALU_DEP_1)
	v_bfe_u32 v1, v0, 16, 1
	v_add3_u32 v0, v0, v1, 0x7fff
	s_delay_alu instid0(VALU_DEP_1)
	v_lshrrev_b32_e32 v6, 16, v0
.LBB152_910:
	s_or_b32 s0, s0, exec_lo
.LBB152_911:
	s_or_b32 exec_lo, exec_lo, s11
	s_mov_b32 s13, 0
	s_mov_b32 s12, 0
                                        ; implicit-def: $vgpr5
                                        ; implicit-def: $vgpr0_vgpr1
                                        ; implicit-def: $vgpr4
	s_and_saveexec_b32 s11, s0
	s_cbranch_execz .LBB152_991
; %bb.912:
	s_mov_b32 s0, 0x395133b1
	s_waitcnt vmcnt(0)
	v_lshlrev_b32_e32 v0, 16, v6
	s_delay_alu instid0(VALU_DEP_1) | instskip(NEXT) | instid1(VALU_DEP_1)
	v_mul_f32_e32 v1, 0x3fb8aa3b, v0
	v_rndne_f32_e32 v1, v1
	s_delay_alu instid0(VALU_DEP_1) | instskip(SKIP_2) | instid1(VALU_DEP_3)
	v_fmamk_f32 v4, v1, 0xbf317218, v0
	v_cvt_i32_f32_e32 v6, v1
	v_cmp_eq_f32_e32 vcc_lo, 0x43000000, v1
	v_fmamk_f32 v4, v1, 0x3102e308, v4
	s_delay_alu instid0(VALU_DEP_3) | instskip(NEXT) | instid1(VALU_DEP_2)
	v_cndmask_b32_e64 v1, v6, 0x7f, vcc_lo
	v_fmaak_f32 v5, s0, v4, 0x3ab69700
	s_delay_alu instid0(VALU_DEP_2) | instskip(NEXT) | instid1(VALU_DEP_1)
	v_ldexp_f32 v1, 1.0, v1
	v_add_f32_e32 v6, -1.0, v1
	s_delay_alu instid0(VALU_DEP_3) | instskip(NEXT) | instid1(VALU_DEP_1)
	v_fmaak_f32 v5, v4, v5, 0x3c0887f9
	v_fmaak_f32 v5, v4, v5, 0x3d2aaa81
	s_delay_alu instid0(VALU_DEP_1) | instskip(NEXT) | instid1(VALU_DEP_1)
	v_fmaak_f32 v5, v4, v5, 0x3e2aaaab
	v_fma_f32 v5, v4, v5, 0.5
	s_delay_alu instid0(VALU_DEP_1) | instskip(NEXT) | instid1(VALU_DEP_1)
	v_mul_f32_e32 v5, v4, v5
	v_dual_fmac_f32 v4, v4, v5 :: v_dual_and_b32 v5, 0xff, v2
	s_delay_alu instid0(VALU_DEP_1) | instskip(NEXT) | instid1(VALU_DEP_1)
	v_fmac_f32_e32 v6, v1, v4
	v_add_f32_e32 v1, v6, v6
	s_delay_alu instid0(VALU_DEP_1) | instskip(SKIP_1) | instid1(VALU_DEP_2)
	v_cndmask_b32_e32 v1, v6, v1, vcc_lo
	v_cmp_nlt_f32_e32 vcc_lo, 0x42b17217, v0
	v_cndmask_b32_e32 v1, 0x7f800000, v1, vcc_lo
	v_cmp_ngt_f32_e32 vcc_lo, 0xc1880000, v0
	s_delay_alu instid0(VALU_DEP_2) | instskip(SKIP_2) | instid1(VALU_DEP_3)
	v_cndmask_b32_e32 v4, -1.0, v1, vcc_lo
	v_mul_lo_u32 v1, v3, s2
	v_cmp_gt_i16_e32 vcc_lo, 11, v5
	v_bfe_u32 v0, v4, 16, 1
	s_and_b32 vcc_lo, exec_lo, vcc_lo
	s_delay_alu instid0(VALU_DEP_3) | instskip(NEXT) | instid1(VALU_DEP_2)
	v_ashrrev_i32_e32 v2, 31, v1
	v_add3_u32 v0, v4, v0, 0x7fff
	s_delay_alu instid0(VALU_DEP_1) | instskip(SKIP_1) | instid1(VALU_DEP_1)
	v_lshrrev_b32_e32 v3, 16, v0
	v_add_co_u32 v0, s0, s4, v1
	v_add_co_ci_u32_e64 v1, s0, s5, v2, s0
	v_cmp_o_f32_e64 s0, v4, v4
	s_delay_alu instid0(VALU_DEP_1)
	v_cndmask_b32_e64 v4, 0x7fc0, v3, s0
	s_cbranch_vccnz .LBB152_919
; %bb.913:
	v_cmp_lt_i16_e32 vcc_lo, 25, v5
	s_mov_b32 s12, -1
	s_mov_b32 s0, s9
	s_cbranch_vccz .LBB152_949
; %bb.914:
	v_cmp_lt_i16_e32 vcc_lo, 28, v5
	s_mov_b32 s0, s9
	s_cbranch_vccz .LBB152_933
; %bb.915:
	v_cmp_lt_i16_e32 vcc_lo, 43, v5
	;; [unrolled: 4-line block ×3, first 2 shown]
	s_mov_b32 s0, s9
	s_cbranch_vccz .LBB152_923
; %bb.917:
	v_cmp_eq_u16_e32 vcc_lo, 46, v5
	s_mov_b32 s0, -1
	s_cbranch_vccz .LBB152_922
; %bb.918:
	v_and_b32_e32 v2, 0xffff, v4
	s_mov_b32 s0, 0
	s_mov_b32 s12, 0
	global_store_b32 v[0:1], v2, off
	s_branch .LBB152_923
.LBB152_919:
	s_mov_b32 s12, -1
	s_mov_b32 s0, s9
	s_branch .LBB152_990
.LBB152_920:
	s_trap 2
	s_sendmsg_rtn_b32 s0, sendmsg(MSG_RTN_GET_DOORBELL)
	s_mov_b32 ttmp2, m0
	s_waitcnt lgkmcnt(0)
	s_and_b32 s0, s0, 0x3ff
	s_delay_alu instid0(SALU_CYCLE_1) | instskip(NEXT) | instid1(SALU_CYCLE_1)
	s_bitset1_b32 s0, 10
	s_mov_b32 m0, s0
	s_sendmsg sendmsg(MSG_INTERRUPT)
	s_mov_b32 m0, ttmp2
.LBB152_921:                            ; =>This Inner Loop Header: Depth=1
	s_sethalt 5
	s_branch .LBB152_921
.LBB152_922:
	s_mov_b32 s12, 0
.LBB152_923:
	s_delay_alu instid0(SALU_CYCLE_1)
	s_and_b32 vcc_lo, exec_lo, s12
	s_cbranch_vccz .LBB152_928
; %bb.924:
	v_cmp_eq_u16_e32 vcc_lo, 44, v5
	s_mov_b32 s0, -1
	s_cbranch_vccz .LBB152_928
; %bb.925:
	v_and_b32_e32 v2, 0xffff, v4
	v_mov_b32_e32 v3, 0xff
	s_mov_b32 s12, exec_lo
	s_delay_alu instid0(VALU_DEP_2) | instskip(NEXT) | instid1(VALU_DEP_1)
	v_bfe_u32 v6, v2, 7, 8
	v_cmpx_ne_u32_e32 0xff, v6
; %bb.926:
	v_lshlrev_b32_e32 v3, 16, v2
	v_and_b32_e32 v7, 64, v2
	v_lshrrev_b32_e32 v2, 7, v2
	s_delay_alu instid0(VALU_DEP_3) | instskip(NEXT) | instid1(VALU_DEP_3)
	v_and_or_b32 v3, 0x3f0000, v3, v6
	v_cmp_ne_u32_e32 vcc_lo, 0, v7
	s_delay_alu instid0(VALU_DEP_2) | instskip(NEXT) | instid1(VALU_DEP_1)
	v_cmp_ne_u32_e64 s0, 0, v3
	s_and_b32 s0, vcc_lo, s0
	s_delay_alu instid0(SALU_CYCLE_1) | instskip(NEXT) | instid1(VALU_DEP_1)
	v_cndmask_b32_e64 v3, 0, 1, s0
	v_add_nc_u32_e32 v3, v2, v3
; %bb.927:
	s_or_b32 exec_lo, exec_lo, s12
	s_mov_b32 s0, 0
	global_store_b8 v[0:1], v3, off
.LBB152_928:
	s_mov_b32 s12, 0
.LBB152_929:
	s_delay_alu instid0(SALU_CYCLE_1)
	s_and_b32 vcc_lo, exec_lo, s12
	s_cbranch_vccz .LBB152_932
; %bb.930:
	v_cmp_eq_u16_e32 vcc_lo, 29, v5
	s_mov_b32 s0, -1
	s_cbranch_vccz .LBB152_932
; %bb.931:
	v_lshlrev_b32_e32 v2, 16, v4
	s_mov_b32 s0, 0
	s_mov_b32 s12, 0
	s_delay_alu instid0(VALU_DEP_1) | instskip(NEXT) | instid1(VALU_DEP_1)
	v_trunc_f32_e32 v2, v2
	v_mul_f32_e32 v3, 0x2f800000, v2
	s_delay_alu instid0(VALU_DEP_1) | instskip(NEXT) | instid1(VALU_DEP_1)
	v_floor_f32_e32 v3, v3
	v_fmamk_f32 v2, v3, 0xcf800000, v2
	v_cvt_u32_f32_e32 v3, v3
	s_delay_alu instid0(VALU_DEP_2)
	v_cvt_u32_f32_e32 v2, v2
	global_store_b64 v[0:1], v[2:3], off
	s_branch .LBB152_933
.LBB152_932:
	s_mov_b32 s12, 0
.LBB152_933:
	s_delay_alu instid0(SALU_CYCLE_1)
	s_and_b32 vcc_lo, exec_lo, s12
	s_cbranch_vccz .LBB152_948
; %bb.934:
	v_cmp_gt_i16_e32 vcc_lo, 27, v5
	s_mov_b32 s12, -1
	s_cbranch_vccnz .LBB152_940
; %bb.935:
	v_cmp_lt_i16_e32 vcc_lo, 27, v5
	s_cbranch_vccz .LBB152_937
; %bb.936:
	v_lshlrev_b32_e32 v2, 16, v4
	s_mov_b32 s12, 0
	s_delay_alu instid0(VALU_DEP_1)
	v_cvt_u32_f32_e32 v2, v2
	global_store_b32 v[0:1], v2, off
.LBB152_937:
	s_and_not1_b32 vcc_lo, exec_lo, s12
	s_cbranch_vccnz .LBB152_939
; %bb.938:
	v_lshlrev_b32_e32 v2, 16, v4
	s_delay_alu instid0(VALU_DEP_1)
	v_cvt_u32_f32_e32 v2, v2
	global_store_b16 v[0:1], v2, off
.LBB152_939:
	s_mov_b32 s12, 0
.LBB152_940:
	s_delay_alu instid0(SALU_CYCLE_1)
	s_and_not1_b32 vcc_lo, exec_lo, s12
	s_cbranch_vccnz .LBB152_948
; %bb.941:
	v_dual_mov_b32 v7, 0x80 :: v_dual_lshlrev_b32 v6, 16, v4
	s_mov_b32 s12, exec_lo
	s_delay_alu instid0(VALU_DEP_1) | instskip(NEXT) | instid1(VALU_DEP_1)
	v_and_b32_e32 v3, 0x7fffffff, v6
	v_cmpx_gt_u32_e32 0x43800000, v3
	s_cbranch_execz .LBB152_947
; %bb.942:
	v_and_b32_e32 v2, 0xffff, v4
	v_cmp_lt_u32_e32 vcc_lo, 0x3bffffff, v3
                                        ; implicit-def: $vgpr3
	s_and_saveexec_b32 s14, vcc_lo
	s_delay_alu instid0(SALU_CYCLE_1)
	s_xor_b32 s14, exec_lo, s14
	s_cbranch_execz .LBB152_1182
; %bb.943:
	v_bfe_u32 v3, v2, 4, 1
	s_mov_b32 s13, exec_lo
	s_delay_alu instid0(VALU_DEP_1) | instskip(NEXT) | instid1(VALU_DEP_1)
	v_add3_u32 v3, v6, v3, 0x487ffff
                                        ; implicit-def: $vgpr6
	v_lshrrev_b32_e32 v3, 20, v3
	s_or_saveexec_b32 s14, s14
                                        ; implicit-def: $sgpr15
	s_delay_alu instid0(SALU_CYCLE_1)
	s_xor_b32 exec_lo, exec_lo, s14
	s_cbranch_execnz .LBB152_1183
.LBB152_944:
	s_or_b32 exec_lo, exec_lo, s14
	v_mov_b32_e32 v7, s15
	s_and_saveexec_b32 s14, s13
.LBB152_945:
	v_lshrrev_b32_e32 v2, 8, v2
	s_delay_alu instid0(VALU_DEP_1)
	v_and_or_b32 v7, 0x80, v2, v3
.LBB152_946:
	s_or_b32 exec_lo, exec_lo, s14
.LBB152_947:
	s_delay_alu instid0(SALU_CYCLE_1)
	s_or_b32 exec_lo, exec_lo, s12
	global_store_b8 v[0:1], v7, off
.LBB152_948:
	s_mov_b32 s12, 0
.LBB152_949:
	s_delay_alu instid0(SALU_CYCLE_1)
	s_and_b32 vcc_lo, exec_lo, s12
	s_mov_b32 s12, 0
	s_cbranch_vccz .LBB152_989
; %bb.950:
	v_cmp_lt_i16_e32 vcc_lo, 22, v5
	s_mov_b32 s13, -1
	s_cbranch_vccz .LBB152_982
; %bb.951:
	v_cmp_gt_i16_e32 vcc_lo, 24, v5
	s_cbranch_vccnz .LBB152_971
; %bb.952:
	v_cmp_lt_i16_e32 vcc_lo, 24, v5
	s_cbranch_vccz .LBB152_960
; %bb.953:
	v_dual_mov_b32 v7, 0x80 :: v_dual_lshlrev_b32 v6, 16, v4
	s_mov_b32 s13, exec_lo
	s_delay_alu instid0(VALU_DEP_1) | instskip(NEXT) | instid1(VALU_DEP_1)
	v_and_b32_e32 v3, 0x7fffffff, v6
	v_cmpx_gt_u32_e32 0x47800000, v3
	s_cbranch_execz .LBB152_959
; %bb.954:
	v_and_b32_e32 v2, 0xffff, v4
	v_cmp_lt_u32_e32 vcc_lo, 0x37ffffff, v3
	s_mov_b32 s14, 0
                                        ; implicit-def: $vgpr3
	s_and_saveexec_b32 s15, vcc_lo
	s_delay_alu instid0(SALU_CYCLE_1)
	s_xor_b32 s15, exec_lo, s15
	s_cbranch_execz .LBB152_1226
; %bb.955:
	v_bfe_u32 v3, v2, 5, 1
	s_mov_b32 s14, exec_lo
	s_delay_alu instid0(VALU_DEP_1) | instskip(NEXT) | instid1(VALU_DEP_1)
	v_add3_u32 v3, v6, v3, 0x88fffff
                                        ; implicit-def: $vgpr6
	v_lshrrev_b32_e32 v3, 21, v3
	s_or_saveexec_b32 s15, s15
                                        ; implicit-def: $sgpr16
	s_delay_alu instid0(SALU_CYCLE_1)
	s_xor_b32 exec_lo, exec_lo, s15
	s_cbranch_execnz .LBB152_1227
.LBB152_956:
	s_or_b32 exec_lo, exec_lo, s15
	v_mov_b32_e32 v7, s16
	s_and_saveexec_b32 s15, s14
.LBB152_957:
	v_lshrrev_b32_e32 v2, 8, v2
	s_delay_alu instid0(VALU_DEP_1)
	v_and_or_b32 v7, 0x80, v2, v3
.LBB152_958:
	s_or_b32 exec_lo, exec_lo, s15
.LBB152_959:
	s_delay_alu instid0(SALU_CYCLE_1)
	s_or_b32 exec_lo, exec_lo, s13
	s_mov_b32 s13, 0
	global_store_b8 v[0:1], v7, off
.LBB152_960:
	s_and_b32 vcc_lo, exec_lo, s13
	s_cbranch_vccz .LBB152_970
; %bb.961:
	v_lshlrev_b32_e32 v6, 16, v4
	v_and_b32_e32 v2, 0xffff, v4
	s_mov_b32 s13, exec_lo
                                        ; implicit-def: $vgpr3
	s_delay_alu instid0(VALU_DEP_2) | instskip(NEXT) | instid1(VALU_DEP_1)
	v_and_b32_e32 v7, 0x7fffffff, v6
	v_cmpx_gt_u32_e32 0x43f00000, v7
	s_xor_b32 s13, exec_lo, s13
	s_cbranch_execz .LBB152_967
; %bb.962:
	s_mov_b32 s14, exec_lo
                                        ; implicit-def: $vgpr3
	v_cmpx_lt_u32_e32 0x3c7fffff, v7
	s_xor_b32 s14, exec_lo, s14
; %bb.963:
	v_bfe_u32 v3, v2, 4, 1
	s_delay_alu instid0(VALU_DEP_1) | instskip(NEXT) | instid1(VALU_DEP_1)
	v_add3_u32 v3, v6, v3, 0x407ffff
	v_and_b32_e32 v6, 0xff00000, v3
	v_lshrrev_b32_e32 v3, 20, v3
	s_delay_alu instid0(VALU_DEP_2) | instskip(NEXT) | instid1(VALU_DEP_2)
	v_cmp_ne_u32_e32 vcc_lo, 0x7f00000, v6
                                        ; implicit-def: $vgpr6
	v_cndmask_b32_e32 v3, 0x7e, v3, vcc_lo
; %bb.964:
	s_and_not1_saveexec_b32 s14, s14
; %bb.965:
	v_add_f32_e64 v3, 0x46800000, |v6|
; %bb.966:
	s_or_b32 exec_lo, exec_lo, s14
                                        ; implicit-def: $vgpr7
.LBB152_967:
	s_and_not1_saveexec_b32 s13, s13
; %bb.968:
	v_mov_b32_e32 v3, 0x7f
	v_cmp_lt_u32_e32 vcc_lo, 0x7f800000, v7
	s_delay_alu instid0(VALU_DEP_2)
	v_cndmask_b32_e32 v3, 0x7e, v3, vcc_lo
; %bb.969:
	s_or_b32 exec_lo, exec_lo, s13
	v_lshrrev_b32_e32 v2, 8, v2
	s_delay_alu instid0(VALU_DEP_1)
	v_and_or_b32 v2, 0x80, v2, v3
	global_store_b8 v[0:1], v2, off
.LBB152_970:
	s_mov_b32 s13, 0
.LBB152_971:
	s_delay_alu instid0(SALU_CYCLE_1)
	s_and_not1_b32 vcc_lo, exec_lo, s13
	s_cbranch_vccnz .LBB152_981
; %bb.972:
	v_lshlrev_b32_e32 v6, 16, v4
	v_and_b32_e32 v2, 0xffff, v4
	s_mov_b32 s13, exec_lo
                                        ; implicit-def: $vgpr3
	s_delay_alu instid0(VALU_DEP_2) | instskip(NEXT) | instid1(VALU_DEP_1)
	v_and_b32_e32 v7, 0x7fffffff, v6
	v_cmpx_gt_u32_e32 0x47800000, v7
	s_xor_b32 s13, exec_lo, s13
	s_cbranch_execz .LBB152_978
; %bb.973:
	s_mov_b32 s14, exec_lo
                                        ; implicit-def: $vgpr3
	v_cmpx_lt_u32_e32 0x387fffff, v7
	s_xor_b32 s14, exec_lo, s14
; %bb.974:
	v_bfe_u32 v3, v2, 5, 1
	s_delay_alu instid0(VALU_DEP_1) | instskip(NEXT) | instid1(VALU_DEP_1)
	v_add3_u32 v3, v6, v3, 0x80fffff
                                        ; implicit-def: $vgpr6
	v_lshrrev_b32_e32 v3, 21, v3
; %bb.975:
	s_and_not1_saveexec_b32 s14, s14
; %bb.976:
	v_add_f32_e64 v3, 0x43000000, |v6|
; %bb.977:
	s_or_b32 exec_lo, exec_lo, s14
                                        ; implicit-def: $vgpr7
.LBB152_978:
	s_and_not1_saveexec_b32 s13, s13
; %bb.979:
	v_mov_b32_e32 v3, 0x7f
	v_cmp_lt_u32_e32 vcc_lo, 0x7f800000, v7
	s_delay_alu instid0(VALU_DEP_2)
	v_cndmask_b32_e32 v3, 0x7c, v3, vcc_lo
; %bb.980:
	s_or_b32 exec_lo, exec_lo, s13
	v_lshrrev_b32_e32 v2, 8, v2
	s_delay_alu instid0(VALU_DEP_1)
	v_and_or_b32 v2, 0x80, v2, v3
	global_store_b8 v[0:1], v2, off
.LBB152_981:
	s_mov_b32 s13, 0
.LBB152_982:
	s_delay_alu instid0(SALU_CYCLE_1)
	s_and_not1_b32 vcc_lo, exec_lo, s13
	s_mov_b32 s13, 0
	s_cbranch_vccnz .LBB152_990
; %bb.983:
	v_cmp_lt_i16_e32 vcc_lo, 14, v5
	s_mov_b32 s13, -1
	s_cbranch_vccz .LBB152_987
; %bb.984:
	v_cmp_eq_u16_e32 vcc_lo, 15, v5
	s_mov_b32 s0, -1
	s_cbranch_vccz .LBB152_986
; %bb.985:
	s_mov_b32 s0, 0
	global_store_b16 v[0:1], v4, off
.LBB152_986:
	s_mov_b32 s13, 0
.LBB152_987:
	s_delay_alu instid0(SALU_CYCLE_1)
	s_and_b32 vcc_lo, exec_lo, s13
	s_mov_b32 s13, 0
	s_cbranch_vccz .LBB152_990
; %bb.988:
	v_cmp_ne_u16_e32 vcc_lo, 11, v5
	s_and_not1_b32 s0, s0, exec_lo
	s_mov_b32 s13, -1
	s_and_b32 s14, vcc_lo, exec_lo
	s_delay_alu instid0(SALU_CYCLE_1)
	s_or_b32 s0, s0, s14
	s_branch .LBB152_990
.LBB152_989:
	s_mov_b32 s13, 0
.LBB152_990:
	s_and_not1_b32 s9, s9, exec_lo
	s_and_b32 s0, s0, exec_lo
	s_and_b32 s12, s12, exec_lo
	;; [unrolled: 1-line block ×3, first 2 shown]
	s_or_b32 s9, s9, s0
.LBB152_991:
	s_or_b32 exec_lo, exec_lo, s11
	s_and_saveexec_b32 s0, s9
	s_cbranch_execnz .LBB152_1053
; %bb.992:
	s_or_b32 exec_lo, exec_lo, s0
	s_and_saveexec_b32 s0, s13
	s_delay_alu instid0(SALU_CYCLE_1)
	s_xor_b32 s0, exec_lo, s0
	s_cbranch_execz .LBB152_994
.LBB152_993:
	v_and_b32_e32 v2, 0x7fff, v4
	s_delay_alu instid0(VALU_DEP_1)
	v_cmp_ne_u16_e32 vcc_lo, 0, v2
	v_cndmask_b32_e64 v2, 0, 1, vcc_lo
	global_store_b8 v[0:1], v2, off
.LBB152_994:
	s_or_b32 exec_lo, exec_lo, s0
	s_and_saveexec_b32 s0, s12
	s_delay_alu instid0(SALU_CYCLE_1)
	s_xor_b32 s0, exec_lo, s0
	s_cbranch_execz .LBB152_1032
; %bb.995:
	s_waitcnt vmcnt(0)
	v_cmp_gt_i16_e32 vcc_lo, 5, v5
	s_mov_b32 s9, -1
	s_cbranch_vccnz .LBB152_1016
; %bb.996:
	v_cmp_gt_i16_e32 vcc_lo, 8, v5
	s_cbranch_vccnz .LBB152_1006
; %bb.997:
	v_cmp_gt_i16_e32 vcc_lo, 9, v5
	s_cbranch_vccnz .LBB152_1003
; %bb.998:
	v_cmp_lt_i16_e32 vcc_lo, 9, v5
	s_cbranch_vccz .LBB152_1000
; %bb.999:
	v_mov_b32_e32 v8, 0
	v_lshlrev_b32_e32 v2, 16, v4
	s_mov_b32 s9, 0
	s_delay_alu instid0(VALU_DEP_2) | instskip(NEXT) | instid1(VALU_DEP_2)
	v_mov_b32_e32 v9, v8
	v_cvt_f64_f32_e32 v[6:7], v2
	global_store_b128 v[0:1], v[6:9], off
.LBB152_1000:
	s_and_not1_b32 vcc_lo, exec_lo, s9
	s_cbranch_vccnz .LBB152_1002
; %bb.1001:
	v_dual_mov_b32 v3, 0 :: v_dual_lshlrev_b32 v2, 16, v4
	global_store_b64 v[0:1], v[2:3], off
.LBB152_1002:
	s_mov_b32 s9, 0
.LBB152_1003:
	s_delay_alu instid0(SALU_CYCLE_1)
	s_and_not1_b32 vcc_lo, exec_lo, s9
	s_cbranch_vccnz .LBB152_1005
; %bb.1004:
	v_lshlrev_b32_e32 v2, 16, v4
	s_delay_alu instid0(VALU_DEP_1) | instskip(NEXT) | instid1(VALU_DEP_1)
	v_cvt_f16_f32_e32 v2, v2
	v_and_b32_e32 v2, 0xffff, v2
	global_store_b32 v[0:1], v2, off
.LBB152_1005:
	s_mov_b32 s9, 0
.LBB152_1006:
	s_delay_alu instid0(SALU_CYCLE_1)
	s_and_not1_b32 vcc_lo, exec_lo, s9
	s_cbranch_vccnz .LBB152_1015
; %bb.1007:
	v_cmp_gt_i16_e32 vcc_lo, 6, v5
	s_mov_b32 s9, -1
	s_cbranch_vccnz .LBB152_1013
; %bb.1008:
	v_cmp_lt_i16_e32 vcc_lo, 6, v5
	s_cbranch_vccz .LBB152_1010
; %bb.1009:
	v_lshlrev_b32_e32 v2, 16, v4
	s_mov_b32 s9, 0
	s_delay_alu instid0(VALU_DEP_1)
	v_cvt_f64_f32_e32 v[2:3], v2
	global_store_b64 v[0:1], v[2:3], off
.LBB152_1010:
	s_and_not1_b32 vcc_lo, exec_lo, s9
	s_cbranch_vccnz .LBB152_1012
; %bb.1011:
	v_lshlrev_b32_e32 v2, 16, v4
	global_store_b32 v[0:1], v2, off
.LBB152_1012:
	s_mov_b32 s9, 0
.LBB152_1013:
	s_delay_alu instid0(SALU_CYCLE_1)
	s_and_not1_b32 vcc_lo, exec_lo, s9
	s_cbranch_vccnz .LBB152_1015
; %bb.1014:
	v_lshlrev_b32_e32 v2, 16, v4
	s_delay_alu instid0(VALU_DEP_1)
	v_cvt_f16_f32_e32 v2, v2
	global_store_b16 v[0:1], v2, off
.LBB152_1015:
	s_mov_b32 s9, 0
.LBB152_1016:
	s_delay_alu instid0(SALU_CYCLE_1)
	s_and_not1_b32 vcc_lo, exec_lo, s9
	s_cbranch_vccnz .LBB152_1032
; %bb.1017:
	v_cmp_gt_i16_e32 vcc_lo, 2, v5
	s_mov_b32 s9, -1
	s_cbranch_vccnz .LBB152_1027
; %bb.1018:
	v_cmp_gt_i16_e32 vcc_lo, 3, v5
	s_cbranch_vccnz .LBB152_1024
; %bb.1019:
	v_cmp_lt_i16_e32 vcc_lo, 3, v5
	s_cbranch_vccz .LBB152_1021
; %bb.1020:
	v_lshlrev_b32_e32 v2, 16, v4
	s_mov_b32 s9, 0
	s_delay_alu instid0(VALU_DEP_1) | instskip(NEXT) | instid1(VALU_DEP_1)
	v_trunc_f32_e32 v2, v2
	v_mul_f32_e64 v3, 0x2f800000, |v2|
	v_ashrrev_i32_e32 v7, 31, v2
	s_delay_alu instid0(VALU_DEP_2) | instskip(NEXT) | instid1(VALU_DEP_1)
	v_floor_f32_e32 v3, v3
	v_fma_f32 v6, 0xcf800000, v3, |v2|
	v_cvt_u32_f32_e32 v3, v3
	s_delay_alu instid0(VALU_DEP_2) | instskip(NEXT) | instid1(VALU_DEP_2)
	v_cvt_u32_f32_e32 v2, v6
	v_xor_b32_e32 v3, v3, v7
	s_delay_alu instid0(VALU_DEP_2) | instskip(NEXT) | instid1(VALU_DEP_1)
	v_xor_b32_e32 v2, v2, v7
	v_sub_co_u32 v2, vcc_lo, v2, v7
	s_delay_alu instid0(VALU_DEP_3)
	v_sub_co_ci_u32_e32 v3, vcc_lo, v3, v7, vcc_lo
	global_store_b64 v[0:1], v[2:3], off
.LBB152_1021:
	s_and_not1_b32 vcc_lo, exec_lo, s9
	s_cbranch_vccnz .LBB152_1023
; %bb.1022:
	v_lshlrev_b32_e32 v2, 16, v4
	s_delay_alu instid0(VALU_DEP_1)
	v_cvt_i32_f32_e32 v2, v2
	global_store_b32 v[0:1], v2, off
.LBB152_1023:
	s_mov_b32 s9, 0
.LBB152_1024:
	s_delay_alu instid0(SALU_CYCLE_1)
	s_and_not1_b32 vcc_lo, exec_lo, s9
	s_cbranch_vccnz .LBB152_1026
; %bb.1025:
	v_lshlrev_b32_e32 v2, 16, v4
	s_delay_alu instid0(VALU_DEP_1)
	v_cvt_i32_f32_e32 v2, v2
	global_store_b16 v[0:1], v2, off
.LBB152_1026:
	s_mov_b32 s9, 0
.LBB152_1027:
	s_delay_alu instid0(SALU_CYCLE_1)
	s_and_not1_b32 vcc_lo, exec_lo, s9
	s_cbranch_vccnz .LBB152_1032
; %bb.1028:
	v_cmp_lt_i16_e32 vcc_lo, 0, v5
	s_mov_b32 s9, -1
	s_cbranch_vccz .LBB152_1030
; %bb.1029:
	v_lshlrev_b32_e32 v2, 16, v4
	s_mov_b32 s9, 0
	s_delay_alu instid0(VALU_DEP_1)
	v_cvt_i32_f32_e32 v2, v2
	global_store_b8 v[0:1], v2, off
.LBB152_1030:
	s_and_not1_b32 vcc_lo, exec_lo, s9
	s_cbranch_vccnz .LBB152_1032
; %bb.1031:
	v_lshlrev_b32_e32 v2, 16, v4
	s_delay_alu instid0(VALU_DEP_1) | instskip(NEXT) | instid1(VALU_DEP_1)
	v_trunc_f32_e32 v2, v2
	v_mul_f32_e64 v3, 0x2f800000, |v2|
	s_delay_alu instid0(VALU_DEP_1) | instskip(NEXT) | instid1(VALU_DEP_1)
	v_floor_f32_e32 v3, v3
	v_fma_f32 v3, 0xcf800000, v3, |v2|
	v_ashrrev_i32_e32 v2, 31, v2
	s_delay_alu instid0(VALU_DEP_2) | instskip(NEXT) | instid1(VALU_DEP_1)
	v_cvt_u32_f32_e32 v3, v3
	v_xor_b32_e32 v3, v3, v2
	s_delay_alu instid0(VALU_DEP_1)
	v_sub_nc_u32_e32 v2, v3, v2
	global_store_b8 v[0:1], v2, off
.LBB152_1032:
	s_or_b32 exec_lo, exec_lo, s0
	s_delay_alu instid0(SALU_CYCLE_1)
	s_and_b32 s9, s10, exec_lo
                                        ; implicit-def: $vgpr3
                                        ; implicit-def: $vgpr4
                                        ; implicit-def: $vgpr2
.LBB152_1033:
	s_or_saveexec_b32 s8, s8
	s_mov_b32 s0, 0
                                        ; implicit-def: $vgpr5
                                        ; implicit-def: $vgpr0_vgpr1
                                        ; implicit-def: $vgpr6
	s_xor_b32 exec_lo, exec_lo, s8
	s_cbranch_execz .LBB152_1998
; %bb.1034:
	s_waitcnt vmcnt(0)
	v_mul_lo_u32 v6, s3, v3
	v_cmp_gt_i16_e32 vcc_lo, 11, v4
	s_delay_alu instid0(VALU_DEP_2) | instskip(SKIP_1) | instid1(VALU_DEP_1)
	v_ashrrev_i32_e32 v1, 31, v6
	v_add_co_u32 v0, s0, s6, v6
	v_add_co_ci_u32_e64 v1, s0, s7, v1, s0
	s_cbranch_vccnz .LBB152_1041
; %bb.1035:
	v_cmp_lt_i16_e32 vcc_lo, 25, v4
	s_mov_b32 s10, 0
	s_cbranch_vccz .LBB152_1047
; %bb.1036:
	v_cmp_lt_i16_e32 vcc_lo, 28, v4
	s_cbranch_vccz .LBB152_1049
; %bb.1037:
	v_cmp_lt_i16_e32 vcc_lo, 43, v4
	;; [unrolled: 3-line block ×3, first 2 shown]
	s_cbranch_vccz .LBB152_1055
; %bb.1039:
	v_cmp_eq_u16_e32 vcc_lo, 46, v4
	s_cbranch_vccz .LBB152_1095
; %bb.1040:
	global_load_b32 v5, v[0:1], off
	s_mov_b32 s0, 0
	s_mov_b32 s11, -1
	s_branch .LBB152_1097
.LBB152_1041:
	s_mov_b32 s11, 0
	s_mov_b32 s1, s9
                                        ; implicit-def: $vgpr5
	s_cbranch_execz .LBB152_1160
; %bb.1042:
	v_cmp_gt_i16_e32 vcc_lo, 5, v4
	s_cbranch_vccnz .LBB152_1048
; %bb.1043:
	v_cmp_gt_i16_e32 vcc_lo, 8, v4
	s_cbranch_vccnz .LBB152_1050
	;; [unrolled: 3-line block ×3, first 2 shown]
; %bb.1045:
	v_cmp_lt_i16_e32 vcc_lo, 9, v4
	s_cbranch_vccz .LBB152_1056
; %bb.1046:
	global_load_b64 v[7:8], v[0:1], off
	s_mov_b32 s0, 0
	s_waitcnt vmcnt(0)
	v_cvt_f32_f64_e32 v5, v[7:8]
	s_delay_alu instid0(VALU_DEP_1) | instskip(SKIP_1) | instid1(VALU_DEP_2)
	v_bfe_u32 v7, v5, 16, 1
	v_cmp_o_f32_e32 vcc_lo, v5, v5
	v_add3_u32 v7, v5, v7, 0x7fff
	s_delay_alu instid0(VALU_DEP_1) | instskip(NEXT) | instid1(VALU_DEP_1)
	v_lshrrev_b32_e32 v7, 16, v7
	v_cndmask_b32_e32 v5, 0x7fc0, v7, vcc_lo
	s_branch .LBB152_1057
.LBB152_1047:
	s_mov_b32 s11, 0
	s_mov_b32 s0, 0
                                        ; implicit-def: $vgpr5
	s_cbranch_execnz .LBB152_1125
	s_branch .LBB152_1156
.LBB152_1048:
                                        ; implicit-def: $vgpr5
	s_branch .LBB152_1074
.LBB152_1049:
	s_mov_b32 s1, -1
	s_mov_b32 s11, 0
	s_mov_b32 s0, 0
                                        ; implicit-def: $vgpr5
	s_branch .LBB152_1106
.LBB152_1050:
                                        ; implicit-def: $vgpr5
	s_branch .LBB152_1063
.LBB152_1051:
	s_mov_b32 s11, 0
	s_mov_b32 s0, 0
                                        ; implicit-def: $vgpr5
	s_cbranch_execnz .LBB152_1102
	s_branch .LBB152_1105
.LBB152_1052:
	s_mov_b32 s0, -1
                                        ; implicit-def: $vgpr5
	s_branch .LBB152_1060
.LBB152_1053:
	s_cbranch_execnz .LBB152_1093
; %bb.1054:
	s_or_b32 s10, s10, exec_lo
	s_and_not1_b32 s13, s13, exec_lo
	s_or_b32 exec_lo, exec_lo, s0
	s_and_saveexec_b32 s0, s13
	s_delay_alu instid0(SALU_CYCLE_1)
	s_xor_b32 s0, exec_lo, s0
	s_cbranch_execnz .LBB152_993
	s_branch .LBB152_994
.LBB152_1055:
	s_mov_b32 s1, -1
	s_mov_b32 s11, 0
	s_mov_b32 s0, 0
	s_branch .LBB152_1096
.LBB152_1056:
	s_mov_b32 s0, -1
                                        ; implicit-def: $vgpr5
.LBB152_1057:
	s_delay_alu instid0(SALU_CYCLE_1)
	s_and_not1_b32 vcc_lo, exec_lo, s0
	s_cbranch_vccnz .LBB152_1059
; %bb.1058:
	global_load_b32 v5, v[0:1], off
	s_waitcnt vmcnt(0)
	v_bfe_u32 v7, v5, 16, 1
	v_cmp_o_f32_e32 vcc_lo, v5, v5
	s_delay_alu instid0(VALU_DEP_2) | instskip(NEXT) | instid1(VALU_DEP_1)
	v_add3_u32 v7, v5, v7, 0x7fff
	v_lshrrev_b32_e32 v7, 16, v7
	s_delay_alu instid0(VALU_DEP_1)
	v_cndmask_b32_e32 v5, 0x7fc0, v7, vcc_lo
.LBB152_1059:
	s_mov_b32 s0, 0
.LBB152_1060:
	s_delay_alu instid0(SALU_CYCLE_1)
	s_and_not1_b32 vcc_lo, exec_lo, s0
	s_cbranch_vccnz .LBB152_1062
; %bb.1061:
	global_load_b32 v5, v[0:1], off
	s_waitcnt vmcnt(0)
	v_cvt_f32_f16_e32 v7, v5
	v_cmp_o_f16_e32 vcc_lo, v5, v5
	s_delay_alu instid0(VALU_DEP_2) | instskip(NEXT) | instid1(VALU_DEP_1)
	v_bfe_u32 v8, v7, 16, 1
	v_add3_u32 v7, v7, v8, 0x7fff
	s_delay_alu instid0(VALU_DEP_1) | instskip(NEXT) | instid1(VALU_DEP_1)
	v_lshrrev_b32_e32 v7, 16, v7
	v_cndmask_b32_e32 v5, 0x7fc0, v7, vcc_lo
.LBB152_1062:
	s_cbranch_execnz .LBB152_1073
.LBB152_1063:
	v_cmp_gt_i16_e32 vcc_lo, 6, v4
	s_cbranch_vccnz .LBB152_1066
; %bb.1064:
	v_cmp_lt_i16_e32 vcc_lo, 6, v4
	s_cbranch_vccz .LBB152_1067
; %bb.1065:
	global_load_b64 v[7:8], v[0:1], off
	s_mov_b32 s0, 0
	s_waitcnt vmcnt(0)
	v_cvt_f32_f64_e32 v5, v[7:8]
	s_delay_alu instid0(VALU_DEP_1) | instskip(SKIP_1) | instid1(VALU_DEP_2)
	v_bfe_u32 v7, v5, 16, 1
	v_cmp_o_f32_e32 vcc_lo, v5, v5
	v_add3_u32 v7, v5, v7, 0x7fff
	s_delay_alu instid0(VALU_DEP_1) | instskip(NEXT) | instid1(VALU_DEP_1)
	v_lshrrev_b32_e32 v7, 16, v7
	v_cndmask_b32_e32 v5, 0x7fc0, v7, vcc_lo
	s_branch .LBB152_1068
.LBB152_1066:
	s_mov_b32 s0, -1
                                        ; implicit-def: $vgpr5
	s_branch .LBB152_1071
.LBB152_1067:
	s_mov_b32 s0, -1
                                        ; implicit-def: $vgpr5
.LBB152_1068:
	s_delay_alu instid0(SALU_CYCLE_1)
	s_and_not1_b32 vcc_lo, exec_lo, s0
	s_cbranch_vccnz .LBB152_1070
; %bb.1069:
	global_load_b32 v5, v[0:1], off
	s_waitcnt vmcnt(0)
	v_bfe_u32 v7, v5, 16, 1
	v_cmp_o_f32_e32 vcc_lo, v5, v5
	s_delay_alu instid0(VALU_DEP_2) | instskip(NEXT) | instid1(VALU_DEP_1)
	v_add3_u32 v7, v5, v7, 0x7fff
	v_lshrrev_b32_e32 v7, 16, v7
	s_delay_alu instid0(VALU_DEP_1)
	v_cndmask_b32_e32 v5, 0x7fc0, v7, vcc_lo
.LBB152_1070:
	s_mov_b32 s0, 0
.LBB152_1071:
	s_delay_alu instid0(SALU_CYCLE_1)
	s_and_not1_b32 vcc_lo, exec_lo, s0
	s_cbranch_vccnz .LBB152_1073
; %bb.1072:
	global_load_u16 v5, v[0:1], off
	s_waitcnt vmcnt(0)
	v_cvt_f32_f16_e32 v7, v5
	v_cmp_o_f16_e32 vcc_lo, v5, v5
	s_delay_alu instid0(VALU_DEP_2) | instskip(NEXT) | instid1(VALU_DEP_1)
	v_bfe_u32 v8, v7, 16, 1
	v_add3_u32 v7, v7, v8, 0x7fff
	s_delay_alu instid0(VALU_DEP_1) | instskip(NEXT) | instid1(VALU_DEP_1)
	v_lshrrev_b32_e32 v7, 16, v7
	v_cndmask_b32_e32 v5, 0x7fc0, v7, vcc_lo
.LBB152_1073:
	s_cbranch_execnz .LBB152_1092
.LBB152_1074:
	v_cmp_gt_i16_e32 vcc_lo, 2, v4
	s_cbranch_vccnz .LBB152_1078
; %bb.1075:
	v_cmp_gt_i16_e32 vcc_lo, 3, v4
	s_cbranch_vccnz .LBB152_1079
; %bb.1076:
	v_cmp_lt_i16_e32 vcc_lo, 3, v4
	s_cbranch_vccz .LBB152_1080
; %bb.1077:
	global_load_b64 v[7:8], v[0:1], off
	s_mov_b32 s0, 0
	s_waitcnt vmcnt(0)
	v_xor_b32_e32 v5, v7, v8
	v_cls_i32_e32 v9, v8
	s_delay_alu instid0(VALU_DEP_2) | instskip(NEXT) | instid1(VALU_DEP_2)
	v_ashrrev_i32_e32 v5, 31, v5
	v_add_nc_u32_e32 v9, -1, v9
	s_delay_alu instid0(VALU_DEP_2) | instskip(NEXT) | instid1(VALU_DEP_1)
	v_add_nc_u32_e32 v5, 32, v5
	v_min_u32_e32 v5, v9, v5
	s_delay_alu instid0(VALU_DEP_1) | instskip(SKIP_1) | instid1(VALU_DEP_2)
	v_lshlrev_b64 v[7:8], v5, v[7:8]
	v_sub_nc_u32_e32 v5, 32, v5
	v_min_u32_e32 v7, 1, v7
	s_delay_alu instid0(VALU_DEP_1) | instskip(NEXT) | instid1(VALU_DEP_1)
	v_or_b32_e32 v7, v8, v7
	v_cvt_f32_i32_e32 v7, v7
	s_delay_alu instid0(VALU_DEP_1) | instskip(NEXT) | instid1(VALU_DEP_1)
	v_ldexp_f32 v5, v7, v5
	v_bfe_u32 v7, v5, 16, 1
	s_delay_alu instid0(VALU_DEP_1) | instskip(NEXT) | instid1(VALU_DEP_1)
	v_add3_u32 v5, v5, v7, 0x7fff
	v_lshrrev_b32_e32 v5, 16, v5
	s_branch .LBB152_1081
.LBB152_1078:
                                        ; implicit-def: $vgpr5
	s_branch .LBB152_1087
.LBB152_1079:
	s_mov_b32 s0, -1
                                        ; implicit-def: $vgpr5
	s_branch .LBB152_1084
.LBB152_1080:
	s_mov_b32 s0, -1
                                        ; implicit-def: $vgpr5
.LBB152_1081:
	s_delay_alu instid0(SALU_CYCLE_1)
	s_and_not1_b32 vcc_lo, exec_lo, s0
	s_cbranch_vccnz .LBB152_1083
; %bb.1082:
	global_load_b32 v5, v[0:1], off
	s_waitcnt vmcnt(0)
	v_cvt_f32_i32_e32 v5, v5
	s_delay_alu instid0(VALU_DEP_1) | instskip(NEXT) | instid1(VALU_DEP_1)
	v_bfe_u32 v7, v5, 16, 1
	v_add3_u32 v5, v5, v7, 0x7fff
	s_delay_alu instid0(VALU_DEP_1)
	v_lshrrev_b32_e32 v5, 16, v5
.LBB152_1083:
	s_mov_b32 s0, 0
.LBB152_1084:
	s_delay_alu instid0(SALU_CYCLE_1)
	s_and_not1_b32 vcc_lo, exec_lo, s0
	s_cbranch_vccnz .LBB152_1086
; %bb.1085:
	global_load_i16 v5, v[0:1], off
	s_waitcnt vmcnt(0)
	v_cvt_f32_i32_e32 v5, v5
	s_delay_alu instid0(VALU_DEP_1) | instskip(NEXT) | instid1(VALU_DEP_1)
	v_bfe_u32 v7, v5, 16, 1
	v_add3_u32 v5, v5, v7, 0x7fff
	s_delay_alu instid0(VALU_DEP_1)
	v_lshrrev_b32_e32 v5, 16, v5
.LBB152_1086:
	s_cbranch_execnz .LBB152_1092
.LBB152_1087:
	v_cmp_lt_i16_e32 vcc_lo, 0, v4
	s_mov_b32 s0, 0
	s_cbranch_vccz .LBB152_1089
; %bb.1088:
	global_load_i8 v5, v[0:1], off
	s_waitcnt vmcnt(0)
	v_cvt_f32_i32_e32 v5, v5
	s_delay_alu instid0(VALU_DEP_1) | instskip(NEXT) | instid1(VALU_DEP_1)
	v_bfe_u32 v7, v5, 16, 1
	v_add3_u32 v5, v5, v7, 0x7fff
	s_delay_alu instid0(VALU_DEP_1)
	v_lshrrev_b32_e32 v5, 16, v5
	s_branch .LBB152_1090
.LBB152_1089:
	s_mov_b32 s0, -1
                                        ; implicit-def: $vgpr5
.LBB152_1090:
	s_delay_alu instid0(SALU_CYCLE_1)
	s_and_not1_b32 vcc_lo, exec_lo, s0
	s_cbranch_vccnz .LBB152_1092
; %bb.1091:
	global_load_u8 v0, v[0:1], off
	s_waitcnt vmcnt(0)
	v_cvt_f32_ubyte0_e32 v0, v0
	s_delay_alu instid0(VALU_DEP_1) | instskip(NEXT) | instid1(VALU_DEP_1)
	v_bfe_u32 v1, v0, 16, 1
	v_add3_u32 v0, v0, v1, 0x7fff
	s_delay_alu instid0(VALU_DEP_1)
	v_lshrrev_b32_e32 v5, 16, v0
.LBB152_1092:
	s_branch .LBB152_1161
.LBB152_1093:
	s_trap 2
	s_sendmsg_rtn_b32 s0, sendmsg(MSG_RTN_GET_DOORBELL)
	s_mov_b32 ttmp2, m0
	s_waitcnt lgkmcnt(0)
	s_and_b32 s0, s0, 0x3ff
	s_delay_alu instid0(SALU_CYCLE_1) | instskip(NEXT) | instid1(SALU_CYCLE_1)
	s_bitset1_b32 s0, 10
	s_mov_b32 m0, s0
	s_sendmsg sendmsg(MSG_INTERRUPT)
	s_mov_b32 m0, ttmp2
.LBB152_1094:                           ; =>This Inner Loop Header: Depth=1
	s_sethalt 5
	s_branch .LBB152_1094
.LBB152_1095:
	s_mov_b32 s0, -1
	s_mov_b32 s11, 0
.LBB152_1096:
                                        ; implicit-def: $vgpr5
.LBB152_1097:
	s_and_b32 vcc_lo, exec_lo, s1
	s_cbranch_vccz .LBB152_1100
; %bb.1098:
	v_cmp_eq_u16_e32 vcc_lo, 44, v4
	s_cbranch_vccz .LBB152_1101
; %bb.1099:
	global_load_u8 v5, v[0:1], off
	s_mov_b32 s0, 0
	s_mov_b32 s11, -1
	s_waitcnt vmcnt(0)
	v_lshlrev_b32_e32 v7, 23, v5
	v_cmp_ne_u32_e32 vcc_lo, 0xff, v5
	s_delay_alu instid0(VALU_DEP_2) | instskip(SKIP_1) | instid1(VALU_DEP_2)
	v_cndmask_b32_e32 v7, 0x7f800001, v7, vcc_lo
	v_cmp_ne_u32_e32 vcc_lo, 0, v5
	v_cndmask_b32_e32 v5, 0x400000, v7, vcc_lo
	s_delay_alu instid0(VALU_DEP_1) | instskip(SKIP_1) | instid1(VALU_DEP_2)
	v_add_nc_u32_e32 v7, 0x7fff, v5
	v_cmp_o_f32_e32 vcc_lo, v5, v5
	v_lshrrev_b32_e32 v7, 16, v7
	s_delay_alu instid0(VALU_DEP_1)
	v_cndmask_b32_e32 v5, 0x7fc0, v7, vcc_lo
.LBB152_1100:
	s_branch .LBB152_1105
.LBB152_1101:
	s_mov_b32 s0, -1
                                        ; implicit-def: $vgpr5
	s_branch .LBB152_1105
.LBB152_1102:
	v_cmp_eq_u16_e32 vcc_lo, 29, v4
	s_cbranch_vccz .LBB152_1104
; %bb.1103:
	global_load_b64 v[7:8], v[0:1], off
	s_mov_b32 s0, 0
	s_mov_b32 s11, -1
	s_mov_b32 s1, 0
	s_waitcnt vmcnt(0)
	v_clz_i32_u32_e32 v5, v8
	s_delay_alu instid0(VALU_DEP_1) | instskip(NEXT) | instid1(VALU_DEP_1)
	v_min_u32_e32 v5, 32, v5
	v_lshlrev_b64 v[7:8], v5, v[7:8]
	v_sub_nc_u32_e32 v5, 32, v5
	s_delay_alu instid0(VALU_DEP_2) | instskip(NEXT) | instid1(VALU_DEP_1)
	v_min_u32_e32 v7, 1, v7
	v_or_b32_e32 v7, v8, v7
	s_delay_alu instid0(VALU_DEP_1) | instskip(NEXT) | instid1(VALU_DEP_1)
	v_cvt_f32_u32_e32 v7, v7
	v_ldexp_f32 v5, v7, v5
	s_delay_alu instid0(VALU_DEP_1) | instskip(NEXT) | instid1(VALU_DEP_1)
	v_bfe_u32 v7, v5, 16, 1
	v_add3_u32 v5, v5, v7, 0x7fff
	s_delay_alu instid0(VALU_DEP_1)
	v_lshrrev_b32_e32 v5, 16, v5
	s_branch .LBB152_1106
.LBB152_1104:
	s_mov_b32 s0, -1
                                        ; implicit-def: $vgpr5
.LBB152_1105:
	s_mov_b32 s1, 0
.LBB152_1106:
	s_delay_alu instid0(SALU_CYCLE_1)
	s_and_b32 vcc_lo, exec_lo, s1
	s_cbranch_vccz .LBB152_1124
; %bb.1107:
	v_cmp_gt_i16_e32 vcc_lo, 27, v4
	s_cbranch_vccnz .LBB152_1110
; %bb.1108:
	v_cmp_lt_i16_e32 vcc_lo, 27, v4
	s_cbranch_vccz .LBB152_1111
; %bb.1109:
	global_load_b32 v5, v[0:1], off
	s_mov_b32 s1, 0
	s_waitcnt vmcnt(0)
	v_cvt_f32_u32_e32 v5, v5
	s_delay_alu instid0(VALU_DEP_1) | instskip(NEXT) | instid1(VALU_DEP_1)
	v_bfe_u32 v7, v5, 16, 1
	v_add3_u32 v5, v5, v7, 0x7fff
	s_delay_alu instid0(VALU_DEP_1)
	v_lshrrev_b32_e32 v5, 16, v5
	s_branch .LBB152_1112
.LBB152_1110:
	s_mov_b32 s1, -1
                                        ; implicit-def: $vgpr5
	s_branch .LBB152_1115
.LBB152_1111:
	s_mov_b32 s1, -1
                                        ; implicit-def: $vgpr5
.LBB152_1112:
	s_delay_alu instid0(SALU_CYCLE_1)
	s_and_not1_b32 vcc_lo, exec_lo, s1
	s_cbranch_vccnz .LBB152_1114
; %bb.1113:
	global_load_u16 v5, v[0:1], off
	s_waitcnt vmcnt(0)
	v_cvt_f32_u32_e32 v5, v5
	s_delay_alu instid0(VALU_DEP_1) | instskip(NEXT) | instid1(VALU_DEP_1)
	v_bfe_u32 v7, v5, 16, 1
	v_add3_u32 v5, v5, v7, 0x7fff
	s_delay_alu instid0(VALU_DEP_1)
	v_lshrrev_b32_e32 v5, 16, v5
.LBB152_1114:
	s_mov_b32 s1, 0
.LBB152_1115:
	s_delay_alu instid0(SALU_CYCLE_1)
	s_and_not1_b32 vcc_lo, exec_lo, s1
	s_cbranch_vccnz .LBB152_1123
; %bb.1116:
	global_load_u8 v5, v[0:1], off
	s_mov_b32 s1, 0
	s_mov_b32 s12, exec_lo
                                        ; implicit-def: $sgpr11
	s_waitcnt vmcnt(0)
	v_cmpx_lt_i16_e32 0x7f, v5
	s_xor_b32 s12, exec_lo, s12
	s_cbranch_execz .LBB152_1136
; %bb.1117:
	s_mov_b32 s1, -1
	s_mov_b32 s13, exec_lo
                                        ; implicit-def: $sgpr11
	v_cmpx_eq_u16_e32 0x80, v5
; %bb.1118:
	s_mov_b32 s11, 0x7f800001
	s_xor_b32 s1, exec_lo, -1
; %bb.1119:
	s_or_b32 exec_lo, exec_lo, s13
	s_delay_alu instid0(SALU_CYCLE_1)
	s_and_b32 s1, s1, exec_lo
	s_or_saveexec_b32 s12, s12
	v_mov_b32_e32 v7, s11
	s_xor_b32 exec_lo, exec_lo, s12
	s_cbranch_execnz .LBB152_1137
.LBB152_1120:
	s_or_b32 exec_lo, exec_lo, s12
	s_and_saveexec_b32 s11, s1
	s_cbranch_execz .LBB152_1122
.LBB152_1121:
	v_and_b32_e32 v7, 0xffff, v5
	v_lshlrev_b32_e32 v5, 24, v5
	s_delay_alu instid0(VALU_DEP_2) | instskip(NEXT) | instid1(VALU_DEP_2)
	v_and_b32_e32 v8, 7, v7
	v_and_b32_e32 v5, 0x80000000, v5
	s_delay_alu instid0(VALU_DEP_2) | instskip(NEXT) | instid1(VALU_DEP_1)
	v_clz_i32_u32_e32 v9, v8
	v_min_u32_e32 v9, 32, v9
	s_delay_alu instid0(VALU_DEP_1) | instskip(SKIP_1) | instid1(VALU_DEP_2)
	v_subrev_nc_u32_e32 v10, 28, v9
	v_sub_nc_u32_e32 v9, 29, v9
	v_lshlrev_b32_e32 v10, v10, v7
	v_bfe_u32 v7, v7, 3, 4
	s_delay_alu instid0(VALU_DEP_2) | instskip(NEXT) | instid1(VALU_DEP_2)
	v_and_b32_e32 v10, 7, v10
	v_cmp_eq_u32_e32 vcc_lo, 0, v7
	s_delay_alu instid0(VALU_DEP_2) | instskip(NEXT) | instid1(VALU_DEP_1)
	v_dual_cndmask_b32 v7, v7, v9 :: v_dual_cndmask_b32 v8, v8, v10
	v_lshl_add_u32 v7, v7, 23, 0x3b800000
	s_delay_alu instid0(VALU_DEP_2) | instskip(NEXT) | instid1(VALU_DEP_1)
	v_lshlrev_b32_e32 v8, 20, v8
	v_or3_b32 v7, v5, v7, v8
.LBB152_1122:
	s_or_b32 exec_lo, exec_lo, s11
	s_delay_alu instid0(VALU_DEP_1) | instskip(SKIP_1) | instid1(VALU_DEP_2)
	v_bfe_u32 v5, v7, 16, 1
	v_cmp_o_f32_e32 vcc_lo, v7, v7
	v_add3_u32 v5, v7, v5, 0x7fff
	s_delay_alu instid0(VALU_DEP_1) | instskip(NEXT) | instid1(VALU_DEP_1)
	v_lshrrev_b32_e32 v5, 16, v5
	v_cndmask_b32_e32 v5, 0x7fc0, v5, vcc_lo
.LBB152_1123:
	s_mov_b32 s11, -1
.LBB152_1124:
	s_branch .LBB152_1156
.LBB152_1125:
	v_cmp_lt_i16_e32 vcc_lo, 22, v4
	s_cbranch_vccz .LBB152_1135
; %bb.1126:
	v_cmp_gt_i16_e32 vcc_lo, 24, v4
	s_cbranch_vccnz .LBB152_1138
; %bb.1127:
	v_cmp_lt_i16_e32 vcc_lo, 24, v4
	s_cbranch_vccz .LBB152_1139
; %bb.1128:
	global_load_u8 v5, v[0:1], off
	s_mov_b32 s1, 0
	s_mov_b32 s11, exec_lo
                                        ; implicit-def: $sgpr10
	s_waitcnt vmcnt(0)
	v_cmpx_lt_i16_e32 0x7f, v5
	s_xor_b32 s11, exec_lo, s11
	s_cbranch_execz .LBB152_1150
; %bb.1129:
	s_mov_b32 s1, -1
	s_mov_b32 s12, exec_lo
                                        ; implicit-def: $sgpr10
	v_cmpx_eq_u16_e32 0x80, v5
; %bb.1130:
	s_mov_b32 s10, 0x7f800001
	s_xor_b32 s1, exec_lo, -1
; %bb.1131:
	s_or_b32 exec_lo, exec_lo, s12
	s_delay_alu instid0(SALU_CYCLE_1)
	s_and_b32 s1, s1, exec_lo
	s_or_saveexec_b32 s11, s11
	v_mov_b32_e32 v7, s10
	s_xor_b32 exec_lo, exec_lo, s11
	s_cbranch_execnz .LBB152_1151
.LBB152_1132:
	s_or_b32 exec_lo, exec_lo, s11
	s_and_saveexec_b32 s10, s1
	s_cbranch_execz .LBB152_1134
.LBB152_1133:
	v_and_b32_e32 v7, 0xffff, v5
	v_lshlrev_b32_e32 v5, 24, v5
	s_delay_alu instid0(VALU_DEP_2) | instskip(NEXT) | instid1(VALU_DEP_2)
	v_and_b32_e32 v8, 3, v7
	v_and_b32_e32 v5, 0x80000000, v5
	s_delay_alu instid0(VALU_DEP_2) | instskip(NEXT) | instid1(VALU_DEP_1)
	v_clz_i32_u32_e32 v9, v8
	v_min_u32_e32 v9, 32, v9
	s_delay_alu instid0(VALU_DEP_1) | instskip(SKIP_1) | instid1(VALU_DEP_2)
	v_subrev_nc_u32_e32 v10, 29, v9
	v_sub_nc_u32_e32 v9, 30, v9
	v_lshlrev_b32_e32 v10, v10, v7
	v_bfe_u32 v7, v7, 2, 5
	s_delay_alu instid0(VALU_DEP_2) | instskip(NEXT) | instid1(VALU_DEP_2)
	v_and_b32_e32 v10, 3, v10
	v_cmp_eq_u32_e32 vcc_lo, 0, v7
	s_delay_alu instid0(VALU_DEP_2) | instskip(NEXT) | instid1(VALU_DEP_1)
	v_dual_cndmask_b32 v7, v7, v9 :: v_dual_cndmask_b32 v8, v8, v10
	v_lshl_add_u32 v7, v7, 23, 0x37800000
	s_delay_alu instid0(VALU_DEP_2) | instskip(NEXT) | instid1(VALU_DEP_1)
	v_lshlrev_b32_e32 v8, 21, v8
	v_or3_b32 v7, v5, v7, v8
.LBB152_1134:
	s_or_b32 exec_lo, exec_lo, s10
	s_delay_alu instid0(VALU_DEP_1) | instskip(SKIP_2) | instid1(VALU_DEP_2)
	v_bfe_u32 v5, v7, 16, 1
	v_cmp_o_f32_e32 vcc_lo, v7, v7
	s_mov_b32 s1, 0
	v_add3_u32 v5, v7, v5, 0x7fff
	s_delay_alu instid0(VALU_DEP_1) | instskip(NEXT) | instid1(VALU_DEP_1)
	v_lshrrev_b32_e32 v5, 16, v5
	v_cndmask_b32_e32 v5, 0x7fc0, v5, vcc_lo
	s_branch .LBB152_1140
.LBB152_1135:
                                        ; implicit-def: $vgpr5
	s_mov_b32 s10, 0
	s_branch .LBB152_1146
.LBB152_1136:
	s_or_saveexec_b32 s12, s12
	v_mov_b32_e32 v7, s11
	s_xor_b32 exec_lo, exec_lo, s12
	s_cbranch_execz .LBB152_1120
.LBB152_1137:
	v_cmp_ne_u16_e32 vcc_lo, 0, v5
	v_mov_b32_e32 v7, 0
	s_and_not1_b32 s1, s1, exec_lo
	s_and_b32 s11, vcc_lo, exec_lo
	s_delay_alu instid0(SALU_CYCLE_1)
	s_or_b32 s1, s1, s11
	s_or_b32 exec_lo, exec_lo, s12
	s_and_saveexec_b32 s11, s1
	s_cbranch_execnz .LBB152_1121
	s_branch .LBB152_1122
.LBB152_1138:
	s_mov_b32 s1, -1
                                        ; implicit-def: $vgpr5
	s_branch .LBB152_1143
.LBB152_1139:
	s_mov_b32 s1, -1
                                        ; implicit-def: $vgpr5
.LBB152_1140:
	s_delay_alu instid0(SALU_CYCLE_1)
	s_and_b32 vcc_lo, exec_lo, s1
	s_cbranch_vccz .LBB152_1142
; %bb.1141:
	global_load_u8 v5, v[0:1], off
	s_waitcnt vmcnt(0)
	v_lshlrev_b32_e32 v5, 24, v5
	s_delay_alu instid0(VALU_DEP_1) | instskip(NEXT) | instid1(VALU_DEP_1)
	v_and_b32_e32 v7, 0x7f000000, v5
	v_clz_i32_u32_e32 v8, v7
	v_cmp_ne_u32_e32 vcc_lo, 0, v7
	v_add_nc_u32_e32 v10, 0x1000000, v7
	s_delay_alu instid0(VALU_DEP_3) | instskip(NEXT) | instid1(VALU_DEP_1)
	v_min_u32_e32 v8, 32, v8
	v_sub_nc_u32_e64 v8, v8, 4 clamp
	s_delay_alu instid0(VALU_DEP_1) | instskip(SKIP_1) | instid1(VALU_DEP_2)
	v_lshlrev_b32_e32 v9, v8, v7
	v_lshlrev_b32_e32 v8, 23, v8
	v_lshrrev_b32_e32 v9, 4, v9
	s_delay_alu instid0(VALU_DEP_1) | instskip(SKIP_1) | instid1(VALU_DEP_2)
	v_sub_nc_u32_e32 v8, v9, v8
	v_ashrrev_i32_e32 v9, 8, v10
	v_add_nc_u32_e32 v8, 0x3c000000, v8
	s_delay_alu instid0(VALU_DEP_1) | instskip(NEXT) | instid1(VALU_DEP_1)
	v_and_or_b32 v8, 0x7f800000, v9, v8
	v_cndmask_b32_e32 v7, 0, v8, vcc_lo
	s_delay_alu instid0(VALU_DEP_1) | instskip(SKIP_1) | instid1(VALU_DEP_2)
	v_and_or_b32 v5, 0x80000000, v5, v7
	v_bfe_u32 v7, v7, 16, 1
	v_cmp_o_f32_e32 vcc_lo, v5, v5
	s_delay_alu instid0(VALU_DEP_2) | instskip(NEXT) | instid1(VALU_DEP_1)
	v_add3_u32 v7, v5, v7, 0x7fff
	v_lshrrev_b32_e32 v7, 16, v7
	s_delay_alu instid0(VALU_DEP_1)
	v_cndmask_b32_e32 v5, 0x7fc0, v7, vcc_lo
.LBB152_1142:
	s_mov_b32 s1, 0
.LBB152_1143:
	s_delay_alu instid0(SALU_CYCLE_1)
	s_and_not1_b32 vcc_lo, exec_lo, s1
	s_cbranch_vccnz .LBB152_1145
; %bb.1144:
	global_load_u8 v5, v[0:1], off
	s_waitcnt vmcnt(0)
	v_lshlrev_b32_e32 v7, 25, v5
	v_lshlrev_b16 v5, 8, v5
	s_delay_alu instid0(VALU_DEP_2) | instskip(NEXT) | instid1(VALU_DEP_2)
	v_lshrrev_b32_e32 v8, 4, v7
	v_and_or_b32 v9, 0x7f00, v5, 0.5
	v_bfe_i32 v5, v5, 0, 16
	s_delay_alu instid0(VALU_DEP_3) | instskip(NEXT) | instid1(VALU_DEP_1)
	v_or_b32_e32 v8, 0x70000000, v8
	v_dual_add_f32 v9, -0.5, v9 :: v_dual_mul_f32 v8, 0x7800000, v8
	v_cmp_gt_u32_e32 vcc_lo, 0x8000000, v7
	s_delay_alu instid0(VALU_DEP_2) | instskip(NEXT) | instid1(VALU_DEP_1)
	v_cndmask_b32_e32 v7, v8, v9, vcc_lo
	v_and_or_b32 v5, 0x80000000, v5, v7
	v_bfe_u32 v7, v7, 16, 1
	s_delay_alu instid0(VALU_DEP_2) | instskip(NEXT) | instid1(VALU_DEP_2)
	v_cmp_o_f32_e32 vcc_lo, v5, v5
	v_add3_u32 v7, v5, v7, 0x7fff
	s_delay_alu instid0(VALU_DEP_1) | instskip(NEXT) | instid1(VALU_DEP_1)
	v_lshrrev_b32_e32 v7, 16, v7
	v_cndmask_b32_e32 v5, 0x7fc0, v7, vcc_lo
.LBB152_1145:
	s_mov_b32 s11, -1
	s_mov_b32 s10, 0
	s_cbranch_execnz .LBB152_1156
.LBB152_1146:
	v_cmp_lt_i16_e32 vcc_lo, 14, v4
	s_cbranch_vccz .LBB152_1149
; %bb.1147:
	v_cmp_eq_u16_e32 vcc_lo, 15, v4
	s_cbranch_vccz .LBB152_1152
; %bb.1148:
	global_load_u16 v5, v[0:1], off
	s_mov_b32 s0, 0
	s_mov_b32 s11, -1
	s_branch .LBB152_1153
.LBB152_1149:
	s_mov_b32 s1, -1
                                        ; implicit-def: $vgpr5
	s_branch .LBB152_1154
.LBB152_1150:
	s_or_saveexec_b32 s11, s11
	v_mov_b32_e32 v7, s10
	s_xor_b32 exec_lo, exec_lo, s11
	s_cbranch_execz .LBB152_1132
.LBB152_1151:
	v_cmp_ne_u16_e32 vcc_lo, 0, v5
	v_mov_b32_e32 v7, 0
	s_and_not1_b32 s1, s1, exec_lo
	s_and_b32 s10, vcc_lo, exec_lo
	s_delay_alu instid0(SALU_CYCLE_1)
	s_or_b32 s1, s1, s10
	s_or_b32 exec_lo, exec_lo, s11
	s_and_saveexec_b32 s10, s1
	s_cbranch_execnz .LBB152_1133
	s_branch .LBB152_1134
.LBB152_1152:
	s_mov_b32 s0, -1
                                        ; implicit-def: $vgpr5
.LBB152_1153:
	s_mov_b32 s1, 0
.LBB152_1154:
	s_delay_alu instid0(SALU_CYCLE_1)
	s_and_b32 vcc_lo, exec_lo, s1
	s_cbranch_vccz .LBB152_1156
; %bb.1155:
	v_cmp_ne_u16_e64 s0, 11, v4
	s_mov_b32 s10, -1
                                        ; implicit-def: $vgpr5
.LBB152_1156:
	s_delay_alu instid0(VALU_DEP_1)
	s_and_b32 vcc_lo, exec_lo, s0
	s_mov_b32 s1, s9
	s_cbranch_vccnz .LBB152_1180
; %bb.1157:
	s_and_not1_b32 vcc_lo, exec_lo, s10
	s_cbranch_vccnz .LBB152_1159
.LBB152_1158:
	global_load_u8 v5, v[0:1], off
	s_mov_b32 s11, -1
	s_waitcnt vmcnt(0)
	v_cmp_ne_u16_e32 vcc_lo, 0, v5
	v_cndmask_b32_e64 v5, 0, 1.0, vcc_lo
	s_delay_alu instid0(VALU_DEP_1)
	v_lshrrev_b32_e32 v5, 16, v5
.LBB152_1159:
.LBB152_1160:
	s_and_not1_b32 vcc_lo, exec_lo, s11
	s_cbranch_vccnz .LBB152_1996
.LBB152_1161:
	s_lshl_b32 s3, s3, 7
	v_cmp_gt_i16_e32 vcc_lo, 11, v4
	v_add_nc_u32_e32 v7, s3, v6
	s_delay_alu instid0(VALU_DEP_1) | instskip(SKIP_1) | instid1(VALU_DEP_1)
	v_ashrrev_i32_e32 v1, 31, v7
	v_add_co_u32 v0, s0, s6, v7
	v_add_co_ci_u32_e64 v1, s0, s7, v1, s0
	s_cbranch_vccnz .LBB152_1168
; %bb.1162:
	v_cmp_lt_i16_e32 vcc_lo, 25, v4
	s_mov_b32 s10, 0
	s_cbranch_vccz .LBB152_1174
; %bb.1163:
	v_cmp_lt_i16_e32 vcc_lo, 28, v4
	s_cbranch_vccz .LBB152_1176
; %bb.1164:
	v_cmp_lt_i16_e32 vcc_lo, 43, v4
	;; [unrolled: 3-line block ×3, first 2 shown]
	s_cbranch_vccz .LBB152_1184
; %bb.1166:
	v_cmp_eq_u16_e32 vcc_lo, 46, v4
	s_mov_b32 s12, 0
	s_cbranch_vccz .LBB152_1228
; %bb.1167:
	global_load_b32 v6, v[0:1], off
	s_mov_b32 s0, 0
	s_mov_b32 s11, -1
	s_branch .LBB152_1230
.LBB152_1168:
	s_mov_b32 s11, 0
                                        ; implicit-def: $vgpr6
	s_cbranch_execz .LBB152_1295
; %bb.1169:
	v_cmp_gt_i16_e32 vcc_lo, 5, v4
	s_cbranch_vccnz .LBB152_1175
; %bb.1170:
	v_cmp_gt_i16_e32 vcc_lo, 8, v4
	s_cbranch_vccnz .LBB152_1177
	;; [unrolled: 3-line block ×3, first 2 shown]
; %bb.1172:
	v_cmp_lt_i16_e32 vcc_lo, 9, v4
	s_cbranch_vccz .LBB152_1185
; %bb.1173:
	global_load_b64 v[8:9], v[0:1], off
	s_mov_b32 s0, 0
	s_waitcnt vmcnt(0)
	v_cvt_f32_f64_e32 v6, v[8:9]
	s_delay_alu instid0(VALU_DEP_1) | instskip(SKIP_1) | instid1(VALU_DEP_2)
	v_bfe_u32 v8, v6, 16, 1
	v_cmp_o_f32_e32 vcc_lo, v6, v6
	v_add3_u32 v8, v6, v8, 0x7fff
	s_delay_alu instid0(VALU_DEP_1) | instskip(NEXT) | instid1(VALU_DEP_1)
	v_lshrrev_b32_e32 v8, 16, v8
	v_cndmask_b32_e32 v6, 0x7fc0, v8, vcc_lo
	s_branch .LBB152_1186
.LBB152_1174:
	s_mov_b32 s11, 0
	s_mov_b32 s0, 0
                                        ; implicit-def: $vgpr6
	s_cbranch_execnz .LBB152_1259
	s_branch .LBB152_1291
.LBB152_1175:
                                        ; implicit-def: $vgpr6
	s_branch .LBB152_1204
.LBB152_1176:
	s_mov_b32 s12, -1
	s_mov_b32 s11, 0
	s_mov_b32 s0, 0
                                        ; implicit-def: $vgpr6
	s_branch .LBB152_1240
.LBB152_1177:
	s_mov_b32 s0, -1
                                        ; implicit-def: $vgpr6
	s_branch .LBB152_1192
.LBB152_1178:
	s_mov_b32 s12, -1
	s_mov_b32 s11, 0
	s_mov_b32 s0, 0
                                        ; implicit-def: $vgpr6
	s_branch .LBB152_1235
.LBB152_1179:
	s_mov_b32 s0, -1
                                        ; implicit-def: $vgpr6
	s_branch .LBB152_1189
.LBB152_1180:
	s_cbranch_execnz .LBB152_1224
; %bb.1181:
	s_or_b32 s1, s9, exec_lo
                                        ; implicit-def: $vgpr5
	s_cbranch_execz .LBB152_1158
	s_branch .LBB152_1159
.LBB152_1182:
	s_or_saveexec_b32 s14, s14
                                        ; implicit-def: $sgpr15
	s_delay_alu instid0(SALU_CYCLE_1)
	s_xor_b32 exec_lo, exec_lo, s14
	s_cbranch_execz .LBB152_944
.LBB152_1183:
	v_add_f32_e64 v3, 0x46000000, |v6|
	s_and_not1_b32 s13, s13, exec_lo
	s_mov_b32 s15, 0
	s_delay_alu instid0(VALU_DEP_1) | instskip(NEXT) | instid1(VALU_DEP_1)
	v_and_b32_e32 v3, 0xff, v3
	v_cmp_ne_u32_e32 vcc_lo, 0, v3
	s_and_b32 s16, vcc_lo, exec_lo
	s_delay_alu instid0(SALU_CYCLE_1)
	s_or_b32 s13, s13, s16
	s_or_b32 exec_lo, exec_lo, s14
	v_mov_b32_e32 v7, s15
	s_and_saveexec_b32 s14, s13
	s_cbranch_execnz .LBB152_945
	s_branch .LBB152_946
.LBB152_1184:
	s_mov_b32 s12, -1
	s_mov_b32 s11, 0
	s_mov_b32 s0, 0
	s_branch .LBB152_1229
.LBB152_1185:
	s_mov_b32 s0, -1
                                        ; implicit-def: $vgpr6
.LBB152_1186:
	s_delay_alu instid0(SALU_CYCLE_1)
	s_and_not1_b32 vcc_lo, exec_lo, s0
	s_cbranch_vccnz .LBB152_1188
; %bb.1187:
	global_load_b32 v6, v[0:1], off
	s_waitcnt vmcnt(0)
	v_bfe_u32 v8, v6, 16, 1
	v_cmp_o_f32_e32 vcc_lo, v6, v6
	s_delay_alu instid0(VALU_DEP_2) | instskip(NEXT) | instid1(VALU_DEP_1)
	v_add3_u32 v8, v6, v8, 0x7fff
	v_lshrrev_b32_e32 v8, 16, v8
	s_delay_alu instid0(VALU_DEP_1)
	v_cndmask_b32_e32 v6, 0x7fc0, v8, vcc_lo
.LBB152_1188:
	s_mov_b32 s0, 0
.LBB152_1189:
	s_delay_alu instid0(SALU_CYCLE_1)
	s_and_not1_b32 vcc_lo, exec_lo, s0
	s_cbranch_vccnz .LBB152_1191
; %bb.1190:
	global_load_b32 v6, v[0:1], off
	s_waitcnt vmcnt(0)
	v_cvt_f32_f16_e32 v8, v6
	v_cmp_o_f16_e32 vcc_lo, v6, v6
	s_delay_alu instid0(VALU_DEP_2) | instskip(NEXT) | instid1(VALU_DEP_1)
	v_bfe_u32 v9, v8, 16, 1
	v_add3_u32 v8, v8, v9, 0x7fff
	s_delay_alu instid0(VALU_DEP_1) | instskip(NEXT) | instid1(VALU_DEP_1)
	v_lshrrev_b32_e32 v8, 16, v8
	v_cndmask_b32_e32 v6, 0x7fc0, v8, vcc_lo
.LBB152_1191:
	s_mov_b32 s0, 0
.LBB152_1192:
	s_delay_alu instid0(SALU_CYCLE_1)
	s_and_not1_b32 vcc_lo, exec_lo, s0
	s_cbranch_vccnz .LBB152_1203
; %bb.1193:
	v_cmp_gt_i16_e32 vcc_lo, 6, v4
	s_cbranch_vccnz .LBB152_1196
; %bb.1194:
	v_cmp_lt_i16_e32 vcc_lo, 6, v4
	s_cbranch_vccz .LBB152_1197
; %bb.1195:
	global_load_b64 v[8:9], v[0:1], off
	s_mov_b32 s0, 0
	s_waitcnt vmcnt(0)
	v_cvt_f32_f64_e32 v6, v[8:9]
	s_delay_alu instid0(VALU_DEP_1) | instskip(SKIP_1) | instid1(VALU_DEP_2)
	v_bfe_u32 v8, v6, 16, 1
	v_cmp_o_f32_e32 vcc_lo, v6, v6
	v_add3_u32 v8, v6, v8, 0x7fff
	s_delay_alu instid0(VALU_DEP_1) | instskip(NEXT) | instid1(VALU_DEP_1)
	v_lshrrev_b32_e32 v8, 16, v8
	v_cndmask_b32_e32 v6, 0x7fc0, v8, vcc_lo
	s_branch .LBB152_1198
.LBB152_1196:
	s_mov_b32 s0, -1
                                        ; implicit-def: $vgpr6
	s_branch .LBB152_1201
.LBB152_1197:
	s_mov_b32 s0, -1
                                        ; implicit-def: $vgpr6
.LBB152_1198:
	s_delay_alu instid0(SALU_CYCLE_1)
	s_and_not1_b32 vcc_lo, exec_lo, s0
	s_cbranch_vccnz .LBB152_1200
; %bb.1199:
	global_load_b32 v6, v[0:1], off
	s_waitcnt vmcnt(0)
	v_bfe_u32 v8, v6, 16, 1
	v_cmp_o_f32_e32 vcc_lo, v6, v6
	s_delay_alu instid0(VALU_DEP_2) | instskip(NEXT) | instid1(VALU_DEP_1)
	v_add3_u32 v8, v6, v8, 0x7fff
	v_lshrrev_b32_e32 v8, 16, v8
	s_delay_alu instid0(VALU_DEP_1)
	v_cndmask_b32_e32 v6, 0x7fc0, v8, vcc_lo
.LBB152_1200:
	s_mov_b32 s0, 0
.LBB152_1201:
	s_delay_alu instid0(SALU_CYCLE_1)
	s_and_not1_b32 vcc_lo, exec_lo, s0
	s_cbranch_vccnz .LBB152_1203
; %bb.1202:
	global_load_u16 v6, v[0:1], off
	s_waitcnt vmcnt(0)
	v_cvt_f32_f16_e32 v8, v6
	v_cmp_o_f16_e32 vcc_lo, v6, v6
	s_delay_alu instid0(VALU_DEP_2) | instskip(NEXT) | instid1(VALU_DEP_1)
	v_bfe_u32 v9, v8, 16, 1
	v_add3_u32 v8, v8, v9, 0x7fff
	s_delay_alu instid0(VALU_DEP_1) | instskip(NEXT) | instid1(VALU_DEP_1)
	v_lshrrev_b32_e32 v8, 16, v8
	v_cndmask_b32_e32 v6, 0x7fc0, v8, vcc_lo
.LBB152_1203:
	s_cbranch_execnz .LBB152_1223
.LBB152_1204:
	v_cmp_gt_i16_e32 vcc_lo, 2, v4
	s_cbranch_vccnz .LBB152_1208
; %bb.1205:
	v_cmp_gt_i16_e32 vcc_lo, 3, v4
	s_cbranch_vccnz .LBB152_1209
; %bb.1206:
	v_cmp_lt_i16_e32 vcc_lo, 3, v4
	s_cbranch_vccz .LBB152_1210
; %bb.1207:
	global_load_b64 v[8:9], v[0:1], off
	s_mov_b32 s0, 0
	s_waitcnt vmcnt(0)
	v_xor_b32_e32 v6, v8, v9
	v_cls_i32_e32 v10, v9
	s_delay_alu instid0(VALU_DEP_2) | instskip(NEXT) | instid1(VALU_DEP_2)
	v_ashrrev_i32_e32 v6, 31, v6
	v_add_nc_u32_e32 v10, -1, v10
	s_delay_alu instid0(VALU_DEP_2) | instskip(NEXT) | instid1(VALU_DEP_1)
	v_add_nc_u32_e32 v6, 32, v6
	v_min_u32_e32 v6, v10, v6
	s_delay_alu instid0(VALU_DEP_1) | instskip(SKIP_1) | instid1(VALU_DEP_2)
	v_lshlrev_b64 v[8:9], v6, v[8:9]
	v_sub_nc_u32_e32 v6, 32, v6
	v_min_u32_e32 v8, 1, v8
	s_delay_alu instid0(VALU_DEP_1) | instskip(NEXT) | instid1(VALU_DEP_1)
	v_or_b32_e32 v8, v9, v8
	v_cvt_f32_i32_e32 v8, v8
	s_delay_alu instid0(VALU_DEP_1) | instskip(NEXT) | instid1(VALU_DEP_1)
	v_ldexp_f32 v6, v8, v6
	v_bfe_u32 v8, v6, 16, 1
	s_delay_alu instid0(VALU_DEP_1) | instskip(NEXT) | instid1(VALU_DEP_1)
	v_add3_u32 v6, v6, v8, 0x7fff
	v_lshrrev_b32_e32 v6, 16, v6
	s_branch .LBB152_1211
.LBB152_1208:
	s_mov_b32 s0, -1
                                        ; implicit-def: $vgpr6
	s_branch .LBB152_1217
.LBB152_1209:
	s_mov_b32 s0, -1
                                        ; implicit-def: $vgpr6
	s_branch .LBB152_1214
.LBB152_1210:
	s_mov_b32 s0, -1
                                        ; implicit-def: $vgpr6
.LBB152_1211:
	s_delay_alu instid0(SALU_CYCLE_1)
	s_and_not1_b32 vcc_lo, exec_lo, s0
	s_cbranch_vccnz .LBB152_1213
; %bb.1212:
	global_load_b32 v6, v[0:1], off
	s_waitcnt vmcnt(0)
	v_cvt_f32_i32_e32 v6, v6
	s_delay_alu instid0(VALU_DEP_1) | instskip(NEXT) | instid1(VALU_DEP_1)
	v_bfe_u32 v8, v6, 16, 1
	v_add3_u32 v6, v6, v8, 0x7fff
	s_delay_alu instid0(VALU_DEP_1)
	v_lshrrev_b32_e32 v6, 16, v6
.LBB152_1213:
	s_mov_b32 s0, 0
.LBB152_1214:
	s_delay_alu instid0(SALU_CYCLE_1)
	s_and_not1_b32 vcc_lo, exec_lo, s0
	s_cbranch_vccnz .LBB152_1216
; %bb.1215:
	global_load_i16 v6, v[0:1], off
	s_waitcnt vmcnt(0)
	v_cvt_f32_i32_e32 v6, v6
	s_delay_alu instid0(VALU_DEP_1) | instskip(NEXT) | instid1(VALU_DEP_1)
	v_bfe_u32 v8, v6, 16, 1
	v_add3_u32 v6, v6, v8, 0x7fff
	s_delay_alu instid0(VALU_DEP_1)
	v_lshrrev_b32_e32 v6, 16, v6
.LBB152_1216:
	s_mov_b32 s0, 0
.LBB152_1217:
	s_delay_alu instid0(SALU_CYCLE_1)
	s_and_not1_b32 vcc_lo, exec_lo, s0
	s_cbranch_vccnz .LBB152_1223
; %bb.1218:
	v_cmp_lt_i16_e32 vcc_lo, 0, v4
	s_mov_b32 s0, 0
	s_cbranch_vccz .LBB152_1220
; %bb.1219:
	global_load_i8 v6, v[0:1], off
	s_waitcnt vmcnt(0)
	v_cvt_f32_i32_e32 v6, v6
	s_delay_alu instid0(VALU_DEP_1) | instskip(NEXT) | instid1(VALU_DEP_1)
	v_bfe_u32 v8, v6, 16, 1
	v_add3_u32 v6, v6, v8, 0x7fff
	s_delay_alu instid0(VALU_DEP_1)
	v_lshrrev_b32_e32 v6, 16, v6
	s_branch .LBB152_1221
.LBB152_1220:
	s_mov_b32 s0, -1
                                        ; implicit-def: $vgpr6
.LBB152_1221:
	s_delay_alu instid0(SALU_CYCLE_1)
	s_and_not1_b32 vcc_lo, exec_lo, s0
	s_cbranch_vccnz .LBB152_1223
; %bb.1222:
	global_load_u8 v0, v[0:1], off
	s_waitcnt vmcnt(0)
	v_cvt_f32_ubyte0_e32 v0, v0
	s_delay_alu instid0(VALU_DEP_1) | instskip(NEXT) | instid1(VALU_DEP_1)
	v_bfe_u32 v1, v0, 16, 1
	v_add3_u32 v0, v0, v1, 0x7fff
	s_delay_alu instid0(VALU_DEP_1)
	v_lshrrev_b32_e32 v6, 16, v0
.LBB152_1223:
	s_branch .LBB152_1296
.LBB152_1224:
	s_trap 2
	s_sendmsg_rtn_b32 s0, sendmsg(MSG_RTN_GET_DOORBELL)
	s_mov_b32 ttmp2, m0
	s_waitcnt lgkmcnt(0)
	s_and_b32 s0, s0, 0x3ff
	s_delay_alu instid0(SALU_CYCLE_1) | instskip(NEXT) | instid1(SALU_CYCLE_1)
	s_bitset1_b32 s0, 10
	s_mov_b32 m0, s0
	s_sendmsg sendmsg(MSG_INTERRUPT)
	s_mov_b32 m0, ttmp2
.LBB152_1225:                           ; =>This Inner Loop Header: Depth=1
	s_sethalt 5
	s_branch .LBB152_1225
.LBB152_1226:
	s_or_saveexec_b32 s15, s15
                                        ; implicit-def: $sgpr16
	s_delay_alu instid0(SALU_CYCLE_1)
	s_xor_b32 exec_lo, exec_lo, s15
	s_cbranch_execz .LBB152_956
.LBB152_1227:
	v_add_f32_e64 v3, 0x42800000, |v6|
	s_and_not1_b32 s14, s14, exec_lo
	s_mov_b32 s16, 0
	s_delay_alu instid0(VALU_DEP_1) | instskip(NEXT) | instid1(VALU_DEP_1)
	v_and_b32_e32 v3, 0xff, v3
	v_cmp_ne_u32_e32 vcc_lo, 0, v3
	s_and_b32 s17, vcc_lo, exec_lo
	s_delay_alu instid0(SALU_CYCLE_1)
	s_or_b32 s14, s14, s17
	s_or_b32 exec_lo, exec_lo, s15
	v_mov_b32_e32 v7, s16
	s_and_saveexec_b32 s15, s14
	s_cbranch_execnz .LBB152_957
	s_branch .LBB152_958
.LBB152_1228:
	s_mov_b32 s0, -1
	s_mov_b32 s11, 0
.LBB152_1229:
                                        ; implicit-def: $vgpr6
.LBB152_1230:
	s_and_b32 vcc_lo, exec_lo, s12
	s_cbranch_vccz .LBB152_1234
; %bb.1231:
	v_cmp_eq_u16_e32 vcc_lo, 44, v4
	s_cbranch_vccz .LBB152_1233
; %bb.1232:
	global_load_u8 v6, v[0:1], off
	s_mov_b32 s0, 0
	s_mov_b32 s11, -1
	s_waitcnt vmcnt(0)
	v_lshlrev_b32_e32 v8, 23, v6
	v_cmp_ne_u32_e32 vcc_lo, 0xff, v6
	s_delay_alu instid0(VALU_DEP_2) | instskip(SKIP_1) | instid1(VALU_DEP_2)
	v_cndmask_b32_e32 v8, 0x7f800001, v8, vcc_lo
	v_cmp_ne_u32_e32 vcc_lo, 0, v6
	v_cndmask_b32_e32 v6, 0x400000, v8, vcc_lo
	s_delay_alu instid0(VALU_DEP_1) | instskip(SKIP_1) | instid1(VALU_DEP_2)
	v_add_nc_u32_e32 v8, 0x7fff, v6
	v_cmp_o_f32_e32 vcc_lo, v6, v6
	v_lshrrev_b32_e32 v8, 16, v8
	s_delay_alu instid0(VALU_DEP_1)
	v_cndmask_b32_e32 v6, 0x7fc0, v8, vcc_lo
	s_branch .LBB152_1234
.LBB152_1233:
	s_mov_b32 s0, -1
                                        ; implicit-def: $vgpr6
.LBB152_1234:
	s_mov_b32 s12, 0
.LBB152_1235:
	s_delay_alu instid0(SALU_CYCLE_1)
	s_and_b32 vcc_lo, exec_lo, s12
	s_cbranch_vccz .LBB152_1239
; %bb.1236:
	v_cmp_eq_u16_e32 vcc_lo, 29, v4
	s_cbranch_vccz .LBB152_1238
; %bb.1237:
	global_load_b64 v[8:9], v[0:1], off
	s_mov_b32 s0, 0
	s_mov_b32 s11, -1
	s_mov_b32 s12, 0
	s_waitcnt vmcnt(0)
	v_clz_i32_u32_e32 v6, v9
	s_delay_alu instid0(VALU_DEP_1) | instskip(NEXT) | instid1(VALU_DEP_1)
	v_min_u32_e32 v6, 32, v6
	v_lshlrev_b64 v[8:9], v6, v[8:9]
	v_sub_nc_u32_e32 v6, 32, v6
	s_delay_alu instid0(VALU_DEP_2) | instskip(NEXT) | instid1(VALU_DEP_1)
	v_min_u32_e32 v8, 1, v8
	v_or_b32_e32 v8, v9, v8
	s_delay_alu instid0(VALU_DEP_1) | instskip(NEXT) | instid1(VALU_DEP_1)
	v_cvt_f32_u32_e32 v8, v8
	v_ldexp_f32 v6, v8, v6
	s_delay_alu instid0(VALU_DEP_1) | instskip(NEXT) | instid1(VALU_DEP_1)
	v_bfe_u32 v8, v6, 16, 1
	v_add3_u32 v6, v6, v8, 0x7fff
	s_delay_alu instid0(VALU_DEP_1)
	v_lshrrev_b32_e32 v6, 16, v6
	s_branch .LBB152_1240
.LBB152_1238:
	s_mov_b32 s0, -1
                                        ; implicit-def: $vgpr6
.LBB152_1239:
	s_mov_b32 s12, 0
.LBB152_1240:
	s_delay_alu instid0(SALU_CYCLE_1)
	s_and_b32 vcc_lo, exec_lo, s12
	s_cbranch_vccz .LBB152_1258
; %bb.1241:
	v_cmp_gt_i16_e32 vcc_lo, 27, v4
	s_cbranch_vccnz .LBB152_1244
; %bb.1242:
	v_cmp_lt_i16_e32 vcc_lo, 27, v4
	s_cbranch_vccz .LBB152_1245
; %bb.1243:
	global_load_b32 v6, v[0:1], off
	s_mov_b32 s11, 0
	s_waitcnt vmcnt(0)
	v_cvt_f32_u32_e32 v6, v6
	s_delay_alu instid0(VALU_DEP_1) | instskip(NEXT) | instid1(VALU_DEP_1)
	v_bfe_u32 v8, v6, 16, 1
	v_add3_u32 v6, v6, v8, 0x7fff
	s_delay_alu instid0(VALU_DEP_1)
	v_lshrrev_b32_e32 v6, 16, v6
	s_branch .LBB152_1246
.LBB152_1244:
	s_mov_b32 s11, -1
                                        ; implicit-def: $vgpr6
	s_branch .LBB152_1249
.LBB152_1245:
	s_mov_b32 s11, -1
                                        ; implicit-def: $vgpr6
.LBB152_1246:
	s_delay_alu instid0(SALU_CYCLE_1)
	s_and_not1_b32 vcc_lo, exec_lo, s11
	s_cbranch_vccnz .LBB152_1248
; %bb.1247:
	global_load_u16 v6, v[0:1], off
	s_waitcnt vmcnt(0)
	v_cvt_f32_u32_e32 v6, v6
	s_delay_alu instid0(VALU_DEP_1) | instskip(NEXT) | instid1(VALU_DEP_1)
	v_bfe_u32 v8, v6, 16, 1
	v_add3_u32 v6, v6, v8, 0x7fff
	s_delay_alu instid0(VALU_DEP_1)
	v_lshrrev_b32_e32 v6, 16, v6
.LBB152_1248:
	s_mov_b32 s11, 0
.LBB152_1249:
	s_delay_alu instid0(SALU_CYCLE_1)
	s_and_not1_b32 vcc_lo, exec_lo, s11
	s_cbranch_vccnz .LBB152_1257
; %bb.1250:
	global_load_u8 v6, v[0:1], off
	s_mov_b32 s11, 0
	s_mov_b32 s13, exec_lo
                                        ; implicit-def: $sgpr12
	s_waitcnt vmcnt(0)
	v_cmpx_lt_i16_e32 0x7f, v6
	s_xor_b32 s13, exec_lo, s13
	s_cbranch_execz .LBB152_1270
; %bb.1251:
	s_mov_b32 s11, -1
	s_mov_b32 s14, exec_lo
                                        ; implicit-def: $sgpr12
	v_cmpx_eq_u16_e32 0x80, v6
; %bb.1252:
	s_mov_b32 s12, 0x7f800001
	s_xor_b32 s11, exec_lo, -1
; %bb.1253:
	s_or_b32 exec_lo, exec_lo, s14
	s_delay_alu instid0(SALU_CYCLE_1)
	s_and_b32 s11, s11, exec_lo
	s_or_saveexec_b32 s13, s13
	v_mov_b32_e32 v8, s12
	s_xor_b32 exec_lo, exec_lo, s13
	s_cbranch_execnz .LBB152_1271
.LBB152_1254:
	s_or_b32 exec_lo, exec_lo, s13
	s_and_saveexec_b32 s12, s11
	s_cbranch_execz .LBB152_1256
.LBB152_1255:
	v_and_b32_e32 v8, 0xffff, v6
	v_lshlrev_b32_e32 v6, 24, v6
	s_delay_alu instid0(VALU_DEP_2) | instskip(NEXT) | instid1(VALU_DEP_2)
	v_and_b32_e32 v9, 7, v8
	v_and_b32_e32 v6, 0x80000000, v6
	s_delay_alu instid0(VALU_DEP_2) | instskip(NEXT) | instid1(VALU_DEP_1)
	v_clz_i32_u32_e32 v10, v9
	v_min_u32_e32 v10, 32, v10
	s_delay_alu instid0(VALU_DEP_1) | instskip(SKIP_1) | instid1(VALU_DEP_2)
	v_subrev_nc_u32_e32 v11, 28, v10
	v_sub_nc_u32_e32 v10, 29, v10
	v_lshlrev_b32_e32 v11, v11, v8
	v_bfe_u32 v8, v8, 3, 4
	s_delay_alu instid0(VALU_DEP_2) | instskip(NEXT) | instid1(VALU_DEP_2)
	v_and_b32_e32 v11, 7, v11
	v_cmp_eq_u32_e32 vcc_lo, 0, v8
	s_delay_alu instid0(VALU_DEP_2) | instskip(NEXT) | instid1(VALU_DEP_1)
	v_dual_cndmask_b32 v8, v8, v10 :: v_dual_cndmask_b32 v9, v9, v11
	v_lshl_add_u32 v8, v8, 23, 0x3b800000
	s_delay_alu instid0(VALU_DEP_2) | instskip(NEXT) | instid1(VALU_DEP_1)
	v_lshlrev_b32_e32 v9, 20, v9
	v_or3_b32 v8, v6, v8, v9
.LBB152_1256:
	s_or_b32 exec_lo, exec_lo, s12
	s_delay_alu instid0(VALU_DEP_1) | instskip(SKIP_1) | instid1(VALU_DEP_2)
	v_bfe_u32 v6, v8, 16, 1
	v_cmp_o_f32_e32 vcc_lo, v8, v8
	v_add3_u32 v6, v8, v6, 0x7fff
	s_delay_alu instid0(VALU_DEP_1) | instskip(NEXT) | instid1(VALU_DEP_1)
	v_lshrrev_b32_e32 v6, 16, v6
	v_cndmask_b32_e32 v6, 0x7fc0, v6, vcc_lo
.LBB152_1257:
	s_mov_b32 s11, -1
.LBB152_1258:
	s_branch .LBB152_1291
.LBB152_1259:
	v_cmp_lt_i16_e32 vcc_lo, 22, v4
	s_cbranch_vccz .LBB152_1269
; %bb.1260:
	v_cmp_gt_i16_e32 vcc_lo, 24, v4
	s_cbranch_vccnz .LBB152_1272
; %bb.1261:
	v_cmp_lt_i16_e32 vcc_lo, 24, v4
	s_cbranch_vccz .LBB152_1273
; %bb.1262:
	global_load_u8 v6, v[0:1], off
	s_mov_b32 s12, exec_lo
                                        ; implicit-def: $sgpr11
	s_waitcnt vmcnt(0)
	v_cmpx_lt_i16_e32 0x7f, v6
	s_xor_b32 s12, exec_lo, s12
	s_cbranch_execz .LBB152_1285
; %bb.1263:
	s_mov_b32 s10, -1
	s_mov_b32 s13, exec_lo
                                        ; implicit-def: $sgpr11
	v_cmpx_eq_u16_e32 0x80, v6
; %bb.1264:
	s_mov_b32 s11, 0x7f800001
	s_xor_b32 s10, exec_lo, -1
; %bb.1265:
	s_or_b32 exec_lo, exec_lo, s13
	s_delay_alu instid0(SALU_CYCLE_1)
	s_and_b32 s10, s10, exec_lo
	s_or_saveexec_b32 s12, s12
	v_mov_b32_e32 v8, s11
	s_xor_b32 exec_lo, exec_lo, s12
	s_cbranch_execnz .LBB152_1286
.LBB152_1266:
	s_or_b32 exec_lo, exec_lo, s12
	s_and_saveexec_b32 s11, s10
	s_cbranch_execz .LBB152_1268
.LBB152_1267:
	v_and_b32_e32 v8, 0xffff, v6
	v_lshlrev_b32_e32 v6, 24, v6
	s_delay_alu instid0(VALU_DEP_2) | instskip(NEXT) | instid1(VALU_DEP_2)
	v_and_b32_e32 v9, 3, v8
	v_and_b32_e32 v6, 0x80000000, v6
	s_delay_alu instid0(VALU_DEP_2) | instskip(NEXT) | instid1(VALU_DEP_1)
	v_clz_i32_u32_e32 v10, v9
	v_min_u32_e32 v10, 32, v10
	s_delay_alu instid0(VALU_DEP_1) | instskip(SKIP_1) | instid1(VALU_DEP_2)
	v_subrev_nc_u32_e32 v11, 29, v10
	v_sub_nc_u32_e32 v10, 30, v10
	v_lshlrev_b32_e32 v11, v11, v8
	v_bfe_u32 v8, v8, 2, 5
	s_delay_alu instid0(VALU_DEP_2) | instskip(NEXT) | instid1(VALU_DEP_2)
	v_and_b32_e32 v11, 3, v11
	v_cmp_eq_u32_e32 vcc_lo, 0, v8
	s_delay_alu instid0(VALU_DEP_2) | instskip(NEXT) | instid1(VALU_DEP_1)
	v_dual_cndmask_b32 v8, v8, v10 :: v_dual_cndmask_b32 v9, v9, v11
	v_lshl_add_u32 v8, v8, 23, 0x37800000
	s_delay_alu instid0(VALU_DEP_2) | instskip(NEXT) | instid1(VALU_DEP_1)
	v_lshlrev_b32_e32 v9, 21, v9
	v_or3_b32 v8, v6, v8, v9
.LBB152_1268:
	s_or_b32 exec_lo, exec_lo, s11
	s_delay_alu instid0(VALU_DEP_1) | instskip(SKIP_2) | instid1(VALU_DEP_2)
	v_bfe_u32 v6, v8, 16, 1
	v_cmp_o_f32_e32 vcc_lo, v8, v8
	s_mov_b32 s10, 0
	v_add3_u32 v6, v8, v6, 0x7fff
	s_delay_alu instid0(VALU_DEP_1) | instskip(NEXT) | instid1(VALU_DEP_1)
	v_lshrrev_b32_e32 v6, 16, v6
	v_cndmask_b32_e32 v6, 0x7fc0, v6, vcc_lo
	s_branch .LBB152_1274
.LBB152_1269:
	s_mov_b32 s10, -1
                                        ; implicit-def: $vgpr6
	s_branch .LBB152_1280
.LBB152_1270:
	s_or_saveexec_b32 s13, s13
	v_mov_b32_e32 v8, s12
	s_xor_b32 exec_lo, exec_lo, s13
	s_cbranch_execz .LBB152_1254
.LBB152_1271:
	v_cmp_ne_u16_e32 vcc_lo, 0, v6
	v_mov_b32_e32 v8, 0
	s_and_not1_b32 s11, s11, exec_lo
	s_and_b32 s12, vcc_lo, exec_lo
	s_delay_alu instid0(SALU_CYCLE_1)
	s_or_b32 s11, s11, s12
	s_or_b32 exec_lo, exec_lo, s13
	s_and_saveexec_b32 s12, s11
	s_cbranch_execnz .LBB152_1255
	s_branch .LBB152_1256
.LBB152_1272:
	s_mov_b32 s10, -1
                                        ; implicit-def: $vgpr6
	s_branch .LBB152_1277
.LBB152_1273:
	s_mov_b32 s10, -1
                                        ; implicit-def: $vgpr6
.LBB152_1274:
	s_delay_alu instid0(SALU_CYCLE_1)
	s_and_b32 vcc_lo, exec_lo, s10
	s_cbranch_vccz .LBB152_1276
; %bb.1275:
	global_load_u8 v6, v[0:1], off
	s_waitcnt vmcnt(0)
	v_lshlrev_b32_e32 v6, 24, v6
	s_delay_alu instid0(VALU_DEP_1) | instskip(NEXT) | instid1(VALU_DEP_1)
	v_and_b32_e32 v8, 0x7f000000, v6
	v_clz_i32_u32_e32 v9, v8
	v_cmp_ne_u32_e32 vcc_lo, 0, v8
	v_add_nc_u32_e32 v11, 0x1000000, v8
	s_delay_alu instid0(VALU_DEP_3) | instskip(NEXT) | instid1(VALU_DEP_1)
	v_min_u32_e32 v9, 32, v9
	v_sub_nc_u32_e64 v9, v9, 4 clamp
	s_delay_alu instid0(VALU_DEP_1) | instskip(SKIP_1) | instid1(VALU_DEP_2)
	v_lshlrev_b32_e32 v10, v9, v8
	v_lshlrev_b32_e32 v9, 23, v9
	v_lshrrev_b32_e32 v10, 4, v10
	s_delay_alu instid0(VALU_DEP_1) | instskip(SKIP_1) | instid1(VALU_DEP_2)
	v_sub_nc_u32_e32 v9, v10, v9
	v_ashrrev_i32_e32 v10, 8, v11
	v_add_nc_u32_e32 v9, 0x3c000000, v9
	s_delay_alu instid0(VALU_DEP_1) | instskip(NEXT) | instid1(VALU_DEP_1)
	v_and_or_b32 v9, 0x7f800000, v10, v9
	v_cndmask_b32_e32 v8, 0, v9, vcc_lo
	s_delay_alu instid0(VALU_DEP_1) | instskip(SKIP_1) | instid1(VALU_DEP_2)
	v_and_or_b32 v6, 0x80000000, v6, v8
	v_bfe_u32 v8, v8, 16, 1
	v_cmp_o_f32_e32 vcc_lo, v6, v6
	s_delay_alu instid0(VALU_DEP_2) | instskip(NEXT) | instid1(VALU_DEP_1)
	v_add3_u32 v8, v6, v8, 0x7fff
	v_lshrrev_b32_e32 v8, 16, v8
	s_delay_alu instid0(VALU_DEP_1)
	v_cndmask_b32_e32 v6, 0x7fc0, v8, vcc_lo
.LBB152_1276:
	s_mov_b32 s10, 0
.LBB152_1277:
	s_delay_alu instid0(SALU_CYCLE_1)
	s_and_not1_b32 vcc_lo, exec_lo, s10
	s_cbranch_vccnz .LBB152_1279
; %bb.1278:
	global_load_u8 v6, v[0:1], off
	s_waitcnt vmcnt(0)
	v_lshlrev_b32_e32 v8, 25, v6
	v_lshlrev_b16 v6, 8, v6
	s_delay_alu instid0(VALU_DEP_2) | instskip(NEXT) | instid1(VALU_DEP_2)
	v_lshrrev_b32_e32 v9, 4, v8
	v_and_or_b32 v10, 0x7f00, v6, 0.5
	v_bfe_i32 v6, v6, 0, 16
	s_delay_alu instid0(VALU_DEP_3) | instskip(NEXT) | instid1(VALU_DEP_1)
	v_or_b32_e32 v9, 0x70000000, v9
	v_dual_add_f32 v10, -0.5, v10 :: v_dual_mul_f32 v9, 0x7800000, v9
	v_cmp_gt_u32_e32 vcc_lo, 0x8000000, v8
	s_delay_alu instid0(VALU_DEP_2) | instskip(NEXT) | instid1(VALU_DEP_1)
	v_cndmask_b32_e32 v8, v9, v10, vcc_lo
	v_and_or_b32 v6, 0x80000000, v6, v8
	v_bfe_u32 v8, v8, 16, 1
	s_delay_alu instid0(VALU_DEP_2) | instskip(NEXT) | instid1(VALU_DEP_2)
	v_cmp_o_f32_e32 vcc_lo, v6, v6
	v_add3_u32 v8, v6, v8, 0x7fff
	s_delay_alu instid0(VALU_DEP_1) | instskip(NEXT) | instid1(VALU_DEP_1)
	v_lshrrev_b32_e32 v8, 16, v8
	v_cndmask_b32_e32 v6, 0x7fc0, v8, vcc_lo
.LBB152_1279:
	s_mov_b32 s10, 0
	s_mov_b32 s11, -1
.LBB152_1280:
	s_and_not1_b32 vcc_lo, exec_lo, s10
	s_mov_b32 s10, 0
	s_cbranch_vccnz .LBB152_1291
; %bb.1281:
	v_cmp_lt_i16_e32 vcc_lo, 14, v4
	s_cbranch_vccz .LBB152_1284
; %bb.1282:
	v_cmp_eq_u16_e32 vcc_lo, 15, v4
	s_cbranch_vccz .LBB152_1287
; %bb.1283:
	global_load_u16 v6, v[0:1], off
	s_mov_b32 s0, 0
	s_mov_b32 s11, -1
	s_branch .LBB152_1289
.LBB152_1284:
	s_mov_b32 s10, -1
	s_branch .LBB152_1288
.LBB152_1285:
	s_or_saveexec_b32 s12, s12
	v_mov_b32_e32 v8, s11
	s_xor_b32 exec_lo, exec_lo, s12
	s_cbranch_execz .LBB152_1266
.LBB152_1286:
	v_cmp_ne_u16_e32 vcc_lo, 0, v6
	v_mov_b32_e32 v8, 0
	s_and_not1_b32 s10, s10, exec_lo
	s_and_b32 s11, vcc_lo, exec_lo
	s_delay_alu instid0(SALU_CYCLE_1)
	s_or_b32 s10, s10, s11
	s_or_b32 exec_lo, exec_lo, s12
	s_and_saveexec_b32 s11, s10
	s_cbranch_execnz .LBB152_1267
	s_branch .LBB152_1268
.LBB152_1287:
	s_mov_b32 s0, -1
.LBB152_1288:
                                        ; implicit-def: $vgpr6
.LBB152_1289:
	s_and_b32 vcc_lo, exec_lo, s10
	s_mov_b32 s10, 0
	s_cbranch_vccz .LBB152_1291
; %bb.1290:
	v_cmp_ne_u16_e64 s0, 11, v4
	s_mov_b32 s10, -1
                                        ; implicit-def: $vgpr6
.LBB152_1291:
	s_delay_alu instid0(VALU_DEP_1)
	s_and_b32 vcc_lo, exec_lo, s0
	s_cbranch_vccnz .LBB152_1315
; %bb.1292:
	s_and_not1_b32 vcc_lo, exec_lo, s10
	s_cbranch_vccnz .LBB152_1294
.LBB152_1293:
	global_load_u8 v6, v[0:1], off
	s_mov_b32 s11, -1
	s_waitcnt vmcnt(0)
	v_cmp_ne_u16_e32 vcc_lo, 0, v6
	v_cndmask_b32_e64 v6, 0, 1.0, vcc_lo
	s_delay_alu instid0(VALU_DEP_1)
	v_lshrrev_b32_e32 v6, 16, v6
.LBB152_1294:
.LBB152_1295:
	s_and_not1_b32 vcc_lo, exec_lo, s11
	s_cbranch_vccnz .LBB152_1996
.LBB152_1296:
	v_add_nc_u32_e32 v8, s3, v7
	v_cmp_gt_i16_e32 vcc_lo, 11, v4
	s_delay_alu instid0(VALU_DEP_2) | instskip(SKIP_1) | instid1(VALU_DEP_1)
	v_ashrrev_i32_e32 v1, 31, v8
	v_add_co_u32 v0, s0, s6, v8
	v_add_co_ci_u32_e64 v1, s0, s7, v1, s0
	s_cbranch_vccnz .LBB152_1303
; %bb.1297:
	v_cmp_lt_i16_e32 vcc_lo, 25, v4
	s_mov_b32 s10, 0
	s_cbranch_vccz .LBB152_1309
; %bb.1298:
	v_cmp_lt_i16_e32 vcc_lo, 28, v4
	s_cbranch_vccz .LBB152_1311
; %bb.1299:
	v_cmp_lt_i16_e32 vcc_lo, 43, v4
	;; [unrolled: 3-line block ×3, first 2 shown]
	s_cbranch_vccz .LBB152_1317
; %bb.1301:
	v_cmp_eq_u16_e32 vcc_lo, 46, v4
	s_mov_b32 s12, 0
	s_cbranch_vccz .LBB152_1360
; %bb.1302:
	global_load_b32 v7, v[0:1], off
	s_mov_b32 s0, 0
	s_mov_b32 s11, -1
	s_branch .LBB152_1362
.LBB152_1303:
	s_mov_b32 s11, 0
                                        ; implicit-def: $vgpr7
	s_cbranch_execz .LBB152_1428
; %bb.1304:
	v_cmp_gt_i16_e32 vcc_lo, 5, v4
	s_cbranch_vccnz .LBB152_1310
; %bb.1305:
	v_cmp_gt_i16_e32 vcc_lo, 8, v4
	s_cbranch_vccnz .LBB152_1312
	;; [unrolled: 3-line block ×3, first 2 shown]
; %bb.1307:
	v_cmp_lt_i16_e32 vcc_lo, 9, v4
	s_cbranch_vccz .LBB152_1318
; %bb.1308:
	global_load_b64 v[9:10], v[0:1], off
	s_mov_b32 s0, 0
	s_waitcnt vmcnt(0)
	v_cvt_f32_f64_e32 v7, v[9:10]
	s_delay_alu instid0(VALU_DEP_1) | instskip(SKIP_1) | instid1(VALU_DEP_2)
	v_bfe_u32 v9, v7, 16, 1
	v_cmp_o_f32_e32 vcc_lo, v7, v7
	v_add3_u32 v9, v7, v9, 0x7fff
	s_delay_alu instid0(VALU_DEP_1) | instskip(NEXT) | instid1(VALU_DEP_1)
	v_lshrrev_b32_e32 v9, 16, v9
	v_cndmask_b32_e32 v7, 0x7fc0, v9, vcc_lo
	s_branch .LBB152_1319
.LBB152_1309:
	s_mov_b32 s12, -1
	s_mov_b32 s11, 0
	s_mov_b32 s0, 0
                                        ; implicit-def: $vgpr7
	s_branch .LBB152_1391
.LBB152_1310:
	s_mov_b32 s0, -1
                                        ; implicit-def: $vgpr7
	s_branch .LBB152_1337
.LBB152_1311:
	s_mov_b32 s12, -1
	s_mov_b32 s11, 0
	s_mov_b32 s0, 0
                                        ; implicit-def: $vgpr7
	s_branch .LBB152_1372
.LBB152_1312:
	s_mov_b32 s0, -1
                                        ; implicit-def: $vgpr7
	s_branch .LBB152_1325
.LBB152_1313:
	s_mov_b32 s12, -1
	s_mov_b32 s11, 0
	s_mov_b32 s0, 0
                                        ; implicit-def: $vgpr7
	s_branch .LBB152_1367
.LBB152_1314:
	s_mov_b32 s0, -1
                                        ; implicit-def: $vgpr7
	s_branch .LBB152_1322
.LBB152_1315:
	s_cbranch_execnz .LBB152_1358
; %bb.1316:
	s_or_b32 s1, s1, exec_lo
                                        ; implicit-def: $vgpr6
	s_cbranch_execz .LBB152_1293
	s_branch .LBB152_1294
.LBB152_1317:
	s_mov_b32 s12, -1
	s_mov_b32 s11, 0
	s_mov_b32 s0, 0
	s_branch .LBB152_1361
.LBB152_1318:
	s_mov_b32 s0, -1
                                        ; implicit-def: $vgpr7
.LBB152_1319:
	s_delay_alu instid0(SALU_CYCLE_1)
	s_and_not1_b32 vcc_lo, exec_lo, s0
	s_cbranch_vccnz .LBB152_1321
; %bb.1320:
	global_load_b32 v7, v[0:1], off
	s_waitcnt vmcnt(0)
	v_bfe_u32 v9, v7, 16, 1
	v_cmp_o_f32_e32 vcc_lo, v7, v7
	s_delay_alu instid0(VALU_DEP_2) | instskip(NEXT) | instid1(VALU_DEP_1)
	v_add3_u32 v9, v7, v9, 0x7fff
	v_lshrrev_b32_e32 v9, 16, v9
	s_delay_alu instid0(VALU_DEP_1)
	v_cndmask_b32_e32 v7, 0x7fc0, v9, vcc_lo
.LBB152_1321:
	s_mov_b32 s0, 0
.LBB152_1322:
	s_delay_alu instid0(SALU_CYCLE_1)
	s_and_not1_b32 vcc_lo, exec_lo, s0
	s_cbranch_vccnz .LBB152_1324
; %bb.1323:
	global_load_b32 v7, v[0:1], off
	s_waitcnt vmcnt(0)
	v_cvt_f32_f16_e32 v9, v7
	v_cmp_o_f16_e32 vcc_lo, v7, v7
	s_delay_alu instid0(VALU_DEP_2) | instskip(NEXT) | instid1(VALU_DEP_1)
	v_bfe_u32 v10, v9, 16, 1
	v_add3_u32 v9, v9, v10, 0x7fff
	s_delay_alu instid0(VALU_DEP_1) | instskip(NEXT) | instid1(VALU_DEP_1)
	v_lshrrev_b32_e32 v9, 16, v9
	v_cndmask_b32_e32 v7, 0x7fc0, v9, vcc_lo
.LBB152_1324:
	s_mov_b32 s0, 0
.LBB152_1325:
	s_delay_alu instid0(SALU_CYCLE_1)
	s_and_not1_b32 vcc_lo, exec_lo, s0
	s_cbranch_vccnz .LBB152_1336
; %bb.1326:
	v_cmp_gt_i16_e32 vcc_lo, 6, v4
	s_cbranch_vccnz .LBB152_1329
; %bb.1327:
	v_cmp_lt_i16_e32 vcc_lo, 6, v4
	s_cbranch_vccz .LBB152_1330
; %bb.1328:
	global_load_b64 v[9:10], v[0:1], off
	s_mov_b32 s0, 0
	s_waitcnt vmcnt(0)
	v_cvt_f32_f64_e32 v7, v[9:10]
	s_delay_alu instid0(VALU_DEP_1) | instskip(SKIP_1) | instid1(VALU_DEP_2)
	v_bfe_u32 v9, v7, 16, 1
	v_cmp_o_f32_e32 vcc_lo, v7, v7
	v_add3_u32 v9, v7, v9, 0x7fff
	s_delay_alu instid0(VALU_DEP_1) | instskip(NEXT) | instid1(VALU_DEP_1)
	v_lshrrev_b32_e32 v9, 16, v9
	v_cndmask_b32_e32 v7, 0x7fc0, v9, vcc_lo
	s_branch .LBB152_1331
.LBB152_1329:
	s_mov_b32 s0, -1
                                        ; implicit-def: $vgpr7
	s_branch .LBB152_1334
.LBB152_1330:
	s_mov_b32 s0, -1
                                        ; implicit-def: $vgpr7
.LBB152_1331:
	s_delay_alu instid0(SALU_CYCLE_1)
	s_and_not1_b32 vcc_lo, exec_lo, s0
	s_cbranch_vccnz .LBB152_1333
; %bb.1332:
	global_load_b32 v7, v[0:1], off
	s_waitcnt vmcnt(0)
	v_bfe_u32 v9, v7, 16, 1
	v_cmp_o_f32_e32 vcc_lo, v7, v7
	s_delay_alu instid0(VALU_DEP_2) | instskip(NEXT) | instid1(VALU_DEP_1)
	v_add3_u32 v9, v7, v9, 0x7fff
	v_lshrrev_b32_e32 v9, 16, v9
	s_delay_alu instid0(VALU_DEP_1)
	v_cndmask_b32_e32 v7, 0x7fc0, v9, vcc_lo
.LBB152_1333:
	s_mov_b32 s0, 0
.LBB152_1334:
	s_delay_alu instid0(SALU_CYCLE_1)
	s_and_not1_b32 vcc_lo, exec_lo, s0
	s_cbranch_vccnz .LBB152_1336
; %bb.1335:
	global_load_u16 v7, v[0:1], off
	s_waitcnt vmcnt(0)
	v_cvt_f32_f16_e32 v9, v7
	v_cmp_o_f16_e32 vcc_lo, v7, v7
	s_delay_alu instid0(VALU_DEP_2) | instskip(NEXT) | instid1(VALU_DEP_1)
	v_bfe_u32 v10, v9, 16, 1
	v_add3_u32 v9, v9, v10, 0x7fff
	s_delay_alu instid0(VALU_DEP_1) | instskip(NEXT) | instid1(VALU_DEP_1)
	v_lshrrev_b32_e32 v9, 16, v9
	v_cndmask_b32_e32 v7, 0x7fc0, v9, vcc_lo
.LBB152_1336:
	s_mov_b32 s0, 0
.LBB152_1337:
	s_delay_alu instid0(SALU_CYCLE_1)
	s_and_not1_b32 vcc_lo, exec_lo, s0
	s_cbranch_vccnz .LBB152_1357
; %bb.1338:
	v_cmp_gt_i16_e32 vcc_lo, 2, v4
	s_cbranch_vccnz .LBB152_1342
; %bb.1339:
	v_cmp_gt_i16_e32 vcc_lo, 3, v4
	s_cbranch_vccnz .LBB152_1343
; %bb.1340:
	v_cmp_lt_i16_e32 vcc_lo, 3, v4
	s_cbranch_vccz .LBB152_1344
; %bb.1341:
	global_load_b64 v[9:10], v[0:1], off
	s_mov_b32 s0, 0
	s_waitcnt vmcnt(0)
	v_xor_b32_e32 v7, v9, v10
	v_cls_i32_e32 v11, v10
	s_delay_alu instid0(VALU_DEP_2) | instskip(NEXT) | instid1(VALU_DEP_2)
	v_ashrrev_i32_e32 v7, 31, v7
	v_add_nc_u32_e32 v11, -1, v11
	s_delay_alu instid0(VALU_DEP_2) | instskip(NEXT) | instid1(VALU_DEP_1)
	v_add_nc_u32_e32 v7, 32, v7
	v_min_u32_e32 v7, v11, v7
	s_delay_alu instid0(VALU_DEP_1) | instskip(SKIP_1) | instid1(VALU_DEP_2)
	v_lshlrev_b64 v[9:10], v7, v[9:10]
	v_sub_nc_u32_e32 v7, 32, v7
	v_min_u32_e32 v9, 1, v9
	s_delay_alu instid0(VALU_DEP_1) | instskip(NEXT) | instid1(VALU_DEP_1)
	v_or_b32_e32 v9, v10, v9
	v_cvt_f32_i32_e32 v9, v9
	s_delay_alu instid0(VALU_DEP_1) | instskip(NEXT) | instid1(VALU_DEP_1)
	v_ldexp_f32 v7, v9, v7
	v_bfe_u32 v9, v7, 16, 1
	s_delay_alu instid0(VALU_DEP_1) | instskip(NEXT) | instid1(VALU_DEP_1)
	v_add3_u32 v7, v7, v9, 0x7fff
	v_lshrrev_b32_e32 v7, 16, v7
	s_branch .LBB152_1345
.LBB152_1342:
	s_mov_b32 s0, -1
                                        ; implicit-def: $vgpr7
	s_branch .LBB152_1351
.LBB152_1343:
	s_mov_b32 s0, -1
                                        ; implicit-def: $vgpr7
	s_branch .LBB152_1348
.LBB152_1344:
	s_mov_b32 s0, -1
                                        ; implicit-def: $vgpr7
.LBB152_1345:
	s_delay_alu instid0(SALU_CYCLE_1)
	s_and_not1_b32 vcc_lo, exec_lo, s0
	s_cbranch_vccnz .LBB152_1347
; %bb.1346:
	global_load_b32 v7, v[0:1], off
	s_waitcnt vmcnt(0)
	v_cvt_f32_i32_e32 v7, v7
	s_delay_alu instid0(VALU_DEP_1) | instskip(NEXT) | instid1(VALU_DEP_1)
	v_bfe_u32 v9, v7, 16, 1
	v_add3_u32 v7, v7, v9, 0x7fff
	s_delay_alu instid0(VALU_DEP_1)
	v_lshrrev_b32_e32 v7, 16, v7
.LBB152_1347:
	s_mov_b32 s0, 0
.LBB152_1348:
	s_delay_alu instid0(SALU_CYCLE_1)
	s_and_not1_b32 vcc_lo, exec_lo, s0
	s_cbranch_vccnz .LBB152_1350
; %bb.1349:
	global_load_i16 v7, v[0:1], off
	s_waitcnt vmcnt(0)
	v_cvt_f32_i32_e32 v7, v7
	s_delay_alu instid0(VALU_DEP_1) | instskip(NEXT) | instid1(VALU_DEP_1)
	v_bfe_u32 v9, v7, 16, 1
	v_add3_u32 v7, v7, v9, 0x7fff
	s_delay_alu instid0(VALU_DEP_1)
	v_lshrrev_b32_e32 v7, 16, v7
.LBB152_1350:
	s_mov_b32 s0, 0
.LBB152_1351:
	s_delay_alu instid0(SALU_CYCLE_1)
	s_and_not1_b32 vcc_lo, exec_lo, s0
	s_cbranch_vccnz .LBB152_1357
; %bb.1352:
	v_cmp_lt_i16_e32 vcc_lo, 0, v4
	s_mov_b32 s0, 0
	s_cbranch_vccz .LBB152_1354
; %bb.1353:
	global_load_i8 v7, v[0:1], off
	s_waitcnt vmcnt(0)
	v_cvt_f32_i32_e32 v7, v7
	s_delay_alu instid0(VALU_DEP_1) | instskip(NEXT) | instid1(VALU_DEP_1)
	v_bfe_u32 v9, v7, 16, 1
	v_add3_u32 v7, v7, v9, 0x7fff
	s_delay_alu instid0(VALU_DEP_1)
	v_lshrrev_b32_e32 v7, 16, v7
	s_branch .LBB152_1355
.LBB152_1354:
	s_mov_b32 s0, -1
                                        ; implicit-def: $vgpr7
.LBB152_1355:
	s_delay_alu instid0(SALU_CYCLE_1)
	s_and_not1_b32 vcc_lo, exec_lo, s0
	s_cbranch_vccnz .LBB152_1357
; %bb.1356:
	global_load_u8 v0, v[0:1], off
	s_waitcnt vmcnt(0)
	v_cvt_f32_ubyte0_e32 v0, v0
	s_delay_alu instid0(VALU_DEP_1) | instskip(NEXT) | instid1(VALU_DEP_1)
	v_bfe_u32 v1, v0, 16, 1
	v_add3_u32 v0, v0, v1, 0x7fff
	s_delay_alu instid0(VALU_DEP_1)
	v_lshrrev_b32_e32 v7, 16, v0
.LBB152_1357:
	s_branch .LBB152_1429
.LBB152_1358:
	s_trap 2
	s_sendmsg_rtn_b32 s0, sendmsg(MSG_RTN_GET_DOORBELL)
	s_mov_b32 ttmp2, m0
	s_waitcnt lgkmcnt(0)
	s_and_b32 s0, s0, 0x3ff
	s_delay_alu instid0(SALU_CYCLE_1) | instskip(NEXT) | instid1(SALU_CYCLE_1)
	s_bitset1_b32 s0, 10
	s_mov_b32 m0, s0
	s_sendmsg sendmsg(MSG_INTERRUPT)
	s_mov_b32 m0, ttmp2
.LBB152_1359:                           ; =>This Inner Loop Header: Depth=1
	s_sethalt 5
	s_branch .LBB152_1359
.LBB152_1360:
	s_mov_b32 s0, -1
	s_mov_b32 s11, 0
.LBB152_1361:
                                        ; implicit-def: $vgpr7
.LBB152_1362:
	s_and_b32 vcc_lo, exec_lo, s12
	s_cbranch_vccz .LBB152_1366
; %bb.1363:
	v_cmp_eq_u16_e32 vcc_lo, 44, v4
	s_cbranch_vccz .LBB152_1365
; %bb.1364:
	global_load_u8 v7, v[0:1], off
	s_mov_b32 s0, 0
	s_mov_b32 s11, -1
	s_waitcnt vmcnt(0)
	v_lshlrev_b32_e32 v9, 23, v7
	v_cmp_ne_u32_e32 vcc_lo, 0xff, v7
	s_delay_alu instid0(VALU_DEP_2) | instskip(SKIP_1) | instid1(VALU_DEP_2)
	v_cndmask_b32_e32 v9, 0x7f800001, v9, vcc_lo
	v_cmp_ne_u32_e32 vcc_lo, 0, v7
	v_cndmask_b32_e32 v7, 0x400000, v9, vcc_lo
	s_delay_alu instid0(VALU_DEP_1) | instskip(SKIP_1) | instid1(VALU_DEP_2)
	v_add_nc_u32_e32 v9, 0x7fff, v7
	v_cmp_o_f32_e32 vcc_lo, v7, v7
	v_lshrrev_b32_e32 v9, 16, v9
	s_delay_alu instid0(VALU_DEP_1)
	v_cndmask_b32_e32 v7, 0x7fc0, v9, vcc_lo
	s_branch .LBB152_1366
.LBB152_1365:
	s_mov_b32 s0, -1
                                        ; implicit-def: $vgpr7
.LBB152_1366:
	s_mov_b32 s12, 0
.LBB152_1367:
	s_delay_alu instid0(SALU_CYCLE_1)
	s_and_b32 vcc_lo, exec_lo, s12
	s_cbranch_vccz .LBB152_1371
; %bb.1368:
	v_cmp_eq_u16_e32 vcc_lo, 29, v4
	s_cbranch_vccz .LBB152_1370
; %bb.1369:
	global_load_b64 v[9:10], v[0:1], off
	s_mov_b32 s0, 0
	s_mov_b32 s11, -1
	s_mov_b32 s12, 0
	s_waitcnt vmcnt(0)
	v_clz_i32_u32_e32 v7, v10
	s_delay_alu instid0(VALU_DEP_1) | instskip(NEXT) | instid1(VALU_DEP_1)
	v_min_u32_e32 v7, 32, v7
	v_lshlrev_b64 v[9:10], v7, v[9:10]
	v_sub_nc_u32_e32 v7, 32, v7
	s_delay_alu instid0(VALU_DEP_2) | instskip(NEXT) | instid1(VALU_DEP_1)
	v_min_u32_e32 v9, 1, v9
	v_or_b32_e32 v9, v10, v9
	s_delay_alu instid0(VALU_DEP_1) | instskip(NEXT) | instid1(VALU_DEP_1)
	v_cvt_f32_u32_e32 v9, v9
	v_ldexp_f32 v7, v9, v7
	s_delay_alu instid0(VALU_DEP_1) | instskip(NEXT) | instid1(VALU_DEP_1)
	v_bfe_u32 v9, v7, 16, 1
	v_add3_u32 v7, v7, v9, 0x7fff
	s_delay_alu instid0(VALU_DEP_1)
	v_lshrrev_b32_e32 v7, 16, v7
	s_branch .LBB152_1372
.LBB152_1370:
	s_mov_b32 s0, -1
                                        ; implicit-def: $vgpr7
.LBB152_1371:
	s_mov_b32 s12, 0
.LBB152_1372:
	s_delay_alu instid0(SALU_CYCLE_1)
	s_and_b32 vcc_lo, exec_lo, s12
	s_cbranch_vccz .LBB152_1390
; %bb.1373:
	v_cmp_gt_i16_e32 vcc_lo, 27, v4
	s_cbranch_vccnz .LBB152_1376
; %bb.1374:
	v_cmp_lt_i16_e32 vcc_lo, 27, v4
	s_cbranch_vccz .LBB152_1377
; %bb.1375:
	global_load_b32 v7, v[0:1], off
	s_mov_b32 s11, 0
	s_waitcnt vmcnt(0)
	v_cvt_f32_u32_e32 v7, v7
	s_delay_alu instid0(VALU_DEP_1) | instskip(NEXT) | instid1(VALU_DEP_1)
	v_bfe_u32 v9, v7, 16, 1
	v_add3_u32 v7, v7, v9, 0x7fff
	s_delay_alu instid0(VALU_DEP_1)
	v_lshrrev_b32_e32 v7, 16, v7
	s_branch .LBB152_1378
.LBB152_1376:
	s_mov_b32 s11, -1
                                        ; implicit-def: $vgpr7
	s_branch .LBB152_1381
.LBB152_1377:
	s_mov_b32 s11, -1
                                        ; implicit-def: $vgpr7
.LBB152_1378:
	s_delay_alu instid0(SALU_CYCLE_1)
	s_and_not1_b32 vcc_lo, exec_lo, s11
	s_cbranch_vccnz .LBB152_1380
; %bb.1379:
	global_load_u16 v7, v[0:1], off
	s_waitcnt vmcnt(0)
	v_cvt_f32_u32_e32 v7, v7
	s_delay_alu instid0(VALU_DEP_1) | instskip(NEXT) | instid1(VALU_DEP_1)
	v_bfe_u32 v9, v7, 16, 1
	v_add3_u32 v7, v7, v9, 0x7fff
	s_delay_alu instid0(VALU_DEP_1)
	v_lshrrev_b32_e32 v7, 16, v7
.LBB152_1380:
	s_mov_b32 s11, 0
.LBB152_1381:
	s_delay_alu instid0(SALU_CYCLE_1)
	s_and_not1_b32 vcc_lo, exec_lo, s11
	s_cbranch_vccnz .LBB152_1389
; %bb.1382:
	global_load_u8 v7, v[0:1], off
	s_mov_b32 s11, 0
	s_mov_b32 s13, exec_lo
                                        ; implicit-def: $sgpr12
	s_waitcnt vmcnt(0)
	v_cmpx_lt_i16_e32 0x7f, v7
	s_xor_b32 s13, exec_lo, s13
	s_cbranch_execz .LBB152_1403
; %bb.1383:
	s_mov_b32 s11, -1
	s_mov_b32 s14, exec_lo
                                        ; implicit-def: $sgpr12
	v_cmpx_eq_u16_e32 0x80, v7
; %bb.1384:
	s_mov_b32 s12, 0x7f800001
	s_xor_b32 s11, exec_lo, -1
; %bb.1385:
	s_or_b32 exec_lo, exec_lo, s14
	s_delay_alu instid0(SALU_CYCLE_1)
	s_and_b32 s11, s11, exec_lo
	s_or_saveexec_b32 s13, s13
	v_mov_b32_e32 v9, s12
	s_xor_b32 exec_lo, exec_lo, s13
	s_cbranch_execnz .LBB152_1404
.LBB152_1386:
	s_or_b32 exec_lo, exec_lo, s13
	s_and_saveexec_b32 s12, s11
	s_cbranch_execz .LBB152_1388
.LBB152_1387:
	v_and_b32_e32 v9, 0xffff, v7
	v_lshlrev_b32_e32 v7, 24, v7
	s_delay_alu instid0(VALU_DEP_2) | instskip(NEXT) | instid1(VALU_DEP_2)
	v_and_b32_e32 v10, 7, v9
	v_and_b32_e32 v7, 0x80000000, v7
	s_delay_alu instid0(VALU_DEP_2) | instskip(NEXT) | instid1(VALU_DEP_1)
	v_clz_i32_u32_e32 v11, v10
	v_min_u32_e32 v11, 32, v11
	s_delay_alu instid0(VALU_DEP_1) | instskip(SKIP_1) | instid1(VALU_DEP_2)
	v_subrev_nc_u32_e32 v12, 28, v11
	v_sub_nc_u32_e32 v11, 29, v11
	v_lshlrev_b32_e32 v12, v12, v9
	v_bfe_u32 v9, v9, 3, 4
	s_delay_alu instid0(VALU_DEP_2) | instskip(NEXT) | instid1(VALU_DEP_2)
	v_and_b32_e32 v12, 7, v12
	v_cmp_eq_u32_e32 vcc_lo, 0, v9
	s_delay_alu instid0(VALU_DEP_2) | instskip(NEXT) | instid1(VALU_DEP_1)
	v_dual_cndmask_b32 v9, v9, v11 :: v_dual_cndmask_b32 v10, v10, v12
	v_lshl_add_u32 v9, v9, 23, 0x3b800000
	s_delay_alu instid0(VALU_DEP_2) | instskip(NEXT) | instid1(VALU_DEP_1)
	v_lshlrev_b32_e32 v10, 20, v10
	v_or3_b32 v9, v7, v9, v10
.LBB152_1388:
	s_or_b32 exec_lo, exec_lo, s12
	s_delay_alu instid0(VALU_DEP_1) | instskip(SKIP_1) | instid1(VALU_DEP_2)
	v_bfe_u32 v7, v9, 16, 1
	v_cmp_o_f32_e32 vcc_lo, v9, v9
	v_add3_u32 v7, v9, v7, 0x7fff
	s_delay_alu instid0(VALU_DEP_1) | instskip(NEXT) | instid1(VALU_DEP_1)
	v_lshrrev_b32_e32 v7, 16, v7
	v_cndmask_b32_e32 v7, 0x7fc0, v7, vcc_lo
.LBB152_1389:
	s_mov_b32 s11, -1
.LBB152_1390:
	s_mov_b32 s12, 0
.LBB152_1391:
	s_delay_alu instid0(SALU_CYCLE_1)
	s_and_b32 vcc_lo, exec_lo, s12
	s_cbranch_vccz .LBB152_1424
; %bb.1392:
	v_cmp_lt_i16_e32 vcc_lo, 22, v4
	s_cbranch_vccz .LBB152_1402
; %bb.1393:
	v_cmp_gt_i16_e32 vcc_lo, 24, v4
	s_cbranch_vccnz .LBB152_1405
; %bb.1394:
	v_cmp_lt_i16_e32 vcc_lo, 24, v4
	s_cbranch_vccz .LBB152_1406
; %bb.1395:
	global_load_u8 v7, v[0:1], off
	s_mov_b32 s12, exec_lo
                                        ; implicit-def: $sgpr11
	s_waitcnt vmcnt(0)
	v_cmpx_lt_i16_e32 0x7f, v7
	s_xor_b32 s12, exec_lo, s12
	s_cbranch_execz .LBB152_1418
; %bb.1396:
	s_mov_b32 s10, -1
	s_mov_b32 s13, exec_lo
                                        ; implicit-def: $sgpr11
	v_cmpx_eq_u16_e32 0x80, v7
; %bb.1397:
	s_mov_b32 s11, 0x7f800001
	s_xor_b32 s10, exec_lo, -1
; %bb.1398:
	s_or_b32 exec_lo, exec_lo, s13
	s_delay_alu instid0(SALU_CYCLE_1)
	s_and_b32 s10, s10, exec_lo
	s_or_saveexec_b32 s12, s12
	v_mov_b32_e32 v9, s11
	s_xor_b32 exec_lo, exec_lo, s12
	s_cbranch_execnz .LBB152_1419
.LBB152_1399:
	s_or_b32 exec_lo, exec_lo, s12
	s_and_saveexec_b32 s11, s10
	s_cbranch_execz .LBB152_1401
.LBB152_1400:
	v_and_b32_e32 v9, 0xffff, v7
	v_lshlrev_b32_e32 v7, 24, v7
	s_delay_alu instid0(VALU_DEP_2) | instskip(NEXT) | instid1(VALU_DEP_2)
	v_and_b32_e32 v10, 3, v9
	v_and_b32_e32 v7, 0x80000000, v7
	s_delay_alu instid0(VALU_DEP_2) | instskip(NEXT) | instid1(VALU_DEP_1)
	v_clz_i32_u32_e32 v11, v10
	v_min_u32_e32 v11, 32, v11
	s_delay_alu instid0(VALU_DEP_1) | instskip(SKIP_1) | instid1(VALU_DEP_2)
	v_subrev_nc_u32_e32 v12, 29, v11
	v_sub_nc_u32_e32 v11, 30, v11
	v_lshlrev_b32_e32 v12, v12, v9
	v_bfe_u32 v9, v9, 2, 5
	s_delay_alu instid0(VALU_DEP_2) | instskip(NEXT) | instid1(VALU_DEP_2)
	v_and_b32_e32 v12, 3, v12
	v_cmp_eq_u32_e32 vcc_lo, 0, v9
	s_delay_alu instid0(VALU_DEP_2) | instskip(NEXT) | instid1(VALU_DEP_1)
	v_dual_cndmask_b32 v9, v9, v11 :: v_dual_cndmask_b32 v10, v10, v12
	v_lshl_add_u32 v9, v9, 23, 0x37800000
	s_delay_alu instid0(VALU_DEP_2) | instskip(NEXT) | instid1(VALU_DEP_1)
	v_lshlrev_b32_e32 v10, 21, v10
	v_or3_b32 v9, v7, v9, v10
.LBB152_1401:
	s_or_b32 exec_lo, exec_lo, s11
	s_delay_alu instid0(VALU_DEP_1) | instskip(SKIP_2) | instid1(VALU_DEP_2)
	v_bfe_u32 v7, v9, 16, 1
	v_cmp_o_f32_e32 vcc_lo, v9, v9
	s_mov_b32 s10, 0
	v_add3_u32 v7, v9, v7, 0x7fff
	s_delay_alu instid0(VALU_DEP_1) | instskip(NEXT) | instid1(VALU_DEP_1)
	v_lshrrev_b32_e32 v7, 16, v7
	v_cndmask_b32_e32 v7, 0x7fc0, v7, vcc_lo
	s_branch .LBB152_1407
.LBB152_1402:
	s_mov_b32 s10, -1
                                        ; implicit-def: $vgpr7
	s_branch .LBB152_1413
.LBB152_1403:
	s_or_saveexec_b32 s13, s13
	v_mov_b32_e32 v9, s12
	s_xor_b32 exec_lo, exec_lo, s13
	s_cbranch_execz .LBB152_1386
.LBB152_1404:
	v_cmp_ne_u16_e32 vcc_lo, 0, v7
	v_mov_b32_e32 v9, 0
	s_and_not1_b32 s11, s11, exec_lo
	s_and_b32 s12, vcc_lo, exec_lo
	s_delay_alu instid0(SALU_CYCLE_1)
	s_or_b32 s11, s11, s12
	s_or_b32 exec_lo, exec_lo, s13
	s_and_saveexec_b32 s12, s11
	s_cbranch_execnz .LBB152_1387
	s_branch .LBB152_1388
.LBB152_1405:
	s_mov_b32 s10, -1
                                        ; implicit-def: $vgpr7
	s_branch .LBB152_1410
.LBB152_1406:
	s_mov_b32 s10, -1
                                        ; implicit-def: $vgpr7
.LBB152_1407:
	s_delay_alu instid0(SALU_CYCLE_1)
	s_and_b32 vcc_lo, exec_lo, s10
	s_cbranch_vccz .LBB152_1409
; %bb.1408:
	global_load_u8 v7, v[0:1], off
	s_waitcnt vmcnt(0)
	v_lshlrev_b32_e32 v7, 24, v7
	s_delay_alu instid0(VALU_DEP_1) | instskip(NEXT) | instid1(VALU_DEP_1)
	v_and_b32_e32 v9, 0x7f000000, v7
	v_clz_i32_u32_e32 v10, v9
	v_cmp_ne_u32_e32 vcc_lo, 0, v9
	v_add_nc_u32_e32 v12, 0x1000000, v9
	s_delay_alu instid0(VALU_DEP_3) | instskip(NEXT) | instid1(VALU_DEP_1)
	v_min_u32_e32 v10, 32, v10
	v_sub_nc_u32_e64 v10, v10, 4 clamp
	s_delay_alu instid0(VALU_DEP_1) | instskip(SKIP_1) | instid1(VALU_DEP_2)
	v_lshlrev_b32_e32 v11, v10, v9
	v_lshlrev_b32_e32 v10, 23, v10
	v_lshrrev_b32_e32 v11, 4, v11
	s_delay_alu instid0(VALU_DEP_1) | instskip(SKIP_1) | instid1(VALU_DEP_2)
	v_sub_nc_u32_e32 v10, v11, v10
	v_ashrrev_i32_e32 v11, 8, v12
	v_add_nc_u32_e32 v10, 0x3c000000, v10
	s_delay_alu instid0(VALU_DEP_1) | instskip(NEXT) | instid1(VALU_DEP_1)
	v_and_or_b32 v10, 0x7f800000, v11, v10
	v_cndmask_b32_e32 v9, 0, v10, vcc_lo
	s_delay_alu instid0(VALU_DEP_1) | instskip(SKIP_1) | instid1(VALU_DEP_2)
	v_and_or_b32 v7, 0x80000000, v7, v9
	v_bfe_u32 v9, v9, 16, 1
	v_cmp_o_f32_e32 vcc_lo, v7, v7
	s_delay_alu instid0(VALU_DEP_2) | instskip(NEXT) | instid1(VALU_DEP_1)
	v_add3_u32 v9, v7, v9, 0x7fff
	v_lshrrev_b32_e32 v9, 16, v9
	s_delay_alu instid0(VALU_DEP_1)
	v_cndmask_b32_e32 v7, 0x7fc0, v9, vcc_lo
.LBB152_1409:
	s_mov_b32 s10, 0
.LBB152_1410:
	s_delay_alu instid0(SALU_CYCLE_1)
	s_and_not1_b32 vcc_lo, exec_lo, s10
	s_cbranch_vccnz .LBB152_1412
; %bb.1411:
	global_load_u8 v7, v[0:1], off
	s_waitcnt vmcnt(0)
	v_lshlrev_b32_e32 v9, 25, v7
	v_lshlrev_b16 v7, 8, v7
	s_delay_alu instid0(VALU_DEP_2) | instskip(NEXT) | instid1(VALU_DEP_2)
	v_lshrrev_b32_e32 v10, 4, v9
	v_and_or_b32 v11, 0x7f00, v7, 0.5
	v_bfe_i32 v7, v7, 0, 16
	s_delay_alu instid0(VALU_DEP_3) | instskip(NEXT) | instid1(VALU_DEP_1)
	v_or_b32_e32 v10, 0x70000000, v10
	v_dual_add_f32 v11, -0.5, v11 :: v_dual_mul_f32 v10, 0x7800000, v10
	v_cmp_gt_u32_e32 vcc_lo, 0x8000000, v9
	s_delay_alu instid0(VALU_DEP_2) | instskip(NEXT) | instid1(VALU_DEP_1)
	v_cndmask_b32_e32 v9, v10, v11, vcc_lo
	v_and_or_b32 v7, 0x80000000, v7, v9
	v_bfe_u32 v9, v9, 16, 1
	s_delay_alu instid0(VALU_DEP_2) | instskip(NEXT) | instid1(VALU_DEP_2)
	v_cmp_o_f32_e32 vcc_lo, v7, v7
	v_add3_u32 v9, v7, v9, 0x7fff
	s_delay_alu instid0(VALU_DEP_1) | instskip(NEXT) | instid1(VALU_DEP_1)
	v_lshrrev_b32_e32 v9, 16, v9
	v_cndmask_b32_e32 v7, 0x7fc0, v9, vcc_lo
.LBB152_1412:
	s_mov_b32 s10, 0
	s_mov_b32 s11, -1
.LBB152_1413:
	s_and_not1_b32 vcc_lo, exec_lo, s10
	s_mov_b32 s10, 0
	s_cbranch_vccnz .LBB152_1424
; %bb.1414:
	v_cmp_lt_i16_e32 vcc_lo, 14, v4
	s_cbranch_vccz .LBB152_1417
; %bb.1415:
	v_cmp_eq_u16_e32 vcc_lo, 15, v4
	s_cbranch_vccz .LBB152_1420
; %bb.1416:
	global_load_u16 v7, v[0:1], off
	s_mov_b32 s0, 0
	s_mov_b32 s11, -1
	s_branch .LBB152_1422
.LBB152_1417:
	s_mov_b32 s10, -1
	s_branch .LBB152_1421
.LBB152_1418:
	s_or_saveexec_b32 s12, s12
	v_mov_b32_e32 v9, s11
	s_xor_b32 exec_lo, exec_lo, s12
	s_cbranch_execz .LBB152_1399
.LBB152_1419:
	v_cmp_ne_u16_e32 vcc_lo, 0, v7
	v_mov_b32_e32 v9, 0
	s_and_not1_b32 s10, s10, exec_lo
	s_and_b32 s11, vcc_lo, exec_lo
	s_delay_alu instid0(SALU_CYCLE_1)
	s_or_b32 s10, s10, s11
	s_or_b32 exec_lo, exec_lo, s12
	s_and_saveexec_b32 s11, s10
	s_cbranch_execnz .LBB152_1400
	s_branch .LBB152_1401
.LBB152_1420:
	s_mov_b32 s0, -1
.LBB152_1421:
                                        ; implicit-def: $vgpr7
.LBB152_1422:
	s_and_b32 vcc_lo, exec_lo, s10
	s_mov_b32 s10, 0
	s_cbranch_vccz .LBB152_1424
; %bb.1423:
	v_cmp_ne_u16_e64 s0, 11, v4
	s_mov_b32 s10, -1
                                        ; implicit-def: $vgpr7
.LBB152_1424:
	s_delay_alu instid0(VALU_DEP_1)
	s_and_b32 vcc_lo, exec_lo, s0
	s_cbranch_vccnz .LBB152_1440
; %bb.1425:
	s_and_not1_b32 vcc_lo, exec_lo, s10
	s_cbranch_vccnz .LBB152_1427
.LBB152_1426:
	global_load_u8 v7, v[0:1], off
	s_mov_b32 s11, -1
	s_waitcnt vmcnt(0)
	v_cmp_ne_u16_e32 vcc_lo, 0, v7
	v_cndmask_b32_e64 v7, 0, 1.0, vcc_lo
	s_delay_alu instid0(VALU_DEP_1)
	v_lshrrev_b32_e32 v7, 16, v7
.LBB152_1427:
.LBB152_1428:
	s_and_not1_b32 vcc_lo, exec_lo, s11
	s_cbranch_vccnz .LBB152_1996
.LBB152_1429:
	v_add_nc_u32_e32 v0, s3, v8
	v_cmp_gt_i16_e32 vcc_lo, 11, v4
	s_delay_alu instid0(VALU_DEP_2) | instskip(SKIP_1) | instid1(VALU_DEP_1)
	v_ashrrev_i32_e32 v1, 31, v0
	v_add_co_u32 v0, s0, s6, v0
	v_add_co_ci_u32_e64 v1, s0, s7, v1, s0
	s_cbranch_vccnz .LBB152_1436
; %bb.1430:
	v_cmp_lt_i16_e32 vcc_lo, 25, v4
	s_mov_b32 s3, 0
	s_cbranch_vccz .LBB152_1437
; %bb.1431:
	v_cmp_lt_i16_e32 vcc_lo, 28, v4
	s_cbranch_vccz .LBB152_1438
; %bb.1432:
	v_cmp_lt_i16_e32 vcc_lo, 43, v4
	;; [unrolled: 3-line block ×3, first 2 shown]
	s_cbranch_vccz .LBB152_1442
; %bb.1434:
	v_cmp_eq_u16_e32 vcc_lo, 46, v4
	s_mov_b32 s7, 0
	s_cbranch_vccz .LBB152_1445
; %bb.1435:
	global_load_b32 v8, v[0:1], off
	s_mov_b32 s0, 0
	s_mov_b32 s6, -1
	s_branch .LBB152_1447
.LBB152_1436:
	s_mov_b32 s0, -1
	s_mov_b32 s6, 0
                                        ; implicit-def: $vgpr8
	s_branch .LBB152_1513
.LBB152_1437:
	s_mov_b32 s7, -1
	s_mov_b32 s6, 0
	s_mov_b32 s0, 0
                                        ; implicit-def: $vgpr8
	s_branch .LBB152_1476
.LBB152_1438:
	s_mov_b32 s7, -1
	s_mov_b32 s6, 0
	s_mov_b32 s0, 0
                                        ; implicit-def: $vgpr8
	s_branch .LBB152_1457
.LBB152_1439:
	s_mov_b32 s7, -1
	s_mov_b32 s6, 0
	s_mov_b32 s0, 0
                                        ; implicit-def: $vgpr8
	s_branch .LBB152_1452
.LBB152_1440:
	s_cbranch_execnz .LBB152_1443
; %bb.1441:
	s_or_b32 s1, s1, exec_lo
                                        ; implicit-def: $vgpr7
	s_cbranch_execz .LBB152_1426
	s_branch .LBB152_1427
.LBB152_1442:
	s_mov_b32 s7, -1
	s_mov_b32 s6, 0
	s_mov_b32 s0, 0
	s_branch .LBB152_1446
.LBB152_1443:
	s_trap 2
	s_sendmsg_rtn_b32 s0, sendmsg(MSG_RTN_GET_DOORBELL)
	s_mov_b32 ttmp2, m0
	s_waitcnt lgkmcnt(0)
	s_and_b32 s0, s0, 0x3ff
	s_delay_alu instid0(SALU_CYCLE_1) | instskip(NEXT) | instid1(SALU_CYCLE_1)
	s_bitset1_b32 s0, 10
	s_mov_b32 m0, s0
	s_sendmsg sendmsg(MSG_INTERRUPT)
	s_mov_b32 m0, ttmp2
.LBB152_1444:                           ; =>This Inner Loop Header: Depth=1
	s_sethalt 5
	s_branch .LBB152_1444
.LBB152_1445:
	s_mov_b32 s0, -1
	s_mov_b32 s6, 0
.LBB152_1446:
                                        ; implicit-def: $vgpr8
.LBB152_1447:
	s_and_b32 vcc_lo, exec_lo, s7
	s_cbranch_vccz .LBB152_1451
; %bb.1448:
	v_cmp_eq_u16_e32 vcc_lo, 44, v4
	s_cbranch_vccz .LBB152_1450
; %bb.1449:
	global_load_u8 v8, v[0:1], off
	s_mov_b32 s0, 0
	s_mov_b32 s6, -1
	s_waitcnt vmcnt(0)
	v_lshlrev_b32_e32 v9, 23, v8
	v_cmp_ne_u32_e32 vcc_lo, 0xff, v8
	s_delay_alu instid0(VALU_DEP_2) | instskip(SKIP_1) | instid1(VALU_DEP_2)
	v_cndmask_b32_e32 v9, 0x7f800001, v9, vcc_lo
	v_cmp_ne_u32_e32 vcc_lo, 0, v8
	v_cndmask_b32_e32 v8, 0x400000, v9, vcc_lo
	s_delay_alu instid0(VALU_DEP_1) | instskip(SKIP_1) | instid1(VALU_DEP_2)
	v_add_nc_u32_e32 v9, 0x7fff, v8
	v_cmp_o_f32_e32 vcc_lo, v8, v8
	v_lshrrev_b32_e32 v9, 16, v9
	s_delay_alu instid0(VALU_DEP_1)
	v_cndmask_b32_e32 v8, 0x7fc0, v9, vcc_lo
	s_branch .LBB152_1451
.LBB152_1450:
	s_mov_b32 s0, -1
                                        ; implicit-def: $vgpr8
.LBB152_1451:
	s_mov_b32 s7, 0
.LBB152_1452:
	s_delay_alu instid0(SALU_CYCLE_1)
	s_and_b32 vcc_lo, exec_lo, s7
	s_cbranch_vccz .LBB152_1456
; %bb.1453:
	v_cmp_eq_u16_e32 vcc_lo, 29, v4
	s_cbranch_vccz .LBB152_1455
; %bb.1454:
	global_load_b64 v[8:9], v[0:1], off
	s_mov_b32 s0, 0
	s_mov_b32 s6, -1
	s_mov_b32 s7, 0
	s_waitcnt vmcnt(0)
	v_clz_i32_u32_e32 v10, v9
	s_delay_alu instid0(VALU_DEP_1) | instskip(NEXT) | instid1(VALU_DEP_1)
	v_min_u32_e32 v10, 32, v10
	v_lshlrev_b64 v[8:9], v10, v[8:9]
	s_delay_alu instid0(VALU_DEP_1) | instskip(NEXT) | instid1(VALU_DEP_1)
	v_min_u32_e32 v8, 1, v8
	v_or_b32_e32 v8, v9, v8
	v_sub_nc_u32_e32 v9, 32, v10
	s_delay_alu instid0(VALU_DEP_2) | instskip(NEXT) | instid1(VALU_DEP_1)
	v_cvt_f32_u32_e32 v8, v8
	v_ldexp_f32 v8, v8, v9
	s_delay_alu instid0(VALU_DEP_1) | instskip(NEXT) | instid1(VALU_DEP_1)
	v_bfe_u32 v9, v8, 16, 1
	v_add3_u32 v8, v8, v9, 0x7fff
	s_delay_alu instid0(VALU_DEP_1)
	v_lshrrev_b32_e32 v8, 16, v8
	s_branch .LBB152_1457
.LBB152_1455:
	s_mov_b32 s0, -1
                                        ; implicit-def: $vgpr8
.LBB152_1456:
	s_mov_b32 s7, 0
.LBB152_1457:
	s_delay_alu instid0(SALU_CYCLE_1)
	s_and_b32 vcc_lo, exec_lo, s7
	s_cbranch_vccz .LBB152_1475
; %bb.1458:
	v_cmp_gt_i16_e32 vcc_lo, 27, v4
	s_cbranch_vccnz .LBB152_1461
; %bb.1459:
	v_cmp_lt_i16_e32 vcc_lo, 27, v4
	s_cbranch_vccz .LBB152_1462
; %bb.1460:
	global_load_b32 v8, v[0:1], off
	s_mov_b32 s6, 0
	s_waitcnt vmcnt(0)
	v_cvt_f32_u32_e32 v8, v8
	s_delay_alu instid0(VALU_DEP_1) | instskip(NEXT) | instid1(VALU_DEP_1)
	v_bfe_u32 v9, v8, 16, 1
	v_add3_u32 v8, v8, v9, 0x7fff
	s_delay_alu instid0(VALU_DEP_1)
	v_lshrrev_b32_e32 v8, 16, v8
	s_branch .LBB152_1463
.LBB152_1461:
	s_mov_b32 s6, -1
                                        ; implicit-def: $vgpr8
	s_branch .LBB152_1466
.LBB152_1462:
	s_mov_b32 s6, -1
                                        ; implicit-def: $vgpr8
.LBB152_1463:
	s_delay_alu instid0(SALU_CYCLE_1)
	s_and_not1_b32 vcc_lo, exec_lo, s6
	s_cbranch_vccnz .LBB152_1465
; %bb.1464:
	global_load_u16 v8, v[0:1], off
	s_waitcnt vmcnt(0)
	v_cvt_f32_u32_e32 v8, v8
	s_delay_alu instid0(VALU_DEP_1) | instskip(NEXT) | instid1(VALU_DEP_1)
	v_bfe_u32 v9, v8, 16, 1
	v_add3_u32 v8, v8, v9, 0x7fff
	s_delay_alu instid0(VALU_DEP_1)
	v_lshrrev_b32_e32 v8, 16, v8
.LBB152_1465:
	s_mov_b32 s6, 0
.LBB152_1466:
	s_delay_alu instid0(SALU_CYCLE_1)
	s_and_not1_b32 vcc_lo, exec_lo, s6
	s_cbranch_vccnz .LBB152_1474
; %bb.1467:
	global_load_u8 v8, v[0:1], off
	s_mov_b32 s6, 0
	s_mov_b32 s10, exec_lo
                                        ; implicit-def: $sgpr7
	s_waitcnt vmcnt(0)
	v_cmpx_lt_i16_e32 0x7f, v8
	s_xor_b32 s10, exec_lo, s10
	s_cbranch_execz .LBB152_1488
; %bb.1468:
	s_mov_b32 s6, -1
	s_mov_b32 s11, exec_lo
                                        ; implicit-def: $sgpr7
	v_cmpx_eq_u16_e32 0x80, v8
; %bb.1469:
	s_mov_b32 s7, 0x7f800001
	s_xor_b32 s6, exec_lo, -1
; %bb.1470:
	s_or_b32 exec_lo, exec_lo, s11
	s_delay_alu instid0(SALU_CYCLE_1)
	s_and_b32 s6, s6, exec_lo
	s_or_saveexec_b32 s10, s10
	v_mov_b32_e32 v9, s7
	s_xor_b32 exec_lo, exec_lo, s10
	s_cbranch_execnz .LBB152_1489
.LBB152_1471:
	s_or_b32 exec_lo, exec_lo, s10
	s_and_saveexec_b32 s7, s6
	s_cbranch_execz .LBB152_1473
.LBB152_1472:
	v_and_b32_e32 v9, 0xffff, v8
	v_lshlrev_b32_e32 v8, 24, v8
	s_delay_alu instid0(VALU_DEP_2) | instskip(NEXT) | instid1(VALU_DEP_2)
	v_and_b32_e32 v10, 7, v9
	v_and_b32_e32 v8, 0x80000000, v8
	s_delay_alu instid0(VALU_DEP_2) | instskip(NEXT) | instid1(VALU_DEP_1)
	v_clz_i32_u32_e32 v11, v10
	v_min_u32_e32 v11, 32, v11
	s_delay_alu instid0(VALU_DEP_1) | instskip(SKIP_1) | instid1(VALU_DEP_2)
	v_subrev_nc_u32_e32 v12, 28, v11
	v_sub_nc_u32_e32 v11, 29, v11
	v_lshlrev_b32_e32 v12, v12, v9
	v_bfe_u32 v9, v9, 3, 4
	s_delay_alu instid0(VALU_DEP_2) | instskip(NEXT) | instid1(VALU_DEP_2)
	v_and_b32_e32 v12, 7, v12
	v_cmp_eq_u32_e32 vcc_lo, 0, v9
	s_delay_alu instid0(VALU_DEP_2) | instskip(NEXT) | instid1(VALU_DEP_1)
	v_dual_cndmask_b32 v9, v9, v11 :: v_dual_cndmask_b32 v10, v10, v12
	v_lshl_add_u32 v9, v9, 23, 0x3b800000
	s_delay_alu instid0(VALU_DEP_2) | instskip(NEXT) | instid1(VALU_DEP_1)
	v_lshlrev_b32_e32 v10, 20, v10
	v_or3_b32 v9, v8, v9, v10
.LBB152_1473:
	s_or_b32 exec_lo, exec_lo, s7
	s_delay_alu instid0(VALU_DEP_1) | instskip(SKIP_1) | instid1(VALU_DEP_2)
	v_bfe_u32 v8, v9, 16, 1
	v_cmp_o_f32_e32 vcc_lo, v9, v9
	v_add3_u32 v8, v9, v8, 0x7fff
	s_delay_alu instid0(VALU_DEP_1) | instskip(NEXT) | instid1(VALU_DEP_1)
	v_lshrrev_b32_e32 v8, 16, v8
	v_cndmask_b32_e32 v8, 0x7fc0, v8, vcc_lo
.LBB152_1474:
	s_mov_b32 s6, -1
.LBB152_1475:
	s_mov_b32 s7, 0
.LBB152_1476:
	s_delay_alu instid0(SALU_CYCLE_1)
	s_and_b32 vcc_lo, exec_lo, s7
	s_cbranch_vccz .LBB152_1509
; %bb.1477:
	v_cmp_lt_i16_e32 vcc_lo, 22, v4
	s_cbranch_vccz .LBB152_1487
; %bb.1478:
	v_cmp_gt_i16_e32 vcc_lo, 24, v4
	s_cbranch_vccnz .LBB152_1490
; %bb.1479:
	v_cmp_lt_i16_e32 vcc_lo, 24, v4
	s_cbranch_vccz .LBB152_1491
; %bb.1480:
	global_load_u8 v8, v[0:1], off
	s_mov_b32 s7, exec_lo
                                        ; implicit-def: $sgpr6
	s_waitcnt vmcnt(0)
	v_cmpx_lt_i16_e32 0x7f, v8
	s_xor_b32 s7, exec_lo, s7
	s_cbranch_execz .LBB152_1503
; %bb.1481:
	s_mov_b32 s3, -1
	s_mov_b32 s10, exec_lo
                                        ; implicit-def: $sgpr6
	v_cmpx_eq_u16_e32 0x80, v8
; %bb.1482:
	s_mov_b32 s6, 0x7f800001
	s_xor_b32 s3, exec_lo, -1
; %bb.1483:
	s_or_b32 exec_lo, exec_lo, s10
	s_delay_alu instid0(SALU_CYCLE_1)
	s_and_b32 s3, s3, exec_lo
	s_or_saveexec_b32 s7, s7
	v_mov_b32_e32 v9, s6
	s_xor_b32 exec_lo, exec_lo, s7
	s_cbranch_execnz .LBB152_1504
.LBB152_1484:
	s_or_b32 exec_lo, exec_lo, s7
	s_and_saveexec_b32 s6, s3
	s_cbranch_execz .LBB152_1486
.LBB152_1485:
	v_and_b32_e32 v9, 0xffff, v8
	v_lshlrev_b32_e32 v8, 24, v8
	s_delay_alu instid0(VALU_DEP_2) | instskip(NEXT) | instid1(VALU_DEP_2)
	v_and_b32_e32 v10, 3, v9
	v_and_b32_e32 v8, 0x80000000, v8
	s_delay_alu instid0(VALU_DEP_2) | instskip(NEXT) | instid1(VALU_DEP_1)
	v_clz_i32_u32_e32 v11, v10
	v_min_u32_e32 v11, 32, v11
	s_delay_alu instid0(VALU_DEP_1) | instskip(SKIP_1) | instid1(VALU_DEP_2)
	v_subrev_nc_u32_e32 v12, 29, v11
	v_sub_nc_u32_e32 v11, 30, v11
	v_lshlrev_b32_e32 v12, v12, v9
	v_bfe_u32 v9, v9, 2, 5
	s_delay_alu instid0(VALU_DEP_2) | instskip(NEXT) | instid1(VALU_DEP_2)
	v_and_b32_e32 v12, 3, v12
	v_cmp_eq_u32_e32 vcc_lo, 0, v9
	s_delay_alu instid0(VALU_DEP_2) | instskip(NEXT) | instid1(VALU_DEP_1)
	v_dual_cndmask_b32 v9, v9, v11 :: v_dual_cndmask_b32 v10, v10, v12
	v_lshl_add_u32 v9, v9, 23, 0x37800000
	s_delay_alu instid0(VALU_DEP_2) | instskip(NEXT) | instid1(VALU_DEP_1)
	v_lshlrev_b32_e32 v10, 21, v10
	v_or3_b32 v9, v8, v9, v10
.LBB152_1486:
	s_or_b32 exec_lo, exec_lo, s6
	s_delay_alu instid0(VALU_DEP_1) | instskip(SKIP_2) | instid1(VALU_DEP_2)
	v_bfe_u32 v8, v9, 16, 1
	v_cmp_o_f32_e32 vcc_lo, v9, v9
	s_mov_b32 s3, 0
	v_add3_u32 v8, v9, v8, 0x7fff
	s_delay_alu instid0(VALU_DEP_1) | instskip(NEXT) | instid1(VALU_DEP_1)
	v_lshrrev_b32_e32 v8, 16, v8
	v_cndmask_b32_e32 v8, 0x7fc0, v8, vcc_lo
	s_branch .LBB152_1492
.LBB152_1487:
	s_mov_b32 s3, -1
                                        ; implicit-def: $vgpr8
	s_branch .LBB152_1498
.LBB152_1488:
	s_or_saveexec_b32 s10, s10
	v_mov_b32_e32 v9, s7
	s_xor_b32 exec_lo, exec_lo, s10
	s_cbranch_execz .LBB152_1471
.LBB152_1489:
	v_cmp_ne_u16_e32 vcc_lo, 0, v8
	v_mov_b32_e32 v9, 0
	s_and_not1_b32 s6, s6, exec_lo
	s_and_b32 s7, vcc_lo, exec_lo
	s_delay_alu instid0(SALU_CYCLE_1)
	s_or_b32 s6, s6, s7
	s_or_b32 exec_lo, exec_lo, s10
	s_and_saveexec_b32 s7, s6
	s_cbranch_execnz .LBB152_1472
	s_branch .LBB152_1473
.LBB152_1490:
	s_mov_b32 s3, -1
                                        ; implicit-def: $vgpr8
	s_branch .LBB152_1495
.LBB152_1491:
	s_mov_b32 s3, -1
                                        ; implicit-def: $vgpr8
.LBB152_1492:
	s_delay_alu instid0(SALU_CYCLE_1)
	s_and_b32 vcc_lo, exec_lo, s3
	s_cbranch_vccz .LBB152_1494
; %bb.1493:
	global_load_u8 v8, v[0:1], off
	s_waitcnt vmcnt(0)
	v_lshlrev_b32_e32 v8, 24, v8
	s_delay_alu instid0(VALU_DEP_1) | instskip(NEXT) | instid1(VALU_DEP_1)
	v_and_b32_e32 v9, 0x7f000000, v8
	v_clz_i32_u32_e32 v10, v9
	v_add_nc_u32_e32 v12, 0x1000000, v9
	v_cmp_ne_u32_e32 vcc_lo, 0, v9
	s_delay_alu instid0(VALU_DEP_3) | instskip(NEXT) | instid1(VALU_DEP_1)
	v_min_u32_e32 v10, 32, v10
	v_sub_nc_u32_e64 v10, v10, 4 clamp
	s_delay_alu instid0(VALU_DEP_1) | instskip(SKIP_1) | instid1(VALU_DEP_2)
	v_lshlrev_b32_e32 v11, v10, v9
	v_lshlrev_b32_e32 v10, 23, v10
	v_lshrrev_b32_e32 v11, 4, v11
	s_delay_alu instid0(VALU_DEP_1) | instskip(SKIP_1) | instid1(VALU_DEP_2)
	v_sub_nc_u32_e32 v10, v11, v10
	v_ashrrev_i32_e32 v11, 8, v12
	v_add_nc_u32_e32 v10, 0x3c000000, v10
	s_delay_alu instid0(VALU_DEP_1) | instskip(NEXT) | instid1(VALU_DEP_1)
	v_and_or_b32 v10, 0x7f800000, v11, v10
	v_cndmask_b32_e32 v9, 0, v10, vcc_lo
	s_delay_alu instid0(VALU_DEP_1) | instskip(SKIP_1) | instid1(VALU_DEP_2)
	v_and_or_b32 v8, 0x80000000, v8, v9
	v_bfe_u32 v9, v9, 16, 1
	v_cmp_o_f32_e32 vcc_lo, v8, v8
	s_delay_alu instid0(VALU_DEP_2) | instskip(NEXT) | instid1(VALU_DEP_1)
	v_add3_u32 v9, v8, v9, 0x7fff
	v_lshrrev_b32_e32 v9, 16, v9
	s_delay_alu instid0(VALU_DEP_1)
	v_cndmask_b32_e32 v8, 0x7fc0, v9, vcc_lo
.LBB152_1494:
	s_mov_b32 s3, 0
.LBB152_1495:
	s_delay_alu instid0(SALU_CYCLE_1)
	s_and_not1_b32 vcc_lo, exec_lo, s3
	s_cbranch_vccnz .LBB152_1497
; %bb.1496:
	global_load_u8 v8, v[0:1], off
	s_waitcnt vmcnt(0)
	v_lshlrev_b32_e32 v9, 25, v8
	v_lshlrev_b16 v8, 8, v8
	s_delay_alu instid0(VALU_DEP_2) | instskip(NEXT) | instid1(VALU_DEP_2)
	v_lshrrev_b32_e32 v10, 4, v9
	v_and_or_b32 v11, 0x7f00, v8, 0.5
	v_bfe_i32 v8, v8, 0, 16
	s_delay_alu instid0(VALU_DEP_3) | instskip(NEXT) | instid1(VALU_DEP_1)
	v_or_b32_e32 v10, 0x70000000, v10
	v_dual_add_f32 v11, -0.5, v11 :: v_dual_mul_f32 v10, 0x7800000, v10
	v_cmp_gt_u32_e32 vcc_lo, 0x8000000, v9
	s_delay_alu instid0(VALU_DEP_2) | instskip(NEXT) | instid1(VALU_DEP_1)
	v_cndmask_b32_e32 v9, v10, v11, vcc_lo
	v_and_or_b32 v8, 0x80000000, v8, v9
	v_bfe_u32 v9, v9, 16, 1
	s_delay_alu instid0(VALU_DEP_2) | instskip(NEXT) | instid1(VALU_DEP_2)
	v_cmp_o_f32_e32 vcc_lo, v8, v8
	v_add3_u32 v9, v8, v9, 0x7fff
	s_delay_alu instid0(VALU_DEP_1) | instskip(NEXT) | instid1(VALU_DEP_1)
	v_lshrrev_b32_e32 v9, 16, v9
	v_cndmask_b32_e32 v8, 0x7fc0, v9, vcc_lo
.LBB152_1497:
	s_mov_b32 s3, 0
	s_mov_b32 s6, -1
.LBB152_1498:
	s_and_not1_b32 vcc_lo, exec_lo, s3
	s_mov_b32 s3, 0
	s_cbranch_vccnz .LBB152_1509
; %bb.1499:
	v_cmp_lt_i16_e32 vcc_lo, 14, v4
	s_cbranch_vccz .LBB152_1502
; %bb.1500:
	v_cmp_eq_u16_e32 vcc_lo, 15, v4
	s_cbranch_vccz .LBB152_1505
; %bb.1501:
	global_load_u16 v8, v[0:1], off
	s_mov_b32 s0, 0
	s_mov_b32 s6, -1
	s_branch .LBB152_1507
.LBB152_1502:
	s_mov_b32 s3, -1
	s_branch .LBB152_1506
.LBB152_1503:
	s_or_saveexec_b32 s7, s7
	v_mov_b32_e32 v9, s6
	s_xor_b32 exec_lo, exec_lo, s7
	s_cbranch_execz .LBB152_1484
.LBB152_1504:
	v_cmp_ne_u16_e32 vcc_lo, 0, v8
	v_mov_b32_e32 v9, 0
	s_and_not1_b32 s3, s3, exec_lo
	s_and_b32 s6, vcc_lo, exec_lo
	s_delay_alu instid0(SALU_CYCLE_1)
	s_or_b32 s3, s3, s6
	s_or_b32 exec_lo, exec_lo, s7
	s_and_saveexec_b32 s6, s3
	s_cbranch_execnz .LBB152_1485
	s_branch .LBB152_1486
.LBB152_1505:
	s_mov_b32 s0, -1
.LBB152_1506:
                                        ; implicit-def: $vgpr8
.LBB152_1507:
	s_and_b32 vcc_lo, exec_lo, s3
	s_mov_b32 s3, 0
	s_cbranch_vccz .LBB152_1509
; %bb.1508:
	v_cmp_ne_u16_e64 s0, 11, v4
	s_mov_b32 s3, -1
                                        ; implicit-def: $vgpr8
.LBB152_1509:
	s_delay_alu instid0(VALU_DEP_1)
	s_and_b32 vcc_lo, exec_lo, s0
	s_cbranch_vccnz .LBB152_2042
; %bb.1510:
	s_and_not1_b32 vcc_lo, exec_lo, s3
	s_cbranch_vccnz .LBB152_1512
.LBB152_1511:
	global_load_u8 v8, v[0:1], off
	s_mov_b32 s6, -1
	s_waitcnt vmcnt(0)
	v_cmp_ne_u16_e32 vcc_lo, 0, v8
	v_cndmask_b32_e64 v8, 0, 1.0, vcc_lo
	s_delay_alu instid0(VALU_DEP_1)
	v_lshrrev_b32_e32 v8, 16, v8
.LBB152_1512:
	s_mov_b32 s0, 0
.LBB152_1513:
	s_delay_alu instid0(SALU_CYCLE_1)
	s_and_b32 vcc_lo, exec_lo, s0
	s_cbranch_vccz .LBB152_1562
; %bb.1514:
	v_cmp_gt_i16_e32 vcc_lo, 5, v4
	s_cbranch_vccnz .LBB152_1519
; %bb.1515:
	v_cmp_gt_i16_e32 vcc_lo, 8, v4
	s_cbranch_vccnz .LBB152_1520
	;; [unrolled: 3-line block ×3, first 2 shown]
; %bb.1517:
	v_cmp_lt_i16_e32 vcc_lo, 9, v4
	s_cbranch_vccz .LBB152_1522
; %bb.1518:
	global_load_b64 v[8:9], v[0:1], off
	s_mov_b32 s0, 0
	s_waitcnt vmcnt(0)
	v_cvt_f32_f64_e32 v8, v[8:9]
	s_delay_alu instid0(VALU_DEP_1) | instskip(SKIP_1) | instid1(VALU_DEP_2)
	v_bfe_u32 v9, v8, 16, 1
	v_cmp_o_f32_e32 vcc_lo, v8, v8
	v_add3_u32 v9, v8, v9, 0x7fff
	s_delay_alu instid0(VALU_DEP_1) | instskip(NEXT) | instid1(VALU_DEP_1)
	v_lshrrev_b32_e32 v9, 16, v9
	v_cndmask_b32_e32 v8, 0x7fc0, v9, vcc_lo
	s_branch .LBB152_1523
.LBB152_1519:
	s_mov_b32 s0, -1
                                        ; implicit-def: $vgpr8
	s_branch .LBB152_1541
.LBB152_1520:
	s_mov_b32 s0, -1
                                        ; implicit-def: $vgpr8
	s_branch .LBB152_1529
.LBB152_1521:
	s_mov_b32 s0, -1
                                        ; implicit-def: $vgpr8
	s_branch .LBB152_1526
.LBB152_1522:
	s_mov_b32 s0, -1
                                        ; implicit-def: $vgpr8
.LBB152_1523:
	s_delay_alu instid0(SALU_CYCLE_1)
	s_and_not1_b32 vcc_lo, exec_lo, s0
	s_cbranch_vccnz .LBB152_1525
; %bb.1524:
	global_load_b32 v8, v[0:1], off
	s_waitcnt vmcnt(0)
	v_bfe_u32 v9, v8, 16, 1
	v_cmp_o_f32_e32 vcc_lo, v8, v8
	s_delay_alu instid0(VALU_DEP_2) | instskip(NEXT) | instid1(VALU_DEP_1)
	v_add3_u32 v9, v8, v9, 0x7fff
	v_lshrrev_b32_e32 v9, 16, v9
	s_delay_alu instid0(VALU_DEP_1)
	v_cndmask_b32_e32 v8, 0x7fc0, v9, vcc_lo
.LBB152_1525:
	s_mov_b32 s0, 0
.LBB152_1526:
	s_delay_alu instid0(SALU_CYCLE_1)
	s_and_not1_b32 vcc_lo, exec_lo, s0
	s_cbranch_vccnz .LBB152_1528
; %bb.1527:
	global_load_b32 v8, v[0:1], off
	s_waitcnt vmcnt(0)
	v_cvt_f32_f16_e32 v9, v8
	v_cmp_o_f16_e32 vcc_lo, v8, v8
	s_delay_alu instid0(VALU_DEP_2) | instskip(NEXT) | instid1(VALU_DEP_1)
	v_bfe_u32 v10, v9, 16, 1
	v_add3_u32 v9, v9, v10, 0x7fff
	s_delay_alu instid0(VALU_DEP_1) | instskip(NEXT) | instid1(VALU_DEP_1)
	v_lshrrev_b32_e32 v9, 16, v9
	v_cndmask_b32_e32 v8, 0x7fc0, v9, vcc_lo
.LBB152_1528:
	s_mov_b32 s0, 0
.LBB152_1529:
	s_delay_alu instid0(SALU_CYCLE_1)
	s_and_not1_b32 vcc_lo, exec_lo, s0
	s_cbranch_vccnz .LBB152_1540
; %bb.1530:
	v_cmp_gt_i16_e32 vcc_lo, 6, v4
	s_cbranch_vccnz .LBB152_1533
; %bb.1531:
	v_cmp_lt_i16_e32 vcc_lo, 6, v4
	s_cbranch_vccz .LBB152_1534
; %bb.1532:
	global_load_b64 v[8:9], v[0:1], off
	s_mov_b32 s0, 0
	s_waitcnt vmcnt(0)
	v_cvt_f32_f64_e32 v8, v[8:9]
	s_delay_alu instid0(VALU_DEP_1) | instskip(SKIP_1) | instid1(VALU_DEP_2)
	v_bfe_u32 v9, v8, 16, 1
	v_cmp_o_f32_e32 vcc_lo, v8, v8
	v_add3_u32 v9, v8, v9, 0x7fff
	s_delay_alu instid0(VALU_DEP_1) | instskip(NEXT) | instid1(VALU_DEP_1)
	v_lshrrev_b32_e32 v9, 16, v9
	v_cndmask_b32_e32 v8, 0x7fc0, v9, vcc_lo
	s_branch .LBB152_1535
.LBB152_1533:
	s_mov_b32 s0, -1
                                        ; implicit-def: $vgpr8
	s_branch .LBB152_1538
.LBB152_1534:
	s_mov_b32 s0, -1
                                        ; implicit-def: $vgpr8
.LBB152_1535:
	s_delay_alu instid0(SALU_CYCLE_1)
	s_and_not1_b32 vcc_lo, exec_lo, s0
	s_cbranch_vccnz .LBB152_1537
; %bb.1536:
	global_load_b32 v8, v[0:1], off
	s_waitcnt vmcnt(0)
	v_bfe_u32 v9, v8, 16, 1
	v_cmp_o_f32_e32 vcc_lo, v8, v8
	s_delay_alu instid0(VALU_DEP_2) | instskip(NEXT) | instid1(VALU_DEP_1)
	v_add3_u32 v9, v8, v9, 0x7fff
	v_lshrrev_b32_e32 v9, 16, v9
	s_delay_alu instid0(VALU_DEP_1)
	v_cndmask_b32_e32 v8, 0x7fc0, v9, vcc_lo
.LBB152_1537:
	s_mov_b32 s0, 0
.LBB152_1538:
	s_delay_alu instid0(SALU_CYCLE_1)
	s_and_not1_b32 vcc_lo, exec_lo, s0
	s_cbranch_vccnz .LBB152_1540
; %bb.1539:
	global_load_u16 v8, v[0:1], off
	s_waitcnt vmcnt(0)
	v_cvt_f32_f16_e32 v9, v8
	v_cmp_o_f16_e32 vcc_lo, v8, v8
	s_delay_alu instid0(VALU_DEP_2) | instskip(NEXT) | instid1(VALU_DEP_1)
	v_bfe_u32 v10, v9, 16, 1
	v_add3_u32 v9, v9, v10, 0x7fff
	s_delay_alu instid0(VALU_DEP_1) | instskip(NEXT) | instid1(VALU_DEP_1)
	v_lshrrev_b32_e32 v9, 16, v9
	v_cndmask_b32_e32 v8, 0x7fc0, v9, vcc_lo
.LBB152_1540:
	s_mov_b32 s0, 0
.LBB152_1541:
	s_delay_alu instid0(SALU_CYCLE_1)
	s_and_not1_b32 vcc_lo, exec_lo, s0
	s_cbranch_vccnz .LBB152_1561
; %bb.1542:
	v_cmp_gt_i16_e32 vcc_lo, 2, v4
	s_cbranch_vccnz .LBB152_1546
; %bb.1543:
	v_cmp_gt_i16_e32 vcc_lo, 3, v4
	s_cbranch_vccnz .LBB152_1547
; %bb.1544:
	v_cmp_lt_i16_e32 vcc_lo, 3, v4
	s_cbranch_vccz .LBB152_1548
; %bb.1545:
	global_load_b64 v[8:9], v[0:1], off
	s_mov_b32 s0, 0
	s_waitcnt vmcnt(0)
	v_xor_b32_e32 v10, v8, v9
	v_cls_i32_e32 v11, v9
	s_delay_alu instid0(VALU_DEP_2) | instskip(NEXT) | instid1(VALU_DEP_2)
	v_ashrrev_i32_e32 v10, 31, v10
	v_add_nc_u32_e32 v11, -1, v11
	s_delay_alu instid0(VALU_DEP_2) | instskip(NEXT) | instid1(VALU_DEP_1)
	v_add_nc_u32_e32 v10, 32, v10
	v_min_u32_e32 v10, v11, v10
	s_delay_alu instid0(VALU_DEP_1) | instskip(NEXT) | instid1(VALU_DEP_1)
	v_lshlrev_b64 v[8:9], v10, v[8:9]
	v_min_u32_e32 v8, 1, v8
	s_delay_alu instid0(VALU_DEP_1) | instskip(SKIP_1) | instid1(VALU_DEP_2)
	v_or_b32_e32 v8, v9, v8
	v_sub_nc_u32_e32 v9, 32, v10
	v_cvt_f32_i32_e32 v8, v8
	s_delay_alu instid0(VALU_DEP_1) | instskip(NEXT) | instid1(VALU_DEP_1)
	v_ldexp_f32 v8, v8, v9
	v_bfe_u32 v9, v8, 16, 1
	s_delay_alu instid0(VALU_DEP_1) | instskip(NEXT) | instid1(VALU_DEP_1)
	v_add3_u32 v8, v8, v9, 0x7fff
	v_lshrrev_b32_e32 v8, 16, v8
	s_branch .LBB152_1549
.LBB152_1546:
	s_mov_b32 s0, -1
                                        ; implicit-def: $vgpr8
	s_branch .LBB152_1555
.LBB152_1547:
	s_mov_b32 s0, -1
                                        ; implicit-def: $vgpr8
	s_branch .LBB152_1552
.LBB152_1548:
	s_mov_b32 s0, -1
                                        ; implicit-def: $vgpr8
.LBB152_1549:
	s_delay_alu instid0(SALU_CYCLE_1)
	s_and_not1_b32 vcc_lo, exec_lo, s0
	s_cbranch_vccnz .LBB152_1551
; %bb.1550:
	global_load_b32 v8, v[0:1], off
	s_waitcnt vmcnt(0)
	v_cvt_f32_i32_e32 v8, v8
	s_delay_alu instid0(VALU_DEP_1) | instskip(NEXT) | instid1(VALU_DEP_1)
	v_bfe_u32 v9, v8, 16, 1
	v_add3_u32 v8, v8, v9, 0x7fff
	s_delay_alu instid0(VALU_DEP_1)
	v_lshrrev_b32_e32 v8, 16, v8
.LBB152_1551:
	s_mov_b32 s0, 0
.LBB152_1552:
	s_delay_alu instid0(SALU_CYCLE_1)
	s_and_not1_b32 vcc_lo, exec_lo, s0
	s_cbranch_vccnz .LBB152_1554
; %bb.1553:
	global_load_i16 v8, v[0:1], off
	s_waitcnt vmcnt(0)
	v_cvt_f32_i32_e32 v8, v8
	s_delay_alu instid0(VALU_DEP_1) | instskip(NEXT) | instid1(VALU_DEP_1)
	v_bfe_u32 v9, v8, 16, 1
	v_add3_u32 v8, v8, v9, 0x7fff
	s_delay_alu instid0(VALU_DEP_1)
	v_lshrrev_b32_e32 v8, 16, v8
.LBB152_1554:
	s_mov_b32 s0, 0
.LBB152_1555:
	s_delay_alu instid0(SALU_CYCLE_1)
	s_and_not1_b32 vcc_lo, exec_lo, s0
	s_cbranch_vccnz .LBB152_1561
; %bb.1556:
	v_cmp_lt_i16_e32 vcc_lo, 0, v4
	s_mov_b32 s0, 0
	s_cbranch_vccz .LBB152_1558
; %bb.1557:
	global_load_i8 v4, v[0:1], off
	s_waitcnt vmcnt(0)
	v_cvt_f32_i32_e32 v4, v4
	s_delay_alu instid0(VALU_DEP_1) | instskip(NEXT) | instid1(VALU_DEP_1)
	v_bfe_u32 v8, v4, 16, 1
	v_add3_u32 v4, v4, v8, 0x7fff
	s_delay_alu instid0(VALU_DEP_1)
	v_lshrrev_b32_e32 v8, 16, v4
	s_branch .LBB152_1559
.LBB152_1558:
	s_mov_b32 s0, -1
                                        ; implicit-def: $vgpr8
.LBB152_1559:
	s_delay_alu instid0(SALU_CYCLE_1)
	s_and_not1_b32 vcc_lo, exec_lo, s0
	s_cbranch_vccnz .LBB152_1561
; %bb.1560:
	global_load_u8 v0, v[0:1], off
	s_waitcnt vmcnt(0)
	v_cvt_f32_ubyte0_e32 v0, v0
	s_delay_alu instid0(VALU_DEP_1) | instskip(NEXT) | instid1(VALU_DEP_1)
	v_bfe_u32 v1, v0, 16, 1
	v_add3_u32 v0, v0, v1, 0x7fff
	s_delay_alu instid0(VALU_DEP_1)
	v_lshrrev_b32_e32 v8, 16, v0
.LBB152_1561:
	s_mov_b32 s6, -1
.LBB152_1562:
	s_delay_alu instid0(SALU_CYCLE_1)
	s_and_not1_b32 vcc_lo, exec_lo, s6
	s_cbranch_vccnz .LBB152_1996
; %bb.1563:
	s_mov_b32 s0, 0x395133b1
	s_waitcnt vmcnt(0)
	v_lshlrev_b32_e32 v0, 16, v5
	v_mul_lo_u32 v3, s2, v3
	s_delay_alu instid0(VALU_DEP_2) | instskip(NEXT) | instid1(VALU_DEP_1)
	v_mul_f32_e32 v1, 0x3fb8aa3b, v0
	v_rndne_f32_e32 v1, v1
	s_delay_alu instid0(VALU_DEP_1) | instskip(SKIP_2) | instid1(VALU_DEP_3)
	v_fmamk_f32 v4, v1, 0xbf317218, v0
	v_cvt_i32_f32_e32 v9, v1
	v_cmp_eq_f32_e32 vcc_lo, 0x43000000, v1
	v_fmamk_f32 v4, v1, 0x3102e308, v4
	s_delay_alu instid0(VALU_DEP_3) | instskip(NEXT) | instid1(VALU_DEP_2)
	v_cndmask_b32_e64 v1, v9, 0x7f, vcc_lo
	v_fmaak_f32 v5, s0, v4, 0x3ab69700
	s_delay_alu instid0(VALU_DEP_2) | instskip(NEXT) | instid1(VALU_DEP_2)
	v_ldexp_f32 v1, 1.0, v1
	v_fmaak_f32 v5, v4, v5, 0x3c0887f9
	s_delay_alu instid0(VALU_DEP_2) | instskip(NEXT) | instid1(VALU_DEP_2)
	v_add_f32_e32 v9, -1.0, v1
	v_fmaak_f32 v5, v4, v5, 0x3d2aaa81
	s_delay_alu instid0(VALU_DEP_1) | instskip(NEXT) | instid1(VALU_DEP_1)
	v_fmaak_f32 v5, v4, v5, 0x3e2aaaab
	v_fma_f32 v5, v4, v5, 0.5
	s_delay_alu instid0(VALU_DEP_1) | instskip(NEXT) | instid1(VALU_DEP_1)
	v_mul_f32_e32 v5, v4, v5
	v_dual_fmac_f32 v4, v4, v5 :: v_dual_and_b32 v5, 0xff, v2
	s_delay_alu instid0(VALU_DEP_1) | instskip(NEXT) | instid1(VALU_DEP_1)
	v_fmac_f32_e32 v9, v1, v4
	v_add_f32_e32 v1, v9, v9
	s_delay_alu instid0(VALU_DEP_1) | instskip(SKIP_1) | instid1(VALU_DEP_2)
	v_cndmask_b32_e32 v1, v9, v1, vcc_lo
	v_cmp_nlt_f32_e32 vcc_lo, 0x42b17217, v0
	v_cndmask_b32_e32 v1, 0x7f800000, v1, vcc_lo
	v_cmp_ngt_f32_e32 vcc_lo, 0xc1880000, v0
	s_delay_alu instid0(VALU_DEP_2) | instskip(SKIP_2) | instid1(VALU_DEP_3)
	v_cndmask_b32_e32 v4, -1.0, v1, vcc_lo
	v_ashrrev_i32_e32 v1, 31, v3
	v_cmp_gt_i16_e32 vcc_lo, 11, v5
	v_bfe_u32 v0, v4, 16, 1
	s_and_b32 vcc_lo, exec_lo, vcc_lo
	s_delay_alu instid0(VALU_DEP_1) | instskip(NEXT) | instid1(VALU_DEP_1)
	v_add3_u32 v0, v4, v0, 0x7fff
	v_lshrrev_b32_e32 v2, 16, v0
	v_add_co_u32 v0, s0, s4, v3
	s_delay_alu instid0(VALU_DEP_1) | instskip(SKIP_1) | instid1(VALU_DEP_1)
	v_add_co_ci_u32_e64 v1, s0, s5, v1, s0
	v_cmp_o_f32_e64 s0, v4, v4
	v_cndmask_b32_e64 v2, 0x7fc0, v2, s0
	s_cbranch_vccnz .LBB152_1641
; %bb.1564:
	v_cmp_lt_i16_e32 vcc_lo, 25, v5
	s_mov_b32 s7, -1
	s_mov_b32 s3, 0
	s_mov_b32 s6, 0
	s_mov_b32 s0, 0
	s_cbranch_vccz .LBB152_1597
; %bb.1565:
	v_cmp_lt_i16_e32 vcc_lo, 28, v5
	s_cbranch_vccz .LBB152_1580
; %bb.1566:
	v_cmp_lt_i16_e32 vcc_lo, 43, v5
	;; [unrolled: 3-line block ×3, first 2 shown]
	s_cbranch_vccz .LBB152_1570
; %bb.1568:
	v_cmp_eq_u16_e32 vcc_lo, 46, v5
	s_mov_b32 s0, -1
	s_mov_b32 s7, 0
	s_cbranch_vccz .LBB152_1570
; %bb.1569:
	v_and_b32_e32 v4, 0xffff, v2
	s_mov_b32 s0, 0
	s_mov_b32 s6, -1
	global_store_b32 v[0:1], v4, off
.LBB152_1570:
	s_and_b32 vcc_lo, exec_lo, s7
	s_cbranch_vccz .LBB152_1575
; %bb.1571:
	v_cmp_eq_u16_e32 vcc_lo, 44, v5
	s_mov_b32 s0, -1
	s_cbranch_vccz .LBB152_1575
; %bb.1572:
	v_and_b32_e32 v4, 0xffff, v2
	v_mov_b32_e32 v9, 0xff
	s_mov_b32 s6, exec_lo
	s_delay_alu instid0(VALU_DEP_2) | instskip(NEXT) | instid1(VALU_DEP_1)
	v_bfe_u32 v10, v4, 7, 8
	v_cmpx_ne_u32_e32 0xff, v10
; %bb.1573:
	v_lshlrev_b32_e32 v9, 16, v4
	v_and_b32_e32 v11, 64, v4
	v_lshrrev_b32_e32 v4, 7, v4
	s_delay_alu instid0(VALU_DEP_3) | instskip(NEXT) | instid1(VALU_DEP_3)
	v_and_or_b32 v9, 0x3f0000, v9, v10
	v_cmp_ne_u32_e32 vcc_lo, 0, v11
	s_delay_alu instid0(VALU_DEP_2) | instskip(NEXT) | instid1(VALU_DEP_1)
	v_cmp_ne_u32_e64 s0, 0, v9
	s_and_b32 s0, vcc_lo, s0
	s_delay_alu instid0(SALU_CYCLE_1) | instskip(NEXT) | instid1(VALU_DEP_1)
	v_cndmask_b32_e64 v9, 0, 1, s0
	v_add_nc_u32_e32 v9, v4, v9
; %bb.1574:
	s_or_b32 exec_lo, exec_lo, s6
	s_mov_b32 s0, 0
	s_mov_b32 s6, -1
	global_store_b8 v[0:1], v9, off
.LBB152_1575:
	s_mov_b32 s7, 0
.LBB152_1576:
	s_delay_alu instid0(SALU_CYCLE_1)
	s_and_b32 vcc_lo, exec_lo, s7
	s_cbranch_vccz .LBB152_1579
; %bb.1577:
	v_cmp_eq_u16_e32 vcc_lo, 29, v5
	s_mov_b32 s0, -1
	s_cbranch_vccz .LBB152_1579
; %bb.1578:
	v_lshlrev_b32_e32 v4, 16, v2
	s_mov_b32 s0, 0
	s_mov_b32 s6, -1
	s_delay_alu instid0(VALU_DEP_1) | instskip(NEXT) | instid1(VALU_DEP_1)
	v_trunc_f32_e32 v4, v4
	v_mul_f32_e32 v9, 0x2f800000, v4
	s_delay_alu instid0(VALU_DEP_1) | instskip(NEXT) | instid1(VALU_DEP_1)
	v_floor_f32_e32 v9, v9
	v_fmamk_f32 v4, v9, 0xcf800000, v4
	v_cvt_u32_f32_e32 v10, v9
	s_delay_alu instid0(VALU_DEP_2)
	v_cvt_u32_f32_e32 v9, v4
	global_store_b64 v[0:1], v[9:10], off
.LBB152_1579:
	s_mov_b32 s7, 0
.LBB152_1580:
	s_delay_alu instid0(SALU_CYCLE_1)
	s_and_b32 vcc_lo, exec_lo, s7
	s_cbranch_vccz .LBB152_1596
; %bb.1581:
	v_cmp_gt_i16_e32 vcc_lo, 27, v5
	s_mov_b32 s6, -1
	s_cbranch_vccnz .LBB152_1587
; %bb.1582:
	v_cmp_lt_i16_e32 vcc_lo, 27, v5
	s_cbranch_vccz .LBB152_1584
; %bb.1583:
	v_lshlrev_b32_e32 v4, 16, v2
	s_mov_b32 s6, 0
	s_delay_alu instid0(VALU_DEP_1)
	v_cvt_u32_f32_e32 v4, v4
	global_store_b32 v[0:1], v4, off
.LBB152_1584:
	s_and_not1_b32 vcc_lo, exec_lo, s6
	s_cbranch_vccnz .LBB152_1586
; %bb.1585:
	v_lshlrev_b32_e32 v4, 16, v2
	s_delay_alu instid0(VALU_DEP_1)
	v_cvt_u32_f32_e32 v4, v4
	global_store_b16 v[0:1], v4, off
.LBB152_1586:
	s_mov_b32 s6, 0
.LBB152_1587:
	s_delay_alu instid0(SALU_CYCLE_1)
	s_and_not1_b32 vcc_lo, exec_lo, s6
	s_cbranch_vccnz .LBB152_1595
; %bb.1588:
	v_dual_mov_b32 v11, 0x80 :: v_dual_lshlrev_b32 v10, 16, v2
	s_mov_b32 s6, exec_lo
	s_delay_alu instid0(VALU_DEP_1) | instskip(NEXT) | instid1(VALU_DEP_1)
	v_and_b32_e32 v9, 0x7fffffff, v10
	v_cmpx_gt_u32_e32 0x43800000, v9
	s_cbranch_execz .LBB152_1594
; %bb.1589:
	v_and_b32_e32 v4, 0xffff, v2
	v_cmp_lt_u32_e32 vcc_lo, 0x3bffffff, v9
	s_mov_b32 s7, 0
                                        ; implicit-def: $vgpr9
	s_and_saveexec_b32 s10, vcc_lo
	s_delay_alu instid0(SALU_CYCLE_1)
	s_xor_b32 s10, exec_lo, s10
	s_cbranch_execz .LBB152_2044
; %bb.1590:
	v_bfe_u32 v9, v4, 4, 1
	s_mov_b32 s7, exec_lo
	s_delay_alu instid0(VALU_DEP_1) | instskip(NEXT) | instid1(VALU_DEP_1)
	v_add3_u32 v9, v10, v9, 0x487ffff
                                        ; implicit-def: $vgpr10
	v_lshrrev_b32_e32 v9, 20, v9
	s_or_saveexec_b32 s10, s10
                                        ; implicit-def: $sgpr11
	s_delay_alu instid0(SALU_CYCLE_1)
	s_xor_b32 exec_lo, exec_lo, s10
	s_cbranch_execnz .LBB152_2045
.LBB152_1591:
	s_or_b32 exec_lo, exec_lo, s10
	v_mov_b32_e32 v11, s11
	s_and_saveexec_b32 s10, s7
.LBB152_1592:
	v_lshrrev_b32_e32 v4, 8, v4
	s_delay_alu instid0(VALU_DEP_1)
	v_and_or_b32 v11, 0x80, v4, v9
.LBB152_1593:
	s_or_b32 exec_lo, exec_lo, s10
.LBB152_1594:
	s_delay_alu instid0(SALU_CYCLE_1)
	s_or_b32 exec_lo, exec_lo, s6
	global_store_b8 v[0:1], v11, off
.LBB152_1595:
	s_mov_b32 s6, -1
.LBB152_1596:
	s_mov_b32 s7, 0
.LBB152_1597:
	s_delay_alu instid0(SALU_CYCLE_1)
	s_and_b32 vcc_lo, exec_lo, s7
	s_cbranch_vccz .LBB152_1637
; %bb.1598:
	v_cmp_lt_i16_e32 vcc_lo, 22, v5
	s_mov_b32 s3, -1
	s_cbranch_vccz .LBB152_1630
; %bb.1599:
	v_cmp_gt_i16_e32 vcc_lo, 24, v5
	s_cbranch_vccnz .LBB152_1619
; %bb.1600:
	v_cmp_lt_i16_e32 vcc_lo, 24, v5
	s_cbranch_vccz .LBB152_1608
; %bb.1601:
	v_dual_mov_b32 v11, 0x80 :: v_dual_lshlrev_b32 v10, 16, v2
	s_mov_b32 s3, exec_lo
	s_delay_alu instid0(VALU_DEP_1) | instskip(NEXT) | instid1(VALU_DEP_1)
	v_and_b32_e32 v9, 0x7fffffff, v10
	v_cmpx_gt_u32_e32 0x47800000, v9
	s_cbranch_execz .LBB152_1607
; %bb.1602:
	v_and_b32_e32 v4, 0xffff, v2
	v_cmp_lt_u32_e32 vcc_lo, 0x37ffffff, v9
	s_mov_b32 s6, 0
                                        ; implicit-def: $vgpr9
	s_and_saveexec_b32 s7, vcc_lo
	s_delay_alu instid0(SALU_CYCLE_1)
	s_xor_b32 s7, exec_lo, s7
	s_cbranch_execz .LBB152_2050
; %bb.1603:
	v_bfe_u32 v9, v4, 5, 1
	s_mov_b32 s6, exec_lo
	s_delay_alu instid0(VALU_DEP_1) | instskip(NEXT) | instid1(VALU_DEP_1)
	v_add3_u32 v9, v10, v9, 0x88fffff
                                        ; implicit-def: $vgpr10
	v_lshrrev_b32_e32 v9, 21, v9
	s_or_saveexec_b32 s7, s7
                                        ; implicit-def: $sgpr10
	s_delay_alu instid0(SALU_CYCLE_1)
	s_xor_b32 exec_lo, exec_lo, s7
	s_cbranch_execnz .LBB152_2051
.LBB152_1604:
	s_or_b32 exec_lo, exec_lo, s7
	v_mov_b32_e32 v11, s10
	s_and_saveexec_b32 s7, s6
.LBB152_1605:
	v_lshrrev_b32_e32 v4, 8, v4
	s_delay_alu instid0(VALU_DEP_1)
	v_and_or_b32 v11, 0x80, v4, v9
.LBB152_1606:
	s_or_b32 exec_lo, exec_lo, s7
.LBB152_1607:
	s_delay_alu instid0(SALU_CYCLE_1)
	s_or_b32 exec_lo, exec_lo, s3
	s_mov_b32 s3, 0
	global_store_b8 v[0:1], v11, off
.LBB152_1608:
	s_and_b32 vcc_lo, exec_lo, s3
	s_cbranch_vccz .LBB152_1618
; %bb.1609:
	v_lshlrev_b32_e32 v10, 16, v2
	v_and_b32_e32 v4, 0xffff, v2
	s_mov_b32 s3, exec_lo
                                        ; implicit-def: $vgpr9
	s_delay_alu instid0(VALU_DEP_2) | instskip(NEXT) | instid1(VALU_DEP_1)
	v_and_b32_e32 v11, 0x7fffffff, v10
	v_cmpx_gt_u32_e32 0x43f00000, v11
	s_xor_b32 s3, exec_lo, s3
	s_cbranch_execz .LBB152_1615
; %bb.1610:
	s_mov_b32 s6, exec_lo
                                        ; implicit-def: $vgpr9
	v_cmpx_lt_u32_e32 0x3c7fffff, v11
	s_xor_b32 s6, exec_lo, s6
; %bb.1611:
	v_bfe_u32 v9, v4, 4, 1
	s_delay_alu instid0(VALU_DEP_1) | instskip(NEXT) | instid1(VALU_DEP_1)
	v_add3_u32 v9, v10, v9, 0x407ffff
	v_and_b32_e32 v10, 0xff00000, v9
	v_lshrrev_b32_e32 v9, 20, v9
	s_delay_alu instid0(VALU_DEP_2) | instskip(NEXT) | instid1(VALU_DEP_2)
	v_cmp_ne_u32_e32 vcc_lo, 0x7f00000, v10
                                        ; implicit-def: $vgpr10
	v_cndmask_b32_e32 v9, 0x7e, v9, vcc_lo
; %bb.1612:
	s_and_not1_saveexec_b32 s6, s6
; %bb.1613:
	v_add_f32_e64 v9, 0x46800000, |v10|
; %bb.1614:
	s_or_b32 exec_lo, exec_lo, s6
                                        ; implicit-def: $vgpr11
.LBB152_1615:
	s_and_not1_saveexec_b32 s3, s3
; %bb.1616:
	v_mov_b32_e32 v9, 0x7f
	v_cmp_lt_u32_e32 vcc_lo, 0x7f800000, v11
	s_delay_alu instid0(VALU_DEP_2)
	v_cndmask_b32_e32 v9, 0x7e, v9, vcc_lo
; %bb.1617:
	s_or_b32 exec_lo, exec_lo, s3
	v_lshrrev_b32_e32 v4, 8, v4
	s_delay_alu instid0(VALU_DEP_1)
	v_and_or_b32 v4, 0x80, v4, v9
	global_store_b8 v[0:1], v4, off
.LBB152_1618:
	s_mov_b32 s3, 0
.LBB152_1619:
	s_delay_alu instid0(SALU_CYCLE_1)
	s_and_not1_b32 vcc_lo, exec_lo, s3
	s_cbranch_vccnz .LBB152_1629
; %bb.1620:
	v_lshlrev_b32_e32 v10, 16, v2
	v_and_b32_e32 v4, 0xffff, v2
	s_mov_b32 s3, exec_lo
                                        ; implicit-def: $vgpr9
	s_delay_alu instid0(VALU_DEP_2) | instskip(NEXT) | instid1(VALU_DEP_1)
	v_and_b32_e32 v11, 0x7fffffff, v10
	v_cmpx_gt_u32_e32 0x47800000, v11
	s_xor_b32 s3, exec_lo, s3
	s_cbranch_execz .LBB152_1626
; %bb.1621:
	s_mov_b32 s6, exec_lo
                                        ; implicit-def: $vgpr9
	v_cmpx_lt_u32_e32 0x387fffff, v11
	s_xor_b32 s6, exec_lo, s6
; %bb.1622:
	v_bfe_u32 v9, v4, 5, 1
	s_delay_alu instid0(VALU_DEP_1) | instskip(NEXT) | instid1(VALU_DEP_1)
	v_add3_u32 v9, v10, v9, 0x80fffff
                                        ; implicit-def: $vgpr10
	v_lshrrev_b32_e32 v9, 21, v9
; %bb.1623:
	s_and_not1_saveexec_b32 s6, s6
; %bb.1624:
	v_add_f32_e64 v9, 0x43000000, |v10|
; %bb.1625:
	s_or_b32 exec_lo, exec_lo, s6
                                        ; implicit-def: $vgpr11
.LBB152_1626:
	s_and_not1_saveexec_b32 s3, s3
; %bb.1627:
	v_mov_b32_e32 v9, 0x7f
	v_cmp_lt_u32_e32 vcc_lo, 0x7f800000, v11
	s_delay_alu instid0(VALU_DEP_2)
	v_cndmask_b32_e32 v9, 0x7c, v9, vcc_lo
; %bb.1628:
	s_or_b32 exec_lo, exec_lo, s3
	v_lshrrev_b32_e32 v4, 8, v4
	s_delay_alu instid0(VALU_DEP_1)
	v_and_or_b32 v4, 0x80, v4, v9
	global_store_b8 v[0:1], v4, off
.LBB152_1629:
	s_mov_b32 s3, 0
	s_mov_b32 s6, -1
.LBB152_1630:
	s_and_not1_b32 vcc_lo, exec_lo, s3
	s_mov_b32 s3, 0
	s_cbranch_vccnz .LBB152_1637
; %bb.1631:
	v_cmp_lt_i16_e32 vcc_lo, 14, v5
	s_mov_b32 s3, -1
	s_cbranch_vccz .LBB152_1635
; %bb.1632:
	v_cmp_eq_u16_e32 vcc_lo, 15, v5
	s_mov_b32 s0, -1
	s_cbranch_vccz .LBB152_1634
; %bb.1633:
	s_mov_b32 s0, 0
	s_mov_b32 s6, -1
	global_store_b16 v[0:1], v2, off
.LBB152_1634:
	s_mov_b32 s3, 0
.LBB152_1635:
	s_delay_alu instid0(SALU_CYCLE_1)
	s_and_b32 vcc_lo, exec_lo, s3
	s_mov_b32 s3, 0
	s_cbranch_vccz .LBB152_1637
; %bb.1636:
	v_cmp_ne_u16_e64 s0, 11, v5
	s_mov_b32 s3, -1
.LBB152_1637:
	s_delay_alu instid0(VALU_DEP_1)
	s_and_b32 vcc_lo, exec_lo, s0
	s_cbranch_vccnz .LBB152_2048
; %bb.1638:
	s_and_not1_b32 vcc_lo, exec_lo, s3
	s_cbranch_vccnz .LBB152_1640
.LBB152_1639:
	v_and_b32_e32 v4, 0x7fff, v2
	s_mov_b32 s6, -1
	s_delay_alu instid0(VALU_DEP_1)
	v_cmp_ne_u16_e32 vcc_lo, 0, v4
	v_cndmask_b32_e64 v4, 0, 1, vcc_lo
	global_store_b8 v[0:1], v4, off
.LBB152_1640:
	s_mov_b32 s0, 0
	s_branch .LBB152_1642
.LBB152_1641:
	s_mov_b32 s0, -1
	s_mov_b32 s6, 0
.LBB152_1642:
	s_and_b32 vcc_lo, exec_lo, s0
	s_cbranch_vccz .LBB152_1681
; %bb.1643:
	v_cmp_gt_i16_e32 vcc_lo, 5, v5
	s_mov_b32 s0, -1
	s_cbranch_vccnz .LBB152_1664
; %bb.1644:
	v_cmp_gt_i16_e32 vcc_lo, 8, v5
	s_cbranch_vccnz .LBB152_1654
; %bb.1645:
	v_cmp_gt_i16_e32 vcc_lo, 9, v5
	s_cbranch_vccnz .LBB152_1651
; %bb.1646:
	v_cmp_lt_i16_e32 vcc_lo, 9, v5
	s_cbranch_vccz .LBB152_1648
; %bb.1647:
	v_dual_mov_b32 v11, 0 :: v_dual_lshlrev_b32 v4, 16, v2
	s_mov_b32 s0, 0
	s_delay_alu instid0(VALU_DEP_1) | instskip(NEXT) | instid1(VALU_DEP_2)
	v_cvt_f64_f32_e32 v[9:10], v4
	v_mov_b32_e32 v12, v11
	global_store_b128 v[0:1], v[9:12], off
.LBB152_1648:
	s_and_not1_b32 vcc_lo, exec_lo, s0
	s_cbranch_vccnz .LBB152_1650
; %bb.1649:
	v_dual_mov_b32 v10, 0 :: v_dual_lshlrev_b32 v9, 16, v2
	global_store_b64 v[0:1], v[9:10], off
.LBB152_1650:
	s_mov_b32 s0, 0
.LBB152_1651:
	s_delay_alu instid0(SALU_CYCLE_1)
	s_and_not1_b32 vcc_lo, exec_lo, s0
	s_cbranch_vccnz .LBB152_1653
; %bb.1652:
	v_lshlrev_b32_e32 v4, 16, v2
	s_delay_alu instid0(VALU_DEP_1) | instskip(NEXT) | instid1(VALU_DEP_1)
	v_cvt_f16_f32_e32 v4, v4
	v_and_b32_e32 v4, 0xffff, v4
	global_store_b32 v[0:1], v4, off
.LBB152_1653:
	s_mov_b32 s0, 0
.LBB152_1654:
	s_delay_alu instid0(SALU_CYCLE_1)
	s_and_not1_b32 vcc_lo, exec_lo, s0
	s_cbranch_vccnz .LBB152_1663
; %bb.1655:
	v_cmp_gt_i16_e32 vcc_lo, 6, v5
	s_mov_b32 s0, -1
	s_cbranch_vccnz .LBB152_1661
; %bb.1656:
	v_cmp_lt_i16_e32 vcc_lo, 6, v5
	s_cbranch_vccz .LBB152_1658
; %bb.1657:
	v_lshlrev_b32_e32 v4, 16, v2
	s_mov_b32 s0, 0
	s_delay_alu instid0(VALU_DEP_1)
	v_cvt_f64_f32_e32 v[9:10], v4
	global_store_b64 v[0:1], v[9:10], off
.LBB152_1658:
	s_and_not1_b32 vcc_lo, exec_lo, s0
	s_cbranch_vccnz .LBB152_1660
; %bb.1659:
	v_lshlrev_b32_e32 v4, 16, v2
	global_store_b32 v[0:1], v4, off
.LBB152_1660:
	s_mov_b32 s0, 0
.LBB152_1661:
	s_delay_alu instid0(SALU_CYCLE_1)
	s_and_not1_b32 vcc_lo, exec_lo, s0
	s_cbranch_vccnz .LBB152_1663
; %bb.1662:
	v_lshlrev_b32_e32 v4, 16, v2
	s_delay_alu instid0(VALU_DEP_1)
	v_cvt_f16_f32_e32 v4, v4
	global_store_b16 v[0:1], v4, off
.LBB152_1663:
	s_mov_b32 s0, 0
.LBB152_1664:
	s_delay_alu instid0(SALU_CYCLE_1)
	s_and_not1_b32 vcc_lo, exec_lo, s0
	s_cbranch_vccnz .LBB152_1680
; %bb.1665:
	v_cmp_gt_i16_e32 vcc_lo, 2, v5
	s_mov_b32 s0, -1
	s_cbranch_vccnz .LBB152_1675
; %bb.1666:
	v_cmp_gt_i16_e32 vcc_lo, 3, v5
	s_cbranch_vccnz .LBB152_1672
; %bb.1667:
	v_cmp_lt_i16_e32 vcc_lo, 3, v5
	s_cbranch_vccz .LBB152_1669
; %bb.1668:
	v_lshlrev_b32_e32 v4, 16, v2
	s_mov_b32 s0, 0
	s_delay_alu instid0(VALU_DEP_1) | instskip(NEXT) | instid1(VALU_DEP_1)
	v_trunc_f32_e32 v4, v4
	v_mul_f32_e64 v9, 0x2f800000, |v4|
	s_delay_alu instid0(VALU_DEP_1) | instskip(NEXT) | instid1(VALU_DEP_1)
	v_floor_f32_e32 v9, v9
	v_fma_f32 v10, 0xcf800000, v9, |v4|
	v_ashrrev_i32_e32 v4, 31, v4
	v_cvt_u32_f32_e32 v9, v9
	s_delay_alu instid0(VALU_DEP_3) | instskip(NEXT) | instid1(VALU_DEP_2)
	v_cvt_u32_f32_e32 v10, v10
	v_xor_b32_e32 v11, v9, v4
	s_delay_alu instid0(VALU_DEP_2) | instskip(NEXT) | instid1(VALU_DEP_1)
	v_xor_b32_e32 v10, v10, v4
	v_sub_co_u32 v9, vcc_lo, v10, v4
	s_delay_alu instid0(VALU_DEP_3)
	v_sub_co_ci_u32_e32 v10, vcc_lo, v11, v4, vcc_lo
	global_store_b64 v[0:1], v[9:10], off
.LBB152_1669:
	s_and_not1_b32 vcc_lo, exec_lo, s0
	s_cbranch_vccnz .LBB152_1671
; %bb.1670:
	v_lshlrev_b32_e32 v4, 16, v2
	s_delay_alu instid0(VALU_DEP_1)
	v_cvt_i32_f32_e32 v4, v4
	global_store_b32 v[0:1], v4, off
.LBB152_1671:
	s_mov_b32 s0, 0
.LBB152_1672:
	s_delay_alu instid0(SALU_CYCLE_1)
	s_and_not1_b32 vcc_lo, exec_lo, s0
	s_cbranch_vccnz .LBB152_1674
; %bb.1673:
	v_lshlrev_b32_e32 v4, 16, v2
	s_delay_alu instid0(VALU_DEP_1)
	v_cvt_i32_f32_e32 v4, v4
	global_store_b16 v[0:1], v4, off
.LBB152_1674:
	s_mov_b32 s0, 0
.LBB152_1675:
	s_delay_alu instid0(SALU_CYCLE_1)
	s_and_not1_b32 vcc_lo, exec_lo, s0
	s_cbranch_vccnz .LBB152_1680
; %bb.1676:
	v_cmp_lt_i16_e32 vcc_lo, 0, v5
	s_mov_b32 s0, -1
	s_cbranch_vccz .LBB152_1678
; %bb.1677:
	v_lshlrev_b32_e32 v4, 16, v2
	s_mov_b32 s0, 0
	s_delay_alu instid0(VALU_DEP_1)
	v_cvt_i32_f32_e32 v4, v4
	global_store_b8 v[0:1], v4, off
.LBB152_1678:
	s_and_not1_b32 vcc_lo, exec_lo, s0
	s_cbranch_vccnz .LBB152_1680
; %bb.1679:
	v_lshlrev_b32_e32 v2, 16, v2
	s_delay_alu instid0(VALU_DEP_1) | instskip(NEXT) | instid1(VALU_DEP_1)
	v_trunc_f32_e32 v2, v2
	v_mul_f32_e64 v4, 0x2f800000, |v2|
	s_delay_alu instid0(VALU_DEP_1) | instskip(NEXT) | instid1(VALU_DEP_1)
	v_floor_f32_e32 v4, v4
	v_fma_f32 v4, 0xcf800000, v4, |v2|
	v_ashrrev_i32_e32 v2, 31, v2
	s_delay_alu instid0(VALU_DEP_2) | instskip(NEXT) | instid1(VALU_DEP_1)
	v_cvt_u32_f32_e32 v4, v4
	v_xor_b32_e32 v4, v4, v2
	s_delay_alu instid0(VALU_DEP_1)
	v_sub_nc_u32_e32 v2, v4, v2
	global_store_b8 v[0:1], v2, off
.LBB152_1680:
	s_mov_b32 s6, -1
.LBB152_1681:
	s_delay_alu instid0(SALU_CYCLE_1)
	s_and_not1_b32 vcc_lo, exec_lo, s6
	s_cbranch_vccnz .LBB152_1996
; %bb.1682:
	v_lshlrev_b32_e32 v0, 16, v6
	s_lshl_b32 s2, s2, 7
	s_mov_b32 s0, 0x395133b1
	s_delay_alu instid0(VALU_DEP_1) | instskip(NEXT) | instid1(VALU_DEP_1)
	v_mul_f32_e32 v1, 0x3fb8aa3b, v0
	v_rndne_f32_e32 v1, v1
	s_delay_alu instid0(VALU_DEP_1) | instskip(SKIP_2) | instid1(VALU_DEP_3)
	v_fmamk_f32 v2, v1, 0xbf317218, v0
	v_cvt_i32_f32_e32 v6, v1
	v_cmp_eq_f32_e32 vcc_lo, 0x43000000, v1
	v_fmamk_f32 v2, v1, 0x3102e308, v2
	s_delay_alu instid0(VALU_DEP_3) | instskip(NEXT) | instid1(VALU_DEP_2)
	v_cndmask_b32_e64 v1, v6, 0x7f, vcc_lo
	v_fmaak_f32 v4, s0, v2, 0x3ab69700
	s_delay_alu instid0(VALU_DEP_2) | instskip(NEXT) | instid1(VALU_DEP_2)
	v_ldexp_f32 v1, 1.0, v1
	v_fmaak_f32 v4, v2, v4, 0x3c0887f9
	s_delay_alu instid0(VALU_DEP_2) | instskip(NEXT) | instid1(VALU_DEP_2)
	v_add_f32_e32 v6, -1.0, v1
	v_fmaak_f32 v4, v2, v4, 0x3d2aaa81
	s_delay_alu instid0(VALU_DEP_1) | instskip(NEXT) | instid1(VALU_DEP_1)
	v_fmaak_f32 v4, v2, v4, 0x3e2aaaab
	v_fma_f32 v4, v2, v4, 0.5
	s_delay_alu instid0(VALU_DEP_1) | instskip(NEXT) | instid1(VALU_DEP_1)
	v_mul_f32_e32 v4, v2, v4
	v_fmac_f32_e32 v2, v2, v4
	s_delay_alu instid0(VALU_DEP_1) | instskip(NEXT) | instid1(VALU_DEP_1)
	v_fmac_f32_e32 v6, v1, v2
	v_dual_add_f32 v1, v6, v6 :: v_dual_add_nc_u32 v2, s2, v3
	s_delay_alu instid0(VALU_DEP_1) | instskip(SKIP_1) | instid1(VALU_DEP_2)
	v_cndmask_b32_e32 v1, v6, v1, vcc_lo
	v_cmp_nlt_f32_e32 vcc_lo, 0x42b17217, v0
	v_cndmask_b32_e32 v1, 0x7f800000, v1, vcc_lo
	v_cmp_ngt_f32_e32 vcc_lo, 0xc1880000, v0
	s_delay_alu instid0(VALU_DEP_2) | instskip(SKIP_2) | instid1(VALU_DEP_3)
	v_cndmask_b32_e32 v4, -1.0, v1, vcc_lo
	v_ashrrev_i32_e32 v1, 31, v2
	v_cmp_gt_i16_e32 vcc_lo, 11, v5
	v_bfe_u32 v0, v4, 16, 1
	s_and_b32 vcc_lo, exec_lo, vcc_lo
	s_delay_alu instid0(VALU_DEP_1) | instskip(NEXT) | instid1(VALU_DEP_1)
	v_add3_u32 v0, v4, v0, 0x7fff
	v_lshrrev_b32_e32 v3, 16, v0
	v_add_co_u32 v0, s0, s4, v2
	s_delay_alu instid0(VALU_DEP_1) | instskip(SKIP_1) | instid1(VALU_DEP_1)
	v_add_co_ci_u32_e64 v1, s0, s5, v1, s0
	v_cmp_o_f32_e64 s0, v4, v4
	v_cndmask_b32_e64 v3, 0x7fc0, v3, s0
	s_cbranch_vccnz .LBB152_1760
; %bb.1683:
	v_cmp_lt_i16_e32 vcc_lo, 25, v5
	s_mov_b32 s7, -1
	s_mov_b32 s3, 0
	s_mov_b32 s6, 0
	;; [unrolled: 1-line block ×3, first 2 shown]
	s_cbranch_vccz .LBB152_1716
; %bb.1684:
	v_cmp_lt_i16_e32 vcc_lo, 28, v5
	s_cbranch_vccz .LBB152_1699
; %bb.1685:
	v_cmp_lt_i16_e32 vcc_lo, 43, v5
	s_cbranch_vccz .LBB152_1695
; %bb.1686:
	v_cmp_lt_i16_e32 vcc_lo, 45, v5
	s_cbranch_vccz .LBB152_1689
; %bb.1687:
	v_cmp_eq_u16_e32 vcc_lo, 46, v5
	s_mov_b32 s0, -1
	s_mov_b32 s7, 0
	s_cbranch_vccz .LBB152_1689
; %bb.1688:
	v_and_b32_e32 v4, 0xffff, v3
	s_mov_b32 s0, 0
	s_mov_b32 s6, -1
	global_store_b32 v[0:1], v4, off
.LBB152_1689:
	s_and_b32 vcc_lo, exec_lo, s7
	s_cbranch_vccz .LBB152_1694
; %bb.1690:
	v_cmp_eq_u16_e32 vcc_lo, 44, v5
	s_mov_b32 s0, -1
	s_cbranch_vccz .LBB152_1694
; %bb.1691:
	v_and_b32_e32 v4, 0xffff, v3
	v_mov_b32_e32 v6, 0xff
	s_mov_b32 s6, exec_lo
	s_delay_alu instid0(VALU_DEP_2) | instskip(NEXT) | instid1(VALU_DEP_1)
	v_bfe_u32 v9, v4, 7, 8
	v_cmpx_ne_u32_e32 0xff, v9
; %bb.1692:
	v_lshlrev_b32_e32 v6, 16, v4
	v_and_b32_e32 v10, 64, v4
	v_lshrrev_b32_e32 v4, 7, v4
	s_delay_alu instid0(VALU_DEP_3) | instskip(NEXT) | instid1(VALU_DEP_3)
	v_and_or_b32 v6, 0x3f0000, v6, v9
	v_cmp_ne_u32_e32 vcc_lo, 0, v10
	s_delay_alu instid0(VALU_DEP_2) | instskip(NEXT) | instid1(VALU_DEP_1)
	v_cmp_ne_u32_e64 s0, 0, v6
	s_and_b32 s0, vcc_lo, s0
	s_delay_alu instid0(SALU_CYCLE_1) | instskip(NEXT) | instid1(VALU_DEP_1)
	v_cndmask_b32_e64 v6, 0, 1, s0
	v_add_nc_u32_e32 v6, v4, v6
; %bb.1693:
	s_or_b32 exec_lo, exec_lo, s6
	s_mov_b32 s0, 0
	s_mov_b32 s6, -1
	global_store_b8 v[0:1], v6, off
.LBB152_1694:
	s_mov_b32 s7, 0
.LBB152_1695:
	s_delay_alu instid0(SALU_CYCLE_1)
	s_and_b32 vcc_lo, exec_lo, s7
	s_cbranch_vccz .LBB152_1698
; %bb.1696:
	v_cmp_eq_u16_e32 vcc_lo, 29, v5
	s_mov_b32 s0, -1
	s_cbranch_vccz .LBB152_1698
; %bb.1697:
	v_lshlrev_b32_e32 v4, 16, v3
	s_mov_b32 s0, 0
	s_mov_b32 s6, -1
	s_delay_alu instid0(VALU_DEP_1) | instskip(NEXT) | instid1(VALU_DEP_1)
	v_trunc_f32_e32 v4, v4
	v_mul_f32_e32 v6, 0x2f800000, v4
	s_delay_alu instid0(VALU_DEP_1) | instskip(NEXT) | instid1(VALU_DEP_1)
	v_floor_f32_e32 v6, v6
	v_fmamk_f32 v4, v6, 0xcf800000, v4
	v_cvt_u32_f32_e32 v10, v6
	s_delay_alu instid0(VALU_DEP_2)
	v_cvt_u32_f32_e32 v9, v4
	global_store_b64 v[0:1], v[9:10], off
.LBB152_1698:
	s_mov_b32 s7, 0
.LBB152_1699:
	s_delay_alu instid0(SALU_CYCLE_1)
	s_and_b32 vcc_lo, exec_lo, s7
	s_cbranch_vccz .LBB152_1715
; %bb.1700:
	v_cmp_gt_i16_e32 vcc_lo, 27, v5
	s_mov_b32 s6, -1
	s_cbranch_vccnz .LBB152_1706
; %bb.1701:
	v_cmp_lt_i16_e32 vcc_lo, 27, v5
	s_cbranch_vccz .LBB152_1703
; %bb.1702:
	v_lshlrev_b32_e32 v4, 16, v3
	s_mov_b32 s6, 0
	s_delay_alu instid0(VALU_DEP_1)
	v_cvt_u32_f32_e32 v4, v4
	global_store_b32 v[0:1], v4, off
.LBB152_1703:
	s_and_not1_b32 vcc_lo, exec_lo, s6
	s_cbranch_vccnz .LBB152_1705
; %bb.1704:
	v_lshlrev_b32_e32 v4, 16, v3
	s_delay_alu instid0(VALU_DEP_1)
	v_cvt_u32_f32_e32 v4, v4
	global_store_b16 v[0:1], v4, off
.LBB152_1705:
	s_mov_b32 s6, 0
.LBB152_1706:
	s_delay_alu instid0(SALU_CYCLE_1)
	s_and_not1_b32 vcc_lo, exec_lo, s6
	s_cbranch_vccnz .LBB152_1714
; %bb.1707:
	v_dual_mov_b32 v10, 0x80 :: v_dual_lshlrev_b32 v9, 16, v3
	s_mov_b32 s6, exec_lo
	s_delay_alu instid0(VALU_DEP_1) | instskip(NEXT) | instid1(VALU_DEP_1)
	v_and_b32_e32 v6, 0x7fffffff, v9
	v_cmpx_gt_u32_e32 0x43800000, v6
	s_cbranch_execz .LBB152_1713
; %bb.1708:
	v_and_b32_e32 v4, 0xffff, v3
	v_cmp_lt_u32_e32 vcc_lo, 0x3bffffff, v6
	s_mov_b32 s7, 0
                                        ; implicit-def: $vgpr6
	s_and_saveexec_b32 s10, vcc_lo
	s_delay_alu instid0(SALU_CYCLE_1)
	s_xor_b32 s10, exec_lo, s10
	s_cbranch_execz .LBB152_2052
; %bb.1709:
	v_bfe_u32 v6, v4, 4, 1
	s_mov_b32 s7, exec_lo
	s_delay_alu instid0(VALU_DEP_1) | instskip(NEXT) | instid1(VALU_DEP_1)
	v_add3_u32 v6, v9, v6, 0x487ffff
                                        ; implicit-def: $vgpr9
	v_lshrrev_b32_e32 v6, 20, v6
	s_or_saveexec_b32 s10, s10
                                        ; implicit-def: $sgpr11
	s_delay_alu instid0(SALU_CYCLE_1)
	s_xor_b32 exec_lo, exec_lo, s10
	s_cbranch_execnz .LBB152_2053
.LBB152_1710:
	s_or_b32 exec_lo, exec_lo, s10
	v_mov_b32_e32 v10, s11
	s_and_saveexec_b32 s10, s7
.LBB152_1711:
	v_lshrrev_b32_e32 v4, 8, v4
	s_delay_alu instid0(VALU_DEP_1)
	v_and_or_b32 v10, 0x80, v4, v6
.LBB152_1712:
	s_or_b32 exec_lo, exec_lo, s10
.LBB152_1713:
	s_delay_alu instid0(SALU_CYCLE_1)
	s_or_b32 exec_lo, exec_lo, s6
	global_store_b8 v[0:1], v10, off
.LBB152_1714:
	s_mov_b32 s6, -1
.LBB152_1715:
	s_mov_b32 s7, 0
.LBB152_1716:
	s_delay_alu instid0(SALU_CYCLE_1)
	s_and_b32 vcc_lo, exec_lo, s7
	s_cbranch_vccz .LBB152_1756
; %bb.1717:
	v_cmp_lt_i16_e32 vcc_lo, 22, v5
	s_mov_b32 s3, -1
	s_cbranch_vccz .LBB152_1749
; %bb.1718:
	v_cmp_gt_i16_e32 vcc_lo, 24, v5
	s_cbranch_vccnz .LBB152_1738
; %bb.1719:
	v_cmp_lt_i16_e32 vcc_lo, 24, v5
	s_cbranch_vccz .LBB152_1727
; %bb.1720:
	v_dual_mov_b32 v10, 0x80 :: v_dual_lshlrev_b32 v9, 16, v3
	s_mov_b32 s3, exec_lo
	s_delay_alu instid0(VALU_DEP_1) | instskip(NEXT) | instid1(VALU_DEP_1)
	v_and_b32_e32 v6, 0x7fffffff, v9
	v_cmpx_gt_u32_e32 0x47800000, v6
	s_cbranch_execz .LBB152_1726
; %bb.1721:
	v_and_b32_e32 v4, 0xffff, v3
	v_cmp_lt_u32_e32 vcc_lo, 0x37ffffff, v6
	s_mov_b32 s6, 0
                                        ; implicit-def: $vgpr6
	s_and_saveexec_b32 s7, vcc_lo
	s_delay_alu instid0(SALU_CYCLE_1)
	s_xor_b32 s7, exec_lo, s7
	s_cbranch_execz .LBB152_2058
; %bb.1722:
	v_bfe_u32 v6, v4, 5, 1
	s_mov_b32 s6, exec_lo
	s_delay_alu instid0(VALU_DEP_1) | instskip(NEXT) | instid1(VALU_DEP_1)
	v_add3_u32 v6, v9, v6, 0x88fffff
                                        ; implicit-def: $vgpr9
	v_lshrrev_b32_e32 v6, 21, v6
	s_or_saveexec_b32 s7, s7
                                        ; implicit-def: $sgpr10
	s_delay_alu instid0(SALU_CYCLE_1)
	s_xor_b32 exec_lo, exec_lo, s7
	s_cbranch_execnz .LBB152_2059
.LBB152_1723:
	s_or_b32 exec_lo, exec_lo, s7
	v_mov_b32_e32 v10, s10
	s_and_saveexec_b32 s7, s6
.LBB152_1724:
	v_lshrrev_b32_e32 v4, 8, v4
	s_delay_alu instid0(VALU_DEP_1)
	v_and_or_b32 v10, 0x80, v4, v6
.LBB152_1725:
	s_or_b32 exec_lo, exec_lo, s7
.LBB152_1726:
	s_delay_alu instid0(SALU_CYCLE_1)
	s_or_b32 exec_lo, exec_lo, s3
	s_mov_b32 s3, 0
	global_store_b8 v[0:1], v10, off
.LBB152_1727:
	s_and_b32 vcc_lo, exec_lo, s3
	s_cbranch_vccz .LBB152_1737
; %bb.1728:
	v_lshlrev_b32_e32 v9, 16, v3
	v_and_b32_e32 v4, 0xffff, v3
	s_mov_b32 s3, exec_lo
                                        ; implicit-def: $vgpr6
	s_delay_alu instid0(VALU_DEP_2) | instskip(NEXT) | instid1(VALU_DEP_1)
	v_and_b32_e32 v10, 0x7fffffff, v9
	v_cmpx_gt_u32_e32 0x43f00000, v10
	s_xor_b32 s3, exec_lo, s3
	s_cbranch_execz .LBB152_1734
; %bb.1729:
	s_mov_b32 s6, exec_lo
                                        ; implicit-def: $vgpr6
	v_cmpx_lt_u32_e32 0x3c7fffff, v10
	s_xor_b32 s6, exec_lo, s6
; %bb.1730:
	v_bfe_u32 v6, v4, 4, 1
	s_delay_alu instid0(VALU_DEP_1) | instskip(NEXT) | instid1(VALU_DEP_1)
	v_add3_u32 v6, v9, v6, 0x407ffff
	v_and_b32_e32 v9, 0xff00000, v6
	v_lshrrev_b32_e32 v6, 20, v6
	s_delay_alu instid0(VALU_DEP_2) | instskip(NEXT) | instid1(VALU_DEP_2)
	v_cmp_ne_u32_e32 vcc_lo, 0x7f00000, v9
                                        ; implicit-def: $vgpr9
	v_cndmask_b32_e32 v6, 0x7e, v6, vcc_lo
; %bb.1731:
	s_and_not1_saveexec_b32 s6, s6
; %bb.1732:
	v_add_f32_e64 v6, 0x46800000, |v9|
; %bb.1733:
	s_or_b32 exec_lo, exec_lo, s6
                                        ; implicit-def: $vgpr10
.LBB152_1734:
	s_and_not1_saveexec_b32 s3, s3
; %bb.1735:
	v_mov_b32_e32 v6, 0x7f
	v_cmp_lt_u32_e32 vcc_lo, 0x7f800000, v10
	s_delay_alu instid0(VALU_DEP_2)
	v_cndmask_b32_e32 v6, 0x7e, v6, vcc_lo
; %bb.1736:
	s_or_b32 exec_lo, exec_lo, s3
	v_lshrrev_b32_e32 v4, 8, v4
	s_delay_alu instid0(VALU_DEP_1)
	v_and_or_b32 v4, 0x80, v4, v6
	global_store_b8 v[0:1], v4, off
.LBB152_1737:
	s_mov_b32 s3, 0
.LBB152_1738:
	s_delay_alu instid0(SALU_CYCLE_1)
	s_and_not1_b32 vcc_lo, exec_lo, s3
	s_cbranch_vccnz .LBB152_1748
; %bb.1739:
	v_lshlrev_b32_e32 v9, 16, v3
	v_and_b32_e32 v4, 0xffff, v3
	s_mov_b32 s3, exec_lo
                                        ; implicit-def: $vgpr6
	s_delay_alu instid0(VALU_DEP_2) | instskip(NEXT) | instid1(VALU_DEP_1)
	v_and_b32_e32 v10, 0x7fffffff, v9
	v_cmpx_gt_u32_e32 0x47800000, v10
	s_xor_b32 s3, exec_lo, s3
	s_cbranch_execz .LBB152_1745
; %bb.1740:
	s_mov_b32 s6, exec_lo
                                        ; implicit-def: $vgpr6
	v_cmpx_lt_u32_e32 0x387fffff, v10
	s_xor_b32 s6, exec_lo, s6
; %bb.1741:
	v_bfe_u32 v6, v4, 5, 1
	s_delay_alu instid0(VALU_DEP_1) | instskip(NEXT) | instid1(VALU_DEP_1)
	v_add3_u32 v6, v9, v6, 0x80fffff
                                        ; implicit-def: $vgpr9
	v_lshrrev_b32_e32 v6, 21, v6
; %bb.1742:
	s_and_not1_saveexec_b32 s6, s6
; %bb.1743:
	v_add_f32_e64 v6, 0x43000000, |v9|
; %bb.1744:
	s_or_b32 exec_lo, exec_lo, s6
                                        ; implicit-def: $vgpr10
.LBB152_1745:
	s_and_not1_saveexec_b32 s3, s3
; %bb.1746:
	v_mov_b32_e32 v6, 0x7f
	v_cmp_lt_u32_e32 vcc_lo, 0x7f800000, v10
	s_delay_alu instid0(VALU_DEP_2)
	v_cndmask_b32_e32 v6, 0x7c, v6, vcc_lo
; %bb.1747:
	s_or_b32 exec_lo, exec_lo, s3
	v_lshrrev_b32_e32 v4, 8, v4
	s_delay_alu instid0(VALU_DEP_1)
	v_and_or_b32 v4, 0x80, v4, v6
	global_store_b8 v[0:1], v4, off
.LBB152_1748:
	s_mov_b32 s3, 0
	s_mov_b32 s6, -1
.LBB152_1749:
	s_and_not1_b32 vcc_lo, exec_lo, s3
	s_mov_b32 s3, 0
	s_cbranch_vccnz .LBB152_1756
; %bb.1750:
	v_cmp_lt_i16_e32 vcc_lo, 14, v5
	s_mov_b32 s3, -1
	s_cbranch_vccz .LBB152_1754
; %bb.1751:
	v_cmp_eq_u16_e32 vcc_lo, 15, v5
	s_mov_b32 s0, -1
	s_cbranch_vccz .LBB152_1753
; %bb.1752:
	s_mov_b32 s0, 0
	s_mov_b32 s6, -1
	global_store_b16 v[0:1], v3, off
.LBB152_1753:
	s_mov_b32 s3, 0
.LBB152_1754:
	s_delay_alu instid0(SALU_CYCLE_1)
	s_and_b32 vcc_lo, exec_lo, s3
	s_mov_b32 s3, 0
	s_cbranch_vccz .LBB152_1756
; %bb.1755:
	v_cmp_ne_u16_e64 s0, 11, v5
	s_mov_b32 s3, -1
.LBB152_1756:
	s_delay_alu instid0(VALU_DEP_1)
	s_and_b32 vcc_lo, exec_lo, s0
	s_cbranch_vccnz .LBB152_2056
; %bb.1757:
	s_and_not1_b32 vcc_lo, exec_lo, s3
	s_cbranch_vccnz .LBB152_1759
.LBB152_1758:
	v_and_b32_e32 v4, 0x7fff, v3
	s_mov_b32 s6, -1
	s_delay_alu instid0(VALU_DEP_1)
	v_cmp_ne_u16_e32 vcc_lo, 0, v4
	v_cndmask_b32_e64 v4, 0, 1, vcc_lo
	global_store_b8 v[0:1], v4, off
.LBB152_1759:
	s_mov_b32 s0, 0
	s_branch .LBB152_1761
.LBB152_1760:
	s_mov_b32 s0, -1
	s_mov_b32 s6, 0
.LBB152_1761:
	s_and_b32 vcc_lo, exec_lo, s0
	s_cbranch_vccz .LBB152_1800
; %bb.1762:
	v_cmp_gt_i16_e32 vcc_lo, 5, v5
	s_mov_b32 s0, -1
	s_cbranch_vccnz .LBB152_1783
; %bb.1763:
	v_cmp_gt_i16_e32 vcc_lo, 8, v5
	s_cbranch_vccnz .LBB152_1773
; %bb.1764:
	v_cmp_gt_i16_e32 vcc_lo, 9, v5
	s_cbranch_vccnz .LBB152_1770
; %bb.1765:
	v_cmp_lt_i16_e32 vcc_lo, 9, v5
	s_cbranch_vccz .LBB152_1767
; %bb.1766:
	v_dual_mov_b32 v11, 0 :: v_dual_lshlrev_b32 v4, 16, v3
	s_mov_b32 s0, 0
	s_delay_alu instid0(VALU_DEP_1) | instskip(NEXT) | instid1(VALU_DEP_2)
	v_cvt_f64_f32_e32 v[9:10], v4
	v_mov_b32_e32 v12, v11
	global_store_b128 v[0:1], v[9:12], off
.LBB152_1767:
	s_and_not1_b32 vcc_lo, exec_lo, s0
	s_cbranch_vccnz .LBB152_1769
; %bb.1768:
	v_dual_mov_b32 v10, 0 :: v_dual_lshlrev_b32 v9, 16, v3
	global_store_b64 v[0:1], v[9:10], off
.LBB152_1769:
	s_mov_b32 s0, 0
.LBB152_1770:
	s_delay_alu instid0(SALU_CYCLE_1)
	s_and_not1_b32 vcc_lo, exec_lo, s0
	s_cbranch_vccnz .LBB152_1772
; %bb.1771:
	v_lshlrev_b32_e32 v4, 16, v3
	s_delay_alu instid0(VALU_DEP_1) | instskip(NEXT) | instid1(VALU_DEP_1)
	v_cvt_f16_f32_e32 v4, v4
	v_and_b32_e32 v4, 0xffff, v4
	global_store_b32 v[0:1], v4, off
.LBB152_1772:
	s_mov_b32 s0, 0
.LBB152_1773:
	s_delay_alu instid0(SALU_CYCLE_1)
	s_and_not1_b32 vcc_lo, exec_lo, s0
	s_cbranch_vccnz .LBB152_1782
; %bb.1774:
	v_cmp_gt_i16_e32 vcc_lo, 6, v5
	s_mov_b32 s0, -1
	s_cbranch_vccnz .LBB152_1780
; %bb.1775:
	v_cmp_lt_i16_e32 vcc_lo, 6, v5
	s_cbranch_vccz .LBB152_1777
; %bb.1776:
	v_lshlrev_b32_e32 v4, 16, v3
	s_mov_b32 s0, 0
	s_delay_alu instid0(VALU_DEP_1)
	v_cvt_f64_f32_e32 v[9:10], v4
	global_store_b64 v[0:1], v[9:10], off
.LBB152_1777:
	s_and_not1_b32 vcc_lo, exec_lo, s0
	s_cbranch_vccnz .LBB152_1779
; %bb.1778:
	v_lshlrev_b32_e32 v4, 16, v3
	global_store_b32 v[0:1], v4, off
.LBB152_1779:
	s_mov_b32 s0, 0
.LBB152_1780:
	s_delay_alu instid0(SALU_CYCLE_1)
	s_and_not1_b32 vcc_lo, exec_lo, s0
	s_cbranch_vccnz .LBB152_1782
; %bb.1781:
	v_lshlrev_b32_e32 v4, 16, v3
	s_delay_alu instid0(VALU_DEP_1)
	v_cvt_f16_f32_e32 v4, v4
	global_store_b16 v[0:1], v4, off
.LBB152_1782:
	s_mov_b32 s0, 0
.LBB152_1783:
	s_delay_alu instid0(SALU_CYCLE_1)
	s_and_not1_b32 vcc_lo, exec_lo, s0
	s_cbranch_vccnz .LBB152_1799
; %bb.1784:
	v_cmp_gt_i16_e32 vcc_lo, 2, v5
	s_mov_b32 s0, -1
	s_cbranch_vccnz .LBB152_1794
; %bb.1785:
	v_cmp_gt_i16_e32 vcc_lo, 3, v5
	s_cbranch_vccnz .LBB152_1791
; %bb.1786:
	v_cmp_lt_i16_e32 vcc_lo, 3, v5
	s_cbranch_vccz .LBB152_1788
; %bb.1787:
	v_lshlrev_b32_e32 v4, 16, v3
	s_mov_b32 s0, 0
	s_delay_alu instid0(VALU_DEP_1) | instskip(NEXT) | instid1(VALU_DEP_1)
	v_trunc_f32_e32 v4, v4
	v_mul_f32_e64 v6, 0x2f800000, |v4|
	s_delay_alu instid0(VALU_DEP_1) | instskip(NEXT) | instid1(VALU_DEP_1)
	v_floor_f32_e32 v6, v6
	v_fma_f32 v9, 0xcf800000, v6, |v4|
	v_ashrrev_i32_e32 v4, 31, v4
	v_cvt_u32_f32_e32 v6, v6
	s_delay_alu instid0(VALU_DEP_3) | instskip(NEXT) | instid1(VALU_DEP_2)
	v_cvt_u32_f32_e32 v9, v9
	v_xor_b32_e32 v6, v6, v4
	s_delay_alu instid0(VALU_DEP_2) | instskip(NEXT) | instid1(VALU_DEP_1)
	v_xor_b32_e32 v9, v9, v4
	v_sub_co_u32 v9, vcc_lo, v9, v4
	s_delay_alu instid0(VALU_DEP_3)
	v_sub_co_ci_u32_e32 v10, vcc_lo, v6, v4, vcc_lo
	global_store_b64 v[0:1], v[9:10], off
.LBB152_1788:
	s_and_not1_b32 vcc_lo, exec_lo, s0
	s_cbranch_vccnz .LBB152_1790
; %bb.1789:
	v_lshlrev_b32_e32 v4, 16, v3
	s_delay_alu instid0(VALU_DEP_1)
	v_cvt_i32_f32_e32 v4, v4
	global_store_b32 v[0:1], v4, off
.LBB152_1790:
	s_mov_b32 s0, 0
.LBB152_1791:
	s_delay_alu instid0(SALU_CYCLE_1)
	s_and_not1_b32 vcc_lo, exec_lo, s0
	s_cbranch_vccnz .LBB152_1793
; %bb.1792:
	v_lshlrev_b32_e32 v4, 16, v3
	s_delay_alu instid0(VALU_DEP_1)
	v_cvt_i32_f32_e32 v4, v4
	global_store_b16 v[0:1], v4, off
.LBB152_1793:
	s_mov_b32 s0, 0
.LBB152_1794:
	s_delay_alu instid0(SALU_CYCLE_1)
	s_and_not1_b32 vcc_lo, exec_lo, s0
	s_cbranch_vccnz .LBB152_1799
; %bb.1795:
	v_cmp_lt_i16_e32 vcc_lo, 0, v5
	v_lshlrev_b32_e32 v3, 16, v3
	s_mov_b32 s0, -1
	s_cbranch_vccz .LBB152_1797
; %bb.1796:
	s_delay_alu instid0(VALU_DEP_1)
	v_cvt_i32_f32_e32 v4, v3
	s_mov_b32 s0, 0
	global_store_b8 v[0:1], v4, off
.LBB152_1797:
	s_and_not1_b32 vcc_lo, exec_lo, s0
	s_cbranch_vccnz .LBB152_1799
; %bb.1798:
	v_trunc_f32_e32 v3, v3
	s_delay_alu instid0(VALU_DEP_1) | instskip(NEXT) | instid1(VALU_DEP_1)
	v_mul_f32_e64 v4, 0x2f800000, |v3|
	v_floor_f32_e32 v4, v4
	s_delay_alu instid0(VALU_DEP_1) | instskip(SKIP_1) | instid1(VALU_DEP_2)
	v_fma_f32 v4, 0xcf800000, v4, |v3|
	v_ashrrev_i32_e32 v3, 31, v3
	v_cvt_u32_f32_e32 v4, v4
	s_delay_alu instid0(VALU_DEP_1) | instskip(NEXT) | instid1(VALU_DEP_1)
	v_xor_b32_e32 v4, v4, v3
	v_sub_nc_u32_e32 v3, v4, v3
	global_store_b8 v[0:1], v3, off
.LBB152_1799:
	s_mov_b32 s6, -1
.LBB152_1800:
	s_delay_alu instid0(SALU_CYCLE_1)
	s_and_not1_b32 vcc_lo, exec_lo, s6
	s_cbranch_vccnz .LBB152_1996
; %bb.1801:
	v_lshlrev_b32_e32 v0, 16, v7
	s_mov_b32 s0, 0x395133b1
	s_delay_alu instid0(VALU_DEP_1) | instskip(NEXT) | instid1(VALU_DEP_1)
	v_dual_mul_f32 v1, 0x3fb8aa3b, v0 :: v_dual_add_nc_u32 v2, s2, v2
	v_rndne_f32_e32 v1, v1
	s_delay_alu instid0(VALU_DEP_1) | instskip(SKIP_2) | instid1(VALU_DEP_3)
	v_fmamk_f32 v3, v1, 0xbf317218, v0
	v_cmp_eq_f32_e32 vcc_lo, 0x43000000, v1
	v_cvt_i32_f32_e32 v6, v1
	v_fmamk_f32 v3, v1, 0x3102e308, v3
	s_delay_alu instid0(VALU_DEP_2) | instskip(NEXT) | instid1(VALU_DEP_2)
	v_cndmask_b32_e64 v1, v6, 0x7f, vcc_lo
	v_fmaak_f32 v4, s0, v3, 0x3ab69700
	s_delay_alu instid0(VALU_DEP_2) | instskip(NEXT) | instid1(VALU_DEP_2)
	v_ldexp_f32 v1, 1.0, v1
	v_fmaak_f32 v4, v3, v4, 0x3c0887f9
	s_delay_alu instid0(VALU_DEP_2) | instskip(NEXT) | instid1(VALU_DEP_2)
	v_add_f32_e32 v6, -1.0, v1
	v_fmaak_f32 v4, v3, v4, 0x3d2aaa81
	s_delay_alu instid0(VALU_DEP_1) | instskip(NEXT) | instid1(VALU_DEP_1)
	v_fmaak_f32 v4, v3, v4, 0x3e2aaaab
	v_fma_f32 v4, v3, v4, 0.5
	s_delay_alu instid0(VALU_DEP_1) | instskip(NEXT) | instid1(VALU_DEP_1)
	v_mul_f32_e32 v4, v3, v4
	v_fmac_f32_e32 v3, v3, v4
	s_delay_alu instid0(VALU_DEP_1) | instskip(NEXT) | instid1(VALU_DEP_1)
	v_fmac_f32_e32 v6, v1, v3
	v_add_f32_e32 v1, v6, v6
	s_delay_alu instid0(VALU_DEP_1) | instskip(SKIP_1) | instid1(VALU_DEP_2)
	v_cndmask_b32_e32 v1, v6, v1, vcc_lo
	v_cmp_nlt_f32_e32 vcc_lo, 0x42b17217, v0
	v_cndmask_b32_e32 v1, 0x7f800000, v1, vcc_lo
	v_cmp_ngt_f32_e32 vcc_lo, 0xc1880000, v0
	s_delay_alu instid0(VALU_DEP_2) | instskip(SKIP_2) | instid1(VALU_DEP_3)
	v_cndmask_b32_e32 v3, -1.0, v1, vcc_lo
	v_ashrrev_i32_e32 v1, 31, v2
	v_cmp_gt_i16_e32 vcc_lo, 11, v5
	v_bfe_u32 v0, v3, 16, 1
	s_and_b32 vcc_lo, exec_lo, vcc_lo
	s_delay_alu instid0(VALU_DEP_1) | instskip(NEXT) | instid1(VALU_DEP_1)
	v_add3_u32 v0, v3, v0, 0x7fff
	v_lshrrev_b32_e32 v4, 16, v0
	v_add_co_u32 v0, s0, s4, v2
	s_delay_alu instid0(VALU_DEP_1) | instskip(SKIP_1) | instid1(VALU_DEP_1)
	v_add_co_ci_u32_e64 v1, s0, s5, v1, s0
	v_cmp_o_f32_e64 s0, v3, v3
	v_cndmask_b32_e64 v3, 0x7fc0, v4, s0
	s_cbranch_vccnz .LBB152_1879
; %bb.1802:
	v_cmp_lt_i16_e32 vcc_lo, 25, v5
	s_mov_b32 s7, -1
	s_mov_b32 s3, 0
	s_mov_b32 s6, 0
	;; [unrolled: 1-line block ×3, first 2 shown]
	s_cbranch_vccz .LBB152_1835
; %bb.1803:
	v_cmp_lt_i16_e32 vcc_lo, 28, v5
	s_cbranch_vccz .LBB152_1818
; %bb.1804:
	v_cmp_lt_i16_e32 vcc_lo, 43, v5
	;; [unrolled: 3-line block ×3, first 2 shown]
	s_cbranch_vccz .LBB152_1808
; %bb.1806:
	v_cmp_eq_u16_e32 vcc_lo, 46, v5
	s_mov_b32 s0, -1
	s_mov_b32 s7, 0
	s_cbranch_vccz .LBB152_1808
; %bb.1807:
	v_and_b32_e32 v4, 0xffff, v3
	s_mov_b32 s0, 0
	s_mov_b32 s6, -1
	global_store_b32 v[0:1], v4, off
.LBB152_1808:
	s_and_b32 vcc_lo, exec_lo, s7
	s_cbranch_vccz .LBB152_1813
; %bb.1809:
	v_cmp_eq_u16_e32 vcc_lo, 44, v5
	s_mov_b32 s0, -1
	s_cbranch_vccz .LBB152_1813
; %bb.1810:
	v_and_b32_e32 v4, 0xffff, v3
	v_mov_b32_e32 v6, 0xff
	s_mov_b32 s6, exec_lo
	s_delay_alu instid0(VALU_DEP_2) | instskip(NEXT) | instid1(VALU_DEP_1)
	v_bfe_u32 v7, v4, 7, 8
	v_cmpx_ne_u32_e32 0xff, v7
; %bb.1811:
	v_lshlrev_b32_e32 v6, 16, v4
	v_and_b32_e32 v9, 64, v4
	v_lshrrev_b32_e32 v4, 7, v4
	s_delay_alu instid0(VALU_DEP_3) | instskip(NEXT) | instid1(VALU_DEP_3)
	v_and_or_b32 v6, 0x3f0000, v6, v7
	v_cmp_ne_u32_e32 vcc_lo, 0, v9
	s_delay_alu instid0(VALU_DEP_2) | instskip(NEXT) | instid1(VALU_DEP_1)
	v_cmp_ne_u32_e64 s0, 0, v6
	s_and_b32 s0, vcc_lo, s0
	s_delay_alu instid0(SALU_CYCLE_1) | instskip(NEXT) | instid1(VALU_DEP_1)
	v_cndmask_b32_e64 v6, 0, 1, s0
	v_add_nc_u32_e32 v6, v4, v6
; %bb.1812:
	s_or_b32 exec_lo, exec_lo, s6
	s_mov_b32 s0, 0
	s_mov_b32 s6, -1
	global_store_b8 v[0:1], v6, off
.LBB152_1813:
	s_mov_b32 s7, 0
.LBB152_1814:
	s_delay_alu instid0(SALU_CYCLE_1)
	s_and_b32 vcc_lo, exec_lo, s7
	s_cbranch_vccz .LBB152_1817
; %bb.1815:
	v_cmp_eq_u16_e32 vcc_lo, 29, v5
	s_mov_b32 s0, -1
	s_cbranch_vccz .LBB152_1817
; %bb.1816:
	v_lshlrev_b32_e32 v4, 16, v3
	s_mov_b32 s0, 0
	s_mov_b32 s6, -1
	s_delay_alu instid0(VALU_DEP_1) | instskip(NEXT) | instid1(VALU_DEP_1)
	v_trunc_f32_e32 v4, v4
	v_mul_f32_e32 v6, 0x2f800000, v4
	s_delay_alu instid0(VALU_DEP_1) | instskip(NEXT) | instid1(VALU_DEP_1)
	v_floor_f32_e32 v6, v6
	v_fmamk_f32 v4, v6, 0xcf800000, v4
	v_cvt_u32_f32_e32 v7, v6
	s_delay_alu instid0(VALU_DEP_2)
	v_cvt_u32_f32_e32 v6, v4
	global_store_b64 v[0:1], v[6:7], off
.LBB152_1817:
	s_mov_b32 s7, 0
.LBB152_1818:
	s_delay_alu instid0(SALU_CYCLE_1)
	s_and_b32 vcc_lo, exec_lo, s7
	s_cbranch_vccz .LBB152_1834
; %bb.1819:
	v_cmp_gt_i16_e32 vcc_lo, 27, v5
	s_mov_b32 s6, -1
	s_cbranch_vccnz .LBB152_1825
; %bb.1820:
	v_cmp_lt_i16_e32 vcc_lo, 27, v5
	s_cbranch_vccz .LBB152_1822
; %bb.1821:
	v_lshlrev_b32_e32 v4, 16, v3
	s_mov_b32 s6, 0
	s_delay_alu instid0(VALU_DEP_1)
	v_cvt_u32_f32_e32 v4, v4
	global_store_b32 v[0:1], v4, off
.LBB152_1822:
	s_and_not1_b32 vcc_lo, exec_lo, s6
	s_cbranch_vccnz .LBB152_1824
; %bb.1823:
	v_lshlrev_b32_e32 v4, 16, v3
	s_delay_alu instid0(VALU_DEP_1)
	v_cvt_u32_f32_e32 v4, v4
	global_store_b16 v[0:1], v4, off
.LBB152_1824:
	s_mov_b32 s6, 0
.LBB152_1825:
	s_delay_alu instid0(SALU_CYCLE_1)
	s_and_not1_b32 vcc_lo, exec_lo, s6
	s_cbranch_vccnz .LBB152_1833
; %bb.1826:
	v_lshlrev_b32_e32 v7, 16, v3
	v_mov_b32_e32 v9, 0x80
	s_mov_b32 s6, exec_lo
	s_delay_alu instid0(VALU_DEP_2) | instskip(NEXT) | instid1(VALU_DEP_1)
	v_and_b32_e32 v6, 0x7fffffff, v7
	v_cmpx_gt_u32_e32 0x43800000, v6
	s_cbranch_execz .LBB152_1832
; %bb.1827:
	v_and_b32_e32 v4, 0xffff, v3
	v_cmp_lt_u32_e32 vcc_lo, 0x3bffffff, v6
	s_mov_b32 s7, 0
                                        ; implicit-def: $vgpr6
	s_and_saveexec_b32 s10, vcc_lo
	s_delay_alu instid0(SALU_CYCLE_1)
	s_xor_b32 s10, exec_lo, s10
	s_cbranch_execz .LBB152_2060
; %bb.1828:
	v_bfe_u32 v6, v4, 4, 1
	s_mov_b32 s7, exec_lo
	s_delay_alu instid0(VALU_DEP_1) | instskip(NEXT) | instid1(VALU_DEP_1)
	v_add3_u32 v6, v7, v6, 0x487ffff
                                        ; implicit-def: $vgpr7
	v_lshrrev_b32_e32 v6, 20, v6
	s_or_saveexec_b32 s10, s10
                                        ; implicit-def: $sgpr11
	s_delay_alu instid0(SALU_CYCLE_1)
	s_xor_b32 exec_lo, exec_lo, s10
	s_cbranch_execnz .LBB152_2061
.LBB152_1829:
	s_or_b32 exec_lo, exec_lo, s10
	v_mov_b32_e32 v9, s11
	s_and_saveexec_b32 s10, s7
.LBB152_1830:
	v_lshrrev_b32_e32 v4, 8, v4
	s_delay_alu instid0(VALU_DEP_1)
	v_and_or_b32 v9, 0x80, v4, v6
.LBB152_1831:
	s_or_b32 exec_lo, exec_lo, s10
.LBB152_1832:
	s_delay_alu instid0(SALU_CYCLE_1)
	s_or_b32 exec_lo, exec_lo, s6
	global_store_b8 v[0:1], v9, off
.LBB152_1833:
	s_mov_b32 s6, -1
.LBB152_1834:
	s_mov_b32 s7, 0
.LBB152_1835:
	s_delay_alu instid0(SALU_CYCLE_1)
	s_and_b32 vcc_lo, exec_lo, s7
	s_cbranch_vccz .LBB152_1875
; %bb.1836:
	v_cmp_lt_i16_e32 vcc_lo, 22, v5
	s_mov_b32 s3, -1
	s_cbranch_vccz .LBB152_1868
; %bb.1837:
	v_cmp_gt_i16_e32 vcc_lo, 24, v5
	s_cbranch_vccnz .LBB152_1857
; %bb.1838:
	v_cmp_lt_i16_e32 vcc_lo, 24, v5
	s_cbranch_vccz .LBB152_1846
; %bb.1839:
	v_lshlrev_b32_e32 v7, 16, v3
	v_mov_b32_e32 v9, 0x80
	s_mov_b32 s3, exec_lo
	s_delay_alu instid0(VALU_DEP_2) | instskip(NEXT) | instid1(VALU_DEP_1)
	v_and_b32_e32 v6, 0x7fffffff, v7
	v_cmpx_gt_u32_e32 0x47800000, v6
	s_cbranch_execz .LBB152_1845
; %bb.1840:
	v_and_b32_e32 v4, 0xffff, v3
	v_cmp_lt_u32_e32 vcc_lo, 0x37ffffff, v6
	s_mov_b32 s6, 0
                                        ; implicit-def: $vgpr6
	s_and_saveexec_b32 s7, vcc_lo
	s_delay_alu instid0(SALU_CYCLE_1)
	s_xor_b32 s7, exec_lo, s7
	s_cbranch_execz .LBB152_2066
; %bb.1841:
	v_bfe_u32 v6, v4, 5, 1
	s_mov_b32 s6, exec_lo
	s_delay_alu instid0(VALU_DEP_1) | instskip(NEXT) | instid1(VALU_DEP_1)
	v_add3_u32 v6, v7, v6, 0x88fffff
                                        ; implicit-def: $vgpr7
	v_lshrrev_b32_e32 v6, 21, v6
	s_or_saveexec_b32 s7, s7
                                        ; implicit-def: $sgpr10
	s_delay_alu instid0(SALU_CYCLE_1)
	s_xor_b32 exec_lo, exec_lo, s7
	s_cbranch_execnz .LBB152_2067
.LBB152_1842:
	s_or_b32 exec_lo, exec_lo, s7
	v_mov_b32_e32 v9, s10
	s_and_saveexec_b32 s7, s6
.LBB152_1843:
	v_lshrrev_b32_e32 v4, 8, v4
	s_delay_alu instid0(VALU_DEP_1)
	v_and_or_b32 v9, 0x80, v4, v6
.LBB152_1844:
	s_or_b32 exec_lo, exec_lo, s7
.LBB152_1845:
	s_delay_alu instid0(SALU_CYCLE_1)
	s_or_b32 exec_lo, exec_lo, s3
	s_mov_b32 s3, 0
	global_store_b8 v[0:1], v9, off
.LBB152_1846:
	s_and_b32 vcc_lo, exec_lo, s3
	s_cbranch_vccz .LBB152_1856
; %bb.1847:
	v_lshlrev_b32_e32 v7, 16, v3
	v_and_b32_e32 v4, 0xffff, v3
	s_mov_b32 s3, exec_lo
                                        ; implicit-def: $vgpr6
	s_delay_alu instid0(VALU_DEP_2) | instskip(NEXT) | instid1(VALU_DEP_1)
	v_and_b32_e32 v9, 0x7fffffff, v7
	v_cmpx_gt_u32_e32 0x43f00000, v9
	s_xor_b32 s3, exec_lo, s3
	s_cbranch_execz .LBB152_1853
; %bb.1848:
	s_mov_b32 s6, exec_lo
                                        ; implicit-def: $vgpr6
	v_cmpx_lt_u32_e32 0x3c7fffff, v9
	s_xor_b32 s6, exec_lo, s6
; %bb.1849:
	v_bfe_u32 v6, v4, 4, 1
	s_delay_alu instid0(VALU_DEP_1) | instskip(NEXT) | instid1(VALU_DEP_1)
	v_add3_u32 v6, v7, v6, 0x407ffff
	v_and_b32_e32 v7, 0xff00000, v6
	v_lshrrev_b32_e32 v6, 20, v6
	s_delay_alu instid0(VALU_DEP_2) | instskip(NEXT) | instid1(VALU_DEP_2)
	v_cmp_ne_u32_e32 vcc_lo, 0x7f00000, v7
                                        ; implicit-def: $vgpr7
	v_cndmask_b32_e32 v6, 0x7e, v6, vcc_lo
; %bb.1850:
	s_and_not1_saveexec_b32 s6, s6
; %bb.1851:
	v_add_f32_e64 v6, 0x46800000, |v7|
; %bb.1852:
	s_or_b32 exec_lo, exec_lo, s6
                                        ; implicit-def: $vgpr9
.LBB152_1853:
	s_and_not1_saveexec_b32 s3, s3
; %bb.1854:
	v_mov_b32_e32 v6, 0x7f
	v_cmp_lt_u32_e32 vcc_lo, 0x7f800000, v9
	s_delay_alu instid0(VALU_DEP_2)
	v_cndmask_b32_e32 v6, 0x7e, v6, vcc_lo
; %bb.1855:
	s_or_b32 exec_lo, exec_lo, s3
	v_lshrrev_b32_e32 v4, 8, v4
	s_delay_alu instid0(VALU_DEP_1)
	v_and_or_b32 v4, 0x80, v4, v6
	global_store_b8 v[0:1], v4, off
.LBB152_1856:
	s_mov_b32 s3, 0
.LBB152_1857:
	s_delay_alu instid0(SALU_CYCLE_1)
	s_and_not1_b32 vcc_lo, exec_lo, s3
	s_cbranch_vccnz .LBB152_1867
; %bb.1858:
	v_lshlrev_b32_e32 v7, 16, v3
	v_and_b32_e32 v4, 0xffff, v3
	s_mov_b32 s3, exec_lo
                                        ; implicit-def: $vgpr6
	s_delay_alu instid0(VALU_DEP_2) | instskip(NEXT) | instid1(VALU_DEP_1)
	v_and_b32_e32 v9, 0x7fffffff, v7
	v_cmpx_gt_u32_e32 0x47800000, v9
	s_xor_b32 s3, exec_lo, s3
	s_cbranch_execz .LBB152_1864
; %bb.1859:
	s_mov_b32 s6, exec_lo
                                        ; implicit-def: $vgpr6
	v_cmpx_lt_u32_e32 0x387fffff, v9
	s_xor_b32 s6, exec_lo, s6
; %bb.1860:
	v_bfe_u32 v6, v4, 5, 1
	s_delay_alu instid0(VALU_DEP_1) | instskip(NEXT) | instid1(VALU_DEP_1)
	v_add3_u32 v6, v7, v6, 0x80fffff
                                        ; implicit-def: $vgpr7
	v_lshrrev_b32_e32 v6, 21, v6
; %bb.1861:
	s_and_not1_saveexec_b32 s6, s6
; %bb.1862:
	v_add_f32_e64 v6, 0x43000000, |v7|
; %bb.1863:
	s_or_b32 exec_lo, exec_lo, s6
                                        ; implicit-def: $vgpr9
.LBB152_1864:
	s_and_not1_saveexec_b32 s3, s3
; %bb.1865:
	v_mov_b32_e32 v6, 0x7f
	v_cmp_lt_u32_e32 vcc_lo, 0x7f800000, v9
	s_delay_alu instid0(VALU_DEP_2)
	v_cndmask_b32_e32 v6, 0x7c, v6, vcc_lo
; %bb.1866:
	s_or_b32 exec_lo, exec_lo, s3
	v_lshrrev_b32_e32 v4, 8, v4
	s_delay_alu instid0(VALU_DEP_1)
	v_and_or_b32 v4, 0x80, v4, v6
	global_store_b8 v[0:1], v4, off
.LBB152_1867:
	s_mov_b32 s3, 0
	s_mov_b32 s6, -1
.LBB152_1868:
	s_and_not1_b32 vcc_lo, exec_lo, s3
	s_mov_b32 s3, 0
	s_cbranch_vccnz .LBB152_1875
; %bb.1869:
	v_cmp_lt_i16_e32 vcc_lo, 14, v5
	s_mov_b32 s3, -1
	s_cbranch_vccz .LBB152_1873
; %bb.1870:
	v_cmp_eq_u16_e32 vcc_lo, 15, v5
	s_mov_b32 s0, -1
	s_cbranch_vccz .LBB152_1872
; %bb.1871:
	s_mov_b32 s0, 0
	s_mov_b32 s6, -1
	global_store_b16 v[0:1], v3, off
.LBB152_1872:
	s_mov_b32 s3, 0
.LBB152_1873:
	s_delay_alu instid0(SALU_CYCLE_1)
	s_and_b32 vcc_lo, exec_lo, s3
	s_mov_b32 s3, 0
	s_cbranch_vccz .LBB152_1875
; %bb.1874:
	v_cmp_ne_u16_e64 s0, 11, v5
	s_mov_b32 s3, -1
.LBB152_1875:
	s_delay_alu instid0(VALU_DEP_1)
	s_and_b32 vcc_lo, exec_lo, s0
	s_cbranch_vccnz .LBB152_2064
; %bb.1876:
	s_and_not1_b32 vcc_lo, exec_lo, s3
	s_cbranch_vccnz .LBB152_1878
.LBB152_1877:
	v_and_b32_e32 v4, 0x7fff, v3
	s_mov_b32 s6, -1
	s_delay_alu instid0(VALU_DEP_1)
	v_cmp_ne_u16_e32 vcc_lo, 0, v4
	v_cndmask_b32_e64 v4, 0, 1, vcc_lo
	global_store_b8 v[0:1], v4, off
.LBB152_1878:
	s_mov_b32 s0, 0
	s_branch .LBB152_1880
.LBB152_1879:
	s_mov_b32 s0, -1
	s_mov_b32 s6, 0
.LBB152_1880:
	s_and_b32 vcc_lo, exec_lo, s0
	s_cbranch_vccz .LBB152_1919
; %bb.1881:
	v_cmp_gt_i16_e32 vcc_lo, 5, v5
	s_mov_b32 s0, -1
	s_cbranch_vccnz .LBB152_1902
; %bb.1882:
	v_cmp_gt_i16_e32 vcc_lo, 8, v5
	s_cbranch_vccnz .LBB152_1892
; %bb.1883:
	v_cmp_gt_i16_e32 vcc_lo, 9, v5
	s_cbranch_vccnz .LBB152_1889
; %bb.1884:
	v_cmp_lt_i16_e32 vcc_lo, 9, v5
	s_cbranch_vccz .LBB152_1886
; %bb.1885:
	v_dual_mov_b32 v11, 0 :: v_dual_lshlrev_b32 v4, 16, v3
	s_mov_b32 s0, 0
	s_delay_alu instid0(VALU_DEP_1) | instskip(NEXT) | instid1(VALU_DEP_2)
	v_cvt_f64_f32_e32 v[9:10], v4
	v_mov_b32_e32 v12, v11
	global_store_b128 v[0:1], v[9:12], off
.LBB152_1886:
	s_and_not1_b32 vcc_lo, exec_lo, s0
	s_cbranch_vccnz .LBB152_1888
; %bb.1887:
	v_dual_mov_b32 v7, 0 :: v_dual_lshlrev_b32 v6, 16, v3
	global_store_b64 v[0:1], v[6:7], off
.LBB152_1888:
	s_mov_b32 s0, 0
.LBB152_1889:
	s_delay_alu instid0(SALU_CYCLE_1)
	s_and_not1_b32 vcc_lo, exec_lo, s0
	s_cbranch_vccnz .LBB152_1891
; %bb.1890:
	v_lshlrev_b32_e32 v4, 16, v3
	s_delay_alu instid0(VALU_DEP_1) | instskip(NEXT) | instid1(VALU_DEP_1)
	v_cvt_f16_f32_e32 v4, v4
	v_and_b32_e32 v4, 0xffff, v4
	global_store_b32 v[0:1], v4, off
.LBB152_1891:
	s_mov_b32 s0, 0
.LBB152_1892:
	s_delay_alu instid0(SALU_CYCLE_1)
	s_and_not1_b32 vcc_lo, exec_lo, s0
	s_cbranch_vccnz .LBB152_1901
; %bb.1893:
	v_cmp_gt_i16_e32 vcc_lo, 6, v5
	s_mov_b32 s0, -1
	s_cbranch_vccnz .LBB152_1899
; %bb.1894:
	v_cmp_lt_i16_e32 vcc_lo, 6, v5
	s_cbranch_vccz .LBB152_1896
; %bb.1895:
	v_lshlrev_b32_e32 v4, 16, v3
	s_mov_b32 s0, 0
	s_delay_alu instid0(VALU_DEP_1)
	v_cvt_f64_f32_e32 v[6:7], v4
	global_store_b64 v[0:1], v[6:7], off
.LBB152_1896:
	s_and_not1_b32 vcc_lo, exec_lo, s0
	s_cbranch_vccnz .LBB152_1898
; %bb.1897:
	v_lshlrev_b32_e32 v4, 16, v3
	global_store_b32 v[0:1], v4, off
.LBB152_1898:
	s_mov_b32 s0, 0
.LBB152_1899:
	s_delay_alu instid0(SALU_CYCLE_1)
	s_and_not1_b32 vcc_lo, exec_lo, s0
	s_cbranch_vccnz .LBB152_1901
; %bb.1900:
	v_lshlrev_b32_e32 v4, 16, v3
	s_delay_alu instid0(VALU_DEP_1)
	v_cvt_f16_f32_e32 v4, v4
	global_store_b16 v[0:1], v4, off
.LBB152_1901:
	s_mov_b32 s0, 0
.LBB152_1902:
	s_delay_alu instid0(SALU_CYCLE_1)
	s_and_not1_b32 vcc_lo, exec_lo, s0
	s_cbranch_vccnz .LBB152_1918
; %bb.1903:
	v_cmp_gt_i16_e32 vcc_lo, 2, v5
	s_mov_b32 s0, -1
	s_cbranch_vccnz .LBB152_1913
; %bb.1904:
	v_cmp_gt_i16_e32 vcc_lo, 3, v5
	s_cbranch_vccnz .LBB152_1910
; %bb.1905:
	v_cmp_lt_i16_e32 vcc_lo, 3, v5
	s_cbranch_vccz .LBB152_1907
; %bb.1906:
	v_lshlrev_b32_e32 v4, 16, v3
	s_mov_b32 s0, 0
	s_delay_alu instid0(VALU_DEP_1) | instskip(NEXT) | instid1(VALU_DEP_1)
	v_trunc_f32_e32 v4, v4
	v_mul_f32_e64 v6, 0x2f800000, |v4|
	s_delay_alu instid0(VALU_DEP_1) | instskip(NEXT) | instid1(VALU_DEP_1)
	v_floor_f32_e32 v6, v6
	v_fma_f32 v7, 0xcf800000, v6, |v4|
	v_ashrrev_i32_e32 v4, 31, v4
	v_cvt_u32_f32_e32 v6, v6
	s_delay_alu instid0(VALU_DEP_3) | instskip(NEXT) | instid1(VALU_DEP_2)
	v_cvt_u32_f32_e32 v7, v7
	v_xor_b32_e32 v9, v6, v4
	s_delay_alu instid0(VALU_DEP_2) | instskip(NEXT) | instid1(VALU_DEP_1)
	v_xor_b32_e32 v7, v7, v4
	v_sub_co_u32 v6, vcc_lo, v7, v4
	s_delay_alu instid0(VALU_DEP_3)
	v_sub_co_ci_u32_e32 v7, vcc_lo, v9, v4, vcc_lo
	global_store_b64 v[0:1], v[6:7], off
.LBB152_1907:
	s_and_not1_b32 vcc_lo, exec_lo, s0
	s_cbranch_vccnz .LBB152_1909
; %bb.1908:
	v_lshlrev_b32_e32 v4, 16, v3
	s_delay_alu instid0(VALU_DEP_1)
	v_cvt_i32_f32_e32 v4, v4
	global_store_b32 v[0:1], v4, off
.LBB152_1909:
	s_mov_b32 s0, 0
.LBB152_1910:
	s_delay_alu instid0(SALU_CYCLE_1)
	s_and_not1_b32 vcc_lo, exec_lo, s0
	s_cbranch_vccnz .LBB152_1912
; %bb.1911:
	v_lshlrev_b32_e32 v4, 16, v3
	s_delay_alu instid0(VALU_DEP_1)
	v_cvt_i32_f32_e32 v4, v4
	global_store_b16 v[0:1], v4, off
.LBB152_1912:
	s_mov_b32 s0, 0
.LBB152_1913:
	s_delay_alu instid0(SALU_CYCLE_1)
	s_and_not1_b32 vcc_lo, exec_lo, s0
	s_cbranch_vccnz .LBB152_1918
; %bb.1914:
	v_cmp_lt_i16_e32 vcc_lo, 0, v5
	v_lshlrev_b32_e32 v3, 16, v3
	s_mov_b32 s0, -1
	s_cbranch_vccz .LBB152_1916
; %bb.1915:
	s_delay_alu instid0(VALU_DEP_1)
	v_cvt_i32_f32_e32 v4, v3
	s_mov_b32 s0, 0
	global_store_b8 v[0:1], v4, off
.LBB152_1916:
	s_and_not1_b32 vcc_lo, exec_lo, s0
	s_cbranch_vccnz .LBB152_1918
; %bb.1917:
	v_trunc_f32_e32 v3, v3
	s_delay_alu instid0(VALU_DEP_1) | instskip(NEXT) | instid1(VALU_DEP_1)
	v_mul_f32_e64 v4, 0x2f800000, |v3|
	v_floor_f32_e32 v4, v4
	s_delay_alu instid0(VALU_DEP_1) | instskip(SKIP_1) | instid1(VALU_DEP_2)
	v_fma_f32 v4, 0xcf800000, v4, |v3|
	v_ashrrev_i32_e32 v3, 31, v3
	v_cvt_u32_f32_e32 v4, v4
	s_delay_alu instid0(VALU_DEP_1) | instskip(NEXT) | instid1(VALU_DEP_1)
	v_xor_b32_e32 v4, v4, v3
	v_sub_nc_u32_e32 v3, v4, v3
	global_store_b8 v[0:1], v3, off
.LBB152_1918:
	s_mov_b32 s6, -1
.LBB152_1919:
	s_delay_alu instid0(SALU_CYCLE_1)
	s_and_not1_b32 vcc_lo, exec_lo, s6
	s_cbranch_vccnz .LBB152_1996
; %bb.1920:
	v_lshlrev_b32_e32 v0, 16, v8
	s_mov_b32 s0, 0x395133b1
	s_delay_alu instid0(VALU_DEP_1) | instskip(NEXT) | instid1(VALU_DEP_1)
	v_mul_f32_e32 v1, 0x3fb8aa3b, v0
	v_rndne_f32_e32 v1, v1
	s_delay_alu instid0(VALU_DEP_1) | instskip(SKIP_2) | instid1(VALU_DEP_3)
	v_fmamk_f32 v3, v1, 0xbf317218, v0
	v_cmp_eq_f32_e32 vcc_lo, 0x43000000, v1
	v_cvt_i32_f32_e32 v6, v1
	v_fmamk_f32 v3, v1, 0x3102e308, v3
	s_delay_alu instid0(VALU_DEP_2) | instskip(NEXT) | instid1(VALU_DEP_2)
	v_cndmask_b32_e64 v1, v6, 0x7f, vcc_lo
	v_fmaak_f32 v4, s0, v3, 0x3ab69700
	s_delay_alu instid0(VALU_DEP_2) | instskip(NEXT) | instid1(VALU_DEP_2)
	v_ldexp_f32 v1, 1.0, v1
	v_fmaak_f32 v4, v3, v4, 0x3c0887f9
	s_delay_alu instid0(VALU_DEP_2) | instskip(NEXT) | instid1(VALU_DEP_2)
	v_add_f32_e32 v6, -1.0, v1
	v_fmaak_f32 v4, v3, v4, 0x3d2aaa81
	s_delay_alu instid0(VALU_DEP_1) | instskip(NEXT) | instid1(VALU_DEP_1)
	v_fmaak_f32 v4, v3, v4, 0x3e2aaaab
	v_fma_f32 v4, v3, v4, 0.5
	s_delay_alu instid0(VALU_DEP_1) | instskip(NEXT) | instid1(VALU_DEP_1)
	v_mul_f32_e32 v4, v3, v4
	v_fmac_f32_e32 v3, v3, v4
	s_delay_alu instid0(VALU_DEP_1) | instskip(NEXT) | instid1(VALU_DEP_1)
	v_fmac_f32_e32 v6, v1, v3
	v_add_f32_e32 v1, v6, v6
	s_delay_alu instid0(VALU_DEP_1) | instskip(SKIP_1) | instid1(VALU_DEP_2)
	v_cndmask_b32_e32 v1, v6, v1, vcc_lo
	v_cmp_nlt_f32_e32 vcc_lo, 0x42b17217, v0
	v_cndmask_b32_e32 v1, 0x7f800000, v1, vcc_lo
	v_cmp_ngt_f32_e32 vcc_lo, 0xc1880000, v0
	s_delay_alu instid0(VALU_DEP_2) | instskip(SKIP_2) | instid1(VALU_DEP_3)
	v_cndmask_b32_e32 v3, -1.0, v1, vcc_lo
	v_add_nc_u32_e32 v1, s2, v2
	v_cmp_gt_i16_e32 vcc_lo, 11, v5
	v_bfe_u32 v0, v3, 16, 1
	s_delay_alu instid0(VALU_DEP_3) | instskip(SKIP_1) | instid1(VALU_DEP_2)
	v_ashrrev_i32_e32 v2, 31, v1
	s_and_b32 vcc_lo, exec_lo, vcc_lo
	v_add3_u32 v0, v3, v0, 0x7fff
	s_delay_alu instid0(VALU_DEP_1) | instskip(SKIP_1) | instid1(VALU_DEP_1)
	v_lshrrev_b32_e32 v4, 16, v0
	v_add_co_u32 v0, s0, s4, v1
	v_add_co_ci_u32_e64 v1, s0, s5, v2, s0
	v_cmp_o_f32_e64 s0, v3, v3
	s_delay_alu instid0(VALU_DEP_1)
	v_cndmask_b32_e64 v6, 0x7fc0, v4, s0
	s_cbranch_vccnz .LBB152_2041
; %bb.1921:
	v_cmp_lt_i16_e32 vcc_lo, 25, v5
	s_mov_b32 s3, -1
	s_mov_b32 s2, 0
	s_mov_b32 s0, 0
	s_cbranch_vccz .LBB152_1954
; %bb.1922:
	v_cmp_lt_i16_e32 vcc_lo, 28, v5
	s_cbranch_vccz .LBB152_1938
; %bb.1923:
	v_cmp_lt_i16_e32 vcc_lo, 43, v5
	;; [unrolled: 3-line block ×3, first 2 shown]
	s_cbranch_vccz .LBB152_1928
; %bb.1925:
	v_cmp_eq_u16_e32 vcc_lo, 46, v5
	s_mov_b32 s0, -1
	s_cbranch_vccz .LBB152_1927
; %bb.1926:
	v_and_b32_e32 v2, 0xffff, v6
	s_mov_b32 s0, 0
	global_store_b32 v[0:1], v2, off
.LBB152_1927:
	s_mov_b32 s3, 0
.LBB152_1928:
	s_delay_alu instid0(SALU_CYCLE_1)
	s_and_b32 vcc_lo, exec_lo, s3
	s_cbranch_vccz .LBB152_1933
; %bb.1929:
	v_cmp_eq_u16_e32 vcc_lo, 44, v5
	s_mov_b32 s0, -1
	s_cbranch_vccz .LBB152_1933
; %bb.1930:
	v_and_b32_e32 v2, 0xffff, v6
	v_mov_b32_e32 v3, 0xff
	s_mov_b32 s3, exec_lo
	s_delay_alu instid0(VALU_DEP_2) | instskip(NEXT) | instid1(VALU_DEP_1)
	v_bfe_u32 v4, v2, 7, 8
	v_cmpx_ne_u32_e32 0xff, v4
; %bb.1931:
	v_lshlrev_b32_e32 v3, 16, v2
	v_and_b32_e32 v7, 64, v2
	v_lshrrev_b32_e32 v2, 7, v2
	s_delay_alu instid0(VALU_DEP_3) | instskip(NEXT) | instid1(VALU_DEP_3)
	v_and_or_b32 v3, 0x3f0000, v3, v4
	v_cmp_ne_u32_e32 vcc_lo, 0, v7
	s_delay_alu instid0(VALU_DEP_2) | instskip(NEXT) | instid1(VALU_DEP_1)
	v_cmp_ne_u32_e64 s0, 0, v3
	s_and_b32 s0, vcc_lo, s0
	s_delay_alu instid0(SALU_CYCLE_1) | instskip(NEXT) | instid1(VALU_DEP_1)
	v_cndmask_b32_e64 v3, 0, 1, s0
	v_add_nc_u32_e32 v3, v2, v3
; %bb.1932:
	s_or_b32 exec_lo, exec_lo, s3
	s_mov_b32 s0, 0
	global_store_b8 v[0:1], v3, off
.LBB152_1933:
	s_mov_b32 s3, 0
.LBB152_1934:
	s_delay_alu instid0(SALU_CYCLE_1)
	s_and_b32 vcc_lo, exec_lo, s3
	s_cbranch_vccz .LBB152_1937
; %bb.1935:
	v_cmp_eq_u16_e32 vcc_lo, 29, v5
	s_mov_b32 s0, -1
	s_cbranch_vccz .LBB152_1937
; %bb.1936:
	v_lshlrev_b32_e32 v2, 16, v6
	s_mov_b32 s0, 0
	s_delay_alu instid0(VALU_DEP_1) | instskip(NEXT) | instid1(VALU_DEP_1)
	v_trunc_f32_e32 v2, v2
	v_mul_f32_e32 v3, 0x2f800000, v2
	s_delay_alu instid0(VALU_DEP_1) | instskip(NEXT) | instid1(VALU_DEP_1)
	v_floor_f32_e32 v3, v3
	v_fmamk_f32 v2, v3, 0xcf800000, v2
	v_cvt_u32_f32_e32 v3, v3
	s_delay_alu instid0(VALU_DEP_2)
	v_cvt_u32_f32_e32 v2, v2
	global_store_b64 v[0:1], v[2:3], off
.LBB152_1937:
	s_mov_b32 s3, 0
.LBB152_1938:
	s_delay_alu instid0(SALU_CYCLE_1)
	s_and_b32 vcc_lo, exec_lo, s3
	s_cbranch_vccz .LBB152_1953
; %bb.1939:
	v_cmp_gt_i16_e32 vcc_lo, 27, v5
	s_mov_b32 s3, -1
	s_cbranch_vccnz .LBB152_1945
; %bb.1940:
	v_cmp_lt_i16_e32 vcc_lo, 27, v5
	s_cbranch_vccz .LBB152_1942
; %bb.1941:
	v_lshlrev_b32_e32 v2, 16, v6
	s_mov_b32 s3, 0
	s_delay_alu instid0(VALU_DEP_1)
	v_cvt_u32_f32_e32 v2, v2
	global_store_b32 v[0:1], v2, off
.LBB152_1942:
	s_and_not1_b32 vcc_lo, exec_lo, s3
	s_cbranch_vccnz .LBB152_1944
; %bb.1943:
	v_lshlrev_b32_e32 v2, 16, v6
	s_delay_alu instid0(VALU_DEP_1)
	v_cvt_u32_f32_e32 v2, v2
	global_store_b16 v[0:1], v2, off
.LBB152_1944:
	s_mov_b32 s3, 0
.LBB152_1945:
	s_delay_alu instid0(SALU_CYCLE_1)
	s_and_not1_b32 vcc_lo, exec_lo, s3
	s_cbranch_vccnz .LBB152_1953
; %bb.1946:
	v_dual_mov_b32 v7, 0x80 :: v_dual_lshlrev_b32 v4, 16, v6
	s_mov_b32 s3, exec_lo
	s_delay_alu instid0(VALU_DEP_1) | instskip(NEXT) | instid1(VALU_DEP_1)
	v_and_b32_e32 v3, 0x7fffffff, v4
	v_cmpx_gt_u32_e32 0x43800000, v3
	s_cbranch_execz .LBB152_1952
; %bb.1947:
	v_and_b32_e32 v2, 0xffff, v6
	v_cmp_lt_u32_e32 vcc_lo, 0x3bffffff, v3
	s_mov_b32 s4, 0
                                        ; implicit-def: $vgpr3
	s_and_saveexec_b32 s5, vcc_lo
	s_delay_alu instid0(SALU_CYCLE_1)
	s_xor_b32 s5, exec_lo, s5
	s_cbranch_execz .LBB152_2068
; %bb.1948:
	v_bfe_u32 v3, v2, 4, 1
	s_mov_b32 s4, exec_lo
	s_delay_alu instid0(VALU_DEP_1) | instskip(NEXT) | instid1(VALU_DEP_1)
	v_add3_u32 v3, v4, v3, 0x487ffff
                                        ; implicit-def: $vgpr4
	v_lshrrev_b32_e32 v3, 20, v3
	s_or_saveexec_b32 s5, s5
                                        ; implicit-def: $sgpr6
	s_delay_alu instid0(SALU_CYCLE_1)
	s_xor_b32 exec_lo, exec_lo, s5
	s_cbranch_execnz .LBB152_2069
.LBB152_1949:
	s_or_b32 exec_lo, exec_lo, s5
	v_mov_b32_e32 v7, s6
	s_and_saveexec_b32 s5, s4
.LBB152_1950:
	v_lshrrev_b32_e32 v2, 8, v2
	s_delay_alu instid0(VALU_DEP_1)
	v_and_or_b32 v7, 0x80, v2, v3
.LBB152_1951:
	s_or_b32 exec_lo, exec_lo, s5
.LBB152_1952:
	s_delay_alu instid0(SALU_CYCLE_1)
	s_or_b32 exec_lo, exec_lo, s3
	global_store_b8 v[0:1], v7, off
.LBB152_1953:
	s_mov_b32 s3, 0
.LBB152_1954:
	s_delay_alu instid0(SALU_CYCLE_1)
	s_and_b32 vcc_lo, exec_lo, s3
	s_cbranch_vccz .LBB152_1994
; %bb.1955:
	v_cmp_lt_i16_e32 vcc_lo, 22, v5
	s_mov_b32 s2, -1
	s_cbranch_vccz .LBB152_1987
; %bb.1956:
	v_cmp_gt_i16_e32 vcc_lo, 24, v5
	s_cbranch_vccnz .LBB152_1976
; %bb.1957:
	v_cmp_lt_i16_e32 vcc_lo, 24, v5
	s_cbranch_vccz .LBB152_1965
; %bb.1958:
	v_dual_mov_b32 v7, 0x80 :: v_dual_lshlrev_b32 v4, 16, v6
	s_mov_b32 s2, exec_lo
	s_delay_alu instid0(VALU_DEP_1) | instskip(NEXT) | instid1(VALU_DEP_1)
	v_and_b32_e32 v3, 0x7fffffff, v4
	v_cmpx_gt_u32_e32 0x47800000, v3
	s_cbranch_execz .LBB152_1964
; %bb.1959:
	v_and_b32_e32 v2, 0xffff, v6
	v_cmp_lt_u32_e32 vcc_lo, 0x37ffffff, v3
	s_mov_b32 s3, 0
                                        ; implicit-def: $vgpr3
	s_and_saveexec_b32 s4, vcc_lo
	s_delay_alu instid0(SALU_CYCLE_1)
	s_xor_b32 s4, exec_lo, s4
	s_cbranch_execz .LBB152_2074
; %bb.1960:
	v_bfe_u32 v3, v2, 5, 1
	s_mov_b32 s3, exec_lo
	s_delay_alu instid0(VALU_DEP_1) | instskip(NEXT) | instid1(VALU_DEP_1)
	v_add3_u32 v3, v4, v3, 0x88fffff
                                        ; implicit-def: $vgpr4
	v_lshrrev_b32_e32 v3, 21, v3
	s_or_saveexec_b32 s4, s4
                                        ; implicit-def: $sgpr5
	s_delay_alu instid0(SALU_CYCLE_1)
	s_xor_b32 exec_lo, exec_lo, s4
	s_cbranch_execnz .LBB152_2075
.LBB152_1961:
	s_or_b32 exec_lo, exec_lo, s4
	v_mov_b32_e32 v7, s5
	s_and_saveexec_b32 s4, s3
.LBB152_1962:
	v_lshrrev_b32_e32 v2, 8, v2
	s_delay_alu instid0(VALU_DEP_1)
	v_and_or_b32 v7, 0x80, v2, v3
.LBB152_1963:
	s_or_b32 exec_lo, exec_lo, s4
.LBB152_1964:
	s_delay_alu instid0(SALU_CYCLE_1)
	s_or_b32 exec_lo, exec_lo, s2
	s_mov_b32 s2, 0
	global_store_b8 v[0:1], v7, off
.LBB152_1965:
	s_and_b32 vcc_lo, exec_lo, s2
	s_cbranch_vccz .LBB152_1975
; %bb.1966:
	v_lshlrev_b32_e32 v4, 16, v6
	v_and_b32_e32 v2, 0xffff, v6
	s_mov_b32 s2, exec_lo
                                        ; implicit-def: $vgpr3
	s_delay_alu instid0(VALU_DEP_2) | instskip(NEXT) | instid1(VALU_DEP_1)
	v_and_b32_e32 v7, 0x7fffffff, v4
	v_cmpx_gt_u32_e32 0x43f00000, v7
	s_xor_b32 s2, exec_lo, s2
	s_cbranch_execz .LBB152_1972
; %bb.1967:
	s_mov_b32 s3, exec_lo
                                        ; implicit-def: $vgpr3
	v_cmpx_lt_u32_e32 0x3c7fffff, v7
	s_xor_b32 s3, exec_lo, s3
; %bb.1968:
	v_bfe_u32 v3, v2, 4, 1
	s_delay_alu instid0(VALU_DEP_1) | instskip(NEXT) | instid1(VALU_DEP_1)
	v_add3_u32 v3, v4, v3, 0x407ffff
	v_and_b32_e32 v4, 0xff00000, v3
	v_lshrrev_b32_e32 v3, 20, v3
	s_delay_alu instid0(VALU_DEP_2) | instskip(NEXT) | instid1(VALU_DEP_2)
	v_cmp_ne_u32_e32 vcc_lo, 0x7f00000, v4
                                        ; implicit-def: $vgpr4
	v_cndmask_b32_e32 v3, 0x7e, v3, vcc_lo
; %bb.1969:
	s_and_not1_saveexec_b32 s3, s3
; %bb.1970:
	v_add_f32_e64 v3, 0x46800000, |v4|
; %bb.1971:
	s_or_b32 exec_lo, exec_lo, s3
                                        ; implicit-def: $vgpr7
.LBB152_1972:
	s_and_not1_saveexec_b32 s2, s2
; %bb.1973:
	v_mov_b32_e32 v3, 0x7f
	v_cmp_lt_u32_e32 vcc_lo, 0x7f800000, v7
	s_delay_alu instid0(VALU_DEP_2)
	v_cndmask_b32_e32 v3, 0x7e, v3, vcc_lo
; %bb.1974:
	s_or_b32 exec_lo, exec_lo, s2
	v_lshrrev_b32_e32 v2, 8, v2
	s_delay_alu instid0(VALU_DEP_1)
	v_and_or_b32 v2, 0x80, v2, v3
	global_store_b8 v[0:1], v2, off
.LBB152_1975:
	s_mov_b32 s2, 0
.LBB152_1976:
	s_delay_alu instid0(SALU_CYCLE_1)
	s_and_not1_b32 vcc_lo, exec_lo, s2
	s_cbranch_vccnz .LBB152_1986
; %bb.1977:
	v_lshlrev_b32_e32 v4, 16, v6
	v_and_b32_e32 v2, 0xffff, v6
	s_mov_b32 s2, exec_lo
                                        ; implicit-def: $vgpr3
	s_delay_alu instid0(VALU_DEP_2) | instskip(NEXT) | instid1(VALU_DEP_1)
	v_and_b32_e32 v7, 0x7fffffff, v4
	v_cmpx_gt_u32_e32 0x47800000, v7
	s_xor_b32 s2, exec_lo, s2
	s_cbranch_execz .LBB152_1983
; %bb.1978:
	s_mov_b32 s3, exec_lo
                                        ; implicit-def: $vgpr3
	v_cmpx_lt_u32_e32 0x387fffff, v7
	s_xor_b32 s3, exec_lo, s3
; %bb.1979:
	v_bfe_u32 v3, v2, 5, 1
	s_delay_alu instid0(VALU_DEP_1) | instskip(NEXT) | instid1(VALU_DEP_1)
	v_add3_u32 v3, v4, v3, 0x80fffff
                                        ; implicit-def: $vgpr4
	v_lshrrev_b32_e32 v3, 21, v3
; %bb.1980:
	s_and_not1_saveexec_b32 s3, s3
; %bb.1981:
	v_add_f32_e64 v3, 0x43000000, |v4|
; %bb.1982:
	s_or_b32 exec_lo, exec_lo, s3
                                        ; implicit-def: $vgpr7
.LBB152_1983:
	s_and_not1_saveexec_b32 s2, s2
; %bb.1984:
	v_mov_b32_e32 v3, 0x7f
	v_cmp_lt_u32_e32 vcc_lo, 0x7f800000, v7
	s_delay_alu instid0(VALU_DEP_2)
	v_cndmask_b32_e32 v3, 0x7c, v3, vcc_lo
; %bb.1985:
	s_or_b32 exec_lo, exec_lo, s2
	v_lshrrev_b32_e32 v2, 8, v2
	s_delay_alu instid0(VALU_DEP_1)
	v_and_or_b32 v2, 0x80, v2, v3
	global_store_b8 v[0:1], v2, off
.LBB152_1986:
	s_mov_b32 s2, 0
.LBB152_1987:
	s_delay_alu instid0(SALU_CYCLE_1)
	s_and_not1_b32 vcc_lo, exec_lo, s2
	s_mov_b32 s2, 0
	s_cbranch_vccnz .LBB152_1994
; %bb.1988:
	v_cmp_lt_i16_e32 vcc_lo, 14, v5
	s_mov_b32 s2, -1
	s_cbranch_vccz .LBB152_1992
; %bb.1989:
	v_cmp_eq_u16_e32 vcc_lo, 15, v5
	s_mov_b32 s0, -1
	s_cbranch_vccz .LBB152_1991
; %bb.1990:
	s_mov_b32 s0, 0
	global_store_b16 v[0:1], v6, off
.LBB152_1991:
	s_mov_b32 s2, 0
.LBB152_1992:
	s_delay_alu instid0(SALU_CYCLE_1)
	s_and_b32 vcc_lo, exec_lo, s2
	s_mov_b32 s2, 0
	s_cbranch_vccz .LBB152_1994
; %bb.1993:
	v_cmp_ne_u16_e64 s0, 11, v5
	s_mov_b32 s2, -1
.LBB152_1994:
	s_delay_alu instid0(VALU_DEP_1)
	s_and_b32 vcc_lo, exec_lo, s0
	s_cbranch_vccnz .LBB152_2072
.LBB152_1995:
	s_mov_b32 s0, 0
	s_branch .LBB152_1997
.LBB152_1996:
	s_mov_b32 s0, 0
	s_mov_b32 s2, 0
                                        ; implicit-def: $vgpr5
                                        ; implicit-def: $vgpr0_vgpr1
                                        ; implicit-def: $vgpr6
.LBB152_1997:
	s_and_not1_b32 s3, s9, exec_lo
	s_and_b32 s4, s1, exec_lo
	s_and_b32 s0, s0, exec_lo
	;; [unrolled: 1-line block ×3, first 2 shown]
	s_or_b32 s9, s3, s4
.LBB152_1998:
	s_or_b32 exec_lo, exec_lo, s8
	s_and_saveexec_b32 s2, s9
	s_cbranch_execz .LBB152_2001
; %bb.1999:
	; divergent unreachable
	s_or_b32 exec_lo, exec_lo, s2
	s_and_saveexec_b32 s2, s1
	s_delay_alu instid0(SALU_CYCLE_1)
	s_xor_b32 s1, exec_lo, s2
	s_cbranch_execnz .LBB152_2002
.LBB152_2000:
	s_or_b32 exec_lo, exec_lo, s1
	s_and_saveexec_b32 s1, s0
	s_cbranch_execnz .LBB152_2003
	s_branch .LBB152_2040
.LBB152_2001:
	s_or_b32 exec_lo, exec_lo, s2
	s_and_saveexec_b32 s2, s1
	s_delay_alu instid0(SALU_CYCLE_1)
	s_xor_b32 s1, exec_lo, s2
	s_cbranch_execz .LBB152_2000
.LBB152_2002:
	s_waitcnt vmcnt(0)
	v_and_b32_e32 v2, 0x7fff, v6
	s_delay_alu instid0(VALU_DEP_1)
	v_cmp_ne_u16_e32 vcc_lo, 0, v2
	v_cndmask_b32_e64 v2, 0, 1, vcc_lo
	global_store_b8 v[0:1], v2, off
	s_or_b32 exec_lo, exec_lo, s1
	s_and_saveexec_b32 s1, s0
	s_cbranch_execz .LBB152_2040
.LBB152_2003:
	s_waitcnt vmcnt(0)
	v_cmp_gt_i16_e32 vcc_lo, 5, v5
	s_mov_b32 s0, -1
	s_cbranch_vccnz .LBB152_2024
; %bb.2004:
	v_cmp_gt_i16_e32 vcc_lo, 8, v5
	s_cbranch_vccnz .LBB152_2014
; %bb.2005:
	v_cmp_gt_i16_e32 vcc_lo, 9, v5
	s_cbranch_vccnz .LBB152_2011
; %bb.2006:
	v_cmp_lt_i16_e32 vcc_lo, 9, v5
	s_cbranch_vccz .LBB152_2008
; %bb.2007:
	v_dual_mov_b32 v9, 0 :: v_dual_lshlrev_b32 v2, 16, v6
	s_mov_b32 s0, 0
	s_delay_alu instid0(VALU_DEP_1) | instskip(NEXT) | instid1(VALU_DEP_2)
	v_cvt_f64_f32_e32 v[7:8], v2
	v_mov_b32_e32 v10, v9
	global_store_b128 v[0:1], v[7:10], off
.LBB152_2008:
	s_and_not1_b32 vcc_lo, exec_lo, s0
	s_cbranch_vccnz .LBB152_2010
; %bb.2009:
	v_dual_mov_b32 v3, 0 :: v_dual_lshlrev_b32 v2, 16, v6
	global_store_b64 v[0:1], v[2:3], off
.LBB152_2010:
	s_mov_b32 s0, 0
.LBB152_2011:
	s_delay_alu instid0(SALU_CYCLE_1)
	s_and_not1_b32 vcc_lo, exec_lo, s0
	s_cbranch_vccnz .LBB152_2013
; %bb.2012:
	v_lshlrev_b32_e32 v2, 16, v6
	s_delay_alu instid0(VALU_DEP_1) | instskip(NEXT) | instid1(VALU_DEP_1)
	v_cvt_f16_f32_e32 v2, v2
	v_and_b32_e32 v2, 0xffff, v2
	global_store_b32 v[0:1], v2, off
.LBB152_2013:
	s_mov_b32 s0, 0
.LBB152_2014:
	s_delay_alu instid0(SALU_CYCLE_1)
	s_and_not1_b32 vcc_lo, exec_lo, s0
	s_cbranch_vccnz .LBB152_2023
; %bb.2015:
	v_cmp_gt_i16_e32 vcc_lo, 6, v5
	s_mov_b32 s0, -1
	s_cbranch_vccnz .LBB152_2021
; %bb.2016:
	v_cmp_lt_i16_e32 vcc_lo, 6, v5
	s_cbranch_vccz .LBB152_2018
; %bb.2017:
	v_lshlrev_b32_e32 v2, 16, v6
	s_mov_b32 s0, 0
	s_delay_alu instid0(VALU_DEP_1)
	v_cvt_f64_f32_e32 v[2:3], v2
	global_store_b64 v[0:1], v[2:3], off
.LBB152_2018:
	s_and_not1_b32 vcc_lo, exec_lo, s0
	s_cbranch_vccnz .LBB152_2020
; %bb.2019:
	v_lshlrev_b32_e32 v2, 16, v6
	global_store_b32 v[0:1], v2, off
.LBB152_2020:
	s_mov_b32 s0, 0
.LBB152_2021:
	s_delay_alu instid0(SALU_CYCLE_1)
	s_and_not1_b32 vcc_lo, exec_lo, s0
	s_cbranch_vccnz .LBB152_2023
; %bb.2022:
	v_lshlrev_b32_e32 v2, 16, v6
	s_delay_alu instid0(VALU_DEP_1)
	v_cvt_f16_f32_e32 v2, v2
	global_store_b16 v[0:1], v2, off
.LBB152_2023:
	s_mov_b32 s0, 0
.LBB152_2024:
	s_delay_alu instid0(SALU_CYCLE_1)
	s_and_not1_b32 vcc_lo, exec_lo, s0
	s_cbranch_vccnz .LBB152_2040
; %bb.2025:
	v_cmp_gt_i16_e32 vcc_lo, 2, v5
	s_mov_b32 s0, -1
	s_cbranch_vccnz .LBB152_2035
; %bb.2026:
	v_cmp_gt_i16_e32 vcc_lo, 3, v5
	s_cbranch_vccnz .LBB152_2032
; %bb.2027:
	v_cmp_lt_i16_e32 vcc_lo, 3, v5
	s_cbranch_vccz .LBB152_2029
; %bb.2028:
	v_lshlrev_b32_e32 v2, 16, v6
	s_mov_b32 s0, 0
	s_delay_alu instid0(VALU_DEP_1) | instskip(NEXT) | instid1(VALU_DEP_1)
	v_trunc_f32_e32 v2, v2
	v_mul_f32_e64 v3, 0x2f800000, |v2|
	v_ashrrev_i32_e32 v7, 31, v2
	s_delay_alu instid0(VALU_DEP_2) | instskip(NEXT) | instid1(VALU_DEP_1)
	v_floor_f32_e32 v3, v3
	v_fma_f32 v4, 0xcf800000, v3, |v2|
	v_cvt_u32_f32_e32 v3, v3
	s_delay_alu instid0(VALU_DEP_2) | instskip(NEXT) | instid1(VALU_DEP_2)
	v_cvt_u32_f32_e32 v2, v4
	v_xor_b32_e32 v3, v3, v7
	s_delay_alu instid0(VALU_DEP_2) | instskip(NEXT) | instid1(VALU_DEP_1)
	v_xor_b32_e32 v2, v2, v7
	v_sub_co_u32 v2, vcc_lo, v2, v7
	s_delay_alu instid0(VALU_DEP_3)
	v_sub_co_ci_u32_e32 v3, vcc_lo, v3, v7, vcc_lo
	global_store_b64 v[0:1], v[2:3], off
.LBB152_2029:
	s_and_not1_b32 vcc_lo, exec_lo, s0
	s_cbranch_vccnz .LBB152_2031
; %bb.2030:
	v_lshlrev_b32_e32 v2, 16, v6
	s_delay_alu instid0(VALU_DEP_1)
	v_cvt_i32_f32_e32 v2, v2
	global_store_b32 v[0:1], v2, off
.LBB152_2031:
	s_mov_b32 s0, 0
.LBB152_2032:
	s_delay_alu instid0(SALU_CYCLE_1)
	s_and_not1_b32 vcc_lo, exec_lo, s0
	s_cbranch_vccnz .LBB152_2034
; %bb.2033:
	v_lshlrev_b32_e32 v2, 16, v6
	s_delay_alu instid0(VALU_DEP_1)
	v_cvt_i32_f32_e32 v2, v2
	global_store_b16 v[0:1], v2, off
.LBB152_2034:
	s_mov_b32 s0, 0
.LBB152_2035:
	s_delay_alu instid0(SALU_CYCLE_1)
	s_and_not1_b32 vcc_lo, exec_lo, s0
	s_cbranch_vccnz .LBB152_2040
; %bb.2036:
	v_cmp_lt_i16_e32 vcc_lo, 0, v5
	v_lshlrev_b32_e32 v2, 16, v6
	s_mov_b32 s0, -1
	s_cbranch_vccz .LBB152_2038
; %bb.2037:
	s_delay_alu instid0(VALU_DEP_1)
	v_cvt_i32_f32_e32 v3, v2
	s_mov_b32 s0, 0
	global_store_b8 v[0:1], v3, off
.LBB152_2038:
	s_and_not1_b32 vcc_lo, exec_lo, s0
	s_cbranch_vccnz .LBB152_2040
; %bb.2039:
	v_trunc_f32_e32 v2, v2
	s_delay_alu instid0(VALU_DEP_1) | instskip(NEXT) | instid1(VALU_DEP_1)
	v_mul_f32_e64 v3, 0x2f800000, |v2|
	v_floor_f32_e32 v3, v3
	s_delay_alu instid0(VALU_DEP_1) | instskip(SKIP_1) | instid1(VALU_DEP_2)
	v_fma_f32 v3, 0xcf800000, v3, |v2|
	v_ashrrev_i32_e32 v2, 31, v2
	v_cvt_u32_f32_e32 v3, v3
	s_delay_alu instid0(VALU_DEP_1) | instskip(NEXT) | instid1(VALU_DEP_1)
	v_xor_b32_e32 v3, v3, v2
	v_sub_nc_u32_e32 v2, v3, v2
	global_store_b8 v[0:1], v2, off
	s_nop 0
	s_sendmsg sendmsg(MSG_DEALLOC_VGPRS)
	s_endpgm
.LBB152_2040:
	s_nop 0
	s_sendmsg sendmsg(MSG_DEALLOC_VGPRS)
	s_endpgm
.LBB152_2041:
	s_mov_b32 s2, 0
	s_mov_b32 s0, -1
	s_branch .LBB152_1997
.LBB152_2042:
	s_cbranch_execnz .LBB152_2046
; %bb.2043:
	s_or_b32 s1, s1, exec_lo
                                        ; implicit-def: $vgpr8
	s_cbranch_execz .LBB152_1511
	s_branch .LBB152_1512
.LBB152_2044:
	s_or_saveexec_b32 s10, s10
                                        ; implicit-def: $sgpr11
	s_delay_alu instid0(SALU_CYCLE_1)
	s_xor_b32 exec_lo, exec_lo, s10
	s_cbranch_execz .LBB152_1591
.LBB152_2045:
	v_add_f32_e64 v9, 0x46000000, |v10|
	s_and_not1_b32 s7, s7, exec_lo
	s_mov_b32 s11, 0
	s_delay_alu instid0(VALU_DEP_1) | instskip(NEXT) | instid1(VALU_DEP_1)
	v_and_b32_e32 v9, 0xff, v9
	v_cmp_ne_u32_e32 vcc_lo, 0, v9
	s_and_b32 s12, vcc_lo, exec_lo
	s_delay_alu instid0(SALU_CYCLE_1)
	s_or_b32 s7, s7, s12
	s_or_b32 exec_lo, exec_lo, s10
	v_mov_b32_e32 v11, s11
	s_and_saveexec_b32 s10, s7
	s_cbranch_execnz .LBB152_1592
	s_branch .LBB152_1593
.LBB152_2046:
	s_trap 2
	s_sendmsg_rtn_b32 s0, sendmsg(MSG_RTN_GET_DOORBELL)
	s_mov_b32 ttmp2, m0
	s_waitcnt lgkmcnt(0)
	s_and_b32 s0, s0, 0x3ff
	s_delay_alu instid0(SALU_CYCLE_1) | instskip(NEXT) | instid1(SALU_CYCLE_1)
	s_bitset1_b32 s0, 10
	s_mov_b32 m0, s0
	s_sendmsg sendmsg(MSG_INTERRUPT)
	s_mov_b32 m0, ttmp2
.LBB152_2047:                           ; =>This Inner Loop Header: Depth=1
	s_sethalt 5
	s_branch .LBB152_2047
.LBB152_2048:
	s_cbranch_execnz .LBB152_2054
; %bb.2049:
	s_or_b32 s1, s1, exec_lo
	s_cbranch_execz .LBB152_1639
	s_branch .LBB152_1640
.LBB152_2050:
	s_or_saveexec_b32 s7, s7
                                        ; implicit-def: $sgpr10
	s_delay_alu instid0(SALU_CYCLE_1)
	s_xor_b32 exec_lo, exec_lo, s7
	s_cbranch_execz .LBB152_1604
.LBB152_2051:
	v_add_f32_e64 v9, 0x42800000, |v10|
	s_and_not1_b32 s6, s6, exec_lo
	s_mov_b32 s10, 0
	s_delay_alu instid0(VALU_DEP_1) | instskip(NEXT) | instid1(VALU_DEP_1)
	v_and_b32_e32 v9, 0xff, v9
	v_cmp_ne_u32_e32 vcc_lo, 0, v9
	s_and_b32 s11, vcc_lo, exec_lo
	s_delay_alu instid0(SALU_CYCLE_1)
	s_or_b32 s6, s6, s11
	s_or_b32 exec_lo, exec_lo, s7
	v_mov_b32_e32 v11, s10
	s_and_saveexec_b32 s7, s6
	s_cbranch_execnz .LBB152_1605
	s_branch .LBB152_1606
.LBB152_2052:
	s_or_saveexec_b32 s10, s10
                                        ; implicit-def: $sgpr11
	s_delay_alu instid0(SALU_CYCLE_1)
	s_xor_b32 exec_lo, exec_lo, s10
	s_cbranch_execz .LBB152_1710
.LBB152_2053:
	v_add_f32_e64 v6, 0x46000000, |v9|
	s_and_not1_b32 s7, s7, exec_lo
	s_mov_b32 s11, 0
	s_delay_alu instid0(VALU_DEP_1) | instskip(NEXT) | instid1(VALU_DEP_1)
	v_and_b32_e32 v6, 0xff, v6
	v_cmp_ne_u32_e32 vcc_lo, 0, v6
	s_and_b32 s12, vcc_lo, exec_lo
	s_delay_alu instid0(SALU_CYCLE_1)
	s_or_b32 s7, s7, s12
	s_or_b32 exec_lo, exec_lo, s10
	v_mov_b32_e32 v10, s11
	s_and_saveexec_b32 s10, s7
	s_cbranch_execnz .LBB152_1711
	s_branch .LBB152_1712
.LBB152_2054:
	s_trap 2
	s_sendmsg_rtn_b32 s0, sendmsg(MSG_RTN_GET_DOORBELL)
	s_mov_b32 ttmp2, m0
	s_waitcnt lgkmcnt(0)
	s_and_b32 s0, s0, 0x3ff
	s_delay_alu instid0(SALU_CYCLE_1) | instskip(NEXT) | instid1(SALU_CYCLE_1)
	s_bitset1_b32 s0, 10
	s_mov_b32 m0, s0
	s_sendmsg sendmsg(MSG_INTERRUPT)
	s_mov_b32 m0, ttmp2
.LBB152_2055:                           ; =>This Inner Loop Header: Depth=1
	s_sethalt 5
	s_branch .LBB152_2055
.LBB152_2056:
	s_cbranch_execnz .LBB152_2062
; %bb.2057:
	s_or_b32 s1, s1, exec_lo
	s_cbranch_execz .LBB152_1758
	s_branch .LBB152_1759
.LBB152_2058:
	s_or_saveexec_b32 s7, s7
                                        ; implicit-def: $sgpr10
	s_delay_alu instid0(SALU_CYCLE_1)
	s_xor_b32 exec_lo, exec_lo, s7
	s_cbranch_execz .LBB152_1723
.LBB152_2059:
	v_add_f32_e64 v6, 0x42800000, |v9|
	s_and_not1_b32 s6, s6, exec_lo
	s_mov_b32 s10, 0
	s_delay_alu instid0(VALU_DEP_1) | instskip(NEXT) | instid1(VALU_DEP_1)
	v_and_b32_e32 v6, 0xff, v6
	v_cmp_ne_u32_e32 vcc_lo, 0, v6
	s_and_b32 s11, vcc_lo, exec_lo
	s_delay_alu instid0(SALU_CYCLE_1)
	s_or_b32 s6, s6, s11
	s_or_b32 exec_lo, exec_lo, s7
	v_mov_b32_e32 v10, s10
	s_and_saveexec_b32 s7, s6
	s_cbranch_execnz .LBB152_1724
	s_branch .LBB152_1725
.LBB152_2060:
	s_or_saveexec_b32 s10, s10
                                        ; implicit-def: $sgpr11
	s_delay_alu instid0(SALU_CYCLE_1)
	s_xor_b32 exec_lo, exec_lo, s10
	s_cbranch_execz .LBB152_1829
.LBB152_2061:
	v_add_f32_e64 v6, 0x46000000, |v7|
	s_and_not1_b32 s7, s7, exec_lo
	s_mov_b32 s11, 0
	s_delay_alu instid0(VALU_DEP_1) | instskip(NEXT) | instid1(VALU_DEP_1)
	v_and_b32_e32 v6, 0xff, v6
	v_cmp_ne_u32_e32 vcc_lo, 0, v6
	s_and_b32 s12, vcc_lo, exec_lo
	s_delay_alu instid0(SALU_CYCLE_1)
	s_or_b32 s7, s7, s12
	s_or_b32 exec_lo, exec_lo, s10
	v_mov_b32_e32 v9, s11
	s_and_saveexec_b32 s10, s7
	s_cbranch_execnz .LBB152_1830
	s_branch .LBB152_1831
.LBB152_2062:
	s_trap 2
	s_sendmsg_rtn_b32 s0, sendmsg(MSG_RTN_GET_DOORBELL)
	s_mov_b32 ttmp2, m0
	s_waitcnt lgkmcnt(0)
	s_and_b32 s0, s0, 0x3ff
	s_delay_alu instid0(SALU_CYCLE_1) | instskip(NEXT) | instid1(SALU_CYCLE_1)
	s_bitset1_b32 s0, 10
	s_mov_b32 m0, s0
	s_sendmsg sendmsg(MSG_INTERRUPT)
	s_mov_b32 m0, ttmp2
.LBB152_2063:                           ; =>This Inner Loop Header: Depth=1
	s_sethalt 5
	s_branch .LBB152_2063
.LBB152_2064:
	s_cbranch_execnz .LBB152_2070
; %bb.2065:
	s_or_b32 s1, s1, exec_lo
	s_cbranch_execz .LBB152_1877
	s_branch .LBB152_1878
.LBB152_2066:
	s_or_saveexec_b32 s7, s7
                                        ; implicit-def: $sgpr10
	s_delay_alu instid0(SALU_CYCLE_1)
	s_xor_b32 exec_lo, exec_lo, s7
	s_cbranch_execz .LBB152_1842
.LBB152_2067:
	v_add_f32_e64 v6, 0x42800000, |v7|
	s_and_not1_b32 s6, s6, exec_lo
	s_mov_b32 s10, 0
	s_delay_alu instid0(VALU_DEP_1) | instskip(NEXT) | instid1(VALU_DEP_1)
	v_and_b32_e32 v6, 0xff, v6
	v_cmp_ne_u32_e32 vcc_lo, 0, v6
	s_and_b32 s11, vcc_lo, exec_lo
	s_delay_alu instid0(SALU_CYCLE_1)
	s_or_b32 s6, s6, s11
	s_or_b32 exec_lo, exec_lo, s7
	v_mov_b32_e32 v9, s10
	s_and_saveexec_b32 s7, s6
	s_cbranch_execnz .LBB152_1843
	s_branch .LBB152_1844
.LBB152_2068:
	s_or_saveexec_b32 s5, s5
                                        ; implicit-def: $sgpr6
	s_delay_alu instid0(SALU_CYCLE_1)
	s_xor_b32 exec_lo, exec_lo, s5
	s_cbranch_execz .LBB152_1949
.LBB152_2069:
	v_add_f32_e64 v3, 0x46000000, |v4|
	s_and_not1_b32 s4, s4, exec_lo
	s_mov_b32 s6, 0
	s_delay_alu instid0(VALU_DEP_1) | instskip(NEXT) | instid1(VALU_DEP_1)
	v_and_b32_e32 v3, 0xff, v3
	v_cmp_ne_u32_e32 vcc_lo, 0, v3
	s_and_b32 s7, vcc_lo, exec_lo
	s_delay_alu instid0(SALU_CYCLE_1)
	s_or_b32 s4, s4, s7
	s_or_b32 exec_lo, exec_lo, s5
	v_mov_b32_e32 v7, s6
	s_and_saveexec_b32 s5, s4
	s_cbranch_execnz .LBB152_1950
	s_branch .LBB152_1951
.LBB152_2070:
	s_trap 2
	s_sendmsg_rtn_b32 s0, sendmsg(MSG_RTN_GET_DOORBELL)
	s_mov_b32 ttmp2, m0
	s_waitcnt lgkmcnt(0)
	s_and_b32 s0, s0, 0x3ff
	s_delay_alu instid0(SALU_CYCLE_1) | instskip(NEXT) | instid1(SALU_CYCLE_1)
	s_bitset1_b32 s0, 10
	s_mov_b32 m0, s0
	s_sendmsg sendmsg(MSG_INTERRUPT)
	s_mov_b32 m0, ttmp2
.LBB152_2071:                           ; =>This Inner Loop Header: Depth=1
	s_sethalt 5
	s_branch .LBB152_2071
.LBB152_2072:
	s_cbranch_execnz .LBB152_2076
; %bb.2073:
	s_mov_b32 s2, 0
	s_or_b32 s1, s1, exec_lo
	s_branch .LBB152_1995
.LBB152_2074:
	s_or_saveexec_b32 s4, s4
                                        ; implicit-def: $sgpr5
	s_delay_alu instid0(SALU_CYCLE_1)
	s_xor_b32 exec_lo, exec_lo, s4
	s_cbranch_execz .LBB152_1961
.LBB152_2075:
	v_add_f32_e64 v3, 0x42800000, |v4|
	s_and_not1_b32 s3, s3, exec_lo
	s_mov_b32 s5, 0
	s_delay_alu instid0(VALU_DEP_1) | instskip(NEXT) | instid1(VALU_DEP_1)
	v_and_b32_e32 v3, 0xff, v3
	v_cmp_ne_u32_e32 vcc_lo, 0, v3
	s_and_b32 s6, vcc_lo, exec_lo
	s_delay_alu instid0(SALU_CYCLE_1)
	s_or_b32 s3, s3, s6
	s_or_b32 exec_lo, exec_lo, s4
	v_mov_b32_e32 v7, s5
	s_and_saveexec_b32 s4, s3
	s_cbranch_execnz .LBB152_1962
	s_branch .LBB152_1963
.LBB152_2076:
	s_trap 2
	s_sendmsg_rtn_b32 s0, sendmsg(MSG_RTN_GET_DOORBELL)
	s_mov_b32 ttmp2, m0
	s_waitcnt lgkmcnt(0)
	s_and_b32 s0, s0, 0x3ff
	s_delay_alu instid0(SALU_CYCLE_1) | instskip(NEXT) | instid1(SALU_CYCLE_1)
	s_bitset1_b32 s0, 10
	s_mov_b32 m0, s0
	s_sendmsg sendmsg(MSG_INTERRUPT)
	s_mov_b32 m0, ttmp2
.LBB152_2077:                           ; =>This Inner Loop Header: Depth=1
	s_sethalt 5
	s_branch .LBB152_2077
	.section	.rodata,"a",@progbits
	.p2align	6, 0x0
	.amdhsa_kernel _ZN2at6native32elementwise_kernel_manual_unrollILi128ELi4EZNS0_15gpu_kernel_implIZZZNS0_17expm1_kernel_cudaERNS_18TensorIteratorBaseEENKUlvE_clEvENKUlvE3_clEvEUlN3c108BFloat16EE_EEvS4_RKT_EUlibE_EEviT1_
		.amdhsa_group_segment_fixed_size 0
		.amdhsa_private_segment_fixed_size 0
		.amdhsa_kernarg_size 40
		.amdhsa_user_sgpr_count 15
		.amdhsa_user_sgpr_dispatch_ptr 0
		.amdhsa_user_sgpr_queue_ptr 0
		.amdhsa_user_sgpr_kernarg_segment_ptr 1
		.amdhsa_user_sgpr_dispatch_id 0
		.amdhsa_user_sgpr_private_segment_size 0
		.amdhsa_wavefront_size32 1
		.amdhsa_uses_dynamic_stack 0
		.amdhsa_enable_private_segment 0
		.amdhsa_system_sgpr_workgroup_id_x 1
		.amdhsa_system_sgpr_workgroup_id_y 0
		.amdhsa_system_sgpr_workgroup_id_z 0
		.amdhsa_system_sgpr_workgroup_info 0
		.amdhsa_system_vgpr_workitem_id 0
		.amdhsa_next_free_vgpr 13
		.amdhsa_next_free_sgpr 24
		.amdhsa_reserve_vcc 1
		.amdhsa_float_round_mode_32 0
		.amdhsa_float_round_mode_16_64 0
		.amdhsa_float_denorm_mode_32 3
		.amdhsa_float_denorm_mode_16_64 3
		.amdhsa_dx10_clamp 1
		.amdhsa_ieee_mode 1
		.amdhsa_fp16_overflow 0
		.amdhsa_workgroup_processor_mode 1
		.amdhsa_memory_ordered 1
		.amdhsa_forward_progress 0
		.amdhsa_shared_vgpr_count 0
		.amdhsa_exception_fp_ieee_invalid_op 0
		.amdhsa_exception_fp_denorm_src 0
		.amdhsa_exception_fp_ieee_div_zero 0
		.amdhsa_exception_fp_ieee_overflow 0
		.amdhsa_exception_fp_ieee_underflow 0
		.amdhsa_exception_fp_ieee_inexact 0
		.amdhsa_exception_int_div_zero 0
	.end_amdhsa_kernel
	.section	.text._ZN2at6native32elementwise_kernel_manual_unrollILi128ELi4EZNS0_15gpu_kernel_implIZZZNS0_17expm1_kernel_cudaERNS_18TensorIteratorBaseEENKUlvE_clEvENKUlvE3_clEvEUlN3c108BFloat16EE_EEvS4_RKT_EUlibE_EEviT1_,"axG",@progbits,_ZN2at6native32elementwise_kernel_manual_unrollILi128ELi4EZNS0_15gpu_kernel_implIZZZNS0_17expm1_kernel_cudaERNS_18TensorIteratorBaseEENKUlvE_clEvENKUlvE3_clEvEUlN3c108BFloat16EE_EEvS4_RKT_EUlibE_EEviT1_,comdat
.Lfunc_end152:
	.size	_ZN2at6native32elementwise_kernel_manual_unrollILi128ELi4EZNS0_15gpu_kernel_implIZZZNS0_17expm1_kernel_cudaERNS_18TensorIteratorBaseEENKUlvE_clEvENKUlvE3_clEvEUlN3c108BFloat16EE_EEvS4_RKT_EUlibE_EEviT1_, .Lfunc_end152-_ZN2at6native32elementwise_kernel_manual_unrollILi128ELi4EZNS0_15gpu_kernel_implIZZZNS0_17expm1_kernel_cudaERNS_18TensorIteratorBaseEENKUlvE_clEvENKUlvE3_clEvEUlN3c108BFloat16EE_EEvS4_RKT_EUlibE_EEviT1_
                                        ; -- End function
	.section	.AMDGPU.csdata,"",@progbits
; Kernel info:
; codeLenInByte = 43880
; NumSgprs: 26
; NumVgprs: 13
; ScratchSize: 0
; MemoryBound: 0
; FloatMode: 240
; IeeeMode: 1
; LDSByteSize: 0 bytes/workgroup (compile time only)
; SGPRBlocks: 3
; VGPRBlocks: 1
; NumSGPRsForWavesPerEU: 26
; NumVGPRsForWavesPerEU: 13
; Occupancy: 16
; WaveLimiterHint : 0
; COMPUTE_PGM_RSRC2:SCRATCH_EN: 0
; COMPUTE_PGM_RSRC2:USER_SGPR: 15
; COMPUTE_PGM_RSRC2:TRAP_HANDLER: 0
; COMPUTE_PGM_RSRC2:TGID_X_EN: 1
; COMPUTE_PGM_RSRC2:TGID_Y_EN: 0
; COMPUTE_PGM_RSRC2:TGID_Z_EN: 0
; COMPUTE_PGM_RSRC2:TIDIG_COMP_CNT: 0
	.section	.text._ZN2at6native32elementwise_kernel_manual_unrollILi128ELi4EZNS0_15gpu_kernel_implIZZZNS0_17expm1_kernel_cudaERNS_18TensorIteratorBaseEENKUlvE_clEvENKUlvE3_clEvEUlN3c108BFloat16EE_EEvS4_RKT_EUlibE0_EEviT1_,"axG",@progbits,_ZN2at6native32elementwise_kernel_manual_unrollILi128ELi4EZNS0_15gpu_kernel_implIZZZNS0_17expm1_kernel_cudaERNS_18TensorIteratorBaseEENKUlvE_clEvENKUlvE3_clEvEUlN3c108BFloat16EE_EEvS4_RKT_EUlibE0_EEviT1_,comdat
	.globl	_ZN2at6native32elementwise_kernel_manual_unrollILi128ELi4EZNS0_15gpu_kernel_implIZZZNS0_17expm1_kernel_cudaERNS_18TensorIteratorBaseEENKUlvE_clEvENKUlvE3_clEvEUlN3c108BFloat16EE_EEvS4_RKT_EUlibE0_EEviT1_ ; -- Begin function _ZN2at6native32elementwise_kernel_manual_unrollILi128ELi4EZNS0_15gpu_kernel_implIZZZNS0_17expm1_kernel_cudaERNS_18TensorIteratorBaseEENKUlvE_clEvENKUlvE3_clEvEUlN3c108BFloat16EE_EEvS4_RKT_EUlibE0_EEviT1_
	.p2align	8
	.type	_ZN2at6native32elementwise_kernel_manual_unrollILi128ELi4EZNS0_15gpu_kernel_implIZZZNS0_17expm1_kernel_cudaERNS_18TensorIteratorBaseEENKUlvE_clEvENKUlvE3_clEvEUlN3c108BFloat16EE_EEvS4_RKT_EUlibE0_EEviT1_,@function
_ZN2at6native32elementwise_kernel_manual_unrollILi128ELi4EZNS0_15gpu_kernel_implIZZZNS0_17expm1_kernel_cudaERNS_18TensorIteratorBaseEENKUlvE_clEvENKUlvE3_clEvEUlN3c108BFloat16EE_EEvS4_RKT_EUlibE0_EEviT1_: ; @_ZN2at6native32elementwise_kernel_manual_unrollILi128ELi4EZNS0_15gpu_kernel_implIZZZNS0_17expm1_kernel_cudaERNS_18TensorIteratorBaseEENKUlvE_clEvENKUlvE3_clEvEUlN3c108BFloat16EE_EEvS4_RKT_EUlibE0_EEviT1_
; %bb.0:
	s_clause 0x1
	s_load_b32 s24, s[0:1], 0x8
	s_load_b32 s30, s[0:1], 0x0
	v_lshl_or_b32 v5, s15, 9, v0
	s_or_b32 s16, s0, 8
	s_mov_b32 s3, -1
	s_mov_b32 s26, 0
	s_mov_b32 s17, s1
	v_or_b32_e32 v8, 0x180, v5
	s_mov_b32 s8, 0
	s_mov_b32 s2, exec_lo
	s_waitcnt lgkmcnt(0)
	s_add_i32 s25, s24, -1
	s_delay_alu instid0(SALU_CYCLE_1)
	s_cmp_gt_u32 s25, 1
	s_cselect_b32 s27, -1, 0
	v_cmpx_le_i32_e64 s30, v8
	s_xor_b32 s28, exec_lo, s2
	s_cbranch_execz .LBB153_1076
; %bb.1:
	v_mov_b32_e32 v0, 0
	s_clause 0x3
	s_load_b128 s[12:15], s[16:17], 0x4
	s_load_b64 s[18:19], s[16:17], 0x14
	s_load_b128 s[8:11], s[16:17], 0xc4
	s_load_b128 s[4:7], s[16:17], 0x148
	s_cmp_lg_u32 s24, 0
	s_mov_b32 s37, 0
	s_cselect_b32 s33, -1, 0
	global_load_u16 v3, v0, s[16:17] offset:345
	s_add_u32 s20, s16, 0xc4
	s_addc_u32 s21, s17, 0
	s_min_u32 s31, s25, 15
	s_cmp_gt_u32 s24, 1
	s_mov_b32 s35, 0
	s_cselect_b32 s29, -1, 0
	s_mov_b32 s34, 0
	s_mov_b32 s36, exec_lo
	s_waitcnt vmcnt(0)
	v_lshrrev_b16 v4, 8, v3
	v_cmpx_gt_i32_e64 s30, v5
	s_cbranch_execz .LBB153_263
; %bb.2:
	s_and_not1_b32 vcc_lo, exec_lo, s27
	s_cbranch_vccnz .LBB153_7
; %bb.3:
	v_dual_mov_b32 v0, 0 :: v_dual_mov_b32 v1, 0
	s_and_not1_b32 vcc_lo, exec_lo, s33
	s_cbranch_vccnz .LBB153_12
; %bb.4:
	v_mov_b32_e32 v0, 0
	s_add_i32 s38, s31, 1
	s_cmp_eq_u32 s25, 2
	s_cbranch_scc1 .LBB153_8
; %bb.5:
	v_dual_mov_b32 v1, 0 :: v_dual_mov_b32 v0, 0
	v_mov_b32_e32 v2, v5
	s_and_b32 s35, s38, 28
	s_mov_b32 s39, 0
	s_mov_b64 s[2:3], s[20:21]
	s_mov_b64 s[22:23], s[16:17]
.LBB153_6:                              ; =>This Inner Loop Header: Depth=1
	s_clause 0x1
	s_load_b256 s[40:47], s[22:23], 0x4
	s_load_b128 s[56:59], s[22:23], 0x24
	s_load_b256 s[48:55], s[2:3], 0x0
	s_add_u32 s22, s22, 48
	s_addc_u32 s23, s23, 0
	s_add_i32 s39, s39, 4
	s_add_u32 s2, s2, 32
	s_addc_u32 s3, s3, 0
	s_cmp_lg_u32 s35, s39
	s_waitcnt lgkmcnt(0)
	v_mul_hi_u32 v6, s41, v2
	s_delay_alu instid0(VALU_DEP_1) | instskip(NEXT) | instid1(VALU_DEP_1)
	v_add_nc_u32_e32 v6, v2, v6
	v_lshrrev_b32_e32 v6, s42, v6
	s_delay_alu instid0(VALU_DEP_1) | instskip(SKIP_1) | instid1(VALU_DEP_2)
	v_mul_hi_u32 v7, s44, v6
	v_mul_lo_u32 v9, v6, s40
	v_add_nc_u32_e32 v7, v6, v7
	s_delay_alu instid0(VALU_DEP_2) | instskip(NEXT) | instid1(VALU_DEP_2)
	v_sub_nc_u32_e32 v2, v2, v9
	v_lshrrev_b32_e32 v7, s45, v7
	s_delay_alu instid0(VALU_DEP_2) | instskip(SKIP_1) | instid1(VALU_DEP_3)
	v_mul_lo_u32 v9, v2, s48
	v_mul_lo_u32 v11, v2, s49
	v_mul_hi_u32 v8, s47, v7
	s_delay_alu instid0(VALU_DEP_1) | instskip(NEXT) | instid1(VALU_DEP_1)
	v_add_nc_u32_e32 v8, v7, v8
	v_lshrrev_b32_e32 v8, s56, v8
	s_delay_alu instid0(VALU_DEP_1) | instskip(SKIP_1) | instid1(VALU_DEP_2)
	v_mul_hi_u32 v10, s58, v8
	v_mul_lo_u32 v12, v8, s46
	v_add_nc_u32_e32 v2, v8, v10
	v_mul_lo_u32 v10, v7, s43
	s_delay_alu instid0(VALU_DEP_3) | instskip(NEXT) | instid1(VALU_DEP_3)
	v_sub_nc_u32_e32 v7, v7, v12
	v_lshrrev_b32_e32 v2, s59, v2
	s_delay_alu instid0(VALU_DEP_2) | instskip(SKIP_2) | instid1(VALU_DEP_4)
	v_mul_lo_u32 v12, v7, s52
	v_mul_lo_u32 v7, v7, s53
	v_sub_nc_u32_e32 v6, v6, v10
	v_mul_lo_u32 v13, v2, s57
	s_delay_alu instid0(VALU_DEP_2) | instskip(SKIP_1) | instid1(VALU_DEP_3)
	v_mul_lo_u32 v10, v6, s50
	v_mul_lo_u32 v6, v6, s51
	v_sub_nc_u32_e32 v8, v8, v13
	s_delay_alu instid0(VALU_DEP_3) | instskip(NEXT) | instid1(VALU_DEP_2)
	v_add3_u32 v0, v9, v0, v10
	v_mul_lo_u32 v13, v8, s54
	v_mul_lo_u32 v8, v8, s55
	v_add3_u32 v1, v11, v1, v6
	s_delay_alu instid0(VALU_DEP_3) | instskip(NEXT) | instid1(VALU_DEP_2)
	v_add3_u32 v0, v12, v0, v13
	v_add3_u32 v1, v7, v1, v8
	s_cbranch_scc1 .LBB153_6
	s_branch .LBB153_9
.LBB153_7:
	s_mov_b32 s34, -1
                                        ; implicit-def: $vgpr0
                                        ; implicit-def: $vgpr1
	s_branch .LBB153_12
.LBB153_8:
	v_dual_mov_b32 v2, v5 :: v_dual_mov_b32 v1, 0
.LBB153_9:
	s_and_b32 s38, s38, 3
	s_delay_alu instid0(SALU_CYCLE_1)
	s_cmp_eq_u32 s38, 0
	s_cbranch_scc1 .LBB153_12
; %bb.10:
	s_lshl_b32 s2, s35, 3
	s_mul_i32 s22, s35, 12
	s_add_u32 s2, s2, s16
	s_addc_u32 s3, s17, 0
	s_add_u32 s2, s2, 0xc4
	s_addc_u32 s3, s3, 0
	;; [unrolled: 2-line block ×3, first 2 shown]
	.p2align	6
.LBB153_11:                             ; =>This Inner Loop Header: Depth=1
	s_clause 0x1
	s_load_b64 s[40:41], s[22:23], 0x4
	s_load_b32 s35, s[22:23], 0xc
	s_load_b64 s[42:43], s[2:3], 0x0
	s_add_u32 s22, s22, 12
	s_addc_u32 s23, s23, 0
	s_add_u32 s2, s2, 8
	s_addc_u32 s3, s3, 0
	s_add_i32 s38, s38, -1
	s_delay_alu instid0(SALU_CYCLE_1) | instskip(SKIP_2) | instid1(VALU_DEP_1)
	s_cmp_lg_u32 s38, 0
	s_waitcnt lgkmcnt(0)
	v_mul_hi_u32 v6, s41, v2
	v_add_nc_u32_e32 v6, v2, v6
	s_delay_alu instid0(VALU_DEP_1) | instskip(NEXT) | instid1(VALU_DEP_1)
	v_lshrrev_b32_e32 v9, s35, v6
	v_mul_lo_u32 v6, v9, s40
	s_delay_alu instid0(VALU_DEP_1) | instskip(NEXT) | instid1(VALU_DEP_1)
	v_sub_nc_u32_e32 v2, v2, v6
	v_mad_u64_u32 v[6:7], null, v2, s42, v[0:1]
	v_mad_u64_u32 v[7:8], null, v2, s43, v[1:2]
	v_mov_b32_e32 v2, v9
	s_delay_alu instid0(VALU_DEP_2)
	v_dual_mov_b32 v0, v6 :: v_dual_mov_b32 v1, v7
	s_cbranch_scc1 .LBB153_11
.LBB153_12:
	s_and_not1_b32 vcc_lo, exec_lo, s34
	s_cbranch_vccnz .LBB153_15
; %bb.13:
	s_waitcnt lgkmcnt(0)
	v_mul_hi_u32 v0, s13, v5
	s_and_not1_b32 vcc_lo, exec_lo, s29
	s_delay_alu instid0(VALU_DEP_1) | instskip(NEXT) | instid1(VALU_DEP_1)
	v_add_nc_u32_e32 v0, v5, v0
	v_lshrrev_b32_e32 v2, s14, v0
	s_delay_alu instid0(VALU_DEP_1) | instskip(NEXT) | instid1(VALU_DEP_1)
	v_mul_lo_u32 v0, v2, s12
	v_sub_nc_u32_e32 v1, v5, v0
	s_delay_alu instid0(VALU_DEP_1)
	v_mul_lo_u32 v0, v1, s8
	v_mul_lo_u32 v1, v1, s9
	s_cbranch_vccnz .LBB153_15
; %bb.14:
	v_mul_hi_u32 v6, s18, v2
	s_delay_alu instid0(VALU_DEP_1) | instskip(NEXT) | instid1(VALU_DEP_1)
	v_add_nc_u32_e32 v6, v2, v6
	v_lshrrev_b32_e32 v6, s19, v6
	s_delay_alu instid0(VALU_DEP_1) | instskip(NEXT) | instid1(VALU_DEP_1)
	v_mul_lo_u32 v6, v6, s15
	v_sub_nc_u32_e32 v2, v2, v6
	s_delay_alu instid0(VALU_DEP_1) | instskip(SKIP_1) | instid1(VALU_DEP_1)
	v_mad_u64_u32 v[6:7], null, v2, s10, v[0:1]
	v_mad_u64_u32 v[7:8], null, v2, s11, v[1:2]
	v_dual_mov_b32 v0, v6 :: v_dual_mov_b32 v1, v7
.LBB153_15:
	v_cmp_gt_i16_e32 vcc_lo, 11, v4
	s_waitcnt lgkmcnt(0)
	s_delay_alu instid0(VALU_DEP_2) | instskip(NEXT) | instid1(VALU_DEP_1)
	v_add_co_u32 v1, s2, s6, v1
	v_add_co_ci_u32_e64 v2, null, s7, 0, s2
	s_mov_b32 s3, 0
	s_cbranch_vccnz .LBB153_22
; %bb.16:
	v_cmp_lt_i16_e32 vcc_lo, 25, v4
	s_cbranch_vccz .LBB153_141
; %bb.17:
	v_cmp_lt_i16_e32 vcc_lo, 28, v4
	s_cbranch_vccz .LBB153_142
	;; [unrolled: 3-line block ×4, first 2 shown]
; %bb.20:
	v_cmp_eq_u16_e32 vcc_lo, 46, v4
	s_mov_b32 s22, 0
	s_cbranch_vccz .LBB153_145
; %bb.21:
	global_load_b32 v6, v[1:2], off
	s_mov_b32 s2, -1
	s_branch .LBB153_147
.LBB153_22:
	s_mov_b32 s2, 0
                                        ; implicit-def: $vgpr6
	s_cbranch_execnz .LBB153_213
.LBB153_23:
	s_and_not1_b32 vcc_lo, exec_lo, s2
	s_cbranch_vccnz .LBB153_260
.LBB153_24:
	s_waitcnt vmcnt(0)
	s_delay_alu instid0(VALU_DEP_1) | instskip(SKIP_3) | instid1(VALU_DEP_1)
	v_lshlrev_b32_e32 v1, 16, v6
	s_mov_b32 s2, 0x395133b1
	s_mov_b32 s22, 0
	s_mov_b32 s23, -1
	v_mul_f32_e32 v2, 0x3fb8aa3b, v1
	s_delay_alu instid0(VALU_DEP_1) | instskip(NEXT) | instid1(VALU_DEP_1)
	v_rndne_f32_e32 v2, v2
	v_fmamk_f32 v6, v2, 0xbf317218, v1
	v_cvt_i32_f32_e32 v8, v2
	v_cmp_eq_f32_e32 vcc_lo, 0x43000000, v2
	s_delay_alu instid0(VALU_DEP_3) | instskip(NEXT) | instid1(VALU_DEP_3)
	v_fmamk_f32 v6, v2, 0x3102e308, v6
	v_cndmask_b32_e64 v2, v8, 0x7f, vcc_lo
	s_delay_alu instid0(VALU_DEP_2) | instskip(SKIP_1) | instid1(VALU_DEP_3)
	v_fmaak_f32 v7, s2, v6, 0x3ab69700
	v_add_co_u32 v0, s2, s4, v0
	v_ldexp_f32 v2, 1.0, v2
	s_delay_alu instid0(VALU_DEP_1) | instskip(NEXT) | instid1(VALU_DEP_1)
	v_dual_fmaak_f32 v7, v6, v7, 0x3c0887f9 :: v_dual_add_f32 v8, -1.0, v2
	v_fmaak_f32 v7, v6, v7, 0x3d2aaa81
	s_delay_alu instid0(VALU_DEP_1) | instskip(NEXT) | instid1(VALU_DEP_1)
	v_fmaak_f32 v7, v6, v7, 0x3e2aaaab
	v_fma_f32 v7, v6, v7, 0.5
	s_delay_alu instid0(VALU_DEP_1) | instskip(NEXT) | instid1(VALU_DEP_1)
	v_mul_f32_e32 v7, v6, v7
	v_fmac_f32_e32 v6, v6, v7
	s_delay_alu instid0(VALU_DEP_1) | instskip(NEXT) | instid1(VALU_DEP_1)
	v_fmac_f32_e32 v8, v2, v6
	v_add_f32_e32 v2, v8, v8
	s_delay_alu instid0(VALU_DEP_1) | instskip(SKIP_1) | instid1(VALU_DEP_2)
	v_cndmask_b32_e32 v2, v8, v2, vcc_lo
	v_cmp_nlt_f32_e32 vcc_lo, 0x42b17217, v1
	v_cndmask_b32_e32 v2, 0x7f800000, v2, vcc_lo
	v_cmp_ngt_f32_e32 vcc_lo, 0xc1880000, v1
	s_delay_alu instid0(VALU_DEP_2) | instskip(SKIP_1) | instid1(VALU_DEP_2)
	v_cndmask_b32_e32 v6, -1.0, v2, vcc_lo
	v_and_b32_e32 v2, 0xff, v3
	v_bfe_u32 v1, v6, 16, 1
	s_delay_alu instid0(VALU_DEP_2) | instskip(NEXT) | instid1(VALU_DEP_2)
	v_cmp_gt_i16_e32 vcc_lo, 11, v2
	v_add3_u32 v1, v6, v1, 0x7fff
	s_and_b32 vcc_lo, exec_lo, vcc_lo
	s_delay_alu instid0(VALU_DEP_1) | instskip(SKIP_2) | instid1(VALU_DEP_1)
	v_lshrrev_b32_e32 v7, 16, v1
	v_add_co_ci_u32_e64 v1, null, s5, 0, s2
	v_cmp_o_f32_e64 s2, v6, v6
	v_cndmask_b32_e64 v6, 0x7fc0, v7, s2
	s_mov_b32 s2, 0
	s_cbranch_vccnz .LBB153_101
; %bb.25:
	v_cmp_lt_i16_e32 vcc_lo, 25, v2
	s_cbranch_vccz .LBB153_58
; %bb.26:
	v_cmp_lt_i16_e32 vcc_lo, 28, v2
	s_cbranch_vccz .LBB153_41
	;; [unrolled: 3-line block ×4, first 2 shown]
; %bb.29:
	v_cmp_eq_u16_e32 vcc_lo, 46, v2
	s_mov_b32 s23, 0
	s_mov_b32 s22, -1
	s_cbranch_vccz .LBB153_31
; %bb.30:
	v_and_b32_e32 v7, 0xffff, v6
	s_mov_b32 s2, -1
	s_mov_b32 s22, 0
	global_store_b32 v[0:1], v7, off
.LBB153_31:
	s_and_b32 vcc_lo, exec_lo, s23
	s_cbranch_vccz .LBB153_36
; %bb.32:
	v_cmp_eq_u16_e32 vcc_lo, 44, v2
	s_mov_b32 s22, -1
	s_cbranch_vccz .LBB153_36
; %bb.33:
	v_and_b32_e32 v7, 0xffff, v6
	v_mov_b32_e32 v8, 0xff
	s_mov_b32 s22, exec_lo
	s_delay_alu instid0(VALU_DEP_2) | instskip(NEXT) | instid1(VALU_DEP_1)
	v_bfe_u32 v9, v7, 7, 8
	v_cmpx_ne_u32_e32 0xff, v9
; %bb.34:
	v_lshlrev_b32_e32 v8, 16, v7
	v_and_b32_e32 v10, 64, v7
	v_lshrrev_b32_e32 v7, 7, v7
	s_delay_alu instid0(VALU_DEP_3) | instskip(NEXT) | instid1(VALU_DEP_3)
	v_and_or_b32 v8, 0x3f0000, v8, v9
	v_cmp_ne_u32_e32 vcc_lo, 0, v10
	s_delay_alu instid0(VALU_DEP_2) | instskip(NEXT) | instid1(VALU_DEP_1)
	v_cmp_ne_u32_e64 s2, 0, v8
	s_and_b32 s2, vcc_lo, s2
	s_delay_alu instid0(SALU_CYCLE_1) | instskip(NEXT) | instid1(VALU_DEP_1)
	v_cndmask_b32_e64 v8, 0, 1, s2
	v_add_nc_u32_e32 v8, v7, v8
; %bb.35:
	s_or_b32 exec_lo, exec_lo, s22
	s_mov_b32 s2, -1
	s_mov_b32 s22, 0
	global_store_b8 v[0:1], v8, off
.LBB153_36:
	s_mov_b32 s23, 0
.LBB153_37:
	s_delay_alu instid0(SALU_CYCLE_1)
	s_and_b32 vcc_lo, exec_lo, s23
	s_cbranch_vccz .LBB153_40
; %bb.38:
	v_cmp_eq_u16_e32 vcc_lo, 29, v2
	s_mov_b32 s22, -1
	s_cbranch_vccz .LBB153_40
; %bb.39:
	v_lshlrev_b32_e32 v7, 16, v6
	s_mov_b32 s2, -1
	s_mov_b32 s22, 0
	s_delay_alu instid0(VALU_DEP_1) | instskip(NEXT) | instid1(VALU_DEP_1)
	v_trunc_f32_e32 v7, v7
	v_mul_f32_e32 v8, 0x2f800000, v7
	s_delay_alu instid0(VALU_DEP_1) | instskip(NEXT) | instid1(VALU_DEP_1)
	v_floor_f32_e32 v8, v8
	v_fmamk_f32 v7, v8, 0xcf800000, v7
	v_cvt_u32_f32_e32 v8, v8
	s_delay_alu instid0(VALU_DEP_2)
	v_cvt_u32_f32_e32 v7, v7
	global_store_b64 v[0:1], v[7:8], off
.LBB153_40:
	s_mov_b32 s23, 0
.LBB153_41:
	s_delay_alu instid0(SALU_CYCLE_1)
	s_and_b32 vcc_lo, exec_lo, s23
	s_cbranch_vccz .LBB153_57
; %bb.42:
	v_cmp_gt_i16_e32 vcc_lo, 27, v2
	s_mov_b32 s2, -1
	s_cbranch_vccnz .LBB153_48
; %bb.43:
	v_cmp_lt_i16_e32 vcc_lo, 27, v2
	s_cbranch_vccz .LBB153_45
; %bb.44:
	v_lshlrev_b32_e32 v7, 16, v6
	s_mov_b32 s2, 0
	s_delay_alu instid0(VALU_DEP_1)
	v_cvt_u32_f32_e32 v7, v7
	global_store_b32 v[0:1], v7, off
.LBB153_45:
	s_and_not1_b32 vcc_lo, exec_lo, s2
	s_cbranch_vccnz .LBB153_47
; %bb.46:
	v_lshlrev_b32_e32 v7, 16, v6
	s_delay_alu instid0(VALU_DEP_1)
	v_cvt_u32_f32_e32 v7, v7
	global_store_b16 v[0:1], v7, off
.LBB153_47:
	s_mov_b32 s2, 0
.LBB153_48:
	s_delay_alu instid0(SALU_CYCLE_1)
	s_and_not1_b32 vcc_lo, exec_lo, s2
	s_cbranch_vccnz .LBB153_56
; %bb.49:
	v_dual_mov_b32 v10, 0x80 :: v_dual_lshlrev_b32 v9, 16, v6
	s_mov_b32 s2, exec_lo
	s_delay_alu instid0(VALU_DEP_1) | instskip(NEXT) | instid1(VALU_DEP_1)
	v_and_b32_e32 v8, 0x7fffffff, v9
	v_cmpx_gt_u32_e32 0x43800000, v8
	s_cbranch_execz .LBB153_55
; %bb.50:
	v_and_b32_e32 v7, 0xffff, v6
	v_cmp_lt_u32_e32 vcc_lo, 0x3bffffff, v8
	s_mov_b32 s23, 0
                                        ; implicit-def: $vgpr8
	s_and_saveexec_b32 s34, vcc_lo
	s_delay_alu instid0(SALU_CYCLE_1)
	s_xor_b32 s34, exec_lo, s34
	s_cbranch_execz .LBB153_150
; %bb.51:
	v_bfe_u32 v8, v7, 4, 1
	s_mov_b32 s23, exec_lo
	s_delay_alu instid0(VALU_DEP_1) | instskip(NEXT) | instid1(VALU_DEP_1)
	v_add3_u32 v8, v9, v8, 0x487ffff
                                        ; implicit-def: $vgpr9
	v_lshrrev_b32_e32 v8, 20, v8
	s_or_saveexec_b32 s34, s34
                                        ; implicit-def: $sgpr35
	s_delay_alu instid0(SALU_CYCLE_1)
	s_xor_b32 exec_lo, exec_lo, s34
	s_cbranch_execnz .LBB153_151
.LBB153_52:
	s_or_b32 exec_lo, exec_lo, s34
	v_mov_b32_e32 v10, s35
	s_and_saveexec_b32 s34, s23
.LBB153_53:
	v_lshrrev_b32_e32 v7, 8, v7
	s_delay_alu instid0(VALU_DEP_1)
	v_and_or_b32 v10, 0x80, v7, v8
.LBB153_54:
	s_or_b32 exec_lo, exec_lo, s34
.LBB153_55:
	s_delay_alu instid0(SALU_CYCLE_1)
	s_or_b32 exec_lo, exec_lo, s2
	global_store_b8 v[0:1], v10, off
.LBB153_56:
	s_mov_b32 s2, -1
.LBB153_57:
	s_mov_b32 s23, 0
.LBB153_58:
	s_delay_alu instid0(SALU_CYCLE_1)
	s_and_b32 vcc_lo, exec_lo, s23
	s_cbranch_vccz .LBB153_99
; %bb.59:
	v_cmp_lt_i16_e32 vcc_lo, 22, v2
	s_mov_b32 s23, -1
	s_cbranch_vccz .LBB153_91
; %bb.60:
	v_cmp_gt_i16_e32 vcc_lo, 24, v2
	s_mov_b32 s2, -1
	s_cbranch_vccnz .LBB153_80
; %bb.61:
	v_cmp_lt_i16_e32 vcc_lo, 24, v2
	s_cbranch_vccz .LBB153_69
; %bb.62:
	v_dual_mov_b32 v10, 0x80 :: v_dual_lshlrev_b32 v9, 16, v6
	s_mov_b32 s2, exec_lo
	s_delay_alu instid0(VALU_DEP_1) | instskip(NEXT) | instid1(VALU_DEP_1)
	v_and_b32_e32 v8, 0x7fffffff, v9
	v_cmpx_gt_u32_e32 0x47800000, v8
	s_cbranch_execz .LBB153_68
; %bb.63:
	v_and_b32_e32 v7, 0xffff, v6
	v_cmp_lt_u32_e32 vcc_lo, 0x37ffffff, v8
	s_mov_b32 s23, 0
                                        ; implicit-def: $vgpr8
	s_and_saveexec_b32 s34, vcc_lo
	s_delay_alu instid0(SALU_CYCLE_1)
	s_xor_b32 s34, exec_lo, s34
	s_cbranch_execz .LBB153_341
; %bb.64:
	v_bfe_u32 v8, v7, 5, 1
	s_mov_b32 s23, exec_lo
	s_delay_alu instid0(VALU_DEP_1) | instskip(NEXT) | instid1(VALU_DEP_1)
	v_add3_u32 v8, v9, v8, 0x88fffff
                                        ; implicit-def: $vgpr9
	v_lshrrev_b32_e32 v8, 21, v8
	s_or_saveexec_b32 s34, s34
                                        ; implicit-def: $sgpr35
	s_delay_alu instid0(SALU_CYCLE_1)
	s_xor_b32 exec_lo, exec_lo, s34
	s_cbranch_execnz .LBB153_342
.LBB153_65:
	s_or_b32 exec_lo, exec_lo, s34
	v_mov_b32_e32 v10, s35
	s_and_saveexec_b32 s34, s23
.LBB153_66:
	v_lshrrev_b32_e32 v7, 8, v7
	s_delay_alu instid0(VALU_DEP_1)
	v_and_or_b32 v10, 0x80, v7, v8
.LBB153_67:
	s_or_b32 exec_lo, exec_lo, s34
.LBB153_68:
	s_delay_alu instid0(SALU_CYCLE_1)
	s_or_b32 exec_lo, exec_lo, s2
	s_mov_b32 s2, 0
	global_store_b8 v[0:1], v10, off
.LBB153_69:
	s_and_b32 vcc_lo, exec_lo, s2
	s_cbranch_vccz .LBB153_79
; %bb.70:
	v_lshlrev_b32_e32 v9, 16, v6
	v_and_b32_e32 v7, 0xffff, v6
	s_mov_b32 s2, exec_lo
                                        ; implicit-def: $vgpr8
	s_delay_alu instid0(VALU_DEP_2) | instskip(NEXT) | instid1(VALU_DEP_1)
	v_and_b32_e32 v10, 0x7fffffff, v9
	v_cmpx_gt_u32_e32 0x43f00000, v10
	s_xor_b32 s2, exec_lo, s2
	s_cbranch_execz .LBB153_76
; %bb.71:
	s_mov_b32 s23, exec_lo
                                        ; implicit-def: $vgpr8
	v_cmpx_lt_u32_e32 0x3c7fffff, v10
	s_xor_b32 s23, exec_lo, s23
; %bb.72:
	v_bfe_u32 v8, v7, 4, 1
	s_delay_alu instid0(VALU_DEP_1) | instskip(NEXT) | instid1(VALU_DEP_1)
	v_add3_u32 v8, v9, v8, 0x407ffff
	v_and_b32_e32 v9, 0xff00000, v8
	v_lshrrev_b32_e32 v8, 20, v8
	s_delay_alu instid0(VALU_DEP_2) | instskip(NEXT) | instid1(VALU_DEP_2)
	v_cmp_ne_u32_e32 vcc_lo, 0x7f00000, v9
                                        ; implicit-def: $vgpr9
	v_cndmask_b32_e32 v8, 0x7e, v8, vcc_lo
; %bb.73:
	s_and_not1_saveexec_b32 s23, s23
; %bb.74:
	v_add_f32_e64 v8, 0x46800000, |v9|
; %bb.75:
	s_or_b32 exec_lo, exec_lo, s23
                                        ; implicit-def: $vgpr10
.LBB153_76:
	s_and_not1_saveexec_b32 s2, s2
; %bb.77:
	v_mov_b32_e32 v8, 0x7f
	v_cmp_lt_u32_e32 vcc_lo, 0x7f800000, v10
	s_delay_alu instid0(VALU_DEP_2)
	v_cndmask_b32_e32 v8, 0x7e, v8, vcc_lo
; %bb.78:
	s_or_b32 exec_lo, exec_lo, s2
	v_lshrrev_b32_e32 v7, 8, v7
	s_delay_alu instid0(VALU_DEP_1)
	v_and_or_b32 v7, 0x80, v7, v8
	global_store_b8 v[0:1], v7, off
.LBB153_79:
	s_mov_b32 s2, 0
.LBB153_80:
	s_delay_alu instid0(SALU_CYCLE_1)
	s_and_not1_b32 vcc_lo, exec_lo, s2
	s_cbranch_vccnz .LBB153_90
; %bb.81:
	v_lshlrev_b32_e32 v9, 16, v6
	v_and_b32_e32 v7, 0xffff, v6
	s_mov_b32 s2, exec_lo
                                        ; implicit-def: $vgpr8
	s_delay_alu instid0(VALU_DEP_2) | instskip(NEXT) | instid1(VALU_DEP_1)
	v_and_b32_e32 v10, 0x7fffffff, v9
	v_cmpx_gt_u32_e32 0x47800000, v10
	s_xor_b32 s2, exec_lo, s2
	s_cbranch_execz .LBB153_87
; %bb.82:
	s_mov_b32 s23, exec_lo
                                        ; implicit-def: $vgpr8
	v_cmpx_lt_u32_e32 0x387fffff, v10
	s_xor_b32 s23, exec_lo, s23
; %bb.83:
	v_bfe_u32 v8, v7, 5, 1
	s_delay_alu instid0(VALU_DEP_1) | instskip(NEXT) | instid1(VALU_DEP_1)
	v_add3_u32 v8, v9, v8, 0x80fffff
                                        ; implicit-def: $vgpr9
	v_lshrrev_b32_e32 v8, 21, v8
; %bb.84:
	s_and_not1_saveexec_b32 s23, s23
; %bb.85:
	v_add_f32_e64 v8, 0x43000000, |v9|
; %bb.86:
	s_or_b32 exec_lo, exec_lo, s23
                                        ; implicit-def: $vgpr10
.LBB153_87:
	s_and_not1_saveexec_b32 s2, s2
; %bb.88:
	v_mov_b32_e32 v8, 0x7f
	v_cmp_lt_u32_e32 vcc_lo, 0x7f800000, v10
	s_delay_alu instid0(VALU_DEP_2)
	v_cndmask_b32_e32 v8, 0x7c, v8, vcc_lo
; %bb.89:
	s_or_b32 exec_lo, exec_lo, s2
	v_lshrrev_b32_e32 v7, 8, v7
	s_delay_alu instid0(VALU_DEP_1)
	v_and_or_b32 v7, 0x80, v7, v8
	global_store_b8 v[0:1], v7, off
.LBB153_90:
	s_mov_b32 s23, 0
	s_mov_b32 s2, -1
.LBB153_91:
	s_and_not1_b32 vcc_lo, exec_lo, s23
	s_cbranch_vccnz .LBB153_99
; %bb.92:
	v_cmp_lt_i16_e32 vcc_lo, 14, v2
	s_mov_b32 s23, -1
	s_cbranch_vccz .LBB153_96
; %bb.93:
	v_cmp_eq_u16_e32 vcc_lo, 15, v2
	s_mov_b32 s22, -1
	s_cbranch_vccz .LBB153_95
; %bb.94:
	s_mov_b32 s2, -1
	s_mov_b32 s22, 0
	global_store_b16 v[0:1], v6, off
.LBB153_95:
	s_mov_b32 s23, 0
.LBB153_96:
	s_delay_alu instid0(SALU_CYCLE_1)
	s_and_b32 vcc_lo, exec_lo, s23
	s_cbranch_vccz .LBB153_99
; %bb.97:
	v_cmp_eq_u16_e32 vcc_lo, 11, v2
	s_mov_b32 s22, -1
	s_cbranch_vccz .LBB153_99
; %bb.98:
	v_and_b32_e32 v7, 0x7fff, v6
	s_mov_b32 s22, 0
	s_mov_b32 s2, -1
	s_delay_alu instid0(VALU_DEP_1)
	v_cmp_ne_u16_e32 vcc_lo, 0, v7
	v_cndmask_b32_e64 v7, 0, 1, vcc_lo
	global_store_b8 v[0:1], v7, off
.LBB153_99:
.LBB153_100:
	s_and_not1_b32 vcc_lo, exec_lo, s2
	s_cbranch_vccz .LBB153_140
	s_branch .LBB153_261
.LBB153_101:
	s_and_b32 vcc_lo, exec_lo, s23
	s_cbranch_vccz .LBB153_100
; %bb.102:
	v_cmp_gt_i16_e32 vcc_lo, 5, v2
	s_mov_b32 s2, -1
	s_cbranch_vccnz .LBB153_123
; %bb.103:
	v_cmp_gt_i16_e32 vcc_lo, 8, v2
	s_cbranch_vccnz .LBB153_113
; %bb.104:
	v_cmp_gt_i16_e32 vcc_lo, 9, v2
	s_cbranch_vccnz .LBB153_110
; %bb.105:
	v_cmp_lt_i16_e32 vcc_lo, 9, v2
	s_cbranch_vccz .LBB153_107
; %bb.106:
	v_mov_b32_e32 v9, 0
	v_lshlrev_b32_e32 v7, 16, v6
	s_mov_b32 s2, 0
	s_delay_alu instid0(VALU_DEP_2) | instskip(NEXT) | instid1(VALU_DEP_2)
	v_mov_b32_e32 v10, v9
	v_cvt_f64_f32_e32 v[7:8], v7
	global_store_b128 v[0:1], v[7:10], off
.LBB153_107:
	s_and_not1_b32 vcc_lo, exec_lo, s2
	s_cbranch_vccnz .LBB153_109
; %bb.108:
	v_dual_mov_b32 v8, 0 :: v_dual_lshlrev_b32 v7, 16, v6
	global_store_b64 v[0:1], v[7:8], off
.LBB153_109:
	s_mov_b32 s2, 0
.LBB153_110:
	s_delay_alu instid0(SALU_CYCLE_1)
	s_and_not1_b32 vcc_lo, exec_lo, s2
	s_cbranch_vccnz .LBB153_112
; %bb.111:
	v_lshlrev_b32_e32 v7, 16, v6
	s_delay_alu instid0(VALU_DEP_1) | instskip(NEXT) | instid1(VALU_DEP_1)
	v_cvt_f16_f32_e32 v7, v7
	v_and_b32_e32 v7, 0xffff, v7
	global_store_b32 v[0:1], v7, off
.LBB153_112:
	s_mov_b32 s2, 0
.LBB153_113:
	s_delay_alu instid0(SALU_CYCLE_1)
	s_and_not1_b32 vcc_lo, exec_lo, s2
	s_cbranch_vccnz .LBB153_122
; %bb.114:
	v_cmp_gt_i16_e32 vcc_lo, 6, v2
	s_mov_b32 s2, -1
	s_cbranch_vccnz .LBB153_120
; %bb.115:
	v_cmp_lt_i16_e32 vcc_lo, 6, v2
	s_cbranch_vccz .LBB153_117
; %bb.116:
	v_lshlrev_b32_e32 v7, 16, v6
	s_mov_b32 s2, 0
	s_delay_alu instid0(VALU_DEP_1)
	v_cvt_f64_f32_e32 v[7:8], v7
	global_store_b64 v[0:1], v[7:8], off
.LBB153_117:
	s_and_not1_b32 vcc_lo, exec_lo, s2
	s_cbranch_vccnz .LBB153_119
; %bb.118:
	v_lshlrev_b32_e32 v7, 16, v6
	global_store_b32 v[0:1], v7, off
.LBB153_119:
	s_mov_b32 s2, 0
.LBB153_120:
	s_delay_alu instid0(SALU_CYCLE_1)
	s_and_not1_b32 vcc_lo, exec_lo, s2
	s_cbranch_vccnz .LBB153_122
; %bb.121:
	v_lshlrev_b32_e32 v7, 16, v6
	s_delay_alu instid0(VALU_DEP_1)
	v_cvt_f16_f32_e32 v7, v7
	global_store_b16 v[0:1], v7, off
.LBB153_122:
	s_mov_b32 s2, 0
.LBB153_123:
	s_delay_alu instid0(SALU_CYCLE_1)
	s_and_not1_b32 vcc_lo, exec_lo, s2
	s_cbranch_vccnz .LBB153_139
; %bb.124:
	v_cmp_gt_i16_e32 vcc_lo, 2, v2
	s_mov_b32 s2, -1
	s_cbranch_vccnz .LBB153_134
; %bb.125:
	v_cmp_gt_i16_e32 vcc_lo, 3, v2
	s_cbranch_vccnz .LBB153_131
; %bb.126:
	v_cmp_lt_i16_e32 vcc_lo, 3, v2
	s_cbranch_vccz .LBB153_128
; %bb.127:
	v_lshlrev_b32_e32 v7, 16, v6
	s_mov_b32 s2, 0
	s_delay_alu instid0(VALU_DEP_1) | instskip(NEXT) | instid1(VALU_DEP_1)
	v_trunc_f32_e32 v7, v7
	v_mul_f32_e64 v8, 0x2f800000, |v7|
	v_ashrrev_i32_e32 v10, 31, v7
	s_delay_alu instid0(VALU_DEP_2) | instskip(NEXT) | instid1(VALU_DEP_1)
	v_floor_f32_e32 v8, v8
	v_fma_f32 v9, 0xcf800000, v8, |v7|
	v_cvt_u32_f32_e32 v8, v8
	s_delay_alu instid0(VALU_DEP_2) | instskip(NEXT) | instid1(VALU_DEP_2)
	v_cvt_u32_f32_e32 v7, v9
	v_xor_b32_e32 v8, v8, v10
	s_delay_alu instid0(VALU_DEP_2) | instskip(NEXT) | instid1(VALU_DEP_1)
	v_xor_b32_e32 v7, v7, v10
	v_sub_co_u32 v7, vcc_lo, v7, v10
	s_delay_alu instid0(VALU_DEP_3)
	v_sub_co_ci_u32_e32 v8, vcc_lo, v8, v10, vcc_lo
	global_store_b64 v[0:1], v[7:8], off
.LBB153_128:
	s_and_not1_b32 vcc_lo, exec_lo, s2
	s_cbranch_vccnz .LBB153_130
; %bb.129:
	v_lshlrev_b32_e32 v7, 16, v6
	s_delay_alu instid0(VALU_DEP_1)
	v_cvt_i32_f32_e32 v7, v7
	global_store_b32 v[0:1], v7, off
.LBB153_130:
	s_mov_b32 s2, 0
.LBB153_131:
	s_delay_alu instid0(SALU_CYCLE_1)
	s_and_not1_b32 vcc_lo, exec_lo, s2
	s_cbranch_vccnz .LBB153_133
; %bb.132:
	v_lshlrev_b32_e32 v7, 16, v6
	s_delay_alu instid0(VALU_DEP_1)
	v_cvt_i32_f32_e32 v7, v7
	global_store_b16 v[0:1], v7, off
.LBB153_133:
	s_mov_b32 s2, 0
.LBB153_134:
	s_delay_alu instid0(SALU_CYCLE_1)
	s_and_not1_b32 vcc_lo, exec_lo, s2
	s_cbranch_vccnz .LBB153_139
; %bb.135:
	v_cmp_lt_i16_e32 vcc_lo, 0, v2
	v_lshlrev_b32_e32 v2, 16, v6
	s_mov_b32 s2, -1
	s_cbranch_vccz .LBB153_137
; %bb.136:
	s_delay_alu instid0(VALU_DEP_1)
	v_cvt_i32_f32_e32 v6, v2
	s_mov_b32 s2, 0
	global_store_b8 v[0:1], v6, off
.LBB153_137:
	s_and_not1_b32 vcc_lo, exec_lo, s2
	s_cbranch_vccnz .LBB153_139
; %bb.138:
	v_trunc_f32_e32 v2, v2
	s_delay_alu instid0(VALU_DEP_1) | instskip(NEXT) | instid1(VALU_DEP_1)
	v_mul_f32_e64 v6, 0x2f800000, |v2|
	v_floor_f32_e32 v6, v6
	s_delay_alu instid0(VALU_DEP_1) | instskip(SKIP_1) | instid1(VALU_DEP_2)
	v_fma_f32 v6, 0xcf800000, v6, |v2|
	v_ashrrev_i32_e32 v2, 31, v2
	v_cvt_u32_f32_e32 v6, v6
	s_delay_alu instid0(VALU_DEP_1) | instskip(NEXT) | instid1(VALU_DEP_1)
	v_xor_b32_e32 v6, v6, v2
	v_sub_nc_u32_e32 v2, v6, v2
	global_store_b8 v[0:1], v2, off
.LBB153_139:
.LBB153_140:
	v_add_nc_u32_e32 v5, 0x80, v5
	s_mov_b32 s2, -1
	s_branch .LBB153_262
.LBB153_141:
	s_mov_b32 s2, 0
                                        ; implicit-def: $vgpr6
	s_cbranch_execnz .LBB153_178
	s_branch .LBB153_212
.LBB153_142:
	s_mov_b32 s22, -1
	s_mov_b32 s2, 0
                                        ; implicit-def: $vgpr6
	s_branch .LBB153_159
.LBB153_143:
	s_mov_b32 s22, -1
	s_mov_b32 s2, 0
                                        ; implicit-def: $vgpr6
	s_branch .LBB153_154
.LBB153_144:
	s_mov_b32 s22, -1
	s_branch .LBB153_146
.LBB153_145:
	s_mov_b32 s3, -1
.LBB153_146:
	s_mov_b32 s2, 0
                                        ; implicit-def: $vgpr6
.LBB153_147:
	s_and_b32 vcc_lo, exec_lo, s22
	s_cbranch_vccz .LBB153_153
; %bb.148:
	v_cmp_eq_u16_e32 vcc_lo, 44, v4
	s_cbranch_vccz .LBB153_152
; %bb.149:
	global_load_u8 v6, v[1:2], off
	s_mov_b32 s3, 0
	s_mov_b32 s2, -1
	s_waitcnt vmcnt(0)
	v_lshlrev_b32_e32 v7, 23, v6
	v_cmp_ne_u32_e32 vcc_lo, 0xff, v6
	s_delay_alu instid0(VALU_DEP_2) | instskip(SKIP_1) | instid1(VALU_DEP_2)
	v_cndmask_b32_e32 v7, 0x7f800001, v7, vcc_lo
	v_cmp_ne_u32_e32 vcc_lo, 0, v6
	v_cndmask_b32_e32 v6, 0x400000, v7, vcc_lo
	s_delay_alu instid0(VALU_DEP_1) | instskip(SKIP_1) | instid1(VALU_DEP_2)
	v_add_nc_u32_e32 v7, 0x7fff, v6
	v_cmp_o_f32_e32 vcc_lo, v6, v6
	v_lshrrev_b32_e32 v7, 16, v7
	s_delay_alu instid0(VALU_DEP_1)
	v_cndmask_b32_e32 v6, 0x7fc0, v7, vcc_lo
	s_branch .LBB153_153
.LBB153_150:
	s_or_saveexec_b32 s34, s34
                                        ; implicit-def: $sgpr35
	s_delay_alu instid0(SALU_CYCLE_1)
	s_xor_b32 exec_lo, exec_lo, s34
	s_cbranch_execz .LBB153_52
.LBB153_151:
	v_add_f32_e64 v8, 0x46000000, |v9|
	s_and_not1_b32 s23, s23, exec_lo
	s_mov_b32 s35, 0
	s_delay_alu instid0(VALU_DEP_1) | instskip(NEXT) | instid1(VALU_DEP_1)
	v_and_b32_e32 v8, 0xff, v8
	v_cmp_ne_u32_e32 vcc_lo, 0, v8
	s_and_b32 s38, vcc_lo, exec_lo
	s_delay_alu instid0(SALU_CYCLE_1)
	s_or_b32 s23, s23, s38
	s_or_b32 exec_lo, exec_lo, s34
	v_mov_b32_e32 v10, s35
	s_and_saveexec_b32 s34, s23
	s_cbranch_execnz .LBB153_53
	s_branch .LBB153_54
.LBB153_152:
	s_mov_b32 s3, -1
                                        ; implicit-def: $vgpr6
.LBB153_153:
	s_mov_b32 s22, 0
.LBB153_154:
	s_delay_alu instid0(SALU_CYCLE_1)
	s_and_b32 vcc_lo, exec_lo, s22
	s_cbranch_vccz .LBB153_158
; %bb.155:
	v_cmp_eq_u16_e32 vcc_lo, 29, v4
	s_cbranch_vccz .LBB153_157
; %bb.156:
	global_load_b64 v[6:7], v[1:2], off
	s_mov_b32 s2, -1
	s_mov_b32 s3, 0
	s_mov_b32 s22, 0
	s_waitcnt vmcnt(0)
	v_clz_i32_u32_e32 v8, v7
	s_delay_alu instid0(VALU_DEP_1) | instskip(NEXT) | instid1(VALU_DEP_1)
	v_min_u32_e32 v8, 32, v8
	v_lshlrev_b64 v[6:7], v8, v[6:7]
	s_delay_alu instid0(VALU_DEP_1) | instskip(NEXT) | instid1(VALU_DEP_1)
	v_min_u32_e32 v6, 1, v6
	v_or_b32_e32 v6, v7, v6
	v_sub_nc_u32_e32 v7, 32, v8
	s_delay_alu instid0(VALU_DEP_2) | instskip(NEXT) | instid1(VALU_DEP_1)
	v_cvt_f32_u32_e32 v6, v6
	v_ldexp_f32 v6, v6, v7
	s_delay_alu instid0(VALU_DEP_1) | instskip(NEXT) | instid1(VALU_DEP_1)
	v_bfe_u32 v7, v6, 16, 1
	v_add3_u32 v6, v6, v7, 0x7fff
	s_delay_alu instid0(VALU_DEP_1)
	v_lshrrev_b32_e32 v6, 16, v6
	s_branch .LBB153_159
.LBB153_157:
	s_mov_b32 s3, -1
                                        ; implicit-def: $vgpr6
.LBB153_158:
	s_mov_b32 s22, 0
.LBB153_159:
	s_delay_alu instid0(SALU_CYCLE_1)
	s_and_b32 vcc_lo, exec_lo, s22
	s_cbranch_vccz .LBB153_177
; %bb.160:
	v_cmp_gt_i16_e32 vcc_lo, 27, v4
	s_cbranch_vccnz .LBB153_163
; %bb.161:
	v_cmp_lt_i16_e32 vcc_lo, 27, v4
	s_cbranch_vccz .LBB153_164
; %bb.162:
	global_load_b32 v6, v[1:2], off
	s_mov_b32 s2, 0
	s_waitcnt vmcnt(0)
	v_cvt_f32_u32_e32 v6, v6
	s_delay_alu instid0(VALU_DEP_1) | instskip(NEXT) | instid1(VALU_DEP_1)
	v_bfe_u32 v7, v6, 16, 1
	v_add3_u32 v6, v6, v7, 0x7fff
	s_delay_alu instid0(VALU_DEP_1)
	v_lshrrev_b32_e32 v6, 16, v6
	s_branch .LBB153_165
.LBB153_163:
	s_mov_b32 s2, -1
                                        ; implicit-def: $vgpr6
	s_branch .LBB153_168
.LBB153_164:
	s_mov_b32 s2, -1
                                        ; implicit-def: $vgpr6
.LBB153_165:
	s_delay_alu instid0(SALU_CYCLE_1)
	s_and_not1_b32 vcc_lo, exec_lo, s2
	s_cbranch_vccnz .LBB153_167
; %bb.166:
	global_load_u16 v6, v[1:2], off
	s_waitcnt vmcnt(0)
	v_cvt_f32_u32_e32 v6, v6
	s_delay_alu instid0(VALU_DEP_1) | instskip(NEXT) | instid1(VALU_DEP_1)
	v_bfe_u32 v7, v6, 16, 1
	v_add3_u32 v6, v6, v7, 0x7fff
	s_delay_alu instid0(VALU_DEP_1)
	v_lshrrev_b32_e32 v6, 16, v6
.LBB153_167:
	s_mov_b32 s2, 0
.LBB153_168:
	s_delay_alu instid0(SALU_CYCLE_1)
	s_and_not1_b32 vcc_lo, exec_lo, s2
	s_cbranch_vccnz .LBB153_176
; %bb.169:
	global_load_u8 v6, v[1:2], off
	s_mov_b32 s2, 0
	s_mov_b32 s23, exec_lo
                                        ; implicit-def: $sgpr22
	s_waitcnt vmcnt(0)
	v_cmpx_lt_i16_e32 0x7f, v6
	s_xor_b32 s23, exec_lo, s23
	s_cbranch_execz .LBB153_189
; %bb.170:
	s_mov_b32 s2, -1
	s_mov_b32 s34, exec_lo
                                        ; implicit-def: $sgpr22
	v_cmpx_eq_u16_e32 0x80, v6
; %bb.171:
	s_mov_b32 s22, 0x7f800001
	s_xor_b32 s2, exec_lo, -1
; %bb.172:
	s_or_b32 exec_lo, exec_lo, s34
	s_delay_alu instid0(SALU_CYCLE_1)
	s_and_b32 s2, s2, exec_lo
	s_or_saveexec_b32 s23, s23
	v_mov_b32_e32 v7, s22
	s_xor_b32 exec_lo, exec_lo, s23
	s_cbranch_execnz .LBB153_190
.LBB153_173:
	s_or_b32 exec_lo, exec_lo, s23
	s_and_saveexec_b32 s22, s2
	s_cbranch_execz .LBB153_175
.LBB153_174:
	v_and_b32_e32 v7, 0xffff, v6
	v_lshlrev_b32_e32 v6, 24, v6
	s_delay_alu instid0(VALU_DEP_2) | instskip(NEXT) | instid1(VALU_DEP_2)
	v_and_b32_e32 v8, 7, v7
	v_and_b32_e32 v6, 0x80000000, v6
	s_delay_alu instid0(VALU_DEP_2) | instskip(NEXT) | instid1(VALU_DEP_1)
	v_clz_i32_u32_e32 v9, v8
	v_min_u32_e32 v9, 32, v9
	s_delay_alu instid0(VALU_DEP_1) | instskip(SKIP_1) | instid1(VALU_DEP_2)
	v_subrev_nc_u32_e32 v10, 28, v9
	v_sub_nc_u32_e32 v9, 29, v9
	v_lshlrev_b32_e32 v10, v10, v7
	v_bfe_u32 v7, v7, 3, 4
	s_delay_alu instid0(VALU_DEP_2) | instskip(NEXT) | instid1(VALU_DEP_2)
	v_and_b32_e32 v10, 7, v10
	v_cmp_eq_u32_e32 vcc_lo, 0, v7
	s_delay_alu instid0(VALU_DEP_2) | instskip(NEXT) | instid1(VALU_DEP_1)
	v_dual_cndmask_b32 v7, v7, v9 :: v_dual_cndmask_b32 v8, v8, v10
	v_lshl_add_u32 v7, v7, 23, 0x3b800000
	s_delay_alu instid0(VALU_DEP_2) | instskip(NEXT) | instid1(VALU_DEP_1)
	v_lshlrev_b32_e32 v8, 20, v8
	v_or3_b32 v7, v6, v7, v8
.LBB153_175:
	s_or_b32 exec_lo, exec_lo, s22
	s_delay_alu instid0(VALU_DEP_1) | instskip(SKIP_1) | instid1(VALU_DEP_2)
	v_bfe_u32 v6, v7, 16, 1
	v_cmp_o_f32_e32 vcc_lo, v7, v7
	v_add3_u32 v6, v7, v6, 0x7fff
	s_delay_alu instid0(VALU_DEP_1) | instskip(NEXT) | instid1(VALU_DEP_1)
	v_lshrrev_b32_e32 v6, 16, v6
	v_cndmask_b32_e32 v6, 0x7fc0, v6, vcc_lo
.LBB153_176:
	s_mov_b32 s2, -1
.LBB153_177:
	s_branch .LBB153_212
.LBB153_178:
	v_cmp_lt_i16_e32 vcc_lo, 22, v4
	s_cbranch_vccz .LBB153_188
; %bb.179:
	v_cmp_gt_i16_e32 vcc_lo, 24, v4
	s_cbranch_vccnz .LBB153_191
; %bb.180:
	v_cmp_lt_i16_e32 vcc_lo, 24, v4
	s_cbranch_vccz .LBB153_192
; %bb.181:
	global_load_u8 v6, v[1:2], off
	s_mov_b32 s2, 0
	s_mov_b32 s23, exec_lo
                                        ; implicit-def: $sgpr22
	s_waitcnt vmcnt(0)
	v_cmpx_lt_i16_e32 0x7f, v6
	s_xor_b32 s23, exec_lo, s23
	s_cbranch_execz .LBB153_204
; %bb.182:
	s_mov_b32 s2, -1
	s_mov_b32 s34, exec_lo
                                        ; implicit-def: $sgpr22
	v_cmpx_eq_u16_e32 0x80, v6
; %bb.183:
	s_mov_b32 s22, 0x7f800001
	s_xor_b32 s2, exec_lo, -1
; %bb.184:
	s_or_b32 exec_lo, exec_lo, s34
	s_delay_alu instid0(SALU_CYCLE_1)
	s_and_b32 s2, s2, exec_lo
	s_or_saveexec_b32 s23, s23
	v_mov_b32_e32 v7, s22
	s_xor_b32 exec_lo, exec_lo, s23
	s_cbranch_execnz .LBB153_205
.LBB153_185:
	s_or_b32 exec_lo, exec_lo, s23
	s_and_saveexec_b32 s22, s2
	s_cbranch_execz .LBB153_187
.LBB153_186:
	v_and_b32_e32 v7, 0xffff, v6
	v_lshlrev_b32_e32 v6, 24, v6
	s_delay_alu instid0(VALU_DEP_2) | instskip(NEXT) | instid1(VALU_DEP_2)
	v_and_b32_e32 v8, 3, v7
	v_and_b32_e32 v6, 0x80000000, v6
	s_delay_alu instid0(VALU_DEP_2) | instskip(NEXT) | instid1(VALU_DEP_1)
	v_clz_i32_u32_e32 v9, v8
	v_min_u32_e32 v9, 32, v9
	s_delay_alu instid0(VALU_DEP_1) | instskip(SKIP_1) | instid1(VALU_DEP_2)
	v_subrev_nc_u32_e32 v10, 29, v9
	v_sub_nc_u32_e32 v9, 30, v9
	v_lshlrev_b32_e32 v10, v10, v7
	v_bfe_u32 v7, v7, 2, 5
	s_delay_alu instid0(VALU_DEP_2) | instskip(NEXT) | instid1(VALU_DEP_2)
	v_and_b32_e32 v10, 3, v10
	v_cmp_eq_u32_e32 vcc_lo, 0, v7
	s_delay_alu instid0(VALU_DEP_2) | instskip(NEXT) | instid1(VALU_DEP_1)
	v_dual_cndmask_b32 v7, v7, v9 :: v_dual_cndmask_b32 v8, v8, v10
	v_lshl_add_u32 v7, v7, 23, 0x37800000
	s_delay_alu instid0(VALU_DEP_2) | instskip(NEXT) | instid1(VALU_DEP_1)
	v_lshlrev_b32_e32 v8, 21, v8
	v_or3_b32 v7, v6, v7, v8
.LBB153_187:
	s_or_b32 exec_lo, exec_lo, s22
	s_delay_alu instid0(VALU_DEP_1) | instskip(SKIP_2) | instid1(VALU_DEP_2)
	v_bfe_u32 v6, v7, 16, 1
	v_cmp_o_f32_e32 vcc_lo, v7, v7
	s_mov_b32 s2, 0
	v_add3_u32 v6, v7, v6, 0x7fff
	s_delay_alu instid0(VALU_DEP_1) | instskip(NEXT) | instid1(VALU_DEP_1)
	v_lshrrev_b32_e32 v6, 16, v6
	v_cndmask_b32_e32 v6, 0x7fc0, v6, vcc_lo
	s_branch .LBB153_193
.LBB153_188:
	s_mov_b32 s22, -1
                                        ; implicit-def: $vgpr6
	s_branch .LBB153_199
.LBB153_189:
	s_or_saveexec_b32 s23, s23
	v_mov_b32_e32 v7, s22
	s_xor_b32 exec_lo, exec_lo, s23
	s_cbranch_execz .LBB153_173
.LBB153_190:
	v_cmp_ne_u16_e32 vcc_lo, 0, v6
	v_mov_b32_e32 v7, 0
	s_and_not1_b32 s2, s2, exec_lo
	s_and_b32 s22, vcc_lo, exec_lo
	s_delay_alu instid0(SALU_CYCLE_1)
	s_or_b32 s2, s2, s22
	s_or_b32 exec_lo, exec_lo, s23
	s_and_saveexec_b32 s22, s2
	s_cbranch_execnz .LBB153_174
	s_branch .LBB153_175
.LBB153_191:
	s_mov_b32 s2, -1
                                        ; implicit-def: $vgpr6
	s_branch .LBB153_196
.LBB153_192:
	s_mov_b32 s2, -1
                                        ; implicit-def: $vgpr6
.LBB153_193:
	s_delay_alu instid0(SALU_CYCLE_1)
	s_and_b32 vcc_lo, exec_lo, s2
	s_cbranch_vccz .LBB153_195
; %bb.194:
	global_load_u8 v6, v[1:2], off
	s_waitcnt vmcnt(0)
	v_lshlrev_b32_e32 v6, 24, v6
	s_delay_alu instid0(VALU_DEP_1) | instskip(NEXT) | instid1(VALU_DEP_1)
	v_and_b32_e32 v7, 0x7f000000, v6
	v_clz_i32_u32_e32 v8, v7
	v_add_nc_u32_e32 v10, 0x1000000, v7
	v_cmp_ne_u32_e32 vcc_lo, 0, v7
	s_delay_alu instid0(VALU_DEP_3) | instskip(NEXT) | instid1(VALU_DEP_1)
	v_min_u32_e32 v8, 32, v8
	v_sub_nc_u32_e64 v8, v8, 4 clamp
	s_delay_alu instid0(VALU_DEP_1) | instskip(SKIP_1) | instid1(VALU_DEP_2)
	v_lshlrev_b32_e32 v9, v8, v7
	v_lshlrev_b32_e32 v8, 23, v8
	v_lshrrev_b32_e32 v9, 4, v9
	s_delay_alu instid0(VALU_DEP_1) | instskip(SKIP_1) | instid1(VALU_DEP_2)
	v_sub_nc_u32_e32 v8, v9, v8
	v_ashrrev_i32_e32 v9, 8, v10
	v_add_nc_u32_e32 v8, 0x3c000000, v8
	s_delay_alu instid0(VALU_DEP_1) | instskip(NEXT) | instid1(VALU_DEP_1)
	v_and_or_b32 v8, 0x7f800000, v9, v8
	v_cndmask_b32_e32 v7, 0, v8, vcc_lo
	s_delay_alu instid0(VALU_DEP_1) | instskip(SKIP_1) | instid1(VALU_DEP_2)
	v_and_or_b32 v6, 0x80000000, v6, v7
	v_bfe_u32 v7, v7, 16, 1
	v_cmp_o_f32_e32 vcc_lo, v6, v6
	s_delay_alu instid0(VALU_DEP_2) | instskip(NEXT) | instid1(VALU_DEP_1)
	v_add3_u32 v7, v6, v7, 0x7fff
	v_lshrrev_b32_e32 v7, 16, v7
	s_delay_alu instid0(VALU_DEP_1)
	v_cndmask_b32_e32 v6, 0x7fc0, v7, vcc_lo
.LBB153_195:
	s_mov_b32 s2, 0
.LBB153_196:
	s_delay_alu instid0(SALU_CYCLE_1)
	s_and_not1_b32 vcc_lo, exec_lo, s2
	s_cbranch_vccnz .LBB153_198
; %bb.197:
	global_load_u8 v6, v[1:2], off
	s_waitcnt vmcnt(0)
	v_lshlrev_b32_e32 v7, 25, v6
	v_lshlrev_b16 v6, 8, v6
	s_delay_alu instid0(VALU_DEP_2) | instskip(NEXT) | instid1(VALU_DEP_2)
	v_lshrrev_b32_e32 v8, 4, v7
	v_and_or_b32 v9, 0x7f00, v6, 0.5
	v_bfe_i32 v6, v6, 0, 16
	s_delay_alu instid0(VALU_DEP_3) | instskip(NEXT) | instid1(VALU_DEP_1)
	v_or_b32_e32 v8, 0x70000000, v8
	v_dual_add_f32 v9, -0.5, v9 :: v_dual_mul_f32 v8, 0x7800000, v8
	v_cmp_gt_u32_e32 vcc_lo, 0x8000000, v7
	s_delay_alu instid0(VALU_DEP_2) | instskip(NEXT) | instid1(VALU_DEP_1)
	v_cndmask_b32_e32 v7, v8, v9, vcc_lo
	v_and_or_b32 v6, 0x80000000, v6, v7
	v_bfe_u32 v7, v7, 16, 1
	s_delay_alu instid0(VALU_DEP_2) | instskip(NEXT) | instid1(VALU_DEP_2)
	v_cmp_o_f32_e32 vcc_lo, v6, v6
	v_add3_u32 v7, v6, v7, 0x7fff
	s_delay_alu instid0(VALU_DEP_1) | instskip(NEXT) | instid1(VALU_DEP_1)
	v_lshrrev_b32_e32 v7, 16, v7
	v_cndmask_b32_e32 v6, 0x7fc0, v7, vcc_lo
.LBB153_198:
	s_mov_b32 s22, 0
	s_mov_b32 s2, -1
.LBB153_199:
	s_and_not1_b32 vcc_lo, exec_lo, s22
	s_cbranch_vccnz .LBB153_212
; %bb.200:
	v_cmp_lt_i16_e32 vcc_lo, 14, v4
	s_cbranch_vccz .LBB153_203
; %bb.201:
	v_cmp_eq_u16_e32 vcc_lo, 15, v4
	s_cbranch_vccz .LBB153_206
; %bb.202:
	global_load_u16 v6, v[1:2], off
	s_mov_b32 s2, -1
	s_mov_b32 s3, 0
	s_branch .LBB153_207
.LBB153_203:
	s_mov_b32 s22, -1
                                        ; implicit-def: $vgpr6
	s_branch .LBB153_208
.LBB153_204:
	s_or_saveexec_b32 s23, s23
	v_mov_b32_e32 v7, s22
	s_xor_b32 exec_lo, exec_lo, s23
	s_cbranch_execz .LBB153_185
.LBB153_205:
	v_cmp_ne_u16_e32 vcc_lo, 0, v6
	v_mov_b32_e32 v7, 0
	s_and_not1_b32 s2, s2, exec_lo
	s_and_b32 s22, vcc_lo, exec_lo
	s_delay_alu instid0(SALU_CYCLE_1)
	s_or_b32 s2, s2, s22
	s_or_b32 exec_lo, exec_lo, s23
	s_and_saveexec_b32 s22, s2
	s_cbranch_execnz .LBB153_186
	s_branch .LBB153_187
.LBB153_206:
	s_mov_b32 s3, -1
                                        ; implicit-def: $vgpr6
.LBB153_207:
	s_mov_b32 s22, 0
.LBB153_208:
	s_delay_alu instid0(SALU_CYCLE_1)
	s_and_b32 vcc_lo, exec_lo, s22
	s_cbranch_vccz .LBB153_212
; %bb.209:
	v_cmp_eq_u16_e32 vcc_lo, 11, v4
	s_cbranch_vccz .LBB153_211
; %bb.210:
	global_load_u8 v6, v[1:2], off
	s_mov_b32 s3, 0
	s_mov_b32 s2, -1
	s_waitcnt vmcnt(0)
	v_cmp_ne_u16_e32 vcc_lo, 0, v6
	v_cndmask_b32_e64 v6, 0, 1.0, vcc_lo
	s_delay_alu instid0(VALU_DEP_1)
	v_lshrrev_b32_e32 v6, 16, v6
	s_branch .LBB153_212
.LBB153_211:
	s_mov_b32 s3, -1
                                        ; implicit-def: $vgpr6
.LBB153_212:
	s_branch .LBB153_23
.LBB153_213:
	v_cmp_gt_i16_e32 vcc_lo, 5, v4
	s_cbranch_vccnz .LBB153_218
; %bb.214:
	v_cmp_gt_i16_e32 vcc_lo, 8, v4
	s_cbranch_vccnz .LBB153_219
; %bb.215:
	;; [unrolled: 3-line block ×3, first 2 shown]
	v_cmp_lt_i16_e32 vcc_lo, 9, v4
	s_cbranch_vccz .LBB153_221
; %bb.217:
	global_load_b64 v[6:7], v[1:2], off
	s_mov_b32 s2, 0
	s_waitcnt vmcnt(0)
	v_cvt_f32_f64_e32 v6, v[6:7]
	s_delay_alu instid0(VALU_DEP_1) | instskip(SKIP_1) | instid1(VALU_DEP_2)
	v_bfe_u32 v7, v6, 16, 1
	v_cmp_o_f32_e32 vcc_lo, v6, v6
	v_add3_u32 v7, v6, v7, 0x7fff
	s_delay_alu instid0(VALU_DEP_1) | instskip(NEXT) | instid1(VALU_DEP_1)
	v_lshrrev_b32_e32 v7, 16, v7
	v_cndmask_b32_e32 v6, 0x7fc0, v7, vcc_lo
	s_branch .LBB153_222
.LBB153_218:
                                        ; implicit-def: $vgpr6
	s_branch .LBB153_240
.LBB153_219:
	s_mov_b32 s2, -1
                                        ; implicit-def: $vgpr6
	s_branch .LBB153_228
.LBB153_220:
	s_mov_b32 s2, -1
                                        ; implicit-def: $vgpr6
	s_branch .LBB153_225
.LBB153_221:
	s_mov_b32 s2, -1
                                        ; implicit-def: $vgpr6
.LBB153_222:
	s_delay_alu instid0(SALU_CYCLE_1)
	s_and_not1_b32 vcc_lo, exec_lo, s2
	s_cbranch_vccnz .LBB153_224
; %bb.223:
	global_load_b32 v6, v[1:2], off
	s_waitcnt vmcnt(0)
	v_bfe_u32 v7, v6, 16, 1
	v_cmp_o_f32_e32 vcc_lo, v6, v6
	s_delay_alu instid0(VALU_DEP_2) | instskip(NEXT) | instid1(VALU_DEP_1)
	v_add3_u32 v7, v6, v7, 0x7fff
	v_lshrrev_b32_e32 v7, 16, v7
	s_delay_alu instid0(VALU_DEP_1)
	v_cndmask_b32_e32 v6, 0x7fc0, v7, vcc_lo
.LBB153_224:
	s_mov_b32 s2, 0
.LBB153_225:
	s_delay_alu instid0(SALU_CYCLE_1)
	s_and_not1_b32 vcc_lo, exec_lo, s2
	s_cbranch_vccnz .LBB153_227
; %bb.226:
	global_load_b32 v6, v[1:2], off
	s_waitcnt vmcnt(0)
	v_cvt_f32_f16_e32 v7, v6
	v_cmp_o_f16_e32 vcc_lo, v6, v6
	s_delay_alu instid0(VALU_DEP_2) | instskip(NEXT) | instid1(VALU_DEP_1)
	v_bfe_u32 v8, v7, 16, 1
	v_add3_u32 v7, v7, v8, 0x7fff
	s_delay_alu instid0(VALU_DEP_1) | instskip(NEXT) | instid1(VALU_DEP_1)
	v_lshrrev_b32_e32 v7, 16, v7
	v_cndmask_b32_e32 v6, 0x7fc0, v7, vcc_lo
.LBB153_227:
	s_mov_b32 s2, 0
.LBB153_228:
	s_delay_alu instid0(SALU_CYCLE_1)
	s_and_not1_b32 vcc_lo, exec_lo, s2
	s_cbranch_vccnz .LBB153_239
; %bb.229:
	v_cmp_gt_i16_e32 vcc_lo, 6, v4
	s_cbranch_vccnz .LBB153_232
; %bb.230:
	v_cmp_lt_i16_e32 vcc_lo, 6, v4
	s_cbranch_vccz .LBB153_233
; %bb.231:
	global_load_b64 v[6:7], v[1:2], off
	s_mov_b32 s2, 0
	s_waitcnt vmcnt(0)
	v_cvt_f32_f64_e32 v6, v[6:7]
	s_delay_alu instid0(VALU_DEP_1) | instskip(SKIP_1) | instid1(VALU_DEP_2)
	v_bfe_u32 v7, v6, 16, 1
	v_cmp_o_f32_e32 vcc_lo, v6, v6
	v_add3_u32 v7, v6, v7, 0x7fff
	s_delay_alu instid0(VALU_DEP_1) | instskip(NEXT) | instid1(VALU_DEP_1)
	v_lshrrev_b32_e32 v7, 16, v7
	v_cndmask_b32_e32 v6, 0x7fc0, v7, vcc_lo
	s_branch .LBB153_234
.LBB153_232:
	s_mov_b32 s2, -1
                                        ; implicit-def: $vgpr6
	s_branch .LBB153_237
.LBB153_233:
	s_mov_b32 s2, -1
                                        ; implicit-def: $vgpr6
.LBB153_234:
	s_delay_alu instid0(SALU_CYCLE_1)
	s_and_not1_b32 vcc_lo, exec_lo, s2
	s_cbranch_vccnz .LBB153_236
; %bb.235:
	global_load_b32 v6, v[1:2], off
	s_waitcnt vmcnt(0)
	v_bfe_u32 v7, v6, 16, 1
	v_cmp_o_f32_e32 vcc_lo, v6, v6
	s_delay_alu instid0(VALU_DEP_2) | instskip(NEXT) | instid1(VALU_DEP_1)
	v_add3_u32 v7, v6, v7, 0x7fff
	v_lshrrev_b32_e32 v7, 16, v7
	s_delay_alu instid0(VALU_DEP_1)
	v_cndmask_b32_e32 v6, 0x7fc0, v7, vcc_lo
.LBB153_236:
	s_mov_b32 s2, 0
.LBB153_237:
	s_delay_alu instid0(SALU_CYCLE_1)
	s_and_not1_b32 vcc_lo, exec_lo, s2
	s_cbranch_vccnz .LBB153_239
; %bb.238:
	global_load_u16 v6, v[1:2], off
	s_waitcnt vmcnt(0)
	v_cvt_f32_f16_e32 v7, v6
	v_cmp_o_f16_e32 vcc_lo, v6, v6
	s_delay_alu instid0(VALU_DEP_2) | instskip(NEXT) | instid1(VALU_DEP_1)
	v_bfe_u32 v8, v7, 16, 1
	v_add3_u32 v7, v7, v8, 0x7fff
	s_delay_alu instid0(VALU_DEP_1) | instskip(NEXT) | instid1(VALU_DEP_1)
	v_lshrrev_b32_e32 v7, 16, v7
	v_cndmask_b32_e32 v6, 0x7fc0, v7, vcc_lo
.LBB153_239:
	s_cbranch_execnz .LBB153_259
.LBB153_240:
	v_cmp_gt_i16_e32 vcc_lo, 2, v4
	s_cbranch_vccnz .LBB153_244
; %bb.241:
	v_cmp_gt_i16_e32 vcc_lo, 3, v4
	s_cbranch_vccnz .LBB153_245
; %bb.242:
	v_cmp_lt_i16_e32 vcc_lo, 3, v4
	s_cbranch_vccz .LBB153_246
; %bb.243:
	global_load_b64 v[6:7], v[1:2], off
	s_mov_b32 s2, 0
	s_waitcnt vmcnt(0)
	v_xor_b32_e32 v8, v6, v7
	v_cls_i32_e32 v9, v7
	s_delay_alu instid0(VALU_DEP_2) | instskip(NEXT) | instid1(VALU_DEP_2)
	v_ashrrev_i32_e32 v8, 31, v8
	v_add_nc_u32_e32 v9, -1, v9
	s_delay_alu instid0(VALU_DEP_2) | instskip(NEXT) | instid1(VALU_DEP_1)
	v_add_nc_u32_e32 v8, 32, v8
	v_min_u32_e32 v8, v9, v8
	s_delay_alu instid0(VALU_DEP_1) | instskip(NEXT) | instid1(VALU_DEP_1)
	v_lshlrev_b64 v[6:7], v8, v[6:7]
	v_min_u32_e32 v6, 1, v6
	s_delay_alu instid0(VALU_DEP_1) | instskip(SKIP_1) | instid1(VALU_DEP_2)
	v_or_b32_e32 v6, v7, v6
	v_sub_nc_u32_e32 v7, 32, v8
	v_cvt_f32_i32_e32 v6, v6
	s_delay_alu instid0(VALU_DEP_1) | instskip(NEXT) | instid1(VALU_DEP_1)
	v_ldexp_f32 v6, v6, v7
	v_bfe_u32 v7, v6, 16, 1
	s_delay_alu instid0(VALU_DEP_1) | instskip(NEXT) | instid1(VALU_DEP_1)
	v_add3_u32 v6, v6, v7, 0x7fff
	v_lshrrev_b32_e32 v6, 16, v6
	s_branch .LBB153_247
.LBB153_244:
	s_mov_b32 s2, -1
                                        ; implicit-def: $vgpr6
	s_branch .LBB153_253
.LBB153_245:
	s_mov_b32 s2, -1
                                        ; implicit-def: $vgpr6
	s_branch .LBB153_250
.LBB153_246:
	s_mov_b32 s2, -1
                                        ; implicit-def: $vgpr6
.LBB153_247:
	s_delay_alu instid0(SALU_CYCLE_1)
	s_and_not1_b32 vcc_lo, exec_lo, s2
	s_cbranch_vccnz .LBB153_249
; %bb.248:
	global_load_b32 v6, v[1:2], off
	s_waitcnt vmcnt(0)
	v_cvt_f32_i32_e32 v6, v6
	s_delay_alu instid0(VALU_DEP_1) | instskip(NEXT) | instid1(VALU_DEP_1)
	v_bfe_u32 v7, v6, 16, 1
	v_add3_u32 v6, v6, v7, 0x7fff
	s_delay_alu instid0(VALU_DEP_1)
	v_lshrrev_b32_e32 v6, 16, v6
.LBB153_249:
	s_mov_b32 s2, 0
.LBB153_250:
	s_delay_alu instid0(SALU_CYCLE_1)
	s_and_not1_b32 vcc_lo, exec_lo, s2
	s_cbranch_vccnz .LBB153_252
; %bb.251:
	global_load_i16 v6, v[1:2], off
	s_waitcnt vmcnt(0)
	v_cvt_f32_i32_e32 v6, v6
	s_delay_alu instid0(VALU_DEP_1) | instskip(NEXT) | instid1(VALU_DEP_1)
	v_bfe_u32 v7, v6, 16, 1
	v_add3_u32 v6, v6, v7, 0x7fff
	s_delay_alu instid0(VALU_DEP_1)
	v_lshrrev_b32_e32 v6, 16, v6
.LBB153_252:
	s_mov_b32 s2, 0
.LBB153_253:
	s_delay_alu instid0(SALU_CYCLE_1)
	s_and_not1_b32 vcc_lo, exec_lo, s2
	s_cbranch_vccnz .LBB153_259
; %bb.254:
	v_cmp_lt_i16_e32 vcc_lo, 0, v4
	s_mov_b32 s2, 0
	s_cbranch_vccz .LBB153_256
; %bb.255:
	global_load_i8 v6, v[1:2], off
	s_waitcnt vmcnt(0)
	v_cvt_f32_i32_e32 v6, v6
	s_delay_alu instid0(VALU_DEP_1) | instskip(NEXT) | instid1(VALU_DEP_1)
	v_bfe_u32 v7, v6, 16, 1
	v_add3_u32 v6, v6, v7, 0x7fff
	s_delay_alu instid0(VALU_DEP_1)
	v_lshrrev_b32_e32 v6, 16, v6
	s_branch .LBB153_257
.LBB153_256:
	s_mov_b32 s2, -1
                                        ; implicit-def: $vgpr6
.LBB153_257:
	s_delay_alu instid0(SALU_CYCLE_1)
	s_and_not1_b32 vcc_lo, exec_lo, s2
	s_cbranch_vccnz .LBB153_259
; %bb.258:
	global_load_u8 v1, v[1:2], off
	s_waitcnt vmcnt(0)
	v_cvt_f32_ubyte0_e32 v1, v1
	s_delay_alu instid0(VALU_DEP_1) | instskip(NEXT) | instid1(VALU_DEP_1)
	v_bfe_u32 v2, v1, 16, 1
	v_add3_u32 v1, v1, v2, 0x7fff
	s_delay_alu instid0(VALU_DEP_1)
	v_lshrrev_b32_e32 v6, 16, v1
.LBB153_259:
	s_branch .LBB153_24
.LBB153_260:
	s_mov_b32 s22, 0
.LBB153_261:
	s_mov_b32 s2, 0
                                        ; implicit-def: $vgpr5
.LBB153_262:
	s_and_b32 s34, s22, exec_lo
	s_and_b32 s35, s3, exec_lo
	s_or_not1_b32 s3, s2, exec_lo
.LBB153_263:
	s_or_b32 exec_lo, exec_lo, s36
	s_mov_b32 s22, 0
	s_mov_b32 s2, 0
                                        ; implicit-def: $vgpr1_vgpr2
                                        ; implicit-def: $vgpr0
                                        ; implicit-def: $vgpr6
	s_and_saveexec_b32 s36, s3
	s_cbranch_execz .LBB153_906
; %bb.264:
	s_mov_b32 s2, -1
	s_mov_b32 s37, s35
	s_mov_b32 s38, s34
	s_mov_b32 s39, exec_lo
	v_cmpx_gt_i32_e64 s30, v5
	s_cbranch_execz .LBB153_533
; %bb.265:
	s_and_not1_b32 vcc_lo, exec_lo, s27
	s_cbranch_vccnz .LBB153_270
; %bb.266:
	v_dual_mov_b32 v0, 0 :: v_dual_mov_b32 v1, 0
	s_and_not1_b32 vcc_lo, exec_lo, s33
	s_mov_b32 s37, 0
	s_cbranch_vccnz .LBB153_275
; %bb.267:
	v_mov_b32_e32 v0, 0
	s_add_i32 s40, s31, 1
	s_cmp_eq_u32 s25, 2
	s_mov_b32 s38, 0
	s_cbranch_scc1 .LBB153_271
; %bb.268:
	v_dual_mov_b32 v1, 0 :: v_dual_mov_b32 v0, 0
	v_mov_b32_e32 v2, v5
	s_and_b32 s38, s40, 28
	s_mov_b32 s41, 0
	s_mov_b64 s[2:3], s[20:21]
	s_mov_b64 s[22:23], s[16:17]
.LBB153_269:                            ; =>This Inner Loop Header: Depth=1
	s_clause 0x1
	s_load_b256 s[44:51], s[22:23], 0x4
	s_load_b128 s[60:63], s[22:23], 0x24
	s_load_b256 s[52:59], s[2:3], 0x0
	s_add_u32 s22, s22, 48
	s_addc_u32 s23, s23, 0
	s_add_i32 s41, s41, 4
	s_add_u32 s2, s2, 32
	s_addc_u32 s3, s3, 0
	s_cmp_eq_u32 s38, s41
	s_waitcnt vmcnt(0) lgkmcnt(0)
	v_mul_hi_u32 v6, s45, v2
	s_delay_alu instid0(VALU_DEP_1) | instskip(NEXT) | instid1(VALU_DEP_1)
	v_add_nc_u32_e32 v6, v2, v6
	v_lshrrev_b32_e32 v6, s46, v6
	s_delay_alu instid0(VALU_DEP_1) | instskip(SKIP_1) | instid1(VALU_DEP_2)
	v_mul_hi_u32 v7, s48, v6
	v_mul_lo_u32 v9, v6, s44
	v_add_nc_u32_e32 v7, v6, v7
	s_delay_alu instid0(VALU_DEP_2) | instskip(NEXT) | instid1(VALU_DEP_2)
	v_sub_nc_u32_e32 v2, v2, v9
	v_lshrrev_b32_e32 v7, s49, v7
	s_delay_alu instid0(VALU_DEP_2) | instskip(SKIP_1) | instid1(VALU_DEP_3)
	v_mul_lo_u32 v9, v2, s52
	v_mul_lo_u32 v11, v2, s53
	v_mul_hi_u32 v8, s51, v7
	s_delay_alu instid0(VALU_DEP_1) | instskip(NEXT) | instid1(VALU_DEP_1)
	v_add_nc_u32_e32 v8, v7, v8
	v_lshrrev_b32_e32 v8, s60, v8
	s_delay_alu instid0(VALU_DEP_1) | instskip(SKIP_1) | instid1(VALU_DEP_2)
	v_mul_hi_u32 v10, s62, v8
	v_mul_lo_u32 v12, v8, s50
	v_add_nc_u32_e32 v2, v8, v10
	v_mul_lo_u32 v10, v7, s47
	s_delay_alu instid0(VALU_DEP_3) | instskip(NEXT) | instid1(VALU_DEP_3)
	v_sub_nc_u32_e32 v7, v7, v12
	v_lshrrev_b32_e32 v2, s63, v2
	s_delay_alu instid0(VALU_DEP_2) | instskip(SKIP_2) | instid1(VALU_DEP_4)
	v_mul_lo_u32 v12, v7, s56
	v_mul_lo_u32 v7, v7, s57
	v_sub_nc_u32_e32 v6, v6, v10
	v_mul_lo_u32 v13, v2, s61
	s_delay_alu instid0(VALU_DEP_2) | instskip(SKIP_1) | instid1(VALU_DEP_3)
	v_mul_lo_u32 v10, v6, s54
	v_mul_lo_u32 v6, v6, s55
	v_sub_nc_u32_e32 v8, v8, v13
	s_delay_alu instid0(VALU_DEP_3) | instskip(NEXT) | instid1(VALU_DEP_2)
	v_add3_u32 v0, v9, v0, v10
	v_mul_lo_u32 v13, v8, s58
	v_mul_lo_u32 v8, v8, s59
	v_add3_u32 v1, v11, v1, v6
	s_delay_alu instid0(VALU_DEP_3) | instskip(NEXT) | instid1(VALU_DEP_2)
	v_add3_u32 v0, v12, v0, v13
	v_add3_u32 v1, v7, v1, v8
	s_cbranch_scc0 .LBB153_269
	s_branch .LBB153_272
.LBB153_270:
	s_mov_b32 s37, -1
                                        ; implicit-def: $vgpr0
                                        ; implicit-def: $vgpr1
	s_branch .LBB153_275
.LBB153_271:
	v_dual_mov_b32 v2, v5 :: v_dual_mov_b32 v1, 0
.LBB153_272:
	s_and_b32 s40, s40, 3
	s_delay_alu instid0(SALU_CYCLE_1)
	s_cmp_eq_u32 s40, 0
	s_cbranch_scc1 .LBB153_275
; %bb.273:
	s_lshl_b32 s2, s38, 3
	s_mul_i32 s22, s38, 12
	s_add_u32 s2, s2, s16
	s_addc_u32 s3, s17, 0
	s_add_u32 s2, s2, 0xc4
	s_addc_u32 s3, s3, 0
	;; [unrolled: 2-line block ×3, first 2 shown]
	.p2align	6
.LBB153_274:                            ; =>This Inner Loop Header: Depth=1
	s_clause 0x1
	s_load_b64 s[42:43], s[22:23], 0x4
	s_load_b32 s38, s[22:23], 0xc
	s_load_b64 s[44:45], s[2:3], 0x0
	s_add_u32 s22, s22, 12
	s_addc_u32 s23, s23, 0
	s_add_u32 s2, s2, 8
	s_addc_u32 s3, s3, 0
	s_add_i32 s40, s40, -1
	s_delay_alu instid0(SALU_CYCLE_1) | instskip(SKIP_2) | instid1(VALU_DEP_1)
	s_cmp_lg_u32 s40, 0
	s_waitcnt vmcnt(0) lgkmcnt(0)
	v_mul_hi_u32 v6, s43, v2
	v_add_nc_u32_e32 v6, v2, v6
	s_delay_alu instid0(VALU_DEP_1) | instskip(NEXT) | instid1(VALU_DEP_1)
	v_lshrrev_b32_e32 v9, s38, v6
	v_mul_lo_u32 v6, v9, s42
	s_delay_alu instid0(VALU_DEP_1) | instskip(NEXT) | instid1(VALU_DEP_1)
	v_sub_nc_u32_e32 v2, v2, v6
	v_mad_u64_u32 v[6:7], null, v2, s44, v[0:1]
	v_mad_u64_u32 v[7:8], null, v2, s45, v[1:2]
	v_mov_b32_e32 v2, v9
	s_delay_alu instid0(VALU_DEP_2)
	v_dual_mov_b32 v0, v6 :: v_dual_mov_b32 v1, v7
	s_cbranch_scc1 .LBB153_274
.LBB153_275:
	s_and_not1_b32 vcc_lo, exec_lo, s37
	s_cbranch_vccnz .LBB153_278
; %bb.276:
	s_waitcnt lgkmcnt(0)
	v_mul_hi_u32 v0, s13, v5
	s_and_not1_b32 vcc_lo, exec_lo, s29
	s_delay_alu instid0(VALU_DEP_1) | instskip(NEXT) | instid1(VALU_DEP_1)
	v_add_nc_u32_e32 v0, v5, v0
	v_lshrrev_b32_e32 v2, s14, v0
	s_delay_alu instid0(VALU_DEP_1) | instskip(NEXT) | instid1(VALU_DEP_1)
	v_mul_lo_u32 v0, v2, s12
	v_sub_nc_u32_e32 v1, v5, v0
	s_delay_alu instid0(VALU_DEP_1)
	v_mul_lo_u32 v0, v1, s8
	v_mul_lo_u32 v1, v1, s9
	s_cbranch_vccnz .LBB153_278
; %bb.277:
	s_waitcnt vmcnt(0)
	v_mul_hi_u32 v6, s18, v2
	s_delay_alu instid0(VALU_DEP_1) | instskip(NEXT) | instid1(VALU_DEP_1)
	v_add_nc_u32_e32 v6, v2, v6
	v_lshrrev_b32_e32 v6, s19, v6
	s_delay_alu instid0(VALU_DEP_1) | instskip(NEXT) | instid1(VALU_DEP_1)
	v_mul_lo_u32 v6, v6, s15
	v_sub_nc_u32_e32 v2, v2, v6
	s_delay_alu instid0(VALU_DEP_1) | instskip(SKIP_1) | instid1(VALU_DEP_1)
	v_mad_u64_u32 v[6:7], null, v2, s10, v[0:1]
	v_mad_u64_u32 v[7:8], null, v2, s11, v[1:2]
	v_dual_mov_b32 v0, v6 :: v_dual_mov_b32 v1, v7
.LBB153_278:
	v_cmp_gt_i16_e32 vcc_lo, 11, v4
	s_waitcnt lgkmcnt(0)
	s_delay_alu instid0(VALU_DEP_2) | instskip(NEXT) | instid1(VALU_DEP_1)
	v_add_co_u32 v1, s2, s6, v1
	v_add_co_ci_u32_e64 v2, null, s7, 0, s2
	s_mov_b32 s2, 0
	s_cbranch_vccnz .LBB153_285
; %bb.279:
	v_cmp_lt_i16_e32 vcc_lo, 25, v4
	s_cbranch_vccz .LBB153_334
; %bb.280:
	v_cmp_lt_i16_e32 vcc_lo, 28, v4
	s_cbranch_vccz .LBB153_335
	;; [unrolled: 3-line block ×4, first 2 shown]
; %bb.283:
	v_cmp_eq_u16_e32 vcc_lo, 46, v4
	s_mov_b32 s22, 0
	s_cbranch_vccz .LBB153_343
; %bb.284:
	global_load_b32 v6, v[1:2], off
	s_mov_b32 s2, -1
	s_mov_b32 s3, 0
	s_branch .LBB153_345
.LBB153_285:
	s_mov_b32 s3, s35
                                        ; implicit-def: $vgpr6
	s_cbranch_execnz .LBB153_482
.LBB153_286:
	s_and_not1_b32 vcc_lo, exec_lo, s2
	s_cbranch_vccnz .LBB153_530
.LBB153_287:
	s_waitcnt vmcnt(0)
	s_delay_alu instid0(VALU_DEP_1) | instskip(SKIP_3) | instid1(VALU_DEP_1)
	v_lshlrev_b32_e32 v1, 16, v6
	s_mov_b32 s2, 0x395133b1
	s_mov_b32 s22, 0
	s_mov_b32 s23, -1
	v_mul_f32_e32 v2, 0x3fb8aa3b, v1
	s_delay_alu instid0(VALU_DEP_1) | instskip(NEXT) | instid1(VALU_DEP_1)
	v_rndne_f32_e32 v2, v2
	v_fmamk_f32 v6, v2, 0xbf317218, v1
	v_cvt_i32_f32_e32 v8, v2
	v_cmp_eq_f32_e32 vcc_lo, 0x43000000, v2
	s_delay_alu instid0(VALU_DEP_3) | instskip(NEXT) | instid1(VALU_DEP_3)
	v_fmamk_f32 v6, v2, 0x3102e308, v6
	v_cndmask_b32_e64 v2, v8, 0x7f, vcc_lo
	s_delay_alu instid0(VALU_DEP_2) | instskip(SKIP_1) | instid1(VALU_DEP_3)
	v_fmaak_f32 v7, s2, v6, 0x3ab69700
	v_add_co_u32 v0, s2, s4, v0
	v_ldexp_f32 v2, 1.0, v2
	s_delay_alu instid0(VALU_DEP_1) | instskip(NEXT) | instid1(VALU_DEP_1)
	v_dual_fmaak_f32 v7, v6, v7, 0x3c0887f9 :: v_dual_add_f32 v8, -1.0, v2
	v_fmaak_f32 v7, v6, v7, 0x3d2aaa81
	s_delay_alu instid0(VALU_DEP_1) | instskip(NEXT) | instid1(VALU_DEP_1)
	v_fmaak_f32 v7, v6, v7, 0x3e2aaaab
	v_fma_f32 v7, v6, v7, 0.5
	s_delay_alu instid0(VALU_DEP_1) | instskip(NEXT) | instid1(VALU_DEP_1)
	v_mul_f32_e32 v7, v6, v7
	v_fmac_f32_e32 v6, v6, v7
	s_delay_alu instid0(VALU_DEP_1) | instskip(SKIP_1) | instid1(VALU_DEP_2)
	v_fmac_f32_e32 v8, v2, v6
	v_and_b32_e32 v6, 0xff, v3
	v_add_f32_e32 v2, v8, v8
	s_delay_alu instid0(VALU_DEP_1) | instskip(SKIP_1) | instid1(VALU_DEP_2)
	v_cndmask_b32_e32 v2, v8, v2, vcc_lo
	v_cmp_nlt_f32_e32 vcc_lo, 0x42b17217, v1
	v_cndmask_b32_e32 v2, 0x7f800000, v2, vcc_lo
	v_cmp_ngt_f32_e32 vcc_lo, 0xc1880000, v1
	s_delay_alu instid0(VALU_DEP_2) | instskip(SKIP_1) | instid1(VALU_DEP_2)
	v_cndmask_b32_e32 v2, -1.0, v2, vcc_lo
	v_cmp_gt_i16_e32 vcc_lo, 11, v6
	v_bfe_u32 v1, v2, 16, 1
	s_and_b32 vcc_lo, exec_lo, vcc_lo
	s_delay_alu instid0(VALU_DEP_1) | instskip(NEXT) | instid1(VALU_DEP_1)
	v_add3_u32 v1, v2, v1, 0x7fff
	v_lshrrev_b32_e32 v7, 16, v1
	v_add_co_ci_u32_e64 v1, null, s5, 0, s2
	v_cmp_o_f32_e64 s2, v2, v2
	s_delay_alu instid0(VALU_DEP_1)
	v_cndmask_b32_e64 v2, 0x7fc0, v7, s2
	s_mov_b32 s2, s34
	s_cbranch_vccnz .LBB153_294
; %bb.288:
	v_cmp_lt_i16_e32 vcc_lo, 25, v6
	s_cbranch_vccz .LBB153_336
; %bb.289:
	v_cmp_lt_i16_e32 vcc_lo, 28, v6
	s_cbranch_vccz .LBB153_338
	;; [unrolled: 3-line block ×4, first 2 shown]
; %bb.292:
	v_cmp_eq_u16_e32 vcc_lo, 46, v6
	s_mov_b32 s23, 0
	s_mov_b32 s2, -1
	s_cbranch_vccz .LBB153_349
; %bb.293:
	v_and_b32_e32 v7, 0xffff, v2
	s_mov_b32 s22, -1
	s_mov_b32 s2, 0
	global_store_b32 v[0:1], v7, off
	s_branch .LBB153_349
.LBB153_294:
	s_and_b32 vcc_lo, exec_lo, s23
	s_cbranch_vccz .LBB153_418
; %bb.295:
	v_cmp_gt_i16_e32 vcc_lo, 5, v6
	s_mov_b32 s22, -1
	s_cbranch_vccnz .LBB153_316
; %bb.296:
	v_cmp_gt_i16_e32 vcc_lo, 8, v6
	s_cbranch_vccnz .LBB153_306
; %bb.297:
	v_cmp_gt_i16_e32 vcc_lo, 9, v6
	s_cbranch_vccnz .LBB153_303
; %bb.298:
	v_cmp_lt_i16_e32 vcc_lo, 9, v6
	s_cbranch_vccz .LBB153_300
; %bb.299:
	v_mov_b32_e32 v9, 0
	v_lshlrev_b32_e32 v7, 16, v2
	s_mov_b32 s22, 0
	s_delay_alu instid0(VALU_DEP_2) | instskip(NEXT) | instid1(VALU_DEP_2)
	v_mov_b32_e32 v10, v9
	v_cvt_f64_f32_e32 v[7:8], v7
	global_store_b128 v[0:1], v[7:10], off
.LBB153_300:
	s_and_not1_b32 vcc_lo, exec_lo, s22
	s_cbranch_vccnz .LBB153_302
; %bb.301:
	v_dual_mov_b32 v8, 0 :: v_dual_lshlrev_b32 v7, 16, v2
	global_store_b64 v[0:1], v[7:8], off
.LBB153_302:
	s_mov_b32 s22, 0
.LBB153_303:
	s_delay_alu instid0(SALU_CYCLE_1)
	s_and_not1_b32 vcc_lo, exec_lo, s22
	s_cbranch_vccnz .LBB153_305
; %bb.304:
	v_lshlrev_b32_e32 v7, 16, v2
	s_delay_alu instid0(VALU_DEP_1) | instskip(NEXT) | instid1(VALU_DEP_1)
	v_cvt_f16_f32_e32 v7, v7
	v_and_b32_e32 v7, 0xffff, v7
	global_store_b32 v[0:1], v7, off
.LBB153_305:
	s_mov_b32 s22, 0
.LBB153_306:
	s_delay_alu instid0(SALU_CYCLE_1)
	s_and_not1_b32 vcc_lo, exec_lo, s22
	s_cbranch_vccnz .LBB153_315
; %bb.307:
	v_cmp_gt_i16_e32 vcc_lo, 6, v6
	s_mov_b32 s22, -1
	s_cbranch_vccnz .LBB153_313
; %bb.308:
	v_cmp_lt_i16_e32 vcc_lo, 6, v6
	s_cbranch_vccz .LBB153_310
; %bb.309:
	v_lshlrev_b32_e32 v7, 16, v2
	s_mov_b32 s22, 0
	s_delay_alu instid0(VALU_DEP_1)
	v_cvt_f64_f32_e32 v[7:8], v7
	global_store_b64 v[0:1], v[7:8], off
.LBB153_310:
	s_and_not1_b32 vcc_lo, exec_lo, s22
	s_cbranch_vccnz .LBB153_312
; %bb.311:
	v_lshlrev_b32_e32 v7, 16, v2
	global_store_b32 v[0:1], v7, off
.LBB153_312:
	s_mov_b32 s22, 0
.LBB153_313:
	s_delay_alu instid0(SALU_CYCLE_1)
	s_and_not1_b32 vcc_lo, exec_lo, s22
	s_cbranch_vccnz .LBB153_315
; %bb.314:
	v_lshlrev_b32_e32 v7, 16, v2
	s_delay_alu instid0(VALU_DEP_1)
	v_cvt_f16_f32_e32 v7, v7
	global_store_b16 v[0:1], v7, off
.LBB153_315:
	s_mov_b32 s22, 0
.LBB153_316:
	s_delay_alu instid0(SALU_CYCLE_1)
	s_and_not1_b32 vcc_lo, exec_lo, s22
	s_cbranch_vccnz .LBB153_332
; %bb.317:
	v_cmp_gt_i16_e32 vcc_lo, 2, v6
	s_mov_b32 s22, -1
	s_cbranch_vccnz .LBB153_327
; %bb.318:
	v_cmp_gt_i16_e32 vcc_lo, 3, v6
	s_cbranch_vccnz .LBB153_324
; %bb.319:
	v_cmp_lt_i16_e32 vcc_lo, 3, v6
	s_cbranch_vccz .LBB153_321
; %bb.320:
	v_lshlrev_b32_e32 v7, 16, v2
	s_mov_b32 s22, 0
	s_delay_alu instid0(VALU_DEP_1) | instskip(NEXT) | instid1(VALU_DEP_1)
	v_trunc_f32_e32 v7, v7
	v_mul_f32_e64 v8, 0x2f800000, |v7|
	v_ashrrev_i32_e32 v10, 31, v7
	s_delay_alu instid0(VALU_DEP_2) | instskip(NEXT) | instid1(VALU_DEP_1)
	v_floor_f32_e32 v8, v8
	v_fma_f32 v9, 0xcf800000, v8, |v7|
	v_cvt_u32_f32_e32 v8, v8
	s_delay_alu instid0(VALU_DEP_2) | instskip(NEXT) | instid1(VALU_DEP_2)
	v_cvt_u32_f32_e32 v7, v9
	v_xor_b32_e32 v8, v8, v10
	s_delay_alu instid0(VALU_DEP_2) | instskip(NEXT) | instid1(VALU_DEP_1)
	v_xor_b32_e32 v7, v7, v10
	v_sub_co_u32 v7, vcc_lo, v7, v10
	s_delay_alu instid0(VALU_DEP_3)
	v_sub_co_ci_u32_e32 v8, vcc_lo, v8, v10, vcc_lo
	global_store_b64 v[0:1], v[7:8], off
.LBB153_321:
	s_and_not1_b32 vcc_lo, exec_lo, s22
	s_cbranch_vccnz .LBB153_323
; %bb.322:
	v_lshlrev_b32_e32 v7, 16, v2
	s_delay_alu instid0(VALU_DEP_1)
	v_cvt_i32_f32_e32 v7, v7
	global_store_b32 v[0:1], v7, off
.LBB153_323:
	s_mov_b32 s22, 0
.LBB153_324:
	s_delay_alu instid0(SALU_CYCLE_1)
	s_and_not1_b32 vcc_lo, exec_lo, s22
	s_cbranch_vccnz .LBB153_326
; %bb.325:
	v_lshlrev_b32_e32 v7, 16, v2
	s_delay_alu instid0(VALU_DEP_1)
	v_cvt_i32_f32_e32 v7, v7
	global_store_b16 v[0:1], v7, off
.LBB153_326:
	s_mov_b32 s22, 0
.LBB153_327:
	s_delay_alu instid0(SALU_CYCLE_1)
	s_and_not1_b32 vcc_lo, exec_lo, s22
	s_cbranch_vccnz .LBB153_332
; %bb.328:
	v_cmp_lt_i16_e32 vcc_lo, 0, v6
	s_mov_b32 s22, -1
	s_cbranch_vccz .LBB153_330
; %bb.329:
	v_lshlrev_b32_e32 v6, 16, v2
	s_mov_b32 s22, 0
	s_delay_alu instid0(VALU_DEP_1)
	v_cvt_i32_f32_e32 v6, v6
	global_store_b8 v[0:1], v6, off
.LBB153_330:
	s_and_not1_b32 vcc_lo, exec_lo, s22
	s_cbranch_vccnz .LBB153_332
; %bb.331:
	v_lshlrev_b32_e32 v2, 16, v2
	s_delay_alu instid0(VALU_DEP_1) | instskip(NEXT) | instid1(VALU_DEP_1)
	v_trunc_f32_e32 v2, v2
	v_mul_f32_e64 v6, 0x2f800000, |v2|
	s_delay_alu instid0(VALU_DEP_1) | instskip(NEXT) | instid1(VALU_DEP_1)
	v_floor_f32_e32 v6, v6
	v_fma_f32 v6, 0xcf800000, v6, |v2|
	v_ashrrev_i32_e32 v2, 31, v2
	s_delay_alu instid0(VALU_DEP_2) | instskip(NEXT) | instid1(VALU_DEP_1)
	v_cvt_u32_f32_e32 v6, v6
	v_xor_b32_e32 v6, v6, v2
	s_delay_alu instid0(VALU_DEP_1)
	v_sub_nc_u32_e32 v2, v6, v2
	global_store_b8 v[0:1], v2, off
.LBB153_332:
	s_branch .LBB153_419
.LBB153_333:
	s_mov_b32 s22, 0
	s_branch .LBB153_531
.LBB153_334:
	s_mov_b32 s22, -1
	s_mov_b32 s3, s35
                                        ; implicit-def: $vgpr6
	s_branch .LBB153_446
.LBB153_335:
	s_mov_b32 s22, -1
	s_mov_b32 s3, s35
                                        ; implicit-def: $vgpr6
	s_branch .LBB153_427
.LBB153_336:
	s_mov_b32 s2, s34
	s_branch .LBB153_376
.LBB153_337:
	s_mov_b32 s22, -1
	s_mov_b32 s3, s35
                                        ; implicit-def: $vgpr6
	s_branch .LBB153_422
.LBB153_338:
	s_mov_b32 s2, s34
	s_branch .LBB153_359
.LBB153_339:
	s_mov_b32 s22, -1
	s_mov_b32 s3, s35
	s_branch .LBB153_344
.LBB153_340:
	s_mov_b32 s2, s34
	s_branch .LBB153_355
.LBB153_341:
	s_or_saveexec_b32 s34, s34
                                        ; implicit-def: $sgpr35
	s_delay_alu instid0(SALU_CYCLE_1)
	s_xor_b32 exec_lo, exec_lo, s34
	s_cbranch_execz .LBB153_65
.LBB153_342:
	v_add_f32_e64 v8, 0x42800000, |v9|
	s_and_not1_b32 s23, s23, exec_lo
	s_mov_b32 s35, 0
	s_delay_alu instid0(VALU_DEP_1) | instskip(NEXT) | instid1(VALU_DEP_1)
	v_and_b32_e32 v8, 0xff, v8
	v_cmp_ne_u32_e32 vcc_lo, 0, v8
	s_and_b32 s38, vcc_lo, exec_lo
	s_delay_alu instid0(SALU_CYCLE_1)
	s_or_b32 s23, s23, s38
	s_or_b32 exec_lo, exec_lo, s34
	v_mov_b32_e32 v10, s35
	s_and_saveexec_b32 s34, s23
	s_cbranch_execnz .LBB153_66
	s_branch .LBB153_67
.LBB153_343:
	s_mov_b32 s3, -1
.LBB153_344:
                                        ; implicit-def: $vgpr6
.LBB153_345:
	s_and_b32 vcc_lo, exec_lo, s22
	s_cbranch_vccz .LBB153_421
; %bb.346:
	v_cmp_eq_u16_e32 vcc_lo, 44, v4
	s_cbranch_vccz .LBB153_420
; %bb.347:
	global_load_u8 v6, v[1:2], off
	s_mov_b32 s3, 0
	s_mov_b32 s2, -1
	s_waitcnt vmcnt(0)
	v_lshlrev_b32_e32 v7, 23, v6
	v_cmp_ne_u32_e32 vcc_lo, 0xff, v6
	s_delay_alu instid0(VALU_DEP_2) | instskip(SKIP_1) | instid1(VALU_DEP_2)
	v_cndmask_b32_e32 v7, 0x7f800001, v7, vcc_lo
	v_cmp_ne_u32_e32 vcc_lo, 0, v6
	v_cndmask_b32_e32 v6, 0x400000, v7, vcc_lo
	s_delay_alu instid0(VALU_DEP_1) | instskip(SKIP_1) | instid1(VALU_DEP_2)
	v_add_nc_u32_e32 v7, 0x7fff, v6
	v_cmp_o_f32_e32 vcc_lo, v6, v6
	v_lshrrev_b32_e32 v7, 16, v7
	s_delay_alu instid0(VALU_DEP_1)
	v_cndmask_b32_e32 v6, 0x7fc0, v7, vcc_lo
	s_branch .LBB153_421
.LBB153_348:
	s_mov_b32 s2, s34
.LBB153_349:
	s_and_b32 vcc_lo, exec_lo, s23
	s_cbranch_vccz .LBB153_354
; %bb.350:
	v_cmp_eq_u16_e32 vcc_lo, 44, v6
	s_mov_b32 s2, -1
	s_cbranch_vccz .LBB153_354
; %bb.351:
	v_and_b32_e32 v7, 0xffff, v2
	v_mov_b32_e32 v8, 0xff
	s_mov_b32 s22, exec_lo
	s_delay_alu instid0(VALU_DEP_2) | instskip(NEXT) | instid1(VALU_DEP_1)
	v_bfe_u32 v9, v7, 7, 8
	v_cmpx_ne_u32_e32 0xff, v9
; %bb.352:
	v_lshlrev_b32_e32 v8, 16, v7
	v_and_b32_e32 v10, 64, v7
	v_lshrrev_b32_e32 v7, 7, v7
	s_delay_alu instid0(VALU_DEP_3) | instskip(NEXT) | instid1(VALU_DEP_3)
	v_and_or_b32 v8, 0x3f0000, v8, v9
	v_cmp_ne_u32_e32 vcc_lo, 0, v10
	s_delay_alu instid0(VALU_DEP_2) | instskip(NEXT) | instid1(VALU_DEP_1)
	v_cmp_ne_u32_e64 s2, 0, v8
	s_and_b32 s2, vcc_lo, s2
	s_delay_alu instid0(SALU_CYCLE_1) | instskip(NEXT) | instid1(VALU_DEP_1)
	v_cndmask_b32_e64 v8, 0, 1, s2
	v_add_nc_u32_e32 v8, v7, v8
; %bb.353:
	s_or_b32 exec_lo, exec_lo, s22
	s_mov_b32 s22, -1
	s_mov_b32 s2, 0
	global_store_b8 v[0:1], v8, off
.LBB153_354:
	s_mov_b32 s23, 0
.LBB153_355:
	s_delay_alu instid0(SALU_CYCLE_1)
	s_and_b32 vcc_lo, exec_lo, s23
	s_cbranch_vccz .LBB153_358
; %bb.356:
	v_cmp_eq_u16_e32 vcc_lo, 29, v6
	s_mov_b32 s2, -1
	s_cbranch_vccz .LBB153_358
; %bb.357:
	v_lshlrev_b32_e32 v7, 16, v2
	s_mov_b32 s22, -1
	s_mov_b32 s2, 0
	s_mov_b32 s23, 0
	s_delay_alu instid0(VALU_DEP_1) | instskip(NEXT) | instid1(VALU_DEP_1)
	v_trunc_f32_e32 v7, v7
	v_mul_f32_e32 v8, 0x2f800000, v7
	s_delay_alu instid0(VALU_DEP_1) | instskip(NEXT) | instid1(VALU_DEP_1)
	v_floor_f32_e32 v8, v8
	v_fmamk_f32 v7, v8, 0xcf800000, v7
	v_cvt_u32_f32_e32 v8, v8
	s_delay_alu instid0(VALU_DEP_2)
	v_cvt_u32_f32_e32 v7, v7
	global_store_b64 v[0:1], v[7:8], off
	s_branch .LBB153_359
.LBB153_358:
	s_mov_b32 s23, 0
.LBB153_359:
	s_delay_alu instid0(SALU_CYCLE_1)
	s_and_b32 vcc_lo, exec_lo, s23
	s_cbranch_vccz .LBB153_375
; %bb.360:
	v_cmp_gt_i16_e32 vcc_lo, 27, v6
	s_mov_b32 s22, -1
	s_cbranch_vccnz .LBB153_366
; %bb.361:
	v_cmp_lt_i16_e32 vcc_lo, 27, v6
	s_cbranch_vccz .LBB153_363
; %bb.362:
	v_lshlrev_b32_e32 v7, 16, v2
	s_mov_b32 s22, 0
	s_delay_alu instid0(VALU_DEP_1)
	v_cvt_u32_f32_e32 v7, v7
	global_store_b32 v[0:1], v7, off
.LBB153_363:
	s_and_not1_b32 vcc_lo, exec_lo, s22
	s_cbranch_vccnz .LBB153_365
; %bb.364:
	v_lshlrev_b32_e32 v7, 16, v2
	s_delay_alu instid0(VALU_DEP_1)
	v_cvt_u32_f32_e32 v7, v7
	global_store_b16 v[0:1], v7, off
.LBB153_365:
	s_mov_b32 s22, 0
.LBB153_366:
	s_delay_alu instid0(SALU_CYCLE_1)
	s_and_not1_b32 vcc_lo, exec_lo, s22
	s_cbranch_vccnz .LBB153_374
; %bb.367:
	v_dual_mov_b32 v10, 0x80 :: v_dual_lshlrev_b32 v9, 16, v2
	s_mov_b32 s22, exec_lo
	s_delay_alu instid0(VALU_DEP_1) | instskip(NEXT) | instid1(VALU_DEP_1)
	v_and_b32_e32 v8, 0x7fffffff, v9
	v_cmpx_gt_u32_e32 0x43800000, v8
	s_cbranch_execz .LBB153_373
; %bb.368:
	v_and_b32_e32 v7, 0xffff, v2
	v_cmp_lt_u32_e32 vcc_lo, 0x3bffffff, v8
	s_mov_b32 s23, 0
                                        ; implicit-def: $vgpr8
	s_and_saveexec_b32 s37, vcc_lo
	s_delay_alu instid0(SALU_CYCLE_1)
	s_xor_b32 s37, exec_lo, s37
	s_cbranch_execz .LBB153_559
; %bb.369:
	v_bfe_u32 v8, v7, 4, 1
	s_mov_b32 s23, exec_lo
	s_delay_alu instid0(VALU_DEP_1) | instskip(NEXT) | instid1(VALU_DEP_1)
	v_add3_u32 v8, v9, v8, 0x487ffff
                                        ; implicit-def: $vgpr9
	v_lshrrev_b32_e32 v8, 20, v8
	s_or_saveexec_b32 s37, s37
                                        ; implicit-def: $sgpr38
	s_delay_alu instid0(SALU_CYCLE_1)
	s_xor_b32 exec_lo, exec_lo, s37
	s_cbranch_execnz .LBB153_560
.LBB153_370:
	s_or_b32 exec_lo, exec_lo, s37
	v_mov_b32_e32 v10, s38
	s_and_saveexec_b32 s37, s23
.LBB153_371:
	v_lshrrev_b32_e32 v7, 8, v7
	s_delay_alu instid0(VALU_DEP_1)
	v_and_or_b32 v10, 0x80, v7, v8
.LBB153_372:
	s_or_b32 exec_lo, exec_lo, s37
.LBB153_373:
	s_delay_alu instid0(SALU_CYCLE_1)
	s_or_b32 exec_lo, exec_lo, s22
	global_store_b8 v[0:1], v10, off
.LBB153_374:
	s_mov_b32 s22, -1
.LBB153_375:
	s_mov_b32 s23, 0
.LBB153_376:
	s_delay_alu instid0(SALU_CYCLE_1)
	s_and_b32 vcc_lo, exec_lo, s23
	s_cbranch_vccz .LBB153_417
; %bb.377:
	v_cmp_lt_i16_e32 vcc_lo, 22, v6
	s_mov_b32 s23, -1
	s_cbranch_vccz .LBB153_409
; %bb.378:
	v_cmp_gt_i16_e32 vcc_lo, 24, v6
	s_mov_b32 s22, -1
	s_cbranch_vccnz .LBB153_398
; %bb.379:
	v_cmp_lt_i16_e32 vcc_lo, 24, v6
	s_cbranch_vccz .LBB153_387
; %bb.380:
	v_dual_mov_b32 v10, 0x80 :: v_dual_lshlrev_b32 v9, 16, v2
	s_mov_b32 s22, exec_lo
	s_delay_alu instid0(VALU_DEP_1) | instskip(NEXT) | instid1(VALU_DEP_1)
	v_and_b32_e32 v8, 0x7fffffff, v9
	v_cmpx_gt_u32_e32 0x47800000, v8
	s_cbranch_execz .LBB153_386
; %bb.381:
	v_and_b32_e32 v7, 0xffff, v2
	v_cmp_lt_u32_e32 vcc_lo, 0x37ffffff, v8
	s_mov_b32 s23, 0
                                        ; implicit-def: $vgpr8
	s_and_saveexec_b32 s37, vcc_lo
	s_delay_alu instid0(SALU_CYCLE_1)
	s_xor_b32 s37, exec_lo, s37
	s_cbranch_execz .LBB153_562
; %bb.382:
	v_bfe_u32 v8, v7, 5, 1
	s_mov_b32 s23, exec_lo
	s_delay_alu instid0(VALU_DEP_1) | instskip(NEXT) | instid1(VALU_DEP_1)
	v_add3_u32 v8, v9, v8, 0x88fffff
                                        ; implicit-def: $vgpr9
	v_lshrrev_b32_e32 v8, 21, v8
	s_or_saveexec_b32 s37, s37
                                        ; implicit-def: $sgpr38
	s_delay_alu instid0(SALU_CYCLE_1)
	s_xor_b32 exec_lo, exec_lo, s37
	s_cbranch_execnz .LBB153_563
.LBB153_383:
	s_or_b32 exec_lo, exec_lo, s37
	v_mov_b32_e32 v10, s38
	s_and_saveexec_b32 s37, s23
.LBB153_384:
	v_lshrrev_b32_e32 v7, 8, v7
	s_delay_alu instid0(VALU_DEP_1)
	v_and_or_b32 v10, 0x80, v7, v8
.LBB153_385:
	s_or_b32 exec_lo, exec_lo, s37
.LBB153_386:
	s_delay_alu instid0(SALU_CYCLE_1)
	s_or_b32 exec_lo, exec_lo, s22
	s_mov_b32 s22, 0
	global_store_b8 v[0:1], v10, off
.LBB153_387:
	s_and_b32 vcc_lo, exec_lo, s22
	s_cbranch_vccz .LBB153_397
; %bb.388:
	v_lshlrev_b32_e32 v9, 16, v2
	v_and_b32_e32 v7, 0xffff, v2
	s_mov_b32 s22, exec_lo
                                        ; implicit-def: $vgpr8
	s_delay_alu instid0(VALU_DEP_2) | instskip(NEXT) | instid1(VALU_DEP_1)
	v_and_b32_e32 v10, 0x7fffffff, v9
	v_cmpx_gt_u32_e32 0x43f00000, v10
	s_xor_b32 s22, exec_lo, s22
	s_cbranch_execz .LBB153_394
; %bb.389:
	s_mov_b32 s23, exec_lo
                                        ; implicit-def: $vgpr8
	v_cmpx_lt_u32_e32 0x3c7fffff, v10
	s_xor_b32 s23, exec_lo, s23
; %bb.390:
	v_bfe_u32 v8, v7, 4, 1
	s_delay_alu instid0(VALU_DEP_1) | instskip(NEXT) | instid1(VALU_DEP_1)
	v_add3_u32 v8, v9, v8, 0x407ffff
	v_and_b32_e32 v9, 0xff00000, v8
	v_lshrrev_b32_e32 v8, 20, v8
	s_delay_alu instid0(VALU_DEP_2) | instskip(NEXT) | instid1(VALU_DEP_2)
	v_cmp_ne_u32_e32 vcc_lo, 0x7f00000, v9
                                        ; implicit-def: $vgpr9
	v_cndmask_b32_e32 v8, 0x7e, v8, vcc_lo
; %bb.391:
	s_and_not1_saveexec_b32 s23, s23
; %bb.392:
	v_add_f32_e64 v8, 0x46800000, |v9|
; %bb.393:
	s_or_b32 exec_lo, exec_lo, s23
                                        ; implicit-def: $vgpr10
.LBB153_394:
	s_and_not1_saveexec_b32 s22, s22
; %bb.395:
	v_mov_b32_e32 v8, 0x7f
	v_cmp_lt_u32_e32 vcc_lo, 0x7f800000, v10
	s_delay_alu instid0(VALU_DEP_2)
	v_cndmask_b32_e32 v8, 0x7e, v8, vcc_lo
; %bb.396:
	s_or_b32 exec_lo, exec_lo, s22
	v_lshrrev_b32_e32 v7, 8, v7
	s_delay_alu instid0(VALU_DEP_1)
	v_and_or_b32 v7, 0x80, v7, v8
	global_store_b8 v[0:1], v7, off
.LBB153_397:
	s_mov_b32 s22, 0
.LBB153_398:
	s_delay_alu instid0(SALU_CYCLE_1)
	s_and_not1_b32 vcc_lo, exec_lo, s22
	s_cbranch_vccnz .LBB153_408
; %bb.399:
	v_lshlrev_b32_e32 v9, 16, v2
	v_and_b32_e32 v7, 0xffff, v2
	s_mov_b32 s22, exec_lo
                                        ; implicit-def: $vgpr8
	s_delay_alu instid0(VALU_DEP_2) | instskip(NEXT) | instid1(VALU_DEP_1)
	v_and_b32_e32 v10, 0x7fffffff, v9
	v_cmpx_gt_u32_e32 0x47800000, v10
	s_xor_b32 s22, exec_lo, s22
	s_cbranch_execz .LBB153_405
; %bb.400:
	s_mov_b32 s23, exec_lo
                                        ; implicit-def: $vgpr8
	v_cmpx_lt_u32_e32 0x387fffff, v10
	s_xor_b32 s23, exec_lo, s23
; %bb.401:
	v_bfe_u32 v8, v7, 5, 1
	s_delay_alu instid0(VALU_DEP_1) | instskip(NEXT) | instid1(VALU_DEP_1)
	v_add3_u32 v8, v9, v8, 0x80fffff
                                        ; implicit-def: $vgpr9
	v_lshrrev_b32_e32 v8, 21, v8
; %bb.402:
	s_and_not1_saveexec_b32 s23, s23
; %bb.403:
	v_add_f32_e64 v8, 0x43000000, |v9|
; %bb.404:
	s_or_b32 exec_lo, exec_lo, s23
                                        ; implicit-def: $vgpr10
.LBB153_405:
	s_and_not1_saveexec_b32 s22, s22
; %bb.406:
	v_mov_b32_e32 v8, 0x7f
	v_cmp_lt_u32_e32 vcc_lo, 0x7f800000, v10
	s_delay_alu instid0(VALU_DEP_2)
	v_cndmask_b32_e32 v8, 0x7c, v8, vcc_lo
; %bb.407:
	s_or_b32 exec_lo, exec_lo, s22
	v_lshrrev_b32_e32 v7, 8, v7
	s_delay_alu instid0(VALU_DEP_1)
	v_and_or_b32 v7, 0x80, v7, v8
	global_store_b8 v[0:1], v7, off
.LBB153_408:
	s_mov_b32 s23, 0
	s_mov_b32 s22, -1
.LBB153_409:
	s_and_not1_b32 vcc_lo, exec_lo, s23
	s_cbranch_vccnz .LBB153_417
; %bb.410:
	v_cmp_lt_i16_e32 vcc_lo, 14, v6
	s_mov_b32 s23, -1
	s_cbranch_vccz .LBB153_414
; %bb.411:
	v_cmp_eq_u16_e32 vcc_lo, 15, v6
	s_mov_b32 s2, -1
	s_cbranch_vccz .LBB153_413
; %bb.412:
	s_mov_b32 s22, -1
	s_mov_b32 s2, 0
	global_store_b16 v[0:1], v2, off
.LBB153_413:
	s_mov_b32 s23, 0
.LBB153_414:
	s_delay_alu instid0(SALU_CYCLE_1)
	s_and_b32 vcc_lo, exec_lo, s23
	s_cbranch_vccz .LBB153_417
; %bb.415:
	v_cmp_eq_u16_e32 vcc_lo, 11, v6
	s_mov_b32 s2, -1
	s_cbranch_vccz .LBB153_417
; %bb.416:
	v_and_b32_e32 v7, 0x7fff, v2
	s_mov_b32 s2, 0
	s_mov_b32 s22, -1
	s_delay_alu instid0(VALU_DEP_1)
	v_cmp_ne_u16_e32 vcc_lo, 0, v7
	v_cndmask_b32_e64 v7, 0, 1, vcc_lo
	global_store_b8 v[0:1], v7, off
.LBB153_417:
.LBB153_418:
	s_and_not1_b32 vcc_lo, exec_lo, s22
	s_cbranch_vccnz .LBB153_333
.LBB153_419:
	v_add_nc_u32_e32 v5, 0x80, v5
	s_mov_b32 s22, -1
	s_branch .LBB153_532
.LBB153_420:
	s_mov_b32 s3, -1
                                        ; implicit-def: $vgpr6
.LBB153_421:
	s_mov_b32 s22, 0
.LBB153_422:
	s_delay_alu instid0(SALU_CYCLE_1)
	s_and_b32 vcc_lo, exec_lo, s22
	s_cbranch_vccz .LBB153_426
; %bb.423:
	v_cmp_eq_u16_e32 vcc_lo, 29, v4
	s_cbranch_vccz .LBB153_425
; %bb.424:
	global_load_b64 v[6:7], v[1:2], off
	s_mov_b32 s2, -1
	s_mov_b32 s3, 0
	s_mov_b32 s22, 0
	s_waitcnt vmcnt(0)
	v_clz_i32_u32_e32 v8, v7
	s_delay_alu instid0(VALU_DEP_1) | instskip(NEXT) | instid1(VALU_DEP_1)
	v_min_u32_e32 v8, 32, v8
	v_lshlrev_b64 v[6:7], v8, v[6:7]
	s_delay_alu instid0(VALU_DEP_1) | instskip(NEXT) | instid1(VALU_DEP_1)
	v_min_u32_e32 v6, 1, v6
	v_or_b32_e32 v6, v7, v6
	v_sub_nc_u32_e32 v7, 32, v8
	s_delay_alu instid0(VALU_DEP_2) | instskip(NEXT) | instid1(VALU_DEP_1)
	v_cvt_f32_u32_e32 v6, v6
	v_ldexp_f32 v6, v6, v7
	s_delay_alu instid0(VALU_DEP_1) | instskip(NEXT) | instid1(VALU_DEP_1)
	v_bfe_u32 v7, v6, 16, 1
	v_add3_u32 v6, v6, v7, 0x7fff
	s_delay_alu instid0(VALU_DEP_1)
	v_lshrrev_b32_e32 v6, 16, v6
	s_branch .LBB153_427
.LBB153_425:
	s_mov_b32 s3, -1
                                        ; implicit-def: $vgpr6
.LBB153_426:
	s_mov_b32 s22, 0
.LBB153_427:
	s_delay_alu instid0(SALU_CYCLE_1)
	s_and_b32 vcc_lo, exec_lo, s22
	s_cbranch_vccz .LBB153_445
; %bb.428:
	v_cmp_gt_i16_e32 vcc_lo, 27, v4
	s_cbranch_vccnz .LBB153_431
; %bb.429:
	v_cmp_lt_i16_e32 vcc_lo, 27, v4
	s_cbranch_vccz .LBB153_432
; %bb.430:
	global_load_b32 v6, v[1:2], off
	s_mov_b32 s2, 0
	s_waitcnt vmcnt(0)
	v_cvt_f32_u32_e32 v6, v6
	s_delay_alu instid0(VALU_DEP_1) | instskip(NEXT) | instid1(VALU_DEP_1)
	v_bfe_u32 v7, v6, 16, 1
	v_add3_u32 v6, v6, v7, 0x7fff
	s_delay_alu instid0(VALU_DEP_1)
	v_lshrrev_b32_e32 v6, 16, v6
	s_branch .LBB153_433
.LBB153_431:
	s_mov_b32 s2, -1
                                        ; implicit-def: $vgpr6
	s_branch .LBB153_436
.LBB153_432:
	s_mov_b32 s2, -1
                                        ; implicit-def: $vgpr6
.LBB153_433:
	s_delay_alu instid0(SALU_CYCLE_1)
	s_and_not1_b32 vcc_lo, exec_lo, s2
	s_cbranch_vccnz .LBB153_435
; %bb.434:
	global_load_u16 v6, v[1:2], off
	s_waitcnt vmcnt(0)
	v_cvt_f32_u32_e32 v6, v6
	s_delay_alu instid0(VALU_DEP_1) | instskip(NEXT) | instid1(VALU_DEP_1)
	v_bfe_u32 v7, v6, 16, 1
	v_add3_u32 v6, v6, v7, 0x7fff
	s_delay_alu instid0(VALU_DEP_1)
	v_lshrrev_b32_e32 v6, 16, v6
.LBB153_435:
	s_mov_b32 s2, 0
.LBB153_436:
	s_delay_alu instid0(SALU_CYCLE_1)
	s_and_not1_b32 vcc_lo, exec_lo, s2
	s_cbranch_vccnz .LBB153_444
; %bb.437:
	global_load_u8 v6, v[1:2], off
	s_mov_b32 s2, 0
	s_mov_b32 s23, exec_lo
                                        ; implicit-def: $sgpr22
	s_waitcnt vmcnt(0)
	v_cmpx_lt_i16_e32 0x7f, v6
	s_xor_b32 s23, exec_lo, s23
	s_cbranch_execz .LBB153_458
; %bb.438:
	s_mov_b32 s2, -1
	s_mov_b32 s37, exec_lo
                                        ; implicit-def: $sgpr22
	v_cmpx_eq_u16_e32 0x80, v6
; %bb.439:
	s_mov_b32 s22, 0x7f800001
	s_xor_b32 s2, exec_lo, -1
; %bb.440:
	s_or_b32 exec_lo, exec_lo, s37
	s_delay_alu instid0(SALU_CYCLE_1)
	s_and_b32 s2, s2, exec_lo
	s_or_saveexec_b32 s23, s23
	v_mov_b32_e32 v7, s22
	s_xor_b32 exec_lo, exec_lo, s23
	s_cbranch_execnz .LBB153_459
.LBB153_441:
	s_or_b32 exec_lo, exec_lo, s23
	s_and_saveexec_b32 s22, s2
	s_cbranch_execz .LBB153_443
.LBB153_442:
	v_and_b32_e32 v7, 0xffff, v6
	v_lshlrev_b32_e32 v6, 24, v6
	s_delay_alu instid0(VALU_DEP_2) | instskip(NEXT) | instid1(VALU_DEP_2)
	v_and_b32_e32 v8, 7, v7
	v_and_b32_e32 v6, 0x80000000, v6
	s_delay_alu instid0(VALU_DEP_2) | instskip(NEXT) | instid1(VALU_DEP_1)
	v_clz_i32_u32_e32 v9, v8
	v_min_u32_e32 v9, 32, v9
	s_delay_alu instid0(VALU_DEP_1) | instskip(SKIP_1) | instid1(VALU_DEP_2)
	v_subrev_nc_u32_e32 v10, 28, v9
	v_sub_nc_u32_e32 v9, 29, v9
	v_lshlrev_b32_e32 v10, v10, v7
	v_bfe_u32 v7, v7, 3, 4
	s_delay_alu instid0(VALU_DEP_2) | instskip(NEXT) | instid1(VALU_DEP_2)
	v_and_b32_e32 v10, 7, v10
	v_cmp_eq_u32_e32 vcc_lo, 0, v7
	s_delay_alu instid0(VALU_DEP_2) | instskip(NEXT) | instid1(VALU_DEP_1)
	v_dual_cndmask_b32 v7, v7, v9 :: v_dual_cndmask_b32 v8, v8, v10
	v_lshl_add_u32 v7, v7, 23, 0x3b800000
	s_delay_alu instid0(VALU_DEP_2) | instskip(NEXT) | instid1(VALU_DEP_1)
	v_lshlrev_b32_e32 v8, 20, v8
	v_or3_b32 v7, v6, v7, v8
.LBB153_443:
	s_or_b32 exec_lo, exec_lo, s22
	s_delay_alu instid0(VALU_DEP_1) | instskip(SKIP_1) | instid1(VALU_DEP_2)
	v_bfe_u32 v6, v7, 16, 1
	v_cmp_o_f32_e32 vcc_lo, v7, v7
	v_add3_u32 v6, v7, v6, 0x7fff
	s_delay_alu instid0(VALU_DEP_1) | instskip(NEXT) | instid1(VALU_DEP_1)
	v_lshrrev_b32_e32 v6, 16, v6
	v_cndmask_b32_e32 v6, 0x7fc0, v6, vcc_lo
.LBB153_444:
	s_mov_b32 s2, -1
.LBB153_445:
	s_mov_b32 s22, 0
.LBB153_446:
	s_delay_alu instid0(SALU_CYCLE_1)
	s_and_b32 vcc_lo, exec_lo, s22
	s_cbranch_vccz .LBB153_481
; %bb.447:
	v_cmp_lt_i16_e32 vcc_lo, 22, v4
	s_cbranch_vccz .LBB153_457
; %bb.448:
	v_cmp_gt_i16_e32 vcc_lo, 24, v4
	s_cbranch_vccnz .LBB153_460
; %bb.449:
	v_cmp_lt_i16_e32 vcc_lo, 24, v4
	s_cbranch_vccz .LBB153_461
; %bb.450:
	global_load_u8 v6, v[1:2], off
	s_mov_b32 s2, 0
	s_mov_b32 s23, exec_lo
                                        ; implicit-def: $sgpr22
	s_waitcnt vmcnt(0)
	v_cmpx_lt_i16_e32 0x7f, v6
	s_xor_b32 s23, exec_lo, s23
	s_cbranch_execz .LBB153_473
; %bb.451:
	s_mov_b32 s2, -1
	s_mov_b32 s37, exec_lo
                                        ; implicit-def: $sgpr22
	v_cmpx_eq_u16_e32 0x80, v6
; %bb.452:
	s_mov_b32 s22, 0x7f800001
	s_xor_b32 s2, exec_lo, -1
; %bb.453:
	s_or_b32 exec_lo, exec_lo, s37
	s_delay_alu instid0(SALU_CYCLE_1)
	s_and_b32 s2, s2, exec_lo
	s_or_saveexec_b32 s23, s23
	v_mov_b32_e32 v7, s22
	s_xor_b32 exec_lo, exec_lo, s23
	s_cbranch_execnz .LBB153_474
.LBB153_454:
	s_or_b32 exec_lo, exec_lo, s23
	s_and_saveexec_b32 s22, s2
	s_cbranch_execz .LBB153_456
.LBB153_455:
	v_and_b32_e32 v7, 0xffff, v6
	v_lshlrev_b32_e32 v6, 24, v6
	s_delay_alu instid0(VALU_DEP_2) | instskip(NEXT) | instid1(VALU_DEP_2)
	v_and_b32_e32 v8, 3, v7
	v_and_b32_e32 v6, 0x80000000, v6
	s_delay_alu instid0(VALU_DEP_2) | instskip(NEXT) | instid1(VALU_DEP_1)
	v_clz_i32_u32_e32 v9, v8
	v_min_u32_e32 v9, 32, v9
	s_delay_alu instid0(VALU_DEP_1) | instskip(SKIP_1) | instid1(VALU_DEP_2)
	v_subrev_nc_u32_e32 v10, 29, v9
	v_sub_nc_u32_e32 v9, 30, v9
	v_lshlrev_b32_e32 v10, v10, v7
	v_bfe_u32 v7, v7, 2, 5
	s_delay_alu instid0(VALU_DEP_2) | instskip(NEXT) | instid1(VALU_DEP_2)
	v_and_b32_e32 v10, 3, v10
	v_cmp_eq_u32_e32 vcc_lo, 0, v7
	s_delay_alu instid0(VALU_DEP_2) | instskip(NEXT) | instid1(VALU_DEP_1)
	v_dual_cndmask_b32 v7, v7, v9 :: v_dual_cndmask_b32 v8, v8, v10
	v_lshl_add_u32 v7, v7, 23, 0x37800000
	s_delay_alu instid0(VALU_DEP_2) | instskip(NEXT) | instid1(VALU_DEP_1)
	v_lshlrev_b32_e32 v8, 21, v8
	v_or3_b32 v7, v6, v7, v8
.LBB153_456:
	s_or_b32 exec_lo, exec_lo, s22
	s_delay_alu instid0(VALU_DEP_1) | instskip(SKIP_2) | instid1(VALU_DEP_2)
	v_bfe_u32 v6, v7, 16, 1
	v_cmp_o_f32_e32 vcc_lo, v7, v7
	s_mov_b32 s2, 0
	v_add3_u32 v6, v7, v6, 0x7fff
	s_delay_alu instid0(VALU_DEP_1) | instskip(NEXT) | instid1(VALU_DEP_1)
	v_lshrrev_b32_e32 v6, 16, v6
	v_cndmask_b32_e32 v6, 0x7fc0, v6, vcc_lo
	s_branch .LBB153_462
.LBB153_457:
	s_mov_b32 s22, -1
                                        ; implicit-def: $vgpr6
	s_branch .LBB153_468
.LBB153_458:
	s_or_saveexec_b32 s23, s23
	v_mov_b32_e32 v7, s22
	s_xor_b32 exec_lo, exec_lo, s23
	s_cbranch_execz .LBB153_441
.LBB153_459:
	v_cmp_ne_u16_e32 vcc_lo, 0, v6
	v_mov_b32_e32 v7, 0
	s_and_not1_b32 s2, s2, exec_lo
	s_and_b32 s22, vcc_lo, exec_lo
	s_delay_alu instid0(SALU_CYCLE_1)
	s_or_b32 s2, s2, s22
	s_or_b32 exec_lo, exec_lo, s23
	s_and_saveexec_b32 s22, s2
	s_cbranch_execnz .LBB153_442
	s_branch .LBB153_443
.LBB153_460:
	s_mov_b32 s2, -1
                                        ; implicit-def: $vgpr6
	s_branch .LBB153_465
.LBB153_461:
	s_mov_b32 s2, -1
                                        ; implicit-def: $vgpr6
.LBB153_462:
	s_delay_alu instid0(SALU_CYCLE_1)
	s_and_b32 vcc_lo, exec_lo, s2
	s_cbranch_vccz .LBB153_464
; %bb.463:
	global_load_u8 v6, v[1:2], off
	s_waitcnt vmcnt(0)
	v_lshlrev_b32_e32 v6, 24, v6
	s_delay_alu instid0(VALU_DEP_1) | instskip(NEXT) | instid1(VALU_DEP_1)
	v_and_b32_e32 v7, 0x7f000000, v6
	v_clz_i32_u32_e32 v8, v7
	v_add_nc_u32_e32 v10, 0x1000000, v7
	v_cmp_ne_u32_e32 vcc_lo, 0, v7
	s_delay_alu instid0(VALU_DEP_3) | instskip(NEXT) | instid1(VALU_DEP_1)
	v_min_u32_e32 v8, 32, v8
	v_sub_nc_u32_e64 v8, v8, 4 clamp
	s_delay_alu instid0(VALU_DEP_1) | instskip(SKIP_1) | instid1(VALU_DEP_2)
	v_lshlrev_b32_e32 v9, v8, v7
	v_lshlrev_b32_e32 v8, 23, v8
	v_lshrrev_b32_e32 v9, 4, v9
	s_delay_alu instid0(VALU_DEP_1) | instskip(SKIP_1) | instid1(VALU_DEP_2)
	v_sub_nc_u32_e32 v8, v9, v8
	v_ashrrev_i32_e32 v9, 8, v10
	v_add_nc_u32_e32 v8, 0x3c000000, v8
	s_delay_alu instid0(VALU_DEP_1) | instskip(NEXT) | instid1(VALU_DEP_1)
	v_and_or_b32 v8, 0x7f800000, v9, v8
	v_cndmask_b32_e32 v7, 0, v8, vcc_lo
	s_delay_alu instid0(VALU_DEP_1) | instskip(SKIP_1) | instid1(VALU_DEP_2)
	v_and_or_b32 v6, 0x80000000, v6, v7
	v_bfe_u32 v7, v7, 16, 1
	v_cmp_o_f32_e32 vcc_lo, v6, v6
	s_delay_alu instid0(VALU_DEP_2) | instskip(NEXT) | instid1(VALU_DEP_1)
	v_add3_u32 v7, v6, v7, 0x7fff
	v_lshrrev_b32_e32 v7, 16, v7
	s_delay_alu instid0(VALU_DEP_1)
	v_cndmask_b32_e32 v6, 0x7fc0, v7, vcc_lo
.LBB153_464:
	s_mov_b32 s2, 0
.LBB153_465:
	s_delay_alu instid0(SALU_CYCLE_1)
	s_and_not1_b32 vcc_lo, exec_lo, s2
	s_cbranch_vccnz .LBB153_467
; %bb.466:
	global_load_u8 v6, v[1:2], off
	s_waitcnt vmcnt(0)
	v_lshlrev_b32_e32 v7, 25, v6
	v_lshlrev_b16 v6, 8, v6
	s_delay_alu instid0(VALU_DEP_2) | instskip(NEXT) | instid1(VALU_DEP_2)
	v_lshrrev_b32_e32 v8, 4, v7
	v_and_or_b32 v9, 0x7f00, v6, 0.5
	v_bfe_i32 v6, v6, 0, 16
	s_delay_alu instid0(VALU_DEP_3) | instskip(NEXT) | instid1(VALU_DEP_1)
	v_or_b32_e32 v8, 0x70000000, v8
	v_dual_add_f32 v9, -0.5, v9 :: v_dual_mul_f32 v8, 0x7800000, v8
	v_cmp_gt_u32_e32 vcc_lo, 0x8000000, v7
	s_delay_alu instid0(VALU_DEP_2) | instskip(NEXT) | instid1(VALU_DEP_1)
	v_cndmask_b32_e32 v7, v8, v9, vcc_lo
	v_and_or_b32 v6, 0x80000000, v6, v7
	v_bfe_u32 v7, v7, 16, 1
	s_delay_alu instid0(VALU_DEP_2) | instskip(NEXT) | instid1(VALU_DEP_2)
	v_cmp_o_f32_e32 vcc_lo, v6, v6
	v_add3_u32 v7, v6, v7, 0x7fff
	s_delay_alu instid0(VALU_DEP_1) | instskip(NEXT) | instid1(VALU_DEP_1)
	v_lshrrev_b32_e32 v7, 16, v7
	v_cndmask_b32_e32 v6, 0x7fc0, v7, vcc_lo
.LBB153_467:
	s_mov_b32 s22, 0
	s_mov_b32 s2, -1
.LBB153_468:
	s_and_not1_b32 vcc_lo, exec_lo, s22
	s_cbranch_vccnz .LBB153_481
; %bb.469:
	v_cmp_lt_i16_e32 vcc_lo, 14, v4
	s_cbranch_vccz .LBB153_472
; %bb.470:
	v_cmp_eq_u16_e32 vcc_lo, 15, v4
	s_cbranch_vccz .LBB153_475
; %bb.471:
	global_load_u16 v6, v[1:2], off
	s_mov_b32 s2, -1
	s_mov_b32 s3, 0
	s_branch .LBB153_476
.LBB153_472:
	s_mov_b32 s22, -1
                                        ; implicit-def: $vgpr6
	s_branch .LBB153_477
.LBB153_473:
	s_or_saveexec_b32 s23, s23
	v_mov_b32_e32 v7, s22
	s_xor_b32 exec_lo, exec_lo, s23
	s_cbranch_execz .LBB153_454
.LBB153_474:
	v_cmp_ne_u16_e32 vcc_lo, 0, v6
	v_mov_b32_e32 v7, 0
	s_and_not1_b32 s2, s2, exec_lo
	s_and_b32 s22, vcc_lo, exec_lo
	s_delay_alu instid0(SALU_CYCLE_1)
	s_or_b32 s2, s2, s22
	s_or_b32 exec_lo, exec_lo, s23
	s_and_saveexec_b32 s22, s2
	s_cbranch_execnz .LBB153_455
	s_branch .LBB153_456
.LBB153_475:
	s_mov_b32 s3, -1
                                        ; implicit-def: $vgpr6
.LBB153_476:
	s_mov_b32 s22, 0
.LBB153_477:
	s_delay_alu instid0(SALU_CYCLE_1)
	s_and_b32 vcc_lo, exec_lo, s22
	s_cbranch_vccz .LBB153_481
; %bb.478:
	v_cmp_eq_u16_e32 vcc_lo, 11, v4
	s_cbranch_vccz .LBB153_480
; %bb.479:
	global_load_u8 v6, v[1:2], off
	s_mov_b32 s3, 0
	s_mov_b32 s2, -1
	s_waitcnt vmcnt(0)
	v_cmp_ne_u16_e32 vcc_lo, 0, v6
	v_cndmask_b32_e64 v6, 0, 1.0, vcc_lo
	s_delay_alu instid0(VALU_DEP_1)
	v_lshrrev_b32_e32 v6, 16, v6
	s_branch .LBB153_481
.LBB153_480:
	s_mov_b32 s3, -1
                                        ; implicit-def: $vgpr6
.LBB153_481:
	s_branch .LBB153_286
.LBB153_482:
	v_cmp_gt_i16_e32 vcc_lo, 5, v4
	s_cbranch_vccnz .LBB153_487
; %bb.483:
	v_cmp_gt_i16_e32 vcc_lo, 8, v4
	s_cbranch_vccnz .LBB153_488
; %bb.484:
	;; [unrolled: 3-line block ×3, first 2 shown]
	v_cmp_lt_i16_e32 vcc_lo, 9, v4
	s_cbranch_vccz .LBB153_490
; %bb.486:
	global_load_b64 v[6:7], v[1:2], off
	s_mov_b32 s2, 0
	s_waitcnt vmcnt(0)
	v_cvt_f32_f64_e32 v6, v[6:7]
	s_delay_alu instid0(VALU_DEP_1) | instskip(SKIP_1) | instid1(VALU_DEP_2)
	v_bfe_u32 v7, v6, 16, 1
	v_cmp_o_f32_e32 vcc_lo, v6, v6
	v_add3_u32 v7, v6, v7, 0x7fff
	s_delay_alu instid0(VALU_DEP_1) | instskip(NEXT) | instid1(VALU_DEP_1)
	v_lshrrev_b32_e32 v7, 16, v7
	v_cndmask_b32_e32 v6, 0x7fc0, v7, vcc_lo
	s_branch .LBB153_491
.LBB153_487:
	s_mov_b32 s2, -1
                                        ; implicit-def: $vgpr6
	s_branch .LBB153_509
.LBB153_488:
	s_mov_b32 s2, -1
                                        ; implicit-def: $vgpr6
	s_branch .LBB153_497
.LBB153_489:
	s_mov_b32 s2, -1
                                        ; implicit-def: $vgpr6
	s_branch .LBB153_494
.LBB153_490:
	s_mov_b32 s2, -1
                                        ; implicit-def: $vgpr6
.LBB153_491:
	s_delay_alu instid0(SALU_CYCLE_1)
	s_and_not1_b32 vcc_lo, exec_lo, s2
	s_cbranch_vccnz .LBB153_493
; %bb.492:
	global_load_b32 v6, v[1:2], off
	s_waitcnt vmcnt(0)
	v_bfe_u32 v7, v6, 16, 1
	v_cmp_o_f32_e32 vcc_lo, v6, v6
	s_delay_alu instid0(VALU_DEP_2) | instskip(NEXT) | instid1(VALU_DEP_1)
	v_add3_u32 v7, v6, v7, 0x7fff
	v_lshrrev_b32_e32 v7, 16, v7
	s_delay_alu instid0(VALU_DEP_1)
	v_cndmask_b32_e32 v6, 0x7fc0, v7, vcc_lo
.LBB153_493:
	s_mov_b32 s2, 0
.LBB153_494:
	s_delay_alu instid0(SALU_CYCLE_1)
	s_and_not1_b32 vcc_lo, exec_lo, s2
	s_cbranch_vccnz .LBB153_496
; %bb.495:
	global_load_b32 v6, v[1:2], off
	s_waitcnt vmcnt(0)
	v_cvt_f32_f16_e32 v7, v6
	v_cmp_o_f16_e32 vcc_lo, v6, v6
	s_delay_alu instid0(VALU_DEP_2) | instskip(NEXT) | instid1(VALU_DEP_1)
	v_bfe_u32 v8, v7, 16, 1
	v_add3_u32 v7, v7, v8, 0x7fff
	s_delay_alu instid0(VALU_DEP_1) | instskip(NEXT) | instid1(VALU_DEP_1)
	v_lshrrev_b32_e32 v7, 16, v7
	v_cndmask_b32_e32 v6, 0x7fc0, v7, vcc_lo
.LBB153_496:
	s_mov_b32 s2, 0
.LBB153_497:
	s_delay_alu instid0(SALU_CYCLE_1)
	s_and_not1_b32 vcc_lo, exec_lo, s2
	s_cbranch_vccnz .LBB153_508
; %bb.498:
	v_cmp_gt_i16_e32 vcc_lo, 6, v4
	s_cbranch_vccnz .LBB153_501
; %bb.499:
	v_cmp_lt_i16_e32 vcc_lo, 6, v4
	s_cbranch_vccz .LBB153_502
; %bb.500:
	global_load_b64 v[6:7], v[1:2], off
	s_mov_b32 s2, 0
	s_waitcnt vmcnt(0)
	v_cvt_f32_f64_e32 v6, v[6:7]
	s_delay_alu instid0(VALU_DEP_1) | instskip(SKIP_1) | instid1(VALU_DEP_2)
	v_bfe_u32 v7, v6, 16, 1
	v_cmp_o_f32_e32 vcc_lo, v6, v6
	v_add3_u32 v7, v6, v7, 0x7fff
	s_delay_alu instid0(VALU_DEP_1) | instskip(NEXT) | instid1(VALU_DEP_1)
	v_lshrrev_b32_e32 v7, 16, v7
	v_cndmask_b32_e32 v6, 0x7fc0, v7, vcc_lo
	s_branch .LBB153_503
.LBB153_501:
	s_mov_b32 s2, -1
                                        ; implicit-def: $vgpr6
	s_branch .LBB153_506
.LBB153_502:
	s_mov_b32 s2, -1
                                        ; implicit-def: $vgpr6
.LBB153_503:
	s_delay_alu instid0(SALU_CYCLE_1)
	s_and_not1_b32 vcc_lo, exec_lo, s2
	s_cbranch_vccnz .LBB153_505
; %bb.504:
	global_load_b32 v6, v[1:2], off
	s_waitcnt vmcnt(0)
	v_bfe_u32 v7, v6, 16, 1
	v_cmp_o_f32_e32 vcc_lo, v6, v6
	s_delay_alu instid0(VALU_DEP_2) | instskip(NEXT) | instid1(VALU_DEP_1)
	v_add3_u32 v7, v6, v7, 0x7fff
	v_lshrrev_b32_e32 v7, 16, v7
	s_delay_alu instid0(VALU_DEP_1)
	v_cndmask_b32_e32 v6, 0x7fc0, v7, vcc_lo
.LBB153_505:
	s_mov_b32 s2, 0
.LBB153_506:
	s_delay_alu instid0(SALU_CYCLE_1)
	s_and_not1_b32 vcc_lo, exec_lo, s2
	s_cbranch_vccnz .LBB153_508
; %bb.507:
	global_load_u16 v6, v[1:2], off
	s_waitcnt vmcnt(0)
	v_cvt_f32_f16_e32 v7, v6
	v_cmp_o_f16_e32 vcc_lo, v6, v6
	s_delay_alu instid0(VALU_DEP_2) | instskip(NEXT) | instid1(VALU_DEP_1)
	v_bfe_u32 v8, v7, 16, 1
	v_add3_u32 v7, v7, v8, 0x7fff
	s_delay_alu instid0(VALU_DEP_1) | instskip(NEXT) | instid1(VALU_DEP_1)
	v_lshrrev_b32_e32 v7, 16, v7
	v_cndmask_b32_e32 v6, 0x7fc0, v7, vcc_lo
.LBB153_508:
	s_mov_b32 s2, 0
.LBB153_509:
	s_delay_alu instid0(SALU_CYCLE_1)
	s_and_not1_b32 vcc_lo, exec_lo, s2
	s_cbranch_vccnz .LBB153_529
; %bb.510:
	v_cmp_gt_i16_e32 vcc_lo, 2, v4
	s_cbranch_vccnz .LBB153_514
; %bb.511:
	v_cmp_gt_i16_e32 vcc_lo, 3, v4
	s_cbranch_vccnz .LBB153_515
; %bb.512:
	v_cmp_lt_i16_e32 vcc_lo, 3, v4
	s_cbranch_vccz .LBB153_516
; %bb.513:
	global_load_b64 v[6:7], v[1:2], off
	s_mov_b32 s2, 0
	s_waitcnt vmcnt(0)
	v_xor_b32_e32 v8, v6, v7
	v_cls_i32_e32 v9, v7
	s_delay_alu instid0(VALU_DEP_2) | instskip(NEXT) | instid1(VALU_DEP_2)
	v_ashrrev_i32_e32 v8, 31, v8
	v_add_nc_u32_e32 v9, -1, v9
	s_delay_alu instid0(VALU_DEP_2) | instskip(NEXT) | instid1(VALU_DEP_1)
	v_add_nc_u32_e32 v8, 32, v8
	v_min_u32_e32 v8, v9, v8
	s_delay_alu instid0(VALU_DEP_1) | instskip(NEXT) | instid1(VALU_DEP_1)
	v_lshlrev_b64 v[6:7], v8, v[6:7]
	v_min_u32_e32 v6, 1, v6
	s_delay_alu instid0(VALU_DEP_1) | instskip(SKIP_1) | instid1(VALU_DEP_2)
	v_or_b32_e32 v6, v7, v6
	v_sub_nc_u32_e32 v7, 32, v8
	v_cvt_f32_i32_e32 v6, v6
	s_delay_alu instid0(VALU_DEP_1) | instskip(NEXT) | instid1(VALU_DEP_1)
	v_ldexp_f32 v6, v6, v7
	v_bfe_u32 v7, v6, 16, 1
	s_delay_alu instid0(VALU_DEP_1) | instskip(NEXT) | instid1(VALU_DEP_1)
	v_add3_u32 v6, v6, v7, 0x7fff
	v_lshrrev_b32_e32 v6, 16, v6
	s_branch .LBB153_517
.LBB153_514:
	s_mov_b32 s2, -1
                                        ; implicit-def: $vgpr6
	s_branch .LBB153_523
.LBB153_515:
	s_mov_b32 s2, -1
                                        ; implicit-def: $vgpr6
	s_branch .LBB153_520
.LBB153_516:
	s_mov_b32 s2, -1
                                        ; implicit-def: $vgpr6
.LBB153_517:
	s_delay_alu instid0(SALU_CYCLE_1)
	s_and_not1_b32 vcc_lo, exec_lo, s2
	s_cbranch_vccnz .LBB153_519
; %bb.518:
	global_load_b32 v6, v[1:2], off
	s_waitcnt vmcnt(0)
	v_cvt_f32_i32_e32 v6, v6
	s_delay_alu instid0(VALU_DEP_1) | instskip(NEXT) | instid1(VALU_DEP_1)
	v_bfe_u32 v7, v6, 16, 1
	v_add3_u32 v6, v6, v7, 0x7fff
	s_delay_alu instid0(VALU_DEP_1)
	v_lshrrev_b32_e32 v6, 16, v6
.LBB153_519:
	s_mov_b32 s2, 0
.LBB153_520:
	s_delay_alu instid0(SALU_CYCLE_1)
	s_and_not1_b32 vcc_lo, exec_lo, s2
	s_cbranch_vccnz .LBB153_522
; %bb.521:
	global_load_i16 v6, v[1:2], off
	s_waitcnt vmcnt(0)
	v_cvt_f32_i32_e32 v6, v6
	s_delay_alu instid0(VALU_DEP_1) | instskip(NEXT) | instid1(VALU_DEP_1)
	v_bfe_u32 v7, v6, 16, 1
	v_add3_u32 v6, v6, v7, 0x7fff
	s_delay_alu instid0(VALU_DEP_1)
	v_lshrrev_b32_e32 v6, 16, v6
.LBB153_522:
	s_mov_b32 s2, 0
.LBB153_523:
	s_delay_alu instid0(SALU_CYCLE_1)
	s_and_not1_b32 vcc_lo, exec_lo, s2
	s_cbranch_vccnz .LBB153_529
; %bb.524:
	v_cmp_lt_i16_e32 vcc_lo, 0, v4
	s_mov_b32 s2, 0
	s_cbranch_vccz .LBB153_526
; %bb.525:
	global_load_i8 v6, v[1:2], off
	s_waitcnt vmcnt(0)
	v_cvt_f32_i32_e32 v6, v6
	s_delay_alu instid0(VALU_DEP_1) | instskip(NEXT) | instid1(VALU_DEP_1)
	v_bfe_u32 v7, v6, 16, 1
	v_add3_u32 v6, v6, v7, 0x7fff
	s_delay_alu instid0(VALU_DEP_1)
	v_lshrrev_b32_e32 v6, 16, v6
	s_branch .LBB153_527
.LBB153_526:
	s_mov_b32 s2, -1
                                        ; implicit-def: $vgpr6
.LBB153_527:
	s_delay_alu instid0(SALU_CYCLE_1)
	s_and_not1_b32 vcc_lo, exec_lo, s2
	s_cbranch_vccnz .LBB153_529
; %bb.528:
	global_load_u8 v1, v[1:2], off
	s_waitcnt vmcnt(0)
	v_cvt_f32_ubyte0_e32 v1, v1
	s_delay_alu instid0(VALU_DEP_1) | instskip(NEXT) | instid1(VALU_DEP_1)
	v_bfe_u32 v2, v1, 16, 1
	v_add3_u32 v1, v1, v2, 0x7fff
	s_delay_alu instid0(VALU_DEP_1)
	v_lshrrev_b32_e32 v6, 16, v1
.LBB153_529:
	s_branch .LBB153_287
.LBB153_530:
	s_mov_b32 s22, 0
	s_mov_b32 s2, s34
.LBB153_531:
                                        ; implicit-def: $vgpr5
.LBB153_532:
	s_and_not1_b32 s23, s34, exec_lo
	s_and_b32 s2, s2, exec_lo
	s_and_not1_b32 s37, s35, exec_lo
	s_and_b32 s3, s3, exec_lo
	s_or_b32 s38, s23, s2
	s_or_b32 s37, s37, s3
	s_or_not1_b32 s2, s22, exec_lo
.LBB153_533:
	s_or_b32 exec_lo, exec_lo, s39
	s_mov_b32 s3, 0
	s_mov_b32 s23, 0
	;; [unrolled: 1-line block ×3, first 2 shown]
                                        ; implicit-def: $vgpr1_vgpr2
                                        ; implicit-def: $vgpr0
                                        ; implicit-def: $vgpr6
	s_and_saveexec_b32 s39, s2
	s_cbranch_execz .LBB153_905
; %bb.534:
	s_mov_b32 s42, -1
	s_mov_b32 s22, s37
	s_mov_b32 s23, s38
	s_mov_b32 s40, exec_lo
	v_cmpx_gt_i32_e64 s30, v5
	s_cbranch_execz .LBB153_806
; %bb.535:
	s_and_not1_b32 vcc_lo, exec_lo, s27
	s_cbranch_vccnz .LBB153_540
; %bb.536:
	v_dual_mov_b32 v0, 0 :: v_dual_mov_b32 v1, 0
	s_and_not1_b32 vcc_lo, exec_lo, s33
	s_mov_b32 s41, 0
	s_cbranch_vccnz .LBB153_545
; %bb.537:
	v_mov_b32_e32 v0, 0
	s_add_i32 s43, s31, 1
	s_cmp_eq_u32 s25, 2
	s_mov_b32 s42, 0
	s_cbranch_scc1 .LBB153_541
; %bb.538:
	v_dual_mov_b32 v1, 0 :: v_dual_mov_b32 v0, 0
	v_mov_b32_e32 v2, v5
	s_and_b32 s42, s43, 28
	s_mov_b32 s44, 0
	s_mov_b64 s[2:3], s[20:21]
	s_mov_b64 s[22:23], s[16:17]
.LBB153_539:                            ; =>This Inner Loop Header: Depth=1
	s_clause 0x1
	s_load_b256 s[48:55], s[22:23], 0x4
	s_load_b128 s[64:67], s[22:23], 0x24
	s_load_b256 s[56:63], s[2:3], 0x0
	s_add_u32 s22, s22, 48
	s_addc_u32 s23, s23, 0
	s_add_i32 s44, s44, 4
	s_add_u32 s2, s2, 32
	s_addc_u32 s3, s3, 0
	s_cmp_eq_u32 s42, s44
	s_waitcnt vmcnt(0) lgkmcnt(0)
	v_mul_hi_u32 v6, s49, v2
	s_delay_alu instid0(VALU_DEP_1) | instskip(NEXT) | instid1(VALU_DEP_1)
	v_add_nc_u32_e32 v6, v2, v6
	v_lshrrev_b32_e32 v6, s50, v6
	s_delay_alu instid0(VALU_DEP_1) | instskip(SKIP_1) | instid1(VALU_DEP_2)
	v_mul_hi_u32 v7, s52, v6
	v_mul_lo_u32 v9, v6, s48
	v_add_nc_u32_e32 v7, v6, v7
	s_delay_alu instid0(VALU_DEP_2) | instskip(NEXT) | instid1(VALU_DEP_2)
	v_sub_nc_u32_e32 v2, v2, v9
	v_lshrrev_b32_e32 v7, s53, v7
	s_delay_alu instid0(VALU_DEP_2) | instskip(SKIP_1) | instid1(VALU_DEP_3)
	v_mul_lo_u32 v9, v2, s56
	v_mul_lo_u32 v11, v2, s57
	v_mul_hi_u32 v8, s55, v7
	s_delay_alu instid0(VALU_DEP_1) | instskip(NEXT) | instid1(VALU_DEP_1)
	v_add_nc_u32_e32 v8, v7, v8
	v_lshrrev_b32_e32 v8, s64, v8
	s_delay_alu instid0(VALU_DEP_1) | instskip(SKIP_1) | instid1(VALU_DEP_2)
	v_mul_hi_u32 v10, s66, v8
	v_mul_lo_u32 v12, v8, s54
	v_add_nc_u32_e32 v2, v8, v10
	v_mul_lo_u32 v10, v7, s51
	s_delay_alu instid0(VALU_DEP_3) | instskip(NEXT) | instid1(VALU_DEP_3)
	v_sub_nc_u32_e32 v7, v7, v12
	v_lshrrev_b32_e32 v2, s67, v2
	s_delay_alu instid0(VALU_DEP_2) | instskip(SKIP_2) | instid1(VALU_DEP_4)
	v_mul_lo_u32 v12, v7, s60
	v_mul_lo_u32 v7, v7, s61
	v_sub_nc_u32_e32 v6, v6, v10
	v_mul_lo_u32 v13, v2, s65
	s_delay_alu instid0(VALU_DEP_2) | instskip(SKIP_1) | instid1(VALU_DEP_3)
	v_mul_lo_u32 v10, v6, s58
	v_mul_lo_u32 v6, v6, s59
	v_sub_nc_u32_e32 v8, v8, v13
	s_delay_alu instid0(VALU_DEP_3) | instskip(NEXT) | instid1(VALU_DEP_2)
	v_add3_u32 v0, v9, v0, v10
	v_mul_lo_u32 v13, v8, s62
	v_mul_lo_u32 v8, v8, s63
	v_add3_u32 v1, v11, v1, v6
	s_delay_alu instid0(VALU_DEP_3) | instskip(NEXT) | instid1(VALU_DEP_2)
	v_add3_u32 v0, v12, v0, v13
	v_add3_u32 v1, v7, v1, v8
	s_cbranch_scc0 .LBB153_539
	s_branch .LBB153_542
.LBB153_540:
	s_mov_b32 s41, -1
                                        ; implicit-def: $vgpr0
                                        ; implicit-def: $vgpr1
	s_branch .LBB153_545
.LBB153_541:
	v_dual_mov_b32 v2, v5 :: v_dual_mov_b32 v1, 0
.LBB153_542:
	s_and_b32 s43, s43, 3
	s_delay_alu instid0(SALU_CYCLE_1)
	s_cmp_eq_u32 s43, 0
	s_cbranch_scc1 .LBB153_545
; %bb.543:
	s_lshl_b32 s2, s42, 3
	s_mul_i32 s22, s42, 12
	s_add_u32 s2, s2, s16
	s_addc_u32 s3, s17, 0
	s_add_u32 s2, s2, 0xc4
	s_addc_u32 s3, s3, 0
	;; [unrolled: 2-line block ×3, first 2 shown]
	.p2align	6
.LBB153_544:                            ; =>This Inner Loop Header: Depth=1
	s_clause 0x1
	s_load_b64 s[44:45], s[22:23], 0x4
	s_load_b32 s42, s[22:23], 0xc
	s_load_b64 s[46:47], s[2:3], 0x0
	s_add_u32 s22, s22, 12
	s_addc_u32 s23, s23, 0
	s_add_u32 s2, s2, 8
	s_addc_u32 s3, s3, 0
	s_add_i32 s43, s43, -1
	s_delay_alu instid0(SALU_CYCLE_1) | instskip(SKIP_2) | instid1(VALU_DEP_1)
	s_cmp_lg_u32 s43, 0
	s_waitcnt vmcnt(0) lgkmcnt(0)
	v_mul_hi_u32 v6, s45, v2
	v_add_nc_u32_e32 v6, v2, v6
	s_delay_alu instid0(VALU_DEP_1) | instskip(NEXT) | instid1(VALU_DEP_1)
	v_lshrrev_b32_e32 v9, s42, v6
	v_mul_lo_u32 v6, v9, s44
	s_delay_alu instid0(VALU_DEP_1) | instskip(NEXT) | instid1(VALU_DEP_1)
	v_sub_nc_u32_e32 v2, v2, v6
	v_mad_u64_u32 v[6:7], null, v2, s46, v[0:1]
	v_mad_u64_u32 v[7:8], null, v2, s47, v[1:2]
	v_mov_b32_e32 v2, v9
	s_delay_alu instid0(VALU_DEP_2)
	v_dual_mov_b32 v0, v6 :: v_dual_mov_b32 v1, v7
	s_cbranch_scc1 .LBB153_544
.LBB153_545:
	s_and_not1_b32 vcc_lo, exec_lo, s41
	s_cbranch_vccnz .LBB153_548
; %bb.546:
	s_waitcnt lgkmcnt(0)
	v_mul_hi_u32 v0, s13, v5
	s_and_not1_b32 vcc_lo, exec_lo, s29
	s_delay_alu instid0(VALU_DEP_1) | instskip(NEXT) | instid1(VALU_DEP_1)
	v_add_nc_u32_e32 v0, v5, v0
	v_lshrrev_b32_e32 v2, s14, v0
	s_delay_alu instid0(VALU_DEP_1) | instskip(NEXT) | instid1(VALU_DEP_1)
	v_mul_lo_u32 v0, v2, s12
	v_sub_nc_u32_e32 v1, v5, v0
	s_delay_alu instid0(VALU_DEP_1)
	v_mul_lo_u32 v0, v1, s8
	v_mul_lo_u32 v1, v1, s9
	s_cbranch_vccnz .LBB153_548
; %bb.547:
	s_waitcnt vmcnt(0)
	v_mul_hi_u32 v6, s18, v2
	s_delay_alu instid0(VALU_DEP_1) | instskip(NEXT) | instid1(VALU_DEP_1)
	v_add_nc_u32_e32 v6, v2, v6
	v_lshrrev_b32_e32 v6, s19, v6
	s_delay_alu instid0(VALU_DEP_1) | instskip(NEXT) | instid1(VALU_DEP_1)
	v_mul_lo_u32 v6, v6, s15
	v_sub_nc_u32_e32 v2, v2, v6
	s_delay_alu instid0(VALU_DEP_1) | instskip(SKIP_1) | instid1(VALU_DEP_1)
	v_mad_u64_u32 v[6:7], null, v2, s10, v[0:1]
	v_mad_u64_u32 v[7:8], null, v2, s11, v[1:2]
	v_dual_mov_b32 v0, v6 :: v_dual_mov_b32 v1, v7
.LBB153_548:
	v_cmp_gt_i16_e32 vcc_lo, 11, v4
	s_waitcnt lgkmcnt(0)
	s_delay_alu instid0(VALU_DEP_2) | instskip(NEXT) | instid1(VALU_DEP_1)
	v_add_co_u32 v1, s2, s6, v1
	v_add_co_ci_u32_e64 v2, null, s7, 0, s2
	s_mov_b32 s2, 0
	s_cbranch_vccnz .LBB153_555
; %bb.549:
	v_cmp_lt_i16_e32 vcc_lo, 25, v4
	s_cbranch_vccz .LBB153_556
; %bb.550:
	v_cmp_lt_i16_e32 vcc_lo, 28, v4
	s_cbranch_vccz .LBB153_557
	;; [unrolled: 3-line block ×4, first 2 shown]
; %bb.553:
	v_cmp_eq_u16_e32 vcc_lo, 46, v4
	s_mov_b32 s22, 0
	s_cbranch_vccz .LBB153_564
; %bb.554:
	global_load_b32 v6, v[1:2], off
	s_mov_b32 s2, -1
	s_mov_b32 s3, 0
	s_branch .LBB153_566
.LBB153_555:
	s_mov_b32 s22, -1
	s_mov_b32 s3, s37
                                        ; implicit-def: $vgpr6
	s_branch .LBB153_631
.LBB153_556:
	s_mov_b32 s22, -1
	s_mov_b32 s3, s37
                                        ; implicit-def: $vgpr6
	s_branch .LBB153_595
.LBB153_557:
	s_mov_b32 s22, -1
	s_mov_b32 s3, s37
                                        ; implicit-def: $vgpr6
	s_branch .LBB153_576
.LBB153_558:
	s_mov_b32 s22, -1
	s_mov_b32 s3, s37
                                        ; implicit-def: $vgpr6
	s_branch .LBB153_571
.LBB153_559:
	s_or_saveexec_b32 s37, s37
                                        ; implicit-def: $sgpr38
	s_delay_alu instid0(SALU_CYCLE_1)
	s_xor_b32 exec_lo, exec_lo, s37
	s_cbranch_execz .LBB153_370
.LBB153_560:
	v_add_f32_e64 v8, 0x46000000, |v9|
	s_and_not1_b32 s23, s23, exec_lo
	s_mov_b32 s38, 0
	s_delay_alu instid0(VALU_DEP_1) | instskip(NEXT) | instid1(VALU_DEP_1)
	v_and_b32_e32 v8, 0xff, v8
	v_cmp_ne_u32_e32 vcc_lo, 0, v8
	s_and_b32 s40, vcc_lo, exec_lo
	s_delay_alu instid0(SALU_CYCLE_1)
	s_or_b32 s23, s23, s40
	s_or_b32 exec_lo, exec_lo, s37
	v_mov_b32_e32 v10, s38
	s_and_saveexec_b32 s37, s23
	s_cbranch_execnz .LBB153_371
	s_branch .LBB153_372
.LBB153_561:
	s_mov_b32 s22, -1
	s_mov_b32 s3, s37
	s_branch .LBB153_565
.LBB153_562:
	s_or_saveexec_b32 s37, s37
                                        ; implicit-def: $sgpr38
	s_delay_alu instid0(SALU_CYCLE_1)
	s_xor_b32 exec_lo, exec_lo, s37
	s_cbranch_execz .LBB153_383
.LBB153_563:
	v_add_f32_e64 v8, 0x42800000, |v9|
	s_and_not1_b32 s23, s23, exec_lo
	s_mov_b32 s38, 0
	s_delay_alu instid0(VALU_DEP_1) | instskip(NEXT) | instid1(VALU_DEP_1)
	v_and_b32_e32 v8, 0xff, v8
	v_cmp_ne_u32_e32 vcc_lo, 0, v8
	s_and_b32 s40, vcc_lo, exec_lo
	s_delay_alu instid0(SALU_CYCLE_1)
	s_or_b32 s23, s23, s40
	s_or_b32 exec_lo, exec_lo, s37
	v_mov_b32_e32 v10, s38
	s_and_saveexec_b32 s37, s23
	s_cbranch_execnz .LBB153_384
	s_branch .LBB153_385
.LBB153_564:
	s_mov_b32 s3, -1
.LBB153_565:
                                        ; implicit-def: $vgpr6
.LBB153_566:
	s_and_b32 vcc_lo, exec_lo, s22
	s_cbranch_vccz .LBB153_570
; %bb.567:
	v_cmp_eq_u16_e32 vcc_lo, 44, v4
	s_cbranch_vccz .LBB153_569
; %bb.568:
	global_load_u8 v6, v[1:2], off
	s_mov_b32 s3, 0
	s_mov_b32 s2, -1
	s_waitcnt vmcnt(0)
	v_lshlrev_b32_e32 v7, 23, v6
	v_cmp_ne_u32_e32 vcc_lo, 0xff, v6
	s_delay_alu instid0(VALU_DEP_2) | instskip(SKIP_1) | instid1(VALU_DEP_2)
	v_cndmask_b32_e32 v7, 0x7f800001, v7, vcc_lo
	v_cmp_ne_u32_e32 vcc_lo, 0, v6
	v_cndmask_b32_e32 v6, 0x400000, v7, vcc_lo
	s_delay_alu instid0(VALU_DEP_1) | instskip(SKIP_1) | instid1(VALU_DEP_2)
	v_add_nc_u32_e32 v7, 0x7fff, v6
	v_cmp_o_f32_e32 vcc_lo, v6, v6
	v_lshrrev_b32_e32 v7, 16, v7
	s_delay_alu instid0(VALU_DEP_1)
	v_cndmask_b32_e32 v6, 0x7fc0, v7, vcc_lo
	s_branch .LBB153_570
.LBB153_569:
	s_mov_b32 s3, -1
                                        ; implicit-def: $vgpr6
.LBB153_570:
	s_mov_b32 s22, 0
.LBB153_571:
	s_delay_alu instid0(SALU_CYCLE_1)
	s_and_b32 vcc_lo, exec_lo, s22
	s_cbranch_vccz .LBB153_575
; %bb.572:
	v_cmp_eq_u16_e32 vcc_lo, 29, v4
	s_cbranch_vccz .LBB153_574
; %bb.573:
	global_load_b64 v[6:7], v[1:2], off
	s_mov_b32 s2, -1
	s_mov_b32 s3, 0
	s_mov_b32 s22, 0
	s_waitcnt vmcnt(0)
	v_clz_i32_u32_e32 v8, v7
	s_delay_alu instid0(VALU_DEP_1) | instskip(NEXT) | instid1(VALU_DEP_1)
	v_min_u32_e32 v8, 32, v8
	v_lshlrev_b64 v[6:7], v8, v[6:7]
	s_delay_alu instid0(VALU_DEP_1) | instskip(NEXT) | instid1(VALU_DEP_1)
	v_min_u32_e32 v6, 1, v6
	v_or_b32_e32 v6, v7, v6
	v_sub_nc_u32_e32 v7, 32, v8
	s_delay_alu instid0(VALU_DEP_2) | instskip(NEXT) | instid1(VALU_DEP_1)
	v_cvt_f32_u32_e32 v6, v6
	v_ldexp_f32 v6, v6, v7
	s_delay_alu instid0(VALU_DEP_1) | instskip(NEXT) | instid1(VALU_DEP_1)
	v_bfe_u32 v7, v6, 16, 1
	v_add3_u32 v6, v6, v7, 0x7fff
	s_delay_alu instid0(VALU_DEP_1)
	v_lshrrev_b32_e32 v6, 16, v6
	s_branch .LBB153_576
.LBB153_574:
	s_mov_b32 s3, -1
                                        ; implicit-def: $vgpr6
.LBB153_575:
	s_mov_b32 s22, 0
.LBB153_576:
	s_delay_alu instid0(SALU_CYCLE_1)
	s_and_b32 vcc_lo, exec_lo, s22
	s_cbranch_vccz .LBB153_594
; %bb.577:
	v_cmp_gt_i16_e32 vcc_lo, 27, v4
	s_cbranch_vccnz .LBB153_580
; %bb.578:
	v_cmp_lt_i16_e32 vcc_lo, 27, v4
	s_cbranch_vccz .LBB153_581
; %bb.579:
	global_load_b32 v6, v[1:2], off
	s_mov_b32 s2, 0
	s_waitcnt vmcnt(0)
	v_cvt_f32_u32_e32 v6, v6
	s_delay_alu instid0(VALU_DEP_1) | instskip(NEXT) | instid1(VALU_DEP_1)
	v_bfe_u32 v7, v6, 16, 1
	v_add3_u32 v6, v6, v7, 0x7fff
	s_delay_alu instid0(VALU_DEP_1)
	v_lshrrev_b32_e32 v6, 16, v6
	s_branch .LBB153_582
.LBB153_580:
	s_mov_b32 s2, -1
                                        ; implicit-def: $vgpr6
	s_branch .LBB153_585
.LBB153_581:
	s_mov_b32 s2, -1
                                        ; implicit-def: $vgpr6
.LBB153_582:
	s_delay_alu instid0(SALU_CYCLE_1)
	s_and_not1_b32 vcc_lo, exec_lo, s2
	s_cbranch_vccnz .LBB153_584
; %bb.583:
	global_load_u16 v6, v[1:2], off
	s_waitcnt vmcnt(0)
	v_cvt_f32_u32_e32 v6, v6
	s_delay_alu instid0(VALU_DEP_1) | instskip(NEXT) | instid1(VALU_DEP_1)
	v_bfe_u32 v7, v6, 16, 1
	v_add3_u32 v6, v6, v7, 0x7fff
	s_delay_alu instid0(VALU_DEP_1)
	v_lshrrev_b32_e32 v6, 16, v6
.LBB153_584:
	s_mov_b32 s2, 0
.LBB153_585:
	s_delay_alu instid0(SALU_CYCLE_1)
	s_and_not1_b32 vcc_lo, exec_lo, s2
	s_cbranch_vccnz .LBB153_593
; %bb.586:
	global_load_u8 v6, v[1:2], off
	s_mov_b32 s2, 0
	s_mov_b32 s23, exec_lo
                                        ; implicit-def: $sgpr22
	s_waitcnt vmcnt(0)
	v_cmpx_lt_i16_e32 0x7f, v6
	s_xor_b32 s23, exec_lo, s23
	s_cbranch_execz .LBB153_607
; %bb.587:
	s_mov_b32 s2, -1
	s_mov_b32 s41, exec_lo
                                        ; implicit-def: $sgpr22
	v_cmpx_eq_u16_e32 0x80, v6
; %bb.588:
	s_mov_b32 s22, 0x7f800001
	s_xor_b32 s2, exec_lo, -1
; %bb.589:
	s_or_b32 exec_lo, exec_lo, s41
	s_delay_alu instid0(SALU_CYCLE_1)
	s_and_b32 s2, s2, exec_lo
	s_or_saveexec_b32 s23, s23
	v_mov_b32_e32 v7, s22
	s_xor_b32 exec_lo, exec_lo, s23
	s_cbranch_execnz .LBB153_608
.LBB153_590:
	s_or_b32 exec_lo, exec_lo, s23
	s_and_saveexec_b32 s22, s2
	s_cbranch_execz .LBB153_592
.LBB153_591:
	v_and_b32_e32 v7, 0xffff, v6
	v_lshlrev_b32_e32 v6, 24, v6
	s_delay_alu instid0(VALU_DEP_2) | instskip(NEXT) | instid1(VALU_DEP_2)
	v_and_b32_e32 v8, 7, v7
	v_and_b32_e32 v6, 0x80000000, v6
	s_delay_alu instid0(VALU_DEP_2) | instskip(NEXT) | instid1(VALU_DEP_1)
	v_clz_i32_u32_e32 v9, v8
	v_min_u32_e32 v9, 32, v9
	s_delay_alu instid0(VALU_DEP_1) | instskip(SKIP_1) | instid1(VALU_DEP_2)
	v_subrev_nc_u32_e32 v10, 28, v9
	v_sub_nc_u32_e32 v9, 29, v9
	v_lshlrev_b32_e32 v10, v10, v7
	v_bfe_u32 v7, v7, 3, 4
	s_delay_alu instid0(VALU_DEP_2) | instskip(NEXT) | instid1(VALU_DEP_2)
	v_and_b32_e32 v10, 7, v10
	v_cmp_eq_u32_e32 vcc_lo, 0, v7
	s_delay_alu instid0(VALU_DEP_2) | instskip(NEXT) | instid1(VALU_DEP_1)
	v_dual_cndmask_b32 v7, v7, v9 :: v_dual_cndmask_b32 v8, v8, v10
	v_lshl_add_u32 v7, v7, 23, 0x3b800000
	s_delay_alu instid0(VALU_DEP_2) | instskip(NEXT) | instid1(VALU_DEP_1)
	v_lshlrev_b32_e32 v8, 20, v8
	v_or3_b32 v7, v6, v7, v8
.LBB153_592:
	s_or_b32 exec_lo, exec_lo, s22
	s_delay_alu instid0(VALU_DEP_1) | instskip(SKIP_1) | instid1(VALU_DEP_2)
	v_bfe_u32 v6, v7, 16, 1
	v_cmp_o_f32_e32 vcc_lo, v7, v7
	v_add3_u32 v6, v7, v6, 0x7fff
	s_delay_alu instid0(VALU_DEP_1) | instskip(NEXT) | instid1(VALU_DEP_1)
	v_lshrrev_b32_e32 v6, 16, v6
	v_cndmask_b32_e32 v6, 0x7fc0, v6, vcc_lo
.LBB153_593:
	s_mov_b32 s2, -1
.LBB153_594:
	s_mov_b32 s22, 0
.LBB153_595:
	s_delay_alu instid0(SALU_CYCLE_1)
	s_and_b32 vcc_lo, exec_lo, s22
	s_cbranch_vccz .LBB153_630
; %bb.596:
	v_cmp_lt_i16_e32 vcc_lo, 22, v4
	s_cbranch_vccz .LBB153_606
; %bb.597:
	v_cmp_gt_i16_e32 vcc_lo, 24, v4
	s_cbranch_vccnz .LBB153_609
; %bb.598:
	v_cmp_lt_i16_e32 vcc_lo, 24, v4
	s_cbranch_vccz .LBB153_610
; %bb.599:
	global_load_u8 v6, v[1:2], off
	s_mov_b32 s2, 0
	s_mov_b32 s23, exec_lo
                                        ; implicit-def: $sgpr22
	s_waitcnt vmcnt(0)
	v_cmpx_lt_i16_e32 0x7f, v6
	s_xor_b32 s23, exec_lo, s23
	s_cbranch_execz .LBB153_622
; %bb.600:
	s_mov_b32 s2, -1
	s_mov_b32 s41, exec_lo
                                        ; implicit-def: $sgpr22
	v_cmpx_eq_u16_e32 0x80, v6
; %bb.601:
	s_mov_b32 s22, 0x7f800001
	s_xor_b32 s2, exec_lo, -1
; %bb.602:
	s_or_b32 exec_lo, exec_lo, s41
	s_delay_alu instid0(SALU_CYCLE_1)
	s_and_b32 s2, s2, exec_lo
	s_or_saveexec_b32 s23, s23
	v_mov_b32_e32 v7, s22
	s_xor_b32 exec_lo, exec_lo, s23
	s_cbranch_execnz .LBB153_623
.LBB153_603:
	s_or_b32 exec_lo, exec_lo, s23
	s_and_saveexec_b32 s22, s2
	s_cbranch_execz .LBB153_605
.LBB153_604:
	v_and_b32_e32 v7, 0xffff, v6
	v_lshlrev_b32_e32 v6, 24, v6
	s_delay_alu instid0(VALU_DEP_2) | instskip(NEXT) | instid1(VALU_DEP_2)
	v_and_b32_e32 v8, 3, v7
	v_and_b32_e32 v6, 0x80000000, v6
	s_delay_alu instid0(VALU_DEP_2) | instskip(NEXT) | instid1(VALU_DEP_1)
	v_clz_i32_u32_e32 v9, v8
	v_min_u32_e32 v9, 32, v9
	s_delay_alu instid0(VALU_DEP_1) | instskip(SKIP_1) | instid1(VALU_DEP_2)
	v_subrev_nc_u32_e32 v10, 29, v9
	v_sub_nc_u32_e32 v9, 30, v9
	v_lshlrev_b32_e32 v10, v10, v7
	v_bfe_u32 v7, v7, 2, 5
	s_delay_alu instid0(VALU_DEP_2) | instskip(NEXT) | instid1(VALU_DEP_2)
	v_and_b32_e32 v10, 3, v10
	v_cmp_eq_u32_e32 vcc_lo, 0, v7
	s_delay_alu instid0(VALU_DEP_2) | instskip(NEXT) | instid1(VALU_DEP_1)
	v_dual_cndmask_b32 v7, v7, v9 :: v_dual_cndmask_b32 v8, v8, v10
	v_lshl_add_u32 v7, v7, 23, 0x37800000
	s_delay_alu instid0(VALU_DEP_2) | instskip(NEXT) | instid1(VALU_DEP_1)
	v_lshlrev_b32_e32 v8, 21, v8
	v_or3_b32 v7, v6, v7, v8
.LBB153_605:
	s_or_b32 exec_lo, exec_lo, s22
	s_delay_alu instid0(VALU_DEP_1) | instskip(SKIP_2) | instid1(VALU_DEP_2)
	v_bfe_u32 v6, v7, 16, 1
	v_cmp_o_f32_e32 vcc_lo, v7, v7
	s_mov_b32 s2, 0
	v_add3_u32 v6, v7, v6, 0x7fff
	s_delay_alu instid0(VALU_DEP_1) | instskip(NEXT) | instid1(VALU_DEP_1)
	v_lshrrev_b32_e32 v6, 16, v6
	v_cndmask_b32_e32 v6, 0x7fc0, v6, vcc_lo
	s_branch .LBB153_611
.LBB153_606:
	s_mov_b32 s22, -1
                                        ; implicit-def: $vgpr6
	s_branch .LBB153_617
.LBB153_607:
	s_or_saveexec_b32 s23, s23
	v_mov_b32_e32 v7, s22
	s_xor_b32 exec_lo, exec_lo, s23
	s_cbranch_execz .LBB153_590
.LBB153_608:
	v_cmp_ne_u16_e32 vcc_lo, 0, v6
	v_mov_b32_e32 v7, 0
	s_and_not1_b32 s2, s2, exec_lo
	s_and_b32 s22, vcc_lo, exec_lo
	s_delay_alu instid0(SALU_CYCLE_1)
	s_or_b32 s2, s2, s22
	s_or_b32 exec_lo, exec_lo, s23
	s_and_saveexec_b32 s22, s2
	s_cbranch_execnz .LBB153_591
	s_branch .LBB153_592
.LBB153_609:
	s_mov_b32 s2, -1
                                        ; implicit-def: $vgpr6
	s_branch .LBB153_614
.LBB153_610:
	s_mov_b32 s2, -1
                                        ; implicit-def: $vgpr6
.LBB153_611:
	s_delay_alu instid0(SALU_CYCLE_1)
	s_and_b32 vcc_lo, exec_lo, s2
	s_cbranch_vccz .LBB153_613
; %bb.612:
	global_load_u8 v6, v[1:2], off
	s_waitcnt vmcnt(0)
	v_lshlrev_b32_e32 v6, 24, v6
	s_delay_alu instid0(VALU_DEP_1) | instskip(NEXT) | instid1(VALU_DEP_1)
	v_and_b32_e32 v7, 0x7f000000, v6
	v_clz_i32_u32_e32 v8, v7
	v_add_nc_u32_e32 v10, 0x1000000, v7
	v_cmp_ne_u32_e32 vcc_lo, 0, v7
	s_delay_alu instid0(VALU_DEP_3) | instskip(NEXT) | instid1(VALU_DEP_1)
	v_min_u32_e32 v8, 32, v8
	v_sub_nc_u32_e64 v8, v8, 4 clamp
	s_delay_alu instid0(VALU_DEP_1) | instskip(SKIP_1) | instid1(VALU_DEP_2)
	v_lshlrev_b32_e32 v9, v8, v7
	v_lshlrev_b32_e32 v8, 23, v8
	v_lshrrev_b32_e32 v9, 4, v9
	s_delay_alu instid0(VALU_DEP_1) | instskip(SKIP_1) | instid1(VALU_DEP_2)
	v_sub_nc_u32_e32 v8, v9, v8
	v_ashrrev_i32_e32 v9, 8, v10
	v_add_nc_u32_e32 v8, 0x3c000000, v8
	s_delay_alu instid0(VALU_DEP_1) | instskip(NEXT) | instid1(VALU_DEP_1)
	v_and_or_b32 v8, 0x7f800000, v9, v8
	v_cndmask_b32_e32 v7, 0, v8, vcc_lo
	s_delay_alu instid0(VALU_DEP_1) | instskip(SKIP_1) | instid1(VALU_DEP_2)
	v_and_or_b32 v6, 0x80000000, v6, v7
	v_bfe_u32 v7, v7, 16, 1
	v_cmp_o_f32_e32 vcc_lo, v6, v6
	s_delay_alu instid0(VALU_DEP_2) | instskip(NEXT) | instid1(VALU_DEP_1)
	v_add3_u32 v7, v6, v7, 0x7fff
	v_lshrrev_b32_e32 v7, 16, v7
	s_delay_alu instid0(VALU_DEP_1)
	v_cndmask_b32_e32 v6, 0x7fc0, v7, vcc_lo
.LBB153_613:
	s_mov_b32 s2, 0
.LBB153_614:
	s_delay_alu instid0(SALU_CYCLE_1)
	s_and_not1_b32 vcc_lo, exec_lo, s2
	s_cbranch_vccnz .LBB153_616
; %bb.615:
	global_load_u8 v6, v[1:2], off
	s_waitcnt vmcnt(0)
	v_lshlrev_b32_e32 v7, 25, v6
	v_lshlrev_b16 v6, 8, v6
	s_delay_alu instid0(VALU_DEP_2) | instskip(NEXT) | instid1(VALU_DEP_2)
	v_lshrrev_b32_e32 v8, 4, v7
	v_and_or_b32 v9, 0x7f00, v6, 0.5
	v_bfe_i32 v6, v6, 0, 16
	s_delay_alu instid0(VALU_DEP_3) | instskip(NEXT) | instid1(VALU_DEP_1)
	v_or_b32_e32 v8, 0x70000000, v8
	v_dual_add_f32 v9, -0.5, v9 :: v_dual_mul_f32 v8, 0x7800000, v8
	v_cmp_gt_u32_e32 vcc_lo, 0x8000000, v7
	s_delay_alu instid0(VALU_DEP_2) | instskip(NEXT) | instid1(VALU_DEP_1)
	v_cndmask_b32_e32 v7, v8, v9, vcc_lo
	v_and_or_b32 v6, 0x80000000, v6, v7
	v_bfe_u32 v7, v7, 16, 1
	s_delay_alu instid0(VALU_DEP_2) | instskip(NEXT) | instid1(VALU_DEP_2)
	v_cmp_o_f32_e32 vcc_lo, v6, v6
	v_add3_u32 v7, v6, v7, 0x7fff
	s_delay_alu instid0(VALU_DEP_1) | instskip(NEXT) | instid1(VALU_DEP_1)
	v_lshrrev_b32_e32 v7, 16, v7
	v_cndmask_b32_e32 v6, 0x7fc0, v7, vcc_lo
.LBB153_616:
	s_mov_b32 s22, 0
	s_mov_b32 s2, -1
.LBB153_617:
	s_and_not1_b32 vcc_lo, exec_lo, s22
	s_cbranch_vccnz .LBB153_630
; %bb.618:
	v_cmp_lt_i16_e32 vcc_lo, 14, v4
	s_cbranch_vccz .LBB153_621
; %bb.619:
	v_cmp_eq_u16_e32 vcc_lo, 15, v4
	s_cbranch_vccz .LBB153_624
; %bb.620:
	global_load_u16 v6, v[1:2], off
	s_mov_b32 s2, -1
	s_mov_b32 s3, 0
	s_branch .LBB153_625
.LBB153_621:
	s_mov_b32 s22, -1
                                        ; implicit-def: $vgpr6
	s_branch .LBB153_626
.LBB153_622:
	s_or_saveexec_b32 s23, s23
	v_mov_b32_e32 v7, s22
	s_xor_b32 exec_lo, exec_lo, s23
	s_cbranch_execz .LBB153_603
.LBB153_623:
	v_cmp_ne_u16_e32 vcc_lo, 0, v6
	v_mov_b32_e32 v7, 0
	s_and_not1_b32 s2, s2, exec_lo
	s_and_b32 s22, vcc_lo, exec_lo
	s_delay_alu instid0(SALU_CYCLE_1)
	s_or_b32 s2, s2, s22
	s_or_b32 exec_lo, exec_lo, s23
	s_and_saveexec_b32 s22, s2
	s_cbranch_execnz .LBB153_604
	s_branch .LBB153_605
.LBB153_624:
	s_mov_b32 s3, -1
                                        ; implicit-def: $vgpr6
.LBB153_625:
	s_mov_b32 s22, 0
.LBB153_626:
	s_delay_alu instid0(SALU_CYCLE_1)
	s_and_b32 vcc_lo, exec_lo, s22
	s_cbranch_vccz .LBB153_630
; %bb.627:
	v_cmp_eq_u16_e32 vcc_lo, 11, v4
	s_cbranch_vccz .LBB153_629
; %bb.628:
	global_load_u8 v6, v[1:2], off
	s_mov_b32 s3, 0
	s_mov_b32 s2, -1
	s_waitcnt vmcnt(0)
	v_cmp_ne_u16_e32 vcc_lo, 0, v6
	v_cndmask_b32_e64 v6, 0, 1.0, vcc_lo
	s_delay_alu instid0(VALU_DEP_1)
	v_lshrrev_b32_e32 v6, 16, v6
	s_branch .LBB153_630
.LBB153_629:
	s_mov_b32 s3, -1
                                        ; implicit-def: $vgpr6
.LBB153_630:
	s_mov_b32 s22, 0
.LBB153_631:
	s_delay_alu instid0(SALU_CYCLE_1)
	s_and_b32 vcc_lo, exec_lo, s22
	s_cbranch_vccz .LBB153_680
; %bb.632:
	v_cmp_gt_i16_e32 vcc_lo, 5, v4
	s_cbranch_vccnz .LBB153_637
; %bb.633:
	v_cmp_gt_i16_e32 vcc_lo, 8, v4
	s_cbranch_vccnz .LBB153_638
	;; [unrolled: 3-line block ×3, first 2 shown]
; %bb.635:
	v_cmp_lt_i16_e32 vcc_lo, 9, v4
	s_cbranch_vccz .LBB153_640
; %bb.636:
	global_load_b64 v[6:7], v[1:2], off
	s_mov_b32 s2, 0
	s_waitcnt vmcnt(0)
	v_cvt_f32_f64_e32 v6, v[6:7]
	s_delay_alu instid0(VALU_DEP_1) | instskip(SKIP_1) | instid1(VALU_DEP_2)
	v_bfe_u32 v7, v6, 16, 1
	v_cmp_o_f32_e32 vcc_lo, v6, v6
	v_add3_u32 v7, v6, v7, 0x7fff
	s_delay_alu instid0(VALU_DEP_1) | instskip(NEXT) | instid1(VALU_DEP_1)
	v_lshrrev_b32_e32 v7, 16, v7
	v_cndmask_b32_e32 v6, 0x7fc0, v7, vcc_lo
	s_branch .LBB153_641
.LBB153_637:
	s_mov_b32 s2, -1
                                        ; implicit-def: $vgpr6
	s_branch .LBB153_659
.LBB153_638:
	s_mov_b32 s2, -1
                                        ; implicit-def: $vgpr6
	s_branch .LBB153_647
.LBB153_639:
	s_mov_b32 s2, -1
                                        ; implicit-def: $vgpr6
	s_branch .LBB153_644
.LBB153_640:
	s_mov_b32 s2, -1
                                        ; implicit-def: $vgpr6
.LBB153_641:
	s_delay_alu instid0(SALU_CYCLE_1)
	s_and_not1_b32 vcc_lo, exec_lo, s2
	s_cbranch_vccnz .LBB153_643
; %bb.642:
	global_load_b32 v6, v[1:2], off
	s_waitcnt vmcnt(0)
	v_bfe_u32 v7, v6, 16, 1
	v_cmp_o_f32_e32 vcc_lo, v6, v6
	s_delay_alu instid0(VALU_DEP_2) | instskip(NEXT) | instid1(VALU_DEP_1)
	v_add3_u32 v7, v6, v7, 0x7fff
	v_lshrrev_b32_e32 v7, 16, v7
	s_delay_alu instid0(VALU_DEP_1)
	v_cndmask_b32_e32 v6, 0x7fc0, v7, vcc_lo
.LBB153_643:
	s_mov_b32 s2, 0
.LBB153_644:
	s_delay_alu instid0(SALU_CYCLE_1)
	s_and_not1_b32 vcc_lo, exec_lo, s2
	s_cbranch_vccnz .LBB153_646
; %bb.645:
	global_load_b32 v6, v[1:2], off
	s_waitcnt vmcnt(0)
	v_cvt_f32_f16_e32 v7, v6
	v_cmp_o_f16_e32 vcc_lo, v6, v6
	s_delay_alu instid0(VALU_DEP_2) | instskip(NEXT) | instid1(VALU_DEP_1)
	v_bfe_u32 v8, v7, 16, 1
	v_add3_u32 v7, v7, v8, 0x7fff
	s_delay_alu instid0(VALU_DEP_1) | instskip(NEXT) | instid1(VALU_DEP_1)
	v_lshrrev_b32_e32 v7, 16, v7
	v_cndmask_b32_e32 v6, 0x7fc0, v7, vcc_lo
.LBB153_646:
	s_mov_b32 s2, 0
.LBB153_647:
	s_delay_alu instid0(SALU_CYCLE_1)
	s_and_not1_b32 vcc_lo, exec_lo, s2
	s_cbranch_vccnz .LBB153_658
; %bb.648:
	v_cmp_gt_i16_e32 vcc_lo, 6, v4
	s_cbranch_vccnz .LBB153_651
; %bb.649:
	v_cmp_lt_i16_e32 vcc_lo, 6, v4
	s_cbranch_vccz .LBB153_652
; %bb.650:
	global_load_b64 v[6:7], v[1:2], off
	s_mov_b32 s2, 0
	s_waitcnt vmcnt(0)
	v_cvt_f32_f64_e32 v6, v[6:7]
	s_delay_alu instid0(VALU_DEP_1) | instskip(SKIP_1) | instid1(VALU_DEP_2)
	v_bfe_u32 v7, v6, 16, 1
	v_cmp_o_f32_e32 vcc_lo, v6, v6
	v_add3_u32 v7, v6, v7, 0x7fff
	s_delay_alu instid0(VALU_DEP_1) | instskip(NEXT) | instid1(VALU_DEP_1)
	v_lshrrev_b32_e32 v7, 16, v7
	v_cndmask_b32_e32 v6, 0x7fc0, v7, vcc_lo
	s_branch .LBB153_653
.LBB153_651:
	s_mov_b32 s2, -1
                                        ; implicit-def: $vgpr6
	s_branch .LBB153_656
.LBB153_652:
	s_mov_b32 s2, -1
                                        ; implicit-def: $vgpr6
.LBB153_653:
	s_delay_alu instid0(SALU_CYCLE_1)
	s_and_not1_b32 vcc_lo, exec_lo, s2
	s_cbranch_vccnz .LBB153_655
; %bb.654:
	global_load_b32 v6, v[1:2], off
	s_waitcnt vmcnt(0)
	v_bfe_u32 v7, v6, 16, 1
	v_cmp_o_f32_e32 vcc_lo, v6, v6
	s_delay_alu instid0(VALU_DEP_2) | instskip(NEXT) | instid1(VALU_DEP_1)
	v_add3_u32 v7, v6, v7, 0x7fff
	v_lshrrev_b32_e32 v7, 16, v7
	s_delay_alu instid0(VALU_DEP_1)
	v_cndmask_b32_e32 v6, 0x7fc0, v7, vcc_lo
.LBB153_655:
	s_mov_b32 s2, 0
.LBB153_656:
	s_delay_alu instid0(SALU_CYCLE_1)
	s_and_not1_b32 vcc_lo, exec_lo, s2
	s_cbranch_vccnz .LBB153_658
; %bb.657:
	global_load_u16 v6, v[1:2], off
	s_waitcnt vmcnt(0)
	v_cvt_f32_f16_e32 v7, v6
	v_cmp_o_f16_e32 vcc_lo, v6, v6
	s_delay_alu instid0(VALU_DEP_2) | instskip(NEXT) | instid1(VALU_DEP_1)
	v_bfe_u32 v8, v7, 16, 1
	v_add3_u32 v7, v7, v8, 0x7fff
	s_delay_alu instid0(VALU_DEP_1) | instskip(NEXT) | instid1(VALU_DEP_1)
	v_lshrrev_b32_e32 v7, 16, v7
	v_cndmask_b32_e32 v6, 0x7fc0, v7, vcc_lo
.LBB153_658:
	s_mov_b32 s2, 0
.LBB153_659:
	s_delay_alu instid0(SALU_CYCLE_1)
	s_and_not1_b32 vcc_lo, exec_lo, s2
	s_cbranch_vccnz .LBB153_679
; %bb.660:
	v_cmp_gt_i16_e32 vcc_lo, 2, v4
	s_cbranch_vccnz .LBB153_664
; %bb.661:
	v_cmp_gt_i16_e32 vcc_lo, 3, v4
	s_cbranch_vccnz .LBB153_665
; %bb.662:
	v_cmp_lt_i16_e32 vcc_lo, 3, v4
	s_cbranch_vccz .LBB153_666
; %bb.663:
	global_load_b64 v[6:7], v[1:2], off
	s_mov_b32 s2, 0
	s_waitcnt vmcnt(0)
	v_xor_b32_e32 v8, v6, v7
	v_cls_i32_e32 v9, v7
	s_delay_alu instid0(VALU_DEP_2) | instskip(NEXT) | instid1(VALU_DEP_2)
	v_ashrrev_i32_e32 v8, 31, v8
	v_add_nc_u32_e32 v9, -1, v9
	s_delay_alu instid0(VALU_DEP_2) | instskip(NEXT) | instid1(VALU_DEP_1)
	v_add_nc_u32_e32 v8, 32, v8
	v_min_u32_e32 v8, v9, v8
	s_delay_alu instid0(VALU_DEP_1) | instskip(NEXT) | instid1(VALU_DEP_1)
	v_lshlrev_b64 v[6:7], v8, v[6:7]
	v_min_u32_e32 v6, 1, v6
	s_delay_alu instid0(VALU_DEP_1) | instskip(SKIP_1) | instid1(VALU_DEP_2)
	v_or_b32_e32 v6, v7, v6
	v_sub_nc_u32_e32 v7, 32, v8
	v_cvt_f32_i32_e32 v6, v6
	s_delay_alu instid0(VALU_DEP_1) | instskip(NEXT) | instid1(VALU_DEP_1)
	v_ldexp_f32 v6, v6, v7
	v_bfe_u32 v7, v6, 16, 1
	s_delay_alu instid0(VALU_DEP_1) | instskip(NEXT) | instid1(VALU_DEP_1)
	v_add3_u32 v6, v6, v7, 0x7fff
	v_lshrrev_b32_e32 v6, 16, v6
	s_branch .LBB153_667
.LBB153_664:
	s_mov_b32 s2, -1
                                        ; implicit-def: $vgpr6
	s_branch .LBB153_673
.LBB153_665:
	s_mov_b32 s2, -1
                                        ; implicit-def: $vgpr6
	s_branch .LBB153_670
.LBB153_666:
	s_mov_b32 s2, -1
                                        ; implicit-def: $vgpr6
.LBB153_667:
	s_delay_alu instid0(SALU_CYCLE_1)
	s_and_not1_b32 vcc_lo, exec_lo, s2
	s_cbranch_vccnz .LBB153_669
; %bb.668:
	global_load_b32 v6, v[1:2], off
	s_waitcnt vmcnt(0)
	v_cvt_f32_i32_e32 v6, v6
	s_delay_alu instid0(VALU_DEP_1) | instskip(NEXT) | instid1(VALU_DEP_1)
	v_bfe_u32 v7, v6, 16, 1
	v_add3_u32 v6, v6, v7, 0x7fff
	s_delay_alu instid0(VALU_DEP_1)
	v_lshrrev_b32_e32 v6, 16, v6
.LBB153_669:
	s_mov_b32 s2, 0
.LBB153_670:
	s_delay_alu instid0(SALU_CYCLE_1)
	s_and_not1_b32 vcc_lo, exec_lo, s2
	s_cbranch_vccnz .LBB153_672
; %bb.671:
	global_load_i16 v6, v[1:2], off
	s_waitcnt vmcnt(0)
	v_cvt_f32_i32_e32 v6, v6
	s_delay_alu instid0(VALU_DEP_1) | instskip(NEXT) | instid1(VALU_DEP_1)
	v_bfe_u32 v7, v6, 16, 1
	v_add3_u32 v6, v6, v7, 0x7fff
	s_delay_alu instid0(VALU_DEP_1)
	v_lshrrev_b32_e32 v6, 16, v6
.LBB153_672:
	s_mov_b32 s2, 0
.LBB153_673:
	s_delay_alu instid0(SALU_CYCLE_1)
	s_and_not1_b32 vcc_lo, exec_lo, s2
	s_cbranch_vccnz .LBB153_679
; %bb.674:
	v_cmp_lt_i16_e32 vcc_lo, 0, v4
	s_mov_b32 s2, 0
	s_cbranch_vccz .LBB153_676
; %bb.675:
	global_load_i8 v6, v[1:2], off
	s_waitcnt vmcnt(0)
	v_cvt_f32_i32_e32 v6, v6
	s_delay_alu instid0(VALU_DEP_1) | instskip(NEXT) | instid1(VALU_DEP_1)
	v_bfe_u32 v7, v6, 16, 1
	v_add3_u32 v6, v6, v7, 0x7fff
	s_delay_alu instid0(VALU_DEP_1)
	v_lshrrev_b32_e32 v6, 16, v6
	s_branch .LBB153_677
.LBB153_676:
	s_mov_b32 s2, -1
                                        ; implicit-def: $vgpr6
.LBB153_677:
	s_delay_alu instid0(SALU_CYCLE_1)
	s_and_not1_b32 vcc_lo, exec_lo, s2
	s_cbranch_vccnz .LBB153_679
; %bb.678:
	global_load_u8 v1, v[1:2], off
	s_waitcnt vmcnt(0)
	v_cvt_f32_ubyte0_e32 v1, v1
	s_delay_alu instid0(VALU_DEP_1) | instskip(NEXT) | instid1(VALU_DEP_1)
	v_bfe_u32 v2, v1, 16, 1
	v_add3_u32 v1, v1, v2, 0x7fff
	s_delay_alu instid0(VALU_DEP_1)
	v_lshrrev_b32_e32 v6, 16, v1
.LBB153_679:
	s_mov_b32 s2, -1
.LBB153_680:
	s_delay_alu instid0(SALU_CYCLE_1)
	s_and_not1_b32 vcc_lo, exec_lo, s2
	s_cbranch_vccnz .LBB153_688
; %bb.681:
	s_waitcnt vmcnt(0)
	v_lshlrev_b32_e32 v1, 16, v6
	s_mov_b32 s2, 0x395133b1
	s_mov_b32 s22, 0
	s_mov_b32 s23, -1
	s_delay_alu instid0(VALU_DEP_1) | instskip(NEXT) | instid1(VALU_DEP_1)
	v_mul_f32_e32 v2, 0x3fb8aa3b, v1
	v_rndne_f32_e32 v2, v2
	s_delay_alu instid0(VALU_DEP_1) | instskip(SKIP_2) | instid1(VALU_DEP_3)
	v_fmamk_f32 v6, v2, 0xbf317218, v1
	v_cvt_i32_f32_e32 v8, v2
	v_cmp_eq_f32_e32 vcc_lo, 0x43000000, v2
	v_fmamk_f32 v6, v2, 0x3102e308, v6
	s_delay_alu instid0(VALU_DEP_3) | instskip(NEXT) | instid1(VALU_DEP_2)
	v_cndmask_b32_e64 v2, v8, 0x7f, vcc_lo
	v_fmaak_f32 v7, s2, v6, 0x3ab69700
	v_add_co_u32 v0, s2, s4, v0
	s_delay_alu instid0(VALU_DEP_3) | instskip(NEXT) | instid1(VALU_DEP_1)
	v_ldexp_f32 v2, 1.0, v2
	v_dual_fmaak_f32 v7, v6, v7, 0x3c0887f9 :: v_dual_add_f32 v8, -1.0, v2
	s_delay_alu instid0(VALU_DEP_1) | instskip(NEXT) | instid1(VALU_DEP_1)
	v_fmaak_f32 v7, v6, v7, 0x3d2aaa81
	v_fmaak_f32 v7, v6, v7, 0x3e2aaaab
	s_delay_alu instid0(VALU_DEP_1) | instskip(NEXT) | instid1(VALU_DEP_1)
	v_fma_f32 v7, v6, v7, 0.5
	v_mul_f32_e32 v7, v6, v7
	s_delay_alu instid0(VALU_DEP_1) | instskip(NEXT) | instid1(VALU_DEP_1)
	v_fmac_f32_e32 v6, v6, v7
	v_fmac_f32_e32 v8, v2, v6
	v_and_b32_e32 v6, 0xff, v3
	s_delay_alu instid0(VALU_DEP_2) | instskip(NEXT) | instid1(VALU_DEP_1)
	v_add_f32_e32 v2, v8, v8
	v_cndmask_b32_e32 v2, v8, v2, vcc_lo
	v_cmp_nlt_f32_e32 vcc_lo, 0x42b17217, v1
	s_delay_alu instid0(VALU_DEP_2) | instskip(SKIP_1) | instid1(VALU_DEP_2)
	v_cndmask_b32_e32 v2, 0x7f800000, v2, vcc_lo
	v_cmp_ngt_f32_e32 vcc_lo, 0xc1880000, v1
	v_cndmask_b32_e32 v2, -1.0, v2, vcc_lo
	v_cmp_gt_i16_e32 vcc_lo, 11, v6
	s_delay_alu instid0(VALU_DEP_2) | instskip(SKIP_1) | instid1(VALU_DEP_1)
	v_bfe_u32 v1, v2, 16, 1
	s_and_b32 vcc_lo, exec_lo, vcc_lo
	v_add3_u32 v1, v2, v1, 0x7fff
	s_delay_alu instid0(VALU_DEP_1) | instskip(SKIP_2) | instid1(VALU_DEP_1)
	v_lshrrev_b32_e32 v7, 16, v1
	v_add_co_ci_u32_e64 v1, null, s5, 0, s2
	v_cmp_o_f32_e64 s2, v2, v2
	v_cndmask_b32_e64 v2, 0x7fc0, v7, s2
	s_mov_b32 s2, s38
	s_cbranch_vccnz .LBB153_689
; %bb.682:
	v_cmp_lt_i16_e32 vcc_lo, 25, v6
	s_cbranch_vccz .LBB153_730
; %bb.683:
	v_cmp_lt_i16_e32 vcc_lo, 28, v6
	s_cbranch_vccz .LBB153_731
	;; [unrolled: 3-line block ×4, first 2 shown]
; %bb.686:
	v_cmp_eq_u16_e32 vcc_lo, 46, v6
	s_mov_b32 s23, 0
	s_mov_b32 s2, -1
	s_cbranch_vccz .LBB153_734
; %bb.687:
	v_and_b32_e32 v7, 0xffff, v2
	s_mov_b32 s22, -1
	s_mov_b32 s2, 0
	global_store_b32 v[0:1], v7, off
	s_branch .LBB153_734
.LBB153_688:
	s_mov_b32 s41, 0
	s_mov_b32 s2, s38
	s_branch .LBB153_729
.LBB153_689:
	s_and_b32 vcc_lo, exec_lo, s23
	s_cbranch_vccz .LBB153_803
; %bb.690:
	v_cmp_gt_i16_e32 vcc_lo, 5, v6
	s_mov_b32 s22, -1
	s_cbranch_vccnz .LBB153_711
; %bb.691:
	v_cmp_gt_i16_e32 vcc_lo, 8, v6
	s_cbranch_vccnz .LBB153_701
; %bb.692:
	v_cmp_gt_i16_e32 vcc_lo, 9, v6
	s_cbranch_vccnz .LBB153_698
; %bb.693:
	v_cmp_lt_i16_e32 vcc_lo, 9, v6
	s_cbranch_vccz .LBB153_695
; %bb.694:
	v_mov_b32_e32 v9, 0
	v_lshlrev_b32_e32 v7, 16, v2
	s_mov_b32 s22, 0
	s_delay_alu instid0(VALU_DEP_2) | instskip(NEXT) | instid1(VALU_DEP_2)
	v_mov_b32_e32 v10, v9
	v_cvt_f64_f32_e32 v[7:8], v7
	global_store_b128 v[0:1], v[7:10], off
.LBB153_695:
	s_and_not1_b32 vcc_lo, exec_lo, s22
	s_cbranch_vccnz .LBB153_697
; %bb.696:
	v_dual_mov_b32 v8, 0 :: v_dual_lshlrev_b32 v7, 16, v2
	global_store_b64 v[0:1], v[7:8], off
.LBB153_697:
	s_mov_b32 s22, 0
.LBB153_698:
	s_delay_alu instid0(SALU_CYCLE_1)
	s_and_not1_b32 vcc_lo, exec_lo, s22
	s_cbranch_vccnz .LBB153_700
; %bb.699:
	v_lshlrev_b32_e32 v7, 16, v2
	s_delay_alu instid0(VALU_DEP_1) | instskip(NEXT) | instid1(VALU_DEP_1)
	v_cvt_f16_f32_e32 v7, v7
	v_and_b32_e32 v7, 0xffff, v7
	global_store_b32 v[0:1], v7, off
.LBB153_700:
	s_mov_b32 s22, 0
.LBB153_701:
	s_delay_alu instid0(SALU_CYCLE_1)
	s_and_not1_b32 vcc_lo, exec_lo, s22
	s_cbranch_vccnz .LBB153_710
; %bb.702:
	v_cmp_gt_i16_e32 vcc_lo, 6, v6
	s_mov_b32 s22, -1
	s_cbranch_vccnz .LBB153_708
; %bb.703:
	v_cmp_lt_i16_e32 vcc_lo, 6, v6
	s_cbranch_vccz .LBB153_705
; %bb.704:
	v_lshlrev_b32_e32 v7, 16, v2
	s_mov_b32 s22, 0
	s_delay_alu instid0(VALU_DEP_1)
	v_cvt_f64_f32_e32 v[7:8], v7
	global_store_b64 v[0:1], v[7:8], off
.LBB153_705:
	s_and_not1_b32 vcc_lo, exec_lo, s22
	s_cbranch_vccnz .LBB153_707
; %bb.706:
	v_lshlrev_b32_e32 v7, 16, v2
	global_store_b32 v[0:1], v7, off
.LBB153_707:
	s_mov_b32 s22, 0
.LBB153_708:
	s_delay_alu instid0(SALU_CYCLE_1)
	s_and_not1_b32 vcc_lo, exec_lo, s22
	s_cbranch_vccnz .LBB153_710
; %bb.709:
	v_lshlrev_b32_e32 v7, 16, v2
	s_delay_alu instid0(VALU_DEP_1)
	v_cvt_f16_f32_e32 v7, v7
	global_store_b16 v[0:1], v7, off
.LBB153_710:
	s_mov_b32 s22, 0
.LBB153_711:
	s_delay_alu instid0(SALU_CYCLE_1)
	s_and_not1_b32 vcc_lo, exec_lo, s22
	s_cbranch_vccnz .LBB153_727
; %bb.712:
	v_cmp_gt_i16_e32 vcc_lo, 2, v6
	s_mov_b32 s22, -1
	s_cbranch_vccnz .LBB153_722
; %bb.713:
	v_cmp_gt_i16_e32 vcc_lo, 3, v6
	s_cbranch_vccnz .LBB153_719
; %bb.714:
	v_cmp_lt_i16_e32 vcc_lo, 3, v6
	s_cbranch_vccz .LBB153_716
; %bb.715:
	v_lshlrev_b32_e32 v7, 16, v2
	s_mov_b32 s22, 0
	s_delay_alu instid0(VALU_DEP_1) | instskip(NEXT) | instid1(VALU_DEP_1)
	v_trunc_f32_e32 v7, v7
	v_mul_f32_e64 v8, 0x2f800000, |v7|
	v_ashrrev_i32_e32 v10, 31, v7
	s_delay_alu instid0(VALU_DEP_2) | instskip(NEXT) | instid1(VALU_DEP_1)
	v_floor_f32_e32 v8, v8
	v_fma_f32 v9, 0xcf800000, v8, |v7|
	v_cvt_u32_f32_e32 v8, v8
	s_delay_alu instid0(VALU_DEP_2) | instskip(NEXT) | instid1(VALU_DEP_2)
	v_cvt_u32_f32_e32 v7, v9
	v_xor_b32_e32 v8, v8, v10
	s_delay_alu instid0(VALU_DEP_2) | instskip(NEXT) | instid1(VALU_DEP_1)
	v_xor_b32_e32 v7, v7, v10
	v_sub_co_u32 v7, vcc_lo, v7, v10
	s_delay_alu instid0(VALU_DEP_3)
	v_sub_co_ci_u32_e32 v8, vcc_lo, v8, v10, vcc_lo
	global_store_b64 v[0:1], v[7:8], off
.LBB153_716:
	s_and_not1_b32 vcc_lo, exec_lo, s22
	s_cbranch_vccnz .LBB153_718
; %bb.717:
	v_lshlrev_b32_e32 v7, 16, v2
	s_delay_alu instid0(VALU_DEP_1)
	v_cvt_i32_f32_e32 v7, v7
	global_store_b32 v[0:1], v7, off
.LBB153_718:
	s_mov_b32 s22, 0
.LBB153_719:
	s_delay_alu instid0(SALU_CYCLE_1)
	s_and_not1_b32 vcc_lo, exec_lo, s22
	s_cbranch_vccnz .LBB153_721
; %bb.720:
	v_lshlrev_b32_e32 v7, 16, v2
	s_delay_alu instid0(VALU_DEP_1)
	v_cvt_i32_f32_e32 v7, v7
	global_store_b16 v[0:1], v7, off
.LBB153_721:
	s_mov_b32 s22, 0
.LBB153_722:
	s_delay_alu instid0(SALU_CYCLE_1)
	s_and_not1_b32 vcc_lo, exec_lo, s22
	s_cbranch_vccnz .LBB153_727
; %bb.723:
	v_cmp_lt_i16_e32 vcc_lo, 0, v6
	s_mov_b32 s22, -1
	s_cbranch_vccz .LBB153_725
; %bb.724:
	v_lshlrev_b32_e32 v6, 16, v2
	s_mov_b32 s22, 0
	s_delay_alu instid0(VALU_DEP_1)
	v_cvt_i32_f32_e32 v6, v6
	global_store_b8 v[0:1], v6, off
.LBB153_725:
	s_and_not1_b32 vcc_lo, exec_lo, s22
	s_cbranch_vccnz .LBB153_727
; %bb.726:
	v_lshlrev_b32_e32 v2, 16, v2
	s_delay_alu instid0(VALU_DEP_1) | instskip(NEXT) | instid1(VALU_DEP_1)
	v_trunc_f32_e32 v2, v2
	v_mul_f32_e64 v6, 0x2f800000, |v2|
	s_delay_alu instid0(VALU_DEP_1) | instskip(NEXT) | instid1(VALU_DEP_1)
	v_floor_f32_e32 v6, v6
	v_fma_f32 v6, 0xcf800000, v6, |v2|
	v_ashrrev_i32_e32 v2, 31, v2
	s_delay_alu instid0(VALU_DEP_2) | instskip(NEXT) | instid1(VALU_DEP_1)
	v_cvt_u32_f32_e32 v6, v6
	v_xor_b32_e32 v6, v6, v2
	s_delay_alu instid0(VALU_DEP_1)
	v_sub_nc_u32_e32 v2, v6, v2
	global_store_b8 v[0:1], v2, off
.LBB153_727:
	s_branch .LBB153_804
.LBB153_728:
	s_mov_b32 s41, 0
.LBB153_729:
                                        ; implicit-def: $vgpr5
	s_branch .LBB153_805
.LBB153_730:
	s_mov_b32 s2, s38
	s_branch .LBB153_761
.LBB153_731:
	s_mov_b32 s2, s38
	s_branch .LBB153_744
.LBB153_732:
	s_mov_b32 s2, s38
	s_branch .LBB153_740
.LBB153_733:
	s_mov_b32 s2, s38
.LBB153_734:
	s_and_b32 vcc_lo, exec_lo, s23
	s_cbranch_vccz .LBB153_739
; %bb.735:
	v_cmp_eq_u16_e32 vcc_lo, 44, v6
	s_mov_b32 s2, -1
	s_cbranch_vccz .LBB153_739
; %bb.736:
	v_and_b32_e32 v7, 0xffff, v2
	v_mov_b32_e32 v8, 0xff
	s_mov_b32 s22, exec_lo
	s_delay_alu instid0(VALU_DEP_2) | instskip(NEXT) | instid1(VALU_DEP_1)
	v_bfe_u32 v9, v7, 7, 8
	v_cmpx_ne_u32_e32 0xff, v9
; %bb.737:
	v_lshlrev_b32_e32 v8, 16, v7
	v_and_b32_e32 v10, 64, v7
	v_lshrrev_b32_e32 v7, 7, v7
	s_delay_alu instid0(VALU_DEP_3) | instskip(NEXT) | instid1(VALU_DEP_3)
	v_and_or_b32 v8, 0x3f0000, v8, v9
	v_cmp_ne_u32_e32 vcc_lo, 0, v10
	s_delay_alu instid0(VALU_DEP_2) | instskip(NEXT) | instid1(VALU_DEP_1)
	v_cmp_ne_u32_e64 s2, 0, v8
	s_and_b32 s2, vcc_lo, s2
	s_delay_alu instid0(SALU_CYCLE_1) | instskip(NEXT) | instid1(VALU_DEP_1)
	v_cndmask_b32_e64 v8, 0, 1, s2
	v_add_nc_u32_e32 v8, v7, v8
; %bb.738:
	s_or_b32 exec_lo, exec_lo, s22
	s_mov_b32 s22, -1
	s_mov_b32 s2, 0
	global_store_b8 v[0:1], v8, off
.LBB153_739:
	s_mov_b32 s23, 0
.LBB153_740:
	s_delay_alu instid0(SALU_CYCLE_1)
	s_and_b32 vcc_lo, exec_lo, s23
	s_cbranch_vccz .LBB153_743
; %bb.741:
	v_cmp_eq_u16_e32 vcc_lo, 29, v6
	s_mov_b32 s2, -1
	s_cbranch_vccz .LBB153_743
; %bb.742:
	v_lshlrev_b32_e32 v7, 16, v2
	s_mov_b32 s22, -1
	s_mov_b32 s2, 0
	s_mov_b32 s23, 0
	s_delay_alu instid0(VALU_DEP_1) | instskip(NEXT) | instid1(VALU_DEP_1)
	v_trunc_f32_e32 v7, v7
	v_mul_f32_e32 v8, 0x2f800000, v7
	s_delay_alu instid0(VALU_DEP_1) | instskip(NEXT) | instid1(VALU_DEP_1)
	v_floor_f32_e32 v8, v8
	v_fmamk_f32 v7, v8, 0xcf800000, v7
	v_cvt_u32_f32_e32 v8, v8
	s_delay_alu instid0(VALU_DEP_2)
	v_cvt_u32_f32_e32 v7, v7
	global_store_b64 v[0:1], v[7:8], off
	s_branch .LBB153_744
.LBB153_743:
	s_mov_b32 s23, 0
.LBB153_744:
	s_delay_alu instid0(SALU_CYCLE_1)
	s_and_b32 vcc_lo, exec_lo, s23
	s_cbranch_vccz .LBB153_760
; %bb.745:
	v_cmp_gt_i16_e32 vcc_lo, 27, v6
	s_mov_b32 s22, -1
	s_cbranch_vccnz .LBB153_751
; %bb.746:
	v_cmp_lt_i16_e32 vcc_lo, 27, v6
	s_cbranch_vccz .LBB153_748
; %bb.747:
	v_lshlrev_b32_e32 v7, 16, v2
	s_mov_b32 s22, 0
	s_delay_alu instid0(VALU_DEP_1)
	v_cvt_u32_f32_e32 v7, v7
	global_store_b32 v[0:1], v7, off
.LBB153_748:
	s_and_not1_b32 vcc_lo, exec_lo, s22
	s_cbranch_vccnz .LBB153_750
; %bb.749:
	v_lshlrev_b32_e32 v7, 16, v2
	s_delay_alu instid0(VALU_DEP_1)
	v_cvt_u32_f32_e32 v7, v7
	global_store_b16 v[0:1], v7, off
.LBB153_750:
	s_mov_b32 s22, 0
.LBB153_751:
	s_delay_alu instid0(SALU_CYCLE_1)
	s_and_not1_b32 vcc_lo, exec_lo, s22
	s_cbranch_vccnz .LBB153_759
; %bb.752:
	v_dual_mov_b32 v10, 0x80 :: v_dual_lshlrev_b32 v9, 16, v2
	s_mov_b32 s22, exec_lo
	s_delay_alu instid0(VALU_DEP_1) | instskip(NEXT) | instid1(VALU_DEP_1)
	v_and_b32_e32 v8, 0x7fffffff, v9
	v_cmpx_gt_u32_e32 0x43800000, v8
	s_cbranch_execz .LBB153_758
; %bb.753:
	v_and_b32_e32 v7, 0xffff, v2
	v_cmp_lt_u32_e32 vcc_lo, 0x3bffffff, v8
	s_mov_b32 s23, 0
                                        ; implicit-def: $vgpr8
	s_and_saveexec_b32 s41, vcc_lo
	s_delay_alu instid0(SALU_CYCLE_1)
	s_xor_b32 s41, exec_lo, s41
	s_cbranch_execz .LBB153_832
; %bb.754:
	v_bfe_u32 v8, v7, 4, 1
	s_mov_b32 s23, exec_lo
	s_delay_alu instid0(VALU_DEP_1) | instskip(NEXT) | instid1(VALU_DEP_1)
	v_add3_u32 v8, v9, v8, 0x487ffff
                                        ; implicit-def: $vgpr9
	v_lshrrev_b32_e32 v8, 20, v8
	s_or_saveexec_b32 s41, s41
                                        ; implicit-def: $sgpr42
	s_delay_alu instid0(SALU_CYCLE_1)
	s_xor_b32 exec_lo, exec_lo, s41
	s_cbranch_execnz .LBB153_833
.LBB153_755:
	s_or_b32 exec_lo, exec_lo, s41
	v_mov_b32_e32 v10, s42
	s_and_saveexec_b32 s41, s23
.LBB153_756:
	v_lshrrev_b32_e32 v7, 8, v7
	s_delay_alu instid0(VALU_DEP_1)
	v_and_or_b32 v10, 0x80, v7, v8
.LBB153_757:
	s_or_b32 exec_lo, exec_lo, s41
.LBB153_758:
	s_delay_alu instid0(SALU_CYCLE_1)
	s_or_b32 exec_lo, exec_lo, s22
	global_store_b8 v[0:1], v10, off
.LBB153_759:
	s_mov_b32 s22, -1
.LBB153_760:
	s_mov_b32 s23, 0
.LBB153_761:
	s_delay_alu instid0(SALU_CYCLE_1)
	s_and_b32 vcc_lo, exec_lo, s23
	s_cbranch_vccz .LBB153_802
; %bb.762:
	v_cmp_lt_i16_e32 vcc_lo, 22, v6
	s_mov_b32 s23, -1
	s_cbranch_vccz .LBB153_794
; %bb.763:
	v_cmp_gt_i16_e32 vcc_lo, 24, v6
	s_mov_b32 s22, -1
	s_cbranch_vccnz .LBB153_783
; %bb.764:
	v_cmp_lt_i16_e32 vcc_lo, 24, v6
	s_cbranch_vccz .LBB153_772
; %bb.765:
	v_dual_mov_b32 v10, 0x80 :: v_dual_lshlrev_b32 v9, 16, v2
	s_mov_b32 s22, exec_lo
	s_delay_alu instid0(VALU_DEP_1) | instskip(NEXT) | instid1(VALU_DEP_1)
	v_and_b32_e32 v8, 0x7fffffff, v9
	v_cmpx_gt_u32_e32 0x47800000, v8
	s_cbranch_execz .LBB153_771
; %bb.766:
	v_and_b32_e32 v7, 0xffff, v2
	v_cmp_lt_u32_e32 vcc_lo, 0x37ffffff, v8
	s_mov_b32 s23, 0
                                        ; implicit-def: $vgpr8
	s_and_saveexec_b32 s41, vcc_lo
	s_delay_alu instid0(SALU_CYCLE_1)
	s_xor_b32 s41, exec_lo, s41
	s_cbranch_execz .LBB153_835
; %bb.767:
	v_bfe_u32 v8, v7, 5, 1
	s_mov_b32 s23, exec_lo
	s_delay_alu instid0(VALU_DEP_1) | instskip(NEXT) | instid1(VALU_DEP_1)
	v_add3_u32 v8, v9, v8, 0x88fffff
                                        ; implicit-def: $vgpr9
	v_lshrrev_b32_e32 v8, 21, v8
	s_or_saveexec_b32 s41, s41
                                        ; implicit-def: $sgpr42
	s_delay_alu instid0(SALU_CYCLE_1)
	s_xor_b32 exec_lo, exec_lo, s41
	s_cbranch_execnz .LBB153_836
.LBB153_768:
	s_or_b32 exec_lo, exec_lo, s41
	v_mov_b32_e32 v10, s42
	s_and_saveexec_b32 s41, s23
.LBB153_769:
	v_lshrrev_b32_e32 v7, 8, v7
	s_delay_alu instid0(VALU_DEP_1)
	v_and_or_b32 v10, 0x80, v7, v8
.LBB153_770:
	s_or_b32 exec_lo, exec_lo, s41
.LBB153_771:
	s_delay_alu instid0(SALU_CYCLE_1)
	s_or_b32 exec_lo, exec_lo, s22
	s_mov_b32 s22, 0
	global_store_b8 v[0:1], v10, off
.LBB153_772:
	s_and_b32 vcc_lo, exec_lo, s22
	s_cbranch_vccz .LBB153_782
; %bb.773:
	v_lshlrev_b32_e32 v9, 16, v2
	v_and_b32_e32 v7, 0xffff, v2
	s_mov_b32 s22, exec_lo
                                        ; implicit-def: $vgpr8
	s_delay_alu instid0(VALU_DEP_2) | instskip(NEXT) | instid1(VALU_DEP_1)
	v_and_b32_e32 v10, 0x7fffffff, v9
	v_cmpx_gt_u32_e32 0x43f00000, v10
	s_xor_b32 s22, exec_lo, s22
	s_cbranch_execz .LBB153_779
; %bb.774:
	s_mov_b32 s23, exec_lo
                                        ; implicit-def: $vgpr8
	v_cmpx_lt_u32_e32 0x3c7fffff, v10
	s_xor_b32 s23, exec_lo, s23
; %bb.775:
	v_bfe_u32 v8, v7, 4, 1
	s_delay_alu instid0(VALU_DEP_1) | instskip(NEXT) | instid1(VALU_DEP_1)
	v_add3_u32 v8, v9, v8, 0x407ffff
	v_and_b32_e32 v9, 0xff00000, v8
	v_lshrrev_b32_e32 v8, 20, v8
	s_delay_alu instid0(VALU_DEP_2) | instskip(NEXT) | instid1(VALU_DEP_2)
	v_cmp_ne_u32_e32 vcc_lo, 0x7f00000, v9
                                        ; implicit-def: $vgpr9
	v_cndmask_b32_e32 v8, 0x7e, v8, vcc_lo
; %bb.776:
	s_and_not1_saveexec_b32 s23, s23
; %bb.777:
	v_add_f32_e64 v8, 0x46800000, |v9|
; %bb.778:
	s_or_b32 exec_lo, exec_lo, s23
                                        ; implicit-def: $vgpr10
.LBB153_779:
	s_and_not1_saveexec_b32 s22, s22
; %bb.780:
	v_mov_b32_e32 v8, 0x7f
	v_cmp_lt_u32_e32 vcc_lo, 0x7f800000, v10
	s_delay_alu instid0(VALU_DEP_2)
	v_cndmask_b32_e32 v8, 0x7e, v8, vcc_lo
; %bb.781:
	s_or_b32 exec_lo, exec_lo, s22
	v_lshrrev_b32_e32 v7, 8, v7
	s_delay_alu instid0(VALU_DEP_1)
	v_and_or_b32 v7, 0x80, v7, v8
	global_store_b8 v[0:1], v7, off
.LBB153_782:
	s_mov_b32 s22, 0
.LBB153_783:
	s_delay_alu instid0(SALU_CYCLE_1)
	s_and_not1_b32 vcc_lo, exec_lo, s22
	s_cbranch_vccnz .LBB153_793
; %bb.784:
	v_lshlrev_b32_e32 v9, 16, v2
	v_and_b32_e32 v7, 0xffff, v2
	s_mov_b32 s22, exec_lo
                                        ; implicit-def: $vgpr8
	s_delay_alu instid0(VALU_DEP_2) | instskip(NEXT) | instid1(VALU_DEP_1)
	v_and_b32_e32 v10, 0x7fffffff, v9
	v_cmpx_gt_u32_e32 0x47800000, v10
	s_xor_b32 s22, exec_lo, s22
	s_cbranch_execz .LBB153_790
; %bb.785:
	s_mov_b32 s23, exec_lo
                                        ; implicit-def: $vgpr8
	v_cmpx_lt_u32_e32 0x387fffff, v10
	s_xor_b32 s23, exec_lo, s23
; %bb.786:
	v_bfe_u32 v8, v7, 5, 1
	s_delay_alu instid0(VALU_DEP_1) | instskip(NEXT) | instid1(VALU_DEP_1)
	v_add3_u32 v8, v9, v8, 0x80fffff
                                        ; implicit-def: $vgpr9
	v_lshrrev_b32_e32 v8, 21, v8
; %bb.787:
	s_and_not1_saveexec_b32 s23, s23
; %bb.788:
	v_add_f32_e64 v8, 0x43000000, |v9|
; %bb.789:
	s_or_b32 exec_lo, exec_lo, s23
                                        ; implicit-def: $vgpr10
.LBB153_790:
	s_and_not1_saveexec_b32 s22, s22
; %bb.791:
	v_mov_b32_e32 v8, 0x7f
	v_cmp_lt_u32_e32 vcc_lo, 0x7f800000, v10
	s_delay_alu instid0(VALU_DEP_2)
	v_cndmask_b32_e32 v8, 0x7c, v8, vcc_lo
; %bb.792:
	s_or_b32 exec_lo, exec_lo, s22
	v_lshrrev_b32_e32 v7, 8, v7
	s_delay_alu instid0(VALU_DEP_1)
	v_and_or_b32 v7, 0x80, v7, v8
	global_store_b8 v[0:1], v7, off
.LBB153_793:
	s_mov_b32 s23, 0
	s_mov_b32 s22, -1
.LBB153_794:
	s_and_not1_b32 vcc_lo, exec_lo, s23
	s_cbranch_vccnz .LBB153_802
; %bb.795:
	v_cmp_lt_i16_e32 vcc_lo, 14, v6
	s_mov_b32 s23, -1
	s_cbranch_vccz .LBB153_799
; %bb.796:
	v_cmp_eq_u16_e32 vcc_lo, 15, v6
	s_mov_b32 s2, -1
	s_cbranch_vccz .LBB153_798
; %bb.797:
	s_mov_b32 s22, -1
	s_mov_b32 s2, 0
	global_store_b16 v[0:1], v2, off
.LBB153_798:
	s_mov_b32 s23, 0
.LBB153_799:
	s_delay_alu instid0(SALU_CYCLE_1)
	s_and_b32 vcc_lo, exec_lo, s23
	s_cbranch_vccz .LBB153_802
; %bb.800:
	v_cmp_eq_u16_e32 vcc_lo, 11, v6
	s_mov_b32 s2, -1
	s_cbranch_vccz .LBB153_802
; %bb.801:
	v_and_b32_e32 v7, 0x7fff, v2
	s_mov_b32 s2, 0
	s_mov_b32 s22, -1
	s_delay_alu instid0(VALU_DEP_1)
	v_cmp_ne_u16_e32 vcc_lo, 0, v7
	v_cndmask_b32_e64 v7, 0, 1, vcc_lo
	global_store_b8 v[0:1], v7, off
.LBB153_802:
.LBB153_803:
	s_and_not1_b32 vcc_lo, exec_lo, s22
	s_cbranch_vccnz .LBB153_728
.LBB153_804:
	v_add_nc_u32_e32 v5, 0x80, v5
	s_mov_b32 s41, -1
.LBB153_805:
	s_and_not1_b32 s22, s38, exec_lo
	s_and_b32 s2, s2, exec_lo
	s_and_not1_b32 s42, s37, exec_lo
	s_and_b32 s3, s3, exec_lo
	s_or_b32 s23, s22, s2
	s_or_b32 s22, s42, s3
	s_or_not1_b32 s42, s41, exec_lo
.LBB153_806:
	s_or_b32 exec_lo, exec_lo, s40
	s_mov_b32 s2, 0
	s_mov_b32 s3, 0
	;; [unrolled: 1-line block ×3, first 2 shown]
                                        ; implicit-def: $vgpr1_vgpr2
                                        ; implicit-def: $vgpr0
                                        ; implicit-def: $vgpr6
	s_and_saveexec_b32 s40, s42
	s_cbranch_execz .LBB153_904
; %bb.807:
	v_cmp_gt_i32_e32 vcc_lo, s30, v5
	s_mov_b32 s43, s22
	s_mov_b32 s42, 0
                                        ; implicit-def: $vgpr1_vgpr2
                                        ; implicit-def: $vgpr0
                                        ; implicit-def: $vgpr6
	s_and_saveexec_b32 s30, vcc_lo
	s_cbranch_execz .LBB153_903
; %bb.808:
	s_and_not1_b32 vcc_lo, exec_lo, s27
	s_cbranch_vccnz .LBB153_813
; %bb.809:
	v_dual_mov_b32 v0, 0 :: v_dual_mov_b32 v1, 0
	s_and_not1_b32 vcc_lo, exec_lo, s33
	s_mov_b32 s33, 0
	s_cbranch_vccnz .LBB153_818
; %bb.810:
	v_mov_b32_e32 v0, 0
	s_add_i32 s41, s31, 1
	s_cmp_eq_u32 s25, 2
	s_mov_b32 s31, 0
	s_cbranch_scc1 .LBB153_814
; %bb.811:
	v_dual_mov_b32 v1, 0 :: v_dual_mov_b32 v0, 0
	v_mov_b32_e32 v2, v5
	s_and_b32 s31, s41, 28
	s_mov_b64 s[2:3], s[16:17]
.LBB153_812:                            ; =>This Inner Loop Header: Depth=1
	s_clause 0x1
	s_load_b256 s[44:51], s[2:3], 0x4
	s_load_b128 s[60:63], s[2:3], 0x24
	s_load_b256 s[52:59], s[20:21], 0x0
	s_add_u32 s2, s2, 48
	s_addc_u32 s3, s3, 0
	s_add_i32 s42, s42, 4
	s_add_u32 s20, s20, 32
	s_addc_u32 s21, s21, 0
	s_cmp_eq_u32 s31, s42
	s_waitcnt vmcnt(0) lgkmcnt(0)
	v_mul_hi_u32 v6, s45, v2
	s_delay_alu instid0(VALU_DEP_1) | instskip(NEXT) | instid1(VALU_DEP_1)
	v_add_nc_u32_e32 v6, v2, v6
	v_lshrrev_b32_e32 v6, s46, v6
	s_delay_alu instid0(VALU_DEP_1) | instskip(SKIP_1) | instid1(VALU_DEP_2)
	v_mul_hi_u32 v7, s48, v6
	v_mul_lo_u32 v9, v6, s44
	v_add_nc_u32_e32 v7, v6, v7
	s_delay_alu instid0(VALU_DEP_2) | instskip(NEXT) | instid1(VALU_DEP_2)
	v_sub_nc_u32_e32 v2, v2, v9
	v_lshrrev_b32_e32 v7, s49, v7
	s_delay_alu instid0(VALU_DEP_2) | instskip(SKIP_1) | instid1(VALU_DEP_3)
	v_mul_lo_u32 v9, v2, s52
	v_mul_lo_u32 v11, v2, s53
	v_mul_hi_u32 v8, s51, v7
	s_delay_alu instid0(VALU_DEP_1) | instskip(NEXT) | instid1(VALU_DEP_1)
	v_add_nc_u32_e32 v8, v7, v8
	v_lshrrev_b32_e32 v8, s60, v8
	s_delay_alu instid0(VALU_DEP_1) | instskip(SKIP_1) | instid1(VALU_DEP_2)
	v_mul_hi_u32 v10, s62, v8
	v_mul_lo_u32 v12, v8, s50
	v_add_nc_u32_e32 v2, v8, v10
	v_mul_lo_u32 v10, v7, s47
	s_delay_alu instid0(VALU_DEP_3) | instskip(NEXT) | instid1(VALU_DEP_3)
	v_sub_nc_u32_e32 v7, v7, v12
	v_lshrrev_b32_e32 v2, s63, v2
	s_delay_alu instid0(VALU_DEP_2) | instskip(SKIP_2) | instid1(VALU_DEP_4)
	v_mul_lo_u32 v12, v7, s56
	v_mul_lo_u32 v7, v7, s57
	v_sub_nc_u32_e32 v6, v6, v10
	v_mul_lo_u32 v13, v2, s61
	s_delay_alu instid0(VALU_DEP_2) | instskip(SKIP_1) | instid1(VALU_DEP_3)
	v_mul_lo_u32 v10, v6, s54
	v_mul_lo_u32 v6, v6, s55
	v_sub_nc_u32_e32 v8, v8, v13
	s_delay_alu instid0(VALU_DEP_3) | instskip(NEXT) | instid1(VALU_DEP_2)
	v_add3_u32 v0, v9, v0, v10
	v_mul_lo_u32 v13, v8, s58
	v_mul_lo_u32 v8, v8, s59
	v_add3_u32 v1, v11, v1, v6
	s_delay_alu instid0(VALU_DEP_3) | instskip(NEXT) | instid1(VALU_DEP_2)
	v_add3_u32 v0, v12, v0, v13
	v_add3_u32 v1, v7, v1, v8
	s_cbranch_scc0 .LBB153_812
	s_branch .LBB153_815
.LBB153_813:
	s_mov_b32 s33, -1
                                        ; implicit-def: $vgpr0
                                        ; implicit-def: $vgpr1
	s_branch .LBB153_818
.LBB153_814:
	v_dual_mov_b32 v2, v5 :: v_dual_mov_b32 v1, 0
.LBB153_815:
	s_and_b32 s41, s41, 3
	s_delay_alu instid0(SALU_CYCLE_1)
	s_cmp_eq_u32 s41, 0
	s_cbranch_scc1 .LBB153_818
; %bb.816:
	s_lshl_b32 s2, s31, 3
	s_mul_i32 s20, s31, 12
	s_add_u32 s2, s2, s16
	s_addc_u32 s3, s17, 0
	s_add_u32 s2, s2, 0xc4
	s_addc_u32 s3, s3, 0
	;; [unrolled: 2-line block ×3, first 2 shown]
.LBB153_817:                            ; =>This Inner Loop Header: Depth=1
	s_clause 0x1
	s_load_b64 s[42:43], s[20:21], 0x4
	s_load_b32 s31, s[20:21], 0xc
	s_load_b64 s[44:45], s[2:3], 0x0
	s_add_u32 s20, s20, 12
	s_addc_u32 s21, s21, 0
	s_add_u32 s2, s2, 8
	s_addc_u32 s3, s3, 0
	s_add_i32 s41, s41, -1
	s_delay_alu instid0(SALU_CYCLE_1) | instskip(SKIP_2) | instid1(VALU_DEP_1)
	s_cmp_lg_u32 s41, 0
	s_waitcnt vmcnt(0) lgkmcnt(0)
	v_mul_hi_u32 v6, s43, v2
	v_add_nc_u32_e32 v6, v2, v6
	s_delay_alu instid0(VALU_DEP_1) | instskip(NEXT) | instid1(VALU_DEP_1)
	v_lshrrev_b32_e32 v9, s31, v6
	v_mul_lo_u32 v6, v9, s42
	s_delay_alu instid0(VALU_DEP_1) | instskip(NEXT) | instid1(VALU_DEP_1)
	v_sub_nc_u32_e32 v2, v2, v6
	v_mad_u64_u32 v[6:7], null, v2, s44, v[0:1]
	v_mad_u64_u32 v[7:8], null, v2, s45, v[1:2]
	v_mov_b32_e32 v2, v9
	s_delay_alu instid0(VALU_DEP_2)
	v_dual_mov_b32 v0, v6 :: v_dual_mov_b32 v1, v7
	s_cbranch_scc1 .LBB153_817
.LBB153_818:
	s_and_not1_b32 vcc_lo, exec_lo, s33
	s_cbranch_vccnz .LBB153_821
; %bb.819:
	s_waitcnt lgkmcnt(0)
	v_mul_hi_u32 v0, s13, v5
	s_and_not1_b32 vcc_lo, exec_lo, s29
	s_delay_alu instid0(VALU_DEP_1) | instskip(NEXT) | instid1(VALU_DEP_1)
	v_add_nc_u32_e32 v0, v5, v0
	v_lshrrev_b32_e32 v2, s14, v0
	s_delay_alu instid0(VALU_DEP_1) | instskip(NEXT) | instid1(VALU_DEP_1)
	v_mul_lo_u32 v0, v2, s12
	v_sub_nc_u32_e32 v1, v5, v0
	s_delay_alu instid0(VALU_DEP_1)
	v_mul_lo_u32 v0, v1, s8
	v_mul_lo_u32 v1, v1, s9
	s_cbranch_vccnz .LBB153_821
; %bb.820:
	v_mul_hi_u32 v5, s18, v2
	s_delay_alu instid0(VALU_DEP_1) | instskip(NEXT) | instid1(VALU_DEP_1)
	v_add_nc_u32_e32 v5, v2, v5
	v_lshrrev_b32_e32 v5, s19, v5
	s_delay_alu instid0(VALU_DEP_1) | instskip(NEXT) | instid1(VALU_DEP_1)
	v_mul_lo_u32 v5, v5, s15
	v_sub_nc_u32_e32 v2, v2, v5
	s_waitcnt vmcnt(0)
	s_delay_alu instid0(VALU_DEP_1) | instskip(SKIP_1) | instid1(VALU_DEP_1)
	v_mad_u64_u32 v[5:6], null, v2, s10, v[0:1]
	v_mad_u64_u32 v[6:7], null, v2, s11, v[1:2]
	v_dual_mov_b32 v0, v5 :: v_dual_mov_b32 v1, v6
.LBB153_821:
	v_cmp_gt_i16_e32 vcc_lo, 11, v4
	s_waitcnt lgkmcnt(0)
	s_delay_alu instid0(VALU_DEP_2) | instskip(NEXT) | instid1(VALU_DEP_1)
	v_add_co_u32 v1, s2, s6, v1
	v_add_co_ci_u32_e64 v2, null, s7, 0, s2
	s_mov_b32 s6, 0
	s_cbranch_vccnz .LBB153_828
; %bb.822:
	v_cmp_lt_i16_e32 vcc_lo, 25, v4
	s_mov_b32 s3, 0
	s_cbranch_vccz .LBB153_829
; %bb.823:
	v_cmp_lt_i16_e32 vcc_lo, 28, v4
	s_cbranch_vccz .LBB153_830
; %bb.824:
	v_cmp_lt_i16_e32 vcc_lo, 43, v4
	;; [unrolled: 3-line block ×3, first 2 shown]
	s_cbranch_vccz .LBB153_834
; %bb.826:
	v_cmp_eq_u16_e32 vcc_lo, 46, v4
	s_mov_b32 s7, 0
	s_cbranch_vccz .LBB153_837
; %bb.827:
	global_load_b32 v6, v[1:2], off
	s_mov_b32 s2, 0
	s_mov_b32 s6, -1
	s_branch .LBB153_839
.LBB153_828:
	s_mov_b32 s7, -1
	s_mov_b32 s3, 0
	s_mov_b32 s2, s22
                                        ; implicit-def: $vgpr6
	s_branch .LBB153_902
.LBB153_829:
	s_mov_b32 s7, -1
	s_mov_b32 s2, s22
                                        ; implicit-def: $vgpr6
	s_branch .LBB153_868
.LBB153_830:
	s_mov_b32 s7, -1
	s_mov_b32 s2, s22
                                        ; implicit-def: $vgpr6
	s_branch .LBB153_849
.LBB153_831:
	s_mov_b32 s7, -1
	s_mov_b32 s2, s22
                                        ; implicit-def: $vgpr6
	s_branch .LBB153_844
.LBB153_832:
	s_or_saveexec_b32 s41, s41
                                        ; implicit-def: $sgpr42
	s_delay_alu instid0(SALU_CYCLE_1)
	s_xor_b32 exec_lo, exec_lo, s41
	s_cbranch_execz .LBB153_755
.LBB153_833:
	v_add_f32_e64 v8, 0x46000000, |v9|
	s_and_not1_b32 s23, s23, exec_lo
	s_mov_b32 s42, 0
	s_delay_alu instid0(VALU_DEP_1) | instskip(NEXT) | instid1(VALU_DEP_1)
	v_and_b32_e32 v8, 0xff, v8
	v_cmp_ne_u32_e32 vcc_lo, 0, v8
	s_and_b32 s43, vcc_lo, exec_lo
	s_delay_alu instid0(SALU_CYCLE_1)
	s_or_b32 s23, s23, s43
	s_or_b32 exec_lo, exec_lo, s41
	v_mov_b32_e32 v10, s42
	s_and_saveexec_b32 s41, s23
	s_cbranch_execnz .LBB153_756
	s_branch .LBB153_757
.LBB153_834:
	s_mov_b32 s7, -1
	s_mov_b32 s2, s22
	s_branch .LBB153_838
.LBB153_835:
	s_or_saveexec_b32 s41, s41
                                        ; implicit-def: $sgpr42
	s_delay_alu instid0(SALU_CYCLE_1)
	s_xor_b32 exec_lo, exec_lo, s41
	s_cbranch_execz .LBB153_768
.LBB153_836:
	v_add_f32_e64 v8, 0x42800000, |v9|
	s_and_not1_b32 s23, s23, exec_lo
	s_mov_b32 s42, 0
	s_delay_alu instid0(VALU_DEP_1) | instskip(NEXT) | instid1(VALU_DEP_1)
	v_and_b32_e32 v8, 0xff, v8
	v_cmp_ne_u32_e32 vcc_lo, 0, v8
	s_and_b32 s43, vcc_lo, exec_lo
	s_delay_alu instid0(SALU_CYCLE_1)
	s_or_b32 s23, s23, s43
	s_or_b32 exec_lo, exec_lo, s41
	v_mov_b32_e32 v10, s42
	s_and_saveexec_b32 s41, s23
	s_cbranch_execnz .LBB153_769
	s_branch .LBB153_770
.LBB153_837:
	s_mov_b32 s2, -1
.LBB153_838:
                                        ; implicit-def: $vgpr6
.LBB153_839:
	s_and_b32 vcc_lo, exec_lo, s7
	s_cbranch_vccz .LBB153_843
; %bb.840:
	v_cmp_eq_u16_e32 vcc_lo, 44, v4
	s_cbranch_vccz .LBB153_842
; %bb.841:
	global_load_u8 v5, v[1:2], off
	s_mov_b32 s2, 0
	s_mov_b32 s6, -1
	s_waitcnt vmcnt(0)
	v_lshlrev_b32_e32 v6, 23, v5
	v_cmp_ne_u32_e32 vcc_lo, 0xff, v5
	s_delay_alu instid0(VALU_DEP_2) | instskip(SKIP_1) | instid1(VALU_DEP_2)
	v_cndmask_b32_e32 v6, 0x7f800001, v6, vcc_lo
	v_cmp_ne_u32_e32 vcc_lo, 0, v5
	v_cndmask_b32_e32 v5, 0x400000, v6, vcc_lo
	s_delay_alu instid0(VALU_DEP_1) | instskip(SKIP_1) | instid1(VALU_DEP_2)
	v_add_nc_u32_e32 v6, 0x7fff, v5
	v_cmp_o_f32_e32 vcc_lo, v5, v5
	v_lshrrev_b32_e32 v6, 16, v6
	s_delay_alu instid0(VALU_DEP_1)
	v_cndmask_b32_e32 v6, 0x7fc0, v6, vcc_lo
	s_branch .LBB153_843
.LBB153_842:
	s_mov_b32 s2, -1
                                        ; implicit-def: $vgpr6
.LBB153_843:
	s_mov_b32 s7, 0
.LBB153_844:
	s_delay_alu instid0(SALU_CYCLE_1)
	s_and_b32 vcc_lo, exec_lo, s7
	s_cbranch_vccz .LBB153_848
; %bb.845:
	v_cmp_eq_u16_e32 vcc_lo, 29, v4
	s_cbranch_vccz .LBB153_847
; %bb.846:
	global_load_b64 v[5:6], v[1:2], off
	s_mov_b32 s2, 0
	s_mov_b32 s6, -1
	s_mov_b32 s7, 0
	s_waitcnt vmcnt(0)
	v_clz_i32_u32_e32 v7, v6
	s_delay_alu instid0(VALU_DEP_1) | instskip(NEXT) | instid1(VALU_DEP_1)
	v_min_u32_e32 v7, 32, v7
	v_lshlrev_b64 v[5:6], v7, v[5:6]
	s_delay_alu instid0(VALU_DEP_1) | instskip(NEXT) | instid1(VALU_DEP_1)
	v_min_u32_e32 v5, 1, v5
	v_or_b32_e32 v5, v6, v5
	v_sub_nc_u32_e32 v6, 32, v7
	s_delay_alu instid0(VALU_DEP_2) | instskip(NEXT) | instid1(VALU_DEP_1)
	v_cvt_f32_u32_e32 v5, v5
	v_ldexp_f32 v5, v5, v6
	s_delay_alu instid0(VALU_DEP_1) | instskip(NEXT) | instid1(VALU_DEP_1)
	v_bfe_u32 v6, v5, 16, 1
	v_add3_u32 v5, v5, v6, 0x7fff
	s_delay_alu instid0(VALU_DEP_1)
	v_lshrrev_b32_e32 v6, 16, v5
	s_branch .LBB153_849
.LBB153_847:
	s_mov_b32 s2, -1
                                        ; implicit-def: $vgpr6
.LBB153_848:
	s_mov_b32 s7, 0
.LBB153_849:
	s_delay_alu instid0(SALU_CYCLE_1)
	s_and_b32 vcc_lo, exec_lo, s7
	s_cbranch_vccz .LBB153_867
; %bb.850:
	v_cmp_gt_i16_e32 vcc_lo, 27, v4
	s_cbranch_vccnz .LBB153_853
; %bb.851:
	v_cmp_lt_i16_e32 vcc_lo, 27, v4
	s_cbranch_vccz .LBB153_854
; %bb.852:
	global_load_b32 v5, v[1:2], off
	s_mov_b32 s6, 0
	s_waitcnt vmcnt(0)
	v_cvt_f32_u32_e32 v5, v5
	s_delay_alu instid0(VALU_DEP_1) | instskip(NEXT) | instid1(VALU_DEP_1)
	v_bfe_u32 v6, v5, 16, 1
	v_add3_u32 v5, v5, v6, 0x7fff
	s_delay_alu instid0(VALU_DEP_1)
	v_lshrrev_b32_e32 v6, 16, v5
	s_branch .LBB153_855
.LBB153_853:
	s_mov_b32 s6, -1
                                        ; implicit-def: $vgpr6
	s_branch .LBB153_858
.LBB153_854:
	s_mov_b32 s6, -1
                                        ; implicit-def: $vgpr6
.LBB153_855:
	s_delay_alu instid0(SALU_CYCLE_1)
	s_and_not1_b32 vcc_lo, exec_lo, s6
	s_cbranch_vccnz .LBB153_857
; %bb.856:
	global_load_u16 v5, v[1:2], off
	s_waitcnt vmcnt(0)
	v_cvt_f32_u32_e32 v5, v5
	s_delay_alu instid0(VALU_DEP_1) | instskip(NEXT) | instid1(VALU_DEP_1)
	v_bfe_u32 v6, v5, 16, 1
	v_add3_u32 v5, v5, v6, 0x7fff
	s_delay_alu instid0(VALU_DEP_1)
	v_lshrrev_b32_e32 v6, 16, v5
.LBB153_857:
	s_mov_b32 s6, 0
.LBB153_858:
	s_delay_alu instid0(SALU_CYCLE_1)
	s_and_not1_b32 vcc_lo, exec_lo, s6
	s_cbranch_vccnz .LBB153_866
; %bb.859:
	global_load_u8 v5, v[1:2], off
	s_mov_b32 s6, 0
	s_mov_b32 s8, exec_lo
                                        ; implicit-def: $sgpr7
	s_waitcnt vmcnt(0)
	v_cmpx_lt_i16_e32 0x7f, v5
	s_xor_b32 s8, exec_lo, s8
	s_cbranch_execz .LBB153_880
; %bb.860:
	s_mov_b32 s6, -1
	s_mov_b32 s9, exec_lo
                                        ; implicit-def: $sgpr7
	v_cmpx_eq_u16_e32 0x80, v5
; %bb.861:
	s_mov_b32 s7, 0x7f800001
	s_xor_b32 s6, exec_lo, -1
; %bb.862:
	s_or_b32 exec_lo, exec_lo, s9
	s_delay_alu instid0(SALU_CYCLE_1)
	s_and_b32 s6, s6, exec_lo
	s_or_saveexec_b32 s8, s8
	v_mov_b32_e32 v6, s7
	s_xor_b32 exec_lo, exec_lo, s8
	s_cbranch_execnz .LBB153_881
.LBB153_863:
	s_or_b32 exec_lo, exec_lo, s8
	s_and_saveexec_b32 s7, s6
	s_cbranch_execz .LBB153_865
.LBB153_864:
	v_and_b32_e32 v6, 0xffff, v5
	v_lshlrev_b32_e32 v5, 24, v5
	s_delay_alu instid0(VALU_DEP_2) | instskip(NEXT) | instid1(VALU_DEP_2)
	v_and_b32_e32 v7, 7, v6
	v_and_b32_e32 v5, 0x80000000, v5
	s_delay_alu instid0(VALU_DEP_2) | instskip(NEXT) | instid1(VALU_DEP_1)
	v_clz_i32_u32_e32 v8, v7
	v_min_u32_e32 v8, 32, v8
	s_delay_alu instid0(VALU_DEP_1) | instskip(SKIP_1) | instid1(VALU_DEP_2)
	v_subrev_nc_u32_e32 v9, 28, v8
	v_sub_nc_u32_e32 v8, 29, v8
	v_lshlrev_b32_e32 v9, v9, v6
	v_bfe_u32 v6, v6, 3, 4
	s_delay_alu instid0(VALU_DEP_2) | instskip(NEXT) | instid1(VALU_DEP_2)
	v_and_b32_e32 v9, 7, v9
	v_cmp_eq_u32_e32 vcc_lo, 0, v6
	s_delay_alu instid0(VALU_DEP_2) | instskip(NEXT) | instid1(VALU_DEP_1)
	v_dual_cndmask_b32 v6, v6, v8 :: v_dual_cndmask_b32 v7, v7, v9
	v_lshl_add_u32 v6, v6, 23, 0x3b800000
	s_delay_alu instid0(VALU_DEP_2) | instskip(NEXT) | instid1(VALU_DEP_1)
	v_lshlrev_b32_e32 v7, 20, v7
	v_or3_b32 v6, v5, v6, v7
.LBB153_865:
	s_or_b32 exec_lo, exec_lo, s7
	s_delay_alu instid0(VALU_DEP_1) | instskip(SKIP_1) | instid1(VALU_DEP_2)
	v_bfe_u32 v5, v6, 16, 1
	v_cmp_o_f32_e32 vcc_lo, v6, v6
	v_add3_u32 v5, v6, v5, 0x7fff
	s_delay_alu instid0(VALU_DEP_1) | instskip(NEXT) | instid1(VALU_DEP_1)
	v_lshrrev_b32_e32 v5, 16, v5
	v_cndmask_b32_e32 v6, 0x7fc0, v5, vcc_lo
.LBB153_866:
	s_mov_b32 s6, -1
.LBB153_867:
	s_mov_b32 s7, 0
.LBB153_868:
	s_delay_alu instid0(SALU_CYCLE_1)
	s_and_b32 vcc_lo, exec_lo, s7
	s_cbranch_vccz .LBB153_901
; %bb.869:
	v_cmp_lt_i16_e32 vcc_lo, 22, v4
	s_cbranch_vccz .LBB153_879
; %bb.870:
	v_cmp_gt_i16_e32 vcc_lo, 24, v4
	s_cbranch_vccnz .LBB153_882
; %bb.871:
	v_cmp_lt_i16_e32 vcc_lo, 24, v4
	s_cbranch_vccz .LBB153_883
; %bb.872:
	global_load_u8 v5, v[1:2], off
	s_mov_b32 s7, exec_lo
                                        ; implicit-def: $sgpr6
	s_waitcnt vmcnt(0)
	v_cmpx_lt_i16_e32 0x7f, v5
	s_xor_b32 s7, exec_lo, s7
	s_cbranch_execz .LBB153_895
; %bb.873:
	s_mov_b32 s3, -1
	s_mov_b32 s8, exec_lo
                                        ; implicit-def: $sgpr6
	v_cmpx_eq_u16_e32 0x80, v5
; %bb.874:
	s_mov_b32 s6, 0x7f800001
	s_xor_b32 s3, exec_lo, -1
; %bb.875:
	s_or_b32 exec_lo, exec_lo, s8
	s_delay_alu instid0(SALU_CYCLE_1)
	s_and_b32 s3, s3, exec_lo
	s_or_saveexec_b32 s7, s7
	v_mov_b32_e32 v6, s6
	s_xor_b32 exec_lo, exec_lo, s7
	s_cbranch_execnz .LBB153_896
.LBB153_876:
	s_or_b32 exec_lo, exec_lo, s7
	s_and_saveexec_b32 s6, s3
	s_cbranch_execz .LBB153_878
.LBB153_877:
	v_and_b32_e32 v6, 0xffff, v5
	v_lshlrev_b32_e32 v5, 24, v5
	s_delay_alu instid0(VALU_DEP_2) | instskip(NEXT) | instid1(VALU_DEP_2)
	v_and_b32_e32 v7, 3, v6
	v_and_b32_e32 v5, 0x80000000, v5
	s_delay_alu instid0(VALU_DEP_2) | instskip(NEXT) | instid1(VALU_DEP_1)
	v_clz_i32_u32_e32 v8, v7
	v_min_u32_e32 v8, 32, v8
	s_delay_alu instid0(VALU_DEP_1) | instskip(SKIP_1) | instid1(VALU_DEP_2)
	v_subrev_nc_u32_e32 v9, 29, v8
	v_sub_nc_u32_e32 v8, 30, v8
	v_lshlrev_b32_e32 v9, v9, v6
	v_bfe_u32 v6, v6, 2, 5
	s_delay_alu instid0(VALU_DEP_2) | instskip(NEXT) | instid1(VALU_DEP_2)
	v_and_b32_e32 v9, 3, v9
	v_cmp_eq_u32_e32 vcc_lo, 0, v6
	s_delay_alu instid0(VALU_DEP_2) | instskip(NEXT) | instid1(VALU_DEP_1)
	v_dual_cndmask_b32 v6, v6, v8 :: v_dual_cndmask_b32 v7, v7, v9
	v_lshl_add_u32 v6, v6, 23, 0x37800000
	s_delay_alu instid0(VALU_DEP_2) | instskip(NEXT) | instid1(VALU_DEP_1)
	v_lshlrev_b32_e32 v7, 21, v7
	v_or3_b32 v6, v5, v6, v7
.LBB153_878:
	s_or_b32 exec_lo, exec_lo, s6
	s_delay_alu instid0(VALU_DEP_1) | instskip(SKIP_2) | instid1(VALU_DEP_2)
	v_bfe_u32 v5, v6, 16, 1
	v_cmp_o_f32_e32 vcc_lo, v6, v6
	s_mov_b32 s3, 0
	v_add3_u32 v5, v6, v5, 0x7fff
	s_delay_alu instid0(VALU_DEP_1) | instskip(NEXT) | instid1(VALU_DEP_1)
	v_lshrrev_b32_e32 v5, 16, v5
	v_cndmask_b32_e32 v6, 0x7fc0, v5, vcc_lo
	s_branch .LBB153_884
.LBB153_879:
	s_mov_b32 s3, -1
                                        ; implicit-def: $vgpr6
	s_branch .LBB153_890
.LBB153_880:
	s_or_saveexec_b32 s8, s8
	v_mov_b32_e32 v6, s7
	s_xor_b32 exec_lo, exec_lo, s8
	s_cbranch_execz .LBB153_863
.LBB153_881:
	v_cmp_ne_u16_e32 vcc_lo, 0, v5
	v_mov_b32_e32 v6, 0
	s_and_not1_b32 s6, s6, exec_lo
	s_and_b32 s7, vcc_lo, exec_lo
	s_delay_alu instid0(SALU_CYCLE_1)
	s_or_b32 s6, s6, s7
	s_or_b32 exec_lo, exec_lo, s8
	s_and_saveexec_b32 s7, s6
	s_cbranch_execnz .LBB153_864
	s_branch .LBB153_865
.LBB153_882:
	s_mov_b32 s3, -1
                                        ; implicit-def: $vgpr6
	s_branch .LBB153_887
.LBB153_883:
	s_mov_b32 s3, -1
                                        ; implicit-def: $vgpr6
.LBB153_884:
	s_delay_alu instid0(SALU_CYCLE_1)
	s_and_b32 vcc_lo, exec_lo, s3
	s_cbranch_vccz .LBB153_886
; %bb.885:
	global_load_u8 v5, v[1:2], off
	s_waitcnt vmcnt(0)
	v_lshlrev_b32_e32 v5, 24, v5
	s_delay_alu instid0(VALU_DEP_1) | instskip(NEXT) | instid1(VALU_DEP_1)
	v_and_b32_e32 v6, 0x7f000000, v5
	v_clz_i32_u32_e32 v7, v6
	v_add_nc_u32_e32 v9, 0x1000000, v6
	v_cmp_ne_u32_e32 vcc_lo, 0, v6
	s_delay_alu instid0(VALU_DEP_3) | instskip(NEXT) | instid1(VALU_DEP_1)
	v_min_u32_e32 v7, 32, v7
	v_sub_nc_u32_e64 v7, v7, 4 clamp
	s_delay_alu instid0(VALU_DEP_1) | instskip(SKIP_1) | instid1(VALU_DEP_2)
	v_lshlrev_b32_e32 v8, v7, v6
	v_lshlrev_b32_e32 v7, 23, v7
	v_lshrrev_b32_e32 v8, 4, v8
	s_delay_alu instid0(VALU_DEP_1) | instskip(SKIP_1) | instid1(VALU_DEP_2)
	v_sub_nc_u32_e32 v7, v8, v7
	v_ashrrev_i32_e32 v8, 8, v9
	v_add_nc_u32_e32 v7, 0x3c000000, v7
	s_delay_alu instid0(VALU_DEP_1) | instskip(NEXT) | instid1(VALU_DEP_1)
	v_and_or_b32 v7, 0x7f800000, v8, v7
	v_cndmask_b32_e32 v6, 0, v7, vcc_lo
	s_delay_alu instid0(VALU_DEP_1) | instskip(SKIP_1) | instid1(VALU_DEP_2)
	v_and_or_b32 v5, 0x80000000, v5, v6
	v_bfe_u32 v6, v6, 16, 1
	v_cmp_o_f32_e32 vcc_lo, v5, v5
	s_delay_alu instid0(VALU_DEP_2) | instskip(NEXT) | instid1(VALU_DEP_1)
	v_add3_u32 v6, v5, v6, 0x7fff
	v_lshrrev_b32_e32 v6, 16, v6
	s_delay_alu instid0(VALU_DEP_1)
	v_cndmask_b32_e32 v6, 0x7fc0, v6, vcc_lo
.LBB153_886:
	s_mov_b32 s3, 0
.LBB153_887:
	s_delay_alu instid0(SALU_CYCLE_1)
	s_and_not1_b32 vcc_lo, exec_lo, s3
	s_cbranch_vccnz .LBB153_889
; %bb.888:
	global_load_u8 v5, v[1:2], off
	s_waitcnt vmcnt(0)
	v_lshlrev_b32_e32 v6, 25, v5
	v_lshlrev_b16 v5, 8, v5
	s_delay_alu instid0(VALU_DEP_2) | instskip(NEXT) | instid1(VALU_DEP_2)
	v_lshrrev_b32_e32 v7, 4, v6
	v_and_or_b32 v8, 0x7f00, v5, 0.5
	v_bfe_i32 v5, v5, 0, 16
	s_delay_alu instid0(VALU_DEP_3) | instskip(NEXT) | instid1(VALU_DEP_1)
	v_or_b32_e32 v7, 0x70000000, v7
	v_dual_add_f32 v8, -0.5, v8 :: v_dual_mul_f32 v7, 0x7800000, v7
	v_cmp_gt_u32_e32 vcc_lo, 0x8000000, v6
	s_delay_alu instid0(VALU_DEP_2) | instskip(NEXT) | instid1(VALU_DEP_1)
	v_cndmask_b32_e32 v6, v7, v8, vcc_lo
	v_and_or_b32 v5, 0x80000000, v5, v6
	v_bfe_u32 v6, v6, 16, 1
	s_delay_alu instid0(VALU_DEP_2) | instskip(NEXT) | instid1(VALU_DEP_2)
	v_cmp_o_f32_e32 vcc_lo, v5, v5
	v_add3_u32 v6, v5, v6, 0x7fff
	s_delay_alu instid0(VALU_DEP_1) | instskip(NEXT) | instid1(VALU_DEP_1)
	v_lshrrev_b32_e32 v6, 16, v6
	v_cndmask_b32_e32 v6, 0x7fc0, v6, vcc_lo
.LBB153_889:
	s_mov_b32 s3, 0
	s_mov_b32 s6, -1
.LBB153_890:
	s_and_not1_b32 vcc_lo, exec_lo, s3
	s_mov_b32 s3, 0
	s_cbranch_vccnz .LBB153_901
; %bb.891:
	v_cmp_lt_i16_e32 vcc_lo, 14, v4
	s_cbranch_vccz .LBB153_894
; %bb.892:
	v_cmp_eq_u16_e32 vcc_lo, 15, v4
	s_cbranch_vccz .LBB153_897
; %bb.893:
	global_load_u16 v6, v[1:2], off
	s_mov_b32 s2, 0
	s_mov_b32 s6, -1
	s_branch .LBB153_899
.LBB153_894:
	s_mov_b32 s3, -1
	s_branch .LBB153_898
.LBB153_895:
	s_or_saveexec_b32 s7, s7
	v_mov_b32_e32 v6, s6
	s_xor_b32 exec_lo, exec_lo, s7
	s_cbranch_execz .LBB153_876
.LBB153_896:
	v_cmp_ne_u16_e32 vcc_lo, 0, v5
	v_mov_b32_e32 v6, 0
	s_and_not1_b32 s3, s3, exec_lo
	s_and_b32 s6, vcc_lo, exec_lo
	s_delay_alu instid0(SALU_CYCLE_1)
	s_or_b32 s3, s3, s6
	s_or_b32 exec_lo, exec_lo, s7
	s_and_saveexec_b32 s6, s3
	s_cbranch_execnz .LBB153_877
	s_branch .LBB153_878
.LBB153_897:
	s_mov_b32 s2, -1
.LBB153_898:
                                        ; implicit-def: $vgpr6
.LBB153_899:
	s_and_b32 vcc_lo, exec_lo, s3
	s_mov_b32 s3, 0
	s_cbranch_vccz .LBB153_901
; %bb.900:
	v_cmp_ne_u16_e32 vcc_lo, 11, v4
	s_and_not1_b32 s2, s2, exec_lo
	s_mov_b32 s3, -1
                                        ; implicit-def: $vgpr6
	s_and_b32 s7, vcc_lo, exec_lo
	s_delay_alu instid0(SALU_CYCLE_1)
	s_or_b32 s2, s2, s7
.LBB153_901:
	s_mov_b32 s7, 0
.LBB153_902:
	s_and_b32 s41, s6, exec_lo
	s_and_b32 s42, s7, exec_lo
	s_and_not1_b32 s6, s22, exec_lo
	s_and_b32 s7, s2, exec_lo
	s_and_b32 s2, s3, exec_lo
	s_or_b32 s43, s6, s7
.LBB153_903:
	s_or_b32 exec_lo, exec_lo, s30
	s_waitcnt lgkmcnt(0)
	s_and_not1_b32 s6, s22, exec_lo
	s_and_b32 s7, s43, exec_lo
	s_and_b32 s41, s41, exec_lo
	;; [unrolled: 1-line block ×4, first 2 shown]
	s_or_b32 s22, s6, s7
.LBB153_904:
	s_or_b32 exec_lo, exec_lo, s40
	s_waitcnt lgkmcnt(0)
	s_and_not1_b32 s6, s38, exec_lo
	s_and_b32 s7, s23, exec_lo
	s_and_b32 s40, s41, exec_lo
	s_or_b32 s38, s6, s7
	s_and_not1_b32 s6, s37, exec_lo
	s_and_b32 s7, s22, exec_lo
	s_and_b32 s23, s3, exec_lo
	;; [unrolled: 1-line block ×3, first 2 shown]
	s_or_b32 s37, s6, s7
.LBB153_905:
	s_or_b32 exec_lo, exec_lo, s39
	s_delay_alu instid0(SALU_CYCLE_1)
	s_and_not1_b32 s2, s34, exec_lo
	s_waitcnt lgkmcnt(0)
	s_and_b32 s6, s38, exec_lo
	s_and_b32 s7, s37, exec_lo
	s_or_b32 s34, s2, s6
	s_and_not1_b32 s6, s35, exec_lo
	s_and_b32 s2, s40, exec_lo
	s_and_b32 s22, s23, exec_lo
	;; [unrolled: 1-line block ×3, first 2 shown]
	s_or_b32 s35, s6, s7
.LBB153_906:
	s_or_b32 exec_lo, exec_lo, s36
	s_mov_b32 s3, 0
	s_waitcnt lgkmcnt(0)
	s_and_saveexec_b32 s6, s35
	s_cbranch_execnz .LBB153_918
; %bb.907:
	s_or_b32 exec_lo, exec_lo, s6
	s_and_saveexec_b32 s6, s37
	s_delay_alu instid0(SALU_CYCLE_1)
	s_xor_b32 s6, exec_lo, s6
	s_cbranch_execz .LBB153_909
.LBB153_908:
	global_load_u8 v5, v[1:2], off
	s_or_b32 s2, s2, exec_lo
	s_waitcnt vmcnt(0)
	v_cmp_ne_u16_e32 vcc_lo, 0, v5
	v_cndmask_b32_e64 v5, 0, 1.0, vcc_lo
	s_delay_alu instid0(VALU_DEP_1)
	v_lshrrev_b32_e32 v6, 16, v5
.LBB153_909:
	s_or_b32 exec_lo, exec_lo, s6
	s_and_saveexec_b32 s6, s22
	s_cbranch_execz .LBB153_957
; %bb.910:
	v_cmp_gt_i16_e32 vcc_lo, 5, v4
	s_cbranch_vccnz .LBB153_915
; %bb.911:
	v_cmp_gt_i16_e32 vcc_lo, 8, v4
	s_cbranch_vccnz .LBB153_916
	;; [unrolled: 3-line block ×3, first 2 shown]
; %bb.913:
	v_cmp_lt_i16_e32 vcc_lo, 9, v4
	s_cbranch_vccz .LBB153_920
; %bb.914:
	global_load_b64 v[5:6], v[1:2], off
	s_mov_b32 s7, 0
	s_waitcnt vmcnt(0)
	v_cvt_f32_f64_e32 v5, v[5:6]
	s_delay_alu instid0(VALU_DEP_1) | instskip(SKIP_1) | instid1(VALU_DEP_2)
	v_bfe_u32 v6, v5, 16, 1
	v_cmp_o_f32_e32 vcc_lo, v5, v5
	v_add3_u32 v6, v5, v6, 0x7fff
	s_delay_alu instid0(VALU_DEP_1) | instskip(NEXT) | instid1(VALU_DEP_1)
	v_lshrrev_b32_e32 v6, 16, v6
	v_cndmask_b32_e32 v6, 0x7fc0, v6, vcc_lo
	s_branch .LBB153_921
.LBB153_915:
                                        ; implicit-def: $vgpr6
	s_branch .LBB153_938
.LBB153_916:
                                        ; implicit-def: $vgpr6
	s_branch .LBB153_927
.LBB153_917:
	s_mov_b32 s7, -1
                                        ; implicit-def: $vgpr6
	s_branch .LBB153_924
.LBB153_918:
	s_cbranch_execnz .LBB153_1188
; %bb.919:
	s_mov_b32 s3, exec_lo
	s_and_not1_b32 s37, s37, exec_lo
                                        ; implicit-def: $vgpr6
	s_or_b32 exec_lo, exec_lo, s6
	s_and_saveexec_b32 s6, s37
	s_delay_alu instid0(SALU_CYCLE_1)
	s_xor_b32 s6, exec_lo, s6
	s_cbranch_execnz .LBB153_908
	s_branch .LBB153_909
.LBB153_920:
	s_mov_b32 s7, -1
                                        ; implicit-def: $vgpr6
.LBB153_921:
	s_delay_alu instid0(SALU_CYCLE_1)
	s_and_not1_b32 vcc_lo, exec_lo, s7
	s_cbranch_vccnz .LBB153_923
; %bb.922:
	global_load_b32 v5, v[1:2], off
	s_waitcnt vmcnt(0)
	v_bfe_u32 v6, v5, 16, 1
	v_cmp_o_f32_e32 vcc_lo, v5, v5
	s_delay_alu instid0(VALU_DEP_2) | instskip(NEXT) | instid1(VALU_DEP_1)
	v_add3_u32 v6, v5, v6, 0x7fff
	v_lshrrev_b32_e32 v6, 16, v6
	s_delay_alu instid0(VALU_DEP_1)
	v_cndmask_b32_e32 v6, 0x7fc0, v6, vcc_lo
.LBB153_923:
	s_mov_b32 s7, 0
.LBB153_924:
	s_delay_alu instid0(SALU_CYCLE_1)
	s_and_not1_b32 vcc_lo, exec_lo, s7
	s_cbranch_vccnz .LBB153_926
; %bb.925:
	global_load_b32 v5, v[1:2], off
	s_waitcnt vmcnt(0)
	v_cvt_f32_f16_e32 v6, v5
	v_cmp_o_f16_e32 vcc_lo, v5, v5
	s_delay_alu instid0(VALU_DEP_2) | instskip(NEXT) | instid1(VALU_DEP_1)
	v_bfe_u32 v7, v6, 16, 1
	v_add3_u32 v6, v6, v7, 0x7fff
	s_delay_alu instid0(VALU_DEP_1) | instskip(NEXT) | instid1(VALU_DEP_1)
	v_lshrrev_b32_e32 v6, 16, v6
	v_cndmask_b32_e32 v6, 0x7fc0, v6, vcc_lo
.LBB153_926:
	s_cbranch_execnz .LBB153_937
.LBB153_927:
	v_cmp_gt_i16_e32 vcc_lo, 6, v4
	s_cbranch_vccnz .LBB153_930
; %bb.928:
	v_cmp_lt_i16_e32 vcc_lo, 6, v4
	s_cbranch_vccz .LBB153_931
; %bb.929:
	global_load_b64 v[5:6], v[1:2], off
	s_mov_b32 s7, 0
	s_waitcnt vmcnt(0)
	v_cvt_f32_f64_e32 v5, v[5:6]
	s_delay_alu instid0(VALU_DEP_1) | instskip(SKIP_1) | instid1(VALU_DEP_2)
	v_bfe_u32 v6, v5, 16, 1
	v_cmp_o_f32_e32 vcc_lo, v5, v5
	v_add3_u32 v6, v5, v6, 0x7fff
	s_delay_alu instid0(VALU_DEP_1) | instskip(NEXT) | instid1(VALU_DEP_1)
	v_lshrrev_b32_e32 v6, 16, v6
	v_cndmask_b32_e32 v6, 0x7fc0, v6, vcc_lo
	s_branch .LBB153_932
.LBB153_930:
	s_mov_b32 s7, -1
                                        ; implicit-def: $vgpr6
	s_branch .LBB153_935
.LBB153_931:
	s_mov_b32 s7, -1
                                        ; implicit-def: $vgpr6
.LBB153_932:
	s_delay_alu instid0(SALU_CYCLE_1)
	s_and_not1_b32 vcc_lo, exec_lo, s7
	s_cbranch_vccnz .LBB153_934
; %bb.933:
	global_load_b32 v5, v[1:2], off
	s_waitcnt vmcnt(0)
	v_bfe_u32 v6, v5, 16, 1
	v_cmp_o_f32_e32 vcc_lo, v5, v5
	s_delay_alu instid0(VALU_DEP_2) | instskip(NEXT) | instid1(VALU_DEP_1)
	v_add3_u32 v6, v5, v6, 0x7fff
	v_lshrrev_b32_e32 v6, 16, v6
	s_delay_alu instid0(VALU_DEP_1)
	v_cndmask_b32_e32 v6, 0x7fc0, v6, vcc_lo
.LBB153_934:
	s_mov_b32 s7, 0
.LBB153_935:
	s_delay_alu instid0(SALU_CYCLE_1)
	s_and_not1_b32 vcc_lo, exec_lo, s7
	s_cbranch_vccnz .LBB153_937
; %bb.936:
	global_load_u16 v5, v[1:2], off
	s_waitcnt vmcnt(0)
	v_cvt_f32_f16_e32 v6, v5
	v_cmp_o_f16_e32 vcc_lo, v5, v5
	s_delay_alu instid0(VALU_DEP_2) | instskip(NEXT) | instid1(VALU_DEP_1)
	v_bfe_u32 v7, v6, 16, 1
	v_add3_u32 v6, v6, v7, 0x7fff
	s_delay_alu instid0(VALU_DEP_1) | instskip(NEXT) | instid1(VALU_DEP_1)
	v_lshrrev_b32_e32 v6, 16, v6
	v_cndmask_b32_e32 v6, 0x7fc0, v6, vcc_lo
.LBB153_937:
	s_cbranch_execnz .LBB153_956
.LBB153_938:
	v_cmp_gt_i16_e32 vcc_lo, 2, v4
	s_cbranch_vccnz .LBB153_942
; %bb.939:
	v_cmp_gt_i16_e32 vcc_lo, 3, v4
	s_cbranch_vccnz .LBB153_943
; %bb.940:
	v_cmp_lt_i16_e32 vcc_lo, 3, v4
	s_cbranch_vccz .LBB153_944
; %bb.941:
	global_load_b64 v[5:6], v[1:2], off
	s_mov_b32 s7, 0
	s_waitcnt vmcnt(0)
	v_xor_b32_e32 v7, v5, v6
	v_cls_i32_e32 v8, v6
	s_delay_alu instid0(VALU_DEP_2) | instskip(NEXT) | instid1(VALU_DEP_2)
	v_ashrrev_i32_e32 v7, 31, v7
	v_add_nc_u32_e32 v8, -1, v8
	s_delay_alu instid0(VALU_DEP_2) | instskip(NEXT) | instid1(VALU_DEP_1)
	v_add_nc_u32_e32 v7, 32, v7
	v_min_u32_e32 v7, v8, v7
	s_delay_alu instid0(VALU_DEP_1) | instskip(NEXT) | instid1(VALU_DEP_1)
	v_lshlrev_b64 v[5:6], v7, v[5:6]
	v_min_u32_e32 v5, 1, v5
	s_delay_alu instid0(VALU_DEP_1) | instskip(SKIP_1) | instid1(VALU_DEP_2)
	v_or_b32_e32 v5, v6, v5
	v_sub_nc_u32_e32 v6, 32, v7
	v_cvt_f32_i32_e32 v5, v5
	s_delay_alu instid0(VALU_DEP_1) | instskip(NEXT) | instid1(VALU_DEP_1)
	v_ldexp_f32 v5, v5, v6
	v_bfe_u32 v6, v5, 16, 1
	s_delay_alu instid0(VALU_DEP_1) | instskip(NEXT) | instid1(VALU_DEP_1)
	v_add3_u32 v5, v5, v6, 0x7fff
	v_lshrrev_b32_e32 v6, 16, v5
	s_branch .LBB153_945
.LBB153_942:
                                        ; implicit-def: $vgpr6
	s_branch .LBB153_951
.LBB153_943:
	s_mov_b32 s7, -1
                                        ; implicit-def: $vgpr6
	s_branch .LBB153_948
.LBB153_944:
	s_mov_b32 s7, -1
                                        ; implicit-def: $vgpr6
.LBB153_945:
	s_delay_alu instid0(SALU_CYCLE_1)
	s_and_not1_b32 vcc_lo, exec_lo, s7
	s_cbranch_vccnz .LBB153_947
; %bb.946:
	global_load_b32 v5, v[1:2], off
	s_waitcnt vmcnt(0)
	v_cvt_f32_i32_e32 v5, v5
	s_delay_alu instid0(VALU_DEP_1) | instskip(NEXT) | instid1(VALU_DEP_1)
	v_bfe_u32 v6, v5, 16, 1
	v_add3_u32 v5, v5, v6, 0x7fff
	s_delay_alu instid0(VALU_DEP_1)
	v_lshrrev_b32_e32 v6, 16, v5
.LBB153_947:
	s_mov_b32 s7, 0
.LBB153_948:
	s_delay_alu instid0(SALU_CYCLE_1)
	s_and_not1_b32 vcc_lo, exec_lo, s7
	s_cbranch_vccnz .LBB153_950
; %bb.949:
	global_load_i16 v5, v[1:2], off
	s_waitcnt vmcnt(0)
	v_cvt_f32_i32_e32 v5, v5
	s_delay_alu instid0(VALU_DEP_1) | instskip(NEXT) | instid1(VALU_DEP_1)
	v_bfe_u32 v6, v5, 16, 1
	v_add3_u32 v5, v5, v6, 0x7fff
	s_delay_alu instid0(VALU_DEP_1)
	v_lshrrev_b32_e32 v6, 16, v5
.LBB153_950:
	s_cbranch_execnz .LBB153_956
.LBB153_951:
	v_cmp_lt_i16_e32 vcc_lo, 0, v4
	s_mov_b32 s7, 0
	s_cbranch_vccz .LBB153_953
; %bb.952:
	global_load_i8 v4, v[1:2], off
	s_waitcnt vmcnt(0)
	v_cvt_f32_i32_e32 v4, v4
	s_delay_alu instid0(VALU_DEP_1) | instskip(NEXT) | instid1(VALU_DEP_1)
	v_bfe_u32 v5, v4, 16, 1
	v_add3_u32 v4, v4, v5, 0x7fff
	s_delay_alu instid0(VALU_DEP_1)
	v_lshrrev_b32_e32 v6, 16, v4
	s_branch .LBB153_954
.LBB153_953:
	s_mov_b32 s7, -1
                                        ; implicit-def: $vgpr6
.LBB153_954:
	s_delay_alu instid0(SALU_CYCLE_1)
	s_and_not1_b32 vcc_lo, exec_lo, s7
	s_cbranch_vccnz .LBB153_956
; %bb.955:
	global_load_u8 v1, v[1:2], off
	s_waitcnt vmcnt(0)
	v_cvt_f32_ubyte0_e32 v1, v1
	s_delay_alu instid0(VALU_DEP_1) | instskip(NEXT) | instid1(VALU_DEP_1)
	v_bfe_u32 v2, v1, 16, 1
	v_add3_u32 v1, v1, v2, 0x7fff
	s_delay_alu instid0(VALU_DEP_1)
	v_lshrrev_b32_e32 v6, 16, v1
.LBB153_956:
	s_or_b32 s2, s2, exec_lo
.LBB153_957:
	s_or_b32 exec_lo, exec_lo, s6
	s_mov_b32 s8, 0
	s_mov_b32 s7, 0
                                        ; implicit-def: $vgpr5
                                        ; implicit-def: $vgpr1_vgpr2
                                        ; implicit-def: $vgpr4
	s_and_saveexec_b32 s6, s2
	s_cbranch_execz .LBB153_1034
; %bb.958:
	s_waitcnt vmcnt(0)
	v_lshlrev_b32_e32 v1, 16, v6
	s_mov_b32 s2, 0x395133b1
	s_delay_alu instid0(VALU_DEP_1) | instskip(NEXT) | instid1(VALU_DEP_1)
	v_mul_f32_e32 v2, 0x3fb8aa3b, v1
	v_rndne_f32_e32 v2, v2
	s_delay_alu instid0(VALU_DEP_1) | instskip(SKIP_2) | instid1(VALU_DEP_3)
	v_fmamk_f32 v4, v2, 0xbf317218, v1
	v_cvt_i32_f32_e32 v6, v2
	v_cmp_eq_f32_e32 vcc_lo, 0x43000000, v2
	v_fmamk_f32 v4, v2, 0x3102e308, v4
	s_delay_alu instid0(VALU_DEP_3) | instskip(NEXT) | instid1(VALU_DEP_1)
	v_cndmask_b32_e64 v2, v6, 0x7f, vcc_lo
	v_ldexp_f32 v2, 1.0, v2
	s_delay_alu instid0(VALU_DEP_1) | instskip(NEXT) | instid1(VALU_DEP_1)
	v_dual_fmaak_f32 v5, s2, v4, 0x3ab69700 :: v_dual_add_f32 v6, -1.0, v2
	v_fmaak_f32 v5, v4, v5, 0x3c0887f9
	s_delay_alu instid0(VALU_DEP_1) | instskip(NEXT) | instid1(VALU_DEP_1)
	v_fmaak_f32 v5, v4, v5, 0x3d2aaa81
	v_fmaak_f32 v5, v4, v5, 0x3e2aaaab
	s_delay_alu instid0(VALU_DEP_1) | instskip(NEXT) | instid1(VALU_DEP_1)
	v_fma_f32 v5, v4, v5, 0.5
	v_mul_f32_e32 v5, v4, v5
	s_delay_alu instid0(VALU_DEP_1) | instskip(NEXT) | instid1(VALU_DEP_1)
	v_dual_fmac_f32 v4, v4, v5 :: v_dual_and_b32 v5, 0xff, v3
	v_fmac_f32_e32 v6, v2, v4
	s_delay_alu instid0(VALU_DEP_1) | instskip(NEXT) | instid1(VALU_DEP_1)
	v_add_f32_e32 v2, v6, v6
	v_cndmask_b32_e32 v2, v6, v2, vcc_lo
	v_cmp_nlt_f32_e32 vcc_lo, 0x42b17217, v1
	s_delay_alu instid0(VALU_DEP_2) | instskip(SKIP_1) | instid1(VALU_DEP_2)
	v_cndmask_b32_e32 v2, 0x7f800000, v2, vcc_lo
	v_cmp_ngt_f32_e32 vcc_lo, 0xc1880000, v1
	v_cndmask_b32_e32 v4, -1.0, v2, vcc_lo
	v_cmp_gt_i16_e32 vcc_lo, 11, v5
	s_delay_alu instid0(VALU_DEP_2) | instskip(SKIP_1) | instid1(VALU_DEP_1)
	v_bfe_u32 v1, v4, 16, 1
	s_and_b32 vcc_lo, exec_lo, vcc_lo
	v_add3_u32 v1, v4, v1, 0x7fff
	s_delay_alu instid0(VALU_DEP_1) | instskip(SKIP_1) | instid1(VALU_DEP_1)
	v_lshrrev_b32_e32 v3, 16, v1
	v_add_co_u32 v1, s2, s4, v0
	v_add_co_ci_u32_e64 v2, null, s5, 0, s2
	v_cmp_o_f32_e64 s2, v4, v4
	s_mov_b32 s4, -1
	s_delay_alu instid0(VALU_DEP_1)
	v_cndmask_b32_e64 v4, 0x7fc0, v3, s2
	s_mov_b32 s2, s34
	s_cbranch_vccnz .LBB153_1033
; %bb.959:
	v_cmp_lt_i16_e32 vcc_lo, 25, v5
	s_mov_b32 s2, s34
	s_cbranch_vccz .LBB153_992
; %bb.960:
	v_cmp_lt_i16_e32 vcc_lo, 28, v5
	s_mov_b32 s2, s34
	s_cbranch_vccz .LBB153_976
	;; [unrolled: 4-line block ×4, first 2 shown]
; %bb.963:
	v_cmp_eq_u16_e32 vcc_lo, 46, v5
	s_mov_b32 s2, -1
	s_cbranch_vccz .LBB153_965
; %bb.964:
	v_and_b32_e32 v0, 0xffff, v4
	s_mov_b32 s2, 0
	global_store_b32 v[1:2], v0, off
.LBB153_965:
	s_mov_b32 s4, 0
.LBB153_966:
	s_delay_alu instid0(SALU_CYCLE_1)
	s_and_b32 vcc_lo, exec_lo, s4
	s_cbranch_vccz .LBB153_971
; %bb.967:
	v_cmp_eq_u16_e32 vcc_lo, 44, v5
	s_mov_b32 s2, -1
	s_cbranch_vccz .LBB153_971
; %bb.968:
	v_and_b32_e32 v0, 0xffff, v4
	v_mov_b32_e32 v3, 0xff
	s_mov_b32 s4, exec_lo
	s_delay_alu instid0(VALU_DEP_2) | instskip(NEXT) | instid1(VALU_DEP_1)
	v_bfe_u32 v6, v0, 7, 8
	v_cmpx_ne_u32_e32 0xff, v6
; %bb.969:
	v_lshlrev_b32_e32 v3, 16, v0
	v_and_b32_e32 v7, 64, v0
	v_lshrrev_b32_e32 v0, 7, v0
	s_delay_alu instid0(VALU_DEP_3) | instskip(NEXT) | instid1(VALU_DEP_3)
	v_and_or_b32 v3, 0x3f0000, v3, v6
	v_cmp_ne_u32_e32 vcc_lo, 0, v7
	s_delay_alu instid0(VALU_DEP_2) | instskip(NEXT) | instid1(VALU_DEP_1)
	v_cmp_ne_u32_e64 s2, 0, v3
	s_and_b32 s2, vcc_lo, s2
	s_delay_alu instid0(SALU_CYCLE_1) | instskip(NEXT) | instid1(VALU_DEP_1)
	v_cndmask_b32_e64 v3, 0, 1, s2
	v_add_nc_u32_e32 v3, v0, v3
; %bb.970:
	s_or_b32 exec_lo, exec_lo, s4
	s_mov_b32 s2, 0
	global_store_b8 v[1:2], v3, off
.LBB153_971:
	s_mov_b32 s4, 0
.LBB153_972:
	s_delay_alu instid0(SALU_CYCLE_1)
	s_and_b32 vcc_lo, exec_lo, s4
	s_cbranch_vccz .LBB153_975
; %bb.973:
	v_cmp_eq_u16_e32 vcc_lo, 29, v5
	s_mov_b32 s2, -1
	s_cbranch_vccz .LBB153_975
; %bb.974:
	v_lshlrev_b32_e32 v0, 16, v4
	s_mov_b32 s2, 0
	s_delay_alu instid0(VALU_DEP_1) | instskip(NEXT) | instid1(VALU_DEP_1)
	v_trunc_f32_e32 v0, v0
	v_mul_f32_e32 v3, 0x2f800000, v0
	s_delay_alu instid0(VALU_DEP_1) | instskip(NEXT) | instid1(VALU_DEP_1)
	v_floor_f32_e32 v3, v3
	v_fmamk_f32 v0, v3, 0xcf800000, v0
	v_cvt_u32_f32_e32 v7, v3
	s_delay_alu instid0(VALU_DEP_2)
	v_cvt_u32_f32_e32 v6, v0
	global_store_b64 v[1:2], v[6:7], off
.LBB153_975:
	s_mov_b32 s4, 0
.LBB153_976:
	s_delay_alu instid0(SALU_CYCLE_1)
	s_and_b32 vcc_lo, exec_lo, s4
	s_cbranch_vccz .LBB153_991
; %bb.977:
	v_cmp_gt_i16_e32 vcc_lo, 27, v5
	s_mov_b32 s4, -1
	s_cbranch_vccnz .LBB153_983
; %bb.978:
	v_cmp_lt_i16_e32 vcc_lo, 27, v5
	s_cbranch_vccz .LBB153_980
; %bb.979:
	v_lshlrev_b32_e32 v0, 16, v4
	s_mov_b32 s4, 0
	s_delay_alu instid0(VALU_DEP_1)
	v_cvt_u32_f32_e32 v0, v0
	global_store_b32 v[1:2], v0, off
.LBB153_980:
	s_and_not1_b32 vcc_lo, exec_lo, s4
	s_cbranch_vccnz .LBB153_982
; %bb.981:
	v_lshlrev_b32_e32 v0, 16, v4
	s_delay_alu instid0(VALU_DEP_1)
	v_cvt_u32_f32_e32 v0, v0
	global_store_b16 v[1:2], v0, off
.LBB153_982:
	s_mov_b32 s4, 0
.LBB153_983:
	s_delay_alu instid0(SALU_CYCLE_1)
	s_and_not1_b32 vcc_lo, exec_lo, s4
	s_cbranch_vccnz .LBB153_991
; %bb.984:
	v_dual_mov_b32 v7, 0x80 :: v_dual_lshlrev_b32 v6, 16, v4
	s_mov_b32 s4, exec_lo
	s_delay_alu instid0(VALU_DEP_1) | instskip(NEXT) | instid1(VALU_DEP_1)
	v_and_b32_e32 v3, 0x7fffffff, v6
	v_cmpx_gt_u32_e32 0x43800000, v3
	s_cbranch_execz .LBB153_990
; %bb.985:
	v_and_b32_e32 v0, 0xffff, v4
	v_cmp_lt_u32_e32 vcc_lo, 0x3bffffff, v3
	s_mov_b32 s5, 0
                                        ; implicit-def: $vgpr3
	s_and_saveexec_b32 s7, vcc_lo
	s_delay_alu instid0(SALU_CYCLE_1)
	s_xor_b32 s7, exec_lo, s7
	s_cbranch_execz .LBB153_1279
; %bb.986:
	v_bfe_u32 v3, v0, 4, 1
	s_mov_b32 s5, exec_lo
	s_delay_alu instid0(VALU_DEP_1) | instskip(NEXT) | instid1(VALU_DEP_1)
	v_add3_u32 v3, v6, v3, 0x487ffff
                                        ; implicit-def: $vgpr6
	v_lshrrev_b32_e32 v3, 20, v3
	s_or_saveexec_b32 s7, s7
                                        ; implicit-def: $sgpr8
	s_delay_alu instid0(SALU_CYCLE_1)
	s_xor_b32 exec_lo, exec_lo, s7
	s_cbranch_execnz .LBB153_1280
.LBB153_987:
	s_or_b32 exec_lo, exec_lo, s7
	v_mov_b32_e32 v7, s8
	s_and_saveexec_b32 s7, s5
.LBB153_988:
	v_lshrrev_b32_e32 v0, 8, v0
	s_delay_alu instid0(VALU_DEP_1)
	v_and_or_b32 v7, 0x80, v0, v3
.LBB153_989:
	s_or_b32 exec_lo, exec_lo, s7
.LBB153_990:
	s_delay_alu instid0(SALU_CYCLE_1)
	s_or_b32 exec_lo, exec_lo, s4
	global_store_b8 v[1:2], v7, off
.LBB153_991:
	s_mov_b32 s4, 0
.LBB153_992:
	s_delay_alu instid0(SALU_CYCLE_1)
	s_and_b32 vcc_lo, exec_lo, s4
	s_mov_b32 s4, 0
	s_cbranch_vccz .LBB153_1032
; %bb.993:
	v_cmp_lt_i16_e32 vcc_lo, 22, v5
	s_mov_b32 s5, -1
	s_cbranch_vccz .LBB153_1025
; %bb.994:
	v_cmp_gt_i16_e32 vcc_lo, 24, v5
	s_cbranch_vccnz .LBB153_1014
; %bb.995:
	v_cmp_lt_i16_e32 vcc_lo, 24, v5
	s_cbranch_vccz .LBB153_1003
; %bb.996:
	v_dual_mov_b32 v7, 0x80 :: v_dual_lshlrev_b32 v6, 16, v4
	s_mov_b32 s5, exec_lo
	s_delay_alu instid0(VALU_DEP_1) | instskip(NEXT) | instid1(VALU_DEP_1)
	v_and_b32_e32 v3, 0x7fffffff, v6
	v_cmpx_gt_u32_e32 0x47800000, v3
	s_cbranch_execz .LBB153_1002
; %bb.997:
	v_and_b32_e32 v0, 0xffff, v4
	v_cmp_lt_u32_e32 vcc_lo, 0x37ffffff, v3
	s_mov_b32 s7, 0
                                        ; implicit-def: $vgpr3
	s_and_saveexec_b32 s8, vcc_lo
	s_delay_alu instid0(SALU_CYCLE_1)
	s_xor_b32 s8, exec_lo, s8
	s_cbranch_execz .LBB153_1323
; %bb.998:
	v_bfe_u32 v3, v0, 5, 1
	s_mov_b32 s7, exec_lo
	s_delay_alu instid0(VALU_DEP_1) | instskip(NEXT) | instid1(VALU_DEP_1)
	v_add3_u32 v3, v6, v3, 0x88fffff
                                        ; implicit-def: $vgpr6
	v_lshrrev_b32_e32 v3, 21, v3
	s_or_saveexec_b32 s8, s8
                                        ; implicit-def: $sgpr9
	s_delay_alu instid0(SALU_CYCLE_1)
	s_xor_b32 exec_lo, exec_lo, s8
	s_cbranch_execnz .LBB153_1324
.LBB153_999:
	s_or_b32 exec_lo, exec_lo, s8
	v_mov_b32_e32 v7, s9
	s_and_saveexec_b32 s8, s7
.LBB153_1000:
	v_lshrrev_b32_e32 v0, 8, v0
	s_delay_alu instid0(VALU_DEP_1)
	v_and_or_b32 v7, 0x80, v0, v3
.LBB153_1001:
	s_or_b32 exec_lo, exec_lo, s8
.LBB153_1002:
	s_delay_alu instid0(SALU_CYCLE_1)
	s_or_b32 exec_lo, exec_lo, s5
	s_mov_b32 s5, 0
	global_store_b8 v[1:2], v7, off
.LBB153_1003:
	s_and_b32 vcc_lo, exec_lo, s5
	s_cbranch_vccz .LBB153_1013
; %bb.1004:
	v_lshlrev_b32_e32 v6, 16, v4
	v_and_b32_e32 v0, 0xffff, v4
	s_mov_b32 s5, exec_lo
                                        ; implicit-def: $vgpr3
	s_delay_alu instid0(VALU_DEP_2) | instskip(NEXT) | instid1(VALU_DEP_1)
	v_and_b32_e32 v7, 0x7fffffff, v6
	v_cmpx_gt_u32_e32 0x43f00000, v7
	s_xor_b32 s5, exec_lo, s5
	s_cbranch_execz .LBB153_1010
; %bb.1005:
	s_mov_b32 s7, exec_lo
                                        ; implicit-def: $vgpr3
	v_cmpx_lt_u32_e32 0x3c7fffff, v7
	s_xor_b32 s7, exec_lo, s7
; %bb.1006:
	v_bfe_u32 v3, v0, 4, 1
	s_delay_alu instid0(VALU_DEP_1) | instskip(NEXT) | instid1(VALU_DEP_1)
	v_add3_u32 v3, v6, v3, 0x407ffff
	v_and_b32_e32 v6, 0xff00000, v3
	v_lshrrev_b32_e32 v3, 20, v3
	s_delay_alu instid0(VALU_DEP_2) | instskip(NEXT) | instid1(VALU_DEP_2)
	v_cmp_ne_u32_e32 vcc_lo, 0x7f00000, v6
                                        ; implicit-def: $vgpr6
	v_cndmask_b32_e32 v3, 0x7e, v3, vcc_lo
; %bb.1007:
	s_and_not1_saveexec_b32 s7, s7
; %bb.1008:
	v_add_f32_e64 v3, 0x46800000, |v6|
; %bb.1009:
	s_or_b32 exec_lo, exec_lo, s7
                                        ; implicit-def: $vgpr7
.LBB153_1010:
	s_and_not1_saveexec_b32 s5, s5
; %bb.1011:
	v_mov_b32_e32 v3, 0x7f
	v_cmp_lt_u32_e32 vcc_lo, 0x7f800000, v7
	s_delay_alu instid0(VALU_DEP_2)
	v_cndmask_b32_e32 v3, 0x7e, v3, vcc_lo
; %bb.1012:
	s_or_b32 exec_lo, exec_lo, s5
	v_lshrrev_b32_e32 v0, 8, v0
	s_delay_alu instid0(VALU_DEP_1)
	v_and_or_b32 v0, 0x80, v0, v3
	global_store_b8 v[1:2], v0, off
.LBB153_1013:
	s_mov_b32 s5, 0
.LBB153_1014:
	s_delay_alu instid0(SALU_CYCLE_1)
	s_and_not1_b32 vcc_lo, exec_lo, s5
	s_cbranch_vccnz .LBB153_1024
; %bb.1015:
	v_lshlrev_b32_e32 v6, 16, v4
	v_and_b32_e32 v0, 0xffff, v4
	s_mov_b32 s5, exec_lo
                                        ; implicit-def: $vgpr3
	s_delay_alu instid0(VALU_DEP_2) | instskip(NEXT) | instid1(VALU_DEP_1)
	v_and_b32_e32 v7, 0x7fffffff, v6
	v_cmpx_gt_u32_e32 0x47800000, v7
	s_xor_b32 s5, exec_lo, s5
	s_cbranch_execz .LBB153_1021
; %bb.1016:
	s_mov_b32 s7, exec_lo
                                        ; implicit-def: $vgpr3
	v_cmpx_lt_u32_e32 0x387fffff, v7
	s_xor_b32 s7, exec_lo, s7
; %bb.1017:
	v_bfe_u32 v3, v0, 5, 1
	s_delay_alu instid0(VALU_DEP_1) | instskip(NEXT) | instid1(VALU_DEP_1)
	v_add3_u32 v3, v6, v3, 0x80fffff
                                        ; implicit-def: $vgpr6
	v_lshrrev_b32_e32 v3, 21, v3
; %bb.1018:
	s_and_not1_saveexec_b32 s7, s7
; %bb.1019:
	v_add_f32_e64 v3, 0x43000000, |v6|
; %bb.1020:
	s_or_b32 exec_lo, exec_lo, s7
                                        ; implicit-def: $vgpr7
.LBB153_1021:
	s_and_not1_saveexec_b32 s5, s5
; %bb.1022:
	v_mov_b32_e32 v3, 0x7f
	v_cmp_lt_u32_e32 vcc_lo, 0x7f800000, v7
	s_delay_alu instid0(VALU_DEP_2)
	v_cndmask_b32_e32 v3, 0x7c, v3, vcc_lo
; %bb.1023:
	s_or_b32 exec_lo, exec_lo, s5
	v_lshrrev_b32_e32 v0, 8, v0
	s_delay_alu instid0(VALU_DEP_1)
	v_and_or_b32 v0, 0x80, v0, v3
	global_store_b8 v[1:2], v0, off
.LBB153_1024:
	s_mov_b32 s5, 0
.LBB153_1025:
	s_delay_alu instid0(SALU_CYCLE_1)
	s_and_not1_b32 vcc_lo, exec_lo, s5
	s_mov_b32 s8, 0
	s_cbranch_vccnz .LBB153_1033
; %bb.1026:
	v_cmp_lt_i16_e32 vcc_lo, 14, v5
	s_mov_b32 s5, -1
	s_cbranch_vccz .LBB153_1030
; %bb.1027:
	v_cmp_eq_u16_e32 vcc_lo, 15, v5
	s_mov_b32 s2, -1
	s_cbranch_vccz .LBB153_1029
; %bb.1028:
	s_mov_b32 s2, 0
	global_store_b16 v[1:2], v4, off
.LBB153_1029:
	s_mov_b32 s5, 0
.LBB153_1030:
	s_delay_alu instid0(SALU_CYCLE_1)
	s_and_b32 vcc_lo, exec_lo, s5
	s_cbranch_vccz .LBB153_1033
; %bb.1031:
	v_cmp_ne_u16_e32 vcc_lo, 11, v5
	s_and_not1_b32 s2, s2, exec_lo
	s_mov_b32 s8, -1
	s_and_b32 s5, vcc_lo, exec_lo
	s_delay_alu instid0(SALU_CYCLE_1)
	s_or_b32 s2, s2, s5
	s_branch .LBB153_1033
.LBB153_1032:
	s_mov_b32 s8, 0
.LBB153_1033:
	s_and_b32 s7, s4, exec_lo
	s_and_not1_b32 s4, s34, exec_lo
	s_and_b32 s2, s2, exec_lo
	s_and_b32 s8, s8, exec_lo
	s_or_b32 s34, s4, s2
.LBB153_1034:
	s_or_b32 exec_lo, exec_lo, s6
	s_and_saveexec_b32 s2, s34
	s_cbranch_execnz .LBB153_1148
; %bb.1035:
	s_or_b32 exec_lo, exec_lo, s2
	s_and_saveexec_b32 s2, s8
	s_delay_alu instid0(SALU_CYCLE_1)
	s_xor_b32 s2, exec_lo, s2
	s_cbranch_execz .LBB153_1037
.LBB153_1036:
	v_and_b32_e32 v0, 0x7fff, v4
	s_delay_alu instid0(VALU_DEP_1)
	v_cmp_ne_u16_e32 vcc_lo, 0, v0
	v_cndmask_b32_e64 v0, 0, 1, vcc_lo
	global_store_b8 v[1:2], v0, off
.LBB153_1037:
	s_or_b32 exec_lo, exec_lo, s2
	s_and_saveexec_b32 s2, s7
	s_delay_alu instid0(SALU_CYCLE_1)
	s_xor_b32 s2, exec_lo, s2
	s_cbranch_execz .LBB153_1075
; %bb.1038:
	v_cmp_gt_i16_e32 vcc_lo, 5, v5
	s_mov_b32 s4, -1
	s_cbranch_vccnz .LBB153_1059
; %bb.1039:
	v_cmp_gt_i16_e32 vcc_lo, 8, v5
	s_cbranch_vccnz .LBB153_1049
; %bb.1040:
	v_cmp_gt_i16_e32 vcc_lo, 9, v5
	s_cbranch_vccnz .LBB153_1046
; %bb.1041:
	v_cmp_lt_i16_e32 vcc_lo, 9, v5
	s_cbranch_vccz .LBB153_1043
; %bb.1042:
	v_mov_b32_e32 v8, 0
	v_lshlrev_b32_e32 v0, 16, v4
	s_mov_b32 s4, 0
	s_delay_alu instid0(VALU_DEP_2) | instskip(SKIP_1) | instid1(VALU_DEP_2)
	v_mov_b32_e32 v9, v8
	s_waitcnt vmcnt(0)
	v_cvt_f64_f32_e32 v[6:7], v0
	global_store_b128 v[1:2], v[6:9], off
.LBB153_1043:
	s_and_not1_b32 vcc_lo, exec_lo, s4
	s_cbranch_vccnz .LBB153_1045
; %bb.1044:
	s_waitcnt vmcnt(0)
	v_dual_mov_b32 v7, 0 :: v_dual_lshlrev_b32 v6, 16, v4
	global_store_b64 v[1:2], v[6:7], off
.LBB153_1045:
	s_mov_b32 s4, 0
.LBB153_1046:
	s_delay_alu instid0(SALU_CYCLE_1)
	s_and_not1_b32 vcc_lo, exec_lo, s4
	s_cbranch_vccnz .LBB153_1048
; %bb.1047:
	v_lshlrev_b32_e32 v0, 16, v4
	s_delay_alu instid0(VALU_DEP_1) | instskip(NEXT) | instid1(VALU_DEP_1)
	v_cvt_f16_f32_e32 v0, v0
	v_and_b32_e32 v0, 0xffff, v0
	global_store_b32 v[1:2], v0, off
.LBB153_1048:
	s_mov_b32 s4, 0
.LBB153_1049:
	s_delay_alu instid0(SALU_CYCLE_1)
	s_and_not1_b32 vcc_lo, exec_lo, s4
	s_cbranch_vccnz .LBB153_1058
; %bb.1050:
	v_cmp_gt_i16_e32 vcc_lo, 6, v5
	s_mov_b32 s4, -1
	s_cbranch_vccnz .LBB153_1056
; %bb.1051:
	v_cmp_lt_i16_e32 vcc_lo, 6, v5
	s_cbranch_vccz .LBB153_1053
; %bb.1052:
	v_lshlrev_b32_e32 v0, 16, v4
	s_mov_b32 s4, 0
	s_waitcnt vmcnt(0)
	s_delay_alu instid0(VALU_DEP_1)
	v_cvt_f64_f32_e32 v[6:7], v0
	global_store_b64 v[1:2], v[6:7], off
.LBB153_1053:
	s_and_not1_b32 vcc_lo, exec_lo, s4
	s_cbranch_vccnz .LBB153_1055
; %bb.1054:
	v_lshlrev_b32_e32 v0, 16, v4
	global_store_b32 v[1:2], v0, off
.LBB153_1055:
	s_mov_b32 s4, 0
.LBB153_1056:
	s_delay_alu instid0(SALU_CYCLE_1)
	s_and_not1_b32 vcc_lo, exec_lo, s4
	s_cbranch_vccnz .LBB153_1058
; %bb.1057:
	v_lshlrev_b32_e32 v0, 16, v4
	s_delay_alu instid0(VALU_DEP_1)
	v_cvt_f16_f32_e32 v0, v0
	global_store_b16 v[1:2], v0, off
.LBB153_1058:
	s_mov_b32 s4, 0
.LBB153_1059:
	s_delay_alu instid0(SALU_CYCLE_1)
	s_and_not1_b32 vcc_lo, exec_lo, s4
	s_cbranch_vccnz .LBB153_1075
; %bb.1060:
	v_cmp_gt_i16_e32 vcc_lo, 2, v5
	s_mov_b32 s4, -1
	s_cbranch_vccnz .LBB153_1070
; %bb.1061:
	v_cmp_gt_i16_e32 vcc_lo, 3, v5
	s_cbranch_vccnz .LBB153_1067
; %bb.1062:
	v_cmp_lt_i16_e32 vcc_lo, 3, v5
	s_cbranch_vccz .LBB153_1064
; %bb.1063:
	v_lshlrev_b32_e32 v0, 16, v4
	s_mov_b32 s4, 0
	s_delay_alu instid0(VALU_DEP_1) | instskip(NEXT) | instid1(VALU_DEP_1)
	v_trunc_f32_e32 v0, v0
	v_mul_f32_e64 v3, 0x2f800000, |v0|
	s_delay_alu instid0(VALU_DEP_1) | instskip(SKIP_1) | instid1(VALU_DEP_1)
	v_floor_f32_e32 v3, v3
	s_waitcnt vmcnt(0)
	v_fma_f32 v6, 0xcf800000, v3, |v0|
	v_ashrrev_i32_e32 v0, 31, v0
	v_cvt_u32_f32_e32 v3, v3
	s_delay_alu instid0(VALU_DEP_3) | instskip(NEXT) | instid1(VALU_DEP_2)
	v_cvt_u32_f32_e32 v6, v6
	v_xor_b32_e32 v3, v3, v0
	s_delay_alu instid0(VALU_DEP_2) | instskip(NEXT) | instid1(VALU_DEP_1)
	v_xor_b32_e32 v6, v6, v0
	v_sub_co_u32 v6, vcc_lo, v6, v0
	s_delay_alu instid0(VALU_DEP_3)
	v_sub_co_ci_u32_e32 v7, vcc_lo, v3, v0, vcc_lo
	global_store_b64 v[1:2], v[6:7], off
.LBB153_1064:
	s_and_not1_b32 vcc_lo, exec_lo, s4
	s_cbranch_vccnz .LBB153_1066
; %bb.1065:
	v_lshlrev_b32_e32 v0, 16, v4
	s_delay_alu instid0(VALU_DEP_1)
	v_cvt_i32_f32_e32 v0, v0
	global_store_b32 v[1:2], v0, off
.LBB153_1066:
	s_mov_b32 s4, 0
.LBB153_1067:
	s_delay_alu instid0(SALU_CYCLE_1)
	s_and_not1_b32 vcc_lo, exec_lo, s4
	s_cbranch_vccnz .LBB153_1069
; %bb.1068:
	v_lshlrev_b32_e32 v0, 16, v4
	s_delay_alu instid0(VALU_DEP_1)
	v_cvt_i32_f32_e32 v0, v0
	global_store_b16 v[1:2], v0, off
.LBB153_1069:
	s_mov_b32 s4, 0
.LBB153_1070:
	s_delay_alu instid0(SALU_CYCLE_1)
	s_and_not1_b32 vcc_lo, exec_lo, s4
	s_cbranch_vccnz .LBB153_1075
; %bb.1071:
	v_cmp_lt_i16_e32 vcc_lo, 0, v5
	s_mov_b32 s4, -1
	s_cbranch_vccz .LBB153_1073
; %bb.1072:
	v_lshlrev_b32_e32 v0, 16, v4
	s_mov_b32 s4, 0
	s_delay_alu instid0(VALU_DEP_1)
	v_cvt_i32_f32_e32 v0, v0
	global_store_b8 v[1:2], v0, off
.LBB153_1073:
	s_and_not1_b32 vcc_lo, exec_lo, s4
	s_cbranch_vccnz .LBB153_1075
; %bb.1074:
	v_lshlrev_b32_e32 v0, 16, v4
	s_delay_alu instid0(VALU_DEP_1) | instskip(NEXT) | instid1(VALU_DEP_1)
	v_trunc_f32_e32 v0, v0
	v_mul_f32_e64 v3, 0x2f800000, |v0|
	s_delay_alu instid0(VALU_DEP_1) | instskip(NEXT) | instid1(VALU_DEP_1)
	v_floor_f32_e32 v3, v3
	v_fma_f32 v3, 0xcf800000, v3, |v0|
	v_ashrrev_i32_e32 v0, 31, v0
	s_delay_alu instid0(VALU_DEP_2) | instskip(NEXT) | instid1(VALU_DEP_1)
	v_cvt_u32_f32_e32 v3, v3
	v_xor_b32_e32 v3, v3, v0
	s_delay_alu instid0(VALU_DEP_1)
	v_sub_nc_u32_e32 v0, v3, v0
	global_store_b8 v[1:2], v0, off
.LBB153_1075:
	s_or_b32 exec_lo, exec_lo, s2
	s_delay_alu instid0(SALU_CYCLE_1)
	s_and_b32 s8, s3, exec_lo
                                        ; implicit-def: $vgpr8
                                        ; implicit-def: $vgpr5
.LBB153_1076:
	s_or_saveexec_b32 s9, s28
	s_mov_b32 s3, 0
                                        ; implicit-def: $vgpr0_vgpr1
                                        ; implicit-def: $vgpr6
                                        ; implicit-def: $vgpr2
	s_xor_b32 exec_lo, exec_lo, s9
	s_cbranch_execz .LBB153_2092
; %bb.1077:
	v_cndmask_b32_e64 v0, 0, 1, s27
	s_and_not1_b32 vcc_lo, exec_lo, s27
	s_cbranch_vccnz .LBB153_1083
; %bb.1078:
	v_mov_b32_e32 v3, 0
	v_mov_b32_e32 v7, 0
	s_cmp_lg_u32 s24, 0
	s_mov_b32 s6, 0
	s_cbranch_scc0 .LBB153_1087
; %bb.1079:
	s_min_u32 s7, s25, 15
	v_mov_b32_e32 v3, 0
	s_add_i32 s7, s7, 1
	s_cmp_eq_u32 s25, 2
	s_mov_b32 s10, 0
	s_cbranch_scc1 .LBB153_1084
; %bb.1080:
	v_mov_b32_e32 v7, 0
	v_mov_b32_e32 v3, 0
	;; [unrolled: 1-line block ×3, first 2 shown]
	s_add_u32 s2, s16, 0xc4
	s_addc_u32 s3, s17, 0
	s_and_b32 s10, s7, 28
	s_mov_b32 s11, 0
	s_mov_b64 s[4:5], s[16:17]
.LBB153_1081:                           ; =>This Inner Loop Header: Depth=1
	s_clause 0x1
	s_load_b256 s[36:43], s[4:5], 0x4
	s_load_b128 s[12:15], s[4:5], 0x24
	s_load_b256 s[44:51], s[2:3], 0x0
	s_add_u32 s4, s4, 48
	s_addc_u32 s5, s5, 0
	s_add_i32 s11, s11, 4
	s_add_u32 s2, s2, 32
	s_addc_u32 s3, s3, 0
	s_cmp_lg_u32 s10, s11
	s_waitcnt lgkmcnt(0)
	v_mul_hi_u32 v2, s37, v1
	s_delay_alu instid0(VALU_DEP_1) | instskip(NEXT) | instid1(VALU_DEP_1)
	v_add_nc_u32_e32 v2, v1, v2
	v_lshrrev_b32_e32 v2, s38, v2
	s_delay_alu instid0(VALU_DEP_1) | instskip(SKIP_1) | instid1(VALU_DEP_2)
	v_mul_hi_u32 v4, s40, v2
	v_mul_lo_u32 v9, v2, s36
	v_add_nc_u32_e32 v4, v2, v4
	s_delay_alu instid0(VALU_DEP_2) | instskip(NEXT) | instid1(VALU_DEP_2)
	v_sub_nc_u32_e32 v1, v1, v9
	v_lshrrev_b32_e32 v4, s41, v4
	s_delay_alu instid0(VALU_DEP_2) | instskip(SKIP_2) | instid1(VALU_DEP_3)
	v_mul_lo_u32 v9, v1, s44
	v_mul_lo_u32 v11, v1, s45
	s_waitcnt vmcnt(0)
	v_mul_hi_u32 v6, s43, v4
	s_delay_alu instid0(VALU_DEP_1) | instskip(NEXT) | instid1(VALU_DEP_1)
	v_add_nc_u32_e32 v6, v4, v6
	v_lshrrev_b32_e32 v6, s12, v6
	s_delay_alu instid0(VALU_DEP_1) | instskip(SKIP_1) | instid1(VALU_DEP_2)
	v_mul_hi_u32 v10, s14, v6
	v_mul_lo_u32 v12, v6, s42
	v_add_nc_u32_e32 v1, v6, v10
	v_mul_lo_u32 v10, v4, s39
	s_delay_alu instid0(VALU_DEP_3) | instskip(NEXT) | instid1(VALU_DEP_3)
	v_sub_nc_u32_e32 v4, v4, v12
	v_lshrrev_b32_e32 v1, s15, v1
	s_delay_alu instid0(VALU_DEP_2) | instskip(SKIP_2) | instid1(VALU_DEP_4)
	v_mul_lo_u32 v12, v4, s48
	v_mul_lo_u32 v4, v4, s49
	v_sub_nc_u32_e32 v2, v2, v10
	v_mul_lo_u32 v13, v1, s13
	s_delay_alu instid0(VALU_DEP_2) | instskip(SKIP_1) | instid1(VALU_DEP_3)
	v_mul_lo_u32 v10, v2, s46
	v_mul_lo_u32 v2, v2, s47
	v_sub_nc_u32_e32 v6, v6, v13
	s_delay_alu instid0(VALU_DEP_3) | instskip(NEXT) | instid1(VALU_DEP_2)
	v_add3_u32 v3, v9, v3, v10
	v_mul_lo_u32 v13, v6, s50
	v_mul_lo_u32 v6, v6, s51
	v_add3_u32 v2, v11, v7, v2
	s_delay_alu instid0(VALU_DEP_3) | instskip(NEXT) | instid1(VALU_DEP_2)
	v_add3_u32 v3, v12, v3, v13
	v_add3_u32 v7, v4, v2, v6
	s_cbranch_scc1 .LBB153_1081
; %bb.1082:
	s_and_b32 s7, s7, 3
	s_delay_alu instid0(SALU_CYCLE_1)
	s_cmp_eq_u32 s7, 0
	s_cbranch_scc0 .LBB153_1085
	s_branch .LBB153_1087
.LBB153_1083:
	s_mov_b32 s6, -1
                                        ; implicit-def: $vgpr3
                                        ; implicit-def: $vgpr7
	s_branch .LBB153_1087
.LBB153_1084:
	v_mov_b32_e32 v1, v5
	v_mov_b32_e32 v7, 0
	s_and_b32 s7, s7, 3
	s_delay_alu instid0(SALU_CYCLE_1)
	s_cmp_eq_u32 s7, 0
	s_cbranch_scc1 .LBB153_1087
.LBB153_1085:
	s_lshl_b32 s2, s10, 3
	s_mul_i32 s4, s10, 12
	s_add_u32 s2, s2, s16
	s_addc_u32 s3, 0, s17
	s_add_u32 s2, s2, 0xc4
	s_addc_u32 s3, s3, 0
	;; [unrolled: 2-line block ×3, first 2 shown]
	.p2align	6
.LBB153_1086:                           ; =>This Inner Loop Header: Depth=1
	s_clause 0x1
	s_load_b64 s[10:11], s[4:5], 0x4
	s_load_b32 s14, s[4:5], 0xc
	s_load_b64 s[12:13], s[2:3], 0x0
	s_add_u32 s4, s4, 12
	s_addc_u32 s5, s5, 0
	s_add_u32 s2, s2, 8
	s_addc_u32 s3, s3, 0
	s_add_i32 s7, s7, -1
	s_delay_alu instid0(SALU_CYCLE_1) | instskip(SKIP_2) | instid1(VALU_DEP_1)
	s_cmp_lg_u32 s7, 0
	s_waitcnt lgkmcnt(0)
	v_mul_hi_u32 v2, s11, v1
	v_add_nc_u32_e32 v2, v1, v2
	s_delay_alu instid0(VALU_DEP_1) | instskip(NEXT) | instid1(VALU_DEP_1)
	v_lshrrev_b32_e32 v4, s14, v2
	v_mul_lo_u32 v2, v4, s10
	s_delay_alu instid0(VALU_DEP_1) | instskip(NEXT) | instid1(VALU_DEP_1)
	v_sub_nc_u32_e32 v1, v1, v2
	v_mad_u64_u32 v[9:10], null, v1, s12, v[3:4]
	v_mad_u64_u32 v[2:3], null, v1, s13, v[7:8]
	v_mov_b32_e32 v1, v4
	s_delay_alu instid0(VALU_DEP_3) | instskip(NEXT) | instid1(VALU_DEP_3)
	v_mov_b32_e32 v3, v9
	v_mov_b32_e32 v7, v2
	s_cbranch_scc1 .LBB153_1086
.LBB153_1087:
	s_and_not1_b32 vcc_lo, exec_lo, s6
	s_cbranch_vccnz .LBB153_1090
; %bb.1088:
	s_clause 0x1
	s_load_b128 s[4:7], s[16:17], 0x4
	s_load_b64 s[2:3], s[16:17], 0xc4
	s_cmp_lt_u32 s24, 2
	s_waitcnt lgkmcnt(0)
	v_mul_hi_u32 v1, s5, v5
	s_delay_alu instid0(VALU_DEP_1) | instskip(NEXT) | instid1(VALU_DEP_1)
	v_add_nc_u32_e32 v1, v5, v1
	v_lshrrev_b32_e32 v1, s6, v1
	s_delay_alu instid0(VALU_DEP_1) | instskip(NEXT) | instid1(VALU_DEP_1)
	v_mul_lo_u32 v2, v1, s4
	v_sub_nc_u32_e32 v2, v5, v2
	s_delay_alu instid0(VALU_DEP_1)
	v_mul_lo_u32 v3, v2, s2
	v_mul_lo_u32 v7, v2, s3
	s_cbranch_scc1 .LBB153_1090
; %bb.1089:
	s_clause 0x1
	s_load_b128 s[4:7], s[16:17], 0x10
	s_load_b64 s[2:3], s[16:17], 0xcc
	s_waitcnt lgkmcnt(0)
	v_mul_hi_u32 v2, s5, v1
	s_delay_alu instid0(VALU_DEP_1) | instskip(NEXT) | instid1(VALU_DEP_1)
	v_add_nc_u32_e32 v2, v1, v2
	v_lshrrev_b32_e32 v2, s6, v2
	s_delay_alu instid0(VALU_DEP_1) | instskip(NEXT) | instid1(VALU_DEP_1)
	v_mul_lo_u32 v2, v2, s4
	v_sub_nc_u32_e32 v4, v1, v2
	s_delay_alu instid0(VALU_DEP_1) | instskip(SKIP_1) | instid1(VALU_DEP_2)
	v_mad_u64_u32 v[1:2], null, v4, s2, v[3:4]
	v_mad_u64_u32 v[2:3], null, v4, s3, v[7:8]
	v_mov_b32_e32 v3, v1
	s_delay_alu instid0(VALU_DEP_2)
	v_mov_b32_e32 v7, v2
.LBB153_1090:
	v_cmp_ne_u32_e32 vcc_lo, 1, v0
	v_add_nc_u32_e32 v1, 0x80, v5
	s_cbranch_vccnz .LBB153_1096
; %bb.1091:
	v_mov_b32_e32 v2, 0
	s_waitcnt vmcnt(0)
	v_mov_b32_e32 v6, 0
	s_cmp_lg_u32 s24, 0
	s_mov_b32 s6, 0
	s_cbranch_scc0 .LBB153_1100
; %bb.1092:
	s_min_u32 s7, s25, 15
	v_mov_b32_e32 v2, 0
	s_add_i32 s7, s7, 1
	s_cmp_eq_u32 s25, 2
	s_mov_b32 s10, 0
	s_cbranch_scc1 .LBB153_1097
; %bb.1093:
	v_mov_b32_e32 v6, 0
	v_mov_b32_e32 v2, 0
	;; [unrolled: 1-line block ×3, first 2 shown]
	s_add_u32 s2, s16, 0xc4
	s_addc_u32 s3, s17, 0
	s_and_b32 s10, s7, 28
	s_mov_b32 s11, 0
	s_mov_b64 s[4:5], s[16:17]
.LBB153_1094:                           ; =>This Inner Loop Header: Depth=1
	s_clause 0x1
	s_load_b256 s[36:43], s[4:5], 0x4
	s_load_b128 s[12:15], s[4:5], 0x24
	s_load_b256 s[44:51], s[2:3], 0x0
	s_add_u32 s4, s4, 48
	s_addc_u32 s5, s5, 0
	s_add_i32 s11, s11, 4
	s_add_u32 s2, s2, 32
	s_addc_u32 s3, s3, 0
	s_cmp_lg_u32 s10, s11
	s_waitcnt lgkmcnt(0)
	v_mul_hi_u32 v9, s37, v4
	s_delay_alu instid0(VALU_DEP_1) | instskip(NEXT) | instid1(VALU_DEP_1)
	v_add_nc_u32_e32 v9, v4, v9
	v_lshrrev_b32_e32 v9, s38, v9
	s_delay_alu instid0(VALU_DEP_1) | instskip(SKIP_1) | instid1(VALU_DEP_2)
	v_mul_hi_u32 v10, s40, v9
	v_mul_lo_u32 v12, v9, s36
	v_add_nc_u32_e32 v10, v9, v10
	s_delay_alu instid0(VALU_DEP_2) | instskip(NEXT) | instid1(VALU_DEP_2)
	v_sub_nc_u32_e32 v4, v4, v12
	v_lshrrev_b32_e32 v10, s41, v10
	s_delay_alu instid0(VALU_DEP_2) | instskip(SKIP_1) | instid1(VALU_DEP_3)
	v_mul_lo_u32 v12, v4, s44
	v_mul_lo_u32 v14, v4, s45
	v_mul_hi_u32 v11, s43, v10
	s_delay_alu instid0(VALU_DEP_1) | instskip(NEXT) | instid1(VALU_DEP_1)
	v_add_nc_u32_e32 v11, v10, v11
	v_lshrrev_b32_e32 v11, s12, v11
	s_delay_alu instid0(VALU_DEP_1) | instskip(SKIP_1) | instid1(VALU_DEP_2)
	v_mul_hi_u32 v13, s14, v11
	v_mul_lo_u32 v15, v11, s42
	v_add_nc_u32_e32 v4, v11, v13
	v_mul_lo_u32 v13, v10, s39
	s_delay_alu instid0(VALU_DEP_3) | instskip(NEXT) | instid1(VALU_DEP_3)
	v_sub_nc_u32_e32 v10, v10, v15
	v_lshrrev_b32_e32 v4, s15, v4
	s_delay_alu instid0(VALU_DEP_2) | instskip(SKIP_2) | instid1(VALU_DEP_4)
	v_mul_lo_u32 v15, v10, s48
	v_mul_lo_u32 v10, v10, s49
	v_sub_nc_u32_e32 v9, v9, v13
	v_mul_lo_u32 v16, v4, s13
	s_delay_alu instid0(VALU_DEP_2) | instskip(SKIP_1) | instid1(VALU_DEP_3)
	v_mul_lo_u32 v13, v9, s46
	v_mul_lo_u32 v9, v9, s47
	v_sub_nc_u32_e32 v11, v11, v16
	s_delay_alu instid0(VALU_DEP_3) | instskip(NEXT) | instid1(VALU_DEP_2)
	v_add3_u32 v2, v12, v2, v13
	v_mul_lo_u32 v16, v11, s50
	v_mul_lo_u32 v11, v11, s51
	v_add3_u32 v6, v14, v6, v9
	s_delay_alu instid0(VALU_DEP_3) | instskip(NEXT) | instid1(VALU_DEP_2)
	v_add3_u32 v2, v15, v2, v16
	v_add3_u32 v6, v10, v6, v11
	s_cbranch_scc1 .LBB153_1094
; %bb.1095:
	s_and_b32 s7, s7, 3
	s_delay_alu instid0(SALU_CYCLE_1)
	s_cmp_eq_u32 s7, 0
	s_cbranch_scc0 .LBB153_1098
	s_branch .LBB153_1100
.LBB153_1096:
	s_mov_b32 s6, -1
                                        ; implicit-def: $vgpr2
                                        ; implicit-def: $vgpr6
	s_branch .LBB153_1100
.LBB153_1097:
	v_mov_b32_e32 v4, v1
	v_mov_b32_e32 v6, 0
	s_and_b32 s7, s7, 3
	s_delay_alu instid0(SALU_CYCLE_1)
	s_cmp_eq_u32 s7, 0
	s_cbranch_scc1 .LBB153_1100
.LBB153_1098:
	s_lshl_b32 s2, s10, 3
	s_mul_i32 s4, s10, 12
	s_add_u32 s2, s2, s16
	s_addc_u32 s3, 0, s17
	s_add_u32 s2, s2, 0xc4
	s_addc_u32 s3, s3, 0
	;; [unrolled: 2-line block ×3, first 2 shown]
	.p2align	6
.LBB153_1099:                           ; =>This Inner Loop Header: Depth=1
	s_clause 0x1
	s_load_b64 s[10:11], s[4:5], 0x4
	s_load_b32 s14, s[4:5], 0xc
	s_load_b64 s[12:13], s[2:3], 0x0
	s_add_u32 s4, s4, 12
	s_addc_u32 s5, s5, 0
	s_add_u32 s2, s2, 8
	s_addc_u32 s3, s3, 0
	s_add_i32 s7, s7, -1
	s_delay_alu instid0(SALU_CYCLE_1) | instskip(SKIP_2) | instid1(VALU_DEP_1)
	s_cmp_lg_u32 s7, 0
	s_waitcnt lgkmcnt(0)
	v_mul_hi_u32 v9, s11, v4
	v_add_nc_u32_e32 v9, v4, v9
	s_delay_alu instid0(VALU_DEP_1) | instskip(NEXT) | instid1(VALU_DEP_1)
	v_lshrrev_b32_e32 v12, s14, v9
	v_mul_lo_u32 v9, v12, s10
	s_delay_alu instid0(VALU_DEP_1) | instskip(NEXT) | instid1(VALU_DEP_1)
	v_sub_nc_u32_e32 v4, v4, v9
	v_mad_u64_u32 v[9:10], null, v4, s12, v[2:3]
	v_mad_u64_u32 v[10:11], null, v4, s13, v[6:7]
	v_mov_b32_e32 v4, v12
	s_delay_alu instid0(VALU_DEP_3) | instskip(NEXT) | instid1(VALU_DEP_3)
	v_mov_b32_e32 v2, v9
	v_mov_b32_e32 v6, v10
	s_cbranch_scc1 .LBB153_1099
.LBB153_1100:
	s_and_not1_b32 vcc_lo, exec_lo, s6
	s_cbranch_vccnz .LBB153_1103
; %bb.1101:
	s_clause 0x1
	s_load_b128 s[4:7], s[16:17], 0x4
	s_load_b64 s[2:3], s[16:17], 0xc4
	s_cmp_lt_u32 s24, 2
	s_waitcnt lgkmcnt(0)
	v_mul_hi_u32 v2, s5, v1
	s_delay_alu instid0(VALU_DEP_1) | instskip(NEXT) | instid1(VALU_DEP_1)
	v_add_nc_u32_e32 v2, v1, v2
	v_lshrrev_b32_e32 v4, s6, v2
	s_delay_alu instid0(VALU_DEP_1) | instskip(NEXT) | instid1(VALU_DEP_1)
	v_mul_lo_u32 v2, v4, s4
	v_sub_nc_u32_e32 v1, v1, v2
	s_delay_alu instid0(VALU_DEP_1)
	v_mul_lo_u32 v2, v1, s2
	s_waitcnt vmcnt(0)
	v_mul_lo_u32 v6, v1, s3
	s_cbranch_scc1 .LBB153_1103
; %bb.1102:
	s_clause 0x1
	s_load_b128 s[4:7], s[16:17], 0x10
	s_load_b64 s[2:3], s[16:17], 0xcc
	s_waitcnt lgkmcnt(0)
	v_mul_hi_u32 v1, s5, v4
	s_delay_alu instid0(VALU_DEP_1) | instskip(NEXT) | instid1(VALU_DEP_1)
	v_add_nc_u32_e32 v1, v4, v1
	v_lshrrev_b32_e32 v1, s6, v1
	s_delay_alu instid0(VALU_DEP_1) | instskip(NEXT) | instid1(VALU_DEP_1)
	v_mul_lo_u32 v1, v1, s4
	v_sub_nc_u32_e32 v4, v4, v1
	s_delay_alu instid0(VALU_DEP_1) | instskip(SKIP_1) | instid1(VALU_DEP_2)
	v_mad_u64_u32 v[9:10], null, v4, s2, v[2:3]
	v_mad_u64_u32 v[1:2], null, v4, s3, v[6:7]
	v_mov_b32_e32 v2, v9
	s_delay_alu instid0(VALU_DEP_2)
	v_mov_b32_e32 v6, v1
.LBB153_1103:
	v_cmp_ne_u32_e32 vcc_lo, 1, v0
	v_add_nc_u32_e32 v4, 0x100, v5
	s_cbranch_vccnz .LBB153_1109
; %bb.1104:
	v_mov_b32_e32 v1, 0
	v_mov_b32_e32 v5, 0
	s_cmp_lg_u32 s24, 0
	s_mov_b32 s6, 0
	s_cbranch_scc0 .LBB153_1113
; %bb.1105:
	s_min_u32 s7, s25, 15
	v_mov_b32_e32 v1, 0
	s_add_i32 s7, s7, 1
	s_cmp_eq_u32 s25, 2
	s_mov_b32 s10, 0
	s_cbranch_scc1 .LBB153_1110
; %bb.1106:
	v_mov_b32_e32 v5, 0
	v_mov_b32_e32 v1, 0
	;; [unrolled: 1-line block ×3, first 2 shown]
	s_add_u32 s2, s16, 0xc4
	s_addc_u32 s3, s17, 0
	s_and_b32 s10, s7, 28
	s_mov_b32 s11, 0
	s_mov_b64 s[4:5], s[16:17]
.LBB153_1107:                           ; =>This Inner Loop Header: Depth=1
	s_clause 0x1
	s_load_b256 s[36:43], s[4:5], 0x4
	s_load_b128 s[12:15], s[4:5], 0x24
	s_load_b256 s[44:51], s[2:3], 0x0
	s_add_u32 s4, s4, 48
	s_addc_u32 s5, s5, 0
	s_add_i32 s11, s11, 4
	s_add_u32 s2, s2, 32
	s_addc_u32 s3, s3, 0
	s_cmp_lg_u32 s10, s11
	s_waitcnt lgkmcnt(0)
	v_mul_hi_u32 v10, s37, v9
	s_delay_alu instid0(VALU_DEP_1) | instskip(NEXT) | instid1(VALU_DEP_1)
	v_add_nc_u32_e32 v10, v9, v10
	v_lshrrev_b32_e32 v10, s38, v10
	s_delay_alu instid0(VALU_DEP_1) | instskip(SKIP_1) | instid1(VALU_DEP_2)
	v_mul_hi_u32 v11, s40, v10
	v_mul_lo_u32 v13, v10, s36
	v_add_nc_u32_e32 v11, v10, v11
	s_delay_alu instid0(VALU_DEP_2) | instskip(NEXT) | instid1(VALU_DEP_2)
	v_sub_nc_u32_e32 v9, v9, v13
	v_lshrrev_b32_e32 v11, s41, v11
	s_delay_alu instid0(VALU_DEP_2) | instskip(SKIP_1) | instid1(VALU_DEP_3)
	v_mul_lo_u32 v13, v9, s44
	v_mul_lo_u32 v15, v9, s45
	v_mul_hi_u32 v12, s43, v11
	s_delay_alu instid0(VALU_DEP_1) | instskip(NEXT) | instid1(VALU_DEP_1)
	v_add_nc_u32_e32 v12, v11, v12
	v_lshrrev_b32_e32 v12, s12, v12
	s_delay_alu instid0(VALU_DEP_1) | instskip(SKIP_1) | instid1(VALU_DEP_2)
	v_mul_hi_u32 v14, s14, v12
	v_mul_lo_u32 v16, v12, s42
	v_add_nc_u32_e32 v9, v12, v14
	v_mul_lo_u32 v14, v11, s39
	s_delay_alu instid0(VALU_DEP_3) | instskip(NEXT) | instid1(VALU_DEP_3)
	v_sub_nc_u32_e32 v11, v11, v16
	v_lshrrev_b32_e32 v9, s15, v9
	s_delay_alu instid0(VALU_DEP_2) | instskip(SKIP_2) | instid1(VALU_DEP_4)
	v_mul_lo_u32 v16, v11, s48
	v_mul_lo_u32 v11, v11, s49
	v_sub_nc_u32_e32 v10, v10, v14
	v_mul_lo_u32 v17, v9, s13
	s_delay_alu instid0(VALU_DEP_2) | instskip(SKIP_1) | instid1(VALU_DEP_3)
	v_mul_lo_u32 v14, v10, s46
	v_mul_lo_u32 v10, v10, s47
	v_sub_nc_u32_e32 v12, v12, v17
	s_delay_alu instid0(VALU_DEP_3) | instskip(NEXT) | instid1(VALU_DEP_2)
	v_add3_u32 v1, v13, v1, v14
	v_mul_lo_u32 v17, v12, s50
	v_mul_lo_u32 v12, v12, s51
	v_add3_u32 v5, v15, v5, v10
	s_delay_alu instid0(VALU_DEP_3) | instskip(NEXT) | instid1(VALU_DEP_2)
	v_add3_u32 v1, v16, v1, v17
	v_add3_u32 v5, v11, v5, v12
	s_cbranch_scc1 .LBB153_1107
; %bb.1108:
	s_and_b32 s7, s7, 3
	s_delay_alu instid0(SALU_CYCLE_1)
	s_cmp_eq_u32 s7, 0
	s_cbranch_scc0 .LBB153_1111
	s_branch .LBB153_1113
.LBB153_1109:
	s_mov_b32 s6, -1
                                        ; implicit-def: $vgpr1
                                        ; implicit-def: $vgpr5
	s_branch .LBB153_1113
.LBB153_1110:
	v_mov_b32_e32 v9, v4
	v_mov_b32_e32 v5, 0
	s_and_b32 s7, s7, 3
	s_delay_alu instid0(SALU_CYCLE_1)
	s_cmp_eq_u32 s7, 0
	s_cbranch_scc1 .LBB153_1113
.LBB153_1111:
	s_lshl_b32 s2, s10, 3
	s_mul_i32 s4, s10, 12
	s_add_u32 s2, s2, s16
	s_addc_u32 s3, 0, s17
	s_add_u32 s2, s2, 0xc4
	s_addc_u32 s3, s3, 0
	;; [unrolled: 2-line block ×3, first 2 shown]
	.p2align	6
.LBB153_1112:                           ; =>This Inner Loop Header: Depth=1
	s_clause 0x1
	s_load_b64 s[10:11], s[4:5], 0x4
	s_load_b32 s14, s[4:5], 0xc
	s_load_b64 s[12:13], s[2:3], 0x0
	s_add_u32 s4, s4, 12
	s_addc_u32 s5, s5, 0
	s_add_u32 s2, s2, 8
	s_addc_u32 s3, s3, 0
	s_add_i32 s7, s7, -1
	s_delay_alu instid0(SALU_CYCLE_1) | instskip(SKIP_2) | instid1(VALU_DEP_1)
	s_cmp_lg_u32 s7, 0
	s_waitcnt lgkmcnt(0)
	v_mul_hi_u32 v10, s11, v9
	v_add_nc_u32_e32 v10, v9, v10
	s_delay_alu instid0(VALU_DEP_1) | instskip(NEXT) | instid1(VALU_DEP_1)
	v_lshrrev_b32_e32 v13, s14, v10
	v_mul_lo_u32 v10, v13, s10
	s_delay_alu instid0(VALU_DEP_1) | instskip(NEXT) | instid1(VALU_DEP_1)
	v_sub_nc_u32_e32 v9, v9, v10
	v_mad_u64_u32 v[10:11], null, v9, s12, v[1:2]
	s_waitcnt vmcnt(0)
	v_mad_u64_u32 v[11:12], null, v9, s13, v[5:6]
	v_mov_b32_e32 v9, v13
	s_delay_alu instid0(VALU_DEP_3) | instskip(NEXT) | instid1(VALU_DEP_3)
	v_mov_b32_e32 v1, v10
	v_mov_b32_e32 v5, v11
	s_cbranch_scc1 .LBB153_1112
.LBB153_1113:
	s_and_not1_b32 vcc_lo, exec_lo, s6
	s_cbranch_vccnz .LBB153_1116
; %bb.1114:
	s_clause 0x1
	s_load_b128 s[4:7], s[16:17], 0x4
	s_load_b64 s[2:3], s[16:17], 0xc4
	s_cmp_lt_u32 s24, 2
	s_waitcnt lgkmcnt(0)
	v_mul_hi_u32 v1, s5, v4
	s_delay_alu instid0(VALU_DEP_1) | instskip(NEXT) | instid1(VALU_DEP_1)
	v_add_nc_u32_e32 v1, v4, v1
	v_lshrrev_b32_e32 v9, s6, v1
	s_delay_alu instid0(VALU_DEP_1) | instskip(NEXT) | instid1(VALU_DEP_1)
	v_mul_lo_u32 v1, v9, s4
	v_sub_nc_u32_e32 v4, v4, v1
	s_delay_alu instid0(VALU_DEP_1)
	v_mul_lo_u32 v1, v4, s2
	v_mul_lo_u32 v5, v4, s3
	s_cbranch_scc1 .LBB153_1116
; %bb.1115:
	s_clause 0x1
	s_load_b128 s[4:7], s[16:17], 0x10
	s_load_b64 s[2:3], s[16:17], 0xcc
	s_waitcnt lgkmcnt(0)
	v_mul_hi_u32 v4, s5, v9
	s_delay_alu instid0(VALU_DEP_1) | instskip(NEXT) | instid1(VALU_DEP_1)
	v_add_nc_u32_e32 v4, v9, v4
	v_lshrrev_b32_e32 v4, s6, v4
	s_delay_alu instid0(VALU_DEP_1) | instskip(NEXT) | instid1(VALU_DEP_1)
	v_mul_lo_u32 v4, v4, s4
	v_sub_nc_u32_e32 v4, v9, v4
	s_delay_alu instid0(VALU_DEP_1) | instskip(SKIP_2) | instid1(VALU_DEP_2)
	v_mad_u64_u32 v[9:10], null, v4, s2, v[1:2]
	s_waitcnt vmcnt(0)
	v_mad_u64_u32 v[10:11], null, v4, s3, v[5:6]
	v_mov_b32_e32 v1, v9
	s_delay_alu instid0(VALU_DEP_2)
	v_mov_b32_e32 v5, v10
.LBB153_1116:
	v_cmp_ne_u32_e32 vcc_lo, 1, v0
	s_cbranch_vccnz .LBB153_1122
; %bb.1117:
	v_mov_b32_e32 v0, 0
	v_mov_b32_e32 v4, 0
	s_cmp_lg_u32 s24, 0
	s_mov_b32 s6, 0
	s_cbranch_scc0 .LBB153_1126
; %bb.1118:
	s_min_u32 s7, s25, 15
	v_mov_b32_e32 v0, 0
	s_add_i32 s7, s7, 1
	s_cmp_eq_u32 s25, 2
	s_mov_b32 s10, 0
	s_cbranch_scc1 .LBB153_1123
; %bb.1119:
	v_dual_mov_b32 v4, 0 :: v_dual_mov_b32 v9, v8
	v_mov_b32_e32 v0, 0
	s_add_u32 s2, s16, 0xc4
	s_addc_u32 s3, s17, 0
	s_and_b32 s10, s7, 28
	s_mov_b32 s11, 0
	s_mov_b64 s[4:5], s[16:17]
.LBB153_1120:                           ; =>This Inner Loop Header: Depth=1
	s_clause 0x1
	s_load_b256 s[36:43], s[4:5], 0x4
	s_load_b128 s[12:15], s[4:5], 0x24
	s_load_b256 s[44:51], s[2:3], 0x0
	s_add_u32 s4, s4, 48
	s_addc_u32 s5, s5, 0
	s_add_i32 s11, s11, 4
	s_add_u32 s2, s2, 32
	s_addc_u32 s3, s3, 0
	s_cmp_lg_u32 s10, s11
	s_waitcnt lgkmcnt(0)
	v_mul_hi_u32 v10, s37, v9
	s_delay_alu instid0(VALU_DEP_1) | instskip(NEXT) | instid1(VALU_DEP_1)
	v_add_nc_u32_e32 v10, v9, v10
	v_lshrrev_b32_e32 v10, s38, v10
	s_delay_alu instid0(VALU_DEP_1) | instskip(SKIP_1) | instid1(VALU_DEP_2)
	v_mul_hi_u32 v11, s40, v10
	v_mul_lo_u32 v13, v10, s36
	v_add_nc_u32_e32 v11, v10, v11
	s_delay_alu instid0(VALU_DEP_2) | instskip(NEXT) | instid1(VALU_DEP_2)
	v_sub_nc_u32_e32 v9, v9, v13
	v_lshrrev_b32_e32 v11, s41, v11
	s_delay_alu instid0(VALU_DEP_2) | instskip(SKIP_1) | instid1(VALU_DEP_3)
	v_mul_lo_u32 v13, v9, s44
	v_mul_lo_u32 v15, v9, s45
	v_mul_hi_u32 v12, s43, v11
	s_delay_alu instid0(VALU_DEP_1) | instskip(NEXT) | instid1(VALU_DEP_1)
	v_add_nc_u32_e32 v12, v11, v12
	v_lshrrev_b32_e32 v12, s12, v12
	s_delay_alu instid0(VALU_DEP_1) | instskip(SKIP_1) | instid1(VALU_DEP_2)
	v_mul_hi_u32 v14, s14, v12
	v_mul_lo_u32 v16, v12, s42
	v_add_nc_u32_e32 v9, v12, v14
	v_mul_lo_u32 v14, v11, s39
	s_delay_alu instid0(VALU_DEP_3) | instskip(NEXT) | instid1(VALU_DEP_3)
	v_sub_nc_u32_e32 v11, v11, v16
	v_lshrrev_b32_e32 v9, s15, v9
	s_delay_alu instid0(VALU_DEP_2) | instskip(SKIP_2) | instid1(VALU_DEP_4)
	v_mul_lo_u32 v16, v11, s48
	v_mul_lo_u32 v11, v11, s49
	v_sub_nc_u32_e32 v10, v10, v14
	v_mul_lo_u32 v17, v9, s13
	s_delay_alu instid0(VALU_DEP_2) | instskip(SKIP_1) | instid1(VALU_DEP_3)
	v_mul_lo_u32 v14, v10, s46
	v_mul_lo_u32 v10, v10, s47
	v_sub_nc_u32_e32 v12, v12, v17
	s_delay_alu instid0(VALU_DEP_3) | instskip(NEXT) | instid1(VALU_DEP_2)
	v_add3_u32 v0, v13, v0, v14
	v_mul_lo_u32 v17, v12, s50
	v_mul_lo_u32 v12, v12, s51
	v_add3_u32 v4, v15, v4, v10
	s_delay_alu instid0(VALU_DEP_3) | instskip(NEXT) | instid1(VALU_DEP_2)
	v_add3_u32 v0, v16, v0, v17
	v_add3_u32 v4, v11, v4, v12
	s_cbranch_scc1 .LBB153_1120
; %bb.1121:
	s_and_b32 s7, s7, 3
	s_delay_alu instid0(SALU_CYCLE_1)
	s_cmp_eq_u32 s7, 0
	s_cbranch_scc0 .LBB153_1124
	s_branch .LBB153_1126
.LBB153_1122:
	s_mov_b32 s6, -1
                                        ; implicit-def: $vgpr0
                                        ; implicit-def: $vgpr4
	s_branch .LBB153_1126
.LBB153_1123:
	v_dual_mov_b32 v9, v8 :: v_dual_mov_b32 v4, 0
	s_and_b32 s7, s7, 3
	s_delay_alu instid0(SALU_CYCLE_1)
	s_cmp_eq_u32 s7, 0
	s_cbranch_scc1 .LBB153_1126
.LBB153_1124:
	s_lshl_b32 s2, s10, 3
	s_mul_i32 s4, s10, 12
	s_add_u32 s2, s2, s16
	s_addc_u32 s3, 0, s17
	s_add_u32 s2, s2, 0xc4
	s_addc_u32 s3, s3, 0
	;; [unrolled: 2-line block ×3, first 2 shown]
	.p2align	6
.LBB153_1125:                           ; =>This Inner Loop Header: Depth=1
	s_clause 0x1
	s_load_b64 s[10:11], s[4:5], 0x4
	s_load_b32 s14, s[4:5], 0xc
	s_load_b64 s[12:13], s[2:3], 0x0
	s_add_u32 s4, s4, 12
	s_addc_u32 s5, s5, 0
	s_add_u32 s2, s2, 8
	s_addc_u32 s3, s3, 0
	s_add_i32 s7, s7, -1
	s_delay_alu instid0(SALU_CYCLE_1) | instskip(SKIP_2) | instid1(VALU_DEP_1)
	s_cmp_lg_u32 s7, 0
	s_waitcnt lgkmcnt(0)
	v_mul_hi_u32 v10, s11, v9
	v_add_nc_u32_e32 v10, v9, v10
	s_delay_alu instid0(VALU_DEP_1) | instskip(NEXT) | instid1(VALU_DEP_1)
	v_lshrrev_b32_e32 v13, s14, v10
	v_mul_lo_u32 v10, v13, s10
	s_delay_alu instid0(VALU_DEP_1) | instskip(NEXT) | instid1(VALU_DEP_1)
	v_sub_nc_u32_e32 v9, v9, v10
	v_mad_u64_u32 v[10:11], null, v9, s12, v[0:1]
	v_mad_u64_u32 v[11:12], null, v9, s13, v[4:5]
	s_delay_alu instid0(VALU_DEP_2) | instskip(NEXT) | instid1(VALU_DEP_2)
	v_dual_mov_b32 v9, v13 :: v_dual_mov_b32 v0, v10
	v_mov_b32_e32 v4, v11
	s_cbranch_scc1 .LBB153_1125
.LBB153_1126:
	s_and_not1_b32 vcc_lo, exec_lo, s6
	s_cbranch_vccnz .LBB153_1129
; %bb.1127:
	s_clause 0x1
	s_load_b128 s[4:7], s[16:17], 0x4
	s_load_b64 s[2:3], s[16:17], 0xc4
	s_cmp_lt_u32 s24, 2
	s_waitcnt lgkmcnt(0)
	v_mul_hi_u32 v0, s5, v8
	s_delay_alu instid0(VALU_DEP_1) | instskip(NEXT) | instid1(VALU_DEP_1)
	v_add_nc_u32_e32 v0, v8, v0
	v_lshrrev_b32_e32 v9, s6, v0
	s_delay_alu instid0(VALU_DEP_1) | instskip(NEXT) | instid1(VALU_DEP_1)
	v_mul_lo_u32 v0, v9, s4
	v_sub_nc_u32_e32 v4, v8, v0
	s_delay_alu instid0(VALU_DEP_1)
	v_mul_lo_u32 v0, v4, s2
	v_mul_lo_u32 v4, v4, s3
	s_cbranch_scc1 .LBB153_1129
; %bb.1128:
	s_clause 0x1
	s_load_b128 s[4:7], s[16:17], 0x10
	s_load_b64 s[2:3], s[16:17], 0xcc
	s_waitcnt lgkmcnt(0)
	v_mul_hi_u32 v8, s5, v9
	s_delay_alu instid0(VALU_DEP_1) | instskip(NEXT) | instid1(VALU_DEP_1)
	v_add_nc_u32_e32 v8, v9, v8
	v_lshrrev_b32_e32 v8, s6, v8
	s_delay_alu instid0(VALU_DEP_1) | instskip(NEXT) | instid1(VALU_DEP_1)
	v_mul_lo_u32 v8, v8, s4
	v_sub_nc_u32_e32 v11, v9, v8
	s_delay_alu instid0(VALU_DEP_1) | instskip(SKIP_1) | instid1(VALU_DEP_2)
	v_mad_u64_u32 v[8:9], null, v11, s2, v[0:1]
	v_mad_u64_u32 v[9:10], null, v11, s3, v[4:5]
	v_mov_b32_e32 v0, v8
	s_delay_alu instid0(VALU_DEP_2)
	v_mov_b32_e32 v4, v9
.LBB153_1129:
	s_clause 0x1
	s_load_b32 s0, s[0:1], 0x160
	s_load_b128 s[4:7], s[16:17], 0x148
	s_mov_b32 s3, 0
	s_waitcnt lgkmcnt(0)
	s_lshr_b32 s1, s0, 16
	s_delay_alu instid0(SALU_CYCLE_1) | instskip(SKIP_1) | instid1(VALU_DEP_1)
	v_and_b32_e64 v9, 0xff, s1
	v_add_co_u32 v7, s1, s6, v7
	v_add_co_ci_u32_e64 v8, null, s7, 0, s1
	s_delay_alu instid0(VALU_DEP_3)
	v_cmp_gt_i16_e32 vcc_lo, 11, v9
	s_cbranch_vccnz .LBB153_1136
; %bb.1130:
	v_cmp_lt_i16_e32 vcc_lo, 25, v9
	s_mov_b32 s2, 0
	s_cbranch_vccz .LBB153_1142
; %bb.1131:
	v_cmp_lt_i16_e32 vcc_lo, 28, v9
	s_cbranch_vccz .LBB153_1144
; %bb.1132:
	v_cmp_lt_i16_e32 vcc_lo, 43, v9
	;; [unrolled: 3-line block ×3, first 2 shown]
	s_cbranch_vccz .LBB153_1150
; %bb.1134:
	v_cmp_eq_u16_e32 vcc_lo, 46, v9
	s_mov_b32 s10, 0
	s_cbranch_vccz .LBB153_1192
; %bb.1135:
	global_load_b32 v10, v[7:8], off
	s_mov_b32 s1, 0
	s_mov_b32 s3, -1
	s_branch .LBB153_1194
.LBB153_1136:
	s_mov_b32 s1, s8
                                        ; implicit-def: $vgpr10
	s_cbranch_execz .LBB153_1257
; %bb.1137:
	v_cmp_gt_i16_e32 vcc_lo, 5, v9
	s_cbranch_vccnz .LBB153_1143
; %bb.1138:
	v_cmp_gt_i16_e32 vcc_lo, 8, v9
	s_cbranch_vccnz .LBB153_1145
	;; [unrolled: 3-line block ×3, first 2 shown]
; %bb.1140:
	v_cmp_lt_i16_e32 vcc_lo, 9, v9
	s_cbranch_vccz .LBB153_1151
; %bb.1141:
	global_load_b64 v[10:11], v[7:8], off
	s_mov_b32 s2, 0
	s_waitcnt vmcnt(0)
	v_cvt_f32_f64_e32 v10, v[10:11]
	s_delay_alu instid0(VALU_DEP_1) | instskip(SKIP_1) | instid1(VALU_DEP_2)
	v_bfe_u32 v11, v10, 16, 1
	v_cmp_o_f32_e32 vcc_lo, v10, v10
	v_add3_u32 v11, v10, v11, 0x7fff
	s_delay_alu instid0(VALU_DEP_1) | instskip(NEXT) | instid1(VALU_DEP_1)
	v_lshrrev_b32_e32 v11, 16, v11
	v_cndmask_b32_e32 v10, 0x7fc0, v11, vcc_lo
	s_branch .LBB153_1152
.LBB153_1142:
	s_mov_b32 s1, 0
                                        ; implicit-def: $vgpr10
	s_cbranch_execnz .LBB153_1222
	s_branch .LBB153_1253
.LBB153_1143:
                                        ; implicit-def: $vgpr10
	s_branch .LBB153_1169
.LBB153_1144:
	s_mov_b32 s10, -1
	s_mov_b32 s1, 0
                                        ; implicit-def: $vgpr10
	s_branch .LBB153_1203
.LBB153_1145:
                                        ; implicit-def: $vgpr10
	s_branch .LBB153_1158
.LBB153_1146:
	s_mov_b32 s1, 0
                                        ; implicit-def: $vgpr10
	s_cbranch_execnz .LBB153_1199
	s_branch .LBB153_1202
.LBB153_1147:
	s_mov_b32 s2, -1
                                        ; implicit-def: $vgpr10
	s_branch .LBB153_1155
.LBB153_1148:
	s_cbranch_execnz .LBB153_1190
; %bb.1149:
	s_or_b32 s3, s3, exec_lo
	s_and_not1_b32 s8, s8, exec_lo
	s_or_b32 exec_lo, exec_lo, s2
	s_and_saveexec_b32 s2, s8
	s_delay_alu instid0(SALU_CYCLE_1)
	s_xor_b32 s2, exec_lo, s2
	s_cbranch_execnz .LBB153_1036
	s_branch .LBB153_1037
.LBB153_1150:
	s_mov_b32 s10, -1
	s_mov_b32 s1, 0
	s_branch .LBB153_1193
.LBB153_1151:
	s_mov_b32 s2, -1
                                        ; implicit-def: $vgpr10
.LBB153_1152:
	s_delay_alu instid0(SALU_CYCLE_1)
	s_and_not1_b32 vcc_lo, exec_lo, s2
	s_cbranch_vccnz .LBB153_1154
; %bb.1153:
	global_load_b32 v10, v[7:8], off
	s_waitcnt vmcnt(0)
	v_bfe_u32 v11, v10, 16, 1
	v_cmp_o_f32_e32 vcc_lo, v10, v10
	s_delay_alu instid0(VALU_DEP_2) | instskip(NEXT) | instid1(VALU_DEP_1)
	v_add3_u32 v11, v10, v11, 0x7fff
	v_lshrrev_b32_e32 v11, 16, v11
	s_delay_alu instid0(VALU_DEP_1)
	v_cndmask_b32_e32 v10, 0x7fc0, v11, vcc_lo
.LBB153_1154:
	s_mov_b32 s2, 0
.LBB153_1155:
	s_delay_alu instid0(SALU_CYCLE_1)
	s_and_not1_b32 vcc_lo, exec_lo, s2
	s_cbranch_vccnz .LBB153_1157
; %bb.1156:
	global_load_b32 v10, v[7:8], off
	s_waitcnt vmcnt(0)
	v_cvt_f32_f16_e32 v11, v10
	v_cmp_o_f16_e32 vcc_lo, v10, v10
	s_delay_alu instid0(VALU_DEP_2) | instskip(NEXT) | instid1(VALU_DEP_1)
	v_bfe_u32 v12, v11, 16, 1
	v_add3_u32 v11, v11, v12, 0x7fff
	s_delay_alu instid0(VALU_DEP_1) | instskip(NEXT) | instid1(VALU_DEP_1)
	v_lshrrev_b32_e32 v11, 16, v11
	v_cndmask_b32_e32 v10, 0x7fc0, v11, vcc_lo
.LBB153_1157:
	s_cbranch_execnz .LBB153_1168
.LBB153_1158:
	v_cmp_gt_i16_e32 vcc_lo, 6, v9
	s_cbranch_vccnz .LBB153_1161
; %bb.1159:
	v_cmp_lt_i16_e32 vcc_lo, 6, v9
	s_cbranch_vccz .LBB153_1162
; %bb.1160:
	global_load_b64 v[10:11], v[7:8], off
	s_mov_b32 s2, 0
	s_waitcnt vmcnt(0)
	v_cvt_f32_f64_e32 v10, v[10:11]
	s_delay_alu instid0(VALU_DEP_1) | instskip(SKIP_1) | instid1(VALU_DEP_2)
	v_bfe_u32 v11, v10, 16, 1
	v_cmp_o_f32_e32 vcc_lo, v10, v10
	v_add3_u32 v11, v10, v11, 0x7fff
	s_delay_alu instid0(VALU_DEP_1) | instskip(NEXT) | instid1(VALU_DEP_1)
	v_lshrrev_b32_e32 v11, 16, v11
	v_cndmask_b32_e32 v10, 0x7fc0, v11, vcc_lo
	s_branch .LBB153_1163
.LBB153_1161:
	s_mov_b32 s2, -1
                                        ; implicit-def: $vgpr10
	s_branch .LBB153_1166
.LBB153_1162:
	s_mov_b32 s2, -1
                                        ; implicit-def: $vgpr10
.LBB153_1163:
	s_delay_alu instid0(SALU_CYCLE_1)
	s_and_not1_b32 vcc_lo, exec_lo, s2
	s_cbranch_vccnz .LBB153_1165
; %bb.1164:
	global_load_b32 v10, v[7:8], off
	s_waitcnt vmcnt(0)
	v_bfe_u32 v11, v10, 16, 1
	v_cmp_o_f32_e32 vcc_lo, v10, v10
	s_delay_alu instid0(VALU_DEP_2) | instskip(NEXT) | instid1(VALU_DEP_1)
	v_add3_u32 v11, v10, v11, 0x7fff
	v_lshrrev_b32_e32 v11, 16, v11
	s_delay_alu instid0(VALU_DEP_1)
	v_cndmask_b32_e32 v10, 0x7fc0, v11, vcc_lo
.LBB153_1165:
	s_mov_b32 s2, 0
.LBB153_1166:
	s_delay_alu instid0(SALU_CYCLE_1)
	s_and_not1_b32 vcc_lo, exec_lo, s2
	s_cbranch_vccnz .LBB153_1168
; %bb.1167:
	global_load_u16 v10, v[7:8], off
	s_waitcnt vmcnt(0)
	v_cvt_f32_f16_e32 v11, v10
	v_cmp_o_f16_e32 vcc_lo, v10, v10
	s_delay_alu instid0(VALU_DEP_2) | instskip(NEXT) | instid1(VALU_DEP_1)
	v_bfe_u32 v12, v11, 16, 1
	v_add3_u32 v11, v11, v12, 0x7fff
	s_delay_alu instid0(VALU_DEP_1) | instskip(NEXT) | instid1(VALU_DEP_1)
	v_lshrrev_b32_e32 v11, 16, v11
	v_cndmask_b32_e32 v10, 0x7fc0, v11, vcc_lo
.LBB153_1168:
	s_cbranch_execnz .LBB153_1187
.LBB153_1169:
	v_cmp_gt_i16_e32 vcc_lo, 2, v9
	s_cbranch_vccnz .LBB153_1173
; %bb.1170:
	v_cmp_gt_i16_e32 vcc_lo, 3, v9
	s_cbranch_vccnz .LBB153_1174
; %bb.1171:
	v_cmp_lt_i16_e32 vcc_lo, 3, v9
	s_cbranch_vccz .LBB153_1175
; %bb.1172:
	global_load_b64 v[10:11], v[7:8], off
	s_mov_b32 s2, 0
	s_waitcnt vmcnt(0)
	v_xor_b32_e32 v12, v10, v11
	v_cls_i32_e32 v13, v11
	s_delay_alu instid0(VALU_DEP_2) | instskip(NEXT) | instid1(VALU_DEP_2)
	v_ashrrev_i32_e32 v12, 31, v12
	v_add_nc_u32_e32 v13, -1, v13
	s_delay_alu instid0(VALU_DEP_2) | instskip(NEXT) | instid1(VALU_DEP_1)
	v_add_nc_u32_e32 v12, 32, v12
	v_min_u32_e32 v12, v13, v12
	s_delay_alu instid0(VALU_DEP_1) | instskip(NEXT) | instid1(VALU_DEP_1)
	v_lshlrev_b64 v[10:11], v12, v[10:11]
	v_min_u32_e32 v10, 1, v10
	s_delay_alu instid0(VALU_DEP_1) | instskip(SKIP_1) | instid1(VALU_DEP_2)
	v_or_b32_e32 v10, v11, v10
	v_sub_nc_u32_e32 v11, 32, v12
	v_cvt_f32_i32_e32 v10, v10
	s_delay_alu instid0(VALU_DEP_1) | instskip(NEXT) | instid1(VALU_DEP_1)
	v_ldexp_f32 v10, v10, v11
	v_bfe_u32 v11, v10, 16, 1
	s_delay_alu instid0(VALU_DEP_1) | instskip(NEXT) | instid1(VALU_DEP_1)
	v_add3_u32 v10, v10, v11, 0x7fff
	v_lshrrev_b32_e32 v10, 16, v10
	s_branch .LBB153_1176
.LBB153_1173:
                                        ; implicit-def: $vgpr10
	s_branch .LBB153_1182
.LBB153_1174:
	s_mov_b32 s2, -1
                                        ; implicit-def: $vgpr10
	s_branch .LBB153_1179
.LBB153_1175:
	s_mov_b32 s2, -1
                                        ; implicit-def: $vgpr10
.LBB153_1176:
	s_delay_alu instid0(SALU_CYCLE_1)
	s_and_not1_b32 vcc_lo, exec_lo, s2
	s_cbranch_vccnz .LBB153_1178
; %bb.1177:
	global_load_b32 v10, v[7:8], off
	s_waitcnt vmcnt(0)
	v_cvt_f32_i32_e32 v10, v10
	s_delay_alu instid0(VALU_DEP_1) | instskip(NEXT) | instid1(VALU_DEP_1)
	v_bfe_u32 v11, v10, 16, 1
	v_add3_u32 v10, v10, v11, 0x7fff
	s_delay_alu instid0(VALU_DEP_1)
	v_lshrrev_b32_e32 v10, 16, v10
.LBB153_1178:
	s_mov_b32 s2, 0
.LBB153_1179:
	s_delay_alu instid0(SALU_CYCLE_1)
	s_and_not1_b32 vcc_lo, exec_lo, s2
	s_cbranch_vccnz .LBB153_1181
; %bb.1180:
	global_load_i16 v10, v[7:8], off
	s_waitcnt vmcnt(0)
	v_cvt_f32_i32_e32 v10, v10
	s_delay_alu instid0(VALU_DEP_1) | instskip(NEXT) | instid1(VALU_DEP_1)
	v_bfe_u32 v11, v10, 16, 1
	v_add3_u32 v10, v10, v11, 0x7fff
	s_delay_alu instid0(VALU_DEP_1)
	v_lshrrev_b32_e32 v10, 16, v10
.LBB153_1181:
	s_cbranch_execnz .LBB153_1187
.LBB153_1182:
	v_cmp_lt_i16_e32 vcc_lo, 0, v9
	s_mov_b32 s2, 0
	s_cbranch_vccz .LBB153_1184
; %bb.1183:
	global_load_i8 v10, v[7:8], off
	s_waitcnt vmcnt(0)
	v_cvt_f32_i32_e32 v10, v10
	s_delay_alu instid0(VALU_DEP_1) | instskip(NEXT) | instid1(VALU_DEP_1)
	v_bfe_u32 v11, v10, 16, 1
	v_add3_u32 v10, v10, v11, 0x7fff
	s_delay_alu instid0(VALU_DEP_1)
	v_lshrrev_b32_e32 v10, 16, v10
	s_branch .LBB153_1185
.LBB153_1184:
	s_mov_b32 s2, -1
                                        ; implicit-def: $vgpr10
.LBB153_1185:
	s_delay_alu instid0(SALU_CYCLE_1)
	s_and_not1_b32 vcc_lo, exec_lo, s2
	s_cbranch_vccnz .LBB153_1187
; %bb.1186:
	global_load_u8 v7, v[7:8], off
	s_waitcnt vmcnt(0)
	v_cvt_f32_ubyte0_e32 v7, v7
	s_delay_alu instid0(VALU_DEP_1) | instskip(NEXT) | instid1(VALU_DEP_1)
	v_bfe_u32 v8, v7, 16, 1
	v_add3_u32 v7, v7, v8, 0x7fff
	s_delay_alu instid0(VALU_DEP_1)
	v_lshrrev_b32_e32 v10, 16, v7
.LBB153_1187:
	s_branch .LBB153_1258
.LBB153_1188:
	s_trap 2
	s_sendmsg_rtn_b32 s0, sendmsg(MSG_RTN_GET_DOORBELL)
	s_mov_b32 ttmp2, m0
	s_waitcnt lgkmcnt(0)
	s_and_b32 s0, s0, 0x3ff
	s_delay_alu instid0(SALU_CYCLE_1) | instskip(NEXT) | instid1(SALU_CYCLE_1)
	s_bitset1_b32 s0, 10
	s_mov_b32 m0, s0
	s_sendmsg sendmsg(MSG_INTERRUPT)
	s_mov_b32 m0, ttmp2
.LBB153_1189:                           ; =>This Inner Loop Header: Depth=1
	s_sethalt 5
	s_branch .LBB153_1189
.LBB153_1190:
	s_trap 2
	s_sendmsg_rtn_b32 s0, sendmsg(MSG_RTN_GET_DOORBELL)
	s_mov_b32 ttmp2, m0
	s_waitcnt lgkmcnt(0)
	s_and_b32 s0, s0, 0x3ff
	s_delay_alu instid0(SALU_CYCLE_1) | instskip(NEXT) | instid1(SALU_CYCLE_1)
	s_bitset1_b32 s0, 10
	s_mov_b32 m0, s0
	s_sendmsg sendmsg(MSG_INTERRUPT)
	s_mov_b32 m0, ttmp2
.LBB153_1191:                           ; =>This Inner Loop Header: Depth=1
	s_sethalt 5
	s_branch .LBB153_1191
.LBB153_1192:
	s_mov_b32 s1, -1
.LBB153_1193:
                                        ; implicit-def: $vgpr10
.LBB153_1194:
	s_and_b32 vcc_lo, exec_lo, s10
	s_cbranch_vccz .LBB153_1197
; %bb.1195:
	v_cmp_eq_u16_e32 vcc_lo, 44, v9
	s_cbranch_vccz .LBB153_1198
; %bb.1196:
	global_load_u8 v10, v[7:8], off
	s_mov_b32 s1, 0
	s_mov_b32 s3, -1
	s_waitcnt vmcnt(0)
	v_lshlrev_b32_e32 v11, 23, v10
	v_cmp_ne_u32_e32 vcc_lo, 0xff, v10
	s_delay_alu instid0(VALU_DEP_2) | instskip(SKIP_1) | instid1(VALU_DEP_2)
	v_cndmask_b32_e32 v11, 0x7f800001, v11, vcc_lo
	v_cmp_ne_u32_e32 vcc_lo, 0, v10
	v_cndmask_b32_e32 v10, 0x400000, v11, vcc_lo
	s_delay_alu instid0(VALU_DEP_1) | instskip(SKIP_1) | instid1(VALU_DEP_2)
	v_add_nc_u32_e32 v11, 0x7fff, v10
	v_cmp_o_f32_e32 vcc_lo, v10, v10
	v_lshrrev_b32_e32 v11, 16, v11
	s_delay_alu instid0(VALU_DEP_1)
	v_cndmask_b32_e32 v10, 0x7fc0, v11, vcc_lo
.LBB153_1197:
	s_branch .LBB153_1202
.LBB153_1198:
	s_mov_b32 s1, -1
                                        ; implicit-def: $vgpr10
	s_branch .LBB153_1202
.LBB153_1199:
	v_cmp_eq_u16_e32 vcc_lo, 29, v9
	s_cbranch_vccz .LBB153_1201
; %bb.1200:
	global_load_b64 v[10:11], v[7:8], off
	s_mov_b32 s1, 0
	s_mov_b32 s3, -1
	s_mov_b32 s10, 0
	s_waitcnt vmcnt(0)
	v_clz_i32_u32_e32 v12, v11
	s_delay_alu instid0(VALU_DEP_1) | instskip(NEXT) | instid1(VALU_DEP_1)
	v_min_u32_e32 v12, 32, v12
	v_lshlrev_b64 v[10:11], v12, v[10:11]
	s_delay_alu instid0(VALU_DEP_1) | instskip(NEXT) | instid1(VALU_DEP_1)
	v_min_u32_e32 v10, 1, v10
	v_or_b32_e32 v10, v11, v10
	v_sub_nc_u32_e32 v11, 32, v12
	s_delay_alu instid0(VALU_DEP_2) | instskip(NEXT) | instid1(VALU_DEP_1)
	v_cvt_f32_u32_e32 v10, v10
	v_ldexp_f32 v10, v10, v11
	s_delay_alu instid0(VALU_DEP_1) | instskip(NEXT) | instid1(VALU_DEP_1)
	v_bfe_u32 v11, v10, 16, 1
	v_add3_u32 v10, v10, v11, 0x7fff
	s_delay_alu instid0(VALU_DEP_1)
	v_lshrrev_b32_e32 v10, 16, v10
	s_branch .LBB153_1203
.LBB153_1201:
	s_mov_b32 s1, -1
                                        ; implicit-def: $vgpr10
.LBB153_1202:
	s_mov_b32 s10, 0
.LBB153_1203:
	s_delay_alu instid0(SALU_CYCLE_1)
	s_and_b32 vcc_lo, exec_lo, s10
	s_cbranch_vccz .LBB153_1221
; %bb.1204:
	v_cmp_gt_i16_e32 vcc_lo, 27, v9
	s_cbranch_vccnz .LBB153_1207
; %bb.1205:
	v_cmp_lt_i16_e32 vcc_lo, 27, v9
	s_cbranch_vccz .LBB153_1208
; %bb.1206:
	global_load_b32 v10, v[7:8], off
	s_mov_b32 s3, 0
	s_waitcnt vmcnt(0)
	v_cvt_f32_u32_e32 v10, v10
	s_delay_alu instid0(VALU_DEP_1) | instskip(NEXT) | instid1(VALU_DEP_1)
	v_bfe_u32 v11, v10, 16, 1
	v_add3_u32 v10, v10, v11, 0x7fff
	s_delay_alu instid0(VALU_DEP_1)
	v_lshrrev_b32_e32 v10, 16, v10
	s_branch .LBB153_1209
.LBB153_1207:
	s_mov_b32 s3, -1
                                        ; implicit-def: $vgpr10
	s_branch .LBB153_1212
.LBB153_1208:
	s_mov_b32 s3, -1
                                        ; implicit-def: $vgpr10
.LBB153_1209:
	s_delay_alu instid0(SALU_CYCLE_1)
	s_and_not1_b32 vcc_lo, exec_lo, s3
	s_cbranch_vccnz .LBB153_1211
; %bb.1210:
	global_load_u16 v10, v[7:8], off
	s_waitcnt vmcnt(0)
	v_cvt_f32_u32_e32 v10, v10
	s_delay_alu instid0(VALU_DEP_1) | instskip(NEXT) | instid1(VALU_DEP_1)
	v_bfe_u32 v11, v10, 16, 1
	v_add3_u32 v10, v10, v11, 0x7fff
	s_delay_alu instid0(VALU_DEP_1)
	v_lshrrev_b32_e32 v10, 16, v10
.LBB153_1211:
	s_mov_b32 s3, 0
.LBB153_1212:
	s_delay_alu instid0(SALU_CYCLE_1)
	s_and_not1_b32 vcc_lo, exec_lo, s3
	s_cbranch_vccnz .LBB153_1220
; %bb.1213:
	global_load_u8 v10, v[7:8], off
	s_mov_b32 s3, 0
	s_mov_b32 s11, exec_lo
                                        ; implicit-def: $sgpr10
	s_waitcnt vmcnt(0)
	v_cmpx_lt_i16_e32 0x7f, v10
	s_xor_b32 s11, exec_lo, s11
	s_cbranch_execz .LBB153_1233
; %bb.1214:
	s_mov_b32 s3, -1
	s_mov_b32 s12, exec_lo
                                        ; implicit-def: $sgpr10
	v_cmpx_eq_u16_e32 0x80, v10
; %bb.1215:
	s_mov_b32 s10, 0x7f800001
	s_xor_b32 s3, exec_lo, -1
; %bb.1216:
	s_or_b32 exec_lo, exec_lo, s12
	s_delay_alu instid0(SALU_CYCLE_1)
	s_and_b32 s3, s3, exec_lo
	s_or_saveexec_b32 s11, s11
	v_mov_b32_e32 v11, s10
	s_xor_b32 exec_lo, exec_lo, s11
	s_cbranch_execnz .LBB153_1234
.LBB153_1217:
	s_or_b32 exec_lo, exec_lo, s11
	s_and_saveexec_b32 s10, s3
	s_cbranch_execz .LBB153_1219
.LBB153_1218:
	v_and_b32_e32 v11, 0xffff, v10
	v_lshlrev_b32_e32 v10, 24, v10
	s_delay_alu instid0(VALU_DEP_2) | instskip(NEXT) | instid1(VALU_DEP_2)
	v_and_b32_e32 v12, 7, v11
	v_and_b32_e32 v10, 0x80000000, v10
	s_delay_alu instid0(VALU_DEP_2) | instskip(NEXT) | instid1(VALU_DEP_1)
	v_clz_i32_u32_e32 v13, v12
	v_min_u32_e32 v13, 32, v13
	s_delay_alu instid0(VALU_DEP_1) | instskip(SKIP_1) | instid1(VALU_DEP_2)
	v_subrev_nc_u32_e32 v14, 28, v13
	v_sub_nc_u32_e32 v13, 29, v13
	v_lshlrev_b32_e32 v14, v14, v11
	v_bfe_u32 v11, v11, 3, 4
	s_delay_alu instid0(VALU_DEP_2) | instskip(NEXT) | instid1(VALU_DEP_2)
	v_and_b32_e32 v14, 7, v14
	v_cmp_eq_u32_e32 vcc_lo, 0, v11
	s_delay_alu instid0(VALU_DEP_2) | instskip(NEXT) | instid1(VALU_DEP_1)
	v_dual_cndmask_b32 v11, v11, v13 :: v_dual_cndmask_b32 v12, v12, v14
	v_lshl_add_u32 v11, v11, 23, 0x3b800000
	s_delay_alu instid0(VALU_DEP_2) | instskip(NEXT) | instid1(VALU_DEP_1)
	v_lshlrev_b32_e32 v12, 20, v12
	v_or3_b32 v11, v10, v11, v12
.LBB153_1219:
	s_or_b32 exec_lo, exec_lo, s10
	s_delay_alu instid0(VALU_DEP_1) | instskip(SKIP_1) | instid1(VALU_DEP_2)
	v_bfe_u32 v10, v11, 16, 1
	v_cmp_o_f32_e32 vcc_lo, v11, v11
	v_add3_u32 v10, v11, v10, 0x7fff
	s_delay_alu instid0(VALU_DEP_1) | instskip(NEXT) | instid1(VALU_DEP_1)
	v_lshrrev_b32_e32 v10, 16, v10
	v_cndmask_b32_e32 v10, 0x7fc0, v10, vcc_lo
.LBB153_1220:
	s_mov_b32 s3, -1
.LBB153_1221:
	s_branch .LBB153_1253
.LBB153_1222:
	v_cmp_lt_i16_e32 vcc_lo, 22, v9
	s_cbranch_vccz .LBB153_1232
; %bb.1223:
	v_cmp_gt_i16_e32 vcc_lo, 24, v9
	s_cbranch_vccnz .LBB153_1235
; %bb.1224:
	v_cmp_lt_i16_e32 vcc_lo, 24, v9
	s_cbranch_vccz .LBB153_1236
; %bb.1225:
	global_load_u8 v10, v[7:8], off
	s_mov_b32 s10, exec_lo
                                        ; implicit-def: $sgpr3
	s_waitcnt vmcnt(0)
	v_cmpx_lt_i16_e32 0x7f, v10
	s_xor_b32 s10, exec_lo, s10
	s_cbranch_execz .LBB153_1247
; %bb.1226:
	s_mov_b32 s2, -1
	s_mov_b32 s11, exec_lo
                                        ; implicit-def: $sgpr3
	v_cmpx_eq_u16_e32 0x80, v10
; %bb.1227:
	s_mov_b32 s3, 0x7f800001
	s_xor_b32 s2, exec_lo, -1
; %bb.1228:
	s_or_b32 exec_lo, exec_lo, s11
	s_delay_alu instid0(SALU_CYCLE_1)
	s_and_b32 s2, s2, exec_lo
	s_or_saveexec_b32 s10, s10
	v_mov_b32_e32 v11, s3
	s_xor_b32 exec_lo, exec_lo, s10
	s_cbranch_execnz .LBB153_1248
.LBB153_1229:
	s_or_b32 exec_lo, exec_lo, s10
	s_and_saveexec_b32 s3, s2
	s_cbranch_execz .LBB153_1231
.LBB153_1230:
	v_and_b32_e32 v11, 0xffff, v10
	v_lshlrev_b32_e32 v10, 24, v10
	s_delay_alu instid0(VALU_DEP_2) | instskip(NEXT) | instid1(VALU_DEP_2)
	v_and_b32_e32 v12, 3, v11
	v_and_b32_e32 v10, 0x80000000, v10
	s_delay_alu instid0(VALU_DEP_2) | instskip(NEXT) | instid1(VALU_DEP_1)
	v_clz_i32_u32_e32 v13, v12
	v_min_u32_e32 v13, 32, v13
	s_delay_alu instid0(VALU_DEP_1) | instskip(SKIP_1) | instid1(VALU_DEP_2)
	v_subrev_nc_u32_e32 v14, 29, v13
	v_sub_nc_u32_e32 v13, 30, v13
	v_lshlrev_b32_e32 v14, v14, v11
	v_bfe_u32 v11, v11, 2, 5
	s_delay_alu instid0(VALU_DEP_2) | instskip(NEXT) | instid1(VALU_DEP_2)
	v_and_b32_e32 v14, 3, v14
	v_cmp_eq_u32_e32 vcc_lo, 0, v11
	s_delay_alu instid0(VALU_DEP_2) | instskip(NEXT) | instid1(VALU_DEP_1)
	v_dual_cndmask_b32 v11, v11, v13 :: v_dual_cndmask_b32 v12, v12, v14
	v_lshl_add_u32 v11, v11, 23, 0x37800000
	s_delay_alu instid0(VALU_DEP_2) | instskip(NEXT) | instid1(VALU_DEP_1)
	v_lshlrev_b32_e32 v12, 21, v12
	v_or3_b32 v11, v10, v11, v12
.LBB153_1231:
	s_or_b32 exec_lo, exec_lo, s3
	s_delay_alu instid0(VALU_DEP_1) | instskip(SKIP_2) | instid1(VALU_DEP_2)
	v_bfe_u32 v10, v11, 16, 1
	v_cmp_o_f32_e32 vcc_lo, v11, v11
	s_mov_b32 s2, 0
	v_add3_u32 v10, v11, v10, 0x7fff
	s_delay_alu instid0(VALU_DEP_1) | instskip(NEXT) | instid1(VALU_DEP_1)
	v_lshrrev_b32_e32 v10, 16, v10
	v_cndmask_b32_e32 v10, 0x7fc0, v10, vcc_lo
	s_branch .LBB153_1237
.LBB153_1232:
                                        ; implicit-def: $vgpr10
	s_mov_b32 s2, 0
	s_branch .LBB153_1243
.LBB153_1233:
	s_or_saveexec_b32 s11, s11
	v_mov_b32_e32 v11, s10
	s_xor_b32 exec_lo, exec_lo, s11
	s_cbranch_execz .LBB153_1217
.LBB153_1234:
	v_cmp_ne_u16_e32 vcc_lo, 0, v10
	v_mov_b32_e32 v11, 0
	s_and_not1_b32 s3, s3, exec_lo
	s_and_b32 s10, vcc_lo, exec_lo
	s_delay_alu instid0(SALU_CYCLE_1)
	s_or_b32 s3, s3, s10
	s_or_b32 exec_lo, exec_lo, s11
	s_and_saveexec_b32 s10, s3
	s_cbranch_execnz .LBB153_1218
	s_branch .LBB153_1219
.LBB153_1235:
	s_mov_b32 s2, -1
                                        ; implicit-def: $vgpr10
	s_branch .LBB153_1240
.LBB153_1236:
	s_mov_b32 s2, -1
                                        ; implicit-def: $vgpr10
.LBB153_1237:
	s_delay_alu instid0(SALU_CYCLE_1)
	s_and_b32 vcc_lo, exec_lo, s2
	s_cbranch_vccz .LBB153_1239
; %bb.1238:
	global_load_u8 v10, v[7:8], off
	s_waitcnt vmcnt(0)
	v_lshlrev_b32_e32 v10, 24, v10
	s_delay_alu instid0(VALU_DEP_1) | instskip(NEXT) | instid1(VALU_DEP_1)
	v_and_b32_e32 v11, 0x7f000000, v10
	v_clz_i32_u32_e32 v12, v11
	v_add_nc_u32_e32 v14, 0x1000000, v11
	v_cmp_ne_u32_e32 vcc_lo, 0, v11
	s_delay_alu instid0(VALU_DEP_3) | instskip(NEXT) | instid1(VALU_DEP_1)
	v_min_u32_e32 v12, 32, v12
	v_sub_nc_u32_e64 v12, v12, 4 clamp
	s_delay_alu instid0(VALU_DEP_1) | instskip(SKIP_1) | instid1(VALU_DEP_2)
	v_lshlrev_b32_e32 v13, v12, v11
	v_lshlrev_b32_e32 v12, 23, v12
	v_lshrrev_b32_e32 v13, 4, v13
	s_delay_alu instid0(VALU_DEP_1) | instskip(SKIP_1) | instid1(VALU_DEP_2)
	v_sub_nc_u32_e32 v12, v13, v12
	v_ashrrev_i32_e32 v13, 8, v14
	v_add_nc_u32_e32 v12, 0x3c000000, v12
	s_delay_alu instid0(VALU_DEP_1) | instskip(NEXT) | instid1(VALU_DEP_1)
	v_and_or_b32 v12, 0x7f800000, v13, v12
	v_cndmask_b32_e32 v11, 0, v12, vcc_lo
	s_delay_alu instid0(VALU_DEP_1) | instskip(SKIP_1) | instid1(VALU_DEP_2)
	v_and_or_b32 v10, 0x80000000, v10, v11
	v_bfe_u32 v11, v11, 16, 1
	v_cmp_o_f32_e32 vcc_lo, v10, v10
	s_delay_alu instid0(VALU_DEP_2) | instskip(NEXT) | instid1(VALU_DEP_1)
	v_add3_u32 v11, v10, v11, 0x7fff
	v_lshrrev_b32_e32 v11, 16, v11
	s_delay_alu instid0(VALU_DEP_1)
	v_cndmask_b32_e32 v10, 0x7fc0, v11, vcc_lo
.LBB153_1239:
	s_mov_b32 s2, 0
.LBB153_1240:
	s_delay_alu instid0(SALU_CYCLE_1)
	s_and_not1_b32 vcc_lo, exec_lo, s2
	s_cbranch_vccnz .LBB153_1242
; %bb.1241:
	global_load_u8 v10, v[7:8], off
	s_waitcnt vmcnt(0)
	v_lshlrev_b32_e32 v11, 25, v10
	v_lshlrev_b16 v10, 8, v10
	s_delay_alu instid0(VALU_DEP_2) | instskip(NEXT) | instid1(VALU_DEP_2)
	v_lshrrev_b32_e32 v12, 4, v11
	v_and_or_b32 v13, 0x7f00, v10, 0.5
	v_bfe_i32 v10, v10, 0, 16
	s_delay_alu instid0(VALU_DEP_3) | instskip(NEXT) | instid1(VALU_DEP_1)
	v_or_b32_e32 v12, 0x70000000, v12
	v_dual_add_f32 v13, -0.5, v13 :: v_dual_mul_f32 v12, 0x7800000, v12
	v_cmp_gt_u32_e32 vcc_lo, 0x8000000, v11
	s_delay_alu instid0(VALU_DEP_2) | instskip(NEXT) | instid1(VALU_DEP_1)
	v_cndmask_b32_e32 v11, v12, v13, vcc_lo
	v_and_or_b32 v10, 0x80000000, v10, v11
	v_bfe_u32 v11, v11, 16, 1
	s_delay_alu instid0(VALU_DEP_2) | instskip(NEXT) | instid1(VALU_DEP_2)
	v_cmp_o_f32_e32 vcc_lo, v10, v10
	v_add3_u32 v11, v10, v11, 0x7fff
	s_delay_alu instid0(VALU_DEP_1) | instskip(NEXT) | instid1(VALU_DEP_1)
	v_lshrrev_b32_e32 v11, 16, v11
	v_cndmask_b32_e32 v10, 0x7fc0, v11, vcc_lo
.LBB153_1242:
	s_mov_b32 s3, -1
	s_mov_b32 s2, 0
	s_cbranch_execnz .LBB153_1253
.LBB153_1243:
	v_cmp_lt_i16_e32 vcc_lo, 14, v9
	s_cbranch_vccz .LBB153_1246
; %bb.1244:
	v_cmp_eq_u16_e32 vcc_lo, 15, v9
	s_cbranch_vccz .LBB153_1249
; %bb.1245:
	global_load_u16 v10, v[7:8], off
	s_mov_b32 s1, 0
	s_mov_b32 s3, -1
	s_branch .LBB153_1251
.LBB153_1246:
	s_mov_b32 s2, -1
	s_branch .LBB153_1250
.LBB153_1247:
	s_or_saveexec_b32 s10, s10
	v_mov_b32_e32 v11, s3
	s_xor_b32 exec_lo, exec_lo, s10
	s_cbranch_execz .LBB153_1229
.LBB153_1248:
	v_cmp_ne_u16_e32 vcc_lo, 0, v10
	v_mov_b32_e32 v11, 0
	s_and_not1_b32 s2, s2, exec_lo
	s_and_b32 s3, vcc_lo, exec_lo
	s_delay_alu instid0(SALU_CYCLE_1)
	s_or_b32 s2, s2, s3
	s_or_b32 exec_lo, exec_lo, s10
	s_and_saveexec_b32 s3, s2
	s_cbranch_execnz .LBB153_1230
	s_branch .LBB153_1231
.LBB153_1249:
	s_mov_b32 s1, -1
.LBB153_1250:
                                        ; implicit-def: $vgpr10
.LBB153_1251:
	s_and_b32 vcc_lo, exec_lo, s2
	s_mov_b32 s2, 0
	s_cbranch_vccz .LBB153_1253
; %bb.1252:
	v_cmp_ne_u16_e64 s1, 11, v9
	s_mov_b32 s2, -1
                                        ; implicit-def: $vgpr10
.LBB153_1253:
	s_delay_alu instid0(VALU_DEP_1)
	s_and_b32 vcc_lo, exec_lo, s1
	s_mov_b32 s1, s8
	s_cbranch_vccnz .LBB153_1277
; %bb.1254:
	s_and_not1_b32 vcc_lo, exec_lo, s2
	s_cbranch_vccnz .LBB153_1256
.LBB153_1255:
	global_load_u8 v10, v[7:8], off
	s_mov_b32 s3, -1
	s_waitcnt vmcnt(0)
	v_cmp_ne_u16_e32 vcc_lo, 0, v10
	v_cndmask_b32_e64 v10, 0, 1.0, vcc_lo
	s_delay_alu instid0(VALU_DEP_1)
	v_lshrrev_b32_e32 v10, 16, v10
.LBB153_1256:
.LBB153_1257:
	s_and_not1_b32 vcc_lo, exec_lo, s3
	s_cbranch_vccnz .LBB153_2090
.LBB153_1258:
	v_cmp_gt_i16_e32 vcc_lo, 11, v9
	s_waitcnt vmcnt(0)
	v_add_co_u32 v6, s2, s6, v6
	s_delay_alu instid0(VALU_DEP_1)
	v_add_co_ci_u32_e64 v7, null, s7, 0, s2
	s_mov_b32 s10, 0
	s_cbranch_vccnz .LBB153_1265
; %bb.1259:
	v_cmp_lt_i16_e32 vcc_lo, 25, v9
	s_mov_b32 s3, 0
	s_cbranch_vccz .LBB153_1271
; %bb.1260:
	v_cmp_lt_i16_e32 vcc_lo, 28, v9
	s_cbranch_vccz .LBB153_1273
; %bb.1261:
	v_cmp_lt_i16_e32 vcc_lo, 43, v9
	;; [unrolled: 3-line block ×3, first 2 shown]
	s_cbranch_vccz .LBB153_1281
; %bb.1263:
	v_cmp_eq_u16_e32 vcc_lo, 46, v9
	s_mov_b32 s11, 0
	s_cbranch_vccz .LBB153_1325
; %bb.1264:
	global_load_b32 v8, v[6:7], off
	s_mov_b32 s2, 0
	s_mov_b32 s10, -1
	s_branch .LBB153_1327
.LBB153_1265:
                                        ; implicit-def: $vgpr8
	s_cbranch_execz .LBB153_1392
; %bb.1266:
	v_cmp_gt_i16_e32 vcc_lo, 5, v9
	s_cbranch_vccnz .LBB153_1272
; %bb.1267:
	v_cmp_gt_i16_e32 vcc_lo, 8, v9
	s_cbranch_vccnz .LBB153_1274
	;; [unrolled: 3-line block ×3, first 2 shown]
; %bb.1269:
	v_cmp_lt_i16_e32 vcc_lo, 9, v9
	s_cbranch_vccz .LBB153_1282
; %bb.1270:
	global_load_b64 v[11:12], v[6:7], off
	s_mov_b32 s2, 0
	s_waitcnt vmcnt(0)
	v_cvt_f32_f64_e32 v8, v[11:12]
	s_delay_alu instid0(VALU_DEP_1) | instskip(SKIP_1) | instid1(VALU_DEP_2)
	v_bfe_u32 v11, v8, 16, 1
	v_cmp_o_f32_e32 vcc_lo, v8, v8
	v_add3_u32 v11, v8, v11, 0x7fff
	s_delay_alu instid0(VALU_DEP_1) | instskip(NEXT) | instid1(VALU_DEP_1)
	v_lshrrev_b32_e32 v11, 16, v11
	v_cndmask_b32_e32 v8, 0x7fc0, v11, vcc_lo
	s_branch .LBB153_1283
.LBB153_1271:
	s_mov_b32 s2, 0
                                        ; implicit-def: $vgpr8
	s_cbranch_execnz .LBB153_1356
	s_branch .LBB153_1388
.LBB153_1272:
                                        ; implicit-def: $vgpr8
	s_branch .LBB153_1301
.LBB153_1273:
	s_mov_b32 s11, -1
	s_mov_b32 s2, 0
                                        ; implicit-def: $vgpr8
	s_branch .LBB153_1337
.LBB153_1274:
	s_mov_b32 s2, -1
                                        ; implicit-def: $vgpr8
	s_branch .LBB153_1289
.LBB153_1275:
	s_mov_b32 s11, -1
	s_mov_b32 s2, 0
                                        ; implicit-def: $vgpr8
	s_branch .LBB153_1332
.LBB153_1276:
	s_mov_b32 s2, -1
                                        ; implicit-def: $vgpr8
	s_branch .LBB153_1286
.LBB153_1277:
	s_cbranch_execnz .LBB153_1321
; %bb.1278:
	s_or_b32 s1, s8, exec_lo
                                        ; implicit-def: $vgpr10
	s_cbranch_execz .LBB153_1255
	s_branch .LBB153_1256
.LBB153_1279:
	s_or_saveexec_b32 s7, s7
                                        ; implicit-def: $sgpr8
	s_delay_alu instid0(SALU_CYCLE_1)
	s_xor_b32 exec_lo, exec_lo, s7
	s_cbranch_execz .LBB153_987
.LBB153_1280:
	v_add_f32_e64 v3, 0x46000000, |v6|
	s_and_not1_b32 s5, s5, exec_lo
	s_mov_b32 s8, 0
	s_delay_alu instid0(VALU_DEP_1) | instskip(NEXT) | instid1(VALU_DEP_1)
	v_and_b32_e32 v3, 0xff, v3
	v_cmp_ne_u32_e32 vcc_lo, 0, v3
	s_and_b32 s9, vcc_lo, exec_lo
	s_delay_alu instid0(SALU_CYCLE_1)
	s_or_b32 s5, s5, s9
	s_or_b32 exec_lo, exec_lo, s7
	v_mov_b32_e32 v7, s8
	s_and_saveexec_b32 s7, s5
	s_cbranch_execnz .LBB153_988
	s_branch .LBB153_989
.LBB153_1281:
	s_mov_b32 s11, -1
	s_mov_b32 s2, 0
	s_branch .LBB153_1326
.LBB153_1282:
	s_mov_b32 s2, -1
                                        ; implicit-def: $vgpr8
.LBB153_1283:
	s_delay_alu instid0(SALU_CYCLE_1)
	s_and_not1_b32 vcc_lo, exec_lo, s2
	s_cbranch_vccnz .LBB153_1285
; %bb.1284:
	global_load_b32 v8, v[6:7], off
	s_waitcnt vmcnt(0)
	v_bfe_u32 v11, v8, 16, 1
	v_cmp_o_f32_e32 vcc_lo, v8, v8
	s_delay_alu instid0(VALU_DEP_2) | instskip(NEXT) | instid1(VALU_DEP_1)
	v_add3_u32 v11, v8, v11, 0x7fff
	v_lshrrev_b32_e32 v11, 16, v11
	s_delay_alu instid0(VALU_DEP_1)
	v_cndmask_b32_e32 v8, 0x7fc0, v11, vcc_lo
.LBB153_1285:
	s_mov_b32 s2, 0
.LBB153_1286:
	s_delay_alu instid0(SALU_CYCLE_1)
	s_and_not1_b32 vcc_lo, exec_lo, s2
	s_cbranch_vccnz .LBB153_1288
; %bb.1287:
	global_load_b32 v8, v[6:7], off
	s_waitcnt vmcnt(0)
	v_cvt_f32_f16_e32 v11, v8
	v_cmp_o_f16_e32 vcc_lo, v8, v8
	s_delay_alu instid0(VALU_DEP_2) | instskip(NEXT) | instid1(VALU_DEP_1)
	v_bfe_u32 v12, v11, 16, 1
	v_add3_u32 v11, v11, v12, 0x7fff
	s_delay_alu instid0(VALU_DEP_1) | instskip(NEXT) | instid1(VALU_DEP_1)
	v_lshrrev_b32_e32 v11, 16, v11
	v_cndmask_b32_e32 v8, 0x7fc0, v11, vcc_lo
.LBB153_1288:
	s_mov_b32 s2, 0
.LBB153_1289:
	s_delay_alu instid0(SALU_CYCLE_1)
	s_and_not1_b32 vcc_lo, exec_lo, s2
	s_cbranch_vccnz .LBB153_1300
; %bb.1290:
	v_cmp_gt_i16_e32 vcc_lo, 6, v9
	s_cbranch_vccnz .LBB153_1293
; %bb.1291:
	v_cmp_lt_i16_e32 vcc_lo, 6, v9
	s_cbranch_vccz .LBB153_1294
; %bb.1292:
	global_load_b64 v[11:12], v[6:7], off
	s_mov_b32 s2, 0
	s_waitcnt vmcnt(0)
	v_cvt_f32_f64_e32 v8, v[11:12]
	s_delay_alu instid0(VALU_DEP_1) | instskip(SKIP_1) | instid1(VALU_DEP_2)
	v_bfe_u32 v11, v8, 16, 1
	v_cmp_o_f32_e32 vcc_lo, v8, v8
	v_add3_u32 v11, v8, v11, 0x7fff
	s_delay_alu instid0(VALU_DEP_1) | instskip(NEXT) | instid1(VALU_DEP_1)
	v_lshrrev_b32_e32 v11, 16, v11
	v_cndmask_b32_e32 v8, 0x7fc0, v11, vcc_lo
	s_branch .LBB153_1295
.LBB153_1293:
	s_mov_b32 s2, -1
                                        ; implicit-def: $vgpr8
	s_branch .LBB153_1298
.LBB153_1294:
	s_mov_b32 s2, -1
                                        ; implicit-def: $vgpr8
.LBB153_1295:
	s_delay_alu instid0(SALU_CYCLE_1)
	s_and_not1_b32 vcc_lo, exec_lo, s2
	s_cbranch_vccnz .LBB153_1297
; %bb.1296:
	global_load_b32 v8, v[6:7], off
	s_waitcnt vmcnt(0)
	v_bfe_u32 v11, v8, 16, 1
	v_cmp_o_f32_e32 vcc_lo, v8, v8
	s_delay_alu instid0(VALU_DEP_2) | instskip(NEXT) | instid1(VALU_DEP_1)
	v_add3_u32 v11, v8, v11, 0x7fff
	v_lshrrev_b32_e32 v11, 16, v11
	s_delay_alu instid0(VALU_DEP_1)
	v_cndmask_b32_e32 v8, 0x7fc0, v11, vcc_lo
.LBB153_1297:
	s_mov_b32 s2, 0
.LBB153_1298:
	s_delay_alu instid0(SALU_CYCLE_1)
	s_and_not1_b32 vcc_lo, exec_lo, s2
	s_cbranch_vccnz .LBB153_1300
; %bb.1299:
	global_load_u16 v8, v[6:7], off
	s_waitcnt vmcnt(0)
	v_cvt_f32_f16_e32 v11, v8
	v_cmp_o_f16_e32 vcc_lo, v8, v8
	s_delay_alu instid0(VALU_DEP_2) | instskip(NEXT) | instid1(VALU_DEP_1)
	v_bfe_u32 v12, v11, 16, 1
	v_add3_u32 v11, v11, v12, 0x7fff
	s_delay_alu instid0(VALU_DEP_1) | instskip(NEXT) | instid1(VALU_DEP_1)
	v_lshrrev_b32_e32 v11, 16, v11
	v_cndmask_b32_e32 v8, 0x7fc0, v11, vcc_lo
.LBB153_1300:
	s_cbranch_execnz .LBB153_1320
.LBB153_1301:
	v_cmp_gt_i16_e32 vcc_lo, 2, v9
	s_cbranch_vccnz .LBB153_1305
; %bb.1302:
	v_cmp_gt_i16_e32 vcc_lo, 3, v9
	s_cbranch_vccnz .LBB153_1306
; %bb.1303:
	v_cmp_lt_i16_e32 vcc_lo, 3, v9
	s_cbranch_vccz .LBB153_1307
; %bb.1304:
	global_load_b64 v[11:12], v[6:7], off
	s_mov_b32 s2, 0
	s_waitcnt vmcnt(0)
	v_xor_b32_e32 v8, v11, v12
	v_cls_i32_e32 v13, v12
	s_delay_alu instid0(VALU_DEP_2) | instskip(NEXT) | instid1(VALU_DEP_2)
	v_ashrrev_i32_e32 v8, 31, v8
	v_add_nc_u32_e32 v13, -1, v13
	s_delay_alu instid0(VALU_DEP_2) | instskip(NEXT) | instid1(VALU_DEP_1)
	v_add_nc_u32_e32 v8, 32, v8
	v_min_u32_e32 v8, v13, v8
	s_delay_alu instid0(VALU_DEP_1) | instskip(SKIP_1) | instid1(VALU_DEP_2)
	v_lshlrev_b64 v[11:12], v8, v[11:12]
	v_sub_nc_u32_e32 v8, 32, v8
	v_min_u32_e32 v11, 1, v11
	s_delay_alu instid0(VALU_DEP_1) | instskip(NEXT) | instid1(VALU_DEP_1)
	v_or_b32_e32 v11, v12, v11
	v_cvt_f32_i32_e32 v11, v11
	s_delay_alu instid0(VALU_DEP_1) | instskip(NEXT) | instid1(VALU_DEP_1)
	v_ldexp_f32 v8, v11, v8
	v_bfe_u32 v11, v8, 16, 1
	s_delay_alu instid0(VALU_DEP_1) | instskip(NEXT) | instid1(VALU_DEP_1)
	v_add3_u32 v8, v8, v11, 0x7fff
	v_lshrrev_b32_e32 v8, 16, v8
	s_branch .LBB153_1308
.LBB153_1305:
	s_mov_b32 s2, -1
                                        ; implicit-def: $vgpr8
	s_branch .LBB153_1314
.LBB153_1306:
	s_mov_b32 s2, -1
                                        ; implicit-def: $vgpr8
	s_branch .LBB153_1311
.LBB153_1307:
	s_mov_b32 s2, -1
                                        ; implicit-def: $vgpr8
.LBB153_1308:
	s_delay_alu instid0(SALU_CYCLE_1)
	s_and_not1_b32 vcc_lo, exec_lo, s2
	s_cbranch_vccnz .LBB153_1310
; %bb.1309:
	global_load_b32 v8, v[6:7], off
	s_waitcnt vmcnt(0)
	v_cvt_f32_i32_e32 v8, v8
	s_delay_alu instid0(VALU_DEP_1) | instskip(NEXT) | instid1(VALU_DEP_1)
	v_bfe_u32 v11, v8, 16, 1
	v_add3_u32 v8, v8, v11, 0x7fff
	s_delay_alu instid0(VALU_DEP_1)
	v_lshrrev_b32_e32 v8, 16, v8
.LBB153_1310:
	s_mov_b32 s2, 0
.LBB153_1311:
	s_delay_alu instid0(SALU_CYCLE_1)
	s_and_not1_b32 vcc_lo, exec_lo, s2
	s_cbranch_vccnz .LBB153_1313
; %bb.1312:
	global_load_i16 v8, v[6:7], off
	s_waitcnt vmcnt(0)
	v_cvt_f32_i32_e32 v8, v8
	s_delay_alu instid0(VALU_DEP_1) | instskip(NEXT) | instid1(VALU_DEP_1)
	v_bfe_u32 v11, v8, 16, 1
	v_add3_u32 v8, v8, v11, 0x7fff
	s_delay_alu instid0(VALU_DEP_1)
	v_lshrrev_b32_e32 v8, 16, v8
.LBB153_1313:
	s_mov_b32 s2, 0
.LBB153_1314:
	s_delay_alu instid0(SALU_CYCLE_1)
	s_and_not1_b32 vcc_lo, exec_lo, s2
	s_cbranch_vccnz .LBB153_1320
; %bb.1315:
	v_cmp_lt_i16_e32 vcc_lo, 0, v9
	s_mov_b32 s2, 0
	s_cbranch_vccz .LBB153_1317
; %bb.1316:
	global_load_i8 v8, v[6:7], off
	s_waitcnt vmcnt(0)
	v_cvt_f32_i32_e32 v8, v8
	s_delay_alu instid0(VALU_DEP_1) | instskip(NEXT) | instid1(VALU_DEP_1)
	v_bfe_u32 v11, v8, 16, 1
	v_add3_u32 v8, v8, v11, 0x7fff
	s_delay_alu instid0(VALU_DEP_1)
	v_lshrrev_b32_e32 v8, 16, v8
	s_branch .LBB153_1318
.LBB153_1317:
	s_mov_b32 s2, -1
                                        ; implicit-def: $vgpr8
.LBB153_1318:
	s_delay_alu instid0(SALU_CYCLE_1)
	s_and_not1_b32 vcc_lo, exec_lo, s2
	s_cbranch_vccnz .LBB153_1320
; %bb.1319:
	global_load_u8 v6, v[6:7], off
	s_waitcnt vmcnt(0)
	v_cvt_f32_ubyte0_e32 v6, v6
	s_delay_alu instid0(VALU_DEP_1) | instskip(NEXT) | instid1(VALU_DEP_1)
	v_bfe_u32 v7, v6, 16, 1
	v_add3_u32 v6, v6, v7, 0x7fff
	s_delay_alu instid0(VALU_DEP_1)
	v_lshrrev_b32_e32 v8, 16, v6
.LBB153_1320:
	s_branch .LBB153_1393
.LBB153_1321:
	s_trap 2
	s_sendmsg_rtn_b32 s0, sendmsg(MSG_RTN_GET_DOORBELL)
	s_mov_b32 ttmp2, m0
	s_waitcnt lgkmcnt(0)
	s_and_b32 s0, s0, 0x3ff
	s_delay_alu instid0(SALU_CYCLE_1) | instskip(NEXT) | instid1(SALU_CYCLE_1)
	s_bitset1_b32 s0, 10
	s_mov_b32 m0, s0
	s_sendmsg sendmsg(MSG_INTERRUPT)
	s_mov_b32 m0, ttmp2
.LBB153_1322:                           ; =>This Inner Loop Header: Depth=1
	s_sethalt 5
	s_branch .LBB153_1322
.LBB153_1323:
	s_or_saveexec_b32 s8, s8
                                        ; implicit-def: $sgpr9
	s_delay_alu instid0(SALU_CYCLE_1)
	s_xor_b32 exec_lo, exec_lo, s8
	s_cbranch_execz .LBB153_999
.LBB153_1324:
	v_add_f32_e64 v3, 0x42800000, |v6|
	s_and_not1_b32 s7, s7, exec_lo
	s_mov_b32 s9, 0
	s_delay_alu instid0(VALU_DEP_1) | instskip(NEXT) | instid1(VALU_DEP_1)
	v_and_b32_e32 v3, 0xff, v3
	v_cmp_ne_u32_e32 vcc_lo, 0, v3
	s_and_b32 s10, vcc_lo, exec_lo
	s_delay_alu instid0(SALU_CYCLE_1)
	s_or_b32 s7, s7, s10
	s_or_b32 exec_lo, exec_lo, s8
	v_mov_b32_e32 v7, s9
	s_and_saveexec_b32 s8, s7
	s_cbranch_execnz .LBB153_1000
	s_branch .LBB153_1001
.LBB153_1325:
	s_mov_b32 s2, -1
.LBB153_1326:
                                        ; implicit-def: $vgpr8
.LBB153_1327:
	s_and_b32 vcc_lo, exec_lo, s11
	s_cbranch_vccz .LBB153_1331
; %bb.1328:
	v_cmp_eq_u16_e32 vcc_lo, 44, v9
	s_cbranch_vccz .LBB153_1330
; %bb.1329:
	global_load_u8 v8, v[6:7], off
	s_mov_b32 s2, 0
	s_mov_b32 s10, -1
	s_waitcnt vmcnt(0)
	v_lshlrev_b32_e32 v11, 23, v8
	v_cmp_ne_u32_e32 vcc_lo, 0xff, v8
	s_delay_alu instid0(VALU_DEP_2) | instskip(SKIP_1) | instid1(VALU_DEP_2)
	v_cndmask_b32_e32 v11, 0x7f800001, v11, vcc_lo
	v_cmp_ne_u32_e32 vcc_lo, 0, v8
	v_cndmask_b32_e32 v8, 0x400000, v11, vcc_lo
	s_delay_alu instid0(VALU_DEP_1) | instskip(SKIP_1) | instid1(VALU_DEP_2)
	v_add_nc_u32_e32 v11, 0x7fff, v8
	v_cmp_o_f32_e32 vcc_lo, v8, v8
	v_lshrrev_b32_e32 v11, 16, v11
	s_delay_alu instid0(VALU_DEP_1)
	v_cndmask_b32_e32 v8, 0x7fc0, v11, vcc_lo
	s_branch .LBB153_1331
.LBB153_1330:
	s_mov_b32 s2, -1
                                        ; implicit-def: $vgpr8
.LBB153_1331:
	s_mov_b32 s11, 0
.LBB153_1332:
	s_delay_alu instid0(SALU_CYCLE_1)
	s_and_b32 vcc_lo, exec_lo, s11
	s_cbranch_vccz .LBB153_1336
; %bb.1333:
	v_cmp_eq_u16_e32 vcc_lo, 29, v9
	s_cbranch_vccz .LBB153_1335
; %bb.1334:
	global_load_b64 v[11:12], v[6:7], off
	s_mov_b32 s2, 0
	s_mov_b32 s10, -1
	s_mov_b32 s11, 0
	s_waitcnt vmcnt(0)
	v_clz_i32_u32_e32 v8, v12
	s_delay_alu instid0(VALU_DEP_1) | instskip(NEXT) | instid1(VALU_DEP_1)
	v_min_u32_e32 v8, 32, v8
	v_lshlrev_b64 v[11:12], v8, v[11:12]
	v_sub_nc_u32_e32 v8, 32, v8
	s_delay_alu instid0(VALU_DEP_2) | instskip(NEXT) | instid1(VALU_DEP_1)
	v_min_u32_e32 v11, 1, v11
	v_or_b32_e32 v11, v12, v11
	s_delay_alu instid0(VALU_DEP_1) | instskip(NEXT) | instid1(VALU_DEP_1)
	v_cvt_f32_u32_e32 v11, v11
	v_ldexp_f32 v8, v11, v8
	s_delay_alu instid0(VALU_DEP_1) | instskip(NEXT) | instid1(VALU_DEP_1)
	v_bfe_u32 v11, v8, 16, 1
	v_add3_u32 v8, v8, v11, 0x7fff
	s_delay_alu instid0(VALU_DEP_1)
	v_lshrrev_b32_e32 v8, 16, v8
	s_branch .LBB153_1337
.LBB153_1335:
	s_mov_b32 s2, -1
                                        ; implicit-def: $vgpr8
.LBB153_1336:
	s_mov_b32 s11, 0
.LBB153_1337:
	s_delay_alu instid0(SALU_CYCLE_1)
	s_and_b32 vcc_lo, exec_lo, s11
	s_cbranch_vccz .LBB153_1355
; %bb.1338:
	v_cmp_gt_i16_e32 vcc_lo, 27, v9
	s_cbranch_vccnz .LBB153_1341
; %bb.1339:
	v_cmp_lt_i16_e32 vcc_lo, 27, v9
	s_cbranch_vccz .LBB153_1342
; %bb.1340:
	global_load_b32 v8, v[6:7], off
	s_mov_b32 s10, 0
	s_waitcnt vmcnt(0)
	v_cvt_f32_u32_e32 v8, v8
	s_delay_alu instid0(VALU_DEP_1) | instskip(NEXT) | instid1(VALU_DEP_1)
	v_bfe_u32 v11, v8, 16, 1
	v_add3_u32 v8, v8, v11, 0x7fff
	s_delay_alu instid0(VALU_DEP_1)
	v_lshrrev_b32_e32 v8, 16, v8
	s_branch .LBB153_1343
.LBB153_1341:
	s_mov_b32 s10, -1
                                        ; implicit-def: $vgpr8
	s_branch .LBB153_1346
.LBB153_1342:
	s_mov_b32 s10, -1
                                        ; implicit-def: $vgpr8
.LBB153_1343:
	s_delay_alu instid0(SALU_CYCLE_1)
	s_and_not1_b32 vcc_lo, exec_lo, s10
	s_cbranch_vccnz .LBB153_1345
; %bb.1344:
	global_load_u16 v8, v[6:7], off
	s_waitcnt vmcnt(0)
	v_cvt_f32_u32_e32 v8, v8
	s_delay_alu instid0(VALU_DEP_1) | instskip(NEXT) | instid1(VALU_DEP_1)
	v_bfe_u32 v11, v8, 16, 1
	v_add3_u32 v8, v8, v11, 0x7fff
	s_delay_alu instid0(VALU_DEP_1)
	v_lshrrev_b32_e32 v8, 16, v8
.LBB153_1345:
	s_mov_b32 s10, 0
.LBB153_1346:
	s_delay_alu instid0(SALU_CYCLE_1)
	s_and_not1_b32 vcc_lo, exec_lo, s10
	s_cbranch_vccnz .LBB153_1354
; %bb.1347:
	global_load_u8 v8, v[6:7], off
	s_mov_b32 s10, 0
	s_mov_b32 s12, exec_lo
                                        ; implicit-def: $sgpr11
	s_waitcnt vmcnt(0)
	v_cmpx_lt_i16_e32 0x7f, v8
	s_xor_b32 s12, exec_lo, s12
	s_cbranch_execz .LBB153_1367
; %bb.1348:
	s_mov_b32 s10, -1
	s_mov_b32 s13, exec_lo
                                        ; implicit-def: $sgpr11
	v_cmpx_eq_u16_e32 0x80, v8
; %bb.1349:
	s_mov_b32 s11, 0x7f800001
	s_xor_b32 s10, exec_lo, -1
; %bb.1350:
	s_or_b32 exec_lo, exec_lo, s13
	s_delay_alu instid0(SALU_CYCLE_1)
	s_and_b32 s10, s10, exec_lo
	s_or_saveexec_b32 s12, s12
	v_mov_b32_e32 v11, s11
	s_xor_b32 exec_lo, exec_lo, s12
	s_cbranch_execnz .LBB153_1368
.LBB153_1351:
	s_or_b32 exec_lo, exec_lo, s12
	s_and_saveexec_b32 s11, s10
	s_cbranch_execz .LBB153_1353
.LBB153_1352:
	v_and_b32_e32 v11, 0xffff, v8
	v_lshlrev_b32_e32 v8, 24, v8
	s_delay_alu instid0(VALU_DEP_2) | instskip(NEXT) | instid1(VALU_DEP_2)
	v_and_b32_e32 v12, 7, v11
	v_and_b32_e32 v8, 0x80000000, v8
	s_delay_alu instid0(VALU_DEP_2) | instskip(NEXT) | instid1(VALU_DEP_1)
	v_clz_i32_u32_e32 v13, v12
	v_min_u32_e32 v13, 32, v13
	s_delay_alu instid0(VALU_DEP_1) | instskip(SKIP_1) | instid1(VALU_DEP_2)
	v_subrev_nc_u32_e32 v14, 28, v13
	v_sub_nc_u32_e32 v13, 29, v13
	v_lshlrev_b32_e32 v14, v14, v11
	v_bfe_u32 v11, v11, 3, 4
	s_delay_alu instid0(VALU_DEP_2) | instskip(NEXT) | instid1(VALU_DEP_2)
	v_and_b32_e32 v14, 7, v14
	v_cmp_eq_u32_e32 vcc_lo, 0, v11
	s_delay_alu instid0(VALU_DEP_2) | instskip(NEXT) | instid1(VALU_DEP_1)
	v_dual_cndmask_b32 v11, v11, v13 :: v_dual_cndmask_b32 v12, v12, v14
	v_lshl_add_u32 v11, v11, 23, 0x3b800000
	s_delay_alu instid0(VALU_DEP_2) | instskip(NEXT) | instid1(VALU_DEP_1)
	v_lshlrev_b32_e32 v12, 20, v12
	v_or3_b32 v11, v8, v11, v12
.LBB153_1353:
	s_or_b32 exec_lo, exec_lo, s11
	s_delay_alu instid0(VALU_DEP_1) | instskip(SKIP_1) | instid1(VALU_DEP_2)
	v_bfe_u32 v8, v11, 16, 1
	v_cmp_o_f32_e32 vcc_lo, v11, v11
	v_add3_u32 v8, v11, v8, 0x7fff
	s_delay_alu instid0(VALU_DEP_1) | instskip(NEXT) | instid1(VALU_DEP_1)
	v_lshrrev_b32_e32 v8, 16, v8
	v_cndmask_b32_e32 v8, 0x7fc0, v8, vcc_lo
.LBB153_1354:
	s_mov_b32 s10, -1
.LBB153_1355:
	s_branch .LBB153_1388
.LBB153_1356:
	v_cmp_lt_i16_e32 vcc_lo, 22, v9
	s_cbranch_vccz .LBB153_1366
; %bb.1357:
	v_cmp_gt_i16_e32 vcc_lo, 24, v9
	s_cbranch_vccnz .LBB153_1369
; %bb.1358:
	v_cmp_lt_i16_e32 vcc_lo, 24, v9
	s_cbranch_vccz .LBB153_1370
; %bb.1359:
	global_load_u8 v8, v[6:7], off
	s_mov_b32 s11, exec_lo
                                        ; implicit-def: $sgpr10
	s_waitcnt vmcnt(0)
	v_cmpx_lt_i16_e32 0x7f, v8
	s_xor_b32 s11, exec_lo, s11
	s_cbranch_execz .LBB153_1382
; %bb.1360:
	s_mov_b32 s3, -1
	s_mov_b32 s12, exec_lo
                                        ; implicit-def: $sgpr10
	v_cmpx_eq_u16_e32 0x80, v8
; %bb.1361:
	s_mov_b32 s10, 0x7f800001
	s_xor_b32 s3, exec_lo, -1
; %bb.1362:
	s_or_b32 exec_lo, exec_lo, s12
	s_delay_alu instid0(SALU_CYCLE_1)
	s_and_b32 s3, s3, exec_lo
	s_or_saveexec_b32 s11, s11
	v_mov_b32_e32 v11, s10
	s_xor_b32 exec_lo, exec_lo, s11
	s_cbranch_execnz .LBB153_1383
.LBB153_1363:
	s_or_b32 exec_lo, exec_lo, s11
	s_and_saveexec_b32 s10, s3
	s_cbranch_execz .LBB153_1365
.LBB153_1364:
	v_and_b32_e32 v11, 0xffff, v8
	v_lshlrev_b32_e32 v8, 24, v8
	s_delay_alu instid0(VALU_DEP_2) | instskip(NEXT) | instid1(VALU_DEP_2)
	v_and_b32_e32 v12, 3, v11
	v_and_b32_e32 v8, 0x80000000, v8
	s_delay_alu instid0(VALU_DEP_2) | instskip(NEXT) | instid1(VALU_DEP_1)
	v_clz_i32_u32_e32 v13, v12
	v_min_u32_e32 v13, 32, v13
	s_delay_alu instid0(VALU_DEP_1) | instskip(SKIP_1) | instid1(VALU_DEP_2)
	v_subrev_nc_u32_e32 v14, 29, v13
	v_sub_nc_u32_e32 v13, 30, v13
	v_lshlrev_b32_e32 v14, v14, v11
	v_bfe_u32 v11, v11, 2, 5
	s_delay_alu instid0(VALU_DEP_2) | instskip(NEXT) | instid1(VALU_DEP_2)
	v_and_b32_e32 v14, 3, v14
	v_cmp_eq_u32_e32 vcc_lo, 0, v11
	s_delay_alu instid0(VALU_DEP_2) | instskip(NEXT) | instid1(VALU_DEP_1)
	v_dual_cndmask_b32 v11, v11, v13 :: v_dual_cndmask_b32 v12, v12, v14
	v_lshl_add_u32 v11, v11, 23, 0x37800000
	s_delay_alu instid0(VALU_DEP_2) | instskip(NEXT) | instid1(VALU_DEP_1)
	v_lshlrev_b32_e32 v12, 21, v12
	v_or3_b32 v11, v8, v11, v12
.LBB153_1365:
	s_or_b32 exec_lo, exec_lo, s10
	s_delay_alu instid0(VALU_DEP_1) | instskip(SKIP_2) | instid1(VALU_DEP_2)
	v_bfe_u32 v8, v11, 16, 1
	v_cmp_o_f32_e32 vcc_lo, v11, v11
	s_mov_b32 s3, 0
	v_add3_u32 v8, v11, v8, 0x7fff
	s_delay_alu instid0(VALU_DEP_1) | instskip(NEXT) | instid1(VALU_DEP_1)
	v_lshrrev_b32_e32 v8, 16, v8
	v_cndmask_b32_e32 v8, 0x7fc0, v8, vcc_lo
	s_branch .LBB153_1371
.LBB153_1366:
	s_mov_b32 s3, -1
                                        ; implicit-def: $vgpr8
	s_branch .LBB153_1377
.LBB153_1367:
	s_or_saveexec_b32 s12, s12
	v_mov_b32_e32 v11, s11
	s_xor_b32 exec_lo, exec_lo, s12
	s_cbranch_execz .LBB153_1351
.LBB153_1368:
	v_cmp_ne_u16_e32 vcc_lo, 0, v8
	v_mov_b32_e32 v11, 0
	s_and_not1_b32 s10, s10, exec_lo
	s_and_b32 s11, vcc_lo, exec_lo
	s_delay_alu instid0(SALU_CYCLE_1)
	s_or_b32 s10, s10, s11
	s_or_b32 exec_lo, exec_lo, s12
	s_and_saveexec_b32 s11, s10
	s_cbranch_execnz .LBB153_1352
	s_branch .LBB153_1353
.LBB153_1369:
	s_mov_b32 s3, -1
                                        ; implicit-def: $vgpr8
	s_branch .LBB153_1374
.LBB153_1370:
	s_mov_b32 s3, -1
                                        ; implicit-def: $vgpr8
.LBB153_1371:
	s_delay_alu instid0(SALU_CYCLE_1)
	s_and_b32 vcc_lo, exec_lo, s3
	s_cbranch_vccz .LBB153_1373
; %bb.1372:
	global_load_u8 v8, v[6:7], off
	s_waitcnt vmcnt(0)
	v_lshlrev_b32_e32 v8, 24, v8
	s_delay_alu instid0(VALU_DEP_1) | instskip(NEXT) | instid1(VALU_DEP_1)
	v_and_b32_e32 v11, 0x7f000000, v8
	v_clz_i32_u32_e32 v12, v11
	v_cmp_ne_u32_e32 vcc_lo, 0, v11
	v_add_nc_u32_e32 v14, 0x1000000, v11
	s_delay_alu instid0(VALU_DEP_3) | instskip(NEXT) | instid1(VALU_DEP_1)
	v_min_u32_e32 v12, 32, v12
	v_sub_nc_u32_e64 v12, v12, 4 clamp
	s_delay_alu instid0(VALU_DEP_1) | instskip(SKIP_1) | instid1(VALU_DEP_2)
	v_lshlrev_b32_e32 v13, v12, v11
	v_lshlrev_b32_e32 v12, 23, v12
	v_lshrrev_b32_e32 v13, 4, v13
	s_delay_alu instid0(VALU_DEP_1) | instskip(SKIP_1) | instid1(VALU_DEP_2)
	v_sub_nc_u32_e32 v12, v13, v12
	v_ashrrev_i32_e32 v13, 8, v14
	v_add_nc_u32_e32 v12, 0x3c000000, v12
	s_delay_alu instid0(VALU_DEP_1) | instskip(NEXT) | instid1(VALU_DEP_1)
	v_and_or_b32 v12, 0x7f800000, v13, v12
	v_cndmask_b32_e32 v11, 0, v12, vcc_lo
	s_delay_alu instid0(VALU_DEP_1) | instskip(SKIP_1) | instid1(VALU_DEP_2)
	v_and_or_b32 v8, 0x80000000, v8, v11
	v_bfe_u32 v11, v11, 16, 1
	v_cmp_o_f32_e32 vcc_lo, v8, v8
	s_delay_alu instid0(VALU_DEP_2) | instskip(NEXT) | instid1(VALU_DEP_1)
	v_add3_u32 v11, v8, v11, 0x7fff
	v_lshrrev_b32_e32 v11, 16, v11
	s_delay_alu instid0(VALU_DEP_1)
	v_cndmask_b32_e32 v8, 0x7fc0, v11, vcc_lo
.LBB153_1373:
	s_mov_b32 s3, 0
.LBB153_1374:
	s_delay_alu instid0(SALU_CYCLE_1)
	s_and_not1_b32 vcc_lo, exec_lo, s3
	s_cbranch_vccnz .LBB153_1376
; %bb.1375:
	global_load_u8 v8, v[6:7], off
	s_waitcnt vmcnt(0)
	v_lshlrev_b32_e32 v11, 25, v8
	v_lshlrev_b16 v8, 8, v8
	s_delay_alu instid0(VALU_DEP_2) | instskip(NEXT) | instid1(VALU_DEP_2)
	v_lshrrev_b32_e32 v12, 4, v11
	v_and_or_b32 v13, 0x7f00, v8, 0.5
	v_cmp_gt_u32_e32 vcc_lo, 0x8000000, v11
	v_bfe_i32 v8, v8, 0, 16
	s_delay_alu instid0(VALU_DEP_4) | instskip(NEXT) | instid1(VALU_DEP_1)
	v_or_b32_e32 v12, 0x70000000, v12
	v_dual_add_f32 v13, -0.5, v13 :: v_dual_mul_f32 v12, 0x7800000, v12
	s_delay_alu instid0(VALU_DEP_1) | instskip(NEXT) | instid1(VALU_DEP_1)
	v_cndmask_b32_e32 v11, v12, v13, vcc_lo
	v_and_or_b32 v8, 0x80000000, v8, v11
	v_bfe_u32 v11, v11, 16, 1
	s_delay_alu instid0(VALU_DEP_2) | instskip(NEXT) | instid1(VALU_DEP_2)
	v_cmp_o_f32_e32 vcc_lo, v8, v8
	v_add3_u32 v11, v8, v11, 0x7fff
	s_delay_alu instid0(VALU_DEP_1) | instskip(NEXT) | instid1(VALU_DEP_1)
	v_lshrrev_b32_e32 v11, 16, v11
	v_cndmask_b32_e32 v8, 0x7fc0, v11, vcc_lo
.LBB153_1376:
	s_mov_b32 s3, 0
	s_mov_b32 s10, -1
.LBB153_1377:
	s_and_not1_b32 vcc_lo, exec_lo, s3
	s_mov_b32 s3, 0
	s_cbranch_vccnz .LBB153_1388
; %bb.1378:
	v_cmp_lt_i16_e32 vcc_lo, 14, v9
	s_cbranch_vccz .LBB153_1381
; %bb.1379:
	v_cmp_eq_u16_e32 vcc_lo, 15, v9
	s_cbranch_vccz .LBB153_1384
; %bb.1380:
	global_load_u16 v8, v[6:7], off
	s_mov_b32 s2, 0
	s_mov_b32 s10, -1
	s_branch .LBB153_1386
.LBB153_1381:
	s_mov_b32 s3, -1
	s_branch .LBB153_1385
.LBB153_1382:
	s_or_saveexec_b32 s11, s11
	v_mov_b32_e32 v11, s10
	s_xor_b32 exec_lo, exec_lo, s11
	s_cbranch_execz .LBB153_1363
.LBB153_1383:
	v_cmp_ne_u16_e32 vcc_lo, 0, v8
	v_mov_b32_e32 v11, 0
	s_and_not1_b32 s3, s3, exec_lo
	s_and_b32 s10, vcc_lo, exec_lo
	s_delay_alu instid0(SALU_CYCLE_1)
	s_or_b32 s3, s3, s10
	s_or_b32 exec_lo, exec_lo, s11
	s_and_saveexec_b32 s10, s3
	s_cbranch_execnz .LBB153_1364
	s_branch .LBB153_1365
.LBB153_1384:
	s_mov_b32 s2, -1
.LBB153_1385:
                                        ; implicit-def: $vgpr8
.LBB153_1386:
	s_and_b32 vcc_lo, exec_lo, s3
	s_mov_b32 s3, 0
	s_cbranch_vccz .LBB153_1388
; %bb.1387:
	v_cmp_ne_u16_e64 s2, 11, v9
	s_mov_b32 s3, -1
                                        ; implicit-def: $vgpr8
.LBB153_1388:
	s_delay_alu instid0(VALU_DEP_1)
	s_and_b32 vcc_lo, exec_lo, s2
	s_cbranch_vccnz .LBB153_1412
; %bb.1389:
	s_and_not1_b32 vcc_lo, exec_lo, s3
	s_cbranch_vccnz .LBB153_1391
.LBB153_1390:
	global_load_u8 v8, v[6:7], off
	s_mov_b32 s10, -1
	s_waitcnt vmcnt(0)
	v_cmp_ne_u16_e32 vcc_lo, 0, v8
	v_cndmask_b32_e64 v8, 0, 1.0, vcc_lo
	s_delay_alu instid0(VALU_DEP_1)
	v_lshrrev_b32_e32 v8, 16, v8
.LBB153_1391:
.LBB153_1392:
	s_and_not1_b32 vcc_lo, exec_lo, s10
	s_cbranch_vccnz .LBB153_2090
.LBB153_1393:
	v_cmp_gt_i16_e32 vcc_lo, 11, v9
	v_add_co_u32 v5, s2, s6, v5
	s_delay_alu instid0(VALU_DEP_1)
	v_add_co_ci_u32_e64 v6, null, s7, 0, s2
	s_mov_b32 s10, 0
	s_cbranch_vccnz .LBB153_1400
; %bb.1394:
	v_cmp_lt_i16_e32 vcc_lo, 25, v9
	s_mov_b32 s3, 0
	s_cbranch_vccz .LBB153_1406
; %bb.1395:
	v_cmp_lt_i16_e32 vcc_lo, 28, v9
	s_cbranch_vccz .LBB153_1408
; %bb.1396:
	v_cmp_lt_i16_e32 vcc_lo, 43, v9
	;; [unrolled: 3-line block ×3, first 2 shown]
	s_cbranch_vccz .LBB153_1414
; %bb.1398:
	v_cmp_eq_u16_e32 vcc_lo, 46, v9
	s_mov_b32 s11, 0
	s_cbranch_vccz .LBB153_1457
; %bb.1399:
	global_load_b32 v7, v[5:6], off
	s_mov_b32 s2, 0
	s_mov_b32 s10, -1
	s_branch .LBB153_1459
.LBB153_1400:
                                        ; implicit-def: $vgpr7
	s_cbranch_execz .LBB153_1525
; %bb.1401:
	v_cmp_gt_i16_e32 vcc_lo, 5, v9
	s_cbranch_vccnz .LBB153_1407
; %bb.1402:
	v_cmp_gt_i16_e32 vcc_lo, 8, v9
	s_cbranch_vccnz .LBB153_1409
	;; [unrolled: 3-line block ×3, first 2 shown]
; %bb.1404:
	v_cmp_lt_i16_e32 vcc_lo, 9, v9
	s_cbranch_vccz .LBB153_1415
; %bb.1405:
	global_load_b64 v[11:12], v[5:6], off
	s_mov_b32 s2, 0
	s_waitcnt vmcnt(0)
	v_cvt_f32_f64_e32 v7, v[11:12]
	s_delay_alu instid0(VALU_DEP_1) | instskip(SKIP_1) | instid1(VALU_DEP_2)
	v_bfe_u32 v11, v7, 16, 1
	v_cmp_o_f32_e32 vcc_lo, v7, v7
	v_add3_u32 v11, v7, v11, 0x7fff
	s_delay_alu instid0(VALU_DEP_1) | instskip(NEXT) | instid1(VALU_DEP_1)
	v_lshrrev_b32_e32 v11, 16, v11
	v_cndmask_b32_e32 v7, 0x7fc0, v11, vcc_lo
	s_branch .LBB153_1416
.LBB153_1406:
	s_mov_b32 s11, -1
	s_mov_b32 s2, 0
                                        ; implicit-def: $vgpr7
	s_branch .LBB153_1488
.LBB153_1407:
	s_mov_b32 s2, -1
                                        ; implicit-def: $vgpr7
	s_branch .LBB153_1434
.LBB153_1408:
	s_mov_b32 s11, -1
	s_mov_b32 s2, 0
                                        ; implicit-def: $vgpr7
	s_branch .LBB153_1469
.LBB153_1409:
	s_mov_b32 s2, -1
                                        ; implicit-def: $vgpr7
	s_branch .LBB153_1422
.LBB153_1410:
	s_mov_b32 s11, -1
	s_mov_b32 s2, 0
                                        ; implicit-def: $vgpr7
	s_branch .LBB153_1464
.LBB153_1411:
	s_mov_b32 s2, -1
                                        ; implicit-def: $vgpr7
	s_branch .LBB153_1419
.LBB153_1412:
	s_cbranch_execnz .LBB153_1455
; %bb.1413:
	s_or_b32 s1, s1, exec_lo
                                        ; implicit-def: $vgpr8
	s_cbranch_execz .LBB153_1390
	s_branch .LBB153_1391
.LBB153_1414:
	s_mov_b32 s11, -1
	s_mov_b32 s2, 0
	s_branch .LBB153_1458
.LBB153_1415:
	s_mov_b32 s2, -1
                                        ; implicit-def: $vgpr7
.LBB153_1416:
	s_delay_alu instid0(SALU_CYCLE_1)
	s_and_not1_b32 vcc_lo, exec_lo, s2
	s_cbranch_vccnz .LBB153_1418
; %bb.1417:
	global_load_b32 v7, v[5:6], off
	s_waitcnt vmcnt(0)
	v_bfe_u32 v11, v7, 16, 1
	v_cmp_o_f32_e32 vcc_lo, v7, v7
	s_delay_alu instid0(VALU_DEP_2) | instskip(NEXT) | instid1(VALU_DEP_1)
	v_add3_u32 v11, v7, v11, 0x7fff
	v_lshrrev_b32_e32 v11, 16, v11
	s_delay_alu instid0(VALU_DEP_1)
	v_cndmask_b32_e32 v7, 0x7fc0, v11, vcc_lo
.LBB153_1418:
	s_mov_b32 s2, 0
.LBB153_1419:
	s_delay_alu instid0(SALU_CYCLE_1)
	s_and_not1_b32 vcc_lo, exec_lo, s2
	s_cbranch_vccnz .LBB153_1421
; %bb.1420:
	global_load_b32 v7, v[5:6], off
	s_waitcnt vmcnt(0)
	v_cvt_f32_f16_e32 v11, v7
	v_cmp_o_f16_e32 vcc_lo, v7, v7
	s_delay_alu instid0(VALU_DEP_2) | instskip(NEXT) | instid1(VALU_DEP_1)
	v_bfe_u32 v12, v11, 16, 1
	v_add3_u32 v11, v11, v12, 0x7fff
	s_delay_alu instid0(VALU_DEP_1) | instskip(NEXT) | instid1(VALU_DEP_1)
	v_lshrrev_b32_e32 v11, 16, v11
	v_cndmask_b32_e32 v7, 0x7fc0, v11, vcc_lo
.LBB153_1421:
	s_mov_b32 s2, 0
.LBB153_1422:
	s_delay_alu instid0(SALU_CYCLE_1)
	s_and_not1_b32 vcc_lo, exec_lo, s2
	s_cbranch_vccnz .LBB153_1433
; %bb.1423:
	v_cmp_gt_i16_e32 vcc_lo, 6, v9
	s_cbranch_vccnz .LBB153_1426
; %bb.1424:
	v_cmp_lt_i16_e32 vcc_lo, 6, v9
	s_cbranch_vccz .LBB153_1427
; %bb.1425:
	global_load_b64 v[11:12], v[5:6], off
	s_mov_b32 s2, 0
	s_waitcnt vmcnt(0)
	v_cvt_f32_f64_e32 v7, v[11:12]
	s_delay_alu instid0(VALU_DEP_1) | instskip(SKIP_1) | instid1(VALU_DEP_2)
	v_bfe_u32 v11, v7, 16, 1
	v_cmp_o_f32_e32 vcc_lo, v7, v7
	v_add3_u32 v11, v7, v11, 0x7fff
	s_delay_alu instid0(VALU_DEP_1) | instskip(NEXT) | instid1(VALU_DEP_1)
	v_lshrrev_b32_e32 v11, 16, v11
	v_cndmask_b32_e32 v7, 0x7fc0, v11, vcc_lo
	s_branch .LBB153_1428
.LBB153_1426:
	s_mov_b32 s2, -1
                                        ; implicit-def: $vgpr7
	s_branch .LBB153_1431
.LBB153_1427:
	s_mov_b32 s2, -1
                                        ; implicit-def: $vgpr7
.LBB153_1428:
	s_delay_alu instid0(SALU_CYCLE_1)
	s_and_not1_b32 vcc_lo, exec_lo, s2
	s_cbranch_vccnz .LBB153_1430
; %bb.1429:
	global_load_b32 v7, v[5:6], off
	s_waitcnt vmcnt(0)
	v_bfe_u32 v11, v7, 16, 1
	v_cmp_o_f32_e32 vcc_lo, v7, v7
	s_delay_alu instid0(VALU_DEP_2) | instskip(NEXT) | instid1(VALU_DEP_1)
	v_add3_u32 v11, v7, v11, 0x7fff
	v_lshrrev_b32_e32 v11, 16, v11
	s_delay_alu instid0(VALU_DEP_1)
	v_cndmask_b32_e32 v7, 0x7fc0, v11, vcc_lo
.LBB153_1430:
	s_mov_b32 s2, 0
.LBB153_1431:
	s_delay_alu instid0(SALU_CYCLE_1)
	s_and_not1_b32 vcc_lo, exec_lo, s2
	s_cbranch_vccnz .LBB153_1433
; %bb.1432:
	global_load_u16 v7, v[5:6], off
	s_waitcnt vmcnt(0)
	v_cvt_f32_f16_e32 v11, v7
	v_cmp_o_f16_e32 vcc_lo, v7, v7
	s_delay_alu instid0(VALU_DEP_2) | instskip(NEXT) | instid1(VALU_DEP_1)
	v_bfe_u32 v12, v11, 16, 1
	v_add3_u32 v11, v11, v12, 0x7fff
	s_delay_alu instid0(VALU_DEP_1) | instskip(NEXT) | instid1(VALU_DEP_1)
	v_lshrrev_b32_e32 v11, 16, v11
	v_cndmask_b32_e32 v7, 0x7fc0, v11, vcc_lo
.LBB153_1433:
	s_mov_b32 s2, 0
.LBB153_1434:
	s_delay_alu instid0(SALU_CYCLE_1)
	s_and_not1_b32 vcc_lo, exec_lo, s2
	s_cbranch_vccnz .LBB153_1454
; %bb.1435:
	v_cmp_gt_i16_e32 vcc_lo, 2, v9
	s_cbranch_vccnz .LBB153_1439
; %bb.1436:
	v_cmp_gt_i16_e32 vcc_lo, 3, v9
	s_cbranch_vccnz .LBB153_1440
; %bb.1437:
	v_cmp_lt_i16_e32 vcc_lo, 3, v9
	s_cbranch_vccz .LBB153_1441
; %bb.1438:
	global_load_b64 v[11:12], v[5:6], off
	s_mov_b32 s2, 0
	s_waitcnt vmcnt(0)
	v_xor_b32_e32 v7, v11, v12
	v_cls_i32_e32 v13, v12
	s_delay_alu instid0(VALU_DEP_2) | instskip(NEXT) | instid1(VALU_DEP_2)
	v_ashrrev_i32_e32 v7, 31, v7
	v_add_nc_u32_e32 v13, -1, v13
	s_delay_alu instid0(VALU_DEP_2) | instskip(NEXT) | instid1(VALU_DEP_1)
	v_add_nc_u32_e32 v7, 32, v7
	v_min_u32_e32 v7, v13, v7
	s_delay_alu instid0(VALU_DEP_1) | instskip(SKIP_1) | instid1(VALU_DEP_2)
	v_lshlrev_b64 v[11:12], v7, v[11:12]
	v_sub_nc_u32_e32 v7, 32, v7
	v_min_u32_e32 v11, 1, v11
	s_delay_alu instid0(VALU_DEP_1) | instskip(NEXT) | instid1(VALU_DEP_1)
	v_or_b32_e32 v11, v12, v11
	v_cvt_f32_i32_e32 v11, v11
	s_delay_alu instid0(VALU_DEP_1) | instskip(NEXT) | instid1(VALU_DEP_1)
	v_ldexp_f32 v7, v11, v7
	v_bfe_u32 v11, v7, 16, 1
	s_delay_alu instid0(VALU_DEP_1) | instskip(NEXT) | instid1(VALU_DEP_1)
	v_add3_u32 v7, v7, v11, 0x7fff
	v_lshrrev_b32_e32 v7, 16, v7
	s_branch .LBB153_1442
.LBB153_1439:
	s_mov_b32 s2, -1
                                        ; implicit-def: $vgpr7
	s_branch .LBB153_1448
.LBB153_1440:
	s_mov_b32 s2, -1
                                        ; implicit-def: $vgpr7
	s_branch .LBB153_1445
.LBB153_1441:
	s_mov_b32 s2, -1
                                        ; implicit-def: $vgpr7
.LBB153_1442:
	s_delay_alu instid0(SALU_CYCLE_1)
	s_and_not1_b32 vcc_lo, exec_lo, s2
	s_cbranch_vccnz .LBB153_1444
; %bb.1443:
	global_load_b32 v7, v[5:6], off
	s_waitcnt vmcnt(0)
	v_cvt_f32_i32_e32 v7, v7
	s_delay_alu instid0(VALU_DEP_1) | instskip(NEXT) | instid1(VALU_DEP_1)
	v_bfe_u32 v11, v7, 16, 1
	v_add3_u32 v7, v7, v11, 0x7fff
	s_delay_alu instid0(VALU_DEP_1)
	v_lshrrev_b32_e32 v7, 16, v7
.LBB153_1444:
	s_mov_b32 s2, 0
.LBB153_1445:
	s_delay_alu instid0(SALU_CYCLE_1)
	s_and_not1_b32 vcc_lo, exec_lo, s2
	s_cbranch_vccnz .LBB153_1447
; %bb.1446:
	global_load_i16 v7, v[5:6], off
	s_waitcnt vmcnt(0)
	v_cvt_f32_i32_e32 v7, v7
	s_delay_alu instid0(VALU_DEP_1) | instskip(NEXT) | instid1(VALU_DEP_1)
	v_bfe_u32 v11, v7, 16, 1
	v_add3_u32 v7, v7, v11, 0x7fff
	s_delay_alu instid0(VALU_DEP_1)
	v_lshrrev_b32_e32 v7, 16, v7
.LBB153_1447:
	s_mov_b32 s2, 0
.LBB153_1448:
	s_delay_alu instid0(SALU_CYCLE_1)
	s_and_not1_b32 vcc_lo, exec_lo, s2
	s_cbranch_vccnz .LBB153_1454
; %bb.1449:
	v_cmp_lt_i16_e32 vcc_lo, 0, v9
	s_mov_b32 s2, 0
	s_cbranch_vccz .LBB153_1451
; %bb.1450:
	global_load_i8 v7, v[5:6], off
	s_waitcnt vmcnt(0)
	v_cvt_f32_i32_e32 v7, v7
	s_delay_alu instid0(VALU_DEP_1) | instskip(NEXT) | instid1(VALU_DEP_1)
	v_bfe_u32 v11, v7, 16, 1
	v_add3_u32 v7, v7, v11, 0x7fff
	s_delay_alu instid0(VALU_DEP_1)
	v_lshrrev_b32_e32 v7, 16, v7
	s_branch .LBB153_1452
.LBB153_1451:
	s_mov_b32 s2, -1
                                        ; implicit-def: $vgpr7
.LBB153_1452:
	s_delay_alu instid0(SALU_CYCLE_1)
	s_and_not1_b32 vcc_lo, exec_lo, s2
	s_cbranch_vccnz .LBB153_1454
; %bb.1453:
	global_load_u8 v5, v[5:6], off
	s_waitcnt vmcnt(0)
	v_cvt_f32_ubyte0_e32 v5, v5
	s_delay_alu instid0(VALU_DEP_1) | instskip(NEXT) | instid1(VALU_DEP_1)
	v_bfe_u32 v6, v5, 16, 1
	v_add3_u32 v5, v5, v6, 0x7fff
	s_delay_alu instid0(VALU_DEP_1)
	v_lshrrev_b32_e32 v7, 16, v5
.LBB153_1454:
	s_branch .LBB153_1526
.LBB153_1455:
	s_trap 2
	s_sendmsg_rtn_b32 s0, sendmsg(MSG_RTN_GET_DOORBELL)
	s_mov_b32 ttmp2, m0
	s_waitcnt lgkmcnt(0)
	s_and_b32 s0, s0, 0x3ff
	s_delay_alu instid0(SALU_CYCLE_1) | instskip(NEXT) | instid1(SALU_CYCLE_1)
	s_bitset1_b32 s0, 10
	s_mov_b32 m0, s0
	s_sendmsg sendmsg(MSG_INTERRUPT)
	s_mov_b32 m0, ttmp2
.LBB153_1456:                           ; =>This Inner Loop Header: Depth=1
	s_sethalt 5
	s_branch .LBB153_1456
.LBB153_1457:
	s_mov_b32 s2, -1
.LBB153_1458:
                                        ; implicit-def: $vgpr7
.LBB153_1459:
	s_and_b32 vcc_lo, exec_lo, s11
	s_cbranch_vccz .LBB153_1463
; %bb.1460:
	v_cmp_eq_u16_e32 vcc_lo, 44, v9
	s_cbranch_vccz .LBB153_1462
; %bb.1461:
	global_load_u8 v7, v[5:6], off
	s_mov_b32 s2, 0
	s_mov_b32 s10, -1
	s_waitcnt vmcnt(0)
	v_lshlrev_b32_e32 v11, 23, v7
	v_cmp_ne_u32_e32 vcc_lo, 0xff, v7
	s_delay_alu instid0(VALU_DEP_2) | instskip(SKIP_1) | instid1(VALU_DEP_2)
	v_cndmask_b32_e32 v11, 0x7f800001, v11, vcc_lo
	v_cmp_ne_u32_e32 vcc_lo, 0, v7
	v_cndmask_b32_e32 v7, 0x400000, v11, vcc_lo
	s_delay_alu instid0(VALU_DEP_1) | instskip(SKIP_1) | instid1(VALU_DEP_2)
	v_add_nc_u32_e32 v11, 0x7fff, v7
	v_cmp_o_f32_e32 vcc_lo, v7, v7
	v_lshrrev_b32_e32 v11, 16, v11
	s_delay_alu instid0(VALU_DEP_1)
	v_cndmask_b32_e32 v7, 0x7fc0, v11, vcc_lo
	s_branch .LBB153_1463
.LBB153_1462:
	s_mov_b32 s2, -1
                                        ; implicit-def: $vgpr7
.LBB153_1463:
	s_mov_b32 s11, 0
.LBB153_1464:
	s_delay_alu instid0(SALU_CYCLE_1)
	s_and_b32 vcc_lo, exec_lo, s11
	s_cbranch_vccz .LBB153_1468
; %bb.1465:
	v_cmp_eq_u16_e32 vcc_lo, 29, v9
	s_cbranch_vccz .LBB153_1467
; %bb.1466:
	global_load_b64 v[11:12], v[5:6], off
	s_mov_b32 s2, 0
	s_mov_b32 s10, -1
	s_mov_b32 s11, 0
	s_waitcnt vmcnt(0)
	v_clz_i32_u32_e32 v7, v12
	s_delay_alu instid0(VALU_DEP_1) | instskip(NEXT) | instid1(VALU_DEP_1)
	v_min_u32_e32 v7, 32, v7
	v_lshlrev_b64 v[11:12], v7, v[11:12]
	v_sub_nc_u32_e32 v7, 32, v7
	s_delay_alu instid0(VALU_DEP_2) | instskip(NEXT) | instid1(VALU_DEP_1)
	v_min_u32_e32 v11, 1, v11
	v_or_b32_e32 v11, v12, v11
	s_delay_alu instid0(VALU_DEP_1) | instskip(NEXT) | instid1(VALU_DEP_1)
	v_cvt_f32_u32_e32 v11, v11
	v_ldexp_f32 v7, v11, v7
	s_delay_alu instid0(VALU_DEP_1) | instskip(NEXT) | instid1(VALU_DEP_1)
	v_bfe_u32 v11, v7, 16, 1
	v_add3_u32 v7, v7, v11, 0x7fff
	s_delay_alu instid0(VALU_DEP_1)
	v_lshrrev_b32_e32 v7, 16, v7
	s_branch .LBB153_1469
.LBB153_1467:
	s_mov_b32 s2, -1
                                        ; implicit-def: $vgpr7
.LBB153_1468:
	s_mov_b32 s11, 0
.LBB153_1469:
	s_delay_alu instid0(SALU_CYCLE_1)
	s_and_b32 vcc_lo, exec_lo, s11
	s_cbranch_vccz .LBB153_1487
; %bb.1470:
	v_cmp_gt_i16_e32 vcc_lo, 27, v9
	s_cbranch_vccnz .LBB153_1473
; %bb.1471:
	v_cmp_lt_i16_e32 vcc_lo, 27, v9
	s_cbranch_vccz .LBB153_1474
; %bb.1472:
	global_load_b32 v7, v[5:6], off
	s_mov_b32 s10, 0
	s_waitcnt vmcnt(0)
	v_cvt_f32_u32_e32 v7, v7
	s_delay_alu instid0(VALU_DEP_1) | instskip(NEXT) | instid1(VALU_DEP_1)
	v_bfe_u32 v11, v7, 16, 1
	v_add3_u32 v7, v7, v11, 0x7fff
	s_delay_alu instid0(VALU_DEP_1)
	v_lshrrev_b32_e32 v7, 16, v7
	s_branch .LBB153_1475
.LBB153_1473:
	s_mov_b32 s10, -1
                                        ; implicit-def: $vgpr7
	s_branch .LBB153_1478
.LBB153_1474:
	s_mov_b32 s10, -1
                                        ; implicit-def: $vgpr7
.LBB153_1475:
	s_delay_alu instid0(SALU_CYCLE_1)
	s_and_not1_b32 vcc_lo, exec_lo, s10
	s_cbranch_vccnz .LBB153_1477
; %bb.1476:
	global_load_u16 v7, v[5:6], off
	s_waitcnt vmcnt(0)
	v_cvt_f32_u32_e32 v7, v7
	s_delay_alu instid0(VALU_DEP_1) | instskip(NEXT) | instid1(VALU_DEP_1)
	v_bfe_u32 v11, v7, 16, 1
	v_add3_u32 v7, v7, v11, 0x7fff
	s_delay_alu instid0(VALU_DEP_1)
	v_lshrrev_b32_e32 v7, 16, v7
.LBB153_1477:
	s_mov_b32 s10, 0
.LBB153_1478:
	s_delay_alu instid0(SALU_CYCLE_1)
	s_and_not1_b32 vcc_lo, exec_lo, s10
	s_cbranch_vccnz .LBB153_1486
; %bb.1479:
	global_load_u8 v7, v[5:6], off
	s_mov_b32 s10, 0
	s_mov_b32 s12, exec_lo
                                        ; implicit-def: $sgpr11
	s_waitcnt vmcnt(0)
	v_cmpx_lt_i16_e32 0x7f, v7
	s_xor_b32 s12, exec_lo, s12
	s_cbranch_execz .LBB153_1500
; %bb.1480:
	s_mov_b32 s10, -1
	s_mov_b32 s13, exec_lo
                                        ; implicit-def: $sgpr11
	v_cmpx_eq_u16_e32 0x80, v7
; %bb.1481:
	s_mov_b32 s11, 0x7f800001
	s_xor_b32 s10, exec_lo, -1
; %bb.1482:
	s_or_b32 exec_lo, exec_lo, s13
	s_delay_alu instid0(SALU_CYCLE_1)
	s_and_b32 s10, s10, exec_lo
	s_or_saveexec_b32 s12, s12
	v_mov_b32_e32 v11, s11
	s_xor_b32 exec_lo, exec_lo, s12
	s_cbranch_execnz .LBB153_1501
.LBB153_1483:
	s_or_b32 exec_lo, exec_lo, s12
	s_and_saveexec_b32 s11, s10
	s_cbranch_execz .LBB153_1485
.LBB153_1484:
	v_and_b32_e32 v11, 0xffff, v7
	v_lshlrev_b32_e32 v7, 24, v7
	s_delay_alu instid0(VALU_DEP_2) | instskip(NEXT) | instid1(VALU_DEP_2)
	v_and_b32_e32 v12, 7, v11
	v_and_b32_e32 v7, 0x80000000, v7
	s_delay_alu instid0(VALU_DEP_2) | instskip(NEXT) | instid1(VALU_DEP_1)
	v_clz_i32_u32_e32 v13, v12
	v_min_u32_e32 v13, 32, v13
	s_delay_alu instid0(VALU_DEP_1) | instskip(SKIP_1) | instid1(VALU_DEP_2)
	v_subrev_nc_u32_e32 v14, 28, v13
	v_sub_nc_u32_e32 v13, 29, v13
	v_lshlrev_b32_e32 v14, v14, v11
	v_bfe_u32 v11, v11, 3, 4
	s_delay_alu instid0(VALU_DEP_2) | instskip(NEXT) | instid1(VALU_DEP_2)
	v_and_b32_e32 v14, 7, v14
	v_cmp_eq_u32_e32 vcc_lo, 0, v11
	s_delay_alu instid0(VALU_DEP_2) | instskip(NEXT) | instid1(VALU_DEP_1)
	v_dual_cndmask_b32 v11, v11, v13 :: v_dual_cndmask_b32 v12, v12, v14
	v_lshl_add_u32 v11, v11, 23, 0x3b800000
	s_delay_alu instid0(VALU_DEP_2) | instskip(NEXT) | instid1(VALU_DEP_1)
	v_lshlrev_b32_e32 v12, 20, v12
	v_or3_b32 v11, v7, v11, v12
.LBB153_1485:
	s_or_b32 exec_lo, exec_lo, s11
	s_delay_alu instid0(VALU_DEP_1) | instskip(SKIP_1) | instid1(VALU_DEP_2)
	v_bfe_u32 v7, v11, 16, 1
	v_cmp_o_f32_e32 vcc_lo, v11, v11
	v_add3_u32 v7, v11, v7, 0x7fff
	s_delay_alu instid0(VALU_DEP_1) | instskip(NEXT) | instid1(VALU_DEP_1)
	v_lshrrev_b32_e32 v7, 16, v7
	v_cndmask_b32_e32 v7, 0x7fc0, v7, vcc_lo
.LBB153_1486:
	s_mov_b32 s10, -1
.LBB153_1487:
	s_mov_b32 s11, 0
.LBB153_1488:
	s_delay_alu instid0(SALU_CYCLE_1)
	s_and_b32 vcc_lo, exec_lo, s11
	s_cbranch_vccz .LBB153_1521
; %bb.1489:
	v_cmp_lt_i16_e32 vcc_lo, 22, v9
	s_cbranch_vccz .LBB153_1499
; %bb.1490:
	v_cmp_gt_i16_e32 vcc_lo, 24, v9
	s_cbranch_vccnz .LBB153_1502
; %bb.1491:
	v_cmp_lt_i16_e32 vcc_lo, 24, v9
	s_cbranch_vccz .LBB153_1503
; %bb.1492:
	global_load_u8 v7, v[5:6], off
	s_mov_b32 s11, exec_lo
                                        ; implicit-def: $sgpr10
	s_waitcnt vmcnt(0)
	v_cmpx_lt_i16_e32 0x7f, v7
	s_xor_b32 s11, exec_lo, s11
	s_cbranch_execz .LBB153_1515
; %bb.1493:
	s_mov_b32 s3, -1
	s_mov_b32 s12, exec_lo
                                        ; implicit-def: $sgpr10
	v_cmpx_eq_u16_e32 0x80, v7
; %bb.1494:
	s_mov_b32 s10, 0x7f800001
	s_xor_b32 s3, exec_lo, -1
; %bb.1495:
	s_or_b32 exec_lo, exec_lo, s12
	s_delay_alu instid0(SALU_CYCLE_1)
	s_and_b32 s3, s3, exec_lo
	s_or_saveexec_b32 s11, s11
	v_mov_b32_e32 v11, s10
	s_xor_b32 exec_lo, exec_lo, s11
	s_cbranch_execnz .LBB153_1516
.LBB153_1496:
	s_or_b32 exec_lo, exec_lo, s11
	s_and_saveexec_b32 s10, s3
	s_cbranch_execz .LBB153_1498
.LBB153_1497:
	v_and_b32_e32 v11, 0xffff, v7
	v_lshlrev_b32_e32 v7, 24, v7
	s_delay_alu instid0(VALU_DEP_2) | instskip(NEXT) | instid1(VALU_DEP_2)
	v_and_b32_e32 v12, 3, v11
	v_and_b32_e32 v7, 0x80000000, v7
	s_delay_alu instid0(VALU_DEP_2) | instskip(NEXT) | instid1(VALU_DEP_1)
	v_clz_i32_u32_e32 v13, v12
	v_min_u32_e32 v13, 32, v13
	s_delay_alu instid0(VALU_DEP_1) | instskip(SKIP_1) | instid1(VALU_DEP_2)
	v_subrev_nc_u32_e32 v14, 29, v13
	v_sub_nc_u32_e32 v13, 30, v13
	v_lshlrev_b32_e32 v14, v14, v11
	v_bfe_u32 v11, v11, 2, 5
	s_delay_alu instid0(VALU_DEP_2) | instskip(NEXT) | instid1(VALU_DEP_2)
	v_and_b32_e32 v14, 3, v14
	v_cmp_eq_u32_e32 vcc_lo, 0, v11
	s_delay_alu instid0(VALU_DEP_2) | instskip(NEXT) | instid1(VALU_DEP_1)
	v_dual_cndmask_b32 v11, v11, v13 :: v_dual_cndmask_b32 v12, v12, v14
	v_lshl_add_u32 v11, v11, 23, 0x37800000
	s_delay_alu instid0(VALU_DEP_2) | instskip(NEXT) | instid1(VALU_DEP_1)
	v_lshlrev_b32_e32 v12, 21, v12
	v_or3_b32 v11, v7, v11, v12
.LBB153_1498:
	s_or_b32 exec_lo, exec_lo, s10
	s_delay_alu instid0(VALU_DEP_1) | instskip(SKIP_2) | instid1(VALU_DEP_2)
	v_bfe_u32 v7, v11, 16, 1
	v_cmp_o_f32_e32 vcc_lo, v11, v11
	s_mov_b32 s3, 0
	v_add3_u32 v7, v11, v7, 0x7fff
	s_delay_alu instid0(VALU_DEP_1) | instskip(NEXT) | instid1(VALU_DEP_1)
	v_lshrrev_b32_e32 v7, 16, v7
	v_cndmask_b32_e32 v7, 0x7fc0, v7, vcc_lo
	s_branch .LBB153_1504
.LBB153_1499:
	s_mov_b32 s3, -1
                                        ; implicit-def: $vgpr7
	s_branch .LBB153_1510
.LBB153_1500:
	s_or_saveexec_b32 s12, s12
	v_mov_b32_e32 v11, s11
	s_xor_b32 exec_lo, exec_lo, s12
	s_cbranch_execz .LBB153_1483
.LBB153_1501:
	v_cmp_ne_u16_e32 vcc_lo, 0, v7
	v_mov_b32_e32 v11, 0
	s_and_not1_b32 s10, s10, exec_lo
	s_and_b32 s11, vcc_lo, exec_lo
	s_delay_alu instid0(SALU_CYCLE_1)
	s_or_b32 s10, s10, s11
	s_or_b32 exec_lo, exec_lo, s12
	s_and_saveexec_b32 s11, s10
	s_cbranch_execnz .LBB153_1484
	s_branch .LBB153_1485
.LBB153_1502:
	s_mov_b32 s3, -1
                                        ; implicit-def: $vgpr7
	s_branch .LBB153_1507
.LBB153_1503:
	s_mov_b32 s3, -1
                                        ; implicit-def: $vgpr7
.LBB153_1504:
	s_delay_alu instid0(SALU_CYCLE_1)
	s_and_b32 vcc_lo, exec_lo, s3
	s_cbranch_vccz .LBB153_1506
; %bb.1505:
	global_load_u8 v7, v[5:6], off
	s_waitcnt vmcnt(0)
	v_lshlrev_b32_e32 v7, 24, v7
	s_delay_alu instid0(VALU_DEP_1) | instskip(NEXT) | instid1(VALU_DEP_1)
	v_and_b32_e32 v11, 0x7f000000, v7
	v_clz_i32_u32_e32 v12, v11
	v_cmp_ne_u32_e32 vcc_lo, 0, v11
	v_add_nc_u32_e32 v14, 0x1000000, v11
	s_delay_alu instid0(VALU_DEP_3) | instskip(NEXT) | instid1(VALU_DEP_1)
	v_min_u32_e32 v12, 32, v12
	v_sub_nc_u32_e64 v12, v12, 4 clamp
	s_delay_alu instid0(VALU_DEP_1) | instskip(SKIP_1) | instid1(VALU_DEP_2)
	v_lshlrev_b32_e32 v13, v12, v11
	v_lshlrev_b32_e32 v12, 23, v12
	v_lshrrev_b32_e32 v13, 4, v13
	s_delay_alu instid0(VALU_DEP_1) | instskip(SKIP_1) | instid1(VALU_DEP_2)
	v_sub_nc_u32_e32 v12, v13, v12
	v_ashrrev_i32_e32 v13, 8, v14
	v_add_nc_u32_e32 v12, 0x3c000000, v12
	s_delay_alu instid0(VALU_DEP_1) | instskip(NEXT) | instid1(VALU_DEP_1)
	v_and_or_b32 v12, 0x7f800000, v13, v12
	v_cndmask_b32_e32 v11, 0, v12, vcc_lo
	s_delay_alu instid0(VALU_DEP_1) | instskip(SKIP_1) | instid1(VALU_DEP_2)
	v_and_or_b32 v7, 0x80000000, v7, v11
	v_bfe_u32 v11, v11, 16, 1
	v_cmp_o_f32_e32 vcc_lo, v7, v7
	s_delay_alu instid0(VALU_DEP_2) | instskip(NEXT) | instid1(VALU_DEP_1)
	v_add3_u32 v11, v7, v11, 0x7fff
	v_lshrrev_b32_e32 v11, 16, v11
	s_delay_alu instid0(VALU_DEP_1)
	v_cndmask_b32_e32 v7, 0x7fc0, v11, vcc_lo
.LBB153_1506:
	s_mov_b32 s3, 0
.LBB153_1507:
	s_delay_alu instid0(SALU_CYCLE_1)
	s_and_not1_b32 vcc_lo, exec_lo, s3
	s_cbranch_vccnz .LBB153_1509
; %bb.1508:
	global_load_u8 v7, v[5:6], off
	s_waitcnt vmcnt(0)
	v_lshlrev_b32_e32 v11, 25, v7
	v_lshlrev_b16 v7, 8, v7
	s_delay_alu instid0(VALU_DEP_2) | instskip(NEXT) | instid1(VALU_DEP_2)
	v_lshrrev_b32_e32 v12, 4, v11
	v_and_or_b32 v13, 0x7f00, v7, 0.5
	v_bfe_i32 v7, v7, 0, 16
	s_delay_alu instid0(VALU_DEP_3) | instskip(NEXT) | instid1(VALU_DEP_1)
	v_or_b32_e32 v12, 0x70000000, v12
	v_dual_add_f32 v13, -0.5, v13 :: v_dual_mul_f32 v12, 0x7800000, v12
	v_cmp_gt_u32_e32 vcc_lo, 0x8000000, v11
	s_delay_alu instid0(VALU_DEP_2) | instskip(NEXT) | instid1(VALU_DEP_1)
	v_cndmask_b32_e32 v11, v12, v13, vcc_lo
	v_and_or_b32 v7, 0x80000000, v7, v11
	v_bfe_u32 v11, v11, 16, 1
	s_delay_alu instid0(VALU_DEP_2) | instskip(NEXT) | instid1(VALU_DEP_2)
	v_cmp_o_f32_e32 vcc_lo, v7, v7
	v_add3_u32 v11, v7, v11, 0x7fff
	s_delay_alu instid0(VALU_DEP_1) | instskip(NEXT) | instid1(VALU_DEP_1)
	v_lshrrev_b32_e32 v11, 16, v11
	v_cndmask_b32_e32 v7, 0x7fc0, v11, vcc_lo
.LBB153_1509:
	s_mov_b32 s3, 0
	s_mov_b32 s10, -1
.LBB153_1510:
	s_and_not1_b32 vcc_lo, exec_lo, s3
	s_mov_b32 s3, 0
	s_cbranch_vccnz .LBB153_1521
; %bb.1511:
	v_cmp_lt_i16_e32 vcc_lo, 14, v9
	s_cbranch_vccz .LBB153_1514
; %bb.1512:
	v_cmp_eq_u16_e32 vcc_lo, 15, v9
	s_cbranch_vccz .LBB153_1517
; %bb.1513:
	global_load_u16 v7, v[5:6], off
	s_mov_b32 s2, 0
	s_mov_b32 s10, -1
	s_branch .LBB153_1519
.LBB153_1514:
	s_mov_b32 s3, -1
	s_branch .LBB153_1518
.LBB153_1515:
	s_or_saveexec_b32 s11, s11
	v_mov_b32_e32 v11, s10
	s_xor_b32 exec_lo, exec_lo, s11
	s_cbranch_execz .LBB153_1496
.LBB153_1516:
	v_cmp_ne_u16_e32 vcc_lo, 0, v7
	v_mov_b32_e32 v11, 0
	s_and_not1_b32 s3, s3, exec_lo
	s_and_b32 s10, vcc_lo, exec_lo
	s_delay_alu instid0(SALU_CYCLE_1)
	s_or_b32 s3, s3, s10
	s_or_b32 exec_lo, exec_lo, s11
	s_and_saveexec_b32 s10, s3
	s_cbranch_execnz .LBB153_1497
	s_branch .LBB153_1498
.LBB153_1517:
	s_mov_b32 s2, -1
.LBB153_1518:
                                        ; implicit-def: $vgpr7
.LBB153_1519:
	s_and_b32 vcc_lo, exec_lo, s3
	s_mov_b32 s3, 0
	s_cbranch_vccz .LBB153_1521
; %bb.1520:
	v_cmp_ne_u16_e64 s2, 11, v9
	s_mov_b32 s3, -1
                                        ; implicit-def: $vgpr7
.LBB153_1521:
	s_delay_alu instid0(VALU_DEP_1)
	s_and_b32 vcc_lo, exec_lo, s2
	s_cbranch_vccnz .LBB153_1537
; %bb.1522:
	s_and_not1_b32 vcc_lo, exec_lo, s3
	s_cbranch_vccnz .LBB153_1524
.LBB153_1523:
	global_load_u8 v7, v[5:6], off
	s_mov_b32 s10, -1
	s_waitcnt vmcnt(0)
	v_cmp_ne_u16_e32 vcc_lo, 0, v7
	v_cndmask_b32_e64 v7, 0, 1.0, vcc_lo
	s_delay_alu instid0(VALU_DEP_1)
	v_lshrrev_b32_e32 v7, 16, v7
.LBB153_1524:
.LBB153_1525:
	s_and_not1_b32 vcc_lo, exec_lo, s10
	s_cbranch_vccnz .LBB153_2090
.LBB153_1526:
	v_cmp_gt_i16_e32 vcc_lo, 11, v9
	v_add_co_u32 v4, s2, s6, v4
	s_delay_alu instid0(VALU_DEP_1)
	v_add_co_ci_u32_e64 v5, null, s7, 0, s2
	s_mov_b32 s6, 0
	s_cbranch_vccnz .LBB153_1533
; %bb.1527:
	v_cmp_lt_i16_e32 vcc_lo, 25, v9
	s_mov_b32 s3, 0
	s_cbranch_vccz .LBB153_1534
; %bb.1528:
	v_cmp_lt_i16_e32 vcc_lo, 28, v9
	s_cbranch_vccz .LBB153_1535
; %bb.1529:
	v_cmp_lt_i16_e32 vcc_lo, 43, v9
	;; [unrolled: 3-line block ×3, first 2 shown]
	s_cbranch_vccz .LBB153_1539
; %bb.1531:
	v_cmp_eq_u16_e32 vcc_lo, 46, v9
	s_mov_b32 s7, 0
	s_cbranch_vccz .LBB153_1542
; %bb.1532:
	global_load_b32 v11, v[4:5], off
	s_mov_b32 s2, 0
	s_mov_b32 s6, -1
	s_branch .LBB153_1544
.LBB153_1533:
	s_mov_b32 s2, -1
                                        ; implicit-def: $vgpr11
	s_branch .LBB153_1610
.LBB153_1534:
	s_mov_b32 s7, -1
	s_mov_b32 s2, 0
                                        ; implicit-def: $vgpr11
	s_branch .LBB153_1573
.LBB153_1535:
	s_mov_b32 s7, -1
	s_mov_b32 s2, 0
                                        ; implicit-def: $vgpr11
	s_branch .LBB153_1554
.LBB153_1536:
	s_mov_b32 s7, -1
	s_mov_b32 s2, 0
                                        ; implicit-def: $vgpr11
	s_branch .LBB153_1549
.LBB153_1537:
	s_cbranch_execnz .LBB153_1540
; %bb.1538:
	s_or_b32 s1, s1, exec_lo
                                        ; implicit-def: $vgpr7
	s_cbranch_execz .LBB153_1523
	s_branch .LBB153_1524
.LBB153_1539:
	s_mov_b32 s7, -1
	s_mov_b32 s2, 0
	s_branch .LBB153_1543
.LBB153_1540:
	s_trap 2
	s_sendmsg_rtn_b32 s0, sendmsg(MSG_RTN_GET_DOORBELL)
	s_mov_b32 ttmp2, m0
	s_waitcnt lgkmcnt(0)
	s_and_b32 s0, s0, 0x3ff
	s_delay_alu instid0(SALU_CYCLE_1) | instskip(NEXT) | instid1(SALU_CYCLE_1)
	s_bitset1_b32 s0, 10
	s_mov_b32 m0, s0
	s_sendmsg sendmsg(MSG_INTERRUPT)
	s_mov_b32 m0, ttmp2
.LBB153_1541:                           ; =>This Inner Loop Header: Depth=1
	s_sethalt 5
	s_branch .LBB153_1541
.LBB153_1542:
	s_mov_b32 s2, -1
.LBB153_1543:
                                        ; implicit-def: $vgpr11
.LBB153_1544:
	s_and_b32 vcc_lo, exec_lo, s7
	s_cbranch_vccz .LBB153_1548
; %bb.1545:
	v_cmp_eq_u16_e32 vcc_lo, 44, v9
	s_cbranch_vccz .LBB153_1547
; %bb.1546:
	global_load_u8 v6, v[4:5], off
	s_mov_b32 s2, 0
	s_mov_b32 s6, -1
	s_waitcnt vmcnt(0)
	v_lshlrev_b32_e32 v11, 23, v6
	v_cmp_ne_u32_e32 vcc_lo, 0xff, v6
	s_delay_alu instid0(VALU_DEP_2) | instskip(SKIP_1) | instid1(VALU_DEP_2)
	v_cndmask_b32_e32 v11, 0x7f800001, v11, vcc_lo
	v_cmp_ne_u32_e32 vcc_lo, 0, v6
	v_cndmask_b32_e32 v6, 0x400000, v11, vcc_lo
	s_delay_alu instid0(VALU_DEP_1) | instskip(SKIP_1) | instid1(VALU_DEP_2)
	v_add_nc_u32_e32 v11, 0x7fff, v6
	v_cmp_o_f32_e32 vcc_lo, v6, v6
	v_lshrrev_b32_e32 v11, 16, v11
	s_delay_alu instid0(VALU_DEP_1)
	v_cndmask_b32_e32 v11, 0x7fc0, v11, vcc_lo
	s_branch .LBB153_1548
.LBB153_1547:
	s_mov_b32 s2, -1
                                        ; implicit-def: $vgpr11
.LBB153_1548:
	s_mov_b32 s7, 0
.LBB153_1549:
	s_delay_alu instid0(SALU_CYCLE_1)
	s_and_b32 vcc_lo, exec_lo, s7
	s_cbranch_vccz .LBB153_1553
; %bb.1550:
	v_cmp_eq_u16_e32 vcc_lo, 29, v9
	s_cbranch_vccz .LBB153_1552
; %bb.1551:
	global_load_b64 v[11:12], v[4:5], off
	s_mov_b32 s2, 0
	s_mov_b32 s6, -1
	s_mov_b32 s7, 0
	s_waitcnt vmcnt(0)
	v_clz_i32_u32_e32 v6, v12
	s_delay_alu instid0(VALU_DEP_1) | instskip(NEXT) | instid1(VALU_DEP_1)
	v_min_u32_e32 v6, 32, v6
	v_lshlrev_b64 v[11:12], v6, v[11:12]
	v_sub_nc_u32_e32 v6, 32, v6
	s_delay_alu instid0(VALU_DEP_2) | instskip(NEXT) | instid1(VALU_DEP_1)
	v_min_u32_e32 v11, 1, v11
	v_or_b32_e32 v11, v12, v11
	s_delay_alu instid0(VALU_DEP_1) | instskip(NEXT) | instid1(VALU_DEP_1)
	v_cvt_f32_u32_e32 v11, v11
	v_ldexp_f32 v6, v11, v6
	s_delay_alu instid0(VALU_DEP_1) | instskip(NEXT) | instid1(VALU_DEP_1)
	v_bfe_u32 v11, v6, 16, 1
	v_add3_u32 v6, v6, v11, 0x7fff
	s_delay_alu instid0(VALU_DEP_1)
	v_lshrrev_b32_e32 v11, 16, v6
	s_branch .LBB153_1554
.LBB153_1552:
	s_mov_b32 s2, -1
                                        ; implicit-def: $vgpr11
.LBB153_1553:
	s_mov_b32 s7, 0
.LBB153_1554:
	s_delay_alu instid0(SALU_CYCLE_1)
	s_and_b32 vcc_lo, exec_lo, s7
	s_cbranch_vccz .LBB153_1572
; %bb.1555:
	v_cmp_gt_i16_e32 vcc_lo, 27, v9
	s_cbranch_vccnz .LBB153_1558
; %bb.1556:
	v_cmp_lt_i16_e32 vcc_lo, 27, v9
	s_cbranch_vccz .LBB153_1559
; %bb.1557:
	global_load_b32 v6, v[4:5], off
	s_mov_b32 s6, 0
	s_waitcnt vmcnt(0)
	v_cvt_f32_u32_e32 v6, v6
	s_delay_alu instid0(VALU_DEP_1) | instskip(NEXT) | instid1(VALU_DEP_1)
	v_bfe_u32 v11, v6, 16, 1
	v_add3_u32 v6, v6, v11, 0x7fff
	s_delay_alu instid0(VALU_DEP_1)
	v_lshrrev_b32_e32 v11, 16, v6
	s_branch .LBB153_1560
.LBB153_1558:
	s_mov_b32 s6, -1
                                        ; implicit-def: $vgpr11
	s_branch .LBB153_1563
.LBB153_1559:
	s_mov_b32 s6, -1
                                        ; implicit-def: $vgpr11
.LBB153_1560:
	s_delay_alu instid0(SALU_CYCLE_1)
	s_and_not1_b32 vcc_lo, exec_lo, s6
	s_cbranch_vccnz .LBB153_1562
; %bb.1561:
	global_load_u16 v6, v[4:5], off
	s_waitcnt vmcnt(0)
	v_cvt_f32_u32_e32 v6, v6
	s_delay_alu instid0(VALU_DEP_1) | instskip(NEXT) | instid1(VALU_DEP_1)
	v_bfe_u32 v11, v6, 16, 1
	v_add3_u32 v6, v6, v11, 0x7fff
	s_delay_alu instid0(VALU_DEP_1)
	v_lshrrev_b32_e32 v11, 16, v6
.LBB153_1562:
	s_mov_b32 s6, 0
.LBB153_1563:
	s_delay_alu instid0(SALU_CYCLE_1)
	s_and_not1_b32 vcc_lo, exec_lo, s6
	s_cbranch_vccnz .LBB153_1571
; %bb.1564:
	global_load_u8 v6, v[4:5], off
	s_mov_b32 s6, 0
	s_mov_b32 s10, exec_lo
                                        ; implicit-def: $sgpr7
	s_waitcnt vmcnt(0)
	v_cmpx_lt_i16_e32 0x7f, v6
	s_xor_b32 s10, exec_lo, s10
	s_cbranch_execz .LBB153_1585
; %bb.1565:
	s_mov_b32 s6, -1
	s_mov_b32 s11, exec_lo
                                        ; implicit-def: $sgpr7
	v_cmpx_eq_u16_e32 0x80, v6
; %bb.1566:
	s_mov_b32 s7, 0x7f800001
	s_xor_b32 s6, exec_lo, -1
; %bb.1567:
	s_or_b32 exec_lo, exec_lo, s11
	s_delay_alu instid0(SALU_CYCLE_1)
	s_and_b32 s6, s6, exec_lo
	s_or_saveexec_b32 s10, s10
	v_mov_b32_e32 v11, s7
	s_xor_b32 exec_lo, exec_lo, s10
	s_cbranch_execnz .LBB153_1586
.LBB153_1568:
	s_or_b32 exec_lo, exec_lo, s10
	s_and_saveexec_b32 s7, s6
	s_cbranch_execz .LBB153_1570
.LBB153_1569:
	v_and_b32_e32 v11, 0xffff, v6
	v_lshlrev_b32_e32 v6, 24, v6
	s_delay_alu instid0(VALU_DEP_2) | instskip(NEXT) | instid1(VALU_DEP_2)
	v_and_b32_e32 v12, 7, v11
	v_and_b32_e32 v6, 0x80000000, v6
	s_delay_alu instid0(VALU_DEP_2) | instskip(NEXT) | instid1(VALU_DEP_1)
	v_clz_i32_u32_e32 v13, v12
	v_min_u32_e32 v13, 32, v13
	s_delay_alu instid0(VALU_DEP_1) | instskip(SKIP_1) | instid1(VALU_DEP_2)
	v_subrev_nc_u32_e32 v14, 28, v13
	v_sub_nc_u32_e32 v13, 29, v13
	v_lshlrev_b32_e32 v14, v14, v11
	v_bfe_u32 v11, v11, 3, 4
	s_delay_alu instid0(VALU_DEP_2) | instskip(NEXT) | instid1(VALU_DEP_2)
	v_and_b32_e32 v14, 7, v14
	v_cmp_eq_u32_e32 vcc_lo, 0, v11
	s_delay_alu instid0(VALU_DEP_2) | instskip(NEXT) | instid1(VALU_DEP_1)
	v_dual_cndmask_b32 v11, v11, v13 :: v_dual_cndmask_b32 v12, v12, v14
	v_lshl_add_u32 v11, v11, 23, 0x3b800000
	s_delay_alu instid0(VALU_DEP_2) | instskip(NEXT) | instid1(VALU_DEP_1)
	v_lshlrev_b32_e32 v12, 20, v12
	v_or3_b32 v11, v6, v11, v12
.LBB153_1570:
	s_or_b32 exec_lo, exec_lo, s7
	s_delay_alu instid0(VALU_DEP_1) | instskip(SKIP_1) | instid1(VALU_DEP_2)
	v_bfe_u32 v6, v11, 16, 1
	v_cmp_o_f32_e32 vcc_lo, v11, v11
	v_add3_u32 v6, v11, v6, 0x7fff
	s_delay_alu instid0(VALU_DEP_1) | instskip(NEXT) | instid1(VALU_DEP_1)
	v_lshrrev_b32_e32 v6, 16, v6
	v_cndmask_b32_e32 v11, 0x7fc0, v6, vcc_lo
.LBB153_1571:
	s_mov_b32 s6, -1
.LBB153_1572:
	s_mov_b32 s7, 0
.LBB153_1573:
	s_delay_alu instid0(SALU_CYCLE_1)
	s_and_b32 vcc_lo, exec_lo, s7
	s_cbranch_vccz .LBB153_1606
; %bb.1574:
	v_cmp_lt_i16_e32 vcc_lo, 22, v9
	s_cbranch_vccz .LBB153_1584
; %bb.1575:
	v_cmp_gt_i16_e32 vcc_lo, 24, v9
	s_cbranch_vccnz .LBB153_1587
; %bb.1576:
	v_cmp_lt_i16_e32 vcc_lo, 24, v9
	s_cbranch_vccz .LBB153_1588
; %bb.1577:
	global_load_u8 v6, v[4:5], off
	s_mov_b32 s7, exec_lo
                                        ; implicit-def: $sgpr6
	s_waitcnt vmcnt(0)
	v_cmpx_lt_i16_e32 0x7f, v6
	s_xor_b32 s7, exec_lo, s7
	s_cbranch_execz .LBB153_1600
; %bb.1578:
	s_mov_b32 s3, -1
	s_mov_b32 s10, exec_lo
                                        ; implicit-def: $sgpr6
	v_cmpx_eq_u16_e32 0x80, v6
; %bb.1579:
	s_mov_b32 s6, 0x7f800001
	s_xor_b32 s3, exec_lo, -1
; %bb.1580:
	s_or_b32 exec_lo, exec_lo, s10
	s_delay_alu instid0(SALU_CYCLE_1)
	s_and_b32 s3, s3, exec_lo
	s_or_saveexec_b32 s7, s7
	v_mov_b32_e32 v11, s6
	s_xor_b32 exec_lo, exec_lo, s7
	s_cbranch_execnz .LBB153_1601
.LBB153_1581:
	s_or_b32 exec_lo, exec_lo, s7
	s_and_saveexec_b32 s6, s3
	s_cbranch_execz .LBB153_1583
.LBB153_1582:
	v_and_b32_e32 v11, 0xffff, v6
	v_lshlrev_b32_e32 v6, 24, v6
	s_delay_alu instid0(VALU_DEP_2) | instskip(NEXT) | instid1(VALU_DEP_2)
	v_and_b32_e32 v12, 3, v11
	v_and_b32_e32 v6, 0x80000000, v6
	s_delay_alu instid0(VALU_DEP_2) | instskip(NEXT) | instid1(VALU_DEP_1)
	v_clz_i32_u32_e32 v13, v12
	v_min_u32_e32 v13, 32, v13
	s_delay_alu instid0(VALU_DEP_1) | instskip(SKIP_1) | instid1(VALU_DEP_2)
	v_subrev_nc_u32_e32 v14, 29, v13
	v_sub_nc_u32_e32 v13, 30, v13
	v_lshlrev_b32_e32 v14, v14, v11
	v_bfe_u32 v11, v11, 2, 5
	s_delay_alu instid0(VALU_DEP_2) | instskip(NEXT) | instid1(VALU_DEP_2)
	v_and_b32_e32 v14, 3, v14
	v_cmp_eq_u32_e32 vcc_lo, 0, v11
	s_delay_alu instid0(VALU_DEP_2) | instskip(NEXT) | instid1(VALU_DEP_1)
	v_dual_cndmask_b32 v11, v11, v13 :: v_dual_cndmask_b32 v12, v12, v14
	v_lshl_add_u32 v11, v11, 23, 0x37800000
	s_delay_alu instid0(VALU_DEP_2) | instskip(NEXT) | instid1(VALU_DEP_1)
	v_lshlrev_b32_e32 v12, 21, v12
	v_or3_b32 v11, v6, v11, v12
.LBB153_1583:
	s_or_b32 exec_lo, exec_lo, s6
	s_delay_alu instid0(VALU_DEP_1) | instskip(SKIP_2) | instid1(VALU_DEP_2)
	v_bfe_u32 v6, v11, 16, 1
	v_cmp_o_f32_e32 vcc_lo, v11, v11
	s_mov_b32 s3, 0
	v_add3_u32 v6, v11, v6, 0x7fff
	s_delay_alu instid0(VALU_DEP_1) | instskip(NEXT) | instid1(VALU_DEP_1)
	v_lshrrev_b32_e32 v6, 16, v6
	v_cndmask_b32_e32 v11, 0x7fc0, v6, vcc_lo
	s_branch .LBB153_1589
.LBB153_1584:
	s_mov_b32 s3, -1
                                        ; implicit-def: $vgpr11
	s_branch .LBB153_1595
.LBB153_1585:
	s_or_saveexec_b32 s10, s10
	v_mov_b32_e32 v11, s7
	s_xor_b32 exec_lo, exec_lo, s10
	s_cbranch_execz .LBB153_1568
.LBB153_1586:
	v_cmp_ne_u16_e32 vcc_lo, 0, v6
	v_mov_b32_e32 v11, 0
	s_and_not1_b32 s6, s6, exec_lo
	s_and_b32 s7, vcc_lo, exec_lo
	s_delay_alu instid0(SALU_CYCLE_1)
	s_or_b32 s6, s6, s7
	s_or_b32 exec_lo, exec_lo, s10
	s_and_saveexec_b32 s7, s6
	s_cbranch_execnz .LBB153_1569
	s_branch .LBB153_1570
.LBB153_1587:
	s_mov_b32 s3, -1
                                        ; implicit-def: $vgpr11
	s_branch .LBB153_1592
.LBB153_1588:
	s_mov_b32 s3, -1
                                        ; implicit-def: $vgpr11
.LBB153_1589:
	s_delay_alu instid0(SALU_CYCLE_1)
	s_and_b32 vcc_lo, exec_lo, s3
	s_cbranch_vccz .LBB153_1591
; %bb.1590:
	global_load_u8 v6, v[4:5], off
	s_waitcnt vmcnt(0)
	v_lshlrev_b32_e32 v6, 24, v6
	s_delay_alu instid0(VALU_DEP_1) | instskip(NEXT) | instid1(VALU_DEP_1)
	v_and_b32_e32 v11, 0x7f000000, v6
	v_clz_i32_u32_e32 v12, v11
	v_add_nc_u32_e32 v14, 0x1000000, v11
	v_cmp_ne_u32_e32 vcc_lo, 0, v11
	s_delay_alu instid0(VALU_DEP_3) | instskip(NEXT) | instid1(VALU_DEP_1)
	v_min_u32_e32 v12, 32, v12
	v_sub_nc_u32_e64 v12, v12, 4 clamp
	s_delay_alu instid0(VALU_DEP_1) | instskip(SKIP_1) | instid1(VALU_DEP_2)
	v_lshlrev_b32_e32 v13, v12, v11
	v_lshlrev_b32_e32 v12, 23, v12
	v_lshrrev_b32_e32 v13, 4, v13
	s_delay_alu instid0(VALU_DEP_1) | instskip(SKIP_1) | instid1(VALU_DEP_2)
	v_sub_nc_u32_e32 v12, v13, v12
	v_ashrrev_i32_e32 v13, 8, v14
	v_add_nc_u32_e32 v12, 0x3c000000, v12
	s_delay_alu instid0(VALU_DEP_1) | instskip(NEXT) | instid1(VALU_DEP_1)
	v_and_or_b32 v12, 0x7f800000, v13, v12
	v_cndmask_b32_e32 v11, 0, v12, vcc_lo
	s_delay_alu instid0(VALU_DEP_1) | instskip(SKIP_1) | instid1(VALU_DEP_2)
	v_and_or_b32 v6, 0x80000000, v6, v11
	v_bfe_u32 v11, v11, 16, 1
	v_cmp_o_f32_e32 vcc_lo, v6, v6
	s_delay_alu instid0(VALU_DEP_2) | instskip(NEXT) | instid1(VALU_DEP_1)
	v_add3_u32 v11, v6, v11, 0x7fff
	v_lshrrev_b32_e32 v11, 16, v11
	s_delay_alu instid0(VALU_DEP_1)
	v_cndmask_b32_e32 v11, 0x7fc0, v11, vcc_lo
.LBB153_1591:
	s_mov_b32 s3, 0
.LBB153_1592:
	s_delay_alu instid0(SALU_CYCLE_1)
	s_and_not1_b32 vcc_lo, exec_lo, s3
	s_cbranch_vccnz .LBB153_1594
; %bb.1593:
	global_load_u8 v6, v[4:5], off
	s_waitcnt vmcnt(0)
	v_lshlrev_b32_e32 v11, 25, v6
	v_lshlrev_b16 v6, 8, v6
	s_delay_alu instid0(VALU_DEP_2) | instskip(NEXT) | instid1(VALU_DEP_2)
	v_lshrrev_b32_e32 v12, 4, v11
	v_and_or_b32 v13, 0x7f00, v6, 0.5
	v_bfe_i32 v6, v6, 0, 16
	s_delay_alu instid0(VALU_DEP_3) | instskip(NEXT) | instid1(VALU_DEP_1)
	v_or_b32_e32 v12, 0x70000000, v12
	v_dual_add_f32 v13, -0.5, v13 :: v_dual_mul_f32 v12, 0x7800000, v12
	v_cmp_gt_u32_e32 vcc_lo, 0x8000000, v11
	s_delay_alu instid0(VALU_DEP_2) | instskip(NEXT) | instid1(VALU_DEP_1)
	v_cndmask_b32_e32 v11, v12, v13, vcc_lo
	v_and_or_b32 v6, 0x80000000, v6, v11
	v_bfe_u32 v11, v11, 16, 1
	s_delay_alu instid0(VALU_DEP_2) | instskip(NEXT) | instid1(VALU_DEP_2)
	v_cmp_o_f32_e32 vcc_lo, v6, v6
	v_add3_u32 v11, v6, v11, 0x7fff
	s_delay_alu instid0(VALU_DEP_1) | instskip(NEXT) | instid1(VALU_DEP_1)
	v_lshrrev_b32_e32 v11, 16, v11
	v_cndmask_b32_e32 v11, 0x7fc0, v11, vcc_lo
.LBB153_1594:
	s_mov_b32 s3, 0
	s_mov_b32 s6, -1
.LBB153_1595:
	s_and_not1_b32 vcc_lo, exec_lo, s3
	s_mov_b32 s3, 0
	s_cbranch_vccnz .LBB153_1606
; %bb.1596:
	v_cmp_lt_i16_e32 vcc_lo, 14, v9
	s_cbranch_vccz .LBB153_1599
; %bb.1597:
	v_cmp_eq_u16_e32 vcc_lo, 15, v9
	s_cbranch_vccz .LBB153_1602
; %bb.1598:
	global_load_u16 v11, v[4:5], off
	s_mov_b32 s2, 0
	s_mov_b32 s6, -1
	s_branch .LBB153_1604
.LBB153_1599:
	s_mov_b32 s3, -1
	s_branch .LBB153_1603
.LBB153_1600:
	s_or_saveexec_b32 s7, s7
	v_mov_b32_e32 v11, s6
	s_xor_b32 exec_lo, exec_lo, s7
	s_cbranch_execz .LBB153_1581
.LBB153_1601:
	v_cmp_ne_u16_e32 vcc_lo, 0, v6
	v_mov_b32_e32 v11, 0
	s_and_not1_b32 s3, s3, exec_lo
	s_and_b32 s6, vcc_lo, exec_lo
	s_delay_alu instid0(SALU_CYCLE_1)
	s_or_b32 s3, s3, s6
	s_or_b32 exec_lo, exec_lo, s7
	s_and_saveexec_b32 s6, s3
	s_cbranch_execnz .LBB153_1582
	s_branch .LBB153_1583
.LBB153_1602:
	s_mov_b32 s2, -1
.LBB153_1603:
                                        ; implicit-def: $vgpr11
.LBB153_1604:
	s_and_b32 vcc_lo, exec_lo, s3
	s_mov_b32 s3, 0
	s_cbranch_vccz .LBB153_1606
; %bb.1605:
	v_cmp_ne_u16_e64 s2, 11, v9
	s_mov_b32 s3, -1
                                        ; implicit-def: $vgpr11
.LBB153_1606:
	s_delay_alu instid0(VALU_DEP_1)
	s_and_b32 vcc_lo, exec_lo, s2
	s_cbranch_vccnz .LBB153_2135
; %bb.1607:
	s_and_not1_b32 vcc_lo, exec_lo, s3
	s_cbranch_vccnz .LBB153_1609
.LBB153_1608:
	global_load_u8 v6, v[4:5], off
	s_mov_b32 s6, -1
	s_waitcnt vmcnt(0)
	v_cmp_ne_u16_e32 vcc_lo, 0, v6
	v_cndmask_b32_e64 v6, 0, 1.0, vcc_lo
	s_delay_alu instid0(VALU_DEP_1)
	v_lshrrev_b32_e32 v11, 16, v6
.LBB153_1609:
	s_mov_b32 s2, 0
.LBB153_1610:
	s_delay_alu instid0(SALU_CYCLE_1)
	s_and_b32 vcc_lo, exec_lo, s2
	s_cbranch_vccz .LBB153_1659
; %bb.1611:
	v_cmp_gt_i16_e32 vcc_lo, 5, v9
	s_cbranch_vccnz .LBB153_1616
; %bb.1612:
	v_cmp_gt_i16_e32 vcc_lo, 8, v9
	s_cbranch_vccnz .LBB153_1617
; %bb.1613:
	v_cmp_gt_i16_e32 vcc_lo, 9, v9
	s_cbranch_vccnz .LBB153_1618
; %bb.1614:
	v_cmp_lt_i16_e32 vcc_lo, 9, v9
	s_cbranch_vccz .LBB153_1619
; %bb.1615:
	global_load_b64 v[11:12], v[4:5], off
	s_mov_b32 s2, 0
	s_waitcnt vmcnt(0)
	v_cvt_f32_f64_e32 v6, v[11:12]
	s_delay_alu instid0(VALU_DEP_1) | instskip(SKIP_1) | instid1(VALU_DEP_2)
	v_bfe_u32 v11, v6, 16, 1
	v_cmp_o_f32_e32 vcc_lo, v6, v6
	v_add3_u32 v11, v6, v11, 0x7fff
	s_delay_alu instid0(VALU_DEP_1) | instskip(NEXT) | instid1(VALU_DEP_1)
	v_lshrrev_b32_e32 v11, 16, v11
	v_cndmask_b32_e32 v11, 0x7fc0, v11, vcc_lo
	s_branch .LBB153_1620
.LBB153_1616:
	s_mov_b32 s2, -1
                                        ; implicit-def: $vgpr11
	s_branch .LBB153_1638
.LBB153_1617:
	s_mov_b32 s2, -1
                                        ; implicit-def: $vgpr11
	s_branch .LBB153_1626
.LBB153_1618:
	s_mov_b32 s2, -1
                                        ; implicit-def: $vgpr11
	s_branch .LBB153_1623
.LBB153_1619:
	s_mov_b32 s2, -1
                                        ; implicit-def: $vgpr11
.LBB153_1620:
	s_delay_alu instid0(SALU_CYCLE_1)
	s_and_not1_b32 vcc_lo, exec_lo, s2
	s_cbranch_vccnz .LBB153_1622
; %bb.1621:
	global_load_b32 v6, v[4:5], off
	s_waitcnt vmcnt(0)
	v_bfe_u32 v11, v6, 16, 1
	v_cmp_o_f32_e32 vcc_lo, v6, v6
	s_delay_alu instid0(VALU_DEP_2) | instskip(NEXT) | instid1(VALU_DEP_1)
	v_add3_u32 v11, v6, v11, 0x7fff
	v_lshrrev_b32_e32 v11, 16, v11
	s_delay_alu instid0(VALU_DEP_1)
	v_cndmask_b32_e32 v11, 0x7fc0, v11, vcc_lo
.LBB153_1622:
	s_mov_b32 s2, 0
.LBB153_1623:
	s_delay_alu instid0(SALU_CYCLE_1)
	s_and_not1_b32 vcc_lo, exec_lo, s2
	s_cbranch_vccnz .LBB153_1625
; %bb.1624:
	global_load_b32 v6, v[4:5], off
	s_waitcnt vmcnt(0)
	v_cvt_f32_f16_e32 v11, v6
	v_cmp_o_f16_e32 vcc_lo, v6, v6
	s_delay_alu instid0(VALU_DEP_2) | instskip(NEXT) | instid1(VALU_DEP_1)
	v_bfe_u32 v12, v11, 16, 1
	v_add3_u32 v11, v11, v12, 0x7fff
	s_delay_alu instid0(VALU_DEP_1) | instskip(NEXT) | instid1(VALU_DEP_1)
	v_lshrrev_b32_e32 v11, 16, v11
	v_cndmask_b32_e32 v11, 0x7fc0, v11, vcc_lo
.LBB153_1625:
	s_mov_b32 s2, 0
.LBB153_1626:
	s_delay_alu instid0(SALU_CYCLE_1)
	s_and_not1_b32 vcc_lo, exec_lo, s2
	s_cbranch_vccnz .LBB153_1637
; %bb.1627:
	v_cmp_gt_i16_e32 vcc_lo, 6, v9
	s_cbranch_vccnz .LBB153_1630
; %bb.1628:
	v_cmp_lt_i16_e32 vcc_lo, 6, v9
	s_cbranch_vccz .LBB153_1631
; %bb.1629:
	global_load_b64 v[11:12], v[4:5], off
	s_mov_b32 s2, 0
	s_waitcnt vmcnt(0)
	v_cvt_f32_f64_e32 v6, v[11:12]
	s_delay_alu instid0(VALU_DEP_1) | instskip(SKIP_1) | instid1(VALU_DEP_2)
	v_bfe_u32 v11, v6, 16, 1
	v_cmp_o_f32_e32 vcc_lo, v6, v6
	v_add3_u32 v11, v6, v11, 0x7fff
	s_delay_alu instid0(VALU_DEP_1) | instskip(NEXT) | instid1(VALU_DEP_1)
	v_lshrrev_b32_e32 v11, 16, v11
	v_cndmask_b32_e32 v11, 0x7fc0, v11, vcc_lo
	s_branch .LBB153_1632
.LBB153_1630:
	s_mov_b32 s2, -1
                                        ; implicit-def: $vgpr11
	s_branch .LBB153_1635
.LBB153_1631:
	s_mov_b32 s2, -1
                                        ; implicit-def: $vgpr11
.LBB153_1632:
	s_delay_alu instid0(SALU_CYCLE_1)
	s_and_not1_b32 vcc_lo, exec_lo, s2
	s_cbranch_vccnz .LBB153_1634
; %bb.1633:
	global_load_b32 v6, v[4:5], off
	s_waitcnt vmcnt(0)
	v_bfe_u32 v11, v6, 16, 1
	v_cmp_o_f32_e32 vcc_lo, v6, v6
	s_delay_alu instid0(VALU_DEP_2) | instskip(NEXT) | instid1(VALU_DEP_1)
	v_add3_u32 v11, v6, v11, 0x7fff
	v_lshrrev_b32_e32 v11, 16, v11
	s_delay_alu instid0(VALU_DEP_1)
	v_cndmask_b32_e32 v11, 0x7fc0, v11, vcc_lo
.LBB153_1634:
	s_mov_b32 s2, 0
.LBB153_1635:
	s_delay_alu instid0(SALU_CYCLE_1)
	s_and_not1_b32 vcc_lo, exec_lo, s2
	s_cbranch_vccnz .LBB153_1637
; %bb.1636:
	global_load_u16 v6, v[4:5], off
	s_waitcnt vmcnt(0)
	v_cvt_f32_f16_e32 v11, v6
	v_cmp_o_f16_e32 vcc_lo, v6, v6
	s_delay_alu instid0(VALU_DEP_2) | instskip(NEXT) | instid1(VALU_DEP_1)
	v_bfe_u32 v12, v11, 16, 1
	v_add3_u32 v11, v11, v12, 0x7fff
	s_delay_alu instid0(VALU_DEP_1) | instskip(NEXT) | instid1(VALU_DEP_1)
	v_lshrrev_b32_e32 v11, 16, v11
	v_cndmask_b32_e32 v11, 0x7fc0, v11, vcc_lo
.LBB153_1637:
	s_mov_b32 s2, 0
.LBB153_1638:
	s_delay_alu instid0(SALU_CYCLE_1)
	s_and_not1_b32 vcc_lo, exec_lo, s2
	s_cbranch_vccnz .LBB153_1658
; %bb.1639:
	v_cmp_gt_i16_e32 vcc_lo, 2, v9
	s_cbranch_vccnz .LBB153_1643
; %bb.1640:
	v_cmp_gt_i16_e32 vcc_lo, 3, v9
	s_cbranch_vccnz .LBB153_1644
; %bb.1641:
	v_cmp_lt_i16_e32 vcc_lo, 3, v9
	s_cbranch_vccz .LBB153_1645
; %bb.1642:
	global_load_b64 v[11:12], v[4:5], off
	s_mov_b32 s2, 0
	s_waitcnt vmcnt(0)
	v_xor_b32_e32 v6, v11, v12
	v_cls_i32_e32 v13, v12
	s_delay_alu instid0(VALU_DEP_2) | instskip(NEXT) | instid1(VALU_DEP_2)
	v_ashrrev_i32_e32 v6, 31, v6
	v_add_nc_u32_e32 v13, -1, v13
	s_delay_alu instid0(VALU_DEP_2) | instskip(NEXT) | instid1(VALU_DEP_1)
	v_add_nc_u32_e32 v6, 32, v6
	v_min_u32_e32 v6, v13, v6
	s_delay_alu instid0(VALU_DEP_1) | instskip(SKIP_1) | instid1(VALU_DEP_2)
	v_lshlrev_b64 v[11:12], v6, v[11:12]
	v_sub_nc_u32_e32 v6, 32, v6
	v_min_u32_e32 v11, 1, v11
	s_delay_alu instid0(VALU_DEP_1) | instskip(NEXT) | instid1(VALU_DEP_1)
	v_or_b32_e32 v11, v12, v11
	v_cvt_f32_i32_e32 v11, v11
	s_delay_alu instid0(VALU_DEP_1) | instskip(NEXT) | instid1(VALU_DEP_1)
	v_ldexp_f32 v6, v11, v6
	v_bfe_u32 v11, v6, 16, 1
	s_delay_alu instid0(VALU_DEP_1) | instskip(NEXT) | instid1(VALU_DEP_1)
	v_add3_u32 v6, v6, v11, 0x7fff
	v_lshrrev_b32_e32 v11, 16, v6
	s_branch .LBB153_1646
.LBB153_1643:
	s_mov_b32 s2, -1
                                        ; implicit-def: $vgpr11
	s_branch .LBB153_1652
.LBB153_1644:
	s_mov_b32 s2, -1
                                        ; implicit-def: $vgpr11
	s_branch .LBB153_1649
.LBB153_1645:
	s_mov_b32 s2, -1
                                        ; implicit-def: $vgpr11
.LBB153_1646:
	s_delay_alu instid0(SALU_CYCLE_1)
	s_and_not1_b32 vcc_lo, exec_lo, s2
	s_cbranch_vccnz .LBB153_1648
; %bb.1647:
	global_load_b32 v6, v[4:5], off
	s_waitcnt vmcnt(0)
	v_cvt_f32_i32_e32 v6, v6
	s_delay_alu instid0(VALU_DEP_1) | instskip(NEXT) | instid1(VALU_DEP_1)
	v_bfe_u32 v11, v6, 16, 1
	v_add3_u32 v6, v6, v11, 0x7fff
	s_delay_alu instid0(VALU_DEP_1)
	v_lshrrev_b32_e32 v11, 16, v6
.LBB153_1648:
	s_mov_b32 s2, 0
.LBB153_1649:
	s_delay_alu instid0(SALU_CYCLE_1)
	s_and_not1_b32 vcc_lo, exec_lo, s2
	s_cbranch_vccnz .LBB153_1651
; %bb.1650:
	global_load_i16 v6, v[4:5], off
	s_waitcnt vmcnt(0)
	v_cvt_f32_i32_e32 v6, v6
	s_delay_alu instid0(VALU_DEP_1) | instskip(NEXT) | instid1(VALU_DEP_1)
	v_bfe_u32 v11, v6, 16, 1
	v_add3_u32 v6, v6, v11, 0x7fff
	s_delay_alu instid0(VALU_DEP_1)
	v_lshrrev_b32_e32 v11, 16, v6
.LBB153_1651:
	s_mov_b32 s2, 0
.LBB153_1652:
	s_delay_alu instid0(SALU_CYCLE_1)
	s_and_not1_b32 vcc_lo, exec_lo, s2
	s_cbranch_vccnz .LBB153_1658
; %bb.1653:
	v_cmp_lt_i16_e32 vcc_lo, 0, v9
	s_mov_b32 s2, 0
	s_cbranch_vccz .LBB153_1655
; %bb.1654:
	global_load_i8 v6, v[4:5], off
	s_waitcnt vmcnt(0)
	v_cvt_f32_i32_e32 v6, v6
	s_delay_alu instid0(VALU_DEP_1) | instskip(NEXT) | instid1(VALU_DEP_1)
	v_bfe_u32 v9, v6, 16, 1
	v_add3_u32 v6, v6, v9, 0x7fff
	s_delay_alu instid0(VALU_DEP_1)
	v_lshrrev_b32_e32 v11, 16, v6
	s_branch .LBB153_1656
.LBB153_1655:
	s_mov_b32 s2, -1
                                        ; implicit-def: $vgpr11
.LBB153_1656:
	s_delay_alu instid0(SALU_CYCLE_1)
	s_and_not1_b32 vcc_lo, exec_lo, s2
	s_cbranch_vccnz .LBB153_1658
; %bb.1657:
	global_load_u8 v4, v[4:5], off
	s_waitcnt vmcnt(0)
	v_cvt_f32_ubyte0_e32 v4, v4
	s_delay_alu instid0(VALU_DEP_1) | instskip(NEXT) | instid1(VALU_DEP_1)
	v_bfe_u32 v5, v4, 16, 1
	v_add3_u32 v4, v4, v5, 0x7fff
	s_delay_alu instid0(VALU_DEP_1)
	v_lshrrev_b32_e32 v11, 16, v4
.LBB153_1658:
	s_mov_b32 s6, -1
.LBB153_1659:
	s_delay_alu instid0(SALU_CYCLE_1)
	s_and_not1_b32 vcc_lo, exec_lo, s6
	s_cbranch_vccnz .LBB153_2090
; %bb.1660:
	v_lshlrev_b32_e32 v4, 16, v10
	s_mov_b32 s2, 0x395133b1
	s_lshr_b32 s0, s0, 8
	s_mov_b32 s3, 0
	s_delay_alu instid0(VALU_DEP_1) | instskip(NEXT) | instid1(VALU_DEP_1)
	v_mul_f32_e32 v5, 0x3fb8aa3b, v4
	v_rndne_f32_e32 v5, v5
	s_delay_alu instid0(VALU_DEP_1) | instskip(SKIP_2) | instid1(VALU_DEP_3)
	v_fmamk_f32 v6, v5, 0xbf317218, v4
	v_cvt_i32_f32_e32 v10, v5
	v_cmp_eq_f32_e32 vcc_lo, 0x43000000, v5
	v_fmamk_f32 v6, v5, 0x3102e308, v6
	s_delay_alu instid0(VALU_DEP_3) | instskip(NEXT) | instid1(VALU_DEP_1)
	v_cndmask_b32_e64 v5, v10, 0x7f, vcc_lo
	v_ldexp_f32 v5, 1.0, v5
	s_delay_alu instid0(VALU_DEP_1) | instskip(NEXT) | instid1(VALU_DEP_1)
	v_dual_fmaak_f32 v9, s2, v6, 0x3ab69700 :: v_dual_add_f32 v10, -1.0, v5
	v_fmaak_f32 v9, v6, v9, 0x3c0887f9
	s_delay_alu instid0(VALU_DEP_1) | instskip(NEXT) | instid1(VALU_DEP_1)
	v_fmaak_f32 v9, v6, v9, 0x3d2aaa81
	v_fmaak_f32 v9, v6, v9, 0x3e2aaaab
	s_delay_alu instid0(VALU_DEP_1) | instskip(NEXT) | instid1(VALU_DEP_1)
	v_fma_f32 v9, v6, v9, 0.5
	v_mul_f32_e32 v9, v6, v9
	s_delay_alu instid0(VALU_DEP_1) | instskip(NEXT) | instid1(VALU_DEP_1)
	v_fmac_f32_e32 v6, v6, v9
	v_fmac_f32_e32 v10, v5, v6
	v_and_b32_e64 v6, 0xff, s0
	v_add_co_u32 v3, s0, s4, v3
	s_delay_alu instid0(VALU_DEP_3) | instskip(NEXT) | instid1(VALU_DEP_1)
	v_add_f32_e32 v5, v10, v10
	v_cndmask_b32_e32 v5, v10, v5, vcc_lo
	v_cmp_nlt_f32_e32 vcc_lo, 0x42b17217, v4
	s_delay_alu instid0(VALU_DEP_2) | instskip(SKIP_1) | instid1(VALU_DEP_2)
	v_cndmask_b32_e32 v5, 0x7f800000, v5, vcc_lo
	v_cmp_ngt_f32_e32 vcc_lo, 0xc1880000, v4
	v_cndmask_b32_e32 v5, -1.0, v5, vcc_lo
	v_cmp_gt_i16_e32 vcc_lo, 11, v6
	s_delay_alu instid0(VALU_DEP_2) | instskip(SKIP_1) | instid1(VALU_DEP_1)
	v_bfe_u32 v4, v5, 16, 1
	s_and_b32 vcc_lo, exec_lo, vcc_lo
	v_add3_u32 v4, v5, v4, 0x7fff
	s_delay_alu instid0(VALU_DEP_1) | instskip(SKIP_2) | instid1(VALU_DEP_1)
	v_lshrrev_b32_e32 v9, 16, v4
	v_add_co_ci_u32_e64 v4, null, s5, 0, s0
	v_cmp_o_f32_e64 s0, v5, v5
	v_cndmask_b32_e64 v5, 0x7fc0, v9, s0
	s_mov_b32 s0, -1
	s_cbranch_vccnz .LBB153_1738
; %bb.1661:
	v_cmp_lt_i16_e32 vcc_lo, 25, v6
	s_mov_b32 s6, -1
	s_mov_b32 s2, 0
	s_mov_b32 s0, 0
	s_cbranch_vccz .LBB153_1694
; %bb.1662:
	v_cmp_lt_i16_e32 vcc_lo, 28, v6
	s_cbranch_vccz .LBB153_1677
; %bb.1663:
	v_cmp_lt_i16_e32 vcc_lo, 43, v6
	;; [unrolled: 3-line block ×3, first 2 shown]
	s_cbranch_vccz .LBB153_1667
; %bb.1665:
	v_cmp_eq_u16_e32 vcc_lo, 46, v6
	s_mov_b32 s0, -1
	s_mov_b32 s6, 0
	s_cbranch_vccz .LBB153_1667
; %bb.1666:
	v_and_b32_e32 v9, 0xffff, v5
	s_mov_b32 s0, 0
	s_mov_b32 s3, -1
	global_store_b32 v[3:4], v9, off
.LBB153_1667:
	s_and_b32 vcc_lo, exec_lo, s6
	s_cbranch_vccz .LBB153_1672
; %bb.1668:
	v_cmp_eq_u16_e32 vcc_lo, 44, v6
	s_mov_b32 s0, -1
	s_cbranch_vccz .LBB153_1672
; %bb.1669:
	v_and_b32_e32 v9, 0xffff, v5
	v_mov_b32_e32 v10, 0xff
	s_mov_b32 s3, exec_lo
	s_delay_alu instid0(VALU_DEP_2) | instskip(NEXT) | instid1(VALU_DEP_1)
	v_bfe_u32 v12, v9, 7, 8
	v_cmpx_ne_u32_e32 0xff, v12
; %bb.1670:
	v_lshlrev_b32_e32 v10, 16, v9
	v_and_b32_e32 v13, 64, v9
	v_lshrrev_b32_e32 v9, 7, v9
	s_delay_alu instid0(VALU_DEP_3) | instskip(NEXT) | instid1(VALU_DEP_3)
	v_and_or_b32 v10, 0x3f0000, v10, v12
	v_cmp_ne_u32_e32 vcc_lo, 0, v13
	s_delay_alu instid0(VALU_DEP_2) | instskip(NEXT) | instid1(VALU_DEP_1)
	v_cmp_ne_u32_e64 s0, 0, v10
	s_and_b32 s0, vcc_lo, s0
	s_delay_alu instid0(SALU_CYCLE_1) | instskip(NEXT) | instid1(VALU_DEP_1)
	v_cndmask_b32_e64 v10, 0, 1, s0
	v_add_nc_u32_e32 v10, v9, v10
; %bb.1671:
	s_or_b32 exec_lo, exec_lo, s3
	s_mov_b32 s0, 0
	s_mov_b32 s3, -1
	global_store_b8 v[3:4], v10, off
.LBB153_1672:
	s_mov_b32 s6, 0
.LBB153_1673:
	s_delay_alu instid0(SALU_CYCLE_1)
	s_and_b32 vcc_lo, exec_lo, s6
	s_cbranch_vccz .LBB153_1676
; %bb.1674:
	v_cmp_eq_u16_e32 vcc_lo, 29, v6
	s_mov_b32 s0, -1
	s_cbranch_vccz .LBB153_1676
; %bb.1675:
	v_lshlrev_b32_e32 v9, 16, v5
	s_mov_b32 s0, 0
	s_mov_b32 s3, -1
	s_delay_alu instid0(VALU_DEP_1) | instskip(NEXT) | instid1(VALU_DEP_1)
	v_trunc_f32_e32 v9, v9
	v_mul_f32_e32 v10, 0x2f800000, v9
	s_delay_alu instid0(VALU_DEP_1) | instskip(NEXT) | instid1(VALU_DEP_1)
	v_floor_f32_e32 v10, v10
	v_fmamk_f32 v9, v10, 0xcf800000, v9
	v_cvt_u32_f32_e32 v10, v10
	s_delay_alu instid0(VALU_DEP_2)
	v_cvt_u32_f32_e32 v9, v9
	global_store_b64 v[3:4], v[9:10], off
.LBB153_1676:
	s_mov_b32 s6, 0
.LBB153_1677:
	s_delay_alu instid0(SALU_CYCLE_1)
	s_and_b32 vcc_lo, exec_lo, s6
	s_cbranch_vccz .LBB153_1693
; %bb.1678:
	v_cmp_gt_i16_e32 vcc_lo, 27, v6
	s_mov_b32 s3, -1
	s_cbranch_vccnz .LBB153_1684
; %bb.1679:
	v_cmp_lt_i16_e32 vcc_lo, 27, v6
	s_cbranch_vccz .LBB153_1681
; %bb.1680:
	v_lshlrev_b32_e32 v9, 16, v5
	s_mov_b32 s3, 0
	s_delay_alu instid0(VALU_DEP_1)
	v_cvt_u32_f32_e32 v9, v9
	global_store_b32 v[3:4], v9, off
.LBB153_1681:
	s_and_not1_b32 vcc_lo, exec_lo, s3
	s_cbranch_vccnz .LBB153_1683
; %bb.1682:
	v_lshlrev_b32_e32 v9, 16, v5
	s_delay_alu instid0(VALU_DEP_1)
	v_cvt_u32_f32_e32 v9, v9
	global_store_b16 v[3:4], v9, off
.LBB153_1683:
	s_mov_b32 s3, 0
.LBB153_1684:
	s_delay_alu instid0(SALU_CYCLE_1)
	s_and_not1_b32 vcc_lo, exec_lo, s3
	s_cbranch_vccnz .LBB153_1692
; %bb.1685:
	v_dual_mov_b32 v13, 0x80 :: v_dual_lshlrev_b32 v12, 16, v5
	s_mov_b32 s3, exec_lo
	s_delay_alu instid0(VALU_DEP_1) | instskip(NEXT) | instid1(VALU_DEP_1)
	v_and_b32_e32 v10, 0x7fffffff, v12
	v_cmpx_gt_u32_e32 0x43800000, v10
	s_cbranch_execz .LBB153_1691
; %bb.1686:
	v_and_b32_e32 v9, 0xffff, v5
	v_cmp_lt_u32_e32 vcc_lo, 0x3bffffff, v10
	s_mov_b32 s6, 0
                                        ; implicit-def: $vgpr10
	s_and_saveexec_b32 s7, vcc_lo
	s_delay_alu instid0(SALU_CYCLE_1)
	s_xor_b32 s7, exec_lo, s7
	s_cbranch_execz .LBB153_2137
; %bb.1687:
	v_bfe_u32 v10, v9, 4, 1
	s_mov_b32 s6, exec_lo
	s_delay_alu instid0(VALU_DEP_1) | instskip(NEXT) | instid1(VALU_DEP_1)
	v_add3_u32 v10, v12, v10, 0x487ffff
                                        ; implicit-def: $vgpr12
	v_lshrrev_b32_e32 v10, 20, v10
	s_or_saveexec_b32 s7, s7
                                        ; implicit-def: $sgpr10
	s_delay_alu instid0(SALU_CYCLE_1)
	s_xor_b32 exec_lo, exec_lo, s7
	s_cbranch_execnz .LBB153_2138
.LBB153_1688:
	s_or_b32 exec_lo, exec_lo, s7
	v_mov_b32_e32 v13, s10
	s_and_saveexec_b32 s7, s6
.LBB153_1689:
	v_lshrrev_b32_e32 v9, 8, v9
	s_delay_alu instid0(VALU_DEP_1)
	v_and_or_b32 v13, 0x80, v9, v10
.LBB153_1690:
	s_or_b32 exec_lo, exec_lo, s7
.LBB153_1691:
	s_delay_alu instid0(SALU_CYCLE_1)
	s_or_b32 exec_lo, exec_lo, s3
	global_store_b8 v[3:4], v13, off
.LBB153_1692:
	s_mov_b32 s3, -1
.LBB153_1693:
	s_mov_b32 s6, 0
.LBB153_1694:
	s_delay_alu instid0(SALU_CYCLE_1)
	s_and_b32 vcc_lo, exec_lo, s6
	s_cbranch_vccz .LBB153_1734
; %bb.1695:
	v_cmp_lt_i16_e32 vcc_lo, 22, v6
	s_mov_b32 s2, -1
	s_cbranch_vccz .LBB153_1727
; %bb.1696:
	v_cmp_gt_i16_e32 vcc_lo, 24, v6
	s_cbranch_vccnz .LBB153_1716
; %bb.1697:
	v_cmp_lt_i16_e32 vcc_lo, 24, v6
	s_cbranch_vccz .LBB153_1705
; %bb.1698:
	v_dual_mov_b32 v13, 0x80 :: v_dual_lshlrev_b32 v12, 16, v5
	s_mov_b32 s2, exec_lo
	s_delay_alu instid0(VALU_DEP_1) | instskip(NEXT) | instid1(VALU_DEP_1)
	v_and_b32_e32 v10, 0x7fffffff, v12
	v_cmpx_gt_u32_e32 0x47800000, v10
	s_cbranch_execz .LBB153_1704
; %bb.1699:
	v_and_b32_e32 v9, 0xffff, v5
	v_cmp_lt_u32_e32 vcc_lo, 0x37ffffff, v10
	s_mov_b32 s3, 0
                                        ; implicit-def: $vgpr10
	s_and_saveexec_b32 s6, vcc_lo
	s_delay_alu instid0(SALU_CYCLE_1)
	s_xor_b32 s6, exec_lo, s6
	s_cbranch_execz .LBB153_2143
; %bb.1700:
	v_bfe_u32 v10, v9, 5, 1
	s_mov_b32 s3, exec_lo
	s_delay_alu instid0(VALU_DEP_1) | instskip(NEXT) | instid1(VALU_DEP_1)
	v_add3_u32 v10, v12, v10, 0x88fffff
                                        ; implicit-def: $vgpr12
	v_lshrrev_b32_e32 v10, 21, v10
	s_or_saveexec_b32 s6, s6
                                        ; implicit-def: $sgpr7
	s_delay_alu instid0(SALU_CYCLE_1)
	s_xor_b32 exec_lo, exec_lo, s6
	s_cbranch_execnz .LBB153_2144
.LBB153_1701:
	s_or_b32 exec_lo, exec_lo, s6
	v_mov_b32_e32 v13, s7
	s_and_saveexec_b32 s6, s3
.LBB153_1702:
	v_lshrrev_b32_e32 v9, 8, v9
	s_delay_alu instid0(VALU_DEP_1)
	v_and_or_b32 v13, 0x80, v9, v10
.LBB153_1703:
	s_or_b32 exec_lo, exec_lo, s6
.LBB153_1704:
	s_delay_alu instid0(SALU_CYCLE_1)
	s_or_b32 exec_lo, exec_lo, s2
	s_mov_b32 s2, 0
	global_store_b8 v[3:4], v13, off
.LBB153_1705:
	s_and_b32 vcc_lo, exec_lo, s2
	s_cbranch_vccz .LBB153_1715
; %bb.1706:
	v_lshlrev_b32_e32 v12, 16, v5
	v_and_b32_e32 v9, 0xffff, v5
	s_mov_b32 s2, exec_lo
                                        ; implicit-def: $vgpr10
	s_delay_alu instid0(VALU_DEP_2) | instskip(NEXT) | instid1(VALU_DEP_1)
	v_and_b32_e32 v13, 0x7fffffff, v12
	v_cmpx_gt_u32_e32 0x43f00000, v13
	s_xor_b32 s2, exec_lo, s2
	s_cbranch_execz .LBB153_1712
; %bb.1707:
	s_mov_b32 s3, exec_lo
                                        ; implicit-def: $vgpr10
	v_cmpx_lt_u32_e32 0x3c7fffff, v13
	s_xor_b32 s3, exec_lo, s3
; %bb.1708:
	v_bfe_u32 v10, v9, 4, 1
	s_delay_alu instid0(VALU_DEP_1) | instskip(NEXT) | instid1(VALU_DEP_1)
	v_add3_u32 v10, v12, v10, 0x407ffff
	v_and_b32_e32 v12, 0xff00000, v10
	v_lshrrev_b32_e32 v10, 20, v10
	s_delay_alu instid0(VALU_DEP_2) | instskip(NEXT) | instid1(VALU_DEP_2)
	v_cmp_ne_u32_e32 vcc_lo, 0x7f00000, v12
                                        ; implicit-def: $vgpr12
	v_cndmask_b32_e32 v10, 0x7e, v10, vcc_lo
; %bb.1709:
	s_and_not1_saveexec_b32 s3, s3
; %bb.1710:
	v_add_f32_e64 v10, 0x46800000, |v12|
; %bb.1711:
	s_or_b32 exec_lo, exec_lo, s3
                                        ; implicit-def: $vgpr13
.LBB153_1712:
	s_and_not1_saveexec_b32 s2, s2
; %bb.1713:
	v_mov_b32_e32 v10, 0x7f
	v_cmp_lt_u32_e32 vcc_lo, 0x7f800000, v13
	s_delay_alu instid0(VALU_DEP_2)
	v_cndmask_b32_e32 v10, 0x7e, v10, vcc_lo
; %bb.1714:
	s_or_b32 exec_lo, exec_lo, s2
	v_lshrrev_b32_e32 v9, 8, v9
	s_delay_alu instid0(VALU_DEP_1)
	v_and_or_b32 v9, 0x80, v9, v10
	global_store_b8 v[3:4], v9, off
.LBB153_1715:
	s_mov_b32 s2, 0
.LBB153_1716:
	s_delay_alu instid0(SALU_CYCLE_1)
	s_and_not1_b32 vcc_lo, exec_lo, s2
	s_cbranch_vccnz .LBB153_1726
; %bb.1717:
	v_lshlrev_b32_e32 v12, 16, v5
	v_and_b32_e32 v9, 0xffff, v5
	s_mov_b32 s2, exec_lo
                                        ; implicit-def: $vgpr10
	s_delay_alu instid0(VALU_DEP_2) | instskip(NEXT) | instid1(VALU_DEP_1)
	v_and_b32_e32 v13, 0x7fffffff, v12
	v_cmpx_gt_u32_e32 0x47800000, v13
	s_xor_b32 s2, exec_lo, s2
	s_cbranch_execz .LBB153_1723
; %bb.1718:
	s_mov_b32 s3, exec_lo
                                        ; implicit-def: $vgpr10
	v_cmpx_lt_u32_e32 0x387fffff, v13
	s_xor_b32 s3, exec_lo, s3
; %bb.1719:
	v_bfe_u32 v10, v9, 5, 1
	s_delay_alu instid0(VALU_DEP_1) | instskip(NEXT) | instid1(VALU_DEP_1)
	v_add3_u32 v10, v12, v10, 0x80fffff
                                        ; implicit-def: $vgpr12
	v_lshrrev_b32_e32 v10, 21, v10
; %bb.1720:
	s_and_not1_saveexec_b32 s3, s3
; %bb.1721:
	v_add_f32_e64 v10, 0x43000000, |v12|
; %bb.1722:
	s_or_b32 exec_lo, exec_lo, s3
                                        ; implicit-def: $vgpr13
.LBB153_1723:
	s_and_not1_saveexec_b32 s2, s2
; %bb.1724:
	v_mov_b32_e32 v10, 0x7f
	v_cmp_lt_u32_e32 vcc_lo, 0x7f800000, v13
	s_delay_alu instid0(VALU_DEP_2)
	v_cndmask_b32_e32 v10, 0x7c, v10, vcc_lo
; %bb.1725:
	s_or_b32 exec_lo, exec_lo, s2
	v_lshrrev_b32_e32 v9, 8, v9
	s_delay_alu instid0(VALU_DEP_1)
	v_and_or_b32 v9, 0x80, v9, v10
	global_store_b8 v[3:4], v9, off
.LBB153_1726:
	s_mov_b32 s2, 0
	s_mov_b32 s3, -1
.LBB153_1727:
	s_and_not1_b32 vcc_lo, exec_lo, s2
	s_mov_b32 s2, 0
	s_cbranch_vccnz .LBB153_1734
; %bb.1728:
	v_cmp_lt_i16_e32 vcc_lo, 14, v6
	s_mov_b32 s2, -1
	s_cbranch_vccz .LBB153_1732
; %bb.1729:
	v_cmp_eq_u16_e32 vcc_lo, 15, v6
	s_mov_b32 s0, -1
	s_cbranch_vccz .LBB153_1731
; %bb.1730:
	s_mov_b32 s0, 0
	s_mov_b32 s3, -1
	global_store_b16 v[3:4], v5, off
.LBB153_1731:
	s_mov_b32 s2, 0
.LBB153_1732:
	s_delay_alu instid0(SALU_CYCLE_1)
	s_and_b32 vcc_lo, exec_lo, s2
	s_mov_b32 s2, 0
	s_cbranch_vccz .LBB153_1734
; %bb.1733:
	v_cmp_ne_u16_e64 s0, 11, v6
	s_mov_b32 s2, -1
.LBB153_1734:
	s_delay_alu instid0(VALU_DEP_1)
	s_and_b32 vcc_lo, exec_lo, s0
	s_cbranch_vccnz .LBB153_2141
; %bb.1735:
	s_and_not1_b32 vcc_lo, exec_lo, s2
	s_cbranch_vccnz .LBB153_1737
.LBB153_1736:
	v_and_b32_e32 v9, 0x7fff, v5
	s_mov_b32 s3, -1
	s_delay_alu instid0(VALU_DEP_1)
	v_cmp_ne_u16_e32 vcc_lo, 0, v9
	v_cndmask_b32_e64 v9, 0, 1, vcc_lo
	global_store_b8 v[3:4], v9, off
.LBB153_1737:
	s_mov_b32 s0, 0
.LBB153_1738:
	s_delay_alu instid0(SALU_CYCLE_1)
	s_and_b32 vcc_lo, exec_lo, s0
	s_cbranch_vccz .LBB153_1777
; %bb.1739:
	v_cmp_gt_i16_e32 vcc_lo, 5, v6
	s_mov_b32 s0, -1
	s_cbranch_vccnz .LBB153_1760
; %bb.1740:
	v_cmp_gt_i16_e32 vcc_lo, 8, v6
	s_cbranch_vccnz .LBB153_1750
; %bb.1741:
	v_cmp_gt_i16_e32 vcc_lo, 9, v6
	s_cbranch_vccnz .LBB153_1747
; %bb.1742:
	v_cmp_lt_i16_e32 vcc_lo, 9, v6
	s_cbranch_vccz .LBB153_1744
; %bb.1743:
	v_dual_mov_b32 v14, 0 :: v_dual_lshlrev_b32 v9, 16, v5
	s_mov_b32 s0, 0
	s_delay_alu instid0(VALU_DEP_1) | instskip(NEXT) | instid1(VALU_DEP_2)
	v_cvt_f64_f32_e32 v[12:13], v9
	v_mov_b32_e32 v15, v14
	global_store_b128 v[3:4], v[12:15], off
.LBB153_1744:
	s_and_not1_b32 vcc_lo, exec_lo, s0
	s_cbranch_vccnz .LBB153_1746
; %bb.1745:
	v_dual_mov_b32 v10, 0 :: v_dual_lshlrev_b32 v9, 16, v5
	global_store_b64 v[3:4], v[9:10], off
.LBB153_1746:
	s_mov_b32 s0, 0
.LBB153_1747:
	s_delay_alu instid0(SALU_CYCLE_1)
	s_and_not1_b32 vcc_lo, exec_lo, s0
	s_cbranch_vccnz .LBB153_1749
; %bb.1748:
	v_lshlrev_b32_e32 v9, 16, v5
	s_delay_alu instid0(VALU_DEP_1) | instskip(NEXT) | instid1(VALU_DEP_1)
	v_cvt_f16_f32_e32 v9, v9
	v_and_b32_e32 v9, 0xffff, v9
	global_store_b32 v[3:4], v9, off
.LBB153_1749:
	s_mov_b32 s0, 0
.LBB153_1750:
	s_delay_alu instid0(SALU_CYCLE_1)
	s_and_not1_b32 vcc_lo, exec_lo, s0
	s_cbranch_vccnz .LBB153_1759
; %bb.1751:
	v_cmp_gt_i16_e32 vcc_lo, 6, v6
	s_mov_b32 s0, -1
	s_cbranch_vccnz .LBB153_1757
; %bb.1752:
	v_cmp_lt_i16_e32 vcc_lo, 6, v6
	s_cbranch_vccz .LBB153_1754
; %bb.1753:
	v_lshlrev_b32_e32 v9, 16, v5
	s_mov_b32 s0, 0
	s_delay_alu instid0(VALU_DEP_1)
	v_cvt_f64_f32_e32 v[9:10], v9
	global_store_b64 v[3:4], v[9:10], off
.LBB153_1754:
	s_and_not1_b32 vcc_lo, exec_lo, s0
	s_cbranch_vccnz .LBB153_1756
; %bb.1755:
	v_lshlrev_b32_e32 v9, 16, v5
	global_store_b32 v[3:4], v9, off
.LBB153_1756:
	s_mov_b32 s0, 0
.LBB153_1757:
	s_delay_alu instid0(SALU_CYCLE_1)
	s_and_not1_b32 vcc_lo, exec_lo, s0
	s_cbranch_vccnz .LBB153_1759
; %bb.1758:
	v_lshlrev_b32_e32 v9, 16, v5
	s_delay_alu instid0(VALU_DEP_1)
	v_cvt_f16_f32_e32 v9, v9
	global_store_b16 v[3:4], v9, off
.LBB153_1759:
	s_mov_b32 s0, 0
.LBB153_1760:
	s_delay_alu instid0(SALU_CYCLE_1)
	s_and_not1_b32 vcc_lo, exec_lo, s0
	s_cbranch_vccnz .LBB153_1776
; %bb.1761:
	v_cmp_gt_i16_e32 vcc_lo, 2, v6
	s_mov_b32 s0, -1
	s_cbranch_vccnz .LBB153_1771
; %bb.1762:
	v_cmp_gt_i16_e32 vcc_lo, 3, v6
	s_cbranch_vccnz .LBB153_1768
; %bb.1763:
	v_cmp_lt_i16_e32 vcc_lo, 3, v6
	s_cbranch_vccz .LBB153_1765
; %bb.1764:
	v_lshlrev_b32_e32 v9, 16, v5
	s_mov_b32 s0, 0
	s_delay_alu instid0(VALU_DEP_1) | instskip(NEXT) | instid1(VALU_DEP_1)
	v_trunc_f32_e32 v9, v9
	v_mul_f32_e64 v10, 0x2f800000, |v9|
	v_ashrrev_i32_e32 v13, 31, v9
	s_delay_alu instid0(VALU_DEP_2) | instskip(NEXT) | instid1(VALU_DEP_1)
	v_floor_f32_e32 v10, v10
	v_fma_f32 v12, 0xcf800000, v10, |v9|
	v_cvt_u32_f32_e32 v10, v10
	s_delay_alu instid0(VALU_DEP_2) | instskip(NEXT) | instid1(VALU_DEP_2)
	v_cvt_u32_f32_e32 v9, v12
	v_xor_b32_e32 v10, v10, v13
	s_delay_alu instid0(VALU_DEP_2) | instskip(NEXT) | instid1(VALU_DEP_1)
	v_xor_b32_e32 v9, v9, v13
	v_sub_co_u32 v9, vcc_lo, v9, v13
	s_delay_alu instid0(VALU_DEP_3)
	v_sub_co_ci_u32_e32 v10, vcc_lo, v10, v13, vcc_lo
	global_store_b64 v[3:4], v[9:10], off
.LBB153_1765:
	s_and_not1_b32 vcc_lo, exec_lo, s0
	s_cbranch_vccnz .LBB153_1767
; %bb.1766:
	v_lshlrev_b32_e32 v9, 16, v5
	s_delay_alu instid0(VALU_DEP_1)
	v_cvt_i32_f32_e32 v9, v9
	global_store_b32 v[3:4], v9, off
.LBB153_1767:
	s_mov_b32 s0, 0
.LBB153_1768:
	s_delay_alu instid0(SALU_CYCLE_1)
	s_and_not1_b32 vcc_lo, exec_lo, s0
	s_cbranch_vccnz .LBB153_1770
; %bb.1769:
	v_lshlrev_b32_e32 v9, 16, v5
	s_delay_alu instid0(VALU_DEP_1)
	v_cvt_i32_f32_e32 v9, v9
	global_store_b16 v[3:4], v9, off
.LBB153_1770:
	s_mov_b32 s0, 0
.LBB153_1771:
	s_delay_alu instid0(SALU_CYCLE_1)
	s_and_not1_b32 vcc_lo, exec_lo, s0
	s_cbranch_vccnz .LBB153_1776
; %bb.1772:
	v_cmp_lt_i16_e32 vcc_lo, 0, v6
	s_mov_b32 s0, -1
	s_cbranch_vccz .LBB153_1774
; %bb.1773:
	v_lshlrev_b32_e32 v9, 16, v5
	s_mov_b32 s0, 0
	s_delay_alu instid0(VALU_DEP_1)
	v_cvt_i32_f32_e32 v9, v9
	global_store_b8 v[3:4], v9, off
.LBB153_1774:
	s_and_not1_b32 vcc_lo, exec_lo, s0
	s_cbranch_vccnz .LBB153_1776
; %bb.1775:
	v_lshlrev_b32_e32 v5, 16, v5
	s_delay_alu instid0(VALU_DEP_1) | instskip(NEXT) | instid1(VALU_DEP_1)
	v_trunc_f32_e32 v5, v5
	v_mul_f32_e64 v9, 0x2f800000, |v5|
	s_delay_alu instid0(VALU_DEP_1) | instskip(NEXT) | instid1(VALU_DEP_1)
	v_floor_f32_e32 v9, v9
	v_fma_f32 v9, 0xcf800000, v9, |v5|
	v_ashrrev_i32_e32 v5, 31, v5
	s_delay_alu instid0(VALU_DEP_2) | instskip(NEXT) | instid1(VALU_DEP_1)
	v_cvt_u32_f32_e32 v9, v9
	v_xor_b32_e32 v9, v9, v5
	s_delay_alu instid0(VALU_DEP_1)
	v_sub_nc_u32_e32 v5, v9, v5
	global_store_b8 v[3:4], v5, off
.LBB153_1776:
	s_mov_b32 s3, -1
.LBB153_1777:
	s_delay_alu instid0(SALU_CYCLE_1)
	s_and_not1_b32 vcc_lo, exec_lo, s3
	s_cbranch_vccnz .LBB153_2090
; %bb.1778:
	s_mov_b32 s0, 0x395133b1
	s_waitcnt vmcnt(0)
	v_lshlrev_b32_e32 v3, 16, v8
	s_mov_b32 s3, 0
	s_delay_alu instid0(VALU_DEP_1) | instskip(NEXT) | instid1(VALU_DEP_1)
	v_mul_f32_e32 v4, 0x3fb8aa3b, v3
	v_rndne_f32_e32 v4, v4
	s_delay_alu instid0(VALU_DEP_1) | instskip(SKIP_2) | instid1(VALU_DEP_3)
	v_fmamk_f32 v5, v4, 0xbf317218, v3
	v_cvt_i32_f32_e32 v9, v4
	v_cmp_eq_f32_e32 vcc_lo, 0x43000000, v4
	v_fmamk_f32 v5, v4, 0x3102e308, v5
	s_delay_alu instid0(VALU_DEP_3) | instskip(NEXT) | instid1(VALU_DEP_2)
	v_cndmask_b32_e64 v4, v9, 0x7f, vcc_lo
	v_fmaak_f32 v8, s0, v5, 0x3ab69700
	v_add_co_u32 v2, s0, s4, v2
	s_delay_alu instid0(VALU_DEP_3) | instskip(NEXT) | instid1(VALU_DEP_1)
	v_ldexp_f32 v4, 1.0, v4
	v_add_f32_e32 v9, -1.0, v4
	s_delay_alu instid0(VALU_DEP_4) | instskip(NEXT) | instid1(VALU_DEP_1)
	v_fmaak_f32 v8, v5, v8, 0x3c0887f9
	v_fmaak_f32 v8, v5, v8, 0x3d2aaa81
	s_delay_alu instid0(VALU_DEP_1) | instskip(NEXT) | instid1(VALU_DEP_1)
	v_fmaak_f32 v8, v5, v8, 0x3e2aaaab
	v_fma_f32 v8, v5, v8, 0.5
	s_delay_alu instid0(VALU_DEP_1) | instskip(NEXT) | instid1(VALU_DEP_1)
	v_mul_f32_e32 v8, v5, v8
	v_fmac_f32_e32 v5, v5, v8
	s_delay_alu instid0(VALU_DEP_1) | instskip(NEXT) | instid1(VALU_DEP_1)
	v_fmac_f32_e32 v9, v4, v5
	v_add_f32_e32 v4, v9, v9
	s_delay_alu instid0(VALU_DEP_1) | instskip(SKIP_1) | instid1(VALU_DEP_2)
	v_cndmask_b32_e32 v4, v9, v4, vcc_lo
	v_cmp_nlt_f32_e32 vcc_lo, 0x42b17217, v3
	v_cndmask_b32_e32 v4, 0x7f800000, v4, vcc_lo
	v_cmp_ngt_f32_e32 vcc_lo, 0xc1880000, v3
	s_delay_alu instid0(VALU_DEP_2) | instskip(SKIP_1) | instid1(VALU_DEP_2)
	v_cndmask_b32_e32 v4, -1.0, v4, vcc_lo
	v_cmp_gt_i16_e32 vcc_lo, 11, v6
	v_bfe_u32 v3, v4, 16, 1
	s_and_b32 vcc_lo, exec_lo, vcc_lo
	s_delay_alu instid0(VALU_DEP_1) | instskip(NEXT) | instid1(VALU_DEP_1)
	v_add3_u32 v3, v4, v3, 0x7fff
	v_lshrrev_b32_e32 v5, 16, v3
	v_add_co_ci_u32_e64 v3, null, s5, 0, s0
	v_cmp_o_f32_e64 s0, v4, v4
	s_delay_alu instid0(VALU_DEP_1)
	v_cndmask_b32_e64 v4, 0x7fc0, v5, s0
	s_mov_b32 s0, -1
	s_cbranch_vccnz .LBB153_1856
; %bb.1779:
	v_cmp_lt_i16_e32 vcc_lo, 25, v6
	s_mov_b32 s6, -1
	s_mov_b32 s2, 0
	s_mov_b32 s0, 0
	s_cbranch_vccz .LBB153_1812
; %bb.1780:
	v_cmp_lt_i16_e32 vcc_lo, 28, v6
	s_cbranch_vccz .LBB153_1795
; %bb.1781:
	v_cmp_lt_i16_e32 vcc_lo, 43, v6
	;; [unrolled: 3-line block ×3, first 2 shown]
	s_cbranch_vccz .LBB153_1785
; %bb.1783:
	v_cmp_eq_u16_e32 vcc_lo, 46, v6
	s_mov_b32 s0, -1
	s_mov_b32 s6, 0
	s_cbranch_vccz .LBB153_1785
; %bb.1784:
	v_and_b32_e32 v5, 0xffff, v4
	s_mov_b32 s0, 0
	s_mov_b32 s3, -1
	global_store_b32 v[2:3], v5, off
.LBB153_1785:
	s_and_b32 vcc_lo, exec_lo, s6
	s_cbranch_vccz .LBB153_1790
; %bb.1786:
	v_cmp_eq_u16_e32 vcc_lo, 44, v6
	s_mov_b32 s0, -1
	s_cbranch_vccz .LBB153_1790
; %bb.1787:
	v_and_b32_e32 v5, 0xffff, v4
	v_mov_b32_e32 v8, 0xff
	s_mov_b32 s3, exec_lo
	s_delay_alu instid0(VALU_DEP_2) | instskip(NEXT) | instid1(VALU_DEP_1)
	v_bfe_u32 v9, v5, 7, 8
	v_cmpx_ne_u32_e32 0xff, v9
; %bb.1788:
	v_lshlrev_b32_e32 v8, 16, v5
	v_and_b32_e32 v10, 64, v5
	v_lshrrev_b32_e32 v5, 7, v5
	s_delay_alu instid0(VALU_DEP_3) | instskip(NEXT) | instid1(VALU_DEP_3)
	v_and_or_b32 v8, 0x3f0000, v8, v9
	v_cmp_ne_u32_e32 vcc_lo, 0, v10
	s_delay_alu instid0(VALU_DEP_2) | instskip(NEXT) | instid1(VALU_DEP_1)
	v_cmp_ne_u32_e64 s0, 0, v8
	s_and_b32 s0, vcc_lo, s0
	s_delay_alu instid0(SALU_CYCLE_1) | instskip(NEXT) | instid1(VALU_DEP_1)
	v_cndmask_b32_e64 v8, 0, 1, s0
	v_add_nc_u32_e32 v8, v5, v8
; %bb.1789:
	s_or_b32 exec_lo, exec_lo, s3
	s_mov_b32 s0, 0
	s_mov_b32 s3, -1
	global_store_b8 v[2:3], v8, off
.LBB153_1790:
	s_mov_b32 s6, 0
.LBB153_1791:
	s_delay_alu instid0(SALU_CYCLE_1)
	s_and_b32 vcc_lo, exec_lo, s6
	s_cbranch_vccz .LBB153_1794
; %bb.1792:
	v_cmp_eq_u16_e32 vcc_lo, 29, v6
	s_mov_b32 s0, -1
	s_cbranch_vccz .LBB153_1794
; %bb.1793:
	v_lshlrev_b32_e32 v5, 16, v4
	s_mov_b32 s0, 0
	s_mov_b32 s3, -1
	s_delay_alu instid0(VALU_DEP_1) | instskip(NEXT) | instid1(VALU_DEP_1)
	v_trunc_f32_e32 v5, v5
	v_mul_f32_e32 v8, 0x2f800000, v5
	s_delay_alu instid0(VALU_DEP_1) | instskip(NEXT) | instid1(VALU_DEP_1)
	v_floor_f32_e32 v8, v8
	v_fmamk_f32 v5, v8, 0xcf800000, v5
	v_cvt_u32_f32_e32 v9, v8
	s_delay_alu instid0(VALU_DEP_2)
	v_cvt_u32_f32_e32 v8, v5
	global_store_b64 v[2:3], v[8:9], off
.LBB153_1794:
	s_mov_b32 s6, 0
.LBB153_1795:
	s_delay_alu instid0(SALU_CYCLE_1)
	s_and_b32 vcc_lo, exec_lo, s6
	s_cbranch_vccz .LBB153_1811
; %bb.1796:
	v_cmp_gt_i16_e32 vcc_lo, 27, v6
	s_mov_b32 s3, -1
	s_cbranch_vccnz .LBB153_1802
; %bb.1797:
	v_cmp_lt_i16_e32 vcc_lo, 27, v6
	s_cbranch_vccz .LBB153_1799
; %bb.1798:
	v_lshlrev_b32_e32 v5, 16, v4
	s_mov_b32 s3, 0
	s_delay_alu instid0(VALU_DEP_1)
	v_cvt_u32_f32_e32 v5, v5
	global_store_b32 v[2:3], v5, off
.LBB153_1799:
	s_and_not1_b32 vcc_lo, exec_lo, s3
	s_cbranch_vccnz .LBB153_1801
; %bb.1800:
	v_lshlrev_b32_e32 v5, 16, v4
	s_delay_alu instid0(VALU_DEP_1)
	v_cvt_u32_f32_e32 v5, v5
	global_store_b16 v[2:3], v5, off
.LBB153_1801:
	s_mov_b32 s3, 0
.LBB153_1802:
	s_delay_alu instid0(SALU_CYCLE_1)
	s_and_not1_b32 vcc_lo, exec_lo, s3
	s_cbranch_vccnz .LBB153_1810
; %bb.1803:
	v_dual_mov_b32 v10, 0x80 :: v_dual_lshlrev_b32 v9, 16, v4
	s_mov_b32 s3, exec_lo
	s_delay_alu instid0(VALU_DEP_1) | instskip(NEXT) | instid1(VALU_DEP_1)
	v_and_b32_e32 v8, 0x7fffffff, v9
	v_cmpx_gt_u32_e32 0x43800000, v8
	s_cbranch_execz .LBB153_1809
; %bb.1804:
	v_and_b32_e32 v5, 0xffff, v4
	v_cmp_lt_u32_e32 vcc_lo, 0x3bffffff, v8
	s_mov_b32 s6, 0
                                        ; implicit-def: $vgpr8
	s_and_saveexec_b32 s7, vcc_lo
	s_delay_alu instid0(SALU_CYCLE_1)
	s_xor_b32 s7, exec_lo, s7
	s_cbranch_execz .LBB153_2145
; %bb.1805:
	v_bfe_u32 v8, v5, 4, 1
	s_mov_b32 s6, exec_lo
	s_delay_alu instid0(VALU_DEP_1) | instskip(NEXT) | instid1(VALU_DEP_1)
	v_add3_u32 v8, v9, v8, 0x487ffff
                                        ; implicit-def: $vgpr9
	v_lshrrev_b32_e32 v8, 20, v8
	s_or_saveexec_b32 s7, s7
                                        ; implicit-def: $sgpr10
	s_delay_alu instid0(SALU_CYCLE_1)
	s_xor_b32 exec_lo, exec_lo, s7
	s_cbranch_execnz .LBB153_2146
.LBB153_1806:
	s_or_b32 exec_lo, exec_lo, s7
	v_mov_b32_e32 v10, s10
	s_and_saveexec_b32 s7, s6
.LBB153_1807:
	v_lshrrev_b32_e32 v5, 8, v5
	s_delay_alu instid0(VALU_DEP_1)
	v_and_or_b32 v10, 0x80, v5, v8
.LBB153_1808:
	s_or_b32 exec_lo, exec_lo, s7
.LBB153_1809:
	s_delay_alu instid0(SALU_CYCLE_1)
	s_or_b32 exec_lo, exec_lo, s3
	global_store_b8 v[2:3], v10, off
.LBB153_1810:
	s_mov_b32 s3, -1
.LBB153_1811:
	s_mov_b32 s6, 0
.LBB153_1812:
	s_delay_alu instid0(SALU_CYCLE_1)
	s_and_b32 vcc_lo, exec_lo, s6
	s_cbranch_vccz .LBB153_1852
; %bb.1813:
	v_cmp_lt_i16_e32 vcc_lo, 22, v6
	s_mov_b32 s2, -1
	s_cbranch_vccz .LBB153_1845
; %bb.1814:
	v_cmp_gt_i16_e32 vcc_lo, 24, v6
	s_cbranch_vccnz .LBB153_1834
; %bb.1815:
	v_cmp_lt_i16_e32 vcc_lo, 24, v6
	s_cbranch_vccz .LBB153_1823
; %bb.1816:
	v_dual_mov_b32 v10, 0x80 :: v_dual_lshlrev_b32 v9, 16, v4
	s_mov_b32 s2, exec_lo
	s_delay_alu instid0(VALU_DEP_1) | instskip(NEXT) | instid1(VALU_DEP_1)
	v_and_b32_e32 v8, 0x7fffffff, v9
	v_cmpx_gt_u32_e32 0x47800000, v8
	s_cbranch_execz .LBB153_1822
; %bb.1817:
	v_and_b32_e32 v5, 0xffff, v4
	v_cmp_lt_u32_e32 vcc_lo, 0x37ffffff, v8
	s_mov_b32 s3, 0
                                        ; implicit-def: $vgpr8
	s_and_saveexec_b32 s6, vcc_lo
	s_delay_alu instid0(SALU_CYCLE_1)
	s_xor_b32 s6, exec_lo, s6
	s_cbranch_execz .LBB153_2151
; %bb.1818:
	v_bfe_u32 v8, v5, 5, 1
	s_mov_b32 s3, exec_lo
	s_delay_alu instid0(VALU_DEP_1) | instskip(NEXT) | instid1(VALU_DEP_1)
	v_add3_u32 v8, v9, v8, 0x88fffff
                                        ; implicit-def: $vgpr9
	v_lshrrev_b32_e32 v8, 21, v8
	s_or_saveexec_b32 s6, s6
                                        ; implicit-def: $sgpr7
	s_delay_alu instid0(SALU_CYCLE_1)
	s_xor_b32 exec_lo, exec_lo, s6
	s_cbranch_execnz .LBB153_2152
.LBB153_1819:
	s_or_b32 exec_lo, exec_lo, s6
	v_mov_b32_e32 v10, s7
	s_and_saveexec_b32 s6, s3
.LBB153_1820:
	v_lshrrev_b32_e32 v5, 8, v5
	s_delay_alu instid0(VALU_DEP_1)
	v_and_or_b32 v10, 0x80, v5, v8
.LBB153_1821:
	s_or_b32 exec_lo, exec_lo, s6
.LBB153_1822:
	s_delay_alu instid0(SALU_CYCLE_1)
	s_or_b32 exec_lo, exec_lo, s2
	s_mov_b32 s2, 0
	global_store_b8 v[2:3], v10, off
.LBB153_1823:
	s_and_b32 vcc_lo, exec_lo, s2
	s_cbranch_vccz .LBB153_1833
; %bb.1824:
	v_lshlrev_b32_e32 v9, 16, v4
	v_and_b32_e32 v5, 0xffff, v4
	s_mov_b32 s2, exec_lo
                                        ; implicit-def: $vgpr8
	s_delay_alu instid0(VALU_DEP_2) | instskip(NEXT) | instid1(VALU_DEP_1)
	v_and_b32_e32 v10, 0x7fffffff, v9
	v_cmpx_gt_u32_e32 0x43f00000, v10
	s_xor_b32 s2, exec_lo, s2
	s_cbranch_execz .LBB153_1830
; %bb.1825:
	s_mov_b32 s3, exec_lo
                                        ; implicit-def: $vgpr8
	v_cmpx_lt_u32_e32 0x3c7fffff, v10
	s_xor_b32 s3, exec_lo, s3
; %bb.1826:
	v_bfe_u32 v8, v5, 4, 1
	s_delay_alu instid0(VALU_DEP_1) | instskip(NEXT) | instid1(VALU_DEP_1)
	v_add3_u32 v8, v9, v8, 0x407ffff
	v_and_b32_e32 v9, 0xff00000, v8
	v_lshrrev_b32_e32 v8, 20, v8
	s_delay_alu instid0(VALU_DEP_2) | instskip(NEXT) | instid1(VALU_DEP_2)
	v_cmp_ne_u32_e32 vcc_lo, 0x7f00000, v9
                                        ; implicit-def: $vgpr9
	v_cndmask_b32_e32 v8, 0x7e, v8, vcc_lo
; %bb.1827:
	s_and_not1_saveexec_b32 s3, s3
; %bb.1828:
	v_add_f32_e64 v8, 0x46800000, |v9|
; %bb.1829:
	s_or_b32 exec_lo, exec_lo, s3
                                        ; implicit-def: $vgpr10
.LBB153_1830:
	s_and_not1_saveexec_b32 s2, s2
; %bb.1831:
	v_mov_b32_e32 v8, 0x7f
	v_cmp_lt_u32_e32 vcc_lo, 0x7f800000, v10
	s_delay_alu instid0(VALU_DEP_2)
	v_cndmask_b32_e32 v8, 0x7e, v8, vcc_lo
; %bb.1832:
	s_or_b32 exec_lo, exec_lo, s2
	v_lshrrev_b32_e32 v5, 8, v5
	s_delay_alu instid0(VALU_DEP_1)
	v_and_or_b32 v5, 0x80, v5, v8
	global_store_b8 v[2:3], v5, off
.LBB153_1833:
	s_mov_b32 s2, 0
.LBB153_1834:
	s_delay_alu instid0(SALU_CYCLE_1)
	s_and_not1_b32 vcc_lo, exec_lo, s2
	s_cbranch_vccnz .LBB153_1844
; %bb.1835:
	v_lshlrev_b32_e32 v9, 16, v4
	v_and_b32_e32 v5, 0xffff, v4
	s_mov_b32 s2, exec_lo
                                        ; implicit-def: $vgpr8
	s_delay_alu instid0(VALU_DEP_2) | instskip(NEXT) | instid1(VALU_DEP_1)
	v_and_b32_e32 v10, 0x7fffffff, v9
	v_cmpx_gt_u32_e32 0x47800000, v10
	s_xor_b32 s2, exec_lo, s2
	s_cbranch_execz .LBB153_1841
; %bb.1836:
	s_mov_b32 s3, exec_lo
                                        ; implicit-def: $vgpr8
	v_cmpx_lt_u32_e32 0x387fffff, v10
	s_xor_b32 s3, exec_lo, s3
; %bb.1837:
	v_bfe_u32 v8, v5, 5, 1
	s_delay_alu instid0(VALU_DEP_1) | instskip(NEXT) | instid1(VALU_DEP_1)
	v_add3_u32 v8, v9, v8, 0x80fffff
                                        ; implicit-def: $vgpr9
	v_lshrrev_b32_e32 v8, 21, v8
; %bb.1838:
	s_and_not1_saveexec_b32 s3, s3
; %bb.1839:
	v_add_f32_e64 v8, 0x43000000, |v9|
; %bb.1840:
	s_or_b32 exec_lo, exec_lo, s3
                                        ; implicit-def: $vgpr10
.LBB153_1841:
	s_and_not1_saveexec_b32 s2, s2
; %bb.1842:
	v_mov_b32_e32 v8, 0x7f
	v_cmp_lt_u32_e32 vcc_lo, 0x7f800000, v10
	s_delay_alu instid0(VALU_DEP_2)
	v_cndmask_b32_e32 v8, 0x7c, v8, vcc_lo
; %bb.1843:
	s_or_b32 exec_lo, exec_lo, s2
	v_lshrrev_b32_e32 v5, 8, v5
	s_delay_alu instid0(VALU_DEP_1)
	v_and_or_b32 v5, 0x80, v5, v8
	global_store_b8 v[2:3], v5, off
.LBB153_1844:
	s_mov_b32 s2, 0
	s_mov_b32 s3, -1
.LBB153_1845:
	s_and_not1_b32 vcc_lo, exec_lo, s2
	s_mov_b32 s2, 0
	s_cbranch_vccnz .LBB153_1852
; %bb.1846:
	v_cmp_lt_i16_e32 vcc_lo, 14, v6
	s_mov_b32 s2, -1
	s_cbranch_vccz .LBB153_1850
; %bb.1847:
	v_cmp_eq_u16_e32 vcc_lo, 15, v6
	s_mov_b32 s0, -1
	s_cbranch_vccz .LBB153_1849
; %bb.1848:
	s_mov_b32 s0, 0
	s_mov_b32 s3, -1
	global_store_b16 v[2:3], v4, off
.LBB153_1849:
	s_mov_b32 s2, 0
.LBB153_1850:
	s_delay_alu instid0(SALU_CYCLE_1)
	s_and_b32 vcc_lo, exec_lo, s2
	s_mov_b32 s2, 0
	s_cbranch_vccz .LBB153_1852
; %bb.1851:
	v_cmp_ne_u16_e64 s0, 11, v6
	s_mov_b32 s2, -1
.LBB153_1852:
	s_delay_alu instid0(VALU_DEP_1)
	s_and_b32 vcc_lo, exec_lo, s0
	s_cbranch_vccnz .LBB153_2149
; %bb.1853:
	s_and_not1_b32 vcc_lo, exec_lo, s2
	s_cbranch_vccnz .LBB153_1855
.LBB153_1854:
	v_and_b32_e32 v5, 0x7fff, v4
	s_mov_b32 s3, -1
	s_delay_alu instid0(VALU_DEP_1)
	v_cmp_ne_u16_e32 vcc_lo, 0, v5
	v_cndmask_b32_e64 v5, 0, 1, vcc_lo
	global_store_b8 v[2:3], v5, off
.LBB153_1855:
	s_mov_b32 s0, 0
.LBB153_1856:
	s_delay_alu instid0(SALU_CYCLE_1)
	s_and_b32 vcc_lo, exec_lo, s0
	s_cbranch_vccz .LBB153_1895
; %bb.1857:
	v_cmp_gt_i16_e32 vcc_lo, 5, v6
	s_mov_b32 s0, -1
	s_cbranch_vccnz .LBB153_1878
; %bb.1858:
	v_cmp_gt_i16_e32 vcc_lo, 8, v6
	s_cbranch_vccnz .LBB153_1868
; %bb.1859:
	v_cmp_gt_i16_e32 vcc_lo, 9, v6
	s_cbranch_vccnz .LBB153_1865
; %bb.1860:
	v_cmp_lt_i16_e32 vcc_lo, 9, v6
	s_cbranch_vccz .LBB153_1862
; %bb.1861:
	v_dual_mov_b32 v14, 0 :: v_dual_lshlrev_b32 v5, 16, v4
	s_mov_b32 s0, 0
	s_delay_alu instid0(VALU_DEP_1) | instskip(NEXT) | instid1(VALU_DEP_2)
	v_cvt_f64_f32_e32 v[12:13], v5
	v_mov_b32_e32 v15, v14
	global_store_b128 v[2:3], v[12:15], off
.LBB153_1862:
	s_and_not1_b32 vcc_lo, exec_lo, s0
	s_cbranch_vccnz .LBB153_1864
; %bb.1863:
	v_dual_mov_b32 v9, 0 :: v_dual_lshlrev_b32 v8, 16, v4
	global_store_b64 v[2:3], v[8:9], off
.LBB153_1864:
	s_mov_b32 s0, 0
.LBB153_1865:
	s_delay_alu instid0(SALU_CYCLE_1)
	s_and_not1_b32 vcc_lo, exec_lo, s0
	s_cbranch_vccnz .LBB153_1867
; %bb.1866:
	v_lshlrev_b32_e32 v5, 16, v4
	s_delay_alu instid0(VALU_DEP_1) | instskip(NEXT) | instid1(VALU_DEP_1)
	v_cvt_f16_f32_e32 v5, v5
	v_and_b32_e32 v5, 0xffff, v5
	global_store_b32 v[2:3], v5, off
.LBB153_1867:
	s_mov_b32 s0, 0
.LBB153_1868:
	s_delay_alu instid0(SALU_CYCLE_1)
	s_and_not1_b32 vcc_lo, exec_lo, s0
	s_cbranch_vccnz .LBB153_1877
; %bb.1869:
	v_cmp_gt_i16_e32 vcc_lo, 6, v6
	s_mov_b32 s0, -1
	s_cbranch_vccnz .LBB153_1875
; %bb.1870:
	v_cmp_lt_i16_e32 vcc_lo, 6, v6
	s_cbranch_vccz .LBB153_1872
; %bb.1871:
	v_lshlrev_b32_e32 v5, 16, v4
	s_mov_b32 s0, 0
	s_delay_alu instid0(VALU_DEP_1)
	v_cvt_f64_f32_e32 v[8:9], v5
	global_store_b64 v[2:3], v[8:9], off
.LBB153_1872:
	s_and_not1_b32 vcc_lo, exec_lo, s0
	s_cbranch_vccnz .LBB153_1874
; %bb.1873:
	v_lshlrev_b32_e32 v5, 16, v4
	global_store_b32 v[2:3], v5, off
.LBB153_1874:
	s_mov_b32 s0, 0
.LBB153_1875:
	s_delay_alu instid0(SALU_CYCLE_1)
	s_and_not1_b32 vcc_lo, exec_lo, s0
	s_cbranch_vccnz .LBB153_1877
; %bb.1876:
	v_lshlrev_b32_e32 v5, 16, v4
	s_delay_alu instid0(VALU_DEP_1)
	v_cvt_f16_f32_e32 v5, v5
	global_store_b16 v[2:3], v5, off
.LBB153_1877:
	s_mov_b32 s0, 0
.LBB153_1878:
	s_delay_alu instid0(SALU_CYCLE_1)
	s_and_not1_b32 vcc_lo, exec_lo, s0
	s_cbranch_vccnz .LBB153_1894
; %bb.1879:
	v_cmp_gt_i16_e32 vcc_lo, 2, v6
	s_mov_b32 s0, -1
	s_cbranch_vccnz .LBB153_1889
; %bb.1880:
	v_cmp_gt_i16_e32 vcc_lo, 3, v6
	s_cbranch_vccnz .LBB153_1886
; %bb.1881:
	v_cmp_lt_i16_e32 vcc_lo, 3, v6
	s_cbranch_vccz .LBB153_1883
; %bb.1882:
	v_lshlrev_b32_e32 v5, 16, v4
	s_mov_b32 s0, 0
	s_delay_alu instid0(VALU_DEP_1) | instskip(NEXT) | instid1(VALU_DEP_1)
	v_trunc_f32_e32 v5, v5
	v_mul_f32_e64 v8, 0x2f800000, |v5|
	s_delay_alu instid0(VALU_DEP_1) | instskip(NEXT) | instid1(VALU_DEP_1)
	v_floor_f32_e32 v8, v8
	v_fma_f32 v9, 0xcf800000, v8, |v5|
	v_ashrrev_i32_e32 v5, 31, v5
	v_cvt_u32_f32_e32 v8, v8
	s_delay_alu instid0(VALU_DEP_3) | instskip(NEXT) | instid1(VALU_DEP_2)
	v_cvt_u32_f32_e32 v9, v9
	v_xor_b32_e32 v10, v8, v5
	s_delay_alu instid0(VALU_DEP_2) | instskip(NEXT) | instid1(VALU_DEP_1)
	v_xor_b32_e32 v9, v9, v5
	v_sub_co_u32 v8, vcc_lo, v9, v5
	s_delay_alu instid0(VALU_DEP_3)
	v_sub_co_ci_u32_e32 v9, vcc_lo, v10, v5, vcc_lo
	global_store_b64 v[2:3], v[8:9], off
.LBB153_1883:
	s_and_not1_b32 vcc_lo, exec_lo, s0
	s_cbranch_vccnz .LBB153_1885
; %bb.1884:
	v_lshlrev_b32_e32 v5, 16, v4
	s_delay_alu instid0(VALU_DEP_1)
	v_cvt_i32_f32_e32 v5, v5
	global_store_b32 v[2:3], v5, off
.LBB153_1885:
	s_mov_b32 s0, 0
.LBB153_1886:
	s_delay_alu instid0(SALU_CYCLE_1)
	s_and_not1_b32 vcc_lo, exec_lo, s0
	s_cbranch_vccnz .LBB153_1888
; %bb.1887:
	v_lshlrev_b32_e32 v5, 16, v4
	s_delay_alu instid0(VALU_DEP_1)
	v_cvt_i32_f32_e32 v5, v5
	global_store_b16 v[2:3], v5, off
.LBB153_1888:
	s_mov_b32 s0, 0
.LBB153_1889:
	s_delay_alu instid0(SALU_CYCLE_1)
	s_and_not1_b32 vcc_lo, exec_lo, s0
	s_cbranch_vccnz .LBB153_1894
; %bb.1890:
	v_cmp_lt_i16_e32 vcc_lo, 0, v6
	v_lshlrev_b32_e32 v4, 16, v4
	s_mov_b32 s0, -1
	s_cbranch_vccz .LBB153_1892
; %bb.1891:
	s_delay_alu instid0(VALU_DEP_1)
	v_cvt_i32_f32_e32 v5, v4
	s_mov_b32 s0, 0
	global_store_b8 v[2:3], v5, off
.LBB153_1892:
	s_and_not1_b32 vcc_lo, exec_lo, s0
	s_cbranch_vccnz .LBB153_1894
; %bb.1893:
	v_trunc_f32_e32 v4, v4
	s_delay_alu instid0(VALU_DEP_1) | instskip(NEXT) | instid1(VALU_DEP_1)
	v_mul_f32_e64 v5, 0x2f800000, |v4|
	v_floor_f32_e32 v5, v5
	s_delay_alu instid0(VALU_DEP_1) | instskip(SKIP_1) | instid1(VALU_DEP_2)
	v_fma_f32 v5, 0xcf800000, v5, |v4|
	v_ashrrev_i32_e32 v4, 31, v4
	v_cvt_u32_f32_e32 v5, v5
	s_delay_alu instid0(VALU_DEP_1) | instskip(NEXT) | instid1(VALU_DEP_1)
	v_xor_b32_e32 v5, v5, v4
	v_sub_nc_u32_e32 v4, v5, v4
	global_store_b8 v[2:3], v4, off
.LBB153_1894:
	s_mov_b32 s3, -1
.LBB153_1895:
	s_delay_alu instid0(SALU_CYCLE_1)
	s_and_not1_b32 vcc_lo, exec_lo, s3
	s_cbranch_vccnz .LBB153_2090
; %bb.1896:
	s_mov_b32 s0, 0x395133b1
	v_lshlrev_b32_e32 v2, 16, v7
	s_mov_b32 s3, 0
	s_delay_alu instid0(VALU_DEP_1) | instskip(NEXT) | instid1(VALU_DEP_1)
	v_mul_f32_e32 v3, 0x3fb8aa3b, v2
	v_rndne_f32_e32 v3, v3
	s_delay_alu instid0(VALU_DEP_1) | instskip(SKIP_2) | instid1(VALU_DEP_3)
	v_fmamk_f32 v4, v3, 0xbf317218, v2
	v_cvt_i32_f32_e32 v7, v3
	v_cmp_eq_f32_e32 vcc_lo, 0x43000000, v3
	v_fmamk_f32 v4, v3, 0x3102e308, v4
	s_delay_alu instid0(VALU_DEP_3) | instskip(NEXT) | instid1(VALU_DEP_2)
	v_cndmask_b32_e64 v3, v7, 0x7f, vcc_lo
	v_fmaak_f32 v5, s0, v4, 0x3ab69700
	v_add_co_u32 v1, s0, s4, v1
	s_delay_alu instid0(VALU_DEP_3) | instskip(NEXT) | instid1(VALU_DEP_3)
	v_ldexp_f32 v3, 1.0, v3
	v_fmaak_f32 v5, v4, v5, 0x3c0887f9
	s_delay_alu instid0(VALU_DEP_2) | instskip(NEXT) | instid1(VALU_DEP_2)
	v_add_f32_e32 v7, -1.0, v3
	v_fmaak_f32 v5, v4, v5, 0x3d2aaa81
	s_delay_alu instid0(VALU_DEP_1) | instskip(NEXT) | instid1(VALU_DEP_1)
	v_fmaak_f32 v5, v4, v5, 0x3e2aaaab
	v_fma_f32 v5, v4, v5, 0.5
	s_delay_alu instid0(VALU_DEP_1) | instskip(NEXT) | instid1(VALU_DEP_1)
	v_mul_f32_e32 v5, v4, v5
	v_fmac_f32_e32 v4, v4, v5
	s_delay_alu instid0(VALU_DEP_1) | instskip(NEXT) | instid1(VALU_DEP_1)
	v_fmac_f32_e32 v7, v3, v4
	v_add_f32_e32 v3, v7, v7
	s_delay_alu instid0(VALU_DEP_1) | instskip(SKIP_1) | instid1(VALU_DEP_2)
	v_cndmask_b32_e32 v3, v7, v3, vcc_lo
	v_cmp_nlt_f32_e32 vcc_lo, 0x42b17217, v2
	v_cndmask_b32_e32 v3, 0x7f800000, v3, vcc_lo
	v_cmp_ngt_f32_e32 vcc_lo, 0xc1880000, v2
	s_delay_alu instid0(VALU_DEP_2) | instskip(SKIP_1) | instid1(VALU_DEP_2)
	v_cndmask_b32_e32 v3, -1.0, v3, vcc_lo
	v_cmp_gt_i16_e32 vcc_lo, 11, v6
	v_bfe_u32 v2, v3, 16, 1
	s_and_b32 vcc_lo, exec_lo, vcc_lo
	s_delay_alu instid0(VALU_DEP_1) | instskip(NEXT) | instid1(VALU_DEP_1)
	v_add3_u32 v2, v3, v2, 0x7fff
	v_lshrrev_b32_e32 v4, 16, v2
	v_add_co_ci_u32_e64 v2, null, s5, 0, s0
	v_cmp_o_f32_e64 s0, v3, v3
	s_delay_alu instid0(VALU_DEP_1)
	v_cndmask_b32_e64 v3, 0x7fc0, v4, s0
	s_mov_b32 s0, -1
	s_cbranch_vccnz .LBB153_1974
; %bb.1897:
	v_cmp_lt_i16_e32 vcc_lo, 25, v6
	s_mov_b32 s6, -1
	s_mov_b32 s2, 0
	s_mov_b32 s0, 0
	s_cbranch_vccz .LBB153_1930
; %bb.1898:
	v_cmp_lt_i16_e32 vcc_lo, 28, v6
	s_cbranch_vccz .LBB153_1913
; %bb.1899:
	v_cmp_lt_i16_e32 vcc_lo, 43, v6
	s_cbranch_vccz .LBB153_1909
; %bb.1900:
	v_cmp_lt_i16_e32 vcc_lo, 45, v6
	s_cbranch_vccz .LBB153_1903
; %bb.1901:
	v_cmp_eq_u16_e32 vcc_lo, 46, v6
	s_mov_b32 s0, -1
	s_mov_b32 s6, 0
	s_cbranch_vccz .LBB153_1903
; %bb.1902:
	v_and_b32_e32 v4, 0xffff, v3
	s_mov_b32 s0, 0
	s_mov_b32 s3, -1
	global_store_b32 v[1:2], v4, off
.LBB153_1903:
	s_and_b32 vcc_lo, exec_lo, s6
	s_cbranch_vccz .LBB153_1908
; %bb.1904:
	v_cmp_eq_u16_e32 vcc_lo, 44, v6
	s_mov_b32 s0, -1
	s_cbranch_vccz .LBB153_1908
; %bb.1905:
	v_and_b32_e32 v4, 0xffff, v3
	v_mov_b32_e32 v5, 0xff
	s_mov_b32 s3, exec_lo
	s_delay_alu instid0(VALU_DEP_2) | instskip(NEXT) | instid1(VALU_DEP_1)
	v_bfe_u32 v7, v4, 7, 8
	v_cmpx_ne_u32_e32 0xff, v7
; %bb.1906:
	v_lshlrev_b32_e32 v5, 16, v4
	v_and_b32_e32 v8, 64, v4
	v_lshrrev_b32_e32 v4, 7, v4
	s_delay_alu instid0(VALU_DEP_3) | instskip(NEXT) | instid1(VALU_DEP_3)
	v_and_or_b32 v5, 0x3f0000, v5, v7
	v_cmp_ne_u32_e32 vcc_lo, 0, v8
	s_delay_alu instid0(VALU_DEP_2) | instskip(NEXT) | instid1(VALU_DEP_1)
	v_cmp_ne_u32_e64 s0, 0, v5
	s_and_b32 s0, vcc_lo, s0
	s_delay_alu instid0(SALU_CYCLE_1) | instskip(NEXT) | instid1(VALU_DEP_1)
	v_cndmask_b32_e64 v5, 0, 1, s0
	v_add_nc_u32_e32 v5, v4, v5
; %bb.1907:
	s_or_b32 exec_lo, exec_lo, s3
	s_mov_b32 s0, 0
	s_mov_b32 s3, -1
	global_store_b8 v[1:2], v5, off
.LBB153_1908:
	s_mov_b32 s6, 0
.LBB153_1909:
	s_delay_alu instid0(SALU_CYCLE_1)
	s_and_b32 vcc_lo, exec_lo, s6
	s_cbranch_vccz .LBB153_1912
; %bb.1910:
	v_cmp_eq_u16_e32 vcc_lo, 29, v6
	s_mov_b32 s0, -1
	s_cbranch_vccz .LBB153_1912
; %bb.1911:
	v_lshlrev_b32_e32 v4, 16, v3
	s_mov_b32 s0, 0
	s_mov_b32 s3, -1
	s_delay_alu instid0(VALU_DEP_1) | instskip(NEXT) | instid1(VALU_DEP_1)
	v_trunc_f32_e32 v4, v4
	v_mul_f32_e32 v5, 0x2f800000, v4
	s_delay_alu instid0(VALU_DEP_1) | instskip(NEXT) | instid1(VALU_DEP_1)
	v_floor_f32_e32 v5, v5
	v_fmamk_f32 v4, v5, 0xcf800000, v4
	v_cvt_u32_f32_e32 v5, v5
	s_delay_alu instid0(VALU_DEP_2)
	v_cvt_u32_f32_e32 v4, v4
	global_store_b64 v[1:2], v[4:5], off
.LBB153_1912:
	s_mov_b32 s6, 0
.LBB153_1913:
	s_delay_alu instid0(SALU_CYCLE_1)
	s_and_b32 vcc_lo, exec_lo, s6
	s_cbranch_vccz .LBB153_1929
; %bb.1914:
	v_cmp_gt_i16_e32 vcc_lo, 27, v6
	s_mov_b32 s3, -1
	s_cbranch_vccnz .LBB153_1920
; %bb.1915:
	v_cmp_lt_i16_e32 vcc_lo, 27, v6
	s_cbranch_vccz .LBB153_1917
; %bb.1916:
	v_lshlrev_b32_e32 v4, 16, v3
	s_mov_b32 s3, 0
	s_delay_alu instid0(VALU_DEP_1)
	v_cvt_u32_f32_e32 v4, v4
	global_store_b32 v[1:2], v4, off
.LBB153_1917:
	s_and_not1_b32 vcc_lo, exec_lo, s3
	s_cbranch_vccnz .LBB153_1919
; %bb.1918:
	v_lshlrev_b32_e32 v4, 16, v3
	s_delay_alu instid0(VALU_DEP_1)
	v_cvt_u32_f32_e32 v4, v4
	global_store_b16 v[1:2], v4, off
.LBB153_1919:
	s_mov_b32 s3, 0
.LBB153_1920:
	s_delay_alu instid0(SALU_CYCLE_1)
	s_and_not1_b32 vcc_lo, exec_lo, s3
	s_cbranch_vccnz .LBB153_1928
; %bb.1921:
	v_dual_mov_b32 v8, 0x80 :: v_dual_lshlrev_b32 v7, 16, v3
	s_mov_b32 s3, exec_lo
	s_delay_alu instid0(VALU_DEP_1) | instskip(NEXT) | instid1(VALU_DEP_1)
	v_and_b32_e32 v5, 0x7fffffff, v7
	v_cmpx_gt_u32_e32 0x43800000, v5
	s_cbranch_execz .LBB153_1927
; %bb.1922:
	v_and_b32_e32 v4, 0xffff, v3
	v_cmp_lt_u32_e32 vcc_lo, 0x3bffffff, v5
	s_mov_b32 s6, 0
                                        ; implicit-def: $vgpr5
	s_and_saveexec_b32 s7, vcc_lo
	s_delay_alu instid0(SALU_CYCLE_1)
	s_xor_b32 s7, exec_lo, s7
	s_cbranch_execz .LBB153_2153
; %bb.1923:
	v_bfe_u32 v5, v4, 4, 1
	s_mov_b32 s6, exec_lo
	s_delay_alu instid0(VALU_DEP_1) | instskip(NEXT) | instid1(VALU_DEP_1)
	v_add3_u32 v5, v7, v5, 0x487ffff
                                        ; implicit-def: $vgpr7
	v_lshrrev_b32_e32 v5, 20, v5
	s_or_saveexec_b32 s7, s7
                                        ; implicit-def: $sgpr10
	s_delay_alu instid0(SALU_CYCLE_1)
	s_xor_b32 exec_lo, exec_lo, s7
	s_cbranch_execnz .LBB153_2154
.LBB153_1924:
	s_or_b32 exec_lo, exec_lo, s7
	v_mov_b32_e32 v8, s10
	s_and_saveexec_b32 s7, s6
.LBB153_1925:
	v_lshrrev_b32_e32 v4, 8, v4
	s_delay_alu instid0(VALU_DEP_1)
	v_and_or_b32 v8, 0x80, v4, v5
.LBB153_1926:
	s_or_b32 exec_lo, exec_lo, s7
.LBB153_1927:
	s_delay_alu instid0(SALU_CYCLE_1)
	s_or_b32 exec_lo, exec_lo, s3
	global_store_b8 v[1:2], v8, off
.LBB153_1928:
	s_mov_b32 s3, -1
.LBB153_1929:
	s_mov_b32 s6, 0
.LBB153_1930:
	s_delay_alu instid0(SALU_CYCLE_1)
	s_and_b32 vcc_lo, exec_lo, s6
	s_cbranch_vccz .LBB153_1970
; %bb.1931:
	v_cmp_lt_i16_e32 vcc_lo, 22, v6
	s_mov_b32 s2, -1
	s_cbranch_vccz .LBB153_1963
; %bb.1932:
	v_cmp_gt_i16_e32 vcc_lo, 24, v6
	s_cbranch_vccnz .LBB153_1952
; %bb.1933:
	v_cmp_lt_i16_e32 vcc_lo, 24, v6
	s_cbranch_vccz .LBB153_1941
; %bb.1934:
	v_dual_mov_b32 v8, 0x80 :: v_dual_lshlrev_b32 v7, 16, v3
	s_mov_b32 s2, exec_lo
	s_delay_alu instid0(VALU_DEP_1) | instskip(NEXT) | instid1(VALU_DEP_1)
	v_and_b32_e32 v5, 0x7fffffff, v7
	v_cmpx_gt_u32_e32 0x47800000, v5
	s_cbranch_execz .LBB153_1940
; %bb.1935:
	v_and_b32_e32 v4, 0xffff, v3
	v_cmp_lt_u32_e32 vcc_lo, 0x37ffffff, v5
	s_mov_b32 s3, 0
                                        ; implicit-def: $vgpr5
	s_and_saveexec_b32 s6, vcc_lo
	s_delay_alu instid0(SALU_CYCLE_1)
	s_xor_b32 s6, exec_lo, s6
	s_cbranch_execz .LBB153_2159
; %bb.1936:
	v_bfe_u32 v5, v4, 5, 1
	s_mov_b32 s3, exec_lo
	s_delay_alu instid0(VALU_DEP_1) | instskip(NEXT) | instid1(VALU_DEP_1)
	v_add3_u32 v5, v7, v5, 0x88fffff
                                        ; implicit-def: $vgpr7
	v_lshrrev_b32_e32 v5, 21, v5
	s_or_saveexec_b32 s6, s6
                                        ; implicit-def: $sgpr7
	s_delay_alu instid0(SALU_CYCLE_1)
	s_xor_b32 exec_lo, exec_lo, s6
	s_cbranch_execnz .LBB153_2160
.LBB153_1937:
	s_or_b32 exec_lo, exec_lo, s6
	v_mov_b32_e32 v8, s7
	s_and_saveexec_b32 s6, s3
.LBB153_1938:
	v_lshrrev_b32_e32 v4, 8, v4
	s_delay_alu instid0(VALU_DEP_1)
	v_and_or_b32 v8, 0x80, v4, v5
.LBB153_1939:
	s_or_b32 exec_lo, exec_lo, s6
.LBB153_1940:
	s_delay_alu instid0(SALU_CYCLE_1)
	s_or_b32 exec_lo, exec_lo, s2
	s_mov_b32 s2, 0
	global_store_b8 v[1:2], v8, off
.LBB153_1941:
	s_and_b32 vcc_lo, exec_lo, s2
	s_cbranch_vccz .LBB153_1951
; %bb.1942:
	v_lshlrev_b32_e32 v7, 16, v3
	v_and_b32_e32 v4, 0xffff, v3
	s_mov_b32 s2, exec_lo
                                        ; implicit-def: $vgpr5
	s_delay_alu instid0(VALU_DEP_2) | instskip(NEXT) | instid1(VALU_DEP_1)
	v_and_b32_e32 v8, 0x7fffffff, v7
	v_cmpx_gt_u32_e32 0x43f00000, v8
	s_xor_b32 s2, exec_lo, s2
	s_cbranch_execz .LBB153_1948
; %bb.1943:
	s_mov_b32 s3, exec_lo
                                        ; implicit-def: $vgpr5
	v_cmpx_lt_u32_e32 0x3c7fffff, v8
	s_xor_b32 s3, exec_lo, s3
; %bb.1944:
	v_bfe_u32 v5, v4, 4, 1
	s_delay_alu instid0(VALU_DEP_1) | instskip(NEXT) | instid1(VALU_DEP_1)
	v_add3_u32 v5, v7, v5, 0x407ffff
	v_and_b32_e32 v7, 0xff00000, v5
	v_lshrrev_b32_e32 v5, 20, v5
	s_delay_alu instid0(VALU_DEP_2) | instskip(NEXT) | instid1(VALU_DEP_2)
	v_cmp_ne_u32_e32 vcc_lo, 0x7f00000, v7
                                        ; implicit-def: $vgpr7
	v_cndmask_b32_e32 v5, 0x7e, v5, vcc_lo
; %bb.1945:
	s_and_not1_saveexec_b32 s3, s3
; %bb.1946:
	v_add_f32_e64 v5, 0x46800000, |v7|
; %bb.1947:
	s_or_b32 exec_lo, exec_lo, s3
                                        ; implicit-def: $vgpr8
.LBB153_1948:
	s_and_not1_saveexec_b32 s2, s2
; %bb.1949:
	v_mov_b32_e32 v5, 0x7f
	v_cmp_lt_u32_e32 vcc_lo, 0x7f800000, v8
	s_delay_alu instid0(VALU_DEP_2)
	v_cndmask_b32_e32 v5, 0x7e, v5, vcc_lo
; %bb.1950:
	s_or_b32 exec_lo, exec_lo, s2
	v_lshrrev_b32_e32 v4, 8, v4
	s_delay_alu instid0(VALU_DEP_1)
	v_and_or_b32 v4, 0x80, v4, v5
	global_store_b8 v[1:2], v4, off
.LBB153_1951:
	s_mov_b32 s2, 0
.LBB153_1952:
	s_delay_alu instid0(SALU_CYCLE_1)
	s_and_not1_b32 vcc_lo, exec_lo, s2
	s_cbranch_vccnz .LBB153_1962
; %bb.1953:
	v_lshlrev_b32_e32 v7, 16, v3
	v_and_b32_e32 v4, 0xffff, v3
	s_mov_b32 s2, exec_lo
                                        ; implicit-def: $vgpr5
	s_delay_alu instid0(VALU_DEP_2) | instskip(NEXT) | instid1(VALU_DEP_1)
	v_and_b32_e32 v8, 0x7fffffff, v7
	v_cmpx_gt_u32_e32 0x47800000, v8
	s_xor_b32 s2, exec_lo, s2
	s_cbranch_execz .LBB153_1959
; %bb.1954:
	s_mov_b32 s3, exec_lo
                                        ; implicit-def: $vgpr5
	v_cmpx_lt_u32_e32 0x387fffff, v8
	s_xor_b32 s3, exec_lo, s3
; %bb.1955:
	v_bfe_u32 v5, v4, 5, 1
	s_delay_alu instid0(VALU_DEP_1) | instskip(NEXT) | instid1(VALU_DEP_1)
	v_add3_u32 v5, v7, v5, 0x80fffff
                                        ; implicit-def: $vgpr7
	v_lshrrev_b32_e32 v5, 21, v5
; %bb.1956:
	s_and_not1_saveexec_b32 s3, s3
; %bb.1957:
	v_add_f32_e64 v5, 0x43000000, |v7|
; %bb.1958:
	s_or_b32 exec_lo, exec_lo, s3
                                        ; implicit-def: $vgpr8
.LBB153_1959:
	s_and_not1_saveexec_b32 s2, s2
; %bb.1960:
	v_mov_b32_e32 v5, 0x7f
	v_cmp_lt_u32_e32 vcc_lo, 0x7f800000, v8
	s_delay_alu instid0(VALU_DEP_2)
	v_cndmask_b32_e32 v5, 0x7c, v5, vcc_lo
; %bb.1961:
	s_or_b32 exec_lo, exec_lo, s2
	v_lshrrev_b32_e32 v4, 8, v4
	s_delay_alu instid0(VALU_DEP_1)
	v_and_or_b32 v4, 0x80, v4, v5
	global_store_b8 v[1:2], v4, off
.LBB153_1962:
	s_mov_b32 s2, 0
	s_mov_b32 s3, -1
.LBB153_1963:
	s_and_not1_b32 vcc_lo, exec_lo, s2
	s_mov_b32 s2, 0
	s_cbranch_vccnz .LBB153_1970
; %bb.1964:
	v_cmp_lt_i16_e32 vcc_lo, 14, v6
	s_mov_b32 s2, -1
	s_cbranch_vccz .LBB153_1968
; %bb.1965:
	v_cmp_eq_u16_e32 vcc_lo, 15, v6
	s_mov_b32 s0, -1
	s_cbranch_vccz .LBB153_1967
; %bb.1966:
	s_mov_b32 s0, 0
	s_mov_b32 s3, -1
	global_store_b16 v[1:2], v3, off
.LBB153_1967:
	s_mov_b32 s2, 0
.LBB153_1968:
	s_delay_alu instid0(SALU_CYCLE_1)
	s_and_b32 vcc_lo, exec_lo, s2
	s_mov_b32 s2, 0
	s_cbranch_vccz .LBB153_1970
; %bb.1969:
	v_cmp_ne_u16_e64 s0, 11, v6
	s_mov_b32 s2, -1
.LBB153_1970:
	s_delay_alu instid0(VALU_DEP_1)
	s_and_b32 vcc_lo, exec_lo, s0
	s_cbranch_vccnz .LBB153_2157
; %bb.1971:
	s_and_not1_b32 vcc_lo, exec_lo, s2
	s_cbranch_vccnz .LBB153_1973
.LBB153_1972:
	v_and_b32_e32 v4, 0x7fff, v3
	s_mov_b32 s3, -1
	s_delay_alu instid0(VALU_DEP_1)
	v_cmp_ne_u16_e32 vcc_lo, 0, v4
	v_cndmask_b32_e64 v4, 0, 1, vcc_lo
	global_store_b8 v[1:2], v4, off
.LBB153_1973:
	s_mov_b32 s0, 0
.LBB153_1974:
	s_delay_alu instid0(SALU_CYCLE_1)
	s_and_b32 vcc_lo, exec_lo, s0
	s_cbranch_vccz .LBB153_2013
; %bb.1975:
	v_cmp_gt_i16_e32 vcc_lo, 5, v6
	s_mov_b32 s0, -1
	s_cbranch_vccnz .LBB153_1996
; %bb.1976:
	v_cmp_gt_i16_e32 vcc_lo, 8, v6
	s_cbranch_vccnz .LBB153_1986
; %bb.1977:
	v_cmp_gt_i16_e32 vcc_lo, 9, v6
	s_cbranch_vccnz .LBB153_1983
; %bb.1978:
	v_cmp_lt_i16_e32 vcc_lo, 9, v6
	s_cbranch_vccz .LBB153_1980
; %bb.1979:
	v_dual_mov_b32 v9, 0 :: v_dual_lshlrev_b32 v4, 16, v3
	s_mov_b32 s0, 0
	s_delay_alu instid0(VALU_DEP_1) | instskip(NEXT) | instid1(VALU_DEP_2)
	v_cvt_f64_f32_e32 v[7:8], v4
	v_mov_b32_e32 v10, v9
	global_store_b128 v[1:2], v[7:10], off
.LBB153_1980:
	s_and_not1_b32 vcc_lo, exec_lo, s0
	s_cbranch_vccnz .LBB153_1982
; %bb.1981:
	v_dual_mov_b32 v5, 0 :: v_dual_lshlrev_b32 v4, 16, v3
	global_store_b64 v[1:2], v[4:5], off
.LBB153_1982:
	s_mov_b32 s0, 0
.LBB153_1983:
	s_delay_alu instid0(SALU_CYCLE_1)
	s_and_not1_b32 vcc_lo, exec_lo, s0
	s_cbranch_vccnz .LBB153_1985
; %bb.1984:
	v_lshlrev_b32_e32 v4, 16, v3
	s_delay_alu instid0(VALU_DEP_1) | instskip(NEXT) | instid1(VALU_DEP_1)
	v_cvt_f16_f32_e32 v4, v4
	v_and_b32_e32 v4, 0xffff, v4
	global_store_b32 v[1:2], v4, off
.LBB153_1985:
	s_mov_b32 s0, 0
.LBB153_1986:
	s_delay_alu instid0(SALU_CYCLE_1)
	s_and_not1_b32 vcc_lo, exec_lo, s0
	s_cbranch_vccnz .LBB153_1995
; %bb.1987:
	v_cmp_gt_i16_e32 vcc_lo, 6, v6
	s_mov_b32 s0, -1
	s_cbranch_vccnz .LBB153_1993
; %bb.1988:
	v_cmp_lt_i16_e32 vcc_lo, 6, v6
	s_cbranch_vccz .LBB153_1990
; %bb.1989:
	v_lshlrev_b32_e32 v4, 16, v3
	s_mov_b32 s0, 0
	s_delay_alu instid0(VALU_DEP_1)
	v_cvt_f64_f32_e32 v[4:5], v4
	global_store_b64 v[1:2], v[4:5], off
.LBB153_1990:
	s_and_not1_b32 vcc_lo, exec_lo, s0
	s_cbranch_vccnz .LBB153_1992
; %bb.1991:
	v_lshlrev_b32_e32 v4, 16, v3
	global_store_b32 v[1:2], v4, off
.LBB153_1992:
	s_mov_b32 s0, 0
.LBB153_1993:
	s_delay_alu instid0(SALU_CYCLE_1)
	s_and_not1_b32 vcc_lo, exec_lo, s0
	s_cbranch_vccnz .LBB153_1995
; %bb.1994:
	v_lshlrev_b32_e32 v4, 16, v3
	s_delay_alu instid0(VALU_DEP_1)
	v_cvt_f16_f32_e32 v4, v4
	global_store_b16 v[1:2], v4, off
.LBB153_1995:
	s_mov_b32 s0, 0
.LBB153_1996:
	s_delay_alu instid0(SALU_CYCLE_1)
	s_and_not1_b32 vcc_lo, exec_lo, s0
	s_cbranch_vccnz .LBB153_2012
; %bb.1997:
	v_cmp_gt_i16_e32 vcc_lo, 2, v6
	s_mov_b32 s0, -1
	s_cbranch_vccnz .LBB153_2007
; %bb.1998:
	v_cmp_gt_i16_e32 vcc_lo, 3, v6
	s_cbranch_vccnz .LBB153_2004
; %bb.1999:
	v_cmp_lt_i16_e32 vcc_lo, 3, v6
	s_cbranch_vccz .LBB153_2001
; %bb.2000:
	v_lshlrev_b32_e32 v4, 16, v3
	s_mov_b32 s0, 0
	s_delay_alu instid0(VALU_DEP_1) | instskip(NEXT) | instid1(VALU_DEP_1)
	v_trunc_f32_e32 v4, v4
	v_mul_f32_e64 v5, 0x2f800000, |v4|
	v_ashrrev_i32_e32 v8, 31, v4
	s_delay_alu instid0(VALU_DEP_2) | instskip(NEXT) | instid1(VALU_DEP_1)
	v_floor_f32_e32 v5, v5
	v_fma_f32 v7, 0xcf800000, v5, |v4|
	v_cvt_u32_f32_e32 v5, v5
	s_delay_alu instid0(VALU_DEP_2) | instskip(NEXT) | instid1(VALU_DEP_2)
	v_cvt_u32_f32_e32 v4, v7
	v_xor_b32_e32 v5, v5, v8
	s_delay_alu instid0(VALU_DEP_2) | instskip(NEXT) | instid1(VALU_DEP_1)
	v_xor_b32_e32 v4, v4, v8
	v_sub_co_u32 v4, vcc_lo, v4, v8
	s_delay_alu instid0(VALU_DEP_3)
	v_sub_co_ci_u32_e32 v5, vcc_lo, v5, v8, vcc_lo
	global_store_b64 v[1:2], v[4:5], off
.LBB153_2001:
	s_and_not1_b32 vcc_lo, exec_lo, s0
	s_cbranch_vccnz .LBB153_2003
; %bb.2002:
	v_lshlrev_b32_e32 v4, 16, v3
	s_delay_alu instid0(VALU_DEP_1)
	v_cvt_i32_f32_e32 v4, v4
	global_store_b32 v[1:2], v4, off
.LBB153_2003:
	s_mov_b32 s0, 0
.LBB153_2004:
	s_delay_alu instid0(SALU_CYCLE_1)
	s_and_not1_b32 vcc_lo, exec_lo, s0
	s_cbranch_vccnz .LBB153_2006
; %bb.2005:
	v_lshlrev_b32_e32 v4, 16, v3
	s_delay_alu instid0(VALU_DEP_1)
	v_cvt_i32_f32_e32 v4, v4
	global_store_b16 v[1:2], v4, off
.LBB153_2006:
	s_mov_b32 s0, 0
.LBB153_2007:
	s_delay_alu instid0(SALU_CYCLE_1)
	s_and_not1_b32 vcc_lo, exec_lo, s0
	s_cbranch_vccnz .LBB153_2012
; %bb.2008:
	v_cmp_lt_i16_e32 vcc_lo, 0, v6
	v_lshlrev_b32_e32 v3, 16, v3
	s_mov_b32 s0, -1
	s_cbranch_vccz .LBB153_2010
; %bb.2009:
	s_delay_alu instid0(VALU_DEP_1)
	v_cvt_i32_f32_e32 v4, v3
	s_mov_b32 s0, 0
	global_store_b8 v[1:2], v4, off
.LBB153_2010:
	s_and_not1_b32 vcc_lo, exec_lo, s0
	s_cbranch_vccnz .LBB153_2012
; %bb.2011:
	v_trunc_f32_e32 v3, v3
	s_delay_alu instid0(VALU_DEP_1) | instskip(NEXT) | instid1(VALU_DEP_1)
	v_mul_f32_e64 v4, 0x2f800000, |v3|
	v_floor_f32_e32 v4, v4
	s_delay_alu instid0(VALU_DEP_1) | instskip(SKIP_1) | instid1(VALU_DEP_2)
	v_fma_f32 v4, 0xcf800000, v4, |v3|
	v_ashrrev_i32_e32 v3, 31, v3
	v_cvt_u32_f32_e32 v4, v4
	s_delay_alu instid0(VALU_DEP_1) | instskip(NEXT) | instid1(VALU_DEP_1)
	v_xor_b32_e32 v4, v4, v3
	v_sub_nc_u32_e32 v3, v4, v3
	global_store_b8 v[1:2], v3, off
.LBB153_2012:
	s_mov_b32 s3, -1
.LBB153_2013:
	s_delay_alu instid0(SALU_CYCLE_1)
	s_and_not1_b32 vcc_lo, exec_lo, s3
	s_cbranch_vccnz .LBB153_2090
; %bb.2014:
	v_lshlrev_b32_e32 v1, 16, v11
	s_mov_b32 s0, 0x395133b1
	s_mov_b32 s2, 0
	s_delay_alu instid0(VALU_DEP_1) | instskip(NEXT) | instid1(VALU_DEP_1)
	v_mul_f32_e32 v2, 0x3fb8aa3b, v1
	v_rndne_f32_e32 v2, v2
	s_delay_alu instid0(VALU_DEP_1) | instskip(SKIP_2) | instid1(VALU_DEP_3)
	v_fmamk_f32 v3, v2, 0xbf317218, v1
	v_cvt_i32_f32_e32 v5, v2
	v_cmp_eq_f32_e32 vcc_lo, 0x43000000, v2
	v_fmamk_f32 v3, v2, 0x3102e308, v3
	s_delay_alu instid0(VALU_DEP_3) | instskip(NEXT) | instid1(VALU_DEP_1)
	v_cndmask_b32_e64 v2, v5, 0x7f, vcc_lo
	v_ldexp_f32 v2, 1.0, v2
	s_delay_alu instid0(VALU_DEP_3) | instskip(SKIP_1) | instid1(VALU_DEP_2)
	v_fmaak_f32 v4, s0, v3, 0x3ab69700
	v_add_co_u32 v0, s0, s4, v0
	v_dual_add_f32 v5, -1.0, v2 :: v_dual_fmaak_f32 v4, v3, v4, 0x3c0887f9
	s_delay_alu instid0(VALU_DEP_1) | instskip(NEXT) | instid1(VALU_DEP_1)
	v_fmaak_f32 v4, v3, v4, 0x3d2aaa81
	v_fmaak_f32 v4, v3, v4, 0x3e2aaaab
	s_delay_alu instid0(VALU_DEP_1) | instskip(NEXT) | instid1(VALU_DEP_1)
	v_fma_f32 v4, v3, v4, 0.5
	v_mul_f32_e32 v4, v3, v4
	s_delay_alu instid0(VALU_DEP_1) | instskip(NEXT) | instid1(VALU_DEP_1)
	v_fmac_f32_e32 v3, v3, v4
	v_fmac_f32_e32 v5, v2, v3
	s_delay_alu instid0(VALU_DEP_1) | instskip(NEXT) | instid1(VALU_DEP_1)
	v_add_f32_e32 v2, v5, v5
	v_cndmask_b32_e32 v2, v5, v2, vcc_lo
	v_cmp_nlt_f32_e32 vcc_lo, 0x42b17217, v1
	s_delay_alu instid0(VALU_DEP_2) | instskip(SKIP_1) | instid1(VALU_DEP_2)
	v_cndmask_b32_e32 v2, 0x7f800000, v2, vcc_lo
	v_cmp_ngt_f32_e32 vcc_lo, 0xc1880000, v1
	v_cndmask_b32_e32 v2, -1.0, v2, vcc_lo
	v_cmp_gt_i16_e32 vcc_lo, 11, v6
	s_delay_alu instid0(VALU_DEP_2) | instskip(SKIP_1) | instid1(VALU_DEP_1)
	v_bfe_u32 v1, v2, 16, 1
	s_and_b32 vcc_lo, exec_lo, vcc_lo
	v_add3_u32 v1, v2, v1, 0x7fff
	s_delay_alu instid0(VALU_DEP_1) | instskip(SKIP_2) | instid1(VALU_DEP_1)
	v_lshrrev_b32_e32 v3, 16, v1
	v_add_co_ci_u32_e64 v1, null, s5, 0, s0
	v_cmp_o_f32_e64 s0, v2, v2
	v_cndmask_b32_e64 v2, 0x7fc0, v3, s0
	s_mov_b32 s0, -1
	s_cbranch_vccnz .LBB153_2091
; %bb.2015:
	v_cmp_lt_i16_e32 vcc_lo, 25, v6
	s_mov_b32 s3, -1
	s_mov_b32 s0, 0
	s_cbranch_vccz .LBB153_2048
; %bb.2016:
	v_cmp_lt_i16_e32 vcc_lo, 28, v6
	s_cbranch_vccz .LBB153_2032
; %bb.2017:
	v_cmp_lt_i16_e32 vcc_lo, 43, v6
	;; [unrolled: 3-line block ×3, first 2 shown]
	s_cbranch_vccz .LBB153_2022
; %bb.2019:
	v_cmp_eq_u16_e32 vcc_lo, 46, v6
	s_mov_b32 s0, -1
	s_cbranch_vccz .LBB153_2021
; %bb.2020:
	v_and_b32_e32 v3, 0xffff, v2
	s_mov_b32 s0, 0
	global_store_b32 v[0:1], v3, off
.LBB153_2021:
	s_mov_b32 s3, 0
.LBB153_2022:
	s_delay_alu instid0(SALU_CYCLE_1)
	s_and_b32 vcc_lo, exec_lo, s3
	s_cbranch_vccz .LBB153_2027
; %bb.2023:
	v_cmp_eq_u16_e32 vcc_lo, 44, v6
	s_mov_b32 s0, -1
	s_cbranch_vccz .LBB153_2027
; %bb.2024:
	v_and_b32_e32 v3, 0xffff, v2
	v_mov_b32_e32 v4, 0xff
	s_mov_b32 s3, exec_lo
	s_delay_alu instid0(VALU_DEP_2) | instskip(NEXT) | instid1(VALU_DEP_1)
	v_bfe_u32 v5, v3, 7, 8
	v_cmpx_ne_u32_e32 0xff, v5
; %bb.2025:
	v_lshlrev_b32_e32 v4, 16, v3
	v_and_b32_e32 v7, 64, v3
	v_lshrrev_b32_e32 v3, 7, v3
	s_delay_alu instid0(VALU_DEP_3) | instskip(NEXT) | instid1(VALU_DEP_3)
	v_and_or_b32 v4, 0x3f0000, v4, v5
	v_cmp_ne_u32_e32 vcc_lo, 0, v7
	s_delay_alu instid0(VALU_DEP_2) | instskip(NEXT) | instid1(VALU_DEP_1)
	v_cmp_ne_u32_e64 s0, 0, v4
	s_and_b32 s0, vcc_lo, s0
	s_delay_alu instid0(SALU_CYCLE_1) | instskip(NEXT) | instid1(VALU_DEP_1)
	v_cndmask_b32_e64 v4, 0, 1, s0
	v_add_nc_u32_e32 v4, v3, v4
; %bb.2026:
	s_or_b32 exec_lo, exec_lo, s3
	s_mov_b32 s0, 0
	global_store_b8 v[0:1], v4, off
.LBB153_2027:
	s_mov_b32 s3, 0
.LBB153_2028:
	s_delay_alu instid0(SALU_CYCLE_1)
	s_and_b32 vcc_lo, exec_lo, s3
	s_cbranch_vccz .LBB153_2031
; %bb.2029:
	v_cmp_eq_u16_e32 vcc_lo, 29, v6
	s_mov_b32 s0, -1
	s_cbranch_vccz .LBB153_2031
; %bb.2030:
	v_lshlrev_b32_e32 v3, 16, v2
	s_mov_b32 s0, 0
	s_delay_alu instid0(VALU_DEP_1) | instskip(NEXT) | instid1(VALU_DEP_1)
	v_trunc_f32_e32 v3, v3
	v_mul_f32_e32 v4, 0x2f800000, v3
	s_delay_alu instid0(VALU_DEP_1) | instskip(NEXT) | instid1(VALU_DEP_1)
	v_floor_f32_e32 v4, v4
	v_fmamk_f32 v3, v4, 0xcf800000, v3
	v_cvt_u32_f32_e32 v4, v4
	s_delay_alu instid0(VALU_DEP_2)
	v_cvt_u32_f32_e32 v3, v3
	global_store_b64 v[0:1], v[3:4], off
.LBB153_2031:
	s_mov_b32 s3, 0
.LBB153_2032:
	s_delay_alu instid0(SALU_CYCLE_1)
	s_and_b32 vcc_lo, exec_lo, s3
	s_cbranch_vccz .LBB153_2047
; %bb.2033:
	v_cmp_gt_i16_e32 vcc_lo, 27, v6
	s_mov_b32 s3, -1
	s_cbranch_vccnz .LBB153_2039
; %bb.2034:
	v_cmp_lt_i16_e32 vcc_lo, 27, v6
	s_cbranch_vccz .LBB153_2036
; %bb.2035:
	v_lshlrev_b32_e32 v3, 16, v2
	s_mov_b32 s3, 0
	s_delay_alu instid0(VALU_DEP_1)
	v_cvt_u32_f32_e32 v3, v3
	global_store_b32 v[0:1], v3, off
.LBB153_2036:
	s_and_not1_b32 vcc_lo, exec_lo, s3
	s_cbranch_vccnz .LBB153_2038
; %bb.2037:
	v_lshlrev_b32_e32 v3, 16, v2
	s_delay_alu instid0(VALU_DEP_1)
	v_cvt_u32_f32_e32 v3, v3
	global_store_b16 v[0:1], v3, off
.LBB153_2038:
	s_mov_b32 s3, 0
.LBB153_2039:
	s_delay_alu instid0(SALU_CYCLE_1)
	s_and_not1_b32 vcc_lo, exec_lo, s3
	s_cbranch_vccnz .LBB153_2047
; %bb.2040:
	v_lshlrev_b32_e32 v5, 16, v2
	v_mov_b32_e32 v7, 0x80
	s_mov_b32 s3, exec_lo
	s_delay_alu instid0(VALU_DEP_2) | instskip(NEXT) | instid1(VALU_DEP_1)
	v_and_b32_e32 v4, 0x7fffffff, v5
	v_cmpx_gt_u32_e32 0x43800000, v4
	s_cbranch_execz .LBB153_2046
; %bb.2041:
	v_and_b32_e32 v3, 0xffff, v2
	v_cmp_lt_u32_e32 vcc_lo, 0x3bffffff, v4
	s_mov_b32 s4, 0
                                        ; implicit-def: $vgpr4
	s_and_saveexec_b32 s5, vcc_lo
	s_delay_alu instid0(SALU_CYCLE_1)
	s_xor_b32 s5, exec_lo, s5
	s_cbranch_execz .LBB153_2161
; %bb.2042:
	v_bfe_u32 v4, v3, 4, 1
	s_mov_b32 s4, exec_lo
	s_delay_alu instid0(VALU_DEP_1) | instskip(NEXT) | instid1(VALU_DEP_1)
	v_add3_u32 v4, v5, v4, 0x487ffff
                                        ; implicit-def: $vgpr5
	v_lshrrev_b32_e32 v4, 20, v4
	s_or_saveexec_b32 s5, s5
                                        ; implicit-def: $sgpr6
	s_delay_alu instid0(SALU_CYCLE_1)
	s_xor_b32 exec_lo, exec_lo, s5
	s_cbranch_execnz .LBB153_2162
.LBB153_2043:
	s_or_b32 exec_lo, exec_lo, s5
	v_mov_b32_e32 v7, s6
	s_and_saveexec_b32 s5, s4
.LBB153_2044:
	v_lshrrev_b32_e32 v3, 8, v3
	s_delay_alu instid0(VALU_DEP_1)
	v_and_or_b32 v7, 0x80, v3, v4
.LBB153_2045:
	s_or_b32 exec_lo, exec_lo, s5
.LBB153_2046:
	s_delay_alu instid0(SALU_CYCLE_1)
	s_or_b32 exec_lo, exec_lo, s3
	global_store_b8 v[0:1], v7, off
.LBB153_2047:
	s_mov_b32 s3, 0
.LBB153_2048:
	s_delay_alu instid0(SALU_CYCLE_1)
	s_and_b32 vcc_lo, exec_lo, s3
	s_cbranch_vccz .LBB153_2088
; %bb.2049:
	v_cmp_lt_i16_e32 vcc_lo, 22, v6
	s_mov_b32 s2, -1
	s_cbranch_vccz .LBB153_2081
; %bb.2050:
	v_cmp_gt_i16_e32 vcc_lo, 24, v6
	s_cbranch_vccnz .LBB153_2070
; %bb.2051:
	v_cmp_lt_i16_e32 vcc_lo, 24, v6
	s_cbranch_vccz .LBB153_2059
; %bb.2052:
	v_lshlrev_b32_e32 v5, 16, v2
	v_mov_b32_e32 v7, 0x80
	s_mov_b32 s2, exec_lo
	s_delay_alu instid0(VALU_DEP_2) | instskip(NEXT) | instid1(VALU_DEP_1)
	v_and_b32_e32 v4, 0x7fffffff, v5
	v_cmpx_gt_u32_e32 0x47800000, v4
	s_cbranch_execz .LBB153_2058
; %bb.2053:
	v_and_b32_e32 v3, 0xffff, v2
	v_cmp_lt_u32_e32 vcc_lo, 0x37ffffff, v4
	s_mov_b32 s3, 0
                                        ; implicit-def: $vgpr4
	s_and_saveexec_b32 s4, vcc_lo
	s_delay_alu instid0(SALU_CYCLE_1)
	s_xor_b32 s4, exec_lo, s4
	s_cbranch_execz .LBB153_2167
; %bb.2054:
	v_bfe_u32 v4, v3, 5, 1
	s_mov_b32 s3, exec_lo
	s_delay_alu instid0(VALU_DEP_1) | instskip(NEXT) | instid1(VALU_DEP_1)
	v_add3_u32 v4, v5, v4, 0x88fffff
                                        ; implicit-def: $vgpr5
	v_lshrrev_b32_e32 v4, 21, v4
	s_or_saveexec_b32 s4, s4
                                        ; implicit-def: $sgpr5
	s_delay_alu instid0(SALU_CYCLE_1)
	s_xor_b32 exec_lo, exec_lo, s4
	s_cbranch_execnz .LBB153_2168
.LBB153_2055:
	s_or_b32 exec_lo, exec_lo, s4
	v_mov_b32_e32 v7, s5
	s_and_saveexec_b32 s4, s3
.LBB153_2056:
	v_lshrrev_b32_e32 v3, 8, v3
	s_delay_alu instid0(VALU_DEP_1)
	v_and_or_b32 v7, 0x80, v3, v4
.LBB153_2057:
	s_or_b32 exec_lo, exec_lo, s4
.LBB153_2058:
	s_delay_alu instid0(SALU_CYCLE_1)
	s_or_b32 exec_lo, exec_lo, s2
	s_mov_b32 s2, 0
	global_store_b8 v[0:1], v7, off
.LBB153_2059:
	s_and_b32 vcc_lo, exec_lo, s2
	s_cbranch_vccz .LBB153_2069
; %bb.2060:
	v_lshlrev_b32_e32 v5, 16, v2
	v_and_b32_e32 v3, 0xffff, v2
	s_mov_b32 s2, exec_lo
                                        ; implicit-def: $vgpr4
	s_delay_alu instid0(VALU_DEP_2) | instskip(NEXT) | instid1(VALU_DEP_1)
	v_and_b32_e32 v7, 0x7fffffff, v5
	v_cmpx_gt_u32_e32 0x43f00000, v7
	s_xor_b32 s2, exec_lo, s2
	s_cbranch_execz .LBB153_2066
; %bb.2061:
	s_mov_b32 s3, exec_lo
                                        ; implicit-def: $vgpr4
	v_cmpx_lt_u32_e32 0x3c7fffff, v7
	s_xor_b32 s3, exec_lo, s3
; %bb.2062:
	v_bfe_u32 v4, v3, 4, 1
	s_delay_alu instid0(VALU_DEP_1) | instskip(NEXT) | instid1(VALU_DEP_1)
	v_add3_u32 v4, v5, v4, 0x407ffff
	v_and_b32_e32 v5, 0xff00000, v4
	v_lshrrev_b32_e32 v4, 20, v4
	s_delay_alu instid0(VALU_DEP_2) | instskip(NEXT) | instid1(VALU_DEP_2)
	v_cmp_ne_u32_e32 vcc_lo, 0x7f00000, v5
                                        ; implicit-def: $vgpr5
	v_cndmask_b32_e32 v4, 0x7e, v4, vcc_lo
; %bb.2063:
	s_and_not1_saveexec_b32 s3, s3
; %bb.2064:
	v_add_f32_e64 v4, 0x46800000, |v5|
; %bb.2065:
	s_or_b32 exec_lo, exec_lo, s3
                                        ; implicit-def: $vgpr7
.LBB153_2066:
	s_and_not1_saveexec_b32 s2, s2
; %bb.2067:
	v_mov_b32_e32 v4, 0x7f
	v_cmp_lt_u32_e32 vcc_lo, 0x7f800000, v7
	s_delay_alu instid0(VALU_DEP_2)
	v_cndmask_b32_e32 v4, 0x7e, v4, vcc_lo
; %bb.2068:
	s_or_b32 exec_lo, exec_lo, s2
	v_lshrrev_b32_e32 v3, 8, v3
	s_delay_alu instid0(VALU_DEP_1)
	v_and_or_b32 v3, 0x80, v3, v4
	global_store_b8 v[0:1], v3, off
.LBB153_2069:
	s_mov_b32 s2, 0
.LBB153_2070:
	s_delay_alu instid0(SALU_CYCLE_1)
	s_and_not1_b32 vcc_lo, exec_lo, s2
	s_cbranch_vccnz .LBB153_2080
; %bb.2071:
	v_lshlrev_b32_e32 v5, 16, v2
	v_and_b32_e32 v3, 0xffff, v2
	s_mov_b32 s2, exec_lo
                                        ; implicit-def: $vgpr4
	s_delay_alu instid0(VALU_DEP_2) | instskip(NEXT) | instid1(VALU_DEP_1)
	v_and_b32_e32 v7, 0x7fffffff, v5
	v_cmpx_gt_u32_e32 0x47800000, v7
	s_xor_b32 s2, exec_lo, s2
	s_cbranch_execz .LBB153_2077
; %bb.2072:
	s_mov_b32 s3, exec_lo
                                        ; implicit-def: $vgpr4
	v_cmpx_lt_u32_e32 0x387fffff, v7
	s_xor_b32 s3, exec_lo, s3
; %bb.2073:
	v_bfe_u32 v4, v3, 5, 1
	s_delay_alu instid0(VALU_DEP_1) | instskip(NEXT) | instid1(VALU_DEP_1)
	v_add3_u32 v4, v5, v4, 0x80fffff
                                        ; implicit-def: $vgpr5
	v_lshrrev_b32_e32 v4, 21, v4
; %bb.2074:
	s_and_not1_saveexec_b32 s3, s3
; %bb.2075:
	v_add_f32_e64 v4, 0x43000000, |v5|
; %bb.2076:
	s_or_b32 exec_lo, exec_lo, s3
                                        ; implicit-def: $vgpr7
.LBB153_2077:
	s_and_not1_saveexec_b32 s2, s2
; %bb.2078:
	v_mov_b32_e32 v4, 0x7f
	v_cmp_lt_u32_e32 vcc_lo, 0x7f800000, v7
	s_delay_alu instid0(VALU_DEP_2)
	v_cndmask_b32_e32 v4, 0x7c, v4, vcc_lo
; %bb.2079:
	s_or_b32 exec_lo, exec_lo, s2
	v_lshrrev_b32_e32 v3, 8, v3
	s_delay_alu instid0(VALU_DEP_1)
	v_and_or_b32 v3, 0x80, v3, v4
	global_store_b8 v[0:1], v3, off
.LBB153_2080:
	s_mov_b32 s2, 0
.LBB153_2081:
	s_delay_alu instid0(SALU_CYCLE_1)
	s_and_not1_b32 vcc_lo, exec_lo, s2
	s_mov_b32 s2, 0
	s_cbranch_vccnz .LBB153_2088
; %bb.2082:
	v_cmp_lt_i16_e32 vcc_lo, 14, v6
	s_mov_b32 s2, -1
	s_cbranch_vccz .LBB153_2086
; %bb.2083:
	v_cmp_eq_u16_e32 vcc_lo, 15, v6
	s_mov_b32 s0, -1
	s_cbranch_vccz .LBB153_2085
; %bb.2084:
	s_mov_b32 s0, 0
	global_store_b16 v[0:1], v2, off
.LBB153_2085:
	s_mov_b32 s2, 0
.LBB153_2086:
	s_delay_alu instid0(SALU_CYCLE_1)
	s_and_b32 vcc_lo, exec_lo, s2
	s_mov_b32 s2, 0
	s_cbranch_vccz .LBB153_2088
; %bb.2087:
	v_cmp_ne_u16_e64 s0, 11, v6
	s_mov_b32 s2, -1
.LBB153_2088:
	s_delay_alu instid0(VALU_DEP_1)
	s_and_b32 vcc_lo, exec_lo, s0
	s_cbranch_vccnz .LBB153_2165
.LBB153_2089:
	s_mov_b32 s0, 0
	s_branch .LBB153_2091
.LBB153_2090:
	s_mov_b32 s0, 0
	s_mov_b32 s2, 0
                                        ; implicit-def: $vgpr0_vgpr1
                                        ; implicit-def: $vgpr6
                                        ; implicit-def: $vgpr2
.LBB153_2091:
	s_and_b32 s3, s0, exec_lo
	s_and_not1_b32 s0, s8, exec_lo
	s_and_b32 s1, s1, exec_lo
	s_and_b32 s26, s2, exec_lo
	s_or_b32 s8, s0, s1
.LBB153_2092:
	s_or_b32 exec_lo, exec_lo, s9
	s_and_saveexec_b32 s0, s8
	s_cbranch_execz .LBB153_2095
; %bb.2093:
	; divergent unreachable
	s_or_b32 exec_lo, exec_lo, s0
	s_and_saveexec_b32 s0, s26
	s_delay_alu instid0(SALU_CYCLE_1)
	s_xor_b32 s0, exec_lo, s0
	s_cbranch_execnz .LBB153_2096
.LBB153_2094:
	s_or_b32 exec_lo, exec_lo, s0
	s_and_saveexec_b32 s0, s3
	s_cbranch_execnz .LBB153_2097
	s_branch .LBB153_2134
.LBB153_2095:
	s_or_b32 exec_lo, exec_lo, s0
	s_and_saveexec_b32 s0, s26
	s_delay_alu instid0(SALU_CYCLE_1)
	s_xor_b32 s0, exec_lo, s0
	s_cbranch_execz .LBB153_2094
.LBB153_2096:
	v_and_b32_e32 v3, 0x7fff, v2
	s_delay_alu instid0(VALU_DEP_1)
	v_cmp_ne_u16_e32 vcc_lo, 0, v3
	v_cndmask_b32_e64 v3, 0, 1, vcc_lo
	global_store_b8 v[0:1], v3, off
	s_or_b32 exec_lo, exec_lo, s0
	s_and_saveexec_b32 s0, s3
	s_cbranch_execz .LBB153_2134
.LBB153_2097:
	s_waitcnt vmcnt(0)
	v_cmp_gt_i16_e32 vcc_lo, 5, v6
	s_mov_b32 s0, -1
	s_cbranch_vccnz .LBB153_2118
; %bb.2098:
	v_cmp_gt_i16_e32 vcc_lo, 8, v6
	s_cbranch_vccnz .LBB153_2108
; %bb.2099:
	v_cmp_gt_i16_e32 vcc_lo, 9, v6
	s_cbranch_vccnz .LBB153_2105
; %bb.2100:
	v_cmp_lt_i16_e32 vcc_lo, 9, v6
	s_cbranch_vccz .LBB153_2102
; %bb.2101:
	v_mov_b32_e32 v9, 0
	v_lshlrev_b32_e32 v3, 16, v2
	s_mov_b32 s0, 0
	s_delay_alu instid0(VALU_DEP_2) | instskip(NEXT) | instid1(VALU_DEP_2)
	v_mov_b32_e32 v10, v9
	v_cvt_f64_f32_e32 v[7:8], v3
	global_store_b128 v[0:1], v[7:10], off
.LBB153_2102:
	s_and_not1_b32 vcc_lo, exec_lo, s0
	s_cbranch_vccnz .LBB153_2104
; %bb.2103:
	v_dual_mov_b32 v4, 0 :: v_dual_lshlrev_b32 v3, 16, v2
	global_store_b64 v[0:1], v[3:4], off
.LBB153_2104:
	s_mov_b32 s0, 0
.LBB153_2105:
	s_delay_alu instid0(SALU_CYCLE_1)
	s_and_not1_b32 vcc_lo, exec_lo, s0
	s_cbranch_vccnz .LBB153_2107
; %bb.2106:
	v_lshlrev_b32_e32 v3, 16, v2
	s_delay_alu instid0(VALU_DEP_1) | instskip(NEXT) | instid1(VALU_DEP_1)
	v_cvt_f16_f32_e32 v3, v3
	v_and_b32_e32 v3, 0xffff, v3
	global_store_b32 v[0:1], v3, off
.LBB153_2107:
	s_mov_b32 s0, 0
.LBB153_2108:
	s_delay_alu instid0(SALU_CYCLE_1)
	s_and_not1_b32 vcc_lo, exec_lo, s0
	s_cbranch_vccnz .LBB153_2117
; %bb.2109:
	v_cmp_gt_i16_e32 vcc_lo, 6, v6
	s_mov_b32 s0, -1
	s_cbranch_vccnz .LBB153_2115
; %bb.2110:
	v_cmp_lt_i16_e32 vcc_lo, 6, v6
	s_cbranch_vccz .LBB153_2112
; %bb.2111:
	v_lshlrev_b32_e32 v3, 16, v2
	s_mov_b32 s0, 0
	s_delay_alu instid0(VALU_DEP_1)
	v_cvt_f64_f32_e32 v[3:4], v3
	global_store_b64 v[0:1], v[3:4], off
.LBB153_2112:
	s_and_not1_b32 vcc_lo, exec_lo, s0
	s_cbranch_vccnz .LBB153_2114
; %bb.2113:
	v_lshlrev_b32_e32 v3, 16, v2
	global_store_b32 v[0:1], v3, off
.LBB153_2114:
	s_mov_b32 s0, 0
.LBB153_2115:
	s_delay_alu instid0(SALU_CYCLE_1)
	s_and_not1_b32 vcc_lo, exec_lo, s0
	s_cbranch_vccnz .LBB153_2117
; %bb.2116:
	v_lshlrev_b32_e32 v3, 16, v2
	s_delay_alu instid0(VALU_DEP_1)
	v_cvt_f16_f32_e32 v3, v3
	global_store_b16 v[0:1], v3, off
.LBB153_2117:
	s_mov_b32 s0, 0
.LBB153_2118:
	s_delay_alu instid0(SALU_CYCLE_1)
	s_and_not1_b32 vcc_lo, exec_lo, s0
	s_cbranch_vccnz .LBB153_2134
; %bb.2119:
	v_cmp_gt_i16_e32 vcc_lo, 2, v6
	s_mov_b32 s0, -1
	s_cbranch_vccnz .LBB153_2129
; %bb.2120:
	v_cmp_gt_i16_e32 vcc_lo, 3, v6
	s_cbranch_vccnz .LBB153_2126
; %bb.2121:
	v_cmp_lt_i16_e32 vcc_lo, 3, v6
	s_cbranch_vccz .LBB153_2123
; %bb.2122:
	v_lshlrev_b32_e32 v3, 16, v2
	s_mov_b32 s0, 0
	s_delay_alu instid0(VALU_DEP_1) | instskip(NEXT) | instid1(VALU_DEP_1)
	v_trunc_f32_e32 v3, v3
	v_mul_f32_e64 v4, 0x2f800000, |v3|
	v_ashrrev_i32_e32 v7, 31, v3
	s_delay_alu instid0(VALU_DEP_2) | instskip(NEXT) | instid1(VALU_DEP_1)
	v_floor_f32_e32 v4, v4
	v_fma_f32 v5, 0xcf800000, v4, |v3|
	v_cvt_u32_f32_e32 v4, v4
	s_delay_alu instid0(VALU_DEP_2) | instskip(NEXT) | instid1(VALU_DEP_2)
	v_cvt_u32_f32_e32 v3, v5
	v_xor_b32_e32 v4, v4, v7
	s_delay_alu instid0(VALU_DEP_2) | instskip(NEXT) | instid1(VALU_DEP_1)
	v_xor_b32_e32 v3, v3, v7
	v_sub_co_u32 v3, vcc_lo, v3, v7
	s_delay_alu instid0(VALU_DEP_3)
	v_sub_co_ci_u32_e32 v4, vcc_lo, v4, v7, vcc_lo
	global_store_b64 v[0:1], v[3:4], off
.LBB153_2123:
	s_and_not1_b32 vcc_lo, exec_lo, s0
	s_cbranch_vccnz .LBB153_2125
; %bb.2124:
	v_lshlrev_b32_e32 v3, 16, v2
	s_delay_alu instid0(VALU_DEP_1)
	v_cvt_i32_f32_e32 v3, v3
	global_store_b32 v[0:1], v3, off
.LBB153_2125:
	s_mov_b32 s0, 0
.LBB153_2126:
	s_delay_alu instid0(SALU_CYCLE_1)
	s_and_not1_b32 vcc_lo, exec_lo, s0
	s_cbranch_vccnz .LBB153_2128
; %bb.2127:
	v_lshlrev_b32_e32 v3, 16, v2
	s_delay_alu instid0(VALU_DEP_1)
	v_cvt_i32_f32_e32 v3, v3
	global_store_b16 v[0:1], v3, off
.LBB153_2128:
	s_mov_b32 s0, 0
.LBB153_2129:
	s_delay_alu instid0(SALU_CYCLE_1)
	s_and_not1_b32 vcc_lo, exec_lo, s0
	s_cbranch_vccnz .LBB153_2134
; %bb.2130:
	v_cmp_lt_i16_e32 vcc_lo, 0, v6
	v_lshlrev_b32_e32 v2, 16, v2
	s_mov_b32 s0, -1
	s_cbranch_vccz .LBB153_2132
; %bb.2131:
	s_delay_alu instid0(VALU_DEP_1)
	v_cvt_i32_f32_e32 v3, v2
	s_mov_b32 s0, 0
	global_store_b8 v[0:1], v3, off
.LBB153_2132:
	s_and_not1_b32 vcc_lo, exec_lo, s0
	s_cbranch_vccnz .LBB153_2134
; %bb.2133:
	v_trunc_f32_e32 v2, v2
	s_delay_alu instid0(VALU_DEP_1) | instskip(NEXT) | instid1(VALU_DEP_1)
	v_mul_f32_e64 v3, 0x2f800000, |v2|
	v_floor_f32_e32 v3, v3
	s_delay_alu instid0(VALU_DEP_1) | instskip(SKIP_1) | instid1(VALU_DEP_2)
	v_fma_f32 v3, 0xcf800000, v3, |v2|
	v_ashrrev_i32_e32 v2, 31, v2
	v_cvt_u32_f32_e32 v3, v3
	s_delay_alu instid0(VALU_DEP_1) | instskip(NEXT) | instid1(VALU_DEP_1)
	v_xor_b32_e32 v3, v3, v2
	v_sub_nc_u32_e32 v2, v3, v2
	global_store_b8 v[0:1], v2, off
	s_nop 0
	s_sendmsg sendmsg(MSG_DEALLOC_VGPRS)
	s_endpgm
.LBB153_2134:
	s_nop 0
	s_sendmsg sendmsg(MSG_DEALLOC_VGPRS)
	s_endpgm
.LBB153_2135:
	s_cbranch_execnz .LBB153_2139
; %bb.2136:
	s_or_b32 s1, s1, exec_lo
                                        ; implicit-def: $vgpr11
	s_cbranch_execz .LBB153_1608
	s_branch .LBB153_1609
.LBB153_2137:
	s_or_saveexec_b32 s7, s7
                                        ; implicit-def: $sgpr10
	s_delay_alu instid0(SALU_CYCLE_1)
	s_xor_b32 exec_lo, exec_lo, s7
	s_cbranch_execz .LBB153_1688
.LBB153_2138:
	v_add_f32_e64 v10, 0x46000000, |v12|
	s_and_not1_b32 s6, s6, exec_lo
	s_mov_b32 s10, 0
	s_delay_alu instid0(VALU_DEP_1) | instskip(NEXT) | instid1(VALU_DEP_1)
	v_and_b32_e32 v10, 0xff, v10
	v_cmp_ne_u32_e32 vcc_lo, 0, v10
	s_and_b32 s11, vcc_lo, exec_lo
	s_delay_alu instid0(SALU_CYCLE_1)
	s_or_b32 s6, s6, s11
	s_or_b32 exec_lo, exec_lo, s7
	v_mov_b32_e32 v13, s10
	s_and_saveexec_b32 s7, s6
	s_cbranch_execnz .LBB153_1689
	s_branch .LBB153_1690
.LBB153_2139:
	s_trap 2
	s_sendmsg_rtn_b32 s0, sendmsg(MSG_RTN_GET_DOORBELL)
	s_mov_b32 ttmp2, m0
	s_waitcnt lgkmcnt(0)
	s_and_b32 s0, s0, 0x3ff
	s_delay_alu instid0(SALU_CYCLE_1) | instskip(NEXT) | instid1(SALU_CYCLE_1)
	s_bitset1_b32 s0, 10
	s_mov_b32 m0, s0
	s_sendmsg sendmsg(MSG_INTERRUPT)
	s_mov_b32 m0, ttmp2
.LBB153_2140:                           ; =>This Inner Loop Header: Depth=1
	s_sethalt 5
	s_branch .LBB153_2140
.LBB153_2141:
	s_cbranch_execnz .LBB153_2147
; %bb.2142:
	s_or_b32 s1, s1, exec_lo
	s_cbranch_execz .LBB153_1736
	s_branch .LBB153_1737
.LBB153_2143:
	s_or_saveexec_b32 s6, s6
                                        ; implicit-def: $sgpr7
	s_delay_alu instid0(SALU_CYCLE_1)
	s_xor_b32 exec_lo, exec_lo, s6
	s_cbranch_execz .LBB153_1701
.LBB153_2144:
	v_add_f32_e64 v10, 0x42800000, |v12|
	s_and_not1_b32 s3, s3, exec_lo
	s_mov_b32 s7, 0
	s_delay_alu instid0(VALU_DEP_1) | instskip(NEXT) | instid1(VALU_DEP_1)
	v_and_b32_e32 v10, 0xff, v10
	v_cmp_ne_u32_e32 vcc_lo, 0, v10
	s_and_b32 s10, vcc_lo, exec_lo
	s_delay_alu instid0(SALU_CYCLE_1)
	s_or_b32 s3, s3, s10
	s_or_b32 exec_lo, exec_lo, s6
	v_mov_b32_e32 v13, s7
	s_and_saveexec_b32 s6, s3
	s_cbranch_execnz .LBB153_1702
	s_branch .LBB153_1703
.LBB153_2145:
	s_or_saveexec_b32 s7, s7
                                        ; implicit-def: $sgpr10
	s_delay_alu instid0(SALU_CYCLE_1)
	s_xor_b32 exec_lo, exec_lo, s7
	s_cbranch_execz .LBB153_1806
.LBB153_2146:
	v_add_f32_e64 v8, 0x46000000, |v9|
	s_and_not1_b32 s6, s6, exec_lo
	s_mov_b32 s10, 0
	s_delay_alu instid0(VALU_DEP_1) | instskip(NEXT) | instid1(VALU_DEP_1)
	v_and_b32_e32 v8, 0xff, v8
	v_cmp_ne_u32_e32 vcc_lo, 0, v8
	s_and_b32 s11, vcc_lo, exec_lo
	s_delay_alu instid0(SALU_CYCLE_1)
	s_or_b32 s6, s6, s11
	s_or_b32 exec_lo, exec_lo, s7
	v_mov_b32_e32 v10, s10
	s_and_saveexec_b32 s7, s6
	s_cbranch_execnz .LBB153_1807
	s_branch .LBB153_1808
.LBB153_2147:
	s_trap 2
	s_sendmsg_rtn_b32 s0, sendmsg(MSG_RTN_GET_DOORBELL)
	s_mov_b32 ttmp2, m0
	s_waitcnt lgkmcnt(0)
	s_and_b32 s0, s0, 0x3ff
	s_delay_alu instid0(SALU_CYCLE_1) | instskip(NEXT) | instid1(SALU_CYCLE_1)
	s_bitset1_b32 s0, 10
	s_mov_b32 m0, s0
	s_sendmsg sendmsg(MSG_INTERRUPT)
	s_mov_b32 m0, ttmp2
.LBB153_2148:                           ; =>This Inner Loop Header: Depth=1
	s_sethalt 5
	s_branch .LBB153_2148
.LBB153_2149:
	s_cbranch_execnz .LBB153_2155
; %bb.2150:
	s_or_b32 s1, s1, exec_lo
	s_cbranch_execz .LBB153_1854
	s_branch .LBB153_1855
.LBB153_2151:
	s_or_saveexec_b32 s6, s6
                                        ; implicit-def: $sgpr7
	s_delay_alu instid0(SALU_CYCLE_1)
	s_xor_b32 exec_lo, exec_lo, s6
	s_cbranch_execz .LBB153_1819
.LBB153_2152:
	v_add_f32_e64 v8, 0x42800000, |v9|
	s_and_not1_b32 s3, s3, exec_lo
	s_mov_b32 s7, 0
	s_delay_alu instid0(VALU_DEP_1) | instskip(NEXT) | instid1(VALU_DEP_1)
	v_and_b32_e32 v8, 0xff, v8
	v_cmp_ne_u32_e32 vcc_lo, 0, v8
	s_and_b32 s10, vcc_lo, exec_lo
	s_delay_alu instid0(SALU_CYCLE_1)
	s_or_b32 s3, s3, s10
	s_or_b32 exec_lo, exec_lo, s6
	v_mov_b32_e32 v10, s7
	s_and_saveexec_b32 s6, s3
	s_cbranch_execnz .LBB153_1820
	s_branch .LBB153_1821
.LBB153_2153:
	s_or_saveexec_b32 s7, s7
                                        ; implicit-def: $sgpr10
	s_delay_alu instid0(SALU_CYCLE_1)
	s_xor_b32 exec_lo, exec_lo, s7
	s_cbranch_execz .LBB153_1924
.LBB153_2154:
	v_add_f32_e64 v5, 0x46000000, |v7|
	s_and_not1_b32 s6, s6, exec_lo
	s_mov_b32 s10, 0
	s_delay_alu instid0(VALU_DEP_1) | instskip(NEXT) | instid1(VALU_DEP_1)
	v_and_b32_e32 v5, 0xff, v5
	v_cmp_ne_u32_e32 vcc_lo, 0, v5
	s_and_b32 s11, vcc_lo, exec_lo
	s_delay_alu instid0(SALU_CYCLE_1)
	s_or_b32 s6, s6, s11
	s_or_b32 exec_lo, exec_lo, s7
	v_mov_b32_e32 v8, s10
	s_and_saveexec_b32 s7, s6
	s_cbranch_execnz .LBB153_1925
	s_branch .LBB153_1926
.LBB153_2155:
	s_trap 2
	s_sendmsg_rtn_b32 s0, sendmsg(MSG_RTN_GET_DOORBELL)
	s_mov_b32 ttmp2, m0
	s_waitcnt lgkmcnt(0)
	s_and_b32 s0, s0, 0x3ff
	s_delay_alu instid0(SALU_CYCLE_1) | instskip(NEXT) | instid1(SALU_CYCLE_1)
	s_bitset1_b32 s0, 10
	s_mov_b32 m0, s0
	s_sendmsg sendmsg(MSG_INTERRUPT)
	s_mov_b32 m0, ttmp2
.LBB153_2156:                           ; =>This Inner Loop Header: Depth=1
	s_sethalt 5
	s_branch .LBB153_2156
.LBB153_2157:
	s_cbranch_execnz .LBB153_2163
; %bb.2158:
	s_or_b32 s1, s1, exec_lo
	s_cbranch_execz .LBB153_1972
	s_branch .LBB153_1973
.LBB153_2159:
	s_or_saveexec_b32 s6, s6
                                        ; implicit-def: $sgpr7
	s_delay_alu instid0(SALU_CYCLE_1)
	s_xor_b32 exec_lo, exec_lo, s6
	s_cbranch_execz .LBB153_1937
.LBB153_2160:
	v_add_f32_e64 v5, 0x42800000, |v7|
	s_and_not1_b32 s3, s3, exec_lo
	s_mov_b32 s7, 0
	s_delay_alu instid0(VALU_DEP_1) | instskip(NEXT) | instid1(VALU_DEP_1)
	v_and_b32_e32 v5, 0xff, v5
	v_cmp_ne_u32_e32 vcc_lo, 0, v5
	s_and_b32 s10, vcc_lo, exec_lo
	s_delay_alu instid0(SALU_CYCLE_1)
	s_or_b32 s3, s3, s10
	s_or_b32 exec_lo, exec_lo, s6
	v_mov_b32_e32 v8, s7
	s_and_saveexec_b32 s6, s3
	s_cbranch_execnz .LBB153_1938
	s_branch .LBB153_1939
.LBB153_2161:
	s_or_saveexec_b32 s5, s5
                                        ; implicit-def: $sgpr6
	s_delay_alu instid0(SALU_CYCLE_1)
	s_xor_b32 exec_lo, exec_lo, s5
	s_cbranch_execz .LBB153_2043
.LBB153_2162:
	v_add_f32_e64 v4, 0x46000000, |v5|
	s_and_not1_b32 s4, s4, exec_lo
	s_mov_b32 s6, 0
	s_delay_alu instid0(VALU_DEP_1) | instskip(NEXT) | instid1(VALU_DEP_1)
	v_and_b32_e32 v4, 0xff, v4
	v_cmp_ne_u32_e32 vcc_lo, 0, v4
	s_and_b32 s7, vcc_lo, exec_lo
	s_delay_alu instid0(SALU_CYCLE_1)
	s_or_b32 s4, s4, s7
	s_or_b32 exec_lo, exec_lo, s5
	v_mov_b32_e32 v7, s6
	s_and_saveexec_b32 s5, s4
	s_cbranch_execnz .LBB153_2044
	s_branch .LBB153_2045
.LBB153_2163:
	s_trap 2
	s_sendmsg_rtn_b32 s0, sendmsg(MSG_RTN_GET_DOORBELL)
	s_mov_b32 ttmp2, m0
	s_waitcnt lgkmcnt(0)
	s_and_b32 s0, s0, 0x3ff
	s_delay_alu instid0(SALU_CYCLE_1) | instskip(NEXT) | instid1(SALU_CYCLE_1)
	s_bitset1_b32 s0, 10
	s_mov_b32 m0, s0
	s_sendmsg sendmsg(MSG_INTERRUPT)
	s_mov_b32 m0, ttmp2
.LBB153_2164:                           ; =>This Inner Loop Header: Depth=1
	s_sethalt 5
	s_branch .LBB153_2164
.LBB153_2165:
	s_cbranch_execnz .LBB153_2169
; %bb.2166:
	s_mov_b32 s2, 0
	s_or_b32 s1, s1, exec_lo
	s_branch .LBB153_2089
.LBB153_2167:
	s_or_saveexec_b32 s4, s4
                                        ; implicit-def: $sgpr5
	s_delay_alu instid0(SALU_CYCLE_1)
	s_xor_b32 exec_lo, exec_lo, s4
	s_cbranch_execz .LBB153_2055
.LBB153_2168:
	v_add_f32_e64 v4, 0x42800000, |v5|
	s_and_not1_b32 s3, s3, exec_lo
	s_mov_b32 s5, 0
	s_delay_alu instid0(VALU_DEP_1) | instskip(NEXT) | instid1(VALU_DEP_1)
	v_and_b32_e32 v4, 0xff, v4
	v_cmp_ne_u32_e32 vcc_lo, 0, v4
	s_and_b32 s6, vcc_lo, exec_lo
	s_delay_alu instid0(SALU_CYCLE_1)
	s_or_b32 s3, s3, s6
	s_or_b32 exec_lo, exec_lo, s4
	v_mov_b32_e32 v7, s5
	s_and_saveexec_b32 s4, s3
	s_cbranch_execnz .LBB153_2056
	s_branch .LBB153_2057
.LBB153_2169:
	s_trap 2
	s_sendmsg_rtn_b32 s0, sendmsg(MSG_RTN_GET_DOORBELL)
	s_mov_b32 ttmp2, m0
	s_waitcnt lgkmcnt(0)
	s_and_b32 s0, s0, 0x3ff
	s_delay_alu instid0(SALU_CYCLE_1) | instskip(NEXT) | instid1(SALU_CYCLE_1)
	s_bitset1_b32 s0, 10
	s_mov_b32 m0, s0
	s_sendmsg sendmsg(MSG_INTERRUPT)
	s_mov_b32 m0, ttmp2
.LBB153_2170:                           ; =>This Inner Loop Header: Depth=1
	s_sethalt 5
	s_branch .LBB153_2170
	.section	.rodata,"a",@progbits
	.p2align	6, 0x0
	.amdhsa_kernel _ZN2at6native32elementwise_kernel_manual_unrollILi128ELi4EZNS0_15gpu_kernel_implIZZZNS0_17expm1_kernel_cudaERNS_18TensorIteratorBaseEENKUlvE_clEvENKUlvE3_clEvEUlN3c108BFloat16EE_EEvS4_RKT_EUlibE0_EEviT1_
		.amdhsa_group_segment_fixed_size 0
		.amdhsa_private_segment_fixed_size 0
		.amdhsa_kernarg_size 360
		.amdhsa_user_sgpr_count 15
		.amdhsa_user_sgpr_dispatch_ptr 0
		.amdhsa_user_sgpr_queue_ptr 0
		.amdhsa_user_sgpr_kernarg_segment_ptr 1
		.amdhsa_user_sgpr_dispatch_id 0
		.amdhsa_user_sgpr_private_segment_size 0
		.amdhsa_wavefront_size32 1
		.amdhsa_uses_dynamic_stack 0
		.amdhsa_enable_private_segment 0
		.amdhsa_system_sgpr_workgroup_id_x 1
		.amdhsa_system_sgpr_workgroup_id_y 0
		.amdhsa_system_sgpr_workgroup_id_z 0
		.amdhsa_system_sgpr_workgroup_info 0
		.amdhsa_system_vgpr_workitem_id 0
		.amdhsa_next_free_vgpr 18
		.amdhsa_next_free_sgpr 68
		.amdhsa_reserve_vcc 1
		.amdhsa_float_round_mode_32 0
		.amdhsa_float_round_mode_16_64 0
		.amdhsa_float_denorm_mode_32 3
		.amdhsa_float_denorm_mode_16_64 3
		.amdhsa_dx10_clamp 1
		.amdhsa_ieee_mode 1
		.amdhsa_fp16_overflow 0
		.amdhsa_workgroup_processor_mode 1
		.amdhsa_memory_ordered 1
		.amdhsa_forward_progress 0
		.amdhsa_shared_vgpr_count 0
		.amdhsa_exception_fp_ieee_invalid_op 0
		.amdhsa_exception_fp_denorm_src 0
		.amdhsa_exception_fp_ieee_div_zero 0
		.amdhsa_exception_fp_ieee_overflow 0
		.amdhsa_exception_fp_ieee_underflow 0
		.amdhsa_exception_fp_ieee_inexact 0
		.amdhsa_exception_int_div_zero 0
	.end_amdhsa_kernel
	.section	.text._ZN2at6native32elementwise_kernel_manual_unrollILi128ELi4EZNS0_15gpu_kernel_implIZZZNS0_17expm1_kernel_cudaERNS_18TensorIteratorBaseEENKUlvE_clEvENKUlvE3_clEvEUlN3c108BFloat16EE_EEvS4_RKT_EUlibE0_EEviT1_,"axG",@progbits,_ZN2at6native32elementwise_kernel_manual_unrollILi128ELi4EZNS0_15gpu_kernel_implIZZZNS0_17expm1_kernel_cudaERNS_18TensorIteratorBaseEENKUlvE_clEvENKUlvE3_clEvEUlN3c108BFloat16EE_EEvS4_RKT_EUlibE0_EEviT1_,comdat
.Lfunc_end153:
	.size	_ZN2at6native32elementwise_kernel_manual_unrollILi128ELi4EZNS0_15gpu_kernel_implIZZZNS0_17expm1_kernel_cudaERNS_18TensorIteratorBaseEENKUlvE_clEvENKUlvE3_clEvEUlN3c108BFloat16EE_EEvS4_RKT_EUlibE0_EEviT1_, .Lfunc_end153-_ZN2at6native32elementwise_kernel_manual_unrollILi128ELi4EZNS0_15gpu_kernel_implIZZZNS0_17expm1_kernel_cudaERNS_18TensorIteratorBaseEENKUlvE_clEvENKUlvE3_clEvEUlN3c108BFloat16EE_EEvS4_RKT_EUlibE0_EEviT1_
                                        ; -- End function
	.section	.AMDGPU.csdata,"",@progbits
; Kernel info:
; codeLenInByte = 49720
; NumSgprs: 70
; NumVgprs: 18
; ScratchSize: 0
; MemoryBound: 0
; FloatMode: 240
; IeeeMode: 1
; LDSByteSize: 0 bytes/workgroup (compile time only)
; SGPRBlocks: 8
; VGPRBlocks: 2
; NumSGPRsForWavesPerEU: 70
; NumVGPRsForWavesPerEU: 18
; Occupancy: 16
; WaveLimiterHint : 1
; COMPUTE_PGM_RSRC2:SCRATCH_EN: 0
; COMPUTE_PGM_RSRC2:USER_SGPR: 15
; COMPUTE_PGM_RSRC2:TRAP_HANDLER: 0
; COMPUTE_PGM_RSRC2:TGID_X_EN: 1
; COMPUTE_PGM_RSRC2:TGID_Y_EN: 0
; COMPUTE_PGM_RSRC2:TGID_Z_EN: 0
; COMPUTE_PGM_RSRC2:TIDIG_COMP_CNT: 0
	.section	.text._ZN2at6native29vectorized_elementwise_kernelILi16EZZZNS0_17expm1_kernel_cudaERNS_18TensorIteratorBaseEENKUlvE_clEvENKUlvE4_clEvEUlN3c104HalfEE_St5arrayIPcLm2EEEEviT0_T1_,"axG",@progbits,_ZN2at6native29vectorized_elementwise_kernelILi16EZZZNS0_17expm1_kernel_cudaERNS_18TensorIteratorBaseEENKUlvE_clEvENKUlvE4_clEvEUlN3c104HalfEE_St5arrayIPcLm2EEEEviT0_T1_,comdat
	.globl	_ZN2at6native29vectorized_elementwise_kernelILi16EZZZNS0_17expm1_kernel_cudaERNS_18TensorIteratorBaseEENKUlvE_clEvENKUlvE4_clEvEUlN3c104HalfEE_St5arrayIPcLm2EEEEviT0_T1_ ; -- Begin function _ZN2at6native29vectorized_elementwise_kernelILi16EZZZNS0_17expm1_kernel_cudaERNS_18TensorIteratorBaseEENKUlvE_clEvENKUlvE4_clEvEUlN3c104HalfEE_St5arrayIPcLm2EEEEviT0_T1_
	.p2align	8
	.type	_ZN2at6native29vectorized_elementwise_kernelILi16EZZZNS0_17expm1_kernel_cudaERNS_18TensorIteratorBaseEENKUlvE_clEvENKUlvE4_clEvEUlN3c104HalfEE_St5arrayIPcLm2EEEEviT0_T1_,@function
_ZN2at6native29vectorized_elementwise_kernelILi16EZZZNS0_17expm1_kernel_cudaERNS_18TensorIteratorBaseEENKUlvE_clEvENKUlvE4_clEvEUlN3c104HalfEE_St5arrayIPcLm2EEEEviT0_T1_: ; @_ZN2at6native29vectorized_elementwise_kernelILi16EZZZNS0_17expm1_kernel_cudaERNS_18TensorIteratorBaseEENKUlvE_clEvENKUlvE4_clEvEUlN3c104HalfEE_St5arrayIPcLm2EEEEviT0_T1_
; %bb.0:
	s_clause 0x1
	s_load_b32 s2, s[0:1], 0x0
	s_load_b128 s[8:11], s[0:1], 0x8
	s_lshl_b32 s12, s15, 11
	s_mov_b32 s0, -1
	s_waitcnt lgkmcnt(0)
	s_sub_i32 s7, s2, s12
	s_delay_alu instid0(SALU_CYCLE_1)
	s_cmpk_gt_i32 s7, 0x7ff
	s_cbranch_scc0 .LBB154_2
; %bb.1:
	s_ashr_i32 s13, s12, 31
	v_lshlrev_b32_e32 v5, 4, v0
	s_lshl_b64 s[14:15], s[12:13], 1
	s_mov_b32 s3, 0xbf317218
	s_add_u32 s0, s10, s14
	s_addc_u32 s1, s11, s15
	s_mov_b32 s13, 0x395133b1
	global_load_b128 v[1:4], v5, s[0:1]
	s_waitcnt vmcnt(0)
	v_lshrrev_b32_e32 v7, 16, v2
	v_cvt_f32_f16_e32 v11, v2
	v_cvt_f32_f16_e32 v9, v1
	v_lshrrev_b32_e32 v10, 16, v4
	v_cvt_f32_f16_e32 v13, v4
	v_cvt_f32_f16_e32 v17, v7
	v_mul_f32_e32 v16, 0x3fb8aa3b, v11
	v_mul_f32_e32 v14, 0x3fb8aa3b, v9
	v_cvt_f32_f16_e32 v12, v3
	v_cvt_f32_f16_e32 v21, v10
	v_mul_f32_e32 v23, 0x3fb8aa3b, v17
	v_rndne_f32_e32 v16, v16
	v_rndne_f32_e32 v14, v14
	s_delay_alu instid0(VALU_DEP_4) | instskip(NEXT) | instid1(VALU_DEP_4)
	v_dual_mul_f32 v18, 0x3fb8aa3b, v12 :: v_dual_mul_f32 v25, 0x3fb8aa3b, v21
	v_rndne_f32_e32 v23, v23
	s_delay_alu instid0(VALU_DEP_4)
	v_fma_mix_f32 v28, v16, s3, v2 op_sel_hi:[0,0,1]
	v_cvt_i32_f32_e32 v29, v16
	v_cmp_eq_f32_e64 s0, 0x43000000, v16
	v_fma_mix_f32 v26, v14, s3, v1 op_sel_hi:[0,0,1]
	v_cvt_i32_f32_e32 v35, v23
	v_fmac_f32_e32 v28, 0x3102e308, v16
	v_cmp_eq_f32_e64 s4, 0x43000000, v23
	v_cndmask_b32_e64 v16, v29, 0x7f, s0
	v_fma_mix_f32 v29, v23, s3, v2 op_sel:[0,0,1] op_sel_hi:[0,0,1]
	v_fmac_f32_e32 v26, 0x3102e308, v14
	v_rndne_f32_e32 v25, v25
	v_lshrrev_b32_e32 v6, 16, v1
	v_cvt_i32_f32_e32 v27, v14
	v_fmac_f32_e32 v29, 0x3102e308, v23
	v_cndmask_b32_e64 v23, v35, 0x7f, s4
	v_cvt_i32_f32_e32 v37, v25
	v_cmp_eq_f32_e64 s6, 0x43000000, v25
	v_cvt_f32_f16_e32 v15, v6
	v_cmp_eq_f32_e32 vcc_lo, 0x43000000, v14
	v_ldexp_f32 v23, 1.0, v23
	v_mul_f32_e32 v20, 0x3fb8aa3b, v13
	v_ldexp_f32 v16, 1.0, v16
	v_lshrrev_b32_e32 v8, 16, v3
	v_cndmask_b32_e64 v14, v27, 0x7f, vcc_lo
	v_add_f32_e32 v47, -1.0, v23
	v_rndne_f32_e32 v20, v20
	v_rndne_f32_e32 v18, v18
	v_cvt_f32_f16_e32 v19, v8
	v_ldexp_f32 v14, 1.0, v14
	v_add_f32_e32 v40, -1.0, v16
	v_fma_mix_f32 v32, v20, s3, v4 op_sel_hi:[0,0,1]
	v_cvt_i32_f32_e32 v33, v20
	v_cmp_eq_f32_e64 s2, 0x43000000, v20
	v_fma_mix_f32 v30, v18, s3, v3 op_sel_hi:[0,0,1]
	v_cvt_i32_f32_e32 v31, v18
	v_fmac_f32_e32 v32, 0x3102e308, v20
	v_cmp_eq_f32_e64 s1, 0x43000000, v18
	v_cndmask_b32_e64 v20, v33, 0x7f, s2
	v_fma_mix_f32 v33, v25, s3, v4 op_sel:[0,0,1] op_sel_hi:[0,0,1]
	v_fmaak_f32 v41, s13, v29, 0x3ab69700
	s_delay_alu instid0(VALU_DEP_3) | instskip(NEXT) | instid1(VALU_DEP_3)
	v_ldexp_f32 v20, 1.0, v20
	v_fmac_f32_e32 v33, 0x3102e308, v25
	v_cndmask_b32_e64 v25, v37, 0x7f, s6
	s_delay_alu instid0(VALU_DEP_3) | instskip(NEXT) | instid1(VALU_DEP_3)
	v_dual_fmaak_f32 v41, v29, v41, 0x3c0887f9 :: v_dual_add_f32 v44, -1.0, v20
	v_fmaak_f32 v45, s13, v33, 0x3ab69700
	s_delay_alu instid0(VALU_DEP_3) | instskip(NEXT) | instid1(VALU_DEP_1)
	v_ldexp_f32 v25, 1.0, v25
	v_dual_mul_f32 v22, 0x3fb8aa3b, v15 :: v_dual_add_f32 v49, -1.0, v25
	s_delay_alu instid0(VALU_DEP_1) | instskip(NEXT) | instid1(VALU_DEP_1)
	v_rndne_f32_e32 v22, v22
	v_fma_mix_f32 v27, v22, s3, v1 op_sel:[0,0,1] op_sel_hi:[0,0,1]
	v_cvt_i32_f32_e32 v34, v22
	s_delay_alu instid0(VALU_DEP_2) | instskip(NEXT) | instid1(VALU_DEP_1)
	v_fmac_f32_e32 v27, 0x3102e308, v22
	v_dual_fmaak_f32 v38, s13, v26, 0x3ab69700 :: v_dual_fmaak_f32 v39, s13, v27, 0x3ab69700
	s_delay_alu instid0(VALU_DEP_1) | instskip(NEXT) | instid1(VALU_DEP_2)
	v_fmaak_f32 v37, v26, v38, 0x3c0887f9
	v_fmaak_f32 v39, v27, v39, 0x3c0887f9
	s_delay_alu instid0(VALU_DEP_2) | instskip(NEXT) | instid1(VALU_DEP_2)
	v_fmaak_f32 v37, v26, v37, 0x3d2aaa81
	v_fmaak_f32 v39, v27, v39, 0x3d2aaa81
	s_delay_alu instid0(VALU_DEP_2) | instskip(NEXT) | instid1(VALU_DEP_1)
	v_fmaak_f32 v37, v26, v37, 0x3e2aaaab
	v_fma_f32 v37, v26, v37, 0.5
	s_delay_alu instid0(VALU_DEP_1) | instskip(NEXT) | instid1(VALU_DEP_1)
	v_dual_mul_f32 v24, 0x3fb8aa3b, v19 :: v_dual_mul_f32 v37, v26, v37
	v_rndne_f32_e32 v24, v24
	v_fmac_f32_e32 v30, 0x3102e308, v18
	v_cndmask_b32_e64 v18, v31, 0x7f, s1
	s_delay_alu instid0(VALU_DEP_4) | instskip(NEXT) | instid1(VALU_DEP_4)
	v_fmac_f32_e32 v26, v26, v37
	v_fma_mix_f32 v31, v24, s3, v3 op_sel:[0,0,1] op_sel_hi:[0,0,1]
	v_cmp_eq_f32_e64 s3, 0x43000000, v22
	v_cvt_i32_f32_e32 v36, v24
	v_cmp_eq_f32_e64 s5, 0x43000000, v24
	v_ldexp_f32 v18, 1.0, v18
	v_fmac_f32_e32 v31, 0x3102e308, v24
	v_cndmask_b32_e64 v22, v34, 0x7f, s3
	v_dual_fmaak_f32 v34, s13, v28, 0x3ab69700 :: v_dual_fmaak_f32 v35, s13, v30, 0x3ab69700
	v_cndmask_b32_e64 v24, v36, 0x7f, s5
	v_fmaak_f32 v36, s13, v32, 0x3ab69700
	v_add_f32_e32 v38, -1.0, v14
	s_delay_alu instid0(VALU_DEP_4) | instskip(SKIP_1) | instid1(VALU_DEP_4)
	v_dual_fmaak_f32 v34, v28, v34, 0x3c0887f9 :: v_dual_fmaak_f32 v35, v30, v35, 0x3c0887f9
	v_dual_add_f32 v42, -1.0, v18 :: v_dual_fmaak_f32 v43, s13, v31, 0x3ab69700
	v_fmaak_f32 v36, v32, v36, 0x3c0887f9
	s_delay_alu instid0(VALU_DEP_3) | instskip(SKIP_1) | instid1(VALU_DEP_4)
	v_dual_fmaak_f32 v34, v28, v34, 0x3d2aaa81 :: v_dual_fmaak_f32 v35, v30, v35, 0x3d2aaa81
	v_ldexp_f32 v24, 1.0, v24
	v_fmaak_f32 v43, v31, v43, 0x3c0887f9
	s_delay_alu instid0(VALU_DEP_4) | instskip(NEXT) | instid1(VALU_DEP_4)
	v_fmaak_f32 v36, v32, v36, 0x3d2aaa81
	v_dual_fmaak_f32 v34, v28, v34, 0x3e2aaaab :: v_dual_fmaak_f32 v35, v30, v35, 0x3e2aaaab
	s_delay_alu instid0(VALU_DEP_3) | instskip(NEXT) | instid1(VALU_DEP_3)
	v_dual_add_f32 v48, -1.0, v24 :: v_dual_fmaak_f32 v43, v31, v43, 0x3d2aaa81
	v_fmaak_f32 v36, v32, v36, 0x3e2aaaab
	s_delay_alu instid0(VALU_DEP_3) | instskip(SKIP_4) | instid1(VALU_DEP_4)
	v_fma_f32 v34, v28, v34, 0.5
	v_fmaak_f32 v45, v33, v45, 0x3c0887f9
	v_fma_f32 v35, v30, v35, 0.5
	v_fmac_f32_e32 v38, v14, v26
	v_fma_f32 v36, v32, v36, 0.5
	v_dual_mul_f32 v34, v28, v34 :: v_dual_fmaak_f32 v45, v33, v45, 0x3d2aaa81
	v_fmaak_f32 v41, v29, v41, 0x3d2aaa81
	v_ldexp_f32 v22, 1.0, v22
	s_delay_alu instid0(VALU_DEP_4) | instskip(NEXT) | instid1(VALU_DEP_4)
	v_mul_f32_e32 v36, v32, v36
	v_dual_fmac_f32 v28, v28, v34 :: v_dual_fmaak_f32 v45, v33, v45, 0x3e2aaaab
	s_delay_alu instid0(VALU_DEP_3) | instskip(NEXT) | instid1(VALU_DEP_3)
	v_dual_fmaak_f32 v43, v31, v43, 0x3e2aaaab :: v_dual_add_f32 v46, -1.0, v22
	v_fmac_f32_e32 v32, v32, v36
	v_add_f32_e32 v14, v38, v38
	s_delay_alu instid0(VALU_DEP_4)
	v_fma_f32 v45, v33, v45, 0.5
	v_mul_f32_e32 v35, v30, v35
	v_fma_f32 v43, v31, v43, 0.5
	v_fmac_f32_e32 v40, v16, v28
	v_fmac_f32_e32 v44, v20, v32
	v_mul_f32_e32 v36, v33, v45
	v_dual_fmaak_f32 v41, v29, v41, 0x3e2aaaab :: v_dual_fmac_f32 v30, v30, v35
	v_mul_f32_e32 v35, v31, v43
	s_delay_alu instid0(VALU_DEP_2) | instskip(NEXT) | instid1(VALU_DEP_3)
	v_fma_f32 v41, v29, v41, 0.5
	v_dual_fmac_f32 v42, v18, v30 :: v_dual_fmaak_f32 v39, v27, v39, 0x3e2aaaab
	s_delay_alu instid0(VALU_DEP_3) | instskip(SKIP_1) | instid1(VALU_DEP_4)
	v_fmac_f32_e32 v31, v31, v35
	v_fmac_f32_e32 v33, v33, v36
	v_mul_f32_e32 v34, v29, v41
	s_delay_alu instid0(VALU_DEP_4) | instskip(SKIP_1) | instid1(VALU_DEP_4)
	v_add_f32_e32 v18, v42, v42
	v_fma_f32 v39, v27, v39, 0.5
	v_dual_fmac_f32 v48, v24, v31 :: v_dual_fmac_f32 v49, v25, v33
	v_cndmask_b32_e32 v14, v38, v14, vcc_lo
	v_cmp_nlt_f32_e32 vcc_lo, 0x42b17217, v9
	s_delay_alu instid0(VALU_DEP_4) | instskip(SKIP_3) | instid1(VALU_DEP_4)
	v_mul_f32_e32 v37, v27, v39
	v_cndmask_b32_e64 v18, v42, v18, s1
	v_dual_add_f32 v25, v49, v49 :: v_dual_add_f32 v24, v48, v48
	v_cndmask_b32_e32 v9, 0x7f800000, v14, vcc_lo
	v_fmac_f32_e32 v27, v27, v37
	v_fmac_f32_e32 v29, v29, v34
	v_cmp_nlt_f32_e32 vcc_lo, 0x42b17217, v11
	s_delay_alu instid0(VALU_DEP_4) | instskip(NEXT) | instid1(VALU_DEP_4)
	v_cvt_f16_f32_e32 v9, v9
	v_fmac_f32_e32 v46, v22, v27
	s_delay_alu instid0(VALU_DEP_4) | instskip(SKIP_1) | instid1(VALU_DEP_2)
	v_dual_add_f32 v16, v40, v40 :: v_dual_fmac_f32 v47, v23, v29
	v_add_f32_e32 v20, v44, v44
	v_cndmask_b32_e64 v16, v40, v16, s0
	s_delay_alu instid0(VALU_DEP_3) | instskip(NEXT) | instid1(VALU_DEP_3)
	v_dual_add_f32 v23, v47, v47 :: v_dual_add_f32 v22, v46, v46
	v_cndmask_b32_e64 v20, v44, v20, s2
	s_add_u32 s2, s8, s14
	s_delay_alu instid0(VALU_DEP_3)
	v_cndmask_b32_e32 v11, 0x7f800000, v16, vcc_lo
	v_cmp_nlt_f32_e32 vcc_lo, 0x42b17217, v12
	v_cndmask_b32_e64 v14, v46, v22, s3
	v_cndmask_b32_e64 v16, v47, v23, s4
	s_addc_u32 s3, s9, s15
	v_cvt_f16_f32_e32 v11, v11
	v_cndmask_b32_e32 v12, 0x7f800000, v18, vcc_lo
	v_cmp_nlt_f32_e32 vcc_lo, 0x42b17217, v13
	v_cndmask_b32_e64 v18, v48, v24, s5
	s_mov_b32 s0, 0
	s_delay_alu instid0(VALU_DEP_3) | instskip(SKIP_3) | instid1(VALU_DEP_3)
	v_cvt_f16_f32_e32 v12, v12
	v_cndmask_b32_e32 v13, 0x7f800000, v20, vcc_lo
	v_cmp_nlt_f32_e32 vcc_lo, 0x42b17217, v15
	v_cndmask_b32_e64 v20, v49, v25, s6
	v_cvt_f16_f32_e32 v13, v13
	v_cndmask_b32_e32 v14, 0x7f800000, v14, vcc_lo
	v_cmp_nlt_f32_e32 vcc_lo, 0x42b17217, v17
	v_cndmask_b32_e32 v15, 0x7f800000, v16, vcc_lo
	v_cmp_nlt_f32_e32 vcc_lo, 0x42b17217, v19
	;; [unrolled: 2-line block ×3, first 2 shown]
	v_cndmask_b32_e32 v17, 0x7f800000, v20, vcc_lo
	v_cmp_ngt_f16_e32 vcc_lo, 0xcc40, v1
	v_cndmask_b32_e32 v1, 0xbc00, v9, vcc_lo
	v_cmp_ngt_f16_e32 vcc_lo, 0xcc40, v2
	v_cvt_f16_f32_e32 v9, v14
	v_cvt_f16_f32_e32 v14, v17
	v_cndmask_b32_e32 v2, 0xbc00, v11, vcc_lo
	v_cmp_ngt_f16_e32 vcc_lo, 0xcc40, v3
	v_cvt_f16_f32_e32 v11, v15
	v_cndmask_b32_e32 v3, 0xbc00, v12, vcc_lo
	v_cmp_ngt_f16_e32 vcc_lo, 0xcc40, v4
	;; [unrolled: 3-line block ×3, first 2 shown]
	v_cndmask_b32_e32 v7, 0xbc00, v11, vcc_lo
	v_cmp_ngt_f16_e32 vcc_lo, 0xcc40, v10
	s_delay_alu instid0(VALU_DEP_2) | instskip(SKIP_2) | instid1(VALU_DEP_2)
	v_pack_b32_f16 v2, v2, v7
	v_cndmask_b32_e32 v10, 0xbc00, v14, vcc_lo
	v_cmp_ngt_f16_e32 vcc_lo, 0xcc40, v8
	v_pack_b32_f16 v4, v4, v10
	v_cndmask_b32_e32 v8, 0xbc00, v12, vcc_lo
	v_cmp_ngt_f16_e32 vcc_lo, 0xcc40, v6
	s_delay_alu instid0(VALU_DEP_2) | instskip(SKIP_1) | instid1(VALU_DEP_1)
	v_pack_b32_f16 v3, v3, v8
	v_cndmask_b32_e32 v6, 0xbc00, v9, vcc_lo
	v_pack_b32_f16 v1, v1, v6
	global_store_b128 v5, v[1:4], s[2:3]
.LBB154_2:
	s_and_not1_b32 vcc_lo, exec_lo, s0
	s_cbranch_vccnz .LBB154_41
; %bb.3:
	v_cmp_gt_i32_e32 vcc_lo, s7, v0
	v_dual_mov_b32 v10, 0 :: v_dual_mov_b32 v7, 0
	v_or_b32_e32 v1, s12, v0
	v_or_b32_e32 v3, 0x100, v0
	v_mov_b32_e32 v6, v0
	s_and_saveexec_b32 s1, vcc_lo
	s_cbranch_execz .LBB154_5
; %bb.4:
	v_mov_b32_e32 v2, 0
	v_or_b32_e32 v6, 0x100, v0
	s_delay_alu instid0(VALU_DEP_2) | instskip(NEXT) | instid1(VALU_DEP_1)
	v_lshlrev_b64 v[4:5], 1, v[1:2]
	v_add_co_u32 v4, s0, s10, v4
	s_delay_alu instid0(VALU_DEP_1)
	v_add_co_ci_u32_e64 v5, s0, s11, v5, s0
	global_load_u16 v7, v[4:5], off
.LBB154_5:
	s_or_b32 exec_lo, exec_lo, s1
	s_delay_alu instid0(SALU_CYCLE_1)
	s_mov_b32 s1, exec_lo
	v_cmpx_gt_i32_e64 s7, v6
	s_cbranch_execz .LBB154_7
; %bb.6:
	v_dual_mov_b32 v5, 0 :: v_dual_add_nc_u32 v4, s12, v6
	v_add_nc_u32_e32 v6, 0x100, v6
	s_delay_alu instid0(VALU_DEP_2) | instskip(NEXT) | instid1(VALU_DEP_1)
	v_lshlrev_b64 v[4:5], 1, v[4:5]
	v_add_co_u32 v4, s0, s10, v4
	s_delay_alu instid0(VALU_DEP_1)
	v_add_co_ci_u32_e64 v5, s0, s11, v5, s0
	global_load_u16 v10, v[4:5], off
.LBB154_7:
	s_or_b32 exec_lo, exec_lo, s1
	v_dual_mov_b32 v8, 0 :: v_dual_mov_b32 v11, 0
	s_mov_b32 s1, exec_lo
	v_cmpx_gt_i32_e64 s7, v6
	s_cbranch_execz .LBB154_9
; %bb.8:
	v_dual_mov_b32 v5, 0 :: v_dual_add_nc_u32 v4, s12, v6
	v_add_nc_u32_e32 v6, 0x100, v6
	s_delay_alu instid0(VALU_DEP_2) | instskip(NEXT) | instid1(VALU_DEP_1)
	v_lshlrev_b64 v[4:5], 1, v[4:5]
	v_add_co_u32 v4, s0, s10, v4
	s_delay_alu instid0(VALU_DEP_1)
	v_add_co_ci_u32_e64 v5, s0, s11, v5, s0
	global_load_u16 v11, v[4:5], off
.LBB154_9:
	s_or_b32 exec_lo, exec_lo, s1
	s_delay_alu instid0(SALU_CYCLE_1)
	s_mov_b32 s1, exec_lo
	v_cmpx_gt_i32_e64 s7, v6
	s_cbranch_execz .LBB154_11
; %bb.10:
	v_dual_mov_b32 v5, 0 :: v_dual_add_nc_u32 v4, s12, v6
	v_add_nc_u32_e32 v6, 0x100, v6
	s_delay_alu instid0(VALU_DEP_2) | instskip(NEXT) | instid1(VALU_DEP_1)
	v_lshlrev_b64 v[4:5], 1, v[4:5]
	v_add_co_u32 v4, s0, s10, v4
	s_delay_alu instid0(VALU_DEP_1)
	v_add_co_ci_u32_e64 v5, s0, s11, v5, s0
	global_load_u16 v8, v[4:5], off
.LBB154_11:
	s_or_b32 exec_lo, exec_lo, s1
	v_dual_mov_b32 v4, 0 :: v_dual_mov_b32 v9, 0
	s_mov_b32 s1, exec_lo
	v_cmpx_gt_i32_e64 s7, v6
	s_cbranch_execz .LBB154_13
; %bb.12:
	v_dual_mov_b32 v13, 0 :: v_dual_add_nc_u32 v12, s12, v6
	v_add_nc_u32_e32 v6, 0x100, v6
	s_delay_alu instid0(VALU_DEP_2) | instskip(NEXT) | instid1(VALU_DEP_1)
	v_lshlrev_b64 v[12:13], 1, v[12:13]
	v_add_co_u32 v12, s0, s10, v12
	s_delay_alu instid0(VALU_DEP_1)
	v_add_co_ci_u32_e64 v13, s0, s11, v13, s0
	global_load_u16 v9, v[12:13], off
.LBB154_13:
	s_or_b32 exec_lo, exec_lo, s1
	s_delay_alu instid0(SALU_CYCLE_1)
	s_mov_b32 s1, exec_lo
	v_cmpx_gt_i32_e64 s7, v6
	s_cbranch_execz .LBB154_15
; %bb.14:
	v_dual_mov_b32 v5, 0 :: v_dual_add_nc_u32 v4, s12, v6
	v_add_nc_u32_e32 v6, 0x100, v6
	s_delay_alu instid0(VALU_DEP_2) | instskip(NEXT) | instid1(VALU_DEP_1)
	v_lshlrev_b64 v[4:5], 1, v[4:5]
	v_add_co_u32 v4, s0, s10, v4
	s_delay_alu instid0(VALU_DEP_1)
	v_add_co_ci_u32_e64 v5, s0, s11, v5, s0
	global_load_u16 v4, v[4:5], off
.LBB154_15:
	s_or_b32 exec_lo, exec_lo, s1
	v_dual_mov_b32 v2, 0 :: v_dual_mov_b32 v5, 0
	s_mov_b32 s1, exec_lo
	v_cmpx_gt_i32_e64 s7, v6
	s_cbranch_execz .LBB154_42
; %bb.16:
	v_dual_mov_b32 v13, 0 :: v_dual_add_nc_u32 v12, s12, v6
	v_add_nc_u32_e32 v6, 0x100, v6
	s_delay_alu instid0(VALU_DEP_2) | instskip(NEXT) | instid1(VALU_DEP_1)
	v_lshlrev_b64 v[12:13], 1, v[12:13]
	v_add_co_u32 v12, s0, s10, v12
	s_delay_alu instid0(VALU_DEP_1) | instskip(SKIP_2) | instid1(SALU_CYCLE_1)
	v_add_co_ci_u32_e64 v13, s0, s11, v13, s0
	global_load_u16 v5, v[12:13], off
	s_or_b32 exec_lo, exec_lo, s1
	s_mov_b32 s1, exec_lo
	v_cmpx_gt_i32_e64 s7, v6
	s_cbranch_execnz .LBB154_43
.LBB154_17:
	s_or_b32 exec_lo, exec_lo, s1
                                        ; implicit-def: $vgpr6
	s_and_saveexec_b32 s1, vcc_lo
	s_cbranch_execz .LBB154_19
.LBB154_18:
	s_waitcnt vmcnt(0)
	v_cvt_f32_f16_e32 v6, v7
	s_mov_b32 s0, 0xbf317218
	s_delay_alu instid0(VALU_DEP_1) | instskip(NEXT) | instid1(VALU_DEP_1)
	v_mul_f32_e32 v12, 0x3fb8aa3b, v6
	v_rndne_f32_e32 v12, v12
	s_delay_alu instid0(VALU_DEP_1) | instskip(SKIP_2) | instid1(VALU_DEP_2)
	v_fma_mix_f32 v13, v12, s0, v7 op_sel_hi:[0,0,1]
	s_mov_b32 s0, 0x395133b1
	v_cvt_i32_f32_e32 v15, v12
	v_fmamk_f32 v13, v12, 0x3102e308, v13
	s_delay_alu instid0(VALU_DEP_1) | instskip(SKIP_1) | instid1(VALU_DEP_2)
	v_fmaak_f32 v14, s0, v13, 0x3ab69700
	v_cmp_eq_f32_e64 s0, 0x43000000, v12
	v_fmaak_f32 v14, v13, v14, 0x3c0887f9
	s_delay_alu instid0(VALU_DEP_2) | instskip(NEXT) | instid1(VALU_DEP_2)
	v_cndmask_b32_e64 v12, v15, 0x7f, s0
	v_fmaak_f32 v14, v13, v14, 0x3d2aaa81
	s_delay_alu instid0(VALU_DEP_2) | instskip(NEXT) | instid1(VALU_DEP_2)
	v_ldexp_f32 v12, 1.0, v12
	v_fmaak_f32 v14, v13, v14, 0x3e2aaaab
	s_delay_alu instid0(VALU_DEP_1) | instskip(NEXT) | instid1(VALU_DEP_1)
	v_fma_f32 v14, v13, v14, 0.5
	v_mul_f32_e32 v14, v13, v14
	s_delay_alu instid0(VALU_DEP_1) | instskip(NEXT) | instid1(VALU_DEP_1)
	v_dual_fmac_f32 v13, v13, v14 :: v_dual_add_f32 v14, -1.0, v12
	v_fmac_f32_e32 v14, v12, v13
	s_delay_alu instid0(VALU_DEP_1) | instskip(NEXT) | instid1(VALU_DEP_1)
	v_add_f32_e32 v12, v14, v14
	v_cndmask_b32_e64 v12, v14, v12, s0
	v_cmp_nlt_f32_e64 s0, 0x42b17217, v6
	s_delay_alu instid0(VALU_DEP_1) | instskip(SKIP_1) | instid1(VALU_DEP_2)
	v_cndmask_b32_e64 v6, 0x7f800000, v12, s0
	v_cmp_ngt_f16_e64 s0, 0xcc40, v7
	v_cvt_f16_f32_e32 v6, v6
	s_delay_alu instid0(VALU_DEP_1)
	v_cndmask_b32_e64 v6, 0xbc00, v6, s0
.LBB154_19:
	s_or_b32 exec_lo, exec_lo, s1
	s_delay_alu instid0(SALU_CYCLE_1)
	s_mov_b32 s1, exec_lo
                                        ; implicit-def: $vgpr7
	v_cmpx_gt_i32_e64 s7, v3
	s_cbranch_execz .LBB154_21
; %bb.20:
	s_waitcnt vmcnt(0)
	v_cvt_f32_f16_e32 v7, v10
	s_mov_b32 s0, 0xbf317218
	s_delay_alu instid0(VALU_DEP_1) | instskip(NEXT) | instid1(VALU_DEP_1)
	v_mul_f32_e32 v12, 0x3fb8aa3b, v7
	v_rndne_f32_e32 v12, v12
	s_delay_alu instid0(VALU_DEP_1) | instskip(SKIP_2) | instid1(VALU_DEP_2)
	v_fma_mix_f32 v13, v12, s0, v10 op_sel_hi:[0,0,1]
	s_mov_b32 s0, 0x395133b1
	v_cvt_i32_f32_e32 v15, v12
	v_fmamk_f32 v13, v12, 0x3102e308, v13
	s_delay_alu instid0(VALU_DEP_1) | instskip(SKIP_1) | instid1(VALU_DEP_2)
	v_fmaak_f32 v14, s0, v13, 0x3ab69700
	v_cmp_eq_f32_e64 s0, 0x43000000, v12
	v_fmaak_f32 v14, v13, v14, 0x3c0887f9
	s_delay_alu instid0(VALU_DEP_2) | instskip(NEXT) | instid1(VALU_DEP_2)
	v_cndmask_b32_e64 v12, v15, 0x7f, s0
	v_fmaak_f32 v14, v13, v14, 0x3d2aaa81
	s_delay_alu instid0(VALU_DEP_2) | instskip(NEXT) | instid1(VALU_DEP_2)
	v_ldexp_f32 v12, 1.0, v12
	v_fmaak_f32 v14, v13, v14, 0x3e2aaaab
	s_delay_alu instid0(VALU_DEP_1) | instskip(NEXT) | instid1(VALU_DEP_1)
	v_fma_f32 v14, v13, v14, 0.5
	v_mul_f32_e32 v14, v13, v14
	s_delay_alu instid0(VALU_DEP_1) | instskip(NEXT) | instid1(VALU_DEP_1)
	v_dual_fmac_f32 v13, v13, v14 :: v_dual_add_f32 v14, -1.0, v12
	v_fmac_f32_e32 v14, v12, v13
	s_delay_alu instid0(VALU_DEP_1) | instskip(NEXT) | instid1(VALU_DEP_1)
	v_add_f32_e32 v12, v14, v14
	v_cndmask_b32_e64 v12, v14, v12, s0
	v_cmp_nlt_f32_e64 s0, 0x42b17217, v7
	s_delay_alu instid0(VALU_DEP_1) | instskip(SKIP_1) | instid1(VALU_DEP_2)
	v_cndmask_b32_e64 v7, 0x7f800000, v12, s0
	v_cmp_ngt_f16_e64 s0, 0xcc40, v10
	v_cvt_f16_f32_e32 v7, v7
	s_delay_alu instid0(VALU_DEP_1)
	v_cndmask_b32_e64 v7, 0xbc00, v7, s0
.LBB154_21:
	s_or_b32 exec_lo, exec_lo, s1
	s_waitcnt vmcnt(0)
	v_or_b32_e32 v10, 0x200, v0
	s_delay_alu instid0(VALU_DEP_1) | instskip(NEXT) | instid1(VALU_DEP_1)
	v_cmp_gt_i32_e64 s0, s7, v10
                                        ; implicit-def: $vgpr10
	s_and_saveexec_b32 s1, s0
	s_cbranch_execz .LBB154_23
; %bb.22:
	v_cvt_f32_f16_e32 v10, v11
	s_mov_b32 s0, 0xbf317218
	s_delay_alu instid0(VALU_DEP_1) | instskip(NEXT) | instid1(VALU_DEP_1)
	v_mul_f32_e32 v12, 0x3fb8aa3b, v10
	v_rndne_f32_e32 v12, v12
	s_delay_alu instid0(VALU_DEP_1) | instskip(SKIP_2) | instid1(VALU_DEP_2)
	v_fma_mix_f32 v13, v12, s0, v11 op_sel_hi:[0,0,1]
	s_mov_b32 s0, 0x395133b1
	v_cvt_i32_f32_e32 v15, v12
	v_fmamk_f32 v13, v12, 0x3102e308, v13
	s_delay_alu instid0(VALU_DEP_1) | instskip(SKIP_1) | instid1(VALU_DEP_2)
	v_fmaak_f32 v14, s0, v13, 0x3ab69700
	v_cmp_eq_f32_e64 s0, 0x43000000, v12
	v_fmaak_f32 v14, v13, v14, 0x3c0887f9
	s_delay_alu instid0(VALU_DEP_2) | instskip(NEXT) | instid1(VALU_DEP_2)
	v_cndmask_b32_e64 v12, v15, 0x7f, s0
	v_fmaak_f32 v14, v13, v14, 0x3d2aaa81
	s_delay_alu instid0(VALU_DEP_2) | instskip(NEXT) | instid1(VALU_DEP_2)
	v_ldexp_f32 v12, 1.0, v12
	v_fmaak_f32 v14, v13, v14, 0x3e2aaaab
	s_delay_alu instid0(VALU_DEP_1) | instskip(NEXT) | instid1(VALU_DEP_1)
	v_fma_f32 v14, v13, v14, 0.5
	v_mul_f32_e32 v14, v13, v14
	s_delay_alu instid0(VALU_DEP_1) | instskip(NEXT) | instid1(VALU_DEP_1)
	v_dual_fmac_f32 v13, v13, v14 :: v_dual_add_f32 v14, -1.0, v12
	v_fmac_f32_e32 v14, v12, v13
	s_delay_alu instid0(VALU_DEP_1) | instskip(NEXT) | instid1(VALU_DEP_1)
	v_add_f32_e32 v12, v14, v14
	v_cndmask_b32_e64 v12, v14, v12, s0
	v_cmp_nlt_f32_e64 s0, 0x42b17217, v10
	s_delay_alu instid0(VALU_DEP_1) | instskip(SKIP_1) | instid1(VALU_DEP_2)
	v_cndmask_b32_e64 v10, 0x7f800000, v12, s0
	v_cmp_ngt_f16_e64 s0, 0xcc40, v11
	v_cvt_f16_f32_e32 v10, v10
	s_delay_alu instid0(VALU_DEP_1)
	v_cndmask_b32_e64 v10, 0xbc00, v10, s0
.LBB154_23:
	s_or_b32 exec_lo, exec_lo, s1
	v_or_b32_e32 v11, 0x300, v0
	s_delay_alu instid0(VALU_DEP_1) | instskip(NEXT) | instid1(VALU_DEP_1)
	v_cmp_gt_i32_e64 s0, s7, v11
                                        ; implicit-def: $vgpr11
	s_and_saveexec_b32 s1, s0
	s_cbranch_execz .LBB154_25
; %bb.24:
	v_cvt_f32_f16_e32 v11, v8
	s_mov_b32 s0, 0xbf317218
	s_delay_alu instid0(VALU_DEP_1) | instskip(NEXT) | instid1(VALU_DEP_1)
	v_mul_f32_e32 v12, 0x3fb8aa3b, v11
	v_rndne_f32_e32 v12, v12
	s_delay_alu instid0(VALU_DEP_1) | instskip(SKIP_2) | instid1(VALU_DEP_2)
	v_fma_mix_f32 v13, v12, s0, v8 op_sel_hi:[0,0,1]
	s_mov_b32 s0, 0x395133b1
	v_cvt_i32_f32_e32 v15, v12
	v_fmamk_f32 v13, v12, 0x3102e308, v13
	s_delay_alu instid0(VALU_DEP_1) | instskip(SKIP_1) | instid1(VALU_DEP_2)
	v_fmaak_f32 v14, s0, v13, 0x3ab69700
	v_cmp_eq_f32_e64 s0, 0x43000000, v12
	v_fmaak_f32 v14, v13, v14, 0x3c0887f9
	s_delay_alu instid0(VALU_DEP_2) | instskip(NEXT) | instid1(VALU_DEP_2)
	v_cndmask_b32_e64 v12, v15, 0x7f, s0
	v_fmaak_f32 v14, v13, v14, 0x3d2aaa81
	s_delay_alu instid0(VALU_DEP_2) | instskip(NEXT) | instid1(VALU_DEP_2)
	v_ldexp_f32 v12, 1.0, v12
	v_fmaak_f32 v14, v13, v14, 0x3e2aaaab
	s_delay_alu instid0(VALU_DEP_1) | instskip(NEXT) | instid1(VALU_DEP_1)
	v_fma_f32 v14, v13, v14, 0.5
	v_mul_f32_e32 v14, v13, v14
	s_delay_alu instid0(VALU_DEP_1) | instskip(NEXT) | instid1(VALU_DEP_1)
	v_dual_fmac_f32 v13, v13, v14 :: v_dual_add_f32 v14, -1.0, v12
	v_fmac_f32_e32 v14, v12, v13
	s_delay_alu instid0(VALU_DEP_1) | instskip(NEXT) | instid1(VALU_DEP_1)
	v_add_f32_e32 v12, v14, v14
	v_cndmask_b32_e64 v12, v14, v12, s0
	v_cmp_nlt_f32_e64 s0, 0x42b17217, v11
	s_delay_alu instid0(VALU_DEP_1) | instskip(SKIP_1) | instid1(VALU_DEP_2)
	v_cndmask_b32_e64 v11, 0x7f800000, v12, s0
	v_cmp_ngt_f16_e64 s0, 0xcc40, v8
	v_cvt_f16_f32_e32 v11, v11
	s_delay_alu instid0(VALU_DEP_1)
	v_cndmask_b32_e64 v11, 0xbc00, v11, s0
.LBB154_25:
	s_or_b32 exec_lo, exec_lo, s1
	v_or_b32_e32 v8, 0x400, v0
	s_delay_alu instid0(VALU_DEP_1) | instskip(NEXT) | instid1(VALU_DEP_1)
	v_cmp_gt_i32_e64 s0, s7, v8
                                        ; implicit-def: $vgpr8
	s_and_saveexec_b32 s1, s0
	s_cbranch_execz .LBB154_27
; %bb.26:
	v_cvt_f32_f16_e32 v8, v9
	s_mov_b32 s0, 0xbf317218
	s_delay_alu instid0(VALU_DEP_1) | instskip(NEXT) | instid1(VALU_DEP_1)
	v_mul_f32_e32 v12, 0x3fb8aa3b, v8
	v_rndne_f32_e32 v12, v12
	s_delay_alu instid0(VALU_DEP_1) | instskip(SKIP_2) | instid1(VALU_DEP_2)
	v_fma_mix_f32 v13, v12, s0, v9 op_sel_hi:[0,0,1]
	s_mov_b32 s0, 0x395133b1
	v_cvt_i32_f32_e32 v15, v12
	v_fmamk_f32 v13, v12, 0x3102e308, v13
	s_delay_alu instid0(VALU_DEP_1) | instskip(SKIP_1) | instid1(VALU_DEP_2)
	v_fmaak_f32 v14, s0, v13, 0x3ab69700
	v_cmp_eq_f32_e64 s0, 0x43000000, v12
	v_fmaak_f32 v14, v13, v14, 0x3c0887f9
	s_delay_alu instid0(VALU_DEP_2) | instskip(NEXT) | instid1(VALU_DEP_2)
	v_cndmask_b32_e64 v12, v15, 0x7f, s0
	v_fmaak_f32 v14, v13, v14, 0x3d2aaa81
	s_delay_alu instid0(VALU_DEP_2) | instskip(NEXT) | instid1(VALU_DEP_2)
	v_ldexp_f32 v12, 1.0, v12
	v_fmaak_f32 v14, v13, v14, 0x3e2aaaab
	s_delay_alu instid0(VALU_DEP_1) | instskip(NEXT) | instid1(VALU_DEP_1)
	v_fma_f32 v14, v13, v14, 0.5
	v_mul_f32_e32 v14, v13, v14
	s_delay_alu instid0(VALU_DEP_1) | instskip(NEXT) | instid1(VALU_DEP_1)
	v_dual_fmac_f32 v13, v13, v14 :: v_dual_add_f32 v14, -1.0, v12
	v_fmac_f32_e32 v14, v12, v13
	s_delay_alu instid0(VALU_DEP_1) | instskip(NEXT) | instid1(VALU_DEP_1)
	v_add_f32_e32 v12, v14, v14
	v_cndmask_b32_e64 v12, v14, v12, s0
	v_cmp_nlt_f32_e64 s0, 0x42b17217, v8
	s_delay_alu instid0(VALU_DEP_1) | instskip(SKIP_1) | instid1(VALU_DEP_2)
	v_cndmask_b32_e64 v8, 0x7f800000, v12, s0
	v_cmp_ngt_f16_e64 s0, 0xcc40, v9
	v_cvt_f16_f32_e32 v8, v8
	s_delay_alu instid0(VALU_DEP_1)
	v_cndmask_b32_e64 v8, 0xbc00, v8, s0
.LBB154_27:
	s_or_b32 exec_lo, exec_lo, s1
	v_or_b32_e32 v9, 0x500, v0
	s_delay_alu instid0(VALU_DEP_1) | instskip(NEXT) | instid1(VALU_DEP_1)
	v_cmp_gt_i32_e64 s0, s7, v9
                                        ; implicit-def: $vgpr9
	s_and_saveexec_b32 s1, s0
	s_cbranch_execz .LBB154_29
; %bb.28:
	v_cvt_f32_f16_e32 v9, v4
	s_mov_b32 s0, 0xbf317218
	s_delay_alu instid0(VALU_DEP_1) | instskip(NEXT) | instid1(VALU_DEP_1)
	v_mul_f32_e32 v12, 0x3fb8aa3b, v9
	v_rndne_f32_e32 v12, v12
	s_delay_alu instid0(VALU_DEP_1) | instskip(SKIP_2) | instid1(VALU_DEP_2)
	v_fma_mix_f32 v13, v12, s0, v4 op_sel_hi:[0,0,1]
	s_mov_b32 s0, 0x395133b1
	v_cvt_i32_f32_e32 v15, v12
	v_fmamk_f32 v13, v12, 0x3102e308, v13
	s_delay_alu instid0(VALU_DEP_1) | instskip(SKIP_1) | instid1(VALU_DEP_2)
	v_fmaak_f32 v14, s0, v13, 0x3ab69700
	v_cmp_eq_f32_e64 s0, 0x43000000, v12
	v_fmaak_f32 v14, v13, v14, 0x3c0887f9
	s_delay_alu instid0(VALU_DEP_2) | instskip(NEXT) | instid1(VALU_DEP_2)
	v_cndmask_b32_e64 v12, v15, 0x7f, s0
	v_fmaak_f32 v14, v13, v14, 0x3d2aaa81
	s_delay_alu instid0(VALU_DEP_2) | instskip(NEXT) | instid1(VALU_DEP_2)
	v_ldexp_f32 v12, 1.0, v12
	v_fmaak_f32 v14, v13, v14, 0x3e2aaaab
	s_delay_alu instid0(VALU_DEP_1) | instskip(NEXT) | instid1(VALU_DEP_1)
	v_fma_f32 v14, v13, v14, 0.5
	v_mul_f32_e32 v14, v13, v14
	s_delay_alu instid0(VALU_DEP_1) | instskip(NEXT) | instid1(VALU_DEP_1)
	v_dual_fmac_f32 v13, v13, v14 :: v_dual_add_f32 v14, -1.0, v12
	v_fmac_f32_e32 v14, v12, v13
	s_delay_alu instid0(VALU_DEP_1) | instskip(NEXT) | instid1(VALU_DEP_1)
	v_add_f32_e32 v12, v14, v14
	v_cndmask_b32_e64 v12, v14, v12, s0
	v_cmp_nlt_f32_e64 s0, 0x42b17217, v9
	s_delay_alu instid0(VALU_DEP_1) | instskip(SKIP_1) | instid1(VALU_DEP_2)
	v_cndmask_b32_e64 v9, 0x7f800000, v12, s0
	v_cmp_ngt_f16_e64 s0, 0xcc40, v4
	v_cvt_f16_f32_e32 v9, v9
	s_delay_alu instid0(VALU_DEP_1)
	v_cndmask_b32_e64 v9, 0xbc00, v9, s0
.LBB154_29:
	s_or_b32 exec_lo, exec_lo, s1
	v_or_b32_e32 v4, 0x600, v0
	s_delay_alu instid0(VALU_DEP_1) | instskip(NEXT) | instid1(VALU_DEP_1)
	v_cmp_gt_i32_e64 s0, s7, v4
                                        ; implicit-def: $vgpr4
	s_and_saveexec_b32 s1, s0
	s_cbranch_execz .LBB154_31
; %bb.30:
	v_cvt_f32_f16_e32 v4, v5
	s_mov_b32 s0, 0xbf317218
	s_delay_alu instid0(VALU_DEP_1) | instskip(NEXT) | instid1(VALU_DEP_1)
	v_mul_f32_e32 v12, 0x3fb8aa3b, v4
	v_rndne_f32_e32 v12, v12
	s_delay_alu instid0(VALU_DEP_1) | instskip(SKIP_2) | instid1(VALU_DEP_2)
	v_fma_mix_f32 v13, v12, s0, v5 op_sel_hi:[0,0,1]
	s_mov_b32 s0, 0x395133b1
	v_cvt_i32_f32_e32 v15, v12
	v_fmamk_f32 v13, v12, 0x3102e308, v13
	s_delay_alu instid0(VALU_DEP_1) | instskip(SKIP_1) | instid1(VALU_DEP_2)
	v_fmaak_f32 v14, s0, v13, 0x3ab69700
	v_cmp_eq_f32_e64 s0, 0x43000000, v12
	v_fmaak_f32 v14, v13, v14, 0x3c0887f9
	s_delay_alu instid0(VALU_DEP_2) | instskip(NEXT) | instid1(VALU_DEP_2)
	v_cndmask_b32_e64 v12, v15, 0x7f, s0
	v_fmaak_f32 v14, v13, v14, 0x3d2aaa81
	s_delay_alu instid0(VALU_DEP_2) | instskip(NEXT) | instid1(VALU_DEP_2)
	v_ldexp_f32 v12, 1.0, v12
	v_fmaak_f32 v14, v13, v14, 0x3e2aaaab
	s_delay_alu instid0(VALU_DEP_1) | instskip(NEXT) | instid1(VALU_DEP_1)
	v_fma_f32 v14, v13, v14, 0.5
	v_mul_f32_e32 v14, v13, v14
	s_delay_alu instid0(VALU_DEP_1) | instskip(NEXT) | instid1(VALU_DEP_1)
	v_dual_fmac_f32 v13, v13, v14 :: v_dual_add_f32 v14, -1.0, v12
	v_fmac_f32_e32 v14, v12, v13
	s_delay_alu instid0(VALU_DEP_1) | instskip(NEXT) | instid1(VALU_DEP_1)
	v_add_f32_e32 v12, v14, v14
	v_cndmask_b32_e64 v12, v14, v12, s0
	v_cmp_nlt_f32_e64 s0, 0x42b17217, v4
	s_delay_alu instid0(VALU_DEP_1) | instskip(SKIP_1) | instid1(VALU_DEP_2)
	v_cndmask_b32_e64 v4, 0x7f800000, v12, s0
	v_cmp_ngt_f16_e64 s0, 0xcc40, v5
	v_cvt_f16_f32_e32 v4, v4
	s_delay_alu instid0(VALU_DEP_1)
	v_cndmask_b32_e64 v4, 0xbc00, v4, s0
.LBB154_31:
	s_or_b32 exec_lo, exec_lo, s1
	v_or_b32_e32 v5, 0x700, v0
	s_delay_alu instid0(VALU_DEP_1) | instskip(NEXT) | instid1(VALU_DEP_1)
	v_cmp_gt_i32_e64 s0, s7, v5
                                        ; implicit-def: $vgpr5
	s_and_saveexec_b32 s1, s0
	s_cbranch_execz .LBB154_44
; %bb.32:
	v_cvt_f32_f16_e32 v5, v2
	s_mov_b32 s0, 0xbf317218
	s_delay_alu instid0(VALU_DEP_1) | instskip(NEXT) | instid1(VALU_DEP_1)
	v_mul_f32_e32 v12, 0x3fb8aa3b, v5
	v_rndne_f32_e32 v12, v12
	s_delay_alu instid0(VALU_DEP_1) | instskip(SKIP_2) | instid1(VALU_DEP_2)
	v_fma_mix_f32 v13, v12, s0, v2 op_sel_hi:[0,0,1]
	s_mov_b32 s0, 0x395133b1
	v_cvt_i32_f32_e32 v15, v12
	v_fmamk_f32 v13, v12, 0x3102e308, v13
	s_delay_alu instid0(VALU_DEP_1) | instskip(SKIP_1) | instid1(VALU_DEP_2)
	v_fmaak_f32 v14, s0, v13, 0x3ab69700
	v_cmp_eq_f32_e64 s0, 0x43000000, v12
	v_fmaak_f32 v14, v13, v14, 0x3c0887f9
	s_delay_alu instid0(VALU_DEP_2) | instskip(NEXT) | instid1(VALU_DEP_2)
	v_cndmask_b32_e64 v12, v15, 0x7f, s0
	v_fmaak_f32 v14, v13, v14, 0x3d2aaa81
	s_delay_alu instid0(VALU_DEP_2) | instskip(NEXT) | instid1(VALU_DEP_2)
	v_ldexp_f32 v12, 1.0, v12
	v_fmaak_f32 v14, v13, v14, 0x3e2aaaab
	s_delay_alu instid0(VALU_DEP_1) | instskip(NEXT) | instid1(VALU_DEP_1)
	v_fma_f32 v14, v13, v14, 0.5
	v_mul_f32_e32 v14, v13, v14
	s_delay_alu instid0(VALU_DEP_1) | instskip(NEXT) | instid1(VALU_DEP_1)
	v_dual_fmac_f32 v13, v13, v14 :: v_dual_add_f32 v14, -1.0, v12
	v_fmac_f32_e32 v14, v12, v13
	s_delay_alu instid0(VALU_DEP_1) | instskip(NEXT) | instid1(VALU_DEP_1)
	v_add_f32_e32 v12, v14, v14
	v_cndmask_b32_e64 v12, v14, v12, s0
	v_cmp_nlt_f32_e64 s0, 0x42b17217, v5
	s_delay_alu instid0(VALU_DEP_1) | instskip(SKIP_1) | instid1(VALU_DEP_2)
	v_cndmask_b32_e64 v5, 0x7f800000, v12, s0
	v_cmp_ngt_f16_e64 s0, 0xcc40, v2
	v_cvt_f16_f32_e32 v5, v5
	s_delay_alu instid0(VALU_DEP_1) | instskip(SKIP_2) | instid1(SALU_CYCLE_1)
	v_cndmask_b32_e64 v5, 0xbc00, v5, s0
	s_or_b32 exec_lo, exec_lo, s1
	s_and_saveexec_b32 s0, vcc_lo
	s_xor_b32 s0, exec_lo, s0
	s_cbranch_execnz .LBB154_45
.LBB154_33:
	s_or_b32 exec_lo, exec_lo, s0
	s_delay_alu instid0(SALU_CYCLE_1)
	s_mov_b32 s0, exec_lo
	v_cmpx_gt_i32_e64 s7, v0
	s_cbranch_execz .LBB154_46
.LBB154_34:
	v_dual_mov_b32 v2, 0 :: v_dual_add_nc_u32 v1, s12, v0
	v_add_nc_u32_e32 v0, 0x100, v0
	s_delay_alu instid0(VALU_DEP_2) | instskip(NEXT) | instid1(VALU_DEP_1)
	v_lshlrev_b64 v[1:2], 1, v[1:2]
	v_add_co_u32 v1, vcc_lo, s8, v1
	s_delay_alu instid0(VALU_DEP_2) | instskip(SKIP_2) | instid1(SALU_CYCLE_1)
	v_add_co_ci_u32_e32 v2, vcc_lo, s9, v2, vcc_lo
	global_store_b16 v[1:2], v7, off
	s_or_b32 exec_lo, exec_lo, s0
	s_mov_b32 s0, exec_lo
	v_cmpx_gt_i32_e64 s7, v0
	s_cbranch_execnz .LBB154_47
.LBB154_35:
	s_or_b32 exec_lo, exec_lo, s0
	s_delay_alu instid0(SALU_CYCLE_1)
	s_mov_b32 s0, exec_lo
	v_cmpx_gt_i32_e64 s7, v0
	s_cbranch_execz .LBB154_48
.LBB154_36:
	v_dual_mov_b32 v2, 0 :: v_dual_add_nc_u32 v1, s12, v0
	v_add_nc_u32_e32 v0, 0x100, v0
	s_delay_alu instid0(VALU_DEP_2) | instskip(NEXT) | instid1(VALU_DEP_1)
	v_lshlrev_b64 v[1:2], 1, v[1:2]
	v_add_co_u32 v1, vcc_lo, s8, v1
	s_delay_alu instid0(VALU_DEP_2) | instskip(SKIP_2) | instid1(SALU_CYCLE_1)
	v_add_co_ci_u32_e32 v2, vcc_lo, s9, v2, vcc_lo
	global_store_b16 v[1:2], v11, off
	s_or_b32 exec_lo, exec_lo, s0
	s_mov_b32 s0, exec_lo
	v_cmpx_gt_i32_e64 s7, v0
	s_cbranch_execnz .LBB154_49
.LBB154_37:
	s_or_b32 exec_lo, exec_lo, s0
	s_delay_alu instid0(SALU_CYCLE_1)
	s_mov_b32 s0, exec_lo
	v_cmpx_gt_i32_e64 s7, v0
	s_cbranch_execz .LBB154_50
.LBB154_38:
	v_dual_mov_b32 v2, 0 :: v_dual_add_nc_u32 v1, s12, v0
	v_add_nc_u32_e32 v0, 0x100, v0
	s_delay_alu instid0(VALU_DEP_2) | instskip(NEXT) | instid1(VALU_DEP_1)
	v_lshlrev_b64 v[1:2], 1, v[1:2]
	v_add_co_u32 v1, vcc_lo, s8, v1
	s_delay_alu instid0(VALU_DEP_2) | instskip(SKIP_2) | instid1(SALU_CYCLE_1)
	v_add_co_ci_u32_e32 v2, vcc_lo, s9, v2, vcc_lo
	global_store_b16 v[1:2], v9, off
	s_or_b32 exec_lo, exec_lo, s0
	s_mov_b32 s0, exec_lo
	v_cmpx_gt_i32_e64 s7, v0
	s_cbranch_execnz .LBB154_51
.LBB154_39:
	s_or_b32 exec_lo, exec_lo, s0
	s_delay_alu instid0(SALU_CYCLE_1)
	s_mov_b32 s0, exec_lo
	v_cmpx_gt_i32_e64 s7, v0
	s_cbranch_execz .LBB154_41
.LBB154_40:
	v_dual_mov_b32 v1, 0 :: v_dual_add_nc_u32 v0, s12, v0
	s_delay_alu instid0(VALU_DEP_1) | instskip(NEXT) | instid1(VALU_DEP_1)
	v_lshlrev_b64 v[0:1], 1, v[0:1]
	v_add_co_u32 v0, vcc_lo, s8, v0
	s_delay_alu instid0(VALU_DEP_2)
	v_add_co_ci_u32_e32 v1, vcc_lo, s9, v1, vcc_lo
	global_store_b16 v[0:1], v5, off
.LBB154_41:
	s_nop 0
	s_sendmsg sendmsg(MSG_DEALLOC_VGPRS)
	s_endpgm
.LBB154_42:
	s_or_b32 exec_lo, exec_lo, s1
	s_delay_alu instid0(SALU_CYCLE_1)
	s_mov_b32 s1, exec_lo
	v_cmpx_gt_i32_e64 s7, v6
	s_cbranch_execz .LBB154_17
.LBB154_43:
	v_dual_mov_b32 v13, 0 :: v_dual_add_nc_u32 v12, s12, v6
	s_delay_alu instid0(VALU_DEP_1) | instskip(NEXT) | instid1(VALU_DEP_1)
	v_lshlrev_b64 v[12:13], 1, v[12:13]
	v_add_co_u32 v12, s0, s10, v12
	s_delay_alu instid0(VALU_DEP_1)
	v_add_co_ci_u32_e64 v13, s0, s11, v13, s0
	global_load_u16 v2, v[12:13], off
	s_or_b32 exec_lo, exec_lo, s1
                                        ; implicit-def: $vgpr6
	s_and_saveexec_b32 s1, vcc_lo
	s_cbranch_execz .LBB154_19
	s_branch .LBB154_18
.LBB154_44:
	s_or_b32 exec_lo, exec_lo, s1
	s_and_saveexec_b32 s0, vcc_lo
	s_delay_alu instid0(SALU_CYCLE_1)
	s_xor_b32 s0, exec_lo, s0
	s_cbranch_execz .LBB154_33
.LBB154_45:
	v_mov_b32_e32 v2, 0
	s_delay_alu instid0(VALU_DEP_1) | instskip(NEXT) | instid1(VALU_DEP_1)
	v_lshlrev_b64 v[0:1], 1, v[1:2]
	v_add_co_u32 v12, vcc_lo, s8, v0
	s_delay_alu instid0(VALU_DEP_2) | instskip(SKIP_3) | instid1(SALU_CYCLE_1)
	v_add_co_ci_u32_e32 v13, vcc_lo, s9, v1, vcc_lo
	v_mov_b32_e32 v0, v3
	global_store_b16 v[12:13], v6, off
	s_or_b32 exec_lo, exec_lo, s0
	s_mov_b32 s0, exec_lo
	v_cmpx_gt_i32_e64 s7, v0
	s_cbranch_execnz .LBB154_34
.LBB154_46:
	s_or_b32 exec_lo, exec_lo, s0
	s_delay_alu instid0(SALU_CYCLE_1)
	s_mov_b32 s0, exec_lo
	v_cmpx_gt_i32_e64 s7, v0
	s_cbranch_execz .LBB154_35
.LBB154_47:
	v_dual_mov_b32 v2, 0 :: v_dual_add_nc_u32 v1, s12, v0
	v_add_nc_u32_e32 v0, 0x100, v0
	s_delay_alu instid0(VALU_DEP_2) | instskip(NEXT) | instid1(VALU_DEP_1)
	v_lshlrev_b64 v[1:2], 1, v[1:2]
	v_add_co_u32 v1, vcc_lo, s8, v1
	s_delay_alu instid0(VALU_DEP_2) | instskip(SKIP_2) | instid1(SALU_CYCLE_1)
	v_add_co_ci_u32_e32 v2, vcc_lo, s9, v2, vcc_lo
	global_store_b16 v[1:2], v10, off
	s_or_b32 exec_lo, exec_lo, s0
	s_mov_b32 s0, exec_lo
	v_cmpx_gt_i32_e64 s7, v0
	s_cbranch_execnz .LBB154_36
.LBB154_48:
	s_or_b32 exec_lo, exec_lo, s0
	s_delay_alu instid0(SALU_CYCLE_1)
	s_mov_b32 s0, exec_lo
	v_cmpx_gt_i32_e64 s7, v0
	s_cbranch_execz .LBB154_37
.LBB154_49:
	v_dual_mov_b32 v2, 0 :: v_dual_add_nc_u32 v1, s12, v0
	v_add_nc_u32_e32 v0, 0x100, v0
	s_delay_alu instid0(VALU_DEP_2) | instskip(NEXT) | instid1(VALU_DEP_1)
	v_lshlrev_b64 v[1:2], 1, v[1:2]
	v_add_co_u32 v1, vcc_lo, s8, v1
	s_delay_alu instid0(VALU_DEP_2) | instskip(SKIP_2) | instid1(SALU_CYCLE_1)
	v_add_co_ci_u32_e32 v2, vcc_lo, s9, v2, vcc_lo
	global_store_b16 v[1:2], v8, off
	s_or_b32 exec_lo, exec_lo, s0
	s_mov_b32 s0, exec_lo
	v_cmpx_gt_i32_e64 s7, v0
	s_cbranch_execnz .LBB154_38
.LBB154_50:
	s_or_b32 exec_lo, exec_lo, s0
	s_delay_alu instid0(SALU_CYCLE_1)
	s_mov_b32 s0, exec_lo
	v_cmpx_gt_i32_e64 s7, v0
	s_cbranch_execz .LBB154_39
.LBB154_51:
	v_dual_mov_b32 v2, 0 :: v_dual_add_nc_u32 v1, s12, v0
	v_add_nc_u32_e32 v0, 0x100, v0
	s_delay_alu instid0(VALU_DEP_2) | instskip(NEXT) | instid1(VALU_DEP_1)
	v_lshlrev_b64 v[1:2], 1, v[1:2]
	v_add_co_u32 v1, vcc_lo, s8, v1
	s_delay_alu instid0(VALU_DEP_2) | instskip(SKIP_2) | instid1(SALU_CYCLE_1)
	v_add_co_ci_u32_e32 v2, vcc_lo, s9, v2, vcc_lo
	global_store_b16 v[1:2], v4, off
	s_or_b32 exec_lo, exec_lo, s0
	s_mov_b32 s0, exec_lo
	v_cmpx_gt_i32_e64 s7, v0
	s_cbranch_execnz .LBB154_40
	s_branch .LBB154_41
	.section	.rodata,"a",@progbits
	.p2align	6, 0x0
	.amdhsa_kernel _ZN2at6native29vectorized_elementwise_kernelILi16EZZZNS0_17expm1_kernel_cudaERNS_18TensorIteratorBaseEENKUlvE_clEvENKUlvE4_clEvEUlN3c104HalfEE_St5arrayIPcLm2EEEEviT0_T1_
		.amdhsa_group_segment_fixed_size 0
		.amdhsa_private_segment_fixed_size 0
		.amdhsa_kernarg_size 24
		.amdhsa_user_sgpr_count 15
		.amdhsa_user_sgpr_dispatch_ptr 0
		.amdhsa_user_sgpr_queue_ptr 0
		.amdhsa_user_sgpr_kernarg_segment_ptr 1
		.amdhsa_user_sgpr_dispatch_id 0
		.amdhsa_user_sgpr_private_segment_size 0
		.amdhsa_wavefront_size32 1
		.amdhsa_uses_dynamic_stack 0
		.amdhsa_enable_private_segment 0
		.amdhsa_system_sgpr_workgroup_id_x 1
		.amdhsa_system_sgpr_workgroup_id_y 0
		.amdhsa_system_sgpr_workgroup_id_z 0
		.amdhsa_system_sgpr_workgroup_info 0
		.amdhsa_system_vgpr_workitem_id 0
		.amdhsa_next_free_vgpr 50
		.amdhsa_next_free_sgpr 16
		.amdhsa_reserve_vcc 1
		.amdhsa_float_round_mode_32 0
		.amdhsa_float_round_mode_16_64 0
		.amdhsa_float_denorm_mode_32 3
		.amdhsa_float_denorm_mode_16_64 3
		.amdhsa_dx10_clamp 1
		.amdhsa_ieee_mode 1
		.amdhsa_fp16_overflow 0
		.amdhsa_workgroup_processor_mode 1
		.amdhsa_memory_ordered 1
		.amdhsa_forward_progress 0
		.amdhsa_shared_vgpr_count 0
		.amdhsa_exception_fp_ieee_invalid_op 0
		.amdhsa_exception_fp_denorm_src 0
		.amdhsa_exception_fp_ieee_div_zero 0
		.amdhsa_exception_fp_ieee_overflow 0
		.amdhsa_exception_fp_ieee_underflow 0
		.amdhsa_exception_fp_ieee_inexact 0
		.amdhsa_exception_int_div_zero 0
	.end_amdhsa_kernel
	.section	.text._ZN2at6native29vectorized_elementwise_kernelILi16EZZZNS0_17expm1_kernel_cudaERNS_18TensorIteratorBaseEENKUlvE_clEvENKUlvE4_clEvEUlN3c104HalfEE_St5arrayIPcLm2EEEEviT0_T1_,"axG",@progbits,_ZN2at6native29vectorized_elementwise_kernelILi16EZZZNS0_17expm1_kernel_cudaERNS_18TensorIteratorBaseEENKUlvE_clEvENKUlvE4_clEvEUlN3c104HalfEE_St5arrayIPcLm2EEEEviT0_T1_,comdat
.Lfunc_end154:
	.size	_ZN2at6native29vectorized_elementwise_kernelILi16EZZZNS0_17expm1_kernel_cudaERNS_18TensorIteratorBaseEENKUlvE_clEvENKUlvE4_clEvEUlN3c104HalfEE_St5arrayIPcLm2EEEEviT0_T1_, .Lfunc_end154-_ZN2at6native29vectorized_elementwise_kernelILi16EZZZNS0_17expm1_kernel_cudaERNS_18TensorIteratorBaseEENKUlvE_clEvENKUlvE4_clEvEUlN3c104HalfEE_St5arrayIPcLm2EEEEviT0_T1_
                                        ; -- End function
	.section	.AMDGPU.csdata,"",@progbits
; Kernel info:
; codeLenInByte = 5280
; NumSgprs: 18
; NumVgprs: 50
; ScratchSize: 0
; MemoryBound: 0
; FloatMode: 240
; IeeeMode: 1
; LDSByteSize: 0 bytes/workgroup (compile time only)
; SGPRBlocks: 2
; VGPRBlocks: 6
; NumSGPRsForWavesPerEU: 18
; NumVGPRsForWavesPerEU: 50
; Occupancy: 16
; WaveLimiterHint : 0
; COMPUTE_PGM_RSRC2:SCRATCH_EN: 0
; COMPUTE_PGM_RSRC2:USER_SGPR: 15
; COMPUTE_PGM_RSRC2:TRAP_HANDLER: 0
; COMPUTE_PGM_RSRC2:TGID_X_EN: 1
; COMPUTE_PGM_RSRC2:TGID_Y_EN: 0
; COMPUTE_PGM_RSRC2:TGID_Z_EN: 0
; COMPUTE_PGM_RSRC2:TIDIG_COMP_CNT: 0
	.section	.text._ZN2at6native29vectorized_elementwise_kernelILi8EZZZNS0_17expm1_kernel_cudaERNS_18TensorIteratorBaseEENKUlvE_clEvENKUlvE4_clEvEUlN3c104HalfEE_St5arrayIPcLm2EEEEviT0_T1_,"axG",@progbits,_ZN2at6native29vectorized_elementwise_kernelILi8EZZZNS0_17expm1_kernel_cudaERNS_18TensorIteratorBaseEENKUlvE_clEvENKUlvE4_clEvEUlN3c104HalfEE_St5arrayIPcLm2EEEEviT0_T1_,comdat
	.globl	_ZN2at6native29vectorized_elementwise_kernelILi8EZZZNS0_17expm1_kernel_cudaERNS_18TensorIteratorBaseEENKUlvE_clEvENKUlvE4_clEvEUlN3c104HalfEE_St5arrayIPcLm2EEEEviT0_T1_ ; -- Begin function _ZN2at6native29vectorized_elementwise_kernelILi8EZZZNS0_17expm1_kernel_cudaERNS_18TensorIteratorBaseEENKUlvE_clEvENKUlvE4_clEvEUlN3c104HalfEE_St5arrayIPcLm2EEEEviT0_T1_
	.p2align	8
	.type	_ZN2at6native29vectorized_elementwise_kernelILi8EZZZNS0_17expm1_kernel_cudaERNS_18TensorIteratorBaseEENKUlvE_clEvENKUlvE4_clEvEUlN3c104HalfEE_St5arrayIPcLm2EEEEviT0_T1_,@function
_ZN2at6native29vectorized_elementwise_kernelILi8EZZZNS0_17expm1_kernel_cudaERNS_18TensorIteratorBaseEENKUlvE_clEvENKUlvE4_clEvEUlN3c104HalfEE_St5arrayIPcLm2EEEEviT0_T1_: ; @_ZN2at6native29vectorized_elementwise_kernelILi8EZZZNS0_17expm1_kernel_cudaERNS_18TensorIteratorBaseEENKUlvE_clEvENKUlvE4_clEvEUlN3c104HalfEE_St5arrayIPcLm2EEEEviT0_T1_
; %bb.0:
	s_clause 0x1
	s_load_b32 s2, s[0:1], 0x0
	s_load_b128 s[8:11], s[0:1], 0x8
	s_lshl_b32 s12, s15, 11
	s_mov_b32 s0, -1
	s_waitcnt lgkmcnt(0)
	s_sub_i32 s7, s2, s12
	s_delay_alu instid0(SALU_CYCLE_1)
	s_cmpk_gt_i32 s7, 0x7ff
	s_cbranch_scc0 .LBB155_2
; %bb.1:
	s_ashr_i32 s13, s12, 31
	v_lshlrev_b32_e32 v5, 4, v0
	s_lshl_b64 s[14:15], s[12:13], 1
	s_mov_b32 s3, 0xbf317218
	s_add_u32 s0, s10, s14
	s_addc_u32 s1, s11, s15
	s_mov_b32 s13, 0x395133b1
	global_load_b128 v[1:4], v5, s[0:1]
	s_waitcnt vmcnt(0)
	v_lshrrev_b32_e32 v7, 16, v2
	v_cvt_f32_f16_e32 v11, v2
	v_cvt_f32_f16_e32 v9, v1
	v_lshrrev_b32_e32 v10, 16, v4
	v_cvt_f32_f16_e32 v13, v4
	v_cvt_f32_f16_e32 v17, v7
	v_mul_f32_e32 v16, 0x3fb8aa3b, v11
	v_mul_f32_e32 v14, 0x3fb8aa3b, v9
	v_cvt_f32_f16_e32 v12, v3
	v_cvt_f32_f16_e32 v21, v10
	v_mul_f32_e32 v23, 0x3fb8aa3b, v17
	v_rndne_f32_e32 v16, v16
	v_rndne_f32_e32 v14, v14
	s_delay_alu instid0(VALU_DEP_4) | instskip(NEXT) | instid1(VALU_DEP_4)
	v_dual_mul_f32 v18, 0x3fb8aa3b, v12 :: v_dual_mul_f32 v25, 0x3fb8aa3b, v21
	v_rndne_f32_e32 v23, v23
	s_delay_alu instid0(VALU_DEP_4)
	v_fma_mix_f32 v28, v16, s3, v2 op_sel_hi:[0,0,1]
	v_cvt_i32_f32_e32 v29, v16
	v_cmp_eq_f32_e64 s0, 0x43000000, v16
	v_fma_mix_f32 v26, v14, s3, v1 op_sel_hi:[0,0,1]
	v_cvt_i32_f32_e32 v35, v23
	v_fmac_f32_e32 v28, 0x3102e308, v16
	v_cmp_eq_f32_e64 s4, 0x43000000, v23
	v_cndmask_b32_e64 v16, v29, 0x7f, s0
	v_fma_mix_f32 v29, v23, s3, v2 op_sel:[0,0,1] op_sel_hi:[0,0,1]
	v_fmac_f32_e32 v26, 0x3102e308, v14
	v_rndne_f32_e32 v25, v25
	v_lshrrev_b32_e32 v6, 16, v1
	v_cvt_i32_f32_e32 v27, v14
	v_fmac_f32_e32 v29, 0x3102e308, v23
	v_cndmask_b32_e64 v23, v35, 0x7f, s4
	v_cvt_i32_f32_e32 v37, v25
	v_cmp_eq_f32_e64 s6, 0x43000000, v25
	v_cvt_f32_f16_e32 v15, v6
	v_cmp_eq_f32_e32 vcc_lo, 0x43000000, v14
	v_ldexp_f32 v23, 1.0, v23
	v_mul_f32_e32 v20, 0x3fb8aa3b, v13
	v_ldexp_f32 v16, 1.0, v16
	v_lshrrev_b32_e32 v8, 16, v3
	v_cndmask_b32_e64 v14, v27, 0x7f, vcc_lo
	v_add_f32_e32 v47, -1.0, v23
	v_rndne_f32_e32 v20, v20
	v_rndne_f32_e32 v18, v18
	v_cvt_f32_f16_e32 v19, v8
	v_ldexp_f32 v14, 1.0, v14
	v_add_f32_e32 v40, -1.0, v16
	v_fma_mix_f32 v32, v20, s3, v4 op_sel_hi:[0,0,1]
	v_cvt_i32_f32_e32 v33, v20
	v_cmp_eq_f32_e64 s2, 0x43000000, v20
	v_fma_mix_f32 v30, v18, s3, v3 op_sel_hi:[0,0,1]
	v_cvt_i32_f32_e32 v31, v18
	v_fmac_f32_e32 v32, 0x3102e308, v20
	v_cmp_eq_f32_e64 s1, 0x43000000, v18
	v_cndmask_b32_e64 v20, v33, 0x7f, s2
	v_fma_mix_f32 v33, v25, s3, v4 op_sel:[0,0,1] op_sel_hi:[0,0,1]
	v_fmaak_f32 v41, s13, v29, 0x3ab69700
	s_delay_alu instid0(VALU_DEP_3) | instskip(NEXT) | instid1(VALU_DEP_3)
	v_ldexp_f32 v20, 1.0, v20
	v_fmac_f32_e32 v33, 0x3102e308, v25
	v_cndmask_b32_e64 v25, v37, 0x7f, s6
	s_delay_alu instid0(VALU_DEP_3) | instskip(NEXT) | instid1(VALU_DEP_3)
	v_dual_fmaak_f32 v41, v29, v41, 0x3c0887f9 :: v_dual_add_f32 v44, -1.0, v20
	v_fmaak_f32 v45, s13, v33, 0x3ab69700
	s_delay_alu instid0(VALU_DEP_3) | instskip(NEXT) | instid1(VALU_DEP_1)
	v_ldexp_f32 v25, 1.0, v25
	v_dual_mul_f32 v22, 0x3fb8aa3b, v15 :: v_dual_add_f32 v49, -1.0, v25
	s_delay_alu instid0(VALU_DEP_1) | instskip(NEXT) | instid1(VALU_DEP_1)
	v_rndne_f32_e32 v22, v22
	v_fma_mix_f32 v27, v22, s3, v1 op_sel:[0,0,1] op_sel_hi:[0,0,1]
	v_cvt_i32_f32_e32 v34, v22
	s_delay_alu instid0(VALU_DEP_2) | instskip(NEXT) | instid1(VALU_DEP_1)
	v_fmac_f32_e32 v27, 0x3102e308, v22
	v_dual_fmaak_f32 v38, s13, v26, 0x3ab69700 :: v_dual_fmaak_f32 v39, s13, v27, 0x3ab69700
	s_delay_alu instid0(VALU_DEP_1) | instskip(NEXT) | instid1(VALU_DEP_2)
	v_fmaak_f32 v37, v26, v38, 0x3c0887f9
	v_fmaak_f32 v39, v27, v39, 0x3c0887f9
	s_delay_alu instid0(VALU_DEP_2) | instskip(NEXT) | instid1(VALU_DEP_2)
	v_fmaak_f32 v37, v26, v37, 0x3d2aaa81
	v_fmaak_f32 v39, v27, v39, 0x3d2aaa81
	s_delay_alu instid0(VALU_DEP_2) | instskip(NEXT) | instid1(VALU_DEP_1)
	v_fmaak_f32 v37, v26, v37, 0x3e2aaaab
	v_fma_f32 v37, v26, v37, 0.5
	s_delay_alu instid0(VALU_DEP_1) | instskip(NEXT) | instid1(VALU_DEP_1)
	v_dual_mul_f32 v24, 0x3fb8aa3b, v19 :: v_dual_mul_f32 v37, v26, v37
	v_rndne_f32_e32 v24, v24
	v_fmac_f32_e32 v30, 0x3102e308, v18
	v_cndmask_b32_e64 v18, v31, 0x7f, s1
	s_delay_alu instid0(VALU_DEP_4) | instskip(NEXT) | instid1(VALU_DEP_4)
	v_fmac_f32_e32 v26, v26, v37
	v_fma_mix_f32 v31, v24, s3, v3 op_sel:[0,0,1] op_sel_hi:[0,0,1]
	v_cmp_eq_f32_e64 s3, 0x43000000, v22
	v_cvt_i32_f32_e32 v36, v24
	v_cmp_eq_f32_e64 s5, 0x43000000, v24
	v_ldexp_f32 v18, 1.0, v18
	v_fmac_f32_e32 v31, 0x3102e308, v24
	v_cndmask_b32_e64 v22, v34, 0x7f, s3
	v_dual_fmaak_f32 v34, s13, v28, 0x3ab69700 :: v_dual_fmaak_f32 v35, s13, v30, 0x3ab69700
	v_cndmask_b32_e64 v24, v36, 0x7f, s5
	v_fmaak_f32 v36, s13, v32, 0x3ab69700
	v_add_f32_e32 v38, -1.0, v14
	s_delay_alu instid0(VALU_DEP_4) | instskip(SKIP_1) | instid1(VALU_DEP_4)
	v_dual_fmaak_f32 v34, v28, v34, 0x3c0887f9 :: v_dual_fmaak_f32 v35, v30, v35, 0x3c0887f9
	v_dual_add_f32 v42, -1.0, v18 :: v_dual_fmaak_f32 v43, s13, v31, 0x3ab69700
	v_fmaak_f32 v36, v32, v36, 0x3c0887f9
	s_delay_alu instid0(VALU_DEP_3) | instskip(SKIP_1) | instid1(VALU_DEP_4)
	v_dual_fmaak_f32 v34, v28, v34, 0x3d2aaa81 :: v_dual_fmaak_f32 v35, v30, v35, 0x3d2aaa81
	v_ldexp_f32 v24, 1.0, v24
	v_fmaak_f32 v43, v31, v43, 0x3c0887f9
	s_delay_alu instid0(VALU_DEP_4) | instskip(NEXT) | instid1(VALU_DEP_4)
	v_fmaak_f32 v36, v32, v36, 0x3d2aaa81
	v_dual_fmaak_f32 v34, v28, v34, 0x3e2aaaab :: v_dual_fmaak_f32 v35, v30, v35, 0x3e2aaaab
	s_delay_alu instid0(VALU_DEP_3) | instskip(NEXT) | instid1(VALU_DEP_3)
	v_dual_add_f32 v48, -1.0, v24 :: v_dual_fmaak_f32 v43, v31, v43, 0x3d2aaa81
	v_fmaak_f32 v36, v32, v36, 0x3e2aaaab
	s_delay_alu instid0(VALU_DEP_3) | instskip(SKIP_4) | instid1(VALU_DEP_4)
	v_fma_f32 v34, v28, v34, 0.5
	v_fmaak_f32 v45, v33, v45, 0x3c0887f9
	v_fma_f32 v35, v30, v35, 0.5
	v_fmac_f32_e32 v38, v14, v26
	v_fma_f32 v36, v32, v36, 0.5
	v_dual_mul_f32 v34, v28, v34 :: v_dual_fmaak_f32 v45, v33, v45, 0x3d2aaa81
	v_fmaak_f32 v41, v29, v41, 0x3d2aaa81
	v_ldexp_f32 v22, 1.0, v22
	s_delay_alu instid0(VALU_DEP_4) | instskip(NEXT) | instid1(VALU_DEP_4)
	v_mul_f32_e32 v36, v32, v36
	v_dual_fmac_f32 v28, v28, v34 :: v_dual_fmaak_f32 v45, v33, v45, 0x3e2aaaab
	s_delay_alu instid0(VALU_DEP_3) | instskip(NEXT) | instid1(VALU_DEP_3)
	v_dual_fmaak_f32 v43, v31, v43, 0x3e2aaaab :: v_dual_add_f32 v46, -1.0, v22
	v_fmac_f32_e32 v32, v32, v36
	v_add_f32_e32 v14, v38, v38
	s_delay_alu instid0(VALU_DEP_4)
	v_fma_f32 v45, v33, v45, 0.5
	v_mul_f32_e32 v35, v30, v35
	v_fma_f32 v43, v31, v43, 0.5
	v_fmac_f32_e32 v40, v16, v28
	v_fmac_f32_e32 v44, v20, v32
	v_mul_f32_e32 v36, v33, v45
	v_dual_fmaak_f32 v41, v29, v41, 0x3e2aaaab :: v_dual_fmac_f32 v30, v30, v35
	v_mul_f32_e32 v35, v31, v43
	s_delay_alu instid0(VALU_DEP_2) | instskip(NEXT) | instid1(VALU_DEP_3)
	v_fma_f32 v41, v29, v41, 0.5
	v_dual_fmac_f32 v42, v18, v30 :: v_dual_fmaak_f32 v39, v27, v39, 0x3e2aaaab
	s_delay_alu instid0(VALU_DEP_3) | instskip(SKIP_1) | instid1(VALU_DEP_4)
	v_fmac_f32_e32 v31, v31, v35
	v_fmac_f32_e32 v33, v33, v36
	v_mul_f32_e32 v34, v29, v41
	s_delay_alu instid0(VALU_DEP_4) | instskip(SKIP_1) | instid1(VALU_DEP_4)
	v_add_f32_e32 v18, v42, v42
	v_fma_f32 v39, v27, v39, 0.5
	v_dual_fmac_f32 v48, v24, v31 :: v_dual_fmac_f32 v49, v25, v33
	v_cndmask_b32_e32 v14, v38, v14, vcc_lo
	v_cmp_nlt_f32_e32 vcc_lo, 0x42b17217, v9
	s_delay_alu instid0(VALU_DEP_4) | instskip(SKIP_3) | instid1(VALU_DEP_4)
	v_mul_f32_e32 v37, v27, v39
	v_cndmask_b32_e64 v18, v42, v18, s1
	v_dual_add_f32 v25, v49, v49 :: v_dual_add_f32 v24, v48, v48
	v_cndmask_b32_e32 v9, 0x7f800000, v14, vcc_lo
	v_fmac_f32_e32 v27, v27, v37
	v_fmac_f32_e32 v29, v29, v34
	v_cmp_nlt_f32_e32 vcc_lo, 0x42b17217, v11
	s_delay_alu instid0(VALU_DEP_4) | instskip(NEXT) | instid1(VALU_DEP_4)
	v_cvt_f16_f32_e32 v9, v9
	v_fmac_f32_e32 v46, v22, v27
	s_delay_alu instid0(VALU_DEP_4) | instskip(SKIP_1) | instid1(VALU_DEP_2)
	v_dual_add_f32 v16, v40, v40 :: v_dual_fmac_f32 v47, v23, v29
	v_add_f32_e32 v20, v44, v44
	v_cndmask_b32_e64 v16, v40, v16, s0
	s_delay_alu instid0(VALU_DEP_3) | instskip(NEXT) | instid1(VALU_DEP_3)
	v_dual_add_f32 v23, v47, v47 :: v_dual_add_f32 v22, v46, v46
	v_cndmask_b32_e64 v20, v44, v20, s2
	s_add_u32 s2, s8, s14
	s_delay_alu instid0(VALU_DEP_3)
	v_cndmask_b32_e32 v11, 0x7f800000, v16, vcc_lo
	v_cmp_nlt_f32_e32 vcc_lo, 0x42b17217, v12
	v_cndmask_b32_e64 v14, v46, v22, s3
	v_cndmask_b32_e64 v16, v47, v23, s4
	s_addc_u32 s3, s9, s15
	v_cvt_f16_f32_e32 v11, v11
	v_cndmask_b32_e32 v12, 0x7f800000, v18, vcc_lo
	v_cmp_nlt_f32_e32 vcc_lo, 0x42b17217, v13
	v_cndmask_b32_e64 v18, v48, v24, s5
	s_mov_b32 s0, 0
	s_delay_alu instid0(VALU_DEP_3) | instskip(SKIP_3) | instid1(VALU_DEP_3)
	v_cvt_f16_f32_e32 v12, v12
	v_cndmask_b32_e32 v13, 0x7f800000, v20, vcc_lo
	v_cmp_nlt_f32_e32 vcc_lo, 0x42b17217, v15
	v_cndmask_b32_e64 v20, v49, v25, s6
	v_cvt_f16_f32_e32 v13, v13
	v_cndmask_b32_e32 v14, 0x7f800000, v14, vcc_lo
	v_cmp_nlt_f32_e32 vcc_lo, 0x42b17217, v17
	v_cndmask_b32_e32 v15, 0x7f800000, v16, vcc_lo
	v_cmp_nlt_f32_e32 vcc_lo, 0x42b17217, v19
	;; [unrolled: 2-line block ×3, first 2 shown]
	v_cndmask_b32_e32 v17, 0x7f800000, v20, vcc_lo
	v_cmp_ngt_f16_e32 vcc_lo, 0xcc40, v1
	v_cndmask_b32_e32 v1, 0xbc00, v9, vcc_lo
	v_cmp_ngt_f16_e32 vcc_lo, 0xcc40, v2
	v_cvt_f16_f32_e32 v9, v14
	v_cvt_f16_f32_e32 v14, v17
	v_cndmask_b32_e32 v2, 0xbc00, v11, vcc_lo
	v_cmp_ngt_f16_e32 vcc_lo, 0xcc40, v3
	v_cvt_f16_f32_e32 v11, v15
	v_cndmask_b32_e32 v3, 0xbc00, v12, vcc_lo
	v_cmp_ngt_f16_e32 vcc_lo, 0xcc40, v4
	v_cvt_f16_f32_e32 v12, v16
	v_cndmask_b32_e32 v4, 0xbc00, v13, vcc_lo
	v_cmp_ngt_f16_e32 vcc_lo, 0xcc40, v7
	v_cndmask_b32_e32 v7, 0xbc00, v11, vcc_lo
	v_cmp_ngt_f16_e32 vcc_lo, 0xcc40, v10
	s_delay_alu instid0(VALU_DEP_2) | instskip(SKIP_2) | instid1(VALU_DEP_2)
	v_pack_b32_f16 v2, v2, v7
	v_cndmask_b32_e32 v10, 0xbc00, v14, vcc_lo
	v_cmp_ngt_f16_e32 vcc_lo, 0xcc40, v8
	v_pack_b32_f16 v4, v4, v10
	v_cndmask_b32_e32 v8, 0xbc00, v12, vcc_lo
	v_cmp_ngt_f16_e32 vcc_lo, 0xcc40, v6
	s_delay_alu instid0(VALU_DEP_2) | instskip(SKIP_1) | instid1(VALU_DEP_1)
	v_pack_b32_f16 v3, v3, v8
	v_cndmask_b32_e32 v6, 0xbc00, v9, vcc_lo
	v_pack_b32_f16 v1, v1, v6
	global_store_b128 v5, v[1:4], s[2:3]
.LBB155_2:
	s_and_not1_b32 vcc_lo, exec_lo, s0
	s_cbranch_vccnz .LBB155_41
; %bb.3:
	v_cmp_gt_i32_e32 vcc_lo, s7, v0
	v_dual_mov_b32 v10, 0 :: v_dual_mov_b32 v7, 0
	v_or_b32_e32 v1, s12, v0
	v_or_b32_e32 v3, 0x100, v0
	v_mov_b32_e32 v6, v0
	s_and_saveexec_b32 s1, vcc_lo
	s_cbranch_execz .LBB155_5
; %bb.4:
	v_mov_b32_e32 v2, 0
	v_or_b32_e32 v6, 0x100, v0
	s_delay_alu instid0(VALU_DEP_2) | instskip(NEXT) | instid1(VALU_DEP_1)
	v_lshlrev_b64 v[4:5], 1, v[1:2]
	v_add_co_u32 v4, s0, s10, v4
	s_delay_alu instid0(VALU_DEP_1)
	v_add_co_ci_u32_e64 v5, s0, s11, v5, s0
	global_load_u16 v7, v[4:5], off
.LBB155_5:
	s_or_b32 exec_lo, exec_lo, s1
	s_delay_alu instid0(SALU_CYCLE_1)
	s_mov_b32 s1, exec_lo
	v_cmpx_gt_i32_e64 s7, v6
	s_cbranch_execz .LBB155_7
; %bb.6:
	v_dual_mov_b32 v5, 0 :: v_dual_add_nc_u32 v4, s12, v6
	v_add_nc_u32_e32 v6, 0x100, v6
	s_delay_alu instid0(VALU_DEP_2) | instskip(NEXT) | instid1(VALU_DEP_1)
	v_lshlrev_b64 v[4:5], 1, v[4:5]
	v_add_co_u32 v4, s0, s10, v4
	s_delay_alu instid0(VALU_DEP_1)
	v_add_co_ci_u32_e64 v5, s0, s11, v5, s0
	global_load_u16 v10, v[4:5], off
.LBB155_7:
	s_or_b32 exec_lo, exec_lo, s1
	v_dual_mov_b32 v8, 0 :: v_dual_mov_b32 v11, 0
	s_mov_b32 s1, exec_lo
	v_cmpx_gt_i32_e64 s7, v6
	s_cbranch_execz .LBB155_9
; %bb.8:
	v_dual_mov_b32 v5, 0 :: v_dual_add_nc_u32 v4, s12, v6
	v_add_nc_u32_e32 v6, 0x100, v6
	s_delay_alu instid0(VALU_DEP_2) | instskip(NEXT) | instid1(VALU_DEP_1)
	v_lshlrev_b64 v[4:5], 1, v[4:5]
	v_add_co_u32 v4, s0, s10, v4
	s_delay_alu instid0(VALU_DEP_1)
	v_add_co_ci_u32_e64 v5, s0, s11, v5, s0
	global_load_u16 v11, v[4:5], off
.LBB155_9:
	s_or_b32 exec_lo, exec_lo, s1
	s_delay_alu instid0(SALU_CYCLE_1)
	s_mov_b32 s1, exec_lo
	v_cmpx_gt_i32_e64 s7, v6
	s_cbranch_execz .LBB155_11
; %bb.10:
	v_dual_mov_b32 v5, 0 :: v_dual_add_nc_u32 v4, s12, v6
	v_add_nc_u32_e32 v6, 0x100, v6
	s_delay_alu instid0(VALU_DEP_2) | instskip(NEXT) | instid1(VALU_DEP_1)
	v_lshlrev_b64 v[4:5], 1, v[4:5]
	v_add_co_u32 v4, s0, s10, v4
	s_delay_alu instid0(VALU_DEP_1)
	v_add_co_ci_u32_e64 v5, s0, s11, v5, s0
	global_load_u16 v8, v[4:5], off
.LBB155_11:
	s_or_b32 exec_lo, exec_lo, s1
	v_dual_mov_b32 v4, 0 :: v_dual_mov_b32 v9, 0
	s_mov_b32 s1, exec_lo
	v_cmpx_gt_i32_e64 s7, v6
	s_cbranch_execz .LBB155_13
; %bb.12:
	v_dual_mov_b32 v13, 0 :: v_dual_add_nc_u32 v12, s12, v6
	v_add_nc_u32_e32 v6, 0x100, v6
	s_delay_alu instid0(VALU_DEP_2) | instskip(NEXT) | instid1(VALU_DEP_1)
	v_lshlrev_b64 v[12:13], 1, v[12:13]
	v_add_co_u32 v12, s0, s10, v12
	s_delay_alu instid0(VALU_DEP_1)
	v_add_co_ci_u32_e64 v13, s0, s11, v13, s0
	global_load_u16 v9, v[12:13], off
.LBB155_13:
	s_or_b32 exec_lo, exec_lo, s1
	s_delay_alu instid0(SALU_CYCLE_1)
	s_mov_b32 s1, exec_lo
	v_cmpx_gt_i32_e64 s7, v6
	s_cbranch_execz .LBB155_15
; %bb.14:
	v_dual_mov_b32 v5, 0 :: v_dual_add_nc_u32 v4, s12, v6
	v_add_nc_u32_e32 v6, 0x100, v6
	s_delay_alu instid0(VALU_DEP_2) | instskip(NEXT) | instid1(VALU_DEP_1)
	v_lshlrev_b64 v[4:5], 1, v[4:5]
	v_add_co_u32 v4, s0, s10, v4
	s_delay_alu instid0(VALU_DEP_1)
	v_add_co_ci_u32_e64 v5, s0, s11, v5, s0
	global_load_u16 v4, v[4:5], off
.LBB155_15:
	s_or_b32 exec_lo, exec_lo, s1
	v_dual_mov_b32 v2, 0 :: v_dual_mov_b32 v5, 0
	s_mov_b32 s1, exec_lo
	v_cmpx_gt_i32_e64 s7, v6
	s_cbranch_execz .LBB155_42
; %bb.16:
	v_dual_mov_b32 v13, 0 :: v_dual_add_nc_u32 v12, s12, v6
	v_add_nc_u32_e32 v6, 0x100, v6
	s_delay_alu instid0(VALU_DEP_2) | instskip(NEXT) | instid1(VALU_DEP_1)
	v_lshlrev_b64 v[12:13], 1, v[12:13]
	v_add_co_u32 v12, s0, s10, v12
	s_delay_alu instid0(VALU_DEP_1) | instskip(SKIP_2) | instid1(SALU_CYCLE_1)
	v_add_co_ci_u32_e64 v13, s0, s11, v13, s0
	global_load_u16 v5, v[12:13], off
	s_or_b32 exec_lo, exec_lo, s1
	s_mov_b32 s1, exec_lo
	v_cmpx_gt_i32_e64 s7, v6
	s_cbranch_execnz .LBB155_43
.LBB155_17:
	s_or_b32 exec_lo, exec_lo, s1
                                        ; implicit-def: $vgpr6
	s_and_saveexec_b32 s1, vcc_lo
	s_cbranch_execz .LBB155_19
.LBB155_18:
	s_waitcnt vmcnt(0)
	v_cvt_f32_f16_e32 v6, v7
	s_mov_b32 s0, 0xbf317218
	s_delay_alu instid0(VALU_DEP_1) | instskip(NEXT) | instid1(VALU_DEP_1)
	v_mul_f32_e32 v12, 0x3fb8aa3b, v6
	v_rndne_f32_e32 v12, v12
	s_delay_alu instid0(VALU_DEP_1) | instskip(SKIP_2) | instid1(VALU_DEP_2)
	v_fma_mix_f32 v13, v12, s0, v7 op_sel_hi:[0,0,1]
	s_mov_b32 s0, 0x395133b1
	v_cvt_i32_f32_e32 v15, v12
	v_fmamk_f32 v13, v12, 0x3102e308, v13
	s_delay_alu instid0(VALU_DEP_1) | instskip(SKIP_1) | instid1(VALU_DEP_2)
	v_fmaak_f32 v14, s0, v13, 0x3ab69700
	v_cmp_eq_f32_e64 s0, 0x43000000, v12
	v_fmaak_f32 v14, v13, v14, 0x3c0887f9
	s_delay_alu instid0(VALU_DEP_2) | instskip(NEXT) | instid1(VALU_DEP_2)
	v_cndmask_b32_e64 v12, v15, 0x7f, s0
	v_fmaak_f32 v14, v13, v14, 0x3d2aaa81
	s_delay_alu instid0(VALU_DEP_2) | instskip(NEXT) | instid1(VALU_DEP_2)
	v_ldexp_f32 v12, 1.0, v12
	v_fmaak_f32 v14, v13, v14, 0x3e2aaaab
	s_delay_alu instid0(VALU_DEP_1) | instskip(NEXT) | instid1(VALU_DEP_1)
	v_fma_f32 v14, v13, v14, 0.5
	v_mul_f32_e32 v14, v13, v14
	s_delay_alu instid0(VALU_DEP_1) | instskip(NEXT) | instid1(VALU_DEP_1)
	v_dual_fmac_f32 v13, v13, v14 :: v_dual_add_f32 v14, -1.0, v12
	v_fmac_f32_e32 v14, v12, v13
	s_delay_alu instid0(VALU_DEP_1) | instskip(NEXT) | instid1(VALU_DEP_1)
	v_add_f32_e32 v12, v14, v14
	v_cndmask_b32_e64 v12, v14, v12, s0
	v_cmp_nlt_f32_e64 s0, 0x42b17217, v6
	s_delay_alu instid0(VALU_DEP_1) | instskip(SKIP_1) | instid1(VALU_DEP_2)
	v_cndmask_b32_e64 v6, 0x7f800000, v12, s0
	v_cmp_ngt_f16_e64 s0, 0xcc40, v7
	v_cvt_f16_f32_e32 v6, v6
	s_delay_alu instid0(VALU_DEP_1)
	v_cndmask_b32_e64 v6, 0xbc00, v6, s0
.LBB155_19:
	s_or_b32 exec_lo, exec_lo, s1
	s_delay_alu instid0(SALU_CYCLE_1)
	s_mov_b32 s1, exec_lo
                                        ; implicit-def: $vgpr7
	v_cmpx_gt_i32_e64 s7, v3
	s_cbranch_execz .LBB155_21
; %bb.20:
	s_waitcnt vmcnt(0)
	v_cvt_f32_f16_e32 v7, v10
	s_mov_b32 s0, 0xbf317218
	s_delay_alu instid0(VALU_DEP_1) | instskip(NEXT) | instid1(VALU_DEP_1)
	v_mul_f32_e32 v12, 0x3fb8aa3b, v7
	v_rndne_f32_e32 v12, v12
	s_delay_alu instid0(VALU_DEP_1) | instskip(SKIP_2) | instid1(VALU_DEP_2)
	v_fma_mix_f32 v13, v12, s0, v10 op_sel_hi:[0,0,1]
	s_mov_b32 s0, 0x395133b1
	v_cvt_i32_f32_e32 v15, v12
	v_fmamk_f32 v13, v12, 0x3102e308, v13
	s_delay_alu instid0(VALU_DEP_1) | instskip(SKIP_1) | instid1(VALU_DEP_2)
	v_fmaak_f32 v14, s0, v13, 0x3ab69700
	v_cmp_eq_f32_e64 s0, 0x43000000, v12
	v_fmaak_f32 v14, v13, v14, 0x3c0887f9
	s_delay_alu instid0(VALU_DEP_2) | instskip(NEXT) | instid1(VALU_DEP_2)
	v_cndmask_b32_e64 v12, v15, 0x7f, s0
	v_fmaak_f32 v14, v13, v14, 0x3d2aaa81
	s_delay_alu instid0(VALU_DEP_2) | instskip(NEXT) | instid1(VALU_DEP_2)
	v_ldexp_f32 v12, 1.0, v12
	v_fmaak_f32 v14, v13, v14, 0x3e2aaaab
	s_delay_alu instid0(VALU_DEP_1) | instskip(NEXT) | instid1(VALU_DEP_1)
	v_fma_f32 v14, v13, v14, 0.5
	v_mul_f32_e32 v14, v13, v14
	s_delay_alu instid0(VALU_DEP_1) | instskip(NEXT) | instid1(VALU_DEP_1)
	v_dual_fmac_f32 v13, v13, v14 :: v_dual_add_f32 v14, -1.0, v12
	v_fmac_f32_e32 v14, v12, v13
	s_delay_alu instid0(VALU_DEP_1) | instskip(NEXT) | instid1(VALU_DEP_1)
	v_add_f32_e32 v12, v14, v14
	v_cndmask_b32_e64 v12, v14, v12, s0
	v_cmp_nlt_f32_e64 s0, 0x42b17217, v7
	s_delay_alu instid0(VALU_DEP_1) | instskip(SKIP_1) | instid1(VALU_DEP_2)
	v_cndmask_b32_e64 v7, 0x7f800000, v12, s0
	v_cmp_ngt_f16_e64 s0, 0xcc40, v10
	v_cvt_f16_f32_e32 v7, v7
	s_delay_alu instid0(VALU_DEP_1)
	v_cndmask_b32_e64 v7, 0xbc00, v7, s0
.LBB155_21:
	s_or_b32 exec_lo, exec_lo, s1
	s_waitcnt vmcnt(0)
	v_or_b32_e32 v10, 0x200, v0
	s_delay_alu instid0(VALU_DEP_1) | instskip(NEXT) | instid1(VALU_DEP_1)
	v_cmp_gt_i32_e64 s0, s7, v10
                                        ; implicit-def: $vgpr10
	s_and_saveexec_b32 s1, s0
	s_cbranch_execz .LBB155_23
; %bb.22:
	v_cvt_f32_f16_e32 v10, v11
	s_mov_b32 s0, 0xbf317218
	s_delay_alu instid0(VALU_DEP_1) | instskip(NEXT) | instid1(VALU_DEP_1)
	v_mul_f32_e32 v12, 0x3fb8aa3b, v10
	v_rndne_f32_e32 v12, v12
	s_delay_alu instid0(VALU_DEP_1) | instskip(SKIP_2) | instid1(VALU_DEP_2)
	v_fma_mix_f32 v13, v12, s0, v11 op_sel_hi:[0,0,1]
	s_mov_b32 s0, 0x395133b1
	v_cvt_i32_f32_e32 v15, v12
	v_fmamk_f32 v13, v12, 0x3102e308, v13
	s_delay_alu instid0(VALU_DEP_1) | instskip(SKIP_1) | instid1(VALU_DEP_2)
	v_fmaak_f32 v14, s0, v13, 0x3ab69700
	v_cmp_eq_f32_e64 s0, 0x43000000, v12
	v_fmaak_f32 v14, v13, v14, 0x3c0887f9
	s_delay_alu instid0(VALU_DEP_2) | instskip(NEXT) | instid1(VALU_DEP_2)
	v_cndmask_b32_e64 v12, v15, 0x7f, s0
	v_fmaak_f32 v14, v13, v14, 0x3d2aaa81
	s_delay_alu instid0(VALU_DEP_2) | instskip(NEXT) | instid1(VALU_DEP_2)
	v_ldexp_f32 v12, 1.0, v12
	v_fmaak_f32 v14, v13, v14, 0x3e2aaaab
	s_delay_alu instid0(VALU_DEP_1) | instskip(NEXT) | instid1(VALU_DEP_1)
	v_fma_f32 v14, v13, v14, 0.5
	v_mul_f32_e32 v14, v13, v14
	s_delay_alu instid0(VALU_DEP_1) | instskip(NEXT) | instid1(VALU_DEP_1)
	v_dual_fmac_f32 v13, v13, v14 :: v_dual_add_f32 v14, -1.0, v12
	v_fmac_f32_e32 v14, v12, v13
	s_delay_alu instid0(VALU_DEP_1) | instskip(NEXT) | instid1(VALU_DEP_1)
	v_add_f32_e32 v12, v14, v14
	v_cndmask_b32_e64 v12, v14, v12, s0
	v_cmp_nlt_f32_e64 s0, 0x42b17217, v10
	s_delay_alu instid0(VALU_DEP_1) | instskip(SKIP_1) | instid1(VALU_DEP_2)
	v_cndmask_b32_e64 v10, 0x7f800000, v12, s0
	v_cmp_ngt_f16_e64 s0, 0xcc40, v11
	v_cvt_f16_f32_e32 v10, v10
	s_delay_alu instid0(VALU_DEP_1)
	v_cndmask_b32_e64 v10, 0xbc00, v10, s0
.LBB155_23:
	s_or_b32 exec_lo, exec_lo, s1
	v_or_b32_e32 v11, 0x300, v0
	s_delay_alu instid0(VALU_DEP_1) | instskip(NEXT) | instid1(VALU_DEP_1)
	v_cmp_gt_i32_e64 s0, s7, v11
                                        ; implicit-def: $vgpr11
	s_and_saveexec_b32 s1, s0
	s_cbranch_execz .LBB155_25
; %bb.24:
	v_cvt_f32_f16_e32 v11, v8
	s_mov_b32 s0, 0xbf317218
	s_delay_alu instid0(VALU_DEP_1) | instskip(NEXT) | instid1(VALU_DEP_1)
	v_mul_f32_e32 v12, 0x3fb8aa3b, v11
	v_rndne_f32_e32 v12, v12
	s_delay_alu instid0(VALU_DEP_1) | instskip(SKIP_2) | instid1(VALU_DEP_2)
	v_fma_mix_f32 v13, v12, s0, v8 op_sel_hi:[0,0,1]
	s_mov_b32 s0, 0x395133b1
	v_cvt_i32_f32_e32 v15, v12
	v_fmamk_f32 v13, v12, 0x3102e308, v13
	s_delay_alu instid0(VALU_DEP_1) | instskip(SKIP_1) | instid1(VALU_DEP_2)
	v_fmaak_f32 v14, s0, v13, 0x3ab69700
	v_cmp_eq_f32_e64 s0, 0x43000000, v12
	v_fmaak_f32 v14, v13, v14, 0x3c0887f9
	s_delay_alu instid0(VALU_DEP_2) | instskip(NEXT) | instid1(VALU_DEP_2)
	v_cndmask_b32_e64 v12, v15, 0x7f, s0
	v_fmaak_f32 v14, v13, v14, 0x3d2aaa81
	s_delay_alu instid0(VALU_DEP_2) | instskip(NEXT) | instid1(VALU_DEP_2)
	v_ldexp_f32 v12, 1.0, v12
	v_fmaak_f32 v14, v13, v14, 0x3e2aaaab
	s_delay_alu instid0(VALU_DEP_1) | instskip(NEXT) | instid1(VALU_DEP_1)
	v_fma_f32 v14, v13, v14, 0.5
	v_mul_f32_e32 v14, v13, v14
	s_delay_alu instid0(VALU_DEP_1) | instskip(NEXT) | instid1(VALU_DEP_1)
	v_dual_fmac_f32 v13, v13, v14 :: v_dual_add_f32 v14, -1.0, v12
	v_fmac_f32_e32 v14, v12, v13
	s_delay_alu instid0(VALU_DEP_1) | instskip(NEXT) | instid1(VALU_DEP_1)
	v_add_f32_e32 v12, v14, v14
	v_cndmask_b32_e64 v12, v14, v12, s0
	v_cmp_nlt_f32_e64 s0, 0x42b17217, v11
	s_delay_alu instid0(VALU_DEP_1) | instskip(SKIP_1) | instid1(VALU_DEP_2)
	v_cndmask_b32_e64 v11, 0x7f800000, v12, s0
	v_cmp_ngt_f16_e64 s0, 0xcc40, v8
	v_cvt_f16_f32_e32 v11, v11
	s_delay_alu instid0(VALU_DEP_1)
	v_cndmask_b32_e64 v11, 0xbc00, v11, s0
.LBB155_25:
	s_or_b32 exec_lo, exec_lo, s1
	v_or_b32_e32 v8, 0x400, v0
	s_delay_alu instid0(VALU_DEP_1) | instskip(NEXT) | instid1(VALU_DEP_1)
	v_cmp_gt_i32_e64 s0, s7, v8
                                        ; implicit-def: $vgpr8
	s_and_saveexec_b32 s1, s0
	s_cbranch_execz .LBB155_27
; %bb.26:
	v_cvt_f32_f16_e32 v8, v9
	s_mov_b32 s0, 0xbf317218
	s_delay_alu instid0(VALU_DEP_1) | instskip(NEXT) | instid1(VALU_DEP_1)
	v_mul_f32_e32 v12, 0x3fb8aa3b, v8
	v_rndne_f32_e32 v12, v12
	s_delay_alu instid0(VALU_DEP_1) | instskip(SKIP_2) | instid1(VALU_DEP_2)
	v_fma_mix_f32 v13, v12, s0, v9 op_sel_hi:[0,0,1]
	s_mov_b32 s0, 0x395133b1
	v_cvt_i32_f32_e32 v15, v12
	v_fmamk_f32 v13, v12, 0x3102e308, v13
	s_delay_alu instid0(VALU_DEP_1) | instskip(SKIP_1) | instid1(VALU_DEP_2)
	v_fmaak_f32 v14, s0, v13, 0x3ab69700
	v_cmp_eq_f32_e64 s0, 0x43000000, v12
	v_fmaak_f32 v14, v13, v14, 0x3c0887f9
	s_delay_alu instid0(VALU_DEP_2) | instskip(NEXT) | instid1(VALU_DEP_2)
	v_cndmask_b32_e64 v12, v15, 0x7f, s0
	v_fmaak_f32 v14, v13, v14, 0x3d2aaa81
	s_delay_alu instid0(VALU_DEP_2) | instskip(NEXT) | instid1(VALU_DEP_2)
	v_ldexp_f32 v12, 1.0, v12
	v_fmaak_f32 v14, v13, v14, 0x3e2aaaab
	s_delay_alu instid0(VALU_DEP_1) | instskip(NEXT) | instid1(VALU_DEP_1)
	v_fma_f32 v14, v13, v14, 0.5
	v_mul_f32_e32 v14, v13, v14
	s_delay_alu instid0(VALU_DEP_1) | instskip(NEXT) | instid1(VALU_DEP_1)
	v_dual_fmac_f32 v13, v13, v14 :: v_dual_add_f32 v14, -1.0, v12
	v_fmac_f32_e32 v14, v12, v13
	s_delay_alu instid0(VALU_DEP_1) | instskip(NEXT) | instid1(VALU_DEP_1)
	v_add_f32_e32 v12, v14, v14
	v_cndmask_b32_e64 v12, v14, v12, s0
	v_cmp_nlt_f32_e64 s0, 0x42b17217, v8
	s_delay_alu instid0(VALU_DEP_1) | instskip(SKIP_1) | instid1(VALU_DEP_2)
	v_cndmask_b32_e64 v8, 0x7f800000, v12, s0
	v_cmp_ngt_f16_e64 s0, 0xcc40, v9
	v_cvt_f16_f32_e32 v8, v8
	s_delay_alu instid0(VALU_DEP_1)
	v_cndmask_b32_e64 v8, 0xbc00, v8, s0
.LBB155_27:
	s_or_b32 exec_lo, exec_lo, s1
	v_or_b32_e32 v9, 0x500, v0
	s_delay_alu instid0(VALU_DEP_1) | instskip(NEXT) | instid1(VALU_DEP_1)
	v_cmp_gt_i32_e64 s0, s7, v9
                                        ; implicit-def: $vgpr9
	s_and_saveexec_b32 s1, s0
	s_cbranch_execz .LBB155_29
; %bb.28:
	v_cvt_f32_f16_e32 v9, v4
	s_mov_b32 s0, 0xbf317218
	s_delay_alu instid0(VALU_DEP_1) | instskip(NEXT) | instid1(VALU_DEP_1)
	v_mul_f32_e32 v12, 0x3fb8aa3b, v9
	v_rndne_f32_e32 v12, v12
	s_delay_alu instid0(VALU_DEP_1) | instskip(SKIP_2) | instid1(VALU_DEP_2)
	v_fma_mix_f32 v13, v12, s0, v4 op_sel_hi:[0,0,1]
	s_mov_b32 s0, 0x395133b1
	v_cvt_i32_f32_e32 v15, v12
	v_fmamk_f32 v13, v12, 0x3102e308, v13
	s_delay_alu instid0(VALU_DEP_1) | instskip(SKIP_1) | instid1(VALU_DEP_2)
	v_fmaak_f32 v14, s0, v13, 0x3ab69700
	v_cmp_eq_f32_e64 s0, 0x43000000, v12
	v_fmaak_f32 v14, v13, v14, 0x3c0887f9
	s_delay_alu instid0(VALU_DEP_2) | instskip(NEXT) | instid1(VALU_DEP_2)
	v_cndmask_b32_e64 v12, v15, 0x7f, s0
	v_fmaak_f32 v14, v13, v14, 0x3d2aaa81
	s_delay_alu instid0(VALU_DEP_2) | instskip(NEXT) | instid1(VALU_DEP_2)
	v_ldexp_f32 v12, 1.0, v12
	v_fmaak_f32 v14, v13, v14, 0x3e2aaaab
	s_delay_alu instid0(VALU_DEP_1) | instskip(NEXT) | instid1(VALU_DEP_1)
	v_fma_f32 v14, v13, v14, 0.5
	v_mul_f32_e32 v14, v13, v14
	s_delay_alu instid0(VALU_DEP_1) | instskip(NEXT) | instid1(VALU_DEP_1)
	v_dual_fmac_f32 v13, v13, v14 :: v_dual_add_f32 v14, -1.0, v12
	v_fmac_f32_e32 v14, v12, v13
	s_delay_alu instid0(VALU_DEP_1) | instskip(NEXT) | instid1(VALU_DEP_1)
	v_add_f32_e32 v12, v14, v14
	v_cndmask_b32_e64 v12, v14, v12, s0
	v_cmp_nlt_f32_e64 s0, 0x42b17217, v9
	s_delay_alu instid0(VALU_DEP_1) | instskip(SKIP_1) | instid1(VALU_DEP_2)
	v_cndmask_b32_e64 v9, 0x7f800000, v12, s0
	v_cmp_ngt_f16_e64 s0, 0xcc40, v4
	v_cvt_f16_f32_e32 v9, v9
	s_delay_alu instid0(VALU_DEP_1)
	v_cndmask_b32_e64 v9, 0xbc00, v9, s0
.LBB155_29:
	s_or_b32 exec_lo, exec_lo, s1
	v_or_b32_e32 v4, 0x600, v0
	s_delay_alu instid0(VALU_DEP_1) | instskip(NEXT) | instid1(VALU_DEP_1)
	v_cmp_gt_i32_e64 s0, s7, v4
                                        ; implicit-def: $vgpr4
	s_and_saveexec_b32 s1, s0
	s_cbranch_execz .LBB155_31
; %bb.30:
	v_cvt_f32_f16_e32 v4, v5
	s_mov_b32 s0, 0xbf317218
	s_delay_alu instid0(VALU_DEP_1) | instskip(NEXT) | instid1(VALU_DEP_1)
	v_mul_f32_e32 v12, 0x3fb8aa3b, v4
	v_rndne_f32_e32 v12, v12
	s_delay_alu instid0(VALU_DEP_1) | instskip(SKIP_2) | instid1(VALU_DEP_2)
	v_fma_mix_f32 v13, v12, s0, v5 op_sel_hi:[0,0,1]
	s_mov_b32 s0, 0x395133b1
	v_cvt_i32_f32_e32 v15, v12
	v_fmamk_f32 v13, v12, 0x3102e308, v13
	s_delay_alu instid0(VALU_DEP_1) | instskip(SKIP_1) | instid1(VALU_DEP_2)
	v_fmaak_f32 v14, s0, v13, 0x3ab69700
	v_cmp_eq_f32_e64 s0, 0x43000000, v12
	v_fmaak_f32 v14, v13, v14, 0x3c0887f9
	s_delay_alu instid0(VALU_DEP_2) | instskip(NEXT) | instid1(VALU_DEP_2)
	v_cndmask_b32_e64 v12, v15, 0x7f, s0
	v_fmaak_f32 v14, v13, v14, 0x3d2aaa81
	s_delay_alu instid0(VALU_DEP_2) | instskip(NEXT) | instid1(VALU_DEP_2)
	v_ldexp_f32 v12, 1.0, v12
	v_fmaak_f32 v14, v13, v14, 0x3e2aaaab
	s_delay_alu instid0(VALU_DEP_1) | instskip(NEXT) | instid1(VALU_DEP_1)
	v_fma_f32 v14, v13, v14, 0.5
	v_mul_f32_e32 v14, v13, v14
	s_delay_alu instid0(VALU_DEP_1) | instskip(NEXT) | instid1(VALU_DEP_1)
	v_dual_fmac_f32 v13, v13, v14 :: v_dual_add_f32 v14, -1.0, v12
	v_fmac_f32_e32 v14, v12, v13
	s_delay_alu instid0(VALU_DEP_1) | instskip(NEXT) | instid1(VALU_DEP_1)
	v_add_f32_e32 v12, v14, v14
	v_cndmask_b32_e64 v12, v14, v12, s0
	v_cmp_nlt_f32_e64 s0, 0x42b17217, v4
	s_delay_alu instid0(VALU_DEP_1) | instskip(SKIP_1) | instid1(VALU_DEP_2)
	v_cndmask_b32_e64 v4, 0x7f800000, v12, s0
	v_cmp_ngt_f16_e64 s0, 0xcc40, v5
	v_cvt_f16_f32_e32 v4, v4
	s_delay_alu instid0(VALU_DEP_1)
	v_cndmask_b32_e64 v4, 0xbc00, v4, s0
.LBB155_31:
	s_or_b32 exec_lo, exec_lo, s1
	v_or_b32_e32 v5, 0x700, v0
	s_delay_alu instid0(VALU_DEP_1) | instskip(NEXT) | instid1(VALU_DEP_1)
	v_cmp_gt_i32_e64 s0, s7, v5
                                        ; implicit-def: $vgpr5
	s_and_saveexec_b32 s1, s0
	s_cbranch_execz .LBB155_44
; %bb.32:
	v_cvt_f32_f16_e32 v5, v2
	s_mov_b32 s0, 0xbf317218
	s_delay_alu instid0(VALU_DEP_1) | instskip(NEXT) | instid1(VALU_DEP_1)
	v_mul_f32_e32 v12, 0x3fb8aa3b, v5
	v_rndne_f32_e32 v12, v12
	s_delay_alu instid0(VALU_DEP_1) | instskip(SKIP_2) | instid1(VALU_DEP_2)
	v_fma_mix_f32 v13, v12, s0, v2 op_sel_hi:[0,0,1]
	s_mov_b32 s0, 0x395133b1
	v_cvt_i32_f32_e32 v15, v12
	v_fmamk_f32 v13, v12, 0x3102e308, v13
	s_delay_alu instid0(VALU_DEP_1) | instskip(SKIP_1) | instid1(VALU_DEP_2)
	v_fmaak_f32 v14, s0, v13, 0x3ab69700
	v_cmp_eq_f32_e64 s0, 0x43000000, v12
	v_fmaak_f32 v14, v13, v14, 0x3c0887f9
	s_delay_alu instid0(VALU_DEP_2) | instskip(NEXT) | instid1(VALU_DEP_2)
	v_cndmask_b32_e64 v12, v15, 0x7f, s0
	v_fmaak_f32 v14, v13, v14, 0x3d2aaa81
	s_delay_alu instid0(VALU_DEP_2) | instskip(NEXT) | instid1(VALU_DEP_2)
	v_ldexp_f32 v12, 1.0, v12
	v_fmaak_f32 v14, v13, v14, 0x3e2aaaab
	s_delay_alu instid0(VALU_DEP_1) | instskip(NEXT) | instid1(VALU_DEP_1)
	v_fma_f32 v14, v13, v14, 0.5
	v_mul_f32_e32 v14, v13, v14
	s_delay_alu instid0(VALU_DEP_1) | instskip(NEXT) | instid1(VALU_DEP_1)
	v_dual_fmac_f32 v13, v13, v14 :: v_dual_add_f32 v14, -1.0, v12
	v_fmac_f32_e32 v14, v12, v13
	s_delay_alu instid0(VALU_DEP_1) | instskip(NEXT) | instid1(VALU_DEP_1)
	v_add_f32_e32 v12, v14, v14
	v_cndmask_b32_e64 v12, v14, v12, s0
	v_cmp_nlt_f32_e64 s0, 0x42b17217, v5
	s_delay_alu instid0(VALU_DEP_1) | instskip(SKIP_1) | instid1(VALU_DEP_2)
	v_cndmask_b32_e64 v5, 0x7f800000, v12, s0
	v_cmp_ngt_f16_e64 s0, 0xcc40, v2
	v_cvt_f16_f32_e32 v5, v5
	s_delay_alu instid0(VALU_DEP_1) | instskip(SKIP_2) | instid1(SALU_CYCLE_1)
	v_cndmask_b32_e64 v5, 0xbc00, v5, s0
	s_or_b32 exec_lo, exec_lo, s1
	s_and_saveexec_b32 s0, vcc_lo
	s_xor_b32 s0, exec_lo, s0
	s_cbranch_execnz .LBB155_45
.LBB155_33:
	s_or_b32 exec_lo, exec_lo, s0
	s_delay_alu instid0(SALU_CYCLE_1)
	s_mov_b32 s0, exec_lo
	v_cmpx_gt_i32_e64 s7, v0
	s_cbranch_execz .LBB155_46
.LBB155_34:
	v_dual_mov_b32 v2, 0 :: v_dual_add_nc_u32 v1, s12, v0
	v_add_nc_u32_e32 v0, 0x100, v0
	s_delay_alu instid0(VALU_DEP_2) | instskip(NEXT) | instid1(VALU_DEP_1)
	v_lshlrev_b64 v[1:2], 1, v[1:2]
	v_add_co_u32 v1, vcc_lo, s8, v1
	s_delay_alu instid0(VALU_DEP_2) | instskip(SKIP_2) | instid1(SALU_CYCLE_1)
	v_add_co_ci_u32_e32 v2, vcc_lo, s9, v2, vcc_lo
	global_store_b16 v[1:2], v7, off
	s_or_b32 exec_lo, exec_lo, s0
	s_mov_b32 s0, exec_lo
	v_cmpx_gt_i32_e64 s7, v0
	s_cbranch_execnz .LBB155_47
.LBB155_35:
	s_or_b32 exec_lo, exec_lo, s0
	s_delay_alu instid0(SALU_CYCLE_1)
	s_mov_b32 s0, exec_lo
	v_cmpx_gt_i32_e64 s7, v0
	s_cbranch_execz .LBB155_48
.LBB155_36:
	v_dual_mov_b32 v2, 0 :: v_dual_add_nc_u32 v1, s12, v0
	v_add_nc_u32_e32 v0, 0x100, v0
	s_delay_alu instid0(VALU_DEP_2) | instskip(NEXT) | instid1(VALU_DEP_1)
	v_lshlrev_b64 v[1:2], 1, v[1:2]
	v_add_co_u32 v1, vcc_lo, s8, v1
	s_delay_alu instid0(VALU_DEP_2) | instskip(SKIP_2) | instid1(SALU_CYCLE_1)
	v_add_co_ci_u32_e32 v2, vcc_lo, s9, v2, vcc_lo
	global_store_b16 v[1:2], v11, off
	s_or_b32 exec_lo, exec_lo, s0
	s_mov_b32 s0, exec_lo
	v_cmpx_gt_i32_e64 s7, v0
	s_cbranch_execnz .LBB155_49
.LBB155_37:
	s_or_b32 exec_lo, exec_lo, s0
	s_delay_alu instid0(SALU_CYCLE_1)
	s_mov_b32 s0, exec_lo
	v_cmpx_gt_i32_e64 s7, v0
	s_cbranch_execz .LBB155_50
.LBB155_38:
	v_dual_mov_b32 v2, 0 :: v_dual_add_nc_u32 v1, s12, v0
	v_add_nc_u32_e32 v0, 0x100, v0
	s_delay_alu instid0(VALU_DEP_2) | instskip(NEXT) | instid1(VALU_DEP_1)
	v_lshlrev_b64 v[1:2], 1, v[1:2]
	v_add_co_u32 v1, vcc_lo, s8, v1
	s_delay_alu instid0(VALU_DEP_2) | instskip(SKIP_2) | instid1(SALU_CYCLE_1)
	v_add_co_ci_u32_e32 v2, vcc_lo, s9, v2, vcc_lo
	global_store_b16 v[1:2], v9, off
	s_or_b32 exec_lo, exec_lo, s0
	s_mov_b32 s0, exec_lo
	v_cmpx_gt_i32_e64 s7, v0
	s_cbranch_execnz .LBB155_51
.LBB155_39:
	s_or_b32 exec_lo, exec_lo, s0
	s_delay_alu instid0(SALU_CYCLE_1)
	s_mov_b32 s0, exec_lo
	v_cmpx_gt_i32_e64 s7, v0
	s_cbranch_execz .LBB155_41
.LBB155_40:
	v_dual_mov_b32 v1, 0 :: v_dual_add_nc_u32 v0, s12, v0
	s_delay_alu instid0(VALU_DEP_1) | instskip(NEXT) | instid1(VALU_DEP_1)
	v_lshlrev_b64 v[0:1], 1, v[0:1]
	v_add_co_u32 v0, vcc_lo, s8, v0
	s_delay_alu instid0(VALU_DEP_2)
	v_add_co_ci_u32_e32 v1, vcc_lo, s9, v1, vcc_lo
	global_store_b16 v[0:1], v5, off
.LBB155_41:
	s_nop 0
	s_sendmsg sendmsg(MSG_DEALLOC_VGPRS)
	s_endpgm
.LBB155_42:
	s_or_b32 exec_lo, exec_lo, s1
	s_delay_alu instid0(SALU_CYCLE_1)
	s_mov_b32 s1, exec_lo
	v_cmpx_gt_i32_e64 s7, v6
	s_cbranch_execz .LBB155_17
.LBB155_43:
	v_dual_mov_b32 v13, 0 :: v_dual_add_nc_u32 v12, s12, v6
	s_delay_alu instid0(VALU_DEP_1) | instskip(NEXT) | instid1(VALU_DEP_1)
	v_lshlrev_b64 v[12:13], 1, v[12:13]
	v_add_co_u32 v12, s0, s10, v12
	s_delay_alu instid0(VALU_DEP_1)
	v_add_co_ci_u32_e64 v13, s0, s11, v13, s0
	global_load_u16 v2, v[12:13], off
	s_or_b32 exec_lo, exec_lo, s1
                                        ; implicit-def: $vgpr6
	s_and_saveexec_b32 s1, vcc_lo
	s_cbranch_execz .LBB155_19
	s_branch .LBB155_18
.LBB155_44:
	s_or_b32 exec_lo, exec_lo, s1
	s_and_saveexec_b32 s0, vcc_lo
	s_delay_alu instid0(SALU_CYCLE_1)
	s_xor_b32 s0, exec_lo, s0
	s_cbranch_execz .LBB155_33
.LBB155_45:
	v_mov_b32_e32 v2, 0
	s_delay_alu instid0(VALU_DEP_1) | instskip(NEXT) | instid1(VALU_DEP_1)
	v_lshlrev_b64 v[0:1], 1, v[1:2]
	v_add_co_u32 v12, vcc_lo, s8, v0
	s_delay_alu instid0(VALU_DEP_2) | instskip(SKIP_3) | instid1(SALU_CYCLE_1)
	v_add_co_ci_u32_e32 v13, vcc_lo, s9, v1, vcc_lo
	v_mov_b32_e32 v0, v3
	global_store_b16 v[12:13], v6, off
	s_or_b32 exec_lo, exec_lo, s0
	s_mov_b32 s0, exec_lo
	v_cmpx_gt_i32_e64 s7, v0
	s_cbranch_execnz .LBB155_34
.LBB155_46:
	s_or_b32 exec_lo, exec_lo, s0
	s_delay_alu instid0(SALU_CYCLE_1)
	s_mov_b32 s0, exec_lo
	v_cmpx_gt_i32_e64 s7, v0
	s_cbranch_execz .LBB155_35
.LBB155_47:
	v_dual_mov_b32 v2, 0 :: v_dual_add_nc_u32 v1, s12, v0
	v_add_nc_u32_e32 v0, 0x100, v0
	s_delay_alu instid0(VALU_DEP_2) | instskip(NEXT) | instid1(VALU_DEP_1)
	v_lshlrev_b64 v[1:2], 1, v[1:2]
	v_add_co_u32 v1, vcc_lo, s8, v1
	s_delay_alu instid0(VALU_DEP_2) | instskip(SKIP_2) | instid1(SALU_CYCLE_1)
	v_add_co_ci_u32_e32 v2, vcc_lo, s9, v2, vcc_lo
	global_store_b16 v[1:2], v10, off
	s_or_b32 exec_lo, exec_lo, s0
	s_mov_b32 s0, exec_lo
	v_cmpx_gt_i32_e64 s7, v0
	s_cbranch_execnz .LBB155_36
.LBB155_48:
	s_or_b32 exec_lo, exec_lo, s0
	s_delay_alu instid0(SALU_CYCLE_1)
	s_mov_b32 s0, exec_lo
	v_cmpx_gt_i32_e64 s7, v0
	s_cbranch_execz .LBB155_37
.LBB155_49:
	v_dual_mov_b32 v2, 0 :: v_dual_add_nc_u32 v1, s12, v0
	v_add_nc_u32_e32 v0, 0x100, v0
	s_delay_alu instid0(VALU_DEP_2) | instskip(NEXT) | instid1(VALU_DEP_1)
	v_lshlrev_b64 v[1:2], 1, v[1:2]
	v_add_co_u32 v1, vcc_lo, s8, v1
	s_delay_alu instid0(VALU_DEP_2) | instskip(SKIP_2) | instid1(SALU_CYCLE_1)
	v_add_co_ci_u32_e32 v2, vcc_lo, s9, v2, vcc_lo
	global_store_b16 v[1:2], v8, off
	s_or_b32 exec_lo, exec_lo, s0
	s_mov_b32 s0, exec_lo
	v_cmpx_gt_i32_e64 s7, v0
	s_cbranch_execnz .LBB155_38
.LBB155_50:
	s_or_b32 exec_lo, exec_lo, s0
	s_delay_alu instid0(SALU_CYCLE_1)
	s_mov_b32 s0, exec_lo
	v_cmpx_gt_i32_e64 s7, v0
	s_cbranch_execz .LBB155_39
.LBB155_51:
	v_dual_mov_b32 v2, 0 :: v_dual_add_nc_u32 v1, s12, v0
	v_add_nc_u32_e32 v0, 0x100, v0
	s_delay_alu instid0(VALU_DEP_2) | instskip(NEXT) | instid1(VALU_DEP_1)
	v_lshlrev_b64 v[1:2], 1, v[1:2]
	v_add_co_u32 v1, vcc_lo, s8, v1
	s_delay_alu instid0(VALU_DEP_2) | instskip(SKIP_2) | instid1(SALU_CYCLE_1)
	v_add_co_ci_u32_e32 v2, vcc_lo, s9, v2, vcc_lo
	global_store_b16 v[1:2], v4, off
	s_or_b32 exec_lo, exec_lo, s0
	s_mov_b32 s0, exec_lo
	v_cmpx_gt_i32_e64 s7, v0
	s_cbranch_execnz .LBB155_40
	s_branch .LBB155_41
	.section	.rodata,"a",@progbits
	.p2align	6, 0x0
	.amdhsa_kernel _ZN2at6native29vectorized_elementwise_kernelILi8EZZZNS0_17expm1_kernel_cudaERNS_18TensorIteratorBaseEENKUlvE_clEvENKUlvE4_clEvEUlN3c104HalfEE_St5arrayIPcLm2EEEEviT0_T1_
		.amdhsa_group_segment_fixed_size 0
		.amdhsa_private_segment_fixed_size 0
		.amdhsa_kernarg_size 24
		.amdhsa_user_sgpr_count 15
		.amdhsa_user_sgpr_dispatch_ptr 0
		.amdhsa_user_sgpr_queue_ptr 0
		.amdhsa_user_sgpr_kernarg_segment_ptr 1
		.amdhsa_user_sgpr_dispatch_id 0
		.amdhsa_user_sgpr_private_segment_size 0
		.amdhsa_wavefront_size32 1
		.amdhsa_uses_dynamic_stack 0
		.amdhsa_enable_private_segment 0
		.amdhsa_system_sgpr_workgroup_id_x 1
		.amdhsa_system_sgpr_workgroup_id_y 0
		.amdhsa_system_sgpr_workgroup_id_z 0
		.amdhsa_system_sgpr_workgroup_info 0
		.amdhsa_system_vgpr_workitem_id 0
		.amdhsa_next_free_vgpr 50
		.amdhsa_next_free_sgpr 16
		.amdhsa_reserve_vcc 1
		.amdhsa_float_round_mode_32 0
		.amdhsa_float_round_mode_16_64 0
		.amdhsa_float_denorm_mode_32 3
		.amdhsa_float_denorm_mode_16_64 3
		.amdhsa_dx10_clamp 1
		.amdhsa_ieee_mode 1
		.amdhsa_fp16_overflow 0
		.amdhsa_workgroup_processor_mode 1
		.amdhsa_memory_ordered 1
		.amdhsa_forward_progress 0
		.amdhsa_shared_vgpr_count 0
		.amdhsa_exception_fp_ieee_invalid_op 0
		.amdhsa_exception_fp_denorm_src 0
		.amdhsa_exception_fp_ieee_div_zero 0
		.amdhsa_exception_fp_ieee_overflow 0
		.amdhsa_exception_fp_ieee_underflow 0
		.amdhsa_exception_fp_ieee_inexact 0
		.amdhsa_exception_int_div_zero 0
	.end_amdhsa_kernel
	.section	.text._ZN2at6native29vectorized_elementwise_kernelILi8EZZZNS0_17expm1_kernel_cudaERNS_18TensorIteratorBaseEENKUlvE_clEvENKUlvE4_clEvEUlN3c104HalfEE_St5arrayIPcLm2EEEEviT0_T1_,"axG",@progbits,_ZN2at6native29vectorized_elementwise_kernelILi8EZZZNS0_17expm1_kernel_cudaERNS_18TensorIteratorBaseEENKUlvE_clEvENKUlvE4_clEvEUlN3c104HalfEE_St5arrayIPcLm2EEEEviT0_T1_,comdat
.Lfunc_end155:
	.size	_ZN2at6native29vectorized_elementwise_kernelILi8EZZZNS0_17expm1_kernel_cudaERNS_18TensorIteratorBaseEENKUlvE_clEvENKUlvE4_clEvEUlN3c104HalfEE_St5arrayIPcLm2EEEEviT0_T1_, .Lfunc_end155-_ZN2at6native29vectorized_elementwise_kernelILi8EZZZNS0_17expm1_kernel_cudaERNS_18TensorIteratorBaseEENKUlvE_clEvENKUlvE4_clEvEUlN3c104HalfEE_St5arrayIPcLm2EEEEviT0_T1_
                                        ; -- End function
	.section	.AMDGPU.csdata,"",@progbits
; Kernel info:
; codeLenInByte = 5280
; NumSgprs: 18
; NumVgprs: 50
; ScratchSize: 0
; MemoryBound: 0
; FloatMode: 240
; IeeeMode: 1
; LDSByteSize: 0 bytes/workgroup (compile time only)
; SGPRBlocks: 2
; VGPRBlocks: 6
; NumSGPRsForWavesPerEU: 18
; NumVGPRsForWavesPerEU: 50
; Occupancy: 16
; WaveLimiterHint : 0
; COMPUTE_PGM_RSRC2:SCRATCH_EN: 0
; COMPUTE_PGM_RSRC2:USER_SGPR: 15
; COMPUTE_PGM_RSRC2:TRAP_HANDLER: 0
; COMPUTE_PGM_RSRC2:TGID_X_EN: 1
; COMPUTE_PGM_RSRC2:TGID_Y_EN: 0
; COMPUTE_PGM_RSRC2:TGID_Z_EN: 0
; COMPUTE_PGM_RSRC2:TIDIG_COMP_CNT: 0
	.section	.text._ZN2at6native29vectorized_elementwise_kernelILi4EZZZNS0_17expm1_kernel_cudaERNS_18TensorIteratorBaseEENKUlvE_clEvENKUlvE4_clEvEUlN3c104HalfEE_St5arrayIPcLm2EEEEviT0_T1_,"axG",@progbits,_ZN2at6native29vectorized_elementwise_kernelILi4EZZZNS0_17expm1_kernel_cudaERNS_18TensorIteratorBaseEENKUlvE_clEvENKUlvE4_clEvEUlN3c104HalfEE_St5arrayIPcLm2EEEEviT0_T1_,comdat
	.globl	_ZN2at6native29vectorized_elementwise_kernelILi4EZZZNS0_17expm1_kernel_cudaERNS_18TensorIteratorBaseEENKUlvE_clEvENKUlvE4_clEvEUlN3c104HalfEE_St5arrayIPcLm2EEEEviT0_T1_ ; -- Begin function _ZN2at6native29vectorized_elementwise_kernelILi4EZZZNS0_17expm1_kernel_cudaERNS_18TensorIteratorBaseEENKUlvE_clEvENKUlvE4_clEvEUlN3c104HalfEE_St5arrayIPcLm2EEEEviT0_T1_
	.p2align	8
	.type	_ZN2at6native29vectorized_elementwise_kernelILi4EZZZNS0_17expm1_kernel_cudaERNS_18TensorIteratorBaseEENKUlvE_clEvENKUlvE4_clEvEUlN3c104HalfEE_St5arrayIPcLm2EEEEviT0_T1_,@function
_ZN2at6native29vectorized_elementwise_kernelILi4EZZZNS0_17expm1_kernel_cudaERNS_18TensorIteratorBaseEENKUlvE_clEvENKUlvE4_clEvEUlN3c104HalfEE_St5arrayIPcLm2EEEEviT0_T1_: ; @_ZN2at6native29vectorized_elementwise_kernelILi4EZZZNS0_17expm1_kernel_cudaERNS_18TensorIteratorBaseEENKUlvE_clEvENKUlvE4_clEvEUlN3c104HalfEE_St5arrayIPcLm2EEEEviT0_T1_
; %bb.0:
	s_clause 0x1
	s_load_b32 s2, s[0:1], 0x0
	s_load_b128 s[8:11], s[0:1], 0x8
	s_lshl_b32 s12, s15, 11
	s_mov_b32 s0, -1
	s_waitcnt lgkmcnt(0)
	s_sub_i32 s7, s2, s12
	s_delay_alu instid0(SALU_CYCLE_1)
	s_cmpk_gt_i32 s7, 0x7ff
	s_cbranch_scc0 .LBB156_2
; %bb.1:
	s_ashr_i32 s13, s12, 31
	v_lshlrev_b32_e32 v5, 3, v0
	s_lshl_b64 s[14:15], s[12:13], 1
	s_mov_b32 s3, 0xbf317218
	s_add_u32 s0, s10, s14
	s_addc_u32 s1, s11, s15
	s_mov_b32 s13, 0x395133b1
	s_clause 0x1
	global_load_b64 v[1:2], v5, s[0:1]
	global_load_b64 v[3:4], v5, s[0:1] offset:2048
	s_waitcnt vmcnt(1)
	v_lshrrev_b32_e32 v7, 16, v2
	v_cvt_f32_f16_e32 v11, v2
	v_cvt_f32_f16_e32 v9, v1
	s_waitcnt vmcnt(0)
	v_lshrrev_b32_e32 v10, 16, v4
	v_cvt_f32_f16_e32 v13, v4
	v_cvt_f32_f16_e32 v17, v7
	v_mul_f32_e32 v16, 0x3fb8aa3b, v11
	v_mul_f32_e32 v14, 0x3fb8aa3b, v9
	v_cvt_f32_f16_e32 v12, v3
	v_cvt_f32_f16_e32 v21, v10
	v_mul_f32_e32 v23, 0x3fb8aa3b, v17
	v_rndne_f32_e32 v16, v16
	v_rndne_f32_e32 v14, v14
	s_delay_alu instid0(VALU_DEP_4) | instskip(NEXT) | instid1(VALU_DEP_4)
	v_dual_mul_f32 v18, 0x3fb8aa3b, v12 :: v_dual_mul_f32 v25, 0x3fb8aa3b, v21
	v_rndne_f32_e32 v23, v23
	s_delay_alu instid0(VALU_DEP_4)
	v_fma_mix_f32 v28, v16, s3, v2 op_sel_hi:[0,0,1]
	v_cvt_i32_f32_e32 v29, v16
	v_cmp_eq_f32_e64 s0, 0x43000000, v16
	v_fma_mix_f32 v26, v14, s3, v1 op_sel_hi:[0,0,1]
	v_cvt_i32_f32_e32 v35, v23
	v_fmac_f32_e32 v28, 0x3102e308, v16
	v_cmp_eq_f32_e64 s4, 0x43000000, v23
	v_cndmask_b32_e64 v16, v29, 0x7f, s0
	v_fma_mix_f32 v29, v23, s3, v2 op_sel:[0,0,1] op_sel_hi:[0,0,1]
	v_fmac_f32_e32 v26, 0x3102e308, v14
	v_rndne_f32_e32 v25, v25
	v_lshrrev_b32_e32 v6, 16, v1
	v_cvt_i32_f32_e32 v27, v14
	v_fmac_f32_e32 v29, 0x3102e308, v23
	v_cndmask_b32_e64 v23, v35, 0x7f, s4
	v_cvt_i32_f32_e32 v37, v25
	v_cmp_eq_f32_e64 s6, 0x43000000, v25
	v_cvt_f32_f16_e32 v15, v6
	v_cmp_eq_f32_e32 vcc_lo, 0x43000000, v14
	v_ldexp_f32 v23, 1.0, v23
	v_mul_f32_e32 v20, 0x3fb8aa3b, v13
	v_ldexp_f32 v16, 1.0, v16
	v_lshrrev_b32_e32 v8, 16, v3
	v_cndmask_b32_e64 v14, v27, 0x7f, vcc_lo
	v_add_f32_e32 v47, -1.0, v23
	v_rndne_f32_e32 v20, v20
	v_rndne_f32_e32 v18, v18
	v_cvt_f32_f16_e32 v19, v8
	v_ldexp_f32 v14, 1.0, v14
	v_add_f32_e32 v40, -1.0, v16
	v_fma_mix_f32 v32, v20, s3, v4 op_sel_hi:[0,0,1]
	v_cvt_i32_f32_e32 v33, v20
	v_cmp_eq_f32_e64 s2, 0x43000000, v20
	v_fma_mix_f32 v30, v18, s3, v3 op_sel_hi:[0,0,1]
	v_cvt_i32_f32_e32 v31, v18
	v_fmac_f32_e32 v32, 0x3102e308, v20
	v_cmp_eq_f32_e64 s1, 0x43000000, v18
	v_cndmask_b32_e64 v20, v33, 0x7f, s2
	v_fma_mix_f32 v33, v25, s3, v4 op_sel:[0,0,1] op_sel_hi:[0,0,1]
	v_fmaak_f32 v41, s13, v29, 0x3ab69700
	s_delay_alu instid0(VALU_DEP_3) | instskip(NEXT) | instid1(VALU_DEP_3)
	v_ldexp_f32 v20, 1.0, v20
	v_fmac_f32_e32 v33, 0x3102e308, v25
	v_cndmask_b32_e64 v25, v37, 0x7f, s6
	s_delay_alu instid0(VALU_DEP_3) | instskip(NEXT) | instid1(VALU_DEP_3)
	v_dual_fmaak_f32 v41, v29, v41, 0x3c0887f9 :: v_dual_add_f32 v44, -1.0, v20
	v_fmaak_f32 v45, s13, v33, 0x3ab69700
	s_delay_alu instid0(VALU_DEP_3) | instskip(NEXT) | instid1(VALU_DEP_1)
	v_ldexp_f32 v25, 1.0, v25
	v_dual_mul_f32 v22, 0x3fb8aa3b, v15 :: v_dual_add_f32 v49, -1.0, v25
	s_delay_alu instid0(VALU_DEP_1) | instskip(NEXT) | instid1(VALU_DEP_1)
	v_rndne_f32_e32 v22, v22
	v_fma_mix_f32 v27, v22, s3, v1 op_sel:[0,0,1] op_sel_hi:[0,0,1]
	v_cvt_i32_f32_e32 v34, v22
	s_delay_alu instid0(VALU_DEP_2) | instskip(NEXT) | instid1(VALU_DEP_1)
	v_fmac_f32_e32 v27, 0x3102e308, v22
	v_dual_fmaak_f32 v38, s13, v26, 0x3ab69700 :: v_dual_fmaak_f32 v39, s13, v27, 0x3ab69700
	s_delay_alu instid0(VALU_DEP_1) | instskip(NEXT) | instid1(VALU_DEP_2)
	v_fmaak_f32 v37, v26, v38, 0x3c0887f9
	v_fmaak_f32 v39, v27, v39, 0x3c0887f9
	s_delay_alu instid0(VALU_DEP_2) | instskip(NEXT) | instid1(VALU_DEP_2)
	v_fmaak_f32 v37, v26, v37, 0x3d2aaa81
	v_fmaak_f32 v39, v27, v39, 0x3d2aaa81
	s_delay_alu instid0(VALU_DEP_2) | instskip(NEXT) | instid1(VALU_DEP_1)
	v_fmaak_f32 v37, v26, v37, 0x3e2aaaab
	v_fma_f32 v37, v26, v37, 0.5
	s_delay_alu instid0(VALU_DEP_1) | instskip(NEXT) | instid1(VALU_DEP_1)
	v_dual_mul_f32 v24, 0x3fb8aa3b, v19 :: v_dual_mul_f32 v37, v26, v37
	v_rndne_f32_e32 v24, v24
	v_fmac_f32_e32 v30, 0x3102e308, v18
	v_cndmask_b32_e64 v18, v31, 0x7f, s1
	s_delay_alu instid0(VALU_DEP_4) | instskip(NEXT) | instid1(VALU_DEP_4)
	v_fmac_f32_e32 v26, v26, v37
	v_fma_mix_f32 v31, v24, s3, v3 op_sel:[0,0,1] op_sel_hi:[0,0,1]
	v_cmp_eq_f32_e64 s3, 0x43000000, v22
	v_cvt_i32_f32_e32 v36, v24
	v_cmp_eq_f32_e64 s5, 0x43000000, v24
	v_ldexp_f32 v18, 1.0, v18
	v_fmac_f32_e32 v31, 0x3102e308, v24
	v_cndmask_b32_e64 v22, v34, 0x7f, s3
	v_dual_fmaak_f32 v34, s13, v28, 0x3ab69700 :: v_dual_fmaak_f32 v35, s13, v30, 0x3ab69700
	v_cndmask_b32_e64 v24, v36, 0x7f, s5
	v_fmaak_f32 v36, s13, v32, 0x3ab69700
	v_add_f32_e32 v38, -1.0, v14
	s_delay_alu instid0(VALU_DEP_4) | instskip(SKIP_1) | instid1(VALU_DEP_4)
	v_dual_fmaak_f32 v34, v28, v34, 0x3c0887f9 :: v_dual_fmaak_f32 v35, v30, v35, 0x3c0887f9
	v_dual_add_f32 v42, -1.0, v18 :: v_dual_fmaak_f32 v43, s13, v31, 0x3ab69700
	v_fmaak_f32 v36, v32, v36, 0x3c0887f9
	s_delay_alu instid0(VALU_DEP_3) | instskip(SKIP_1) | instid1(VALU_DEP_4)
	v_dual_fmaak_f32 v34, v28, v34, 0x3d2aaa81 :: v_dual_fmaak_f32 v35, v30, v35, 0x3d2aaa81
	v_ldexp_f32 v24, 1.0, v24
	v_fmaak_f32 v43, v31, v43, 0x3c0887f9
	s_delay_alu instid0(VALU_DEP_4) | instskip(NEXT) | instid1(VALU_DEP_4)
	v_fmaak_f32 v36, v32, v36, 0x3d2aaa81
	v_dual_fmaak_f32 v34, v28, v34, 0x3e2aaaab :: v_dual_fmaak_f32 v35, v30, v35, 0x3e2aaaab
	s_delay_alu instid0(VALU_DEP_3) | instskip(NEXT) | instid1(VALU_DEP_3)
	v_dual_add_f32 v48, -1.0, v24 :: v_dual_fmaak_f32 v43, v31, v43, 0x3d2aaa81
	v_fmaak_f32 v36, v32, v36, 0x3e2aaaab
	s_delay_alu instid0(VALU_DEP_3) | instskip(SKIP_4) | instid1(VALU_DEP_4)
	v_fma_f32 v34, v28, v34, 0.5
	v_fmaak_f32 v45, v33, v45, 0x3c0887f9
	v_fma_f32 v35, v30, v35, 0.5
	v_fmac_f32_e32 v38, v14, v26
	v_fma_f32 v36, v32, v36, 0.5
	v_dual_mul_f32 v34, v28, v34 :: v_dual_fmaak_f32 v45, v33, v45, 0x3d2aaa81
	v_fmaak_f32 v41, v29, v41, 0x3d2aaa81
	v_ldexp_f32 v22, 1.0, v22
	s_delay_alu instid0(VALU_DEP_4) | instskip(NEXT) | instid1(VALU_DEP_4)
	v_mul_f32_e32 v36, v32, v36
	v_dual_fmac_f32 v28, v28, v34 :: v_dual_fmaak_f32 v45, v33, v45, 0x3e2aaaab
	s_delay_alu instid0(VALU_DEP_3) | instskip(NEXT) | instid1(VALU_DEP_3)
	v_dual_fmaak_f32 v43, v31, v43, 0x3e2aaaab :: v_dual_add_f32 v46, -1.0, v22
	v_fmac_f32_e32 v32, v32, v36
	v_add_f32_e32 v14, v38, v38
	s_delay_alu instid0(VALU_DEP_4)
	v_fma_f32 v45, v33, v45, 0.5
	v_mul_f32_e32 v35, v30, v35
	v_fma_f32 v43, v31, v43, 0.5
	v_fmac_f32_e32 v40, v16, v28
	v_fmac_f32_e32 v44, v20, v32
	v_mul_f32_e32 v36, v33, v45
	v_dual_fmaak_f32 v41, v29, v41, 0x3e2aaaab :: v_dual_fmac_f32 v30, v30, v35
	v_mul_f32_e32 v35, v31, v43
	s_delay_alu instid0(VALU_DEP_2) | instskip(NEXT) | instid1(VALU_DEP_3)
	v_fma_f32 v41, v29, v41, 0.5
	v_dual_fmac_f32 v42, v18, v30 :: v_dual_fmaak_f32 v39, v27, v39, 0x3e2aaaab
	s_delay_alu instid0(VALU_DEP_3) | instskip(SKIP_1) | instid1(VALU_DEP_4)
	v_fmac_f32_e32 v31, v31, v35
	v_fmac_f32_e32 v33, v33, v36
	v_mul_f32_e32 v34, v29, v41
	s_delay_alu instid0(VALU_DEP_4) | instskip(SKIP_1) | instid1(VALU_DEP_4)
	v_add_f32_e32 v18, v42, v42
	v_fma_f32 v39, v27, v39, 0.5
	v_dual_fmac_f32 v48, v24, v31 :: v_dual_fmac_f32 v49, v25, v33
	v_cndmask_b32_e32 v14, v38, v14, vcc_lo
	v_cmp_nlt_f32_e32 vcc_lo, 0x42b17217, v9
	s_delay_alu instid0(VALU_DEP_4) | instskip(SKIP_3) | instid1(VALU_DEP_4)
	v_mul_f32_e32 v37, v27, v39
	v_cndmask_b32_e64 v18, v42, v18, s1
	v_dual_add_f32 v25, v49, v49 :: v_dual_add_f32 v24, v48, v48
	v_cndmask_b32_e32 v9, 0x7f800000, v14, vcc_lo
	v_fmac_f32_e32 v27, v27, v37
	v_fmac_f32_e32 v29, v29, v34
	v_cmp_nlt_f32_e32 vcc_lo, 0x42b17217, v11
	s_delay_alu instid0(VALU_DEP_4) | instskip(NEXT) | instid1(VALU_DEP_4)
	v_cvt_f16_f32_e32 v9, v9
	v_fmac_f32_e32 v46, v22, v27
	s_delay_alu instid0(VALU_DEP_4) | instskip(SKIP_1) | instid1(VALU_DEP_2)
	v_dual_add_f32 v16, v40, v40 :: v_dual_fmac_f32 v47, v23, v29
	v_add_f32_e32 v20, v44, v44
	v_cndmask_b32_e64 v16, v40, v16, s0
	s_delay_alu instid0(VALU_DEP_3) | instskip(NEXT) | instid1(VALU_DEP_3)
	v_dual_add_f32 v23, v47, v47 :: v_dual_add_f32 v22, v46, v46
	v_cndmask_b32_e64 v20, v44, v20, s2
	s_add_u32 s2, s8, s14
	s_delay_alu instid0(VALU_DEP_3)
	v_cndmask_b32_e32 v11, 0x7f800000, v16, vcc_lo
	v_cmp_nlt_f32_e32 vcc_lo, 0x42b17217, v12
	v_cndmask_b32_e64 v14, v46, v22, s3
	v_cndmask_b32_e64 v16, v47, v23, s4
	s_addc_u32 s3, s9, s15
	v_cvt_f16_f32_e32 v11, v11
	v_cndmask_b32_e32 v12, 0x7f800000, v18, vcc_lo
	v_cmp_nlt_f32_e32 vcc_lo, 0x42b17217, v13
	v_cndmask_b32_e64 v18, v48, v24, s5
	s_mov_b32 s0, 0
	s_delay_alu instid0(VALU_DEP_3) | instskip(SKIP_3) | instid1(VALU_DEP_3)
	v_cvt_f16_f32_e32 v12, v12
	v_cndmask_b32_e32 v13, 0x7f800000, v20, vcc_lo
	v_cmp_nlt_f32_e32 vcc_lo, 0x42b17217, v15
	v_cndmask_b32_e64 v20, v49, v25, s6
	v_cvt_f16_f32_e32 v13, v13
	v_cndmask_b32_e32 v14, 0x7f800000, v14, vcc_lo
	v_cmp_nlt_f32_e32 vcc_lo, 0x42b17217, v17
	v_cndmask_b32_e32 v15, 0x7f800000, v16, vcc_lo
	v_cmp_nlt_f32_e32 vcc_lo, 0x42b17217, v19
	;; [unrolled: 2-line block ×3, first 2 shown]
	v_cndmask_b32_e32 v17, 0x7f800000, v20, vcc_lo
	v_cmp_ngt_f16_e32 vcc_lo, 0xcc40, v1
	v_cndmask_b32_e32 v1, 0xbc00, v9, vcc_lo
	v_cmp_ngt_f16_e32 vcc_lo, 0xcc40, v2
	v_cvt_f16_f32_e32 v9, v14
	v_cndmask_b32_e32 v2, 0xbc00, v11, vcc_lo
	v_cmp_ngt_f16_e32 vcc_lo, 0xcc40, v3
	v_cvt_f16_f32_e32 v11, v15
	s_delay_alu instid0(VALU_DEP_3) | instskip(SKIP_3) | instid1(VALU_DEP_3)
	v_and_b32_e32 v2, 0xffff, v2
	v_cndmask_b32_e32 v3, 0xbc00, v12, vcc_lo
	v_cmp_ngt_f16_e32 vcc_lo, 0xcc40, v4
	v_cvt_f16_f32_e32 v12, v16
	v_and_b32_e32 v3, 0xffff, v3
	v_cndmask_b32_e32 v4, 0xbc00, v13, vcc_lo
	v_cmp_ngt_f16_e32 vcc_lo, 0xcc40, v6
	v_cvt_f16_f32_e32 v13, v17
	s_delay_alu instid0(VALU_DEP_3) | instskip(SKIP_2) | instid1(VALU_DEP_2)
	v_and_b32_e32 v4, 0xffff, v4
	v_cndmask_b32_e32 v6, 0xbc00, v9, vcc_lo
	v_cmp_ngt_f16_e32 vcc_lo, 0xcc40, v7
	v_dual_cndmask_b32 v7, 0xbc00, v11 :: v_dual_lshlrev_b32 v6, 16, v6
	v_cmp_ngt_f16_e32 vcc_lo, 0xcc40, v8
	s_delay_alu instid0(VALU_DEP_2) | instskip(SKIP_1) | instid1(VALU_DEP_2)
	v_dual_cndmask_b32 v8, 0xbc00, v12 :: v_dual_lshlrev_b32 v7, 16, v7
	v_cmp_ngt_f16_e32 vcc_lo, 0xcc40, v10
	v_or3_b32 v2, 0, v2, v7
	s_delay_alu instid0(VALU_DEP_3) | instskip(SKIP_2) | instid1(VALU_DEP_3)
	v_lshlrev_b32_e32 v8, 16, v8
	v_and_b32_e32 v1, 0xffff, v1
	v_cndmask_b32_e32 v9, 0xbc00, v13, vcc_lo
	v_or_b32_e32 v3, v8, v3
	s_delay_alu instid0(VALU_DEP_3) | instskip(NEXT) | instid1(VALU_DEP_3)
	v_or_b32_e32 v1, v6, v1
	v_lshlrev_b32_e32 v9, 16, v9
	s_delay_alu instid0(VALU_DEP_3) | instskip(NEXT) | instid1(VALU_DEP_3)
	v_or3_b32 v3, v3, 0, 0
	v_or3_b32 v1, v1, 0, 0
	s_delay_alu instid0(VALU_DEP_3)
	v_or3_b32 v4, 0, v4, v9
	s_clause 0x1
	global_store_b64 v5, v[1:2], s[2:3]
	global_store_b64 v5, v[3:4], s[2:3] offset:2048
.LBB156_2:
	s_and_not1_b32 vcc_lo, exec_lo, s0
	s_cbranch_vccnz .LBB156_41
; %bb.3:
	v_cmp_gt_i32_e32 vcc_lo, s7, v0
	v_dual_mov_b32 v10, 0 :: v_dual_mov_b32 v7, 0
	v_or_b32_e32 v1, s12, v0
	v_or_b32_e32 v3, 0x100, v0
	v_mov_b32_e32 v6, v0
	s_and_saveexec_b32 s1, vcc_lo
	s_cbranch_execz .LBB156_5
; %bb.4:
	v_mov_b32_e32 v2, 0
	v_or_b32_e32 v6, 0x100, v0
	s_delay_alu instid0(VALU_DEP_2) | instskip(NEXT) | instid1(VALU_DEP_1)
	v_lshlrev_b64 v[4:5], 1, v[1:2]
	v_add_co_u32 v4, s0, s10, v4
	s_delay_alu instid0(VALU_DEP_1)
	v_add_co_ci_u32_e64 v5, s0, s11, v5, s0
	global_load_u16 v7, v[4:5], off
.LBB156_5:
	s_or_b32 exec_lo, exec_lo, s1
	s_delay_alu instid0(SALU_CYCLE_1)
	s_mov_b32 s1, exec_lo
	v_cmpx_gt_i32_e64 s7, v6
	s_cbranch_execz .LBB156_7
; %bb.6:
	v_dual_mov_b32 v5, 0 :: v_dual_add_nc_u32 v4, s12, v6
	v_add_nc_u32_e32 v6, 0x100, v6
	s_delay_alu instid0(VALU_DEP_2) | instskip(NEXT) | instid1(VALU_DEP_1)
	v_lshlrev_b64 v[4:5], 1, v[4:5]
	v_add_co_u32 v4, s0, s10, v4
	s_delay_alu instid0(VALU_DEP_1)
	v_add_co_ci_u32_e64 v5, s0, s11, v5, s0
	global_load_u16 v10, v[4:5], off
.LBB156_7:
	s_or_b32 exec_lo, exec_lo, s1
	v_dual_mov_b32 v8, 0 :: v_dual_mov_b32 v11, 0
	s_mov_b32 s1, exec_lo
	v_cmpx_gt_i32_e64 s7, v6
	s_cbranch_execz .LBB156_9
; %bb.8:
	v_dual_mov_b32 v5, 0 :: v_dual_add_nc_u32 v4, s12, v6
	v_add_nc_u32_e32 v6, 0x100, v6
	s_delay_alu instid0(VALU_DEP_2) | instskip(NEXT) | instid1(VALU_DEP_1)
	v_lshlrev_b64 v[4:5], 1, v[4:5]
	v_add_co_u32 v4, s0, s10, v4
	s_delay_alu instid0(VALU_DEP_1)
	v_add_co_ci_u32_e64 v5, s0, s11, v5, s0
	global_load_u16 v11, v[4:5], off
.LBB156_9:
	s_or_b32 exec_lo, exec_lo, s1
	s_delay_alu instid0(SALU_CYCLE_1)
	s_mov_b32 s1, exec_lo
	v_cmpx_gt_i32_e64 s7, v6
	s_cbranch_execz .LBB156_11
; %bb.10:
	v_dual_mov_b32 v5, 0 :: v_dual_add_nc_u32 v4, s12, v6
	v_add_nc_u32_e32 v6, 0x100, v6
	s_delay_alu instid0(VALU_DEP_2) | instskip(NEXT) | instid1(VALU_DEP_1)
	v_lshlrev_b64 v[4:5], 1, v[4:5]
	v_add_co_u32 v4, s0, s10, v4
	s_delay_alu instid0(VALU_DEP_1)
	v_add_co_ci_u32_e64 v5, s0, s11, v5, s0
	global_load_u16 v8, v[4:5], off
.LBB156_11:
	s_or_b32 exec_lo, exec_lo, s1
	v_dual_mov_b32 v4, 0 :: v_dual_mov_b32 v9, 0
	s_mov_b32 s1, exec_lo
	v_cmpx_gt_i32_e64 s7, v6
	s_cbranch_execz .LBB156_13
; %bb.12:
	v_dual_mov_b32 v13, 0 :: v_dual_add_nc_u32 v12, s12, v6
	v_add_nc_u32_e32 v6, 0x100, v6
	s_delay_alu instid0(VALU_DEP_2) | instskip(NEXT) | instid1(VALU_DEP_1)
	v_lshlrev_b64 v[12:13], 1, v[12:13]
	v_add_co_u32 v12, s0, s10, v12
	s_delay_alu instid0(VALU_DEP_1)
	v_add_co_ci_u32_e64 v13, s0, s11, v13, s0
	global_load_u16 v9, v[12:13], off
.LBB156_13:
	s_or_b32 exec_lo, exec_lo, s1
	s_delay_alu instid0(SALU_CYCLE_1)
	s_mov_b32 s1, exec_lo
	v_cmpx_gt_i32_e64 s7, v6
	s_cbranch_execz .LBB156_15
; %bb.14:
	v_dual_mov_b32 v5, 0 :: v_dual_add_nc_u32 v4, s12, v6
	v_add_nc_u32_e32 v6, 0x100, v6
	s_delay_alu instid0(VALU_DEP_2) | instskip(NEXT) | instid1(VALU_DEP_1)
	v_lshlrev_b64 v[4:5], 1, v[4:5]
	v_add_co_u32 v4, s0, s10, v4
	s_delay_alu instid0(VALU_DEP_1)
	v_add_co_ci_u32_e64 v5, s0, s11, v5, s0
	global_load_u16 v4, v[4:5], off
.LBB156_15:
	s_or_b32 exec_lo, exec_lo, s1
	v_dual_mov_b32 v2, 0 :: v_dual_mov_b32 v5, 0
	s_mov_b32 s1, exec_lo
	v_cmpx_gt_i32_e64 s7, v6
	s_cbranch_execz .LBB156_42
; %bb.16:
	v_dual_mov_b32 v13, 0 :: v_dual_add_nc_u32 v12, s12, v6
	v_add_nc_u32_e32 v6, 0x100, v6
	s_delay_alu instid0(VALU_DEP_2) | instskip(NEXT) | instid1(VALU_DEP_1)
	v_lshlrev_b64 v[12:13], 1, v[12:13]
	v_add_co_u32 v12, s0, s10, v12
	s_delay_alu instid0(VALU_DEP_1) | instskip(SKIP_2) | instid1(SALU_CYCLE_1)
	v_add_co_ci_u32_e64 v13, s0, s11, v13, s0
	global_load_u16 v5, v[12:13], off
	s_or_b32 exec_lo, exec_lo, s1
	s_mov_b32 s1, exec_lo
	v_cmpx_gt_i32_e64 s7, v6
	s_cbranch_execnz .LBB156_43
.LBB156_17:
	s_or_b32 exec_lo, exec_lo, s1
                                        ; implicit-def: $vgpr6
	s_and_saveexec_b32 s1, vcc_lo
	s_cbranch_execz .LBB156_19
.LBB156_18:
	s_waitcnt vmcnt(0)
	v_cvt_f32_f16_e32 v6, v7
	s_mov_b32 s0, 0xbf317218
	s_delay_alu instid0(VALU_DEP_1) | instskip(NEXT) | instid1(VALU_DEP_1)
	v_mul_f32_e32 v12, 0x3fb8aa3b, v6
	v_rndne_f32_e32 v12, v12
	s_delay_alu instid0(VALU_DEP_1) | instskip(SKIP_2) | instid1(VALU_DEP_2)
	v_fma_mix_f32 v13, v12, s0, v7 op_sel_hi:[0,0,1]
	s_mov_b32 s0, 0x395133b1
	v_cvt_i32_f32_e32 v15, v12
	v_fmamk_f32 v13, v12, 0x3102e308, v13
	s_delay_alu instid0(VALU_DEP_1) | instskip(SKIP_1) | instid1(VALU_DEP_2)
	v_fmaak_f32 v14, s0, v13, 0x3ab69700
	v_cmp_eq_f32_e64 s0, 0x43000000, v12
	v_fmaak_f32 v14, v13, v14, 0x3c0887f9
	s_delay_alu instid0(VALU_DEP_2) | instskip(NEXT) | instid1(VALU_DEP_2)
	v_cndmask_b32_e64 v12, v15, 0x7f, s0
	v_fmaak_f32 v14, v13, v14, 0x3d2aaa81
	s_delay_alu instid0(VALU_DEP_2) | instskip(NEXT) | instid1(VALU_DEP_2)
	v_ldexp_f32 v12, 1.0, v12
	v_fmaak_f32 v14, v13, v14, 0x3e2aaaab
	s_delay_alu instid0(VALU_DEP_1) | instskip(NEXT) | instid1(VALU_DEP_1)
	v_fma_f32 v14, v13, v14, 0.5
	v_mul_f32_e32 v14, v13, v14
	s_delay_alu instid0(VALU_DEP_1) | instskip(NEXT) | instid1(VALU_DEP_1)
	v_dual_fmac_f32 v13, v13, v14 :: v_dual_add_f32 v14, -1.0, v12
	v_fmac_f32_e32 v14, v12, v13
	s_delay_alu instid0(VALU_DEP_1) | instskip(NEXT) | instid1(VALU_DEP_1)
	v_add_f32_e32 v12, v14, v14
	v_cndmask_b32_e64 v12, v14, v12, s0
	v_cmp_nlt_f32_e64 s0, 0x42b17217, v6
	s_delay_alu instid0(VALU_DEP_1) | instskip(SKIP_1) | instid1(VALU_DEP_2)
	v_cndmask_b32_e64 v6, 0x7f800000, v12, s0
	v_cmp_ngt_f16_e64 s0, 0xcc40, v7
	v_cvt_f16_f32_e32 v6, v6
	s_delay_alu instid0(VALU_DEP_1)
	v_cndmask_b32_e64 v6, 0xbc00, v6, s0
.LBB156_19:
	s_or_b32 exec_lo, exec_lo, s1
	s_delay_alu instid0(SALU_CYCLE_1)
	s_mov_b32 s1, exec_lo
                                        ; implicit-def: $vgpr7
	v_cmpx_gt_i32_e64 s7, v3
	s_cbranch_execz .LBB156_21
; %bb.20:
	s_waitcnt vmcnt(0)
	v_cvt_f32_f16_e32 v7, v10
	s_mov_b32 s0, 0xbf317218
	s_delay_alu instid0(VALU_DEP_1) | instskip(NEXT) | instid1(VALU_DEP_1)
	v_mul_f32_e32 v12, 0x3fb8aa3b, v7
	v_rndne_f32_e32 v12, v12
	s_delay_alu instid0(VALU_DEP_1) | instskip(SKIP_2) | instid1(VALU_DEP_2)
	v_fma_mix_f32 v13, v12, s0, v10 op_sel_hi:[0,0,1]
	s_mov_b32 s0, 0x395133b1
	v_cvt_i32_f32_e32 v15, v12
	v_fmamk_f32 v13, v12, 0x3102e308, v13
	s_delay_alu instid0(VALU_DEP_1) | instskip(SKIP_1) | instid1(VALU_DEP_2)
	v_fmaak_f32 v14, s0, v13, 0x3ab69700
	v_cmp_eq_f32_e64 s0, 0x43000000, v12
	v_fmaak_f32 v14, v13, v14, 0x3c0887f9
	s_delay_alu instid0(VALU_DEP_2) | instskip(NEXT) | instid1(VALU_DEP_2)
	v_cndmask_b32_e64 v12, v15, 0x7f, s0
	v_fmaak_f32 v14, v13, v14, 0x3d2aaa81
	s_delay_alu instid0(VALU_DEP_2) | instskip(NEXT) | instid1(VALU_DEP_2)
	v_ldexp_f32 v12, 1.0, v12
	v_fmaak_f32 v14, v13, v14, 0x3e2aaaab
	s_delay_alu instid0(VALU_DEP_1) | instskip(NEXT) | instid1(VALU_DEP_1)
	v_fma_f32 v14, v13, v14, 0.5
	v_mul_f32_e32 v14, v13, v14
	s_delay_alu instid0(VALU_DEP_1) | instskip(NEXT) | instid1(VALU_DEP_1)
	v_dual_fmac_f32 v13, v13, v14 :: v_dual_add_f32 v14, -1.0, v12
	v_fmac_f32_e32 v14, v12, v13
	s_delay_alu instid0(VALU_DEP_1) | instskip(NEXT) | instid1(VALU_DEP_1)
	v_add_f32_e32 v12, v14, v14
	v_cndmask_b32_e64 v12, v14, v12, s0
	v_cmp_nlt_f32_e64 s0, 0x42b17217, v7
	s_delay_alu instid0(VALU_DEP_1) | instskip(SKIP_1) | instid1(VALU_DEP_2)
	v_cndmask_b32_e64 v7, 0x7f800000, v12, s0
	v_cmp_ngt_f16_e64 s0, 0xcc40, v10
	v_cvt_f16_f32_e32 v7, v7
	s_delay_alu instid0(VALU_DEP_1)
	v_cndmask_b32_e64 v7, 0xbc00, v7, s0
.LBB156_21:
	s_or_b32 exec_lo, exec_lo, s1
	s_waitcnt vmcnt(0)
	v_or_b32_e32 v10, 0x200, v0
	s_delay_alu instid0(VALU_DEP_1) | instskip(NEXT) | instid1(VALU_DEP_1)
	v_cmp_gt_i32_e64 s0, s7, v10
                                        ; implicit-def: $vgpr10
	s_and_saveexec_b32 s1, s0
	s_cbranch_execz .LBB156_23
; %bb.22:
	v_cvt_f32_f16_e32 v10, v11
	s_mov_b32 s0, 0xbf317218
	s_delay_alu instid0(VALU_DEP_1) | instskip(NEXT) | instid1(VALU_DEP_1)
	v_mul_f32_e32 v12, 0x3fb8aa3b, v10
	v_rndne_f32_e32 v12, v12
	s_delay_alu instid0(VALU_DEP_1) | instskip(SKIP_2) | instid1(VALU_DEP_2)
	v_fma_mix_f32 v13, v12, s0, v11 op_sel_hi:[0,0,1]
	s_mov_b32 s0, 0x395133b1
	v_cvt_i32_f32_e32 v15, v12
	v_fmamk_f32 v13, v12, 0x3102e308, v13
	s_delay_alu instid0(VALU_DEP_1) | instskip(SKIP_1) | instid1(VALU_DEP_2)
	v_fmaak_f32 v14, s0, v13, 0x3ab69700
	v_cmp_eq_f32_e64 s0, 0x43000000, v12
	v_fmaak_f32 v14, v13, v14, 0x3c0887f9
	s_delay_alu instid0(VALU_DEP_2) | instskip(NEXT) | instid1(VALU_DEP_2)
	v_cndmask_b32_e64 v12, v15, 0x7f, s0
	v_fmaak_f32 v14, v13, v14, 0x3d2aaa81
	s_delay_alu instid0(VALU_DEP_2) | instskip(NEXT) | instid1(VALU_DEP_2)
	v_ldexp_f32 v12, 1.0, v12
	v_fmaak_f32 v14, v13, v14, 0x3e2aaaab
	s_delay_alu instid0(VALU_DEP_1) | instskip(NEXT) | instid1(VALU_DEP_1)
	v_fma_f32 v14, v13, v14, 0.5
	v_mul_f32_e32 v14, v13, v14
	s_delay_alu instid0(VALU_DEP_1) | instskip(NEXT) | instid1(VALU_DEP_1)
	v_dual_fmac_f32 v13, v13, v14 :: v_dual_add_f32 v14, -1.0, v12
	v_fmac_f32_e32 v14, v12, v13
	s_delay_alu instid0(VALU_DEP_1) | instskip(NEXT) | instid1(VALU_DEP_1)
	v_add_f32_e32 v12, v14, v14
	v_cndmask_b32_e64 v12, v14, v12, s0
	v_cmp_nlt_f32_e64 s0, 0x42b17217, v10
	s_delay_alu instid0(VALU_DEP_1) | instskip(SKIP_1) | instid1(VALU_DEP_2)
	v_cndmask_b32_e64 v10, 0x7f800000, v12, s0
	v_cmp_ngt_f16_e64 s0, 0xcc40, v11
	v_cvt_f16_f32_e32 v10, v10
	s_delay_alu instid0(VALU_DEP_1)
	v_cndmask_b32_e64 v10, 0xbc00, v10, s0
.LBB156_23:
	s_or_b32 exec_lo, exec_lo, s1
	v_or_b32_e32 v11, 0x300, v0
	s_delay_alu instid0(VALU_DEP_1) | instskip(NEXT) | instid1(VALU_DEP_1)
	v_cmp_gt_i32_e64 s0, s7, v11
                                        ; implicit-def: $vgpr11
	s_and_saveexec_b32 s1, s0
	s_cbranch_execz .LBB156_25
; %bb.24:
	v_cvt_f32_f16_e32 v11, v8
	s_mov_b32 s0, 0xbf317218
	s_delay_alu instid0(VALU_DEP_1) | instskip(NEXT) | instid1(VALU_DEP_1)
	v_mul_f32_e32 v12, 0x3fb8aa3b, v11
	v_rndne_f32_e32 v12, v12
	s_delay_alu instid0(VALU_DEP_1) | instskip(SKIP_2) | instid1(VALU_DEP_2)
	v_fma_mix_f32 v13, v12, s0, v8 op_sel_hi:[0,0,1]
	s_mov_b32 s0, 0x395133b1
	v_cvt_i32_f32_e32 v15, v12
	v_fmamk_f32 v13, v12, 0x3102e308, v13
	s_delay_alu instid0(VALU_DEP_1) | instskip(SKIP_1) | instid1(VALU_DEP_2)
	v_fmaak_f32 v14, s0, v13, 0x3ab69700
	v_cmp_eq_f32_e64 s0, 0x43000000, v12
	v_fmaak_f32 v14, v13, v14, 0x3c0887f9
	s_delay_alu instid0(VALU_DEP_2) | instskip(NEXT) | instid1(VALU_DEP_2)
	v_cndmask_b32_e64 v12, v15, 0x7f, s0
	v_fmaak_f32 v14, v13, v14, 0x3d2aaa81
	s_delay_alu instid0(VALU_DEP_2) | instskip(NEXT) | instid1(VALU_DEP_2)
	v_ldexp_f32 v12, 1.0, v12
	v_fmaak_f32 v14, v13, v14, 0x3e2aaaab
	s_delay_alu instid0(VALU_DEP_1) | instskip(NEXT) | instid1(VALU_DEP_1)
	v_fma_f32 v14, v13, v14, 0.5
	v_mul_f32_e32 v14, v13, v14
	s_delay_alu instid0(VALU_DEP_1) | instskip(NEXT) | instid1(VALU_DEP_1)
	v_dual_fmac_f32 v13, v13, v14 :: v_dual_add_f32 v14, -1.0, v12
	v_fmac_f32_e32 v14, v12, v13
	s_delay_alu instid0(VALU_DEP_1) | instskip(NEXT) | instid1(VALU_DEP_1)
	v_add_f32_e32 v12, v14, v14
	v_cndmask_b32_e64 v12, v14, v12, s0
	v_cmp_nlt_f32_e64 s0, 0x42b17217, v11
	s_delay_alu instid0(VALU_DEP_1) | instskip(SKIP_1) | instid1(VALU_DEP_2)
	v_cndmask_b32_e64 v11, 0x7f800000, v12, s0
	v_cmp_ngt_f16_e64 s0, 0xcc40, v8
	v_cvt_f16_f32_e32 v11, v11
	s_delay_alu instid0(VALU_DEP_1)
	v_cndmask_b32_e64 v11, 0xbc00, v11, s0
.LBB156_25:
	s_or_b32 exec_lo, exec_lo, s1
	v_or_b32_e32 v8, 0x400, v0
	s_delay_alu instid0(VALU_DEP_1) | instskip(NEXT) | instid1(VALU_DEP_1)
	v_cmp_gt_i32_e64 s0, s7, v8
                                        ; implicit-def: $vgpr8
	s_and_saveexec_b32 s1, s0
	s_cbranch_execz .LBB156_27
; %bb.26:
	v_cvt_f32_f16_e32 v8, v9
	s_mov_b32 s0, 0xbf317218
	s_delay_alu instid0(VALU_DEP_1) | instskip(NEXT) | instid1(VALU_DEP_1)
	v_mul_f32_e32 v12, 0x3fb8aa3b, v8
	v_rndne_f32_e32 v12, v12
	s_delay_alu instid0(VALU_DEP_1) | instskip(SKIP_2) | instid1(VALU_DEP_2)
	v_fma_mix_f32 v13, v12, s0, v9 op_sel_hi:[0,0,1]
	s_mov_b32 s0, 0x395133b1
	v_cvt_i32_f32_e32 v15, v12
	v_fmamk_f32 v13, v12, 0x3102e308, v13
	s_delay_alu instid0(VALU_DEP_1) | instskip(SKIP_1) | instid1(VALU_DEP_2)
	v_fmaak_f32 v14, s0, v13, 0x3ab69700
	v_cmp_eq_f32_e64 s0, 0x43000000, v12
	v_fmaak_f32 v14, v13, v14, 0x3c0887f9
	s_delay_alu instid0(VALU_DEP_2) | instskip(NEXT) | instid1(VALU_DEP_2)
	v_cndmask_b32_e64 v12, v15, 0x7f, s0
	v_fmaak_f32 v14, v13, v14, 0x3d2aaa81
	s_delay_alu instid0(VALU_DEP_2) | instskip(NEXT) | instid1(VALU_DEP_2)
	v_ldexp_f32 v12, 1.0, v12
	v_fmaak_f32 v14, v13, v14, 0x3e2aaaab
	s_delay_alu instid0(VALU_DEP_1) | instskip(NEXT) | instid1(VALU_DEP_1)
	v_fma_f32 v14, v13, v14, 0.5
	v_mul_f32_e32 v14, v13, v14
	s_delay_alu instid0(VALU_DEP_1) | instskip(NEXT) | instid1(VALU_DEP_1)
	v_dual_fmac_f32 v13, v13, v14 :: v_dual_add_f32 v14, -1.0, v12
	v_fmac_f32_e32 v14, v12, v13
	s_delay_alu instid0(VALU_DEP_1) | instskip(NEXT) | instid1(VALU_DEP_1)
	v_add_f32_e32 v12, v14, v14
	v_cndmask_b32_e64 v12, v14, v12, s0
	v_cmp_nlt_f32_e64 s0, 0x42b17217, v8
	s_delay_alu instid0(VALU_DEP_1) | instskip(SKIP_1) | instid1(VALU_DEP_2)
	v_cndmask_b32_e64 v8, 0x7f800000, v12, s0
	v_cmp_ngt_f16_e64 s0, 0xcc40, v9
	v_cvt_f16_f32_e32 v8, v8
	s_delay_alu instid0(VALU_DEP_1)
	v_cndmask_b32_e64 v8, 0xbc00, v8, s0
.LBB156_27:
	s_or_b32 exec_lo, exec_lo, s1
	v_or_b32_e32 v9, 0x500, v0
	s_delay_alu instid0(VALU_DEP_1) | instskip(NEXT) | instid1(VALU_DEP_1)
	v_cmp_gt_i32_e64 s0, s7, v9
                                        ; implicit-def: $vgpr9
	s_and_saveexec_b32 s1, s0
	s_cbranch_execz .LBB156_29
; %bb.28:
	v_cvt_f32_f16_e32 v9, v4
	s_mov_b32 s0, 0xbf317218
	s_delay_alu instid0(VALU_DEP_1) | instskip(NEXT) | instid1(VALU_DEP_1)
	v_mul_f32_e32 v12, 0x3fb8aa3b, v9
	v_rndne_f32_e32 v12, v12
	s_delay_alu instid0(VALU_DEP_1) | instskip(SKIP_2) | instid1(VALU_DEP_2)
	v_fma_mix_f32 v13, v12, s0, v4 op_sel_hi:[0,0,1]
	s_mov_b32 s0, 0x395133b1
	v_cvt_i32_f32_e32 v15, v12
	v_fmamk_f32 v13, v12, 0x3102e308, v13
	s_delay_alu instid0(VALU_DEP_1) | instskip(SKIP_1) | instid1(VALU_DEP_2)
	v_fmaak_f32 v14, s0, v13, 0x3ab69700
	v_cmp_eq_f32_e64 s0, 0x43000000, v12
	v_fmaak_f32 v14, v13, v14, 0x3c0887f9
	s_delay_alu instid0(VALU_DEP_2) | instskip(NEXT) | instid1(VALU_DEP_2)
	v_cndmask_b32_e64 v12, v15, 0x7f, s0
	v_fmaak_f32 v14, v13, v14, 0x3d2aaa81
	s_delay_alu instid0(VALU_DEP_2) | instskip(NEXT) | instid1(VALU_DEP_2)
	v_ldexp_f32 v12, 1.0, v12
	v_fmaak_f32 v14, v13, v14, 0x3e2aaaab
	s_delay_alu instid0(VALU_DEP_1) | instskip(NEXT) | instid1(VALU_DEP_1)
	v_fma_f32 v14, v13, v14, 0.5
	v_mul_f32_e32 v14, v13, v14
	s_delay_alu instid0(VALU_DEP_1) | instskip(NEXT) | instid1(VALU_DEP_1)
	v_dual_fmac_f32 v13, v13, v14 :: v_dual_add_f32 v14, -1.0, v12
	v_fmac_f32_e32 v14, v12, v13
	s_delay_alu instid0(VALU_DEP_1) | instskip(NEXT) | instid1(VALU_DEP_1)
	v_add_f32_e32 v12, v14, v14
	v_cndmask_b32_e64 v12, v14, v12, s0
	v_cmp_nlt_f32_e64 s0, 0x42b17217, v9
	s_delay_alu instid0(VALU_DEP_1) | instskip(SKIP_1) | instid1(VALU_DEP_2)
	v_cndmask_b32_e64 v9, 0x7f800000, v12, s0
	v_cmp_ngt_f16_e64 s0, 0xcc40, v4
	v_cvt_f16_f32_e32 v9, v9
	s_delay_alu instid0(VALU_DEP_1)
	v_cndmask_b32_e64 v9, 0xbc00, v9, s0
.LBB156_29:
	s_or_b32 exec_lo, exec_lo, s1
	v_or_b32_e32 v4, 0x600, v0
	s_delay_alu instid0(VALU_DEP_1) | instskip(NEXT) | instid1(VALU_DEP_1)
	v_cmp_gt_i32_e64 s0, s7, v4
                                        ; implicit-def: $vgpr4
	s_and_saveexec_b32 s1, s0
	s_cbranch_execz .LBB156_31
; %bb.30:
	v_cvt_f32_f16_e32 v4, v5
	s_mov_b32 s0, 0xbf317218
	s_delay_alu instid0(VALU_DEP_1) | instskip(NEXT) | instid1(VALU_DEP_1)
	v_mul_f32_e32 v12, 0x3fb8aa3b, v4
	v_rndne_f32_e32 v12, v12
	s_delay_alu instid0(VALU_DEP_1) | instskip(SKIP_2) | instid1(VALU_DEP_2)
	v_fma_mix_f32 v13, v12, s0, v5 op_sel_hi:[0,0,1]
	s_mov_b32 s0, 0x395133b1
	v_cvt_i32_f32_e32 v15, v12
	v_fmamk_f32 v13, v12, 0x3102e308, v13
	s_delay_alu instid0(VALU_DEP_1) | instskip(SKIP_1) | instid1(VALU_DEP_2)
	v_fmaak_f32 v14, s0, v13, 0x3ab69700
	v_cmp_eq_f32_e64 s0, 0x43000000, v12
	v_fmaak_f32 v14, v13, v14, 0x3c0887f9
	s_delay_alu instid0(VALU_DEP_2) | instskip(NEXT) | instid1(VALU_DEP_2)
	v_cndmask_b32_e64 v12, v15, 0x7f, s0
	v_fmaak_f32 v14, v13, v14, 0x3d2aaa81
	s_delay_alu instid0(VALU_DEP_2) | instskip(NEXT) | instid1(VALU_DEP_2)
	v_ldexp_f32 v12, 1.0, v12
	v_fmaak_f32 v14, v13, v14, 0x3e2aaaab
	s_delay_alu instid0(VALU_DEP_1) | instskip(NEXT) | instid1(VALU_DEP_1)
	v_fma_f32 v14, v13, v14, 0.5
	v_mul_f32_e32 v14, v13, v14
	s_delay_alu instid0(VALU_DEP_1) | instskip(NEXT) | instid1(VALU_DEP_1)
	v_dual_fmac_f32 v13, v13, v14 :: v_dual_add_f32 v14, -1.0, v12
	v_fmac_f32_e32 v14, v12, v13
	s_delay_alu instid0(VALU_DEP_1) | instskip(NEXT) | instid1(VALU_DEP_1)
	v_add_f32_e32 v12, v14, v14
	v_cndmask_b32_e64 v12, v14, v12, s0
	v_cmp_nlt_f32_e64 s0, 0x42b17217, v4
	s_delay_alu instid0(VALU_DEP_1) | instskip(SKIP_1) | instid1(VALU_DEP_2)
	v_cndmask_b32_e64 v4, 0x7f800000, v12, s0
	v_cmp_ngt_f16_e64 s0, 0xcc40, v5
	v_cvt_f16_f32_e32 v4, v4
	s_delay_alu instid0(VALU_DEP_1)
	v_cndmask_b32_e64 v4, 0xbc00, v4, s0
.LBB156_31:
	s_or_b32 exec_lo, exec_lo, s1
	v_or_b32_e32 v5, 0x700, v0
	s_delay_alu instid0(VALU_DEP_1) | instskip(NEXT) | instid1(VALU_DEP_1)
	v_cmp_gt_i32_e64 s0, s7, v5
                                        ; implicit-def: $vgpr5
	s_and_saveexec_b32 s1, s0
	s_cbranch_execz .LBB156_44
; %bb.32:
	v_cvt_f32_f16_e32 v5, v2
	s_mov_b32 s0, 0xbf317218
	s_delay_alu instid0(VALU_DEP_1) | instskip(NEXT) | instid1(VALU_DEP_1)
	v_mul_f32_e32 v12, 0x3fb8aa3b, v5
	v_rndne_f32_e32 v12, v12
	s_delay_alu instid0(VALU_DEP_1) | instskip(SKIP_2) | instid1(VALU_DEP_2)
	v_fma_mix_f32 v13, v12, s0, v2 op_sel_hi:[0,0,1]
	s_mov_b32 s0, 0x395133b1
	v_cvt_i32_f32_e32 v15, v12
	v_fmamk_f32 v13, v12, 0x3102e308, v13
	s_delay_alu instid0(VALU_DEP_1) | instskip(SKIP_1) | instid1(VALU_DEP_2)
	v_fmaak_f32 v14, s0, v13, 0x3ab69700
	v_cmp_eq_f32_e64 s0, 0x43000000, v12
	v_fmaak_f32 v14, v13, v14, 0x3c0887f9
	s_delay_alu instid0(VALU_DEP_2) | instskip(NEXT) | instid1(VALU_DEP_2)
	v_cndmask_b32_e64 v12, v15, 0x7f, s0
	v_fmaak_f32 v14, v13, v14, 0x3d2aaa81
	s_delay_alu instid0(VALU_DEP_2) | instskip(NEXT) | instid1(VALU_DEP_2)
	v_ldexp_f32 v12, 1.0, v12
	v_fmaak_f32 v14, v13, v14, 0x3e2aaaab
	s_delay_alu instid0(VALU_DEP_1) | instskip(NEXT) | instid1(VALU_DEP_1)
	v_fma_f32 v14, v13, v14, 0.5
	v_mul_f32_e32 v14, v13, v14
	s_delay_alu instid0(VALU_DEP_1) | instskip(NEXT) | instid1(VALU_DEP_1)
	v_dual_fmac_f32 v13, v13, v14 :: v_dual_add_f32 v14, -1.0, v12
	v_fmac_f32_e32 v14, v12, v13
	s_delay_alu instid0(VALU_DEP_1) | instskip(NEXT) | instid1(VALU_DEP_1)
	v_add_f32_e32 v12, v14, v14
	v_cndmask_b32_e64 v12, v14, v12, s0
	v_cmp_nlt_f32_e64 s0, 0x42b17217, v5
	s_delay_alu instid0(VALU_DEP_1) | instskip(SKIP_1) | instid1(VALU_DEP_2)
	v_cndmask_b32_e64 v5, 0x7f800000, v12, s0
	v_cmp_ngt_f16_e64 s0, 0xcc40, v2
	v_cvt_f16_f32_e32 v5, v5
	s_delay_alu instid0(VALU_DEP_1) | instskip(SKIP_2) | instid1(SALU_CYCLE_1)
	v_cndmask_b32_e64 v5, 0xbc00, v5, s0
	s_or_b32 exec_lo, exec_lo, s1
	s_and_saveexec_b32 s0, vcc_lo
	s_xor_b32 s0, exec_lo, s0
	s_cbranch_execnz .LBB156_45
.LBB156_33:
	s_or_b32 exec_lo, exec_lo, s0
	s_delay_alu instid0(SALU_CYCLE_1)
	s_mov_b32 s0, exec_lo
	v_cmpx_gt_i32_e64 s7, v0
	s_cbranch_execz .LBB156_46
.LBB156_34:
	v_dual_mov_b32 v2, 0 :: v_dual_add_nc_u32 v1, s12, v0
	v_add_nc_u32_e32 v0, 0x100, v0
	s_delay_alu instid0(VALU_DEP_2) | instskip(NEXT) | instid1(VALU_DEP_1)
	v_lshlrev_b64 v[1:2], 1, v[1:2]
	v_add_co_u32 v1, vcc_lo, s8, v1
	s_delay_alu instid0(VALU_DEP_2) | instskip(SKIP_2) | instid1(SALU_CYCLE_1)
	v_add_co_ci_u32_e32 v2, vcc_lo, s9, v2, vcc_lo
	global_store_b16 v[1:2], v7, off
	s_or_b32 exec_lo, exec_lo, s0
	s_mov_b32 s0, exec_lo
	v_cmpx_gt_i32_e64 s7, v0
	s_cbranch_execnz .LBB156_47
.LBB156_35:
	s_or_b32 exec_lo, exec_lo, s0
	s_delay_alu instid0(SALU_CYCLE_1)
	s_mov_b32 s0, exec_lo
	v_cmpx_gt_i32_e64 s7, v0
	s_cbranch_execz .LBB156_48
.LBB156_36:
	v_dual_mov_b32 v2, 0 :: v_dual_add_nc_u32 v1, s12, v0
	v_add_nc_u32_e32 v0, 0x100, v0
	s_delay_alu instid0(VALU_DEP_2) | instskip(NEXT) | instid1(VALU_DEP_1)
	v_lshlrev_b64 v[1:2], 1, v[1:2]
	v_add_co_u32 v1, vcc_lo, s8, v1
	s_delay_alu instid0(VALU_DEP_2) | instskip(SKIP_2) | instid1(SALU_CYCLE_1)
	v_add_co_ci_u32_e32 v2, vcc_lo, s9, v2, vcc_lo
	global_store_b16 v[1:2], v11, off
	s_or_b32 exec_lo, exec_lo, s0
	s_mov_b32 s0, exec_lo
	v_cmpx_gt_i32_e64 s7, v0
	s_cbranch_execnz .LBB156_49
.LBB156_37:
	s_or_b32 exec_lo, exec_lo, s0
	s_delay_alu instid0(SALU_CYCLE_1)
	s_mov_b32 s0, exec_lo
	v_cmpx_gt_i32_e64 s7, v0
	s_cbranch_execz .LBB156_50
.LBB156_38:
	v_dual_mov_b32 v2, 0 :: v_dual_add_nc_u32 v1, s12, v0
	v_add_nc_u32_e32 v0, 0x100, v0
	s_delay_alu instid0(VALU_DEP_2) | instskip(NEXT) | instid1(VALU_DEP_1)
	v_lshlrev_b64 v[1:2], 1, v[1:2]
	v_add_co_u32 v1, vcc_lo, s8, v1
	s_delay_alu instid0(VALU_DEP_2) | instskip(SKIP_2) | instid1(SALU_CYCLE_1)
	v_add_co_ci_u32_e32 v2, vcc_lo, s9, v2, vcc_lo
	global_store_b16 v[1:2], v9, off
	s_or_b32 exec_lo, exec_lo, s0
	s_mov_b32 s0, exec_lo
	v_cmpx_gt_i32_e64 s7, v0
	s_cbranch_execnz .LBB156_51
.LBB156_39:
	s_or_b32 exec_lo, exec_lo, s0
	s_delay_alu instid0(SALU_CYCLE_1)
	s_mov_b32 s0, exec_lo
	v_cmpx_gt_i32_e64 s7, v0
	s_cbranch_execz .LBB156_41
.LBB156_40:
	v_dual_mov_b32 v1, 0 :: v_dual_add_nc_u32 v0, s12, v0
	s_delay_alu instid0(VALU_DEP_1) | instskip(NEXT) | instid1(VALU_DEP_1)
	v_lshlrev_b64 v[0:1], 1, v[0:1]
	v_add_co_u32 v0, vcc_lo, s8, v0
	s_delay_alu instid0(VALU_DEP_2)
	v_add_co_ci_u32_e32 v1, vcc_lo, s9, v1, vcc_lo
	global_store_b16 v[0:1], v5, off
.LBB156_41:
	s_nop 0
	s_sendmsg sendmsg(MSG_DEALLOC_VGPRS)
	s_endpgm
.LBB156_42:
	s_or_b32 exec_lo, exec_lo, s1
	s_delay_alu instid0(SALU_CYCLE_1)
	s_mov_b32 s1, exec_lo
	v_cmpx_gt_i32_e64 s7, v6
	s_cbranch_execz .LBB156_17
.LBB156_43:
	v_dual_mov_b32 v13, 0 :: v_dual_add_nc_u32 v12, s12, v6
	s_delay_alu instid0(VALU_DEP_1) | instskip(NEXT) | instid1(VALU_DEP_1)
	v_lshlrev_b64 v[12:13], 1, v[12:13]
	v_add_co_u32 v12, s0, s10, v12
	s_delay_alu instid0(VALU_DEP_1)
	v_add_co_ci_u32_e64 v13, s0, s11, v13, s0
	global_load_u16 v2, v[12:13], off
	s_or_b32 exec_lo, exec_lo, s1
                                        ; implicit-def: $vgpr6
	s_and_saveexec_b32 s1, vcc_lo
	s_cbranch_execz .LBB156_19
	s_branch .LBB156_18
.LBB156_44:
	s_or_b32 exec_lo, exec_lo, s1
	s_and_saveexec_b32 s0, vcc_lo
	s_delay_alu instid0(SALU_CYCLE_1)
	s_xor_b32 s0, exec_lo, s0
	s_cbranch_execz .LBB156_33
.LBB156_45:
	v_mov_b32_e32 v2, 0
	s_delay_alu instid0(VALU_DEP_1) | instskip(NEXT) | instid1(VALU_DEP_1)
	v_lshlrev_b64 v[0:1], 1, v[1:2]
	v_add_co_u32 v12, vcc_lo, s8, v0
	s_delay_alu instid0(VALU_DEP_2) | instskip(SKIP_3) | instid1(SALU_CYCLE_1)
	v_add_co_ci_u32_e32 v13, vcc_lo, s9, v1, vcc_lo
	v_mov_b32_e32 v0, v3
	global_store_b16 v[12:13], v6, off
	s_or_b32 exec_lo, exec_lo, s0
	s_mov_b32 s0, exec_lo
	v_cmpx_gt_i32_e64 s7, v0
	s_cbranch_execnz .LBB156_34
.LBB156_46:
	s_or_b32 exec_lo, exec_lo, s0
	s_delay_alu instid0(SALU_CYCLE_1)
	s_mov_b32 s0, exec_lo
	v_cmpx_gt_i32_e64 s7, v0
	s_cbranch_execz .LBB156_35
.LBB156_47:
	v_dual_mov_b32 v2, 0 :: v_dual_add_nc_u32 v1, s12, v0
	v_add_nc_u32_e32 v0, 0x100, v0
	s_delay_alu instid0(VALU_DEP_2) | instskip(NEXT) | instid1(VALU_DEP_1)
	v_lshlrev_b64 v[1:2], 1, v[1:2]
	v_add_co_u32 v1, vcc_lo, s8, v1
	s_delay_alu instid0(VALU_DEP_2) | instskip(SKIP_2) | instid1(SALU_CYCLE_1)
	v_add_co_ci_u32_e32 v2, vcc_lo, s9, v2, vcc_lo
	global_store_b16 v[1:2], v10, off
	s_or_b32 exec_lo, exec_lo, s0
	s_mov_b32 s0, exec_lo
	v_cmpx_gt_i32_e64 s7, v0
	s_cbranch_execnz .LBB156_36
.LBB156_48:
	s_or_b32 exec_lo, exec_lo, s0
	s_delay_alu instid0(SALU_CYCLE_1)
	s_mov_b32 s0, exec_lo
	v_cmpx_gt_i32_e64 s7, v0
	s_cbranch_execz .LBB156_37
.LBB156_49:
	v_dual_mov_b32 v2, 0 :: v_dual_add_nc_u32 v1, s12, v0
	v_add_nc_u32_e32 v0, 0x100, v0
	s_delay_alu instid0(VALU_DEP_2) | instskip(NEXT) | instid1(VALU_DEP_1)
	v_lshlrev_b64 v[1:2], 1, v[1:2]
	v_add_co_u32 v1, vcc_lo, s8, v1
	s_delay_alu instid0(VALU_DEP_2) | instskip(SKIP_2) | instid1(SALU_CYCLE_1)
	v_add_co_ci_u32_e32 v2, vcc_lo, s9, v2, vcc_lo
	global_store_b16 v[1:2], v8, off
	s_or_b32 exec_lo, exec_lo, s0
	s_mov_b32 s0, exec_lo
	v_cmpx_gt_i32_e64 s7, v0
	s_cbranch_execnz .LBB156_38
.LBB156_50:
	s_or_b32 exec_lo, exec_lo, s0
	s_delay_alu instid0(SALU_CYCLE_1)
	s_mov_b32 s0, exec_lo
	v_cmpx_gt_i32_e64 s7, v0
	s_cbranch_execz .LBB156_39
.LBB156_51:
	v_dual_mov_b32 v2, 0 :: v_dual_add_nc_u32 v1, s12, v0
	v_add_nc_u32_e32 v0, 0x100, v0
	s_delay_alu instid0(VALU_DEP_2) | instskip(NEXT) | instid1(VALU_DEP_1)
	v_lshlrev_b64 v[1:2], 1, v[1:2]
	v_add_co_u32 v1, vcc_lo, s8, v1
	s_delay_alu instid0(VALU_DEP_2) | instskip(SKIP_2) | instid1(SALU_CYCLE_1)
	v_add_co_ci_u32_e32 v2, vcc_lo, s9, v2, vcc_lo
	global_store_b16 v[1:2], v4, off
	s_or_b32 exec_lo, exec_lo, s0
	s_mov_b32 s0, exec_lo
	v_cmpx_gt_i32_e64 s7, v0
	s_cbranch_execnz .LBB156_40
	s_branch .LBB156_41
	.section	.rodata,"a",@progbits
	.p2align	6, 0x0
	.amdhsa_kernel _ZN2at6native29vectorized_elementwise_kernelILi4EZZZNS0_17expm1_kernel_cudaERNS_18TensorIteratorBaseEENKUlvE_clEvENKUlvE4_clEvEUlN3c104HalfEE_St5arrayIPcLm2EEEEviT0_T1_
		.amdhsa_group_segment_fixed_size 0
		.amdhsa_private_segment_fixed_size 0
		.amdhsa_kernarg_size 24
		.amdhsa_user_sgpr_count 15
		.amdhsa_user_sgpr_dispatch_ptr 0
		.amdhsa_user_sgpr_queue_ptr 0
		.amdhsa_user_sgpr_kernarg_segment_ptr 1
		.amdhsa_user_sgpr_dispatch_id 0
		.amdhsa_user_sgpr_private_segment_size 0
		.amdhsa_wavefront_size32 1
		.amdhsa_uses_dynamic_stack 0
		.amdhsa_enable_private_segment 0
		.amdhsa_system_sgpr_workgroup_id_x 1
		.amdhsa_system_sgpr_workgroup_id_y 0
		.amdhsa_system_sgpr_workgroup_id_z 0
		.amdhsa_system_sgpr_workgroup_info 0
		.amdhsa_system_vgpr_workitem_id 0
		.amdhsa_next_free_vgpr 50
		.amdhsa_next_free_sgpr 16
		.amdhsa_reserve_vcc 1
		.amdhsa_float_round_mode_32 0
		.amdhsa_float_round_mode_16_64 0
		.amdhsa_float_denorm_mode_32 3
		.amdhsa_float_denorm_mode_16_64 3
		.amdhsa_dx10_clamp 1
		.amdhsa_ieee_mode 1
		.amdhsa_fp16_overflow 0
		.amdhsa_workgroup_processor_mode 1
		.amdhsa_memory_ordered 1
		.amdhsa_forward_progress 0
		.amdhsa_shared_vgpr_count 0
		.amdhsa_exception_fp_ieee_invalid_op 0
		.amdhsa_exception_fp_denorm_src 0
		.amdhsa_exception_fp_ieee_div_zero 0
		.amdhsa_exception_fp_ieee_overflow 0
		.amdhsa_exception_fp_ieee_underflow 0
		.amdhsa_exception_fp_ieee_inexact 0
		.amdhsa_exception_int_div_zero 0
	.end_amdhsa_kernel
	.section	.text._ZN2at6native29vectorized_elementwise_kernelILi4EZZZNS0_17expm1_kernel_cudaERNS_18TensorIteratorBaseEENKUlvE_clEvENKUlvE4_clEvEUlN3c104HalfEE_St5arrayIPcLm2EEEEviT0_T1_,"axG",@progbits,_ZN2at6native29vectorized_elementwise_kernelILi4EZZZNS0_17expm1_kernel_cudaERNS_18TensorIteratorBaseEENKUlvE_clEvENKUlvE4_clEvEUlN3c104HalfEE_St5arrayIPcLm2EEEEviT0_T1_,comdat
.Lfunc_end156:
	.size	_ZN2at6native29vectorized_elementwise_kernelILi4EZZZNS0_17expm1_kernel_cudaERNS_18TensorIteratorBaseEENKUlvE_clEvENKUlvE4_clEvEUlN3c104HalfEE_St5arrayIPcLm2EEEEviT0_T1_, .Lfunc_end156-_ZN2at6native29vectorized_elementwise_kernelILi4EZZZNS0_17expm1_kernel_cudaERNS_18TensorIteratorBaseEENKUlvE_clEvENKUlvE4_clEvEUlN3c104HalfEE_St5arrayIPcLm2EEEEviT0_T1_
                                        ; -- End function
	.section	.AMDGPU.csdata,"",@progbits
; Kernel info:
; codeLenInByte = 5384
; NumSgprs: 18
; NumVgprs: 50
; ScratchSize: 0
; MemoryBound: 0
; FloatMode: 240
; IeeeMode: 1
; LDSByteSize: 0 bytes/workgroup (compile time only)
; SGPRBlocks: 2
; VGPRBlocks: 6
; NumSGPRsForWavesPerEU: 18
; NumVGPRsForWavesPerEU: 50
; Occupancy: 16
; WaveLimiterHint : 1
; COMPUTE_PGM_RSRC2:SCRATCH_EN: 0
; COMPUTE_PGM_RSRC2:USER_SGPR: 15
; COMPUTE_PGM_RSRC2:TRAP_HANDLER: 0
; COMPUTE_PGM_RSRC2:TGID_X_EN: 1
; COMPUTE_PGM_RSRC2:TGID_Y_EN: 0
; COMPUTE_PGM_RSRC2:TGID_Z_EN: 0
; COMPUTE_PGM_RSRC2:TIDIG_COMP_CNT: 0
	.section	.text._ZN2at6native29vectorized_elementwise_kernelILi2EZZZNS0_17expm1_kernel_cudaERNS_18TensorIteratorBaseEENKUlvE_clEvENKUlvE4_clEvEUlN3c104HalfEE_St5arrayIPcLm2EEEEviT0_T1_,"axG",@progbits,_ZN2at6native29vectorized_elementwise_kernelILi2EZZZNS0_17expm1_kernel_cudaERNS_18TensorIteratorBaseEENKUlvE_clEvENKUlvE4_clEvEUlN3c104HalfEE_St5arrayIPcLm2EEEEviT0_T1_,comdat
	.globl	_ZN2at6native29vectorized_elementwise_kernelILi2EZZZNS0_17expm1_kernel_cudaERNS_18TensorIteratorBaseEENKUlvE_clEvENKUlvE4_clEvEUlN3c104HalfEE_St5arrayIPcLm2EEEEviT0_T1_ ; -- Begin function _ZN2at6native29vectorized_elementwise_kernelILi2EZZZNS0_17expm1_kernel_cudaERNS_18TensorIteratorBaseEENKUlvE_clEvENKUlvE4_clEvEUlN3c104HalfEE_St5arrayIPcLm2EEEEviT0_T1_
	.p2align	8
	.type	_ZN2at6native29vectorized_elementwise_kernelILi2EZZZNS0_17expm1_kernel_cudaERNS_18TensorIteratorBaseEENKUlvE_clEvENKUlvE4_clEvEUlN3c104HalfEE_St5arrayIPcLm2EEEEviT0_T1_,@function
_ZN2at6native29vectorized_elementwise_kernelILi2EZZZNS0_17expm1_kernel_cudaERNS_18TensorIteratorBaseEENKUlvE_clEvENKUlvE4_clEvEUlN3c104HalfEE_St5arrayIPcLm2EEEEviT0_T1_: ; @_ZN2at6native29vectorized_elementwise_kernelILi2EZZZNS0_17expm1_kernel_cudaERNS_18TensorIteratorBaseEENKUlvE_clEvENKUlvE4_clEvEUlN3c104HalfEE_St5arrayIPcLm2EEEEviT0_T1_
; %bb.0:
	s_clause 0x1
	s_load_b32 s2, s[0:1], 0x0
	s_load_b128 s[8:11], s[0:1], 0x8
	s_lshl_b32 s12, s15, 11
	s_mov_b32 s0, -1
	s_waitcnt lgkmcnt(0)
	s_sub_i32 s16, s2, s12
	s_delay_alu instid0(SALU_CYCLE_1)
	s_cmpk_gt_i32 s16, 0x7ff
	s_cbranch_scc0 .LBB157_2
; %bb.1:
	s_ashr_i32 s13, s12, 31
	v_lshlrev_b32_e32 v1, 2, v0
	s_lshl_b64 s[6:7], s[12:13], 1
	s_mov_b32 s3, 0xbf317218
	s_add_u32 s0, s10, s6
	s_addc_u32 s1, s11, s7
	s_add_u32 s14, s8, s6
	s_clause 0x3
	global_load_b32 v2, v1, s[0:1]
	global_load_b32 v3, v1, s[0:1] offset:1024
	global_load_b32 v4, v1, s[0:1] offset:2048
	global_load_b32 v5, v1, s[0:1] offset:3072
	s_mov_b32 s13, 0x395133b1
	s_addc_u32 s15, s9, s7
	s_waitcnt vmcnt(3)
	v_cvt_f32_f16_e32 v9, v2
	s_waitcnt vmcnt(2)
	v_lshrrev_b32_e32 v7, 16, v3
	v_cvt_f32_f16_e32 v11, v3
	s_waitcnt vmcnt(0)
	v_lshrrev_b32_e32 v10, 16, v5
	v_cvt_f32_f16_e32 v13, v5
	v_mul_f32_e32 v14, 0x3fb8aa3b, v9
	v_cvt_f32_f16_e32 v17, v7
	v_mul_f32_e32 v16, 0x3fb8aa3b, v11
	v_cvt_f32_f16_e32 v12, v4
	v_cvt_f32_f16_e32 v21, v10
	v_rndne_f32_e32 v14, v14
	v_mul_f32_e32 v23, 0x3fb8aa3b, v17
	v_rndne_f32_e32 v16, v16
	s_delay_alu instid0(VALU_DEP_4) | instskip(NEXT) | instid1(VALU_DEP_4)
	v_dual_mul_f32 v18, 0x3fb8aa3b, v12 :: v_dual_mul_f32 v25, 0x3fb8aa3b, v21
	v_fma_mix_f32 v26, v14, s3, v2 op_sel_hi:[0,0,1]
	s_delay_alu instid0(VALU_DEP_4) | instskip(NEXT) | instid1(VALU_DEP_4)
	v_rndne_f32_e32 v23, v23
	v_fma_mix_f32 v28, v16, s3, v3 op_sel_hi:[0,0,1]
	v_cvt_i32_f32_e32 v29, v16
	v_cmp_eq_f32_e64 s0, 0x43000000, v16
	v_rndne_f32_e32 v25, v25
	v_cvt_i32_f32_e32 v35, v23
	v_fmac_f32_e32 v28, 0x3102e308, v16
	v_cmp_eq_f32_e64 s4, 0x43000000, v23
	v_cndmask_b32_e64 v16, v29, 0x7f, s0
	v_fma_mix_f32 v29, v23, s3, v3 op_sel:[0,0,1] op_sel_hi:[0,0,1]
	v_fmac_f32_e32 v26, 0x3102e308, v14
	v_lshrrev_b32_e32 v6, 16, v2
	v_cvt_i32_f32_e32 v37, v25
	v_cmp_eq_f32_e64 s6, 0x43000000, v25
	v_fmac_f32_e32 v29, 0x3102e308, v23
	v_cndmask_b32_e64 v23, v35, 0x7f, s4
	v_cvt_f32_f16_e32 v15, v6
	v_cvt_i32_f32_e32 v27, v14
	v_cmp_eq_f32_e32 vcc_lo, 0x43000000, v14
	v_ldexp_f32 v16, 1.0, v16
	v_ldexp_f32 v23, 1.0, v23
	v_mul_f32_e32 v20, 0x3fb8aa3b, v13
	v_lshrrev_b32_e32 v8, 16, v4
	v_cndmask_b32_e64 v14, v27, 0x7f, vcc_lo
	v_rndne_f32_e32 v18, v18
	v_add_f32_e32 v47, -1.0, v23
	v_rndne_f32_e32 v20, v20
	v_cvt_f32_f16_e32 v19, v8
	v_ldexp_f32 v14, 1.0, v14
	v_fma_mix_f32 v30, v18, s3, v4 op_sel_hi:[0,0,1]
	v_cvt_i32_f32_e32 v31, v18
	v_fma_mix_f32 v32, v20, s3, v5 op_sel_hi:[0,0,1]
	v_cvt_i32_f32_e32 v33, v20
	v_cmp_eq_f32_e64 s2, 0x43000000, v20
	v_cmp_eq_f32_e64 s1, 0x43000000, v18
	v_add_f32_e32 v40, -1.0, v16
	v_fmac_f32_e32 v32, 0x3102e308, v20
	v_fmaak_f32 v41, s13, v29, 0x3ab69700
	v_cndmask_b32_e64 v20, v33, 0x7f, s2
	v_fma_mix_f32 v33, v25, s3, v5 op_sel:[0,0,1] op_sel_hi:[0,0,1]
	s_delay_alu instid0(VALU_DEP_3) | instskip(NEXT) | instid1(VALU_DEP_3)
	v_fmaak_f32 v41, v29, v41, 0x3c0887f9
	v_ldexp_f32 v20, 1.0, v20
	s_delay_alu instid0(VALU_DEP_3) | instskip(SKIP_1) | instid1(VALU_DEP_2)
	v_fmac_f32_e32 v33, 0x3102e308, v25
	v_cndmask_b32_e64 v25, v37, 0x7f, s6
	v_dual_add_f32 v44, -1.0, v20 :: v_dual_fmaak_f32 v45, s13, v33, 0x3ab69700
	s_delay_alu instid0(VALU_DEP_2) | instskip(NEXT) | instid1(VALU_DEP_1)
	v_ldexp_f32 v25, 1.0, v25
	v_dual_mul_f32 v22, 0x3fb8aa3b, v15 :: v_dual_add_f32 v49, -1.0, v25
	s_delay_alu instid0(VALU_DEP_1) | instskip(NEXT) | instid1(VALU_DEP_1)
	v_rndne_f32_e32 v22, v22
	v_fma_mix_f32 v27, v22, s3, v2 op_sel:[0,0,1] op_sel_hi:[0,0,1]
	v_cvt_i32_f32_e32 v34, v22
	s_delay_alu instid0(VALU_DEP_2) | instskip(NEXT) | instid1(VALU_DEP_1)
	v_fmac_f32_e32 v27, 0x3102e308, v22
	v_dual_fmaak_f32 v38, s13, v26, 0x3ab69700 :: v_dual_fmaak_f32 v39, s13, v27, 0x3ab69700
	s_delay_alu instid0(VALU_DEP_1) | instskip(NEXT) | instid1(VALU_DEP_2)
	v_fmaak_f32 v37, v26, v38, 0x3c0887f9
	v_fmaak_f32 v39, v27, v39, 0x3c0887f9
	s_delay_alu instid0(VALU_DEP_2) | instskip(NEXT) | instid1(VALU_DEP_2)
	v_fmaak_f32 v37, v26, v37, 0x3d2aaa81
	v_fmaak_f32 v39, v27, v39, 0x3d2aaa81
	s_delay_alu instid0(VALU_DEP_2) | instskip(NEXT) | instid1(VALU_DEP_1)
	v_fmaak_f32 v37, v26, v37, 0x3e2aaaab
	v_fma_f32 v37, v26, v37, 0.5
	s_delay_alu instid0(VALU_DEP_1) | instskip(NEXT) | instid1(VALU_DEP_1)
	v_dual_mul_f32 v24, 0x3fb8aa3b, v19 :: v_dual_mul_f32 v37, v26, v37
	v_rndne_f32_e32 v24, v24
	v_fmac_f32_e32 v30, 0x3102e308, v18
	v_cndmask_b32_e64 v18, v31, 0x7f, s1
	s_delay_alu instid0(VALU_DEP_4) | instskip(NEXT) | instid1(VALU_DEP_4)
	v_fmac_f32_e32 v26, v26, v37
	v_fma_mix_f32 v31, v24, s3, v4 op_sel:[0,0,1] op_sel_hi:[0,0,1]
	v_cmp_eq_f32_e64 s3, 0x43000000, v22
	v_cvt_i32_f32_e32 v36, v24
	v_cmp_eq_f32_e64 s5, 0x43000000, v24
	v_ldexp_f32 v18, 1.0, v18
	v_fmac_f32_e32 v31, 0x3102e308, v24
	v_cndmask_b32_e64 v22, v34, 0x7f, s3
	v_dual_fmaak_f32 v34, s13, v28, 0x3ab69700 :: v_dual_fmaak_f32 v35, s13, v30, 0x3ab69700
	v_cndmask_b32_e64 v24, v36, 0x7f, s5
	v_fmaak_f32 v36, s13, v32, 0x3ab69700
	v_add_f32_e32 v38, -1.0, v14
	s_delay_alu instid0(VALU_DEP_4) | instskip(SKIP_1) | instid1(VALU_DEP_4)
	v_dual_fmaak_f32 v34, v28, v34, 0x3c0887f9 :: v_dual_fmaak_f32 v35, v30, v35, 0x3c0887f9
	v_dual_add_f32 v42, -1.0, v18 :: v_dual_fmaak_f32 v43, s13, v31, 0x3ab69700
	v_fmaak_f32 v36, v32, v36, 0x3c0887f9
	s_delay_alu instid0(VALU_DEP_3) | instskip(SKIP_1) | instid1(VALU_DEP_4)
	v_dual_fmaak_f32 v34, v28, v34, 0x3d2aaa81 :: v_dual_fmaak_f32 v35, v30, v35, 0x3d2aaa81
	v_ldexp_f32 v24, 1.0, v24
	v_fmaak_f32 v43, v31, v43, 0x3c0887f9
	s_delay_alu instid0(VALU_DEP_4) | instskip(NEXT) | instid1(VALU_DEP_4)
	v_fmaak_f32 v36, v32, v36, 0x3d2aaa81
	v_dual_fmaak_f32 v34, v28, v34, 0x3e2aaaab :: v_dual_fmaak_f32 v35, v30, v35, 0x3e2aaaab
	s_delay_alu instid0(VALU_DEP_3) | instskip(NEXT) | instid1(VALU_DEP_3)
	v_dual_add_f32 v48, -1.0, v24 :: v_dual_fmaak_f32 v43, v31, v43, 0x3d2aaa81
	v_fmaak_f32 v36, v32, v36, 0x3e2aaaab
	s_delay_alu instid0(VALU_DEP_3) | instskip(SKIP_4) | instid1(VALU_DEP_4)
	v_fma_f32 v34, v28, v34, 0.5
	v_fmaak_f32 v45, v33, v45, 0x3c0887f9
	v_fma_f32 v35, v30, v35, 0.5
	v_fmac_f32_e32 v38, v14, v26
	v_fma_f32 v36, v32, v36, 0.5
	v_dual_mul_f32 v34, v28, v34 :: v_dual_fmaak_f32 v45, v33, v45, 0x3d2aaa81
	v_fmaak_f32 v41, v29, v41, 0x3d2aaa81
	v_ldexp_f32 v22, 1.0, v22
	s_delay_alu instid0(VALU_DEP_4) | instskip(NEXT) | instid1(VALU_DEP_4)
	v_mul_f32_e32 v36, v32, v36
	v_dual_fmac_f32 v28, v28, v34 :: v_dual_fmaak_f32 v45, v33, v45, 0x3e2aaaab
	s_delay_alu instid0(VALU_DEP_3) | instskip(NEXT) | instid1(VALU_DEP_3)
	v_dual_fmaak_f32 v43, v31, v43, 0x3e2aaaab :: v_dual_add_f32 v46, -1.0, v22
	v_fmac_f32_e32 v32, v32, v36
	v_add_f32_e32 v14, v38, v38
	s_delay_alu instid0(VALU_DEP_4)
	v_fma_f32 v45, v33, v45, 0.5
	v_mul_f32_e32 v35, v30, v35
	v_fma_f32 v43, v31, v43, 0.5
	v_fmac_f32_e32 v40, v16, v28
	v_fmac_f32_e32 v44, v20, v32
	v_mul_f32_e32 v36, v33, v45
	v_dual_fmaak_f32 v41, v29, v41, 0x3e2aaaab :: v_dual_fmac_f32 v30, v30, v35
	v_mul_f32_e32 v35, v31, v43
	s_delay_alu instid0(VALU_DEP_2) | instskip(NEXT) | instid1(VALU_DEP_3)
	v_fma_f32 v41, v29, v41, 0.5
	v_dual_fmac_f32 v42, v18, v30 :: v_dual_fmaak_f32 v39, v27, v39, 0x3e2aaaab
	s_delay_alu instid0(VALU_DEP_3) | instskip(SKIP_1) | instid1(VALU_DEP_4)
	v_fmac_f32_e32 v31, v31, v35
	v_fmac_f32_e32 v33, v33, v36
	v_mul_f32_e32 v34, v29, v41
	s_delay_alu instid0(VALU_DEP_4) | instskip(SKIP_1) | instid1(VALU_DEP_4)
	v_add_f32_e32 v18, v42, v42
	v_fma_f32 v39, v27, v39, 0.5
	v_dual_fmac_f32 v48, v24, v31 :: v_dual_fmac_f32 v49, v25, v33
	v_cndmask_b32_e32 v14, v38, v14, vcc_lo
	v_cmp_nlt_f32_e32 vcc_lo, 0x42b17217, v9
	s_delay_alu instid0(VALU_DEP_4) | instskip(SKIP_3) | instid1(VALU_DEP_4)
	v_mul_f32_e32 v37, v27, v39
	v_cndmask_b32_e64 v18, v42, v18, s1
	v_dual_add_f32 v25, v49, v49 :: v_dual_add_f32 v24, v48, v48
	v_cndmask_b32_e32 v9, 0x7f800000, v14, vcc_lo
	v_fmac_f32_e32 v27, v27, v37
	v_fmac_f32_e32 v29, v29, v34
	v_cmp_nlt_f32_e32 vcc_lo, 0x42b17217, v11
	s_delay_alu instid0(VALU_DEP_4) | instskip(NEXT) | instid1(VALU_DEP_4)
	v_cvt_f16_f32_e32 v9, v9
	v_fmac_f32_e32 v46, v22, v27
	s_delay_alu instid0(VALU_DEP_4) | instskip(SKIP_1) | instid1(VALU_DEP_2)
	v_dual_add_f32 v16, v40, v40 :: v_dual_fmac_f32 v47, v23, v29
	v_add_f32_e32 v20, v44, v44
	v_cndmask_b32_e64 v16, v40, v16, s0
	s_delay_alu instid0(VALU_DEP_3) | instskip(NEXT) | instid1(VALU_DEP_3)
	v_dual_add_f32 v23, v47, v47 :: v_dual_add_f32 v22, v46, v46
	v_cndmask_b32_e64 v20, v44, v20, s2
	s_mov_b32 s0, 0
	s_delay_alu instid0(VALU_DEP_3) | instskip(SKIP_3) | instid1(VALU_DEP_4)
	v_cndmask_b32_e32 v11, 0x7f800000, v16, vcc_lo
	v_cmp_nlt_f32_e32 vcc_lo, 0x42b17217, v12
	v_cndmask_b32_e64 v14, v46, v22, s3
	v_cndmask_b32_e64 v16, v47, v23, s4
	v_cvt_f16_f32_e32 v11, v11
	v_cndmask_b32_e32 v12, 0x7f800000, v18, vcc_lo
	v_cmp_nlt_f32_e32 vcc_lo, 0x42b17217, v13
	v_cndmask_b32_e64 v18, v48, v24, s5
	s_delay_alu instid0(VALU_DEP_3) | instskip(SKIP_3) | instid1(VALU_DEP_3)
	v_cvt_f16_f32_e32 v12, v12
	v_cndmask_b32_e32 v13, 0x7f800000, v20, vcc_lo
	v_cmp_nlt_f32_e32 vcc_lo, 0x42b17217, v15
	v_cndmask_b32_e64 v20, v49, v25, s6
	v_cvt_f16_f32_e32 v13, v13
	v_cndmask_b32_e32 v14, 0x7f800000, v14, vcc_lo
	v_cmp_nlt_f32_e32 vcc_lo, 0x42b17217, v17
	v_cndmask_b32_e32 v15, 0x7f800000, v16, vcc_lo
	v_cmp_nlt_f32_e32 vcc_lo, 0x42b17217, v19
	;; [unrolled: 2-line block ×3, first 2 shown]
	v_cndmask_b32_e32 v17, 0x7f800000, v20, vcc_lo
	v_cmp_ngt_f16_e32 vcc_lo, 0xcc40, v2
	v_cndmask_b32_e32 v2, 0xbc00, v9, vcc_lo
	v_cmp_ngt_f16_e32 vcc_lo, 0xcc40, v3
	v_cvt_f16_f32_e32 v9, v14
	s_delay_alu instid0(VALU_DEP_3)
	v_and_b32_e32 v2, 0xffff, v2
	v_cndmask_b32_e32 v3, 0xbc00, v11, vcc_lo
	v_cmp_ngt_f16_e32 vcc_lo, 0xcc40, v4
	v_cvt_f16_f32_e32 v11, v15
	v_cndmask_b32_e32 v4, 0xbc00, v12, vcc_lo
	v_cmp_ngt_f16_e32 vcc_lo, 0xcc40, v5
	v_cvt_f16_f32_e32 v12, v16
	s_delay_alu instid0(VALU_DEP_3) | instskip(SKIP_3) | instid1(VALU_DEP_3)
	v_and_b32_e32 v4, 0xffff, v4
	v_cndmask_b32_e32 v5, 0xbc00, v13, vcc_lo
	v_cmp_ngt_f16_e32 vcc_lo, 0xcc40, v6
	v_cvt_f16_f32_e32 v13, v17
	v_and_b32_e32 v5, 0xffff, v5
	v_cndmask_b32_e32 v6, 0xbc00, v9, vcc_lo
	v_cmp_ngt_f16_e32 vcc_lo, 0xcc40, v7
	s_delay_alu instid0(VALU_DEP_2) | instskip(SKIP_1) | instid1(VALU_DEP_2)
	v_dual_cndmask_b32 v7, 0xbc00, v11 :: v_dual_lshlrev_b32 v6, 16, v6
	v_cmp_ngt_f16_e32 vcc_lo, 0xcc40, v8
	v_or_b32_e32 v2, v6, v2
	s_delay_alu instid0(VALU_DEP_3) | instskip(SKIP_1) | instid1(VALU_DEP_2)
	v_dual_cndmask_b32 v8, 0xbc00, v12 :: v_dual_lshlrev_b32 v7, 16, v7
	v_cmp_ngt_f16_e32 vcc_lo, 0xcc40, v10
	v_dual_cndmask_b32 v9, 0xbc00, v13 :: v_dual_lshlrev_b32 v8, 16, v8
	v_and_b32_e32 v3, 0xffff, v3
	s_delay_alu instid0(VALU_DEP_2) | instskip(NEXT) | instid1(VALU_DEP_3)
	v_or_b32_e32 v4, v8, v4
	v_lshlrev_b32_e32 v9, 16, v9
	s_delay_alu instid0(VALU_DEP_3) | instskip(NEXT) | instid1(VALU_DEP_2)
	v_or_b32_e32 v3, v7, v3
	v_or_b32_e32 v5, v9, v5
	s_clause 0x3
	global_store_b32 v1, v2, s[14:15]
	global_store_b32 v1, v3, s[14:15] offset:1024
	global_store_b32 v1, v4, s[14:15] offset:2048
	;; [unrolled: 1-line block ×3, first 2 shown]
.LBB157_2:
	s_and_not1_b32 vcc_lo, exec_lo, s0
	s_cbranch_vccnz .LBB157_41
; %bb.3:
	v_cmp_gt_i32_e32 vcc_lo, s16, v0
	v_dual_mov_b32 v10, 0 :: v_dual_mov_b32 v7, 0
	v_or_b32_e32 v1, s12, v0
	v_or_b32_e32 v3, 0x100, v0
	v_mov_b32_e32 v6, v0
	s_and_saveexec_b32 s1, vcc_lo
	s_cbranch_execz .LBB157_5
; %bb.4:
	v_mov_b32_e32 v2, 0
	v_or_b32_e32 v6, 0x100, v0
	s_delay_alu instid0(VALU_DEP_2) | instskip(NEXT) | instid1(VALU_DEP_1)
	v_lshlrev_b64 v[4:5], 1, v[1:2]
	v_add_co_u32 v4, s0, s10, v4
	s_delay_alu instid0(VALU_DEP_1)
	v_add_co_ci_u32_e64 v5, s0, s11, v5, s0
	global_load_u16 v7, v[4:5], off
.LBB157_5:
	s_or_b32 exec_lo, exec_lo, s1
	s_delay_alu instid0(SALU_CYCLE_1)
	s_mov_b32 s1, exec_lo
	v_cmpx_gt_i32_e64 s16, v6
	s_cbranch_execz .LBB157_7
; %bb.6:
	v_dual_mov_b32 v5, 0 :: v_dual_add_nc_u32 v4, s12, v6
	v_add_nc_u32_e32 v6, 0x100, v6
	s_delay_alu instid0(VALU_DEP_2) | instskip(NEXT) | instid1(VALU_DEP_1)
	v_lshlrev_b64 v[4:5], 1, v[4:5]
	v_add_co_u32 v4, s0, s10, v4
	s_delay_alu instid0(VALU_DEP_1)
	v_add_co_ci_u32_e64 v5, s0, s11, v5, s0
	global_load_u16 v10, v[4:5], off
.LBB157_7:
	s_or_b32 exec_lo, exec_lo, s1
	v_dual_mov_b32 v8, 0 :: v_dual_mov_b32 v11, 0
	s_mov_b32 s1, exec_lo
	v_cmpx_gt_i32_e64 s16, v6
	s_cbranch_execz .LBB157_9
; %bb.8:
	v_dual_mov_b32 v5, 0 :: v_dual_add_nc_u32 v4, s12, v6
	v_add_nc_u32_e32 v6, 0x100, v6
	s_delay_alu instid0(VALU_DEP_2) | instskip(NEXT) | instid1(VALU_DEP_1)
	v_lshlrev_b64 v[4:5], 1, v[4:5]
	v_add_co_u32 v4, s0, s10, v4
	s_delay_alu instid0(VALU_DEP_1)
	v_add_co_ci_u32_e64 v5, s0, s11, v5, s0
	global_load_u16 v11, v[4:5], off
.LBB157_9:
	s_or_b32 exec_lo, exec_lo, s1
	s_delay_alu instid0(SALU_CYCLE_1)
	s_mov_b32 s1, exec_lo
	v_cmpx_gt_i32_e64 s16, v6
	s_cbranch_execz .LBB157_11
; %bb.10:
	v_dual_mov_b32 v5, 0 :: v_dual_add_nc_u32 v4, s12, v6
	v_add_nc_u32_e32 v6, 0x100, v6
	s_delay_alu instid0(VALU_DEP_2) | instskip(NEXT) | instid1(VALU_DEP_1)
	v_lshlrev_b64 v[4:5], 1, v[4:5]
	v_add_co_u32 v4, s0, s10, v4
	s_delay_alu instid0(VALU_DEP_1)
	v_add_co_ci_u32_e64 v5, s0, s11, v5, s0
	global_load_u16 v8, v[4:5], off
.LBB157_11:
	s_or_b32 exec_lo, exec_lo, s1
	v_dual_mov_b32 v4, 0 :: v_dual_mov_b32 v9, 0
	s_mov_b32 s1, exec_lo
	v_cmpx_gt_i32_e64 s16, v6
	s_cbranch_execz .LBB157_13
; %bb.12:
	v_dual_mov_b32 v13, 0 :: v_dual_add_nc_u32 v12, s12, v6
	v_add_nc_u32_e32 v6, 0x100, v6
	s_delay_alu instid0(VALU_DEP_2) | instskip(NEXT) | instid1(VALU_DEP_1)
	v_lshlrev_b64 v[12:13], 1, v[12:13]
	v_add_co_u32 v12, s0, s10, v12
	s_delay_alu instid0(VALU_DEP_1)
	v_add_co_ci_u32_e64 v13, s0, s11, v13, s0
	global_load_u16 v9, v[12:13], off
.LBB157_13:
	s_or_b32 exec_lo, exec_lo, s1
	s_delay_alu instid0(SALU_CYCLE_1)
	s_mov_b32 s1, exec_lo
	v_cmpx_gt_i32_e64 s16, v6
	s_cbranch_execz .LBB157_15
; %bb.14:
	v_dual_mov_b32 v5, 0 :: v_dual_add_nc_u32 v4, s12, v6
	v_add_nc_u32_e32 v6, 0x100, v6
	s_delay_alu instid0(VALU_DEP_2) | instskip(NEXT) | instid1(VALU_DEP_1)
	v_lshlrev_b64 v[4:5], 1, v[4:5]
	v_add_co_u32 v4, s0, s10, v4
	s_delay_alu instid0(VALU_DEP_1)
	v_add_co_ci_u32_e64 v5, s0, s11, v5, s0
	global_load_u16 v4, v[4:5], off
.LBB157_15:
	s_or_b32 exec_lo, exec_lo, s1
	v_dual_mov_b32 v2, 0 :: v_dual_mov_b32 v5, 0
	s_mov_b32 s1, exec_lo
	v_cmpx_gt_i32_e64 s16, v6
	s_cbranch_execz .LBB157_42
; %bb.16:
	v_dual_mov_b32 v13, 0 :: v_dual_add_nc_u32 v12, s12, v6
	v_add_nc_u32_e32 v6, 0x100, v6
	s_delay_alu instid0(VALU_DEP_2) | instskip(NEXT) | instid1(VALU_DEP_1)
	v_lshlrev_b64 v[12:13], 1, v[12:13]
	v_add_co_u32 v12, s0, s10, v12
	s_delay_alu instid0(VALU_DEP_1) | instskip(SKIP_2) | instid1(SALU_CYCLE_1)
	v_add_co_ci_u32_e64 v13, s0, s11, v13, s0
	global_load_u16 v5, v[12:13], off
	s_or_b32 exec_lo, exec_lo, s1
	s_mov_b32 s1, exec_lo
	v_cmpx_gt_i32_e64 s16, v6
	s_cbranch_execnz .LBB157_43
.LBB157_17:
	s_or_b32 exec_lo, exec_lo, s1
                                        ; implicit-def: $vgpr6
	s_and_saveexec_b32 s1, vcc_lo
	s_cbranch_execz .LBB157_19
.LBB157_18:
	s_waitcnt vmcnt(0)
	v_cvt_f32_f16_e32 v6, v7
	s_mov_b32 s0, 0xbf317218
	s_delay_alu instid0(VALU_DEP_1) | instskip(NEXT) | instid1(VALU_DEP_1)
	v_mul_f32_e32 v12, 0x3fb8aa3b, v6
	v_rndne_f32_e32 v12, v12
	s_delay_alu instid0(VALU_DEP_1) | instskip(SKIP_2) | instid1(VALU_DEP_2)
	v_fma_mix_f32 v13, v12, s0, v7 op_sel_hi:[0,0,1]
	s_mov_b32 s0, 0x395133b1
	v_cvt_i32_f32_e32 v15, v12
	v_fmamk_f32 v13, v12, 0x3102e308, v13
	s_delay_alu instid0(VALU_DEP_1) | instskip(SKIP_1) | instid1(VALU_DEP_2)
	v_fmaak_f32 v14, s0, v13, 0x3ab69700
	v_cmp_eq_f32_e64 s0, 0x43000000, v12
	v_fmaak_f32 v14, v13, v14, 0x3c0887f9
	s_delay_alu instid0(VALU_DEP_2) | instskip(NEXT) | instid1(VALU_DEP_2)
	v_cndmask_b32_e64 v12, v15, 0x7f, s0
	v_fmaak_f32 v14, v13, v14, 0x3d2aaa81
	s_delay_alu instid0(VALU_DEP_2) | instskip(NEXT) | instid1(VALU_DEP_2)
	v_ldexp_f32 v12, 1.0, v12
	v_fmaak_f32 v14, v13, v14, 0x3e2aaaab
	s_delay_alu instid0(VALU_DEP_1) | instskip(NEXT) | instid1(VALU_DEP_1)
	v_fma_f32 v14, v13, v14, 0.5
	v_mul_f32_e32 v14, v13, v14
	s_delay_alu instid0(VALU_DEP_1) | instskip(NEXT) | instid1(VALU_DEP_1)
	v_dual_fmac_f32 v13, v13, v14 :: v_dual_add_f32 v14, -1.0, v12
	v_fmac_f32_e32 v14, v12, v13
	s_delay_alu instid0(VALU_DEP_1) | instskip(NEXT) | instid1(VALU_DEP_1)
	v_add_f32_e32 v12, v14, v14
	v_cndmask_b32_e64 v12, v14, v12, s0
	v_cmp_nlt_f32_e64 s0, 0x42b17217, v6
	s_delay_alu instid0(VALU_DEP_1) | instskip(SKIP_1) | instid1(VALU_DEP_2)
	v_cndmask_b32_e64 v6, 0x7f800000, v12, s0
	v_cmp_ngt_f16_e64 s0, 0xcc40, v7
	v_cvt_f16_f32_e32 v6, v6
	s_delay_alu instid0(VALU_DEP_1)
	v_cndmask_b32_e64 v6, 0xbc00, v6, s0
.LBB157_19:
	s_or_b32 exec_lo, exec_lo, s1
	s_delay_alu instid0(SALU_CYCLE_1)
	s_mov_b32 s1, exec_lo
                                        ; implicit-def: $vgpr7
	v_cmpx_gt_i32_e64 s16, v3
	s_cbranch_execz .LBB157_21
; %bb.20:
	s_waitcnt vmcnt(0)
	v_cvt_f32_f16_e32 v7, v10
	s_mov_b32 s0, 0xbf317218
	s_delay_alu instid0(VALU_DEP_1) | instskip(NEXT) | instid1(VALU_DEP_1)
	v_mul_f32_e32 v12, 0x3fb8aa3b, v7
	v_rndne_f32_e32 v12, v12
	s_delay_alu instid0(VALU_DEP_1) | instskip(SKIP_2) | instid1(VALU_DEP_2)
	v_fma_mix_f32 v13, v12, s0, v10 op_sel_hi:[0,0,1]
	s_mov_b32 s0, 0x395133b1
	v_cvt_i32_f32_e32 v15, v12
	v_fmamk_f32 v13, v12, 0x3102e308, v13
	s_delay_alu instid0(VALU_DEP_1) | instskip(SKIP_1) | instid1(VALU_DEP_2)
	v_fmaak_f32 v14, s0, v13, 0x3ab69700
	v_cmp_eq_f32_e64 s0, 0x43000000, v12
	v_fmaak_f32 v14, v13, v14, 0x3c0887f9
	s_delay_alu instid0(VALU_DEP_2) | instskip(NEXT) | instid1(VALU_DEP_2)
	v_cndmask_b32_e64 v12, v15, 0x7f, s0
	v_fmaak_f32 v14, v13, v14, 0x3d2aaa81
	s_delay_alu instid0(VALU_DEP_2) | instskip(NEXT) | instid1(VALU_DEP_2)
	v_ldexp_f32 v12, 1.0, v12
	v_fmaak_f32 v14, v13, v14, 0x3e2aaaab
	s_delay_alu instid0(VALU_DEP_1) | instskip(NEXT) | instid1(VALU_DEP_1)
	v_fma_f32 v14, v13, v14, 0.5
	v_mul_f32_e32 v14, v13, v14
	s_delay_alu instid0(VALU_DEP_1) | instskip(NEXT) | instid1(VALU_DEP_1)
	v_dual_fmac_f32 v13, v13, v14 :: v_dual_add_f32 v14, -1.0, v12
	v_fmac_f32_e32 v14, v12, v13
	s_delay_alu instid0(VALU_DEP_1) | instskip(NEXT) | instid1(VALU_DEP_1)
	v_add_f32_e32 v12, v14, v14
	v_cndmask_b32_e64 v12, v14, v12, s0
	v_cmp_nlt_f32_e64 s0, 0x42b17217, v7
	s_delay_alu instid0(VALU_DEP_1) | instskip(SKIP_1) | instid1(VALU_DEP_2)
	v_cndmask_b32_e64 v7, 0x7f800000, v12, s0
	v_cmp_ngt_f16_e64 s0, 0xcc40, v10
	v_cvt_f16_f32_e32 v7, v7
	s_delay_alu instid0(VALU_DEP_1)
	v_cndmask_b32_e64 v7, 0xbc00, v7, s0
.LBB157_21:
	s_or_b32 exec_lo, exec_lo, s1
	s_waitcnt vmcnt(0)
	v_or_b32_e32 v10, 0x200, v0
	s_delay_alu instid0(VALU_DEP_1) | instskip(NEXT) | instid1(VALU_DEP_1)
	v_cmp_gt_i32_e64 s0, s16, v10
                                        ; implicit-def: $vgpr10
	s_and_saveexec_b32 s1, s0
	s_cbranch_execz .LBB157_23
; %bb.22:
	v_cvt_f32_f16_e32 v10, v11
	s_mov_b32 s0, 0xbf317218
	s_delay_alu instid0(VALU_DEP_1) | instskip(NEXT) | instid1(VALU_DEP_1)
	v_mul_f32_e32 v12, 0x3fb8aa3b, v10
	v_rndne_f32_e32 v12, v12
	s_delay_alu instid0(VALU_DEP_1) | instskip(SKIP_2) | instid1(VALU_DEP_2)
	v_fma_mix_f32 v13, v12, s0, v11 op_sel_hi:[0,0,1]
	s_mov_b32 s0, 0x395133b1
	v_cvt_i32_f32_e32 v15, v12
	v_fmamk_f32 v13, v12, 0x3102e308, v13
	s_delay_alu instid0(VALU_DEP_1) | instskip(SKIP_1) | instid1(VALU_DEP_2)
	v_fmaak_f32 v14, s0, v13, 0x3ab69700
	v_cmp_eq_f32_e64 s0, 0x43000000, v12
	v_fmaak_f32 v14, v13, v14, 0x3c0887f9
	s_delay_alu instid0(VALU_DEP_2) | instskip(NEXT) | instid1(VALU_DEP_2)
	v_cndmask_b32_e64 v12, v15, 0x7f, s0
	v_fmaak_f32 v14, v13, v14, 0x3d2aaa81
	s_delay_alu instid0(VALU_DEP_2) | instskip(NEXT) | instid1(VALU_DEP_2)
	v_ldexp_f32 v12, 1.0, v12
	v_fmaak_f32 v14, v13, v14, 0x3e2aaaab
	s_delay_alu instid0(VALU_DEP_1) | instskip(NEXT) | instid1(VALU_DEP_1)
	v_fma_f32 v14, v13, v14, 0.5
	v_mul_f32_e32 v14, v13, v14
	s_delay_alu instid0(VALU_DEP_1) | instskip(NEXT) | instid1(VALU_DEP_1)
	v_dual_fmac_f32 v13, v13, v14 :: v_dual_add_f32 v14, -1.0, v12
	v_fmac_f32_e32 v14, v12, v13
	s_delay_alu instid0(VALU_DEP_1) | instskip(NEXT) | instid1(VALU_DEP_1)
	v_add_f32_e32 v12, v14, v14
	v_cndmask_b32_e64 v12, v14, v12, s0
	v_cmp_nlt_f32_e64 s0, 0x42b17217, v10
	s_delay_alu instid0(VALU_DEP_1) | instskip(SKIP_1) | instid1(VALU_DEP_2)
	v_cndmask_b32_e64 v10, 0x7f800000, v12, s0
	v_cmp_ngt_f16_e64 s0, 0xcc40, v11
	v_cvt_f16_f32_e32 v10, v10
	s_delay_alu instid0(VALU_DEP_1)
	v_cndmask_b32_e64 v10, 0xbc00, v10, s0
.LBB157_23:
	s_or_b32 exec_lo, exec_lo, s1
	v_or_b32_e32 v11, 0x300, v0
	s_delay_alu instid0(VALU_DEP_1) | instskip(NEXT) | instid1(VALU_DEP_1)
	v_cmp_gt_i32_e64 s0, s16, v11
                                        ; implicit-def: $vgpr11
	s_and_saveexec_b32 s1, s0
	s_cbranch_execz .LBB157_25
; %bb.24:
	v_cvt_f32_f16_e32 v11, v8
	s_mov_b32 s0, 0xbf317218
	s_delay_alu instid0(VALU_DEP_1) | instskip(NEXT) | instid1(VALU_DEP_1)
	v_mul_f32_e32 v12, 0x3fb8aa3b, v11
	v_rndne_f32_e32 v12, v12
	s_delay_alu instid0(VALU_DEP_1) | instskip(SKIP_2) | instid1(VALU_DEP_2)
	v_fma_mix_f32 v13, v12, s0, v8 op_sel_hi:[0,0,1]
	s_mov_b32 s0, 0x395133b1
	v_cvt_i32_f32_e32 v15, v12
	v_fmamk_f32 v13, v12, 0x3102e308, v13
	s_delay_alu instid0(VALU_DEP_1) | instskip(SKIP_1) | instid1(VALU_DEP_2)
	v_fmaak_f32 v14, s0, v13, 0x3ab69700
	v_cmp_eq_f32_e64 s0, 0x43000000, v12
	v_fmaak_f32 v14, v13, v14, 0x3c0887f9
	s_delay_alu instid0(VALU_DEP_2) | instskip(NEXT) | instid1(VALU_DEP_2)
	v_cndmask_b32_e64 v12, v15, 0x7f, s0
	v_fmaak_f32 v14, v13, v14, 0x3d2aaa81
	s_delay_alu instid0(VALU_DEP_2) | instskip(NEXT) | instid1(VALU_DEP_2)
	v_ldexp_f32 v12, 1.0, v12
	v_fmaak_f32 v14, v13, v14, 0x3e2aaaab
	s_delay_alu instid0(VALU_DEP_1) | instskip(NEXT) | instid1(VALU_DEP_1)
	v_fma_f32 v14, v13, v14, 0.5
	v_mul_f32_e32 v14, v13, v14
	s_delay_alu instid0(VALU_DEP_1) | instskip(NEXT) | instid1(VALU_DEP_1)
	v_dual_fmac_f32 v13, v13, v14 :: v_dual_add_f32 v14, -1.0, v12
	v_fmac_f32_e32 v14, v12, v13
	s_delay_alu instid0(VALU_DEP_1) | instskip(NEXT) | instid1(VALU_DEP_1)
	v_add_f32_e32 v12, v14, v14
	v_cndmask_b32_e64 v12, v14, v12, s0
	v_cmp_nlt_f32_e64 s0, 0x42b17217, v11
	s_delay_alu instid0(VALU_DEP_1) | instskip(SKIP_1) | instid1(VALU_DEP_2)
	v_cndmask_b32_e64 v11, 0x7f800000, v12, s0
	v_cmp_ngt_f16_e64 s0, 0xcc40, v8
	v_cvt_f16_f32_e32 v11, v11
	s_delay_alu instid0(VALU_DEP_1)
	v_cndmask_b32_e64 v11, 0xbc00, v11, s0
.LBB157_25:
	s_or_b32 exec_lo, exec_lo, s1
	v_or_b32_e32 v8, 0x400, v0
	s_delay_alu instid0(VALU_DEP_1) | instskip(NEXT) | instid1(VALU_DEP_1)
	v_cmp_gt_i32_e64 s0, s16, v8
                                        ; implicit-def: $vgpr8
	s_and_saveexec_b32 s1, s0
	s_cbranch_execz .LBB157_27
; %bb.26:
	v_cvt_f32_f16_e32 v8, v9
	s_mov_b32 s0, 0xbf317218
	s_delay_alu instid0(VALU_DEP_1) | instskip(NEXT) | instid1(VALU_DEP_1)
	v_mul_f32_e32 v12, 0x3fb8aa3b, v8
	v_rndne_f32_e32 v12, v12
	s_delay_alu instid0(VALU_DEP_1) | instskip(SKIP_2) | instid1(VALU_DEP_2)
	v_fma_mix_f32 v13, v12, s0, v9 op_sel_hi:[0,0,1]
	s_mov_b32 s0, 0x395133b1
	v_cvt_i32_f32_e32 v15, v12
	v_fmamk_f32 v13, v12, 0x3102e308, v13
	s_delay_alu instid0(VALU_DEP_1) | instskip(SKIP_1) | instid1(VALU_DEP_2)
	v_fmaak_f32 v14, s0, v13, 0x3ab69700
	v_cmp_eq_f32_e64 s0, 0x43000000, v12
	v_fmaak_f32 v14, v13, v14, 0x3c0887f9
	s_delay_alu instid0(VALU_DEP_2) | instskip(NEXT) | instid1(VALU_DEP_2)
	v_cndmask_b32_e64 v12, v15, 0x7f, s0
	v_fmaak_f32 v14, v13, v14, 0x3d2aaa81
	s_delay_alu instid0(VALU_DEP_2) | instskip(NEXT) | instid1(VALU_DEP_2)
	v_ldexp_f32 v12, 1.0, v12
	v_fmaak_f32 v14, v13, v14, 0x3e2aaaab
	s_delay_alu instid0(VALU_DEP_1) | instskip(NEXT) | instid1(VALU_DEP_1)
	v_fma_f32 v14, v13, v14, 0.5
	v_mul_f32_e32 v14, v13, v14
	s_delay_alu instid0(VALU_DEP_1) | instskip(NEXT) | instid1(VALU_DEP_1)
	v_dual_fmac_f32 v13, v13, v14 :: v_dual_add_f32 v14, -1.0, v12
	v_fmac_f32_e32 v14, v12, v13
	s_delay_alu instid0(VALU_DEP_1) | instskip(NEXT) | instid1(VALU_DEP_1)
	v_add_f32_e32 v12, v14, v14
	v_cndmask_b32_e64 v12, v14, v12, s0
	v_cmp_nlt_f32_e64 s0, 0x42b17217, v8
	s_delay_alu instid0(VALU_DEP_1) | instskip(SKIP_1) | instid1(VALU_DEP_2)
	v_cndmask_b32_e64 v8, 0x7f800000, v12, s0
	v_cmp_ngt_f16_e64 s0, 0xcc40, v9
	v_cvt_f16_f32_e32 v8, v8
	s_delay_alu instid0(VALU_DEP_1)
	v_cndmask_b32_e64 v8, 0xbc00, v8, s0
.LBB157_27:
	s_or_b32 exec_lo, exec_lo, s1
	v_or_b32_e32 v9, 0x500, v0
	s_delay_alu instid0(VALU_DEP_1) | instskip(NEXT) | instid1(VALU_DEP_1)
	v_cmp_gt_i32_e64 s0, s16, v9
                                        ; implicit-def: $vgpr9
	s_and_saveexec_b32 s1, s0
	s_cbranch_execz .LBB157_29
; %bb.28:
	v_cvt_f32_f16_e32 v9, v4
	s_mov_b32 s0, 0xbf317218
	s_delay_alu instid0(VALU_DEP_1) | instskip(NEXT) | instid1(VALU_DEP_1)
	v_mul_f32_e32 v12, 0x3fb8aa3b, v9
	v_rndne_f32_e32 v12, v12
	s_delay_alu instid0(VALU_DEP_1) | instskip(SKIP_2) | instid1(VALU_DEP_2)
	v_fma_mix_f32 v13, v12, s0, v4 op_sel_hi:[0,0,1]
	s_mov_b32 s0, 0x395133b1
	v_cvt_i32_f32_e32 v15, v12
	v_fmamk_f32 v13, v12, 0x3102e308, v13
	s_delay_alu instid0(VALU_DEP_1) | instskip(SKIP_1) | instid1(VALU_DEP_2)
	v_fmaak_f32 v14, s0, v13, 0x3ab69700
	v_cmp_eq_f32_e64 s0, 0x43000000, v12
	v_fmaak_f32 v14, v13, v14, 0x3c0887f9
	s_delay_alu instid0(VALU_DEP_2) | instskip(NEXT) | instid1(VALU_DEP_2)
	v_cndmask_b32_e64 v12, v15, 0x7f, s0
	v_fmaak_f32 v14, v13, v14, 0x3d2aaa81
	s_delay_alu instid0(VALU_DEP_2) | instskip(NEXT) | instid1(VALU_DEP_2)
	v_ldexp_f32 v12, 1.0, v12
	v_fmaak_f32 v14, v13, v14, 0x3e2aaaab
	s_delay_alu instid0(VALU_DEP_1) | instskip(NEXT) | instid1(VALU_DEP_1)
	v_fma_f32 v14, v13, v14, 0.5
	v_mul_f32_e32 v14, v13, v14
	s_delay_alu instid0(VALU_DEP_1) | instskip(NEXT) | instid1(VALU_DEP_1)
	v_dual_fmac_f32 v13, v13, v14 :: v_dual_add_f32 v14, -1.0, v12
	v_fmac_f32_e32 v14, v12, v13
	s_delay_alu instid0(VALU_DEP_1) | instskip(NEXT) | instid1(VALU_DEP_1)
	v_add_f32_e32 v12, v14, v14
	v_cndmask_b32_e64 v12, v14, v12, s0
	v_cmp_nlt_f32_e64 s0, 0x42b17217, v9
	s_delay_alu instid0(VALU_DEP_1) | instskip(SKIP_1) | instid1(VALU_DEP_2)
	v_cndmask_b32_e64 v9, 0x7f800000, v12, s0
	v_cmp_ngt_f16_e64 s0, 0xcc40, v4
	v_cvt_f16_f32_e32 v9, v9
	s_delay_alu instid0(VALU_DEP_1)
	v_cndmask_b32_e64 v9, 0xbc00, v9, s0
.LBB157_29:
	s_or_b32 exec_lo, exec_lo, s1
	v_or_b32_e32 v4, 0x600, v0
	s_delay_alu instid0(VALU_DEP_1) | instskip(NEXT) | instid1(VALU_DEP_1)
	v_cmp_gt_i32_e64 s0, s16, v4
                                        ; implicit-def: $vgpr4
	s_and_saveexec_b32 s1, s0
	s_cbranch_execz .LBB157_31
; %bb.30:
	v_cvt_f32_f16_e32 v4, v5
	s_mov_b32 s0, 0xbf317218
	s_delay_alu instid0(VALU_DEP_1) | instskip(NEXT) | instid1(VALU_DEP_1)
	v_mul_f32_e32 v12, 0x3fb8aa3b, v4
	v_rndne_f32_e32 v12, v12
	s_delay_alu instid0(VALU_DEP_1) | instskip(SKIP_2) | instid1(VALU_DEP_2)
	v_fma_mix_f32 v13, v12, s0, v5 op_sel_hi:[0,0,1]
	s_mov_b32 s0, 0x395133b1
	v_cvt_i32_f32_e32 v15, v12
	v_fmamk_f32 v13, v12, 0x3102e308, v13
	s_delay_alu instid0(VALU_DEP_1) | instskip(SKIP_1) | instid1(VALU_DEP_2)
	v_fmaak_f32 v14, s0, v13, 0x3ab69700
	v_cmp_eq_f32_e64 s0, 0x43000000, v12
	v_fmaak_f32 v14, v13, v14, 0x3c0887f9
	s_delay_alu instid0(VALU_DEP_2) | instskip(NEXT) | instid1(VALU_DEP_2)
	v_cndmask_b32_e64 v12, v15, 0x7f, s0
	v_fmaak_f32 v14, v13, v14, 0x3d2aaa81
	s_delay_alu instid0(VALU_DEP_2) | instskip(NEXT) | instid1(VALU_DEP_2)
	v_ldexp_f32 v12, 1.0, v12
	v_fmaak_f32 v14, v13, v14, 0x3e2aaaab
	s_delay_alu instid0(VALU_DEP_1) | instskip(NEXT) | instid1(VALU_DEP_1)
	v_fma_f32 v14, v13, v14, 0.5
	v_mul_f32_e32 v14, v13, v14
	s_delay_alu instid0(VALU_DEP_1) | instskip(NEXT) | instid1(VALU_DEP_1)
	v_dual_fmac_f32 v13, v13, v14 :: v_dual_add_f32 v14, -1.0, v12
	v_fmac_f32_e32 v14, v12, v13
	s_delay_alu instid0(VALU_DEP_1) | instskip(NEXT) | instid1(VALU_DEP_1)
	v_add_f32_e32 v12, v14, v14
	v_cndmask_b32_e64 v12, v14, v12, s0
	v_cmp_nlt_f32_e64 s0, 0x42b17217, v4
	s_delay_alu instid0(VALU_DEP_1) | instskip(SKIP_1) | instid1(VALU_DEP_2)
	v_cndmask_b32_e64 v4, 0x7f800000, v12, s0
	v_cmp_ngt_f16_e64 s0, 0xcc40, v5
	v_cvt_f16_f32_e32 v4, v4
	s_delay_alu instid0(VALU_DEP_1)
	v_cndmask_b32_e64 v4, 0xbc00, v4, s0
.LBB157_31:
	s_or_b32 exec_lo, exec_lo, s1
	v_or_b32_e32 v5, 0x700, v0
	s_delay_alu instid0(VALU_DEP_1) | instskip(NEXT) | instid1(VALU_DEP_1)
	v_cmp_gt_i32_e64 s0, s16, v5
                                        ; implicit-def: $vgpr5
	s_and_saveexec_b32 s1, s0
	s_cbranch_execz .LBB157_44
; %bb.32:
	v_cvt_f32_f16_e32 v5, v2
	s_mov_b32 s0, 0xbf317218
	s_delay_alu instid0(VALU_DEP_1) | instskip(NEXT) | instid1(VALU_DEP_1)
	v_mul_f32_e32 v12, 0x3fb8aa3b, v5
	v_rndne_f32_e32 v12, v12
	s_delay_alu instid0(VALU_DEP_1) | instskip(SKIP_2) | instid1(VALU_DEP_2)
	v_fma_mix_f32 v13, v12, s0, v2 op_sel_hi:[0,0,1]
	s_mov_b32 s0, 0x395133b1
	v_cvt_i32_f32_e32 v15, v12
	v_fmamk_f32 v13, v12, 0x3102e308, v13
	s_delay_alu instid0(VALU_DEP_1) | instskip(SKIP_1) | instid1(VALU_DEP_2)
	v_fmaak_f32 v14, s0, v13, 0x3ab69700
	v_cmp_eq_f32_e64 s0, 0x43000000, v12
	v_fmaak_f32 v14, v13, v14, 0x3c0887f9
	s_delay_alu instid0(VALU_DEP_2) | instskip(NEXT) | instid1(VALU_DEP_2)
	v_cndmask_b32_e64 v12, v15, 0x7f, s0
	v_fmaak_f32 v14, v13, v14, 0x3d2aaa81
	s_delay_alu instid0(VALU_DEP_2) | instskip(NEXT) | instid1(VALU_DEP_2)
	v_ldexp_f32 v12, 1.0, v12
	v_fmaak_f32 v14, v13, v14, 0x3e2aaaab
	s_delay_alu instid0(VALU_DEP_1) | instskip(NEXT) | instid1(VALU_DEP_1)
	v_fma_f32 v14, v13, v14, 0.5
	v_mul_f32_e32 v14, v13, v14
	s_delay_alu instid0(VALU_DEP_1) | instskip(NEXT) | instid1(VALU_DEP_1)
	v_dual_fmac_f32 v13, v13, v14 :: v_dual_add_f32 v14, -1.0, v12
	v_fmac_f32_e32 v14, v12, v13
	s_delay_alu instid0(VALU_DEP_1) | instskip(NEXT) | instid1(VALU_DEP_1)
	v_add_f32_e32 v12, v14, v14
	v_cndmask_b32_e64 v12, v14, v12, s0
	v_cmp_nlt_f32_e64 s0, 0x42b17217, v5
	s_delay_alu instid0(VALU_DEP_1) | instskip(SKIP_1) | instid1(VALU_DEP_2)
	v_cndmask_b32_e64 v5, 0x7f800000, v12, s0
	v_cmp_ngt_f16_e64 s0, 0xcc40, v2
	v_cvt_f16_f32_e32 v5, v5
	s_delay_alu instid0(VALU_DEP_1) | instskip(SKIP_2) | instid1(SALU_CYCLE_1)
	v_cndmask_b32_e64 v5, 0xbc00, v5, s0
	s_or_b32 exec_lo, exec_lo, s1
	s_and_saveexec_b32 s0, vcc_lo
	s_xor_b32 s0, exec_lo, s0
	s_cbranch_execnz .LBB157_45
.LBB157_33:
	s_or_b32 exec_lo, exec_lo, s0
	s_delay_alu instid0(SALU_CYCLE_1)
	s_mov_b32 s0, exec_lo
	v_cmpx_gt_i32_e64 s16, v0
	s_cbranch_execz .LBB157_46
.LBB157_34:
	v_dual_mov_b32 v2, 0 :: v_dual_add_nc_u32 v1, s12, v0
	v_add_nc_u32_e32 v0, 0x100, v0
	s_delay_alu instid0(VALU_DEP_2) | instskip(NEXT) | instid1(VALU_DEP_1)
	v_lshlrev_b64 v[1:2], 1, v[1:2]
	v_add_co_u32 v1, vcc_lo, s8, v1
	s_delay_alu instid0(VALU_DEP_2) | instskip(SKIP_2) | instid1(SALU_CYCLE_1)
	v_add_co_ci_u32_e32 v2, vcc_lo, s9, v2, vcc_lo
	global_store_b16 v[1:2], v7, off
	s_or_b32 exec_lo, exec_lo, s0
	s_mov_b32 s0, exec_lo
	v_cmpx_gt_i32_e64 s16, v0
	s_cbranch_execnz .LBB157_47
.LBB157_35:
	s_or_b32 exec_lo, exec_lo, s0
	s_delay_alu instid0(SALU_CYCLE_1)
	s_mov_b32 s0, exec_lo
	v_cmpx_gt_i32_e64 s16, v0
	s_cbranch_execz .LBB157_48
.LBB157_36:
	v_dual_mov_b32 v2, 0 :: v_dual_add_nc_u32 v1, s12, v0
	v_add_nc_u32_e32 v0, 0x100, v0
	s_delay_alu instid0(VALU_DEP_2) | instskip(NEXT) | instid1(VALU_DEP_1)
	v_lshlrev_b64 v[1:2], 1, v[1:2]
	v_add_co_u32 v1, vcc_lo, s8, v1
	s_delay_alu instid0(VALU_DEP_2) | instskip(SKIP_2) | instid1(SALU_CYCLE_1)
	v_add_co_ci_u32_e32 v2, vcc_lo, s9, v2, vcc_lo
	global_store_b16 v[1:2], v11, off
	s_or_b32 exec_lo, exec_lo, s0
	s_mov_b32 s0, exec_lo
	v_cmpx_gt_i32_e64 s16, v0
	s_cbranch_execnz .LBB157_49
.LBB157_37:
	s_or_b32 exec_lo, exec_lo, s0
	s_delay_alu instid0(SALU_CYCLE_1)
	s_mov_b32 s0, exec_lo
	v_cmpx_gt_i32_e64 s16, v0
	s_cbranch_execz .LBB157_50
.LBB157_38:
	v_dual_mov_b32 v2, 0 :: v_dual_add_nc_u32 v1, s12, v0
	v_add_nc_u32_e32 v0, 0x100, v0
	s_delay_alu instid0(VALU_DEP_2) | instskip(NEXT) | instid1(VALU_DEP_1)
	v_lshlrev_b64 v[1:2], 1, v[1:2]
	v_add_co_u32 v1, vcc_lo, s8, v1
	s_delay_alu instid0(VALU_DEP_2) | instskip(SKIP_2) | instid1(SALU_CYCLE_1)
	v_add_co_ci_u32_e32 v2, vcc_lo, s9, v2, vcc_lo
	global_store_b16 v[1:2], v9, off
	s_or_b32 exec_lo, exec_lo, s0
	s_mov_b32 s0, exec_lo
	v_cmpx_gt_i32_e64 s16, v0
	s_cbranch_execnz .LBB157_51
.LBB157_39:
	s_or_b32 exec_lo, exec_lo, s0
	s_delay_alu instid0(SALU_CYCLE_1)
	s_mov_b32 s0, exec_lo
	v_cmpx_gt_i32_e64 s16, v0
	s_cbranch_execz .LBB157_41
.LBB157_40:
	v_dual_mov_b32 v1, 0 :: v_dual_add_nc_u32 v0, s12, v0
	s_delay_alu instid0(VALU_DEP_1) | instskip(NEXT) | instid1(VALU_DEP_1)
	v_lshlrev_b64 v[0:1], 1, v[0:1]
	v_add_co_u32 v0, vcc_lo, s8, v0
	s_delay_alu instid0(VALU_DEP_2)
	v_add_co_ci_u32_e32 v1, vcc_lo, s9, v1, vcc_lo
	global_store_b16 v[0:1], v5, off
.LBB157_41:
	s_nop 0
	s_sendmsg sendmsg(MSG_DEALLOC_VGPRS)
	s_endpgm
.LBB157_42:
	s_or_b32 exec_lo, exec_lo, s1
	s_delay_alu instid0(SALU_CYCLE_1)
	s_mov_b32 s1, exec_lo
	v_cmpx_gt_i32_e64 s16, v6
	s_cbranch_execz .LBB157_17
.LBB157_43:
	v_dual_mov_b32 v13, 0 :: v_dual_add_nc_u32 v12, s12, v6
	s_delay_alu instid0(VALU_DEP_1) | instskip(NEXT) | instid1(VALU_DEP_1)
	v_lshlrev_b64 v[12:13], 1, v[12:13]
	v_add_co_u32 v12, s0, s10, v12
	s_delay_alu instid0(VALU_DEP_1)
	v_add_co_ci_u32_e64 v13, s0, s11, v13, s0
	global_load_u16 v2, v[12:13], off
	s_or_b32 exec_lo, exec_lo, s1
                                        ; implicit-def: $vgpr6
	s_and_saveexec_b32 s1, vcc_lo
	s_cbranch_execz .LBB157_19
	s_branch .LBB157_18
.LBB157_44:
	s_or_b32 exec_lo, exec_lo, s1
	s_and_saveexec_b32 s0, vcc_lo
	s_delay_alu instid0(SALU_CYCLE_1)
	s_xor_b32 s0, exec_lo, s0
	s_cbranch_execz .LBB157_33
.LBB157_45:
	v_mov_b32_e32 v2, 0
	s_delay_alu instid0(VALU_DEP_1) | instskip(NEXT) | instid1(VALU_DEP_1)
	v_lshlrev_b64 v[0:1], 1, v[1:2]
	v_add_co_u32 v12, vcc_lo, s8, v0
	s_delay_alu instid0(VALU_DEP_2) | instskip(SKIP_3) | instid1(SALU_CYCLE_1)
	v_add_co_ci_u32_e32 v13, vcc_lo, s9, v1, vcc_lo
	v_mov_b32_e32 v0, v3
	global_store_b16 v[12:13], v6, off
	s_or_b32 exec_lo, exec_lo, s0
	s_mov_b32 s0, exec_lo
	v_cmpx_gt_i32_e64 s16, v0
	s_cbranch_execnz .LBB157_34
.LBB157_46:
	s_or_b32 exec_lo, exec_lo, s0
	s_delay_alu instid0(SALU_CYCLE_1)
	s_mov_b32 s0, exec_lo
	v_cmpx_gt_i32_e64 s16, v0
	s_cbranch_execz .LBB157_35
.LBB157_47:
	v_dual_mov_b32 v2, 0 :: v_dual_add_nc_u32 v1, s12, v0
	v_add_nc_u32_e32 v0, 0x100, v0
	s_delay_alu instid0(VALU_DEP_2) | instskip(NEXT) | instid1(VALU_DEP_1)
	v_lshlrev_b64 v[1:2], 1, v[1:2]
	v_add_co_u32 v1, vcc_lo, s8, v1
	s_delay_alu instid0(VALU_DEP_2) | instskip(SKIP_2) | instid1(SALU_CYCLE_1)
	v_add_co_ci_u32_e32 v2, vcc_lo, s9, v2, vcc_lo
	global_store_b16 v[1:2], v10, off
	s_or_b32 exec_lo, exec_lo, s0
	s_mov_b32 s0, exec_lo
	v_cmpx_gt_i32_e64 s16, v0
	s_cbranch_execnz .LBB157_36
.LBB157_48:
	s_or_b32 exec_lo, exec_lo, s0
	s_delay_alu instid0(SALU_CYCLE_1)
	s_mov_b32 s0, exec_lo
	v_cmpx_gt_i32_e64 s16, v0
	s_cbranch_execz .LBB157_37
.LBB157_49:
	v_dual_mov_b32 v2, 0 :: v_dual_add_nc_u32 v1, s12, v0
	v_add_nc_u32_e32 v0, 0x100, v0
	s_delay_alu instid0(VALU_DEP_2) | instskip(NEXT) | instid1(VALU_DEP_1)
	v_lshlrev_b64 v[1:2], 1, v[1:2]
	v_add_co_u32 v1, vcc_lo, s8, v1
	s_delay_alu instid0(VALU_DEP_2) | instskip(SKIP_2) | instid1(SALU_CYCLE_1)
	v_add_co_ci_u32_e32 v2, vcc_lo, s9, v2, vcc_lo
	global_store_b16 v[1:2], v8, off
	s_or_b32 exec_lo, exec_lo, s0
	s_mov_b32 s0, exec_lo
	v_cmpx_gt_i32_e64 s16, v0
	s_cbranch_execnz .LBB157_38
.LBB157_50:
	s_or_b32 exec_lo, exec_lo, s0
	s_delay_alu instid0(SALU_CYCLE_1)
	s_mov_b32 s0, exec_lo
	v_cmpx_gt_i32_e64 s16, v0
	s_cbranch_execz .LBB157_39
.LBB157_51:
	v_dual_mov_b32 v2, 0 :: v_dual_add_nc_u32 v1, s12, v0
	v_add_nc_u32_e32 v0, 0x100, v0
	s_delay_alu instid0(VALU_DEP_2) | instskip(NEXT) | instid1(VALU_DEP_1)
	v_lshlrev_b64 v[1:2], 1, v[1:2]
	v_add_co_u32 v1, vcc_lo, s8, v1
	s_delay_alu instid0(VALU_DEP_2) | instskip(SKIP_2) | instid1(SALU_CYCLE_1)
	v_add_co_ci_u32_e32 v2, vcc_lo, s9, v2, vcc_lo
	global_store_b16 v[1:2], v4, off
	s_or_b32 exec_lo, exec_lo, s0
	s_mov_b32 s0, exec_lo
	v_cmpx_gt_i32_e64 s16, v0
	s_cbranch_execnz .LBB157_40
	s_branch .LBB157_41
	.section	.rodata,"a",@progbits
	.p2align	6, 0x0
	.amdhsa_kernel _ZN2at6native29vectorized_elementwise_kernelILi2EZZZNS0_17expm1_kernel_cudaERNS_18TensorIteratorBaseEENKUlvE_clEvENKUlvE4_clEvEUlN3c104HalfEE_St5arrayIPcLm2EEEEviT0_T1_
		.amdhsa_group_segment_fixed_size 0
		.amdhsa_private_segment_fixed_size 0
		.amdhsa_kernarg_size 24
		.amdhsa_user_sgpr_count 15
		.amdhsa_user_sgpr_dispatch_ptr 0
		.amdhsa_user_sgpr_queue_ptr 0
		.amdhsa_user_sgpr_kernarg_segment_ptr 1
		.amdhsa_user_sgpr_dispatch_id 0
		.amdhsa_user_sgpr_private_segment_size 0
		.amdhsa_wavefront_size32 1
		.amdhsa_uses_dynamic_stack 0
		.amdhsa_enable_private_segment 0
		.amdhsa_system_sgpr_workgroup_id_x 1
		.amdhsa_system_sgpr_workgroup_id_y 0
		.amdhsa_system_sgpr_workgroup_id_z 0
		.amdhsa_system_sgpr_workgroup_info 0
		.amdhsa_system_vgpr_workitem_id 0
		.amdhsa_next_free_vgpr 50
		.amdhsa_next_free_sgpr 17
		.amdhsa_reserve_vcc 1
		.amdhsa_float_round_mode_32 0
		.amdhsa_float_round_mode_16_64 0
		.amdhsa_float_denorm_mode_32 3
		.amdhsa_float_denorm_mode_16_64 3
		.amdhsa_dx10_clamp 1
		.amdhsa_ieee_mode 1
		.amdhsa_fp16_overflow 0
		.amdhsa_workgroup_processor_mode 1
		.amdhsa_memory_ordered 1
		.amdhsa_forward_progress 0
		.amdhsa_shared_vgpr_count 0
		.amdhsa_exception_fp_ieee_invalid_op 0
		.amdhsa_exception_fp_denorm_src 0
		.amdhsa_exception_fp_ieee_div_zero 0
		.amdhsa_exception_fp_ieee_overflow 0
		.amdhsa_exception_fp_ieee_underflow 0
		.amdhsa_exception_fp_ieee_inexact 0
		.amdhsa_exception_int_div_zero 0
	.end_amdhsa_kernel
	.section	.text._ZN2at6native29vectorized_elementwise_kernelILi2EZZZNS0_17expm1_kernel_cudaERNS_18TensorIteratorBaseEENKUlvE_clEvENKUlvE4_clEvEUlN3c104HalfEE_St5arrayIPcLm2EEEEviT0_T1_,"axG",@progbits,_ZN2at6native29vectorized_elementwise_kernelILi2EZZZNS0_17expm1_kernel_cudaERNS_18TensorIteratorBaseEENKUlvE_clEvENKUlvE4_clEvEUlN3c104HalfEE_St5arrayIPcLm2EEEEviT0_T1_,comdat
.Lfunc_end157:
	.size	_ZN2at6native29vectorized_elementwise_kernelILi2EZZZNS0_17expm1_kernel_cudaERNS_18TensorIteratorBaseEENKUlvE_clEvENKUlvE4_clEvEUlN3c104HalfEE_St5arrayIPcLm2EEEEviT0_T1_, .Lfunc_end157-_ZN2at6native29vectorized_elementwise_kernelILi2EZZZNS0_17expm1_kernel_cudaERNS_18TensorIteratorBaseEENKUlvE_clEvENKUlvE4_clEvEUlN3c104HalfEE_St5arrayIPcLm2EEEEviT0_T1_
                                        ; -- End function
	.section	.AMDGPU.csdata,"",@progbits
; Kernel info:
; codeLenInByte = 5392
; NumSgprs: 19
; NumVgprs: 50
; ScratchSize: 0
; MemoryBound: 0
; FloatMode: 240
; IeeeMode: 1
; LDSByteSize: 0 bytes/workgroup (compile time only)
; SGPRBlocks: 2
; VGPRBlocks: 6
; NumSGPRsForWavesPerEU: 19
; NumVGPRsForWavesPerEU: 50
; Occupancy: 16
; WaveLimiterHint : 1
; COMPUTE_PGM_RSRC2:SCRATCH_EN: 0
; COMPUTE_PGM_RSRC2:USER_SGPR: 15
; COMPUTE_PGM_RSRC2:TRAP_HANDLER: 0
; COMPUTE_PGM_RSRC2:TGID_X_EN: 1
; COMPUTE_PGM_RSRC2:TGID_Y_EN: 0
; COMPUTE_PGM_RSRC2:TGID_Z_EN: 0
; COMPUTE_PGM_RSRC2:TIDIG_COMP_CNT: 0
	.section	.text._ZN2at6native27unrolled_elementwise_kernelIZZZNS0_17expm1_kernel_cudaERNS_18TensorIteratorBaseEENKUlvE_clEvENKUlvE4_clEvEUlN3c104HalfEE_St5arrayIPcLm2EELi4E23TrivialOffsetCalculatorILi1EjESD_NS0_6memory15LoadWithoutCastENSE_16StoreWithoutCastEEEviT_T0_T2_T3_T4_T5_,"axG",@progbits,_ZN2at6native27unrolled_elementwise_kernelIZZZNS0_17expm1_kernel_cudaERNS_18TensorIteratorBaseEENKUlvE_clEvENKUlvE4_clEvEUlN3c104HalfEE_St5arrayIPcLm2EELi4E23TrivialOffsetCalculatorILi1EjESD_NS0_6memory15LoadWithoutCastENSE_16StoreWithoutCastEEEviT_T0_T2_T3_T4_T5_,comdat
	.globl	_ZN2at6native27unrolled_elementwise_kernelIZZZNS0_17expm1_kernel_cudaERNS_18TensorIteratorBaseEENKUlvE_clEvENKUlvE4_clEvEUlN3c104HalfEE_St5arrayIPcLm2EELi4E23TrivialOffsetCalculatorILi1EjESD_NS0_6memory15LoadWithoutCastENSE_16StoreWithoutCastEEEviT_T0_T2_T3_T4_T5_ ; -- Begin function _ZN2at6native27unrolled_elementwise_kernelIZZZNS0_17expm1_kernel_cudaERNS_18TensorIteratorBaseEENKUlvE_clEvENKUlvE4_clEvEUlN3c104HalfEE_St5arrayIPcLm2EELi4E23TrivialOffsetCalculatorILi1EjESD_NS0_6memory15LoadWithoutCastENSE_16StoreWithoutCastEEEviT_T0_T2_T3_T4_T5_
	.p2align	8
	.type	_ZN2at6native27unrolled_elementwise_kernelIZZZNS0_17expm1_kernel_cudaERNS_18TensorIteratorBaseEENKUlvE_clEvENKUlvE4_clEvEUlN3c104HalfEE_St5arrayIPcLm2EELi4E23TrivialOffsetCalculatorILi1EjESD_NS0_6memory15LoadWithoutCastENSE_16StoreWithoutCastEEEviT_T0_T2_T3_T4_T5_,@function
_ZN2at6native27unrolled_elementwise_kernelIZZZNS0_17expm1_kernel_cudaERNS_18TensorIteratorBaseEENKUlvE_clEvENKUlvE4_clEvEUlN3c104HalfEE_St5arrayIPcLm2EELi4E23TrivialOffsetCalculatorILi1EjESD_NS0_6memory15LoadWithoutCastENSE_16StoreWithoutCastEEEviT_T0_T2_T3_T4_T5_: ; @_ZN2at6native27unrolled_elementwise_kernelIZZZNS0_17expm1_kernel_cudaERNS_18TensorIteratorBaseEENKUlvE_clEvENKUlvE4_clEvEUlN3c104HalfEE_St5arrayIPcLm2EELi4E23TrivialOffsetCalculatorILi1EjESD_NS0_6memory15LoadWithoutCastENSE_16StoreWithoutCastEEEviT_T0_T2_T3_T4_T5_
; %bb.0:
	s_clause 0x1
	s_load_b32 s2, s[0:1], 0x0
	s_load_b128 s[4:7], s[0:1], 0x8
	s_lshl_b32 s1, s15, 10
	v_dual_mov_b32 v4, 0 :: v_dual_mov_b32 v7, 0
	v_or_b32_e32 v1, s1, v0
	v_or_b32_e32 v3, 0x100, v0
	v_mov_b32_e32 v6, v0
	s_waitcnt lgkmcnt(0)
	s_sub_i32 s2, s2, s1
	s_delay_alu instid0(SALU_CYCLE_1)
	v_cmp_gt_i32_e32 vcc_lo, s2, v0
	s_and_saveexec_b32 s3, vcc_lo
	s_cbranch_execz .LBB158_2
; %bb.1:
	v_mov_b32_e32 v2, 0
	s_delay_alu instid0(VALU_DEP_1) | instskip(NEXT) | instid1(VALU_DEP_1)
	v_lshlrev_b64 v[5:6], 1, v[1:2]
	v_add_co_u32 v5, s0, s6, v5
	s_delay_alu instid0(VALU_DEP_1)
	v_add_co_ci_u32_e64 v6, s0, s7, v6, s0
	global_load_u16 v7, v[5:6], off
	v_or_b32_e32 v6, 0x100, v0
.LBB158_2:
	s_or_b32 exec_lo, exec_lo, s3
	s_delay_alu instid0(SALU_CYCLE_1) | instskip(NEXT) | instid1(VALU_DEP_1)
	s_mov_b32 s3, exec_lo
	v_cmpx_gt_i32_e64 s2, v6
	s_cbranch_execz .LBB158_4
; %bb.3:
	v_dual_mov_b32 v5, 0 :: v_dual_add_nc_u32 v4, s1, v6
	v_add_nc_u32_e32 v6, 0x100, v6
	s_delay_alu instid0(VALU_DEP_2) | instskip(NEXT) | instid1(VALU_DEP_1)
	v_lshlrev_b64 v[4:5], 1, v[4:5]
	v_add_co_u32 v4, s0, s6, v4
	s_delay_alu instid0(VALU_DEP_1)
	v_add_co_ci_u32_e64 v5, s0, s7, v5, s0
	global_load_u16 v4, v[4:5], off
.LBB158_4:
	s_or_b32 exec_lo, exec_lo, s3
	v_dual_mov_b32 v2, 0 :: v_dual_mov_b32 v5, 0
	s_mov_b32 s3, exec_lo
	v_cmpx_gt_i32_e64 s2, v6
	s_cbranch_execz .LBB158_18
; %bb.5:
	v_dual_mov_b32 v9, 0 :: v_dual_add_nc_u32 v8, s1, v6
	v_add_nc_u32_e32 v6, 0x100, v6
	s_delay_alu instid0(VALU_DEP_2) | instskip(NEXT) | instid1(VALU_DEP_1)
	v_lshlrev_b64 v[8:9], 1, v[8:9]
	v_add_co_u32 v8, s0, s6, v8
	s_delay_alu instid0(VALU_DEP_1) | instskip(SKIP_2) | instid1(SALU_CYCLE_1)
	v_add_co_ci_u32_e64 v9, s0, s7, v9, s0
	global_load_u16 v5, v[8:9], off
	s_or_b32 exec_lo, exec_lo, s3
	s_mov_b32 s3, exec_lo
	v_cmpx_gt_i32_e64 s2, v6
	s_cbranch_execnz .LBB158_19
.LBB158_6:
	s_or_b32 exec_lo, exec_lo, s3
                                        ; implicit-def: $vgpr6
	s_and_saveexec_b32 s3, vcc_lo
	s_cbranch_execz .LBB158_8
.LBB158_7:
	s_waitcnt vmcnt(0)
	v_cvt_f32_f16_e32 v6, v7
	s_mov_b32 s0, 0xbf317218
	s_delay_alu instid0(VALU_DEP_1) | instskip(NEXT) | instid1(VALU_DEP_1)
	v_mul_f32_e32 v8, 0x3fb8aa3b, v6
	v_rndne_f32_e32 v8, v8
	s_delay_alu instid0(VALU_DEP_1) | instskip(SKIP_2) | instid1(VALU_DEP_2)
	v_fma_mix_f32 v9, v8, s0, v7 op_sel_hi:[0,0,1]
	s_mov_b32 s0, 0x395133b1
	v_cvt_i32_f32_e32 v11, v8
	v_fmamk_f32 v9, v8, 0x3102e308, v9
	s_delay_alu instid0(VALU_DEP_1) | instskip(SKIP_1) | instid1(VALU_DEP_2)
	v_fmaak_f32 v10, s0, v9, 0x3ab69700
	v_cmp_eq_f32_e64 s0, 0x43000000, v8
	v_fmaak_f32 v10, v9, v10, 0x3c0887f9
	s_delay_alu instid0(VALU_DEP_2) | instskip(NEXT) | instid1(VALU_DEP_2)
	v_cndmask_b32_e64 v8, v11, 0x7f, s0
	v_fmaak_f32 v10, v9, v10, 0x3d2aaa81
	s_delay_alu instid0(VALU_DEP_2) | instskip(NEXT) | instid1(VALU_DEP_2)
	v_ldexp_f32 v8, 1.0, v8
	v_fmaak_f32 v10, v9, v10, 0x3e2aaaab
	s_delay_alu instid0(VALU_DEP_1) | instskip(NEXT) | instid1(VALU_DEP_1)
	v_fma_f32 v10, v9, v10, 0.5
	v_mul_f32_e32 v10, v9, v10
	s_delay_alu instid0(VALU_DEP_1) | instskip(NEXT) | instid1(VALU_DEP_1)
	v_dual_fmac_f32 v9, v9, v10 :: v_dual_add_f32 v10, -1.0, v8
	v_fmac_f32_e32 v10, v8, v9
	s_delay_alu instid0(VALU_DEP_1) | instskip(NEXT) | instid1(VALU_DEP_1)
	v_add_f32_e32 v8, v10, v10
	v_cndmask_b32_e64 v8, v10, v8, s0
	v_cmp_nlt_f32_e64 s0, 0x42b17217, v6
	s_delay_alu instid0(VALU_DEP_1) | instskip(SKIP_1) | instid1(VALU_DEP_2)
	v_cndmask_b32_e64 v6, 0x7f800000, v8, s0
	v_cmp_ngt_f16_e64 s0, 0xcc40, v7
	v_cvt_f16_f32_e32 v6, v6
	s_delay_alu instid0(VALU_DEP_1)
	v_cndmask_b32_e64 v6, 0xbc00, v6, s0
.LBB158_8:
	s_or_b32 exec_lo, exec_lo, s3
	s_delay_alu instid0(SALU_CYCLE_1)
	s_mov_b32 s3, exec_lo
                                        ; implicit-def: $vgpr7
	v_cmpx_gt_i32_e64 s2, v3
	s_cbranch_execz .LBB158_10
; %bb.9:
	s_waitcnt vmcnt(0)
	v_cvt_f32_f16_e32 v7, v4
	s_mov_b32 s0, 0xbf317218
	s_delay_alu instid0(VALU_DEP_1) | instskip(NEXT) | instid1(VALU_DEP_1)
	v_mul_f32_e32 v8, 0x3fb8aa3b, v7
	v_rndne_f32_e32 v8, v8
	s_delay_alu instid0(VALU_DEP_1) | instskip(SKIP_2) | instid1(VALU_DEP_2)
	v_fma_mix_f32 v9, v8, s0, v4 op_sel_hi:[0,0,1]
	s_mov_b32 s0, 0x395133b1
	v_cvt_i32_f32_e32 v11, v8
	v_fmamk_f32 v9, v8, 0x3102e308, v9
	s_delay_alu instid0(VALU_DEP_1) | instskip(SKIP_1) | instid1(VALU_DEP_2)
	v_fmaak_f32 v10, s0, v9, 0x3ab69700
	v_cmp_eq_f32_e64 s0, 0x43000000, v8
	v_fmaak_f32 v10, v9, v10, 0x3c0887f9
	s_delay_alu instid0(VALU_DEP_2) | instskip(NEXT) | instid1(VALU_DEP_2)
	v_cndmask_b32_e64 v8, v11, 0x7f, s0
	v_fmaak_f32 v10, v9, v10, 0x3d2aaa81
	s_delay_alu instid0(VALU_DEP_2) | instskip(NEXT) | instid1(VALU_DEP_2)
	v_ldexp_f32 v8, 1.0, v8
	v_fmaak_f32 v10, v9, v10, 0x3e2aaaab
	s_delay_alu instid0(VALU_DEP_1) | instskip(NEXT) | instid1(VALU_DEP_1)
	v_fma_f32 v10, v9, v10, 0.5
	v_mul_f32_e32 v10, v9, v10
	s_delay_alu instid0(VALU_DEP_1) | instskip(NEXT) | instid1(VALU_DEP_1)
	v_dual_fmac_f32 v9, v9, v10 :: v_dual_add_f32 v10, -1.0, v8
	v_fmac_f32_e32 v10, v8, v9
	s_delay_alu instid0(VALU_DEP_1) | instskip(NEXT) | instid1(VALU_DEP_1)
	v_add_f32_e32 v8, v10, v10
	v_cndmask_b32_e64 v8, v10, v8, s0
	v_cmp_nlt_f32_e64 s0, 0x42b17217, v7
	s_delay_alu instid0(VALU_DEP_1) | instskip(SKIP_1) | instid1(VALU_DEP_2)
	v_cndmask_b32_e64 v7, 0x7f800000, v8, s0
	v_cmp_ngt_f16_e64 s0, 0xcc40, v4
	v_cvt_f16_f32_e32 v7, v7
	s_delay_alu instid0(VALU_DEP_1)
	v_cndmask_b32_e64 v7, 0xbc00, v7, s0
.LBB158_10:
	s_or_b32 exec_lo, exec_lo, s3
	s_waitcnt vmcnt(0)
	v_or_b32_e32 v4, 0x200, v0
	s_delay_alu instid0(VALU_DEP_1) | instskip(NEXT) | instid1(VALU_DEP_1)
	v_cmp_gt_i32_e64 s0, s2, v4
                                        ; implicit-def: $vgpr4
	s_and_saveexec_b32 s3, s0
	s_cbranch_execz .LBB158_12
; %bb.11:
	v_cvt_f32_f16_e32 v4, v5
	s_mov_b32 s0, 0xbf317218
	s_delay_alu instid0(VALU_DEP_1) | instskip(NEXT) | instid1(VALU_DEP_1)
	v_mul_f32_e32 v8, 0x3fb8aa3b, v4
	v_rndne_f32_e32 v8, v8
	s_delay_alu instid0(VALU_DEP_1) | instskip(SKIP_2) | instid1(VALU_DEP_2)
	v_fma_mix_f32 v9, v8, s0, v5 op_sel_hi:[0,0,1]
	s_mov_b32 s0, 0x395133b1
	v_cvt_i32_f32_e32 v11, v8
	v_fmamk_f32 v9, v8, 0x3102e308, v9
	s_delay_alu instid0(VALU_DEP_1) | instskip(SKIP_1) | instid1(VALU_DEP_2)
	v_fmaak_f32 v10, s0, v9, 0x3ab69700
	v_cmp_eq_f32_e64 s0, 0x43000000, v8
	v_fmaak_f32 v10, v9, v10, 0x3c0887f9
	s_delay_alu instid0(VALU_DEP_2) | instskip(NEXT) | instid1(VALU_DEP_2)
	v_cndmask_b32_e64 v8, v11, 0x7f, s0
	v_fmaak_f32 v10, v9, v10, 0x3d2aaa81
	s_delay_alu instid0(VALU_DEP_2) | instskip(NEXT) | instid1(VALU_DEP_2)
	v_ldexp_f32 v8, 1.0, v8
	v_fmaak_f32 v10, v9, v10, 0x3e2aaaab
	s_delay_alu instid0(VALU_DEP_1) | instskip(NEXT) | instid1(VALU_DEP_1)
	v_fma_f32 v10, v9, v10, 0.5
	v_mul_f32_e32 v10, v9, v10
	s_delay_alu instid0(VALU_DEP_1) | instskip(NEXT) | instid1(VALU_DEP_1)
	v_dual_fmac_f32 v9, v9, v10 :: v_dual_add_f32 v10, -1.0, v8
	v_fmac_f32_e32 v10, v8, v9
	s_delay_alu instid0(VALU_DEP_1) | instskip(NEXT) | instid1(VALU_DEP_1)
	v_add_f32_e32 v8, v10, v10
	v_cndmask_b32_e64 v8, v10, v8, s0
	v_cmp_nlt_f32_e64 s0, 0x42b17217, v4
	s_delay_alu instid0(VALU_DEP_1) | instskip(SKIP_1) | instid1(VALU_DEP_2)
	v_cndmask_b32_e64 v4, 0x7f800000, v8, s0
	v_cmp_ngt_f16_e64 s0, 0xcc40, v5
	v_cvt_f16_f32_e32 v4, v4
	s_delay_alu instid0(VALU_DEP_1)
	v_cndmask_b32_e64 v4, 0xbc00, v4, s0
.LBB158_12:
	s_or_b32 exec_lo, exec_lo, s3
	v_or_b32_e32 v5, 0x300, v0
	s_delay_alu instid0(VALU_DEP_1) | instskip(NEXT) | instid1(VALU_DEP_1)
	v_cmp_gt_i32_e64 s0, s2, v5
                                        ; implicit-def: $vgpr5
	s_and_saveexec_b32 s3, s0
	s_cbranch_execz .LBB158_20
; %bb.13:
	v_cvt_f32_f16_e32 v5, v2
	s_mov_b32 s0, 0xbf317218
	s_delay_alu instid0(VALU_DEP_1) | instskip(NEXT) | instid1(VALU_DEP_1)
	v_mul_f32_e32 v8, 0x3fb8aa3b, v5
	v_rndne_f32_e32 v8, v8
	s_delay_alu instid0(VALU_DEP_1) | instskip(SKIP_2) | instid1(VALU_DEP_2)
	v_fma_mix_f32 v9, v8, s0, v2 op_sel_hi:[0,0,1]
	s_mov_b32 s0, 0x395133b1
	v_cvt_i32_f32_e32 v11, v8
	v_fmamk_f32 v9, v8, 0x3102e308, v9
	s_delay_alu instid0(VALU_DEP_1) | instskip(SKIP_1) | instid1(VALU_DEP_2)
	v_fmaak_f32 v10, s0, v9, 0x3ab69700
	v_cmp_eq_f32_e64 s0, 0x43000000, v8
	v_fmaak_f32 v10, v9, v10, 0x3c0887f9
	s_delay_alu instid0(VALU_DEP_2) | instskip(NEXT) | instid1(VALU_DEP_2)
	v_cndmask_b32_e64 v8, v11, 0x7f, s0
	v_fmaak_f32 v10, v9, v10, 0x3d2aaa81
	s_delay_alu instid0(VALU_DEP_2) | instskip(NEXT) | instid1(VALU_DEP_2)
	v_ldexp_f32 v8, 1.0, v8
	v_fmaak_f32 v10, v9, v10, 0x3e2aaaab
	s_delay_alu instid0(VALU_DEP_1) | instskip(NEXT) | instid1(VALU_DEP_1)
	v_fma_f32 v10, v9, v10, 0.5
	v_mul_f32_e32 v10, v9, v10
	s_delay_alu instid0(VALU_DEP_1) | instskip(NEXT) | instid1(VALU_DEP_1)
	v_dual_fmac_f32 v9, v9, v10 :: v_dual_add_f32 v10, -1.0, v8
	v_fmac_f32_e32 v10, v8, v9
	s_delay_alu instid0(VALU_DEP_1) | instskip(NEXT) | instid1(VALU_DEP_1)
	v_add_f32_e32 v8, v10, v10
	v_cndmask_b32_e64 v8, v10, v8, s0
	v_cmp_nlt_f32_e64 s0, 0x42b17217, v5
	s_delay_alu instid0(VALU_DEP_1) | instskip(SKIP_1) | instid1(VALU_DEP_2)
	v_cndmask_b32_e64 v5, 0x7f800000, v8, s0
	v_cmp_ngt_f16_e64 s0, 0xcc40, v2
	v_cvt_f16_f32_e32 v5, v5
	s_delay_alu instid0(VALU_DEP_1) | instskip(SKIP_2) | instid1(SALU_CYCLE_1)
	v_cndmask_b32_e64 v5, 0xbc00, v5, s0
	s_or_b32 exec_lo, exec_lo, s3
	s_and_saveexec_b32 s0, vcc_lo
	s_xor_b32 s0, exec_lo, s0
	s_cbranch_execnz .LBB158_21
.LBB158_14:
	s_or_b32 exec_lo, exec_lo, s0
	s_delay_alu instid0(SALU_CYCLE_1)
	s_mov_b32 s0, exec_lo
	v_cmpx_gt_i32_e64 s2, v0
	s_cbranch_execz .LBB158_22
.LBB158_15:
	v_dual_mov_b32 v2, 0 :: v_dual_add_nc_u32 v1, s1, v0
	v_add_nc_u32_e32 v0, 0x100, v0
	s_delay_alu instid0(VALU_DEP_2) | instskip(NEXT) | instid1(VALU_DEP_1)
	v_lshlrev_b64 v[1:2], 1, v[1:2]
	v_add_co_u32 v1, vcc_lo, s4, v1
	s_delay_alu instid0(VALU_DEP_2) | instskip(SKIP_2) | instid1(SALU_CYCLE_1)
	v_add_co_ci_u32_e32 v2, vcc_lo, s5, v2, vcc_lo
	global_store_b16 v[1:2], v7, off
	s_or_b32 exec_lo, exec_lo, s0
	s_mov_b32 s0, exec_lo
	v_cmpx_gt_i32_e64 s2, v0
	s_cbranch_execnz .LBB158_23
.LBB158_16:
	s_or_b32 exec_lo, exec_lo, s0
	s_delay_alu instid0(SALU_CYCLE_1)
	s_mov_b32 s0, exec_lo
	v_cmpx_gt_i32_e64 s2, v0
	s_cbranch_execz .LBB158_24
.LBB158_17:
	v_dual_mov_b32 v1, 0 :: v_dual_add_nc_u32 v0, s1, v0
	s_delay_alu instid0(VALU_DEP_1) | instskip(NEXT) | instid1(VALU_DEP_1)
	v_lshlrev_b64 v[0:1], 1, v[0:1]
	v_add_co_u32 v0, vcc_lo, s4, v0
	s_delay_alu instid0(VALU_DEP_2)
	v_add_co_ci_u32_e32 v1, vcc_lo, s5, v1, vcc_lo
	global_store_b16 v[0:1], v5, off
	s_nop 0
	s_sendmsg sendmsg(MSG_DEALLOC_VGPRS)
	s_endpgm
.LBB158_18:
	s_or_b32 exec_lo, exec_lo, s3
	s_delay_alu instid0(SALU_CYCLE_1)
	s_mov_b32 s3, exec_lo
	v_cmpx_gt_i32_e64 s2, v6
	s_cbranch_execz .LBB158_6
.LBB158_19:
	v_dual_mov_b32 v9, 0 :: v_dual_add_nc_u32 v8, s1, v6
	s_delay_alu instid0(VALU_DEP_1) | instskip(NEXT) | instid1(VALU_DEP_1)
	v_lshlrev_b64 v[8:9], 1, v[8:9]
	v_add_co_u32 v8, s0, s6, v8
	s_delay_alu instid0(VALU_DEP_1)
	v_add_co_ci_u32_e64 v9, s0, s7, v9, s0
	global_load_u16 v2, v[8:9], off
	s_or_b32 exec_lo, exec_lo, s3
                                        ; implicit-def: $vgpr6
	s_and_saveexec_b32 s3, vcc_lo
	s_cbranch_execz .LBB158_8
	s_branch .LBB158_7
.LBB158_20:
	s_or_b32 exec_lo, exec_lo, s3
	s_and_saveexec_b32 s0, vcc_lo
	s_delay_alu instid0(SALU_CYCLE_1)
	s_xor_b32 s0, exec_lo, s0
	s_cbranch_execz .LBB158_14
.LBB158_21:
	v_mov_b32_e32 v2, 0
	s_delay_alu instid0(VALU_DEP_1) | instskip(NEXT) | instid1(VALU_DEP_1)
	v_lshlrev_b64 v[0:1], 1, v[1:2]
	v_add_co_u32 v8, vcc_lo, s4, v0
	s_delay_alu instid0(VALU_DEP_2) | instskip(SKIP_3) | instid1(SALU_CYCLE_1)
	v_add_co_ci_u32_e32 v9, vcc_lo, s5, v1, vcc_lo
	v_mov_b32_e32 v0, v3
	global_store_b16 v[8:9], v6, off
	s_or_b32 exec_lo, exec_lo, s0
	s_mov_b32 s0, exec_lo
	v_cmpx_gt_i32_e64 s2, v0
	s_cbranch_execnz .LBB158_15
.LBB158_22:
	s_or_b32 exec_lo, exec_lo, s0
	s_delay_alu instid0(SALU_CYCLE_1)
	s_mov_b32 s0, exec_lo
	v_cmpx_gt_i32_e64 s2, v0
	s_cbranch_execz .LBB158_16
.LBB158_23:
	v_dual_mov_b32 v2, 0 :: v_dual_add_nc_u32 v1, s1, v0
	v_add_nc_u32_e32 v0, 0x100, v0
	s_delay_alu instid0(VALU_DEP_2) | instskip(NEXT) | instid1(VALU_DEP_1)
	v_lshlrev_b64 v[1:2], 1, v[1:2]
	v_add_co_u32 v1, vcc_lo, s4, v1
	s_delay_alu instid0(VALU_DEP_2) | instskip(SKIP_2) | instid1(SALU_CYCLE_1)
	v_add_co_ci_u32_e32 v2, vcc_lo, s5, v2, vcc_lo
	global_store_b16 v[1:2], v4, off
	s_or_b32 exec_lo, exec_lo, s0
	s_mov_b32 s0, exec_lo
	v_cmpx_gt_i32_e64 s2, v0
	s_cbranch_execnz .LBB158_17
.LBB158_24:
	s_nop 0
	s_sendmsg sendmsg(MSG_DEALLOC_VGPRS)
	s_endpgm
	.section	.rodata,"a",@progbits
	.p2align	6, 0x0
	.amdhsa_kernel _ZN2at6native27unrolled_elementwise_kernelIZZZNS0_17expm1_kernel_cudaERNS_18TensorIteratorBaseEENKUlvE_clEvENKUlvE4_clEvEUlN3c104HalfEE_St5arrayIPcLm2EELi4E23TrivialOffsetCalculatorILi1EjESD_NS0_6memory15LoadWithoutCastENSE_16StoreWithoutCastEEEviT_T0_T2_T3_T4_T5_
		.amdhsa_group_segment_fixed_size 0
		.amdhsa_private_segment_fixed_size 0
		.amdhsa_kernarg_size 28
		.amdhsa_user_sgpr_count 15
		.amdhsa_user_sgpr_dispatch_ptr 0
		.amdhsa_user_sgpr_queue_ptr 0
		.amdhsa_user_sgpr_kernarg_segment_ptr 1
		.amdhsa_user_sgpr_dispatch_id 0
		.amdhsa_user_sgpr_private_segment_size 0
		.amdhsa_wavefront_size32 1
		.amdhsa_uses_dynamic_stack 0
		.amdhsa_enable_private_segment 0
		.amdhsa_system_sgpr_workgroup_id_x 1
		.amdhsa_system_sgpr_workgroup_id_y 0
		.amdhsa_system_sgpr_workgroup_id_z 0
		.amdhsa_system_sgpr_workgroup_info 0
		.amdhsa_system_vgpr_workitem_id 0
		.amdhsa_next_free_vgpr 12
		.amdhsa_next_free_sgpr 16
		.amdhsa_reserve_vcc 1
		.amdhsa_float_round_mode_32 0
		.amdhsa_float_round_mode_16_64 0
		.amdhsa_float_denorm_mode_32 3
		.amdhsa_float_denorm_mode_16_64 3
		.amdhsa_dx10_clamp 1
		.amdhsa_ieee_mode 1
		.amdhsa_fp16_overflow 0
		.amdhsa_workgroup_processor_mode 1
		.amdhsa_memory_ordered 1
		.amdhsa_forward_progress 0
		.amdhsa_shared_vgpr_count 0
		.amdhsa_exception_fp_ieee_invalid_op 0
		.amdhsa_exception_fp_denorm_src 0
		.amdhsa_exception_fp_ieee_div_zero 0
		.amdhsa_exception_fp_ieee_overflow 0
		.amdhsa_exception_fp_ieee_underflow 0
		.amdhsa_exception_fp_ieee_inexact 0
		.amdhsa_exception_int_div_zero 0
	.end_amdhsa_kernel
	.section	.text._ZN2at6native27unrolled_elementwise_kernelIZZZNS0_17expm1_kernel_cudaERNS_18TensorIteratorBaseEENKUlvE_clEvENKUlvE4_clEvEUlN3c104HalfEE_St5arrayIPcLm2EELi4E23TrivialOffsetCalculatorILi1EjESD_NS0_6memory15LoadWithoutCastENSE_16StoreWithoutCastEEEviT_T0_T2_T3_T4_T5_,"axG",@progbits,_ZN2at6native27unrolled_elementwise_kernelIZZZNS0_17expm1_kernel_cudaERNS_18TensorIteratorBaseEENKUlvE_clEvENKUlvE4_clEvEUlN3c104HalfEE_St5arrayIPcLm2EELi4E23TrivialOffsetCalculatorILi1EjESD_NS0_6memory15LoadWithoutCastENSE_16StoreWithoutCastEEEviT_T0_T2_T3_T4_T5_,comdat
.Lfunc_end158:
	.size	_ZN2at6native27unrolled_elementwise_kernelIZZZNS0_17expm1_kernel_cudaERNS_18TensorIteratorBaseEENKUlvE_clEvENKUlvE4_clEvEUlN3c104HalfEE_St5arrayIPcLm2EELi4E23TrivialOffsetCalculatorILi1EjESD_NS0_6memory15LoadWithoutCastENSE_16StoreWithoutCastEEEviT_T0_T2_T3_T4_T5_, .Lfunc_end158-_ZN2at6native27unrolled_elementwise_kernelIZZZNS0_17expm1_kernel_cudaERNS_18TensorIteratorBaseEENKUlvE_clEvENKUlvE4_clEvEUlN3c104HalfEE_St5arrayIPcLm2EELi4E23TrivialOffsetCalculatorILi1EjESD_NS0_6memory15LoadWithoutCastENSE_16StoreWithoutCastEEEviT_T0_T2_T3_T4_T5_
                                        ; -- End function
	.section	.AMDGPU.csdata,"",@progbits
; Kernel info:
; codeLenInByte = 1868
; NumSgprs: 18
; NumVgprs: 12
; ScratchSize: 0
; MemoryBound: 0
; FloatMode: 240
; IeeeMode: 1
; LDSByteSize: 0 bytes/workgroup (compile time only)
; SGPRBlocks: 2
; VGPRBlocks: 1
; NumSGPRsForWavesPerEU: 18
; NumVGPRsForWavesPerEU: 12
; Occupancy: 16
; WaveLimiterHint : 0
; COMPUTE_PGM_RSRC2:SCRATCH_EN: 0
; COMPUTE_PGM_RSRC2:USER_SGPR: 15
; COMPUTE_PGM_RSRC2:TRAP_HANDLER: 0
; COMPUTE_PGM_RSRC2:TGID_X_EN: 1
; COMPUTE_PGM_RSRC2:TGID_Y_EN: 0
; COMPUTE_PGM_RSRC2:TGID_Z_EN: 0
; COMPUTE_PGM_RSRC2:TIDIG_COMP_CNT: 0
	.section	.text._ZN2at6native32elementwise_kernel_manual_unrollILi128ELi8EZNS0_22gpu_kernel_impl_nocastIZZZNS0_17expm1_kernel_cudaERNS_18TensorIteratorBaseEENKUlvE_clEvENKUlvE4_clEvEUlN3c104HalfEE_EEvS4_RKT_EUlibE_EEviT1_,"axG",@progbits,_ZN2at6native32elementwise_kernel_manual_unrollILi128ELi8EZNS0_22gpu_kernel_impl_nocastIZZZNS0_17expm1_kernel_cudaERNS_18TensorIteratorBaseEENKUlvE_clEvENKUlvE4_clEvEUlN3c104HalfEE_EEvS4_RKT_EUlibE_EEviT1_,comdat
	.globl	_ZN2at6native32elementwise_kernel_manual_unrollILi128ELi8EZNS0_22gpu_kernel_impl_nocastIZZZNS0_17expm1_kernel_cudaERNS_18TensorIteratorBaseEENKUlvE_clEvENKUlvE4_clEvEUlN3c104HalfEE_EEvS4_RKT_EUlibE_EEviT1_ ; -- Begin function _ZN2at6native32elementwise_kernel_manual_unrollILi128ELi8EZNS0_22gpu_kernel_impl_nocastIZZZNS0_17expm1_kernel_cudaERNS_18TensorIteratorBaseEENKUlvE_clEvENKUlvE4_clEvEUlN3c104HalfEE_EEvS4_RKT_EUlibE_EEviT1_
	.p2align	8
	.type	_ZN2at6native32elementwise_kernel_manual_unrollILi128ELi8EZNS0_22gpu_kernel_impl_nocastIZZZNS0_17expm1_kernel_cudaERNS_18TensorIteratorBaseEENKUlvE_clEvENKUlvE4_clEvEUlN3c104HalfEE_EEvS4_RKT_EUlibE_EEviT1_,@function
_ZN2at6native32elementwise_kernel_manual_unrollILi128ELi8EZNS0_22gpu_kernel_impl_nocastIZZZNS0_17expm1_kernel_cudaERNS_18TensorIteratorBaseEENKUlvE_clEvENKUlvE4_clEvEUlN3c104HalfEE_EEvS4_RKT_EUlibE_EEviT1_: ; @_ZN2at6native32elementwise_kernel_manual_unrollILi128ELi8EZNS0_22gpu_kernel_impl_nocastIZZZNS0_17expm1_kernel_cudaERNS_18TensorIteratorBaseEENKUlvE_clEvENKUlvE4_clEvEUlN3c104HalfEE_EEvS4_RKT_EUlibE_EEviT1_
; %bb.0:
	s_clause 0x1
	s_load_b32 s22, s[0:1], 0x8
	s_load_b32 s27, s[0:1], 0x0
	v_lshl_or_b32 v12, s15, 10, v0
	s_or_b32 s0, s0, 8
	s_mov_b32 s2, exec_lo
	s_delay_alu instid0(VALU_DEP_1) | instskip(SKIP_2) | instid1(SALU_CYCLE_1)
	v_or_b32_e32 v16, 0x380, v12
	s_waitcnt lgkmcnt(0)
	s_add_i32 s23, s22, -1
	s_cmp_gt_u32 s23, 1
	s_cselect_b32 s24, -1, 0
	v_cmpx_le_i32_e64 s27, v16
	s_xor_b32 s25, exec_lo, s2
	s_cbranch_execz .LBB159_7
; %bb.1:
	s_clause 0x3
	s_load_b128 s[12:15], s[0:1], 0x4
	s_load_b64 s[2:3], s[0:1], 0x14
	s_load_b128 s[8:11], s[0:1], 0xc4
	s_load_b128 s[4:7], s[0:1], 0x148
	s_cmp_lg_u32 s22, 0
	s_mov_b32 s30, exec_lo
	s_cselect_b32 s29, -1, 0
	s_add_u32 s16, s0, 0xc4
	s_addc_u32 s17, s1, 0
	s_min_u32 s28, s23, 15
	s_cmp_gt_u32 s22, 1
	s_cselect_b32 s26, -1, 0
	v_cmpx_gt_i32_e64 s27, v12
	s_cbranch_execz .LBB159_14
; %bb.2:
	s_and_not1_b32 vcc_lo, exec_lo, s24
	s_cbranch_vccnz .LBB159_21
; %bb.3:
	v_dual_mov_b32 v0, 0 :: v_dual_mov_b32 v1, 0
	s_and_not1_b32 vcc_lo, exec_lo, s29
	s_mov_b32 s31, 0
	s_cbranch_vccnz .LBB159_125
; %bb.4:
	v_mov_b32_e32 v0, 0
	s_add_i32 s34, s28, 1
	s_cmp_eq_u32 s23, 2
	s_mov_b32 s33, 0
	s_cbranch_scc1 .LBB159_121
; %bb.5:
	v_dual_mov_b32 v1, 0 :: v_dual_mov_b32 v0, 0
	v_mov_b32_e32 v2, v12
	s_and_b32 s33, s34, 28
	s_mov_b32 s35, 0
	s_mov_b64 s[18:19], s[16:17]
	s_mov_b64 s[20:21], s[0:1]
.LBB159_6:                              ; =>This Inner Loop Header: Depth=1
	s_clause 0x1
	s_load_b256 s[36:43], s[20:21], 0x4
	s_load_b128 s[52:55], s[20:21], 0x24
	s_load_b256 s[44:51], s[18:19], 0x0
	s_add_u32 s20, s20, 48
	s_addc_u32 s21, s21, 0
	s_add_i32 s35, s35, 4
	s_add_u32 s18, s18, 32
	s_addc_u32 s19, s19, 0
	s_cmp_lg_u32 s33, s35
	s_waitcnt lgkmcnt(0)
	v_mul_hi_u32 v3, s37, v2
	s_delay_alu instid0(VALU_DEP_1) | instskip(NEXT) | instid1(VALU_DEP_1)
	v_add_nc_u32_e32 v3, v2, v3
	v_lshrrev_b32_e32 v3, s38, v3
	s_delay_alu instid0(VALU_DEP_1) | instskip(SKIP_1) | instid1(VALU_DEP_2)
	v_mul_hi_u32 v4, s40, v3
	v_mul_lo_u32 v6, v3, s36
	v_add_nc_u32_e32 v4, v3, v4
	s_delay_alu instid0(VALU_DEP_2) | instskip(NEXT) | instid1(VALU_DEP_2)
	v_sub_nc_u32_e32 v2, v2, v6
	v_lshrrev_b32_e32 v4, s41, v4
	s_delay_alu instid0(VALU_DEP_2) | instskip(SKIP_1) | instid1(VALU_DEP_3)
	v_mul_lo_u32 v6, v2, s44
	v_mul_lo_u32 v8, v2, s45
	v_mul_hi_u32 v5, s43, v4
	s_delay_alu instid0(VALU_DEP_1) | instskip(NEXT) | instid1(VALU_DEP_1)
	v_add_nc_u32_e32 v5, v4, v5
	v_lshrrev_b32_e32 v5, s52, v5
	s_delay_alu instid0(VALU_DEP_1) | instskip(SKIP_1) | instid1(VALU_DEP_2)
	v_mul_hi_u32 v7, s54, v5
	v_mul_lo_u32 v9, v5, s42
	v_add_nc_u32_e32 v2, v5, v7
	v_mul_lo_u32 v7, v4, s39
	s_delay_alu instid0(VALU_DEP_3) | instskip(NEXT) | instid1(VALU_DEP_3)
	v_sub_nc_u32_e32 v4, v4, v9
	v_lshrrev_b32_e32 v2, s55, v2
	s_delay_alu instid0(VALU_DEP_2) | instskip(SKIP_2) | instid1(VALU_DEP_4)
	v_mul_lo_u32 v9, v4, s48
	v_mul_lo_u32 v4, v4, s49
	v_sub_nc_u32_e32 v3, v3, v7
	v_mul_lo_u32 v10, v2, s53
	s_delay_alu instid0(VALU_DEP_2) | instskip(SKIP_1) | instid1(VALU_DEP_3)
	v_mul_lo_u32 v7, v3, s46
	v_mul_lo_u32 v3, v3, s47
	v_sub_nc_u32_e32 v5, v5, v10
	s_delay_alu instid0(VALU_DEP_3) | instskip(NEXT) | instid1(VALU_DEP_2)
	v_add3_u32 v0, v6, v0, v7
	v_mul_lo_u32 v10, v5, s50
	v_mul_lo_u32 v5, v5, s51
	v_add3_u32 v1, v8, v1, v3
	s_delay_alu instid0(VALU_DEP_3) | instskip(NEXT) | instid1(VALU_DEP_2)
	v_add3_u32 v0, v9, v0, v10
	v_add3_u32 v1, v4, v1, v5
	s_cbranch_scc1 .LBB159_6
	s_branch .LBB159_122
.LBB159_7:
	s_and_not1_saveexec_b32 s2, s25
	s_cbranch_execz .LBB159_206
.LBB159_8:
	v_cndmask_b32_e64 v14, 0, 1, s24
	s_and_not1_b32 vcc_lo, exec_lo, s24
	s_cbranch_vccnz .LBB159_20
; %bb.9:
	v_mov_b32_e32 v0, 0
	v_mov_b32_e32 v2, 0
	s_cmp_lg_u32 s22, 0
	s_mov_b32 s6, 0
	s_cbranch_scc0 .LBB159_26
; %bb.10:
	s_min_u32 s7, s23, 15
	v_mov_b32_e32 v0, 0
	s_add_i32 s7, s7, 1
	s_cmp_eq_u32 s23, 2
	s_mov_b32 s8, 0
	s_cbranch_scc1 .LBB159_23
; %bb.11:
	v_dual_mov_b32 v2, 0 :: v_dual_mov_b32 v1, v12
	v_mov_b32_e32 v0, 0
	s_add_u32 s2, s0, 0xc4
	s_addc_u32 s3, s1, 0
	s_and_b32 s8, s7, 28
	s_mov_b32 s9, 0
	s_mov_b64 s[4:5], s[0:1]
.LBB159_12:                             ; =>This Inner Loop Header: Depth=1
	s_clause 0x1
	s_load_b256 s[12:19], s[4:5], 0x4
	s_load_b128 s[36:39], s[4:5], 0x24
	s_load_b256 s[24:31], s[2:3], 0x0
	s_add_u32 s4, s4, 48
	s_addc_u32 s5, s5, 0
	s_add_i32 s9, s9, 4
	s_add_u32 s2, s2, 32
	s_addc_u32 s3, s3, 0
	s_cmp_lg_u32 s8, s9
	s_waitcnt lgkmcnt(0)
	v_mul_hi_u32 v3, s13, v1
	s_delay_alu instid0(VALU_DEP_1) | instskip(NEXT) | instid1(VALU_DEP_1)
	v_add_nc_u32_e32 v3, v1, v3
	v_lshrrev_b32_e32 v3, s14, v3
	s_delay_alu instid0(VALU_DEP_1) | instskip(SKIP_1) | instid1(VALU_DEP_2)
	v_mul_hi_u32 v4, s16, v3
	v_mul_lo_u32 v6, v3, s12
	v_add_nc_u32_e32 v4, v3, v4
	s_delay_alu instid0(VALU_DEP_2) | instskip(NEXT) | instid1(VALU_DEP_2)
	v_sub_nc_u32_e32 v1, v1, v6
	v_lshrrev_b32_e32 v4, s17, v4
	s_delay_alu instid0(VALU_DEP_2) | instskip(SKIP_1) | instid1(VALU_DEP_3)
	v_mul_lo_u32 v6, v1, s24
	v_mul_lo_u32 v8, v1, s25
	v_mul_hi_u32 v5, s19, v4
	s_delay_alu instid0(VALU_DEP_1) | instskip(NEXT) | instid1(VALU_DEP_1)
	v_add_nc_u32_e32 v5, v4, v5
	v_lshrrev_b32_e32 v5, s36, v5
	s_delay_alu instid0(VALU_DEP_1) | instskip(SKIP_1) | instid1(VALU_DEP_2)
	v_mul_hi_u32 v7, s38, v5
	v_mul_lo_u32 v9, v5, s18
	v_add_nc_u32_e32 v1, v5, v7
	v_mul_lo_u32 v7, v4, s15
	s_delay_alu instid0(VALU_DEP_3) | instskip(NEXT) | instid1(VALU_DEP_3)
	v_sub_nc_u32_e32 v4, v4, v9
	v_lshrrev_b32_e32 v1, s39, v1
	s_delay_alu instid0(VALU_DEP_2) | instskip(SKIP_2) | instid1(VALU_DEP_4)
	v_mul_lo_u32 v9, v4, s28
	v_mul_lo_u32 v4, v4, s29
	v_sub_nc_u32_e32 v3, v3, v7
	v_mul_lo_u32 v10, v1, s37
	s_delay_alu instid0(VALU_DEP_2) | instskip(SKIP_1) | instid1(VALU_DEP_3)
	v_mul_lo_u32 v7, v3, s26
	v_mul_lo_u32 v3, v3, s27
	v_sub_nc_u32_e32 v5, v5, v10
	s_delay_alu instid0(VALU_DEP_3) | instskip(NEXT) | instid1(VALU_DEP_2)
	v_add3_u32 v0, v6, v0, v7
	v_mul_lo_u32 v10, v5, s30
	v_mul_lo_u32 v5, v5, s31
	v_add3_u32 v2, v8, v2, v3
	s_delay_alu instid0(VALU_DEP_3) | instskip(NEXT) | instid1(VALU_DEP_2)
	v_add3_u32 v0, v9, v0, v10
	v_add3_u32 v2, v4, v2, v5
	s_cbranch_scc1 .LBB159_12
; %bb.13:
	s_and_b32 s7, s7, 3
	s_delay_alu instid0(SALU_CYCLE_1)
	s_cmp_eq_u32 s7, 0
	s_cbranch_scc0 .LBB159_24
	s_branch .LBB159_26
.LBB159_14:
	s_or_b32 exec_lo, exec_lo, s30
	s_delay_alu instid0(SALU_CYCLE_1)
	s_mov_b32 s30, exec_lo
	v_cmpx_gt_i32_e64 s27, v12
	s_cbranch_execz .LBB159_129
.LBB159_15:
	s_and_not1_b32 vcc_lo, exec_lo, s24
	s_cbranch_vccnz .LBB159_22
; %bb.16:
	v_dual_mov_b32 v0, 0 :: v_dual_mov_b32 v1, 0
	s_and_not1_b32 vcc_lo, exec_lo, s29
	s_mov_b32 s31, 0
	s_cbranch_vccnz .LBB159_140
; %bb.17:
	v_mov_b32_e32 v0, 0
	s_add_i32 s34, s28, 1
	s_cmp_eq_u32 s23, 2
	s_mov_b32 s33, 0
	s_cbranch_scc1 .LBB159_136
; %bb.18:
	v_dual_mov_b32 v1, 0 :: v_dual_mov_b32 v0, 0
	v_mov_b32_e32 v2, v12
	s_and_b32 s33, s34, 28
	s_mov_b32 s35, 0
	s_mov_b64 s[18:19], s[16:17]
	s_mov_b64 s[20:21], s[0:1]
.LBB159_19:                             ; =>This Inner Loop Header: Depth=1
	s_clause 0x1
	s_load_b256 s[36:43], s[20:21], 0x4
	s_load_b128 s[52:55], s[20:21], 0x24
	s_load_b256 s[44:51], s[18:19], 0x0
	s_add_u32 s20, s20, 48
	s_addc_u32 s21, s21, 0
	s_add_i32 s35, s35, 4
	s_add_u32 s18, s18, 32
	s_addc_u32 s19, s19, 0
	s_cmp_eq_u32 s33, s35
	s_waitcnt lgkmcnt(0)
	v_mul_hi_u32 v3, s37, v2
	s_delay_alu instid0(VALU_DEP_1) | instskip(NEXT) | instid1(VALU_DEP_1)
	v_add_nc_u32_e32 v3, v2, v3
	v_lshrrev_b32_e32 v3, s38, v3
	s_delay_alu instid0(VALU_DEP_1) | instskip(SKIP_1) | instid1(VALU_DEP_2)
	v_mul_hi_u32 v4, s40, v3
	v_mul_lo_u32 v6, v3, s36
	v_add_nc_u32_e32 v4, v3, v4
	s_delay_alu instid0(VALU_DEP_2) | instskip(NEXT) | instid1(VALU_DEP_2)
	v_sub_nc_u32_e32 v2, v2, v6
	v_lshrrev_b32_e32 v4, s41, v4
	s_delay_alu instid0(VALU_DEP_2) | instskip(SKIP_1) | instid1(VALU_DEP_3)
	v_mul_lo_u32 v6, v2, s44
	v_mul_lo_u32 v8, v2, s45
	v_mul_hi_u32 v5, s43, v4
	s_delay_alu instid0(VALU_DEP_1) | instskip(NEXT) | instid1(VALU_DEP_1)
	v_add_nc_u32_e32 v5, v4, v5
	v_lshrrev_b32_e32 v5, s52, v5
	s_delay_alu instid0(VALU_DEP_1) | instskip(SKIP_1) | instid1(VALU_DEP_2)
	v_mul_hi_u32 v7, s54, v5
	v_mul_lo_u32 v9, v5, s42
	v_add_nc_u32_e32 v2, v5, v7
	v_mul_lo_u32 v7, v4, s39
	s_delay_alu instid0(VALU_DEP_3) | instskip(NEXT) | instid1(VALU_DEP_3)
	v_sub_nc_u32_e32 v4, v4, v9
	v_lshrrev_b32_e32 v2, s55, v2
	s_delay_alu instid0(VALU_DEP_2) | instskip(SKIP_2) | instid1(VALU_DEP_4)
	v_mul_lo_u32 v9, v4, s48
	v_mul_lo_u32 v4, v4, s49
	v_sub_nc_u32_e32 v3, v3, v7
	v_mul_lo_u32 v10, v2, s53
	s_delay_alu instid0(VALU_DEP_2) | instskip(SKIP_1) | instid1(VALU_DEP_3)
	v_mul_lo_u32 v7, v3, s46
	v_mul_lo_u32 v3, v3, s47
	v_sub_nc_u32_e32 v5, v5, v10
	s_delay_alu instid0(VALU_DEP_3) | instskip(NEXT) | instid1(VALU_DEP_2)
	v_add3_u32 v0, v6, v0, v7
	v_mul_lo_u32 v10, v5, s50
	v_mul_lo_u32 v5, v5, s51
	v_add3_u32 v1, v8, v1, v3
	s_delay_alu instid0(VALU_DEP_3) | instskip(NEXT) | instid1(VALU_DEP_2)
	v_add3_u32 v0, v9, v0, v10
	v_add3_u32 v1, v4, v1, v5
	s_cbranch_scc0 .LBB159_19
	s_branch .LBB159_137
.LBB159_20:
	s_mov_b32 s6, -1
                                        ; implicit-def: $vgpr0
                                        ; implicit-def: $vgpr2
	s_branch .LBB159_26
.LBB159_21:
	s_mov_b32 s31, -1
                                        ; implicit-def: $vgpr0
                                        ; implicit-def: $vgpr1
	s_branch .LBB159_125
.LBB159_22:
	s_mov_b32 s31, -1
                                        ; implicit-def: $vgpr0
                                        ; implicit-def: $vgpr1
	s_branch .LBB159_140
.LBB159_23:
	v_dual_mov_b32 v1, v12 :: v_dual_mov_b32 v2, 0
	s_and_b32 s7, s7, 3
	s_delay_alu instid0(SALU_CYCLE_1)
	s_cmp_eq_u32 s7, 0
	s_cbranch_scc1 .LBB159_26
.LBB159_24:
	s_lshl_b32 s2, s8, 3
	s_mul_i32 s4, s8, 12
	s_add_u32 s2, s2, s0
	s_addc_u32 s3, 0, s1
	s_add_u32 s2, s2, 0xc4
	s_addc_u32 s3, s3, 0
	;; [unrolled: 2-line block ×3, first 2 shown]
	.p2align	6
.LBB159_25:                             ; =>This Inner Loop Header: Depth=1
	s_clause 0x1
	s_load_b64 s[8:9], s[4:5], 0x4
	s_load_b32 s12, s[4:5], 0xc
	s_load_b64 s[10:11], s[2:3], 0x0
	s_add_u32 s4, s4, 12
	s_addc_u32 s5, s5, 0
	s_add_u32 s2, s2, 8
	s_addc_u32 s3, s3, 0
	s_add_i32 s7, s7, -1
	s_delay_alu instid0(SALU_CYCLE_1) | instskip(SKIP_2) | instid1(VALU_DEP_1)
	s_cmp_lg_u32 s7, 0
	s_waitcnt lgkmcnt(0)
	v_mul_hi_u32 v3, s9, v1
	v_add_nc_u32_e32 v3, v1, v3
	s_delay_alu instid0(VALU_DEP_1) | instskip(NEXT) | instid1(VALU_DEP_1)
	v_lshrrev_b32_e32 v6, s12, v3
	v_mul_lo_u32 v3, v6, s8
	s_delay_alu instid0(VALU_DEP_1) | instskip(NEXT) | instid1(VALU_DEP_1)
	v_sub_nc_u32_e32 v1, v1, v3
	v_mad_u64_u32 v[3:4], null, v1, s10, v[0:1]
	s_delay_alu instid0(VALU_DEP_1) | instskip(SKIP_1) | instid1(VALU_DEP_2)
	v_mad_u64_u32 v[4:5], null, v1, s11, v[2:3]
	v_dual_mov_b32 v1, v6 :: v_dual_mov_b32 v0, v3
	v_mov_b32_e32 v2, v4
	s_cbranch_scc1 .LBB159_25
.LBB159_26:
	s_and_not1_b32 vcc_lo, exec_lo, s6
	s_cbranch_vccnz .LBB159_29
; %bb.27:
	s_clause 0x1
	s_load_b128 s[4:7], s[0:1], 0x4
	s_load_b64 s[2:3], s[0:1], 0xc4
	s_cmp_lt_u32 s22, 2
	s_waitcnt lgkmcnt(0)
	v_mul_hi_u32 v0, s5, v12
	s_delay_alu instid0(VALU_DEP_1) | instskip(NEXT) | instid1(VALU_DEP_1)
	v_add_nc_u32_e32 v0, v12, v0
	v_lshrrev_b32_e32 v1, s6, v0
	s_delay_alu instid0(VALU_DEP_1) | instskip(NEXT) | instid1(VALU_DEP_1)
	v_mul_lo_u32 v0, v1, s4
	v_sub_nc_u32_e32 v2, v12, v0
	s_delay_alu instid0(VALU_DEP_1)
	v_mul_lo_u32 v0, v2, s2
	v_mul_lo_u32 v2, v2, s3
	s_cbranch_scc1 .LBB159_29
; %bb.28:
	s_clause 0x1
	s_load_b128 s[4:7], s[0:1], 0x10
	s_load_b64 s[2:3], s[0:1], 0xcc
	s_waitcnt lgkmcnt(0)
	v_mul_hi_u32 v3, s5, v1
	s_delay_alu instid0(VALU_DEP_1) | instskip(NEXT) | instid1(VALU_DEP_1)
	v_add_nc_u32_e32 v3, v1, v3
	v_lshrrev_b32_e32 v3, s6, v3
	s_delay_alu instid0(VALU_DEP_1) | instskip(NEXT) | instid1(VALU_DEP_1)
	v_mul_lo_u32 v3, v3, s4
	v_sub_nc_u32_e32 v1, v1, v3
	s_delay_alu instid0(VALU_DEP_1) | instskip(NEXT) | instid1(VALU_DEP_1)
	v_mad_u64_u32 v[3:4], null, v1, s2, v[0:1]
	v_mad_u64_u32 v[4:5], null, v1, s3, v[2:3]
	v_mov_b32_e32 v0, v3
	s_delay_alu instid0(VALU_DEP_2)
	v_mov_b32_e32 v2, v4
.LBB159_29:
	v_cmp_ne_u32_e32 vcc_lo, 1, v14
	v_add_nc_u32_e32 v3, 0x80, v12
	s_cbranch_vccnz .LBB159_35
; %bb.30:
	v_dual_mov_b32 v1, 0 :: v_dual_mov_b32 v4, 0
	s_cmp_lg_u32 s22, 0
	s_mov_b32 s6, 0
	s_cbranch_scc0 .LBB159_39
; %bb.31:
	s_min_u32 s7, s23, 15
	v_mov_b32_e32 v1, 0
	s_add_i32 s7, s7, 1
	s_cmp_eq_u32 s23, 2
	s_mov_b32 s8, 0
	s_cbranch_scc1 .LBB159_36
; %bb.32:
	v_dual_mov_b32 v4, 0 :: v_dual_mov_b32 v1, 0
	v_mov_b32_e32 v5, v3
	s_add_u32 s2, s0, 0xc4
	s_addc_u32 s3, s1, 0
	s_and_b32 s8, s7, 28
	s_mov_b32 s9, 0
	s_mov_b64 s[4:5], s[0:1]
.LBB159_33:                             ; =>This Inner Loop Header: Depth=1
	s_clause 0x1
	s_load_b256 s[12:19], s[4:5], 0x4
	s_load_b128 s[36:39], s[4:5], 0x24
	s_load_b256 s[24:31], s[2:3], 0x0
	s_add_u32 s4, s4, 48
	s_addc_u32 s5, s5, 0
	s_add_i32 s9, s9, 4
	s_add_u32 s2, s2, 32
	s_addc_u32 s3, s3, 0
	s_cmp_lg_u32 s8, s9
	s_waitcnt lgkmcnt(0)
	v_mul_hi_u32 v6, s13, v5
	s_delay_alu instid0(VALU_DEP_1) | instskip(NEXT) | instid1(VALU_DEP_1)
	v_add_nc_u32_e32 v6, v5, v6
	v_lshrrev_b32_e32 v6, s14, v6
	s_delay_alu instid0(VALU_DEP_1) | instskip(SKIP_1) | instid1(VALU_DEP_2)
	v_mul_hi_u32 v7, s16, v6
	v_mul_lo_u32 v9, v6, s12
	v_add_nc_u32_e32 v7, v6, v7
	s_delay_alu instid0(VALU_DEP_2) | instskip(NEXT) | instid1(VALU_DEP_2)
	v_sub_nc_u32_e32 v5, v5, v9
	v_lshrrev_b32_e32 v7, s17, v7
	s_delay_alu instid0(VALU_DEP_2) | instskip(SKIP_1) | instid1(VALU_DEP_3)
	v_mul_lo_u32 v9, v5, s24
	v_mul_lo_u32 v11, v5, s25
	v_mul_hi_u32 v8, s19, v7
	s_delay_alu instid0(VALU_DEP_1) | instskip(NEXT) | instid1(VALU_DEP_1)
	v_add_nc_u32_e32 v8, v7, v8
	v_lshrrev_b32_e32 v8, s36, v8
	s_delay_alu instid0(VALU_DEP_1) | instskip(SKIP_1) | instid1(VALU_DEP_2)
	v_mul_hi_u32 v10, s38, v8
	v_mul_lo_u32 v13, v8, s18
	v_add_nc_u32_e32 v5, v8, v10
	v_mul_lo_u32 v10, v7, s15
	s_delay_alu instid0(VALU_DEP_3) | instskip(NEXT) | instid1(VALU_DEP_3)
	v_sub_nc_u32_e32 v7, v7, v13
	v_lshrrev_b32_e32 v5, s39, v5
	s_delay_alu instid0(VALU_DEP_2) | instskip(SKIP_2) | instid1(VALU_DEP_4)
	v_mul_lo_u32 v13, v7, s28
	v_mul_lo_u32 v7, v7, s29
	v_sub_nc_u32_e32 v6, v6, v10
	v_mul_lo_u32 v15, v5, s37
	s_delay_alu instid0(VALU_DEP_2) | instskip(SKIP_1) | instid1(VALU_DEP_3)
	v_mul_lo_u32 v10, v6, s26
	v_mul_lo_u32 v6, v6, s27
	v_sub_nc_u32_e32 v8, v8, v15
	s_delay_alu instid0(VALU_DEP_3) | instskip(NEXT) | instid1(VALU_DEP_2)
	v_add3_u32 v1, v9, v1, v10
	v_mul_lo_u32 v15, v8, s30
	v_mul_lo_u32 v8, v8, s31
	v_add3_u32 v4, v11, v4, v6
	s_delay_alu instid0(VALU_DEP_3) | instskip(NEXT) | instid1(VALU_DEP_2)
	v_add3_u32 v1, v13, v1, v15
	v_add3_u32 v4, v7, v4, v8
	s_cbranch_scc1 .LBB159_33
; %bb.34:
	s_and_b32 s7, s7, 3
	s_delay_alu instid0(SALU_CYCLE_1)
	s_cmp_eq_u32 s7, 0
	s_cbranch_scc0 .LBB159_37
	s_branch .LBB159_39
.LBB159_35:
	s_mov_b32 s6, -1
                                        ; implicit-def: $vgpr1
                                        ; implicit-def: $vgpr4
	s_branch .LBB159_39
.LBB159_36:
	v_dual_mov_b32 v5, v3 :: v_dual_mov_b32 v4, 0
	s_and_b32 s7, s7, 3
	s_delay_alu instid0(SALU_CYCLE_1)
	s_cmp_eq_u32 s7, 0
	s_cbranch_scc1 .LBB159_39
.LBB159_37:
	s_lshl_b32 s2, s8, 3
	s_mul_i32 s4, s8, 12
	s_add_u32 s2, s2, s0
	s_addc_u32 s3, 0, s1
	s_add_u32 s2, s2, 0xc4
	s_addc_u32 s3, s3, 0
	;; [unrolled: 2-line block ×3, first 2 shown]
	.p2align	6
.LBB159_38:                             ; =>This Inner Loop Header: Depth=1
	s_clause 0x1
	s_load_b64 s[8:9], s[4:5], 0x4
	s_load_b32 s12, s[4:5], 0xc
	s_load_b64 s[10:11], s[2:3], 0x0
	s_add_u32 s4, s4, 12
	s_addc_u32 s5, s5, 0
	s_add_u32 s2, s2, 8
	s_addc_u32 s3, s3, 0
	s_add_i32 s7, s7, -1
	s_delay_alu instid0(SALU_CYCLE_1) | instskip(SKIP_2) | instid1(VALU_DEP_1)
	s_cmp_lg_u32 s7, 0
	s_waitcnt lgkmcnt(0)
	v_mul_hi_u32 v6, s9, v5
	v_add_nc_u32_e32 v6, v5, v6
	s_delay_alu instid0(VALU_DEP_1) | instskip(NEXT) | instid1(VALU_DEP_1)
	v_lshrrev_b32_e32 v9, s12, v6
	v_mul_lo_u32 v6, v9, s8
	s_delay_alu instid0(VALU_DEP_1) | instskip(NEXT) | instid1(VALU_DEP_1)
	v_sub_nc_u32_e32 v5, v5, v6
	v_mad_u64_u32 v[6:7], null, v5, s10, v[1:2]
	v_mad_u64_u32 v[7:8], null, v5, s11, v[4:5]
	v_mov_b32_e32 v5, v9
	s_delay_alu instid0(VALU_DEP_2)
	v_dual_mov_b32 v1, v6 :: v_dual_mov_b32 v4, v7
	s_cbranch_scc1 .LBB159_38
.LBB159_39:
	s_and_not1_b32 vcc_lo, exec_lo, s6
	s_cbranch_vccnz .LBB159_42
; %bb.40:
	s_clause 0x1
	s_load_b128 s[4:7], s[0:1], 0x4
	s_load_b64 s[2:3], s[0:1], 0xc4
	s_cmp_lt_u32 s22, 2
	s_waitcnt lgkmcnt(0)
	v_mul_hi_u32 v1, s5, v3
	s_delay_alu instid0(VALU_DEP_1) | instskip(NEXT) | instid1(VALU_DEP_1)
	v_add_nc_u32_e32 v1, v3, v1
	v_lshrrev_b32_e32 v5, s6, v1
	s_delay_alu instid0(VALU_DEP_1) | instskip(NEXT) | instid1(VALU_DEP_1)
	v_mul_lo_u32 v1, v5, s4
	v_sub_nc_u32_e32 v3, v3, v1
	s_delay_alu instid0(VALU_DEP_1)
	v_mul_lo_u32 v1, v3, s2
	v_mul_lo_u32 v4, v3, s3
	s_cbranch_scc1 .LBB159_42
; %bb.41:
	s_clause 0x1
	s_load_b128 s[4:7], s[0:1], 0x10
	s_load_b64 s[2:3], s[0:1], 0xcc
	s_waitcnt lgkmcnt(0)
	v_mul_hi_u32 v3, s5, v5
	s_delay_alu instid0(VALU_DEP_1) | instskip(NEXT) | instid1(VALU_DEP_1)
	v_add_nc_u32_e32 v3, v5, v3
	v_lshrrev_b32_e32 v3, s6, v3
	s_delay_alu instid0(VALU_DEP_1) | instskip(NEXT) | instid1(VALU_DEP_1)
	v_mul_lo_u32 v3, v3, s4
	v_sub_nc_u32_e32 v3, v5, v3
	s_delay_alu instid0(VALU_DEP_1) | instskip(NEXT) | instid1(VALU_DEP_1)
	v_mad_u64_u32 v[5:6], null, v3, s2, v[1:2]
	v_mad_u64_u32 v[6:7], null, v3, s3, v[4:5]
	s_delay_alu instid0(VALU_DEP_1)
	v_dual_mov_b32 v1, v5 :: v_dual_mov_b32 v4, v6
.LBB159_42:
	v_cmp_ne_u32_e32 vcc_lo, 1, v14
	v_add_nc_u32_e32 v5, 0x100, v12
	s_cbranch_vccnz .LBB159_48
; %bb.43:
	v_dual_mov_b32 v3, 0 :: v_dual_mov_b32 v6, 0
	s_cmp_lg_u32 s22, 0
	s_mov_b32 s6, 0
	s_cbranch_scc0 .LBB159_52
; %bb.44:
	s_min_u32 s7, s23, 15
	v_mov_b32_e32 v3, 0
	s_add_i32 s7, s7, 1
	s_cmp_eq_u32 s23, 2
	s_mov_b32 s8, 0
	s_cbranch_scc1 .LBB159_49
; %bb.45:
	v_dual_mov_b32 v6, 0 :: v_dual_mov_b32 v3, 0
	v_mov_b32_e32 v7, v5
	s_add_u32 s2, s0, 0xc4
	s_addc_u32 s3, s1, 0
	s_and_b32 s8, s7, 28
	s_mov_b32 s9, 0
	s_mov_b64 s[4:5], s[0:1]
.LBB159_46:                             ; =>This Inner Loop Header: Depth=1
	s_clause 0x1
	s_load_b256 s[12:19], s[4:5], 0x4
	s_load_b128 s[36:39], s[4:5], 0x24
	s_load_b256 s[24:31], s[2:3], 0x0
	s_add_u32 s4, s4, 48
	s_addc_u32 s5, s5, 0
	s_add_i32 s9, s9, 4
	s_add_u32 s2, s2, 32
	s_addc_u32 s3, s3, 0
	s_cmp_lg_u32 s8, s9
	s_waitcnt lgkmcnt(0)
	v_mul_hi_u32 v8, s13, v7
	s_delay_alu instid0(VALU_DEP_1) | instskip(NEXT) | instid1(VALU_DEP_1)
	v_add_nc_u32_e32 v8, v7, v8
	v_lshrrev_b32_e32 v8, s14, v8
	s_delay_alu instid0(VALU_DEP_1) | instskip(SKIP_1) | instid1(VALU_DEP_2)
	v_mul_hi_u32 v9, s16, v8
	v_mul_lo_u32 v11, v8, s12
	v_add_nc_u32_e32 v9, v8, v9
	s_delay_alu instid0(VALU_DEP_2) | instskip(NEXT) | instid1(VALU_DEP_2)
	v_sub_nc_u32_e32 v7, v7, v11
	v_lshrrev_b32_e32 v9, s17, v9
	s_delay_alu instid0(VALU_DEP_2) | instskip(SKIP_1) | instid1(VALU_DEP_3)
	v_mul_lo_u32 v11, v7, s24
	v_mul_lo_u32 v15, v7, s25
	v_mul_hi_u32 v10, s19, v9
	s_delay_alu instid0(VALU_DEP_1) | instskip(NEXT) | instid1(VALU_DEP_1)
	v_add_nc_u32_e32 v10, v9, v10
	v_lshrrev_b32_e32 v10, s36, v10
	s_delay_alu instid0(VALU_DEP_1) | instskip(SKIP_1) | instid1(VALU_DEP_2)
	v_mul_hi_u32 v13, s38, v10
	v_mul_lo_u32 v17, v10, s18
	v_add_nc_u32_e32 v7, v10, v13
	v_mul_lo_u32 v13, v9, s15
	s_delay_alu instid0(VALU_DEP_3) | instskip(NEXT) | instid1(VALU_DEP_3)
	v_sub_nc_u32_e32 v9, v9, v17
	v_lshrrev_b32_e32 v7, s39, v7
	s_delay_alu instid0(VALU_DEP_2) | instskip(SKIP_2) | instid1(VALU_DEP_4)
	v_mul_lo_u32 v17, v9, s28
	v_mul_lo_u32 v9, v9, s29
	v_sub_nc_u32_e32 v8, v8, v13
	v_mul_lo_u32 v18, v7, s37
	s_delay_alu instid0(VALU_DEP_2) | instskip(SKIP_1) | instid1(VALU_DEP_3)
	v_mul_lo_u32 v13, v8, s26
	v_mul_lo_u32 v8, v8, s27
	v_sub_nc_u32_e32 v10, v10, v18
	s_delay_alu instid0(VALU_DEP_3) | instskip(NEXT) | instid1(VALU_DEP_2)
	v_add3_u32 v3, v11, v3, v13
	v_mul_lo_u32 v18, v10, s30
	v_mul_lo_u32 v10, v10, s31
	v_add3_u32 v6, v15, v6, v8
	s_delay_alu instid0(VALU_DEP_3) | instskip(NEXT) | instid1(VALU_DEP_2)
	v_add3_u32 v3, v17, v3, v18
	v_add3_u32 v6, v9, v6, v10
	s_cbranch_scc1 .LBB159_46
; %bb.47:
	s_and_b32 s7, s7, 3
	s_delay_alu instid0(SALU_CYCLE_1)
	s_cmp_eq_u32 s7, 0
	s_cbranch_scc0 .LBB159_50
	s_branch .LBB159_52
.LBB159_48:
	s_mov_b32 s6, -1
                                        ; implicit-def: $vgpr3
                                        ; implicit-def: $vgpr6
	s_branch .LBB159_52
.LBB159_49:
	v_dual_mov_b32 v7, v5 :: v_dual_mov_b32 v6, 0
	s_and_b32 s7, s7, 3
	s_delay_alu instid0(SALU_CYCLE_1)
	s_cmp_eq_u32 s7, 0
	s_cbranch_scc1 .LBB159_52
.LBB159_50:
	s_lshl_b32 s2, s8, 3
	s_mul_i32 s4, s8, 12
	s_add_u32 s2, s2, s0
	s_addc_u32 s3, 0, s1
	s_add_u32 s2, s2, 0xc4
	s_addc_u32 s3, s3, 0
	;; [unrolled: 2-line block ×3, first 2 shown]
	.p2align	6
.LBB159_51:                             ; =>This Inner Loop Header: Depth=1
	s_clause 0x1
	s_load_b64 s[8:9], s[4:5], 0x4
	s_load_b32 s12, s[4:5], 0xc
	s_load_b64 s[10:11], s[2:3], 0x0
	s_add_u32 s4, s4, 12
	s_addc_u32 s5, s5, 0
	s_add_u32 s2, s2, 8
	s_addc_u32 s3, s3, 0
	s_add_i32 s7, s7, -1
	s_delay_alu instid0(SALU_CYCLE_1) | instskip(SKIP_2) | instid1(VALU_DEP_1)
	s_cmp_lg_u32 s7, 0
	s_waitcnt lgkmcnt(0)
	v_mul_hi_u32 v8, s9, v7
	v_add_nc_u32_e32 v8, v7, v8
	s_delay_alu instid0(VALU_DEP_1) | instskip(NEXT) | instid1(VALU_DEP_1)
	v_lshrrev_b32_e32 v11, s12, v8
	v_mul_lo_u32 v8, v11, s8
	s_delay_alu instid0(VALU_DEP_1) | instskip(NEXT) | instid1(VALU_DEP_1)
	v_sub_nc_u32_e32 v7, v7, v8
	v_mad_u64_u32 v[8:9], null, v7, s10, v[3:4]
	v_mad_u64_u32 v[9:10], null, v7, s11, v[6:7]
	v_mov_b32_e32 v7, v11
	s_delay_alu instid0(VALU_DEP_2)
	v_dual_mov_b32 v3, v8 :: v_dual_mov_b32 v6, v9
	s_cbranch_scc1 .LBB159_51
.LBB159_52:
	s_and_not1_b32 vcc_lo, exec_lo, s6
	s_cbranch_vccnz .LBB159_55
; %bb.53:
	s_clause 0x1
	s_load_b128 s[4:7], s[0:1], 0x4
	s_load_b64 s[2:3], s[0:1], 0xc4
	s_cmp_lt_u32 s22, 2
	s_waitcnt lgkmcnt(0)
	v_mul_hi_u32 v3, s5, v5
	s_delay_alu instid0(VALU_DEP_1) | instskip(NEXT) | instid1(VALU_DEP_1)
	v_add_nc_u32_e32 v3, v5, v3
	v_lshrrev_b32_e32 v7, s6, v3
	s_delay_alu instid0(VALU_DEP_1) | instskip(NEXT) | instid1(VALU_DEP_1)
	v_mul_lo_u32 v3, v7, s4
	v_sub_nc_u32_e32 v5, v5, v3
	s_delay_alu instid0(VALU_DEP_1)
	v_mul_lo_u32 v3, v5, s2
	v_mul_lo_u32 v6, v5, s3
	s_cbranch_scc1 .LBB159_55
; %bb.54:
	s_clause 0x1
	s_load_b128 s[4:7], s[0:1], 0x10
	s_load_b64 s[2:3], s[0:1], 0xcc
	s_waitcnt lgkmcnt(0)
	v_mul_hi_u32 v5, s5, v7
	s_delay_alu instid0(VALU_DEP_1) | instskip(NEXT) | instid1(VALU_DEP_1)
	v_add_nc_u32_e32 v5, v7, v5
	v_lshrrev_b32_e32 v5, s6, v5
	s_delay_alu instid0(VALU_DEP_1) | instskip(NEXT) | instid1(VALU_DEP_1)
	v_mul_lo_u32 v5, v5, s4
	v_sub_nc_u32_e32 v5, v7, v5
	s_delay_alu instid0(VALU_DEP_1) | instskip(NEXT) | instid1(VALU_DEP_1)
	v_mad_u64_u32 v[7:8], null, v5, s2, v[3:4]
	v_mad_u64_u32 v[8:9], null, v5, s3, v[6:7]
	s_delay_alu instid0(VALU_DEP_1)
	v_dual_mov_b32 v3, v7 :: v_dual_mov_b32 v6, v8
.LBB159_55:
	v_cmp_ne_u32_e32 vcc_lo, 1, v14
	v_add_nc_u32_e32 v7, 0x180, v12
	s_cbranch_vccnz .LBB159_61
; %bb.56:
	v_dual_mov_b32 v5, 0 :: v_dual_mov_b32 v8, 0
	s_cmp_lg_u32 s22, 0
	s_mov_b32 s6, 0
	s_cbranch_scc0 .LBB159_65
; %bb.57:
	s_min_u32 s7, s23, 15
	v_mov_b32_e32 v5, 0
	s_add_i32 s7, s7, 1
	s_cmp_eq_u32 s23, 2
	s_mov_b32 s8, 0
	s_cbranch_scc1 .LBB159_62
; %bb.58:
	v_dual_mov_b32 v8, 0 :: v_dual_mov_b32 v5, 0
	v_mov_b32_e32 v9, v7
	s_add_u32 s2, s0, 0xc4
	s_addc_u32 s3, s1, 0
	s_and_b32 s8, s7, 28
	s_mov_b32 s9, 0
	s_mov_b64 s[4:5], s[0:1]
.LBB159_59:                             ; =>This Inner Loop Header: Depth=1
	s_clause 0x1
	s_load_b256 s[12:19], s[4:5], 0x4
	s_load_b128 s[36:39], s[4:5], 0x24
	s_load_b256 s[24:31], s[2:3], 0x0
	s_add_u32 s4, s4, 48
	s_addc_u32 s5, s5, 0
	s_add_i32 s9, s9, 4
	s_add_u32 s2, s2, 32
	s_addc_u32 s3, s3, 0
	s_cmp_lg_u32 s8, s9
	s_waitcnt lgkmcnt(0)
	v_mul_hi_u32 v10, s13, v9
	s_delay_alu instid0(VALU_DEP_1) | instskip(NEXT) | instid1(VALU_DEP_1)
	v_add_nc_u32_e32 v10, v9, v10
	v_lshrrev_b32_e32 v10, s14, v10
	s_delay_alu instid0(VALU_DEP_1) | instskip(SKIP_1) | instid1(VALU_DEP_2)
	v_mul_hi_u32 v11, s16, v10
	v_mul_lo_u32 v15, v10, s12
	v_add_nc_u32_e32 v11, v10, v11
	s_delay_alu instid0(VALU_DEP_2) | instskip(NEXT) | instid1(VALU_DEP_2)
	v_sub_nc_u32_e32 v9, v9, v15
	v_lshrrev_b32_e32 v11, s17, v11
	s_delay_alu instid0(VALU_DEP_2) | instskip(SKIP_1) | instid1(VALU_DEP_3)
	v_mul_lo_u32 v15, v9, s24
	v_mul_lo_u32 v18, v9, s25
	v_mul_hi_u32 v13, s19, v11
	s_delay_alu instid0(VALU_DEP_1) | instskip(NEXT) | instid1(VALU_DEP_1)
	v_add_nc_u32_e32 v13, v11, v13
	v_lshrrev_b32_e32 v13, s36, v13
	s_delay_alu instid0(VALU_DEP_1) | instskip(SKIP_1) | instid1(VALU_DEP_2)
	v_mul_hi_u32 v17, s38, v13
	v_mul_lo_u32 v19, v13, s18
	v_add_nc_u32_e32 v9, v13, v17
	v_mul_lo_u32 v17, v11, s15
	s_delay_alu instid0(VALU_DEP_3) | instskip(NEXT) | instid1(VALU_DEP_3)
	v_sub_nc_u32_e32 v11, v11, v19
	v_lshrrev_b32_e32 v9, s39, v9
	s_delay_alu instid0(VALU_DEP_2) | instskip(SKIP_2) | instid1(VALU_DEP_4)
	v_mul_lo_u32 v19, v11, s28
	v_mul_lo_u32 v11, v11, s29
	v_sub_nc_u32_e32 v10, v10, v17
	v_mul_lo_u32 v20, v9, s37
	s_delay_alu instid0(VALU_DEP_2) | instskip(SKIP_1) | instid1(VALU_DEP_3)
	v_mul_lo_u32 v17, v10, s26
	v_mul_lo_u32 v10, v10, s27
	v_sub_nc_u32_e32 v13, v13, v20
	s_delay_alu instid0(VALU_DEP_3) | instskip(NEXT) | instid1(VALU_DEP_2)
	v_add3_u32 v5, v15, v5, v17
	v_mul_lo_u32 v20, v13, s30
	v_mul_lo_u32 v13, v13, s31
	v_add3_u32 v8, v18, v8, v10
	s_delay_alu instid0(VALU_DEP_3) | instskip(NEXT) | instid1(VALU_DEP_2)
	v_add3_u32 v5, v19, v5, v20
	v_add3_u32 v8, v11, v8, v13
	s_cbranch_scc1 .LBB159_59
; %bb.60:
	s_and_b32 s7, s7, 3
	s_delay_alu instid0(SALU_CYCLE_1)
	s_cmp_eq_u32 s7, 0
	s_cbranch_scc0 .LBB159_63
	s_branch .LBB159_65
.LBB159_61:
	s_mov_b32 s6, -1
                                        ; implicit-def: $vgpr5
                                        ; implicit-def: $vgpr8
	s_branch .LBB159_65
.LBB159_62:
	v_dual_mov_b32 v9, v7 :: v_dual_mov_b32 v8, 0
	s_and_b32 s7, s7, 3
	s_delay_alu instid0(SALU_CYCLE_1)
	s_cmp_eq_u32 s7, 0
	s_cbranch_scc1 .LBB159_65
.LBB159_63:
	s_lshl_b32 s2, s8, 3
	s_mul_i32 s4, s8, 12
	s_add_u32 s2, s2, s0
	s_addc_u32 s3, 0, s1
	s_add_u32 s2, s2, 0xc4
	s_addc_u32 s3, s3, 0
	;; [unrolled: 2-line block ×3, first 2 shown]
	.p2align	6
.LBB159_64:                             ; =>This Inner Loop Header: Depth=1
	s_clause 0x1
	s_load_b64 s[8:9], s[4:5], 0x4
	s_load_b32 s12, s[4:5], 0xc
	s_load_b64 s[10:11], s[2:3], 0x0
	s_add_u32 s4, s4, 12
	s_addc_u32 s5, s5, 0
	s_add_u32 s2, s2, 8
	s_addc_u32 s3, s3, 0
	s_add_i32 s7, s7, -1
	s_delay_alu instid0(SALU_CYCLE_1) | instskip(SKIP_2) | instid1(VALU_DEP_1)
	s_cmp_lg_u32 s7, 0
	s_waitcnt lgkmcnt(0)
	v_mul_hi_u32 v10, s9, v9
	v_add_nc_u32_e32 v10, v9, v10
	s_delay_alu instid0(VALU_DEP_1) | instskip(NEXT) | instid1(VALU_DEP_1)
	v_lshrrev_b32_e32 v13, s12, v10
	v_mul_lo_u32 v10, v13, s8
	s_delay_alu instid0(VALU_DEP_1) | instskip(NEXT) | instid1(VALU_DEP_1)
	v_sub_nc_u32_e32 v9, v9, v10
	v_mad_u64_u32 v[10:11], null, v9, s10, v[5:6]
	v_mad_u64_u32 v[17:18], null, v9, s11, v[8:9]
	v_mov_b32_e32 v9, v13
	s_delay_alu instid0(VALU_DEP_2)
	v_dual_mov_b32 v5, v10 :: v_dual_mov_b32 v8, v17
	s_cbranch_scc1 .LBB159_64
.LBB159_65:
	s_and_not1_b32 vcc_lo, exec_lo, s6
	s_cbranch_vccnz .LBB159_68
; %bb.66:
	s_clause 0x1
	s_load_b128 s[4:7], s[0:1], 0x4
	s_load_b64 s[2:3], s[0:1], 0xc4
	s_cmp_lt_u32 s22, 2
	s_waitcnt lgkmcnt(0)
	v_mul_hi_u32 v5, s5, v7
	s_delay_alu instid0(VALU_DEP_1) | instskip(NEXT) | instid1(VALU_DEP_1)
	v_add_nc_u32_e32 v5, v7, v5
	v_lshrrev_b32_e32 v9, s6, v5
	s_delay_alu instid0(VALU_DEP_1) | instskip(NEXT) | instid1(VALU_DEP_1)
	v_mul_lo_u32 v5, v9, s4
	v_sub_nc_u32_e32 v7, v7, v5
	s_delay_alu instid0(VALU_DEP_1)
	v_mul_lo_u32 v5, v7, s2
	v_mul_lo_u32 v8, v7, s3
	s_cbranch_scc1 .LBB159_68
; %bb.67:
	s_clause 0x1
	s_load_b128 s[4:7], s[0:1], 0x10
	s_load_b64 s[2:3], s[0:1], 0xcc
	s_waitcnt lgkmcnt(0)
	v_mul_hi_u32 v7, s5, v9
	s_delay_alu instid0(VALU_DEP_1) | instskip(NEXT) | instid1(VALU_DEP_1)
	v_add_nc_u32_e32 v7, v9, v7
	v_lshrrev_b32_e32 v7, s6, v7
	s_delay_alu instid0(VALU_DEP_1) | instskip(NEXT) | instid1(VALU_DEP_1)
	v_mul_lo_u32 v7, v7, s4
	v_sub_nc_u32_e32 v7, v9, v7
	s_delay_alu instid0(VALU_DEP_1) | instskip(NEXT) | instid1(VALU_DEP_1)
	v_mad_u64_u32 v[9:10], null, v7, s2, v[5:6]
	v_mad_u64_u32 v[10:11], null, v7, s3, v[8:9]
	s_delay_alu instid0(VALU_DEP_1)
	v_dual_mov_b32 v5, v9 :: v_dual_mov_b32 v8, v10
.LBB159_68:
	v_cmp_ne_u32_e32 vcc_lo, 1, v14
	v_add_nc_u32_e32 v9, 0x200, v12
	s_cbranch_vccnz .LBB159_74
; %bb.69:
	v_dual_mov_b32 v7, 0 :: v_dual_mov_b32 v10, 0
	s_cmp_lg_u32 s22, 0
	s_mov_b32 s6, 0
	s_cbranch_scc0 .LBB159_78
; %bb.70:
	s_min_u32 s7, s23, 15
	v_mov_b32_e32 v7, 0
	s_add_i32 s7, s7, 1
	s_cmp_eq_u32 s23, 2
	s_mov_b32 s8, 0
	s_cbranch_scc1 .LBB159_75
; %bb.71:
	v_dual_mov_b32 v10, 0 :: v_dual_mov_b32 v7, 0
	v_mov_b32_e32 v11, v9
	s_add_u32 s2, s0, 0xc4
	s_addc_u32 s3, s1, 0
	s_and_b32 s8, s7, 28
	s_mov_b32 s9, 0
	s_mov_b64 s[4:5], s[0:1]
.LBB159_72:                             ; =>This Inner Loop Header: Depth=1
	s_clause 0x1
	s_load_b256 s[12:19], s[4:5], 0x4
	s_load_b128 s[36:39], s[4:5], 0x24
	s_load_b256 s[24:31], s[2:3], 0x0
	s_add_u32 s4, s4, 48
	s_addc_u32 s5, s5, 0
	s_add_i32 s9, s9, 4
	s_add_u32 s2, s2, 32
	s_addc_u32 s3, s3, 0
	s_cmp_lg_u32 s8, s9
	s_waitcnt lgkmcnt(0)
	v_mul_hi_u32 v13, s13, v11
	s_delay_alu instid0(VALU_DEP_1) | instskip(NEXT) | instid1(VALU_DEP_1)
	v_add_nc_u32_e32 v13, v11, v13
	v_lshrrev_b32_e32 v13, s14, v13
	s_delay_alu instid0(VALU_DEP_1) | instskip(SKIP_1) | instid1(VALU_DEP_2)
	v_mul_hi_u32 v15, s16, v13
	v_mul_lo_u32 v18, v13, s12
	v_add_nc_u32_e32 v15, v13, v15
	s_delay_alu instid0(VALU_DEP_2) | instskip(NEXT) | instid1(VALU_DEP_2)
	v_sub_nc_u32_e32 v11, v11, v18
	v_lshrrev_b32_e32 v15, s17, v15
	s_delay_alu instid0(VALU_DEP_2) | instskip(SKIP_1) | instid1(VALU_DEP_3)
	v_mul_lo_u32 v18, v11, s24
	v_mul_lo_u32 v20, v11, s25
	v_mul_hi_u32 v17, s19, v15
	s_delay_alu instid0(VALU_DEP_1) | instskip(NEXT) | instid1(VALU_DEP_1)
	v_add_nc_u32_e32 v17, v15, v17
	v_lshrrev_b32_e32 v17, s36, v17
	s_delay_alu instid0(VALU_DEP_1) | instskip(SKIP_1) | instid1(VALU_DEP_2)
	v_mul_hi_u32 v19, s38, v17
	v_mul_lo_u32 v21, v17, s18
	v_add_nc_u32_e32 v11, v17, v19
	v_mul_lo_u32 v19, v15, s15
	s_delay_alu instid0(VALU_DEP_3) | instskip(NEXT) | instid1(VALU_DEP_3)
	v_sub_nc_u32_e32 v15, v15, v21
	v_lshrrev_b32_e32 v11, s39, v11
	s_delay_alu instid0(VALU_DEP_2) | instskip(SKIP_2) | instid1(VALU_DEP_4)
	v_mul_lo_u32 v21, v15, s28
	v_mul_lo_u32 v15, v15, s29
	v_sub_nc_u32_e32 v13, v13, v19
	v_mul_lo_u32 v22, v11, s37
	s_delay_alu instid0(VALU_DEP_2) | instskip(SKIP_1) | instid1(VALU_DEP_3)
	v_mul_lo_u32 v19, v13, s26
	v_mul_lo_u32 v13, v13, s27
	v_sub_nc_u32_e32 v17, v17, v22
	s_delay_alu instid0(VALU_DEP_3) | instskip(NEXT) | instid1(VALU_DEP_2)
	v_add3_u32 v7, v18, v7, v19
	v_mul_lo_u32 v22, v17, s30
	v_mul_lo_u32 v17, v17, s31
	v_add3_u32 v10, v20, v10, v13
	s_delay_alu instid0(VALU_DEP_3) | instskip(NEXT) | instid1(VALU_DEP_2)
	v_add3_u32 v7, v21, v7, v22
	v_add3_u32 v10, v15, v10, v17
	s_cbranch_scc1 .LBB159_72
; %bb.73:
	s_and_b32 s7, s7, 3
	s_delay_alu instid0(SALU_CYCLE_1)
	s_cmp_eq_u32 s7, 0
	s_cbranch_scc0 .LBB159_76
	s_branch .LBB159_78
.LBB159_74:
	s_mov_b32 s6, -1
                                        ; implicit-def: $vgpr7
                                        ; implicit-def: $vgpr10
	s_branch .LBB159_78
.LBB159_75:
	v_dual_mov_b32 v11, v9 :: v_dual_mov_b32 v10, 0
	s_and_b32 s7, s7, 3
	s_delay_alu instid0(SALU_CYCLE_1)
	s_cmp_eq_u32 s7, 0
	s_cbranch_scc1 .LBB159_78
.LBB159_76:
	s_lshl_b32 s2, s8, 3
	s_mul_i32 s4, s8, 12
	s_add_u32 s2, s2, s0
	s_addc_u32 s3, 0, s1
	s_add_u32 s2, s2, 0xc4
	s_addc_u32 s3, s3, 0
	s_add_u32 s4, s0, s4
	s_addc_u32 s5, 0, s1
	.p2align	6
.LBB159_77:                             ; =>This Inner Loop Header: Depth=1
	s_clause 0x1
	s_load_b64 s[8:9], s[4:5], 0x4
	s_load_b32 s12, s[4:5], 0xc
	s_load_b64 s[10:11], s[2:3], 0x0
	s_add_u32 s4, s4, 12
	s_addc_u32 s5, s5, 0
	s_add_u32 s2, s2, 8
	s_addc_u32 s3, s3, 0
	s_add_i32 s7, s7, -1
	s_delay_alu instid0(SALU_CYCLE_1) | instskip(SKIP_2) | instid1(VALU_DEP_1)
	s_cmp_lg_u32 s7, 0
	s_waitcnt lgkmcnt(0)
	v_mul_hi_u32 v13, s9, v11
	v_add_nc_u32_e32 v13, v11, v13
	s_delay_alu instid0(VALU_DEP_1) | instskip(NEXT) | instid1(VALU_DEP_1)
	v_lshrrev_b32_e32 v13, s12, v13
	v_mul_lo_u32 v15, v13, s8
	s_delay_alu instid0(VALU_DEP_1) | instskip(NEXT) | instid1(VALU_DEP_1)
	v_sub_nc_u32_e32 v11, v11, v15
	v_mad_u64_u32 v[17:18], null, v11, s10, v[7:8]
	v_mad_u64_u32 v[18:19], null, v11, s11, v[10:11]
	v_mov_b32_e32 v11, v13
	s_delay_alu instid0(VALU_DEP_2)
	v_dual_mov_b32 v7, v17 :: v_dual_mov_b32 v10, v18
	s_cbranch_scc1 .LBB159_77
.LBB159_78:
	s_and_not1_b32 vcc_lo, exec_lo, s6
	s_cbranch_vccnz .LBB159_81
; %bb.79:
	s_clause 0x1
	s_load_b128 s[4:7], s[0:1], 0x4
	s_load_b64 s[2:3], s[0:1], 0xc4
	s_cmp_lt_u32 s22, 2
	s_waitcnt lgkmcnt(0)
	v_mul_hi_u32 v7, s5, v9
	s_delay_alu instid0(VALU_DEP_1) | instskip(NEXT) | instid1(VALU_DEP_1)
	v_add_nc_u32_e32 v7, v9, v7
	v_lshrrev_b32_e32 v11, s6, v7
	s_delay_alu instid0(VALU_DEP_1) | instskip(NEXT) | instid1(VALU_DEP_1)
	v_mul_lo_u32 v7, v11, s4
	v_sub_nc_u32_e32 v9, v9, v7
	s_delay_alu instid0(VALU_DEP_1)
	v_mul_lo_u32 v7, v9, s2
	v_mul_lo_u32 v10, v9, s3
	s_cbranch_scc1 .LBB159_81
; %bb.80:
	s_clause 0x1
	s_load_b128 s[4:7], s[0:1], 0x10
	s_load_b64 s[2:3], s[0:1], 0xcc
	s_waitcnt lgkmcnt(0)
	v_mul_hi_u32 v9, s5, v11
	s_delay_alu instid0(VALU_DEP_1) | instskip(NEXT) | instid1(VALU_DEP_1)
	v_add_nc_u32_e32 v9, v11, v9
	v_lshrrev_b32_e32 v9, s6, v9
	s_delay_alu instid0(VALU_DEP_1) | instskip(NEXT) | instid1(VALU_DEP_1)
	v_mul_lo_u32 v9, v9, s4
	v_sub_nc_u32_e32 v9, v11, v9
	s_delay_alu instid0(VALU_DEP_1) | instskip(SKIP_1) | instid1(VALU_DEP_1)
	v_mad_u64_u32 v[17:18], null, v9, s2, v[7:8]
	v_mad_u64_u32 v[18:19], null, v9, s3, v[10:11]
	v_dual_mov_b32 v7, v17 :: v_dual_mov_b32 v10, v18
.LBB159_81:
	v_cmp_ne_u32_e32 vcc_lo, 1, v14
	v_add_nc_u32_e32 v13, 0x280, v12
	s_cbranch_vccnz .LBB159_87
; %bb.82:
	v_mov_b32_e32 v9, 0
	v_mov_b32_e32 v11, 0
	s_cmp_lg_u32 s22, 0
	s_mov_b32 s6, 0
	s_cbranch_scc0 .LBB159_91
; %bb.83:
	s_min_u32 s7, s23, 15
	v_mov_b32_e32 v9, 0
	s_add_i32 s7, s7, 1
	s_cmp_eq_u32 s23, 2
	s_mov_b32 s8, 0
	s_cbranch_scc1 .LBB159_88
; %bb.84:
	v_mov_b32_e32 v11, 0
	v_mov_b32_e32 v9, 0
	v_mov_b32_e32 v15, v13
	s_add_u32 s2, s0, 0xc4
	s_addc_u32 s3, s1, 0
	s_and_b32 s8, s7, 28
	s_mov_b32 s9, 0
	s_mov_b64 s[4:5], s[0:1]
.LBB159_85:                             ; =>This Inner Loop Header: Depth=1
	s_clause 0x1
	s_load_b256 s[12:19], s[4:5], 0x4
	s_load_b128 s[36:39], s[4:5], 0x24
	s_load_b256 s[24:31], s[2:3], 0x0
	s_add_u32 s4, s4, 48
	s_addc_u32 s5, s5, 0
	s_add_i32 s9, s9, 4
	s_add_u32 s2, s2, 32
	s_addc_u32 s3, s3, 0
	s_cmp_lg_u32 s8, s9
	s_waitcnt lgkmcnt(0)
	v_mul_hi_u32 v17, s13, v15
	s_delay_alu instid0(VALU_DEP_1) | instskip(NEXT) | instid1(VALU_DEP_1)
	v_add_nc_u32_e32 v17, v15, v17
	v_lshrrev_b32_e32 v17, s14, v17
	s_delay_alu instid0(VALU_DEP_1) | instskip(SKIP_1) | instid1(VALU_DEP_2)
	v_mul_hi_u32 v18, s16, v17
	v_mul_lo_u32 v20, v17, s12
	v_add_nc_u32_e32 v18, v17, v18
	s_delay_alu instid0(VALU_DEP_2) | instskip(NEXT) | instid1(VALU_DEP_2)
	v_sub_nc_u32_e32 v15, v15, v20
	v_lshrrev_b32_e32 v18, s17, v18
	s_delay_alu instid0(VALU_DEP_2) | instskip(SKIP_1) | instid1(VALU_DEP_3)
	v_mul_lo_u32 v20, v15, s24
	v_mul_lo_u32 v22, v15, s25
	v_mul_hi_u32 v19, s19, v18
	s_delay_alu instid0(VALU_DEP_1) | instskip(NEXT) | instid1(VALU_DEP_1)
	v_add_nc_u32_e32 v19, v18, v19
	v_lshrrev_b32_e32 v19, s36, v19
	s_delay_alu instid0(VALU_DEP_1) | instskip(SKIP_1) | instid1(VALU_DEP_2)
	v_mul_hi_u32 v21, s38, v19
	v_mul_lo_u32 v23, v19, s18
	v_add_nc_u32_e32 v15, v19, v21
	v_mul_lo_u32 v21, v18, s15
	s_delay_alu instid0(VALU_DEP_3) | instskip(NEXT) | instid1(VALU_DEP_3)
	v_sub_nc_u32_e32 v18, v18, v23
	v_lshrrev_b32_e32 v15, s39, v15
	s_delay_alu instid0(VALU_DEP_2) | instskip(SKIP_2) | instid1(VALU_DEP_4)
	v_mul_lo_u32 v23, v18, s28
	v_mul_lo_u32 v18, v18, s29
	v_sub_nc_u32_e32 v17, v17, v21
	v_mul_lo_u32 v24, v15, s37
	s_delay_alu instid0(VALU_DEP_2) | instskip(SKIP_1) | instid1(VALU_DEP_3)
	v_mul_lo_u32 v21, v17, s26
	v_mul_lo_u32 v17, v17, s27
	v_sub_nc_u32_e32 v19, v19, v24
	s_delay_alu instid0(VALU_DEP_3) | instskip(NEXT) | instid1(VALU_DEP_2)
	v_add3_u32 v9, v20, v9, v21
	v_mul_lo_u32 v24, v19, s30
	v_mul_lo_u32 v19, v19, s31
	v_add3_u32 v11, v22, v11, v17
	s_delay_alu instid0(VALU_DEP_3) | instskip(NEXT) | instid1(VALU_DEP_2)
	v_add3_u32 v9, v23, v9, v24
	v_add3_u32 v11, v18, v11, v19
	s_cbranch_scc1 .LBB159_85
; %bb.86:
	s_and_b32 s7, s7, 3
	s_delay_alu instid0(SALU_CYCLE_1)
	s_cmp_eq_u32 s7, 0
	s_cbranch_scc0 .LBB159_89
	s_branch .LBB159_91
.LBB159_87:
	s_mov_b32 s6, -1
                                        ; implicit-def: $vgpr9
                                        ; implicit-def: $vgpr11
	s_branch .LBB159_91
.LBB159_88:
	v_mov_b32_e32 v15, v13
	v_mov_b32_e32 v11, 0
	s_and_b32 s7, s7, 3
	s_delay_alu instid0(SALU_CYCLE_1)
	s_cmp_eq_u32 s7, 0
	s_cbranch_scc1 .LBB159_91
.LBB159_89:
	s_lshl_b32 s2, s8, 3
	s_mul_i32 s4, s8, 12
	s_add_u32 s2, s2, s0
	s_addc_u32 s3, 0, s1
	s_add_u32 s2, s2, 0xc4
	s_addc_u32 s3, s3, 0
	;; [unrolled: 2-line block ×3, first 2 shown]
	.p2align	6
.LBB159_90:                             ; =>This Inner Loop Header: Depth=1
	s_clause 0x1
	s_load_b64 s[8:9], s[4:5], 0x4
	s_load_b32 s12, s[4:5], 0xc
	s_load_b64 s[10:11], s[2:3], 0x0
	s_add_u32 s4, s4, 12
	s_addc_u32 s5, s5, 0
	s_add_u32 s2, s2, 8
	s_addc_u32 s3, s3, 0
	s_add_i32 s7, s7, -1
	s_delay_alu instid0(SALU_CYCLE_1) | instskip(SKIP_2) | instid1(VALU_DEP_1)
	s_cmp_lg_u32 s7, 0
	s_waitcnt lgkmcnt(0)
	v_mul_hi_u32 v17, s9, v15
	v_add_nc_u32_e32 v17, v15, v17
	s_delay_alu instid0(VALU_DEP_1) | instskip(NEXT) | instid1(VALU_DEP_1)
	v_lshrrev_b32_e32 v20, s12, v17
	v_mul_lo_u32 v17, v20, s8
	s_delay_alu instid0(VALU_DEP_1) | instskip(NEXT) | instid1(VALU_DEP_1)
	v_sub_nc_u32_e32 v15, v15, v17
	v_mad_u64_u32 v[17:18], null, v15, s10, v[9:10]
	v_mad_u64_u32 v[18:19], null, v15, s11, v[11:12]
	v_mov_b32_e32 v15, v20
	s_delay_alu instid0(VALU_DEP_3) | instskip(NEXT) | instid1(VALU_DEP_3)
	v_mov_b32_e32 v9, v17
	v_mov_b32_e32 v11, v18
	s_cbranch_scc1 .LBB159_90
.LBB159_91:
	s_and_not1_b32 vcc_lo, exec_lo, s6
	s_cbranch_vccnz .LBB159_94
; %bb.92:
	s_clause 0x1
	s_load_b128 s[4:7], s[0:1], 0x4
	s_load_b64 s[2:3], s[0:1], 0xc4
	s_cmp_lt_u32 s22, 2
	s_waitcnt lgkmcnt(0)
	v_mul_hi_u32 v9, s5, v13
	s_delay_alu instid0(VALU_DEP_1) | instskip(NEXT) | instid1(VALU_DEP_1)
	v_add_nc_u32_e32 v9, v13, v9
	v_lshrrev_b32_e32 v15, s6, v9
	s_delay_alu instid0(VALU_DEP_1) | instskip(NEXT) | instid1(VALU_DEP_1)
	v_mul_lo_u32 v9, v15, s4
	v_sub_nc_u32_e32 v11, v13, v9
	s_delay_alu instid0(VALU_DEP_1)
	v_mul_lo_u32 v9, v11, s2
	v_mul_lo_u32 v11, v11, s3
	s_cbranch_scc1 .LBB159_94
; %bb.93:
	s_clause 0x1
	s_load_b128 s[4:7], s[0:1], 0x10
	s_load_b64 s[2:3], s[0:1], 0xcc
	s_waitcnt lgkmcnt(0)
	v_mul_hi_u32 v13, s5, v15
	s_delay_alu instid0(VALU_DEP_1) | instskip(NEXT) | instid1(VALU_DEP_1)
	v_add_nc_u32_e32 v13, v15, v13
	v_lshrrev_b32_e32 v13, s6, v13
	s_delay_alu instid0(VALU_DEP_1) | instskip(NEXT) | instid1(VALU_DEP_1)
	v_mul_lo_u32 v13, v13, s4
	v_sub_nc_u32_e32 v13, v15, v13
	s_delay_alu instid0(VALU_DEP_1) | instskip(SKIP_1) | instid1(VALU_DEP_2)
	v_mad_u64_u32 v[17:18], null, v13, s2, v[9:10]
	v_mad_u64_u32 v[18:19], null, v13, s3, v[11:12]
	v_mov_b32_e32 v9, v17
	s_delay_alu instid0(VALU_DEP_2)
	v_mov_b32_e32 v11, v18
.LBB159_94:
	v_cmp_ne_u32_e32 vcc_lo, 1, v14
	v_add_nc_u32_e32 v15, 0x300, v12
	s_cbranch_vccnz .LBB159_100
; %bb.95:
	v_dual_mov_b32 v12, 0 :: v_dual_mov_b32 v13, 0
	s_cmp_lg_u32 s22, 0
	s_mov_b32 s6, 0
	s_cbranch_scc0 .LBB159_104
; %bb.96:
	s_min_u32 s7, s23, 15
	v_mov_b32_e32 v12, 0
	s_add_i32 s7, s7, 1
	s_cmp_eq_u32 s23, 2
	s_mov_b32 s8, 0
	s_cbranch_scc1 .LBB159_101
; %bb.97:
	v_dual_mov_b32 v13, 0 :: v_dual_mov_b32 v12, 0
	v_mov_b32_e32 v17, v15
	s_add_u32 s2, s0, 0xc4
	s_addc_u32 s3, s1, 0
	s_and_b32 s8, s7, 28
	s_mov_b32 s9, 0
	s_mov_b64 s[4:5], s[0:1]
.LBB159_98:                             ; =>This Inner Loop Header: Depth=1
	s_clause 0x1
	s_load_b256 s[12:19], s[4:5], 0x4
	s_load_b128 s[36:39], s[4:5], 0x24
	s_load_b256 s[24:31], s[2:3], 0x0
	s_add_u32 s4, s4, 48
	s_addc_u32 s5, s5, 0
	s_add_i32 s9, s9, 4
	s_add_u32 s2, s2, 32
	s_addc_u32 s3, s3, 0
	s_cmp_lg_u32 s8, s9
	s_waitcnt lgkmcnt(0)
	v_mul_hi_u32 v18, s13, v17
	s_delay_alu instid0(VALU_DEP_1) | instskip(NEXT) | instid1(VALU_DEP_1)
	v_add_nc_u32_e32 v18, v17, v18
	v_lshrrev_b32_e32 v18, s14, v18
	s_delay_alu instid0(VALU_DEP_1) | instskip(SKIP_1) | instid1(VALU_DEP_2)
	v_mul_hi_u32 v19, s16, v18
	v_mul_lo_u32 v21, v18, s12
	v_add_nc_u32_e32 v19, v18, v19
	s_delay_alu instid0(VALU_DEP_2) | instskip(NEXT) | instid1(VALU_DEP_2)
	v_sub_nc_u32_e32 v17, v17, v21
	v_lshrrev_b32_e32 v19, s17, v19
	s_delay_alu instid0(VALU_DEP_2) | instskip(SKIP_1) | instid1(VALU_DEP_3)
	v_mul_lo_u32 v21, v17, s24
	v_mul_lo_u32 v23, v17, s25
	v_mul_hi_u32 v20, s19, v19
	s_delay_alu instid0(VALU_DEP_1) | instskip(NEXT) | instid1(VALU_DEP_1)
	v_add_nc_u32_e32 v20, v19, v20
	v_lshrrev_b32_e32 v20, s36, v20
	s_delay_alu instid0(VALU_DEP_1) | instskip(SKIP_1) | instid1(VALU_DEP_2)
	v_mul_hi_u32 v22, s38, v20
	v_mul_lo_u32 v24, v20, s18
	v_add_nc_u32_e32 v17, v20, v22
	v_mul_lo_u32 v22, v19, s15
	s_delay_alu instid0(VALU_DEP_3) | instskip(NEXT) | instid1(VALU_DEP_3)
	v_sub_nc_u32_e32 v19, v19, v24
	v_lshrrev_b32_e32 v17, s39, v17
	s_delay_alu instid0(VALU_DEP_2) | instskip(SKIP_2) | instid1(VALU_DEP_4)
	v_mul_lo_u32 v24, v19, s28
	v_mul_lo_u32 v19, v19, s29
	v_sub_nc_u32_e32 v18, v18, v22
	v_mul_lo_u32 v25, v17, s37
	s_delay_alu instid0(VALU_DEP_2) | instskip(SKIP_1) | instid1(VALU_DEP_3)
	v_mul_lo_u32 v22, v18, s26
	v_mul_lo_u32 v18, v18, s27
	v_sub_nc_u32_e32 v20, v20, v25
	s_delay_alu instid0(VALU_DEP_3) | instskip(NEXT) | instid1(VALU_DEP_2)
	v_add3_u32 v12, v21, v12, v22
	v_mul_lo_u32 v25, v20, s30
	v_mul_lo_u32 v20, v20, s31
	v_add3_u32 v13, v23, v13, v18
	s_delay_alu instid0(VALU_DEP_3) | instskip(NEXT) | instid1(VALU_DEP_2)
	v_add3_u32 v12, v24, v12, v25
	v_add3_u32 v13, v19, v13, v20
	s_cbranch_scc1 .LBB159_98
; %bb.99:
	s_and_b32 s7, s7, 3
	s_delay_alu instid0(SALU_CYCLE_1)
	s_cmp_eq_u32 s7, 0
	s_cbranch_scc0 .LBB159_102
	s_branch .LBB159_104
.LBB159_100:
	s_mov_b32 s6, -1
                                        ; implicit-def: $vgpr12
                                        ; implicit-def: $vgpr13
	s_branch .LBB159_104
.LBB159_101:
	v_mov_b32_e32 v17, v15
	v_mov_b32_e32 v13, 0
	s_and_b32 s7, s7, 3
	s_delay_alu instid0(SALU_CYCLE_1)
	s_cmp_eq_u32 s7, 0
	s_cbranch_scc1 .LBB159_104
.LBB159_102:
	s_lshl_b32 s2, s8, 3
	s_mul_i32 s4, s8, 12
	s_add_u32 s2, s2, s0
	s_addc_u32 s3, 0, s1
	s_add_u32 s2, s2, 0xc4
	s_addc_u32 s3, s3, 0
	;; [unrolled: 2-line block ×3, first 2 shown]
	.p2align	6
.LBB159_103:                            ; =>This Inner Loop Header: Depth=1
	s_clause 0x1
	s_load_b64 s[8:9], s[4:5], 0x4
	s_load_b32 s12, s[4:5], 0xc
	s_load_b64 s[10:11], s[2:3], 0x0
	s_add_u32 s4, s4, 12
	s_addc_u32 s5, s5, 0
	s_add_u32 s2, s2, 8
	s_addc_u32 s3, s3, 0
	s_add_i32 s7, s7, -1
	s_delay_alu instid0(SALU_CYCLE_1) | instskip(SKIP_2) | instid1(VALU_DEP_1)
	s_cmp_lg_u32 s7, 0
	s_waitcnt lgkmcnt(0)
	v_mul_hi_u32 v18, s9, v17
	v_add_nc_u32_e32 v18, v17, v18
	s_delay_alu instid0(VALU_DEP_1) | instskip(NEXT) | instid1(VALU_DEP_1)
	v_lshrrev_b32_e32 v21, s12, v18
	v_mul_lo_u32 v18, v21, s8
	s_delay_alu instid0(VALU_DEP_1) | instskip(NEXT) | instid1(VALU_DEP_1)
	v_sub_nc_u32_e32 v17, v17, v18
	v_mad_u64_u32 v[18:19], null, v17, s10, v[12:13]
	v_mad_u64_u32 v[19:20], null, v17, s11, v[13:14]
	s_delay_alu instid0(VALU_DEP_2) | instskip(NEXT) | instid1(VALU_DEP_2)
	v_dual_mov_b32 v17, v21 :: v_dual_mov_b32 v12, v18
	v_mov_b32_e32 v13, v19
	s_cbranch_scc1 .LBB159_103
.LBB159_104:
	s_and_not1_b32 vcc_lo, exec_lo, s6
	s_cbranch_vccnz .LBB159_107
; %bb.105:
	s_clause 0x1
	s_load_b128 s[4:7], s[0:1], 0x4
	s_load_b64 s[2:3], s[0:1], 0xc4
	s_cmp_lt_u32 s22, 2
	s_waitcnt lgkmcnt(0)
	v_mul_hi_u32 v12, s5, v15
	s_delay_alu instid0(VALU_DEP_1) | instskip(NEXT) | instid1(VALU_DEP_1)
	v_add_nc_u32_e32 v12, v15, v12
	v_lshrrev_b32_e32 v17, s6, v12
	s_delay_alu instid0(VALU_DEP_1) | instskip(NEXT) | instid1(VALU_DEP_1)
	v_mul_lo_u32 v12, v17, s4
	v_sub_nc_u32_e32 v13, v15, v12
	s_delay_alu instid0(VALU_DEP_1)
	v_mul_lo_u32 v12, v13, s2
	v_mul_lo_u32 v13, v13, s3
	s_cbranch_scc1 .LBB159_107
; %bb.106:
	s_clause 0x1
	s_load_b128 s[4:7], s[0:1], 0x10
	s_load_b64 s[2:3], s[0:1], 0xcc
	s_waitcnt lgkmcnt(0)
	v_mul_hi_u32 v15, s5, v17
	s_delay_alu instid0(VALU_DEP_1) | instskip(NEXT) | instid1(VALU_DEP_1)
	v_add_nc_u32_e32 v15, v17, v15
	v_lshrrev_b32_e32 v15, s6, v15
	s_delay_alu instid0(VALU_DEP_1) | instskip(NEXT) | instid1(VALU_DEP_1)
	v_mul_lo_u32 v15, v15, s4
	v_sub_nc_u32_e32 v15, v17, v15
	s_delay_alu instid0(VALU_DEP_1) | instskip(SKIP_1) | instid1(VALU_DEP_1)
	v_mad_u64_u32 v[17:18], null, v15, s2, v[12:13]
	v_mad_u64_u32 v[18:19], null, v15, s3, v[13:14]
	v_dual_mov_b32 v12, v17 :: v_dual_mov_b32 v13, v18
.LBB159_107:
	v_cmp_ne_u32_e32 vcc_lo, 1, v14
	s_cbranch_vccnz .LBB159_113
; %bb.108:
	v_dual_mov_b32 v14, 0 :: v_dual_mov_b32 v15, 0
	s_cmp_lg_u32 s22, 0
	s_mov_b32 s6, 0
	s_cbranch_scc0 .LBB159_117
; %bb.109:
	s_min_u32 s7, s23, 15
	v_mov_b32_e32 v14, 0
	s_add_i32 s7, s7, 1
	s_cmp_eq_u32 s23, 2
	s_mov_b32 s8, 0
	s_cbranch_scc1 .LBB159_114
; %bb.110:
	v_dual_mov_b32 v15, 0 :: v_dual_mov_b32 v14, 0
	v_mov_b32_e32 v17, v16
	s_add_u32 s2, s0, 0xc4
	s_addc_u32 s3, s1, 0
	s_and_b32 s8, s7, 28
	s_mov_b32 s9, 0
	s_mov_b64 s[4:5], s[0:1]
.LBB159_111:                            ; =>This Inner Loop Header: Depth=1
	s_clause 0x1
	s_load_b256 s[12:19], s[4:5], 0x4
	s_load_b128 s[36:39], s[4:5], 0x24
	s_load_b256 s[24:31], s[2:3], 0x0
	s_add_u32 s4, s4, 48
	s_addc_u32 s5, s5, 0
	s_add_i32 s9, s9, 4
	s_add_u32 s2, s2, 32
	s_addc_u32 s3, s3, 0
	s_cmp_lg_u32 s8, s9
	s_waitcnt lgkmcnt(0)
	v_mul_hi_u32 v18, s13, v17
	s_delay_alu instid0(VALU_DEP_1) | instskip(NEXT) | instid1(VALU_DEP_1)
	v_add_nc_u32_e32 v18, v17, v18
	v_lshrrev_b32_e32 v18, s14, v18
	s_delay_alu instid0(VALU_DEP_1) | instskip(SKIP_1) | instid1(VALU_DEP_2)
	v_mul_hi_u32 v19, s16, v18
	v_mul_lo_u32 v21, v18, s12
	v_add_nc_u32_e32 v19, v18, v19
	s_delay_alu instid0(VALU_DEP_2) | instskip(NEXT) | instid1(VALU_DEP_2)
	v_sub_nc_u32_e32 v17, v17, v21
	v_lshrrev_b32_e32 v19, s17, v19
	s_delay_alu instid0(VALU_DEP_2) | instskip(SKIP_1) | instid1(VALU_DEP_3)
	v_mul_lo_u32 v21, v17, s24
	v_mul_lo_u32 v23, v17, s25
	v_mul_hi_u32 v20, s19, v19
	s_delay_alu instid0(VALU_DEP_1) | instskip(NEXT) | instid1(VALU_DEP_1)
	v_add_nc_u32_e32 v20, v19, v20
	v_lshrrev_b32_e32 v20, s36, v20
	s_delay_alu instid0(VALU_DEP_1) | instskip(SKIP_1) | instid1(VALU_DEP_2)
	v_mul_hi_u32 v22, s38, v20
	v_mul_lo_u32 v24, v20, s18
	v_add_nc_u32_e32 v17, v20, v22
	v_mul_lo_u32 v22, v19, s15
	s_delay_alu instid0(VALU_DEP_3) | instskip(NEXT) | instid1(VALU_DEP_3)
	v_sub_nc_u32_e32 v19, v19, v24
	v_lshrrev_b32_e32 v17, s39, v17
	s_delay_alu instid0(VALU_DEP_2) | instskip(SKIP_2) | instid1(VALU_DEP_4)
	v_mul_lo_u32 v24, v19, s28
	v_mul_lo_u32 v19, v19, s29
	v_sub_nc_u32_e32 v18, v18, v22
	v_mul_lo_u32 v25, v17, s37
	s_delay_alu instid0(VALU_DEP_2) | instskip(SKIP_1) | instid1(VALU_DEP_3)
	v_mul_lo_u32 v22, v18, s26
	v_mul_lo_u32 v18, v18, s27
	v_sub_nc_u32_e32 v20, v20, v25
	s_delay_alu instid0(VALU_DEP_3) | instskip(NEXT) | instid1(VALU_DEP_2)
	v_add3_u32 v14, v21, v14, v22
	v_mul_lo_u32 v25, v20, s30
	v_mul_lo_u32 v20, v20, s31
	v_add3_u32 v15, v23, v15, v18
	s_delay_alu instid0(VALU_DEP_3) | instskip(NEXT) | instid1(VALU_DEP_2)
	v_add3_u32 v14, v24, v14, v25
	v_add3_u32 v15, v19, v15, v20
	s_cbranch_scc1 .LBB159_111
; %bb.112:
	s_and_b32 s7, s7, 3
	s_delay_alu instid0(SALU_CYCLE_1)
	s_cmp_eq_u32 s7, 0
	s_cbranch_scc0 .LBB159_115
	s_branch .LBB159_117
.LBB159_113:
	s_mov_b32 s6, -1
                                        ; implicit-def: $vgpr14
                                        ; implicit-def: $vgpr15
	s_branch .LBB159_117
.LBB159_114:
	v_mov_b32_e32 v17, v16
	v_mov_b32_e32 v15, 0
	s_and_b32 s7, s7, 3
	s_delay_alu instid0(SALU_CYCLE_1)
	s_cmp_eq_u32 s7, 0
	s_cbranch_scc1 .LBB159_117
.LBB159_115:
	s_lshl_b32 s2, s8, 3
	s_mul_i32 s4, s8, 12
	s_add_u32 s2, s2, s0
	s_addc_u32 s3, 0, s1
	s_add_u32 s2, s2, 0xc4
	s_addc_u32 s3, s3, 0
	;; [unrolled: 2-line block ×3, first 2 shown]
	.p2align	6
.LBB159_116:                            ; =>This Inner Loop Header: Depth=1
	s_clause 0x1
	s_load_b64 s[8:9], s[4:5], 0x4
	s_load_b32 s12, s[4:5], 0xc
	s_load_b64 s[10:11], s[2:3], 0x0
	s_add_u32 s4, s4, 12
	s_addc_u32 s5, s5, 0
	s_add_u32 s2, s2, 8
	s_addc_u32 s3, s3, 0
	s_add_i32 s7, s7, -1
	s_delay_alu instid0(SALU_CYCLE_1) | instskip(SKIP_2) | instid1(VALU_DEP_1)
	s_cmp_lg_u32 s7, 0
	s_waitcnt lgkmcnt(0)
	v_mul_hi_u32 v18, s9, v17
	v_add_nc_u32_e32 v18, v17, v18
	s_delay_alu instid0(VALU_DEP_1) | instskip(NEXT) | instid1(VALU_DEP_1)
	v_lshrrev_b32_e32 v21, s12, v18
	v_mul_lo_u32 v18, v21, s8
	s_delay_alu instid0(VALU_DEP_1) | instskip(NEXT) | instid1(VALU_DEP_1)
	v_sub_nc_u32_e32 v17, v17, v18
	v_mad_u64_u32 v[18:19], null, v17, s10, v[14:15]
	v_mad_u64_u32 v[19:20], null, v17, s11, v[15:16]
	s_delay_alu instid0(VALU_DEP_2) | instskip(NEXT) | instid1(VALU_DEP_2)
	v_dual_mov_b32 v17, v21 :: v_dual_mov_b32 v14, v18
	v_mov_b32_e32 v15, v19
	s_cbranch_scc1 .LBB159_116
.LBB159_117:
	s_and_not1_b32 vcc_lo, exec_lo, s6
	s_cbranch_vccnz .LBB159_120
; %bb.118:
	s_clause 0x1
	s_load_b128 s[4:7], s[0:1], 0x4
	s_load_b64 s[2:3], s[0:1], 0xc4
	s_cmp_lt_u32 s22, 2
	s_waitcnt lgkmcnt(0)
	v_mul_hi_u32 v14, s5, v16
	s_delay_alu instid0(VALU_DEP_1) | instskip(NEXT) | instid1(VALU_DEP_1)
	v_add_nc_u32_e32 v14, v16, v14
	v_lshrrev_b32_e32 v17, s6, v14
	s_delay_alu instid0(VALU_DEP_1) | instskip(NEXT) | instid1(VALU_DEP_1)
	v_mul_lo_u32 v14, v17, s4
	v_sub_nc_u32_e32 v15, v16, v14
	s_delay_alu instid0(VALU_DEP_1)
	v_mul_lo_u32 v14, v15, s2
	v_mul_lo_u32 v15, v15, s3
	s_cbranch_scc1 .LBB159_120
; %bb.119:
	s_clause 0x1
	s_load_b128 s[4:7], s[0:1], 0x10
	s_load_b64 s[2:3], s[0:1], 0xcc
	s_waitcnt lgkmcnt(0)
	v_mul_hi_u32 v16, s5, v17
	s_delay_alu instid0(VALU_DEP_1) | instskip(NEXT) | instid1(VALU_DEP_1)
	v_add_nc_u32_e32 v16, v17, v16
	v_lshrrev_b32_e32 v16, s6, v16
	s_delay_alu instid0(VALU_DEP_1) | instskip(NEXT) | instid1(VALU_DEP_1)
	v_mul_lo_u32 v16, v16, s4
	v_sub_nc_u32_e32 v19, v17, v16
	s_delay_alu instid0(VALU_DEP_1) | instskip(NEXT) | instid1(VALU_DEP_1)
	v_mad_u64_u32 v[16:17], null, v19, s2, v[14:15]
	v_mad_u64_u32 v[17:18], null, v19, s3, v[15:16]
	s_delay_alu instid0(VALU_DEP_1)
	v_dual_mov_b32 v14, v16 :: v_dual_mov_b32 v15, v17
.LBB159_120:
	s_load_b128 s[8:11], s[0:1], 0x148
	s_mov_b32 s0, 0xbf317218
	s_mov_b32 s7, 0x395133b1
	s_waitcnt lgkmcnt(0)
	s_clause 0x7
	global_load_u16 v2, v2, s[10:11]
	global_load_u16 v4, v4, s[10:11]
	;; [unrolled: 1-line block ×8, first 2 shown]
	s_waitcnt vmcnt(7)
	v_cvt_f32_f16_e32 v16, v2
	s_waitcnt vmcnt(6)
	v_cvt_f32_f16_e32 v17, v4
	;; [unrolled: 2-line block ×8, first 2 shown]
	v_dual_mul_f32 v26, 0x3fb8aa3b, v18 :: v_dual_mul_f32 v27, 0x3fb8aa3b, v19
	v_dual_mul_f32 v24, 0x3fb8aa3b, v16 :: v_dual_mul_f32 v25, 0x3fb8aa3b, v17
	;; [unrolled: 1-line block ×3, first 2 shown]
	s_delay_alu instid0(VALU_DEP_4) | instskip(NEXT) | instid1(VALU_DEP_4)
	v_dual_mul_f32 v30, 0x3fb8aa3b, v22 :: v_dual_mul_f32 v31, 0x3fb8aa3b, v23
	v_rndne_f32_e32 v27, v27
	s_delay_alu instid0(VALU_DEP_4)
	v_rndne_f32_e32 v24, v24
	v_rndne_f32_e32 v25, v25
	;; [unrolled: 1-line block ×7, first 2 shown]
	v_fma_mix_f32 v38, v27, s0, v8 op_sel_hi:[0,0,1]
	v_cvt_i32_f32_e32 v39, v27
	v_cmp_eq_f32_e64 s2, 0x43000000, v27
	v_fma_mix_f32 v32, v24, s0, v2 op_sel_hi:[0,0,1]
	v_fma_mix_f32 v34, v25, s0, v4 op_sel_hi:[0,0,1]
	v_cvt_i32_f32_e32 v35, v25
	v_fma_mix_f32 v36, v26, s0, v6 op_sel_hi:[0,0,1]
	v_fma_mix_f32 v40, v28, s0, v10 op_sel_hi:[0,0,1]
	;; [unrolled: 1-line block ×5, first 2 shown]
	v_cmp_eq_f32_e64 s0, 0x43000000, v25
	v_fmac_f32_e32 v38, 0x3102e308, v27
	v_cndmask_b32_e64 v27, v39, 0x7f, s2
	v_cvt_i32_f32_e32 v33, v24
	v_cvt_i32_f32_e32 v47, v31
	v_cmp_eq_f32_e32 vcc_lo, 0x43000000, v24
	v_cmp_eq_f32_e64 s6, 0x43000000, v31
	v_ldexp_f32 v27, 1.0, v27
	v_fmac_f32_e32 v34, 0x3102e308, v25
	v_cndmask_b32_e64 v25, v35, 0x7f, s0
	v_fmac_f32_e32 v46, 0x3102e308, v31
	v_cndmask_b32_e64 v31, v47, 0x7f, s6
	v_add_f32_e32 v51, -1.0, v27
	v_cvt_i32_f32_e32 v43, v29
	v_ldexp_f32 v25, 1.0, v25
	v_fmac_f32_e32 v32, 0x3102e308, v24
	v_cndmask_b32_e64 v24, v33, 0x7f, vcc_lo
	v_ldexp_f32 v31, 1.0, v31
	v_fmac_f32_e32 v40, 0x3102e308, v28
	v_cmp_eq_f32_e64 s4, 0x43000000, v29
	v_cvt_i32_f32_e32 v37, v26
	v_ldexp_f32 v24, 1.0, v24
	v_add_f32_e32 v55, -1.0, v31
	v_fmaak_f32 v35, s7, v34, 0x3ab69700
	v_cmp_eq_f32_e64 s1, 0x43000000, v26
	s_delay_alu instid0(VALU_DEP_4) | instskip(SKIP_1) | instid1(VALU_DEP_4)
	v_dual_add_f32 v49, -1.0, v25 :: v_dual_add_f32 v48, -1.0, v24
	v_cvt_i32_f32_e32 v41, v28
	v_fmaak_f32 v35, v34, v35, 0x3c0887f9
	v_cmp_eq_f32_e64 s3, 0x43000000, v28
	v_cvt_i32_f32_e32 v45, v30
	v_cmp_eq_f32_e64 s5, 0x43000000, v30
	s_delay_alu instid0(VALU_DEP_4) | instskip(NEXT) | instid1(VALU_DEP_4)
	v_fmaak_f32 v35, v34, v35, 0x3d2aaa81
	v_cndmask_b32_e64 v28, v41, 0x7f, s3
	s_delay_alu instid0(VALU_DEP_2) | instskip(NEXT) | instid1(VALU_DEP_2)
	v_fmaak_f32 v35, v34, v35, 0x3e2aaaab
	v_ldexp_f32 v28, 1.0, v28
	s_delay_alu instid0(VALU_DEP_2) | instskip(SKIP_2) | instid1(VALU_DEP_3)
	v_fma_f32 v35, v34, v35, 0.5
	v_fmac_f32_e32 v42, 0x3102e308, v29
	v_cndmask_b32_e64 v29, v43, 0x7f, s4
	v_dual_add_f32 v52, -1.0, v28 :: v_dual_mul_f32 v35, v34, v35
	s_delay_alu instid0(VALU_DEP_3) | instskip(NEXT) | instid1(VALU_DEP_3)
	v_fmaak_f32 v43, s7, v42, 0x3ab69700
	v_ldexp_f32 v29, 1.0, v29
	v_fmac_f32_e32 v36, 0x3102e308, v26
	v_cndmask_b32_e64 v26, v37, 0x7f, s1
	v_fmac_f32_e32 v34, v34, v35
	v_fmaak_f32 v43, v42, v43, 0x3c0887f9
	v_add_f32_e32 v53, -1.0, v29
	v_fmaak_f32 v37, s7, v36, 0x3ab69700
	v_ldexp_f32 v26, 1.0, v26
	v_fmaak_f32 v33, s7, v32, 0x3ab69700
	s_delay_alu instid0(VALU_DEP_2) | instskip(NEXT) | instid1(VALU_DEP_1)
	v_dual_fmaak_f32 v43, v42, v43, 0x3d2aaa81 :: v_dual_add_f32 v50, -1.0, v26
	v_fmaak_f32 v43, v42, v43, 0x3e2aaaab
	s_delay_alu instid0(VALU_DEP_1) | instskip(NEXT) | instid1(VALU_DEP_1)
	v_fma_f32 v43, v42, v43, 0.5
	v_mul_f32_e32 v43, v42, v43
	s_delay_alu instid0(VALU_DEP_1) | instskip(NEXT) | instid1(VALU_DEP_1)
	v_dual_fmaak_f32 v33, v32, v33, 0x3c0887f9 :: v_dual_fmac_f32 v42, v42, v43
	v_fmaak_f32 v33, v32, v33, 0x3d2aaa81
	s_delay_alu instid0(VALU_DEP_1) | instskip(NEXT) | instid1(VALU_DEP_1)
	v_fmaak_f32 v33, v32, v33, 0x3e2aaaab
	v_fma_f32 v33, v32, v33, 0.5
	s_delay_alu instid0(VALU_DEP_1) | instskip(SKIP_1) | instid1(VALU_DEP_2)
	v_mul_f32_e32 v33, v32, v33
	v_fmaak_f32 v39, s7, v38, 0x3ab69700
	v_dual_fmaak_f32 v41, s7, v40, 0x3ab69700 :: v_dual_fmac_f32 v32, v32, v33
	s_delay_alu instid0(VALU_DEP_2) | instskip(NEXT) | instid1(VALU_DEP_2)
	v_fmaak_f32 v39, v38, v39, 0x3c0887f9
	v_fmaak_f32 v41, v40, v41, 0x3c0887f9
	s_delay_alu instid0(VALU_DEP_2) | instskip(NEXT) | instid1(VALU_DEP_2)
	v_dual_fmac_f32 v48, v24, v32 :: v_dual_fmaak_f32 v39, v38, v39, 0x3d2aaa81
	v_fmaak_f32 v41, v40, v41, 0x3d2aaa81
	s_delay_alu instid0(VALU_DEP_2) | instskip(NEXT) | instid1(VALU_DEP_2)
	v_dual_add_f32 v24, v48, v48 :: v_dual_fmaak_f32 v39, v38, v39, 0x3e2aaaab
	v_fmaak_f32 v41, v40, v41, 0x3e2aaaab
	s_delay_alu instid0(VALU_DEP_2) | instskip(NEXT) | instid1(VALU_DEP_3)
	v_cndmask_b32_e32 v24, v48, v24, vcc_lo
	v_fma_f32 v39, v38, v39, 0.5
	s_delay_alu instid0(VALU_DEP_3) | instskip(SKIP_1) | instid1(VALU_DEP_3)
	v_fma_f32 v41, v40, v41, 0.5
	v_cmp_nlt_f32_e32 vcc_lo, 0x42b17217, v16
	v_mul_f32_e32 v39, v38, v39
	s_delay_alu instid0(VALU_DEP_3) | instskip(SKIP_2) | instid1(VALU_DEP_4)
	v_dual_mul_f32 v41, v40, v41 :: v_dual_cndmask_b32 v16, 0x7f800000, v24
	v_fmaak_f32 v47, s7, v46, 0x3ab69700
	v_cmp_nlt_f32_e32 vcc_lo, 0x42b17217, v17
	v_fmac_f32_e32 v38, v38, v39
	s_delay_alu instid0(VALU_DEP_4) | instskip(SKIP_2) | instid1(VALU_DEP_3)
	v_fmac_f32_e32 v40, v40, v41
	v_cvt_f16_f32_e32 v16, v16
	v_fmaak_f32 v47, v46, v47, 0x3c0887f9
	v_dual_fmac_f32 v49, v25, v34 :: v_dual_fmac_f32 v52, v28, v40
	s_delay_alu instid0(VALU_DEP_2) | instskip(NEXT) | instid1(VALU_DEP_2)
	v_fmaak_f32 v47, v46, v47, 0x3d2aaa81
	v_dual_add_f32 v25, v49, v49 :: v_dual_add_f32 v28, v52, v52
	s_delay_alu instid0(VALU_DEP_2) | instskip(NEXT) | instid1(VALU_DEP_2)
	v_fmaak_f32 v47, v46, v47, 0x3e2aaaab
	v_cndmask_b32_e64 v25, v49, v25, s0
	s_delay_alu instid0(VALU_DEP_3) | instskip(NEXT) | instid1(VALU_DEP_3)
	v_cndmask_b32_e64 v28, v52, v28, s3
	v_fma_f32 v47, v46, v47, 0.5
	s_delay_alu instid0(VALU_DEP_3) | instskip(SKIP_1) | instid1(VALU_DEP_3)
	v_cndmask_b32_e32 v17, 0x7f800000, v25, vcc_lo
	v_cmp_nlt_f32_e32 vcc_lo, 0x42b17217, v18
	v_mul_f32_e32 v47, v46, v47
	v_fmaak_f32 v37, v36, v37, 0x3c0887f9
	s_delay_alu instid0(VALU_DEP_4) | instskip(NEXT) | instid1(VALU_DEP_3)
	v_cvt_f16_f32_e32 v17, v17
	v_dual_fmac_f32 v51, v27, v38 :: v_dual_fmac_f32 v46, v46, v47
	s_delay_alu instid0(VALU_DEP_3) | instskip(NEXT) | instid1(VALU_DEP_2)
	v_fmaak_f32 v37, v36, v37, 0x3d2aaa81
	v_add_f32_e32 v27, v51, v51
	s_delay_alu instid0(VALU_DEP_2) | instskip(NEXT) | instid1(VALU_DEP_2)
	v_fmaak_f32 v37, v36, v37, 0x3e2aaaab
	v_cndmask_b32_e64 v27, v51, v27, s2
	s_delay_alu instid0(VALU_DEP_2) | instskip(SKIP_2) | instid1(VALU_DEP_3)
	v_fma_f32 v37, v36, v37, 0.5
	v_fmac_f32_e32 v44, 0x3102e308, v30
	v_cndmask_b32_e64 v30, v45, 0x7f, s5
	v_mul_f32_e32 v37, v36, v37
	s_delay_alu instid0(VALU_DEP_3) | instskip(NEXT) | instid1(VALU_DEP_3)
	v_fmaak_f32 v45, s7, v44, 0x3ab69700
	v_ldexp_f32 v30, 1.0, v30
	s_delay_alu instid0(VALU_DEP_3) | instskip(NEXT) | instid1(VALU_DEP_2)
	v_fmac_f32_e32 v36, v36, v37
	v_dual_add_f32 v54, -1.0, v30 :: v_dual_fmaak_f32 v45, v44, v45, 0x3c0887f9
	s_delay_alu instid0(VALU_DEP_1) | instskip(NEXT) | instid1(VALU_DEP_1)
	v_dual_fmac_f32 v50, v26, v36 :: v_dual_fmaak_f32 v45, v44, v45, 0x3d2aaa81
	v_dual_add_f32 v26, v50, v50 :: v_dual_fmaak_f32 v45, v44, v45, 0x3e2aaaab
	s_delay_alu instid0(VALU_DEP_1) | instskip(NEXT) | instid1(VALU_DEP_2)
	v_cndmask_b32_e64 v26, v50, v26, s1
	v_fma_f32 v45, v44, v45, 0.5
	s_delay_alu instid0(VALU_DEP_2) | instskip(SKIP_1) | instid1(VALU_DEP_2)
	v_cndmask_b32_e32 v18, 0x7f800000, v26, vcc_lo
	v_cmp_nlt_f32_e32 vcc_lo, 0x42b17217, v19
	v_cvt_f16_f32_e32 v18, v18
	v_cndmask_b32_e32 v19, 0x7f800000, v27, vcc_lo
	v_cmp_nlt_f32_e32 vcc_lo, 0x42b17217, v20
	v_mul_f32_e32 v45, v44, v45
	s_delay_alu instid0(VALU_DEP_3) | instskip(SKIP_1) | instid1(VALU_DEP_3)
	v_cvt_f16_f32_e32 v19, v19
	v_cndmask_b32_e32 v20, 0x7f800000, v28, vcc_lo
	v_dual_fmac_f32 v44, v44, v45 :: v_dual_fmac_f32 v53, v29, v42
	v_cmp_nlt_f32_e32 vcc_lo, 0x42b17217, v21
	s_delay_alu instid0(VALU_DEP_3) | instskip(NEXT) | instid1(VALU_DEP_3)
	v_cvt_f16_f32_e32 v20, v20
	v_dual_fmac_f32 v54, v30, v44 :: v_dual_add_f32 v29, v53, v53
	v_fmac_f32_e32 v55, v31, v46
	s_delay_alu instid0(VALU_DEP_2) | instskip(NEXT) | instid1(VALU_DEP_3)
	v_add_f32_e32 v30, v54, v54
	v_cndmask_b32_e64 v29, v53, v29, s4
	s_delay_alu instid0(VALU_DEP_3) | instskip(NEXT) | instid1(VALU_DEP_3)
	v_add_f32_e32 v31, v55, v55
	v_cndmask_b32_e64 v30, v54, v30, s5
	s_delay_alu instid0(VALU_DEP_3) | instskip(SKIP_1) | instid1(VALU_DEP_4)
	v_cndmask_b32_e32 v21, 0x7f800000, v29, vcc_lo
	v_cmp_nlt_f32_e32 vcc_lo, 0x42b17217, v22
	v_cndmask_b32_e64 v31, v55, v31, s6
	s_delay_alu instid0(VALU_DEP_3) | instskip(SKIP_2) | instid1(VALU_DEP_2)
	v_cvt_f16_f32_e32 v21, v21
	v_cndmask_b32_e32 v22, 0x7f800000, v30, vcc_lo
	v_cmp_nlt_f32_e32 vcc_lo, 0x42b17217, v23
	v_cvt_f16_f32_e32 v22, v22
	v_cndmask_b32_e32 v23, 0x7f800000, v31, vcc_lo
	v_cmp_ngt_f16_e32 vcc_lo, 0xcc40, v2
	s_delay_alu instid0(VALU_DEP_2)
	v_cvt_f16_f32_e32 v23, v23
	v_cndmask_b32_e32 v2, 0xbc00, v16, vcc_lo
	v_cmp_ngt_f16_e32 vcc_lo, 0xcc40, v4
	v_cndmask_b32_e32 v4, 0xbc00, v17, vcc_lo
	v_cmp_ngt_f16_e32 vcc_lo, 0xcc40, v6
	;; [unrolled: 2-line block ×7, first 2 shown]
	v_cndmask_b32_e32 v15, 0xbc00, v23, vcc_lo
	s_clause 0x7
	global_store_b16 v0, v2, s[8:9]
	global_store_b16 v1, v4, s[8:9]
	;; [unrolled: 1-line block ×8, first 2 shown]
	s_nop 0
	s_sendmsg sendmsg(MSG_DEALLOC_VGPRS)
	s_endpgm
.LBB159_121:
	v_dual_mov_b32 v2, v12 :: v_dual_mov_b32 v1, 0
.LBB159_122:
	s_and_b32 s34, s34, 3
	s_delay_alu instid0(SALU_CYCLE_1)
	s_cmp_eq_u32 s34, 0
	s_cbranch_scc1 .LBB159_125
; %bb.123:
	s_lshl_b32 s18, s33, 3
	s_mul_i32 s20, s33, 12
	s_add_u32 s18, s18, s0
	s_addc_u32 s19, s1, 0
	s_add_u32 s18, s18, 0xc4
	s_addc_u32 s19, s19, 0
	s_add_u32 s20, s0, s20
	s_addc_u32 s21, s1, 0
	.p2align	6
.LBB159_124:                            ; =>This Inner Loop Header: Depth=1
	s_clause 0x1
	s_load_b64 s[36:37], s[20:21], 0x4
	s_load_b32 s33, s[20:21], 0xc
	s_load_b64 s[38:39], s[18:19], 0x0
	s_add_u32 s20, s20, 12
	s_addc_u32 s21, s21, 0
	s_add_u32 s18, s18, 8
	s_addc_u32 s19, s19, 0
	s_add_i32 s34, s34, -1
	s_delay_alu instid0(SALU_CYCLE_1) | instskip(SKIP_2) | instid1(VALU_DEP_1)
	s_cmp_lg_u32 s34, 0
	s_waitcnt lgkmcnt(0)
	v_mul_hi_u32 v3, s37, v2
	v_add_nc_u32_e32 v3, v2, v3
	s_delay_alu instid0(VALU_DEP_1) | instskip(NEXT) | instid1(VALU_DEP_1)
	v_lshrrev_b32_e32 v6, s33, v3
	v_mul_lo_u32 v3, v6, s36
	s_delay_alu instid0(VALU_DEP_1) | instskip(NEXT) | instid1(VALU_DEP_1)
	v_sub_nc_u32_e32 v2, v2, v3
	v_mad_u64_u32 v[3:4], null, v2, s38, v[0:1]
	v_mad_u64_u32 v[4:5], null, v2, s39, v[1:2]
	v_mov_b32_e32 v2, v6
	s_delay_alu instid0(VALU_DEP_2)
	v_dual_mov_b32 v0, v3 :: v_dual_mov_b32 v1, v4
	s_cbranch_scc1 .LBB159_124
.LBB159_125:
	s_and_not1_b32 vcc_lo, exec_lo, s31
	s_cbranch_vccnz .LBB159_128
; %bb.126:
	s_waitcnt lgkmcnt(0)
	v_mul_hi_u32 v0, s13, v12
	s_and_not1_b32 vcc_lo, exec_lo, s26
	s_delay_alu instid0(VALU_DEP_1) | instskip(NEXT) | instid1(VALU_DEP_1)
	v_add_nc_u32_e32 v0, v12, v0
	v_lshrrev_b32_e32 v2, s14, v0
	s_delay_alu instid0(VALU_DEP_1) | instskip(NEXT) | instid1(VALU_DEP_1)
	v_mul_lo_u32 v0, v2, s12
	v_sub_nc_u32_e32 v1, v12, v0
	s_delay_alu instid0(VALU_DEP_1)
	v_mul_lo_u32 v0, v1, s8
	v_mul_lo_u32 v1, v1, s9
	s_cbranch_vccnz .LBB159_128
; %bb.127:
	v_mul_hi_u32 v3, s2, v2
	s_delay_alu instid0(VALU_DEP_1) | instskip(NEXT) | instid1(VALU_DEP_1)
	v_add_nc_u32_e32 v3, v2, v3
	v_lshrrev_b32_e32 v3, s3, v3
	s_delay_alu instid0(VALU_DEP_1) | instskip(NEXT) | instid1(VALU_DEP_1)
	v_mul_lo_u32 v3, v3, s15
	v_sub_nc_u32_e32 v5, v2, v3
	s_delay_alu instid0(VALU_DEP_1) | instskip(NEXT) | instid1(VALU_DEP_1)
	v_mad_u64_u32 v[2:3], null, v5, s10, v[0:1]
	v_mad_u64_u32 v[3:4], null, v5, s11, v[1:2]
	s_delay_alu instid0(VALU_DEP_1)
	v_dual_mov_b32 v0, v2 :: v_dual_mov_b32 v1, v3
.LBB159_128:
	s_waitcnt lgkmcnt(0)
	global_load_u16 v1, v1, s[6:7]
	s_mov_b32 s18, 0xbf317218
	v_add_nc_u32_e32 v12, 0x80, v12
	s_waitcnt vmcnt(0)
	v_cvt_f32_f16_e32 v2, v1
	s_delay_alu instid0(VALU_DEP_1) | instskip(NEXT) | instid1(VALU_DEP_1)
	v_mul_f32_e32 v3, 0x3fb8aa3b, v2
	v_rndne_f32_e32 v3, v3
	s_delay_alu instid0(VALU_DEP_1) | instskip(SKIP_3) | instid1(VALU_DEP_3)
	v_fma_mix_f32 v4, v3, s18, v1 op_sel_hi:[0,0,1]
	s_mov_b32 s18, 0x395133b1
	v_cvt_i32_f32_e32 v6, v3
	v_cmp_eq_f32_e32 vcc_lo, 0x43000000, v3
	v_fmamk_f32 v4, v3, 0x3102e308, v4
	s_delay_alu instid0(VALU_DEP_3) | instskip(NEXT) | instid1(VALU_DEP_2)
	v_cndmask_b32_e64 v3, v6, 0x7f, vcc_lo
	v_fmaak_f32 v5, s18, v4, 0x3ab69700
	s_delay_alu instid0(VALU_DEP_2) | instskip(NEXT) | instid1(VALU_DEP_2)
	v_ldexp_f32 v3, 1.0, v3
	v_fmaak_f32 v5, v4, v5, 0x3c0887f9
	s_delay_alu instid0(VALU_DEP_1) | instskip(NEXT) | instid1(VALU_DEP_1)
	v_fmaak_f32 v5, v4, v5, 0x3d2aaa81
	v_fmaak_f32 v5, v4, v5, 0x3e2aaaab
	s_delay_alu instid0(VALU_DEP_1) | instskip(NEXT) | instid1(VALU_DEP_1)
	v_fma_f32 v5, v4, v5, 0.5
	v_mul_f32_e32 v5, v4, v5
	s_delay_alu instid0(VALU_DEP_1) | instskip(NEXT) | instid1(VALU_DEP_1)
	v_dual_fmac_f32 v4, v4, v5 :: v_dual_add_f32 v5, -1.0, v3
	v_fmac_f32_e32 v5, v3, v4
	s_delay_alu instid0(VALU_DEP_1) | instskip(NEXT) | instid1(VALU_DEP_1)
	v_add_f32_e32 v3, v5, v5
	v_cndmask_b32_e32 v3, v5, v3, vcc_lo
	v_cmp_nlt_f32_e32 vcc_lo, 0x42b17217, v2
	s_delay_alu instid0(VALU_DEP_2) | instskip(SKIP_1) | instid1(VALU_DEP_2)
	v_cndmask_b32_e32 v2, 0x7f800000, v3, vcc_lo
	v_cmp_ngt_f16_e32 vcc_lo, 0xcc40, v1
	v_cvt_f16_f32_e32 v2, v2
	s_delay_alu instid0(VALU_DEP_1) | instskip(SKIP_2) | instid1(SALU_CYCLE_1)
	v_cndmask_b32_e32 v1, 0xbc00, v2, vcc_lo
	global_store_b16 v0, v1, s[4:5]
	s_or_b32 exec_lo, exec_lo, s30
	s_mov_b32 s30, exec_lo
	v_cmpx_gt_i32_e64 s27, v12
	s_cbranch_execnz .LBB159_15
.LBB159_129:
	s_or_b32 exec_lo, exec_lo, s30
	s_delay_alu instid0(SALU_CYCLE_1)
	s_mov_b32 s30, exec_lo
	v_cmpx_gt_i32_e64 s27, v12
	s_cbranch_execz .LBB159_144
.LBB159_130:
	s_and_not1_b32 vcc_lo, exec_lo, s24
	s_cbranch_vccnz .LBB159_135
; %bb.131:
	v_dual_mov_b32 v0, 0 :: v_dual_mov_b32 v1, 0
	s_and_not1_b32 vcc_lo, exec_lo, s29
	s_mov_b32 s31, 0
	s_cbranch_vccnz .LBB159_155
; %bb.132:
	v_mov_b32_e32 v0, 0
	s_add_i32 s34, s28, 1
	s_cmp_eq_u32 s23, 2
	s_mov_b32 s33, 0
	s_cbranch_scc1 .LBB159_151
; %bb.133:
	v_dual_mov_b32 v1, 0 :: v_dual_mov_b32 v0, 0
	v_mov_b32_e32 v2, v12
	s_and_b32 s33, s34, 28
	s_mov_b32 s35, 0
	s_mov_b64 s[18:19], s[16:17]
	s_mov_b64 s[20:21], s[0:1]
.LBB159_134:                            ; =>This Inner Loop Header: Depth=1
	s_clause 0x1
	s_load_b256 s[36:43], s[20:21], 0x4
	s_load_b128 s[52:55], s[20:21], 0x24
	s_load_b256 s[44:51], s[18:19], 0x0
	s_add_u32 s20, s20, 48
	s_addc_u32 s21, s21, 0
	s_add_i32 s35, s35, 4
	s_add_u32 s18, s18, 32
	s_addc_u32 s19, s19, 0
	s_cmp_eq_u32 s33, s35
	s_waitcnt lgkmcnt(0)
	v_mul_hi_u32 v3, s37, v2
	s_delay_alu instid0(VALU_DEP_1) | instskip(NEXT) | instid1(VALU_DEP_1)
	v_add_nc_u32_e32 v3, v2, v3
	v_lshrrev_b32_e32 v3, s38, v3
	s_delay_alu instid0(VALU_DEP_1) | instskip(SKIP_1) | instid1(VALU_DEP_2)
	v_mul_hi_u32 v4, s40, v3
	v_mul_lo_u32 v6, v3, s36
	v_add_nc_u32_e32 v4, v3, v4
	s_delay_alu instid0(VALU_DEP_2) | instskip(NEXT) | instid1(VALU_DEP_2)
	v_sub_nc_u32_e32 v2, v2, v6
	v_lshrrev_b32_e32 v4, s41, v4
	s_delay_alu instid0(VALU_DEP_2) | instskip(SKIP_1) | instid1(VALU_DEP_3)
	v_mul_lo_u32 v6, v2, s44
	v_mul_lo_u32 v8, v2, s45
	v_mul_hi_u32 v5, s43, v4
	s_delay_alu instid0(VALU_DEP_1) | instskip(NEXT) | instid1(VALU_DEP_1)
	v_add_nc_u32_e32 v5, v4, v5
	v_lshrrev_b32_e32 v5, s52, v5
	s_delay_alu instid0(VALU_DEP_1) | instskip(SKIP_1) | instid1(VALU_DEP_2)
	v_mul_hi_u32 v7, s54, v5
	v_mul_lo_u32 v9, v5, s42
	v_add_nc_u32_e32 v2, v5, v7
	v_mul_lo_u32 v7, v4, s39
	s_delay_alu instid0(VALU_DEP_3) | instskip(NEXT) | instid1(VALU_DEP_3)
	v_sub_nc_u32_e32 v4, v4, v9
	v_lshrrev_b32_e32 v2, s55, v2
	s_delay_alu instid0(VALU_DEP_2) | instskip(SKIP_2) | instid1(VALU_DEP_4)
	v_mul_lo_u32 v9, v4, s48
	v_mul_lo_u32 v4, v4, s49
	v_sub_nc_u32_e32 v3, v3, v7
	v_mul_lo_u32 v10, v2, s53
	s_delay_alu instid0(VALU_DEP_2) | instskip(SKIP_1) | instid1(VALU_DEP_3)
	v_mul_lo_u32 v7, v3, s46
	v_mul_lo_u32 v3, v3, s47
	v_sub_nc_u32_e32 v5, v5, v10
	s_delay_alu instid0(VALU_DEP_3) | instskip(NEXT) | instid1(VALU_DEP_2)
	v_add3_u32 v0, v6, v0, v7
	v_mul_lo_u32 v10, v5, s50
	v_mul_lo_u32 v5, v5, s51
	v_add3_u32 v1, v8, v1, v3
	s_delay_alu instid0(VALU_DEP_3) | instskip(NEXT) | instid1(VALU_DEP_2)
	v_add3_u32 v0, v9, v0, v10
	v_add3_u32 v1, v4, v1, v5
	s_cbranch_scc0 .LBB159_134
	s_branch .LBB159_152
.LBB159_135:
	s_mov_b32 s31, -1
                                        ; implicit-def: $vgpr0
                                        ; implicit-def: $vgpr1
	s_branch .LBB159_155
.LBB159_136:
	v_dual_mov_b32 v2, v12 :: v_dual_mov_b32 v1, 0
.LBB159_137:
	s_and_b32 s34, s34, 3
	s_delay_alu instid0(SALU_CYCLE_1)
	s_cmp_eq_u32 s34, 0
	s_cbranch_scc1 .LBB159_140
; %bb.138:
	s_lshl_b32 s18, s33, 3
	s_mul_i32 s20, s33, 12
	s_add_u32 s18, s18, s0
	s_addc_u32 s19, s1, 0
	s_add_u32 s18, s18, 0xc4
	s_addc_u32 s19, s19, 0
	;; [unrolled: 2-line block ×3, first 2 shown]
	.p2align	6
.LBB159_139:                            ; =>This Inner Loop Header: Depth=1
	s_clause 0x1
	s_load_b64 s[36:37], s[20:21], 0x4
	s_load_b32 s33, s[20:21], 0xc
	s_load_b64 s[38:39], s[18:19], 0x0
	s_add_u32 s20, s20, 12
	s_addc_u32 s21, s21, 0
	s_add_u32 s18, s18, 8
	s_addc_u32 s19, s19, 0
	s_add_i32 s34, s34, -1
	s_delay_alu instid0(SALU_CYCLE_1) | instskip(SKIP_2) | instid1(VALU_DEP_1)
	s_cmp_lg_u32 s34, 0
	s_waitcnt lgkmcnt(0)
	v_mul_hi_u32 v3, s37, v2
	v_add_nc_u32_e32 v3, v2, v3
	s_delay_alu instid0(VALU_DEP_1) | instskip(NEXT) | instid1(VALU_DEP_1)
	v_lshrrev_b32_e32 v6, s33, v3
	v_mul_lo_u32 v3, v6, s36
	s_delay_alu instid0(VALU_DEP_1) | instskip(NEXT) | instid1(VALU_DEP_1)
	v_sub_nc_u32_e32 v2, v2, v3
	v_mad_u64_u32 v[3:4], null, v2, s38, v[0:1]
	v_mad_u64_u32 v[4:5], null, v2, s39, v[1:2]
	v_mov_b32_e32 v2, v6
	s_delay_alu instid0(VALU_DEP_2)
	v_dual_mov_b32 v0, v3 :: v_dual_mov_b32 v1, v4
	s_cbranch_scc1 .LBB159_139
.LBB159_140:
	s_and_not1_b32 vcc_lo, exec_lo, s31
	s_cbranch_vccnz .LBB159_143
; %bb.141:
	s_waitcnt lgkmcnt(0)
	v_mul_hi_u32 v0, s13, v12
	s_and_not1_b32 vcc_lo, exec_lo, s26
	s_delay_alu instid0(VALU_DEP_1) | instskip(NEXT) | instid1(VALU_DEP_1)
	v_add_nc_u32_e32 v0, v12, v0
	v_lshrrev_b32_e32 v2, s14, v0
	s_delay_alu instid0(VALU_DEP_1) | instskip(NEXT) | instid1(VALU_DEP_1)
	v_mul_lo_u32 v0, v2, s12
	v_sub_nc_u32_e32 v1, v12, v0
	s_delay_alu instid0(VALU_DEP_1)
	v_mul_lo_u32 v0, v1, s8
	v_mul_lo_u32 v1, v1, s9
	s_cbranch_vccnz .LBB159_143
; %bb.142:
	v_mul_hi_u32 v3, s2, v2
	s_delay_alu instid0(VALU_DEP_1) | instskip(NEXT) | instid1(VALU_DEP_1)
	v_add_nc_u32_e32 v3, v2, v3
	v_lshrrev_b32_e32 v3, s3, v3
	s_delay_alu instid0(VALU_DEP_1) | instskip(NEXT) | instid1(VALU_DEP_1)
	v_mul_lo_u32 v3, v3, s15
	v_sub_nc_u32_e32 v5, v2, v3
	s_delay_alu instid0(VALU_DEP_1) | instskip(NEXT) | instid1(VALU_DEP_1)
	v_mad_u64_u32 v[2:3], null, v5, s10, v[0:1]
	v_mad_u64_u32 v[3:4], null, v5, s11, v[1:2]
	s_delay_alu instid0(VALU_DEP_1)
	v_dual_mov_b32 v0, v2 :: v_dual_mov_b32 v1, v3
.LBB159_143:
	s_waitcnt lgkmcnt(0)
	global_load_u16 v1, v1, s[6:7]
	s_mov_b32 s18, 0xbf317218
	v_add_nc_u32_e32 v12, 0x80, v12
	s_waitcnt vmcnt(0)
	v_cvt_f32_f16_e32 v2, v1
	s_delay_alu instid0(VALU_DEP_1) | instskip(NEXT) | instid1(VALU_DEP_1)
	v_mul_f32_e32 v3, 0x3fb8aa3b, v2
	v_rndne_f32_e32 v3, v3
	s_delay_alu instid0(VALU_DEP_1) | instskip(SKIP_3) | instid1(VALU_DEP_3)
	v_fma_mix_f32 v4, v3, s18, v1 op_sel_hi:[0,0,1]
	s_mov_b32 s18, 0x395133b1
	v_cvt_i32_f32_e32 v6, v3
	v_cmp_eq_f32_e32 vcc_lo, 0x43000000, v3
	v_fmamk_f32 v4, v3, 0x3102e308, v4
	s_delay_alu instid0(VALU_DEP_3) | instskip(NEXT) | instid1(VALU_DEP_2)
	v_cndmask_b32_e64 v3, v6, 0x7f, vcc_lo
	v_fmaak_f32 v5, s18, v4, 0x3ab69700
	s_delay_alu instid0(VALU_DEP_2) | instskip(NEXT) | instid1(VALU_DEP_2)
	v_ldexp_f32 v3, 1.0, v3
	v_fmaak_f32 v5, v4, v5, 0x3c0887f9
	s_delay_alu instid0(VALU_DEP_1) | instskip(NEXT) | instid1(VALU_DEP_1)
	v_fmaak_f32 v5, v4, v5, 0x3d2aaa81
	v_fmaak_f32 v5, v4, v5, 0x3e2aaaab
	s_delay_alu instid0(VALU_DEP_1) | instskip(NEXT) | instid1(VALU_DEP_1)
	v_fma_f32 v5, v4, v5, 0.5
	v_mul_f32_e32 v5, v4, v5
	s_delay_alu instid0(VALU_DEP_1) | instskip(NEXT) | instid1(VALU_DEP_1)
	v_dual_fmac_f32 v4, v4, v5 :: v_dual_add_f32 v5, -1.0, v3
	v_fmac_f32_e32 v5, v3, v4
	s_delay_alu instid0(VALU_DEP_1) | instskip(NEXT) | instid1(VALU_DEP_1)
	v_add_f32_e32 v3, v5, v5
	v_cndmask_b32_e32 v3, v5, v3, vcc_lo
	v_cmp_nlt_f32_e32 vcc_lo, 0x42b17217, v2
	s_delay_alu instid0(VALU_DEP_2) | instskip(SKIP_1) | instid1(VALU_DEP_2)
	v_cndmask_b32_e32 v2, 0x7f800000, v3, vcc_lo
	v_cmp_ngt_f16_e32 vcc_lo, 0xcc40, v1
	v_cvt_f16_f32_e32 v2, v2
	s_delay_alu instid0(VALU_DEP_1) | instskip(SKIP_2) | instid1(SALU_CYCLE_1)
	v_cndmask_b32_e32 v1, 0xbc00, v2, vcc_lo
	global_store_b16 v0, v1, s[4:5]
	s_or_b32 exec_lo, exec_lo, s30
	s_mov_b32 s30, exec_lo
	v_cmpx_gt_i32_e64 s27, v12
	s_cbranch_execnz .LBB159_130
.LBB159_144:
	s_or_b32 exec_lo, exec_lo, s30
	s_delay_alu instid0(SALU_CYCLE_1)
	s_mov_b32 s30, exec_lo
	v_cmpx_gt_i32_e64 s27, v12
	s_cbranch_execz .LBB159_159
.LBB159_145:
	s_and_not1_b32 vcc_lo, exec_lo, s24
	s_cbranch_vccnz .LBB159_150
; %bb.146:
	v_dual_mov_b32 v0, 0 :: v_dual_mov_b32 v1, 0
	s_and_not1_b32 vcc_lo, exec_lo, s29
	s_mov_b32 s31, 0
	s_cbranch_vccnz .LBB159_170
; %bb.147:
	v_mov_b32_e32 v0, 0
	s_add_i32 s34, s28, 1
	s_cmp_eq_u32 s23, 2
	s_mov_b32 s33, 0
	s_cbranch_scc1 .LBB159_166
; %bb.148:
	v_dual_mov_b32 v1, 0 :: v_dual_mov_b32 v0, 0
	v_mov_b32_e32 v2, v12
	s_and_b32 s33, s34, 28
	s_mov_b32 s35, 0
	s_mov_b64 s[18:19], s[16:17]
	s_mov_b64 s[20:21], s[0:1]
.LBB159_149:                            ; =>This Inner Loop Header: Depth=1
	s_clause 0x1
	s_load_b256 s[36:43], s[20:21], 0x4
	s_load_b128 s[52:55], s[20:21], 0x24
	s_load_b256 s[44:51], s[18:19], 0x0
	s_add_u32 s20, s20, 48
	s_addc_u32 s21, s21, 0
	s_add_i32 s35, s35, 4
	s_add_u32 s18, s18, 32
	s_addc_u32 s19, s19, 0
	s_cmp_eq_u32 s33, s35
	s_waitcnt lgkmcnt(0)
	v_mul_hi_u32 v3, s37, v2
	s_delay_alu instid0(VALU_DEP_1) | instskip(NEXT) | instid1(VALU_DEP_1)
	v_add_nc_u32_e32 v3, v2, v3
	v_lshrrev_b32_e32 v3, s38, v3
	s_delay_alu instid0(VALU_DEP_1) | instskip(SKIP_1) | instid1(VALU_DEP_2)
	v_mul_hi_u32 v4, s40, v3
	v_mul_lo_u32 v6, v3, s36
	v_add_nc_u32_e32 v4, v3, v4
	s_delay_alu instid0(VALU_DEP_2) | instskip(NEXT) | instid1(VALU_DEP_2)
	v_sub_nc_u32_e32 v2, v2, v6
	v_lshrrev_b32_e32 v4, s41, v4
	s_delay_alu instid0(VALU_DEP_2) | instskip(SKIP_1) | instid1(VALU_DEP_3)
	v_mul_lo_u32 v6, v2, s44
	v_mul_lo_u32 v8, v2, s45
	v_mul_hi_u32 v5, s43, v4
	s_delay_alu instid0(VALU_DEP_1) | instskip(NEXT) | instid1(VALU_DEP_1)
	v_add_nc_u32_e32 v5, v4, v5
	v_lshrrev_b32_e32 v5, s52, v5
	s_delay_alu instid0(VALU_DEP_1) | instskip(SKIP_1) | instid1(VALU_DEP_2)
	v_mul_hi_u32 v7, s54, v5
	v_mul_lo_u32 v9, v5, s42
	v_add_nc_u32_e32 v2, v5, v7
	v_mul_lo_u32 v7, v4, s39
	s_delay_alu instid0(VALU_DEP_3) | instskip(NEXT) | instid1(VALU_DEP_3)
	v_sub_nc_u32_e32 v4, v4, v9
	v_lshrrev_b32_e32 v2, s55, v2
	s_delay_alu instid0(VALU_DEP_2) | instskip(SKIP_2) | instid1(VALU_DEP_4)
	v_mul_lo_u32 v9, v4, s48
	v_mul_lo_u32 v4, v4, s49
	v_sub_nc_u32_e32 v3, v3, v7
	v_mul_lo_u32 v10, v2, s53
	s_delay_alu instid0(VALU_DEP_2) | instskip(SKIP_1) | instid1(VALU_DEP_3)
	v_mul_lo_u32 v7, v3, s46
	v_mul_lo_u32 v3, v3, s47
	v_sub_nc_u32_e32 v5, v5, v10
	s_delay_alu instid0(VALU_DEP_3) | instskip(NEXT) | instid1(VALU_DEP_2)
	v_add3_u32 v0, v6, v0, v7
	v_mul_lo_u32 v10, v5, s50
	v_mul_lo_u32 v5, v5, s51
	v_add3_u32 v1, v8, v1, v3
	s_delay_alu instid0(VALU_DEP_3) | instskip(NEXT) | instid1(VALU_DEP_2)
	v_add3_u32 v0, v9, v0, v10
	v_add3_u32 v1, v4, v1, v5
	s_cbranch_scc0 .LBB159_149
	s_branch .LBB159_167
.LBB159_150:
	s_mov_b32 s31, -1
                                        ; implicit-def: $vgpr0
                                        ; implicit-def: $vgpr1
	s_branch .LBB159_170
.LBB159_151:
	v_dual_mov_b32 v2, v12 :: v_dual_mov_b32 v1, 0
.LBB159_152:
	s_and_b32 s34, s34, 3
	s_delay_alu instid0(SALU_CYCLE_1)
	s_cmp_eq_u32 s34, 0
	s_cbranch_scc1 .LBB159_155
; %bb.153:
	s_lshl_b32 s18, s33, 3
	s_mul_i32 s20, s33, 12
	s_add_u32 s18, s18, s0
	s_addc_u32 s19, s1, 0
	s_add_u32 s18, s18, 0xc4
	s_addc_u32 s19, s19, 0
	;; [unrolled: 2-line block ×3, first 2 shown]
	.p2align	6
.LBB159_154:                            ; =>This Inner Loop Header: Depth=1
	s_clause 0x1
	s_load_b64 s[36:37], s[20:21], 0x4
	s_load_b32 s33, s[20:21], 0xc
	s_load_b64 s[38:39], s[18:19], 0x0
	s_add_u32 s20, s20, 12
	s_addc_u32 s21, s21, 0
	s_add_u32 s18, s18, 8
	s_addc_u32 s19, s19, 0
	s_add_i32 s34, s34, -1
	s_delay_alu instid0(SALU_CYCLE_1) | instskip(SKIP_2) | instid1(VALU_DEP_1)
	s_cmp_lg_u32 s34, 0
	s_waitcnt lgkmcnt(0)
	v_mul_hi_u32 v3, s37, v2
	v_add_nc_u32_e32 v3, v2, v3
	s_delay_alu instid0(VALU_DEP_1) | instskip(NEXT) | instid1(VALU_DEP_1)
	v_lshrrev_b32_e32 v6, s33, v3
	v_mul_lo_u32 v3, v6, s36
	s_delay_alu instid0(VALU_DEP_1) | instskip(NEXT) | instid1(VALU_DEP_1)
	v_sub_nc_u32_e32 v2, v2, v3
	v_mad_u64_u32 v[3:4], null, v2, s38, v[0:1]
	v_mad_u64_u32 v[4:5], null, v2, s39, v[1:2]
	v_mov_b32_e32 v2, v6
	s_delay_alu instid0(VALU_DEP_2)
	v_dual_mov_b32 v0, v3 :: v_dual_mov_b32 v1, v4
	s_cbranch_scc1 .LBB159_154
.LBB159_155:
	s_and_not1_b32 vcc_lo, exec_lo, s31
	s_cbranch_vccnz .LBB159_158
; %bb.156:
	s_waitcnt lgkmcnt(0)
	v_mul_hi_u32 v0, s13, v12
	s_and_not1_b32 vcc_lo, exec_lo, s26
	s_delay_alu instid0(VALU_DEP_1) | instskip(NEXT) | instid1(VALU_DEP_1)
	v_add_nc_u32_e32 v0, v12, v0
	v_lshrrev_b32_e32 v2, s14, v0
	s_delay_alu instid0(VALU_DEP_1) | instskip(NEXT) | instid1(VALU_DEP_1)
	v_mul_lo_u32 v0, v2, s12
	v_sub_nc_u32_e32 v1, v12, v0
	s_delay_alu instid0(VALU_DEP_1)
	v_mul_lo_u32 v0, v1, s8
	v_mul_lo_u32 v1, v1, s9
	s_cbranch_vccnz .LBB159_158
; %bb.157:
	v_mul_hi_u32 v3, s2, v2
	s_delay_alu instid0(VALU_DEP_1) | instskip(NEXT) | instid1(VALU_DEP_1)
	v_add_nc_u32_e32 v3, v2, v3
	v_lshrrev_b32_e32 v3, s3, v3
	s_delay_alu instid0(VALU_DEP_1) | instskip(NEXT) | instid1(VALU_DEP_1)
	v_mul_lo_u32 v3, v3, s15
	v_sub_nc_u32_e32 v5, v2, v3
	s_delay_alu instid0(VALU_DEP_1) | instskip(NEXT) | instid1(VALU_DEP_1)
	v_mad_u64_u32 v[2:3], null, v5, s10, v[0:1]
	v_mad_u64_u32 v[3:4], null, v5, s11, v[1:2]
	s_delay_alu instid0(VALU_DEP_1)
	v_dual_mov_b32 v0, v2 :: v_dual_mov_b32 v1, v3
.LBB159_158:
	s_waitcnt lgkmcnt(0)
	global_load_u16 v1, v1, s[6:7]
	s_mov_b32 s18, 0xbf317218
	v_add_nc_u32_e32 v12, 0x80, v12
	s_waitcnt vmcnt(0)
	v_cvt_f32_f16_e32 v2, v1
	s_delay_alu instid0(VALU_DEP_1) | instskip(NEXT) | instid1(VALU_DEP_1)
	v_mul_f32_e32 v3, 0x3fb8aa3b, v2
	v_rndne_f32_e32 v3, v3
	s_delay_alu instid0(VALU_DEP_1) | instskip(SKIP_3) | instid1(VALU_DEP_3)
	v_fma_mix_f32 v4, v3, s18, v1 op_sel_hi:[0,0,1]
	s_mov_b32 s18, 0x395133b1
	v_cvt_i32_f32_e32 v6, v3
	v_cmp_eq_f32_e32 vcc_lo, 0x43000000, v3
	v_fmamk_f32 v4, v3, 0x3102e308, v4
	s_delay_alu instid0(VALU_DEP_3) | instskip(NEXT) | instid1(VALU_DEP_2)
	v_cndmask_b32_e64 v3, v6, 0x7f, vcc_lo
	v_fmaak_f32 v5, s18, v4, 0x3ab69700
	s_delay_alu instid0(VALU_DEP_2) | instskip(NEXT) | instid1(VALU_DEP_2)
	v_ldexp_f32 v3, 1.0, v3
	v_fmaak_f32 v5, v4, v5, 0x3c0887f9
	s_delay_alu instid0(VALU_DEP_1) | instskip(NEXT) | instid1(VALU_DEP_1)
	v_fmaak_f32 v5, v4, v5, 0x3d2aaa81
	v_fmaak_f32 v5, v4, v5, 0x3e2aaaab
	s_delay_alu instid0(VALU_DEP_1) | instskip(NEXT) | instid1(VALU_DEP_1)
	v_fma_f32 v5, v4, v5, 0.5
	v_mul_f32_e32 v5, v4, v5
	s_delay_alu instid0(VALU_DEP_1) | instskip(NEXT) | instid1(VALU_DEP_1)
	v_dual_fmac_f32 v4, v4, v5 :: v_dual_add_f32 v5, -1.0, v3
	v_fmac_f32_e32 v5, v3, v4
	s_delay_alu instid0(VALU_DEP_1) | instskip(NEXT) | instid1(VALU_DEP_1)
	v_add_f32_e32 v3, v5, v5
	v_cndmask_b32_e32 v3, v5, v3, vcc_lo
	v_cmp_nlt_f32_e32 vcc_lo, 0x42b17217, v2
	s_delay_alu instid0(VALU_DEP_2) | instskip(SKIP_1) | instid1(VALU_DEP_2)
	v_cndmask_b32_e32 v2, 0x7f800000, v3, vcc_lo
	v_cmp_ngt_f16_e32 vcc_lo, 0xcc40, v1
	v_cvt_f16_f32_e32 v2, v2
	s_delay_alu instid0(VALU_DEP_1) | instskip(SKIP_2) | instid1(SALU_CYCLE_1)
	v_cndmask_b32_e32 v1, 0xbc00, v2, vcc_lo
	global_store_b16 v0, v1, s[4:5]
	s_or_b32 exec_lo, exec_lo, s30
	s_mov_b32 s30, exec_lo
	v_cmpx_gt_i32_e64 s27, v12
	s_cbranch_execnz .LBB159_145
.LBB159_159:
	s_or_b32 exec_lo, exec_lo, s30
	s_delay_alu instid0(SALU_CYCLE_1)
	s_mov_b32 s30, exec_lo
	v_cmpx_gt_i32_e64 s27, v12
	s_cbranch_execz .LBB159_174
.LBB159_160:
	s_and_not1_b32 vcc_lo, exec_lo, s24
	s_cbranch_vccnz .LBB159_165
; %bb.161:
	v_dual_mov_b32 v0, 0 :: v_dual_mov_b32 v1, 0
	s_and_not1_b32 vcc_lo, exec_lo, s29
	s_mov_b32 s31, 0
	s_cbranch_vccnz .LBB159_185
; %bb.162:
	v_mov_b32_e32 v0, 0
	s_add_i32 s34, s28, 1
	s_cmp_eq_u32 s23, 2
	s_mov_b32 s33, 0
	s_cbranch_scc1 .LBB159_181
; %bb.163:
	v_dual_mov_b32 v1, 0 :: v_dual_mov_b32 v0, 0
	v_mov_b32_e32 v2, v12
	s_and_b32 s33, s34, 28
	s_mov_b32 s35, 0
	s_mov_b64 s[18:19], s[16:17]
	s_mov_b64 s[20:21], s[0:1]
.LBB159_164:                            ; =>This Inner Loop Header: Depth=1
	s_clause 0x1
	s_load_b256 s[36:43], s[20:21], 0x4
	s_load_b128 s[52:55], s[20:21], 0x24
	s_load_b256 s[44:51], s[18:19], 0x0
	s_add_u32 s20, s20, 48
	s_addc_u32 s21, s21, 0
	s_add_i32 s35, s35, 4
	s_add_u32 s18, s18, 32
	s_addc_u32 s19, s19, 0
	s_cmp_eq_u32 s33, s35
	s_waitcnt lgkmcnt(0)
	v_mul_hi_u32 v3, s37, v2
	s_delay_alu instid0(VALU_DEP_1) | instskip(NEXT) | instid1(VALU_DEP_1)
	v_add_nc_u32_e32 v3, v2, v3
	v_lshrrev_b32_e32 v3, s38, v3
	s_delay_alu instid0(VALU_DEP_1) | instskip(SKIP_1) | instid1(VALU_DEP_2)
	v_mul_hi_u32 v4, s40, v3
	v_mul_lo_u32 v6, v3, s36
	v_add_nc_u32_e32 v4, v3, v4
	s_delay_alu instid0(VALU_DEP_2) | instskip(NEXT) | instid1(VALU_DEP_2)
	v_sub_nc_u32_e32 v2, v2, v6
	v_lshrrev_b32_e32 v4, s41, v4
	s_delay_alu instid0(VALU_DEP_2) | instskip(SKIP_1) | instid1(VALU_DEP_3)
	v_mul_lo_u32 v6, v2, s44
	v_mul_lo_u32 v8, v2, s45
	v_mul_hi_u32 v5, s43, v4
	s_delay_alu instid0(VALU_DEP_1) | instskip(NEXT) | instid1(VALU_DEP_1)
	v_add_nc_u32_e32 v5, v4, v5
	v_lshrrev_b32_e32 v5, s52, v5
	s_delay_alu instid0(VALU_DEP_1) | instskip(SKIP_1) | instid1(VALU_DEP_2)
	v_mul_hi_u32 v7, s54, v5
	v_mul_lo_u32 v9, v5, s42
	v_add_nc_u32_e32 v2, v5, v7
	v_mul_lo_u32 v7, v4, s39
	s_delay_alu instid0(VALU_DEP_3) | instskip(NEXT) | instid1(VALU_DEP_3)
	v_sub_nc_u32_e32 v4, v4, v9
	v_lshrrev_b32_e32 v2, s55, v2
	s_delay_alu instid0(VALU_DEP_2) | instskip(SKIP_2) | instid1(VALU_DEP_4)
	v_mul_lo_u32 v9, v4, s48
	v_mul_lo_u32 v4, v4, s49
	v_sub_nc_u32_e32 v3, v3, v7
	v_mul_lo_u32 v10, v2, s53
	s_delay_alu instid0(VALU_DEP_2) | instskip(SKIP_1) | instid1(VALU_DEP_3)
	v_mul_lo_u32 v7, v3, s46
	v_mul_lo_u32 v3, v3, s47
	v_sub_nc_u32_e32 v5, v5, v10
	s_delay_alu instid0(VALU_DEP_3) | instskip(NEXT) | instid1(VALU_DEP_2)
	v_add3_u32 v0, v6, v0, v7
	v_mul_lo_u32 v10, v5, s50
	v_mul_lo_u32 v5, v5, s51
	v_add3_u32 v1, v8, v1, v3
	s_delay_alu instid0(VALU_DEP_3) | instskip(NEXT) | instid1(VALU_DEP_2)
	v_add3_u32 v0, v9, v0, v10
	v_add3_u32 v1, v4, v1, v5
	s_cbranch_scc0 .LBB159_164
	s_branch .LBB159_182
.LBB159_165:
	s_mov_b32 s31, -1
                                        ; implicit-def: $vgpr0
                                        ; implicit-def: $vgpr1
	s_branch .LBB159_185
.LBB159_166:
	v_dual_mov_b32 v2, v12 :: v_dual_mov_b32 v1, 0
.LBB159_167:
	s_and_b32 s34, s34, 3
	s_delay_alu instid0(SALU_CYCLE_1)
	s_cmp_eq_u32 s34, 0
	s_cbranch_scc1 .LBB159_170
; %bb.168:
	s_lshl_b32 s18, s33, 3
	s_mul_i32 s20, s33, 12
	s_add_u32 s18, s18, s0
	s_addc_u32 s19, s1, 0
	s_add_u32 s18, s18, 0xc4
	s_addc_u32 s19, s19, 0
	;; [unrolled: 2-line block ×3, first 2 shown]
	.p2align	6
.LBB159_169:                            ; =>This Inner Loop Header: Depth=1
	s_clause 0x1
	s_load_b64 s[36:37], s[20:21], 0x4
	s_load_b32 s33, s[20:21], 0xc
	s_load_b64 s[38:39], s[18:19], 0x0
	s_add_u32 s20, s20, 12
	s_addc_u32 s21, s21, 0
	s_add_u32 s18, s18, 8
	s_addc_u32 s19, s19, 0
	s_add_i32 s34, s34, -1
	s_delay_alu instid0(SALU_CYCLE_1) | instskip(SKIP_2) | instid1(VALU_DEP_1)
	s_cmp_lg_u32 s34, 0
	s_waitcnt lgkmcnt(0)
	v_mul_hi_u32 v3, s37, v2
	v_add_nc_u32_e32 v3, v2, v3
	s_delay_alu instid0(VALU_DEP_1) | instskip(NEXT) | instid1(VALU_DEP_1)
	v_lshrrev_b32_e32 v6, s33, v3
	v_mul_lo_u32 v3, v6, s36
	s_delay_alu instid0(VALU_DEP_1) | instskip(NEXT) | instid1(VALU_DEP_1)
	v_sub_nc_u32_e32 v2, v2, v3
	v_mad_u64_u32 v[3:4], null, v2, s38, v[0:1]
	v_mad_u64_u32 v[4:5], null, v2, s39, v[1:2]
	v_mov_b32_e32 v2, v6
	s_delay_alu instid0(VALU_DEP_2)
	v_dual_mov_b32 v0, v3 :: v_dual_mov_b32 v1, v4
	s_cbranch_scc1 .LBB159_169
.LBB159_170:
	s_and_not1_b32 vcc_lo, exec_lo, s31
	s_cbranch_vccnz .LBB159_173
; %bb.171:
	s_waitcnt lgkmcnt(0)
	v_mul_hi_u32 v0, s13, v12
	s_and_not1_b32 vcc_lo, exec_lo, s26
	s_delay_alu instid0(VALU_DEP_1) | instskip(NEXT) | instid1(VALU_DEP_1)
	v_add_nc_u32_e32 v0, v12, v0
	v_lshrrev_b32_e32 v2, s14, v0
	s_delay_alu instid0(VALU_DEP_1) | instskip(NEXT) | instid1(VALU_DEP_1)
	v_mul_lo_u32 v0, v2, s12
	v_sub_nc_u32_e32 v1, v12, v0
	s_delay_alu instid0(VALU_DEP_1)
	v_mul_lo_u32 v0, v1, s8
	v_mul_lo_u32 v1, v1, s9
	s_cbranch_vccnz .LBB159_173
; %bb.172:
	v_mul_hi_u32 v3, s2, v2
	s_delay_alu instid0(VALU_DEP_1) | instskip(NEXT) | instid1(VALU_DEP_1)
	v_add_nc_u32_e32 v3, v2, v3
	v_lshrrev_b32_e32 v3, s3, v3
	s_delay_alu instid0(VALU_DEP_1) | instskip(NEXT) | instid1(VALU_DEP_1)
	v_mul_lo_u32 v3, v3, s15
	v_sub_nc_u32_e32 v5, v2, v3
	s_delay_alu instid0(VALU_DEP_1) | instskip(NEXT) | instid1(VALU_DEP_1)
	v_mad_u64_u32 v[2:3], null, v5, s10, v[0:1]
	v_mad_u64_u32 v[3:4], null, v5, s11, v[1:2]
	s_delay_alu instid0(VALU_DEP_1)
	v_dual_mov_b32 v0, v2 :: v_dual_mov_b32 v1, v3
.LBB159_173:
	s_waitcnt lgkmcnt(0)
	global_load_u16 v1, v1, s[6:7]
	s_mov_b32 s18, 0xbf317218
	v_add_nc_u32_e32 v12, 0x80, v12
	s_waitcnt vmcnt(0)
	v_cvt_f32_f16_e32 v2, v1
	s_delay_alu instid0(VALU_DEP_1) | instskip(NEXT) | instid1(VALU_DEP_1)
	v_mul_f32_e32 v3, 0x3fb8aa3b, v2
	v_rndne_f32_e32 v3, v3
	s_delay_alu instid0(VALU_DEP_1) | instskip(SKIP_3) | instid1(VALU_DEP_3)
	v_fma_mix_f32 v4, v3, s18, v1 op_sel_hi:[0,0,1]
	s_mov_b32 s18, 0x395133b1
	v_cvt_i32_f32_e32 v6, v3
	v_cmp_eq_f32_e32 vcc_lo, 0x43000000, v3
	v_fmamk_f32 v4, v3, 0x3102e308, v4
	s_delay_alu instid0(VALU_DEP_3) | instskip(NEXT) | instid1(VALU_DEP_2)
	v_cndmask_b32_e64 v3, v6, 0x7f, vcc_lo
	v_fmaak_f32 v5, s18, v4, 0x3ab69700
	s_delay_alu instid0(VALU_DEP_2) | instskip(NEXT) | instid1(VALU_DEP_2)
	v_ldexp_f32 v3, 1.0, v3
	v_fmaak_f32 v5, v4, v5, 0x3c0887f9
	s_delay_alu instid0(VALU_DEP_1) | instskip(NEXT) | instid1(VALU_DEP_1)
	v_fmaak_f32 v5, v4, v5, 0x3d2aaa81
	v_fmaak_f32 v5, v4, v5, 0x3e2aaaab
	s_delay_alu instid0(VALU_DEP_1) | instskip(NEXT) | instid1(VALU_DEP_1)
	v_fma_f32 v5, v4, v5, 0.5
	v_mul_f32_e32 v5, v4, v5
	s_delay_alu instid0(VALU_DEP_1) | instskip(NEXT) | instid1(VALU_DEP_1)
	v_dual_fmac_f32 v4, v4, v5 :: v_dual_add_f32 v5, -1.0, v3
	v_fmac_f32_e32 v5, v3, v4
	s_delay_alu instid0(VALU_DEP_1) | instskip(NEXT) | instid1(VALU_DEP_1)
	v_add_f32_e32 v3, v5, v5
	v_cndmask_b32_e32 v3, v5, v3, vcc_lo
	v_cmp_nlt_f32_e32 vcc_lo, 0x42b17217, v2
	s_delay_alu instid0(VALU_DEP_2) | instskip(SKIP_1) | instid1(VALU_DEP_2)
	v_cndmask_b32_e32 v2, 0x7f800000, v3, vcc_lo
	v_cmp_ngt_f16_e32 vcc_lo, 0xcc40, v1
	v_cvt_f16_f32_e32 v2, v2
	s_delay_alu instid0(VALU_DEP_1) | instskip(SKIP_2) | instid1(SALU_CYCLE_1)
	v_cndmask_b32_e32 v1, 0xbc00, v2, vcc_lo
	global_store_b16 v0, v1, s[4:5]
	s_or_b32 exec_lo, exec_lo, s30
	s_mov_b32 s30, exec_lo
	v_cmpx_gt_i32_e64 s27, v12
	s_cbranch_execnz .LBB159_160
.LBB159_174:
	s_or_b32 exec_lo, exec_lo, s30
	s_delay_alu instid0(SALU_CYCLE_1)
	s_mov_b32 s30, exec_lo
	v_cmpx_gt_i32_e64 s27, v12
	s_cbranch_execz .LBB159_189
.LBB159_175:
	s_and_not1_b32 vcc_lo, exec_lo, s24
	s_cbranch_vccnz .LBB159_180
; %bb.176:
	v_dual_mov_b32 v0, 0 :: v_dual_mov_b32 v1, 0
	s_and_not1_b32 vcc_lo, exec_lo, s29
	s_mov_b32 s31, 0
	s_cbranch_vccnz .LBB159_200
; %bb.177:
	v_mov_b32_e32 v0, 0
	s_add_i32 s34, s28, 1
	s_cmp_eq_u32 s23, 2
	s_mov_b32 s33, 0
	s_cbranch_scc1 .LBB159_196
; %bb.178:
	v_dual_mov_b32 v1, 0 :: v_dual_mov_b32 v0, 0
	v_mov_b32_e32 v2, v12
	s_and_b32 s33, s34, 28
	s_mov_b32 s35, 0
	s_mov_b64 s[18:19], s[16:17]
	s_mov_b64 s[20:21], s[0:1]
.LBB159_179:                            ; =>This Inner Loop Header: Depth=1
	s_clause 0x1
	s_load_b256 s[36:43], s[20:21], 0x4
	s_load_b128 s[52:55], s[20:21], 0x24
	s_load_b256 s[44:51], s[18:19], 0x0
	s_add_u32 s20, s20, 48
	s_addc_u32 s21, s21, 0
	s_add_i32 s35, s35, 4
	s_add_u32 s18, s18, 32
	s_addc_u32 s19, s19, 0
	s_cmp_eq_u32 s33, s35
	s_waitcnt lgkmcnt(0)
	v_mul_hi_u32 v3, s37, v2
	s_delay_alu instid0(VALU_DEP_1) | instskip(NEXT) | instid1(VALU_DEP_1)
	v_add_nc_u32_e32 v3, v2, v3
	v_lshrrev_b32_e32 v3, s38, v3
	s_delay_alu instid0(VALU_DEP_1) | instskip(SKIP_1) | instid1(VALU_DEP_2)
	v_mul_hi_u32 v4, s40, v3
	v_mul_lo_u32 v6, v3, s36
	v_add_nc_u32_e32 v4, v3, v4
	s_delay_alu instid0(VALU_DEP_2) | instskip(NEXT) | instid1(VALU_DEP_2)
	v_sub_nc_u32_e32 v2, v2, v6
	v_lshrrev_b32_e32 v4, s41, v4
	s_delay_alu instid0(VALU_DEP_2) | instskip(SKIP_1) | instid1(VALU_DEP_3)
	v_mul_lo_u32 v6, v2, s44
	v_mul_lo_u32 v8, v2, s45
	v_mul_hi_u32 v5, s43, v4
	s_delay_alu instid0(VALU_DEP_1) | instskip(NEXT) | instid1(VALU_DEP_1)
	v_add_nc_u32_e32 v5, v4, v5
	v_lshrrev_b32_e32 v5, s52, v5
	s_delay_alu instid0(VALU_DEP_1) | instskip(SKIP_1) | instid1(VALU_DEP_2)
	v_mul_hi_u32 v7, s54, v5
	v_mul_lo_u32 v9, v5, s42
	v_add_nc_u32_e32 v2, v5, v7
	v_mul_lo_u32 v7, v4, s39
	s_delay_alu instid0(VALU_DEP_3) | instskip(NEXT) | instid1(VALU_DEP_3)
	v_sub_nc_u32_e32 v4, v4, v9
	v_lshrrev_b32_e32 v2, s55, v2
	s_delay_alu instid0(VALU_DEP_2) | instskip(SKIP_2) | instid1(VALU_DEP_4)
	v_mul_lo_u32 v9, v4, s48
	v_mul_lo_u32 v4, v4, s49
	v_sub_nc_u32_e32 v3, v3, v7
	v_mul_lo_u32 v10, v2, s53
	s_delay_alu instid0(VALU_DEP_2) | instskip(SKIP_1) | instid1(VALU_DEP_3)
	v_mul_lo_u32 v7, v3, s46
	v_mul_lo_u32 v3, v3, s47
	v_sub_nc_u32_e32 v5, v5, v10
	s_delay_alu instid0(VALU_DEP_3) | instskip(NEXT) | instid1(VALU_DEP_2)
	v_add3_u32 v0, v6, v0, v7
	v_mul_lo_u32 v10, v5, s50
	v_mul_lo_u32 v5, v5, s51
	v_add3_u32 v1, v8, v1, v3
	s_delay_alu instid0(VALU_DEP_3) | instskip(NEXT) | instid1(VALU_DEP_2)
	v_add3_u32 v0, v9, v0, v10
	v_add3_u32 v1, v4, v1, v5
	s_cbranch_scc0 .LBB159_179
	s_branch .LBB159_197
.LBB159_180:
	s_mov_b32 s31, -1
                                        ; implicit-def: $vgpr0
                                        ; implicit-def: $vgpr1
	s_branch .LBB159_200
.LBB159_181:
	v_dual_mov_b32 v2, v12 :: v_dual_mov_b32 v1, 0
.LBB159_182:
	s_and_b32 s34, s34, 3
	s_delay_alu instid0(SALU_CYCLE_1)
	s_cmp_eq_u32 s34, 0
	s_cbranch_scc1 .LBB159_185
; %bb.183:
	s_lshl_b32 s18, s33, 3
	s_mul_i32 s20, s33, 12
	s_add_u32 s18, s18, s0
	s_addc_u32 s19, s1, 0
	s_add_u32 s18, s18, 0xc4
	s_addc_u32 s19, s19, 0
	;; [unrolled: 2-line block ×3, first 2 shown]
	.p2align	6
.LBB159_184:                            ; =>This Inner Loop Header: Depth=1
	s_clause 0x1
	s_load_b64 s[36:37], s[20:21], 0x4
	s_load_b32 s33, s[20:21], 0xc
	s_load_b64 s[38:39], s[18:19], 0x0
	s_add_u32 s20, s20, 12
	s_addc_u32 s21, s21, 0
	s_add_u32 s18, s18, 8
	s_addc_u32 s19, s19, 0
	s_add_i32 s34, s34, -1
	s_delay_alu instid0(SALU_CYCLE_1) | instskip(SKIP_2) | instid1(VALU_DEP_1)
	s_cmp_lg_u32 s34, 0
	s_waitcnt lgkmcnt(0)
	v_mul_hi_u32 v3, s37, v2
	v_add_nc_u32_e32 v3, v2, v3
	s_delay_alu instid0(VALU_DEP_1) | instskip(NEXT) | instid1(VALU_DEP_1)
	v_lshrrev_b32_e32 v6, s33, v3
	v_mul_lo_u32 v3, v6, s36
	s_delay_alu instid0(VALU_DEP_1) | instskip(NEXT) | instid1(VALU_DEP_1)
	v_sub_nc_u32_e32 v2, v2, v3
	v_mad_u64_u32 v[3:4], null, v2, s38, v[0:1]
	v_mad_u64_u32 v[4:5], null, v2, s39, v[1:2]
	v_mov_b32_e32 v2, v6
	s_delay_alu instid0(VALU_DEP_2)
	v_dual_mov_b32 v0, v3 :: v_dual_mov_b32 v1, v4
	s_cbranch_scc1 .LBB159_184
.LBB159_185:
	s_and_not1_b32 vcc_lo, exec_lo, s31
	s_cbranch_vccnz .LBB159_188
; %bb.186:
	s_waitcnt lgkmcnt(0)
	v_mul_hi_u32 v0, s13, v12
	s_and_not1_b32 vcc_lo, exec_lo, s26
	s_delay_alu instid0(VALU_DEP_1) | instskip(NEXT) | instid1(VALU_DEP_1)
	v_add_nc_u32_e32 v0, v12, v0
	v_lshrrev_b32_e32 v2, s14, v0
	s_delay_alu instid0(VALU_DEP_1) | instskip(NEXT) | instid1(VALU_DEP_1)
	v_mul_lo_u32 v0, v2, s12
	v_sub_nc_u32_e32 v1, v12, v0
	s_delay_alu instid0(VALU_DEP_1)
	v_mul_lo_u32 v0, v1, s8
	v_mul_lo_u32 v1, v1, s9
	s_cbranch_vccnz .LBB159_188
; %bb.187:
	v_mul_hi_u32 v3, s2, v2
	s_delay_alu instid0(VALU_DEP_1) | instskip(NEXT) | instid1(VALU_DEP_1)
	v_add_nc_u32_e32 v3, v2, v3
	v_lshrrev_b32_e32 v3, s3, v3
	s_delay_alu instid0(VALU_DEP_1) | instskip(NEXT) | instid1(VALU_DEP_1)
	v_mul_lo_u32 v3, v3, s15
	v_sub_nc_u32_e32 v5, v2, v3
	s_delay_alu instid0(VALU_DEP_1) | instskip(NEXT) | instid1(VALU_DEP_1)
	v_mad_u64_u32 v[2:3], null, v5, s10, v[0:1]
	v_mad_u64_u32 v[3:4], null, v5, s11, v[1:2]
	s_delay_alu instid0(VALU_DEP_1)
	v_dual_mov_b32 v0, v2 :: v_dual_mov_b32 v1, v3
.LBB159_188:
	s_waitcnt lgkmcnt(0)
	global_load_u16 v1, v1, s[6:7]
	s_mov_b32 s18, 0xbf317218
	v_add_nc_u32_e32 v12, 0x80, v12
	s_waitcnt vmcnt(0)
	v_cvt_f32_f16_e32 v2, v1
	s_delay_alu instid0(VALU_DEP_1) | instskip(NEXT) | instid1(VALU_DEP_1)
	v_mul_f32_e32 v3, 0x3fb8aa3b, v2
	v_rndne_f32_e32 v3, v3
	s_delay_alu instid0(VALU_DEP_1) | instskip(SKIP_3) | instid1(VALU_DEP_3)
	v_fma_mix_f32 v4, v3, s18, v1 op_sel_hi:[0,0,1]
	s_mov_b32 s18, 0x395133b1
	v_cvt_i32_f32_e32 v6, v3
	v_cmp_eq_f32_e32 vcc_lo, 0x43000000, v3
	v_fmamk_f32 v4, v3, 0x3102e308, v4
	s_delay_alu instid0(VALU_DEP_3) | instskip(NEXT) | instid1(VALU_DEP_2)
	v_cndmask_b32_e64 v3, v6, 0x7f, vcc_lo
	v_fmaak_f32 v5, s18, v4, 0x3ab69700
	s_delay_alu instid0(VALU_DEP_2) | instskip(NEXT) | instid1(VALU_DEP_2)
	v_ldexp_f32 v3, 1.0, v3
	v_fmaak_f32 v5, v4, v5, 0x3c0887f9
	s_delay_alu instid0(VALU_DEP_1) | instskip(NEXT) | instid1(VALU_DEP_1)
	v_fmaak_f32 v5, v4, v5, 0x3d2aaa81
	v_fmaak_f32 v5, v4, v5, 0x3e2aaaab
	s_delay_alu instid0(VALU_DEP_1) | instskip(NEXT) | instid1(VALU_DEP_1)
	v_fma_f32 v5, v4, v5, 0.5
	v_mul_f32_e32 v5, v4, v5
	s_delay_alu instid0(VALU_DEP_1) | instskip(NEXT) | instid1(VALU_DEP_1)
	v_dual_fmac_f32 v4, v4, v5 :: v_dual_add_f32 v5, -1.0, v3
	v_fmac_f32_e32 v5, v3, v4
	s_delay_alu instid0(VALU_DEP_1) | instskip(NEXT) | instid1(VALU_DEP_1)
	v_add_f32_e32 v3, v5, v5
	v_cndmask_b32_e32 v3, v5, v3, vcc_lo
	v_cmp_nlt_f32_e32 vcc_lo, 0x42b17217, v2
	s_delay_alu instid0(VALU_DEP_2) | instskip(SKIP_1) | instid1(VALU_DEP_2)
	v_cndmask_b32_e32 v2, 0x7f800000, v3, vcc_lo
	v_cmp_ngt_f16_e32 vcc_lo, 0xcc40, v1
	v_cvt_f16_f32_e32 v2, v2
	s_delay_alu instid0(VALU_DEP_1) | instskip(SKIP_2) | instid1(SALU_CYCLE_1)
	v_cndmask_b32_e32 v1, 0xbc00, v2, vcc_lo
	global_store_b16 v0, v1, s[4:5]
	s_or_b32 exec_lo, exec_lo, s30
	s_mov_b32 s30, exec_lo
	v_cmpx_gt_i32_e64 s27, v12
	s_cbranch_execnz .LBB159_175
.LBB159_189:
	s_or_b32 exec_lo, exec_lo, s30
	s_delay_alu instid0(SALU_CYCLE_1)
	s_mov_b32 s30, exec_lo
	v_cmpx_gt_i32_e64 s27, v12
	s_cbranch_execz .LBB159_204
.LBB159_190:
	s_and_not1_b32 vcc_lo, exec_lo, s24
	s_cbranch_vccnz .LBB159_195
; %bb.191:
	v_dual_mov_b32 v0, 0 :: v_dual_mov_b32 v1, 0
	s_and_not1_b32 vcc_lo, exec_lo, s29
	s_mov_b32 s31, 0
	s_cbranch_vccnz .LBB159_211
; %bb.192:
	v_mov_b32_e32 v0, 0
	s_add_i32 s34, s28, 1
	s_cmp_eq_u32 s23, 2
	s_mov_b32 s33, 0
	s_cbranch_scc1 .LBB159_207
; %bb.193:
	v_dual_mov_b32 v1, 0 :: v_dual_mov_b32 v0, 0
	v_mov_b32_e32 v2, v12
	s_and_b32 s33, s34, 28
	s_mov_b32 s35, 0
	s_mov_b64 s[18:19], s[16:17]
	s_mov_b64 s[20:21], s[0:1]
.LBB159_194:                            ; =>This Inner Loop Header: Depth=1
	s_clause 0x1
	s_load_b256 s[36:43], s[20:21], 0x4
	s_load_b128 s[52:55], s[20:21], 0x24
	s_load_b256 s[44:51], s[18:19], 0x0
	s_add_u32 s20, s20, 48
	s_addc_u32 s21, s21, 0
	s_add_i32 s35, s35, 4
	s_add_u32 s18, s18, 32
	s_addc_u32 s19, s19, 0
	s_cmp_eq_u32 s33, s35
	s_waitcnt lgkmcnt(0)
	v_mul_hi_u32 v3, s37, v2
	s_delay_alu instid0(VALU_DEP_1) | instskip(NEXT) | instid1(VALU_DEP_1)
	v_add_nc_u32_e32 v3, v2, v3
	v_lshrrev_b32_e32 v3, s38, v3
	s_delay_alu instid0(VALU_DEP_1) | instskip(SKIP_1) | instid1(VALU_DEP_2)
	v_mul_hi_u32 v4, s40, v3
	v_mul_lo_u32 v6, v3, s36
	v_add_nc_u32_e32 v4, v3, v4
	s_delay_alu instid0(VALU_DEP_2) | instskip(NEXT) | instid1(VALU_DEP_2)
	v_sub_nc_u32_e32 v2, v2, v6
	v_lshrrev_b32_e32 v4, s41, v4
	s_delay_alu instid0(VALU_DEP_2) | instskip(SKIP_1) | instid1(VALU_DEP_3)
	v_mul_lo_u32 v6, v2, s44
	v_mul_lo_u32 v8, v2, s45
	v_mul_hi_u32 v5, s43, v4
	s_delay_alu instid0(VALU_DEP_1) | instskip(NEXT) | instid1(VALU_DEP_1)
	v_add_nc_u32_e32 v5, v4, v5
	v_lshrrev_b32_e32 v5, s52, v5
	s_delay_alu instid0(VALU_DEP_1) | instskip(SKIP_1) | instid1(VALU_DEP_2)
	v_mul_hi_u32 v7, s54, v5
	v_mul_lo_u32 v9, v5, s42
	v_add_nc_u32_e32 v2, v5, v7
	v_mul_lo_u32 v7, v4, s39
	s_delay_alu instid0(VALU_DEP_3) | instskip(NEXT) | instid1(VALU_DEP_3)
	v_sub_nc_u32_e32 v4, v4, v9
	v_lshrrev_b32_e32 v2, s55, v2
	s_delay_alu instid0(VALU_DEP_2) | instskip(SKIP_2) | instid1(VALU_DEP_4)
	v_mul_lo_u32 v9, v4, s48
	v_mul_lo_u32 v4, v4, s49
	v_sub_nc_u32_e32 v3, v3, v7
	v_mul_lo_u32 v10, v2, s53
	s_delay_alu instid0(VALU_DEP_2) | instskip(SKIP_1) | instid1(VALU_DEP_3)
	v_mul_lo_u32 v7, v3, s46
	v_mul_lo_u32 v3, v3, s47
	v_sub_nc_u32_e32 v5, v5, v10
	s_delay_alu instid0(VALU_DEP_3) | instskip(NEXT) | instid1(VALU_DEP_2)
	v_add3_u32 v0, v6, v0, v7
	v_mul_lo_u32 v10, v5, s50
	v_mul_lo_u32 v5, v5, s51
	v_add3_u32 v1, v8, v1, v3
	s_delay_alu instid0(VALU_DEP_3) | instskip(NEXT) | instid1(VALU_DEP_2)
	v_add3_u32 v0, v9, v0, v10
	v_add3_u32 v1, v4, v1, v5
	s_cbranch_scc0 .LBB159_194
	s_branch .LBB159_208
.LBB159_195:
	s_mov_b32 s31, -1
                                        ; implicit-def: $vgpr0
                                        ; implicit-def: $vgpr1
	s_branch .LBB159_211
.LBB159_196:
	v_dual_mov_b32 v2, v12 :: v_dual_mov_b32 v1, 0
.LBB159_197:
	s_and_b32 s34, s34, 3
	s_delay_alu instid0(SALU_CYCLE_1)
	s_cmp_eq_u32 s34, 0
	s_cbranch_scc1 .LBB159_200
; %bb.198:
	s_lshl_b32 s18, s33, 3
	s_mul_i32 s20, s33, 12
	s_add_u32 s18, s18, s0
	s_addc_u32 s19, s1, 0
	s_add_u32 s18, s18, 0xc4
	s_addc_u32 s19, s19, 0
	;; [unrolled: 2-line block ×3, first 2 shown]
	.p2align	6
.LBB159_199:                            ; =>This Inner Loop Header: Depth=1
	s_clause 0x1
	s_load_b64 s[36:37], s[20:21], 0x4
	s_load_b32 s33, s[20:21], 0xc
	s_load_b64 s[38:39], s[18:19], 0x0
	s_add_u32 s20, s20, 12
	s_addc_u32 s21, s21, 0
	s_add_u32 s18, s18, 8
	s_addc_u32 s19, s19, 0
	s_add_i32 s34, s34, -1
	s_delay_alu instid0(SALU_CYCLE_1) | instskip(SKIP_2) | instid1(VALU_DEP_1)
	s_cmp_lg_u32 s34, 0
	s_waitcnt lgkmcnt(0)
	v_mul_hi_u32 v3, s37, v2
	v_add_nc_u32_e32 v3, v2, v3
	s_delay_alu instid0(VALU_DEP_1) | instskip(NEXT) | instid1(VALU_DEP_1)
	v_lshrrev_b32_e32 v6, s33, v3
	v_mul_lo_u32 v3, v6, s36
	s_delay_alu instid0(VALU_DEP_1) | instskip(NEXT) | instid1(VALU_DEP_1)
	v_sub_nc_u32_e32 v2, v2, v3
	v_mad_u64_u32 v[3:4], null, v2, s38, v[0:1]
	v_mad_u64_u32 v[4:5], null, v2, s39, v[1:2]
	v_mov_b32_e32 v2, v6
	s_delay_alu instid0(VALU_DEP_2)
	v_dual_mov_b32 v0, v3 :: v_dual_mov_b32 v1, v4
	s_cbranch_scc1 .LBB159_199
.LBB159_200:
	s_and_not1_b32 vcc_lo, exec_lo, s31
	s_cbranch_vccnz .LBB159_203
; %bb.201:
	s_waitcnt lgkmcnt(0)
	v_mul_hi_u32 v0, s13, v12
	s_and_not1_b32 vcc_lo, exec_lo, s26
	s_delay_alu instid0(VALU_DEP_1) | instskip(NEXT) | instid1(VALU_DEP_1)
	v_add_nc_u32_e32 v0, v12, v0
	v_lshrrev_b32_e32 v2, s14, v0
	s_delay_alu instid0(VALU_DEP_1) | instskip(NEXT) | instid1(VALU_DEP_1)
	v_mul_lo_u32 v0, v2, s12
	v_sub_nc_u32_e32 v1, v12, v0
	s_delay_alu instid0(VALU_DEP_1)
	v_mul_lo_u32 v0, v1, s8
	v_mul_lo_u32 v1, v1, s9
	s_cbranch_vccnz .LBB159_203
; %bb.202:
	v_mul_hi_u32 v3, s2, v2
	s_delay_alu instid0(VALU_DEP_1) | instskip(NEXT) | instid1(VALU_DEP_1)
	v_add_nc_u32_e32 v3, v2, v3
	v_lshrrev_b32_e32 v3, s3, v3
	s_delay_alu instid0(VALU_DEP_1) | instskip(NEXT) | instid1(VALU_DEP_1)
	v_mul_lo_u32 v3, v3, s15
	v_sub_nc_u32_e32 v5, v2, v3
	s_delay_alu instid0(VALU_DEP_1) | instskip(NEXT) | instid1(VALU_DEP_1)
	v_mad_u64_u32 v[2:3], null, v5, s10, v[0:1]
	v_mad_u64_u32 v[3:4], null, v5, s11, v[1:2]
	s_delay_alu instid0(VALU_DEP_1)
	v_dual_mov_b32 v0, v2 :: v_dual_mov_b32 v1, v3
.LBB159_203:
	s_waitcnt lgkmcnt(0)
	global_load_u16 v1, v1, s[6:7]
	s_mov_b32 s18, 0xbf317218
	v_add_nc_u32_e32 v12, 0x80, v12
	s_waitcnt vmcnt(0)
	v_cvt_f32_f16_e32 v2, v1
	s_delay_alu instid0(VALU_DEP_1) | instskip(NEXT) | instid1(VALU_DEP_1)
	v_mul_f32_e32 v3, 0x3fb8aa3b, v2
	v_rndne_f32_e32 v3, v3
	s_delay_alu instid0(VALU_DEP_1) | instskip(SKIP_3) | instid1(VALU_DEP_3)
	v_fma_mix_f32 v4, v3, s18, v1 op_sel_hi:[0,0,1]
	s_mov_b32 s18, 0x395133b1
	v_cvt_i32_f32_e32 v6, v3
	v_cmp_eq_f32_e32 vcc_lo, 0x43000000, v3
	v_fmamk_f32 v4, v3, 0x3102e308, v4
	s_delay_alu instid0(VALU_DEP_3) | instskip(NEXT) | instid1(VALU_DEP_2)
	v_cndmask_b32_e64 v3, v6, 0x7f, vcc_lo
	v_fmaak_f32 v5, s18, v4, 0x3ab69700
	s_delay_alu instid0(VALU_DEP_2) | instskip(NEXT) | instid1(VALU_DEP_2)
	v_ldexp_f32 v3, 1.0, v3
	v_fmaak_f32 v5, v4, v5, 0x3c0887f9
	s_delay_alu instid0(VALU_DEP_1) | instskip(NEXT) | instid1(VALU_DEP_1)
	v_fmaak_f32 v5, v4, v5, 0x3d2aaa81
	v_fmaak_f32 v5, v4, v5, 0x3e2aaaab
	s_delay_alu instid0(VALU_DEP_1) | instskip(NEXT) | instid1(VALU_DEP_1)
	v_fma_f32 v5, v4, v5, 0.5
	v_mul_f32_e32 v5, v4, v5
	s_delay_alu instid0(VALU_DEP_1) | instskip(NEXT) | instid1(VALU_DEP_1)
	v_dual_fmac_f32 v4, v4, v5 :: v_dual_add_f32 v5, -1.0, v3
	v_fmac_f32_e32 v5, v3, v4
	s_delay_alu instid0(VALU_DEP_1) | instskip(NEXT) | instid1(VALU_DEP_1)
	v_add_f32_e32 v3, v5, v5
	v_cndmask_b32_e32 v3, v5, v3, vcc_lo
	v_cmp_nlt_f32_e32 vcc_lo, 0x42b17217, v2
	s_delay_alu instid0(VALU_DEP_2) | instskip(SKIP_1) | instid1(VALU_DEP_2)
	v_cndmask_b32_e32 v2, 0x7f800000, v3, vcc_lo
	v_cmp_ngt_f16_e32 vcc_lo, 0xcc40, v1
	v_cvt_f16_f32_e32 v2, v2
	s_delay_alu instid0(VALU_DEP_1) | instskip(SKIP_2) | instid1(SALU_CYCLE_1)
	v_cndmask_b32_e32 v1, 0xbc00, v2, vcc_lo
	global_store_b16 v0, v1, s[4:5]
	s_or_b32 exec_lo, exec_lo, s30
	s_mov_b32 s30, exec_lo
	v_cmpx_gt_i32_e64 s27, v12
	s_cbranch_execnz .LBB159_190
.LBB159_204:
	s_or_b32 exec_lo, exec_lo, s30
	s_delay_alu instid0(SALU_CYCLE_1)
	s_mov_b32 s20, exec_lo
	v_cmpx_gt_i32_e64 s27, v12
	s_cbranch_execnz .LBB159_215
.LBB159_205:
	s_or_b32 exec_lo, exec_lo, s20
                                        ; implicit-def: $vgpr16
                                        ; implicit-def: $vgpr12
	s_waitcnt lgkmcnt(0)
	s_and_not1_saveexec_b32 s2, s25
	s_cbranch_execnz .LBB159_8
.LBB159_206:
	s_nop 0
	s_sendmsg sendmsg(MSG_DEALLOC_VGPRS)
	s_endpgm
.LBB159_207:
	v_dual_mov_b32 v2, v12 :: v_dual_mov_b32 v1, 0
.LBB159_208:
	s_and_b32 s34, s34, 3
	s_delay_alu instid0(SALU_CYCLE_1)
	s_cmp_eq_u32 s34, 0
	s_cbranch_scc1 .LBB159_211
; %bb.209:
	s_lshl_b32 s18, s33, 3
	s_mul_i32 s20, s33, 12
	s_add_u32 s18, s18, s0
	s_addc_u32 s19, s1, 0
	s_add_u32 s18, s18, 0xc4
	s_addc_u32 s19, s19, 0
	;; [unrolled: 2-line block ×3, first 2 shown]
	.p2align	6
.LBB159_210:                            ; =>This Inner Loop Header: Depth=1
	s_clause 0x1
	s_load_b64 s[36:37], s[20:21], 0x4
	s_load_b32 s33, s[20:21], 0xc
	s_load_b64 s[38:39], s[18:19], 0x0
	s_add_u32 s20, s20, 12
	s_addc_u32 s21, s21, 0
	s_add_u32 s18, s18, 8
	s_addc_u32 s19, s19, 0
	s_add_i32 s34, s34, -1
	s_delay_alu instid0(SALU_CYCLE_1) | instskip(SKIP_2) | instid1(VALU_DEP_1)
	s_cmp_lg_u32 s34, 0
	s_waitcnt lgkmcnt(0)
	v_mul_hi_u32 v3, s37, v2
	v_add_nc_u32_e32 v3, v2, v3
	s_delay_alu instid0(VALU_DEP_1) | instskip(NEXT) | instid1(VALU_DEP_1)
	v_lshrrev_b32_e32 v6, s33, v3
	v_mul_lo_u32 v3, v6, s36
	s_delay_alu instid0(VALU_DEP_1) | instskip(NEXT) | instid1(VALU_DEP_1)
	v_sub_nc_u32_e32 v2, v2, v3
	v_mad_u64_u32 v[3:4], null, v2, s38, v[0:1]
	v_mad_u64_u32 v[4:5], null, v2, s39, v[1:2]
	v_mov_b32_e32 v2, v6
	s_delay_alu instid0(VALU_DEP_2)
	v_dual_mov_b32 v0, v3 :: v_dual_mov_b32 v1, v4
	s_cbranch_scc1 .LBB159_210
.LBB159_211:
	s_and_not1_b32 vcc_lo, exec_lo, s31
	s_cbranch_vccnz .LBB159_214
; %bb.212:
	s_waitcnt lgkmcnt(0)
	v_mul_hi_u32 v0, s13, v12
	s_and_not1_b32 vcc_lo, exec_lo, s26
	s_delay_alu instid0(VALU_DEP_1) | instskip(NEXT) | instid1(VALU_DEP_1)
	v_add_nc_u32_e32 v0, v12, v0
	v_lshrrev_b32_e32 v2, s14, v0
	s_delay_alu instid0(VALU_DEP_1) | instskip(NEXT) | instid1(VALU_DEP_1)
	v_mul_lo_u32 v0, v2, s12
	v_sub_nc_u32_e32 v1, v12, v0
	s_delay_alu instid0(VALU_DEP_1)
	v_mul_lo_u32 v0, v1, s8
	v_mul_lo_u32 v1, v1, s9
	s_cbranch_vccnz .LBB159_214
; %bb.213:
	v_mul_hi_u32 v3, s2, v2
	s_delay_alu instid0(VALU_DEP_1) | instskip(NEXT) | instid1(VALU_DEP_1)
	v_add_nc_u32_e32 v3, v2, v3
	v_lshrrev_b32_e32 v3, s3, v3
	s_delay_alu instid0(VALU_DEP_1) | instskip(NEXT) | instid1(VALU_DEP_1)
	v_mul_lo_u32 v3, v3, s15
	v_sub_nc_u32_e32 v5, v2, v3
	s_delay_alu instid0(VALU_DEP_1) | instskip(NEXT) | instid1(VALU_DEP_1)
	v_mad_u64_u32 v[2:3], null, v5, s10, v[0:1]
	v_mad_u64_u32 v[3:4], null, v5, s11, v[1:2]
	s_delay_alu instid0(VALU_DEP_1)
	v_dual_mov_b32 v0, v2 :: v_dual_mov_b32 v1, v3
.LBB159_214:
	s_waitcnt lgkmcnt(0)
	global_load_u16 v1, v1, s[6:7]
	s_mov_b32 s18, 0xbf317218
	v_add_nc_u32_e32 v12, 0x80, v12
	s_waitcnt vmcnt(0)
	v_cvt_f32_f16_e32 v2, v1
	s_delay_alu instid0(VALU_DEP_1) | instskip(NEXT) | instid1(VALU_DEP_1)
	v_mul_f32_e32 v3, 0x3fb8aa3b, v2
	v_rndne_f32_e32 v3, v3
	s_delay_alu instid0(VALU_DEP_1) | instskip(SKIP_3) | instid1(VALU_DEP_3)
	v_fma_mix_f32 v4, v3, s18, v1 op_sel_hi:[0,0,1]
	s_mov_b32 s18, 0x395133b1
	v_cvt_i32_f32_e32 v6, v3
	v_cmp_eq_f32_e32 vcc_lo, 0x43000000, v3
	v_fmamk_f32 v4, v3, 0x3102e308, v4
	s_delay_alu instid0(VALU_DEP_3) | instskip(NEXT) | instid1(VALU_DEP_2)
	v_cndmask_b32_e64 v3, v6, 0x7f, vcc_lo
	v_fmaak_f32 v5, s18, v4, 0x3ab69700
	s_delay_alu instid0(VALU_DEP_2) | instskip(NEXT) | instid1(VALU_DEP_2)
	v_ldexp_f32 v3, 1.0, v3
	v_fmaak_f32 v5, v4, v5, 0x3c0887f9
	s_delay_alu instid0(VALU_DEP_1) | instskip(NEXT) | instid1(VALU_DEP_1)
	v_fmaak_f32 v5, v4, v5, 0x3d2aaa81
	v_fmaak_f32 v5, v4, v5, 0x3e2aaaab
	s_delay_alu instid0(VALU_DEP_1) | instskip(NEXT) | instid1(VALU_DEP_1)
	v_fma_f32 v5, v4, v5, 0.5
	v_mul_f32_e32 v5, v4, v5
	s_delay_alu instid0(VALU_DEP_1) | instskip(NEXT) | instid1(VALU_DEP_1)
	v_dual_fmac_f32 v4, v4, v5 :: v_dual_add_f32 v5, -1.0, v3
	v_fmac_f32_e32 v5, v3, v4
	s_delay_alu instid0(VALU_DEP_1) | instskip(NEXT) | instid1(VALU_DEP_1)
	v_add_f32_e32 v3, v5, v5
	v_cndmask_b32_e32 v3, v5, v3, vcc_lo
	v_cmp_nlt_f32_e32 vcc_lo, 0x42b17217, v2
	s_delay_alu instid0(VALU_DEP_2) | instskip(SKIP_1) | instid1(VALU_DEP_2)
	v_cndmask_b32_e32 v2, 0x7f800000, v3, vcc_lo
	v_cmp_ngt_f16_e32 vcc_lo, 0xcc40, v1
	v_cvt_f16_f32_e32 v2, v2
	s_delay_alu instid0(VALU_DEP_1) | instskip(SKIP_2) | instid1(SALU_CYCLE_1)
	v_cndmask_b32_e32 v1, 0xbc00, v2, vcc_lo
	global_store_b16 v0, v1, s[4:5]
	s_or_b32 exec_lo, exec_lo, s30
	s_mov_b32 s20, exec_lo
	v_cmpx_gt_i32_e64 s27, v12
	s_cbranch_execz .LBB159_205
.LBB159_215:
	s_and_not1_b32 vcc_lo, exec_lo, s24
	s_cbranch_vccnz .LBB159_220
; %bb.216:
	v_dual_mov_b32 v0, 0 :: v_dual_mov_b32 v1, 0
	s_and_not1_b32 vcc_lo, exec_lo, s29
	s_mov_b32 s21, 0
	s_cbranch_vccnz .LBB159_225
; %bb.217:
	v_mov_b32_e32 v0, 0
	s_add_i32 s28, s28, 1
	s_cmp_eq_u32 s23, 2
	s_mov_b32 s27, 0
	s_cbranch_scc1 .LBB159_221
; %bb.218:
	v_dual_mov_b32 v1, 0 :: v_dual_mov_b32 v0, 0
	v_mov_b32_e32 v2, v12
	s_and_b32 s27, s28, 28
	s_mov_b32 s29, 0
	s_mov_b64 s[18:19], s[0:1]
.LBB159_219:                            ; =>This Inner Loop Header: Depth=1
	s_clause 0x1
	s_load_b256 s[36:43], s[18:19], 0x4
	s_load_b128 s[52:55], s[18:19], 0x24
	s_load_b256 s[44:51], s[16:17], 0x0
	s_add_u32 s18, s18, 48
	s_addc_u32 s19, s19, 0
	s_add_i32 s29, s29, 4
	s_add_u32 s16, s16, 32
	s_addc_u32 s17, s17, 0
	s_cmp_eq_u32 s27, s29
	s_waitcnt lgkmcnt(0)
	v_mul_hi_u32 v3, s37, v2
	s_delay_alu instid0(VALU_DEP_1) | instskip(NEXT) | instid1(VALU_DEP_1)
	v_add_nc_u32_e32 v3, v2, v3
	v_lshrrev_b32_e32 v3, s38, v3
	s_delay_alu instid0(VALU_DEP_1) | instskip(SKIP_1) | instid1(VALU_DEP_2)
	v_mul_hi_u32 v4, s40, v3
	v_mul_lo_u32 v6, v3, s36
	v_add_nc_u32_e32 v4, v3, v4
	s_delay_alu instid0(VALU_DEP_2) | instskip(NEXT) | instid1(VALU_DEP_2)
	v_sub_nc_u32_e32 v2, v2, v6
	v_lshrrev_b32_e32 v4, s41, v4
	s_delay_alu instid0(VALU_DEP_2) | instskip(SKIP_1) | instid1(VALU_DEP_3)
	v_mul_lo_u32 v6, v2, s44
	v_mul_lo_u32 v8, v2, s45
	v_mul_hi_u32 v5, s43, v4
	s_delay_alu instid0(VALU_DEP_1) | instskip(NEXT) | instid1(VALU_DEP_1)
	v_add_nc_u32_e32 v5, v4, v5
	v_lshrrev_b32_e32 v5, s52, v5
	s_delay_alu instid0(VALU_DEP_1) | instskip(SKIP_1) | instid1(VALU_DEP_2)
	v_mul_hi_u32 v7, s54, v5
	v_mul_lo_u32 v9, v5, s42
	v_add_nc_u32_e32 v2, v5, v7
	v_mul_lo_u32 v7, v4, s39
	s_delay_alu instid0(VALU_DEP_3) | instskip(NEXT) | instid1(VALU_DEP_3)
	v_sub_nc_u32_e32 v4, v4, v9
	v_lshrrev_b32_e32 v2, s55, v2
	s_delay_alu instid0(VALU_DEP_2) | instskip(SKIP_2) | instid1(VALU_DEP_4)
	v_mul_lo_u32 v9, v4, s48
	v_mul_lo_u32 v4, v4, s49
	v_sub_nc_u32_e32 v3, v3, v7
	v_mul_lo_u32 v10, v2, s53
	s_delay_alu instid0(VALU_DEP_2) | instskip(SKIP_1) | instid1(VALU_DEP_3)
	v_mul_lo_u32 v7, v3, s46
	v_mul_lo_u32 v3, v3, s47
	v_sub_nc_u32_e32 v5, v5, v10
	s_delay_alu instid0(VALU_DEP_3) | instskip(NEXT) | instid1(VALU_DEP_2)
	v_add3_u32 v0, v6, v0, v7
	v_mul_lo_u32 v10, v5, s50
	v_mul_lo_u32 v5, v5, s51
	v_add3_u32 v1, v8, v1, v3
	s_delay_alu instid0(VALU_DEP_3) | instskip(NEXT) | instid1(VALU_DEP_2)
	v_add3_u32 v0, v9, v0, v10
	v_add3_u32 v1, v4, v1, v5
	s_cbranch_scc0 .LBB159_219
	s_branch .LBB159_222
.LBB159_220:
	s_mov_b32 s21, -1
                                        ; implicit-def: $vgpr0
                                        ; implicit-def: $vgpr1
	s_branch .LBB159_225
.LBB159_221:
	v_dual_mov_b32 v2, v12 :: v_dual_mov_b32 v1, 0
.LBB159_222:
	s_and_b32 s28, s28, 3
	s_delay_alu instid0(SALU_CYCLE_1)
	s_cmp_eq_u32 s28, 0
	s_cbranch_scc1 .LBB159_225
; %bb.223:
	s_lshl_b32 s16, s27, 3
	s_mul_i32 s18, s27, 12
	s_add_u32 s16, s16, s0
	s_addc_u32 s17, s1, 0
	s_add_u32 s16, s16, 0xc4
	s_addc_u32 s17, s17, 0
	;; [unrolled: 2-line block ×3, first 2 shown]
	.p2align	6
.LBB159_224:                            ; =>This Inner Loop Header: Depth=1
	s_clause 0x1
	s_load_b64 s[30:31], s[18:19], 0x4
	s_load_b32 s27, s[18:19], 0xc
	s_load_b64 s[34:35], s[16:17], 0x0
	s_add_u32 s18, s18, 12
	s_addc_u32 s19, s19, 0
	s_add_u32 s16, s16, 8
	s_addc_u32 s17, s17, 0
	s_add_i32 s28, s28, -1
	s_delay_alu instid0(SALU_CYCLE_1) | instskip(SKIP_2) | instid1(VALU_DEP_1)
	s_cmp_lg_u32 s28, 0
	s_waitcnt lgkmcnt(0)
	v_mul_hi_u32 v3, s31, v2
	v_add_nc_u32_e32 v3, v2, v3
	s_delay_alu instid0(VALU_DEP_1) | instskip(NEXT) | instid1(VALU_DEP_1)
	v_lshrrev_b32_e32 v6, s27, v3
	v_mul_lo_u32 v3, v6, s30
	s_delay_alu instid0(VALU_DEP_1) | instskip(NEXT) | instid1(VALU_DEP_1)
	v_sub_nc_u32_e32 v2, v2, v3
	v_mad_u64_u32 v[3:4], null, v2, s34, v[0:1]
	v_mad_u64_u32 v[4:5], null, v2, s35, v[1:2]
	v_mov_b32_e32 v2, v6
	s_delay_alu instid0(VALU_DEP_2)
	v_dual_mov_b32 v0, v3 :: v_dual_mov_b32 v1, v4
	s_cbranch_scc1 .LBB159_224
.LBB159_225:
	s_and_not1_b32 vcc_lo, exec_lo, s21
	s_cbranch_vccnz .LBB159_228
; %bb.226:
	s_waitcnt lgkmcnt(0)
	v_mul_hi_u32 v0, s13, v12
	s_and_not1_b32 vcc_lo, exec_lo, s26
	s_delay_alu instid0(VALU_DEP_1) | instskip(NEXT) | instid1(VALU_DEP_1)
	v_add_nc_u32_e32 v0, v12, v0
	v_lshrrev_b32_e32 v2, s14, v0
	s_delay_alu instid0(VALU_DEP_1) | instskip(NEXT) | instid1(VALU_DEP_1)
	v_mul_lo_u32 v0, v2, s12
	v_sub_nc_u32_e32 v1, v12, v0
	s_delay_alu instid0(VALU_DEP_1)
	v_mul_lo_u32 v0, v1, s8
	v_mul_lo_u32 v1, v1, s9
	s_cbranch_vccnz .LBB159_228
; %bb.227:
	v_mul_hi_u32 v3, s2, v2
	s_delay_alu instid0(VALU_DEP_1) | instskip(NEXT) | instid1(VALU_DEP_1)
	v_add_nc_u32_e32 v3, v2, v3
	v_lshrrev_b32_e32 v3, s3, v3
	s_delay_alu instid0(VALU_DEP_1) | instskip(NEXT) | instid1(VALU_DEP_1)
	v_mul_lo_u32 v3, v3, s15
	v_sub_nc_u32_e32 v5, v2, v3
	s_delay_alu instid0(VALU_DEP_1) | instskip(NEXT) | instid1(VALU_DEP_1)
	v_mad_u64_u32 v[2:3], null, v5, s10, v[0:1]
	v_mad_u64_u32 v[3:4], null, v5, s11, v[1:2]
	s_delay_alu instid0(VALU_DEP_1)
	v_dual_mov_b32 v0, v2 :: v_dual_mov_b32 v1, v3
.LBB159_228:
	s_waitcnt lgkmcnt(0)
	global_load_u16 v1, v1, s[6:7]
	s_mov_b32 s2, 0xbf317218
	s_waitcnt vmcnt(0)
	v_cvt_f32_f16_e32 v2, v1
	s_delay_alu instid0(VALU_DEP_1) | instskip(NEXT) | instid1(VALU_DEP_1)
	v_mul_f32_e32 v3, 0x3fb8aa3b, v2
	v_rndne_f32_e32 v3, v3
	s_delay_alu instid0(VALU_DEP_1) | instskip(SKIP_3) | instid1(VALU_DEP_3)
	v_fma_mix_f32 v4, v3, s2, v1 op_sel_hi:[0,0,1]
	s_mov_b32 s2, 0x395133b1
	v_cvt_i32_f32_e32 v6, v3
	v_cmp_eq_f32_e32 vcc_lo, 0x43000000, v3
	v_fmamk_f32 v4, v3, 0x3102e308, v4
	s_delay_alu instid0(VALU_DEP_3) | instskip(NEXT) | instid1(VALU_DEP_2)
	v_cndmask_b32_e64 v3, v6, 0x7f, vcc_lo
	v_fmaak_f32 v5, s2, v4, 0x3ab69700
	s_delay_alu instid0(VALU_DEP_2) | instskip(NEXT) | instid1(VALU_DEP_2)
	v_ldexp_f32 v3, 1.0, v3
	v_fmaak_f32 v5, v4, v5, 0x3c0887f9
	s_delay_alu instid0(VALU_DEP_1) | instskip(NEXT) | instid1(VALU_DEP_1)
	v_fmaak_f32 v5, v4, v5, 0x3d2aaa81
	v_fmaak_f32 v5, v4, v5, 0x3e2aaaab
	s_delay_alu instid0(VALU_DEP_1) | instskip(NEXT) | instid1(VALU_DEP_1)
	v_fma_f32 v5, v4, v5, 0.5
	v_mul_f32_e32 v5, v4, v5
	s_delay_alu instid0(VALU_DEP_1) | instskip(NEXT) | instid1(VALU_DEP_1)
	v_dual_fmac_f32 v4, v4, v5 :: v_dual_add_f32 v5, -1.0, v3
	v_fmac_f32_e32 v5, v3, v4
	s_delay_alu instid0(VALU_DEP_1) | instskip(NEXT) | instid1(VALU_DEP_1)
	v_add_f32_e32 v3, v5, v5
	v_cndmask_b32_e32 v3, v5, v3, vcc_lo
	v_cmp_nlt_f32_e32 vcc_lo, 0x42b17217, v2
	s_delay_alu instid0(VALU_DEP_2) | instskip(SKIP_1) | instid1(VALU_DEP_2)
	v_cndmask_b32_e32 v2, 0x7f800000, v3, vcc_lo
	v_cmp_ngt_f16_e32 vcc_lo, 0xcc40, v1
	v_cvt_f16_f32_e32 v2, v2
	s_delay_alu instid0(VALU_DEP_1)
	v_cndmask_b32_e32 v1, 0xbc00, v2, vcc_lo
	global_store_b16 v0, v1, s[4:5]
	s_or_b32 exec_lo, exec_lo, s20
                                        ; implicit-def: $vgpr16
                                        ; implicit-def: $vgpr12
	s_and_not1_saveexec_b32 s2, s25
	s_cbranch_execz .LBB159_206
	s_branch .LBB159_8
	.section	.rodata,"a",@progbits
	.p2align	6, 0x0
	.amdhsa_kernel _ZN2at6native32elementwise_kernel_manual_unrollILi128ELi8EZNS0_22gpu_kernel_impl_nocastIZZZNS0_17expm1_kernel_cudaERNS_18TensorIteratorBaseEENKUlvE_clEvENKUlvE4_clEvEUlN3c104HalfEE_EEvS4_RKT_EUlibE_EEviT1_
		.amdhsa_group_segment_fixed_size 0
		.amdhsa_private_segment_fixed_size 0
		.amdhsa_kernarg_size 360
		.amdhsa_user_sgpr_count 15
		.amdhsa_user_sgpr_dispatch_ptr 0
		.amdhsa_user_sgpr_queue_ptr 0
		.amdhsa_user_sgpr_kernarg_segment_ptr 1
		.amdhsa_user_sgpr_dispatch_id 0
		.amdhsa_user_sgpr_private_segment_size 0
		.amdhsa_wavefront_size32 1
		.amdhsa_uses_dynamic_stack 0
		.amdhsa_enable_private_segment 0
		.amdhsa_system_sgpr_workgroup_id_x 1
		.amdhsa_system_sgpr_workgroup_id_y 0
		.amdhsa_system_sgpr_workgroup_id_z 0
		.amdhsa_system_sgpr_workgroup_info 0
		.amdhsa_system_vgpr_workitem_id 0
		.amdhsa_next_free_vgpr 56
		.amdhsa_next_free_sgpr 56
		.amdhsa_reserve_vcc 1
		.amdhsa_float_round_mode_32 0
		.amdhsa_float_round_mode_16_64 0
		.amdhsa_float_denorm_mode_32 3
		.amdhsa_float_denorm_mode_16_64 3
		.amdhsa_dx10_clamp 1
		.amdhsa_ieee_mode 1
		.amdhsa_fp16_overflow 0
		.amdhsa_workgroup_processor_mode 1
		.amdhsa_memory_ordered 1
		.amdhsa_forward_progress 0
		.amdhsa_shared_vgpr_count 0
		.amdhsa_exception_fp_ieee_invalid_op 0
		.amdhsa_exception_fp_denorm_src 0
		.amdhsa_exception_fp_ieee_div_zero 0
		.amdhsa_exception_fp_ieee_overflow 0
		.amdhsa_exception_fp_ieee_underflow 0
		.amdhsa_exception_fp_ieee_inexact 0
		.amdhsa_exception_int_div_zero 0
	.end_amdhsa_kernel
	.section	.text._ZN2at6native32elementwise_kernel_manual_unrollILi128ELi8EZNS0_22gpu_kernel_impl_nocastIZZZNS0_17expm1_kernel_cudaERNS_18TensorIteratorBaseEENKUlvE_clEvENKUlvE4_clEvEUlN3c104HalfEE_EEvS4_RKT_EUlibE_EEviT1_,"axG",@progbits,_ZN2at6native32elementwise_kernel_manual_unrollILi128ELi8EZNS0_22gpu_kernel_impl_nocastIZZZNS0_17expm1_kernel_cudaERNS_18TensorIteratorBaseEENKUlvE_clEvENKUlvE4_clEvEUlN3c104HalfEE_EEvS4_RKT_EUlibE_EEviT1_,comdat
.Lfunc_end159:
	.size	_ZN2at6native32elementwise_kernel_manual_unrollILi128ELi8EZNS0_22gpu_kernel_impl_nocastIZZZNS0_17expm1_kernel_cudaERNS_18TensorIteratorBaseEENKUlvE_clEvENKUlvE4_clEvEUlN3c104HalfEE_EEvS4_RKT_EUlibE_EEviT1_, .Lfunc_end159-_ZN2at6native32elementwise_kernel_manual_unrollILi128ELi8EZNS0_22gpu_kernel_impl_nocastIZZZNS0_17expm1_kernel_cudaERNS_18TensorIteratorBaseEENKUlvE_clEvENKUlvE4_clEvEUlN3c104HalfEE_EEvS4_RKT_EUlibE_EEviT1_
                                        ; -- End function
	.section	.AMDGPU.csdata,"",@progbits
; Kernel info:
; codeLenInByte = 16644
; NumSgprs: 58
; NumVgprs: 56
; ScratchSize: 0
; MemoryBound: 0
; FloatMode: 240
; IeeeMode: 1
; LDSByteSize: 0 bytes/workgroup (compile time only)
; SGPRBlocks: 7
; VGPRBlocks: 6
; NumSGPRsForWavesPerEU: 58
; NumVGPRsForWavesPerEU: 56
; Occupancy: 16
; WaveLimiterHint : 1
; COMPUTE_PGM_RSRC2:SCRATCH_EN: 0
; COMPUTE_PGM_RSRC2:USER_SGPR: 15
; COMPUTE_PGM_RSRC2:TRAP_HANDLER: 0
; COMPUTE_PGM_RSRC2:TGID_X_EN: 1
; COMPUTE_PGM_RSRC2:TGID_Y_EN: 0
; COMPUTE_PGM_RSRC2:TGID_Z_EN: 0
; COMPUTE_PGM_RSRC2:TIDIG_COMP_CNT: 0
	.section	.text._ZN2at6native32elementwise_kernel_manual_unrollILi128ELi4EZNS0_15gpu_kernel_implIZZZNS0_17expm1_kernel_cudaERNS_18TensorIteratorBaseEENKUlvE_clEvENKUlvE4_clEvEUlN3c104HalfEE_EEvS4_RKT_EUlibE_EEviT1_,"axG",@progbits,_ZN2at6native32elementwise_kernel_manual_unrollILi128ELi4EZNS0_15gpu_kernel_implIZZZNS0_17expm1_kernel_cudaERNS_18TensorIteratorBaseEENKUlvE_clEvENKUlvE4_clEvEUlN3c104HalfEE_EEvS4_RKT_EUlibE_EEviT1_,comdat
	.globl	_ZN2at6native32elementwise_kernel_manual_unrollILi128ELi4EZNS0_15gpu_kernel_implIZZZNS0_17expm1_kernel_cudaERNS_18TensorIteratorBaseEENKUlvE_clEvENKUlvE4_clEvEUlN3c104HalfEE_EEvS4_RKT_EUlibE_EEviT1_ ; -- Begin function _ZN2at6native32elementwise_kernel_manual_unrollILi128ELi4EZNS0_15gpu_kernel_implIZZZNS0_17expm1_kernel_cudaERNS_18TensorIteratorBaseEENKUlvE_clEvENKUlvE4_clEvEUlN3c104HalfEE_EEvS4_RKT_EUlibE_EEviT1_
	.p2align	8
	.type	_ZN2at6native32elementwise_kernel_manual_unrollILi128ELi4EZNS0_15gpu_kernel_implIZZZNS0_17expm1_kernel_cudaERNS_18TensorIteratorBaseEENKUlvE_clEvENKUlvE4_clEvEUlN3c104HalfEE_EEvS4_RKT_EUlibE_EEviT1_,@function
_ZN2at6native32elementwise_kernel_manual_unrollILi128ELi4EZNS0_15gpu_kernel_implIZZZNS0_17expm1_kernel_cudaERNS_18TensorIteratorBaseEENKUlvE_clEvENKUlvE4_clEvEUlN3c104HalfEE_EEvS4_RKT_EUlibE_EEviT1_: ; @_ZN2at6native32elementwise_kernel_manual_unrollILi128ELi4EZNS0_15gpu_kernel_implIZZZNS0_17expm1_kernel_cudaERNS_18TensorIteratorBaseEENKUlvE_clEvENKUlvE4_clEvEUlN3c104HalfEE_EEvS4_RKT_EUlibE_EEviT1_
; %bb.0:
	v_mov_b32_e32 v1, 0
	s_clause 0x2
	s_load_b32 s11, s[0:1], 0x0
	s_load_b64 s[2:3], s[0:1], 0x18
	s_load_b128 s[4:7], s[0:1], 0x8
	v_lshl_or_b32 v3, s15, 9, v0
	s_mov_b32 s8, 0
	s_mov_b32 s10, 0
	global_load_u16 v2, v1, s[0:1] offset:33
	s_mov_b32 s0, exec_lo
	v_or_b32_e32 v0, 0x180, v3
	s_waitcnt vmcnt(0)
	v_lshrrev_b16 v4, 8, v2
	s_waitcnt lgkmcnt(0)
	s_delay_alu instid0(VALU_DEP_2)
	v_cmpx_le_i32_e64 s11, v0
	s_xor_b32 s9, exec_lo, s0
	s_cbranch_execz .LBB160_1032
; %bb.1:
	s_mov_b32 s1, -1
	s_mov_b32 s14, 0
	s_mov_b32 s12, 0
	s_mov_b32 s13, exec_lo
	v_cmpx_gt_i32_e64 s11, v3
	s_cbranch_execz .LBB160_251
; %bb.2:
	v_mul_lo_u32 v0, v3, s3
	v_cmp_gt_i16_e32 vcc_lo, 11, v4
	s_delay_alu instid0(VALU_DEP_2) | instskip(SKIP_1) | instid1(VALU_DEP_1)
	v_ashrrev_i32_e32 v1, 31, v0
	v_add_co_u32 v0, s0, s6, v0
	v_add_co_ci_u32_e64 v1, s0, s7, v1, s0
	s_cbranch_vccnz .LBB160_9
; %bb.3:
	v_cmp_lt_i16_e32 vcc_lo, 25, v4
	s_cbranch_vccz .LBB160_18
; %bb.4:
	v_cmp_lt_i16_e32 vcc_lo, 28, v4
	s_cbranch_vccz .LBB160_21
	;; [unrolled: 3-line block ×4, first 2 shown]
; %bb.7:
	v_cmp_eq_u16_e32 vcc_lo, 46, v4
	s_mov_b32 s1, 0
	s_cbranch_vccz .LBB160_26
; %bb.8:
	global_load_b32 v5, v[0:1], off
	s_mov_b32 s0, -1
	s_waitcnt vmcnt(0)
	v_lshlrev_b32_e32 v5, 16, v5
	s_delay_alu instid0(VALU_DEP_1)
	v_cvt_f16_f32_e32 v5, v5
	s_branch .LBB160_28
.LBB160_9:
	s_mov_b32 s0, 0
                                        ; implicit-def: $vgpr5
	s_and_b32 vcc_lo, exec_lo, s1
	s_cbranch_vccnz .LBB160_201
.LBB160_10:
	s_and_not1_b32 vcc_lo, exec_lo, s0
	s_cbranch_vccnz .LBB160_248
.LBB160_11:
	s_waitcnt vmcnt(0)
	s_delay_alu instid0(VALU_DEP_1) | instskip(SKIP_1) | instid1(VALU_DEP_1)
	v_cvt_f32_f16_e32 v0, v5
	s_mov_b32 s0, 0xbf317218
	v_mul_f32_e32 v1, 0x3fb8aa3b, v0
	s_delay_alu instid0(VALU_DEP_1) | instskip(NEXT) | instid1(VALU_DEP_1)
	v_rndne_f32_e32 v1, v1
	v_fma_mix_f32 v6, v1, s0, v5 op_sel_hi:[0,0,1]
	v_cvt_i32_f32_e32 v8, v1
	v_cmp_eq_f32_e32 vcc_lo, 0x43000000, v1
	s_mov_b32 s0, 0x395133b1
	s_delay_alu instid0(VALU_DEP_3) | instskip(NEXT) | instid1(VALU_DEP_3)
	v_fmamk_f32 v6, v1, 0x3102e308, v6
	v_cndmask_b32_e64 v1, v8, 0x7f, vcc_lo
	s_delay_alu instid0(VALU_DEP_1) | instskip(NEXT) | instid1(VALU_DEP_1)
	v_ldexp_f32 v1, 1.0, v1
	v_dual_fmaak_f32 v7, s0, v6, 0x3ab69700 :: v_dual_add_f32 v8, -1.0, v1
	s_delay_alu instid0(VALU_DEP_1) | instskip(NEXT) | instid1(VALU_DEP_1)
	v_fmaak_f32 v7, v6, v7, 0x3c0887f9
	v_fmaak_f32 v7, v6, v7, 0x3d2aaa81
	s_delay_alu instid0(VALU_DEP_1) | instskip(NEXT) | instid1(VALU_DEP_1)
	v_fmaak_f32 v7, v6, v7, 0x3e2aaaab
	v_fma_f32 v7, v6, v7, 0.5
	s_delay_alu instid0(VALU_DEP_1) | instskip(NEXT) | instid1(VALU_DEP_1)
	v_mul_f32_e32 v7, v6, v7
	v_fmac_f32_e32 v6, v6, v7
	s_delay_alu instid0(VALU_DEP_1) | instskip(NEXT) | instid1(VALU_DEP_1)
	v_fmac_f32_e32 v8, v1, v6
	v_dual_add_f32 v1, v8, v8 :: v_dual_and_b32 v6, 0xff, v2
	s_delay_alu instid0(VALU_DEP_1) | instskip(SKIP_2) | instid1(VALU_DEP_3)
	v_cndmask_b32_e32 v1, v8, v1, vcc_lo
	v_mul_lo_u32 v8, v3, s2
	v_cmp_nlt_f32_e32 vcc_lo, 0x42b17217, v0
	v_cndmask_b32_e32 v0, 0x7f800000, v1, vcc_lo
	v_cmp_gt_i16_e32 vcc_lo, 11, v6
	s_delay_alu instid0(VALU_DEP_4) | instskip(NEXT) | instid1(VALU_DEP_3)
	v_ashrrev_i32_e32 v1, 31, v8
	v_cvt_f16_f32_e32 v7, v0
	v_add_co_u32 v0, s0, s4, v8
	s_delay_alu instid0(VALU_DEP_1) | instskip(SKIP_1) | instid1(VALU_DEP_1)
	v_add_co_ci_u32_e64 v1, s0, s5, v1, s0
	v_cmp_gt_f16_e64 s0, 0xcc40, v5
	v_cndmask_b32_e64 v5, v7, 0xbc00, s0
	s_cbranch_vccnz .LBB160_19
; %bb.12:
	v_cmp_lt_i16_e32 vcc_lo, 25, v6
	s_cbranch_vccz .LBB160_22
; %bb.13:
	v_cmp_lt_i16_e32 vcc_lo, 28, v6
	s_cbranch_vccz .LBB160_24
; %bb.14:
	v_cmp_lt_i16_e32 vcc_lo, 43, v6
	s_cbranch_vccz .LBB160_25
; %bb.15:
	v_cmp_lt_i16_e32 vcc_lo, 45, v6
	s_cbranch_vccz .LBB160_31
; %bb.16:
	v_cmp_eq_u16_e32 vcc_lo, 46, v6
	s_mov_b32 s15, 0
	s_mov_b32 s1, -1
	s_mov_b32 s10, 0
	s_cbranch_vccz .LBB160_32
; %bb.17:
	v_cvt_f32_f16_e32 v8, v5
	v_cmp_o_f16_e32 vcc_lo, v5, v5
	s_mov_b32 s10, -1
	s_mov_b32 s1, 0
	s_delay_alu instid0(VALU_DEP_2) | instskip(NEXT) | instid1(VALU_DEP_1)
	v_bfe_u32 v9, v8, 16, 1
	v_add3_u32 v8, v8, v9, 0x7fff
	s_delay_alu instid0(VALU_DEP_1) | instskip(NEXT) | instid1(VALU_DEP_1)
	v_lshrrev_b32_e32 v8, 16, v8
	v_cndmask_b32_e32 v8, 0x7fc0, v8, vcc_lo
	global_store_b32 v[0:1], v8, off
	s_branch .LBB160_32
.LBB160_18:
	s_mov_b32 s0, 0
                                        ; implicit-def: $vgpr5
	s_and_b32 vcc_lo, exec_lo, s1
	s_cbranch_vccnz .LBB160_166
	s_branch .LBB160_200
.LBB160_19:
	s_mov_b32 s1, 0
	s_mov_b32 s10, 0
	s_cbranch_execnz .LBB160_101
.LBB160_20:
	s_and_not1_b32 vcc_lo, exec_lo, s10
	s_cbranch_vccnz .LBB160_249
	s_branch .LBB160_139
.LBB160_21:
	s_mov_b32 s0, 0
                                        ; implicit-def: $vgpr5
	s_branch .LBB160_147
.LBB160_22:
	s_mov_b32 s15, -1
	s_mov_b32 s1, 0
	s_mov_b32 s10, 0
	s_branch .LBB160_59
.LBB160_23:
	s_mov_b32 s0, 0
                                        ; implicit-def: $vgpr5
	s_branch .LBB160_142
.LBB160_24:
	s_mov_b32 s15, -1
	s_mov_b32 s1, 0
	s_mov_b32 s10, 0
	s_branch .LBB160_42
.LBB160_25:
	s_mov_b32 s15, -1
	s_mov_b32 s1, 0
	s_mov_b32 s10, 0
	s_branch .LBB160_38
.LBB160_26:
	s_mov_b32 s12, -1
.LBB160_27:
	s_mov_b32 s0, 0
                                        ; implicit-def: $vgpr5
.LBB160_28:
	s_and_b32 vcc_lo, exec_lo, s1
	s_cbranch_vccz .LBB160_141
; %bb.29:
	v_cmp_eq_u16_e32 vcc_lo, 44, v4
	s_cbranch_vccz .LBB160_140
; %bb.30:
	global_load_u8 v5, v[0:1], off
	s_mov_b32 s12, 0
	s_mov_b32 s0, -1
	s_waitcnt vmcnt(0)
	v_lshlrev_b32_e32 v6, 23, v5
	v_cmp_ne_u32_e32 vcc_lo, 0xff, v5
	s_delay_alu instid0(VALU_DEP_2) | instskip(NEXT) | instid1(VALU_DEP_1)
	v_cvt_f16_f32_e32 v6, v6
	v_cndmask_b32_e32 v6, 0x7e00, v6, vcc_lo
	v_cmp_ne_u32_e32 vcc_lo, 0, v5
	s_delay_alu instid0(VALU_DEP_2)
	v_cndmask_b32_e32 v5, 0, v6, vcc_lo
	s_branch .LBB160_141
.LBB160_31:
	s_mov_b32 s15, -1
	s_mov_b32 s1, 0
	s_mov_b32 s10, 0
.LBB160_32:
	s_and_b32 vcc_lo, exec_lo, s15
	s_cbranch_vccz .LBB160_37
; %bb.33:
	v_cmp_eq_u16_e32 vcc_lo, 44, v6
	s_mov_b32 s1, -1
	s_cbranch_vccz .LBB160_37
; %bb.34:
	v_cvt_f32_f16_e32 v8, v5
	v_mov_b32_e32 v9, 0xff
	s_mov_b32 s10, exec_lo
	s_delay_alu instid0(VALU_DEP_2) | instskip(NEXT) | instid1(VALU_DEP_1)
	v_bfe_u32 v10, v8, 23, 8
	v_cmpx_ne_u32_e32 0xff, v10
; %bb.35:
	v_and_b32_e32 v9, 0x400000, v8
	v_and_or_b32 v10, 0x3fffff, v8, v10
	v_lshrrev_b32_e32 v8, 23, v8
	s_delay_alu instid0(VALU_DEP_3) | instskip(NEXT) | instid1(VALU_DEP_3)
	v_cmp_ne_u32_e32 vcc_lo, 0, v9
	v_cmp_ne_u32_e64 s1, 0, v10
	s_delay_alu instid0(VALU_DEP_1) | instskip(NEXT) | instid1(SALU_CYCLE_1)
	s_and_b32 s1, vcc_lo, s1
	v_cndmask_b32_e64 v9, 0, 1, s1
	s_delay_alu instid0(VALU_DEP_1)
	v_add_nc_u32_e32 v9, v8, v9
; %bb.36:
	s_or_b32 exec_lo, exec_lo, s10
	s_mov_b32 s10, -1
	s_mov_b32 s1, 0
	global_store_b8 v[0:1], v9, off
.LBB160_37:
	s_mov_b32 s15, 0
.LBB160_38:
	s_delay_alu instid0(SALU_CYCLE_1)
	s_and_b32 vcc_lo, exec_lo, s15
	s_cbranch_vccz .LBB160_41
; %bb.39:
	v_cmp_eq_u16_e32 vcc_lo, 29, v6
	s_mov_b32 s1, -1
	s_cbranch_vccz .LBB160_41
; %bb.40:
	v_cvt_f32_f16_e32 v8, v5
	v_mov_b32_e32 v9, 0
	s_mov_b32 s1, 0
	s_mov_b32 s10, -1
	s_mov_b32 s15, 0
	v_cvt_u32_f32_e32 v8, v8
	global_store_b64 v[0:1], v[8:9], off
	s_branch .LBB160_42
.LBB160_41:
	s_mov_b32 s15, 0
.LBB160_42:
	s_delay_alu instid0(SALU_CYCLE_1)
	s_and_b32 vcc_lo, exec_lo, s15
	s_cbranch_vccz .LBB160_58
; %bb.43:
	v_cmp_gt_i16_e32 vcc_lo, 27, v6
	s_mov_b32 s10, -1
	s_cbranch_vccnz .LBB160_49
; %bb.44:
	v_cmp_lt_i16_e32 vcc_lo, 27, v6
	s_cbranch_vccz .LBB160_46
; %bb.45:
	v_cvt_f32_f16_e32 v8, v5
	s_mov_b32 s10, 0
	s_delay_alu instid0(VALU_DEP_1)
	v_cvt_u32_f32_e32 v8, v8
	global_store_b32 v[0:1], v8, off
.LBB160_46:
	s_and_not1_b32 vcc_lo, exec_lo, s10
	s_cbranch_vccnz .LBB160_48
; %bb.47:
	v_cvt_u16_f16_e32 v8, v5
	global_store_b16 v[0:1], v8, off
.LBB160_48:
	s_mov_b32 s10, 0
.LBB160_49:
	s_delay_alu instid0(SALU_CYCLE_1)
	s_and_not1_b32 vcc_lo, exec_lo, s10
	s_cbranch_vccnz .LBB160_57
; %bb.50:
	v_cvt_f32_f16_e32 v8, v5
	v_mov_b32_e32 v10, 0x80
	s_mov_b32 s10, exec_lo
	s_delay_alu instid0(VALU_DEP_2) | instskip(NEXT) | instid1(VALU_DEP_1)
	v_and_b32_e32 v9, 0x7fffffff, v8
	v_cmpx_gt_u32_e32 0x43800000, v9
	s_cbranch_execz .LBB160_56
; %bb.51:
	v_cmp_lt_u32_e32 vcc_lo, 0x3bffffff, v9
	s_mov_b32 s15, 0
                                        ; implicit-def: $vgpr9
	s_and_saveexec_b32 s16, vcc_lo
	s_delay_alu instid0(SALU_CYCLE_1)
	s_xor_b32 s16, exec_lo, s16
	s_cbranch_execz .LBB160_275
; %bb.52:
	v_bfe_u32 v9, v8, 20, 1
	s_mov_b32 s15, exec_lo
	s_delay_alu instid0(VALU_DEP_1) | instskip(NEXT) | instid1(VALU_DEP_1)
	v_add3_u32 v9, v8, v9, 0x487ffff
	v_lshrrev_b32_e32 v9, 20, v9
	s_or_saveexec_b32 s16, s16
                                        ; implicit-def: $sgpr17
	s_delay_alu instid0(SALU_CYCLE_1)
	s_xor_b32 exec_lo, exec_lo, s16
	s_cbranch_execnz .LBB160_276
.LBB160_53:
	s_or_b32 exec_lo, exec_lo, s16
	v_mov_b32_e32 v10, s17
	s_and_saveexec_b32 s16, s15
.LBB160_54:
	v_lshrrev_b32_e32 v8, 24, v8
	s_delay_alu instid0(VALU_DEP_1)
	v_and_or_b32 v10, 0x80, v8, v9
.LBB160_55:
	s_or_b32 exec_lo, exec_lo, s16
.LBB160_56:
	s_delay_alu instid0(SALU_CYCLE_1)
	s_or_b32 exec_lo, exec_lo, s10
	global_store_b8 v[0:1], v10, off
.LBB160_57:
	s_mov_b32 s10, -1
.LBB160_58:
	s_mov_b32 s15, 0
.LBB160_59:
	s_delay_alu instid0(SALU_CYCLE_1)
	s_and_b32 vcc_lo, exec_lo, s15
	s_cbranch_vccz .LBB160_100
; %bb.60:
	v_cmp_lt_i16_e32 vcc_lo, 22, v6
	s_mov_b32 s15, -1
	s_cbranch_vccz .LBB160_92
; %bb.61:
	v_cmp_gt_i16_e32 vcc_lo, 24, v6
	s_mov_b32 s10, -1
	s_cbranch_vccnz .LBB160_81
; %bb.62:
	v_cmp_lt_i16_e32 vcc_lo, 24, v6
	s_cbranch_vccz .LBB160_70
; %bb.63:
	v_cvt_f32_f16_e32 v8, v5
	v_mov_b32_e32 v10, 0x80
	s_mov_b32 s10, exec_lo
	s_delay_alu instid0(VALU_DEP_2) | instskip(NEXT) | instid1(VALU_DEP_1)
	v_and_b32_e32 v9, 0x7fffffff, v8
	v_cmpx_gt_u32_e32 0x47800000, v9
	s_cbranch_execz .LBB160_69
; %bb.64:
	v_cmp_lt_u32_e32 vcc_lo, 0x37ffffff, v9
	s_mov_b32 s15, 0
                                        ; implicit-def: $vgpr9
	s_and_saveexec_b32 s16, vcc_lo
	s_delay_alu instid0(SALU_CYCLE_1)
	s_xor_b32 s16, exec_lo, s16
	s_cbranch_execz .LBB160_279
; %bb.65:
	v_bfe_u32 v9, v8, 21, 1
	s_mov_b32 s15, exec_lo
	s_delay_alu instid0(VALU_DEP_1) | instskip(NEXT) | instid1(VALU_DEP_1)
	v_add3_u32 v9, v8, v9, 0x88fffff
	v_lshrrev_b32_e32 v9, 21, v9
	s_or_saveexec_b32 s16, s16
                                        ; implicit-def: $sgpr17
	s_delay_alu instid0(SALU_CYCLE_1)
	s_xor_b32 exec_lo, exec_lo, s16
	s_cbranch_execnz .LBB160_280
.LBB160_66:
	s_or_b32 exec_lo, exec_lo, s16
	v_mov_b32_e32 v10, s17
	s_and_saveexec_b32 s16, s15
.LBB160_67:
	v_lshrrev_b32_e32 v8, 24, v8
	s_delay_alu instid0(VALU_DEP_1)
	v_and_or_b32 v10, 0x80, v8, v9
.LBB160_68:
	s_or_b32 exec_lo, exec_lo, s16
.LBB160_69:
	s_delay_alu instid0(SALU_CYCLE_1)
	s_or_b32 exec_lo, exec_lo, s10
	s_mov_b32 s10, 0
	global_store_b8 v[0:1], v10, off
.LBB160_70:
	s_and_b32 vcc_lo, exec_lo, s10
	s_cbranch_vccz .LBB160_80
; %bb.71:
	v_cvt_f32_f16_e32 v8, v5
	s_mov_b32 s10, exec_lo
                                        ; implicit-def: $vgpr9
	s_delay_alu instid0(VALU_DEP_1) | instskip(NEXT) | instid1(VALU_DEP_1)
	v_and_b32_e32 v10, 0x7fffffff, v8
	v_cmpx_gt_u32_e32 0x43f00000, v10
	s_xor_b32 s10, exec_lo, s10
	s_cbranch_execz .LBB160_77
; %bb.72:
	s_mov_b32 s15, exec_lo
                                        ; implicit-def: $vgpr9
	v_cmpx_lt_u32_e32 0x3c7fffff, v10
	s_xor_b32 s15, exec_lo, s15
; %bb.73:
	v_bfe_u32 v9, v8, 20, 1
	s_delay_alu instid0(VALU_DEP_1) | instskip(NEXT) | instid1(VALU_DEP_1)
	v_add3_u32 v9, v8, v9, 0x407ffff
	v_and_b32_e32 v10, 0xff00000, v9
	v_lshrrev_b32_e32 v9, 20, v9
	s_delay_alu instid0(VALU_DEP_2) | instskip(NEXT) | instid1(VALU_DEP_2)
	v_cmp_ne_u32_e32 vcc_lo, 0x7f00000, v10
	v_cndmask_b32_e32 v9, 0x7e, v9, vcc_lo
; %bb.74:
	s_and_not1_saveexec_b32 s15, s15
; %bb.75:
	v_add_f32_e64 v9, 0x46800000, |v8|
; %bb.76:
	s_or_b32 exec_lo, exec_lo, s15
                                        ; implicit-def: $vgpr10
.LBB160_77:
	s_and_not1_saveexec_b32 s10, s10
; %bb.78:
	v_mov_b32_e32 v9, 0x7f
	v_cmp_lt_u32_e32 vcc_lo, 0x7f800000, v10
	s_delay_alu instid0(VALU_DEP_2)
	v_cndmask_b32_e32 v9, 0x7e, v9, vcc_lo
; %bb.79:
	s_or_b32 exec_lo, exec_lo, s10
	v_lshrrev_b32_e32 v8, 24, v8
	s_delay_alu instid0(VALU_DEP_1)
	v_and_or_b32 v8, 0x80, v8, v9
	global_store_b8 v[0:1], v8, off
.LBB160_80:
	s_mov_b32 s10, 0
.LBB160_81:
	s_delay_alu instid0(SALU_CYCLE_1)
	s_and_not1_b32 vcc_lo, exec_lo, s10
	s_cbranch_vccnz .LBB160_91
; %bb.82:
	v_cvt_f32_f16_e32 v8, v5
	s_mov_b32 s10, exec_lo
                                        ; implicit-def: $vgpr9
	s_delay_alu instid0(VALU_DEP_1) | instskip(NEXT) | instid1(VALU_DEP_1)
	v_and_b32_e32 v10, 0x7fffffff, v8
	v_cmpx_gt_u32_e32 0x47800000, v10
	s_xor_b32 s10, exec_lo, s10
	s_cbranch_execz .LBB160_88
; %bb.83:
	s_mov_b32 s15, exec_lo
                                        ; implicit-def: $vgpr9
	v_cmpx_lt_u32_e32 0x387fffff, v10
	s_xor_b32 s15, exec_lo, s15
; %bb.84:
	v_bfe_u32 v9, v8, 21, 1
	s_delay_alu instid0(VALU_DEP_1) | instskip(NEXT) | instid1(VALU_DEP_1)
	v_add3_u32 v9, v8, v9, 0x80fffff
	v_lshrrev_b32_e32 v9, 21, v9
; %bb.85:
	s_and_not1_saveexec_b32 s15, s15
; %bb.86:
	v_add_f32_e64 v9, 0x43000000, |v8|
; %bb.87:
	s_or_b32 exec_lo, exec_lo, s15
                                        ; implicit-def: $vgpr10
.LBB160_88:
	s_and_not1_saveexec_b32 s10, s10
; %bb.89:
	v_mov_b32_e32 v9, 0x7f
	v_cmp_lt_u32_e32 vcc_lo, 0x7f800000, v10
	s_delay_alu instid0(VALU_DEP_2)
	v_cndmask_b32_e32 v9, 0x7c, v9, vcc_lo
; %bb.90:
	s_or_b32 exec_lo, exec_lo, s10
	v_lshrrev_b32_e32 v8, 24, v8
	s_delay_alu instid0(VALU_DEP_1)
	v_and_or_b32 v8, 0x80, v8, v9
	global_store_b8 v[0:1], v8, off
.LBB160_91:
	s_mov_b32 s15, 0
	s_mov_b32 s10, -1
.LBB160_92:
	s_and_not1_b32 vcc_lo, exec_lo, s15
	s_cbranch_vccnz .LBB160_100
; %bb.93:
	v_cmp_lt_i16_e32 vcc_lo, 14, v6
	s_mov_b32 s15, -1
	s_cbranch_vccz .LBB160_97
; %bb.94:
	v_cmp_eq_u16_e32 vcc_lo, 15, v6
	s_mov_b32 s1, -1
	s_cbranch_vccz .LBB160_96
; %bb.95:
	v_cvt_f32_f16_e32 v8, v5
	v_cmp_o_f16_e32 vcc_lo, v5, v5
	s_mov_b32 s10, -1
	s_mov_b32 s1, 0
	s_delay_alu instid0(VALU_DEP_2) | instskip(NEXT) | instid1(VALU_DEP_1)
	v_bfe_u32 v9, v8, 16, 1
	v_add3_u32 v8, v8, v9, 0x7fff
	s_delay_alu instid0(VALU_DEP_1) | instskip(NEXT) | instid1(VALU_DEP_1)
	v_lshrrev_b32_e32 v8, 16, v8
	v_cndmask_b32_e32 v8, 0x7fc0, v8, vcc_lo
	global_store_b16 v[0:1], v8, off
.LBB160_96:
	s_mov_b32 s15, 0
.LBB160_97:
	s_delay_alu instid0(SALU_CYCLE_1)
	s_and_b32 vcc_lo, exec_lo, s15
	s_cbranch_vccz .LBB160_100
; %bb.98:
	v_cmp_eq_u16_e32 vcc_lo, 11, v6
	s_mov_b32 s1, -1
	s_cbranch_vccz .LBB160_100
; %bb.99:
	v_cmp_neq_f16_e32 vcc_lo, 0, v7
	s_mov_b32 s1, 0
	s_mov_b32 s10, -1
	s_or_b32 s0, s0, vcc_lo
	s_delay_alu instid0(SALU_CYCLE_1)
	v_cndmask_b32_e64 v7, 0, 1, s0
	global_store_b8 v[0:1], v7, off
.LBB160_100:
	s_branch .LBB160_20
.LBB160_101:
	v_cmp_gt_i16_e32 vcc_lo, 5, v6
	s_mov_b32 s0, -1
	s_cbranch_vccnz .LBB160_122
; %bb.102:
	v_cmp_gt_i16_e32 vcc_lo, 8, v6
	s_cbranch_vccnz .LBB160_112
; %bb.103:
	v_cmp_gt_i16_e32 vcc_lo, 9, v6
	s_cbranch_vccnz .LBB160_109
; %bb.104:
	v_cmp_lt_i16_e32 vcc_lo, 9, v6
	s_cbranch_vccz .LBB160_106
; %bb.105:
	v_cvt_f32_f16_e32 v7, v5
	v_mov_b32_e32 v9, 0
	s_mov_b32 s0, 0
	s_delay_alu instid0(VALU_DEP_2) | instskip(NEXT) | instid1(VALU_DEP_2)
	v_cvt_f64_f32_e32 v[7:8], v7
	v_mov_b32_e32 v10, v9
	global_store_b128 v[0:1], v[7:10], off
.LBB160_106:
	s_and_not1_b32 vcc_lo, exec_lo, s0
	s_cbranch_vccnz .LBB160_108
; %bb.107:
	v_cvt_f32_f16_e32 v7, v5
	v_mov_b32_e32 v8, 0
	global_store_b64 v[0:1], v[7:8], off
.LBB160_108:
	s_mov_b32 s0, 0
.LBB160_109:
	s_delay_alu instid0(SALU_CYCLE_1)
	s_and_not1_b32 vcc_lo, exec_lo, s0
	s_cbranch_vccnz .LBB160_111
; %bb.110:
	v_and_b32_e32 v7, 0xffff, v5
	global_store_b32 v[0:1], v7, off
.LBB160_111:
	s_mov_b32 s0, 0
.LBB160_112:
	s_delay_alu instid0(SALU_CYCLE_1)
	s_and_not1_b32 vcc_lo, exec_lo, s0
	s_cbranch_vccnz .LBB160_121
; %bb.113:
	v_cmp_gt_i16_e32 vcc_lo, 6, v6
	s_mov_b32 s0, -1
	s_cbranch_vccnz .LBB160_119
; %bb.114:
	v_cmp_lt_i16_e32 vcc_lo, 6, v6
	s_cbranch_vccz .LBB160_116
; %bb.115:
	v_cvt_f32_f16_e32 v7, v5
	s_mov_b32 s0, 0
	s_delay_alu instid0(VALU_DEP_1)
	v_cvt_f64_f32_e32 v[7:8], v7
	global_store_b64 v[0:1], v[7:8], off
.LBB160_116:
	s_and_not1_b32 vcc_lo, exec_lo, s0
	s_cbranch_vccnz .LBB160_118
; %bb.117:
	v_cvt_f32_f16_e32 v7, v5
	global_store_b32 v[0:1], v7, off
.LBB160_118:
	s_mov_b32 s0, 0
.LBB160_119:
	s_delay_alu instid0(SALU_CYCLE_1)
	s_and_not1_b32 vcc_lo, exec_lo, s0
	s_cbranch_vccnz .LBB160_121
; %bb.120:
	global_store_b16 v[0:1], v5, off
.LBB160_121:
	s_mov_b32 s0, 0
.LBB160_122:
	s_delay_alu instid0(SALU_CYCLE_1)
	s_and_not1_b32 vcc_lo, exec_lo, s0
	s_cbranch_vccnz .LBB160_138
; %bb.123:
	v_cmp_gt_i16_e32 vcc_lo, 2, v6
	s_mov_b32 s0, -1
	s_cbranch_vccnz .LBB160_133
; %bb.124:
	v_cmp_gt_i16_e32 vcc_lo, 3, v6
	s_cbranch_vccnz .LBB160_130
; %bb.125:
	v_cmp_lt_i16_e32 vcc_lo, 3, v6
	s_cbranch_vccz .LBB160_127
; %bb.126:
	v_cvt_f32_f16_e32 v7, v5
	s_mov_b32 s0, 0
	s_delay_alu instid0(VALU_DEP_1) | instskip(NEXT) | instid1(VALU_DEP_1)
	v_cvt_i32_f32_e32 v7, v7
	v_ashrrev_i32_e32 v8, 31, v7
	global_store_b64 v[0:1], v[7:8], off
.LBB160_127:
	s_and_not1_b32 vcc_lo, exec_lo, s0
	s_cbranch_vccnz .LBB160_129
; %bb.128:
	v_cvt_f32_f16_e32 v7, v5
	s_delay_alu instid0(VALU_DEP_1)
	v_cvt_i32_f32_e32 v7, v7
	global_store_b32 v[0:1], v7, off
.LBB160_129:
	s_mov_b32 s0, 0
.LBB160_130:
	s_delay_alu instid0(SALU_CYCLE_1)
	s_and_not1_b32 vcc_lo, exec_lo, s0
	s_cbranch_vccnz .LBB160_132
; %bb.131:
	v_cvt_i16_f16_e32 v7, v5
	global_store_b16 v[0:1], v7, off
.LBB160_132:
	s_mov_b32 s0, 0
.LBB160_133:
	s_delay_alu instid0(SALU_CYCLE_1)
	s_and_not1_b32 vcc_lo, exec_lo, s0
	s_cbranch_vccnz .LBB160_138
; %bb.134:
	v_cmp_lt_i16_e32 vcc_lo, 0, v6
	s_mov_b32 s0, -1
	s_cbranch_vccz .LBB160_136
; %bb.135:
	v_cvt_i16_f16_e32 v6, v5
	s_mov_b32 s0, 0
	global_store_b8 v[0:1], v6, off
.LBB160_136:
	s_and_not1_b32 vcc_lo, exec_lo, s0
	s_cbranch_vccnz .LBB160_138
; %bb.137:
	v_cvt_f32_f16_e32 v5, v5
	s_delay_alu instid0(VALU_DEP_1)
	v_cvt_i32_f32_e32 v5, v5
	global_store_b8 v[0:1], v5, off
.LBB160_138:
.LBB160_139:
	v_add_nc_u32_e32 v3, 0x80, v3
	s_mov_b32 s0, -1
	s_branch .LBB160_250
.LBB160_140:
	s_mov_b32 s12, -1
                                        ; implicit-def: $vgpr5
.LBB160_141:
	s_mov_b32 s1, 0
.LBB160_142:
	s_delay_alu instid0(SALU_CYCLE_1)
	s_and_b32 vcc_lo, exec_lo, s1
	s_cbranch_vccz .LBB160_146
; %bb.143:
	v_cmp_eq_u16_e32 vcc_lo, 29, v4
	s_cbranch_vccz .LBB160_145
; %bb.144:
	global_load_b64 v[5:6], v[0:1], off
	s_mov_b32 s0, -1
	s_mov_b32 s12, 0
	s_mov_b32 s1, 0
	s_waitcnt vmcnt(0)
	v_clz_i32_u32_e32 v7, v6
	s_delay_alu instid0(VALU_DEP_1) | instskip(NEXT) | instid1(VALU_DEP_1)
	v_min_u32_e32 v7, 32, v7
	v_lshlrev_b64 v[5:6], v7, v[5:6]
	s_delay_alu instid0(VALU_DEP_1) | instskip(NEXT) | instid1(VALU_DEP_1)
	v_min_u32_e32 v5, 1, v5
	v_or_b32_e32 v5, v6, v5
	v_sub_nc_u32_e32 v6, 32, v7
	s_delay_alu instid0(VALU_DEP_2) | instskip(NEXT) | instid1(VALU_DEP_1)
	v_cvt_f32_u32_e32 v5, v5
	v_ldexp_f32 v5, v5, v6
	s_delay_alu instid0(VALU_DEP_1)
	v_cvt_f16_f32_e32 v5, v5
	s_branch .LBB160_147
.LBB160_145:
	s_mov_b32 s12, -1
                                        ; implicit-def: $vgpr5
.LBB160_146:
	s_mov_b32 s1, 0
.LBB160_147:
	s_delay_alu instid0(SALU_CYCLE_1)
	s_and_b32 vcc_lo, exec_lo, s1
	s_cbranch_vccz .LBB160_165
; %bb.148:
	v_cmp_gt_i16_e32 vcc_lo, 27, v4
	s_cbranch_vccnz .LBB160_151
; %bb.149:
	v_cmp_lt_i16_e32 vcc_lo, 27, v4
	s_cbranch_vccz .LBB160_152
; %bb.150:
	global_load_b32 v5, v[0:1], off
	s_mov_b32 s0, 0
	s_waitcnt vmcnt(0)
	v_cvt_f32_u32_e32 v5, v5
	s_delay_alu instid0(VALU_DEP_1)
	v_cvt_f16_f32_e32 v5, v5
	s_branch .LBB160_153
.LBB160_151:
	s_mov_b32 s0, -1
                                        ; implicit-def: $vgpr5
	s_branch .LBB160_156
.LBB160_152:
	s_mov_b32 s0, -1
                                        ; implicit-def: $vgpr5
.LBB160_153:
	s_delay_alu instid0(SALU_CYCLE_1)
	s_and_not1_b32 vcc_lo, exec_lo, s0
	s_cbranch_vccnz .LBB160_155
; %bb.154:
	global_load_u16 v5, v[0:1], off
	s_waitcnt vmcnt(0)
	v_cvt_f16_u16_e32 v5, v5
.LBB160_155:
	s_mov_b32 s0, 0
.LBB160_156:
	s_delay_alu instid0(SALU_CYCLE_1)
	s_and_not1_b32 vcc_lo, exec_lo, s0
	s_cbranch_vccnz .LBB160_164
; %bb.157:
	global_load_u8 v6, v[0:1], off
	s_mov_b32 s0, 0
	s_mov_b32 s10, exec_lo
                                        ; implicit-def: $sgpr1
	s_waitcnt vmcnt(0)
	v_cmpx_lt_i16_e32 0x7f, v6
	s_xor_b32 s10, exec_lo, s10
	s_cbranch_execz .LBB160_177
; %bb.158:
	s_mov_b32 s0, -1
	s_mov_b32 s15, exec_lo
                                        ; implicit-def: $sgpr1
	v_cmpx_eq_u16_e32 0x80, v6
; %bb.159:
	s_movk_i32 s1, 0x7e00
	s_xor_b32 s0, exec_lo, -1
; %bb.160:
	s_or_b32 exec_lo, exec_lo, s15
	s_delay_alu instid0(SALU_CYCLE_1)
	s_and_b32 s0, s0, exec_lo
	s_or_saveexec_b32 s10, s10
	v_mov_b32_e32 v5, s1
	s_xor_b32 exec_lo, exec_lo, s10
	s_cbranch_execnz .LBB160_178
.LBB160_161:
	s_or_b32 exec_lo, exec_lo, s10
	s_and_saveexec_b32 s1, s0
	s_cbranch_execz .LBB160_163
.LBB160_162:
	v_and_b32_e32 v5, 0xffff, v6
	s_delay_alu instid0(VALU_DEP_1) | instskip(NEXT) | instid1(VALU_DEP_1)
	v_and_b32_e32 v7, 7, v5
	v_clz_i32_u32_e32 v8, v7
	s_delay_alu instid0(VALU_DEP_1) | instskip(NEXT) | instid1(VALU_DEP_1)
	v_min_u32_e32 v8, 32, v8
	v_subrev_nc_u32_e32 v9, 28, v8
	v_sub_nc_u32_e32 v8, 29, v8
	s_delay_alu instid0(VALU_DEP_2) | instskip(SKIP_1) | instid1(VALU_DEP_2)
	v_lshlrev_b32_e32 v9, v9, v5
	v_bfe_u32 v5, v5, 3, 4
	v_and_b32_e32 v9, 7, v9
	s_delay_alu instid0(VALU_DEP_2) | instskip(SKIP_1) | instid1(VALU_DEP_1)
	v_cmp_eq_u32_e32 vcc_lo, 0, v5
	v_dual_cndmask_b32 v5, v5, v8 :: v_dual_lshlrev_b32 v6, 24, v6
	v_dual_cndmask_b32 v7, v7, v9 :: v_dual_and_b32 v6, 0x80000000, v6
	s_delay_alu instid0(VALU_DEP_2) | instskip(NEXT) | instid1(VALU_DEP_2)
	v_lshl_add_u32 v5, v5, 23, 0x3b800000
	v_lshlrev_b32_e32 v7, 20, v7
	s_delay_alu instid0(VALU_DEP_1) | instskip(NEXT) | instid1(VALU_DEP_1)
	v_or3_b32 v5, v6, v5, v7
	v_cvt_f16_f32_e32 v5, v5
.LBB160_163:
	s_or_b32 exec_lo, exec_lo, s1
.LBB160_164:
	s_mov_b32 s0, -1
.LBB160_165:
	s_branch .LBB160_200
.LBB160_166:
	v_cmp_lt_i16_e32 vcc_lo, 22, v4
	s_cbranch_vccz .LBB160_176
; %bb.167:
	v_cmp_gt_i16_e32 vcc_lo, 24, v4
	s_cbranch_vccnz .LBB160_179
; %bb.168:
	v_cmp_lt_i16_e32 vcc_lo, 24, v4
	s_cbranch_vccz .LBB160_180
; %bb.169:
	global_load_u8 v6, v[0:1], off
	s_mov_b32 s0, 0
	s_mov_b32 s10, exec_lo
                                        ; implicit-def: $sgpr1
	s_waitcnt vmcnt(0)
	v_cmpx_lt_i16_e32 0x7f, v6
	s_xor_b32 s10, exec_lo, s10
	s_cbranch_execz .LBB160_192
; %bb.170:
	s_mov_b32 s0, -1
	s_mov_b32 s15, exec_lo
                                        ; implicit-def: $sgpr1
	v_cmpx_eq_u16_e32 0x80, v6
; %bb.171:
	s_movk_i32 s1, 0x7e00
	s_xor_b32 s0, exec_lo, -1
; %bb.172:
	s_or_b32 exec_lo, exec_lo, s15
	s_delay_alu instid0(SALU_CYCLE_1)
	s_and_b32 s0, s0, exec_lo
	s_or_saveexec_b32 s10, s10
	v_mov_b32_e32 v5, s1
	s_xor_b32 exec_lo, exec_lo, s10
	s_cbranch_execnz .LBB160_193
.LBB160_173:
	s_or_b32 exec_lo, exec_lo, s10
	s_and_saveexec_b32 s1, s0
	s_cbranch_execz .LBB160_175
.LBB160_174:
	v_and_b32_e32 v5, 0xffff, v6
	s_delay_alu instid0(VALU_DEP_1) | instskip(NEXT) | instid1(VALU_DEP_1)
	v_and_b32_e32 v7, 3, v5
	v_clz_i32_u32_e32 v8, v7
	s_delay_alu instid0(VALU_DEP_1) | instskip(NEXT) | instid1(VALU_DEP_1)
	v_min_u32_e32 v8, 32, v8
	v_subrev_nc_u32_e32 v9, 29, v8
	v_sub_nc_u32_e32 v8, 30, v8
	s_delay_alu instid0(VALU_DEP_2) | instskip(SKIP_1) | instid1(VALU_DEP_2)
	v_lshlrev_b32_e32 v9, v9, v5
	v_bfe_u32 v5, v5, 2, 5
	v_and_b32_e32 v9, 3, v9
	s_delay_alu instid0(VALU_DEP_2) | instskip(SKIP_1) | instid1(VALU_DEP_1)
	v_cmp_eq_u32_e32 vcc_lo, 0, v5
	v_dual_cndmask_b32 v5, v5, v8 :: v_dual_lshlrev_b32 v6, 24, v6
	v_dual_cndmask_b32 v7, v7, v9 :: v_dual_and_b32 v6, 0x80000000, v6
	s_delay_alu instid0(VALU_DEP_2) | instskip(NEXT) | instid1(VALU_DEP_2)
	v_lshl_add_u32 v5, v5, 23, 0x37800000
	v_lshlrev_b32_e32 v7, 21, v7
	s_delay_alu instid0(VALU_DEP_1) | instskip(NEXT) | instid1(VALU_DEP_1)
	v_or3_b32 v5, v6, v5, v7
	v_cvt_f16_f32_e32 v5, v5
.LBB160_175:
	s_or_b32 exec_lo, exec_lo, s1
	s_mov_b32 s0, 0
	s_branch .LBB160_181
.LBB160_176:
	s_mov_b32 s1, -1
                                        ; implicit-def: $vgpr5
	s_branch .LBB160_187
.LBB160_177:
	s_or_saveexec_b32 s10, s10
	v_mov_b32_e32 v5, s1
	s_xor_b32 exec_lo, exec_lo, s10
	s_cbranch_execz .LBB160_161
.LBB160_178:
	v_cmp_ne_u16_e32 vcc_lo, 0, v6
	v_mov_b32_e32 v5, v6
	s_and_not1_b32 s0, s0, exec_lo
	s_and_b32 s1, vcc_lo, exec_lo
	s_delay_alu instid0(SALU_CYCLE_1)
	s_or_b32 s0, s0, s1
	s_or_b32 exec_lo, exec_lo, s10
	s_and_saveexec_b32 s1, s0
	s_cbranch_execnz .LBB160_162
	s_branch .LBB160_163
.LBB160_179:
	s_mov_b32 s0, -1
                                        ; implicit-def: $vgpr5
	s_branch .LBB160_184
.LBB160_180:
	s_mov_b32 s0, -1
                                        ; implicit-def: $vgpr5
.LBB160_181:
	s_delay_alu instid0(SALU_CYCLE_1)
	s_and_b32 vcc_lo, exec_lo, s0
	s_cbranch_vccz .LBB160_183
; %bb.182:
	global_load_u8 v5, v[0:1], off
	s_waitcnt vmcnt(0)
	v_lshlrev_b32_e32 v5, 24, v5
	s_delay_alu instid0(VALU_DEP_1) | instskip(NEXT) | instid1(VALU_DEP_1)
	v_and_b32_e32 v6, 0x7f000000, v5
	v_clz_i32_u32_e32 v7, v6
	v_add_nc_u32_e32 v9, 0x1000000, v6
	v_cmp_ne_u32_e32 vcc_lo, 0, v6
	s_delay_alu instid0(VALU_DEP_3) | instskip(NEXT) | instid1(VALU_DEP_1)
	v_min_u32_e32 v7, 32, v7
	v_sub_nc_u32_e64 v7, v7, 4 clamp
	s_delay_alu instid0(VALU_DEP_1) | instskip(SKIP_1) | instid1(VALU_DEP_2)
	v_lshlrev_b32_e32 v8, v7, v6
	v_lshlrev_b32_e32 v7, 23, v7
	v_lshrrev_b32_e32 v8, 4, v8
	s_delay_alu instid0(VALU_DEP_1) | instskip(SKIP_1) | instid1(VALU_DEP_2)
	v_sub_nc_u32_e32 v7, v8, v7
	v_ashrrev_i32_e32 v8, 8, v9
	v_add_nc_u32_e32 v7, 0x3c000000, v7
	s_delay_alu instid0(VALU_DEP_1) | instskip(NEXT) | instid1(VALU_DEP_1)
	v_and_or_b32 v7, 0x7f800000, v8, v7
	v_cndmask_b32_e32 v6, 0, v7, vcc_lo
	s_delay_alu instid0(VALU_DEP_1) | instskip(NEXT) | instid1(VALU_DEP_1)
	v_and_or_b32 v5, 0x80000000, v5, v6
	v_cvt_f16_f32_e32 v5, v5
.LBB160_183:
	s_mov_b32 s0, 0
.LBB160_184:
	s_delay_alu instid0(SALU_CYCLE_1)
	s_and_not1_b32 vcc_lo, exec_lo, s0
	s_cbranch_vccnz .LBB160_186
; %bb.185:
	global_load_u8 v5, v[0:1], off
	s_waitcnt vmcnt(0)
	v_lshlrev_b32_e32 v6, 25, v5
	v_lshlrev_b16 v5, 8, v5
	s_delay_alu instid0(VALU_DEP_2) | instskip(NEXT) | instid1(VALU_DEP_2)
	v_lshrrev_b32_e32 v7, 4, v6
	v_and_or_b32 v8, 0x7f00, v5, 0.5
	v_bfe_i32 v5, v5, 0, 16
	s_delay_alu instid0(VALU_DEP_3) | instskip(NEXT) | instid1(VALU_DEP_1)
	v_or_b32_e32 v7, 0x70000000, v7
	v_dual_add_f32 v8, -0.5, v8 :: v_dual_mul_f32 v7, 0x7800000, v7
	v_cmp_gt_u32_e32 vcc_lo, 0x8000000, v6
	s_delay_alu instid0(VALU_DEP_2) | instskip(NEXT) | instid1(VALU_DEP_1)
	v_cndmask_b32_e32 v6, v7, v8, vcc_lo
	v_and_or_b32 v5, 0x80000000, v5, v6
	s_delay_alu instid0(VALU_DEP_1)
	v_cvt_f16_f32_e32 v5, v5
.LBB160_186:
	s_mov_b32 s1, 0
	s_mov_b32 s0, -1
.LBB160_187:
	s_and_not1_b32 vcc_lo, exec_lo, s1
	s_cbranch_vccnz .LBB160_200
; %bb.188:
	v_cmp_lt_i16_e32 vcc_lo, 14, v4
	s_cbranch_vccz .LBB160_191
; %bb.189:
	v_cmp_eq_u16_e32 vcc_lo, 15, v4
	s_cbranch_vccz .LBB160_194
; %bb.190:
	global_load_u16 v5, v[0:1], off
	s_mov_b32 s0, -1
	s_mov_b32 s12, 0
	s_waitcnt vmcnt(0)
	v_lshlrev_b32_e32 v5, 16, v5
	s_delay_alu instid0(VALU_DEP_1)
	v_cvt_f16_f32_e32 v5, v5
	s_branch .LBB160_195
.LBB160_191:
	s_mov_b32 s1, -1
                                        ; implicit-def: $vgpr5
	s_branch .LBB160_196
.LBB160_192:
	s_or_saveexec_b32 s10, s10
	v_mov_b32_e32 v5, s1
	s_xor_b32 exec_lo, exec_lo, s10
	s_cbranch_execz .LBB160_173
.LBB160_193:
	v_cmp_ne_u16_e32 vcc_lo, 0, v6
	v_mov_b32_e32 v5, v6
	s_and_not1_b32 s0, s0, exec_lo
	s_and_b32 s1, vcc_lo, exec_lo
	s_delay_alu instid0(SALU_CYCLE_1)
	s_or_b32 s0, s0, s1
	s_or_b32 exec_lo, exec_lo, s10
	s_and_saveexec_b32 s1, s0
	s_cbranch_execnz .LBB160_174
	s_branch .LBB160_175
.LBB160_194:
	s_mov_b32 s12, -1
                                        ; implicit-def: $vgpr5
.LBB160_195:
	s_mov_b32 s1, 0
.LBB160_196:
	s_delay_alu instid0(SALU_CYCLE_1)
	s_and_b32 vcc_lo, exec_lo, s1
	s_cbranch_vccz .LBB160_200
; %bb.197:
	v_cmp_eq_u16_e32 vcc_lo, 11, v4
	s_cbranch_vccz .LBB160_199
; %bb.198:
	global_load_u8 v5, v[0:1], off
	s_mov_b32 s12, 0
	s_mov_b32 s0, -1
	s_waitcnt vmcnt(0)
	v_cmp_ne_u16_e32 vcc_lo, 0, v5
	v_cndmask_b32_e64 v5, 0, 0x3c00, vcc_lo
	s_branch .LBB160_200
.LBB160_199:
	s_mov_b32 s12, -1
                                        ; implicit-def: $vgpr5
.LBB160_200:
	s_branch .LBB160_10
.LBB160_201:
	v_cmp_gt_i16_e32 vcc_lo, 5, v4
	s_cbranch_vccnz .LBB160_206
; %bb.202:
	v_cmp_gt_i16_e32 vcc_lo, 8, v4
	s_cbranch_vccnz .LBB160_207
; %bb.203:
	;; [unrolled: 3-line block ×3, first 2 shown]
	v_cmp_lt_i16_e32 vcc_lo, 9, v4
	s_cbranch_vccz .LBB160_209
; %bb.205:
	global_load_b64 v[5:6], v[0:1], off
	s_mov_b32 s0, 0
	s_waitcnt vmcnt(0)
	v_cvt_f32_f64_e32 v5, v[5:6]
	s_delay_alu instid0(VALU_DEP_1)
	v_cvt_f16_f32_e32 v5, v5
	s_branch .LBB160_210
.LBB160_206:
                                        ; implicit-def: $vgpr5
	s_branch .LBB160_228
.LBB160_207:
	s_mov_b32 s0, -1
                                        ; implicit-def: $vgpr5
	s_branch .LBB160_216
.LBB160_208:
	s_mov_b32 s0, -1
                                        ; implicit-def: $vgpr5
	s_branch .LBB160_213
.LBB160_209:
	s_mov_b32 s0, -1
                                        ; implicit-def: $vgpr5
.LBB160_210:
	s_delay_alu instid0(SALU_CYCLE_1)
	s_and_not1_b32 vcc_lo, exec_lo, s0
	s_cbranch_vccnz .LBB160_212
; %bb.211:
	global_load_b32 v5, v[0:1], off
	s_waitcnt vmcnt(0)
	v_cvt_f16_f32_e32 v5, v5
.LBB160_212:
	s_mov_b32 s0, 0
.LBB160_213:
	s_delay_alu instid0(SALU_CYCLE_1)
	s_and_not1_b32 vcc_lo, exec_lo, s0
	s_cbranch_vccnz .LBB160_215
; %bb.214:
	global_load_b32 v5, v[0:1], off
.LBB160_215:
	s_mov_b32 s0, 0
.LBB160_216:
	s_delay_alu instid0(SALU_CYCLE_1)
	s_and_not1_b32 vcc_lo, exec_lo, s0
	s_cbranch_vccnz .LBB160_227
; %bb.217:
	v_cmp_gt_i16_e32 vcc_lo, 6, v4
	s_cbranch_vccnz .LBB160_220
; %bb.218:
	v_cmp_lt_i16_e32 vcc_lo, 6, v4
	s_cbranch_vccz .LBB160_221
; %bb.219:
	global_load_b64 v[5:6], v[0:1], off
	s_mov_b32 s0, 0
	s_waitcnt vmcnt(0)
	v_cvt_f32_f64_e32 v5, v[5:6]
	s_delay_alu instid0(VALU_DEP_1)
	v_cvt_f16_f32_e32 v5, v5
	s_branch .LBB160_222
.LBB160_220:
	s_mov_b32 s0, -1
                                        ; implicit-def: $vgpr5
	s_branch .LBB160_225
.LBB160_221:
	s_mov_b32 s0, -1
                                        ; implicit-def: $vgpr5
.LBB160_222:
	s_delay_alu instid0(SALU_CYCLE_1)
	s_and_not1_b32 vcc_lo, exec_lo, s0
	s_cbranch_vccnz .LBB160_224
; %bb.223:
	global_load_b32 v5, v[0:1], off
	s_waitcnt vmcnt(0)
	v_cvt_f16_f32_e32 v5, v5
.LBB160_224:
	s_mov_b32 s0, 0
.LBB160_225:
	s_delay_alu instid0(SALU_CYCLE_1)
	s_and_not1_b32 vcc_lo, exec_lo, s0
	s_cbranch_vccnz .LBB160_227
; %bb.226:
	global_load_u16 v5, v[0:1], off
.LBB160_227:
	s_cbranch_execnz .LBB160_247
.LBB160_228:
	v_cmp_gt_i16_e32 vcc_lo, 2, v4
	s_cbranch_vccnz .LBB160_232
; %bb.229:
	v_cmp_gt_i16_e32 vcc_lo, 3, v4
	s_cbranch_vccnz .LBB160_233
; %bb.230:
	v_cmp_lt_i16_e32 vcc_lo, 3, v4
	s_cbranch_vccz .LBB160_234
; %bb.231:
	global_load_b64 v[5:6], v[0:1], off
	s_mov_b32 s0, 0
	s_waitcnt vmcnt(0)
	v_xor_b32_e32 v7, v5, v6
	v_cls_i32_e32 v8, v6
	s_delay_alu instid0(VALU_DEP_2) | instskip(NEXT) | instid1(VALU_DEP_2)
	v_ashrrev_i32_e32 v7, 31, v7
	v_add_nc_u32_e32 v8, -1, v8
	s_delay_alu instid0(VALU_DEP_2) | instskip(NEXT) | instid1(VALU_DEP_1)
	v_add_nc_u32_e32 v7, 32, v7
	v_min_u32_e32 v7, v8, v7
	s_delay_alu instid0(VALU_DEP_1) | instskip(NEXT) | instid1(VALU_DEP_1)
	v_lshlrev_b64 v[5:6], v7, v[5:6]
	v_min_u32_e32 v5, 1, v5
	s_delay_alu instid0(VALU_DEP_1) | instskip(SKIP_1) | instid1(VALU_DEP_2)
	v_or_b32_e32 v5, v6, v5
	v_sub_nc_u32_e32 v6, 32, v7
	v_cvt_f32_i32_e32 v5, v5
	s_delay_alu instid0(VALU_DEP_1) | instskip(NEXT) | instid1(VALU_DEP_1)
	v_ldexp_f32 v5, v5, v6
	v_cvt_f16_f32_e32 v5, v5
	s_branch .LBB160_235
.LBB160_232:
	s_mov_b32 s0, -1
                                        ; implicit-def: $vgpr5
	s_branch .LBB160_241
.LBB160_233:
	s_mov_b32 s0, -1
                                        ; implicit-def: $vgpr5
	s_branch .LBB160_238
.LBB160_234:
	s_mov_b32 s0, -1
                                        ; implicit-def: $vgpr5
.LBB160_235:
	s_delay_alu instid0(SALU_CYCLE_1)
	s_and_not1_b32 vcc_lo, exec_lo, s0
	s_cbranch_vccnz .LBB160_237
; %bb.236:
	global_load_b32 v5, v[0:1], off
	s_waitcnt vmcnt(0)
	v_cvt_f32_i32_e32 v5, v5
	s_delay_alu instid0(VALU_DEP_1)
	v_cvt_f16_f32_e32 v5, v5
.LBB160_237:
	s_mov_b32 s0, 0
.LBB160_238:
	s_delay_alu instid0(SALU_CYCLE_1)
	s_and_not1_b32 vcc_lo, exec_lo, s0
	s_cbranch_vccnz .LBB160_240
; %bb.239:
	global_load_u16 v5, v[0:1], off
	s_waitcnt vmcnt(0)
	v_cvt_f16_i16_e32 v5, v5
.LBB160_240:
	s_mov_b32 s0, 0
.LBB160_241:
	s_delay_alu instid0(SALU_CYCLE_1)
	s_and_not1_b32 vcc_lo, exec_lo, s0
	s_cbranch_vccnz .LBB160_247
; %bb.242:
	v_cmp_lt_i16_e32 vcc_lo, 0, v4
	s_mov_b32 s0, 0
	s_cbranch_vccz .LBB160_244
; %bb.243:
	global_load_i8 v5, v[0:1], off
	s_waitcnt vmcnt(0)
	v_cvt_f16_i16_e32 v5, v5
	s_branch .LBB160_245
.LBB160_244:
	s_mov_b32 s0, -1
                                        ; implicit-def: $vgpr5
.LBB160_245:
	s_delay_alu instid0(SALU_CYCLE_1)
	s_and_not1_b32 vcc_lo, exec_lo, s0
	s_cbranch_vccnz .LBB160_247
; %bb.246:
	global_load_u8 v0, v[0:1], off
	s_waitcnt vmcnt(0)
	v_cvt_f16_u16_e32 v5, v0
.LBB160_247:
	s_branch .LBB160_11
.LBB160_248:
	s_mov_b32 s1, 0
.LBB160_249:
	s_mov_b32 s0, 0
                                        ; implicit-def: $vgpr3
.LBB160_250:
	s_and_b32 s10, s1, exec_lo
	s_and_b32 s12, s12, exec_lo
	s_or_not1_b32 s1, s0, exec_lo
.LBB160_251:
	s_or_b32 exec_lo, exec_lo, s13
	s_mov_b32 s15, 0
	s_mov_b32 s0, 0
                                        ; implicit-def: $vgpr0_vgpr1
                                        ; implicit-def: $vgpr6
	s_and_saveexec_b32 s13, s1
	s_cbranch_execz .LBB160_859
; %bb.252:
	s_mov_b32 s18, -1
	s_mov_b32 s14, s12
	s_mov_b32 s15, s10
	s_mov_b32 s16, exec_lo
	v_cmpx_gt_i32_e64 s11, v3
	s_cbranch_execz .LBB160_511
; %bb.253:
	v_mul_lo_u32 v0, v3, s3
	v_cmp_gt_i16_e32 vcc_lo, 11, v4
	s_delay_alu instid0(VALU_DEP_2) | instskip(SKIP_1) | instid1(VALU_DEP_1)
	v_ashrrev_i32_e32 v1, 31, v0
	v_add_co_u32 v0, s0, s6, v0
	v_add_co_ci_u32_e64 v1, s0, s7, v1, s0
	s_cbranch_vccnz .LBB160_260
; %bb.254:
	v_cmp_lt_i16_e32 vcc_lo, 25, v4
	s_cbranch_vccz .LBB160_269
; %bb.255:
	v_cmp_lt_i16_e32 vcc_lo, 28, v4
	s_cbranch_vccz .LBB160_271
	;; [unrolled: 3-line block ×4, first 2 shown]
; %bb.258:
	v_cmp_eq_u16_e32 vcc_lo, 46, v4
	s_mov_b32 s1, 0
	s_cbranch_vccz .LBB160_281
; %bb.259:
	global_load_b32 v5, v[0:1], off
	s_mov_b32 s0, -1
	s_mov_b32 s14, 0
	s_waitcnt vmcnt(0)
	v_lshlrev_b32_e32 v5, 16, v5
	s_delay_alu instid0(VALU_DEP_1)
	v_cvt_f16_f32_e32 v5, v5
	s_branch .LBB160_283
.LBB160_260:
	s_mov_b32 s0, 0
	s_mov_b32 s14, s12
                                        ; implicit-def: $vgpr5
	s_cbranch_execnz .LBB160_460
.LBB160_261:
	s_and_not1_b32 vcc_lo, exec_lo, s0
	s_cbranch_vccnz .LBB160_508
.LBB160_262:
	s_waitcnt vmcnt(0)
	s_delay_alu instid0(VALU_DEP_1) | instskip(SKIP_1) | instid1(VALU_DEP_1)
	v_cvt_f32_f16_e32 v0, v5
	s_mov_b32 s0, 0xbf317218
	v_mul_f32_e32 v1, 0x3fb8aa3b, v0
	s_delay_alu instid0(VALU_DEP_1) | instskip(NEXT) | instid1(VALU_DEP_1)
	v_rndne_f32_e32 v1, v1
	v_fma_mix_f32 v6, v1, s0, v5 op_sel_hi:[0,0,1]
	v_cvt_i32_f32_e32 v8, v1
	v_cmp_eq_f32_e32 vcc_lo, 0x43000000, v1
	s_mov_b32 s0, 0x395133b1
	s_delay_alu instid0(VALU_DEP_3) | instskip(NEXT) | instid1(VALU_DEP_3)
	v_fmamk_f32 v6, v1, 0x3102e308, v6
	v_cndmask_b32_e64 v1, v8, 0x7f, vcc_lo
	s_delay_alu instid0(VALU_DEP_1) | instskip(NEXT) | instid1(VALU_DEP_1)
	v_ldexp_f32 v1, 1.0, v1
	v_dual_fmaak_f32 v7, s0, v6, 0x3ab69700 :: v_dual_add_f32 v8, -1.0, v1
	s_delay_alu instid0(VALU_DEP_1) | instskip(NEXT) | instid1(VALU_DEP_1)
	v_fmaak_f32 v7, v6, v7, 0x3c0887f9
	v_fmaak_f32 v7, v6, v7, 0x3d2aaa81
	s_delay_alu instid0(VALU_DEP_1) | instskip(NEXT) | instid1(VALU_DEP_1)
	v_fmaak_f32 v7, v6, v7, 0x3e2aaaab
	v_fma_f32 v7, v6, v7, 0.5
	s_delay_alu instid0(VALU_DEP_1) | instskip(NEXT) | instid1(VALU_DEP_1)
	v_mul_f32_e32 v7, v6, v7
	v_fmac_f32_e32 v6, v6, v7
	s_delay_alu instid0(VALU_DEP_1) | instskip(NEXT) | instid1(VALU_DEP_1)
	v_fmac_f32_e32 v8, v1, v6
	v_dual_add_f32 v1, v8, v8 :: v_dual_and_b32 v6, 0xff, v2
	s_delay_alu instid0(VALU_DEP_1) | instskip(SKIP_2) | instid1(VALU_DEP_3)
	v_cndmask_b32_e32 v1, v8, v1, vcc_lo
	v_mul_lo_u32 v8, v3, s2
	v_cmp_nlt_f32_e32 vcc_lo, 0x42b17217, v0
	v_cndmask_b32_e32 v0, 0x7f800000, v1, vcc_lo
	v_cmp_gt_i16_e32 vcc_lo, 11, v6
	s_delay_alu instid0(VALU_DEP_4) | instskip(NEXT) | instid1(VALU_DEP_3)
	v_ashrrev_i32_e32 v1, 31, v8
	v_cvt_f16_f32_e32 v7, v0
	v_add_co_u32 v0, s0, s4, v8
	s_delay_alu instid0(VALU_DEP_1) | instskip(SKIP_1) | instid1(VALU_DEP_1)
	v_add_co_ci_u32_e64 v1, s0, s5, v1, s0
	v_cmp_gt_f16_e64 s0, 0xcc40, v5
	v_cndmask_b32_e64 v5, v7, 0xbc00, s0
	s_cbranch_vccnz .LBB160_270
; %bb.263:
	v_cmp_lt_i16_e32 vcc_lo, 25, v6
	s_cbranch_vccz .LBB160_272
; %bb.264:
	v_cmp_lt_i16_e32 vcc_lo, 28, v6
	s_cbranch_vccz .LBB160_274
	;; [unrolled: 3-line block ×4, first 2 shown]
; %bb.267:
	v_cmp_eq_u16_e32 vcc_lo, 46, v6
	s_mov_b32 s17, 0
	s_mov_b32 s1, -1
	s_mov_b32 s15, 0
	s_cbranch_vccz .LBB160_287
; %bb.268:
	v_cvt_f32_f16_e32 v8, v5
	v_cmp_o_f16_e32 vcc_lo, v5, v5
	s_mov_b32 s15, -1
	s_mov_b32 s1, 0
	s_delay_alu instid0(VALU_DEP_2) | instskip(NEXT) | instid1(VALU_DEP_1)
	v_bfe_u32 v9, v8, 16, 1
	v_add3_u32 v8, v8, v9, 0x7fff
	s_delay_alu instid0(VALU_DEP_1) | instskip(NEXT) | instid1(VALU_DEP_1)
	v_lshrrev_b32_e32 v8, 16, v8
	v_cndmask_b32_e32 v8, 0x7fc0, v8, vcc_lo
	global_store_b32 v[0:1], v8, off
	s_branch .LBB160_287
.LBB160_269:
	s_mov_b32 s1, -1
	s_mov_b32 s0, 0
	s_mov_b32 s14, s12
                                        ; implicit-def: $vgpr5
	s_branch .LBB160_424
.LBB160_270:
	s_mov_b32 s0, -1
	s_mov_b32 s15, 0
	s_mov_b32 s1, s10
	s_branch .LBB160_356
.LBB160_271:
	s_mov_b32 s1, -1
	s_mov_b32 s0, 0
	s_mov_b32 s14, s12
                                        ; implicit-def: $vgpr5
	s_branch .LBB160_405
.LBB160_272:
	s_mov_b32 s17, -1
	s_mov_b32 s15, 0
	s_mov_b32 s1, s10
	s_branch .LBB160_314
.LBB160_273:
	s_mov_b32 s1, -1
	s_mov_b32 s0, 0
	s_mov_b32 s14, s12
                                        ; implicit-def: $vgpr5
	s_branch .LBB160_400
.LBB160_274:
	s_mov_b32 s17, -1
	s_mov_b32 s15, 0
	s_mov_b32 s1, s10
	s_branch .LBB160_297
.LBB160_275:
	s_or_saveexec_b32 s16, s16
                                        ; implicit-def: $sgpr17
	s_delay_alu instid0(SALU_CYCLE_1)
	s_xor_b32 exec_lo, exec_lo, s16
	s_cbranch_execz .LBB160_53
.LBB160_276:
	v_add_f32_e64 v9, 0x46000000, |v8|
	s_and_not1_b32 s15, s15, exec_lo
	s_mov_b32 s17, 0
	s_delay_alu instid0(VALU_DEP_1) | instskip(NEXT) | instid1(VALU_DEP_1)
	v_and_b32_e32 v9, 0xff, v9
	v_cmp_ne_u32_e32 vcc_lo, 0, v9
	s_and_b32 s18, vcc_lo, exec_lo
	s_delay_alu instid0(SALU_CYCLE_1)
	s_or_b32 s15, s15, s18
	s_or_b32 exec_lo, exec_lo, s16
	v_mov_b32_e32 v10, s17
	s_and_saveexec_b32 s16, s15
	s_cbranch_execnz .LBB160_54
	s_branch .LBB160_55
.LBB160_277:
	s_mov_b32 s1, -1
	s_mov_b32 s0, 0
	s_mov_b32 s14, s12
	s_branch .LBB160_282
.LBB160_278:
	s_mov_b32 s17, -1
	s_mov_b32 s15, 0
	s_mov_b32 s1, s10
	s_branch .LBB160_293
.LBB160_279:
	s_or_saveexec_b32 s16, s16
                                        ; implicit-def: $sgpr17
	s_delay_alu instid0(SALU_CYCLE_1)
	s_xor_b32 exec_lo, exec_lo, s16
	s_cbranch_execz .LBB160_66
.LBB160_280:
	v_add_f32_e64 v9, 0x42800000, |v8|
	s_and_not1_b32 s15, s15, exec_lo
	s_mov_b32 s17, 0
	s_delay_alu instid0(VALU_DEP_1) | instskip(NEXT) | instid1(VALU_DEP_1)
	v_and_b32_e32 v9, 0xff, v9
	v_cmp_ne_u32_e32 vcc_lo, 0, v9
	s_and_b32 s18, vcc_lo, exec_lo
	s_delay_alu instid0(SALU_CYCLE_1)
	s_or_b32 s15, s15, s18
	s_or_b32 exec_lo, exec_lo, s16
	v_mov_b32_e32 v10, s17
	s_and_saveexec_b32 s16, s15
	s_cbranch_execnz .LBB160_67
	s_branch .LBB160_68
.LBB160_281:
	s_mov_b32 s14, -1
	s_mov_b32 s0, 0
.LBB160_282:
                                        ; implicit-def: $vgpr5
.LBB160_283:
	s_and_b32 vcc_lo, exec_lo, s1
	s_cbranch_vccz .LBB160_399
; %bb.284:
	v_cmp_eq_u16_e32 vcc_lo, 44, v4
	s_cbranch_vccz .LBB160_398
; %bb.285:
	global_load_u8 v5, v[0:1], off
	s_mov_b32 s14, 0
	s_mov_b32 s0, -1
	s_waitcnt vmcnt(0)
	v_lshlrev_b32_e32 v6, 23, v5
	v_cmp_ne_u32_e32 vcc_lo, 0xff, v5
	s_delay_alu instid0(VALU_DEP_2) | instskip(NEXT) | instid1(VALU_DEP_1)
	v_cvt_f16_f32_e32 v6, v6
	v_cndmask_b32_e32 v6, 0x7e00, v6, vcc_lo
	v_cmp_ne_u32_e32 vcc_lo, 0, v5
	s_delay_alu instid0(VALU_DEP_2)
	v_cndmask_b32_e32 v5, 0, v6, vcc_lo
	s_branch .LBB160_399
.LBB160_286:
	s_mov_b32 s17, -1
	s_mov_b32 s15, 0
	s_mov_b32 s1, s10
.LBB160_287:
	s_and_b32 vcc_lo, exec_lo, s17
	s_cbranch_vccz .LBB160_292
; %bb.288:
	v_cmp_eq_u16_e32 vcc_lo, 44, v6
	s_mov_b32 s1, -1
	s_cbranch_vccz .LBB160_292
; %bb.289:
	v_cvt_f32_f16_e32 v8, v5
	v_mov_b32_e32 v9, 0xff
	s_mov_b32 s15, exec_lo
	s_delay_alu instid0(VALU_DEP_2) | instskip(NEXT) | instid1(VALU_DEP_1)
	v_bfe_u32 v10, v8, 23, 8
	v_cmpx_ne_u32_e32 0xff, v10
; %bb.290:
	v_and_b32_e32 v9, 0x400000, v8
	v_and_or_b32 v10, 0x3fffff, v8, v10
	v_lshrrev_b32_e32 v8, 23, v8
	s_delay_alu instid0(VALU_DEP_3) | instskip(NEXT) | instid1(VALU_DEP_3)
	v_cmp_ne_u32_e32 vcc_lo, 0, v9
	v_cmp_ne_u32_e64 s1, 0, v10
	s_delay_alu instid0(VALU_DEP_1) | instskip(NEXT) | instid1(SALU_CYCLE_1)
	s_and_b32 s1, vcc_lo, s1
	v_cndmask_b32_e64 v9, 0, 1, s1
	s_delay_alu instid0(VALU_DEP_1)
	v_add_nc_u32_e32 v9, v8, v9
; %bb.291:
	s_or_b32 exec_lo, exec_lo, s15
	s_mov_b32 s15, -1
	s_mov_b32 s1, 0
	global_store_b8 v[0:1], v9, off
.LBB160_292:
	s_mov_b32 s17, 0
.LBB160_293:
	s_delay_alu instid0(SALU_CYCLE_1)
	s_and_b32 vcc_lo, exec_lo, s17
	s_cbranch_vccz .LBB160_296
; %bb.294:
	v_cmp_eq_u16_e32 vcc_lo, 29, v6
	s_mov_b32 s1, -1
	s_cbranch_vccz .LBB160_296
; %bb.295:
	v_cvt_f32_f16_e32 v8, v5
	v_mov_b32_e32 v9, 0
	s_mov_b32 s1, 0
	s_mov_b32 s15, -1
	s_mov_b32 s17, 0
	v_cvt_u32_f32_e32 v8, v8
	global_store_b64 v[0:1], v[8:9], off
	s_branch .LBB160_297
.LBB160_296:
	s_mov_b32 s17, 0
.LBB160_297:
	s_delay_alu instid0(SALU_CYCLE_1)
	s_and_b32 vcc_lo, exec_lo, s17
	s_cbranch_vccz .LBB160_313
; %bb.298:
	v_cmp_gt_i16_e32 vcc_lo, 27, v6
	s_mov_b32 s15, -1
	s_cbranch_vccnz .LBB160_304
; %bb.299:
	v_cmp_lt_i16_e32 vcc_lo, 27, v6
	s_cbranch_vccz .LBB160_301
; %bb.300:
	v_cvt_f32_f16_e32 v8, v5
	s_mov_b32 s15, 0
	s_delay_alu instid0(VALU_DEP_1)
	v_cvt_u32_f32_e32 v8, v8
	global_store_b32 v[0:1], v8, off
.LBB160_301:
	s_and_not1_b32 vcc_lo, exec_lo, s15
	s_cbranch_vccnz .LBB160_303
; %bb.302:
	v_cvt_u16_f16_e32 v8, v5
	global_store_b16 v[0:1], v8, off
.LBB160_303:
	s_mov_b32 s15, 0
.LBB160_304:
	s_delay_alu instid0(SALU_CYCLE_1)
	s_and_not1_b32 vcc_lo, exec_lo, s15
	s_cbranch_vccnz .LBB160_312
; %bb.305:
	v_cvt_f32_f16_e32 v8, v5
	v_mov_b32_e32 v10, 0x80
	s_mov_b32 s15, exec_lo
	s_delay_alu instid0(VALU_DEP_2) | instskip(NEXT) | instid1(VALU_DEP_1)
	v_and_b32_e32 v9, 0x7fffffff, v8
	v_cmpx_gt_u32_e32 0x43800000, v9
	s_cbranch_execz .LBB160_311
; %bb.306:
	v_cmp_lt_u32_e32 vcc_lo, 0x3bffffff, v9
	s_mov_b32 s17, 0
                                        ; implicit-def: $vgpr9
	s_and_saveexec_b32 s18, vcc_lo
	s_delay_alu instid0(SALU_CYCLE_1)
	s_xor_b32 s18, exec_lo, s18
	s_cbranch_execz .LBB160_524
; %bb.307:
	v_bfe_u32 v9, v8, 20, 1
	s_mov_b32 s17, exec_lo
	s_delay_alu instid0(VALU_DEP_1) | instskip(NEXT) | instid1(VALU_DEP_1)
	v_add3_u32 v9, v8, v9, 0x487ffff
	v_lshrrev_b32_e32 v9, 20, v9
	s_or_saveexec_b32 s18, s18
                                        ; implicit-def: $sgpr19
	s_delay_alu instid0(SALU_CYCLE_1)
	s_xor_b32 exec_lo, exec_lo, s18
	s_cbranch_execnz .LBB160_525
.LBB160_308:
	s_or_b32 exec_lo, exec_lo, s18
	v_mov_b32_e32 v10, s19
	s_and_saveexec_b32 s18, s17
.LBB160_309:
	v_lshrrev_b32_e32 v8, 24, v8
	s_delay_alu instid0(VALU_DEP_1)
	v_and_or_b32 v10, 0x80, v8, v9
.LBB160_310:
	s_or_b32 exec_lo, exec_lo, s18
.LBB160_311:
	s_delay_alu instid0(SALU_CYCLE_1)
	s_or_b32 exec_lo, exec_lo, s15
	global_store_b8 v[0:1], v10, off
.LBB160_312:
	s_mov_b32 s15, -1
.LBB160_313:
	s_mov_b32 s17, 0
.LBB160_314:
	s_delay_alu instid0(SALU_CYCLE_1)
	s_and_b32 vcc_lo, exec_lo, s17
	s_cbranch_vccz .LBB160_355
; %bb.315:
	v_cmp_lt_i16_e32 vcc_lo, 22, v6
	s_mov_b32 s17, -1
	s_cbranch_vccz .LBB160_347
; %bb.316:
	v_cmp_gt_i16_e32 vcc_lo, 24, v6
	s_mov_b32 s15, -1
	s_cbranch_vccnz .LBB160_336
; %bb.317:
	v_cmp_lt_i16_e32 vcc_lo, 24, v6
	s_cbranch_vccz .LBB160_325
; %bb.318:
	v_cvt_f32_f16_e32 v8, v5
	v_mov_b32_e32 v10, 0x80
	s_mov_b32 s15, exec_lo
	s_delay_alu instid0(VALU_DEP_2) | instskip(NEXT) | instid1(VALU_DEP_1)
	v_and_b32_e32 v9, 0x7fffffff, v8
	v_cmpx_gt_u32_e32 0x47800000, v9
	s_cbranch_execz .LBB160_324
; %bb.319:
	v_cmp_lt_u32_e32 vcc_lo, 0x37ffffff, v9
	s_mov_b32 s17, 0
                                        ; implicit-def: $vgpr9
	s_and_saveexec_b32 s18, vcc_lo
	s_delay_alu instid0(SALU_CYCLE_1)
	s_xor_b32 s18, exec_lo, s18
	s_cbranch_execz .LBB160_527
; %bb.320:
	v_bfe_u32 v9, v8, 21, 1
	s_mov_b32 s17, exec_lo
	s_delay_alu instid0(VALU_DEP_1) | instskip(NEXT) | instid1(VALU_DEP_1)
	v_add3_u32 v9, v8, v9, 0x88fffff
	v_lshrrev_b32_e32 v9, 21, v9
	s_or_saveexec_b32 s18, s18
                                        ; implicit-def: $sgpr19
	s_delay_alu instid0(SALU_CYCLE_1)
	s_xor_b32 exec_lo, exec_lo, s18
	s_cbranch_execnz .LBB160_528
.LBB160_321:
	s_or_b32 exec_lo, exec_lo, s18
	v_mov_b32_e32 v10, s19
	s_and_saveexec_b32 s18, s17
.LBB160_322:
	v_lshrrev_b32_e32 v8, 24, v8
	s_delay_alu instid0(VALU_DEP_1)
	v_and_or_b32 v10, 0x80, v8, v9
.LBB160_323:
	s_or_b32 exec_lo, exec_lo, s18
.LBB160_324:
	s_delay_alu instid0(SALU_CYCLE_1)
	s_or_b32 exec_lo, exec_lo, s15
	s_mov_b32 s15, 0
	global_store_b8 v[0:1], v10, off
.LBB160_325:
	s_and_b32 vcc_lo, exec_lo, s15
	s_cbranch_vccz .LBB160_335
; %bb.326:
	v_cvt_f32_f16_e32 v8, v5
	s_mov_b32 s15, exec_lo
                                        ; implicit-def: $vgpr9
	s_delay_alu instid0(VALU_DEP_1) | instskip(NEXT) | instid1(VALU_DEP_1)
	v_and_b32_e32 v10, 0x7fffffff, v8
	v_cmpx_gt_u32_e32 0x43f00000, v10
	s_xor_b32 s15, exec_lo, s15
	s_cbranch_execz .LBB160_332
; %bb.327:
	s_mov_b32 s17, exec_lo
                                        ; implicit-def: $vgpr9
	v_cmpx_lt_u32_e32 0x3c7fffff, v10
	s_xor_b32 s17, exec_lo, s17
; %bb.328:
	v_bfe_u32 v9, v8, 20, 1
	s_delay_alu instid0(VALU_DEP_1) | instskip(NEXT) | instid1(VALU_DEP_1)
	v_add3_u32 v9, v8, v9, 0x407ffff
	v_and_b32_e32 v10, 0xff00000, v9
	v_lshrrev_b32_e32 v9, 20, v9
	s_delay_alu instid0(VALU_DEP_2) | instskip(NEXT) | instid1(VALU_DEP_2)
	v_cmp_ne_u32_e32 vcc_lo, 0x7f00000, v10
	v_cndmask_b32_e32 v9, 0x7e, v9, vcc_lo
; %bb.329:
	s_and_not1_saveexec_b32 s17, s17
; %bb.330:
	v_add_f32_e64 v9, 0x46800000, |v8|
; %bb.331:
	s_or_b32 exec_lo, exec_lo, s17
                                        ; implicit-def: $vgpr10
.LBB160_332:
	s_and_not1_saveexec_b32 s15, s15
; %bb.333:
	v_mov_b32_e32 v9, 0x7f
	v_cmp_lt_u32_e32 vcc_lo, 0x7f800000, v10
	s_delay_alu instid0(VALU_DEP_2)
	v_cndmask_b32_e32 v9, 0x7e, v9, vcc_lo
; %bb.334:
	s_or_b32 exec_lo, exec_lo, s15
	v_lshrrev_b32_e32 v8, 24, v8
	s_delay_alu instid0(VALU_DEP_1)
	v_and_or_b32 v8, 0x80, v8, v9
	global_store_b8 v[0:1], v8, off
.LBB160_335:
	s_mov_b32 s15, 0
.LBB160_336:
	s_delay_alu instid0(SALU_CYCLE_1)
	s_and_not1_b32 vcc_lo, exec_lo, s15
	s_cbranch_vccnz .LBB160_346
; %bb.337:
	v_cvt_f32_f16_e32 v8, v5
	s_mov_b32 s15, exec_lo
                                        ; implicit-def: $vgpr9
	s_delay_alu instid0(VALU_DEP_1) | instskip(NEXT) | instid1(VALU_DEP_1)
	v_and_b32_e32 v10, 0x7fffffff, v8
	v_cmpx_gt_u32_e32 0x47800000, v10
	s_xor_b32 s15, exec_lo, s15
	s_cbranch_execz .LBB160_343
; %bb.338:
	s_mov_b32 s17, exec_lo
                                        ; implicit-def: $vgpr9
	v_cmpx_lt_u32_e32 0x387fffff, v10
	s_xor_b32 s17, exec_lo, s17
; %bb.339:
	v_bfe_u32 v9, v8, 21, 1
	s_delay_alu instid0(VALU_DEP_1) | instskip(NEXT) | instid1(VALU_DEP_1)
	v_add3_u32 v9, v8, v9, 0x80fffff
	v_lshrrev_b32_e32 v9, 21, v9
; %bb.340:
	s_and_not1_saveexec_b32 s17, s17
; %bb.341:
	v_add_f32_e64 v9, 0x43000000, |v8|
; %bb.342:
	s_or_b32 exec_lo, exec_lo, s17
                                        ; implicit-def: $vgpr10
.LBB160_343:
	s_and_not1_saveexec_b32 s15, s15
; %bb.344:
	v_mov_b32_e32 v9, 0x7f
	v_cmp_lt_u32_e32 vcc_lo, 0x7f800000, v10
	s_delay_alu instid0(VALU_DEP_2)
	v_cndmask_b32_e32 v9, 0x7c, v9, vcc_lo
; %bb.345:
	s_or_b32 exec_lo, exec_lo, s15
	v_lshrrev_b32_e32 v8, 24, v8
	s_delay_alu instid0(VALU_DEP_1)
	v_and_or_b32 v8, 0x80, v8, v9
	global_store_b8 v[0:1], v8, off
.LBB160_346:
	s_mov_b32 s17, 0
	s_mov_b32 s15, -1
.LBB160_347:
	s_and_not1_b32 vcc_lo, exec_lo, s17
	s_cbranch_vccnz .LBB160_355
; %bb.348:
	v_cmp_lt_i16_e32 vcc_lo, 14, v6
	s_mov_b32 s17, -1
	s_cbranch_vccz .LBB160_352
; %bb.349:
	v_cmp_eq_u16_e32 vcc_lo, 15, v6
	s_mov_b32 s1, -1
	s_cbranch_vccz .LBB160_351
; %bb.350:
	v_cvt_f32_f16_e32 v8, v5
	v_cmp_o_f16_e32 vcc_lo, v5, v5
	s_mov_b32 s15, -1
	s_mov_b32 s1, 0
	s_delay_alu instid0(VALU_DEP_2) | instskip(NEXT) | instid1(VALU_DEP_1)
	v_bfe_u32 v9, v8, 16, 1
	v_add3_u32 v8, v8, v9, 0x7fff
	s_delay_alu instid0(VALU_DEP_1) | instskip(NEXT) | instid1(VALU_DEP_1)
	v_lshrrev_b32_e32 v8, 16, v8
	v_cndmask_b32_e32 v8, 0x7fc0, v8, vcc_lo
	global_store_b16 v[0:1], v8, off
.LBB160_351:
	s_mov_b32 s17, 0
.LBB160_352:
	s_delay_alu instid0(SALU_CYCLE_1)
	s_and_b32 vcc_lo, exec_lo, s17
	s_cbranch_vccz .LBB160_355
; %bb.353:
	v_cmp_eq_u16_e32 vcc_lo, 11, v6
	s_mov_b32 s1, -1
	s_cbranch_vccz .LBB160_355
; %bb.354:
	v_cmp_neq_f16_e32 vcc_lo, 0, v7
	s_mov_b32 s1, 0
	s_mov_b32 s15, -1
	s_or_b32 s0, s0, vcc_lo
	s_delay_alu instid0(SALU_CYCLE_1)
	v_cndmask_b32_e64 v7, 0, 1, s0
	global_store_b8 v[0:1], v7, off
.LBB160_355:
	s_mov_b32 s0, 0
.LBB160_356:
	s_delay_alu instid0(SALU_CYCLE_1)
	s_and_b32 vcc_lo, exec_lo, s0
	s_cbranch_vccz .LBB160_395
; %bb.357:
	v_cmp_gt_i16_e32 vcc_lo, 5, v6
	s_mov_b32 s0, -1
	s_cbranch_vccnz .LBB160_378
; %bb.358:
	v_cmp_gt_i16_e32 vcc_lo, 8, v6
	s_cbranch_vccnz .LBB160_368
; %bb.359:
	v_cmp_gt_i16_e32 vcc_lo, 9, v6
	s_cbranch_vccnz .LBB160_365
; %bb.360:
	v_cmp_lt_i16_e32 vcc_lo, 9, v6
	s_cbranch_vccz .LBB160_362
; %bb.361:
	v_cvt_f32_f16_e32 v7, v5
	v_mov_b32_e32 v9, 0
	s_mov_b32 s0, 0
	s_delay_alu instid0(VALU_DEP_2) | instskip(NEXT) | instid1(VALU_DEP_2)
	v_cvt_f64_f32_e32 v[7:8], v7
	v_mov_b32_e32 v10, v9
	global_store_b128 v[0:1], v[7:10], off
.LBB160_362:
	s_and_not1_b32 vcc_lo, exec_lo, s0
	s_cbranch_vccnz .LBB160_364
; %bb.363:
	v_cvt_f32_f16_e32 v7, v5
	v_mov_b32_e32 v8, 0
	global_store_b64 v[0:1], v[7:8], off
.LBB160_364:
	s_mov_b32 s0, 0
.LBB160_365:
	s_delay_alu instid0(SALU_CYCLE_1)
	s_and_not1_b32 vcc_lo, exec_lo, s0
	s_cbranch_vccnz .LBB160_367
; %bb.366:
	v_and_b32_e32 v7, 0xffff, v5
	global_store_b32 v[0:1], v7, off
.LBB160_367:
	s_mov_b32 s0, 0
.LBB160_368:
	s_delay_alu instid0(SALU_CYCLE_1)
	s_and_not1_b32 vcc_lo, exec_lo, s0
	s_cbranch_vccnz .LBB160_377
; %bb.369:
	v_cmp_gt_i16_e32 vcc_lo, 6, v6
	s_mov_b32 s0, -1
	s_cbranch_vccnz .LBB160_375
; %bb.370:
	v_cmp_lt_i16_e32 vcc_lo, 6, v6
	s_cbranch_vccz .LBB160_372
; %bb.371:
	v_cvt_f32_f16_e32 v7, v5
	s_mov_b32 s0, 0
	s_delay_alu instid0(VALU_DEP_1)
	v_cvt_f64_f32_e32 v[7:8], v7
	global_store_b64 v[0:1], v[7:8], off
.LBB160_372:
	s_and_not1_b32 vcc_lo, exec_lo, s0
	s_cbranch_vccnz .LBB160_374
; %bb.373:
	v_cvt_f32_f16_e32 v7, v5
	global_store_b32 v[0:1], v7, off
.LBB160_374:
	s_mov_b32 s0, 0
.LBB160_375:
	s_delay_alu instid0(SALU_CYCLE_1)
	s_and_not1_b32 vcc_lo, exec_lo, s0
	s_cbranch_vccnz .LBB160_377
; %bb.376:
	global_store_b16 v[0:1], v5, off
.LBB160_377:
	s_mov_b32 s0, 0
.LBB160_378:
	s_delay_alu instid0(SALU_CYCLE_1)
	s_and_not1_b32 vcc_lo, exec_lo, s0
	s_cbranch_vccnz .LBB160_394
; %bb.379:
	v_cmp_gt_i16_e32 vcc_lo, 2, v6
	s_mov_b32 s0, -1
	s_cbranch_vccnz .LBB160_389
; %bb.380:
	v_cmp_gt_i16_e32 vcc_lo, 3, v6
	s_cbranch_vccnz .LBB160_386
; %bb.381:
	v_cmp_lt_i16_e32 vcc_lo, 3, v6
	s_cbranch_vccz .LBB160_383
; %bb.382:
	v_cvt_f32_f16_e32 v7, v5
	s_mov_b32 s0, 0
	s_delay_alu instid0(VALU_DEP_1) | instskip(NEXT) | instid1(VALU_DEP_1)
	v_cvt_i32_f32_e32 v7, v7
	v_ashrrev_i32_e32 v8, 31, v7
	global_store_b64 v[0:1], v[7:8], off
.LBB160_383:
	s_and_not1_b32 vcc_lo, exec_lo, s0
	s_cbranch_vccnz .LBB160_385
; %bb.384:
	v_cvt_f32_f16_e32 v7, v5
	s_delay_alu instid0(VALU_DEP_1)
	v_cvt_i32_f32_e32 v7, v7
	global_store_b32 v[0:1], v7, off
.LBB160_385:
	s_mov_b32 s0, 0
.LBB160_386:
	s_delay_alu instid0(SALU_CYCLE_1)
	s_and_not1_b32 vcc_lo, exec_lo, s0
	s_cbranch_vccnz .LBB160_388
; %bb.387:
	v_cvt_i16_f16_e32 v7, v5
	global_store_b16 v[0:1], v7, off
.LBB160_388:
	s_mov_b32 s0, 0
.LBB160_389:
	s_delay_alu instid0(SALU_CYCLE_1)
	s_and_not1_b32 vcc_lo, exec_lo, s0
	s_cbranch_vccnz .LBB160_394
; %bb.390:
	v_cmp_lt_i16_e32 vcc_lo, 0, v6
	s_mov_b32 s0, -1
	s_cbranch_vccz .LBB160_392
; %bb.391:
	v_cvt_i16_f16_e32 v6, v5
	s_mov_b32 s0, 0
	global_store_b8 v[0:1], v6, off
.LBB160_392:
	s_and_not1_b32 vcc_lo, exec_lo, s0
	s_cbranch_vccnz .LBB160_394
; %bb.393:
	v_cvt_f32_f16_e32 v5, v5
	s_delay_alu instid0(VALU_DEP_1)
	v_cvt_i32_f32_e32 v5, v5
	global_store_b8 v[0:1], v5, off
.LBB160_394:
	s_mov_b32 s15, -1
.LBB160_395:
	s_delay_alu instid0(SALU_CYCLE_1)
	s_and_not1_b32 vcc_lo, exec_lo, s15
	s_cbranch_vccnz .LBB160_397
; %bb.396:
	v_add_nc_u32_e32 v3, 0x80, v3
	s_mov_b32 s0, -1
	s_branch .LBB160_510
.LBB160_397:
	s_mov_b32 s0, 0
	s_branch .LBB160_509
.LBB160_398:
	s_mov_b32 s14, -1
                                        ; implicit-def: $vgpr5
.LBB160_399:
	s_mov_b32 s1, 0
.LBB160_400:
	s_delay_alu instid0(SALU_CYCLE_1)
	s_and_b32 vcc_lo, exec_lo, s1
	s_cbranch_vccz .LBB160_404
; %bb.401:
	v_cmp_eq_u16_e32 vcc_lo, 29, v4
	s_cbranch_vccz .LBB160_403
; %bb.402:
	global_load_b64 v[5:6], v[0:1], off
	s_mov_b32 s0, -1
	s_mov_b32 s14, 0
	s_mov_b32 s1, 0
	s_waitcnt vmcnt(0)
	v_clz_i32_u32_e32 v7, v6
	s_delay_alu instid0(VALU_DEP_1) | instskip(NEXT) | instid1(VALU_DEP_1)
	v_min_u32_e32 v7, 32, v7
	v_lshlrev_b64 v[5:6], v7, v[5:6]
	s_delay_alu instid0(VALU_DEP_1) | instskip(NEXT) | instid1(VALU_DEP_1)
	v_min_u32_e32 v5, 1, v5
	v_or_b32_e32 v5, v6, v5
	v_sub_nc_u32_e32 v6, 32, v7
	s_delay_alu instid0(VALU_DEP_2) | instskip(NEXT) | instid1(VALU_DEP_1)
	v_cvt_f32_u32_e32 v5, v5
	v_ldexp_f32 v5, v5, v6
	s_delay_alu instid0(VALU_DEP_1)
	v_cvt_f16_f32_e32 v5, v5
	s_branch .LBB160_405
.LBB160_403:
	s_mov_b32 s14, -1
                                        ; implicit-def: $vgpr5
.LBB160_404:
	s_mov_b32 s1, 0
.LBB160_405:
	s_delay_alu instid0(SALU_CYCLE_1)
	s_and_b32 vcc_lo, exec_lo, s1
	s_cbranch_vccz .LBB160_423
; %bb.406:
	v_cmp_gt_i16_e32 vcc_lo, 27, v4
	s_cbranch_vccnz .LBB160_409
; %bb.407:
	v_cmp_lt_i16_e32 vcc_lo, 27, v4
	s_cbranch_vccz .LBB160_410
; %bb.408:
	global_load_b32 v5, v[0:1], off
	s_mov_b32 s0, 0
	s_waitcnt vmcnt(0)
	v_cvt_f32_u32_e32 v5, v5
	s_delay_alu instid0(VALU_DEP_1)
	v_cvt_f16_f32_e32 v5, v5
	s_branch .LBB160_411
.LBB160_409:
	s_mov_b32 s0, -1
                                        ; implicit-def: $vgpr5
	s_branch .LBB160_414
.LBB160_410:
	s_mov_b32 s0, -1
                                        ; implicit-def: $vgpr5
.LBB160_411:
	s_delay_alu instid0(SALU_CYCLE_1)
	s_and_not1_b32 vcc_lo, exec_lo, s0
	s_cbranch_vccnz .LBB160_413
; %bb.412:
	global_load_u16 v5, v[0:1], off
	s_waitcnt vmcnt(0)
	v_cvt_f16_u16_e32 v5, v5
.LBB160_413:
	s_mov_b32 s0, 0
.LBB160_414:
	s_delay_alu instid0(SALU_CYCLE_1)
	s_and_not1_b32 vcc_lo, exec_lo, s0
	s_cbranch_vccnz .LBB160_422
; %bb.415:
	global_load_u8 v6, v[0:1], off
	s_mov_b32 s0, 0
	s_mov_b32 s15, exec_lo
                                        ; implicit-def: $sgpr1
	s_waitcnt vmcnt(0)
	v_cmpx_lt_i16_e32 0x7f, v6
	s_xor_b32 s15, exec_lo, s15
	s_cbranch_execz .LBB160_436
; %bb.416:
	s_mov_b32 s0, -1
	s_mov_b32 s17, exec_lo
                                        ; implicit-def: $sgpr1
	v_cmpx_eq_u16_e32 0x80, v6
; %bb.417:
	s_movk_i32 s1, 0x7e00
	s_xor_b32 s0, exec_lo, -1
; %bb.418:
	s_or_b32 exec_lo, exec_lo, s17
	s_delay_alu instid0(SALU_CYCLE_1)
	s_and_b32 s0, s0, exec_lo
	s_or_saveexec_b32 s15, s15
	v_mov_b32_e32 v5, s1
	s_xor_b32 exec_lo, exec_lo, s15
	s_cbranch_execnz .LBB160_437
.LBB160_419:
	s_or_b32 exec_lo, exec_lo, s15
	s_and_saveexec_b32 s1, s0
	s_cbranch_execz .LBB160_421
.LBB160_420:
	v_and_b32_e32 v5, 0xffff, v6
	s_delay_alu instid0(VALU_DEP_1) | instskip(NEXT) | instid1(VALU_DEP_1)
	v_and_b32_e32 v7, 7, v5
	v_clz_i32_u32_e32 v8, v7
	s_delay_alu instid0(VALU_DEP_1) | instskip(NEXT) | instid1(VALU_DEP_1)
	v_min_u32_e32 v8, 32, v8
	v_subrev_nc_u32_e32 v9, 28, v8
	v_sub_nc_u32_e32 v8, 29, v8
	s_delay_alu instid0(VALU_DEP_2) | instskip(SKIP_1) | instid1(VALU_DEP_2)
	v_lshlrev_b32_e32 v9, v9, v5
	v_bfe_u32 v5, v5, 3, 4
	v_and_b32_e32 v9, 7, v9
	s_delay_alu instid0(VALU_DEP_2) | instskip(SKIP_1) | instid1(VALU_DEP_1)
	v_cmp_eq_u32_e32 vcc_lo, 0, v5
	v_dual_cndmask_b32 v5, v5, v8 :: v_dual_lshlrev_b32 v6, 24, v6
	v_dual_cndmask_b32 v7, v7, v9 :: v_dual_and_b32 v6, 0x80000000, v6
	s_delay_alu instid0(VALU_DEP_2) | instskip(NEXT) | instid1(VALU_DEP_2)
	v_lshl_add_u32 v5, v5, 23, 0x3b800000
	v_lshlrev_b32_e32 v7, 20, v7
	s_delay_alu instid0(VALU_DEP_1) | instskip(NEXT) | instid1(VALU_DEP_1)
	v_or3_b32 v5, v6, v5, v7
	v_cvt_f16_f32_e32 v5, v5
.LBB160_421:
	s_or_b32 exec_lo, exec_lo, s1
.LBB160_422:
	s_mov_b32 s0, -1
.LBB160_423:
	s_mov_b32 s1, 0
.LBB160_424:
	s_delay_alu instid0(SALU_CYCLE_1)
	s_and_b32 vcc_lo, exec_lo, s1
	s_cbranch_vccz .LBB160_459
; %bb.425:
	v_cmp_lt_i16_e32 vcc_lo, 22, v4
	s_cbranch_vccz .LBB160_435
; %bb.426:
	v_cmp_gt_i16_e32 vcc_lo, 24, v4
	s_cbranch_vccnz .LBB160_438
; %bb.427:
	v_cmp_lt_i16_e32 vcc_lo, 24, v4
	s_cbranch_vccz .LBB160_439
; %bb.428:
	global_load_u8 v6, v[0:1], off
	s_mov_b32 s0, 0
	s_mov_b32 s15, exec_lo
                                        ; implicit-def: $sgpr1
	s_waitcnt vmcnt(0)
	v_cmpx_lt_i16_e32 0x7f, v6
	s_xor_b32 s15, exec_lo, s15
	s_cbranch_execz .LBB160_451
; %bb.429:
	s_mov_b32 s0, -1
	s_mov_b32 s17, exec_lo
                                        ; implicit-def: $sgpr1
	v_cmpx_eq_u16_e32 0x80, v6
; %bb.430:
	s_movk_i32 s1, 0x7e00
	s_xor_b32 s0, exec_lo, -1
; %bb.431:
	s_or_b32 exec_lo, exec_lo, s17
	s_delay_alu instid0(SALU_CYCLE_1)
	s_and_b32 s0, s0, exec_lo
	s_or_saveexec_b32 s15, s15
	v_mov_b32_e32 v5, s1
	s_xor_b32 exec_lo, exec_lo, s15
	s_cbranch_execnz .LBB160_452
.LBB160_432:
	s_or_b32 exec_lo, exec_lo, s15
	s_and_saveexec_b32 s1, s0
	s_cbranch_execz .LBB160_434
.LBB160_433:
	v_and_b32_e32 v5, 0xffff, v6
	s_delay_alu instid0(VALU_DEP_1) | instskip(NEXT) | instid1(VALU_DEP_1)
	v_and_b32_e32 v7, 3, v5
	v_clz_i32_u32_e32 v8, v7
	s_delay_alu instid0(VALU_DEP_1) | instskip(NEXT) | instid1(VALU_DEP_1)
	v_min_u32_e32 v8, 32, v8
	v_subrev_nc_u32_e32 v9, 29, v8
	v_sub_nc_u32_e32 v8, 30, v8
	s_delay_alu instid0(VALU_DEP_2) | instskip(SKIP_1) | instid1(VALU_DEP_2)
	v_lshlrev_b32_e32 v9, v9, v5
	v_bfe_u32 v5, v5, 2, 5
	v_and_b32_e32 v9, 3, v9
	s_delay_alu instid0(VALU_DEP_2) | instskip(SKIP_1) | instid1(VALU_DEP_1)
	v_cmp_eq_u32_e32 vcc_lo, 0, v5
	v_dual_cndmask_b32 v5, v5, v8 :: v_dual_lshlrev_b32 v6, 24, v6
	v_dual_cndmask_b32 v7, v7, v9 :: v_dual_and_b32 v6, 0x80000000, v6
	s_delay_alu instid0(VALU_DEP_2) | instskip(NEXT) | instid1(VALU_DEP_2)
	v_lshl_add_u32 v5, v5, 23, 0x37800000
	v_lshlrev_b32_e32 v7, 21, v7
	s_delay_alu instid0(VALU_DEP_1) | instskip(NEXT) | instid1(VALU_DEP_1)
	v_or3_b32 v5, v6, v5, v7
	v_cvt_f16_f32_e32 v5, v5
.LBB160_434:
	s_or_b32 exec_lo, exec_lo, s1
	s_mov_b32 s0, 0
	s_branch .LBB160_440
.LBB160_435:
	s_mov_b32 s1, -1
                                        ; implicit-def: $vgpr5
	s_branch .LBB160_446
.LBB160_436:
	s_or_saveexec_b32 s15, s15
	v_mov_b32_e32 v5, s1
	s_xor_b32 exec_lo, exec_lo, s15
	s_cbranch_execz .LBB160_419
.LBB160_437:
	v_cmp_ne_u16_e32 vcc_lo, 0, v6
	v_mov_b32_e32 v5, v6
	s_and_not1_b32 s0, s0, exec_lo
	s_and_b32 s1, vcc_lo, exec_lo
	s_delay_alu instid0(SALU_CYCLE_1)
	s_or_b32 s0, s0, s1
	s_or_b32 exec_lo, exec_lo, s15
	s_and_saveexec_b32 s1, s0
	s_cbranch_execnz .LBB160_420
	s_branch .LBB160_421
.LBB160_438:
	s_mov_b32 s0, -1
                                        ; implicit-def: $vgpr5
	s_branch .LBB160_443
.LBB160_439:
	s_mov_b32 s0, -1
                                        ; implicit-def: $vgpr5
.LBB160_440:
	s_delay_alu instid0(SALU_CYCLE_1)
	s_and_b32 vcc_lo, exec_lo, s0
	s_cbranch_vccz .LBB160_442
; %bb.441:
	global_load_u8 v5, v[0:1], off
	s_waitcnt vmcnt(0)
	v_lshlrev_b32_e32 v5, 24, v5
	s_delay_alu instid0(VALU_DEP_1) | instskip(NEXT) | instid1(VALU_DEP_1)
	v_and_b32_e32 v6, 0x7f000000, v5
	v_clz_i32_u32_e32 v7, v6
	v_add_nc_u32_e32 v9, 0x1000000, v6
	v_cmp_ne_u32_e32 vcc_lo, 0, v6
	s_delay_alu instid0(VALU_DEP_3) | instskip(NEXT) | instid1(VALU_DEP_1)
	v_min_u32_e32 v7, 32, v7
	v_sub_nc_u32_e64 v7, v7, 4 clamp
	s_delay_alu instid0(VALU_DEP_1) | instskip(SKIP_1) | instid1(VALU_DEP_2)
	v_lshlrev_b32_e32 v8, v7, v6
	v_lshlrev_b32_e32 v7, 23, v7
	v_lshrrev_b32_e32 v8, 4, v8
	s_delay_alu instid0(VALU_DEP_1) | instskip(SKIP_1) | instid1(VALU_DEP_2)
	v_sub_nc_u32_e32 v7, v8, v7
	v_ashrrev_i32_e32 v8, 8, v9
	v_add_nc_u32_e32 v7, 0x3c000000, v7
	s_delay_alu instid0(VALU_DEP_1) | instskip(NEXT) | instid1(VALU_DEP_1)
	v_and_or_b32 v7, 0x7f800000, v8, v7
	v_cndmask_b32_e32 v6, 0, v7, vcc_lo
	s_delay_alu instid0(VALU_DEP_1) | instskip(NEXT) | instid1(VALU_DEP_1)
	v_and_or_b32 v5, 0x80000000, v5, v6
	v_cvt_f16_f32_e32 v5, v5
.LBB160_442:
	s_mov_b32 s0, 0
.LBB160_443:
	s_delay_alu instid0(SALU_CYCLE_1)
	s_and_not1_b32 vcc_lo, exec_lo, s0
	s_cbranch_vccnz .LBB160_445
; %bb.444:
	global_load_u8 v5, v[0:1], off
	s_waitcnt vmcnt(0)
	v_lshlrev_b32_e32 v6, 25, v5
	v_lshlrev_b16 v5, 8, v5
	s_delay_alu instid0(VALU_DEP_2) | instskip(NEXT) | instid1(VALU_DEP_2)
	v_lshrrev_b32_e32 v7, 4, v6
	v_and_or_b32 v8, 0x7f00, v5, 0.5
	v_bfe_i32 v5, v5, 0, 16
	s_delay_alu instid0(VALU_DEP_3) | instskip(NEXT) | instid1(VALU_DEP_1)
	v_or_b32_e32 v7, 0x70000000, v7
	v_dual_add_f32 v8, -0.5, v8 :: v_dual_mul_f32 v7, 0x7800000, v7
	v_cmp_gt_u32_e32 vcc_lo, 0x8000000, v6
	s_delay_alu instid0(VALU_DEP_2) | instskip(NEXT) | instid1(VALU_DEP_1)
	v_cndmask_b32_e32 v6, v7, v8, vcc_lo
	v_and_or_b32 v5, 0x80000000, v5, v6
	s_delay_alu instid0(VALU_DEP_1)
	v_cvt_f16_f32_e32 v5, v5
.LBB160_445:
	s_mov_b32 s1, 0
	s_mov_b32 s0, -1
.LBB160_446:
	s_and_not1_b32 vcc_lo, exec_lo, s1
	s_cbranch_vccnz .LBB160_459
; %bb.447:
	v_cmp_lt_i16_e32 vcc_lo, 14, v4
	s_cbranch_vccz .LBB160_450
; %bb.448:
	v_cmp_eq_u16_e32 vcc_lo, 15, v4
	s_cbranch_vccz .LBB160_453
; %bb.449:
	global_load_u16 v5, v[0:1], off
	s_mov_b32 s0, -1
	s_mov_b32 s14, 0
	s_waitcnt vmcnt(0)
	v_lshlrev_b32_e32 v5, 16, v5
	s_delay_alu instid0(VALU_DEP_1)
	v_cvt_f16_f32_e32 v5, v5
	s_branch .LBB160_454
.LBB160_450:
	s_mov_b32 s1, -1
                                        ; implicit-def: $vgpr5
	s_branch .LBB160_455
.LBB160_451:
	s_or_saveexec_b32 s15, s15
	v_mov_b32_e32 v5, s1
	s_xor_b32 exec_lo, exec_lo, s15
	s_cbranch_execz .LBB160_432
.LBB160_452:
	v_cmp_ne_u16_e32 vcc_lo, 0, v6
	v_mov_b32_e32 v5, v6
	s_and_not1_b32 s0, s0, exec_lo
	s_and_b32 s1, vcc_lo, exec_lo
	s_delay_alu instid0(SALU_CYCLE_1)
	s_or_b32 s0, s0, s1
	s_or_b32 exec_lo, exec_lo, s15
	s_and_saveexec_b32 s1, s0
	s_cbranch_execnz .LBB160_433
	s_branch .LBB160_434
.LBB160_453:
	s_mov_b32 s14, -1
                                        ; implicit-def: $vgpr5
.LBB160_454:
	s_mov_b32 s1, 0
.LBB160_455:
	s_delay_alu instid0(SALU_CYCLE_1)
	s_and_b32 vcc_lo, exec_lo, s1
	s_cbranch_vccz .LBB160_459
; %bb.456:
	v_cmp_eq_u16_e32 vcc_lo, 11, v4
	s_cbranch_vccz .LBB160_458
; %bb.457:
	global_load_u8 v5, v[0:1], off
	s_mov_b32 s14, 0
	s_mov_b32 s0, -1
	s_waitcnt vmcnt(0)
	v_cmp_ne_u16_e32 vcc_lo, 0, v5
	v_cndmask_b32_e64 v5, 0, 0x3c00, vcc_lo
	s_branch .LBB160_459
.LBB160_458:
	s_mov_b32 s14, -1
                                        ; implicit-def: $vgpr5
.LBB160_459:
	s_branch .LBB160_261
.LBB160_460:
	v_cmp_gt_i16_e32 vcc_lo, 5, v4
	s_cbranch_vccnz .LBB160_465
; %bb.461:
	v_cmp_gt_i16_e32 vcc_lo, 8, v4
	s_cbranch_vccnz .LBB160_466
; %bb.462:
	;; [unrolled: 3-line block ×3, first 2 shown]
	v_cmp_lt_i16_e32 vcc_lo, 9, v4
	s_cbranch_vccz .LBB160_468
; %bb.464:
	global_load_b64 v[5:6], v[0:1], off
	s_mov_b32 s0, 0
	s_waitcnt vmcnt(0)
	v_cvt_f32_f64_e32 v5, v[5:6]
	s_delay_alu instid0(VALU_DEP_1)
	v_cvt_f16_f32_e32 v5, v5
	s_branch .LBB160_469
.LBB160_465:
	s_mov_b32 s0, -1
                                        ; implicit-def: $vgpr5
	s_branch .LBB160_487
.LBB160_466:
	s_mov_b32 s0, -1
                                        ; implicit-def: $vgpr5
	s_branch .LBB160_475
.LBB160_467:
	s_mov_b32 s0, -1
                                        ; implicit-def: $vgpr5
	s_branch .LBB160_472
.LBB160_468:
	s_mov_b32 s0, -1
                                        ; implicit-def: $vgpr5
.LBB160_469:
	s_delay_alu instid0(SALU_CYCLE_1)
	s_and_not1_b32 vcc_lo, exec_lo, s0
	s_cbranch_vccnz .LBB160_471
; %bb.470:
	global_load_b32 v5, v[0:1], off
	s_waitcnt vmcnt(0)
	v_cvt_f16_f32_e32 v5, v5
.LBB160_471:
	s_mov_b32 s0, 0
.LBB160_472:
	s_delay_alu instid0(SALU_CYCLE_1)
	s_and_not1_b32 vcc_lo, exec_lo, s0
	s_cbranch_vccnz .LBB160_474
; %bb.473:
	global_load_b32 v5, v[0:1], off
.LBB160_474:
	s_mov_b32 s0, 0
.LBB160_475:
	s_delay_alu instid0(SALU_CYCLE_1)
	s_and_not1_b32 vcc_lo, exec_lo, s0
	s_cbranch_vccnz .LBB160_486
; %bb.476:
	v_cmp_gt_i16_e32 vcc_lo, 6, v4
	s_cbranch_vccnz .LBB160_479
; %bb.477:
	v_cmp_lt_i16_e32 vcc_lo, 6, v4
	s_cbranch_vccz .LBB160_480
; %bb.478:
	global_load_b64 v[5:6], v[0:1], off
	s_mov_b32 s0, 0
	s_waitcnt vmcnt(0)
	v_cvt_f32_f64_e32 v5, v[5:6]
	s_delay_alu instid0(VALU_DEP_1)
	v_cvt_f16_f32_e32 v5, v5
	s_branch .LBB160_481
.LBB160_479:
	s_mov_b32 s0, -1
                                        ; implicit-def: $vgpr5
	s_branch .LBB160_484
.LBB160_480:
	s_mov_b32 s0, -1
                                        ; implicit-def: $vgpr5
.LBB160_481:
	s_delay_alu instid0(SALU_CYCLE_1)
	s_and_not1_b32 vcc_lo, exec_lo, s0
	s_cbranch_vccnz .LBB160_483
; %bb.482:
	global_load_b32 v5, v[0:1], off
	s_waitcnt vmcnt(0)
	v_cvt_f16_f32_e32 v5, v5
.LBB160_483:
	s_mov_b32 s0, 0
.LBB160_484:
	s_delay_alu instid0(SALU_CYCLE_1)
	s_and_not1_b32 vcc_lo, exec_lo, s0
	s_cbranch_vccnz .LBB160_486
; %bb.485:
	global_load_u16 v5, v[0:1], off
.LBB160_486:
	s_mov_b32 s0, 0
.LBB160_487:
	s_delay_alu instid0(SALU_CYCLE_1)
	s_and_not1_b32 vcc_lo, exec_lo, s0
	s_cbranch_vccnz .LBB160_507
; %bb.488:
	v_cmp_gt_i16_e32 vcc_lo, 2, v4
	s_cbranch_vccnz .LBB160_492
; %bb.489:
	v_cmp_gt_i16_e32 vcc_lo, 3, v4
	s_cbranch_vccnz .LBB160_493
; %bb.490:
	v_cmp_lt_i16_e32 vcc_lo, 3, v4
	s_cbranch_vccz .LBB160_494
; %bb.491:
	global_load_b64 v[5:6], v[0:1], off
	s_mov_b32 s0, 0
	s_waitcnt vmcnt(0)
	v_xor_b32_e32 v7, v5, v6
	v_cls_i32_e32 v8, v6
	s_delay_alu instid0(VALU_DEP_2) | instskip(NEXT) | instid1(VALU_DEP_2)
	v_ashrrev_i32_e32 v7, 31, v7
	v_add_nc_u32_e32 v8, -1, v8
	s_delay_alu instid0(VALU_DEP_2) | instskip(NEXT) | instid1(VALU_DEP_1)
	v_add_nc_u32_e32 v7, 32, v7
	v_min_u32_e32 v7, v8, v7
	s_delay_alu instid0(VALU_DEP_1) | instskip(NEXT) | instid1(VALU_DEP_1)
	v_lshlrev_b64 v[5:6], v7, v[5:6]
	v_min_u32_e32 v5, 1, v5
	s_delay_alu instid0(VALU_DEP_1) | instskip(SKIP_1) | instid1(VALU_DEP_2)
	v_or_b32_e32 v5, v6, v5
	v_sub_nc_u32_e32 v6, 32, v7
	v_cvt_f32_i32_e32 v5, v5
	s_delay_alu instid0(VALU_DEP_1) | instskip(NEXT) | instid1(VALU_DEP_1)
	v_ldexp_f32 v5, v5, v6
	v_cvt_f16_f32_e32 v5, v5
	s_branch .LBB160_495
.LBB160_492:
	s_mov_b32 s0, -1
                                        ; implicit-def: $vgpr5
	s_branch .LBB160_501
.LBB160_493:
	s_mov_b32 s0, -1
                                        ; implicit-def: $vgpr5
	s_branch .LBB160_498
.LBB160_494:
	s_mov_b32 s0, -1
                                        ; implicit-def: $vgpr5
.LBB160_495:
	s_delay_alu instid0(SALU_CYCLE_1)
	s_and_not1_b32 vcc_lo, exec_lo, s0
	s_cbranch_vccnz .LBB160_497
; %bb.496:
	global_load_b32 v5, v[0:1], off
	s_waitcnt vmcnt(0)
	v_cvt_f32_i32_e32 v5, v5
	s_delay_alu instid0(VALU_DEP_1)
	v_cvt_f16_f32_e32 v5, v5
.LBB160_497:
	s_mov_b32 s0, 0
.LBB160_498:
	s_delay_alu instid0(SALU_CYCLE_1)
	s_and_not1_b32 vcc_lo, exec_lo, s0
	s_cbranch_vccnz .LBB160_500
; %bb.499:
	global_load_u16 v5, v[0:1], off
	s_waitcnt vmcnt(0)
	v_cvt_f16_i16_e32 v5, v5
.LBB160_500:
	s_mov_b32 s0, 0
.LBB160_501:
	s_delay_alu instid0(SALU_CYCLE_1)
	s_and_not1_b32 vcc_lo, exec_lo, s0
	s_cbranch_vccnz .LBB160_507
; %bb.502:
	v_cmp_lt_i16_e32 vcc_lo, 0, v4
	s_mov_b32 s0, 0
	s_cbranch_vccz .LBB160_504
; %bb.503:
	global_load_i8 v5, v[0:1], off
	s_waitcnt vmcnt(0)
	v_cvt_f16_i16_e32 v5, v5
	s_branch .LBB160_505
.LBB160_504:
	s_mov_b32 s0, -1
                                        ; implicit-def: $vgpr5
.LBB160_505:
	s_delay_alu instid0(SALU_CYCLE_1)
	s_and_not1_b32 vcc_lo, exec_lo, s0
	s_cbranch_vccnz .LBB160_507
; %bb.506:
	global_load_u8 v0, v[0:1], off
	s_waitcnt vmcnt(0)
	v_cvt_f16_u16_e32 v5, v0
.LBB160_507:
	s_branch .LBB160_262
.LBB160_508:
	s_mov_b32 s0, 0
	s_mov_b32 s1, s10
.LBB160_509:
                                        ; implicit-def: $vgpr3
.LBB160_510:
	s_and_not1_b32 s15, s10, exec_lo
	s_and_b32 s1, s1, exec_lo
	s_and_not1_b32 s17, s12, exec_lo
	s_and_b32 s14, s14, exec_lo
	s_or_b32 s15, s15, s1
	s_or_b32 s14, s17, s14
	s_or_not1_b32 s18, s0, exec_lo
.LBB160_511:
	s_or_b32 exec_lo, exec_lo, s16
	s_mov_b32 s1, 0
	s_mov_b32 s17, 0
	;; [unrolled: 1-line block ×3, first 2 shown]
                                        ; implicit-def: $vgpr0_vgpr1
                                        ; implicit-def: $vgpr6
	s_and_saveexec_b32 s16, s18
	s_cbranch_execz .LBB160_858
; %bb.512:
	s_mov_b32 s0, -1
	s_mov_b32 s1, s14
	s_mov_b32 s18, s15
	s_mov_b32 s17, exec_lo
	v_cmpx_gt_i32_e64 s11, v3
	s_cbranch_execz .LBB160_772
; %bb.513:
	v_mul_lo_u32 v0, v3, s3
	v_cmp_gt_i16_e32 vcc_lo, 11, v4
	s_delay_alu instid0(VALU_DEP_2) | instskip(SKIP_1) | instid1(VALU_DEP_1)
	v_ashrrev_i32_e32 v1, 31, v0
	v_add_co_u32 v0, s0, s6, v0
	v_add_co_ci_u32_e64 v1, s0, s7, v1, s0
	s_cbranch_vccnz .LBB160_520
; %bb.514:
	v_cmp_lt_i16_e32 vcc_lo, 25, v4
	s_cbranch_vccz .LBB160_521
; %bb.515:
	v_cmp_lt_i16_e32 vcc_lo, 28, v4
	s_cbranch_vccz .LBB160_522
	;; [unrolled: 3-line block ×4, first 2 shown]
; %bb.518:
	v_cmp_eq_u16_e32 vcc_lo, 46, v4
	s_mov_b32 s1, 0
	s_cbranch_vccz .LBB160_529
; %bb.519:
	global_load_b32 v5, v[0:1], off
	s_mov_b32 s0, -1
	s_mov_b32 s18, 0
	s_waitcnt vmcnt(0)
	v_lshlrev_b32_e32 v5, 16, v5
	s_delay_alu instid0(VALU_DEP_1)
	v_cvt_f16_f32_e32 v5, v5
	s_branch .LBB160_531
.LBB160_520:
	s_mov_b32 s1, -1
	s_mov_b32 s0, 0
	s_mov_b32 s18, s14
                                        ; implicit-def: $vgpr5
	s_branch .LBB160_596
.LBB160_521:
	s_mov_b32 s1, -1
	s_mov_b32 s0, 0
	s_mov_b32 s18, s14
                                        ; implicit-def: $vgpr5
	s_branch .LBB160_560
.LBB160_522:
	s_mov_b32 s1, -1
	s_mov_b32 s0, 0
	s_mov_b32 s18, s14
                                        ; implicit-def: $vgpr5
	s_branch .LBB160_541
.LBB160_523:
	s_mov_b32 s1, -1
	s_mov_b32 s0, 0
	s_mov_b32 s18, s14
                                        ; implicit-def: $vgpr5
	s_branch .LBB160_536
.LBB160_524:
	s_or_saveexec_b32 s18, s18
                                        ; implicit-def: $sgpr19
	s_delay_alu instid0(SALU_CYCLE_1)
	s_xor_b32 exec_lo, exec_lo, s18
	s_cbranch_execz .LBB160_308
.LBB160_525:
	v_add_f32_e64 v9, 0x46000000, |v8|
	s_and_not1_b32 s17, s17, exec_lo
	s_mov_b32 s19, 0
	s_delay_alu instid0(VALU_DEP_1) | instskip(NEXT) | instid1(VALU_DEP_1)
	v_and_b32_e32 v9, 0xff, v9
	v_cmp_ne_u32_e32 vcc_lo, 0, v9
	s_and_b32 s20, vcc_lo, exec_lo
	s_delay_alu instid0(SALU_CYCLE_1)
	s_or_b32 s17, s17, s20
	s_or_b32 exec_lo, exec_lo, s18
	v_mov_b32_e32 v10, s19
	s_and_saveexec_b32 s18, s17
	s_cbranch_execnz .LBB160_309
	s_branch .LBB160_310
.LBB160_526:
	s_mov_b32 s1, -1
	s_mov_b32 s0, 0
	s_mov_b32 s18, s14
	s_branch .LBB160_530
.LBB160_527:
	s_or_saveexec_b32 s18, s18
                                        ; implicit-def: $sgpr19
	s_delay_alu instid0(SALU_CYCLE_1)
	s_xor_b32 exec_lo, exec_lo, s18
	s_cbranch_execz .LBB160_321
.LBB160_528:
	v_add_f32_e64 v9, 0x42800000, |v8|
	s_and_not1_b32 s17, s17, exec_lo
	s_mov_b32 s19, 0
	s_delay_alu instid0(VALU_DEP_1) | instskip(NEXT) | instid1(VALU_DEP_1)
	v_and_b32_e32 v9, 0xff, v9
	v_cmp_ne_u32_e32 vcc_lo, 0, v9
	s_and_b32 s20, vcc_lo, exec_lo
	s_delay_alu instid0(SALU_CYCLE_1)
	s_or_b32 s17, s17, s20
	s_or_b32 exec_lo, exec_lo, s18
	v_mov_b32_e32 v10, s19
	s_and_saveexec_b32 s18, s17
	s_cbranch_execnz .LBB160_322
	s_branch .LBB160_323
.LBB160_529:
	s_mov_b32 s18, -1
	s_mov_b32 s0, 0
.LBB160_530:
                                        ; implicit-def: $vgpr5
.LBB160_531:
	s_and_b32 vcc_lo, exec_lo, s1
	s_cbranch_vccz .LBB160_535
; %bb.532:
	v_cmp_eq_u16_e32 vcc_lo, 44, v4
	s_cbranch_vccz .LBB160_534
; %bb.533:
	global_load_u8 v5, v[0:1], off
	s_mov_b32 s18, 0
	s_mov_b32 s0, -1
	s_waitcnt vmcnt(0)
	v_lshlrev_b32_e32 v6, 23, v5
	v_cmp_ne_u32_e32 vcc_lo, 0xff, v5
	s_delay_alu instid0(VALU_DEP_2) | instskip(NEXT) | instid1(VALU_DEP_1)
	v_cvt_f16_f32_e32 v6, v6
	v_cndmask_b32_e32 v6, 0x7e00, v6, vcc_lo
	v_cmp_ne_u32_e32 vcc_lo, 0, v5
	s_delay_alu instid0(VALU_DEP_2)
	v_cndmask_b32_e32 v5, 0, v6, vcc_lo
	s_branch .LBB160_535
.LBB160_534:
	s_mov_b32 s18, -1
                                        ; implicit-def: $vgpr5
.LBB160_535:
	s_mov_b32 s1, 0
.LBB160_536:
	s_delay_alu instid0(SALU_CYCLE_1)
	s_and_b32 vcc_lo, exec_lo, s1
	s_cbranch_vccz .LBB160_540
; %bb.537:
	v_cmp_eq_u16_e32 vcc_lo, 29, v4
	s_cbranch_vccz .LBB160_539
; %bb.538:
	global_load_b64 v[5:6], v[0:1], off
	s_mov_b32 s0, -1
	s_mov_b32 s18, 0
	s_mov_b32 s1, 0
	s_waitcnt vmcnt(0)
	v_clz_i32_u32_e32 v7, v6
	s_delay_alu instid0(VALU_DEP_1) | instskip(NEXT) | instid1(VALU_DEP_1)
	v_min_u32_e32 v7, 32, v7
	v_lshlrev_b64 v[5:6], v7, v[5:6]
	s_delay_alu instid0(VALU_DEP_1) | instskip(NEXT) | instid1(VALU_DEP_1)
	v_min_u32_e32 v5, 1, v5
	v_or_b32_e32 v5, v6, v5
	v_sub_nc_u32_e32 v6, 32, v7
	s_delay_alu instid0(VALU_DEP_2) | instskip(NEXT) | instid1(VALU_DEP_1)
	v_cvt_f32_u32_e32 v5, v5
	v_ldexp_f32 v5, v5, v6
	s_delay_alu instid0(VALU_DEP_1)
	v_cvt_f16_f32_e32 v5, v5
	s_branch .LBB160_541
.LBB160_539:
	s_mov_b32 s18, -1
                                        ; implicit-def: $vgpr5
.LBB160_540:
	s_mov_b32 s1, 0
.LBB160_541:
	s_delay_alu instid0(SALU_CYCLE_1)
	s_and_b32 vcc_lo, exec_lo, s1
	s_cbranch_vccz .LBB160_559
; %bb.542:
	v_cmp_gt_i16_e32 vcc_lo, 27, v4
	s_cbranch_vccnz .LBB160_545
; %bb.543:
	v_cmp_lt_i16_e32 vcc_lo, 27, v4
	s_cbranch_vccz .LBB160_546
; %bb.544:
	global_load_b32 v5, v[0:1], off
	s_mov_b32 s0, 0
	s_waitcnt vmcnt(0)
	v_cvt_f32_u32_e32 v5, v5
	s_delay_alu instid0(VALU_DEP_1)
	v_cvt_f16_f32_e32 v5, v5
	s_branch .LBB160_547
.LBB160_545:
	s_mov_b32 s0, -1
                                        ; implicit-def: $vgpr5
	s_branch .LBB160_550
.LBB160_546:
	s_mov_b32 s0, -1
                                        ; implicit-def: $vgpr5
.LBB160_547:
	s_delay_alu instid0(SALU_CYCLE_1)
	s_and_not1_b32 vcc_lo, exec_lo, s0
	s_cbranch_vccnz .LBB160_549
; %bb.548:
	global_load_u16 v5, v[0:1], off
	s_waitcnt vmcnt(0)
	v_cvt_f16_u16_e32 v5, v5
.LBB160_549:
	s_mov_b32 s0, 0
.LBB160_550:
	s_delay_alu instid0(SALU_CYCLE_1)
	s_and_not1_b32 vcc_lo, exec_lo, s0
	s_cbranch_vccnz .LBB160_558
; %bb.551:
	global_load_u8 v6, v[0:1], off
	s_mov_b32 s0, 0
	s_mov_b32 s19, exec_lo
                                        ; implicit-def: $sgpr1
	s_waitcnt vmcnt(0)
	v_cmpx_lt_i16_e32 0x7f, v6
	s_xor_b32 s19, exec_lo, s19
	s_cbranch_execz .LBB160_572
; %bb.552:
	s_mov_b32 s0, -1
	s_mov_b32 s20, exec_lo
                                        ; implicit-def: $sgpr1
	v_cmpx_eq_u16_e32 0x80, v6
; %bb.553:
	s_movk_i32 s1, 0x7e00
	s_xor_b32 s0, exec_lo, -1
; %bb.554:
	s_or_b32 exec_lo, exec_lo, s20
	s_delay_alu instid0(SALU_CYCLE_1)
	s_and_b32 s0, s0, exec_lo
	s_or_saveexec_b32 s19, s19
	v_mov_b32_e32 v5, s1
	s_xor_b32 exec_lo, exec_lo, s19
	s_cbranch_execnz .LBB160_573
.LBB160_555:
	s_or_b32 exec_lo, exec_lo, s19
	s_and_saveexec_b32 s1, s0
	s_cbranch_execz .LBB160_557
.LBB160_556:
	v_and_b32_e32 v5, 0xffff, v6
	s_delay_alu instid0(VALU_DEP_1) | instskip(NEXT) | instid1(VALU_DEP_1)
	v_and_b32_e32 v7, 7, v5
	v_clz_i32_u32_e32 v8, v7
	s_delay_alu instid0(VALU_DEP_1) | instskip(NEXT) | instid1(VALU_DEP_1)
	v_min_u32_e32 v8, 32, v8
	v_subrev_nc_u32_e32 v9, 28, v8
	v_sub_nc_u32_e32 v8, 29, v8
	s_delay_alu instid0(VALU_DEP_2) | instskip(SKIP_1) | instid1(VALU_DEP_2)
	v_lshlrev_b32_e32 v9, v9, v5
	v_bfe_u32 v5, v5, 3, 4
	v_and_b32_e32 v9, 7, v9
	s_delay_alu instid0(VALU_DEP_2) | instskip(SKIP_1) | instid1(VALU_DEP_1)
	v_cmp_eq_u32_e32 vcc_lo, 0, v5
	v_dual_cndmask_b32 v5, v5, v8 :: v_dual_lshlrev_b32 v6, 24, v6
	v_dual_cndmask_b32 v7, v7, v9 :: v_dual_and_b32 v6, 0x80000000, v6
	s_delay_alu instid0(VALU_DEP_2) | instskip(NEXT) | instid1(VALU_DEP_2)
	v_lshl_add_u32 v5, v5, 23, 0x3b800000
	v_lshlrev_b32_e32 v7, 20, v7
	s_delay_alu instid0(VALU_DEP_1) | instskip(NEXT) | instid1(VALU_DEP_1)
	v_or3_b32 v5, v6, v5, v7
	v_cvt_f16_f32_e32 v5, v5
.LBB160_557:
	s_or_b32 exec_lo, exec_lo, s1
.LBB160_558:
	s_mov_b32 s0, -1
.LBB160_559:
	s_mov_b32 s1, 0
.LBB160_560:
	s_delay_alu instid0(SALU_CYCLE_1)
	s_and_b32 vcc_lo, exec_lo, s1
	s_cbranch_vccz .LBB160_595
; %bb.561:
	v_cmp_lt_i16_e32 vcc_lo, 22, v4
	s_cbranch_vccz .LBB160_571
; %bb.562:
	v_cmp_gt_i16_e32 vcc_lo, 24, v4
	s_cbranch_vccnz .LBB160_574
; %bb.563:
	v_cmp_lt_i16_e32 vcc_lo, 24, v4
	s_cbranch_vccz .LBB160_575
; %bb.564:
	global_load_u8 v6, v[0:1], off
	s_mov_b32 s0, 0
	s_mov_b32 s19, exec_lo
                                        ; implicit-def: $sgpr1
	s_waitcnt vmcnt(0)
	v_cmpx_lt_i16_e32 0x7f, v6
	s_xor_b32 s19, exec_lo, s19
	s_cbranch_execz .LBB160_587
; %bb.565:
	s_mov_b32 s0, -1
	s_mov_b32 s20, exec_lo
                                        ; implicit-def: $sgpr1
	v_cmpx_eq_u16_e32 0x80, v6
; %bb.566:
	s_movk_i32 s1, 0x7e00
	s_xor_b32 s0, exec_lo, -1
; %bb.567:
	s_or_b32 exec_lo, exec_lo, s20
	s_delay_alu instid0(SALU_CYCLE_1)
	s_and_b32 s0, s0, exec_lo
	s_or_saveexec_b32 s19, s19
	v_mov_b32_e32 v5, s1
	s_xor_b32 exec_lo, exec_lo, s19
	s_cbranch_execnz .LBB160_588
.LBB160_568:
	s_or_b32 exec_lo, exec_lo, s19
	s_and_saveexec_b32 s1, s0
	s_cbranch_execz .LBB160_570
.LBB160_569:
	v_and_b32_e32 v5, 0xffff, v6
	s_delay_alu instid0(VALU_DEP_1) | instskip(NEXT) | instid1(VALU_DEP_1)
	v_and_b32_e32 v7, 3, v5
	v_clz_i32_u32_e32 v8, v7
	s_delay_alu instid0(VALU_DEP_1) | instskip(NEXT) | instid1(VALU_DEP_1)
	v_min_u32_e32 v8, 32, v8
	v_subrev_nc_u32_e32 v9, 29, v8
	v_sub_nc_u32_e32 v8, 30, v8
	s_delay_alu instid0(VALU_DEP_2) | instskip(SKIP_1) | instid1(VALU_DEP_2)
	v_lshlrev_b32_e32 v9, v9, v5
	v_bfe_u32 v5, v5, 2, 5
	v_and_b32_e32 v9, 3, v9
	s_delay_alu instid0(VALU_DEP_2) | instskip(SKIP_1) | instid1(VALU_DEP_1)
	v_cmp_eq_u32_e32 vcc_lo, 0, v5
	v_dual_cndmask_b32 v5, v5, v8 :: v_dual_lshlrev_b32 v6, 24, v6
	v_dual_cndmask_b32 v7, v7, v9 :: v_dual_and_b32 v6, 0x80000000, v6
	s_delay_alu instid0(VALU_DEP_2) | instskip(NEXT) | instid1(VALU_DEP_2)
	v_lshl_add_u32 v5, v5, 23, 0x37800000
	v_lshlrev_b32_e32 v7, 21, v7
	s_delay_alu instid0(VALU_DEP_1) | instskip(NEXT) | instid1(VALU_DEP_1)
	v_or3_b32 v5, v6, v5, v7
	v_cvt_f16_f32_e32 v5, v5
.LBB160_570:
	s_or_b32 exec_lo, exec_lo, s1
	s_mov_b32 s0, 0
	s_branch .LBB160_576
.LBB160_571:
	s_mov_b32 s1, -1
                                        ; implicit-def: $vgpr5
	s_branch .LBB160_582
.LBB160_572:
	s_or_saveexec_b32 s19, s19
	v_mov_b32_e32 v5, s1
	s_xor_b32 exec_lo, exec_lo, s19
	s_cbranch_execz .LBB160_555
.LBB160_573:
	v_cmp_ne_u16_e32 vcc_lo, 0, v6
	v_mov_b32_e32 v5, v6
	s_and_not1_b32 s0, s0, exec_lo
	s_and_b32 s1, vcc_lo, exec_lo
	s_delay_alu instid0(SALU_CYCLE_1)
	s_or_b32 s0, s0, s1
	s_or_b32 exec_lo, exec_lo, s19
	s_and_saveexec_b32 s1, s0
	s_cbranch_execnz .LBB160_556
	s_branch .LBB160_557
.LBB160_574:
	s_mov_b32 s0, -1
                                        ; implicit-def: $vgpr5
	s_branch .LBB160_579
.LBB160_575:
	s_mov_b32 s0, -1
                                        ; implicit-def: $vgpr5
.LBB160_576:
	s_delay_alu instid0(SALU_CYCLE_1)
	s_and_b32 vcc_lo, exec_lo, s0
	s_cbranch_vccz .LBB160_578
; %bb.577:
	global_load_u8 v5, v[0:1], off
	s_waitcnt vmcnt(0)
	v_lshlrev_b32_e32 v5, 24, v5
	s_delay_alu instid0(VALU_DEP_1) | instskip(NEXT) | instid1(VALU_DEP_1)
	v_and_b32_e32 v6, 0x7f000000, v5
	v_clz_i32_u32_e32 v7, v6
	v_add_nc_u32_e32 v9, 0x1000000, v6
	v_cmp_ne_u32_e32 vcc_lo, 0, v6
	s_delay_alu instid0(VALU_DEP_3) | instskip(NEXT) | instid1(VALU_DEP_1)
	v_min_u32_e32 v7, 32, v7
	v_sub_nc_u32_e64 v7, v7, 4 clamp
	s_delay_alu instid0(VALU_DEP_1) | instskip(SKIP_1) | instid1(VALU_DEP_2)
	v_lshlrev_b32_e32 v8, v7, v6
	v_lshlrev_b32_e32 v7, 23, v7
	v_lshrrev_b32_e32 v8, 4, v8
	s_delay_alu instid0(VALU_DEP_1) | instskip(SKIP_1) | instid1(VALU_DEP_2)
	v_sub_nc_u32_e32 v7, v8, v7
	v_ashrrev_i32_e32 v8, 8, v9
	v_add_nc_u32_e32 v7, 0x3c000000, v7
	s_delay_alu instid0(VALU_DEP_1) | instskip(NEXT) | instid1(VALU_DEP_1)
	v_and_or_b32 v7, 0x7f800000, v8, v7
	v_cndmask_b32_e32 v6, 0, v7, vcc_lo
	s_delay_alu instid0(VALU_DEP_1) | instskip(NEXT) | instid1(VALU_DEP_1)
	v_and_or_b32 v5, 0x80000000, v5, v6
	v_cvt_f16_f32_e32 v5, v5
.LBB160_578:
	s_mov_b32 s0, 0
.LBB160_579:
	s_delay_alu instid0(SALU_CYCLE_1)
	s_and_not1_b32 vcc_lo, exec_lo, s0
	s_cbranch_vccnz .LBB160_581
; %bb.580:
	global_load_u8 v5, v[0:1], off
	s_waitcnt vmcnt(0)
	v_lshlrev_b32_e32 v6, 25, v5
	v_lshlrev_b16 v5, 8, v5
	s_delay_alu instid0(VALU_DEP_2) | instskip(NEXT) | instid1(VALU_DEP_2)
	v_lshrrev_b32_e32 v7, 4, v6
	v_and_or_b32 v8, 0x7f00, v5, 0.5
	v_bfe_i32 v5, v5, 0, 16
	s_delay_alu instid0(VALU_DEP_3) | instskip(NEXT) | instid1(VALU_DEP_1)
	v_or_b32_e32 v7, 0x70000000, v7
	v_dual_add_f32 v8, -0.5, v8 :: v_dual_mul_f32 v7, 0x7800000, v7
	v_cmp_gt_u32_e32 vcc_lo, 0x8000000, v6
	s_delay_alu instid0(VALU_DEP_2) | instskip(NEXT) | instid1(VALU_DEP_1)
	v_cndmask_b32_e32 v6, v7, v8, vcc_lo
	v_and_or_b32 v5, 0x80000000, v5, v6
	s_delay_alu instid0(VALU_DEP_1)
	v_cvt_f16_f32_e32 v5, v5
.LBB160_581:
	s_mov_b32 s1, 0
	s_mov_b32 s0, -1
.LBB160_582:
	s_and_not1_b32 vcc_lo, exec_lo, s1
	s_cbranch_vccnz .LBB160_595
; %bb.583:
	v_cmp_lt_i16_e32 vcc_lo, 14, v4
	s_cbranch_vccz .LBB160_586
; %bb.584:
	v_cmp_eq_u16_e32 vcc_lo, 15, v4
	s_cbranch_vccz .LBB160_589
; %bb.585:
	global_load_u16 v5, v[0:1], off
	s_mov_b32 s0, -1
	s_mov_b32 s18, 0
	s_waitcnt vmcnt(0)
	v_lshlrev_b32_e32 v5, 16, v5
	s_delay_alu instid0(VALU_DEP_1)
	v_cvt_f16_f32_e32 v5, v5
	s_branch .LBB160_590
.LBB160_586:
	s_mov_b32 s1, -1
                                        ; implicit-def: $vgpr5
	s_branch .LBB160_591
.LBB160_587:
	s_or_saveexec_b32 s19, s19
	v_mov_b32_e32 v5, s1
	s_xor_b32 exec_lo, exec_lo, s19
	s_cbranch_execz .LBB160_568
.LBB160_588:
	v_cmp_ne_u16_e32 vcc_lo, 0, v6
	v_mov_b32_e32 v5, v6
	s_and_not1_b32 s0, s0, exec_lo
	s_and_b32 s1, vcc_lo, exec_lo
	s_delay_alu instid0(SALU_CYCLE_1)
	s_or_b32 s0, s0, s1
	s_or_b32 exec_lo, exec_lo, s19
	s_and_saveexec_b32 s1, s0
	s_cbranch_execnz .LBB160_569
	s_branch .LBB160_570
.LBB160_589:
	s_mov_b32 s18, -1
                                        ; implicit-def: $vgpr5
.LBB160_590:
	s_mov_b32 s1, 0
.LBB160_591:
	s_delay_alu instid0(SALU_CYCLE_1)
	s_and_b32 vcc_lo, exec_lo, s1
	s_cbranch_vccz .LBB160_595
; %bb.592:
	v_cmp_eq_u16_e32 vcc_lo, 11, v4
	s_cbranch_vccz .LBB160_594
; %bb.593:
	global_load_u8 v5, v[0:1], off
	s_mov_b32 s18, 0
	s_mov_b32 s0, -1
	s_waitcnt vmcnt(0)
	v_cmp_ne_u16_e32 vcc_lo, 0, v5
	v_cndmask_b32_e64 v5, 0, 0x3c00, vcc_lo
	s_branch .LBB160_595
.LBB160_594:
	s_mov_b32 s18, -1
                                        ; implicit-def: $vgpr5
.LBB160_595:
	s_mov_b32 s1, 0
.LBB160_596:
	s_delay_alu instid0(SALU_CYCLE_1)
	s_and_b32 vcc_lo, exec_lo, s1
	s_cbranch_vccz .LBB160_645
; %bb.597:
	v_cmp_gt_i16_e32 vcc_lo, 5, v4
	s_cbranch_vccnz .LBB160_602
; %bb.598:
	v_cmp_gt_i16_e32 vcc_lo, 8, v4
	s_cbranch_vccnz .LBB160_603
	;; [unrolled: 3-line block ×3, first 2 shown]
; %bb.600:
	v_cmp_lt_i16_e32 vcc_lo, 9, v4
	s_cbranch_vccz .LBB160_605
; %bb.601:
	global_load_b64 v[5:6], v[0:1], off
	s_mov_b32 s0, 0
	s_waitcnt vmcnt(0)
	v_cvt_f32_f64_e32 v5, v[5:6]
	s_delay_alu instid0(VALU_DEP_1)
	v_cvt_f16_f32_e32 v5, v5
	s_branch .LBB160_606
.LBB160_602:
	s_mov_b32 s0, -1
                                        ; implicit-def: $vgpr5
	s_branch .LBB160_624
.LBB160_603:
	s_mov_b32 s0, -1
                                        ; implicit-def: $vgpr5
	s_branch .LBB160_612
.LBB160_604:
	s_mov_b32 s0, -1
                                        ; implicit-def: $vgpr5
	s_branch .LBB160_609
.LBB160_605:
	s_mov_b32 s0, -1
                                        ; implicit-def: $vgpr5
.LBB160_606:
	s_delay_alu instid0(SALU_CYCLE_1)
	s_and_not1_b32 vcc_lo, exec_lo, s0
	s_cbranch_vccnz .LBB160_608
; %bb.607:
	global_load_b32 v5, v[0:1], off
	s_waitcnt vmcnt(0)
	v_cvt_f16_f32_e32 v5, v5
.LBB160_608:
	s_mov_b32 s0, 0
.LBB160_609:
	s_delay_alu instid0(SALU_CYCLE_1)
	s_and_not1_b32 vcc_lo, exec_lo, s0
	s_cbranch_vccnz .LBB160_611
; %bb.610:
	global_load_b32 v5, v[0:1], off
.LBB160_611:
	s_mov_b32 s0, 0
.LBB160_612:
	s_delay_alu instid0(SALU_CYCLE_1)
	s_and_not1_b32 vcc_lo, exec_lo, s0
	s_cbranch_vccnz .LBB160_623
; %bb.613:
	v_cmp_gt_i16_e32 vcc_lo, 6, v4
	s_cbranch_vccnz .LBB160_616
; %bb.614:
	v_cmp_lt_i16_e32 vcc_lo, 6, v4
	s_cbranch_vccz .LBB160_617
; %bb.615:
	global_load_b64 v[5:6], v[0:1], off
	s_mov_b32 s0, 0
	s_waitcnt vmcnt(0)
	v_cvt_f32_f64_e32 v5, v[5:6]
	s_delay_alu instid0(VALU_DEP_1)
	v_cvt_f16_f32_e32 v5, v5
	s_branch .LBB160_618
.LBB160_616:
	s_mov_b32 s0, -1
                                        ; implicit-def: $vgpr5
	s_branch .LBB160_621
.LBB160_617:
	s_mov_b32 s0, -1
                                        ; implicit-def: $vgpr5
.LBB160_618:
	s_delay_alu instid0(SALU_CYCLE_1)
	s_and_not1_b32 vcc_lo, exec_lo, s0
	s_cbranch_vccnz .LBB160_620
; %bb.619:
	global_load_b32 v5, v[0:1], off
	s_waitcnt vmcnt(0)
	v_cvt_f16_f32_e32 v5, v5
.LBB160_620:
	s_mov_b32 s0, 0
.LBB160_621:
	s_delay_alu instid0(SALU_CYCLE_1)
	s_and_not1_b32 vcc_lo, exec_lo, s0
	s_cbranch_vccnz .LBB160_623
; %bb.622:
	global_load_u16 v5, v[0:1], off
.LBB160_623:
	s_mov_b32 s0, 0
.LBB160_624:
	s_delay_alu instid0(SALU_CYCLE_1)
	s_and_not1_b32 vcc_lo, exec_lo, s0
	s_cbranch_vccnz .LBB160_644
; %bb.625:
	v_cmp_gt_i16_e32 vcc_lo, 2, v4
	s_cbranch_vccnz .LBB160_629
; %bb.626:
	v_cmp_gt_i16_e32 vcc_lo, 3, v4
	s_cbranch_vccnz .LBB160_630
; %bb.627:
	v_cmp_lt_i16_e32 vcc_lo, 3, v4
	s_cbranch_vccz .LBB160_631
; %bb.628:
	global_load_b64 v[5:6], v[0:1], off
	s_mov_b32 s0, 0
	s_waitcnt vmcnt(0)
	v_xor_b32_e32 v7, v5, v6
	v_cls_i32_e32 v8, v6
	s_delay_alu instid0(VALU_DEP_2) | instskip(NEXT) | instid1(VALU_DEP_2)
	v_ashrrev_i32_e32 v7, 31, v7
	v_add_nc_u32_e32 v8, -1, v8
	s_delay_alu instid0(VALU_DEP_2) | instskip(NEXT) | instid1(VALU_DEP_1)
	v_add_nc_u32_e32 v7, 32, v7
	v_min_u32_e32 v7, v8, v7
	s_delay_alu instid0(VALU_DEP_1) | instskip(NEXT) | instid1(VALU_DEP_1)
	v_lshlrev_b64 v[5:6], v7, v[5:6]
	v_min_u32_e32 v5, 1, v5
	s_delay_alu instid0(VALU_DEP_1) | instskip(SKIP_1) | instid1(VALU_DEP_2)
	v_or_b32_e32 v5, v6, v5
	v_sub_nc_u32_e32 v6, 32, v7
	v_cvt_f32_i32_e32 v5, v5
	s_delay_alu instid0(VALU_DEP_1) | instskip(NEXT) | instid1(VALU_DEP_1)
	v_ldexp_f32 v5, v5, v6
	v_cvt_f16_f32_e32 v5, v5
	s_branch .LBB160_632
.LBB160_629:
	s_mov_b32 s0, -1
                                        ; implicit-def: $vgpr5
	s_branch .LBB160_638
.LBB160_630:
	s_mov_b32 s0, -1
                                        ; implicit-def: $vgpr5
	s_branch .LBB160_635
.LBB160_631:
	s_mov_b32 s0, -1
                                        ; implicit-def: $vgpr5
.LBB160_632:
	s_delay_alu instid0(SALU_CYCLE_1)
	s_and_not1_b32 vcc_lo, exec_lo, s0
	s_cbranch_vccnz .LBB160_634
; %bb.633:
	global_load_b32 v5, v[0:1], off
	s_waitcnt vmcnt(0)
	v_cvt_f32_i32_e32 v5, v5
	s_delay_alu instid0(VALU_DEP_1)
	v_cvt_f16_f32_e32 v5, v5
.LBB160_634:
	s_mov_b32 s0, 0
.LBB160_635:
	s_delay_alu instid0(SALU_CYCLE_1)
	s_and_not1_b32 vcc_lo, exec_lo, s0
	s_cbranch_vccnz .LBB160_637
; %bb.636:
	global_load_u16 v5, v[0:1], off
	s_waitcnt vmcnt(0)
	v_cvt_f16_i16_e32 v5, v5
.LBB160_637:
	s_mov_b32 s0, 0
.LBB160_638:
	s_delay_alu instid0(SALU_CYCLE_1)
	s_and_not1_b32 vcc_lo, exec_lo, s0
	s_cbranch_vccnz .LBB160_644
; %bb.639:
	v_cmp_lt_i16_e32 vcc_lo, 0, v4
	s_mov_b32 s0, 0
	s_cbranch_vccz .LBB160_641
; %bb.640:
	global_load_i8 v5, v[0:1], off
	s_waitcnt vmcnt(0)
	v_cvt_f16_i16_e32 v5, v5
	s_branch .LBB160_642
.LBB160_641:
	s_mov_b32 s0, -1
                                        ; implicit-def: $vgpr5
.LBB160_642:
	s_delay_alu instid0(SALU_CYCLE_1)
	s_and_not1_b32 vcc_lo, exec_lo, s0
	s_cbranch_vccnz .LBB160_644
; %bb.643:
	global_load_u8 v0, v[0:1], off
	s_waitcnt vmcnt(0)
	v_cvt_f16_u16_e32 v5, v0
.LBB160_644:
	s_mov_b32 s0, -1
.LBB160_645:
	s_delay_alu instid0(SALU_CYCLE_1)
	s_and_not1_b32 vcc_lo, exec_lo, s0
	s_cbranch_vccnz .LBB160_653
; %bb.646:
	s_waitcnt vmcnt(0)
	v_cvt_f32_f16_e32 v0, v5
	s_mov_b32 s0, 0xbf317218
	s_delay_alu instid0(VALU_DEP_1) | instskip(NEXT) | instid1(VALU_DEP_1)
	v_mul_f32_e32 v1, 0x3fb8aa3b, v0
	v_rndne_f32_e32 v1, v1
	s_delay_alu instid0(VALU_DEP_1) | instskip(SKIP_3) | instid1(VALU_DEP_3)
	v_fma_mix_f32 v6, v1, s0, v5 op_sel_hi:[0,0,1]
	v_cvt_i32_f32_e32 v8, v1
	v_cmp_eq_f32_e32 vcc_lo, 0x43000000, v1
	s_mov_b32 s0, 0x395133b1
	v_fmamk_f32 v6, v1, 0x3102e308, v6
	s_delay_alu instid0(VALU_DEP_3) | instskip(NEXT) | instid1(VALU_DEP_1)
	v_cndmask_b32_e64 v1, v8, 0x7f, vcc_lo
	v_ldexp_f32 v1, 1.0, v1
	s_delay_alu instid0(VALU_DEP_1) | instskip(NEXT) | instid1(VALU_DEP_1)
	v_dual_fmaak_f32 v7, s0, v6, 0x3ab69700 :: v_dual_add_f32 v8, -1.0, v1
	v_fmaak_f32 v7, v6, v7, 0x3c0887f9
	s_delay_alu instid0(VALU_DEP_1) | instskip(NEXT) | instid1(VALU_DEP_1)
	v_fmaak_f32 v7, v6, v7, 0x3d2aaa81
	v_fmaak_f32 v7, v6, v7, 0x3e2aaaab
	s_delay_alu instid0(VALU_DEP_1) | instskip(NEXT) | instid1(VALU_DEP_1)
	v_fma_f32 v7, v6, v7, 0.5
	v_mul_f32_e32 v7, v6, v7
	s_delay_alu instid0(VALU_DEP_1) | instskip(NEXT) | instid1(VALU_DEP_1)
	v_fmac_f32_e32 v6, v6, v7
	v_fmac_f32_e32 v8, v1, v6
	s_delay_alu instid0(VALU_DEP_1) | instskip(NEXT) | instid1(VALU_DEP_1)
	v_dual_add_f32 v1, v8, v8 :: v_dual_and_b32 v6, 0xff, v2
	v_cndmask_b32_e32 v1, v8, v1, vcc_lo
	v_mul_lo_u32 v8, v3, s2
	v_cmp_nlt_f32_e32 vcc_lo, 0x42b17217, v0
	s_delay_alu instid0(VALU_DEP_3) | instskip(SKIP_1) | instid1(VALU_DEP_4)
	v_cndmask_b32_e32 v0, 0x7f800000, v1, vcc_lo
	v_cmp_gt_i16_e32 vcc_lo, 11, v6
	v_ashrrev_i32_e32 v1, 31, v8
	s_delay_alu instid0(VALU_DEP_3) | instskip(SKIP_1) | instid1(VALU_DEP_1)
	v_cvt_f16_f32_e32 v7, v0
	v_add_co_u32 v0, s0, s4, v8
	v_add_co_ci_u32_e64 v1, s0, s5, v1, s0
	v_cmp_gt_f16_e64 s0, 0xcc40, v5
	s_delay_alu instid0(VALU_DEP_1)
	v_cndmask_b32_e64 v5, v7, 0xbc00, s0
	s_cbranch_vccnz .LBB160_654
; %bb.647:
	v_cmp_lt_i16_e32 vcc_lo, 25, v6
	s_cbranch_vccz .LBB160_655
; %bb.648:
	v_cmp_lt_i16_e32 vcc_lo, 28, v6
	s_cbranch_vccz .LBB160_656
	;; [unrolled: 3-line block ×4, first 2 shown]
; %bb.651:
	v_cmp_eq_u16_e32 vcc_lo, 46, v6
	s_mov_b32 s20, 0
	s_mov_b32 s1, -1
	s_mov_b32 s19, 0
	s_cbranch_vccz .LBB160_659
; %bb.652:
	v_cvt_f32_f16_e32 v8, v5
	v_cmp_o_f16_e32 vcc_lo, v5, v5
	s_mov_b32 s19, -1
	s_mov_b32 s1, 0
	s_delay_alu instid0(VALU_DEP_2) | instskip(NEXT) | instid1(VALU_DEP_1)
	v_bfe_u32 v9, v8, 16, 1
	v_add3_u32 v8, v8, v9, 0x7fff
	s_delay_alu instid0(VALU_DEP_1) | instskip(NEXT) | instid1(VALU_DEP_1)
	v_lshrrev_b32_e32 v8, 16, v8
	v_cndmask_b32_e32 v8, 0x7fc0, v8, vcc_lo
	global_store_b32 v[0:1], v8, off
	s_branch .LBB160_659
.LBB160_653:
	s_mov_b32 s0, 0
	s_mov_b32 s1, s15
	s_branch .LBB160_770
.LBB160_654:
	s_mov_b32 s0, -1
	s_mov_b32 s19, 0
	s_mov_b32 s1, s15
	s_branch .LBB160_728
.LBB160_655:
	s_mov_b32 s20, -1
	s_mov_b32 s19, 0
	s_mov_b32 s1, s15
	s_branch .LBB160_686
.LBB160_656:
	s_mov_b32 s20, -1
	s_mov_b32 s19, 0
	s_mov_b32 s1, s15
	s_branch .LBB160_669
.LBB160_657:
	s_mov_b32 s20, -1
	s_mov_b32 s19, 0
	s_mov_b32 s1, s15
	s_branch .LBB160_665
.LBB160_658:
	s_mov_b32 s20, -1
	s_mov_b32 s19, 0
	s_mov_b32 s1, s15
.LBB160_659:
	s_and_b32 vcc_lo, exec_lo, s20
	s_cbranch_vccz .LBB160_664
; %bb.660:
	v_cmp_eq_u16_e32 vcc_lo, 44, v6
	s_mov_b32 s1, -1
	s_cbranch_vccz .LBB160_664
; %bb.661:
	v_cvt_f32_f16_e32 v8, v5
	v_mov_b32_e32 v9, 0xff
	s_mov_b32 s19, exec_lo
	s_delay_alu instid0(VALU_DEP_2) | instskip(NEXT) | instid1(VALU_DEP_1)
	v_bfe_u32 v10, v8, 23, 8
	v_cmpx_ne_u32_e32 0xff, v10
; %bb.662:
	v_and_b32_e32 v9, 0x400000, v8
	v_and_or_b32 v10, 0x3fffff, v8, v10
	v_lshrrev_b32_e32 v8, 23, v8
	s_delay_alu instid0(VALU_DEP_3) | instskip(NEXT) | instid1(VALU_DEP_3)
	v_cmp_ne_u32_e32 vcc_lo, 0, v9
	v_cmp_ne_u32_e64 s1, 0, v10
	s_delay_alu instid0(VALU_DEP_1) | instskip(NEXT) | instid1(SALU_CYCLE_1)
	s_and_b32 s1, vcc_lo, s1
	v_cndmask_b32_e64 v9, 0, 1, s1
	s_delay_alu instid0(VALU_DEP_1)
	v_add_nc_u32_e32 v9, v8, v9
; %bb.663:
	s_or_b32 exec_lo, exec_lo, s19
	s_mov_b32 s19, -1
	s_mov_b32 s1, 0
	global_store_b8 v[0:1], v9, off
.LBB160_664:
	s_mov_b32 s20, 0
.LBB160_665:
	s_delay_alu instid0(SALU_CYCLE_1)
	s_and_b32 vcc_lo, exec_lo, s20
	s_cbranch_vccz .LBB160_668
; %bb.666:
	v_cmp_eq_u16_e32 vcc_lo, 29, v6
	s_mov_b32 s1, -1
	s_cbranch_vccz .LBB160_668
; %bb.667:
	v_cvt_f32_f16_e32 v8, v5
	v_mov_b32_e32 v9, 0
	s_mov_b32 s1, 0
	s_mov_b32 s19, -1
	s_mov_b32 s20, 0
	v_cvt_u32_f32_e32 v8, v8
	global_store_b64 v[0:1], v[8:9], off
	s_branch .LBB160_669
.LBB160_668:
	s_mov_b32 s20, 0
.LBB160_669:
	s_delay_alu instid0(SALU_CYCLE_1)
	s_and_b32 vcc_lo, exec_lo, s20
	s_cbranch_vccz .LBB160_685
; %bb.670:
	v_cmp_gt_i16_e32 vcc_lo, 27, v6
	s_mov_b32 s19, -1
	s_cbranch_vccnz .LBB160_676
; %bb.671:
	v_cmp_lt_i16_e32 vcc_lo, 27, v6
	s_cbranch_vccz .LBB160_673
; %bb.672:
	v_cvt_f32_f16_e32 v8, v5
	s_mov_b32 s19, 0
	s_delay_alu instid0(VALU_DEP_1)
	v_cvt_u32_f32_e32 v8, v8
	global_store_b32 v[0:1], v8, off
.LBB160_673:
	s_and_not1_b32 vcc_lo, exec_lo, s19
	s_cbranch_vccnz .LBB160_675
; %bb.674:
	v_cvt_u16_f16_e32 v8, v5
	global_store_b16 v[0:1], v8, off
.LBB160_675:
	s_mov_b32 s19, 0
.LBB160_676:
	s_delay_alu instid0(SALU_CYCLE_1)
	s_and_not1_b32 vcc_lo, exec_lo, s19
	s_cbranch_vccnz .LBB160_684
; %bb.677:
	v_cvt_f32_f16_e32 v8, v5
	v_mov_b32_e32 v10, 0x80
	s_mov_b32 s19, exec_lo
	s_delay_alu instid0(VALU_DEP_2) | instskip(NEXT) | instid1(VALU_DEP_1)
	v_and_b32_e32 v9, 0x7fffffff, v8
	v_cmpx_gt_u32_e32 0x43800000, v9
	s_cbranch_execz .LBB160_683
; %bb.678:
	v_cmp_lt_u32_e32 vcc_lo, 0x3bffffff, v9
	s_mov_b32 s20, 0
                                        ; implicit-def: $vgpr9
	s_and_saveexec_b32 s21, vcc_lo
	s_delay_alu instid0(SALU_CYCLE_1)
	s_xor_b32 s21, exec_lo, s21
	s_cbranch_execz .LBB160_785
; %bb.679:
	v_bfe_u32 v9, v8, 20, 1
	s_mov_b32 s20, exec_lo
	s_delay_alu instid0(VALU_DEP_1) | instskip(NEXT) | instid1(VALU_DEP_1)
	v_add3_u32 v9, v8, v9, 0x487ffff
	v_lshrrev_b32_e32 v9, 20, v9
	s_or_saveexec_b32 s21, s21
                                        ; implicit-def: $sgpr22
	s_delay_alu instid0(SALU_CYCLE_1)
	s_xor_b32 exec_lo, exec_lo, s21
	s_cbranch_execnz .LBB160_786
.LBB160_680:
	s_or_b32 exec_lo, exec_lo, s21
	v_mov_b32_e32 v10, s22
	s_and_saveexec_b32 s21, s20
.LBB160_681:
	v_lshrrev_b32_e32 v8, 24, v8
	s_delay_alu instid0(VALU_DEP_1)
	v_and_or_b32 v10, 0x80, v8, v9
.LBB160_682:
	s_or_b32 exec_lo, exec_lo, s21
.LBB160_683:
	s_delay_alu instid0(SALU_CYCLE_1)
	s_or_b32 exec_lo, exec_lo, s19
	global_store_b8 v[0:1], v10, off
.LBB160_684:
	s_mov_b32 s19, -1
.LBB160_685:
	s_mov_b32 s20, 0
.LBB160_686:
	s_delay_alu instid0(SALU_CYCLE_1)
	s_and_b32 vcc_lo, exec_lo, s20
	s_cbranch_vccz .LBB160_727
; %bb.687:
	v_cmp_lt_i16_e32 vcc_lo, 22, v6
	s_mov_b32 s20, -1
	s_cbranch_vccz .LBB160_719
; %bb.688:
	v_cmp_gt_i16_e32 vcc_lo, 24, v6
	s_mov_b32 s19, -1
	s_cbranch_vccnz .LBB160_708
; %bb.689:
	v_cmp_lt_i16_e32 vcc_lo, 24, v6
	s_cbranch_vccz .LBB160_697
; %bb.690:
	v_cvt_f32_f16_e32 v8, v5
	v_mov_b32_e32 v10, 0x80
	s_mov_b32 s19, exec_lo
	s_delay_alu instid0(VALU_DEP_2) | instskip(NEXT) | instid1(VALU_DEP_1)
	v_and_b32_e32 v9, 0x7fffffff, v8
	v_cmpx_gt_u32_e32 0x47800000, v9
	s_cbranch_execz .LBB160_696
; %bb.691:
	v_cmp_lt_u32_e32 vcc_lo, 0x37ffffff, v9
	s_mov_b32 s20, 0
                                        ; implicit-def: $vgpr9
	s_and_saveexec_b32 s21, vcc_lo
	s_delay_alu instid0(SALU_CYCLE_1)
	s_xor_b32 s21, exec_lo, s21
	s_cbranch_execz .LBB160_788
; %bb.692:
	v_bfe_u32 v9, v8, 21, 1
	s_mov_b32 s20, exec_lo
	s_delay_alu instid0(VALU_DEP_1) | instskip(NEXT) | instid1(VALU_DEP_1)
	v_add3_u32 v9, v8, v9, 0x88fffff
	v_lshrrev_b32_e32 v9, 21, v9
	s_or_saveexec_b32 s21, s21
                                        ; implicit-def: $sgpr22
	s_delay_alu instid0(SALU_CYCLE_1)
	s_xor_b32 exec_lo, exec_lo, s21
	s_cbranch_execnz .LBB160_789
.LBB160_693:
	s_or_b32 exec_lo, exec_lo, s21
	v_mov_b32_e32 v10, s22
	s_and_saveexec_b32 s21, s20
.LBB160_694:
	v_lshrrev_b32_e32 v8, 24, v8
	s_delay_alu instid0(VALU_DEP_1)
	v_and_or_b32 v10, 0x80, v8, v9
.LBB160_695:
	s_or_b32 exec_lo, exec_lo, s21
.LBB160_696:
	s_delay_alu instid0(SALU_CYCLE_1)
	s_or_b32 exec_lo, exec_lo, s19
	s_mov_b32 s19, 0
	global_store_b8 v[0:1], v10, off
.LBB160_697:
	s_and_b32 vcc_lo, exec_lo, s19
	s_cbranch_vccz .LBB160_707
; %bb.698:
	v_cvt_f32_f16_e32 v8, v5
	s_mov_b32 s19, exec_lo
                                        ; implicit-def: $vgpr9
	s_delay_alu instid0(VALU_DEP_1) | instskip(NEXT) | instid1(VALU_DEP_1)
	v_and_b32_e32 v10, 0x7fffffff, v8
	v_cmpx_gt_u32_e32 0x43f00000, v10
	s_xor_b32 s19, exec_lo, s19
	s_cbranch_execz .LBB160_704
; %bb.699:
	s_mov_b32 s20, exec_lo
                                        ; implicit-def: $vgpr9
	v_cmpx_lt_u32_e32 0x3c7fffff, v10
	s_xor_b32 s20, exec_lo, s20
; %bb.700:
	v_bfe_u32 v9, v8, 20, 1
	s_delay_alu instid0(VALU_DEP_1) | instskip(NEXT) | instid1(VALU_DEP_1)
	v_add3_u32 v9, v8, v9, 0x407ffff
	v_and_b32_e32 v10, 0xff00000, v9
	v_lshrrev_b32_e32 v9, 20, v9
	s_delay_alu instid0(VALU_DEP_2) | instskip(NEXT) | instid1(VALU_DEP_2)
	v_cmp_ne_u32_e32 vcc_lo, 0x7f00000, v10
	v_cndmask_b32_e32 v9, 0x7e, v9, vcc_lo
; %bb.701:
	s_and_not1_saveexec_b32 s20, s20
; %bb.702:
	v_add_f32_e64 v9, 0x46800000, |v8|
; %bb.703:
	s_or_b32 exec_lo, exec_lo, s20
                                        ; implicit-def: $vgpr10
.LBB160_704:
	s_and_not1_saveexec_b32 s19, s19
; %bb.705:
	v_mov_b32_e32 v9, 0x7f
	v_cmp_lt_u32_e32 vcc_lo, 0x7f800000, v10
	s_delay_alu instid0(VALU_DEP_2)
	v_cndmask_b32_e32 v9, 0x7e, v9, vcc_lo
; %bb.706:
	s_or_b32 exec_lo, exec_lo, s19
	v_lshrrev_b32_e32 v8, 24, v8
	s_delay_alu instid0(VALU_DEP_1)
	v_and_or_b32 v8, 0x80, v8, v9
	global_store_b8 v[0:1], v8, off
.LBB160_707:
	s_mov_b32 s19, 0
.LBB160_708:
	s_delay_alu instid0(SALU_CYCLE_1)
	s_and_not1_b32 vcc_lo, exec_lo, s19
	s_cbranch_vccnz .LBB160_718
; %bb.709:
	v_cvt_f32_f16_e32 v8, v5
	s_mov_b32 s19, exec_lo
                                        ; implicit-def: $vgpr9
	s_delay_alu instid0(VALU_DEP_1) | instskip(NEXT) | instid1(VALU_DEP_1)
	v_and_b32_e32 v10, 0x7fffffff, v8
	v_cmpx_gt_u32_e32 0x47800000, v10
	s_xor_b32 s19, exec_lo, s19
	s_cbranch_execz .LBB160_715
; %bb.710:
	s_mov_b32 s20, exec_lo
                                        ; implicit-def: $vgpr9
	v_cmpx_lt_u32_e32 0x387fffff, v10
	s_xor_b32 s20, exec_lo, s20
; %bb.711:
	v_bfe_u32 v9, v8, 21, 1
	s_delay_alu instid0(VALU_DEP_1) | instskip(NEXT) | instid1(VALU_DEP_1)
	v_add3_u32 v9, v8, v9, 0x80fffff
	v_lshrrev_b32_e32 v9, 21, v9
; %bb.712:
	s_and_not1_saveexec_b32 s20, s20
; %bb.713:
	v_add_f32_e64 v9, 0x43000000, |v8|
; %bb.714:
	s_or_b32 exec_lo, exec_lo, s20
                                        ; implicit-def: $vgpr10
.LBB160_715:
	s_and_not1_saveexec_b32 s19, s19
; %bb.716:
	v_mov_b32_e32 v9, 0x7f
	v_cmp_lt_u32_e32 vcc_lo, 0x7f800000, v10
	s_delay_alu instid0(VALU_DEP_2)
	v_cndmask_b32_e32 v9, 0x7c, v9, vcc_lo
; %bb.717:
	s_or_b32 exec_lo, exec_lo, s19
	v_lshrrev_b32_e32 v8, 24, v8
	s_delay_alu instid0(VALU_DEP_1)
	v_and_or_b32 v8, 0x80, v8, v9
	global_store_b8 v[0:1], v8, off
.LBB160_718:
	s_mov_b32 s20, 0
	s_mov_b32 s19, -1
.LBB160_719:
	s_and_not1_b32 vcc_lo, exec_lo, s20
	s_cbranch_vccnz .LBB160_727
; %bb.720:
	v_cmp_lt_i16_e32 vcc_lo, 14, v6
	s_mov_b32 s20, -1
	s_cbranch_vccz .LBB160_724
; %bb.721:
	v_cmp_eq_u16_e32 vcc_lo, 15, v6
	s_mov_b32 s1, -1
	s_cbranch_vccz .LBB160_723
; %bb.722:
	v_cvt_f32_f16_e32 v8, v5
	v_cmp_o_f16_e32 vcc_lo, v5, v5
	s_mov_b32 s19, -1
	s_mov_b32 s1, 0
	s_delay_alu instid0(VALU_DEP_2) | instskip(NEXT) | instid1(VALU_DEP_1)
	v_bfe_u32 v9, v8, 16, 1
	v_add3_u32 v8, v8, v9, 0x7fff
	s_delay_alu instid0(VALU_DEP_1) | instskip(NEXT) | instid1(VALU_DEP_1)
	v_lshrrev_b32_e32 v8, 16, v8
	v_cndmask_b32_e32 v8, 0x7fc0, v8, vcc_lo
	global_store_b16 v[0:1], v8, off
.LBB160_723:
	s_mov_b32 s20, 0
.LBB160_724:
	s_delay_alu instid0(SALU_CYCLE_1)
	s_and_b32 vcc_lo, exec_lo, s20
	s_cbranch_vccz .LBB160_727
; %bb.725:
	v_cmp_eq_u16_e32 vcc_lo, 11, v6
	s_mov_b32 s1, -1
	s_cbranch_vccz .LBB160_727
; %bb.726:
	v_cmp_neq_f16_e32 vcc_lo, 0, v7
	s_mov_b32 s1, 0
	s_mov_b32 s19, -1
	s_or_b32 s0, s0, vcc_lo
	s_delay_alu instid0(SALU_CYCLE_1)
	v_cndmask_b32_e64 v7, 0, 1, s0
	global_store_b8 v[0:1], v7, off
.LBB160_727:
	s_mov_b32 s0, 0
.LBB160_728:
	s_delay_alu instid0(SALU_CYCLE_1)
	s_and_b32 vcc_lo, exec_lo, s0
	s_cbranch_vccz .LBB160_767
; %bb.729:
	v_cmp_gt_i16_e32 vcc_lo, 5, v6
	s_mov_b32 s0, -1
	s_cbranch_vccnz .LBB160_750
; %bb.730:
	v_cmp_gt_i16_e32 vcc_lo, 8, v6
	s_cbranch_vccnz .LBB160_740
; %bb.731:
	v_cmp_gt_i16_e32 vcc_lo, 9, v6
	s_cbranch_vccnz .LBB160_737
; %bb.732:
	v_cmp_lt_i16_e32 vcc_lo, 9, v6
	s_cbranch_vccz .LBB160_734
; %bb.733:
	v_cvt_f32_f16_e32 v7, v5
	v_mov_b32_e32 v9, 0
	s_mov_b32 s0, 0
	s_delay_alu instid0(VALU_DEP_2) | instskip(NEXT) | instid1(VALU_DEP_2)
	v_cvt_f64_f32_e32 v[7:8], v7
	v_mov_b32_e32 v10, v9
	global_store_b128 v[0:1], v[7:10], off
.LBB160_734:
	s_and_not1_b32 vcc_lo, exec_lo, s0
	s_cbranch_vccnz .LBB160_736
; %bb.735:
	v_cvt_f32_f16_e32 v7, v5
	v_mov_b32_e32 v8, 0
	global_store_b64 v[0:1], v[7:8], off
.LBB160_736:
	s_mov_b32 s0, 0
.LBB160_737:
	s_delay_alu instid0(SALU_CYCLE_1)
	s_and_not1_b32 vcc_lo, exec_lo, s0
	s_cbranch_vccnz .LBB160_739
; %bb.738:
	v_and_b32_e32 v7, 0xffff, v5
	global_store_b32 v[0:1], v7, off
.LBB160_739:
	s_mov_b32 s0, 0
.LBB160_740:
	s_delay_alu instid0(SALU_CYCLE_1)
	s_and_not1_b32 vcc_lo, exec_lo, s0
	s_cbranch_vccnz .LBB160_749
; %bb.741:
	v_cmp_gt_i16_e32 vcc_lo, 6, v6
	s_mov_b32 s0, -1
	s_cbranch_vccnz .LBB160_747
; %bb.742:
	v_cmp_lt_i16_e32 vcc_lo, 6, v6
	s_cbranch_vccz .LBB160_744
; %bb.743:
	v_cvt_f32_f16_e32 v7, v5
	s_mov_b32 s0, 0
	s_delay_alu instid0(VALU_DEP_1)
	v_cvt_f64_f32_e32 v[7:8], v7
	global_store_b64 v[0:1], v[7:8], off
.LBB160_744:
	s_and_not1_b32 vcc_lo, exec_lo, s0
	s_cbranch_vccnz .LBB160_746
; %bb.745:
	v_cvt_f32_f16_e32 v7, v5
	global_store_b32 v[0:1], v7, off
.LBB160_746:
	s_mov_b32 s0, 0
.LBB160_747:
	s_delay_alu instid0(SALU_CYCLE_1)
	s_and_not1_b32 vcc_lo, exec_lo, s0
	s_cbranch_vccnz .LBB160_749
; %bb.748:
	global_store_b16 v[0:1], v5, off
.LBB160_749:
	s_mov_b32 s0, 0
.LBB160_750:
	s_delay_alu instid0(SALU_CYCLE_1)
	s_and_not1_b32 vcc_lo, exec_lo, s0
	s_cbranch_vccnz .LBB160_766
; %bb.751:
	v_cmp_gt_i16_e32 vcc_lo, 2, v6
	s_mov_b32 s0, -1
	s_cbranch_vccnz .LBB160_761
; %bb.752:
	v_cmp_gt_i16_e32 vcc_lo, 3, v6
	s_cbranch_vccnz .LBB160_758
; %bb.753:
	v_cmp_lt_i16_e32 vcc_lo, 3, v6
	s_cbranch_vccz .LBB160_755
; %bb.754:
	v_cvt_f32_f16_e32 v7, v5
	s_mov_b32 s0, 0
	s_delay_alu instid0(VALU_DEP_1) | instskip(NEXT) | instid1(VALU_DEP_1)
	v_cvt_i32_f32_e32 v7, v7
	v_ashrrev_i32_e32 v8, 31, v7
	global_store_b64 v[0:1], v[7:8], off
.LBB160_755:
	s_and_not1_b32 vcc_lo, exec_lo, s0
	s_cbranch_vccnz .LBB160_757
; %bb.756:
	v_cvt_f32_f16_e32 v7, v5
	s_delay_alu instid0(VALU_DEP_1)
	v_cvt_i32_f32_e32 v7, v7
	global_store_b32 v[0:1], v7, off
.LBB160_757:
	s_mov_b32 s0, 0
.LBB160_758:
	s_delay_alu instid0(SALU_CYCLE_1)
	s_and_not1_b32 vcc_lo, exec_lo, s0
	s_cbranch_vccnz .LBB160_760
; %bb.759:
	v_cvt_i16_f16_e32 v7, v5
	global_store_b16 v[0:1], v7, off
.LBB160_760:
	s_mov_b32 s0, 0
.LBB160_761:
	s_delay_alu instid0(SALU_CYCLE_1)
	s_and_not1_b32 vcc_lo, exec_lo, s0
	s_cbranch_vccnz .LBB160_766
; %bb.762:
	v_cmp_lt_i16_e32 vcc_lo, 0, v6
	s_mov_b32 s0, -1
	s_cbranch_vccz .LBB160_764
; %bb.763:
	v_cvt_i16_f16_e32 v6, v5
	s_mov_b32 s0, 0
	global_store_b8 v[0:1], v6, off
.LBB160_764:
	s_and_not1_b32 vcc_lo, exec_lo, s0
	s_cbranch_vccnz .LBB160_766
; %bb.765:
	v_cvt_f32_f16_e32 v5, v5
	s_delay_alu instid0(VALU_DEP_1)
	v_cvt_i32_f32_e32 v5, v5
	global_store_b8 v[0:1], v5, off
.LBB160_766:
	s_mov_b32 s19, -1
.LBB160_767:
	s_delay_alu instid0(SALU_CYCLE_1)
	s_and_not1_b32 vcc_lo, exec_lo, s19
	s_cbranch_vccnz .LBB160_769
; %bb.768:
	v_add_nc_u32_e32 v3, 0x80, v3
	s_mov_b32 s0, -1
	s_branch .LBB160_771
.LBB160_769:
	s_mov_b32 s0, 0
.LBB160_770:
                                        ; implicit-def: $vgpr3
.LBB160_771:
	s_and_not1_b32 s19, s15, exec_lo
	s_and_b32 s1, s1, exec_lo
	s_and_not1_b32 s20, s14, exec_lo
	s_and_b32 s21, s18, exec_lo
	s_or_b32 s18, s19, s1
	s_or_b32 s1, s20, s21
	s_or_not1_b32 s0, s0, exec_lo
.LBB160_772:
	s_or_b32 exec_lo, exec_lo, s17
	s_mov_b32 s19, 0
	s_mov_b32 s20, 0
	;; [unrolled: 1-line block ×3, first 2 shown]
                                        ; implicit-def: $vgpr0_vgpr1
                                        ; implicit-def: $vgpr6
	s_and_saveexec_b32 s17, s0
	s_cbranch_execz .LBB160_857
; %bb.773:
	v_cmp_gt_i32_e32 vcc_lo, s11, v3
	s_mov_b32 s0, 0
	s_mov_b32 s19, s1
                                        ; implicit-def: $vgpr0_vgpr1
                                        ; implicit-def: $vgpr6
	s_and_saveexec_b32 s11, vcc_lo
	s_cbranch_execz .LBB160_856
; %bb.774:
	v_mul_lo_u32 v0, v3, s3
	v_cmp_gt_i16_e32 vcc_lo, 11, v4
	s_delay_alu instid0(VALU_DEP_2) | instskip(SKIP_1) | instid1(VALU_DEP_1)
	v_ashrrev_i32_e32 v1, 31, v0
	v_add_co_u32 v0, s0, s6, v0
	v_add_co_ci_u32_e64 v1, s0, s7, v1, s0
	s_cbranch_vccnz .LBB160_781
; %bb.775:
	v_cmp_lt_i16_e32 vcc_lo, 25, v4
	s_mov_b32 s19, 0
	s_cbranch_vccz .LBB160_782
; %bb.776:
	v_cmp_lt_i16_e32 vcc_lo, 28, v4
	s_cbranch_vccz .LBB160_783
; %bb.777:
	v_cmp_lt_i16_e32 vcc_lo, 43, v4
	;; [unrolled: 3-line block ×3, first 2 shown]
	s_cbranch_vccz .LBB160_787
; %bb.779:
	v_cmp_eq_u16_e32 vcc_lo, 46, v4
	s_cbranch_vccz .LBB160_790
; %bb.780:
	global_load_b32 v5, v[0:1], off
	s_mov_b32 s0, 0
	s_mov_b32 s20, -1
	s_waitcnt vmcnt(0)
	v_lshlrev_b32_e32 v5, 16, v5
	s_delay_alu instid0(VALU_DEP_1)
	v_cvt_f16_f32_e32 v6, v5
	s_branch .LBB160_792
.LBB160_781:
	s_mov_b32 s22, -1
	s_mov_b32 s19, 0
	s_mov_b32 s0, s1
                                        ; implicit-def: $vgpr6
	s_branch .LBB160_855
.LBB160_782:
	s_mov_b32 s21, -1
	s_mov_b32 s0, s1
                                        ; implicit-def: $vgpr6
	s_branch .LBB160_821
.LBB160_783:
	s_mov_b32 s21, -1
	s_mov_b32 s0, s1
                                        ; implicit-def: $vgpr6
	s_branch .LBB160_802
.LBB160_784:
	s_mov_b32 s21, -1
	s_mov_b32 s0, s1
                                        ; implicit-def: $vgpr6
	s_branch .LBB160_797
.LBB160_785:
	s_or_saveexec_b32 s21, s21
                                        ; implicit-def: $sgpr22
	s_delay_alu instid0(SALU_CYCLE_1)
	s_xor_b32 exec_lo, exec_lo, s21
	s_cbranch_execz .LBB160_680
.LBB160_786:
	v_add_f32_e64 v9, 0x46000000, |v8|
	s_and_not1_b32 s20, s20, exec_lo
	s_mov_b32 s22, 0
	s_delay_alu instid0(VALU_DEP_1) | instskip(NEXT) | instid1(VALU_DEP_1)
	v_and_b32_e32 v9, 0xff, v9
	v_cmp_ne_u32_e32 vcc_lo, 0, v9
	s_and_b32 s23, vcc_lo, exec_lo
	s_delay_alu instid0(SALU_CYCLE_1)
	s_or_b32 s20, s20, s23
	s_or_b32 exec_lo, exec_lo, s21
	v_mov_b32_e32 v10, s22
	s_and_saveexec_b32 s21, s20
	s_cbranch_execnz .LBB160_681
	s_branch .LBB160_682
.LBB160_787:
	s_mov_b32 s21, -1
	s_mov_b32 s0, s1
	s_branch .LBB160_791
.LBB160_788:
	s_or_saveexec_b32 s21, s21
                                        ; implicit-def: $sgpr22
	s_delay_alu instid0(SALU_CYCLE_1)
	s_xor_b32 exec_lo, exec_lo, s21
	s_cbranch_execz .LBB160_693
.LBB160_789:
	v_add_f32_e64 v9, 0x42800000, |v8|
	s_and_not1_b32 s20, s20, exec_lo
	s_mov_b32 s22, 0
	s_delay_alu instid0(VALU_DEP_1) | instskip(NEXT) | instid1(VALU_DEP_1)
	v_and_b32_e32 v9, 0xff, v9
	v_cmp_ne_u32_e32 vcc_lo, 0, v9
	s_and_b32 s23, vcc_lo, exec_lo
	s_delay_alu instid0(SALU_CYCLE_1)
	s_or_b32 s20, s20, s23
	s_or_b32 exec_lo, exec_lo, s21
	v_mov_b32_e32 v10, s22
	s_and_saveexec_b32 s21, s20
	s_cbranch_execnz .LBB160_694
	s_branch .LBB160_695
.LBB160_790:
	s_mov_b32 s0, -1
.LBB160_791:
                                        ; implicit-def: $vgpr6
.LBB160_792:
	s_and_b32 vcc_lo, exec_lo, s21
	s_cbranch_vccz .LBB160_796
; %bb.793:
	v_cmp_eq_u16_e32 vcc_lo, 44, v4
	s_cbranch_vccz .LBB160_795
; %bb.794:
	global_load_u8 v5, v[0:1], off
	s_mov_b32 s0, 0
	s_mov_b32 s20, -1
	s_waitcnt vmcnt(0)
	v_lshlrev_b32_e32 v6, 23, v5
	v_cmp_ne_u32_e32 vcc_lo, 0xff, v5
	s_delay_alu instid0(VALU_DEP_2) | instskip(NEXT) | instid1(VALU_DEP_1)
	v_cvt_f16_f32_e32 v6, v6
	v_cndmask_b32_e32 v6, 0x7e00, v6, vcc_lo
	v_cmp_ne_u32_e32 vcc_lo, 0, v5
	s_delay_alu instid0(VALU_DEP_2)
	v_cndmask_b32_e32 v6, 0, v6, vcc_lo
	s_branch .LBB160_796
.LBB160_795:
	s_mov_b32 s0, -1
                                        ; implicit-def: $vgpr6
.LBB160_796:
	s_mov_b32 s21, 0
.LBB160_797:
	s_delay_alu instid0(SALU_CYCLE_1)
	s_and_b32 vcc_lo, exec_lo, s21
	s_cbranch_vccz .LBB160_801
; %bb.798:
	v_cmp_eq_u16_e32 vcc_lo, 29, v4
	s_cbranch_vccz .LBB160_800
; %bb.799:
	global_load_b64 v[5:6], v[0:1], off
	s_mov_b32 s0, 0
	s_mov_b32 s20, -1
	s_mov_b32 s21, 0
	s_waitcnt vmcnt(0)
	v_clz_i32_u32_e32 v7, v6
	s_delay_alu instid0(VALU_DEP_1) | instskip(NEXT) | instid1(VALU_DEP_1)
	v_min_u32_e32 v7, 32, v7
	v_lshlrev_b64 v[5:6], v7, v[5:6]
	s_delay_alu instid0(VALU_DEP_1) | instskip(NEXT) | instid1(VALU_DEP_1)
	v_min_u32_e32 v5, 1, v5
	v_or_b32_e32 v5, v6, v5
	v_sub_nc_u32_e32 v6, 32, v7
	s_delay_alu instid0(VALU_DEP_2) | instskip(NEXT) | instid1(VALU_DEP_1)
	v_cvt_f32_u32_e32 v5, v5
	v_ldexp_f32 v5, v5, v6
	s_delay_alu instid0(VALU_DEP_1)
	v_cvt_f16_f32_e32 v6, v5
	s_branch .LBB160_802
.LBB160_800:
	s_mov_b32 s0, -1
                                        ; implicit-def: $vgpr6
.LBB160_801:
	s_mov_b32 s21, 0
.LBB160_802:
	s_delay_alu instid0(SALU_CYCLE_1)
	s_and_b32 vcc_lo, exec_lo, s21
	s_cbranch_vccz .LBB160_820
; %bb.803:
	v_cmp_gt_i16_e32 vcc_lo, 27, v4
	s_cbranch_vccnz .LBB160_806
; %bb.804:
	v_cmp_lt_i16_e32 vcc_lo, 27, v4
	s_cbranch_vccz .LBB160_807
; %bb.805:
	global_load_b32 v5, v[0:1], off
	s_mov_b32 s20, 0
	s_waitcnt vmcnt(0)
	v_cvt_f32_u32_e32 v5, v5
	s_delay_alu instid0(VALU_DEP_1)
	v_cvt_f16_f32_e32 v6, v5
	s_branch .LBB160_808
.LBB160_806:
	s_mov_b32 s20, -1
                                        ; implicit-def: $vgpr6
	s_branch .LBB160_811
.LBB160_807:
	s_mov_b32 s20, -1
                                        ; implicit-def: $vgpr6
.LBB160_808:
	s_delay_alu instid0(SALU_CYCLE_1)
	s_and_not1_b32 vcc_lo, exec_lo, s20
	s_cbranch_vccnz .LBB160_810
; %bb.809:
	global_load_u16 v5, v[0:1], off
	s_waitcnt vmcnt(0)
	v_cvt_f16_u16_e32 v6, v5
.LBB160_810:
	s_mov_b32 s20, 0
.LBB160_811:
	s_delay_alu instid0(SALU_CYCLE_1)
	s_and_not1_b32 vcc_lo, exec_lo, s20
	s_cbranch_vccnz .LBB160_819
; %bb.812:
	global_load_u8 v5, v[0:1], off
	s_mov_b32 s20, 0
	s_mov_b32 s22, exec_lo
                                        ; implicit-def: $sgpr21
	s_waitcnt vmcnt(0)
	v_cmpx_lt_i16_e32 0x7f, v5
	s_xor_b32 s22, exec_lo, s22
	s_cbranch_execz .LBB160_833
; %bb.813:
	s_mov_b32 s20, -1
	s_mov_b32 s23, exec_lo
                                        ; implicit-def: $sgpr21
	v_cmpx_eq_u16_e32 0x80, v5
; %bb.814:
	s_movk_i32 s21, 0x7e00
	s_xor_b32 s20, exec_lo, -1
; %bb.815:
	s_or_b32 exec_lo, exec_lo, s23
	s_delay_alu instid0(SALU_CYCLE_1)
	s_and_b32 s20, s20, exec_lo
	s_or_saveexec_b32 s22, s22
	v_mov_b32_e32 v6, s21
	s_xor_b32 exec_lo, exec_lo, s22
	s_cbranch_execnz .LBB160_834
.LBB160_816:
	s_or_b32 exec_lo, exec_lo, s22
	s_and_saveexec_b32 s21, s20
	s_cbranch_execz .LBB160_818
.LBB160_817:
	v_and_b32_e32 v6, 0xffff, v5
	v_lshlrev_b32_e32 v5, 24, v5
	s_delay_alu instid0(VALU_DEP_2) | instskip(NEXT) | instid1(VALU_DEP_2)
	v_and_b32_e32 v7, 7, v6
	v_and_b32_e32 v5, 0x80000000, v5
	s_delay_alu instid0(VALU_DEP_2) | instskip(NEXT) | instid1(VALU_DEP_1)
	v_clz_i32_u32_e32 v8, v7
	v_min_u32_e32 v8, 32, v8
	s_delay_alu instid0(VALU_DEP_1) | instskip(SKIP_1) | instid1(VALU_DEP_2)
	v_subrev_nc_u32_e32 v9, 28, v8
	v_sub_nc_u32_e32 v8, 29, v8
	v_lshlrev_b32_e32 v9, v9, v6
	v_bfe_u32 v6, v6, 3, 4
	s_delay_alu instid0(VALU_DEP_2) | instskip(NEXT) | instid1(VALU_DEP_2)
	v_and_b32_e32 v9, 7, v9
	v_cmp_eq_u32_e32 vcc_lo, 0, v6
	s_delay_alu instid0(VALU_DEP_2) | instskip(NEXT) | instid1(VALU_DEP_1)
	v_dual_cndmask_b32 v6, v6, v8 :: v_dual_cndmask_b32 v7, v7, v9
	v_lshl_add_u32 v6, v6, 23, 0x3b800000
	s_delay_alu instid0(VALU_DEP_2) | instskip(NEXT) | instid1(VALU_DEP_1)
	v_lshlrev_b32_e32 v7, 20, v7
	v_or3_b32 v5, v5, v6, v7
	s_delay_alu instid0(VALU_DEP_1)
	v_cvt_f16_f32_e32 v6, v5
.LBB160_818:
	s_or_b32 exec_lo, exec_lo, s21
.LBB160_819:
	s_mov_b32 s20, -1
.LBB160_820:
	s_mov_b32 s21, 0
.LBB160_821:
	s_delay_alu instid0(SALU_CYCLE_1)
	s_and_b32 vcc_lo, exec_lo, s21
	s_cbranch_vccz .LBB160_854
; %bb.822:
	v_cmp_lt_i16_e32 vcc_lo, 22, v4
	s_cbranch_vccz .LBB160_832
; %bb.823:
	v_cmp_gt_i16_e32 vcc_lo, 24, v4
	s_cbranch_vccnz .LBB160_835
; %bb.824:
	v_cmp_lt_i16_e32 vcc_lo, 24, v4
	s_cbranch_vccz .LBB160_836
; %bb.825:
	global_load_u8 v5, v[0:1], off
	s_mov_b32 s21, exec_lo
                                        ; implicit-def: $sgpr20
	s_waitcnt vmcnt(0)
	v_cmpx_lt_i16_e32 0x7f, v5
	s_xor_b32 s21, exec_lo, s21
	s_cbranch_execz .LBB160_848
; %bb.826:
	s_mov_b32 s19, -1
	s_mov_b32 s22, exec_lo
                                        ; implicit-def: $sgpr20
	v_cmpx_eq_u16_e32 0x80, v5
; %bb.827:
	s_movk_i32 s20, 0x7e00
	s_xor_b32 s19, exec_lo, -1
; %bb.828:
	s_or_b32 exec_lo, exec_lo, s22
	s_delay_alu instid0(SALU_CYCLE_1)
	s_and_b32 s19, s19, exec_lo
	s_or_saveexec_b32 s21, s21
	v_mov_b32_e32 v6, s20
	s_xor_b32 exec_lo, exec_lo, s21
	s_cbranch_execnz .LBB160_849
.LBB160_829:
	s_or_b32 exec_lo, exec_lo, s21
	s_and_saveexec_b32 s20, s19
	s_cbranch_execz .LBB160_831
.LBB160_830:
	v_and_b32_e32 v6, 0xffff, v5
	v_lshlrev_b32_e32 v5, 24, v5
	s_delay_alu instid0(VALU_DEP_2) | instskip(NEXT) | instid1(VALU_DEP_2)
	v_and_b32_e32 v7, 3, v6
	v_and_b32_e32 v5, 0x80000000, v5
	s_delay_alu instid0(VALU_DEP_2) | instskip(NEXT) | instid1(VALU_DEP_1)
	v_clz_i32_u32_e32 v8, v7
	v_min_u32_e32 v8, 32, v8
	s_delay_alu instid0(VALU_DEP_1) | instskip(SKIP_1) | instid1(VALU_DEP_2)
	v_subrev_nc_u32_e32 v9, 29, v8
	v_sub_nc_u32_e32 v8, 30, v8
	v_lshlrev_b32_e32 v9, v9, v6
	v_bfe_u32 v6, v6, 2, 5
	s_delay_alu instid0(VALU_DEP_2) | instskip(NEXT) | instid1(VALU_DEP_2)
	v_and_b32_e32 v9, 3, v9
	v_cmp_eq_u32_e32 vcc_lo, 0, v6
	s_delay_alu instid0(VALU_DEP_2) | instskip(NEXT) | instid1(VALU_DEP_1)
	v_dual_cndmask_b32 v6, v6, v8 :: v_dual_cndmask_b32 v7, v7, v9
	v_lshl_add_u32 v6, v6, 23, 0x37800000
	s_delay_alu instid0(VALU_DEP_2) | instskip(NEXT) | instid1(VALU_DEP_1)
	v_lshlrev_b32_e32 v7, 21, v7
	v_or3_b32 v5, v5, v6, v7
	s_delay_alu instid0(VALU_DEP_1)
	v_cvt_f16_f32_e32 v6, v5
.LBB160_831:
	s_or_b32 exec_lo, exec_lo, s20
	s_mov_b32 s19, 0
	s_branch .LBB160_837
.LBB160_832:
	s_mov_b32 s19, -1
                                        ; implicit-def: $vgpr6
	s_branch .LBB160_843
.LBB160_833:
	s_or_saveexec_b32 s22, s22
	v_mov_b32_e32 v6, s21
	s_xor_b32 exec_lo, exec_lo, s22
	s_cbranch_execz .LBB160_816
.LBB160_834:
	v_cmp_ne_u16_e32 vcc_lo, 0, v5
	v_mov_b32_e32 v6, v5
	s_and_not1_b32 s20, s20, exec_lo
	s_and_b32 s21, vcc_lo, exec_lo
	s_delay_alu instid0(SALU_CYCLE_1)
	s_or_b32 s20, s20, s21
	s_or_b32 exec_lo, exec_lo, s22
	s_and_saveexec_b32 s21, s20
	s_cbranch_execnz .LBB160_817
	s_branch .LBB160_818
.LBB160_835:
	s_mov_b32 s19, -1
                                        ; implicit-def: $vgpr6
	s_branch .LBB160_840
.LBB160_836:
	s_mov_b32 s19, -1
                                        ; implicit-def: $vgpr6
.LBB160_837:
	s_delay_alu instid0(SALU_CYCLE_1)
	s_and_b32 vcc_lo, exec_lo, s19
	s_cbranch_vccz .LBB160_839
; %bb.838:
	global_load_u8 v5, v[0:1], off
	s_waitcnt vmcnt(0)
	v_lshlrev_b32_e32 v5, 24, v5
	s_delay_alu instid0(VALU_DEP_1) | instskip(NEXT) | instid1(VALU_DEP_1)
	v_and_b32_e32 v6, 0x7f000000, v5
	v_clz_i32_u32_e32 v7, v6
	v_add_nc_u32_e32 v9, 0x1000000, v6
	v_cmp_ne_u32_e32 vcc_lo, 0, v6
	s_delay_alu instid0(VALU_DEP_3) | instskip(NEXT) | instid1(VALU_DEP_1)
	v_min_u32_e32 v7, 32, v7
	v_sub_nc_u32_e64 v7, v7, 4 clamp
	s_delay_alu instid0(VALU_DEP_1) | instskip(SKIP_1) | instid1(VALU_DEP_2)
	v_lshlrev_b32_e32 v8, v7, v6
	v_lshlrev_b32_e32 v7, 23, v7
	v_lshrrev_b32_e32 v8, 4, v8
	s_delay_alu instid0(VALU_DEP_1) | instskip(SKIP_1) | instid1(VALU_DEP_2)
	v_sub_nc_u32_e32 v7, v8, v7
	v_ashrrev_i32_e32 v8, 8, v9
	v_add_nc_u32_e32 v7, 0x3c000000, v7
	s_delay_alu instid0(VALU_DEP_1) | instskip(NEXT) | instid1(VALU_DEP_1)
	v_and_or_b32 v7, 0x7f800000, v8, v7
	v_cndmask_b32_e32 v6, 0, v7, vcc_lo
	s_delay_alu instid0(VALU_DEP_1) | instskip(NEXT) | instid1(VALU_DEP_1)
	v_and_or_b32 v5, 0x80000000, v5, v6
	v_cvt_f16_f32_e32 v6, v5
.LBB160_839:
	s_mov_b32 s19, 0
.LBB160_840:
	s_delay_alu instid0(SALU_CYCLE_1)
	s_and_not1_b32 vcc_lo, exec_lo, s19
	s_cbranch_vccnz .LBB160_842
; %bb.841:
	global_load_u8 v5, v[0:1], off
	s_waitcnt vmcnt(0)
	v_lshlrev_b32_e32 v6, 25, v5
	v_lshlrev_b16 v5, 8, v5
	s_delay_alu instid0(VALU_DEP_2) | instskip(NEXT) | instid1(VALU_DEP_2)
	v_lshrrev_b32_e32 v7, 4, v6
	v_and_or_b32 v8, 0x7f00, v5, 0.5
	v_bfe_i32 v5, v5, 0, 16
	s_delay_alu instid0(VALU_DEP_3) | instskip(NEXT) | instid1(VALU_DEP_1)
	v_or_b32_e32 v7, 0x70000000, v7
	v_dual_add_f32 v8, -0.5, v8 :: v_dual_mul_f32 v7, 0x7800000, v7
	v_cmp_gt_u32_e32 vcc_lo, 0x8000000, v6
	s_delay_alu instid0(VALU_DEP_2) | instskip(NEXT) | instid1(VALU_DEP_1)
	v_cndmask_b32_e32 v6, v7, v8, vcc_lo
	v_and_or_b32 v5, 0x80000000, v5, v6
	s_delay_alu instid0(VALU_DEP_1)
	v_cvt_f16_f32_e32 v6, v5
.LBB160_842:
	s_mov_b32 s19, 0
	s_mov_b32 s20, -1
.LBB160_843:
	s_and_not1_b32 vcc_lo, exec_lo, s19
	s_mov_b32 s19, 0
	s_cbranch_vccnz .LBB160_854
; %bb.844:
	v_cmp_lt_i16_e32 vcc_lo, 14, v4
	s_cbranch_vccz .LBB160_847
; %bb.845:
	v_cmp_eq_u16_e32 vcc_lo, 15, v4
	s_cbranch_vccz .LBB160_850
; %bb.846:
	global_load_u16 v5, v[0:1], off
	s_mov_b32 s0, 0
	s_mov_b32 s20, -1
	s_waitcnt vmcnt(0)
	v_lshlrev_b32_e32 v5, 16, v5
	s_delay_alu instid0(VALU_DEP_1)
	v_cvt_f16_f32_e32 v6, v5
	s_branch .LBB160_852
.LBB160_847:
	s_mov_b32 s19, -1
	s_branch .LBB160_851
.LBB160_848:
	s_or_saveexec_b32 s21, s21
	v_mov_b32_e32 v6, s20
	s_xor_b32 exec_lo, exec_lo, s21
	s_cbranch_execz .LBB160_829
.LBB160_849:
	v_cmp_ne_u16_e32 vcc_lo, 0, v5
	v_mov_b32_e32 v6, v5
	s_and_not1_b32 s19, s19, exec_lo
	s_and_b32 s20, vcc_lo, exec_lo
	s_delay_alu instid0(SALU_CYCLE_1)
	s_or_b32 s19, s19, s20
	s_or_b32 exec_lo, exec_lo, s21
	s_and_saveexec_b32 s20, s19
	s_cbranch_execnz .LBB160_830
	s_branch .LBB160_831
.LBB160_850:
	s_mov_b32 s0, -1
.LBB160_851:
                                        ; implicit-def: $vgpr6
.LBB160_852:
	s_and_b32 vcc_lo, exec_lo, s19
	s_mov_b32 s19, 0
	s_cbranch_vccz .LBB160_854
; %bb.853:
	v_cmp_ne_u16_e32 vcc_lo, 11, v4
	s_and_not1_b32 s0, s0, exec_lo
	s_mov_b32 s19, -1
                                        ; implicit-def: $vgpr6
	s_and_b32 s21, vcc_lo, exec_lo
	s_delay_alu instid0(SALU_CYCLE_1)
	s_or_b32 s0, s0, s21
.LBB160_854:
	s_mov_b32 s22, 0
.LBB160_855:
	s_and_b32 s21, s20, exec_lo
	s_and_b32 s20, s22, exec_lo
	s_and_not1_b32 s22, s1, exec_lo
	s_and_b32 s23, s0, exec_lo
	s_and_b32 s0, s19, exec_lo
	s_or_b32 s19, s22, s23
.LBB160_856:
	s_or_b32 exec_lo, exec_lo, s11
	s_delay_alu instid0(SALU_CYCLE_1)
	s_and_not1_b32 s1, s1, exec_lo
	s_and_b32 s11, s19, exec_lo
	s_and_b32 s21, s21, exec_lo
	s_and_b32 s20, s20, exec_lo
	s_and_b32 s19, s0, exec_lo
	s_or_b32 s1, s1, s11
.LBB160_857:
	s_or_b32 exec_lo, exec_lo, s17
	s_delay_alu instid0(SALU_CYCLE_1)
	s_and_not1_b32 s0, s15, exec_lo
	s_and_b32 s11, s18, exec_lo
	s_and_b32 s17, s20, exec_lo
	s_or_b32 s15, s0, s11
	s_and_not1_b32 s11, s14, exec_lo
	s_and_b32 s14, s1, exec_lo
	s_and_b32 s0, s21, exec_lo
	;; [unrolled: 1-line block ×3, first 2 shown]
	s_or_b32 s14, s11, s14
.LBB160_858:
	s_or_b32 exec_lo, exec_lo, s16
	s_delay_alu instid0(SALU_CYCLE_1)
	s_and_not1_b32 s10, s10, exec_lo
	s_and_b32 s11, s15, exec_lo
	s_and_b32 s0, s0, exec_lo
	s_or_b32 s10, s10, s11
	s_and_not1_b32 s11, s12, exec_lo
	s_and_b32 s12, s14, exec_lo
	s_and_b32 s15, s17, exec_lo
	;; [unrolled: 1-line block ×3, first 2 shown]
	s_or_b32 s12, s11, s12
.LBB160_859:
	s_or_b32 exec_lo, exec_lo, s13
	s_mov_b32 s11, 0
	s_and_saveexec_b32 s1, s12
	s_cbranch_execnz .LBB160_871
; %bb.860:
	s_or_b32 exec_lo, exec_lo, s1
	s_and_saveexec_b32 s1, s14
	s_delay_alu instid0(SALU_CYCLE_1)
	s_xor_b32 s1, exec_lo, s1
	s_cbranch_execz .LBB160_862
.LBB160_861:
	global_load_u8 v5, v[0:1], off
	s_or_b32 s0, s0, exec_lo
	s_waitcnt vmcnt(0)
	v_cmp_ne_u16_e32 vcc_lo, 0, v5
	v_cndmask_b32_e64 v6, 0, 0x3c00, vcc_lo
.LBB160_862:
	s_or_b32 exec_lo, exec_lo, s1
	s_and_saveexec_b32 s1, s15
	s_cbranch_execz .LBB160_910
; %bb.863:
	v_cmp_gt_i16_e32 vcc_lo, 5, v4
	s_cbranch_vccnz .LBB160_868
; %bb.864:
	v_cmp_gt_i16_e32 vcc_lo, 8, v4
	s_cbranch_vccnz .LBB160_869
; %bb.865:
	v_cmp_gt_i16_e32 vcc_lo, 9, v4
	s_cbranch_vccnz .LBB160_870
; %bb.866:
	v_cmp_lt_i16_e32 vcc_lo, 9, v4
	s_cbranch_vccz .LBB160_873
; %bb.867:
	global_load_b64 v[5:6], v[0:1], off
	s_mov_b32 s12, 0
	s_waitcnt vmcnt(0)
	v_cvt_f32_f64_e32 v5, v[5:6]
	s_delay_alu instid0(VALU_DEP_1)
	v_cvt_f16_f32_e32 v6, v5
	s_branch .LBB160_874
.LBB160_868:
                                        ; implicit-def: $vgpr6
	s_branch .LBB160_891
.LBB160_869:
                                        ; implicit-def: $vgpr6
	s_branch .LBB160_880
.LBB160_870:
	s_mov_b32 s12, -1
                                        ; implicit-def: $vgpr6
	s_branch .LBB160_877
.LBB160_871:
	s_cbranch_execnz .LBB160_919
; %bb.872:
	s_mov_b32 s11, exec_lo
	s_and_not1_b32 s14, s14, exec_lo
                                        ; implicit-def: $vgpr6
	s_or_b32 exec_lo, exec_lo, s1
	s_and_saveexec_b32 s1, s14
	s_delay_alu instid0(SALU_CYCLE_1)
	s_xor_b32 s1, exec_lo, s1
	s_cbranch_execnz .LBB160_861
	s_branch .LBB160_862
.LBB160_873:
	s_mov_b32 s12, -1
                                        ; implicit-def: $vgpr6
.LBB160_874:
	s_delay_alu instid0(SALU_CYCLE_1)
	s_and_not1_b32 vcc_lo, exec_lo, s12
	s_cbranch_vccnz .LBB160_876
; %bb.875:
	global_load_b32 v5, v[0:1], off
	s_waitcnt vmcnt(0)
	v_cvt_f16_f32_e32 v6, v5
.LBB160_876:
	s_mov_b32 s12, 0
.LBB160_877:
	s_delay_alu instid0(SALU_CYCLE_1)
	s_and_not1_b32 vcc_lo, exec_lo, s12
	s_cbranch_vccnz .LBB160_879
; %bb.878:
	global_load_b32 v6, v[0:1], off
.LBB160_879:
	s_cbranch_execnz .LBB160_890
.LBB160_880:
	v_cmp_gt_i16_e32 vcc_lo, 6, v4
	s_cbranch_vccnz .LBB160_883
; %bb.881:
	v_cmp_lt_i16_e32 vcc_lo, 6, v4
	s_cbranch_vccz .LBB160_884
; %bb.882:
	global_load_b64 v[5:6], v[0:1], off
	s_mov_b32 s12, 0
	s_waitcnt vmcnt(0)
	v_cvt_f32_f64_e32 v5, v[5:6]
	s_delay_alu instid0(VALU_DEP_1)
	v_cvt_f16_f32_e32 v6, v5
	s_branch .LBB160_885
.LBB160_883:
	s_mov_b32 s12, -1
                                        ; implicit-def: $vgpr6
	s_branch .LBB160_888
.LBB160_884:
	s_mov_b32 s12, -1
                                        ; implicit-def: $vgpr6
.LBB160_885:
	s_delay_alu instid0(SALU_CYCLE_1)
	s_and_not1_b32 vcc_lo, exec_lo, s12
	s_cbranch_vccnz .LBB160_887
; %bb.886:
	global_load_b32 v5, v[0:1], off
	s_waitcnt vmcnt(0)
	v_cvt_f16_f32_e32 v6, v5
.LBB160_887:
	s_mov_b32 s12, 0
.LBB160_888:
	s_delay_alu instid0(SALU_CYCLE_1)
	s_and_not1_b32 vcc_lo, exec_lo, s12
	s_cbranch_vccnz .LBB160_890
; %bb.889:
	global_load_u16 v6, v[0:1], off
.LBB160_890:
	s_cbranch_execnz .LBB160_909
.LBB160_891:
	v_cmp_gt_i16_e32 vcc_lo, 2, v4
	s_cbranch_vccnz .LBB160_895
; %bb.892:
	v_cmp_gt_i16_e32 vcc_lo, 3, v4
	s_cbranch_vccnz .LBB160_896
; %bb.893:
	v_cmp_lt_i16_e32 vcc_lo, 3, v4
	s_cbranch_vccz .LBB160_897
; %bb.894:
	global_load_b64 v[5:6], v[0:1], off
	s_mov_b32 s12, 0
	s_waitcnt vmcnt(0)
	v_xor_b32_e32 v7, v5, v6
	v_cls_i32_e32 v8, v6
	s_delay_alu instid0(VALU_DEP_2) | instskip(NEXT) | instid1(VALU_DEP_2)
	v_ashrrev_i32_e32 v7, 31, v7
	v_add_nc_u32_e32 v8, -1, v8
	s_delay_alu instid0(VALU_DEP_2) | instskip(NEXT) | instid1(VALU_DEP_1)
	v_add_nc_u32_e32 v7, 32, v7
	v_min_u32_e32 v7, v8, v7
	s_delay_alu instid0(VALU_DEP_1) | instskip(NEXT) | instid1(VALU_DEP_1)
	v_lshlrev_b64 v[5:6], v7, v[5:6]
	v_min_u32_e32 v5, 1, v5
	s_delay_alu instid0(VALU_DEP_1) | instskip(SKIP_1) | instid1(VALU_DEP_2)
	v_or_b32_e32 v5, v6, v5
	v_sub_nc_u32_e32 v6, 32, v7
	v_cvt_f32_i32_e32 v5, v5
	s_delay_alu instid0(VALU_DEP_1) | instskip(NEXT) | instid1(VALU_DEP_1)
	v_ldexp_f32 v5, v5, v6
	v_cvt_f16_f32_e32 v6, v5
	s_branch .LBB160_898
.LBB160_895:
                                        ; implicit-def: $vgpr6
	s_branch .LBB160_904
.LBB160_896:
	s_mov_b32 s12, -1
                                        ; implicit-def: $vgpr6
	s_branch .LBB160_901
.LBB160_897:
	s_mov_b32 s12, -1
                                        ; implicit-def: $vgpr6
.LBB160_898:
	s_delay_alu instid0(SALU_CYCLE_1)
	s_and_not1_b32 vcc_lo, exec_lo, s12
	s_cbranch_vccnz .LBB160_900
; %bb.899:
	global_load_b32 v5, v[0:1], off
	s_waitcnt vmcnt(0)
	v_cvt_f32_i32_e32 v5, v5
	s_delay_alu instid0(VALU_DEP_1)
	v_cvt_f16_f32_e32 v6, v5
.LBB160_900:
	s_mov_b32 s12, 0
.LBB160_901:
	s_delay_alu instid0(SALU_CYCLE_1)
	s_and_not1_b32 vcc_lo, exec_lo, s12
	s_cbranch_vccnz .LBB160_903
; %bb.902:
	global_load_u16 v5, v[0:1], off
	s_waitcnt vmcnt(0)
	v_cvt_f16_i16_e32 v6, v5
.LBB160_903:
	s_cbranch_execnz .LBB160_909
.LBB160_904:
	v_cmp_lt_i16_e32 vcc_lo, 0, v4
	s_mov_b32 s12, 0
	s_cbranch_vccz .LBB160_906
; %bb.905:
	global_load_i8 v4, v[0:1], off
	s_waitcnt vmcnt(0)
	v_cvt_f16_i16_e32 v6, v4
	s_branch .LBB160_907
.LBB160_906:
	s_mov_b32 s12, -1
                                        ; implicit-def: $vgpr6
.LBB160_907:
	s_delay_alu instid0(SALU_CYCLE_1)
	s_and_not1_b32 vcc_lo, exec_lo, s12
	s_cbranch_vccnz .LBB160_909
; %bb.908:
	global_load_u8 v0, v[0:1], off
	s_waitcnt vmcnt(0)
	v_cvt_f16_u16_e32 v6, v0
.LBB160_909:
	s_or_b32 s0, s0, exec_lo
.LBB160_910:
	s_or_b32 exec_lo, exec_lo, s1
	s_mov_b32 s1, 0
	s_mov_b32 s13, 0
                                        ; implicit-def: $sgpr14
                                        ; implicit-def: $vgpr5
                                        ; implicit-def: $vgpr0_vgpr1
                                        ; implicit-def: $vgpr4
                                        ; implicit-def: $vgpr7
	s_and_saveexec_b32 s12, s0
	s_cbranch_execz .LBB160_990
; %bb.911:
	s_waitcnt vmcnt(0)
	v_cvt_f32_f16_e32 v0, v6
	s_mov_b32 s0, 0xbf317218
	v_mul_lo_u32 v3, v3, s2
	s_delay_alu instid0(VALU_DEP_2) | instskip(NEXT) | instid1(VALU_DEP_1)
	v_mul_f32_e32 v1, 0x3fb8aa3b, v0
	v_rndne_f32_e32 v1, v1
	s_delay_alu instid0(VALU_DEP_1) | instskip(SKIP_3) | instid1(VALU_DEP_3)
	v_fma_mix_f32 v4, v1, s0, v6 op_sel_hi:[0,0,1]
	v_cvt_i32_f32_e32 v7, v1
	v_cmp_eq_f32_e32 vcc_lo, 0x43000000, v1
	s_mov_b32 s0, 0x395133b1
	v_fmamk_f32 v4, v1, 0x3102e308, v4
	s_delay_alu instid0(VALU_DEP_3) | instskip(NEXT) | instid1(VALU_DEP_1)
	v_cndmask_b32_e64 v1, v7, 0x7f, vcc_lo
	v_ldexp_f32 v1, 1.0, v1
	s_delay_alu instid0(VALU_DEP_1) | instskip(NEXT) | instid1(VALU_DEP_4)
	v_add_f32_e32 v7, -1.0, v1
	v_fmaak_f32 v5, s0, v4, 0x3ab69700
	s_delay_alu instid0(VALU_DEP_1) | instskip(NEXT) | instid1(VALU_DEP_1)
	v_fmaak_f32 v5, v4, v5, 0x3c0887f9
	v_fmaak_f32 v5, v4, v5, 0x3d2aaa81
	s_delay_alu instid0(VALU_DEP_1) | instskip(NEXT) | instid1(VALU_DEP_1)
	v_fmaak_f32 v5, v4, v5, 0x3e2aaaab
	v_fma_f32 v5, v4, v5, 0.5
	s_delay_alu instid0(VALU_DEP_1) | instskip(NEXT) | instid1(VALU_DEP_1)
	v_mul_f32_e32 v5, v4, v5
	v_dual_fmac_f32 v4, v4, v5 :: v_dual_and_b32 v5, 0xff, v2
	s_delay_alu instid0(VALU_DEP_1) | instskip(NEXT) | instid1(VALU_DEP_1)
	v_fmac_f32_e32 v7, v1, v4
	v_add_f32_e32 v1, v7, v7
	s_delay_alu instid0(VALU_DEP_1) | instskip(SKIP_1) | instid1(VALU_DEP_2)
	v_cndmask_b32_e32 v1, v7, v1, vcc_lo
	v_cmp_nlt_f32_e32 vcc_lo, 0x42b17217, v0
	v_cndmask_b32_e32 v0, 0x7f800000, v1, vcc_lo
	v_ashrrev_i32_e32 v1, 31, v3
	v_cmp_gt_i16_e32 vcc_lo, 11, v5
	s_delay_alu instid0(VALU_DEP_3) | instskip(SKIP_1) | instid1(VALU_DEP_1)
	v_cvt_f16_f32_e32 v7, v0
	v_add_co_u32 v0, s0, s4, v3
	v_add_co_ci_u32_e64 v1, s0, s5, v1, s0
	v_cmp_gt_f16_e64 s0, 0xcc40, v6
	s_delay_alu instid0(VALU_DEP_1)
	v_cndmask_b32_e64 v4, v7, 0xbc00, s0
	s_cbranch_vccnz .LBB160_918
; %bb.912:
	v_cmp_lt_i16_e32 vcc_lo, 25, v5
	s_mov_b32 s13, -1
	s_mov_b32 s1, s10
	s_cbranch_vccz .LBB160_948
; %bb.913:
	v_cmp_lt_i16_e32 vcc_lo, 28, v5
	s_mov_b32 s1, s10
	s_cbranch_vccz .LBB160_932
; %bb.914:
	v_cmp_lt_i16_e32 vcc_lo, 43, v5
	;; [unrolled: 4-line block ×3, first 2 shown]
	s_mov_b32 s1, s10
	s_cbranch_vccz .LBB160_922
; %bb.916:
	v_cmp_eq_u16_e32 vcc_lo, 46, v5
	s_mov_b32 s1, -1
	s_cbranch_vccz .LBB160_921
; %bb.917:
	v_cvt_f32_f16_e32 v2, v4
	v_cmp_o_f16_e32 vcc_lo, v4, v4
	s_mov_b32 s1, 0
	s_mov_b32 s13, 0
	s_delay_alu instid0(VALU_DEP_2) | instskip(NEXT) | instid1(VALU_DEP_1)
	v_bfe_u32 v3, v2, 16, 1
	v_add3_u32 v2, v2, v3, 0x7fff
	s_delay_alu instid0(VALU_DEP_1) | instskip(NEXT) | instid1(VALU_DEP_1)
	v_lshrrev_b32_e32 v2, 16, v2
	v_cndmask_b32_e32 v2, 0x7fc0, v2, vcc_lo
	global_store_b32 v[0:1], v2, off
	s_branch .LBB160_922
.LBB160_918:
	s_mov_b32 s15, 0
	s_mov_b32 s13, -1
	s_mov_b32 s1, s10
	s_branch .LBB160_989
.LBB160_919:
	s_trap 2
	s_sendmsg_rtn_b32 s0, sendmsg(MSG_RTN_GET_DOORBELL)
	s_mov_b32 ttmp2, m0
	s_waitcnt lgkmcnt(0)
	s_and_b32 s0, s0, 0x3ff
	s_delay_alu instid0(SALU_CYCLE_1) | instskip(NEXT) | instid1(SALU_CYCLE_1)
	s_bitset1_b32 s0, 10
	s_mov_b32 m0, s0
	s_sendmsg sendmsg(MSG_INTERRUPT)
	s_mov_b32 m0, ttmp2
.LBB160_920:                            ; =>This Inner Loop Header: Depth=1
	s_sethalt 5
	s_branch .LBB160_920
.LBB160_921:
	s_mov_b32 s13, 0
.LBB160_922:
	s_delay_alu instid0(SALU_CYCLE_1)
	s_and_b32 vcc_lo, exec_lo, s13
	s_cbranch_vccz .LBB160_927
; %bb.923:
	v_cmp_eq_u16_e32 vcc_lo, 44, v5
	s_mov_b32 s1, -1
	s_cbranch_vccz .LBB160_927
; %bb.924:
	v_cvt_f32_f16_e32 v2, v4
	v_mov_b32_e32 v3, 0xff
	s_mov_b32 s13, exec_lo
	s_delay_alu instid0(VALU_DEP_2) | instskip(NEXT) | instid1(VALU_DEP_1)
	v_bfe_u32 v6, v2, 23, 8
	v_cmpx_ne_u32_e32 0xff, v6
; %bb.925:
	v_and_b32_e32 v3, 0x400000, v2
	v_and_or_b32 v6, 0x3fffff, v2, v6
	v_lshrrev_b32_e32 v2, 23, v2
	s_delay_alu instid0(VALU_DEP_3) | instskip(NEXT) | instid1(VALU_DEP_3)
	v_cmp_ne_u32_e32 vcc_lo, 0, v3
	v_cmp_ne_u32_e64 s1, 0, v6
	s_delay_alu instid0(VALU_DEP_1) | instskip(NEXT) | instid1(SALU_CYCLE_1)
	s_and_b32 s1, vcc_lo, s1
	v_cndmask_b32_e64 v3, 0, 1, s1
	s_delay_alu instid0(VALU_DEP_1)
	v_add_nc_u32_e32 v3, v2, v3
; %bb.926:
	s_or_b32 exec_lo, exec_lo, s13
	s_mov_b32 s1, 0
	global_store_b8 v[0:1], v3, off
.LBB160_927:
	s_mov_b32 s13, 0
.LBB160_928:
	s_delay_alu instid0(SALU_CYCLE_1)
	s_and_b32 vcc_lo, exec_lo, s13
	s_cbranch_vccz .LBB160_931
; %bb.929:
	v_cmp_eq_u16_e32 vcc_lo, 29, v5
	s_mov_b32 s1, -1
	s_cbranch_vccz .LBB160_931
; %bb.930:
	v_cvt_f32_f16_e32 v2, v4
	v_mov_b32_e32 v3, 0
	s_mov_b32 s1, 0
	s_mov_b32 s13, 0
	s_delay_alu instid0(VALU_DEP_2)
	v_cvt_u32_f32_e32 v2, v2
	global_store_b64 v[0:1], v[2:3], off
	s_branch .LBB160_932
.LBB160_931:
	s_mov_b32 s13, 0
.LBB160_932:
	s_delay_alu instid0(SALU_CYCLE_1)
	s_and_b32 vcc_lo, exec_lo, s13
	s_cbranch_vccz .LBB160_947
; %bb.933:
	v_cmp_gt_i16_e32 vcc_lo, 27, v5
	s_mov_b32 s13, -1
	s_cbranch_vccnz .LBB160_939
; %bb.934:
	v_cmp_lt_i16_e32 vcc_lo, 27, v5
	s_cbranch_vccz .LBB160_936
; %bb.935:
	v_cvt_f32_f16_e32 v2, v4
	s_mov_b32 s13, 0
	s_delay_alu instid0(VALU_DEP_1)
	v_cvt_u32_f32_e32 v2, v2
	global_store_b32 v[0:1], v2, off
.LBB160_936:
	s_and_not1_b32 vcc_lo, exec_lo, s13
	s_cbranch_vccnz .LBB160_938
; %bb.937:
	v_cvt_u16_f16_e32 v2, v4
	global_store_b16 v[0:1], v2, off
.LBB160_938:
	s_mov_b32 s13, 0
.LBB160_939:
	s_delay_alu instid0(SALU_CYCLE_1)
	s_and_not1_b32 vcc_lo, exec_lo, s13
	s_cbranch_vccnz .LBB160_947
; %bb.940:
	v_cvt_f32_f16_e32 v2, v4
	v_mov_b32_e32 v6, 0x80
	s_mov_b32 s13, exec_lo
	s_delay_alu instid0(VALU_DEP_2) | instskip(NEXT) | instid1(VALU_DEP_1)
	v_and_b32_e32 v3, 0x7fffffff, v2
	v_cmpx_gt_u32_e32 0x43800000, v3
	s_cbranch_execz .LBB160_946
; %bb.941:
	v_cmp_lt_u32_e32 vcc_lo, 0x3bffffff, v3
	s_mov_b32 s14, 0
                                        ; implicit-def: $vgpr3
	s_and_saveexec_b32 s15, vcc_lo
	s_delay_alu instid0(SALU_CYCLE_1)
	s_xor_b32 s15, exec_lo, s15
	s_cbranch_execz .LBB160_1181
; %bb.942:
	v_bfe_u32 v3, v2, 20, 1
	s_mov_b32 s14, exec_lo
	s_delay_alu instid0(VALU_DEP_1) | instskip(NEXT) | instid1(VALU_DEP_1)
	v_add3_u32 v3, v2, v3, 0x487ffff
	v_lshrrev_b32_e32 v3, 20, v3
	s_or_saveexec_b32 s15, s15
                                        ; implicit-def: $sgpr16
	s_delay_alu instid0(SALU_CYCLE_1)
	s_xor_b32 exec_lo, exec_lo, s15
	s_cbranch_execnz .LBB160_1182
.LBB160_943:
	s_or_b32 exec_lo, exec_lo, s15
	v_mov_b32_e32 v6, s16
	s_and_saveexec_b32 s15, s14
.LBB160_944:
	v_lshrrev_b32_e32 v2, 24, v2
	s_delay_alu instid0(VALU_DEP_1)
	v_and_or_b32 v6, 0x80, v2, v3
.LBB160_945:
	s_or_b32 exec_lo, exec_lo, s15
.LBB160_946:
	s_delay_alu instid0(SALU_CYCLE_1)
	s_or_b32 exec_lo, exec_lo, s13
	global_store_b8 v[0:1], v6, off
.LBB160_947:
	s_mov_b32 s13, 0
.LBB160_948:
	s_delay_alu instid0(SALU_CYCLE_1)
	s_and_b32 vcc_lo, exec_lo, s13
	s_mov_b32 s13, 0
	s_cbranch_vccz .LBB160_988
; %bb.949:
	v_cmp_lt_i16_e32 vcc_lo, 22, v5
	s_mov_b32 s14, -1
	s_cbranch_vccz .LBB160_981
; %bb.950:
	v_cmp_gt_i16_e32 vcc_lo, 24, v5
	s_cbranch_vccnz .LBB160_970
; %bb.951:
	v_cmp_lt_i16_e32 vcc_lo, 24, v5
	s_cbranch_vccz .LBB160_959
; %bb.952:
	v_cvt_f32_f16_e32 v2, v4
	v_mov_b32_e32 v6, 0x80
	s_mov_b32 s14, exec_lo
	s_delay_alu instid0(VALU_DEP_2) | instskip(NEXT) | instid1(VALU_DEP_1)
	v_and_b32_e32 v3, 0x7fffffff, v2
	v_cmpx_gt_u32_e32 0x47800000, v3
	s_cbranch_execz .LBB160_958
; %bb.953:
	v_cmp_lt_u32_e32 vcc_lo, 0x37ffffff, v3
	s_mov_b32 s15, 0
                                        ; implicit-def: $vgpr3
	s_and_saveexec_b32 s16, vcc_lo
	s_delay_alu instid0(SALU_CYCLE_1)
	s_xor_b32 s16, exec_lo, s16
	s_cbranch_execz .LBB160_1225
; %bb.954:
	v_bfe_u32 v3, v2, 21, 1
	s_mov_b32 s15, exec_lo
	s_delay_alu instid0(VALU_DEP_1) | instskip(NEXT) | instid1(VALU_DEP_1)
	v_add3_u32 v3, v2, v3, 0x88fffff
	v_lshrrev_b32_e32 v3, 21, v3
	s_or_saveexec_b32 s16, s16
                                        ; implicit-def: $sgpr17
	s_delay_alu instid0(SALU_CYCLE_1)
	s_xor_b32 exec_lo, exec_lo, s16
	s_cbranch_execnz .LBB160_1226
.LBB160_955:
	s_or_b32 exec_lo, exec_lo, s16
	v_mov_b32_e32 v6, s17
	s_and_saveexec_b32 s16, s15
.LBB160_956:
	v_lshrrev_b32_e32 v2, 24, v2
	s_delay_alu instid0(VALU_DEP_1)
	v_and_or_b32 v6, 0x80, v2, v3
.LBB160_957:
	s_or_b32 exec_lo, exec_lo, s16
.LBB160_958:
	s_delay_alu instid0(SALU_CYCLE_1)
	s_or_b32 exec_lo, exec_lo, s14
	s_mov_b32 s14, 0
	global_store_b8 v[0:1], v6, off
.LBB160_959:
	s_and_b32 vcc_lo, exec_lo, s14
	s_cbranch_vccz .LBB160_969
; %bb.960:
	v_cvt_f32_f16_e32 v2, v4
	s_mov_b32 s14, exec_lo
                                        ; implicit-def: $vgpr3
	s_delay_alu instid0(VALU_DEP_1) | instskip(NEXT) | instid1(VALU_DEP_1)
	v_and_b32_e32 v6, 0x7fffffff, v2
	v_cmpx_gt_u32_e32 0x43f00000, v6
	s_xor_b32 s14, exec_lo, s14
	s_cbranch_execz .LBB160_966
; %bb.961:
	s_mov_b32 s15, exec_lo
                                        ; implicit-def: $vgpr3
	v_cmpx_lt_u32_e32 0x3c7fffff, v6
	s_xor_b32 s15, exec_lo, s15
; %bb.962:
	v_bfe_u32 v3, v2, 20, 1
	s_delay_alu instid0(VALU_DEP_1) | instskip(NEXT) | instid1(VALU_DEP_1)
	v_add3_u32 v3, v2, v3, 0x407ffff
	v_and_b32_e32 v6, 0xff00000, v3
	v_lshrrev_b32_e32 v3, 20, v3
	s_delay_alu instid0(VALU_DEP_2) | instskip(NEXT) | instid1(VALU_DEP_2)
	v_cmp_ne_u32_e32 vcc_lo, 0x7f00000, v6
	v_cndmask_b32_e32 v3, 0x7e, v3, vcc_lo
; %bb.963:
	s_and_not1_saveexec_b32 s15, s15
; %bb.964:
	v_add_f32_e64 v3, 0x46800000, |v2|
; %bb.965:
	s_or_b32 exec_lo, exec_lo, s15
                                        ; implicit-def: $vgpr6
.LBB160_966:
	s_and_not1_saveexec_b32 s14, s14
; %bb.967:
	v_mov_b32_e32 v3, 0x7f
	v_cmp_lt_u32_e32 vcc_lo, 0x7f800000, v6
	s_delay_alu instid0(VALU_DEP_2)
	v_cndmask_b32_e32 v3, 0x7e, v3, vcc_lo
; %bb.968:
	s_or_b32 exec_lo, exec_lo, s14
	v_lshrrev_b32_e32 v2, 24, v2
	s_delay_alu instid0(VALU_DEP_1)
	v_and_or_b32 v2, 0x80, v2, v3
	global_store_b8 v[0:1], v2, off
.LBB160_969:
	s_mov_b32 s14, 0
.LBB160_970:
	s_delay_alu instid0(SALU_CYCLE_1)
	s_and_not1_b32 vcc_lo, exec_lo, s14
	s_cbranch_vccnz .LBB160_980
; %bb.971:
	v_cvt_f32_f16_e32 v2, v4
	s_mov_b32 s14, exec_lo
                                        ; implicit-def: $vgpr3
	s_delay_alu instid0(VALU_DEP_1) | instskip(NEXT) | instid1(VALU_DEP_1)
	v_and_b32_e32 v6, 0x7fffffff, v2
	v_cmpx_gt_u32_e32 0x47800000, v6
	s_xor_b32 s14, exec_lo, s14
	s_cbranch_execz .LBB160_977
; %bb.972:
	s_mov_b32 s15, exec_lo
                                        ; implicit-def: $vgpr3
	v_cmpx_lt_u32_e32 0x387fffff, v6
	s_xor_b32 s15, exec_lo, s15
; %bb.973:
	v_bfe_u32 v3, v2, 21, 1
	s_delay_alu instid0(VALU_DEP_1) | instskip(NEXT) | instid1(VALU_DEP_1)
	v_add3_u32 v3, v2, v3, 0x80fffff
	v_lshrrev_b32_e32 v3, 21, v3
; %bb.974:
	s_and_not1_saveexec_b32 s15, s15
; %bb.975:
	v_add_f32_e64 v3, 0x43000000, |v2|
; %bb.976:
	s_or_b32 exec_lo, exec_lo, s15
                                        ; implicit-def: $vgpr6
.LBB160_977:
	s_and_not1_saveexec_b32 s14, s14
; %bb.978:
	v_mov_b32_e32 v3, 0x7f
	v_cmp_lt_u32_e32 vcc_lo, 0x7f800000, v6
	s_delay_alu instid0(VALU_DEP_2)
	v_cndmask_b32_e32 v3, 0x7c, v3, vcc_lo
; %bb.979:
	s_or_b32 exec_lo, exec_lo, s14
	v_lshrrev_b32_e32 v2, 24, v2
	s_delay_alu instid0(VALU_DEP_1)
	v_and_or_b32 v2, 0x80, v2, v3
	global_store_b8 v[0:1], v2, off
.LBB160_980:
	s_mov_b32 s14, 0
.LBB160_981:
	s_delay_alu instid0(SALU_CYCLE_1)
	s_and_not1_b32 vcc_lo, exec_lo, s14
	s_mov_b32 s15, 0
	s_cbranch_vccnz .LBB160_989
; %bb.982:
	v_cmp_lt_i16_e32 vcc_lo, 14, v5
	s_mov_b32 s14, -1
	s_cbranch_vccz .LBB160_986
; %bb.983:
	v_cmp_eq_u16_e32 vcc_lo, 15, v5
	s_mov_b32 s1, -1
	s_cbranch_vccz .LBB160_985
; %bb.984:
	v_cvt_f32_f16_e32 v2, v4
	v_cmp_o_f16_e32 vcc_lo, v4, v4
	s_mov_b32 s1, 0
	s_delay_alu instid0(VALU_DEP_2) | instskip(NEXT) | instid1(VALU_DEP_1)
	v_bfe_u32 v3, v2, 16, 1
	v_add3_u32 v2, v2, v3, 0x7fff
	s_delay_alu instid0(VALU_DEP_1) | instskip(NEXT) | instid1(VALU_DEP_1)
	v_lshrrev_b32_e32 v2, 16, v2
	v_cndmask_b32_e32 v2, 0x7fc0, v2, vcc_lo
	global_store_b16 v[0:1], v2, off
.LBB160_985:
	s_mov_b32 s14, 0
.LBB160_986:
	s_delay_alu instid0(SALU_CYCLE_1)
	s_and_b32 vcc_lo, exec_lo, s14
	s_cbranch_vccz .LBB160_989
; %bb.987:
	v_cmp_ne_u16_e32 vcc_lo, 11, v5
	s_and_not1_b32 s1, s1, exec_lo
	s_mov_b32 s15, -1
	s_and_b32 s14, vcc_lo, exec_lo
	s_delay_alu instid0(SALU_CYCLE_1)
	s_or_b32 s1, s1, s14
	s_branch .LBB160_989
.LBB160_988:
	s_mov_b32 s15, 0
.LBB160_989:
	s_and_b32 s14, s0, exec_lo
	s_and_not1_b32 s0, s10, exec_lo
	s_and_b32 s10, s1, exec_lo
	s_and_b32 s13, s13, exec_lo
	;; [unrolled: 1-line block ×3, first 2 shown]
	s_or_b32 s10, s0, s10
.LBB160_990:
	s_or_b32 exec_lo, exec_lo, s12
	s_and_saveexec_b32 s0, s10
	s_cbranch_execnz .LBB160_1052
; %bb.991:
	s_or_b32 exec_lo, exec_lo, s0
	s_and_saveexec_b32 s0, s1
	s_delay_alu instid0(SALU_CYCLE_1)
	s_xor_b32 s0, exec_lo, s0
	s_cbranch_execz .LBB160_993
.LBB160_992:
	v_cmp_neq_f16_e32 vcc_lo, 0, v7
	s_or_b32 s1, s14, vcc_lo
	s_delay_alu instid0(SALU_CYCLE_1)
	v_cndmask_b32_e64 v2, 0, 1, s1
	global_store_b8 v[0:1], v2, off
.LBB160_993:
	s_or_b32 exec_lo, exec_lo, s0
	s_and_saveexec_b32 s0, s13
	s_delay_alu instid0(SALU_CYCLE_1)
	s_xor_b32 s0, exec_lo, s0
	s_cbranch_execz .LBB160_1031
; %bb.994:
	s_waitcnt vmcnt(0)
	v_cmp_gt_i16_e32 vcc_lo, 5, v5
	s_mov_b32 s1, -1
	s_cbranch_vccnz .LBB160_1015
; %bb.995:
	v_cmp_gt_i16_e32 vcc_lo, 8, v5
	s_cbranch_vccnz .LBB160_1005
; %bb.996:
	v_cmp_gt_i16_e32 vcc_lo, 9, v5
	s_cbranch_vccnz .LBB160_1002
; %bb.997:
	v_cmp_lt_i16_e32 vcc_lo, 9, v5
	s_cbranch_vccz .LBB160_999
; %bb.998:
	v_cvt_f32_f16_e32 v2, v4
	v_mov_b32_e32 v8, 0
	s_mov_b32 s1, 0
	s_delay_alu instid0(VALU_DEP_2) | instskip(NEXT) | instid1(VALU_DEP_2)
	v_cvt_f64_f32_e32 v[6:7], v2
	v_mov_b32_e32 v9, v8
	global_store_b128 v[0:1], v[6:9], off
.LBB160_999:
	s_and_not1_b32 vcc_lo, exec_lo, s1
	s_cbranch_vccnz .LBB160_1001
; %bb.1000:
	v_cvt_f32_f16_e32 v2, v4
	v_mov_b32_e32 v3, 0
	global_store_b64 v[0:1], v[2:3], off
.LBB160_1001:
	s_mov_b32 s1, 0
.LBB160_1002:
	s_delay_alu instid0(SALU_CYCLE_1)
	s_and_not1_b32 vcc_lo, exec_lo, s1
	s_cbranch_vccnz .LBB160_1004
; %bb.1003:
	v_and_b32_e32 v2, 0xffff, v4
	global_store_b32 v[0:1], v2, off
.LBB160_1004:
	s_mov_b32 s1, 0
.LBB160_1005:
	s_delay_alu instid0(SALU_CYCLE_1)
	s_and_not1_b32 vcc_lo, exec_lo, s1
	s_cbranch_vccnz .LBB160_1014
; %bb.1006:
	v_cmp_gt_i16_e32 vcc_lo, 6, v5
	s_mov_b32 s1, -1
	s_cbranch_vccnz .LBB160_1012
; %bb.1007:
	v_cmp_lt_i16_e32 vcc_lo, 6, v5
	s_cbranch_vccz .LBB160_1009
; %bb.1008:
	v_cvt_f32_f16_e32 v2, v4
	s_mov_b32 s1, 0
	s_delay_alu instid0(VALU_DEP_1)
	v_cvt_f64_f32_e32 v[2:3], v2
	global_store_b64 v[0:1], v[2:3], off
.LBB160_1009:
	s_and_not1_b32 vcc_lo, exec_lo, s1
	s_cbranch_vccnz .LBB160_1011
; %bb.1010:
	v_cvt_f32_f16_e32 v2, v4
	global_store_b32 v[0:1], v2, off
.LBB160_1011:
	s_mov_b32 s1, 0
.LBB160_1012:
	s_delay_alu instid0(SALU_CYCLE_1)
	s_and_not1_b32 vcc_lo, exec_lo, s1
	s_cbranch_vccnz .LBB160_1014
; %bb.1013:
	global_store_b16 v[0:1], v4, off
.LBB160_1014:
	s_mov_b32 s1, 0
.LBB160_1015:
	s_delay_alu instid0(SALU_CYCLE_1)
	s_and_not1_b32 vcc_lo, exec_lo, s1
	s_cbranch_vccnz .LBB160_1031
; %bb.1016:
	v_cmp_gt_i16_e32 vcc_lo, 2, v5
	s_mov_b32 s1, -1
	s_cbranch_vccnz .LBB160_1026
; %bb.1017:
	v_cmp_gt_i16_e32 vcc_lo, 3, v5
	s_cbranch_vccnz .LBB160_1023
; %bb.1018:
	v_cmp_lt_i16_e32 vcc_lo, 3, v5
	s_cbranch_vccz .LBB160_1020
; %bb.1019:
	v_cvt_f32_f16_e32 v2, v4
	s_mov_b32 s1, 0
	s_delay_alu instid0(VALU_DEP_1) | instskip(NEXT) | instid1(VALU_DEP_1)
	v_cvt_i32_f32_e32 v2, v2
	v_ashrrev_i32_e32 v3, 31, v2
	global_store_b64 v[0:1], v[2:3], off
.LBB160_1020:
	s_and_not1_b32 vcc_lo, exec_lo, s1
	s_cbranch_vccnz .LBB160_1022
; %bb.1021:
	v_cvt_f32_f16_e32 v2, v4
	s_delay_alu instid0(VALU_DEP_1)
	v_cvt_i32_f32_e32 v2, v2
	global_store_b32 v[0:1], v2, off
.LBB160_1022:
	s_mov_b32 s1, 0
.LBB160_1023:
	s_delay_alu instid0(SALU_CYCLE_1)
	s_and_not1_b32 vcc_lo, exec_lo, s1
	s_cbranch_vccnz .LBB160_1025
; %bb.1024:
	v_cvt_i16_f16_e32 v2, v4
	global_store_b16 v[0:1], v2, off
.LBB160_1025:
	s_mov_b32 s1, 0
.LBB160_1026:
	s_delay_alu instid0(SALU_CYCLE_1)
	s_and_not1_b32 vcc_lo, exec_lo, s1
	s_cbranch_vccnz .LBB160_1031
; %bb.1027:
	v_cmp_lt_i16_e32 vcc_lo, 0, v5
	s_mov_b32 s1, -1
	s_cbranch_vccz .LBB160_1029
; %bb.1028:
	v_cvt_i16_f16_e32 v2, v4
	s_mov_b32 s1, 0
	global_store_b8 v[0:1], v2, off
.LBB160_1029:
	s_and_not1_b32 vcc_lo, exec_lo, s1
	s_cbranch_vccnz .LBB160_1031
; %bb.1030:
	v_cvt_f32_f16_e32 v2, v4
	s_delay_alu instid0(VALU_DEP_1)
	v_cvt_i32_f32_e32 v2, v2
	global_store_b8 v[0:1], v2, off
.LBB160_1031:
	s_or_b32 exec_lo, exec_lo, s0
	s_delay_alu instid0(SALU_CYCLE_1)
	s_and_b32 s10, s11, exec_lo
                                        ; implicit-def: $vgpr3
                                        ; implicit-def: $vgpr4
                                        ; implicit-def: $vgpr2
.LBB160_1032:
	s_or_saveexec_b32 s9, s9
	s_mov_b32 s0, 0
                                        ; implicit-def: $sgpr1
                                        ; implicit-def: $vgpr5
                                        ; implicit-def: $vgpr0_vgpr1
                                        ; implicit-def: $vgpr6
                                        ; implicit-def: $vgpr7
	s_xor_b32 exec_lo, exec_lo, s9
	s_cbranch_execz .LBB160_1997
; %bb.1033:
	s_waitcnt vmcnt(0)
	v_mul_lo_u32 v5, s3, v3
	v_cmp_gt_i16_e32 vcc_lo, 11, v4
	s_delay_alu instid0(VALU_DEP_2) | instskip(SKIP_1) | instid1(VALU_DEP_1)
	v_ashrrev_i32_e32 v1, 31, v5
	v_add_co_u32 v0, s0, s6, v5
	v_add_co_ci_u32_e64 v1, s0, s7, v1, s0
	s_cbranch_vccnz .LBB160_1040
; %bb.1034:
	v_cmp_lt_i16_e32 vcc_lo, 25, v4
	s_mov_b32 s1, 0
	s_cbranch_vccz .LBB160_1046
; %bb.1035:
	v_cmp_lt_i16_e32 vcc_lo, 28, v4
	s_cbranch_vccz .LBB160_1048
; %bb.1036:
	v_cmp_lt_i16_e32 vcc_lo, 43, v4
	;; [unrolled: 3-line block ×3, first 2 shown]
	s_cbranch_vccz .LBB160_1054
; %bb.1038:
	v_cmp_eq_u16_e32 vcc_lo, 46, v4
	s_cbranch_vccz .LBB160_1094
; %bb.1039:
	global_load_b32 v6, v[0:1], off
	s_mov_b32 s0, 0
	s_mov_b32 s11, -1
	s_waitcnt vmcnt(0)
	v_lshlrev_b32_e32 v6, 16, v6
	s_delay_alu instid0(VALU_DEP_1)
	v_cvt_f16_f32_e32 v9, v6
	s_branch .LBB160_1096
.LBB160_1040:
	s_mov_b32 s11, 0
	s_mov_b32 s8, s10
                                        ; implicit-def: $vgpr9
	s_cbranch_execz .LBB160_1159
; %bb.1041:
	v_cmp_gt_i16_e32 vcc_lo, 5, v4
	s_cbranch_vccnz .LBB160_1047
; %bb.1042:
	v_cmp_gt_i16_e32 vcc_lo, 8, v4
	s_cbranch_vccnz .LBB160_1049
	;; [unrolled: 3-line block ×3, first 2 shown]
; %bb.1044:
	v_cmp_lt_i16_e32 vcc_lo, 9, v4
	s_cbranch_vccz .LBB160_1055
; %bb.1045:
	global_load_b64 v[6:7], v[0:1], off
	s_mov_b32 s0, 0
	s_waitcnt vmcnt(0)
	v_cvt_f32_f64_e32 v6, v[6:7]
	s_delay_alu instid0(VALU_DEP_1)
	v_cvt_f16_f32_e32 v9, v6
	s_branch .LBB160_1056
.LBB160_1046:
	s_mov_b32 s11, 0
	s_mov_b32 s0, 0
                                        ; implicit-def: $vgpr9
	s_cbranch_execnz .LBB160_1124
	s_branch .LBB160_1155
.LBB160_1047:
                                        ; implicit-def: $vgpr9
	s_branch .LBB160_1073
.LBB160_1048:
	s_mov_b32 s8, -1
	s_mov_b32 s11, 0
	s_mov_b32 s0, 0
                                        ; implicit-def: $vgpr9
	s_branch .LBB160_1105
.LBB160_1049:
                                        ; implicit-def: $vgpr9
	s_branch .LBB160_1062
.LBB160_1050:
	s_mov_b32 s11, 0
	s_mov_b32 s0, 0
                                        ; implicit-def: $vgpr9
	s_cbranch_execnz .LBB160_1101
	s_branch .LBB160_1104
.LBB160_1051:
	s_mov_b32 s0, -1
                                        ; implicit-def: $vgpr9
	s_branch .LBB160_1059
.LBB160_1052:
	s_cbranch_execnz .LBB160_1092
; %bb.1053:
	s_or_b32 s11, s11, exec_lo
	s_and_not1_b32 s1, s1, exec_lo
	s_or_b32 exec_lo, exec_lo, s0
	s_and_saveexec_b32 s0, s1
	s_delay_alu instid0(SALU_CYCLE_1)
	s_xor_b32 s0, exec_lo, s0
	s_cbranch_execnz .LBB160_992
	s_branch .LBB160_993
.LBB160_1054:
	s_mov_b32 s8, -1
	s_mov_b32 s11, 0
	s_mov_b32 s0, 0
	s_branch .LBB160_1095
.LBB160_1055:
	s_mov_b32 s0, -1
                                        ; implicit-def: $vgpr9
.LBB160_1056:
	s_delay_alu instid0(SALU_CYCLE_1)
	s_and_not1_b32 vcc_lo, exec_lo, s0
	s_cbranch_vccnz .LBB160_1058
; %bb.1057:
	global_load_b32 v6, v[0:1], off
	s_waitcnt vmcnt(0)
	v_cvt_f16_f32_e32 v9, v6
.LBB160_1058:
	s_mov_b32 s0, 0
.LBB160_1059:
	s_delay_alu instid0(SALU_CYCLE_1)
	s_and_not1_b32 vcc_lo, exec_lo, s0
	s_cbranch_vccnz .LBB160_1061
; %bb.1060:
	global_load_b32 v9, v[0:1], off
.LBB160_1061:
	s_cbranch_execnz .LBB160_1072
.LBB160_1062:
	v_cmp_gt_i16_e32 vcc_lo, 6, v4
	s_cbranch_vccnz .LBB160_1065
; %bb.1063:
	v_cmp_lt_i16_e32 vcc_lo, 6, v4
	s_cbranch_vccz .LBB160_1066
; %bb.1064:
	global_load_b64 v[6:7], v[0:1], off
	s_mov_b32 s0, 0
	s_waitcnt vmcnt(0)
	v_cvt_f32_f64_e32 v6, v[6:7]
	s_delay_alu instid0(VALU_DEP_1)
	v_cvt_f16_f32_e32 v9, v6
	s_branch .LBB160_1067
.LBB160_1065:
	s_mov_b32 s0, -1
                                        ; implicit-def: $vgpr9
	s_branch .LBB160_1070
.LBB160_1066:
	s_mov_b32 s0, -1
                                        ; implicit-def: $vgpr9
.LBB160_1067:
	s_delay_alu instid0(SALU_CYCLE_1)
	s_and_not1_b32 vcc_lo, exec_lo, s0
	s_cbranch_vccnz .LBB160_1069
; %bb.1068:
	global_load_b32 v6, v[0:1], off
	s_waitcnt vmcnt(0)
	v_cvt_f16_f32_e32 v9, v6
.LBB160_1069:
	s_mov_b32 s0, 0
.LBB160_1070:
	s_delay_alu instid0(SALU_CYCLE_1)
	s_and_not1_b32 vcc_lo, exec_lo, s0
	s_cbranch_vccnz .LBB160_1072
; %bb.1071:
	global_load_u16 v9, v[0:1], off
.LBB160_1072:
	s_cbranch_execnz .LBB160_1091
.LBB160_1073:
	v_cmp_gt_i16_e32 vcc_lo, 2, v4
	s_cbranch_vccnz .LBB160_1077
; %bb.1074:
	v_cmp_gt_i16_e32 vcc_lo, 3, v4
	s_cbranch_vccnz .LBB160_1078
; %bb.1075:
	v_cmp_lt_i16_e32 vcc_lo, 3, v4
	s_cbranch_vccz .LBB160_1079
; %bb.1076:
	global_load_b64 v[6:7], v[0:1], off
	s_mov_b32 s0, 0
	s_waitcnt vmcnt(0)
	v_xor_b32_e32 v8, v6, v7
	v_cls_i32_e32 v9, v7
	s_delay_alu instid0(VALU_DEP_2) | instskip(NEXT) | instid1(VALU_DEP_2)
	v_ashrrev_i32_e32 v8, 31, v8
	v_add_nc_u32_e32 v9, -1, v9
	s_delay_alu instid0(VALU_DEP_2) | instskip(NEXT) | instid1(VALU_DEP_1)
	v_add_nc_u32_e32 v8, 32, v8
	v_min_u32_e32 v8, v9, v8
	s_delay_alu instid0(VALU_DEP_1) | instskip(NEXT) | instid1(VALU_DEP_1)
	v_lshlrev_b64 v[6:7], v8, v[6:7]
	v_min_u32_e32 v6, 1, v6
	s_delay_alu instid0(VALU_DEP_1) | instskip(SKIP_1) | instid1(VALU_DEP_2)
	v_or_b32_e32 v6, v7, v6
	v_sub_nc_u32_e32 v7, 32, v8
	v_cvt_f32_i32_e32 v6, v6
	s_delay_alu instid0(VALU_DEP_1) | instskip(NEXT) | instid1(VALU_DEP_1)
	v_ldexp_f32 v6, v6, v7
	v_cvt_f16_f32_e32 v9, v6
	s_branch .LBB160_1080
.LBB160_1077:
                                        ; implicit-def: $vgpr9
	s_branch .LBB160_1086
.LBB160_1078:
	s_mov_b32 s0, -1
                                        ; implicit-def: $vgpr9
	s_branch .LBB160_1083
.LBB160_1079:
	s_mov_b32 s0, -1
                                        ; implicit-def: $vgpr9
.LBB160_1080:
	s_delay_alu instid0(SALU_CYCLE_1)
	s_and_not1_b32 vcc_lo, exec_lo, s0
	s_cbranch_vccnz .LBB160_1082
; %bb.1081:
	global_load_b32 v6, v[0:1], off
	s_waitcnt vmcnt(0)
	v_cvt_f32_i32_e32 v6, v6
	s_delay_alu instid0(VALU_DEP_1)
	v_cvt_f16_f32_e32 v9, v6
.LBB160_1082:
	s_mov_b32 s0, 0
.LBB160_1083:
	s_delay_alu instid0(SALU_CYCLE_1)
	s_and_not1_b32 vcc_lo, exec_lo, s0
	s_cbranch_vccnz .LBB160_1085
; %bb.1084:
	global_load_u16 v6, v[0:1], off
	s_waitcnt vmcnt(0)
	v_cvt_f16_i16_e32 v9, v6
.LBB160_1085:
	s_cbranch_execnz .LBB160_1091
.LBB160_1086:
	v_cmp_lt_i16_e32 vcc_lo, 0, v4
	s_mov_b32 s0, 0
	s_cbranch_vccz .LBB160_1088
; %bb.1087:
	global_load_i8 v6, v[0:1], off
	s_waitcnt vmcnt(0)
	v_cvt_f16_i16_e32 v9, v6
	s_branch .LBB160_1089
.LBB160_1088:
	s_mov_b32 s0, -1
                                        ; implicit-def: $vgpr9
.LBB160_1089:
	s_delay_alu instid0(SALU_CYCLE_1)
	s_and_not1_b32 vcc_lo, exec_lo, s0
	s_cbranch_vccnz .LBB160_1091
; %bb.1090:
	global_load_u8 v0, v[0:1], off
	s_waitcnt vmcnt(0)
	v_cvt_f16_u16_e32 v9, v0
.LBB160_1091:
	s_branch .LBB160_1160
.LBB160_1092:
	s_trap 2
	s_sendmsg_rtn_b32 s0, sendmsg(MSG_RTN_GET_DOORBELL)
	s_mov_b32 ttmp2, m0
	s_waitcnt lgkmcnt(0)
	s_and_b32 s0, s0, 0x3ff
	s_delay_alu instid0(SALU_CYCLE_1) | instskip(NEXT) | instid1(SALU_CYCLE_1)
	s_bitset1_b32 s0, 10
	s_mov_b32 m0, s0
	s_sendmsg sendmsg(MSG_INTERRUPT)
	s_mov_b32 m0, ttmp2
.LBB160_1093:                           ; =>This Inner Loop Header: Depth=1
	s_sethalt 5
	s_branch .LBB160_1093
.LBB160_1094:
	s_mov_b32 s0, -1
	s_mov_b32 s11, 0
.LBB160_1095:
                                        ; implicit-def: $vgpr9
.LBB160_1096:
	s_and_b32 vcc_lo, exec_lo, s8
	s_cbranch_vccz .LBB160_1099
; %bb.1097:
	v_cmp_eq_u16_e32 vcc_lo, 44, v4
	s_cbranch_vccz .LBB160_1100
; %bb.1098:
	global_load_u8 v6, v[0:1], off
	s_mov_b32 s0, 0
	s_mov_b32 s11, -1
	s_waitcnt vmcnt(0)
	v_lshlrev_b32_e32 v7, 23, v6
	v_cmp_ne_u32_e32 vcc_lo, 0xff, v6
	s_delay_alu instid0(VALU_DEP_2) | instskip(NEXT) | instid1(VALU_DEP_1)
	v_cvt_f16_f32_e32 v7, v7
	v_cndmask_b32_e32 v7, 0x7e00, v7, vcc_lo
	v_cmp_ne_u32_e32 vcc_lo, 0, v6
	s_delay_alu instid0(VALU_DEP_2)
	v_cndmask_b32_e32 v9, 0, v7, vcc_lo
.LBB160_1099:
	s_branch .LBB160_1104
.LBB160_1100:
	s_mov_b32 s0, -1
                                        ; implicit-def: $vgpr9
	s_branch .LBB160_1104
.LBB160_1101:
	v_cmp_eq_u16_e32 vcc_lo, 29, v4
	s_cbranch_vccz .LBB160_1103
; %bb.1102:
	global_load_b64 v[6:7], v[0:1], off
	s_mov_b32 s0, 0
	s_mov_b32 s11, -1
	s_mov_b32 s8, 0
	s_waitcnt vmcnt(0)
	v_clz_i32_u32_e32 v8, v7
	s_delay_alu instid0(VALU_DEP_1) | instskip(NEXT) | instid1(VALU_DEP_1)
	v_min_u32_e32 v8, 32, v8
	v_lshlrev_b64 v[6:7], v8, v[6:7]
	s_delay_alu instid0(VALU_DEP_1) | instskip(NEXT) | instid1(VALU_DEP_1)
	v_min_u32_e32 v6, 1, v6
	v_or_b32_e32 v6, v7, v6
	v_sub_nc_u32_e32 v7, 32, v8
	s_delay_alu instid0(VALU_DEP_2) | instskip(NEXT) | instid1(VALU_DEP_1)
	v_cvt_f32_u32_e32 v6, v6
	v_ldexp_f32 v6, v6, v7
	s_delay_alu instid0(VALU_DEP_1)
	v_cvt_f16_f32_e32 v9, v6
	s_branch .LBB160_1105
.LBB160_1103:
	s_mov_b32 s0, -1
                                        ; implicit-def: $vgpr9
.LBB160_1104:
	s_mov_b32 s8, 0
.LBB160_1105:
	s_delay_alu instid0(SALU_CYCLE_1)
	s_and_b32 vcc_lo, exec_lo, s8
	s_cbranch_vccz .LBB160_1123
; %bb.1106:
	v_cmp_gt_i16_e32 vcc_lo, 27, v4
	s_cbranch_vccnz .LBB160_1109
; %bb.1107:
	v_cmp_lt_i16_e32 vcc_lo, 27, v4
	s_cbranch_vccz .LBB160_1110
; %bb.1108:
	global_load_b32 v6, v[0:1], off
	s_mov_b32 s8, 0
	s_waitcnt vmcnt(0)
	v_cvt_f32_u32_e32 v6, v6
	s_delay_alu instid0(VALU_DEP_1)
	v_cvt_f16_f32_e32 v9, v6
	s_branch .LBB160_1111
.LBB160_1109:
	s_mov_b32 s8, -1
                                        ; implicit-def: $vgpr9
	s_branch .LBB160_1114
.LBB160_1110:
	s_mov_b32 s8, -1
                                        ; implicit-def: $vgpr9
.LBB160_1111:
	s_delay_alu instid0(SALU_CYCLE_1)
	s_and_not1_b32 vcc_lo, exec_lo, s8
	s_cbranch_vccnz .LBB160_1113
; %bb.1112:
	global_load_u16 v6, v[0:1], off
	s_waitcnt vmcnt(0)
	v_cvt_f16_u16_e32 v9, v6
.LBB160_1113:
	s_mov_b32 s8, 0
.LBB160_1114:
	s_delay_alu instid0(SALU_CYCLE_1)
	s_and_not1_b32 vcc_lo, exec_lo, s8
	s_cbranch_vccnz .LBB160_1122
; %bb.1115:
	global_load_u8 v6, v[0:1], off
	s_mov_b32 s8, 0
	s_mov_b32 s12, exec_lo
                                        ; implicit-def: $sgpr11
	s_waitcnt vmcnt(0)
	v_cmpx_lt_i16_e32 0x7f, v6
	s_xor_b32 s12, exec_lo, s12
	s_cbranch_execz .LBB160_1135
; %bb.1116:
	s_mov_b32 s8, -1
	s_mov_b32 s13, exec_lo
                                        ; implicit-def: $sgpr11
	v_cmpx_eq_u16_e32 0x80, v6
; %bb.1117:
	s_movk_i32 s11, 0x7e00
	s_xor_b32 s8, exec_lo, -1
; %bb.1118:
	s_or_b32 exec_lo, exec_lo, s13
	s_delay_alu instid0(SALU_CYCLE_1)
	s_and_b32 s8, s8, exec_lo
	s_or_saveexec_b32 s12, s12
	v_mov_b32_e32 v9, s11
	s_xor_b32 exec_lo, exec_lo, s12
	s_cbranch_execnz .LBB160_1136
.LBB160_1119:
	s_or_b32 exec_lo, exec_lo, s12
	s_and_saveexec_b32 s11, s8
	s_cbranch_execz .LBB160_1121
.LBB160_1120:
	v_and_b32_e32 v7, 0xffff, v6
	v_lshlrev_b32_e32 v6, 24, v6
	s_delay_alu instid0(VALU_DEP_2) | instskip(NEXT) | instid1(VALU_DEP_2)
	v_and_b32_e32 v8, 7, v7
	v_and_b32_e32 v6, 0x80000000, v6
	s_delay_alu instid0(VALU_DEP_2) | instskip(NEXT) | instid1(VALU_DEP_1)
	v_clz_i32_u32_e32 v9, v8
	v_min_u32_e32 v9, 32, v9
	s_delay_alu instid0(VALU_DEP_1) | instskip(SKIP_1) | instid1(VALU_DEP_2)
	v_subrev_nc_u32_e32 v10, 28, v9
	v_sub_nc_u32_e32 v9, 29, v9
	v_lshlrev_b32_e32 v10, v10, v7
	v_bfe_u32 v7, v7, 3, 4
	s_delay_alu instid0(VALU_DEP_2) | instskip(NEXT) | instid1(VALU_DEP_2)
	v_and_b32_e32 v10, 7, v10
	v_cmp_eq_u32_e32 vcc_lo, 0, v7
	s_delay_alu instid0(VALU_DEP_2) | instskip(NEXT) | instid1(VALU_DEP_1)
	v_dual_cndmask_b32 v7, v7, v9 :: v_dual_cndmask_b32 v8, v8, v10
	v_lshl_add_u32 v7, v7, 23, 0x3b800000
	s_delay_alu instid0(VALU_DEP_2) | instskip(NEXT) | instid1(VALU_DEP_1)
	v_lshlrev_b32_e32 v8, 20, v8
	v_or3_b32 v6, v6, v7, v8
	s_delay_alu instid0(VALU_DEP_1)
	v_cvt_f16_f32_e32 v9, v6
.LBB160_1121:
	s_or_b32 exec_lo, exec_lo, s11
.LBB160_1122:
	s_mov_b32 s11, -1
.LBB160_1123:
	s_branch .LBB160_1155
.LBB160_1124:
	v_cmp_lt_i16_e32 vcc_lo, 22, v4
	s_cbranch_vccz .LBB160_1134
; %bb.1125:
	v_cmp_gt_i16_e32 vcc_lo, 24, v4
	s_cbranch_vccnz .LBB160_1137
; %bb.1126:
	v_cmp_lt_i16_e32 vcc_lo, 24, v4
	s_cbranch_vccz .LBB160_1138
; %bb.1127:
	global_load_u8 v6, v[0:1], off
	s_mov_b32 s11, exec_lo
                                        ; implicit-def: $sgpr8
	s_waitcnt vmcnt(0)
	v_cmpx_lt_i16_e32 0x7f, v6
	s_xor_b32 s11, exec_lo, s11
	s_cbranch_execz .LBB160_1149
; %bb.1128:
	s_mov_b32 s1, -1
	s_mov_b32 s12, exec_lo
                                        ; implicit-def: $sgpr8
	v_cmpx_eq_u16_e32 0x80, v6
; %bb.1129:
	s_movk_i32 s8, 0x7e00
	s_xor_b32 s1, exec_lo, -1
; %bb.1130:
	s_or_b32 exec_lo, exec_lo, s12
	s_delay_alu instid0(SALU_CYCLE_1)
	s_and_b32 s1, s1, exec_lo
	s_or_saveexec_b32 s11, s11
	v_mov_b32_e32 v9, s8
	s_xor_b32 exec_lo, exec_lo, s11
	s_cbranch_execnz .LBB160_1150
.LBB160_1131:
	s_or_b32 exec_lo, exec_lo, s11
	s_and_saveexec_b32 s8, s1
	s_cbranch_execz .LBB160_1133
.LBB160_1132:
	v_and_b32_e32 v7, 0xffff, v6
	v_lshlrev_b32_e32 v6, 24, v6
	s_delay_alu instid0(VALU_DEP_2) | instskip(NEXT) | instid1(VALU_DEP_2)
	v_and_b32_e32 v8, 3, v7
	v_and_b32_e32 v6, 0x80000000, v6
	s_delay_alu instid0(VALU_DEP_2) | instskip(NEXT) | instid1(VALU_DEP_1)
	v_clz_i32_u32_e32 v9, v8
	v_min_u32_e32 v9, 32, v9
	s_delay_alu instid0(VALU_DEP_1) | instskip(SKIP_1) | instid1(VALU_DEP_2)
	v_subrev_nc_u32_e32 v10, 29, v9
	v_sub_nc_u32_e32 v9, 30, v9
	v_lshlrev_b32_e32 v10, v10, v7
	v_bfe_u32 v7, v7, 2, 5
	s_delay_alu instid0(VALU_DEP_2) | instskip(NEXT) | instid1(VALU_DEP_2)
	v_and_b32_e32 v10, 3, v10
	v_cmp_eq_u32_e32 vcc_lo, 0, v7
	s_delay_alu instid0(VALU_DEP_2) | instskip(NEXT) | instid1(VALU_DEP_1)
	v_dual_cndmask_b32 v7, v7, v9 :: v_dual_cndmask_b32 v8, v8, v10
	v_lshl_add_u32 v7, v7, 23, 0x37800000
	s_delay_alu instid0(VALU_DEP_2) | instskip(NEXT) | instid1(VALU_DEP_1)
	v_lshlrev_b32_e32 v8, 21, v8
	v_or3_b32 v6, v6, v7, v8
	s_delay_alu instid0(VALU_DEP_1)
	v_cvt_f16_f32_e32 v9, v6
.LBB160_1133:
	s_or_b32 exec_lo, exec_lo, s8
	s_mov_b32 s1, 0
	s_branch .LBB160_1139
.LBB160_1134:
                                        ; implicit-def: $vgpr9
	s_mov_b32 s1, 0
	s_branch .LBB160_1145
.LBB160_1135:
	s_or_saveexec_b32 s12, s12
	v_mov_b32_e32 v9, s11
	s_xor_b32 exec_lo, exec_lo, s12
	s_cbranch_execz .LBB160_1119
.LBB160_1136:
	v_cmp_ne_u16_e32 vcc_lo, 0, v6
	v_mov_b32_e32 v9, v6
	s_and_not1_b32 s8, s8, exec_lo
	s_and_b32 s11, vcc_lo, exec_lo
	s_delay_alu instid0(SALU_CYCLE_1)
	s_or_b32 s8, s8, s11
	s_or_b32 exec_lo, exec_lo, s12
	s_and_saveexec_b32 s11, s8
	s_cbranch_execnz .LBB160_1120
	s_branch .LBB160_1121
.LBB160_1137:
	s_mov_b32 s1, -1
                                        ; implicit-def: $vgpr9
	s_branch .LBB160_1142
.LBB160_1138:
	s_mov_b32 s1, -1
                                        ; implicit-def: $vgpr9
.LBB160_1139:
	s_delay_alu instid0(SALU_CYCLE_1)
	s_and_b32 vcc_lo, exec_lo, s1
	s_cbranch_vccz .LBB160_1141
; %bb.1140:
	global_load_u8 v6, v[0:1], off
	s_waitcnt vmcnt(0)
	v_lshlrev_b32_e32 v6, 24, v6
	s_delay_alu instid0(VALU_DEP_1) | instskip(NEXT) | instid1(VALU_DEP_1)
	v_and_b32_e32 v7, 0x7f000000, v6
	v_clz_i32_u32_e32 v8, v7
	v_add_nc_u32_e32 v10, 0x1000000, v7
	v_cmp_ne_u32_e32 vcc_lo, 0, v7
	s_delay_alu instid0(VALU_DEP_3) | instskip(NEXT) | instid1(VALU_DEP_1)
	v_min_u32_e32 v8, 32, v8
	v_sub_nc_u32_e64 v8, v8, 4 clamp
	s_delay_alu instid0(VALU_DEP_1) | instskip(SKIP_1) | instid1(VALU_DEP_2)
	v_lshlrev_b32_e32 v9, v8, v7
	v_lshlrev_b32_e32 v8, 23, v8
	v_lshrrev_b32_e32 v9, 4, v9
	s_delay_alu instid0(VALU_DEP_1) | instskip(SKIP_1) | instid1(VALU_DEP_2)
	v_sub_nc_u32_e32 v8, v9, v8
	v_ashrrev_i32_e32 v9, 8, v10
	v_add_nc_u32_e32 v8, 0x3c000000, v8
	s_delay_alu instid0(VALU_DEP_1) | instskip(NEXT) | instid1(VALU_DEP_1)
	v_and_or_b32 v8, 0x7f800000, v9, v8
	v_cndmask_b32_e32 v7, 0, v8, vcc_lo
	s_delay_alu instid0(VALU_DEP_1) | instskip(NEXT) | instid1(VALU_DEP_1)
	v_and_or_b32 v6, 0x80000000, v6, v7
	v_cvt_f16_f32_e32 v9, v6
.LBB160_1141:
	s_mov_b32 s1, 0
.LBB160_1142:
	s_delay_alu instid0(SALU_CYCLE_1)
	s_and_not1_b32 vcc_lo, exec_lo, s1
	s_cbranch_vccnz .LBB160_1144
; %bb.1143:
	global_load_u8 v6, v[0:1], off
	s_waitcnt vmcnt(0)
	v_lshlrev_b32_e32 v7, 25, v6
	v_lshlrev_b16 v6, 8, v6
	s_delay_alu instid0(VALU_DEP_2) | instskip(NEXT) | instid1(VALU_DEP_2)
	v_lshrrev_b32_e32 v8, 4, v7
	v_and_or_b32 v9, 0x7f00, v6, 0.5
	v_bfe_i32 v6, v6, 0, 16
	s_delay_alu instid0(VALU_DEP_3) | instskip(NEXT) | instid1(VALU_DEP_1)
	v_or_b32_e32 v8, 0x70000000, v8
	v_dual_add_f32 v9, -0.5, v9 :: v_dual_mul_f32 v8, 0x7800000, v8
	v_cmp_gt_u32_e32 vcc_lo, 0x8000000, v7
	s_delay_alu instid0(VALU_DEP_2) | instskip(NEXT) | instid1(VALU_DEP_1)
	v_cndmask_b32_e32 v7, v8, v9, vcc_lo
	v_and_or_b32 v6, 0x80000000, v6, v7
	s_delay_alu instid0(VALU_DEP_1)
	v_cvt_f16_f32_e32 v9, v6
.LBB160_1144:
	s_mov_b32 s11, -1
	s_mov_b32 s1, 0
	s_cbranch_execnz .LBB160_1155
.LBB160_1145:
	v_cmp_lt_i16_e32 vcc_lo, 14, v4
	s_cbranch_vccz .LBB160_1148
; %bb.1146:
	v_cmp_eq_u16_e32 vcc_lo, 15, v4
	s_cbranch_vccz .LBB160_1151
; %bb.1147:
	global_load_u16 v6, v[0:1], off
	s_mov_b32 s0, 0
	s_mov_b32 s11, -1
	s_waitcnt vmcnt(0)
	v_lshlrev_b32_e32 v6, 16, v6
	s_delay_alu instid0(VALU_DEP_1)
	v_cvt_f16_f32_e32 v9, v6
	s_branch .LBB160_1153
.LBB160_1148:
	s_mov_b32 s1, -1
	s_branch .LBB160_1152
.LBB160_1149:
	s_or_saveexec_b32 s11, s11
	v_mov_b32_e32 v9, s8
	s_xor_b32 exec_lo, exec_lo, s11
	s_cbranch_execz .LBB160_1131
.LBB160_1150:
	v_cmp_ne_u16_e32 vcc_lo, 0, v6
	v_mov_b32_e32 v9, v6
	s_and_not1_b32 s1, s1, exec_lo
	s_and_b32 s8, vcc_lo, exec_lo
	s_delay_alu instid0(SALU_CYCLE_1)
	s_or_b32 s1, s1, s8
	s_or_b32 exec_lo, exec_lo, s11
	s_and_saveexec_b32 s8, s1
	s_cbranch_execnz .LBB160_1132
	s_branch .LBB160_1133
.LBB160_1151:
	s_mov_b32 s0, -1
.LBB160_1152:
                                        ; implicit-def: $vgpr9
.LBB160_1153:
	s_and_b32 vcc_lo, exec_lo, s1
	s_mov_b32 s1, 0
	s_cbranch_vccz .LBB160_1155
; %bb.1154:
	v_cmp_ne_u16_e64 s0, 11, v4
	s_mov_b32 s1, -1
                                        ; implicit-def: $vgpr9
.LBB160_1155:
	s_delay_alu instid0(VALU_DEP_1)
	s_and_b32 vcc_lo, exec_lo, s0
	s_mov_b32 s8, s10
	s_cbranch_vccnz .LBB160_1179
; %bb.1156:
	s_and_not1_b32 vcc_lo, exec_lo, s1
	s_cbranch_vccnz .LBB160_1158
.LBB160_1157:
	global_load_u8 v6, v[0:1], off
	s_mov_b32 s11, -1
	s_waitcnt vmcnt(0)
	v_cmp_ne_u16_e32 vcc_lo, 0, v6
	v_cndmask_b32_e64 v9, 0, 0x3c00, vcc_lo
.LBB160_1158:
.LBB160_1159:
	s_and_not1_b32 vcc_lo, exec_lo, s11
	s_cbranch_vccnz .LBB160_1995
.LBB160_1160:
	s_lshl_b32 s1, s3, 7
	v_cmp_gt_i16_e32 vcc_lo, 11, v4
	v_add_nc_u32_e32 v5, s1, v5
	s_delay_alu instid0(VALU_DEP_1) | instskip(SKIP_1) | instid1(VALU_DEP_1)
	v_ashrrev_i32_e32 v1, 31, v5
	v_add_co_u32 v0, s0, s6, v5
	v_add_co_ci_u32_e64 v1, s0, s7, v1, s0
	s_cbranch_vccnz .LBB160_1167
; %bb.1161:
	v_cmp_lt_i16_e32 vcc_lo, 25, v4
	s_mov_b32 s3, 0
	s_cbranch_vccz .LBB160_1173
; %bb.1162:
	v_cmp_lt_i16_e32 vcc_lo, 28, v4
	s_cbranch_vccz .LBB160_1175
; %bb.1163:
	v_cmp_lt_i16_e32 vcc_lo, 43, v4
	;; [unrolled: 3-line block ×3, first 2 shown]
	s_cbranch_vccz .LBB160_1183
; %bb.1165:
	v_cmp_eq_u16_e32 vcc_lo, 46, v4
	s_mov_b32 s12, 0
	s_cbranch_vccz .LBB160_1227
; %bb.1166:
	global_load_b32 v6, v[0:1], off
	s_mov_b32 s0, 0
	s_mov_b32 s11, -1
	s_waitcnt vmcnt(0)
	v_lshlrev_b32_e32 v6, 16, v6
	s_delay_alu instid0(VALU_DEP_1)
	v_cvt_f16_f32_e32 v6, v6
	s_branch .LBB160_1229
.LBB160_1167:
	s_mov_b32 s11, 0
                                        ; implicit-def: $vgpr6
	s_cbranch_execz .LBB160_1294
; %bb.1168:
	v_cmp_gt_i16_e32 vcc_lo, 5, v4
	s_cbranch_vccnz .LBB160_1174
; %bb.1169:
	v_cmp_gt_i16_e32 vcc_lo, 8, v4
	s_cbranch_vccnz .LBB160_1176
	;; [unrolled: 3-line block ×3, first 2 shown]
; %bb.1171:
	v_cmp_lt_i16_e32 vcc_lo, 9, v4
	s_cbranch_vccz .LBB160_1184
; %bb.1172:
	global_load_b64 v[6:7], v[0:1], off
	s_mov_b32 s0, 0
	s_waitcnt vmcnt(0)
	v_cvt_f32_f64_e32 v6, v[6:7]
	s_delay_alu instid0(VALU_DEP_1)
	v_cvt_f16_f32_e32 v6, v6
	s_branch .LBB160_1185
.LBB160_1173:
	s_mov_b32 s11, 0
	s_mov_b32 s0, 0
                                        ; implicit-def: $vgpr6
	s_cbranch_execnz .LBB160_1258
	s_branch .LBB160_1290
.LBB160_1174:
                                        ; implicit-def: $vgpr6
	s_branch .LBB160_1203
.LBB160_1175:
	s_mov_b32 s12, -1
	s_mov_b32 s11, 0
	s_mov_b32 s0, 0
                                        ; implicit-def: $vgpr6
	s_branch .LBB160_1239
.LBB160_1176:
	s_mov_b32 s0, -1
                                        ; implicit-def: $vgpr6
	s_branch .LBB160_1191
.LBB160_1177:
	s_mov_b32 s12, -1
	s_mov_b32 s11, 0
	s_mov_b32 s0, 0
                                        ; implicit-def: $vgpr6
	s_branch .LBB160_1234
.LBB160_1178:
	s_mov_b32 s0, -1
                                        ; implicit-def: $vgpr6
	s_branch .LBB160_1188
.LBB160_1179:
	s_cbranch_execnz .LBB160_1223
; %bb.1180:
	s_or_b32 s8, s10, exec_lo
                                        ; implicit-def: $vgpr9
	s_cbranch_execz .LBB160_1157
	s_branch .LBB160_1158
.LBB160_1181:
	s_or_saveexec_b32 s15, s15
                                        ; implicit-def: $sgpr16
	s_delay_alu instid0(SALU_CYCLE_1)
	s_xor_b32 exec_lo, exec_lo, s15
	s_cbranch_execz .LBB160_943
.LBB160_1182:
	v_add_f32_e64 v3, 0x46000000, |v2|
	s_and_not1_b32 s14, s14, exec_lo
	s_mov_b32 s16, 0
	s_delay_alu instid0(VALU_DEP_1) | instskip(NEXT) | instid1(VALU_DEP_1)
	v_and_b32_e32 v3, 0xff, v3
	v_cmp_ne_u32_e32 vcc_lo, 0, v3
	s_and_b32 s17, vcc_lo, exec_lo
	s_delay_alu instid0(SALU_CYCLE_1)
	s_or_b32 s14, s14, s17
	s_or_b32 exec_lo, exec_lo, s15
	v_mov_b32_e32 v6, s16
	s_and_saveexec_b32 s15, s14
	s_cbranch_execnz .LBB160_944
	s_branch .LBB160_945
.LBB160_1183:
	s_mov_b32 s12, -1
	s_mov_b32 s11, 0
	s_mov_b32 s0, 0
	s_branch .LBB160_1228
.LBB160_1184:
	s_mov_b32 s0, -1
                                        ; implicit-def: $vgpr6
.LBB160_1185:
	s_delay_alu instid0(SALU_CYCLE_1)
	s_and_not1_b32 vcc_lo, exec_lo, s0
	s_cbranch_vccnz .LBB160_1187
; %bb.1186:
	global_load_b32 v6, v[0:1], off
	s_waitcnt vmcnt(0)
	v_cvt_f16_f32_e32 v6, v6
.LBB160_1187:
	s_mov_b32 s0, 0
.LBB160_1188:
	s_delay_alu instid0(SALU_CYCLE_1)
	s_and_not1_b32 vcc_lo, exec_lo, s0
	s_cbranch_vccnz .LBB160_1190
; %bb.1189:
	global_load_b32 v6, v[0:1], off
.LBB160_1190:
	s_mov_b32 s0, 0
.LBB160_1191:
	s_delay_alu instid0(SALU_CYCLE_1)
	s_and_not1_b32 vcc_lo, exec_lo, s0
	s_cbranch_vccnz .LBB160_1202
; %bb.1192:
	v_cmp_gt_i16_e32 vcc_lo, 6, v4
	s_cbranch_vccnz .LBB160_1195
; %bb.1193:
	v_cmp_lt_i16_e32 vcc_lo, 6, v4
	s_cbranch_vccz .LBB160_1196
; %bb.1194:
	global_load_b64 v[6:7], v[0:1], off
	s_mov_b32 s0, 0
	s_waitcnt vmcnt(0)
	v_cvt_f32_f64_e32 v6, v[6:7]
	s_delay_alu instid0(VALU_DEP_1)
	v_cvt_f16_f32_e32 v6, v6
	s_branch .LBB160_1197
.LBB160_1195:
	s_mov_b32 s0, -1
                                        ; implicit-def: $vgpr6
	s_branch .LBB160_1200
.LBB160_1196:
	s_mov_b32 s0, -1
                                        ; implicit-def: $vgpr6
.LBB160_1197:
	s_delay_alu instid0(SALU_CYCLE_1)
	s_and_not1_b32 vcc_lo, exec_lo, s0
	s_cbranch_vccnz .LBB160_1199
; %bb.1198:
	global_load_b32 v6, v[0:1], off
	s_waitcnt vmcnt(0)
	v_cvt_f16_f32_e32 v6, v6
.LBB160_1199:
	s_mov_b32 s0, 0
.LBB160_1200:
	s_delay_alu instid0(SALU_CYCLE_1)
	s_and_not1_b32 vcc_lo, exec_lo, s0
	s_cbranch_vccnz .LBB160_1202
; %bb.1201:
	global_load_u16 v6, v[0:1], off
.LBB160_1202:
	s_cbranch_execnz .LBB160_1222
.LBB160_1203:
	v_cmp_gt_i16_e32 vcc_lo, 2, v4
	s_cbranch_vccnz .LBB160_1207
; %bb.1204:
	v_cmp_gt_i16_e32 vcc_lo, 3, v4
	s_cbranch_vccnz .LBB160_1208
; %bb.1205:
	v_cmp_lt_i16_e32 vcc_lo, 3, v4
	s_cbranch_vccz .LBB160_1209
; %bb.1206:
	global_load_b64 v[6:7], v[0:1], off
	s_mov_b32 s0, 0
	s_waitcnt vmcnt(0)
	v_xor_b32_e32 v8, v6, v7
	v_cls_i32_e32 v10, v7
	s_delay_alu instid0(VALU_DEP_2) | instskip(NEXT) | instid1(VALU_DEP_2)
	v_ashrrev_i32_e32 v8, 31, v8
	v_add_nc_u32_e32 v10, -1, v10
	s_delay_alu instid0(VALU_DEP_2) | instskip(NEXT) | instid1(VALU_DEP_1)
	v_add_nc_u32_e32 v8, 32, v8
	v_min_u32_e32 v8, v10, v8
	s_delay_alu instid0(VALU_DEP_1) | instskip(NEXT) | instid1(VALU_DEP_1)
	v_lshlrev_b64 v[6:7], v8, v[6:7]
	v_min_u32_e32 v6, 1, v6
	s_delay_alu instid0(VALU_DEP_1) | instskip(SKIP_1) | instid1(VALU_DEP_2)
	v_or_b32_e32 v6, v7, v6
	v_sub_nc_u32_e32 v7, 32, v8
	v_cvt_f32_i32_e32 v6, v6
	s_delay_alu instid0(VALU_DEP_1) | instskip(NEXT) | instid1(VALU_DEP_1)
	v_ldexp_f32 v6, v6, v7
	v_cvt_f16_f32_e32 v6, v6
	s_branch .LBB160_1210
.LBB160_1207:
	s_mov_b32 s0, -1
                                        ; implicit-def: $vgpr6
	s_branch .LBB160_1216
.LBB160_1208:
	s_mov_b32 s0, -1
                                        ; implicit-def: $vgpr6
	s_branch .LBB160_1213
.LBB160_1209:
	s_mov_b32 s0, -1
                                        ; implicit-def: $vgpr6
.LBB160_1210:
	s_delay_alu instid0(SALU_CYCLE_1)
	s_and_not1_b32 vcc_lo, exec_lo, s0
	s_cbranch_vccnz .LBB160_1212
; %bb.1211:
	global_load_b32 v6, v[0:1], off
	s_waitcnt vmcnt(0)
	v_cvt_f32_i32_e32 v6, v6
	s_delay_alu instid0(VALU_DEP_1)
	v_cvt_f16_f32_e32 v6, v6
.LBB160_1212:
	s_mov_b32 s0, 0
.LBB160_1213:
	s_delay_alu instid0(SALU_CYCLE_1)
	s_and_not1_b32 vcc_lo, exec_lo, s0
	s_cbranch_vccnz .LBB160_1215
; %bb.1214:
	global_load_u16 v6, v[0:1], off
	s_waitcnt vmcnt(0)
	v_cvt_f16_i16_e32 v6, v6
.LBB160_1215:
	s_mov_b32 s0, 0
.LBB160_1216:
	s_delay_alu instid0(SALU_CYCLE_1)
	s_and_not1_b32 vcc_lo, exec_lo, s0
	s_cbranch_vccnz .LBB160_1222
; %bb.1217:
	v_cmp_lt_i16_e32 vcc_lo, 0, v4
	s_mov_b32 s0, 0
	s_cbranch_vccz .LBB160_1219
; %bb.1218:
	global_load_i8 v6, v[0:1], off
	s_waitcnt vmcnt(0)
	v_cvt_f16_i16_e32 v6, v6
	s_branch .LBB160_1220
.LBB160_1219:
	s_mov_b32 s0, -1
                                        ; implicit-def: $vgpr6
.LBB160_1220:
	s_delay_alu instid0(SALU_CYCLE_1)
	s_and_not1_b32 vcc_lo, exec_lo, s0
	s_cbranch_vccnz .LBB160_1222
; %bb.1221:
	global_load_u8 v0, v[0:1], off
	s_waitcnt vmcnt(0)
	v_cvt_f16_u16_e32 v6, v0
.LBB160_1222:
	s_branch .LBB160_1295
.LBB160_1223:
	s_trap 2
	s_sendmsg_rtn_b32 s0, sendmsg(MSG_RTN_GET_DOORBELL)
	s_mov_b32 ttmp2, m0
	s_waitcnt lgkmcnt(0)
	s_and_b32 s0, s0, 0x3ff
	s_delay_alu instid0(SALU_CYCLE_1) | instskip(NEXT) | instid1(SALU_CYCLE_1)
	s_bitset1_b32 s0, 10
	s_mov_b32 m0, s0
	s_sendmsg sendmsg(MSG_INTERRUPT)
	s_mov_b32 m0, ttmp2
.LBB160_1224:                           ; =>This Inner Loop Header: Depth=1
	s_sethalt 5
	s_branch .LBB160_1224
.LBB160_1225:
	s_or_saveexec_b32 s16, s16
                                        ; implicit-def: $sgpr17
	s_delay_alu instid0(SALU_CYCLE_1)
	s_xor_b32 exec_lo, exec_lo, s16
	s_cbranch_execz .LBB160_955
.LBB160_1226:
	v_add_f32_e64 v3, 0x42800000, |v2|
	s_and_not1_b32 s15, s15, exec_lo
	s_mov_b32 s17, 0
	s_delay_alu instid0(VALU_DEP_1) | instskip(NEXT) | instid1(VALU_DEP_1)
	v_and_b32_e32 v3, 0xff, v3
	v_cmp_ne_u32_e32 vcc_lo, 0, v3
	s_and_b32 s18, vcc_lo, exec_lo
	s_delay_alu instid0(SALU_CYCLE_1)
	s_or_b32 s15, s15, s18
	s_or_b32 exec_lo, exec_lo, s16
	v_mov_b32_e32 v6, s17
	s_and_saveexec_b32 s16, s15
	s_cbranch_execnz .LBB160_956
	s_branch .LBB160_957
.LBB160_1227:
	s_mov_b32 s0, -1
	s_mov_b32 s11, 0
.LBB160_1228:
                                        ; implicit-def: $vgpr6
.LBB160_1229:
	s_and_b32 vcc_lo, exec_lo, s12
	s_cbranch_vccz .LBB160_1233
; %bb.1230:
	v_cmp_eq_u16_e32 vcc_lo, 44, v4
	s_cbranch_vccz .LBB160_1232
; %bb.1231:
	global_load_u8 v6, v[0:1], off
	s_mov_b32 s0, 0
	s_mov_b32 s11, -1
	s_waitcnt vmcnt(0)
	v_lshlrev_b32_e32 v7, 23, v6
	v_cmp_ne_u32_e32 vcc_lo, 0xff, v6
	s_delay_alu instid0(VALU_DEP_2) | instskip(NEXT) | instid1(VALU_DEP_1)
	v_cvt_f16_f32_e32 v7, v7
	v_cndmask_b32_e32 v7, 0x7e00, v7, vcc_lo
	v_cmp_ne_u32_e32 vcc_lo, 0, v6
	s_delay_alu instid0(VALU_DEP_2)
	v_cndmask_b32_e32 v6, 0, v7, vcc_lo
	s_branch .LBB160_1233
.LBB160_1232:
	s_mov_b32 s0, -1
                                        ; implicit-def: $vgpr6
.LBB160_1233:
	s_mov_b32 s12, 0
.LBB160_1234:
	s_delay_alu instid0(SALU_CYCLE_1)
	s_and_b32 vcc_lo, exec_lo, s12
	s_cbranch_vccz .LBB160_1238
; %bb.1235:
	v_cmp_eq_u16_e32 vcc_lo, 29, v4
	s_cbranch_vccz .LBB160_1237
; %bb.1236:
	global_load_b64 v[6:7], v[0:1], off
	s_mov_b32 s0, 0
	s_mov_b32 s11, -1
	s_mov_b32 s12, 0
	s_waitcnt vmcnt(0)
	v_clz_i32_u32_e32 v8, v7
	s_delay_alu instid0(VALU_DEP_1) | instskip(NEXT) | instid1(VALU_DEP_1)
	v_min_u32_e32 v8, 32, v8
	v_lshlrev_b64 v[6:7], v8, v[6:7]
	s_delay_alu instid0(VALU_DEP_1) | instskip(NEXT) | instid1(VALU_DEP_1)
	v_min_u32_e32 v6, 1, v6
	v_or_b32_e32 v6, v7, v6
	v_sub_nc_u32_e32 v7, 32, v8
	s_delay_alu instid0(VALU_DEP_2) | instskip(NEXT) | instid1(VALU_DEP_1)
	v_cvt_f32_u32_e32 v6, v6
	v_ldexp_f32 v6, v6, v7
	s_delay_alu instid0(VALU_DEP_1)
	v_cvt_f16_f32_e32 v6, v6
	s_branch .LBB160_1239
.LBB160_1237:
	s_mov_b32 s0, -1
                                        ; implicit-def: $vgpr6
.LBB160_1238:
	s_mov_b32 s12, 0
.LBB160_1239:
	s_delay_alu instid0(SALU_CYCLE_1)
	s_and_b32 vcc_lo, exec_lo, s12
	s_cbranch_vccz .LBB160_1257
; %bb.1240:
	v_cmp_gt_i16_e32 vcc_lo, 27, v4
	s_cbranch_vccnz .LBB160_1243
; %bb.1241:
	v_cmp_lt_i16_e32 vcc_lo, 27, v4
	s_cbranch_vccz .LBB160_1244
; %bb.1242:
	global_load_b32 v6, v[0:1], off
	s_mov_b32 s11, 0
	s_waitcnt vmcnt(0)
	v_cvt_f32_u32_e32 v6, v6
	s_delay_alu instid0(VALU_DEP_1)
	v_cvt_f16_f32_e32 v6, v6
	s_branch .LBB160_1245
.LBB160_1243:
	s_mov_b32 s11, -1
                                        ; implicit-def: $vgpr6
	s_branch .LBB160_1248
.LBB160_1244:
	s_mov_b32 s11, -1
                                        ; implicit-def: $vgpr6
.LBB160_1245:
	s_delay_alu instid0(SALU_CYCLE_1)
	s_and_not1_b32 vcc_lo, exec_lo, s11
	s_cbranch_vccnz .LBB160_1247
; %bb.1246:
	global_load_u16 v6, v[0:1], off
	s_waitcnt vmcnt(0)
	v_cvt_f16_u16_e32 v6, v6
.LBB160_1247:
	s_mov_b32 s11, 0
.LBB160_1248:
	s_delay_alu instid0(SALU_CYCLE_1)
	s_and_not1_b32 vcc_lo, exec_lo, s11
	s_cbranch_vccnz .LBB160_1256
; %bb.1249:
	global_load_u8 v7, v[0:1], off
	s_mov_b32 s11, 0
	s_mov_b32 s13, exec_lo
                                        ; implicit-def: $sgpr12
	s_waitcnt vmcnt(0)
	v_cmpx_lt_i16_e32 0x7f, v7
	s_xor_b32 s13, exec_lo, s13
	s_cbranch_execz .LBB160_1269
; %bb.1250:
	s_mov_b32 s11, -1
	s_mov_b32 s14, exec_lo
                                        ; implicit-def: $sgpr12
	v_cmpx_eq_u16_e32 0x80, v7
; %bb.1251:
	s_movk_i32 s12, 0x7e00
	s_xor_b32 s11, exec_lo, -1
; %bb.1252:
	s_or_b32 exec_lo, exec_lo, s14
	s_delay_alu instid0(SALU_CYCLE_1)
	s_and_b32 s11, s11, exec_lo
	s_or_saveexec_b32 s13, s13
	v_mov_b32_e32 v6, s12
	s_xor_b32 exec_lo, exec_lo, s13
	s_cbranch_execnz .LBB160_1270
.LBB160_1253:
	s_or_b32 exec_lo, exec_lo, s13
	s_and_saveexec_b32 s12, s11
	s_cbranch_execz .LBB160_1255
.LBB160_1254:
	v_and_b32_e32 v6, 0xffff, v7
	v_lshlrev_b32_e32 v7, 24, v7
	s_delay_alu instid0(VALU_DEP_2) | instskip(NEXT) | instid1(VALU_DEP_2)
	v_and_b32_e32 v8, 7, v6
	v_and_b32_e32 v7, 0x80000000, v7
	s_delay_alu instid0(VALU_DEP_2) | instskip(NEXT) | instid1(VALU_DEP_1)
	v_clz_i32_u32_e32 v10, v8
	v_min_u32_e32 v10, 32, v10
	s_delay_alu instid0(VALU_DEP_1) | instskip(SKIP_1) | instid1(VALU_DEP_2)
	v_subrev_nc_u32_e32 v11, 28, v10
	v_sub_nc_u32_e32 v10, 29, v10
	v_lshlrev_b32_e32 v11, v11, v6
	v_bfe_u32 v6, v6, 3, 4
	s_delay_alu instid0(VALU_DEP_1) | instskip(NEXT) | instid1(VALU_DEP_3)
	v_cmp_eq_u32_e32 vcc_lo, 0, v6
	v_dual_cndmask_b32 v6, v6, v10 :: v_dual_and_b32 v11, 7, v11
	s_delay_alu instid0(VALU_DEP_1) | instskip(NEXT) | instid1(VALU_DEP_2)
	v_cndmask_b32_e32 v8, v8, v11, vcc_lo
	v_lshl_add_u32 v6, v6, 23, 0x3b800000
	s_delay_alu instid0(VALU_DEP_2) | instskip(NEXT) | instid1(VALU_DEP_1)
	v_lshlrev_b32_e32 v8, 20, v8
	v_or3_b32 v6, v7, v6, v8
	s_delay_alu instid0(VALU_DEP_1)
	v_cvt_f16_f32_e32 v6, v6
.LBB160_1255:
	s_or_b32 exec_lo, exec_lo, s12
.LBB160_1256:
	s_mov_b32 s11, -1
.LBB160_1257:
	s_branch .LBB160_1290
.LBB160_1258:
	v_cmp_lt_i16_e32 vcc_lo, 22, v4
	s_cbranch_vccz .LBB160_1268
; %bb.1259:
	v_cmp_gt_i16_e32 vcc_lo, 24, v4
	s_cbranch_vccnz .LBB160_1271
; %bb.1260:
	v_cmp_lt_i16_e32 vcc_lo, 24, v4
	s_cbranch_vccz .LBB160_1272
; %bb.1261:
	global_load_u8 v7, v[0:1], off
	s_mov_b32 s12, exec_lo
                                        ; implicit-def: $sgpr11
	s_waitcnt vmcnt(0)
	v_cmpx_lt_i16_e32 0x7f, v7
	s_xor_b32 s12, exec_lo, s12
	s_cbranch_execz .LBB160_1284
; %bb.1262:
	s_mov_b32 s3, -1
	s_mov_b32 s13, exec_lo
                                        ; implicit-def: $sgpr11
	v_cmpx_eq_u16_e32 0x80, v7
; %bb.1263:
	s_movk_i32 s11, 0x7e00
	s_xor_b32 s3, exec_lo, -1
; %bb.1264:
	s_or_b32 exec_lo, exec_lo, s13
	s_delay_alu instid0(SALU_CYCLE_1)
	s_and_b32 s3, s3, exec_lo
	s_or_saveexec_b32 s12, s12
	v_mov_b32_e32 v6, s11
	s_xor_b32 exec_lo, exec_lo, s12
	s_cbranch_execnz .LBB160_1285
.LBB160_1265:
	s_or_b32 exec_lo, exec_lo, s12
	s_and_saveexec_b32 s11, s3
	s_cbranch_execz .LBB160_1267
.LBB160_1266:
	v_and_b32_e32 v6, 0xffff, v7
	v_lshlrev_b32_e32 v7, 24, v7
	s_delay_alu instid0(VALU_DEP_2) | instskip(NEXT) | instid1(VALU_DEP_2)
	v_and_b32_e32 v8, 3, v6
	v_and_b32_e32 v7, 0x80000000, v7
	s_delay_alu instid0(VALU_DEP_2) | instskip(NEXT) | instid1(VALU_DEP_1)
	v_clz_i32_u32_e32 v10, v8
	v_min_u32_e32 v10, 32, v10
	s_delay_alu instid0(VALU_DEP_1) | instskip(SKIP_1) | instid1(VALU_DEP_2)
	v_subrev_nc_u32_e32 v11, 29, v10
	v_sub_nc_u32_e32 v10, 30, v10
	v_lshlrev_b32_e32 v11, v11, v6
	v_bfe_u32 v6, v6, 2, 5
	s_delay_alu instid0(VALU_DEP_1) | instskip(NEXT) | instid1(VALU_DEP_3)
	v_cmp_eq_u32_e32 vcc_lo, 0, v6
	v_dual_cndmask_b32 v6, v6, v10 :: v_dual_and_b32 v11, 3, v11
	s_delay_alu instid0(VALU_DEP_1) | instskip(NEXT) | instid1(VALU_DEP_2)
	v_cndmask_b32_e32 v8, v8, v11, vcc_lo
	v_lshl_add_u32 v6, v6, 23, 0x37800000
	s_delay_alu instid0(VALU_DEP_2) | instskip(NEXT) | instid1(VALU_DEP_1)
	v_lshlrev_b32_e32 v8, 21, v8
	v_or3_b32 v6, v7, v6, v8
	s_delay_alu instid0(VALU_DEP_1)
	v_cvt_f16_f32_e32 v6, v6
.LBB160_1267:
	s_or_b32 exec_lo, exec_lo, s11
	s_mov_b32 s3, 0
	s_branch .LBB160_1273
.LBB160_1268:
	s_mov_b32 s3, -1
                                        ; implicit-def: $vgpr6
	s_branch .LBB160_1279
.LBB160_1269:
	s_or_saveexec_b32 s13, s13
	v_mov_b32_e32 v6, s12
	s_xor_b32 exec_lo, exec_lo, s13
	s_cbranch_execz .LBB160_1253
.LBB160_1270:
	v_cmp_ne_u16_e32 vcc_lo, 0, v7
	v_mov_b32_e32 v6, v7
	s_and_not1_b32 s11, s11, exec_lo
	s_and_b32 s12, vcc_lo, exec_lo
	s_delay_alu instid0(SALU_CYCLE_1)
	s_or_b32 s11, s11, s12
	s_or_b32 exec_lo, exec_lo, s13
	s_and_saveexec_b32 s12, s11
	s_cbranch_execnz .LBB160_1254
	s_branch .LBB160_1255
.LBB160_1271:
	s_mov_b32 s3, -1
                                        ; implicit-def: $vgpr6
	s_branch .LBB160_1276
.LBB160_1272:
	s_mov_b32 s3, -1
                                        ; implicit-def: $vgpr6
.LBB160_1273:
	s_delay_alu instid0(SALU_CYCLE_1)
	s_and_b32 vcc_lo, exec_lo, s3
	s_cbranch_vccz .LBB160_1275
; %bb.1274:
	global_load_u8 v6, v[0:1], off
	s_waitcnt vmcnt(0)
	v_lshlrev_b32_e32 v6, 24, v6
	s_delay_alu instid0(VALU_DEP_1) | instskip(NEXT) | instid1(VALU_DEP_1)
	v_and_b32_e32 v7, 0x7f000000, v6
	v_clz_i32_u32_e32 v8, v7
	v_add_nc_u32_e32 v11, 0x1000000, v7
	v_cmp_ne_u32_e32 vcc_lo, 0, v7
	s_delay_alu instid0(VALU_DEP_3) | instskip(NEXT) | instid1(VALU_DEP_1)
	v_min_u32_e32 v8, 32, v8
	v_sub_nc_u32_e64 v8, v8, 4 clamp
	s_delay_alu instid0(VALU_DEP_1) | instskip(SKIP_1) | instid1(VALU_DEP_2)
	v_lshlrev_b32_e32 v10, v8, v7
	v_lshlrev_b32_e32 v8, 23, v8
	v_lshrrev_b32_e32 v10, 4, v10
	s_delay_alu instid0(VALU_DEP_1) | instskip(SKIP_1) | instid1(VALU_DEP_2)
	v_sub_nc_u32_e32 v8, v10, v8
	v_ashrrev_i32_e32 v10, 8, v11
	v_add_nc_u32_e32 v8, 0x3c000000, v8
	s_delay_alu instid0(VALU_DEP_1) | instskip(NEXT) | instid1(VALU_DEP_1)
	v_and_or_b32 v8, 0x7f800000, v10, v8
	v_cndmask_b32_e32 v7, 0, v8, vcc_lo
	s_delay_alu instid0(VALU_DEP_1) | instskip(NEXT) | instid1(VALU_DEP_1)
	v_and_or_b32 v6, 0x80000000, v6, v7
	v_cvt_f16_f32_e32 v6, v6
.LBB160_1275:
	s_mov_b32 s3, 0
.LBB160_1276:
	s_delay_alu instid0(SALU_CYCLE_1)
	s_and_not1_b32 vcc_lo, exec_lo, s3
	s_cbranch_vccnz .LBB160_1278
; %bb.1277:
	global_load_u8 v6, v[0:1], off
	s_waitcnt vmcnt(0)
	v_lshlrev_b32_e32 v7, 25, v6
	v_lshlrev_b16 v6, 8, v6
	s_delay_alu instid0(VALU_DEP_2) | instskip(NEXT) | instid1(VALU_DEP_2)
	v_lshrrev_b32_e32 v8, 4, v7
	v_and_or_b32 v10, 0x7f00, v6, 0.5
	v_bfe_i32 v6, v6, 0, 16
	s_delay_alu instid0(VALU_DEP_3) | instskip(NEXT) | instid1(VALU_DEP_3)
	v_or_b32_e32 v8, 0x70000000, v8
	v_add_f32_e32 v10, -0.5, v10
	s_delay_alu instid0(VALU_DEP_2) | instskip(SKIP_1) | instid1(VALU_DEP_2)
	v_mul_f32_e32 v8, 0x7800000, v8
	v_cmp_gt_u32_e32 vcc_lo, 0x8000000, v7
	v_cndmask_b32_e32 v7, v8, v10, vcc_lo
	s_delay_alu instid0(VALU_DEP_1) | instskip(NEXT) | instid1(VALU_DEP_1)
	v_and_or_b32 v6, 0x80000000, v6, v7
	v_cvt_f16_f32_e32 v6, v6
.LBB160_1278:
	s_mov_b32 s3, 0
	s_mov_b32 s11, -1
.LBB160_1279:
	s_and_not1_b32 vcc_lo, exec_lo, s3
	s_mov_b32 s3, 0
	s_cbranch_vccnz .LBB160_1290
; %bb.1280:
	v_cmp_lt_i16_e32 vcc_lo, 14, v4
	s_cbranch_vccz .LBB160_1283
; %bb.1281:
	v_cmp_eq_u16_e32 vcc_lo, 15, v4
	s_cbranch_vccz .LBB160_1286
; %bb.1282:
	global_load_u16 v6, v[0:1], off
	s_mov_b32 s0, 0
	s_mov_b32 s11, -1
	s_waitcnt vmcnt(0)
	v_lshlrev_b32_e32 v6, 16, v6
	s_delay_alu instid0(VALU_DEP_1)
	v_cvt_f16_f32_e32 v6, v6
	s_branch .LBB160_1288
.LBB160_1283:
	s_mov_b32 s3, -1
	s_branch .LBB160_1287
.LBB160_1284:
	s_or_saveexec_b32 s12, s12
	v_mov_b32_e32 v6, s11
	s_xor_b32 exec_lo, exec_lo, s12
	s_cbranch_execz .LBB160_1265
.LBB160_1285:
	v_cmp_ne_u16_e32 vcc_lo, 0, v7
	v_mov_b32_e32 v6, v7
	s_and_not1_b32 s3, s3, exec_lo
	s_and_b32 s11, vcc_lo, exec_lo
	s_delay_alu instid0(SALU_CYCLE_1)
	s_or_b32 s3, s3, s11
	s_or_b32 exec_lo, exec_lo, s12
	s_and_saveexec_b32 s11, s3
	s_cbranch_execnz .LBB160_1266
	s_branch .LBB160_1267
.LBB160_1286:
	s_mov_b32 s0, -1
.LBB160_1287:
                                        ; implicit-def: $vgpr6
.LBB160_1288:
	s_and_b32 vcc_lo, exec_lo, s3
	s_mov_b32 s3, 0
	s_cbranch_vccz .LBB160_1290
; %bb.1289:
	v_cmp_ne_u16_e64 s0, 11, v4
	s_mov_b32 s3, -1
                                        ; implicit-def: $vgpr6
.LBB160_1290:
	s_delay_alu instid0(VALU_DEP_1)
	s_and_b32 vcc_lo, exec_lo, s0
	s_cbranch_vccnz .LBB160_1314
; %bb.1291:
	s_and_not1_b32 vcc_lo, exec_lo, s3
	s_cbranch_vccnz .LBB160_1293
.LBB160_1292:
	global_load_u8 v6, v[0:1], off
	s_mov_b32 s11, -1
	s_waitcnt vmcnt(0)
	v_cmp_ne_u16_e32 vcc_lo, 0, v6
	v_cndmask_b32_e64 v6, 0, 0x3c00, vcc_lo
.LBB160_1293:
.LBB160_1294:
	s_and_not1_b32 vcc_lo, exec_lo, s11
	s_cbranch_vccnz .LBB160_1995
.LBB160_1295:
	v_add_nc_u32_e32 v5, s1, v5
	v_cmp_gt_i16_e32 vcc_lo, 11, v4
	s_delay_alu instid0(VALU_DEP_2) | instskip(SKIP_1) | instid1(VALU_DEP_1)
	v_ashrrev_i32_e32 v1, 31, v5
	v_add_co_u32 v0, s0, s6, v5
	v_add_co_ci_u32_e64 v1, s0, s7, v1, s0
	s_cbranch_vccnz .LBB160_1302
; %bb.1296:
	v_cmp_lt_i16_e32 vcc_lo, 25, v4
	s_mov_b32 s3, 0
	s_cbranch_vccz .LBB160_1308
; %bb.1297:
	v_cmp_lt_i16_e32 vcc_lo, 28, v4
	s_cbranch_vccz .LBB160_1310
; %bb.1298:
	v_cmp_lt_i16_e32 vcc_lo, 43, v4
	s_cbranch_vccz .LBB160_1312
; %bb.1299:
	v_cmp_lt_i16_e32 vcc_lo, 45, v4
	s_cbranch_vccz .LBB160_1316
; %bb.1300:
	v_cmp_eq_u16_e32 vcc_lo, 46, v4
	s_mov_b32 s12, 0
	s_cbranch_vccz .LBB160_1359
; %bb.1301:
	global_load_b32 v7, v[0:1], off
	s_mov_b32 s0, 0
	s_mov_b32 s11, -1
	s_waitcnt vmcnt(0)
	v_lshlrev_b32_e32 v7, 16, v7
	s_delay_alu instid0(VALU_DEP_1)
	v_cvt_f16_f32_e32 v7, v7
	s_branch .LBB160_1361
.LBB160_1302:
	s_mov_b32 s11, 0
                                        ; implicit-def: $vgpr7
	s_cbranch_execz .LBB160_1427
; %bb.1303:
	v_cmp_gt_i16_e32 vcc_lo, 5, v4
	s_cbranch_vccnz .LBB160_1309
; %bb.1304:
	v_cmp_gt_i16_e32 vcc_lo, 8, v4
	s_cbranch_vccnz .LBB160_1311
	;; [unrolled: 3-line block ×3, first 2 shown]
; %bb.1306:
	v_cmp_lt_i16_e32 vcc_lo, 9, v4
	s_cbranch_vccz .LBB160_1317
; %bb.1307:
	global_load_b64 v[7:8], v[0:1], off
	s_mov_b32 s0, 0
	s_waitcnt vmcnt(0)
	v_cvt_f32_f64_e32 v7, v[7:8]
	s_delay_alu instid0(VALU_DEP_1)
	v_cvt_f16_f32_e32 v7, v7
	s_branch .LBB160_1318
.LBB160_1308:
	s_mov_b32 s12, -1
	s_mov_b32 s11, 0
	s_mov_b32 s0, 0
                                        ; implicit-def: $vgpr7
	s_branch .LBB160_1390
.LBB160_1309:
	s_mov_b32 s0, -1
                                        ; implicit-def: $vgpr7
	s_branch .LBB160_1336
.LBB160_1310:
	s_mov_b32 s12, -1
	s_mov_b32 s11, 0
	s_mov_b32 s0, 0
                                        ; implicit-def: $vgpr7
	s_branch .LBB160_1371
.LBB160_1311:
	s_mov_b32 s0, -1
                                        ; implicit-def: $vgpr7
	s_branch .LBB160_1324
.LBB160_1312:
	s_mov_b32 s12, -1
	s_mov_b32 s11, 0
	s_mov_b32 s0, 0
                                        ; implicit-def: $vgpr7
	s_branch .LBB160_1366
.LBB160_1313:
	s_mov_b32 s0, -1
                                        ; implicit-def: $vgpr7
	s_branch .LBB160_1321
.LBB160_1314:
	s_cbranch_execnz .LBB160_1357
; %bb.1315:
	s_or_b32 s8, s8, exec_lo
                                        ; implicit-def: $vgpr6
	s_cbranch_execz .LBB160_1292
	s_branch .LBB160_1293
.LBB160_1316:
	s_mov_b32 s12, -1
	s_mov_b32 s11, 0
	s_mov_b32 s0, 0
	s_branch .LBB160_1360
.LBB160_1317:
	s_mov_b32 s0, -1
                                        ; implicit-def: $vgpr7
.LBB160_1318:
	s_delay_alu instid0(SALU_CYCLE_1)
	s_and_not1_b32 vcc_lo, exec_lo, s0
	s_cbranch_vccnz .LBB160_1320
; %bb.1319:
	global_load_b32 v7, v[0:1], off
	s_waitcnt vmcnt(0)
	v_cvt_f16_f32_e32 v7, v7
.LBB160_1320:
	s_mov_b32 s0, 0
.LBB160_1321:
	s_delay_alu instid0(SALU_CYCLE_1)
	s_and_not1_b32 vcc_lo, exec_lo, s0
	s_cbranch_vccnz .LBB160_1323
; %bb.1322:
	global_load_b32 v7, v[0:1], off
.LBB160_1323:
	s_mov_b32 s0, 0
.LBB160_1324:
	s_delay_alu instid0(SALU_CYCLE_1)
	s_and_not1_b32 vcc_lo, exec_lo, s0
	s_cbranch_vccnz .LBB160_1335
; %bb.1325:
	v_cmp_gt_i16_e32 vcc_lo, 6, v4
	s_cbranch_vccnz .LBB160_1328
; %bb.1326:
	v_cmp_lt_i16_e32 vcc_lo, 6, v4
	s_cbranch_vccz .LBB160_1329
; %bb.1327:
	global_load_b64 v[7:8], v[0:1], off
	s_mov_b32 s0, 0
	s_waitcnt vmcnt(0)
	v_cvt_f32_f64_e32 v7, v[7:8]
	s_delay_alu instid0(VALU_DEP_1)
	v_cvt_f16_f32_e32 v7, v7
	s_branch .LBB160_1330
.LBB160_1328:
	s_mov_b32 s0, -1
                                        ; implicit-def: $vgpr7
	s_branch .LBB160_1333
.LBB160_1329:
	s_mov_b32 s0, -1
                                        ; implicit-def: $vgpr7
.LBB160_1330:
	s_delay_alu instid0(SALU_CYCLE_1)
	s_and_not1_b32 vcc_lo, exec_lo, s0
	s_cbranch_vccnz .LBB160_1332
; %bb.1331:
	global_load_b32 v7, v[0:1], off
	s_waitcnt vmcnt(0)
	v_cvt_f16_f32_e32 v7, v7
.LBB160_1332:
	s_mov_b32 s0, 0
.LBB160_1333:
	s_delay_alu instid0(SALU_CYCLE_1)
	s_and_not1_b32 vcc_lo, exec_lo, s0
	s_cbranch_vccnz .LBB160_1335
; %bb.1334:
	global_load_u16 v7, v[0:1], off
.LBB160_1335:
	s_mov_b32 s0, 0
.LBB160_1336:
	s_delay_alu instid0(SALU_CYCLE_1)
	s_and_not1_b32 vcc_lo, exec_lo, s0
	s_cbranch_vccnz .LBB160_1356
; %bb.1337:
	v_cmp_gt_i16_e32 vcc_lo, 2, v4
	s_cbranch_vccnz .LBB160_1341
; %bb.1338:
	v_cmp_gt_i16_e32 vcc_lo, 3, v4
	s_cbranch_vccnz .LBB160_1342
; %bb.1339:
	v_cmp_lt_i16_e32 vcc_lo, 3, v4
	s_cbranch_vccz .LBB160_1343
; %bb.1340:
	global_load_b64 v[7:8], v[0:1], off
	s_mov_b32 s0, 0
	s_waitcnt vmcnt(0)
	v_xor_b32_e32 v10, v7, v8
	v_cls_i32_e32 v11, v8
	s_delay_alu instid0(VALU_DEP_2) | instskip(NEXT) | instid1(VALU_DEP_2)
	v_ashrrev_i32_e32 v10, 31, v10
	v_add_nc_u32_e32 v11, -1, v11
	s_delay_alu instid0(VALU_DEP_2) | instskip(NEXT) | instid1(VALU_DEP_1)
	v_add_nc_u32_e32 v10, 32, v10
	v_min_u32_e32 v10, v11, v10
	s_delay_alu instid0(VALU_DEP_1) | instskip(NEXT) | instid1(VALU_DEP_1)
	v_lshlrev_b64 v[7:8], v10, v[7:8]
	v_min_u32_e32 v7, 1, v7
	s_delay_alu instid0(VALU_DEP_1) | instskip(SKIP_1) | instid1(VALU_DEP_2)
	v_or_b32_e32 v7, v8, v7
	v_sub_nc_u32_e32 v8, 32, v10
	v_cvt_f32_i32_e32 v7, v7
	s_delay_alu instid0(VALU_DEP_1) | instskip(NEXT) | instid1(VALU_DEP_1)
	v_ldexp_f32 v7, v7, v8
	v_cvt_f16_f32_e32 v7, v7
	s_branch .LBB160_1344
.LBB160_1341:
	s_mov_b32 s0, -1
                                        ; implicit-def: $vgpr7
	s_branch .LBB160_1350
.LBB160_1342:
	s_mov_b32 s0, -1
                                        ; implicit-def: $vgpr7
	s_branch .LBB160_1347
.LBB160_1343:
	s_mov_b32 s0, -1
                                        ; implicit-def: $vgpr7
.LBB160_1344:
	s_delay_alu instid0(SALU_CYCLE_1)
	s_and_not1_b32 vcc_lo, exec_lo, s0
	s_cbranch_vccnz .LBB160_1346
; %bb.1345:
	global_load_b32 v7, v[0:1], off
	s_waitcnt vmcnt(0)
	v_cvt_f32_i32_e32 v7, v7
	s_delay_alu instid0(VALU_DEP_1)
	v_cvt_f16_f32_e32 v7, v7
.LBB160_1346:
	s_mov_b32 s0, 0
.LBB160_1347:
	s_delay_alu instid0(SALU_CYCLE_1)
	s_and_not1_b32 vcc_lo, exec_lo, s0
	s_cbranch_vccnz .LBB160_1349
; %bb.1348:
	global_load_u16 v7, v[0:1], off
	s_waitcnt vmcnt(0)
	v_cvt_f16_i16_e32 v7, v7
.LBB160_1349:
	s_mov_b32 s0, 0
.LBB160_1350:
	s_delay_alu instid0(SALU_CYCLE_1)
	s_and_not1_b32 vcc_lo, exec_lo, s0
	s_cbranch_vccnz .LBB160_1356
; %bb.1351:
	v_cmp_lt_i16_e32 vcc_lo, 0, v4
	s_mov_b32 s0, 0
	s_cbranch_vccz .LBB160_1353
; %bb.1352:
	global_load_i8 v7, v[0:1], off
	s_waitcnt vmcnt(0)
	v_cvt_f16_i16_e32 v7, v7
	s_branch .LBB160_1354
.LBB160_1353:
	s_mov_b32 s0, -1
                                        ; implicit-def: $vgpr7
.LBB160_1354:
	s_delay_alu instid0(SALU_CYCLE_1)
	s_and_not1_b32 vcc_lo, exec_lo, s0
	s_cbranch_vccnz .LBB160_1356
; %bb.1355:
	global_load_u8 v0, v[0:1], off
	s_waitcnt vmcnt(0)
	v_cvt_f16_u16_e32 v7, v0
.LBB160_1356:
	s_branch .LBB160_1428
.LBB160_1357:
	s_trap 2
	s_sendmsg_rtn_b32 s0, sendmsg(MSG_RTN_GET_DOORBELL)
	s_mov_b32 ttmp2, m0
	s_waitcnt lgkmcnt(0)
	s_and_b32 s0, s0, 0x3ff
	s_delay_alu instid0(SALU_CYCLE_1) | instskip(NEXT) | instid1(SALU_CYCLE_1)
	s_bitset1_b32 s0, 10
	s_mov_b32 m0, s0
	s_sendmsg sendmsg(MSG_INTERRUPT)
	s_mov_b32 m0, ttmp2
.LBB160_1358:                           ; =>This Inner Loop Header: Depth=1
	s_sethalt 5
	s_branch .LBB160_1358
.LBB160_1359:
	s_mov_b32 s0, -1
	s_mov_b32 s11, 0
.LBB160_1360:
                                        ; implicit-def: $vgpr7
.LBB160_1361:
	s_and_b32 vcc_lo, exec_lo, s12
	s_cbranch_vccz .LBB160_1365
; %bb.1362:
	v_cmp_eq_u16_e32 vcc_lo, 44, v4
	s_cbranch_vccz .LBB160_1364
; %bb.1363:
	global_load_u8 v7, v[0:1], off
	s_mov_b32 s0, 0
	s_mov_b32 s11, -1
	s_waitcnt vmcnt(0)
	v_lshlrev_b32_e32 v8, 23, v7
	v_cmp_ne_u32_e32 vcc_lo, 0xff, v7
	s_delay_alu instid0(VALU_DEP_2) | instskip(NEXT) | instid1(VALU_DEP_1)
	v_cvt_f16_f32_e32 v8, v8
	v_cndmask_b32_e32 v8, 0x7e00, v8, vcc_lo
	v_cmp_ne_u32_e32 vcc_lo, 0, v7
	s_delay_alu instid0(VALU_DEP_2)
	v_cndmask_b32_e32 v7, 0, v8, vcc_lo
	s_branch .LBB160_1365
.LBB160_1364:
	s_mov_b32 s0, -1
                                        ; implicit-def: $vgpr7
.LBB160_1365:
	s_mov_b32 s12, 0
.LBB160_1366:
	s_delay_alu instid0(SALU_CYCLE_1)
	s_and_b32 vcc_lo, exec_lo, s12
	s_cbranch_vccz .LBB160_1370
; %bb.1367:
	v_cmp_eq_u16_e32 vcc_lo, 29, v4
	s_cbranch_vccz .LBB160_1369
; %bb.1368:
	global_load_b64 v[7:8], v[0:1], off
	s_mov_b32 s0, 0
	s_mov_b32 s11, -1
	s_mov_b32 s12, 0
	s_waitcnt vmcnt(0)
	v_clz_i32_u32_e32 v10, v8
	s_delay_alu instid0(VALU_DEP_1) | instskip(NEXT) | instid1(VALU_DEP_1)
	v_min_u32_e32 v10, 32, v10
	v_lshlrev_b64 v[7:8], v10, v[7:8]
	s_delay_alu instid0(VALU_DEP_1) | instskip(NEXT) | instid1(VALU_DEP_1)
	v_min_u32_e32 v7, 1, v7
	v_or_b32_e32 v7, v8, v7
	v_sub_nc_u32_e32 v8, 32, v10
	s_delay_alu instid0(VALU_DEP_2) | instskip(NEXT) | instid1(VALU_DEP_1)
	v_cvt_f32_u32_e32 v7, v7
	v_ldexp_f32 v7, v7, v8
	s_delay_alu instid0(VALU_DEP_1)
	v_cvt_f16_f32_e32 v7, v7
	s_branch .LBB160_1371
.LBB160_1369:
	s_mov_b32 s0, -1
                                        ; implicit-def: $vgpr7
.LBB160_1370:
	s_mov_b32 s12, 0
.LBB160_1371:
	s_delay_alu instid0(SALU_CYCLE_1)
	s_and_b32 vcc_lo, exec_lo, s12
	s_cbranch_vccz .LBB160_1389
; %bb.1372:
	v_cmp_gt_i16_e32 vcc_lo, 27, v4
	s_cbranch_vccnz .LBB160_1375
; %bb.1373:
	v_cmp_lt_i16_e32 vcc_lo, 27, v4
	s_cbranch_vccz .LBB160_1376
; %bb.1374:
	global_load_b32 v7, v[0:1], off
	s_mov_b32 s11, 0
	s_waitcnt vmcnt(0)
	v_cvt_f32_u32_e32 v7, v7
	s_delay_alu instid0(VALU_DEP_1)
	v_cvt_f16_f32_e32 v7, v7
	s_branch .LBB160_1377
.LBB160_1375:
	s_mov_b32 s11, -1
                                        ; implicit-def: $vgpr7
	s_branch .LBB160_1380
.LBB160_1376:
	s_mov_b32 s11, -1
                                        ; implicit-def: $vgpr7
.LBB160_1377:
	s_delay_alu instid0(SALU_CYCLE_1)
	s_and_not1_b32 vcc_lo, exec_lo, s11
	s_cbranch_vccnz .LBB160_1379
; %bb.1378:
	global_load_u16 v7, v[0:1], off
	s_waitcnt vmcnt(0)
	v_cvt_f16_u16_e32 v7, v7
.LBB160_1379:
	s_mov_b32 s11, 0
.LBB160_1380:
	s_delay_alu instid0(SALU_CYCLE_1)
	s_and_not1_b32 vcc_lo, exec_lo, s11
	s_cbranch_vccnz .LBB160_1388
; %bb.1381:
	global_load_u8 v8, v[0:1], off
	s_mov_b32 s11, 0
	s_mov_b32 s13, exec_lo
                                        ; implicit-def: $sgpr12
	s_waitcnt vmcnt(0)
	v_cmpx_lt_i16_e32 0x7f, v8
	s_xor_b32 s13, exec_lo, s13
	s_cbranch_execz .LBB160_1402
; %bb.1382:
	s_mov_b32 s11, -1
	s_mov_b32 s14, exec_lo
                                        ; implicit-def: $sgpr12
	v_cmpx_eq_u16_e32 0x80, v8
; %bb.1383:
	s_movk_i32 s12, 0x7e00
	s_xor_b32 s11, exec_lo, -1
; %bb.1384:
	s_or_b32 exec_lo, exec_lo, s14
	s_delay_alu instid0(SALU_CYCLE_1)
	s_and_b32 s11, s11, exec_lo
	s_or_saveexec_b32 s13, s13
	v_mov_b32_e32 v7, s12
	s_xor_b32 exec_lo, exec_lo, s13
	s_cbranch_execnz .LBB160_1403
.LBB160_1385:
	s_or_b32 exec_lo, exec_lo, s13
	s_and_saveexec_b32 s12, s11
	s_cbranch_execz .LBB160_1387
.LBB160_1386:
	v_and_b32_e32 v7, 0xffff, v8
	v_lshlrev_b32_e32 v8, 24, v8
	s_delay_alu instid0(VALU_DEP_2) | instskip(NEXT) | instid1(VALU_DEP_2)
	v_and_b32_e32 v10, 7, v7
	v_and_b32_e32 v8, 0x80000000, v8
	s_delay_alu instid0(VALU_DEP_2) | instskip(NEXT) | instid1(VALU_DEP_1)
	v_clz_i32_u32_e32 v11, v10
	v_min_u32_e32 v11, 32, v11
	s_delay_alu instid0(VALU_DEP_1) | instskip(SKIP_1) | instid1(VALU_DEP_2)
	v_subrev_nc_u32_e32 v12, 28, v11
	v_sub_nc_u32_e32 v11, 29, v11
	v_lshlrev_b32_e32 v12, v12, v7
	v_bfe_u32 v7, v7, 3, 4
	s_delay_alu instid0(VALU_DEP_1) | instskip(NEXT) | instid1(VALU_DEP_3)
	v_cmp_eq_u32_e32 vcc_lo, 0, v7
	v_dual_cndmask_b32 v7, v7, v11 :: v_dual_and_b32 v12, 7, v12
	s_delay_alu instid0(VALU_DEP_1) | instskip(NEXT) | instid1(VALU_DEP_2)
	v_cndmask_b32_e32 v10, v10, v12, vcc_lo
	v_lshl_add_u32 v7, v7, 23, 0x3b800000
	s_delay_alu instid0(VALU_DEP_2) | instskip(NEXT) | instid1(VALU_DEP_1)
	v_lshlrev_b32_e32 v10, 20, v10
	v_or3_b32 v7, v8, v7, v10
	s_delay_alu instid0(VALU_DEP_1)
	v_cvt_f16_f32_e32 v7, v7
.LBB160_1387:
	s_or_b32 exec_lo, exec_lo, s12
.LBB160_1388:
	s_mov_b32 s11, -1
.LBB160_1389:
	s_mov_b32 s12, 0
.LBB160_1390:
	s_delay_alu instid0(SALU_CYCLE_1)
	s_and_b32 vcc_lo, exec_lo, s12
	s_cbranch_vccz .LBB160_1423
; %bb.1391:
	v_cmp_lt_i16_e32 vcc_lo, 22, v4
	s_cbranch_vccz .LBB160_1401
; %bb.1392:
	v_cmp_gt_i16_e32 vcc_lo, 24, v4
	s_cbranch_vccnz .LBB160_1404
; %bb.1393:
	v_cmp_lt_i16_e32 vcc_lo, 24, v4
	s_cbranch_vccz .LBB160_1405
; %bb.1394:
	global_load_u8 v8, v[0:1], off
	s_mov_b32 s12, exec_lo
                                        ; implicit-def: $sgpr11
	s_waitcnt vmcnt(0)
	v_cmpx_lt_i16_e32 0x7f, v8
	s_xor_b32 s12, exec_lo, s12
	s_cbranch_execz .LBB160_1417
; %bb.1395:
	s_mov_b32 s3, -1
	s_mov_b32 s13, exec_lo
                                        ; implicit-def: $sgpr11
	v_cmpx_eq_u16_e32 0x80, v8
; %bb.1396:
	s_movk_i32 s11, 0x7e00
	s_xor_b32 s3, exec_lo, -1
; %bb.1397:
	s_or_b32 exec_lo, exec_lo, s13
	s_delay_alu instid0(SALU_CYCLE_1)
	s_and_b32 s3, s3, exec_lo
	s_or_saveexec_b32 s12, s12
	v_mov_b32_e32 v7, s11
	s_xor_b32 exec_lo, exec_lo, s12
	s_cbranch_execnz .LBB160_1418
.LBB160_1398:
	s_or_b32 exec_lo, exec_lo, s12
	s_and_saveexec_b32 s11, s3
	s_cbranch_execz .LBB160_1400
.LBB160_1399:
	v_and_b32_e32 v7, 0xffff, v8
	v_lshlrev_b32_e32 v8, 24, v8
	s_delay_alu instid0(VALU_DEP_2) | instskip(NEXT) | instid1(VALU_DEP_2)
	v_and_b32_e32 v10, 3, v7
	v_and_b32_e32 v8, 0x80000000, v8
	s_delay_alu instid0(VALU_DEP_2) | instskip(NEXT) | instid1(VALU_DEP_1)
	v_clz_i32_u32_e32 v11, v10
	v_min_u32_e32 v11, 32, v11
	s_delay_alu instid0(VALU_DEP_1) | instskip(SKIP_1) | instid1(VALU_DEP_2)
	v_subrev_nc_u32_e32 v12, 29, v11
	v_sub_nc_u32_e32 v11, 30, v11
	v_lshlrev_b32_e32 v12, v12, v7
	v_bfe_u32 v7, v7, 2, 5
	s_delay_alu instid0(VALU_DEP_1) | instskip(NEXT) | instid1(VALU_DEP_3)
	v_cmp_eq_u32_e32 vcc_lo, 0, v7
	v_dual_cndmask_b32 v7, v7, v11 :: v_dual_and_b32 v12, 3, v12
	s_delay_alu instid0(VALU_DEP_1) | instskip(NEXT) | instid1(VALU_DEP_2)
	v_cndmask_b32_e32 v10, v10, v12, vcc_lo
	v_lshl_add_u32 v7, v7, 23, 0x37800000
	s_delay_alu instid0(VALU_DEP_2) | instskip(NEXT) | instid1(VALU_DEP_1)
	v_lshlrev_b32_e32 v10, 21, v10
	v_or3_b32 v7, v8, v7, v10
	s_delay_alu instid0(VALU_DEP_1)
	v_cvt_f16_f32_e32 v7, v7
.LBB160_1400:
	s_or_b32 exec_lo, exec_lo, s11
	s_mov_b32 s3, 0
	s_branch .LBB160_1406
.LBB160_1401:
	s_mov_b32 s3, -1
                                        ; implicit-def: $vgpr7
	s_branch .LBB160_1412
.LBB160_1402:
	s_or_saveexec_b32 s13, s13
	v_mov_b32_e32 v7, s12
	s_xor_b32 exec_lo, exec_lo, s13
	s_cbranch_execz .LBB160_1385
.LBB160_1403:
	v_cmp_ne_u16_e32 vcc_lo, 0, v8
	v_mov_b32_e32 v7, v8
	s_and_not1_b32 s11, s11, exec_lo
	s_and_b32 s12, vcc_lo, exec_lo
	s_delay_alu instid0(SALU_CYCLE_1)
	s_or_b32 s11, s11, s12
	s_or_b32 exec_lo, exec_lo, s13
	s_and_saveexec_b32 s12, s11
	s_cbranch_execnz .LBB160_1386
	s_branch .LBB160_1387
.LBB160_1404:
	s_mov_b32 s3, -1
                                        ; implicit-def: $vgpr7
	s_branch .LBB160_1409
.LBB160_1405:
	s_mov_b32 s3, -1
                                        ; implicit-def: $vgpr7
.LBB160_1406:
	s_delay_alu instid0(SALU_CYCLE_1)
	s_and_b32 vcc_lo, exec_lo, s3
	s_cbranch_vccz .LBB160_1408
; %bb.1407:
	global_load_u8 v7, v[0:1], off
	s_waitcnt vmcnt(0)
	v_lshlrev_b32_e32 v7, 24, v7
	s_delay_alu instid0(VALU_DEP_1) | instskip(NEXT) | instid1(VALU_DEP_1)
	v_and_b32_e32 v8, 0x7f000000, v7
	v_clz_i32_u32_e32 v10, v8
	v_add_nc_u32_e32 v12, 0x1000000, v8
	v_cmp_ne_u32_e32 vcc_lo, 0, v8
	s_delay_alu instid0(VALU_DEP_3) | instskip(NEXT) | instid1(VALU_DEP_1)
	v_min_u32_e32 v10, 32, v10
	v_sub_nc_u32_e64 v10, v10, 4 clamp
	s_delay_alu instid0(VALU_DEP_1) | instskip(SKIP_1) | instid1(VALU_DEP_2)
	v_lshlrev_b32_e32 v11, v10, v8
	v_lshlrev_b32_e32 v10, 23, v10
	v_lshrrev_b32_e32 v11, 4, v11
	s_delay_alu instid0(VALU_DEP_1) | instskip(SKIP_1) | instid1(VALU_DEP_2)
	v_sub_nc_u32_e32 v10, v11, v10
	v_ashrrev_i32_e32 v11, 8, v12
	v_add_nc_u32_e32 v10, 0x3c000000, v10
	s_delay_alu instid0(VALU_DEP_1) | instskip(NEXT) | instid1(VALU_DEP_1)
	v_and_or_b32 v10, 0x7f800000, v11, v10
	v_cndmask_b32_e32 v8, 0, v10, vcc_lo
	s_delay_alu instid0(VALU_DEP_1) | instskip(NEXT) | instid1(VALU_DEP_1)
	v_and_or_b32 v7, 0x80000000, v7, v8
	v_cvt_f16_f32_e32 v7, v7
.LBB160_1408:
	s_mov_b32 s3, 0
.LBB160_1409:
	s_delay_alu instid0(SALU_CYCLE_1)
	s_and_not1_b32 vcc_lo, exec_lo, s3
	s_cbranch_vccnz .LBB160_1411
; %bb.1410:
	global_load_u8 v7, v[0:1], off
	s_waitcnt vmcnt(0)
	v_lshlrev_b32_e32 v8, 25, v7
	v_lshlrev_b16 v7, 8, v7
	s_delay_alu instid0(VALU_DEP_2) | instskip(NEXT) | instid1(VALU_DEP_2)
	v_lshrrev_b32_e32 v10, 4, v8
	v_and_or_b32 v11, 0x7f00, v7, 0.5
	v_cmp_gt_u32_e32 vcc_lo, 0x8000000, v8
	v_bfe_i32 v7, v7, 0, 16
	s_delay_alu instid0(VALU_DEP_4) | instskip(NEXT) | instid1(VALU_DEP_1)
	v_or_b32_e32 v10, 0x70000000, v10
	v_dual_add_f32 v11, -0.5, v11 :: v_dual_mul_f32 v10, 0x7800000, v10
	s_delay_alu instid0(VALU_DEP_1) | instskip(NEXT) | instid1(VALU_DEP_1)
	v_cndmask_b32_e32 v8, v10, v11, vcc_lo
	v_and_or_b32 v7, 0x80000000, v7, v8
	s_delay_alu instid0(VALU_DEP_1)
	v_cvt_f16_f32_e32 v7, v7
.LBB160_1411:
	s_mov_b32 s3, 0
	s_mov_b32 s11, -1
.LBB160_1412:
	s_and_not1_b32 vcc_lo, exec_lo, s3
	s_mov_b32 s3, 0
	s_cbranch_vccnz .LBB160_1423
; %bb.1413:
	v_cmp_lt_i16_e32 vcc_lo, 14, v4
	s_cbranch_vccz .LBB160_1416
; %bb.1414:
	v_cmp_eq_u16_e32 vcc_lo, 15, v4
	s_cbranch_vccz .LBB160_1419
; %bb.1415:
	global_load_u16 v7, v[0:1], off
	s_mov_b32 s0, 0
	s_mov_b32 s11, -1
	s_waitcnt vmcnt(0)
	v_lshlrev_b32_e32 v7, 16, v7
	s_delay_alu instid0(VALU_DEP_1)
	v_cvt_f16_f32_e32 v7, v7
	s_branch .LBB160_1421
.LBB160_1416:
	s_mov_b32 s3, -1
	s_branch .LBB160_1420
.LBB160_1417:
	s_or_saveexec_b32 s12, s12
	v_mov_b32_e32 v7, s11
	s_xor_b32 exec_lo, exec_lo, s12
	s_cbranch_execz .LBB160_1398
.LBB160_1418:
	v_cmp_ne_u16_e32 vcc_lo, 0, v8
	v_mov_b32_e32 v7, v8
	s_and_not1_b32 s3, s3, exec_lo
	s_and_b32 s11, vcc_lo, exec_lo
	s_delay_alu instid0(SALU_CYCLE_1)
	s_or_b32 s3, s3, s11
	s_or_b32 exec_lo, exec_lo, s12
	s_and_saveexec_b32 s11, s3
	s_cbranch_execnz .LBB160_1399
	s_branch .LBB160_1400
.LBB160_1419:
	s_mov_b32 s0, -1
.LBB160_1420:
                                        ; implicit-def: $vgpr7
.LBB160_1421:
	s_and_b32 vcc_lo, exec_lo, s3
	s_mov_b32 s3, 0
	s_cbranch_vccz .LBB160_1423
; %bb.1422:
	v_cmp_ne_u16_e64 s0, 11, v4
	s_mov_b32 s3, -1
                                        ; implicit-def: $vgpr7
.LBB160_1423:
	s_delay_alu instid0(VALU_DEP_1)
	s_and_b32 vcc_lo, exec_lo, s0
	s_cbranch_vccnz .LBB160_1439
; %bb.1424:
	s_and_not1_b32 vcc_lo, exec_lo, s3
	s_cbranch_vccnz .LBB160_1426
.LBB160_1425:
	global_load_u8 v7, v[0:1], off
	s_mov_b32 s11, -1
	s_waitcnt vmcnt(0)
	v_cmp_ne_u16_e32 vcc_lo, 0, v7
	v_cndmask_b32_e64 v7, 0, 0x3c00, vcc_lo
.LBB160_1426:
.LBB160_1427:
	s_and_not1_b32 vcc_lo, exec_lo, s11
	s_cbranch_vccnz .LBB160_1995
.LBB160_1428:
	v_add_nc_u32_e32 v0, s1, v5
	v_cmp_gt_i16_e32 vcc_lo, 11, v4
	s_delay_alu instid0(VALU_DEP_2) | instskip(SKIP_1) | instid1(VALU_DEP_1)
	v_ashrrev_i32_e32 v1, 31, v0
	v_add_co_u32 v0, s0, s6, v0
	v_add_co_ci_u32_e64 v1, s0, s7, v1, s0
	s_cbranch_vccnz .LBB160_1435
; %bb.1429:
	v_cmp_lt_i16_e32 vcc_lo, 25, v4
	s_mov_b32 s1, 0
	s_cbranch_vccz .LBB160_1436
; %bb.1430:
	v_cmp_lt_i16_e32 vcc_lo, 28, v4
	s_cbranch_vccz .LBB160_1437
; %bb.1431:
	v_cmp_lt_i16_e32 vcc_lo, 43, v4
	s_cbranch_vccz .LBB160_1438
; %bb.1432:
	v_cmp_lt_i16_e32 vcc_lo, 45, v4
	s_cbranch_vccz .LBB160_1441
; %bb.1433:
	v_cmp_eq_u16_e32 vcc_lo, 46, v4
	s_mov_b32 s6, 0
	s_cbranch_vccz .LBB160_1444
; %bb.1434:
	global_load_b32 v5, v[0:1], off
	s_mov_b32 s0, 0
	s_mov_b32 s3, -1
	s_waitcnt vmcnt(0)
	v_lshlrev_b32_e32 v5, 16, v5
	s_delay_alu instid0(VALU_DEP_1)
	v_cvt_f16_f32_e32 v8, v5
	s_branch .LBB160_1446
.LBB160_1435:
	s_mov_b32 s0, -1
	s_mov_b32 s3, 0
                                        ; implicit-def: $vgpr8
	s_branch .LBB160_1512
.LBB160_1436:
	s_mov_b32 s6, -1
	s_mov_b32 s3, 0
	s_mov_b32 s0, 0
                                        ; implicit-def: $vgpr8
	s_branch .LBB160_1475
.LBB160_1437:
	s_mov_b32 s6, -1
	s_mov_b32 s3, 0
	s_mov_b32 s0, 0
                                        ; implicit-def: $vgpr8
	s_branch .LBB160_1456
.LBB160_1438:
	s_mov_b32 s6, -1
	s_mov_b32 s3, 0
	s_mov_b32 s0, 0
                                        ; implicit-def: $vgpr8
	s_branch .LBB160_1451
.LBB160_1439:
	s_cbranch_execnz .LBB160_1442
; %bb.1440:
	s_or_b32 s8, s8, exec_lo
                                        ; implicit-def: $vgpr7
	s_cbranch_execz .LBB160_1425
	s_branch .LBB160_1426
.LBB160_1441:
	s_mov_b32 s6, -1
	s_mov_b32 s3, 0
	s_mov_b32 s0, 0
	s_branch .LBB160_1445
.LBB160_1442:
	s_trap 2
	s_sendmsg_rtn_b32 s0, sendmsg(MSG_RTN_GET_DOORBELL)
	s_mov_b32 ttmp2, m0
	s_waitcnt lgkmcnt(0)
	s_and_b32 s0, s0, 0x3ff
	s_delay_alu instid0(SALU_CYCLE_1) | instskip(NEXT) | instid1(SALU_CYCLE_1)
	s_bitset1_b32 s0, 10
	s_mov_b32 m0, s0
	s_sendmsg sendmsg(MSG_INTERRUPT)
	s_mov_b32 m0, ttmp2
.LBB160_1443:                           ; =>This Inner Loop Header: Depth=1
	s_sethalt 5
	s_branch .LBB160_1443
.LBB160_1444:
	s_mov_b32 s0, -1
	s_mov_b32 s3, 0
.LBB160_1445:
                                        ; implicit-def: $vgpr8
.LBB160_1446:
	s_and_b32 vcc_lo, exec_lo, s6
	s_cbranch_vccz .LBB160_1450
; %bb.1447:
	v_cmp_eq_u16_e32 vcc_lo, 44, v4
	s_cbranch_vccz .LBB160_1449
; %bb.1448:
	global_load_u8 v5, v[0:1], off
	s_mov_b32 s0, 0
	s_mov_b32 s3, -1
	s_waitcnt vmcnt(0)
	v_lshlrev_b32_e32 v8, 23, v5
	v_cmp_ne_u32_e32 vcc_lo, 0xff, v5
	s_delay_alu instid0(VALU_DEP_2) | instskip(NEXT) | instid1(VALU_DEP_1)
	v_cvt_f16_f32_e32 v8, v8
	v_cndmask_b32_e32 v8, 0x7e00, v8, vcc_lo
	v_cmp_ne_u32_e32 vcc_lo, 0, v5
	s_delay_alu instid0(VALU_DEP_2)
	v_cndmask_b32_e32 v8, 0, v8, vcc_lo
	s_branch .LBB160_1450
.LBB160_1449:
	s_mov_b32 s0, -1
                                        ; implicit-def: $vgpr8
.LBB160_1450:
	s_mov_b32 s6, 0
.LBB160_1451:
	s_delay_alu instid0(SALU_CYCLE_1)
	s_and_b32 vcc_lo, exec_lo, s6
	s_cbranch_vccz .LBB160_1455
; %bb.1452:
	v_cmp_eq_u16_e32 vcc_lo, 29, v4
	s_cbranch_vccz .LBB160_1454
; %bb.1453:
	global_load_b64 v[10:11], v[0:1], off
	s_mov_b32 s0, 0
	s_mov_b32 s3, -1
	s_mov_b32 s6, 0
	s_waitcnt vmcnt(0)
	v_clz_i32_u32_e32 v5, v11
	s_delay_alu instid0(VALU_DEP_1) | instskip(NEXT) | instid1(VALU_DEP_1)
	v_min_u32_e32 v5, 32, v5
	v_lshlrev_b64 v[10:11], v5, v[10:11]
	v_sub_nc_u32_e32 v5, 32, v5
	s_delay_alu instid0(VALU_DEP_2) | instskip(NEXT) | instid1(VALU_DEP_1)
	v_min_u32_e32 v8, 1, v10
	v_or_b32_e32 v8, v11, v8
	s_delay_alu instid0(VALU_DEP_1) | instskip(NEXT) | instid1(VALU_DEP_1)
	v_cvt_f32_u32_e32 v8, v8
	v_ldexp_f32 v5, v8, v5
	s_delay_alu instid0(VALU_DEP_1)
	v_cvt_f16_f32_e32 v8, v5
	s_branch .LBB160_1456
.LBB160_1454:
	s_mov_b32 s0, -1
                                        ; implicit-def: $vgpr8
.LBB160_1455:
	s_mov_b32 s6, 0
.LBB160_1456:
	s_delay_alu instid0(SALU_CYCLE_1)
	s_and_b32 vcc_lo, exec_lo, s6
	s_cbranch_vccz .LBB160_1474
; %bb.1457:
	v_cmp_gt_i16_e32 vcc_lo, 27, v4
	s_cbranch_vccnz .LBB160_1460
; %bb.1458:
	v_cmp_lt_i16_e32 vcc_lo, 27, v4
	s_cbranch_vccz .LBB160_1461
; %bb.1459:
	global_load_b32 v5, v[0:1], off
	s_mov_b32 s3, 0
	s_waitcnt vmcnt(0)
	v_cvt_f32_u32_e32 v5, v5
	s_delay_alu instid0(VALU_DEP_1)
	v_cvt_f16_f32_e32 v8, v5
	s_branch .LBB160_1462
.LBB160_1460:
	s_mov_b32 s3, -1
                                        ; implicit-def: $vgpr8
	s_branch .LBB160_1465
.LBB160_1461:
	s_mov_b32 s3, -1
                                        ; implicit-def: $vgpr8
.LBB160_1462:
	s_delay_alu instid0(SALU_CYCLE_1)
	s_and_not1_b32 vcc_lo, exec_lo, s3
	s_cbranch_vccnz .LBB160_1464
; %bb.1463:
	global_load_u16 v5, v[0:1], off
	s_waitcnt vmcnt(0)
	v_cvt_f16_u16_e32 v8, v5
.LBB160_1464:
	s_mov_b32 s3, 0
.LBB160_1465:
	s_delay_alu instid0(SALU_CYCLE_1)
	s_and_not1_b32 vcc_lo, exec_lo, s3
	s_cbranch_vccnz .LBB160_1473
; %bb.1466:
	global_load_u8 v5, v[0:1], off
	s_mov_b32 s3, 0
	s_mov_b32 s7, exec_lo
                                        ; implicit-def: $sgpr6
	s_waitcnt vmcnt(0)
	v_cmpx_lt_i16_e32 0x7f, v5
	s_xor_b32 s7, exec_lo, s7
	s_cbranch_execz .LBB160_1487
; %bb.1467:
	s_mov_b32 s3, -1
	s_mov_b32 s11, exec_lo
                                        ; implicit-def: $sgpr6
	v_cmpx_eq_u16_e32 0x80, v5
; %bb.1468:
	s_movk_i32 s6, 0x7e00
	s_xor_b32 s3, exec_lo, -1
; %bb.1469:
	s_or_b32 exec_lo, exec_lo, s11
	s_delay_alu instid0(SALU_CYCLE_1)
	s_and_b32 s3, s3, exec_lo
	s_or_saveexec_b32 s7, s7
	v_mov_b32_e32 v8, s6
	s_xor_b32 exec_lo, exec_lo, s7
	s_cbranch_execnz .LBB160_1488
.LBB160_1470:
	s_or_b32 exec_lo, exec_lo, s7
	s_and_saveexec_b32 s6, s3
	s_cbranch_execz .LBB160_1472
.LBB160_1471:
	v_and_b32_e32 v8, 0xffff, v5
	s_delay_alu instid0(VALU_DEP_1) | instskip(NEXT) | instid1(VALU_DEP_1)
	v_and_b32_e32 v10, 7, v8
	v_clz_i32_u32_e32 v11, v10
	s_delay_alu instid0(VALU_DEP_1) | instskip(NEXT) | instid1(VALU_DEP_1)
	v_min_u32_e32 v11, 32, v11
	v_subrev_nc_u32_e32 v12, 28, v11
	v_sub_nc_u32_e32 v11, 29, v11
	s_delay_alu instid0(VALU_DEP_2) | instskip(SKIP_1) | instid1(VALU_DEP_2)
	v_lshlrev_b32_e32 v12, v12, v8
	v_bfe_u32 v8, v8, 3, 4
	v_and_b32_e32 v12, 7, v12
	s_delay_alu instid0(VALU_DEP_2) | instskip(SKIP_1) | instid1(VALU_DEP_1)
	v_cmp_eq_u32_e32 vcc_lo, 0, v8
	v_dual_cndmask_b32 v8, v8, v11 :: v_dual_lshlrev_b32 v5, 24, v5
	v_dual_cndmask_b32 v10, v10, v12 :: v_dual_and_b32 v5, 0x80000000, v5
	s_delay_alu instid0(VALU_DEP_2) | instskip(NEXT) | instid1(VALU_DEP_2)
	v_lshl_add_u32 v8, v8, 23, 0x3b800000
	v_lshlrev_b32_e32 v10, 20, v10
	s_delay_alu instid0(VALU_DEP_1) | instskip(NEXT) | instid1(VALU_DEP_1)
	v_or3_b32 v5, v5, v8, v10
	v_cvt_f16_f32_e32 v8, v5
.LBB160_1472:
	s_or_b32 exec_lo, exec_lo, s6
.LBB160_1473:
	s_mov_b32 s3, -1
.LBB160_1474:
	s_mov_b32 s6, 0
.LBB160_1475:
	s_delay_alu instid0(SALU_CYCLE_1)
	s_and_b32 vcc_lo, exec_lo, s6
	s_cbranch_vccz .LBB160_1508
; %bb.1476:
	v_cmp_lt_i16_e32 vcc_lo, 22, v4
	s_cbranch_vccz .LBB160_1486
; %bb.1477:
	v_cmp_gt_i16_e32 vcc_lo, 24, v4
	s_cbranch_vccnz .LBB160_1489
; %bb.1478:
	v_cmp_lt_i16_e32 vcc_lo, 24, v4
	s_cbranch_vccz .LBB160_1490
; %bb.1479:
	global_load_u8 v5, v[0:1], off
	s_mov_b32 s6, exec_lo
                                        ; implicit-def: $sgpr3
	s_waitcnt vmcnt(0)
	v_cmpx_lt_i16_e32 0x7f, v5
	s_xor_b32 s6, exec_lo, s6
	s_cbranch_execz .LBB160_1502
; %bb.1480:
	s_mov_b32 s1, -1
	s_mov_b32 s7, exec_lo
                                        ; implicit-def: $sgpr3
	v_cmpx_eq_u16_e32 0x80, v5
; %bb.1481:
	s_movk_i32 s3, 0x7e00
	s_xor_b32 s1, exec_lo, -1
; %bb.1482:
	s_or_b32 exec_lo, exec_lo, s7
	s_delay_alu instid0(SALU_CYCLE_1)
	s_and_b32 s1, s1, exec_lo
	s_or_saveexec_b32 s6, s6
	v_mov_b32_e32 v8, s3
	s_xor_b32 exec_lo, exec_lo, s6
	s_cbranch_execnz .LBB160_1503
.LBB160_1483:
	s_or_b32 exec_lo, exec_lo, s6
	s_and_saveexec_b32 s3, s1
	s_cbranch_execz .LBB160_1485
.LBB160_1484:
	v_and_b32_e32 v8, 0xffff, v5
	s_delay_alu instid0(VALU_DEP_1) | instskip(NEXT) | instid1(VALU_DEP_1)
	v_and_b32_e32 v10, 3, v8
	v_clz_i32_u32_e32 v11, v10
	s_delay_alu instid0(VALU_DEP_1) | instskip(NEXT) | instid1(VALU_DEP_1)
	v_min_u32_e32 v11, 32, v11
	v_subrev_nc_u32_e32 v12, 29, v11
	v_sub_nc_u32_e32 v11, 30, v11
	s_delay_alu instid0(VALU_DEP_2) | instskip(SKIP_1) | instid1(VALU_DEP_2)
	v_lshlrev_b32_e32 v12, v12, v8
	v_bfe_u32 v8, v8, 2, 5
	v_and_b32_e32 v12, 3, v12
	s_delay_alu instid0(VALU_DEP_2) | instskip(SKIP_1) | instid1(VALU_DEP_1)
	v_cmp_eq_u32_e32 vcc_lo, 0, v8
	v_dual_cndmask_b32 v8, v8, v11 :: v_dual_lshlrev_b32 v5, 24, v5
	v_dual_cndmask_b32 v10, v10, v12 :: v_dual_and_b32 v5, 0x80000000, v5
	s_delay_alu instid0(VALU_DEP_2) | instskip(NEXT) | instid1(VALU_DEP_2)
	v_lshl_add_u32 v8, v8, 23, 0x37800000
	v_lshlrev_b32_e32 v10, 21, v10
	s_delay_alu instid0(VALU_DEP_1) | instskip(NEXT) | instid1(VALU_DEP_1)
	v_or3_b32 v5, v5, v8, v10
	v_cvt_f16_f32_e32 v8, v5
.LBB160_1485:
	s_or_b32 exec_lo, exec_lo, s3
	s_mov_b32 s1, 0
	s_branch .LBB160_1491
.LBB160_1486:
	s_mov_b32 s1, -1
                                        ; implicit-def: $vgpr8
	s_branch .LBB160_1497
.LBB160_1487:
	s_or_saveexec_b32 s7, s7
	v_mov_b32_e32 v8, s6
	s_xor_b32 exec_lo, exec_lo, s7
	s_cbranch_execz .LBB160_1470
.LBB160_1488:
	v_cmp_ne_u16_e32 vcc_lo, 0, v5
	v_mov_b32_e32 v8, v5
	s_and_not1_b32 s3, s3, exec_lo
	s_and_b32 s6, vcc_lo, exec_lo
	s_delay_alu instid0(SALU_CYCLE_1)
	s_or_b32 s3, s3, s6
	s_or_b32 exec_lo, exec_lo, s7
	s_and_saveexec_b32 s6, s3
	s_cbranch_execnz .LBB160_1471
	s_branch .LBB160_1472
.LBB160_1489:
	s_mov_b32 s1, -1
                                        ; implicit-def: $vgpr8
	s_branch .LBB160_1494
.LBB160_1490:
	s_mov_b32 s1, -1
                                        ; implicit-def: $vgpr8
.LBB160_1491:
	s_delay_alu instid0(SALU_CYCLE_1)
	s_and_b32 vcc_lo, exec_lo, s1
	s_cbranch_vccz .LBB160_1493
; %bb.1492:
	global_load_u8 v5, v[0:1], off
	s_waitcnt vmcnt(0)
	v_lshlrev_b32_e32 v5, 24, v5
	s_delay_alu instid0(VALU_DEP_1) | instskip(NEXT) | instid1(VALU_DEP_1)
	v_and_b32_e32 v8, 0x7f000000, v5
	v_clz_i32_u32_e32 v10, v8
	v_add_nc_u32_e32 v12, 0x1000000, v8
	v_cmp_ne_u32_e32 vcc_lo, 0, v8
	s_delay_alu instid0(VALU_DEP_3) | instskip(NEXT) | instid1(VALU_DEP_1)
	v_min_u32_e32 v10, 32, v10
	v_sub_nc_u32_e64 v10, v10, 4 clamp
	s_delay_alu instid0(VALU_DEP_1) | instskip(SKIP_1) | instid1(VALU_DEP_2)
	v_lshlrev_b32_e32 v11, v10, v8
	v_lshlrev_b32_e32 v10, 23, v10
	v_lshrrev_b32_e32 v11, 4, v11
	s_delay_alu instid0(VALU_DEP_1) | instskip(SKIP_1) | instid1(VALU_DEP_2)
	v_sub_nc_u32_e32 v10, v11, v10
	v_ashrrev_i32_e32 v11, 8, v12
	v_add_nc_u32_e32 v10, 0x3c000000, v10
	s_delay_alu instid0(VALU_DEP_1) | instskip(NEXT) | instid1(VALU_DEP_1)
	v_and_or_b32 v10, 0x7f800000, v11, v10
	v_cndmask_b32_e32 v8, 0, v10, vcc_lo
	s_delay_alu instid0(VALU_DEP_1) | instskip(NEXT) | instid1(VALU_DEP_1)
	v_and_or_b32 v5, 0x80000000, v5, v8
	v_cvt_f16_f32_e32 v8, v5
.LBB160_1493:
	s_mov_b32 s1, 0
.LBB160_1494:
	s_delay_alu instid0(SALU_CYCLE_1)
	s_and_not1_b32 vcc_lo, exec_lo, s1
	s_cbranch_vccnz .LBB160_1496
; %bb.1495:
	global_load_u8 v5, v[0:1], off
	s_waitcnt vmcnt(0)
	v_lshlrev_b32_e32 v8, 25, v5
	v_lshlrev_b16 v5, 8, v5
	s_delay_alu instid0(VALU_DEP_1) | instskip(SKIP_1) | instid1(VALU_DEP_2)
	v_and_or_b32 v11, 0x7f00, v5, 0.5
	v_bfe_i32 v5, v5, 0, 16
	v_add_f32_e32 v11, -0.5, v11
	v_lshrrev_b32_e32 v10, 4, v8
	v_cmp_gt_u32_e32 vcc_lo, 0x8000000, v8
	s_delay_alu instid0(VALU_DEP_2) | instskip(NEXT) | instid1(VALU_DEP_1)
	v_or_b32_e32 v10, 0x70000000, v10
	v_mul_f32_e32 v10, 0x7800000, v10
	s_delay_alu instid0(VALU_DEP_1) | instskip(NEXT) | instid1(VALU_DEP_1)
	v_cndmask_b32_e32 v8, v10, v11, vcc_lo
	v_and_or_b32 v5, 0x80000000, v5, v8
	s_delay_alu instid0(VALU_DEP_1)
	v_cvt_f16_f32_e32 v8, v5
.LBB160_1496:
	s_mov_b32 s1, 0
	s_mov_b32 s3, -1
.LBB160_1497:
	s_and_not1_b32 vcc_lo, exec_lo, s1
	s_mov_b32 s1, 0
	s_cbranch_vccnz .LBB160_1508
; %bb.1498:
	v_cmp_lt_i16_e32 vcc_lo, 14, v4
	s_cbranch_vccz .LBB160_1501
; %bb.1499:
	v_cmp_eq_u16_e32 vcc_lo, 15, v4
	s_cbranch_vccz .LBB160_1504
; %bb.1500:
	global_load_u16 v5, v[0:1], off
	s_mov_b32 s0, 0
	s_mov_b32 s3, -1
	s_waitcnt vmcnt(0)
	v_lshlrev_b32_e32 v5, 16, v5
	s_delay_alu instid0(VALU_DEP_1)
	v_cvt_f16_f32_e32 v8, v5
	s_branch .LBB160_1506
.LBB160_1501:
	s_mov_b32 s1, -1
	s_branch .LBB160_1505
.LBB160_1502:
	s_or_saveexec_b32 s6, s6
	v_mov_b32_e32 v8, s3
	s_xor_b32 exec_lo, exec_lo, s6
	s_cbranch_execz .LBB160_1483
.LBB160_1503:
	v_cmp_ne_u16_e32 vcc_lo, 0, v5
	v_mov_b32_e32 v8, v5
	s_and_not1_b32 s1, s1, exec_lo
	s_and_b32 s3, vcc_lo, exec_lo
	s_delay_alu instid0(SALU_CYCLE_1)
	s_or_b32 s1, s1, s3
	s_or_b32 exec_lo, exec_lo, s6
	s_and_saveexec_b32 s3, s1
	s_cbranch_execnz .LBB160_1484
	s_branch .LBB160_1485
.LBB160_1504:
	s_mov_b32 s0, -1
.LBB160_1505:
                                        ; implicit-def: $vgpr8
.LBB160_1506:
	s_and_b32 vcc_lo, exec_lo, s1
	s_mov_b32 s1, 0
	s_cbranch_vccz .LBB160_1508
; %bb.1507:
	v_cmp_ne_u16_e64 s0, 11, v4
	s_mov_b32 s1, -1
                                        ; implicit-def: $vgpr8
.LBB160_1508:
	s_delay_alu instid0(VALU_DEP_1)
	s_and_b32 vcc_lo, exec_lo, s0
	s_cbranch_vccnz .LBB160_2041
; %bb.1509:
	s_and_not1_b32 vcc_lo, exec_lo, s1
	s_cbranch_vccnz .LBB160_1511
.LBB160_1510:
	global_load_u8 v5, v[0:1], off
	s_mov_b32 s3, -1
	s_waitcnt vmcnt(0)
	v_cmp_ne_u16_e32 vcc_lo, 0, v5
	v_cndmask_b32_e64 v8, 0, 0x3c00, vcc_lo
.LBB160_1511:
	s_mov_b32 s0, 0
.LBB160_1512:
	s_delay_alu instid0(SALU_CYCLE_1)
	s_and_b32 vcc_lo, exec_lo, s0
	s_cbranch_vccz .LBB160_1561
; %bb.1513:
	v_cmp_gt_i16_e32 vcc_lo, 5, v4
	s_cbranch_vccnz .LBB160_1518
; %bb.1514:
	v_cmp_gt_i16_e32 vcc_lo, 8, v4
	s_cbranch_vccnz .LBB160_1519
	;; [unrolled: 3-line block ×3, first 2 shown]
; %bb.1516:
	v_cmp_lt_i16_e32 vcc_lo, 9, v4
	s_cbranch_vccz .LBB160_1521
; %bb.1517:
	global_load_b64 v[10:11], v[0:1], off
	s_mov_b32 s0, 0
	s_waitcnt vmcnt(0)
	v_cvt_f32_f64_e32 v5, v[10:11]
	s_delay_alu instid0(VALU_DEP_1)
	v_cvt_f16_f32_e32 v8, v5
	s_branch .LBB160_1522
.LBB160_1518:
	s_mov_b32 s0, -1
                                        ; implicit-def: $vgpr8
	s_branch .LBB160_1540
.LBB160_1519:
	s_mov_b32 s0, -1
                                        ; implicit-def: $vgpr8
	s_branch .LBB160_1528
.LBB160_1520:
	s_mov_b32 s0, -1
                                        ; implicit-def: $vgpr8
	s_branch .LBB160_1525
.LBB160_1521:
	s_mov_b32 s0, -1
                                        ; implicit-def: $vgpr8
.LBB160_1522:
	s_delay_alu instid0(SALU_CYCLE_1)
	s_and_not1_b32 vcc_lo, exec_lo, s0
	s_cbranch_vccnz .LBB160_1524
; %bb.1523:
	global_load_b32 v5, v[0:1], off
	s_waitcnt vmcnt(0)
	v_cvt_f16_f32_e32 v8, v5
.LBB160_1524:
	s_mov_b32 s0, 0
.LBB160_1525:
	s_delay_alu instid0(SALU_CYCLE_1)
	s_and_not1_b32 vcc_lo, exec_lo, s0
	s_cbranch_vccnz .LBB160_1527
; %bb.1526:
	global_load_b32 v8, v[0:1], off
.LBB160_1527:
	s_mov_b32 s0, 0
.LBB160_1528:
	s_delay_alu instid0(SALU_CYCLE_1)
	s_and_not1_b32 vcc_lo, exec_lo, s0
	s_cbranch_vccnz .LBB160_1539
; %bb.1529:
	v_cmp_gt_i16_e32 vcc_lo, 6, v4
	s_cbranch_vccnz .LBB160_1532
; %bb.1530:
	v_cmp_lt_i16_e32 vcc_lo, 6, v4
	s_cbranch_vccz .LBB160_1533
; %bb.1531:
	global_load_b64 v[10:11], v[0:1], off
	s_mov_b32 s0, 0
	s_waitcnt vmcnt(0)
	v_cvt_f32_f64_e32 v5, v[10:11]
	s_delay_alu instid0(VALU_DEP_1)
	v_cvt_f16_f32_e32 v8, v5
	s_branch .LBB160_1534
.LBB160_1532:
	s_mov_b32 s0, -1
                                        ; implicit-def: $vgpr8
	s_branch .LBB160_1537
.LBB160_1533:
	s_mov_b32 s0, -1
                                        ; implicit-def: $vgpr8
.LBB160_1534:
	s_delay_alu instid0(SALU_CYCLE_1)
	s_and_not1_b32 vcc_lo, exec_lo, s0
	s_cbranch_vccnz .LBB160_1536
; %bb.1535:
	global_load_b32 v5, v[0:1], off
	s_waitcnt vmcnt(0)
	v_cvt_f16_f32_e32 v8, v5
.LBB160_1536:
	s_mov_b32 s0, 0
.LBB160_1537:
	s_delay_alu instid0(SALU_CYCLE_1)
	s_and_not1_b32 vcc_lo, exec_lo, s0
	s_cbranch_vccnz .LBB160_1539
; %bb.1538:
	global_load_u16 v8, v[0:1], off
.LBB160_1539:
	s_mov_b32 s0, 0
.LBB160_1540:
	s_delay_alu instid0(SALU_CYCLE_1)
	s_and_not1_b32 vcc_lo, exec_lo, s0
	s_cbranch_vccnz .LBB160_1560
; %bb.1541:
	v_cmp_gt_i16_e32 vcc_lo, 2, v4
	s_cbranch_vccnz .LBB160_1545
; %bb.1542:
	v_cmp_gt_i16_e32 vcc_lo, 3, v4
	s_cbranch_vccnz .LBB160_1546
; %bb.1543:
	v_cmp_lt_i16_e32 vcc_lo, 3, v4
	s_cbranch_vccz .LBB160_1547
; %bb.1544:
	global_load_b64 v[10:11], v[0:1], off
	s_mov_b32 s0, 0
	s_waitcnt vmcnt(0)
	v_xor_b32_e32 v5, v10, v11
	v_cls_i32_e32 v8, v11
	s_delay_alu instid0(VALU_DEP_2) | instskip(NEXT) | instid1(VALU_DEP_2)
	v_ashrrev_i32_e32 v5, 31, v5
	v_add_nc_u32_e32 v8, -1, v8
	s_delay_alu instid0(VALU_DEP_2) | instskip(NEXT) | instid1(VALU_DEP_1)
	v_add_nc_u32_e32 v5, 32, v5
	v_min_u32_e32 v5, v8, v5
	s_delay_alu instid0(VALU_DEP_1) | instskip(SKIP_1) | instid1(VALU_DEP_2)
	v_lshlrev_b64 v[10:11], v5, v[10:11]
	v_sub_nc_u32_e32 v5, 32, v5
	v_min_u32_e32 v8, 1, v10
	s_delay_alu instid0(VALU_DEP_1) | instskip(NEXT) | instid1(VALU_DEP_1)
	v_or_b32_e32 v8, v11, v8
	v_cvt_f32_i32_e32 v8, v8
	s_delay_alu instid0(VALU_DEP_1) | instskip(NEXT) | instid1(VALU_DEP_1)
	v_ldexp_f32 v5, v8, v5
	v_cvt_f16_f32_e32 v8, v5
	s_branch .LBB160_1548
.LBB160_1545:
	s_mov_b32 s0, -1
                                        ; implicit-def: $vgpr8
	s_branch .LBB160_1554
.LBB160_1546:
	s_mov_b32 s0, -1
                                        ; implicit-def: $vgpr8
	s_branch .LBB160_1551
.LBB160_1547:
	s_mov_b32 s0, -1
                                        ; implicit-def: $vgpr8
.LBB160_1548:
	s_delay_alu instid0(SALU_CYCLE_1)
	s_and_not1_b32 vcc_lo, exec_lo, s0
	s_cbranch_vccnz .LBB160_1550
; %bb.1549:
	global_load_b32 v5, v[0:1], off
	s_waitcnt vmcnt(0)
	v_cvt_f32_i32_e32 v5, v5
	s_delay_alu instid0(VALU_DEP_1)
	v_cvt_f16_f32_e32 v8, v5
.LBB160_1550:
	s_mov_b32 s0, 0
.LBB160_1551:
	s_delay_alu instid0(SALU_CYCLE_1)
	s_and_not1_b32 vcc_lo, exec_lo, s0
	s_cbranch_vccnz .LBB160_1553
; %bb.1552:
	global_load_u16 v5, v[0:1], off
	s_waitcnt vmcnt(0)
	v_cvt_f16_i16_e32 v8, v5
.LBB160_1553:
	s_mov_b32 s0, 0
.LBB160_1554:
	s_delay_alu instid0(SALU_CYCLE_1)
	s_and_not1_b32 vcc_lo, exec_lo, s0
	s_cbranch_vccnz .LBB160_1560
; %bb.1555:
	v_cmp_lt_i16_e32 vcc_lo, 0, v4
	s_mov_b32 s0, 0
	s_cbranch_vccz .LBB160_1557
; %bb.1556:
	global_load_i8 v4, v[0:1], off
	s_waitcnt vmcnt(0)
	v_cvt_f16_i16_e32 v8, v4
	s_branch .LBB160_1558
.LBB160_1557:
	s_mov_b32 s0, -1
                                        ; implicit-def: $vgpr8
.LBB160_1558:
	s_delay_alu instid0(SALU_CYCLE_1)
	s_and_not1_b32 vcc_lo, exec_lo, s0
	s_cbranch_vccnz .LBB160_1560
; %bb.1559:
	global_load_u8 v0, v[0:1], off
	s_waitcnt vmcnt(0)
	v_cvt_f16_u16_e32 v8, v0
.LBB160_1560:
	s_mov_b32 s3, -1
.LBB160_1561:
	s_delay_alu instid0(SALU_CYCLE_1)
	s_and_not1_b32 vcc_lo, exec_lo, s3
	s_cbranch_vccnz .LBB160_1995
; %bb.1562:
	s_waitcnt vmcnt(0)
	v_cvt_f32_f16_e32 v0, v9
	s_mov_b32 s0, 0xbf317218
	v_mul_lo_u32 v3, s2, v3
	s_delay_alu instid0(VALU_DEP_2) | instskip(NEXT) | instid1(VALU_DEP_1)
	v_mul_f32_e32 v1, 0x3fb8aa3b, v0
	v_rndne_f32_e32 v1, v1
	s_delay_alu instid0(VALU_DEP_1) | instskip(SKIP_3) | instid1(VALU_DEP_3)
	v_fma_mix_f32 v4, v1, s0, v9 op_sel_hi:[0,0,1]
	v_cvt_i32_f32_e32 v10, v1
	v_cmp_eq_f32_e32 vcc_lo, 0x43000000, v1
	s_mov_b32 s0, 0x395133b1
	v_fmamk_f32 v4, v1, 0x3102e308, v4
	s_delay_alu instid0(VALU_DEP_3) | instskip(NEXT) | instid1(VALU_DEP_1)
	v_cndmask_b32_e64 v1, v10, 0x7f, vcc_lo
	v_ldexp_f32 v1, 1.0, v1
	s_delay_alu instid0(VALU_DEP_1) | instskip(NEXT) | instid1(VALU_DEP_1)
	v_dual_fmaak_f32 v5, s0, v4, 0x3ab69700 :: v_dual_add_f32 v10, -1.0, v1
	v_fmaak_f32 v5, v4, v5, 0x3c0887f9
	s_delay_alu instid0(VALU_DEP_1) | instskip(NEXT) | instid1(VALU_DEP_1)
	v_fmaak_f32 v5, v4, v5, 0x3d2aaa81
	v_fmaak_f32 v5, v4, v5, 0x3e2aaaab
	s_delay_alu instid0(VALU_DEP_1) | instskip(NEXT) | instid1(VALU_DEP_1)
	v_fma_f32 v5, v4, v5, 0.5
	v_mul_f32_e32 v5, v4, v5
	s_delay_alu instid0(VALU_DEP_1) | instskip(NEXT) | instid1(VALU_DEP_1)
	v_dual_fmac_f32 v4, v4, v5 :: v_dual_and_b32 v5, 0xff, v2
	v_fmac_f32_e32 v10, v1, v4
	s_delay_alu instid0(VALU_DEP_1) | instskip(NEXT) | instid1(VALU_DEP_1)
	v_add_f32_e32 v1, v10, v10
	v_cndmask_b32_e32 v1, v10, v1, vcc_lo
	v_cmp_nlt_f32_e32 vcc_lo, 0x42b17217, v0
	s_delay_alu instid0(VALU_DEP_2) | instskip(SKIP_2) | instid1(VALU_DEP_3)
	v_cndmask_b32_e32 v0, 0x7f800000, v1, vcc_lo
	v_ashrrev_i32_e32 v1, 31, v3
	v_cmp_gt_i16_e32 vcc_lo, 11, v5
	v_cvt_f16_f32_e32 v4, v0
	v_add_co_u32 v0, s0, s4, v3
	s_delay_alu instid0(VALU_DEP_1) | instskip(SKIP_1) | instid1(VALU_DEP_1)
	v_add_co_ci_u32_e64 v1, s0, s5, v1, s0
	v_cmp_gt_f16_e64 s0, 0xcc40, v9
	v_cndmask_b32_e64 v2, v4, 0xbc00, s0
	s_cbranch_vccnz .LBB160_1640
; %bb.1563:
	v_cmp_lt_i16_e32 vcc_lo, 25, v5
	s_mov_b32 s7, -1
	s_mov_b32 s3, 0
	s_mov_b32 s6, 0
	;; [unrolled: 1-line block ×3, first 2 shown]
	s_cbranch_vccz .LBB160_1596
; %bb.1564:
	v_cmp_lt_i16_e32 vcc_lo, 28, v5
	s_cbranch_vccz .LBB160_1579
; %bb.1565:
	v_cmp_lt_i16_e32 vcc_lo, 43, v5
	;; [unrolled: 3-line block ×3, first 2 shown]
	s_cbranch_vccz .LBB160_1569
; %bb.1567:
	v_cmp_eq_u16_e32 vcc_lo, 46, v5
	s_mov_b32 s1, -1
	s_mov_b32 s7, 0
	s_cbranch_vccz .LBB160_1569
; %bb.1568:
	v_cvt_f32_f16_e32 v9, v2
	v_cmp_o_f16_e32 vcc_lo, v2, v2
	s_mov_b32 s1, 0
	s_mov_b32 s6, -1
	s_delay_alu instid0(VALU_DEP_2) | instskip(NEXT) | instid1(VALU_DEP_1)
	v_bfe_u32 v10, v9, 16, 1
	v_add3_u32 v9, v9, v10, 0x7fff
	s_delay_alu instid0(VALU_DEP_1) | instskip(NEXT) | instid1(VALU_DEP_1)
	v_lshrrev_b32_e32 v9, 16, v9
	v_cndmask_b32_e32 v9, 0x7fc0, v9, vcc_lo
	global_store_b32 v[0:1], v9, off
.LBB160_1569:
	s_and_b32 vcc_lo, exec_lo, s7
	s_cbranch_vccz .LBB160_1574
; %bb.1570:
	v_cmp_eq_u16_e32 vcc_lo, 44, v5
	s_mov_b32 s1, -1
	s_cbranch_vccz .LBB160_1574
; %bb.1571:
	v_cvt_f32_f16_e32 v9, v2
	v_mov_b32_e32 v10, 0xff
	s_mov_b32 s6, exec_lo
	s_delay_alu instid0(VALU_DEP_2) | instskip(NEXT) | instid1(VALU_DEP_1)
	v_bfe_u32 v11, v9, 23, 8
	v_cmpx_ne_u32_e32 0xff, v11
; %bb.1572:
	v_and_b32_e32 v10, 0x400000, v9
	v_and_or_b32 v11, 0x3fffff, v9, v11
	v_lshrrev_b32_e32 v9, 23, v9
	s_delay_alu instid0(VALU_DEP_3) | instskip(NEXT) | instid1(VALU_DEP_3)
	v_cmp_ne_u32_e32 vcc_lo, 0, v10
	v_cmp_ne_u32_e64 s1, 0, v11
	s_delay_alu instid0(VALU_DEP_1) | instskip(NEXT) | instid1(SALU_CYCLE_1)
	s_and_b32 s1, vcc_lo, s1
	v_cndmask_b32_e64 v10, 0, 1, s1
	s_delay_alu instid0(VALU_DEP_1)
	v_add_nc_u32_e32 v10, v9, v10
; %bb.1573:
	s_or_b32 exec_lo, exec_lo, s6
	s_mov_b32 s1, 0
	s_mov_b32 s6, -1
	global_store_b8 v[0:1], v10, off
.LBB160_1574:
	s_mov_b32 s7, 0
.LBB160_1575:
	s_delay_alu instid0(SALU_CYCLE_1)
	s_and_b32 vcc_lo, exec_lo, s7
	s_cbranch_vccz .LBB160_1578
; %bb.1576:
	v_cmp_eq_u16_e32 vcc_lo, 29, v5
	s_mov_b32 s1, -1
	s_cbranch_vccz .LBB160_1578
; %bb.1577:
	v_cvt_f32_f16_e32 v9, v2
	v_mov_b32_e32 v10, 0
	s_mov_b32 s1, 0
	s_mov_b32 s6, -1
	s_delay_alu instid0(VALU_DEP_2)
	v_cvt_u32_f32_e32 v9, v9
	global_store_b64 v[0:1], v[9:10], off
.LBB160_1578:
	s_mov_b32 s7, 0
.LBB160_1579:
	s_delay_alu instid0(SALU_CYCLE_1)
	s_and_b32 vcc_lo, exec_lo, s7
	s_cbranch_vccz .LBB160_1595
; %bb.1580:
	v_cmp_gt_i16_e32 vcc_lo, 27, v5
	s_mov_b32 s6, -1
	s_cbranch_vccnz .LBB160_1586
; %bb.1581:
	v_cmp_lt_i16_e32 vcc_lo, 27, v5
	s_cbranch_vccz .LBB160_1583
; %bb.1582:
	v_cvt_f32_f16_e32 v9, v2
	s_mov_b32 s6, 0
	s_delay_alu instid0(VALU_DEP_1)
	v_cvt_u32_f32_e32 v9, v9
	global_store_b32 v[0:1], v9, off
.LBB160_1583:
	s_and_not1_b32 vcc_lo, exec_lo, s6
	s_cbranch_vccnz .LBB160_1585
; %bb.1584:
	v_cvt_u16_f16_e32 v9, v2
	global_store_b16 v[0:1], v9, off
.LBB160_1585:
	s_mov_b32 s6, 0
.LBB160_1586:
	s_delay_alu instid0(SALU_CYCLE_1)
	s_and_not1_b32 vcc_lo, exec_lo, s6
	s_cbranch_vccnz .LBB160_1594
; %bb.1587:
	v_cvt_f32_f16_e32 v9, v2
	v_mov_b32_e32 v11, 0x80
	s_mov_b32 s6, exec_lo
	s_delay_alu instid0(VALU_DEP_2) | instskip(NEXT) | instid1(VALU_DEP_1)
	v_and_b32_e32 v10, 0x7fffffff, v9
	v_cmpx_gt_u32_e32 0x43800000, v10
	s_cbranch_execz .LBB160_1593
; %bb.1588:
	v_cmp_lt_u32_e32 vcc_lo, 0x3bffffff, v10
	s_mov_b32 s7, 0
                                        ; implicit-def: $vgpr10
	s_and_saveexec_b32 s11, vcc_lo
	s_delay_alu instid0(SALU_CYCLE_1)
	s_xor_b32 s11, exec_lo, s11
	s_cbranch_execz .LBB160_2043
; %bb.1589:
	v_bfe_u32 v10, v9, 20, 1
	s_mov_b32 s7, exec_lo
	s_delay_alu instid0(VALU_DEP_1) | instskip(NEXT) | instid1(VALU_DEP_1)
	v_add3_u32 v10, v9, v10, 0x487ffff
	v_lshrrev_b32_e32 v10, 20, v10
	s_or_saveexec_b32 s11, s11
                                        ; implicit-def: $sgpr12
	s_delay_alu instid0(SALU_CYCLE_1)
	s_xor_b32 exec_lo, exec_lo, s11
	s_cbranch_execnz .LBB160_2044
.LBB160_1590:
	s_or_b32 exec_lo, exec_lo, s11
	v_mov_b32_e32 v11, s12
	s_and_saveexec_b32 s11, s7
.LBB160_1591:
	v_lshrrev_b32_e32 v9, 24, v9
	s_delay_alu instid0(VALU_DEP_1)
	v_and_or_b32 v11, 0x80, v9, v10
.LBB160_1592:
	s_or_b32 exec_lo, exec_lo, s11
.LBB160_1593:
	s_delay_alu instid0(SALU_CYCLE_1)
	s_or_b32 exec_lo, exec_lo, s6
	global_store_b8 v[0:1], v11, off
.LBB160_1594:
	s_mov_b32 s6, -1
.LBB160_1595:
	s_mov_b32 s7, 0
.LBB160_1596:
	s_delay_alu instid0(SALU_CYCLE_1)
	s_and_b32 vcc_lo, exec_lo, s7
	s_cbranch_vccz .LBB160_1636
; %bb.1597:
	v_cmp_lt_i16_e32 vcc_lo, 22, v5
	s_mov_b32 s3, -1
	s_cbranch_vccz .LBB160_1629
; %bb.1598:
	v_cmp_gt_i16_e32 vcc_lo, 24, v5
	s_cbranch_vccnz .LBB160_1618
; %bb.1599:
	v_cmp_lt_i16_e32 vcc_lo, 24, v5
	s_cbranch_vccz .LBB160_1607
; %bb.1600:
	v_cvt_f32_f16_e32 v9, v2
	v_mov_b32_e32 v11, 0x80
	s_mov_b32 s3, exec_lo
	s_delay_alu instid0(VALU_DEP_2) | instskip(NEXT) | instid1(VALU_DEP_1)
	v_and_b32_e32 v10, 0x7fffffff, v9
	v_cmpx_gt_u32_e32 0x47800000, v10
	s_cbranch_execz .LBB160_1606
; %bb.1601:
	v_cmp_lt_u32_e32 vcc_lo, 0x37ffffff, v10
	s_mov_b32 s6, 0
                                        ; implicit-def: $vgpr10
	s_and_saveexec_b32 s7, vcc_lo
	s_delay_alu instid0(SALU_CYCLE_1)
	s_xor_b32 s7, exec_lo, s7
	s_cbranch_execz .LBB160_2049
; %bb.1602:
	v_bfe_u32 v10, v9, 21, 1
	s_mov_b32 s6, exec_lo
	s_delay_alu instid0(VALU_DEP_1) | instskip(NEXT) | instid1(VALU_DEP_1)
	v_add3_u32 v10, v9, v10, 0x88fffff
	v_lshrrev_b32_e32 v10, 21, v10
	s_or_saveexec_b32 s7, s7
                                        ; implicit-def: $sgpr11
	s_delay_alu instid0(SALU_CYCLE_1)
	s_xor_b32 exec_lo, exec_lo, s7
	s_cbranch_execnz .LBB160_2050
.LBB160_1603:
	s_or_b32 exec_lo, exec_lo, s7
	v_mov_b32_e32 v11, s11
	s_and_saveexec_b32 s7, s6
.LBB160_1604:
	v_lshrrev_b32_e32 v9, 24, v9
	s_delay_alu instid0(VALU_DEP_1)
	v_and_or_b32 v11, 0x80, v9, v10
.LBB160_1605:
	s_or_b32 exec_lo, exec_lo, s7
.LBB160_1606:
	s_delay_alu instid0(SALU_CYCLE_1)
	s_or_b32 exec_lo, exec_lo, s3
	s_mov_b32 s3, 0
	global_store_b8 v[0:1], v11, off
.LBB160_1607:
	s_and_b32 vcc_lo, exec_lo, s3
	s_cbranch_vccz .LBB160_1617
; %bb.1608:
	v_cvt_f32_f16_e32 v9, v2
	s_mov_b32 s3, exec_lo
                                        ; implicit-def: $vgpr10
	s_delay_alu instid0(VALU_DEP_1) | instskip(NEXT) | instid1(VALU_DEP_1)
	v_and_b32_e32 v11, 0x7fffffff, v9
	v_cmpx_gt_u32_e32 0x43f00000, v11
	s_xor_b32 s3, exec_lo, s3
	s_cbranch_execz .LBB160_1614
; %bb.1609:
	s_mov_b32 s6, exec_lo
                                        ; implicit-def: $vgpr10
	v_cmpx_lt_u32_e32 0x3c7fffff, v11
	s_xor_b32 s6, exec_lo, s6
; %bb.1610:
	v_bfe_u32 v10, v9, 20, 1
	s_delay_alu instid0(VALU_DEP_1) | instskip(NEXT) | instid1(VALU_DEP_1)
	v_add3_u32 v10, v9, v10, 0x407ffff
	v_and_b32_e32 v11, 0xff00000, v10
	v_lshrrev_b32_e32 v10, 20, v10
	s_delay_alu instid0(VALU_DEP_2) | instskip(NEXT) | instid1(VALU_DEP_2)
	v_cmp_ne_u32_e32 vcc_lo, 0x7f00000, v11
	v_cndmask_b32_e32 v10, 0x7e, v10, vcc_lo
; %bb.1611:
	s_and_not1_saveexec_b32 s6, s6
; %bb.1612:
	v_add_f32_e64 v10, 0x46800000, |v9|
; %bb.1613:
	s_or_b32 exec_lo, exec_lo, s6
                                        ; implicit-def: $vgpr11
.LBB160_1614:
	s_and_not1_saveexec_b32 s3, s3
; %bb.1615:
	v_mov_b32_e32 v10, 0x7f
	v_cmp_lt_u32_e32 vcc_lo, 0x7f800000, v11
	s_delay_alu instid0(VALU_DEP_2)
	v_cndmask_b32_e32 v10, 0x7e, v10, vcc_lo
; %bb.1616:
	s_or_b32 exec_lo, exec_lo, s3
	v_lshrrev_b32_e32 v9, 24, v9
	s_delay_alu instid0(VALU_DEP_1)
	v_and_or_b32 v9, 0x80, v9, v10
	global_store_b8 v[0:1], v9, off
.LBB160_1617:
	s_mov_b32 s3, 0
.LBB160_1618:
	s_delay_alu instid0(SALU_CYCLE_1)
	s_and_not1_b32 vcc_lo, exec_lo, s3
	s_cbranch_vccnz .LBB160_1628
; %bb.1619:
	v_cvt_f32_f16_e32 v9, v2
	s_mov_b32 s3, exec_lo
                                        ; implicit-def: $vgpr10
	s_delay_alu instid0(VALU_DEP_1) | instskip(NEXT) | instid1(VALU_DEP_1)
	v_and_b32_e32 v11, 0x7fffffff, v9
	v_cmpx_gt_u32_e32 0x47800000, v11
	s_xor_b32 s3, exec_lo, s3
	s_cbranch_execz .LBB160_1625
; %bb.1620:
	s_mov_b32 s6, exec_lo
                                        ; implicit-def: $vgpr10
	v_cmpx_lt_u32_e32 0x387fffff, v11
	s_xor_b32 s6, exec_lo, s6
; %bb.1621:
	v_bfe_u32 v10, v9, 21, 1
	s_delay_alu instid0(VALU_DEP_1) | instskip(NEXT) | instid1(VALU_DEP_1)
	v_add3_u32 v10, v9, v10, 0x80fffff
	v_lshrrev_b32_e32 v10, 21, v10
; %bb.1622:
	s_and_not1_saveexec_b32 s6, s6
; %bb.1623:
	v_add_f32_e64 v10, 0x43000000, |v9|
; %bb.1624:
	s_or_b32 exec_lo, exec_lo, s6
                                        ; implicit-def: $vgpr11
.LBB160_1625:
	s_and_not1_saveexec_b32 s3, s3
; %bb.1626:
	v_mov_b32_e32 v10, 0x7f
	v_cmp_lt_u32_e32 vcc_lo, 0x7f800000, v11
	s_delay_alu instid0(VALU_DEP_2)
	v_cndmask_b32_e32 v10, 0x7c, v10, vcc_lo
; %bb.1627:
	s_or_b32 exec_lo, exec_lo, s3
	v_lshrrev_b32_e32 v9, 24, v9
	s_delay_alu instid0(VALU_DEP_1)
	v_and_or_b32 v9, 0x80, v9, v10
	global_store_b8 v[0:1], v9, off
.LBB160_1628:
	s_mov_b32 s3, 0
	s_mov_b32 s6, -1
.LBB160_1629:
	s_and_not1_b32 vcc_lo, exec_lo, s3
	s_mov_b32 s3, 0
	s_cbranch_vccnz .LBB160_1636
; %bb.1630:
	v_cmp_lt_i16_e32 vcc_lo, 14, v5
	s_mov_b32 s3, -1
	s_cbranch_vccz .LBB160_1634
; %bb.1631:
	v_cmp_eq_u16_e32 vcc_lo, 15, v5
	s_mov_b32 s1, -1
	s_cbranch_vccz .LBB160_1633
; %bb.1632:
	v_cvt_f32_f16_e32 v9, v2
	v_cmp_o_f16_e32 vcc_lo, v2, v2
	s_mov_b32 s1, 0
	s_mov_b32 s6, -1
	s_delay_alu instid0(VALU_DEP_2) | instskip(NEXT) | instid1(VALU_DEP_1)
	v_bfe_u32 v10, v9, 16, 1
	v_add3_u32 v9, v9, v10, 0x7fff
	s_delay_alu instid0(VALU_DEP_1) | instskip(NEXT) | instid1(VALU_DEP_1)
	v_lshrrev_b32_e32 v9, 16, v9
	v_cndmask_b32_e32 v9, 0x7fc0, v9, vcc_lo
	global_store_b16 v[0:1], v9, off
.LBB160_1633:
	s_mov_b32 s3, 0
.LBB160_1634:
	s_delay_alu instid0(SALU_CYCLE_1)
	s_and_b32 vcc_lo, exec_lo, s3
	s_mov_b32 s3, 0
	s_cbranch_vccz .LBB160_1636
; %bb.1635:
	v_cmp_ne_u16_e64 s1, 11, v5
	s_mov_b32 s3, -1
.LBB160_1636:
	s_delay_alu instid0(VALU_DEP_1)
	s_and_b32 vcc_lo, exec_lo, s1
	s_cbranch_vccnz .LBB160_2047
; %bb.1637:
	s_and_not1_b32 vcc_lo, exec_lo, s3
	s_cbranch_vccnz .LBB160_1639
.LBB160_1638:
	v_cmp_neq_f16_e32 vcc_lo, 0, v4
	s_mov_b32 s6, -1
	s_or_b32 s0, s0, vcc_lo
	s_delay_alu instid0(SALU_CYCLE_1)
	v_cndmask_b32_e64 v4, 0, 1, s0
	global_store_b8 v[0:1], v4, off
.LBB160_1639:
	s_mov_b32 s0, 0
	s_branch .LBB160_1641
.LBB160_1640:
	s_mov_b32 s0, -1
	s_mov_b32 s6, 0
.LBB160_1641:
	s_and_b32 vcc_lo, exec_lo, s0
	s_cbranch_vccz .LBB160_1680
; %bb.1642:
	v_cmp_gt_i16_e32 vcc_lo, 5, v5
	s_mov_b32 s0, -1
	s_cbranch_vccnz .LBB160_1663
; %bb.1643:
	v_cmp_gt_i16_e32 vcc_lo, 8, v5
	s_cbranch_vccnz .LBB160_1653
; %bb.1644:
	v_cmp_gt_i16_e32 vcc_lo, 9, v5
	s_cbranch_vccnz .LBB160_1650
; %bb.1645:
	v_cmp_lt_i16_e32 vcc_lo, 9, v5
	s_cbranch_vccz .LBB160_1647
; %bb.1646:
	v_cvt_f32_f16_e32 v4, v2
	v_mov_b32_e32 v11, 0
	s_mov_b32 s0, 0
	s_delay_alu instid0(VALU_DEP_2) | instskip(NEXT) | instid1(VALU_DEP_2)
	v_cvt_f64_f32_e32 v[9:10], v4
	v_mov_b32_e32 v12, v11
	global_store_b128 v[0:1], v[9:12], off
.LBB160_1647:
	s_and_not1_b32 vcc_lo, exec_lo, s0
	s_cbranch_vccnz .LBB160_1649
; %bb.1648:
	v_cvt_f32_f16_e32 v9, v2
	v_mov_b32_e32 v10, 0
	global_store_b64 v[0:1], v[9:10], off
.LBB160_1649:
	s_mov_b32 s0, 0
.LBB160_1650:
	s_delay_alu instid0(SALU_CYCLE_1)
	s_and_not1_b32 vcc_lo, exec_lo, s0
	s_cbranch_vccnz .LBB160_1652
; %bb.1651:
	v_and_b32_e32 v4, 0xffff, v2
	global_store_b32 v[0:1], v4, off
.LBB160_1652:
	s_mov_b32 s0, 0
.LBB160_1653:
	s_delay_alu instid0(SALU_CYCLE_1)
	s_and_not1_b32 vcc_lo, exec_lo, s0
	s_cbranch_vccnz .LBB160_1662
; %bb.1654:
	v_cmp_gt_i16_e32 vcc_lo, 6, v5
	s_mov_b32 s0, -1
	s_cbranch_vccnz .LBB160_1660
; %bb.1655:
	v_cmp_lt_i16_e32 vcc_lo, 6, v5
	s_cbranch_vccz .LBB160_1657
; %bb.1656:
	v_cvt_f32_f16_e32 v4, v2
	s_mov_b32 s0, 0
	s_delay_alu instid0(VALU_DEP_1)
	v_cvt_f64_f32_e32 v[9:10], v4
	global_store_b64 v[0:1], v[9:10], off
.LBB160_1657:
	s_and_not1_b32 vcc_lo, exec_lo, s0
	s_cbranch_vccnz .LBB160_1659
; %bb.1658:
	v_cvt_f32_f16_e32 v4, v2
	global_store_b32 v[0:1], v4, off
.LBB160_1659:
	s_mov_b32 s0, 0
.LBB160_1660:
	s_delay_alu instid0(SALU_CYCLE_1)
	s_and_not1_b32 vcc_lo, exec_lo, s0
	s_cbranch_vccnz .LBB160_1662
; %bb.1661:
	global_store_b16 v[0:1], v2, off
.LBB160_1662:
	s_mov_b32 s0, 0
.LBB160_1663:
	s_delay_alu instid0(SALU_CYCLE_1)
	s_and_not1_b32 vcc_lo, exec_lo, s0
	s_cbranch_vccnz .LBB160_1679
; %bb.1664:
	v_cmp_gt_i16_e32 vcc_lo, 2, v5
	s_mov_b32 s0, -1
	s_cbranch_vccnz .LBB160_1674
; %bb.1665:
	v_cmp_gt_i16_e32 vcc_lo, 3, v5
	s_cbranch_vccnz .LBB160_1671
; %bb.1666:
	v_cmp_lt_i16_e32 vcc_lo, 3, v5
	s_cbranch_vccz .LBB160_1668
; %bb.1667:
	v_cvt_f32_f16_e32 v4, v2
	s_mov_b32 s0, 0
	s_delay_alu instid0(VALU_DEP_1) | instskip(NEXT) | instid1(VALU_DEP_1)
	v_cvt_i32_f32_e32 v9, v4
	v_ashrrev_i32_e32 v10, 31, v9
	global_store_b64 v[0:1], v[9:10], off
.LBB160_1668:
	s_and_not1_b32 vcc_lo, exec_lo, s0
	s_cbranch_vccnz .LBB160_1670
; %bb.1669:
	v_cvt_f32_f16_e32 v4, v2
	s_delay_alu instid0(VALU_DEP_1)
	v_cvt_i32_f32_e32 v4, v4
	global_store_b32 v[0:1], v4, off
.LBB160_1670:
	s_mov_b32 s0, 0
.LBB160_1671:
	s_delay_alu instid0(SALU_CYCLE_1)
	s_and_not1_b32 vcc_lo, exec_lo, s0
	s_cbranch_vccnz .LBB160_1673
; %bb.1672:
	v_cvt_i16_f16_e32 v4, v2
	global_store_b16 v[0:1], v4, off
.LBB160_1673:
	s_mov_b32 s0, 0
.LBB160_1674:
	s_delay_alu instid0(SALU_CYCLE_1)
	s_and_not1_b32 vcc_lo, exec_lo, s0
	s_cbranch_vccnz .LBB160_1679
; %bb.1675:
	v_cmp_lt_i16_e32 vcc_lo, 0, v5
	s_mov_b32 s0, -1
	s_cbranch_vccz .LBB160_1677
; %bb.1676:
	v_cvt_i16_f16_e32 v4, v2
	s_mov_b32 s0, 0
	global_store_b8 v[0:1], v4, off
.LBB160_1677:
	s_and_not1_b32 vcc_lo, exec_lo, s0
	s_cbranch_vccnz .LBB160_1679
; %bb.1678:
	v_cvt_f32_f16_e32 v2, v2
	s_delay_alu instid0(VALU_DEP_1)
	v_cvt_i32_f32_e32 v2, v2
	global_store_b8 v[0:1], v2, off
.LBB160_1679:
	s_mov_b32 s6, -1
.LBB160_1680:
	s_delay_alu instid0(SALU_CYCLE_1)
	s_and_not1_b32 vcc_lo, exec_lo, s6
	s_cbranch_vccnz .LBB160_1995
; %bb.1681:
	v_cvt_f32_f16_e32 v0, v6
	s_lshl_b32 s2, s2, 7
	s_mov_b32 s0, 0xbf317218
	s_delay_alu instid0(VALU_DEP_1) | instskip(NEXT) | instid1(VALU_DEP_1)
	v_mul_f32_e32 v1, 0x3fb8aa3b, v0
	v_rndne_f32_e32 v1, v1
	s_delay_alu instid0(VALU_DEP_1) | instskip(SKIP_3) | instid1(VALU_DEP_3)
	v_fma_mix_f32 v2, v1, s0, v6 op_sel_hi:[0,0,1]
	v_cvt_i32_f32_e32 v9, v1
	v_cmp_eq_f32_e32 vcc_lo, 0x43000000, v1
	s_mov_b32 s0, 0x395133b1
	v_fmamk_f32 v2, v1, 0x3102e308, v2
	s_delay_alu instid0(VALU_DEP_3) | instskip(NEXT) | instid1(VALU_DEP_1)
	v_cndmask_b32_e64 v1, v9, 0x7f, vcc_lo
	v_ldexp_f32 v1, 1.0, v1
	s_delay_alu instid0(VALU_DEP_1) | instskip(NEXT) | instid1(VALU_DEP_1)
	v_dual_add_f32 v9, -1.0, v1 :: v_dual_fmaak_f32 v4, s0, v2, 0x3ab69700
	v_fmaak_f32 v4, v2, v4, 0x3c0887f9
	s_delay_alu instid0(VALU_DEP_1) | instskip(NEXT) | instid1(VALU_DEP_1)
	v_fmaak_f32 v4, v2, v4, 0x3d2aaa81
	v_fmaak_f32 v4, v2, v4, 0x3e2aaaab
	s_delay_alu instid0(VALU_DEP_1) | instskip(NEXT) | instid1(VALU_DEP_1)
	v_fma_f32 v4, v2, v4, 0.5
	v_mul_f32_e32 v4, v2, v4
	s_delay_alu instid0(VALU_DEP_1) | instskip(NEXT) | instid1(VALU_DEP_1)
	v_fmac_f32_e32 v2, v2, v4
	v_dual_fmac_f32 v9, v1, v2 :: v_dual_add_nc_u32 v2, s2, v3
	s_delay_alu instid0(VALU_DEP_1) | instskip(NEXT) | instid1(VALU_DEP_1)
	v_add_f32_e32 v1, v9, v9
	v_cndmask_b32_e32 v1, v9, v1, vcc_lo
	v_cmp_nlt_f32_e32 vcc_lo, 0x42b17217, v0
	s_delay_alu instid0(VALU_DEP_2) | instskip(SKIP_2) | instid1(VALU_DEP_3)
	v_cndmask_b32_e32 v0, 0x7f800000, v1, vcc_lo
	v_ashrrev_i32_e32 v1, 31, v2
	v_cmp_gt_i16_e32 vcc_lo, 11, v5
	v_cvt_f16_f32_e32 v4, v0
	v_add_co_u32 v0, s0, s4, v2
	s_delay_alu instid0(VALU_DEP_1) | instskip(SKIP_1) | instid1(VALU_DEP_1)
	v_add_co_ci_u32_e64 v1, s0, s5, v1, s0
	v_cmp_gt_f16_e64 s0, 0xcc40, v6
	v_cndmask_b32_e64 v3, v4, 0xbc00, s0
	s_cbranch_vccnz .LBB160_1759
; %bb.1682:
	v_cmp_lt_i16_e32 vcc_lo, 25, v5
	s_mov_b32 s7, -1
	s_mov_b32 s3, 0
	s_mov_b32 s6, 0
	;; [unrolled: 1-line block ×3, first 2 shown]
	s_cbranch_vccz .LBB160_1715
; %bb.1683:
	v_cmp_lt_i16_e32 vcc_lo, 28, v5
	s_cbranch_vccz .LBB160_1698
; %bb.1684:
	v_cmp_lt_i16_e32 vcc_lo, 43, v5
	;; [unrolled: 3-line block ×3, first 2 shown]
	s_cbranch_vccz .LBB160_1688
; %bb.1686:
	v_cmp_eq_u16_e32 vcc_lo, 46, v5
	s_mov_b32 s1, -1
	s_mov_b32 s7, 0
	s_cbranch_vccz .LBB160_1688
; %bb.1687:
	v_cvt_f32_f16_e32 v6, v3
	v_cmp_o_f16_e32 vcc_lo, v3, v3
	s_mov_b32 s1, 0
	s_mov_b32 s6, -1
	s_delay_alu instid0(VALU_DEP_2) | instskip(NEXT) | instid1(VALU_DEP_1)
	v_bfe_u32 v9, v6, 16, 1
	v_add3_u32 v6, v6, v9, 0x7fff
	s_delay_alu instid0(VALU_DEP_1) | instskip(NEXT) | instid1(VALU_DEP_1)
	v_lshrrev_b32_e32 v6, 16, v6
	v_cndmask_b32_e32 v6, 0x7fc0, v6, vcc_lo
	global_store_b32 v[0:1], v6, off
.LBB160_1688:
	s_and_b32 vcc_lo, exec_lo, s7
	s_cbranch_vccz .LBB160_1693
; %bb.1689:
	v_cmp_eq_u16_e32 vcc_lo, 44, v5
	s_mov_b32 s1, -1
	s_cbranch_vccz .LBB160_1693
; %bb.1690:
	v_cvt_f32_f16_e32 v6, v3
	v_mov_b32_e32 v9, 0xff
	s_mov_b32 s6, exec_lo
	s_delay_alu instid0(VALU_DEP_2) | instskip(NEXT) | instid1(VALU_DEP_1)
	v_bfe_u32 v10, v6, 23, 8
	v_cmpx_ne_u32_e32 0xff, v10
; %bb.1691:
	v_and_b32_e32 v9, 0x400000, v6
	v_and_or_b32 v10, 0x3fffff, v6, v10
	v_lshrrev_b32_e32 v6, 23, v6
	s_delay_alu instid0(VALU_DEP_3) | instskip(NEXT) | instid1(VALU_DEP_3)
	v_cmp_ne_u32_e32 vcc_lo, 0, v9
	v_cmp_ne_u32_e64 s1, 0, v10
	s_delay_alu instid0(VALU_DEP_1) | instskip(NEXT) | instid1(SALU_CYCLE_1)
	s_and_b32 s1, vcc_lo, s1
	v_cndmask_b32_e64 v9, 0, 1, s1
	s_delay_alu instid0(VALU_DEP_1)
	v_add_nc_u32_e32 v9, v6, v9
; %bb.1692:
	s_or_b32 exec_lo, exec_lo, s6
	s_mov_b32 s1, 0
	s_mov_b32 s6, -1
	global_store_b8 v[0:1], v9, off
.LBB160_1693:
	s_mov_b32 s7, 0
.LBB160_1694:
	s_delay_alu instid0(SALU_CYCLE_1)
	s_and_b32 vcc_lo, exec_lo, s7
	s_cbranch_vccz .LBB160_1697
; %bb.1695:
	v_cmp_eq_u16_e32 vcc_lo, 29, v5
	s_mov_b32 s1, -1
	s_cbranch_vccz .LBB160_1697
; %bb.1696:
	v_cvt_f32_f16_e32 v6, v3
	v_mov_b32_e32 v10, 0
	s_mov_b32 s1, 0
	s_mov_b32 s6, -1
	s_delay_alu instid0(VALU_DEP_2)
	v_cvt_u32_f32_e32 v9, v6
	global_store_b64 v[0:1], v[9:10], off
.LBB160_1697:
	s_mov_b32 s7, 0
.LBB160_1698:
	s_delay_alu instid0(SALU_CYCLE_1)
	s_and_b32 vcc_lo, exec_lo, s7
	s_cbranch_vccz .LBB160_1714
; %bb.1699:
	v_cmp_gt_i16_e32 vcc_lo, 27, v5
	s_mov_b32 s6, -1
	s_cbranch_vccnz .LBB160_1705
; %bb.1700:
	v_cmp_lt_i16_e32 vcc_lo, 27, v5
	s_cbranch_vccz .LBB160_1702
; %bb.1701:
	v_cvt_f32_f16_e32 v6, v3
	s_mov_b32 s6, 0
	s_delay_alu instid0(VALU_DEP_1)
	v_cvt_u32_f32_e32 v6, v6
	global_store_b32 v[0:1], v6, off
.LBB160_1702:
	s_and_not1_b32 vcc_lo, exec_lo, s6
	s_cbranch_vccnz .LBB160_1704
; %bb.1703:
	v_cvt_u16_f16_e32 v6, v3
	global_store_b16 v[0:1], v6, off
.LBB160_1704:
	s_mov_b32 s6, 0
.LBB160_1705:
	s_delay_alu instid0(SALU_CYCLE_1)
	s_and_not1_b32 vcc_lo, exec_lo, s6
	s_cbranch_vccnz .LBB160_1713
; %bb.1706:
	v_cvt_f32_f16_e32 v6, v3
	v_mov_b32_e32 v10, 0x80
	s_mov_b32 s6, exec_lo
	s_delay_alu instid0(VALU_DEP_2) | instskip(NEXT) | instid1(VALU_DEP_1)
	v_and_b32_e32 v9, 0x7fffffff, v6
	v_cmpx_gt_u32_e32 0x43800000, v9
	s_cbranch_execz .LBB160_1712
; %bb.1707:
	v_cmp_lt_u32_e32 vcc_lo, 0x3bffffff, v9
	s_mov_b32 s7, 0
                                        ; implicit-def: $vgpr9
	s_and_saveexec_b32 s11, vcc_lo
	s_delay_alu instid0(SALU_CYCLE_1)
	s_xor_b32 s11, exec_lo, s11
	s_cbranch_execz .LBB160_2051
; %bb.1708:
	v_bfe_u32 v9, v6, 20, 1
	s_mov_b32 s7, exec_lo
	s_delay_alu instid0(VALU_DEP_1) | instskip(NEXT) | instid1(VALU_DEP_1)
	v_add3_u32 v9, v6, v9, 0x487ffff
	v_lshrrev_b32_e32 v9, 20, v9
	s_or_saveexec_b32 s11, s11
                                        ; implicit-def: $sgpr12
	s_delay_alu instid0(SALU_CYCLE_1)
	s_xor_b32 exec_lo, exec_lo, s11
	s_cbranch_execnz .LBB160_2052
.LBB160_1709:
	s_or_b32 exec_lo, exec_lo, s11
	v_mov_b32_e32 v10, s12
	s_and_saveexec_b32 s11, s7
.LBB160_1710:
	v_lshrrev_b32_e32 v6, 24, v6
	s_delay_alu instid0(VALU_DEP_1)
	v_and_or_b32 v10, 0x80, v6, v9
.LBB160_1711:
	s_or_b32 exec_lo, exec_lo, s11
.LBB160_1712:
	s_delay_alu instid0(SALU_CYCLE_1)
	s_or_b32 exec_lo, exec_lo, s6
	global_store_b8 v[0:1], v10, off
.LBB160_1713:
	s_mov_b32 s6, -1
.LBB160_1714:
	s_mov_b32 s7, 0
.LBB160_1715:
	s_delay_alu instid0(SALU_CYCLE_1)
	s_and_b32 vcc_lo, exec_lo, s7
	s_cbranch_vccz .LBB160_1755
; %bb.1716:
	v_cmp_lt_i16_e32 vcc_lo, 22, v5
	s_mov_b32 s3, -1
	s_cbranch_vccz .LBB160_1748
; %bb.1717:
	v_cmp_gt_i16_e32 vcc_lo, 24, v5
	s_cbranch_vccnz .LBB160_1737
; %bb.1718:
	v_cmp_lt_i16_e32 vcc_lo, 24, v5
	s_cbranch_vccz .LBB160_1726
; %bb.1719:
	v_cvt_f32_f16_e32 v6, v3
	v_mov_b32_e32 v10, 0x80
	s_mov_b32 s3, exec_lo
	s_delay_alu instid0(VALU_DEP_2) | instskip(NEXT) | instid1(VALU_DEP_1)
	v_and_b32_e32 v9, 0x7fffffff, v6
	v_cmpx_gt_u32_e32 0x47800000, v9
	s_cbranch_execz .LBB160_1725
; %bb.1720:
	v_cmp_lt_u32_e32 vcc_lo, 0x37ffffff, v9
	s_mov_b32 s6, 0
                                        ; implicit-def: $vgpr9
	s_and_saveexec_b32 s7, vcc_lo
	s_delay_alu instid0(SALU_CYCLE_1)
	s_xor_b32 s7, exec_lo, s7
	s_cbranch_execz .LBB160_2057
; %bb.1721:
	v_bfe_u32 v9, v6, 21, 1
	s_mov_b32 s6, exec_lo
	s_delay_alu instid0(VALU_DEP_1) | instskip(NEXT) | instid1(VALU_DEP_1)
	v_add3_u32 v9, v6, v9, 0x88fffff
	v_lshrrev_b32_e32 v9, 21, v9
	s_or_saveexec_b32 s7, s7
                                        ; implicit-def: $sgpr11
	s_delay_alu instid0(SALU_CYCLE_1)
	s_xor_b32 exec_lo, exec_lo, s7
	s_cbranch_execnz .LBB160_2058
.LBB160_1722:
	s_or_b32 exec_lo, exec_lo, s7
	v_mov_b32_e32 v10, s11
	s_and_saveexec_b32 s7, s6
.LBB160_1723:
	v_lshrrev_b32_e32 v6, 24, v6
	s_delay_alu instid0(VALU_DEP_1)
	v_and_or_b32 v10, 0x80, v6, v9
.LBB160_1724:
	s_or_b32 exec_lo, exec_lo, s7
.LBB160_1725:
	s_delay_alu instid0(SALU_CYCLE_1)
	s_or_b32 exec_lo, exec_lo, s3
	s_mov_b32 s3, 0
	global_store_b8 v[0:1], v10, off
.LBB160_1726:
	s_and_b32 vcc_lo, exec_lo, s3
	s_cbranch_vccz .LBB160_1736
; %bb.1727:
	v_cvt_f32_f16_e32 v6, v3
	s_mov_b32 s3, exec_lo
                                        ; implicit-def: $vgpr9
	s_delay_alu instid0(VALU_DEP_1) | instskip(NEXT) | instid1(VALU_DEP_1)
	v_and_b32_e32 v10, 0x7fffffff, v6
	v_cmpx_gt_u32_e32 0x43f00000, v10
	s_xor_b32 s3, exec_lo, s3
	s_cbranch_execz .LBB160_1733
; %bb.1728:
	s_mov_b32 s6, exec_lo
                                        ; implicit-def: $vgpr9
	v_cmpx_lt_u32_e32 0x3c7fffff, v10
	s_xor_b32 s6, exec_lo, s6
; %bb.1729:
	v_bfe_u32 v9, v6, 20, 1
	s_delay_alu instid0(VALU_DEP_1) | instskip(NEXT) | instid1(VALU_DEP_1)
	v_add3_u32 v9, v6, v9, 0x407ffff
	v_and_b32_e32 v10, 0xff00000, v9
	v_lshrrev_b32_e32 v9, 20, v9
	s_delay_alu instid0(VALU_DEP_2) | instskip(NEXT) | instid1(VALU_DEP_2)
	v_cmp_ne_u32_e32 vcc_lo, 0x7f00000, v10
	v_cndmask_b32_e32 v9, 0x7e, v9, vcc_lo
; %bb.1730:
	s_and_not1_saveexec_b32 s6, s6
; %bb.1731:
	v_add_f32_e64 v9, 0x46800000, |v6|
; %bb.1732:
	s_or_b32 exec_lo, exec_lo, s6
                                        ; implicit-def: $vgpr10
.LBB160_1733:
	s_and_not1_saveexec_b32 s3, s3
; %bb.1734:
	v_mov_b32_e32 v9, 0x7f
	v_cmp_lt_u32_e32 vcc_lo, 0x7f800000, v10
	s_delay_alu instid0(VALU_DEP_2)
	v_cndmask_b32_e32 v9, 0x7e, v9, vcc_lo
; %bb.1735:
	s_or_b32 exec_lo, exec_lo, s3
	v_lshrrev_b32_e32 v6, 24, v6
	s_delay_alu instid0(VALU_DEP_1)
	v_and_or_b32 v6, 0x80, v6, v9
	global_store_b8 v[0:1], v6, off
.LBB160_1736:
	s_mov_b32 s3, 0
.LBB160_1737:
	s_delay_alu instid0(SALU_CYCLE_1)
	s_and_not1_b32 vcc_lo, exec_lo, s3
	s_cbranch_vccnz .LBB160_1747
; %bb.1738:
	v_cvt_f32_f16_e32 v6, v3
	s_mov_b32 s3, exec_lo
                                        ; implicit-def: $vgpr9
	s_delay_alu instid0(VALU_DEP_1) | instskip(NEXT) | instid1(VALU_DEP_1)
	v_and_b32_e32 v10, 0x7fffffff, v6
	v_cmpx_gt_u32_e32 0x47800000, v10
	s_xor_b32 s3, exec_lo, s3
	s_cbranch_execz .LBB160_1744
; %bb.1739:
	s_mov_b32 s6, exec_lo
                                        ; implicit-def: $vgpr9
	v_cmpx_lt_u32_e32 0x387fffff, v10
	s_xor_b32 s6, exec_lo, s6
; %bb.1740:
	v_bfe_u32 v9, v6, 21, 1
	s_delay_alu instid0(VALU_DEP_1) | instskip(NEXT) | instid1(VALU_DEP_1)
	v_add3_u32 v9, v6, v9, 0x80fffff
	v_lshrrev_b32_e32 v9, 21, v9
; %bb.1741:
	s_and_not1_saveexec_b32 s6, s6
; %bb.1742:
	v_add_f32_e64 v9, 0x43000000, |v6|
; %bb.1743:
	s_or_b32 exec_lo, exec_lo, s6
                                        ; implicit-def: $vgpr10
.LBB160_1744:
	s_and_not1_saveexec_b32 s3, s3
; %bb.1745:
	v_mov_b32_e32 v9, 0x7f
	v_cmp_lt_u32_e32 vcc_lo, 0x7f800000, v10
	s_delay_alu instid0(VALU_DEP_2)
	v_cndmask_b32_e32 v9, 0x7c, v9, vcc_lo
; %bb.1746:
	s_or_b32 exec_lo, exec_lo, s3
	v_lshrrev_b32_e32 v6, 24, v6
	s_delay_alu instid0(VALU_DEP_1)
	v_and_or_b32 v6, 0x80, v6, v9
	global_store_b8 v[0:1], v6, off
.LBB160_1747:
	s_mov_b32 s3, 0
	s_mov_b32 s6, -1
.LBB160_1748:
	s_and_not1_b32 vcc_lo, exec_lo, s3
	s_mov_b32 s3, 0
	s_cbranch_vccnz .LBB160_1755
; %bb.1749:
	v_cmp_lt_i16_e32 vcc_lo, 14, v5
	s_mov_b32 s3, -1
	s_cbranch_vccz .LBB160_1753
; %bb.1750:
	v_cmp_eq_u16_e32 vcc_lo, 15, v5
	s_mov_b32 s1, -1
	s_cbranch_vccz .LBB160_1752
; %bb.1751:
	v_cvt_f32_f16_e32 v6, v3
	v_cmp_o_f16_e32 vcc_lo, v3, v3
	s_mov_b32 s1, 0
	s_mov_b32 s6, -1
	s_delay_alu instid0(VALU_DEP_2) | instskip(NEXT) | instid1(VALU_DEP_1)
	v_bfe_u32 v9, v6, 16, 1
	v_add3_u32 v6, v6, v9, 0x7fff
	s_delay_alu instid0(VALU_DEP_1) | instskip(NEXT) | instid1(VALU_DEP_1)
	v_lshrrev_b32_e32 v6, 16, v6
	v_cndmask_b32_e32 v6, 0x7fc0, v6, vcc_lo
	global_store_b16 v[0:1], v6, off
.LBB160_1752:
	s_mov_b32 s3, 0
.LBB160_1753:
	s_delay_alu instid0(SALU_CYCLE_1)
	s_and_b32 vcc_lo, exec_lo, s3
	s_mov_b32 s3, 0
	s_cbranch_vccz .LBB160_1755
; %bb.1754:
	v_cmp_ne_u16_e64 s1, 11, v5
	s_mov_b32 s3, -1
.LBB160_1755:
	s_delay_alu instid0(VALU_DEP_1)
	s_and_b32 vcc_lo, exec_lo, s1
	s_cbranch_vccnz .LBB160_2055
; %bb.1756:
	s_and_not1_b32 vcc_lo, exec_lo, s3
	s_cbranch_vccnz .LBB160_1758
.LBB160_1757:
	v_cmp_neq_f16_e32 vcc_lo, 0, v4
	s_mov_b32 s6, -1
	s_or_b32 s0, s0, vcc_lo
	s_delay_alu instid0(SALU_CYCLE_1)
	v_cndmask_b32_e64 v4, 0, 1, s0
	global_store_b8 v[0:1], v4, off
.LBB160_1758:
	s_mov_b32 s0, 0
	s_branch .LBB160_1760
.LBB160_1759:
	s_mov_b32 s0, -1
	s_mov_b32 s6, 0
.LBB160_1760:
	s_and_b32 vcc_lo, exec_lo, s0
	s_cbranch_vccz .LBB160_1799
; %bb.1761:
	v_cmp_gt_i16_e32 vcc_lo, 5, v5
	s_mov_b32 s0, -1
	s_cbranch_vccnz .LBB160_1782
; %bb.1762:
	v_cmp_gt_i16_e32 vcc_lo, 8, v5
	s_cbranch_vccnz .LBB160_1772
; %bb.1763:
	v_cmp_gt_i16_e32 vcc_lo, 9, v5
	s_cbranch_vccnz .LBB160_1769
; %bb.1764:
	v_cmp_lt_i16_e32 vcc_lo, 9, v5
	s_cbranch_vccz .LBB160_1766
; %bb.1765:
	v_cvt_f32_f16_e32 v4, v3
	v_mov_b32_e32 v11, 0
	s_mov_b32 s0, 0
	s_delay_alu instid0(VALU_DEP_2) | instskip(NEXT) | instid1(VALU_DEP_2)
	v_cvt_f64_f32_e32 v[9:10], v4
	v_mov_b32_e32 v12, v11
	global_store_b128 v[0:1], v[9:12], off
.LBB160_1766:
	s_and_not1_b32 vcc_lo, exec_lo, s0
	s_cbranch_vccnz .LBB160_1768
; %bb.1767:
	v_cvt_f32_f16_e32 v9, v3
	v_mov_b32_e32 v10, 0
	global_store_b64 v[0:1], v[9:10], off
.LBB160_1768:
	s_mov_b32 s0, 0
.LBB160_1769:
	s_delay_alu instid0(SALU_CYCLE_1)
	s_and_not1_b32 vcc_lo, exec_lo, s0
	s_cbranch_vccnz .LBB160_1771
; %bb.1770:
	v_and_b32_e32 v4, 0xffff, v3
	global_store_b32 v[0:1], v4, off
.LBB160_1771:
	s_mov_b32 s0, 0
.LBB160_1772:
	s_delay_alu instid0(SALU_CYCLE_1)
	s_and_not1_b32 vcc_lo, exec_lo, s0
	s_cbranch_vccnz .LBB160_1781
; %bb.1773:
	v_cmp_gt_i16_e32 vcc_lo, 6, v5
	s_mov_b32 s0, -1
	s_cbranch_vccnz .LBB160_1779
; %bb.1774:
	v_cmp_lt_i16_e32 vcc_lo, 6, v5
	s_cbranch_vccz .LBB160_1776
; %bb.1775:
	v_cvt_f32_f16_e32 v4, v3
	s_mov_b32 s0, 0
	s_delay_alu instid0(VALU_DEP_1)
	v_cvt_f64_f32_e32 v[9:10], v4
	global_store_b64 v[0:1], v[9:10], off
.LBB160_1776:
	s_and_not1_b32 vcc_lo, exec_lo, s0
	s_cbranch_vccnz .LBB160_1778
; %bb.1777:
	v_cvt_f32_f16_e32 v4, v3
	global_store_b32 v[0:1], v4, off
.LBB160_1778:
	s_mov_b32 s0, 0
.LBB160_1779:
	s_delay_alu instid0(SALU_CYCLE_1)
	s_and_not1_b32 vcc_lo, exec_lo, s0
	s_cbranch_vccnz .LBB160_1781
; %bb.1780:
	global_store_b16 v[0:1], v3, off
.LBB160_1781:
	s_mov_b32 s0, 0
.LBB160_1782:
	s_delay_alu instid0(SALU_CYCLE_1)
	s_and_not1_b32 vcc_lo, exec_lo, s0
	s_cbranch_vccnz .LBB160_1798
; %bb.1783:
	v_cmp_gt_i16_e32 vcc_lo, 2, v5
	s_mov_b32 s0, -1
	s_cbranch_vccnz .LBB160_1793
; %bb.1784:
	v_cmp_gt_i16_e32 vcc_lo, 3, v5
	s_cbranch_vccnz .LBB160_1790
; %bb.1785:
	v_cmp_lt_i16_e32 vcc_lo, 3, v5
	s_cbranch_vccz .LBB160_1787
; %bb.1786:
	v_cvt_f32_f16_e32 v4, v3
	s_mov_b32 s0, 0
	s_delay_alu instid0(VALU_DEP_1) | instskip(NEXT) | instid1(VALU_DEP_1)
	v_cvt_i32_f32_e32 v9, v4
	v_ashrrev_i32_e32 v10, 31, v9
	global_store_b64 v[0:1], v[9:10], off
.LBB160_1787:
	s_and_not1_b32 vcc_lo, exec_lo, s0
	s_cbranch_vccnz .LBB160_1789
; %bb.1788:
	v_cvt_f32_f16_e32 v4, v3
	s_delay_alu instid0(VALU_DEP_1)
	v_cvt_i32_f32_e32 v4, v4
	global_store_b32 v[0:1], v4, off
.LBB160_1789:
	s_mov_b32 s0, 0
.LBB160_1790:
	s_delay_alu instid0(SALU_CYCLE_1)
	s_and_not1_b32 vcc_lo, exec_lo, s0
	s_cbranch_vccnz .LBB160_1792
; %bb.1791:
	v_cvt_i16_f16_e32 v4, v3
	global_store_b16 v[0:1], v4, off
.LBB160_1792:
	s_mov_b32 s0, 0
.LBB160_1793:
	s_delay_alu instid0(SALU_CYCLE_1)
	s_and_not1_b32 vcc_lo, exec_lo, s0
	s_cbranch_vccnz .LBB160_1798
; %bb.1794:
	v_cmp_lt_i16_e32 vcc_lo, 0, v5
	s_mov_b32 s0, -1
	s_cbranch_vccz .LBB160_1796
; %bb.1795:
	v_cvt_i16_f16_e32 v4, v3
	s_mov_b32 s0, 0
	global_store_b8 v[0:1], v4, off
.LBB160_1796:
	s_and_not1_b32 vcc_lo, exec_lo, s0
	s_cbranch_vccnz .LBB160_1798
; %bb.1797:
	v_cvt_f32_f16_e32 v3, v3
	s_delay_alu instid0(VALU_DEP_1)
	v_cvt_i32_f32_e32 v3, v3
	global_store_b8 v[0:1], v3, off
.LBB160_1798:
	s_mov_b32 s6, -1
.LBB160_1799:
	s_delay_alu instid0(SALU_CYCLE_1)
	s_and_not1_b32 vcc_lo, exec_lo, s6
	s_cbranch_vccnz .LBB160_1995
; %bb.1800:
	v_cvt_f32_f16_e32 v0, v7
	s_mov_b32 s0, 0xbf317218
	s_delay_alu instid0(VALU_DEP_1) | instskip(NEXT) | instid1(VALU_DEP_1)
	v_dual_mul_f32 v1, 0x3fb8aa3b, v0 :: v_dual_add_nc_u32 v2, s2, v2
	v_rndne_f32_e32 v1, v1
	s_delay_alu instid0(VALU_DEP_1) | instskip(SKIP_3) | instid1(VALU_DEP_3)
	v_fma_mix_f32 v3, v1, s0, v7 op_sel_hi:[0,0,1]
	v_cvt_i32_f32_e32 v6, v1
	v_cmp_eq_f32_e32 vcc_lo, 0x43000000, v1
	s_mov_b32 s0, 0x395133b1
	v_fmamk_f32 v3, v1, 0x3102e308, v3
	s_delay_alu instid0(VALU_DEP_3) | instskip(NEXT) | instid1(VALU_DEP_1)
	v_cndmask_b32_e64 v1, v6, 0x7f, vcc_lo
	v_ldexp_f32 v1, 1.0, v1
	s_delay_alu instid0(VALU_DEP_1) | instskip(NEXT) | instid1(VALU_DEP_4)
	v_add_f32_e32 v6, -1.0, v1
	v_fmaak_f32 v4, s0, v3, 0x3ab69700
	s_delay_alu instid0(VALU_DEP_1) | instskip(NEXT) | instid1(VALU_DEP_1)
	v_fmaak_f32 v4, v3, v4, 0x3c0887f9
	v_fmaak_f32 v4, v3, v4, 0x3d2aaa81
	s_delay_alu instid0(VALU_DEP_1) | instskip(NEXT) | instid1(VALU_DEP_1)
	v_fmaak_f32 v4, v3, v4, 0x3e2aaaab
	v_fma_f32 v4, v3, v4, 0.5
	s_delay_alu instid0(VALU_DEP_1) | instskip(NEXT) | instid1(VALU_DEP_1)
	v_mul_f32_e32 v4, v3, v4
	v_fmac_f32_e32 v3, v3, v4
	s_delay_alu instid0(VALU_DEP_1) | instskip(NEXT) | instid1(VALU_DEP_1)
	v_fmac_f32_e32 v6, v1, v3
	v_add_f32_e32 v1, v6, v6
	s_delay_alu instid0(VALU_DEP_1) | instskip(SKIP_1) | instid1(VALU_DEP_2)
	v_cndmask_b32_e32 v1, v6, v1, vcc_lo
	v_cmp_nlt_f32_e32 vcc_lo, 0x42b17217, v0
	v_cndmask_b32_e32 v0, 0x7f800000, v1, vcc_lo
	v_ashrrev_i32_e32 v1, 31, v2
	v_cmp_gt_i16_e32 vcc_lo, 11, v5
	s_delay_alu instid0(VALU_DEP_3) | instskip(SKIP_1) | instid1(VALU_DEP_1)
	v_cvt_f16_f32_e32 v4, v0
	v_add_co_u32 v0, s0, s4, v2
	v_add_co_ci_u32_e64 v1, s0, s5, v1, s0
	v_cmp_gt_f16_e64 s0, 0xcc40, v7
	s_delay_alu instid0(VALU_DEP_1)
	v_cndmask_b32_e64 v3, v4, 0xbc00, s0
	s_cbranch_vccnz .LBB160_1878
; %bb.1801:
	v_cmp_lt_i16_e32 vcc_lo, 25, v5
	s_mov_b32 s7, -1
	s_mov_b32 s3, 0
	s_mov_b32 s6, 0
	;; [unrolled: 1-line block ×3, first 2 shown]
	s_cbranch_vccz .LBB160_1834
; %bb.1802:
	v_cmp_lt_i16_e32 vcc_lo, 28, v5
	s_cbranch_vccz .LBB160_1817
; %bb.1803:
	v_cmp_lt_i16_e32 vcc_lo, 43, v5
	s_cbranch_vccz .LBB160_1813
; %bb.1804:
	v_cmp_lt_i16_e32 vcc_lo, 45, v5
	s_cbranch_vccz .LBB160_1807
; %bb.1805:
	v_cmp_eq_u16_e32 vcc_lo, 46, v5
	s_mov_b32 s1, -1
	s_mov_b32 s7, 0
	s_cbranch_vccz .LBB160_1807
; %bb.1806:
	v_cvt_f32_f16_e32 v6, v3
	v_cmp_o_f16_e32 vcc_lo, v3, v3
	s_mov_b32 s1, 0
	s_mov_b32 s6, -1
	s_delay_alu instid0(VALU_DEP_2) | instskip(NEXT) | instid1(VALU_DEP_1)
	v_bfe_u32 v7, v6, 16, 1
	v_add3_u32 v6, v6, v7, 0x7fff
	s_delay_alu instid0(VALU_DEP_1) | instskip(NEXT) | instid1(VALU_DEP_1)
	v_lshrrev_b32_e32 v6, 16, v6
	v_cndmask_b32_e32 v6, 0x7fc0, v6, vcc_lo
	global_store_b32 v[0:1], v6, off
.LBB160_1807:
	s_and_b32 vcc_lo, exec_lo, s7
	s_cbranch_vccz .LBB160_1812
; %bb.1808:
	v_cmp_eq_u16_e32 vcc_lo, 44, v5
	s_mov_b32 s1, -1
	s_cbranch_vccz .LBB160_1812
; %bb.1809:
	v_cvt_f32_f16_e32 v6, v3
	v_mov_b32_e32 v7, 0xff
	s_mov_b32 s6, exec_lo
	s_delay_alu instid0(VALU_DEP_2) | instskip(NEXT) | instid1(VALU_DEP_1)
	v_bfe_u32 v9, v6, 23, 8
	v_cmpx_ne_u32_e32 0xff, v9
; %bb.1810:
	v_and_b32_e32 v7, 0x400000, v6
	v_and_or_b32 v9, 0x3fffff, v6, v9
	v_lshrrev_b32_e32 v6, 23, v6
	s_delay_alu instid0(VALU_DEP_3) | instskip(NEXT) | instid1(VALU_DEP_3)
	v_cmp_ne_u32_e32 vcc_lo, 0, v7
	v_cmp_ne_u32_e64 s1, 0, v9
	s_delay_alu instid0(VALU_DEP_1) | instskip(NEXT) | instid1(SALU_CYCLE_1)
	s_and_b32 s1, vcc_lo, s1
	v_cndmask_b32_e64 v7, 0, 1, s1
	s_delay_alu instid0(VALU_DEP_1)
	v_add_nc_u32_e32 v7, v6, v7
; %bb.1811:
	s_or_b32 exec_lo, exec_lo, s6
	s_mov_b32 s1, 0
	s_mov_b32 s6, -1
	global_store_b8 v[0:1], v7, off
.LBB160_1812:
	s_mov_b32 s7, 0
.LBB160_1813:
	s_delay_alu instid0(SALU_CYCLE_1)
	s_and_b32 vcc_lo, exec_lo, s7
	s_cbranch_vccz .LBB160_1816
; %bb.1814:
	v_cmp_eq_u16_e32 vcc_lo, 29, v5
	s_mov_b32 s1, -1
	s_cbranch_vccz .LBB160_1816
; %bb.1815:
	v_cvt_f32_f16_e32 v6, v3
	v_mov_b32_e32 v7, 0
	s_mov_b32 s1, 0
	s_mov_b32 s6, -1
	s_delay_alu instid0(VALU_DEP_2)
	v_cvt_u32_f32_e32 v6, v6
	global_store_b64 v[0:1], v[6:7], off
.LBB160_1816:
	s_mov_b32 s7, 0
.LBB160_1817:
	s_delay_alu instid0(SALU_CYCLE_1)
	s_and_b32 vcc_lo, exec_lo, s7
	s_cbranch_vccz .LBB160_1833
; %bb.1818:
	v_cmp_gt_i16_e32 vcc_lo, 27, v5
	s_mov_b32 s6, -1
	s_cbranch_vccnz .LBB160_1824
; %bb.1819:
	v_cmp_lt_i16_e32 vcc_lo, 27, v5
	s_cbranch_vccz .LBB160_1821
; %bb.1820:
	v_cvt_f32_f16_e32 v6, v3
	s_mov_b32 s6, 0
	s_delay_alu instid0(VALU_DEP_1)
	v_cvt_u32_f32_e32 v6, v6
	global_store_b32 v[0:1], v6, off
.LBB160_1821:
	s_and_not1_b32 vcc_lo, exec_lo, s6
	s_cbranch_vccnz .LBB160_1823
; %bb.1822:
	v_cvt_u16_f16_e32 v6, v3
	global_store_b16 v[0:1], v6, off
.LBB160_1823:
	s_mov_b32 s6, 0
.LBB160_1824:
	s_delay_alu instid0(SALU_CYCLE_1)
	s_and_not1_b32 vcc_lo, exec_lo, s6
	s_cbranch_vccnz .LBB160_1832
; %bb.1825:
	v_cvt_f32_f16_e32 v6, v3
	v_mov_b32_e32 v9, 0x80
	s_mov_b32 s6, exec_lo
	s_delay_alu instid0(VALU_DEP_2) | instskip(NEXT) | instid1(VALU_DEP_1)
	v_and_b32_e32 v7, 0x7fffffff, v6
	v_cmpx_gt_u32_e32 0x43800000, v7
	s_cbranch_execz .LBB160_1831
; %bb.1826:
	v_cmp_lt_u32_e32 vcc_lo, 0x3bffffff, v7
	s_mov_b32 s7, 0
                                        ; implicit-def: $vgpr7
	s_and_saveexec_b32 s11, vcc_lo
	s_delay_alu instid0(SALU_CYCLE_1)
	s_xor_b32 s11, exec_lo, s11
	s_cbranch_execz .LBB160_2059
; %bb.1827:
	v_bfe_u32 v7, v6, 20, 1
	s_mov_b32 s7, exec_lo
	s_delay_alu instid0(VALU_DEP_1) | instskip(NEXT) | instid1(VALU_DEP_1)
	v_add3_u32 v7, v6, v7, 0x487ffff
	v_lshrrev_b32_e32 v7, 20, v7
	s_or_saveexec_b32 s11, s11
                                        ; implicit-def: $sgpr12
	s_delay_alu instid0(SALU_CYCLE_1)
	s_xor_b32 exec_lo, exec_lo, s11
	s_cbranch_execnz .LBB160_2060
.LBB160_1828:
	s_or_b32 exec_lo, exec_lo, s11
	v_mov_b32_e32 v9, s12
	s_and_saveexec_b32 s11, s7
.LBB160_1829:
	v_lshrrev_b32_e32 v6, 24, v6
	s_delay_alu instid0(VALU_DEP_1)
	v_and_or_b32 v9, 0x80, v6, v7
.LBB160_1830:
	s_or_b32 exec_lo, exec_lo, s11
.LBB160_1831:
	s_delay_alu instid0(SALU_CYCLE_1)
	s_or_b32 exec_lo, exec_lo, s6
	global_store_b8 v[0:1], v9, off
.LBB160_1832:
	s_mov_b32 s6, -1
.LBB160_1833:
	s_mov_b32 s7, 0
.LBB160_1834:
	s_delay_alu instid0(SALU_CYCLE_1)
	s_and_b32 vcc_lo, exec_lo, s7
	s_cbranch_vccz .LBB160_1874
; %bb.1835:
	v_cmp_lt_i16_e32 vcc_lo, 22, v5
	s_mov_b32 s3, -1
	s_cbranch_vccz .LBB160_1867
; %bb.1836:
	v_cmp_gt_i16_e32 vcc_lo, 24, v5
	s_cbranch_vccnz .LBB160_1856
; %bb.1837:
	v_cmp_lt_i16_e32 vcc_lo, 24, v5
	s_cbranch_vccz .LBB160_1845
; %bb.1838:
	v_cvt_f32_f16_e32 v6, v3
	v_mov_b32_e32 v9, 0x80
	s_mov_b32 s3, exec_lo
	s_delay_alu instid0(VALU_DEP_2) | instskip(NEXT) | instid1(VALU_DEP_1)
	v_and_b32_e32 v7, 0x7fffffff, v6
	v_cmpx_gt_u32_e32 0x47800000, v7
	s_cbranch_execz .LBB160_1844
; %bb.1839:
	v_cmp_lt_u32_e32 vcc_lo, 0x37ffffff, v7
	s_mov_b32 s6, 0
                                        ; implicit-def: $vgpr7
	s_and_saveexec_b32 s7, vcc_lo
	s_delay_alu instid0(SALU_CYCLE_1)
	s_xor_b32 s7, exec_lo, s7
	s_cbranch_execz .LBB160_2065
; %bb.1840:
	v_bfe_u32 v7, v6, 21, 1
	s_mov_b32 s6, exec_lo
	s_delay_alu instid0(VALU_DEP_1) | instskip(NEXT) | instid1(VALU_DEP_1)
	v_add3_u32 v7, v6, v7, 0x88fffff
	v_lshrrev_b32_e32 v7, 21, v7
	s_or_saveexec_b32 s7, s7
                                        ; implicit-def: $sgpr11
	s_delay_alu instid0(SALU_CYCLE_1)
	s_xor_b32 exec_lo, exec_lo, s7
	s_cbranch_execnz .LBB160_2066
.LBB160_1841:
	s_or_b32 exec_lo, exec_lo, s7
	v_mov_b32_e32 v9, s11
	s_and_saveexec_b32 s7, s6
.LBB160_1842:
	v_lshrrev_b32_e32 v6, 24, v6
	s_delay_alu instid0(VALU_DEP_1)
	v_and_or_b32 v9, 0x80, v6, v7
.LBB160_1843:
	s_or_b32 exec_lo, exec_lo, s7
.LBB160_1844:
	s_delay_alu instid0(SALU_CYCLE_1)
	s_or_b32 exec_lo, exec_lo, s3
	s_mov_b32 s3, 0
	global_store_b8 v[0:1], v9, off
.LBB160_1845:
	s_and_b32 vcc_lo, exec_lo, s3
	s_cbranch_vccz .LBB160_1855
; %bb.1846:
	v_cvt_f32_f16_e32 v6, v3
	s_mov_b32 s3, exec_lo
                                        ; implicit-def: $vgpr7
	s_delay_alu instid0(VALU_DEP_1) | instskip(NEXT) | instid1(VALU_DEP_1)
	v_and_b32_e32 v9, 0x7fffffff, v6
	v_cmpx_gt_u32_e32 0x43f00000, v9
	s_xor_b32 s3, exec_lo, s3
	s_cbranch_execz .LBB160_1852
; %bb.1847:
	s_mov_b32 s6, exec_lo
                                        ; implicit-def: $vgpr7
	v_cmpx_lt_u32_e32 0x3c7fffff, v9
	s_xor_b32 s6, exec_lo, s6
; %bb.1848:
	v_bfe_u32 v7, v6, 20, 1
	s_delay_alu instid0(VALU_DEP_1) | instskip(NEXT) | instid1(VALU_DEP_1)
	v_add3_u32 v7, v6, v7, 0x407ffff
	v_and_b32_e32 v9, 0xff00000, v7
	v_lshrrev_b32_e32 v7, 20, v7
	s_delay_alu instid0(VALU_DEP_2) | instskip(NEXT) | instid1(VALU_DEP_2)
	v_cmp_ne_u32_e32 vcc_lo, 0x7f00000, v9
	v_cndmask_b32_e32 v7, 0x7e, v7, vcc_lo
; %bb.1849:
	s_and_not1_saveexec_b32 s6, s6
; %bb.1850:
	v_add_f32_e64 v7, 0x46800000, |v6|
; %bb.1851:
	s_or_b32 exec_lo, exec_lo, s6
                                        ; implicit-def: $vgpr9
.LBB160_1852:
	s_and_not1_saveexec_b32 s3, s3
; %bb.1853:
	v_mov_b32_e32 v7, 0x7f
	v_cmp_lt_u32_e32 vcc_lo, 0x7f800000, v9
	s_delay_alu instid0(VALU_DEP_2)
	v_cndmask_b32_e32 v7, 0x7e, v7, vcc_lo
; %bb.1854:
	s_or_b32 exec_lo, exec_lo, s3
	v_lshrrev_b32_e32 v6, 24, v6
	s_delay_alu instid0(VALU_DEP_1)
	v_and_or_b32 v6, 0x80, v6, v7
	global_store_b8 v[0:1], v6, off
.LBB160_1855:
	s_mov_b32 s3, 0
.LBB160_1856:
	s_delay_alu instid0(SALU_CYCLE_1)
	s_and_not1_b32 vcc_lo, exec_lo, s3
	s_cbranch_vccnz .LBB160_1866
; %bb.1857:
	v_cvt_f32_f16_e32 v6, v3
	s_mov_b32 s3, exec_lo
                                        ; implicit-def: $vgpr7
	s_delay_alu instid0(VALU_DEP_1) | instskip(NEXT) | instid1(VALU_DEP_1)
	v_and_b32_e32 v9, 0x7fffffff, v6
	v_cmpx_gt_u32_e32 0x47800000, v9
	s_xor_b32 s3, exec_lo, s3
	s_cbranch_execz .LBB160_1863
; %bb.1858:
	s_mov_b32 s6, exec_lo
                                        ; implicit-def: $vgpr7
	v_cmpx_lt_u32_e32 0x387fffff, v9
	s_xor_b32 s6, exec_lo, s6
; %bb.1859:
	v_bfe_u32 v7, v6, 21, 1
	s_delay_alu instid0(VALU_DEP_1) | instskip(NEXT) | instid1(VALU_DEP_1)
	v_add3_u32 v7, v6, v7, 0x80fffff
	v_lshrrev_b32_e32 v7, 21, v7
; %bb.1860:
	s_and_not1_saveexec_b32 s6, s6
; %bb.1861:
	v_add_f32_e64 v7, 0x43000000, |v6|
; %bb.1862:
	s_or_b32 exec_lo, exec_lo, s6
                                        ; implicit-def: $vgpr9
.LBB160_1863:
	s_and_not1_saveexec_b32 s3, s3
; %bb.1864:
	v_mov_b32_e32 v7, 0x7f
	v_cmp_lt_u32_e32 vcc_lo, 0x7f800000, v9
	s_delay_alu instid0(VALU_DEP_2)
	v_cndmask_b32_e32 v7, 0x7c, v7, vcc_lo
; %bb.1865:
	s_or_b32 exec_lo, exec_lo, s3
	v_lshrrev_b32_e32 v6, 24, v6
	s_delay_alu instid0(VALU_DEP_1)
	v_and_or_b32 v6, 0x80, v6, v7
	global_store_b8 v[0:1], v6, off
.LBB160_1866:
	s_mov_b32 s3, 0
	s_mov_b32 s6, -1
.LBB160_1867:
	s_and_not1_b32 vcc_lo, exec_lo, s3
	s_mov_b32 s3, 0
	s_cbranch_vccnz .LBB160_1874
; %bb.1868:
	v_cmp_lt_i16_e32 vcc_lo, 14, v5
	s_mov_b32 s3, -1
	s_cbranch_vccz .LBB160_1872
; %bb.1869:
	v_cmp_eq_u16_e32 vcc_lo, 15, v5
	s_mov_b32 s1, -1
	s_cbranch_vccz .LBB160_1871
; %bb.1870:
	v_cvt_f32_f16_e32 v6, v3
	v_cmp_o_f16_e32 vcc_lo, v3, v3
	s_mov_b32 s1, 0
	s_mov_b32 s6, -1
	s_delay_alu instid0(VALU_DEP_2) | instskip(NEXT) | instid1(VALU_DEP_1)
	v_bfe_u32 v7, v6, 16, 1
	v_add3_u32 v6, v6, v7, 0x7fff
	s_delay_alu instid0(VALU_DEP_1) | instskip(NEXT) | instid1(VALU_DEP_1)
	v_lshrrev_b32_e32 v6, 16, v6
	v_cndmask_b32_e32 v6, 0x7fc0, v6, vcc_lo
	global_store_b16 v[0:1], v6, off
.LBB160_1871:
	s_mov_b32 s3, 0
.LBB160_1872:
	s_delay_alu instid0(SALU_CYCLE_1)
	s_and_b32 vcc_lo, exec_lo, s3
	s_mov_b32 s3, 0
	s_cbranch_vccz .LBB160_1874
; %bb.1873:
	v_cmp_ne_u16_e64 s1, 11, v5
	s_mov_b32 s3, -1
.LBB160_1874:
	s_delay_alu instid0(VALU_DEP_1)
	s_and_b32 vcc_lo, exec_lo, s1
	s_cbranch_vccnz .LBB160_2063
; %bb.1875:
	s_and_not1_b32 vcc_lo, exec_lo, s3
	s_cbranch_vccnz .LBB160_1877
.LBB160_1876:
	v_cmp_neq_f16_e32 vcc_lo, 0, v4
	s_mov_b32 s6, -1
	s_or_b32 s0, s0, vcc_lo
	s_delay_alu instid0(SALU_CYCLE_1)
	v_cndmask_b32_e64 v4, 0, 1, s0
	global_store_b8 v[0:1], v4, off
.LBB160_1877:
	s_mov_b32 s0, 0
	s_branch .LBB160_1879
.LBB160_1878:
	s_mov_b32 s0, -1
	s_mov_b32 s6, 0
.LBB160_1879:
	s_and_b32 vcc_lo, exec_lo, s0
	s_cbranch_vccz .LBB160_1918
; %bb.1880:
	v_cmp_gt_i16_e32 vcc_lo, 5, v5
	s_mov_b32 s0, -1
	s_cbranch_vccnz .LBB160_1901
; %bb.1881:
	v_cmp_gt_i16_e32 vcc_lo, 8, v5
	s_cbranch_vccnz .LBB160_1891
; %bb.1882:
	v_cmp_gt_i16_e32 vcc_lo, 9, v5
	s_cbranch_vccnz .LBB160_1888
; %bb.1883:
	v_cmp_lt_i16_e32 vcc_lo, 9, v5
	s_cbranch_vccz .LBB160_1885
; %bb.1884:
	v_cvt_f32_f16_e32 v4, v3
	v_mov_b32_e32 v11, 0
	s_mov_b32 s0, 0
	s_delay_alu instid0(VALU_DEP_2) | instskip(NEXT) | instid1(VALU_DEP_2)
	v_cvt_f64_f32_e32 v[9:10], v4
	v_mov_b32_e32 v12, v11
	global_store_b128 v[0:1], v[9:12], off
.LBB160_1885:
	s_and_not1_b32 vcc_lo, exec_lo, s0
	s_cbranch_vccnz .LBB160_1887
; %bb.1886:
	v_cvt_f32_f16_e32 v6, v3
	v_mov_b32_e32 v7, 0
	global_store_b64 v[0:1], v[6:7], off
.LBB160_1887:
	s_mov_b32 s0, 0
.LBB160_1888:
	s_delay_alu instid0(SALU_CYCLE_1)
	s_and_not1_b32 vcc_lo, exec_lo, s0
	s_cbranch_vccnz .LBB160_1890
; %bb.1889:
	v_and_b32_e32 v4, 0xffff, v3
	global_store_b32 v[0:1], v4, off
.LBB160_1890:
	s_mov_b32 s0, 0
.LBB160_1891:
	s_delay_alu instid0(SALU_CYCLE_1)
	s_and_not1_b32 vcc_lo, exec_lo, s0
	s_cbranch_vccnz .LBB160_1900
; %bb.1892:
	v_cmp_gt_i16_e32 vcc_lo, 6, v5
	s_mov_b32 s0, -1
	s_cbranch_vccnz .LBB160_1898
; %bb.1893:
	v_cmp_lt_i16_e32 vcc_lo, 6, v5
	s_cbranch_vccz .LBB160_1895
; %bb.1894:
	v_cvt_f32_f16_e32 v4, v3
	s_mov_b32 s0, 0
	s_delay_alu instid0(VALU_DEP_1)
	v_cvt_f64_f32_e32 v[6:7], v4
	global_store_b64 v[0:1], v[6:7], off
.LBB160_1895:
	s_and_not1_b32 vcc_lo, exec_lo, s0
	s_cbranch_vccnz .LBB160_1897
; %bb.1896:
	v_cvt_f32_f16_e32 v4, v3
	global_store_b32 v[0:1], v4, off
.LBB160_1897:
	s_mov_b32 s0, 0
.LBB160_1898:
	s_delay_alu instid0(SALU_CYCLE_1)
	s_and_not1_b32 vcc_lo, exec_lo, s0
	s_cbranch_vccnz .LBB160_1900
; %bb.1899:
	global_store_b16 v[0:1], v3, off
.LBB160_1900:
	s_mov_b32 s0, 0
.LBB160_1901:
	s_delay_alu instid0(SALU_CYCLE_1)
	s_and_not1_b32 vcc_lo, exec_lo, s0
	s_cbranch_vccnz .LBB160_1917
; %bb.1902:
	v_cmp_gt_i16_e32 vcc_lo, 2, v5
	s_mov_b32 s0, -1
	s_cbranch_vccnz .LBB160_1912
; %bb.1903:
	v_cmp_gt_i16_e32 vcc_lo, 3, v5
	s_cbranch_vccnz .LBB160_1909
; %bb.1904:
	v_cmp_lt_i16_e32 vcc_lo, 3, v5
	s_cbranch_vccz .LBB160_1906
; %bb.1905:
	v_cvt_f32_f16_e32 v4, v3
	s_mov_b32 s0, 0
	s_delay_alu instid0(VALU_DEP_1) | instskip(NEXT) | instid1(VALU_DEP_1)
	v_cvt_i32_f32_e32 v6, v4
	v_ashrrev_i32_e32 v7, 31, v6
	global_store_b64 v[0:1], v[6:7], off
.LBB160_1906:
	s_and_not1_b32 vcc_lo, exec_lo, s0
	s_cbranch_vccnz .LBB160_1908
; %bb.1907:
	v_cvt_f32_f16_e32 v4, v3
	s_delay_alu instid0(VALU_DEP_1)
	v_cvt_i32_f32_e32 v4, v4
	global_store_b32 v[0:1], v4, off
.LBB160_1908:
	s_mov_b32 s0, 0
.LBB160_1909:
	s_delay_alu instid0(SALU_CYCLE_1)
	s_and_not1_b32 vcc_lo, exec_lo, s0
	s_cbranch_vccnz .LBB160_1911
; %bb.1910:
	v_cvt_i16_f16_e32 v4, v3
	global_store_b16 v[0:1], v4, off
.LBB160_1911:
	s_mov_b32 s0, 0
.LBB160_1912:
	s_delay_alu instid0(SALU_CYCLE_1)
	s_and_not1_b32 vcc_lo, exec_lo, s0
	s_cbranch_vccnz .LBB160_1917
; %bb.1913:
	v_cmp_lt_i16_e32 vcc_lo, 0, v5
	s_mov_b32 s0, -1
	s_cbranch_vccz .LBB160_1915
; %bb.1914:
	v_cvt_i16_f16_e32 v4, v3
	s_mov_b32 s0, 0
	global_store_b8 v[0:1], v4, off
.LBB160_1915:
	s_and_not1_b32 vcc_lo, exec_lo, s0
	s_cbranch_vccnz .LBB160_1917
; %bb.1916:
	v_cvt_f32_f16_e32 v3, v3
	s_delay_alu instid0(VALU_DEP_1)
	v_cvt_i32_f32_e32 v3, v3
	global_store_b8 v[0:1], v3, off
.LBB160_1917:
	s_mov_b32 s6, -1
.LBB160_1918:
	s_delay_alu instid0(SALU_CYCLE_1)
	s_and_not1_b32 vcc_lo, exec_lo, s6
	s_cbranch_vccnz .LBB160_1995
; %bb.1919:
	v_cvt_f32_f16_e32 v0, v8
	s_mov_b32 s0, 0xbf317218
	v_cmp_gt_f16_e64 s1, 0xcc40, v8
	s_delay_alu instid0(VALU_DEP_2) | instskip(NEXT) | instid1(VALU_DEP_1)
	v_dual_mul_f32 v1, 0x3fb8aa3b, v0 :: v_dual_add_nc_u32 v2, s2, v2
	v_rndne_f32_e32 v1, v1
	s_delay_alu instid0(VALU_DEP_1) | instskip(SKIP_3) | instid1(VALU_DEP_3)
	v_fma_mix_f32 v3, v1, s0, v8 op_sel_hi:[0,0,1]
	v_cvt_i32_f32_e32 v6, v1
	v_cmp_eq_f32_e32 vcc_lo, 0x43000000, v1
	s_mov_b32 s0, 0x395133b1
	v_fmamk_f32 v3, v1, 0x3102e308, v3
	s_delay_alu instid0(VALU_DEP_3) | instskip(NEXT) | instid1(VALU_DEP_1)
	v_cndmask_b32_e64 v1, v6, 0x7f, vcc_lo
	v_ldexp_f32 v1, 1.0, v1
	s_delay_alu instid0(VALU_DEP_1) | instskip(NEXT) | instid1(VALU_DEP_4)
	v_add_f32_e32 v6, -1.0, v1
	v_fmaak_f32 v4, s0, v3, 0x3ab69700
	s_delay_alu instid0(VALU_DEP_1) | instskip(NEXT) | instid1(VALU_DEP_1)
	v_fmaak_f32 v4, v3, v4, 0x3c0887f9
	v_fmaak_f32 v4, v3, v4, 0x3d2aaa81
	s_delay_alu instid0(VALU_DEP_1) | instskip(NEXT) | instid1(VALU_DEP_1)
	v_fmaak_f32 v4, v3, v4, 0x3e2aaaab
	v_fma_f32 v4, v3, v4, 0.5
	s_delay_alu instid0(VALU_DEP_1) | instskip(NEXT) | instid1(VALU_DEP_1)
	v_mul_f32_e32 v4, v3, v4
	v_fmac_f32_e32 v3, v3, v4
	s_delay_alu instid0(VALU_DEP_1) | instskip(NEXT) | instid1(VALU_DEP_1)
	v_fmac_f32_e32 v6, v1, v3
	v_add_f32_e32 v1, v6, v6
	s_delay_alu instid0(VALU_DEP_1) | instskip(SKIP_1) | instid1(VALU_DEP_2)
	v_cndmask_b32_e32 v1, v6, v1, vcc_lo
	v_cmp_nlt_f32_e32 vcc_lo, 0x42b17217, v0
	v_cndmask_b32_e32 v0, 0x7f800000, v1, vcc_lo
	v_ashrrev_i32_e32 v1, 31, v2
	v_cmp_gt_i16_e32 vcc_lo, 11, v5
	s_delay_alu instid0(VALU_DEP_3) | instskip(SKIP_1) | instid1(VALU_DEP_1)
	v_cvt_f16_f32_e32 v7, v0
	v_add_co_u32 v0, s0, s4, v2
	v_add_co_ci_u32_e64 v1, s0, s5, v1, s0
	s_delay_alu instid0(VALU_DEP_3)
	v_cndmask_b32_e64 v6, v7, 0xbc00, s1
	s_cbranch_vccnz .LBB160_2040
; %bb.1920:
	v_cmp_lt_i16_e32 vcc_lo, 25, v5
	s_mov_b32 s3, -1
	s_mov_b32 s2, 0
	s_mov_b32 s0, 0
	s_cbranch_vccz .LBB160_1953
; %bb.1921:
	v_cmp_lt_i16_e32 vcc_lo, 28, v5
	s_cbranch_vccz .LBB160_1937
; %bb.1922:
	v_cmp_lt_i16_e32 vcc_lo, 43, v5
	;; [unrolled: 3-line block ×3, first 2 shown]
	s_cbranch_vccz .LBB160_1927
; %bb.1924:
	v_cmp_eq_u16_e32 vcc_lo, 46, v5
	s_mov_b32 s0, -1
	s_cbranch_vccz .LBB160_1926
; %bb.1925:
	v_cvt_f32_f16_e32 v2, v6
	v_cmp_o_f16_e32 vcc_lo, v6, v6
	s_mov_b32 s0, 0
	s_delay_alu instid0(VALU_DEP_2) | instskip(NEXT) | instid1(VALU_DEP_1)
	v_bfe_u32 v3, v2, 16, 1
	v_add3_u32 v2, v2, v3, 0x7fff
	s_delay_alu instid0(VALU_DEP_1) | instskip(NEXT) | instid1(VALU_DEP_1)
	v_lshrrev_b32_e32 v2, 16, v2
	v_cndmask_b32_e32 v2, 0x7fc0, v2, vcc_lo
	global_store_b32 v[0:1], v2, off
.LBB160_1926:
	s_mov_b32 s3, 0
.LBB160_1927:
	s_delay_alu instid0(SALU_CYCLE_1)
	s_and_b32 vcc_lo, exec_lo, s3
	s_cbranch_vccz .LBB160_1932
; %bb.1928:
	v_cmp_eq_u16_e32 vcc_lo, 44, v5
	s_mov_b32 s0, -1
	s_cbranch_vccz .LBB160_1932
; %bb.1929:
	v_cvt_f32_f16_e32 v2, v6
	v_mov_b32_e32 v3, 0xff
	s_mov_b32 s3, exec_lo
	s_delay_alu instid0(VALU_DEP_2) | instskip(NEXT) | instid1(VALU_DEP_1)
	v_bfe_u32 v4, v2, 23, 8
	v_cmpx_ne_u32_e32 0xff, v4
; %bb.1930:
	v_and_b32_e32 v3, 0x400000, v2
	v_and_or_b32 v4, 0x3fffff, v2, v4
	v_lshrrev_b32_e32 v2, 23, v2
	s_delay_alu instid0(VALU_DEP_3) | instskip(NEXT) | instid1(VALU_DEP_3)
	v_cmp_ne_u32_e32 vcc_lo, 0, v3
	v_cmp_ne_u32_e64 s0, 0, v4
	s_delay_alu instid0(VALU_DEP_1) | instskip(NEXT) | instid1(SALU_CYCLE_1)
	s_and_b32 s0, vcc_lo, s0
	v_cndmask_b32_e64 v3, 0, 1, s0
	s_delay_alu instid0(VALU_DEP_1)
	v_add_nc_u32_e32 v3, v2, v3
; %bb.1931:
	s_or_b32 exec_lo, exec_lo, s3
	s_mov_b32 s0, 0
	global_store_b8 v[0:1], v3, off
.LBB160_1932:
	s_mov_b32 s3, 0
.LBB160_1933:
	s_delay_alu instid0(SALU_CYCLE_1)
	s_and_b32 vcc_lo, exec_lo, s3
	s_cbranch_vccz .LBB160_1936
; %bb.1934:
	v_cmp_eq_u16_e32 vcc_lo, 29, v5
	s_mov_b32 s0, -1
	s_cbranch_vccz .LBB160_1936
; %bb.1935:
	v_cvt_f32_f16_e32 v2, v6
	v_mov_b32_e32 v3, 0
	s_mov_b32 s0, 0
	s_delay_alu instid0(VALU_DEP_2)
	v_cvt_u32_f32_e32 v2, v2
	global_store_b64 v[0:1], v[2:3], off
.LBB160_1936:
	s_mov_b32 s3, 0
.LBB160_1937:
	s_delay_alu instid0(SALU_CYCLE_1)
	s_and_b32 vcc_lo, exec_lo, s3
	s_cbranch_vccz .LBB160_1952
; %bb.1938:
	v_cmp_gt_i16_e32 vcc_lo, 27, v5
	s_mov_b32 s3, -1
	s_cbranch_vccnz .LBB160_1944
; %bb.1939:
	v_cmp_lt_i16_e32 vcc_lo, 27, v5
	s_cbranch_vccz .LBB160_1941
; %bb.1940:
	v_cvt_f32_f16_e32 v2, v6
	s_mov_b32 s3, 0
	s_delay_alu instid0(VALU_DEP_1)
	v_cvt_u32_f32_e32 v2, v2
	global_store_b32 v[0:1], v2, off
.LBB160_1941:
	s_and_not1_b32 vcc_lo, exec_lo, s3
	s_cbranch_vccnz .LBB160_1943
; %bb.1942:
	v_cvt_u16_f16_e32 v2, v6
	global_store_b16 v[0:1], v2, off
.LBB160_1943:
	s_mov_b32 s3, 0
.LBB160_1944:
	s_delay_alu instid0(SALU_CYCLE_1)
	s_and_not1_b32 vcc_lo, exec_lo, s3
	s_cbranch_vccnz .LBB160_1952
; %bb.1945:
	v_cvt_f32_f16_e32 v2, v6
	v_mov_b32_e32 v4, 0x80
	s_mov_b32 s3, exec_lo
	s_delay_alu instid0(VALU_DEP_2) | instskip(NEXT) | instid1(VALU_DEP_1)
	v_and_b32_e32 v3, 0x7fffffff, v2
	v_cmpx_gt_u32_e32 0x43800000, v3
	s_cbranch_execz .LBB160_1951
; %bb.1946:
	v_cmp_lt_u32_e32 vcc_lo, 0x3bffffff, v3
	s_mov_b32 s4, 0
                                        ; implicit-def: $vgpr3
	s_and_saveexec_b32 s5, vcc_lo
	s_delay_alu instid0(SALU_CYCLE_1)
	s_xor_b32 s5, exec_lo, s5
	s_cbranch_execz .LBB160_2067
; %bb.1947:
	v_bfe_u32 v3, v2, 20, 1
	s_mov_b32 s4, exec_lo
	s_delay_alu instid0(VALU_DEP_1) | instskip(NEXT) | instid1(VALU_DEP_1)
	v_add3_u32 v3, v2, v3, 0x487ffff
	v_lshrrev_b32_e32 v3, 20, v3
	s_or_saveexec_b32 s5, s5
                                        ; implicit-def: $sgpr6
	s_delay_alu instid0(SALU_CYCLE_1)
	s_xor_b32 exec_lo, exec_lo, s5
	s_cbranch_execnz .LBB160_2068
.LBB160_1948:
	s_or_b32 exec_lo, exec_lo, s5
	v_mov_b32_e32 v4, s6
	s_and_saveexec_b32 s5, s4
.LBB160_1949:
	v_lshrrev_b32_e32 v2, 24, v2
	s_delay_alu instid0(VALU_DEP_1)
	v_and_or_b32 v4, 0x80, v2, v3
.LBB160_1950:
	s_or_b32 exec_lo, exec_lo, s5
.LBB160_1951:
	s_delay_alu instid0(SALU_CYCLE_1)
	s_or_b32 exec_lo, exec_lo, s3
	global_store_b8 v[0:1], v4, off
.LBB160_1952:
	s_mov_b32 s3, 0
.LBB160_1953:
	s_delay_alu instid0(SALU_CYCLE_1)
	s_and_b32 vcc_lo, exec_lo, s3
	s_cbranch_vccz .LBB160_1993
; %bb.1954:
	v_cmp_lt_i16_e32 vcc_lo, 22, v5
	s_mov_b32 s2, -1
	s_cbranch_vccz .LBB160_1986
; %bb.1955:
	v_cmp_gt_i16_e32 vcc_lo, 24, v5
	s_cbranch_vccnz .LBB160_1975
; %bb.1956:
	v_cmp_lt_i16_e32 vcc_lo, 24, v5
	s_cbranch_vccz .LBB160_1964
; %bb.1957:
	v_cvt_f32_f16_e32 v2, v6
	v_mov_b32_e32 v4, 0x80
	s_mov_b32 s2, exec_lo
	s_delay_alu instid0(VALU_DEP_2) | instskip(NEXT) | instid1(VALU_DEP_1)
	v_and_b32_e32 v3, 0x7fffffff, v2
	v_cmpx_gt_u32_e32 0x47800000, v3
	s_cbranch_execz .LBB160_1963
; %bb.1958:
	v_cmp_lt_u32_e32 vcc_lo, 0x37ffffff, v3
	s_mov_b32 s3, 0
                                        ; implicit-def: $vgpr3
	s_and_saveexec_b32 s4, vcc_lo
	s_delay_alu instid0(SALU_CYCLE_1)
	s_xor_b32 s4, exec_lo, s4
	s_cbranch_execz .LBB160_2073
; %bb.1959:
	v_bfe_u32 v3, v2, 21, 1
	s_mov_b32 s3, exec_lo
	s_delay_alu instid0(VALU_DEP_1) | instskip(NEXT) | instid1(VALU_DEP_1)
	v_add3_u32 v3, v2, v3, 0x88fffff
	v_lshrrev_b32_e32 v3, 21, v3
	s_or_saveexec_b32 s4, s4
                                        ; implicit-def: $sgpr5
	s_delay_alu instid0(SALU_CYCLE_1)
	s_xor_b32 exec_lo, exec_lo, s4
	s_cbranch_execnz .LBB160_2074
.LBB160_1960:
	s_or_b32 exec_lo, exec_lo, s4
	v_mov_b32_e32 v4, s5
	s_and_saveexec_b32 s4, s3
.LBB160_1961:
	v_lshrrev_b32_e32 v2, 24, v2
	s_delay_alu instid0(VALU_DEP_1)
	v_and_or_b32 v4, 0x80, v2, v3
.LBB160_1962:
	s_or_b32 exec_lo, exec_lo, s4
.LBB160_1963:
	s_delay_alu instid0(SALU_CYCLE_1)
	s_or_b32 exec_lo, exec_lo, s2
	s_mov_b32 s2, 0
	global_store_b8 v[0:1], v4, off
.LBB160_1964:
	s_and_b32 vcc_lo, exec_lo, s2
	s_cbranch_vccz .LBB160_1974
; %bb.1965:
	v_cvt_f32_f16_e32 v2, v6
	s_mov_b32 s2, exec_lo
                                        ; implicit-def: $vgpr3
	s_delay_alu instid0(VALU_DEP_1) | instskip(NEXT) | instid1(VALU_DEP_1)
	v_and_b32_e32 v4, 0x7fffffff, v2
	v_cmpx_gt_u32_e32 0x43f00000, v4
	s_xor_b32 s2, exec_lo, s2
	s_cbranch_execz .LBB160_1971
; %bb.1966:
	s_mov_b32 s3, exec_lo
                                        ; implicit-def: $vgpr3
	v_cmpx_lt_u32_e32 0x3c7fffff, v4
	s_xor_b32 s3, exec_lo, s3
; %bb.1967:
	v_bfe_u32 v3, v2, 20, 1
	s_delay_alu instid0(VALU_DEP_1) | instskip(NEXT) | instid1(VALU_DEP_1)
	v_add3_u32 v3, v2, v3, 0x407ffff
	v_and_b32_e32 v4, 0xff00000, v3
	v_lshrrev_b32_e32 v3, 20, v3
	s_delay_alu instid0(VALU_DEP_2) | instskip(NEXT) | instid1(VALU_DEP_2)
	v_cmp_ne_u32_e32 vcc_lo, 0x7f00000, v4
	v_cndmask_b32_e32 v3, 0x7e, v3, vcc_lo
; %bb.1968:
	s_and_not1_saveexec_b32 s3, s3
; %bb.1969:
	v_add_f32_e64 v3, 0x46800000, |v2|
; %bb.1970:
	s_or_b32 exec_lo, exec_lo, s3
                                        ; implicit-def: $vgpr4
.LBB160_1971:
	s_and_not1_saveexec_b32 s2, s2
; %bb.1972:
	v_mov_b32_e32 v3, 0x7f
	v_cmp_lt_u32_e32 vcc_lo, 0x7f800000, v4
	s_delay_alu instid0(VALU_DEP_2)
	v_cndmask_b32_e32 v3, 0x7e, v3, vcc_lo
; %bb.1973:
	s_or_b32 exec_lo, exec_lo, s2
	v_lshrrev_b32_e32 v2, 24, v2
	s_delay_alu instid0(VALU_DEP_1)
	v_and_or_b32 v2, 0x80, v2, v3
	global_store_b8 v[0:1], v2, off
.LBB160_1974:
	s_mov_b32 s2, 0
.LBB160_1975:
	s_delay_alu instid0(SALU_CYCLE_1)
	s_and_not1_b32 vcc_lo, exec_lo, s2
	s_cbranch_vccnz .LBB160_1985
; %bb.1976:
	v_cvt_f32_f16_e32 v2, v6
	s_mov_b32 s2, exec_lo
                                        ; implicit-def: $vgpr3
	s_delay_alu instid0(VALU_DEP_1) | instskip(NEXT) | instid1(VALU_DEP_1)
	v_and_b32_e32 v4, 0x7fffffff, v2
	v_cmpx_gt_u32_e32 0x47800000, v4
	s_xor_b32 s2, exec_lo, s2
	s_cbranch_execz .LBB160_1982
; %bb.1977:
	s_mov_b32 s3, exec_lo
                                        ; implicit-def: $vgpr3
	v_cmpx_lt_u32_e32 0x387fffff, v4
	s_xor_b32 s3, exec_lo, s3
; %bb.1978:
	v_bfe_u32 v3, v2, 21, 1
	s_delay_alu instid0(VALU_DEP_1) | instskip(NEXT) | instid1(VALU_DEP_1)
	v_add3_u32 v3, v2, v3, 0x80fffff
	v_lshrrev_b32_e32 v3, 21, v3
; %bb.1979:
	s_and_not1_saveexec_b32 s3, s3
; %bb.1980:
	v_add_f32_e64 v3, 0x43000000, |v2|
; %bb.1981:
	s_or_b32 exec_lo, exec_lo, s3
                                        ; implicit-def: $vgpr4
.LBB160_1982:
	s_and_not1_saveexec_b32 s2, s2
; %bb.1983:
	v_mov_b32_e32 v3, 0x7f
	v_cmp_lt_u32_e32 vcc_lo, 0x7f800000, v4
	s_delay_alu instid0(VALU_DEP_2)
	v_cndmask_b32_e32 v3, 0x7c, v3, vcc_lo
; %bb.1984:
	s_or_b32 exec_lo, exec_lo, s2
	v_lshrrev_b32_e32 v2, 24, v2
	s_delay_alu instid0(VALU_DEP_1)
	v_and_or_b32 v2, 0x80, v2, v3
	global_store_b8 v[0:1], v2, off
.LBB160_1985:
	s_mov_b32 s2, 0
.LBB160_1986:
	s_delay_alu instid0(SALU_CYCLE_1)
	s_and_not1_b32 vcc_lo, exec_lo, s2
	s_mov_b32 s2, 0
	s_cbranch_vccnz .LBB160_1993
; %bb.1987:
	v_cmp_lt_i16_e32 vcc_lo, 14, v5
	s_mov_b32 s2, -1
	s_cbranch_vccz .LBB160_1991
; %bb.1988:
	v_cmp_eq_u16_e32 vcc_lo, 15, v5
	s_mov_b32 s0, -1
	s_cbranch_vccz .LBB160_1990
; %bb.1989:
	v_cvt_f32_f16_e32 v2, v6
	v_cmp_o_f16_e32 vcc_lo, v6, v6
	s_mov_b32 s0, 0
	s_delay_alu instid0(VALU_DEP_2) | instskip(NEXT) | instid1(VALU_DEP_1)
	v_bfe_u32 v3, v2, 16, 1
	v_add3_u32 v2, v2, v3, 0x7fff
	s_delay_alu instid0(VALU_DEP_1) | instskip(NEXT) | instid1(VALU_DEP_1)
	v_lshrrev_b32_e32 v2, 16, v2
	v_cndmask_b32_e32 v2, 0x7fc0, v2, vcc_lo
	global_store_b16 v[0:1], v2, off
.LBB160_1990:
	s_mov_b32 s2, 0
.LBB160_1991:
	s_delay_alu instid0(SALU_CYCLE_1)
	s_and_b32 vcc_lo, exec_lo, s2
	s_mov_b32 s2, 0
	s_cbranch_vccz .LBB160_1993
; %bb.1992:
	v_cmp_ne_u16_e64 s0, 11, v5
	s_mov_b32 s2, -1
.LBB160_1993:
	s_delay_alu instid0(VALU_DEP_1)
	s_and_b32 vcc_lo, exec_lo, s0
	s_cbranch_vccnz .LBB160_2071
.LBB160_1994:
	s_mov_b32 s0, 0
	s_branch .LBB160_1996
.LBB160_1995:
	s_mov_b32 s0, 0
	s_mov_b32 s2, 0
                                        ; implicit-def: $sgpr1
                                        ; implicit-def: $vgpr5
                                        ; implicit-def: $vgpr0_vgpr1
                                        ; implicit-def: $vgpr6
                                        ; implicit-def: $vgpr7
.LBB160_1996:
	s_and_not1_b32 s3, s10, exec_lo
	s_and_b32 s4, s8, exec_lo
	s_and_b32 s1, s1, exec_lo
	s_and_b32 s0, s0, exec_lo
	s_and_b32 s8, s2, exec_lo
	s_or_b32 s10, s3, s4
.LBB160_1997:
	s_or_b32 exec_lo, exec_lo, s9
	s_and_saveexec_b32 s2, s10
	s_cbranch_execz .LBB160_2000
; %bb.1998:
	; divergent unreachable
	s_or_b32 exec_lo, exec_lo, s2
	s_and_saveexec_b32 s2, s8
	s_delay_alu instid0(SALU_CYCLE_1)
	s_xor_b32 s2, exec_lo, s2
	s_cbranch_execnz .LBB160_2001
.LBB160_1999:
	s_or_b32 exec_lo, exec_lo, s2
	s_and_saveexec_b32 s1, s0
	s_cbranch_execnz .LBB160_2002
	s_branch .LBB160_2039
.LBB160_2000:
	s_or_b32 exec_lo, exec_lo, s2
	s_and_saveexec_b32 s2, s8
	s_delay_alu instid0(SALU_CYCLE_1)
	s_xor_b32 s2, exec_lo, s2
	s_cbranch_execz .LBB160_1999
.LBB160_2001:
	s_waitcnt vmcnt(0)
	v_cmp_neq_f16_e32 vcc_lo, 0, v7
	s_or_b32 s1, s1, vcc_lo
	s_delay_alu instid0(SALU_CYCLE_1)
	v_cndmask_b32_e64 v2, 0, 1, s1
	global_store_b8 v[0:1], v2, off
	s_or_b32 exec_lo, exec_lo, s2
	s_and_saveexec_b32 s1, s0
	s_cbranch_execz .LBB160_2039
.LBB160_2002:
	s_waitcnt vmcnt(0)
	v_cmp_gt_i16_e32 vcc_lo, 5, v5
	s_mov_b32 s0, -1
	s_cbranch_vccnz .LBB160_2023
; %bb.2003:
	v_cmp_gt_i16_e32 vcc_lo, 8, v5
	s_cbranch_vccnz .LBB160_2013
; %bb.2004:
	v_cmp_gt_i16_e32 vcc_lo, 9, v5
	s_cbranch_vccnz .LBB160_2010
; %bb.2005:
	v_cmp_lt_i16_e32 vcc_lo, 9, v5
	s_cbranch_vccz .LBB160_2007
; %bb.2006:
	v_cvt_f32_f16_e32 v2, v6
	v_mov_b32_e32 v9, 0
	s_mov_b32 s0, 0
	s_delay_alu instid0(VALU_DEP_2) | instskip(NEXT) | instid1(VALU_DEP_2)
	v_cvt_f64_f32_e32 v[7:8], v2
	v_mov_b32_e32 v10, v9
	global_store_b128 v[0:1], v[7:10], off
.LBB160_2007:
	s_and_not1_b32 vcc_lo, exec_lo, s0
	s_cbranch_vccnz .LBB160_2009
; %bb.2008:
	v_cvt_f32_f16_e32 v2, v6
	v_mov_b32_e32 v3, 0
	global_store_b64 v[0:1], v[2:3], off
.LBB160_2009:
	s_mov_b32 s0, 0
.LBB160_2010:
	s_delay_alu instid0(SALU_CYCLE_1)
	s_and_not1_b32 vcc_lo, exec_lo, s0
	s_cbranch_vccnz .LBB160_2012
; %bb.2011:
	v_and_b32_e32 v2, 0xffff, v6
	global_store_b32 v[0:1], v2, off
.LBB160_2012:
	s_mov_b32 s0, 0
.LBB160_2013:
	s_delay_alu instid0(SALU_CYCLE_1)
	s_and_not1_b32 vcc_lo, exec_lo, s0
	s_cbranch_vccnz .LBB160_2022
; %bb.2014:
	v_cmp_gt_i16_e32 vcc_lo, 6, v5
	s_mov_b32 s0, -1
	s_cbranch_vccnz .LBB160_2020
; %bb.2015:
	v_cmp_lt_i16_e32 vcc_lo, 6, v5
	s_cbranch_vccz .LBB160_2017
; %bb.2016:
	v_cvt_f32_f16_e32 v2, v6
	s_mov_b32 s0, 0
	s_delay_alu instid0(VALU_DEP_1)
	v_cvt_f64_f32_e32 v[2:3], v2
	global_store_b64 v[0:1], v[2:3], off
.LBB160_2017:
	s_and_not1_b32 vcc_lo, exec_lo, s0
	s_cbranch_vccnz .LBB160_2019
; %bb.2018:
	v_cvt_f32_f16_e32 v2, v6
	global_store_b32 v[0:1], v2, off
.LBB160_2019:
	s_mov_b32 s0, 0
.LBB160_2020:
	s_delay_alu instid0(SALU_CYCLE_1)
	s_and_not1_b32 vcc_lo, exec_lo, s0
	s_cbranch_vccnz .LBB160_2022
; %bb.2021:
	global_store_b16 v[0:1], v6, off
.LBB160_2022:
	s_mov_b32 s0, 0
.LBB160_2023:
	s_delay_alu instid0(SALU_CYCLE_1)
	s_and_not1_b32 vcc_lo, exec_lo, s0
	s_cbranch_vccnz .LBB160_2039
; %bb.2024:
	v_cmp_gt_i16_e32 vcc_lo, 2, v5
	s_mov_b32 s0, -1
	s_cbranch_vccnz .LBB160_2034
; %bb.2025:
	v_cmp_gt_i16_e32 vcc_lo, 3, v5
	s_cbranch_vccnz .LBB160_2031
; %bb.2026:
	v_cmp_lt_i16_e32 vcc_lo, 3, v5
	s_cbranch_vccz .LBB160_2028
; %bb.2027:
	v_cvt_f32_f16_e32 v2, v6
	s_mov_b32 s0, 0
	s_delay_alu instid0(VALU_DEP_1) | instskip(NEXT) | instid1(VALU_DEP_1)
	v_cvt_i32_f32_e32 v2, v2
	v_ashrrev_i32_e32 v3, 31, v2
	global_store_b64 v[0:1], v[2:3], off
.LBB160_2028:
	s_and_not1_b32 vcc_lo, exec_lo, s0
	s_cbranch_vccnz .LBB160_2030
; %bb.2029:
	v_cvt_f32_f16_e32 v2, v6
	s_delay_alu instid0(VALU_DEP_1)
	v_cvt_i32_f32_e32 v2, v2
	global_store_b32 v[0:1], v2, off
.LBB160_2030:
	s_mov_b32 s0, 0
.LBB160_2031:
	s_delay_alu instid0(SALU_CYCLE_1)
	s_and_not1_b32 vcc_lo, exec_lo, s0
	s_cbranch_vccnz .LBB160_2033
; %bb.2032:
	v_cvt_i16_f16_e32 v2, v6
	global_store_b16 v[0:1], v2, off
.LBB160_2033:
	s_mov_b32 s0, 0
.LBB160_2034:
	s_delay_alu instid0(SALU_CYCLE_1)
	s_and_not1_b32 vcc_lo, exec_lo, s0
	s_cbranch_vccnz .LBB160_2039
; %bb.2035:
	v_cmp_lt_i16_e32 vcc_lo, 0, v5
	s_mov_b32 s0, -1
	s_cbranch_vccz .LBB160_2037
; %bb.2036:
	v_cvt_i16_f16_e32 v2, v6
	s_mov_b32 s0, 0
	global_store_b8 v[0:1], v2, off
.LBB160_2037:
	s_and_not1_b32 vcc_lo, exec_lo, s0
	s_cbranch_vccnz .LBB160_2039
; %bb.2038:
	v_cvt_f32_f16_e32 v2, v6
	s_delay_alu instid0(VALU_DEP_1)
	v_cvt_i32_f32_e32 v2, v2
	global_store_b8 v[0:1], v2, off
	s_nop 0
	s_sendmsg sendmsg(MSG_DEALLOC_VGPRS)
	s_endpgm
.LBB160_2039:
	s_nop 0
	s_sendmsg sendmsg(MSG_DEALLOC_VGPRS)
	s_endpgm
.LBB160_2040:
	s_mov_b32 s2, 0
	s_mov_b32 s0, -1
	s_branch .LBB160_1996
.LBB160_2041:
	s_cbranch_execnz .LBB160_2045
; %bb.2042:
	s_or_b32 s8, s8, exec_lo
                                        ; implicit-def: $vgpr8
	s_cbranch_execz .LBB160_1510
	s_branch .LBB160_1511
.LBB160_2043:
	s_or_saveexec_b32 s11, s11
                                        ; implicit-def: $sgpr12
	s_delay_alu instid0(SALU_CYCLE_1)
	s_xor_b32 exec_lo, exec_lo, s11
	s_cbranch_execz .LBB160_1590
.LBB160_2044:
	v_add_f32_e64 v10, 0x46000000, |v9|
	s_and_not1_b32 s7, s7, exec_lo
	s_mov_b32 s12, 0
	s_delay_alu instid0(VALU_DEP_1) | instskip(NEXT) | instid1(VALU_DEP_1)
	v_and_b32_e32 v10, 0xff, v10
	v_cmp_ne_u32_e32 vcc_lo, 0, v10
	s_and_b32 s13, vcc_lo, exec_lo
	s_delay_alu instid0(SALU_CYCLE_1)
	s_or_b32 s7, s7, s13
	s_or_b32 exec_lo, exec_lo, s11
	v_mov_b32_e32 v11, s12
	s_and_saveexec_b32 s11, s7
	s_cbranch_execnz .LBB160_1591
	s_branch .LBB160_1592
.LBB160_2045:
	s_trap 2
	s_sendmsg_rtn_b32 s0, sendmsg(MSG_RTN_GET_DOORBELL)
	s_mov_b32 ttmp2, m0
	s_waitcnt lgkmcnt(0)
	s_and_b32 s0, s0, 0x3ff
	s_delay_alu instid0(SALU_CYCLE_1) | instskip(NEXT) | instid1(SALU_CYCLE_1)
	s_bitset1_b32 s0, 10
	s_mov_b32 m0, s0
	s_sendmsg sendmsg(MSG_INTERRUPT)
	s_mov_b32 m0, ttmp2
.LBB160_2046:                           ; =>This Inner Loop Header: Depth=1
	s_sethalt 5
	s_branch .LBB160_2046
.LBB160_2047:
	s_cbranch_execnz .LBB160_2053
; %bb.2048:
	s_or_b32 s8, s8, exec_lo
	s_cbranch_execz .LBB160_1638
	s_branch .LBB160_1639
.LBB160_2049:
	s_or_saveexec_b32 s7, s7
                                        ; implicit-def: $sgpr11
	s_delay_alu instid0(SALU_CYCLE_1)
	s_xor_b32 exec_lo, exec_lo, s7
	s_cbranch_execz .LBB160_1603
.LBB160_2050:
	v_add_f32_e64 v10, 0x42800000, |v9|
	s_and_not1_b32 s6, s6, exec_lo
	s_mov_b32 s11, 0
	s_delay_alu instid0(VALU_DEP_1) | instskip(NEXT) | instid1(VALU_DEP_1)
	v_and_b32_e32 v10, 0xff, v10
	v_cmp_ne_u32_e32 vcc_lo, 0, v10
	s_and_b32 s12, vcc_lo, exec_lo
	s_delay_alu instid0(SALU_CYCLE_1)
	s_or_b32 s6, s6, s12
	s_or_b32 exec_lo, exec_lo, s7
	v_mov_b32_e32 v11, s11
	s_and_saveexec_b32 s7, s6
	s_cbranch_execnz .LBB160_1604
	s_branch .LBB160_1605
.LBB160_2051:
	s_or_saveexec_b32 s11, s11
                                        ; implicit-def: $sgpr12
	s_delay_alu instid0(SALU_CYCLE_1)
	s_xor_b32 exec_lo, exec_lo, s11
	s_cbranch_execz .LBB160_1709
.LBB160_2052:
	v_add_f32_e64 v9, 0x46000000, |v6|
	s_and_not1_b32 s7, s7, exec_lo
	s_mov_b32 s12, 0
	s_delay_alu instid0(VALU_DEP_1) | instskip(NEXT) | instid1(VALU_DEP_1)
	v_and_b32_e32 v9, 0xff, v9
	v_cmp_ne_u32_e32 vcc_lo, 0, v9
	s_and_b32 s13, vcc_lo, exec_lo
	s_delay_alu instid0(SALU_CYCLE_1)
	s_or_b32 s7, s7, s13
	s_or_b32 exec_lo, exec_lo, s11
	v_mov_b32_e32 v10, s12
	s_and_saveexec_b32 s11, s7
	s_cbranch_execnz .LBB160_1710
	s_branch .LBB160_1711
.LBB160_2053:
	s_trap 2
	s_sendmsg_rtn_b32 s0, sendmsg(MSG_RTN_GET_DOORBELL)
	s_mov_b32 ttmp2, m0
	s_waitcnt lgkmcnt(0)
	s_and_b32 s0, s0, 0x3ff
	s_delay_alu instid0(SALU_CYCLE_1) | instskip(NEXT) | instid1(SALU_CYCLE_1)
	s_bitset1_b32 s0, 10
	s_mov_b32 m0, s0
	s_sendmsg sendmsg(MSG_INTERRUPT)
	s_mov_b32 m0, ttmp2
.LBB160_2054:                           ; =>This Inner Loop Header: Depth=1
	s_sethalt 5
	s_branch .LBB160_2054
.LBB160_2055:
	s_cbranch_execnz .LBB160_2061
; %bb.2056:
	s_or_b32 s8, s8, exec_lo
	s_cbranch_execz .LBB160_1757
	s_branch .LBB160_1758
.LBB160_2057:
	s_or_saveexec_b32 s7, s7
                                        ; implicit-def: $sgpr11
	s_delay_alu instid0(SALU_CYCLE_1)
	s_xor_b32 exec_lo, exec_lo, s7
	s_cbranch_execz .LBB160_1722
.LBB160_2058:
	v_add_f32_e64 v9, 0x42800000, |v6|
	s_and_not1_b32 s6, s6, exec_lo
	s_mov_b32 s11, 0
	s_delay_alu instid0(VALU_DEP_1) | instskip(NEXT) | instid1(VALU_DEP_1)
	v_and_b32_e32 v9, 0xff, v9
	v_cmp_ne_u32_e32 vcc_lo, 0, v9
	s_and_b32 s12, vcc_lo, exec_lo
	s_delay_alu instid0(SALU_CYCLE_1)
	s_or_b32 s6, s6, s12
	s_or_b32 exec_lo, exec_lo, s7
	v_mov_b32_e32 v10, s11
	s_and_saveexec_b32 s7, s6
	s_cbranch_execnz .LBB160_1723
	s_branch .LBB160_1724
.LBB160_2059:
	s_or_saveexec_b32 s11, s11
                                        ; implicit-def: $sgpr12
	s_delay_alu instid0(SALU_CYCLE_1)
	s_xor_b32 exec_lo, exec_lo, s11
	s_cbranch_execz .LBB160_1828
.LBB160_2060:
	v_add_f32_e64 v7, 0x46000000, |v6|
	s_and_not1_b32 s7, s7, exec_lo
	s_mov_b32 s12, 0
	s_delay_alu instid0(VALU_DEP_1) | instskip(NEXT) | instid1(VALU_DEP_1)
	v_and_b32_e32 v7, 0xff, v7
	v_cmp_ne_u32_e32 vcc_lo, 0, v7
	s_and_b32 s13, vcc_lo, exec_lo
	s_delay_alu instid0(SALU_CYCLE_1)
	s_or_b32 s7, s7, s13
	s_or_b32 exec_lo, exec_lo, s11
	v_mov_b32_e32 v9, s12
	s_and_saveexec_b32 s11, s7
	s_cbranch_execnz .LBB160_1829
	s_branch .LBB160_1830
.LBB160_2061:
	s_trap 2
	s_sendmsg_rtn_b32 s0, sendmsg(MSG_RTN_GET_DOORBELL)
	s_mov_b32 ttmp2, m0
	s_waitcnt lgkmcnt(0)
	s_and_b32 s0, s0, 0x3ff
	s_delay_alu instid0(SALU_CYCLE_1) | instskip(NEXT) | instid1(SALU_CYCLE_1)
	s_bitset1_b32 s0, 10
	s_mov_b32 m0, s0
	s_sendmsg sendmsg(MSG_INTERRUPT)
	s_mov_b32 m0, ttmp2
.LBB160_2062:                           ; =>This Inner Loop Header: Depth=1
	s_sethalt 5
	s_branch .LBB160_2062
.LBB160_2063:
	s_cbranch_execnz .LBB160_2069
; %bb.2064:
	s_or_b32 s8, s8, exec_lo
	s_cbranch_execz .LBB160_1876
	s_branch .LBB160_1877
.LBB160_2065:
	s_or_saveexec_b32 s7, s7
                                        ; implicit-def: $sgpr11
	s_delay_alu instid0(SALU_CYCLE_1)
	s_xor_b32 exec_lo, exec_lo, s7
	s_cbranch_execz .LBB160_1841
.LBB160_2066:
	v_add_f32_e64 v7, 0x42800000, |v6|
	s_and_not1_b32 s6, s6, exec_lo
	s_mov_b32 s11, 0
	s_delay_alu instid0(VALU_DEP_1) | instskip(NEXT) | instid1(VALU_DEP_1)
	v_and_b32_e32 v7, 0xff, v7
	v_cmp_ne_u32_e32 vcc_lo, 0, v7
	s_and_b32 s12, vcc_lo, exec_lo
	s_delay_alu instid0(SALU_CYCLE_1)
	s_or_b32 s6, s6, s12
	s_or_b32 exec_lo, exec_lo, s7
	v_mov_b32_e32 v9, s11
	s_and_saveexec_b32 s7, s6
	s_cbranch_execnz .LBB160_1842
	s_branch .LBB160_1843
.LBB160_2067:
	s_or_saveexec_b32 s5, s5
                                        ; implicit-def: $sgpr6
	s_delay_alu instid0(SALU_CYCLE_1)
	s_xor_b32 exec_lo, exec_lo, s5
	s_cbranch_execz .LBB160_1948
.LBB160_2068:
	v_add_f32_e64 v3, 0x46000000, |v2|
	s_and_not1_b32 s4, s4, exec_lo
	s_mov_b32 s6, 0
	s_delay_alu instid0(VALU_DEP_1) | instskip(NEXT) | instid1(VALU_DEP_1)
	v_and_b32_e32 v3, 0xff, v3
	v_cmp_ne_u32_e32 vcc_lo, 0, v3
	s_and_b32 s7, vcc_lo, exec_lo
	s_delay_alu instid0(SALU_CYCLE_1)
	s_or_b32 s4, s4, s7
	s_or_b32 exec_lo, exec_lo, s5
	v_mov_b32_e32 v4, s6
	s_and_saveexec_b32 s5, s4
	s_cbranch_execnz .LBB160_1949
	s_branch .LBB160_1950
.LBB160_2069:
	s_trap 2
	s_sendmsg_rtn_b32 s0, sendmsg(MSG_RTN_GET_DOORBELL)
	s_mov_b32 ttmp2, m0
	s_waitcnt lgkmcnt(0)
	s_and_b32 s0, s0, 0x3ff
	s_delay_alu instid0(SALU_CYCLE_1) | instskip(NEXT) | instid1(SALU_CYCLE_1)
	s_bitset1_b32 s0, 10
	s_mov_b32 m0, s0
	s_sendmsg sendmsg(MSG_INTERRUPT)
	s_mov_b32 m0, ttmp2
.LBB160_2070:                           ; =>This Inner Loop Header: Depth=1
	s_sethalt 5
	s_branch .LBB160_2070
.LBB160_2071:
	s_cbranch_execnz .LBB160_2075
; %bb.2072:
	s_mov_b32 s2, 0
	s_or_b32 s8, s8, exec_lo
	s_branch .LBB160_1994
.LBB160_2073:
	s_or_saveexec_b32 s4, s4
                                        ; implicit-def: $sgpr5
	s_delay_alu instid0(SALU_CYCLE_1)
	s_xor_b32 exec_lo, exec_lo, s4
	s_cbranch_execz .LBB160_1960
.LBB160_2074:
	v_add_f32_e64 v3, 0x42800000, |v2|
	s_and_not1_b32 s3, s3, exec_lo
	s_mov_b32 s5, 0
	s_delay_alu instid0(VALU_DEP_1) | instskip(NEXT) | instid1(VALU_DEP_1)
	v_and_b32_e32 v3, 0xff, v3
	v_cmp_ne_u32_e32 vcc_lo, 0, v3
	s_and_b32 s6, vcc_lo, exec_lo
	s_delay_alu instid0(SALU_CYCLE_1)
	s_or_b32 s3, s3, s6
	s_or_b32 exec_lo, exec_lo, s4
	v_mov_b32_e32 v4, s5
	s_and_saveexec_b32 s4, s3
	s_cbranch_execnz .LBB160_1961
	s_branch .LBB160_1962
.LBB160_2075:
	s_trap 2
	s_sendmsg_rtn_b32 s0, sendmsg(MSG_RTN_GET_DOORBELL)
	s_mov_b32 ttmp2, m0
	s_waitcnt lgkmcnt(0)
	s_and_b32 s0, s0, 0x3ff
	s_delay_alu instid0(SALU_CYCLE_1) | instskip(NEXT) | instid1(SALU_CYCLE_1)
	s_bitset1_b32 s0, 10
	s_mov_b32 m0, s0
	s_sendmsg sendmsg(MSG_INTERRUPT)
	s_mov_b32 m0, ttmp2
.LBB160_2076:                           ; =>This Inner Loop Header: Depth=1
	s_sethalt 5
	s_branch .LBB160_2076
	.section	.rodata,"a",@progbits
	.p2align	6, 0x0
	.amdhsa_kernel _ZN2at6native32elementwise_kernel_manual_unrollILi128ELi4EZNS0_15gpu_kernel_implIZZZNS0_17expm1_kernel_cudaERNS_18TensorIteratorBaseEENKUlvE_clEvENKUlvE4_clEvEUlN3c104HalfEE_EEvS4_RKT_EUlibE_EEviT1_
		.amdhsa_group_segment_fixed_size 0
		.amdhsa_private_segment_fixed_size 0
		.amdhsa_kernarg_size 40
		.amdhsa_user_sgpr_count 15
		.amdhsa_user_sgpr_dispatch_ptr 0
		.amdhsa_user_sgpr_queue_ptr 0
		.amdhsa_user_sgpr_kernarg_segment_ptr 1
		.amdhsa_user_sgpr_dispatch_id 0
		.amdhsa_user_sgpr_private_segment_size 0
		.amdhsa_wavefront_size32 1
		.amdhsa_uses_dynamic_stack 0
		.amdhsa_enable_private_segment 0
		.amdhsa_system_sgpr_workgroup_id_x 1
		.amdhsa_system_sgpr_workgroup_id_y 0
		.amdhsa_system_sgpr_workgroup_id_z 0
		.amdhsa_system_sgpr_workgroup_info 0
		.amdhsa_system_vgpr_workitem_id 0
		.amdhsa_next_free_vgpr 13
		.amdhsa_next_free_sgpr 24
		.amdhsa_reserve_vcc 1
		.amdhsa_float_round_mode_32 0
		.amdhsa_float_round_mode_16_64 0
		.amdhsa_float_denorm_mode_32 3
		.amdhsa_float_denorm_mode_16_64 3
		.amdhsa_dx10_clamp 1
		.amdhsa_ieee_mode 1
		.amdhsa_fp16_overflow 0
		.amdhsa_workgroup_processor_mode 1
		.amdhsa_memory_ordered 1
		.amdhsa_forward_progress 0
		.amdhsa_shared_vgpr_count 0
		.amdhsa_exception_fp_ieee_invalid_op 0
		.amdhsa_exception_fp_denorm_src 0
		.amdhsa_exception_fp_ieee_div_zero 0
		.amdhsa_exception_fp_ieee_overflow 0
		.amdhsa_exception_fp_ieee_underflow 0
		.amdhsa_exception_fp_ieee_inexact 0
		.amdhsa_exception_int_div_zero 0
	.end_amdhsa_kernel
	.section	.text._ZN2at6native32elementwise_kernel_manual_unrollILi128ELi4EZNS0_15gpu_kernel_implIZZZNS0_17expm1_kernel_cudaERNS_18TensorIteratorBaseEENKUlvE_clEvENKUlvE4_clEvEUlN3c104HalfEE_EEvS4_RKT_EUlibE_EEviT1_,"axG",@progbits,_ZN2at6native32elementwise_kernel_manual_unrollILi128ELi4EZNS0_15gpu_kernel_implIZZZNS0_17expm1_kernel_cudaERNS_18TensorIteratorBaseEENKUlvE_clEvENKUlvE4_clEvEUlN3c104HalfEE_EEvS4_RKT_EUlibE_EEviT1_,comdat
.Lfunc_end160:
	.size	_ZN2at6native32elementwise_kernel_manual_unrollILi128ELi4EZNS0_15gpu_kernel_implIZZZNS0_17expm1_kernel_cudaERNS_18TensorIteratorBaseEENKUlvE_clEvENKUlvE4_clEvEUlN3c104HalfEE_EEvS4_RKT_EUlibE_EEviT1_, .Lfunc_end160-_ZN2at6native32elementwise_kernel_manual_unrollILi128ELi4EZNS0_15gpu_kernel_implIZZZNS0_17expm1_kernel_cudaERNS_18TensorIteratorBaseEENKUlvE_clEvENKUlvE4_clEvEUlN3c104HalfEE_EEvS4_RKT_EUlibE_EEviT1_
                                        ; -- End function
	.section	.AMDGPU.csdata,"",@progbits
; Kernel info:
; codeLenInByte = 37256
; NumSgprs: 26
; NumVgprs: 13
; ScratchSize: 0
; MemoryBound: 0
; FloatMode: 240
; IeeeMode: 1
; LDSByteSize: 0 bytes/workgroup (compile time only)
; SGPRBlocks: 3
; VGPRBlocks: 1
; NumSGPRsForWavesPerEU: 26
; NumVGPRsForWavesPerEU: 13
; Occupancy: 16
; WaveLimiterHint : 0
; COMPUTE_PGM_RSRC2:SCRATCH_EN: 0
; COMPUTE_PGM_RSRC2:USER_SGPR: 15
; COMPUTE_PGM_RSRC2:TRAP_HANDLER: 0
; COMPUTE_PGM_RSRC2:TGID_X_EN: 1
; COMPUTE_PGM_RSRC2:TGID_Y_EN: 0
; COMPUTE_PGM_RSRC2:TGID_Z_EN: 0
; COMPUTE_PGM_RSRC2:TIDIG_COMP_CNT: 0
	.section	.text._ZN2at6native32elementwise_kernel_manual_unrollILi128ELi4EZNS0_15gpu_kernel_implIZZZNS0_17expm1_kernel_cudaERNS_18TensorIteratorBaseEENKUlvE_clEvENKUlvE4_clEvEUlN3c104HalfEE_EEvS4_RKT_EUlibE0_EEviT1_,"axG",@progbits,_ZN2at6native32elementwise_kernel_manual_unrollILi128ELi4EZNS0_15gpu_kernel_implIZZZNS0_17expm1_kernel_cudaERNS_18TensorIteratorBaseEENKUlvE_clEvENKUlvE4_clEvEUlN3c104HalfEE_EEvS4_RKT_EUlibE0_EEviT1_,comdat
	.globl	_ZN2at6native32elementwise_kernel_manual_unrollILi128ELi4EZNS0_15gpu_kernel_implIZZZNS0_17expm1_kernel_cudaERNS_18TensorIteratorBaseEENKUlvE_clEvENKUlvE4_clEvEUlN3c104HalfEE_EEvS4_RKT_EUlibE0_EEviT1_ ; -- Begin function _ZN2at6native32elementwise_kernel_manual_unrollILi128ELi4EZNS0_15gpu_kernel_implIZZZNS0_17expm1_kernel_cudaERNS_18TensorIteratorBaseEENKUlvE_clEvENKUlvE4_clEvEUlN3c104HalfEE_EEvS4_RKT_EUlibE0_EEviT1_
	.p2align	8
	.type	_ZN2at6native32elementwise_kernel_manual_unrollILi128ELi4EZNS0_15gpu_kernel_implIZZZNS0_17expm1_kernel_cudaERNS_18TensorIteratorBaseEENKUlvE_clEvENKUlvE4_clEvEUlN3c104HalfEE_EEvS4_RKT_EUlibE0_EEviT1_,@function
_ZN2at6native32elementwise_kernel_manual_unrollILi128ELi4EZNS0_15gpu_kernel_implIZZZNS0_17expm1_kernel_cudaERNS_18TensorIteratorBaseEENKUlvE_clEvENKUlvE4_clEvEUlN3c104HalfEE_EEvS4_RKT_EUlibE0_EEviT1_: ; @_ZN2at6native32elementwise_kernel_manual_unrollILi128ELi4EZNS0_15gpu_kernel_implIZZZNS0_17expm1_kernel_cudaERNS_18TensorIteratorBaseEENKUlvE_clEvENKUlvE4_clEvEUlN3c104HalfEE_EEvS4_RKT_EUlibE0_EEviT1_
; %bb.0:
	s_clause 0x1
	s_load_b32 s24, s[0:1], 0x8
	s_load_b32 s30, s[0:1], 0x0
	v_lshl_or_b32 v5, s15, 9, v0
	s_or_b32 s16, s0, 8
	s_mov_b32 s3, -1
	s_mov_b32 s26, 0
	s_mov_b32 s17, s1
	v_or_b32_e32 v8, 0x180, v5
	s_mov_b32 s8, 0
	s_mov_b32 s2, exec_lo
	s_waitcnt lgkmcnt(0)
	s_add_i32 s25, s24, -1
	s_delay_alu instid0(SALU_CYCLE_1)
	s_cmp_gt_u32 s25, 1
	s_cselect_b32 s27, -1, 0
	v_cmpx_le_i32_e64 s30, v8
	s_xor_b32 s28, exec_lo, s2
	s_cbranch_execz .LBB161_1076
; %bb.1:
	v_mov_b32_e32 v0, 0
	s_clause 0x3
	s_load_b128 s[12:15], s[16:17], 0x4
	s_load_b64 s[18:19], s[16:17], 0x14
	s_load_b128 s[8:11], s[16:17], 0xc4
	s_load_b128 s[4:7], s[16:17], 0x148
	s_cmp_lg_u32 s24, 0
	s_mov_b32 s37, 0
	s_cselect_b32 s33, -1, 0
	global_load_u16 v3, v0, s[16:17] offset:345
	s_add_u32 s20, s16, 0xc4
	s_addc_u32 s21, s17, 0
	s_min_u32 s31, s25, 15
	s_cmp_gt_u32 s24, 1
	s_mov_b32 s35, 0
	s_cselect_b32 s29, -1, 0
	s_mov_b32 s34, 0
	s_mov_b32 s36, exec_lo
	s_waitcnt vmcnt(0)
	v_lshrrev_b16 v4, 8, v3
	v_cmpx_gt_i32_e64 s30, v5
	s_cbranch_execz .LBB161_263
; %bb.2:
	s_and_not1_b32 vcc_lo, exec_lo, s27
	s_cbranch_vccnz .LBB161_7
; %bb.3:
	v_dual_mov_b32 v0, 0 :: v_dual_mov_b32 v1, 0
	s_and_not1_b32 vcc_lo, exec_lo, s33
	s_cbranch_vccnz .LBB161_12
; %bb.4:
	v_mov_b32_e32 v0, 0
	s_add_i32 s38, s31, 1
	s_cmp_eq_u32 s25, 2
	s_cbranch_scc1 .LBB161_8
; %bb.5:
	v_dual_mov_b32 v1, 0 :: v_dual_mov_b32 v0, 0
	v_mov_b32_e32 v2, v5
	s_and_b32 s35, s38, 28
	s_mov_b32 s39, 0
	s_mov_b64 s[2:3], s[20:21]
	s_mov_b64 s[22:23], s[16:17]
.LBB161_6:                              ; =>This Inner Loop Header: Depth=1
	s_clause 0x1
	s_load_b256 s[40:47], s[22:23], 0x4
	s_load_b128 s[56:59], s[22:23], 0x24
	s_load_b256 s[48:55], s[2:3], 0x0
	s_add_u32 s22, s22, 48
	s_addc_u32 s23, s23, 0
	s_add_i32 s39, s39, 4
	s_add_u32 s2, s2, 32
	s_addc_u32 s3, s3, 0
	s_cmp_lg_u32 s35, s39
	s_waitcnt lgkmcnt(0)
	v_mul_hi_u32 v6, s41, v2
	s_delay_alu instid0(VALU_DEP_1) | instskip(NEXT) | instid1(VALU_DEP_1)
	v_add_nc_u32_e32 v6, v2, v6
	v_lshrrev_b32_e32 v6, s42, v6
	s_delay_alu instid0(VALU_DEP_1) | instskip(SKIP_1) | instid1(VALU_DEP_2)
	v_mul_hi_u32 v7, s44, v6
	v_mul_lo_u32 v9, v6, s40
	v_add_nc_u32_e32 v7, v6, v7
	s_delay_alu instid0(VALU_DEP_2) | instskip(NEXT) | instid1(VALU_DEP_2)
	v_sub_nc_u32_e32 v2, v2, v9
	v_lshrrev_b32_e32 v7, s45, v7
	s_delay_alu instid0(VALU_DEP_2) | instskip(SKIP_1) | instid1(VALU_DEP_3)
	v_mul_lo_u32 v9, v2, s48
	v_mul_lo_u32 v11, v2, s49
	v_mul_hi_u32 v8, s47, v7
	s_delay_alu instid0(VALU_DEP_1) | instskip(NEXT) | instid1(VALU_DEP_1)
	v_add_nc_u32_e32 v8, v7, v8
	v_lshrrev_b32_e32 v8, s56, v8
	s_delay_alu instid0(VALU_DEP_1) | instskip(SKIP_1) | instid1(VALU_DEP_2)
	v_mul_hi_u32 v10, s58, v8
	v_mul_lo_u32 v12, v8, s46
	v_add_nc_u32_e32 v2, v8, v10
	v_mul_lo_u32 v10, v7, s43
	s_delay_alu instid0(VALU_DEP_3) | instskip(NEXT) | instid1(VALU_DEP_3)
	v_sub_nc_u32_e32 v7, v7, v12
	v_lshrrev_b32_e32 v2, s59, v2
	s_delay_alu instid0(VALU_DEP_2) | instskip(SKIP_2) | instid1(VALU_DEP_4)
	v_mul_lo_u32 v12, v7, s52
	v_mul_lo_u32 v7, v7, s53
	v_sub_nc_u32_e32 v6, v6, v10
	v_mul_lo_u32 v13, v2, s57
	s_delay_alu instid0(VALU_DEP_2) | instskip(SKIP_1) | instid1(VALU_DEP_3)
	v_mul_lo_u32 v10, v6, s50
	v_mul_lo_u32 v6, v6, s51
	v_sub_nc_u32_e32 v8, v8, v13
	s_delay_alu instid0(VALU_DEP_3) | instskip(NEXT) | instid1(VALU_DEP_2)
	v_add3_u32 v0, v9, v0, v10
	v_mul_lo_u32 v13, v8, s54
	v_mul_lo_u32 v8, v8, s55
	v_add3_u32 v1, v11, v1, v6
	s_delay_alu instid0(VALU_DEP_3) | instskip(NEXT) | instid1(VALU_DEP_2)
	v_add3_u32 v0, v12, v0, v13
	v_add3_u32 v1, v7, v1, v8
	s_cbranch_scc1 .LBB161_6
	s_branch .LBB161_9
.LBB161_7:
	s_mov_b32 s34, -1
                                        ; implicit-def: $vgpr0
                                        ; implicit-def: $vgpr1
	s_branch .LBB161_12
.LBB161_8:
	v_dual_mov_b32 v2, v5 :: v_dual_mov_b32 v1, 0
.LBB161_9:
	s_and_b32 s38, s38, 3
	s_delay_alu instid0(SALU_CYCLE_1)
	s_cmp_eq_u32 s38, 0
	s_cbranch_scc1 .LBB161_12
; %bb.10:
	s_lshl_b32 s2, s35, 3
	s_mul_i32 s22, s35, 12
	s_add_u32 s2, s2, s16
	s_addc_u32 s3, s17, 0
	s_add_u32 s2, s2, 0xc4
	s_addc_u32 s3, s3, 0
	;; [unrolled: 2-line block ×3, first 2 shown]
	.p2align	6
.LBB161_11:                             ; =>This Inner Loop Header: Depth=1
	s_clause 0x1
	s_load_b64 s[40:41], s[22:23], 0x4
	s_load_b32 s35, s[22:23], 0xc
	s_load_b64 s[42:43], s[2:3], 0x0
	s_add_u32 s22, s22, 12
	s_addc_u32 s23, s23, 0
	s_add_u32 s2, s2, 8
	s_addc_u32 s3, s3, 0
	s_add_i32 s38, s38, -1
	s_delay_alu instid0(SALU_CYCLE_1) | instskip(SKIP_2) | instid1(VALU_DEP_1)
	s_cmp_lg_u32 s38, 0
	s_waitcnt lgkmcnt(0)
	v_mul_hi_u32 v6, s41, v2
	v_add_nc_u32_e32 v6, v2, v6
	s_delay_alu instid0(VALU_DEP_1) | instskip(NEXT) | instid1(VALU_DEP_1)
	v_lshrrev_b32_e32 v9, s35, v6
	v_mul_lo_u32 v6, v9, s40
	s_delay_alu instid0(VALU_DEP_1) | instskip(NEXT) | instid1(VALU_DEP_1)
	v_sub_nc_u32_e32 v2, v2, v6
	v_mad_u64_u32 v[6:7], null, v2, s42, v[0:1]
	v_mad_u64_u32 v[7:8], null, v2, s43, v[1:2]
	v_mov_b32_e32 v2, v9
	s_delay_alu instid0(VALU_DEP_2)
	v_dual_mov_b32 v0, v6 :: v_dual_mov_b32 v1, v7
	s_cbranch_scc1 .LBB161_11
.LBB161_12:
	s_and_not1_b32 vcc_lo, exec_lo, s34
	s_cbranch_vccnz .LBB161_15
; %bb.13:
	s_waitcnt lgkmcnt(0)
	v_mul_hi_u32 v0, s13, v5
	s_and_not1_b32 vcc_lo, exec_lo, s29
	s_delay_alu instid0(VALU_DEP_1) | instskip(NEXT) | instid1(VALU_DEP_1)
	v_add_nc_u32_e32 v0, v5, v0
	v_lshrrev_b32_e32 v2, s14, v0
	s_delay_alu instid0(VALU_DEP_1) | instskip(NEXT) | instid1(VALU_DEP_1)
	v_mul_lo_u32 v0, v2, s12
	v_sub_nc_u32_e32 v1, v5, v0
	s_delay_alu instid0(VALU_DEP_1)
	v_mul_lo_u32 v0, v1, s8
	v_mul_lo_u32 v1, v1, s9
	s_cbranch_vccnz .LBB161_15
; %bb.14:
	v_mul_hi_u32 v6, s18, v2
	s_delay_alu instid0(VALU_DEP_1) | instskip(NEXT) | instid1(VALU_DEP_1)
	v_add_nc_u32_e32 v6, v2, v6
	v_lshrrev_b32_e32 v6, s19, v6
	s_delay_alu instid0(VALU_DEP_1) | instskip(NEXT) | instid1(VALU_DEP_1)
	v_mul_lo_u32 v6, v6, s15
	v_sub_nc_u32_e32 v2, v2, v6
	s_delay_alu instid0(VALU_DEP_1) | instskip(SKIP_1) | instid1(VALU_DEP_1)
	v_mad_u64_u32 v[6:7], null, v2, s10, v[0:1]
	v_mad_u64_u32 v[7:8], null, v2, s11, v[1:2]
	v_dual_mov_b32 v0, v6 :: v_dual_mov_b32 v1, v7
.LBB161_15:
	v_cmp_gt_i16_e32 vcc_lo, 11, v4
	s_waitcnt lgkmcnt(0)
	s_delay_alu instid0(VALU_DEP_2) | instskip(NEXT) | instid1(VALU_DEP_1)
	v_add_co_u32 v1, s2, s6, v1
	v_add_co_ci_u32_e64 v2, null, s7, 0, s2
	s_mov_b32 s22, 0
	s_cbranch_vccnz .LBB161_22
; %bb.16:
	v_cmp_lt_i16_e32 vcc_lo, 25, v4
	s_cbranch_vccz .LBB161_141
; %bb.17:
	v_cmp_lt_i16_e32 vcc_lo, 28, v4
	s_cbranch_vccz .LBB161_142
	;; [unrolled: 3-line block ×4, first 2 shown]
; %bb.20:
	v_cmp_eq_u16_e32 vcc_lo, 46, v4
	s_mov_b32 s3, 0
	s_cbranch_vccz .LBB161_145
; %bb.21:
	global_load_b32 v6, v[1:2], off
	s_mov_b32 s2, -1
	s_waitcnt vmcnt(0)
	v_lshlrev_b32_e32 v6, 16, v6
	s_delay_alu instid0(VALU_DEP_1)
	v_cvt_f16_f32_e32 v8, v6
	s_branch .LBB161_147
.LBB161_22:
	s_mov_b32 s2, 0
                                        ; implicit-def: $vgpr8
	s_cbranch_execnz .LBB161_213
.LBB161_23:
	s_and_not1_b32 vcc_lo, exec_lo, s2
	s_cbranch_vccnz .LBB161_260
.LBB161_24:
	s_waitcnt vmcnt(0)
	s_delay_alu instid0(VALU_DEP_1)
	v_cvt_f32_f16_e32 v1, v8
	s_mov_b32 s2, 0xbf317218
	s_mov_b32 s3, 0
	s_mov_b32 s34, -1
	s_mov_b32 s23, 0
	v_mul_f32_e32 v2, 0x3fb8aa3b, v1
	s_delay_alu instid0(VALU_DEP_1) | instskip(NEXT) | instid1(VALU_DEP_1)
	v_rndne_f32_e32 v2, v2
	v_fma_mix_f32 v6, v2, s2, v8 op_sel_hi:[0,0,1]
	v_cvt_i32_f32_e32 v9, v2
	v_cmp_eq_f32_e32 vcc_lo, 0x43000000, v2
	s_mov_b32 s2, 0x395133b1
	s_delay_alu instid0(VALU_DEP_3) | instskip(NEXT) | instid1(VALU_DEP_3)
	v_fmamk_f32 v6, v2, 0x3102e308, v6
	v_cndmask_b32_e64 v2, v9, 0x7f, vcc_lo
	s_delay_alu instid0(VALU_DEP_1) | instskip(NEXT) | instid1(VALU_DEP_1)
	v_ldexp_f32 v2, 1.0, v2
	v_add_f32_e32 v9, -1.0, v2
	s_delay_alu instid0(VALU_DEP_4) | instskip(SKIP_1) | instid1(VALU_DEP_2)
	v_fmaak_f32 v7, s2, v6, 0x3ab69700
	v_add_co_u32 v0, s2, s4, v0
	v_fmaak_f32 v7, v6, v7, 0x3c0887f9
	s_delay_alu instid0(VALU_DEP_1) | instskip(NEXT) | instid1(VALU_DEP_1)
	v_fmaak_f32 v7, v6, v7, 0x3d2aaa81
	v_fmaak_f32 v7, v6, v7, 0x3e2aaaab
	s_delay_alu instid0(VALU_DEP_1) | instskip(NEXT) | instid1(VALU_DEP_1)
	v_fma_f32 v7, v6, v7, 0.5
	v_mul_f32_e32 v7, v6, v7
	s_delay_alu instid0(VALU_DEP_1) | instskip(NEXT) | instid1(VALU_DEP_1)
	v_fmac_f32_e32 v6, v6, v7
	v_dual_fmac_f32 v9, v2, v6 :: v_dual_and_b32 v6, 0xff, v3
	s_delay_alu instid0(VALU_DEP_1) | instskip(NEXT) | instid1(VALU_DEP_1)
	v_add_f32_e32 v2, v9, v9
	v_cndmask_b32_e32 v2, v9, v2, vcc_lo
	v_cmp_nlt_f32_e32 vcc_lo, 0x42b17217, v1
	s_delay_alu instid0(VALU_DEP_2) | instskip(SKIP_1) | instid1(VALU_DEP_2)
	v_cndmask_b32_e32 v1, 0x7f800000, v2, vcc_lo
	v_cmp_gt_i16_e32 vcc_lo, 11, v6
	v_cvt_f16_f32_e32 v7, v1
	v_add_co_ci_u32_e64 v1, null, s5, 0, s2
	v_cmp_gt_f16_e64 s2, 0xcc40, v8
	s_delay_alu instid0(VALU_DEP_1)
	v_cndmask_b32_e64 v2, v7, 0xbc00, s2
	s_cbranch_vccnz .LBB161_101
; %bb.25:
	v_cmp_lt_i16_e32 vcc_lo, 25, v6
	s_cbranch_vccz .LBB161_58
; %bb.26:
	v_cmp_lt_i16_e32 vcc_lo, 28, v6
	s_cbranch_vccz .LBB161_41
	;; [unrolled: 3-line block ×4, first 2 shown]
; %bb.29:
	v_cmp_eq_u16_e32 vcc_lo, 46, v6
	s_mov_b32 s34, 0
	s_mov_b32 s3, -1
	s_cbranch_vccz .LBB161_31
; %bb.30:
	v_cvt_f32_f16_e32 v8, v2
	v_cmp_o_f16_e32 vcc_lo, v2, v2
	s_mov_b32 s23, -1
	s_mov_b32 s3, 0
	s_delay_alu instid0(VALU_DEP_2) | instskip(NEXT) | instid1(VALU_DEP_1)
	v_bfe_u32 v9, v8, 16, 1
	v_add3_u32 v8, v8, v9, 0x7fff
	s_delay_alu instid0(VALU_DEP_1) | instskip(NEXT) | instid1(VALU_DEP_1)
	v_lshrrev_b32_e32 v8, 16, v8
	v_cndmask_b32_e32 v8, 0x7fc0, v8, vcc_lo
	global_store_b32 v[0:1], v8, off
.LBB161_31:
	s_and_b32 vcc_lo, exec_lo, s34
	s_cbranch_vccz .LBB161_36
; %bb.32:
	v_cmp_eq_u16_e32 vcc_lo, 44, v6
	s_mov_b32 s3, -1
	s_cbranch_vccz .LBB161_36
; %bb.33:
	v_cvt_f32_f16_e32 v8, v2
	v_mov_b32_e32 v9, 0xff
	s_mov_b32 s23, exec_lo
	s_delay_alu instid0(VALU_DEP_2) | instskip(NEXT) | instid1(VALU_DEP_1)
	v_bfe_u32 v10, v8, 23, 8
	v_cmpx_ne_u32_e32 0xff, v10
; %bb.34:
	v_and_b32_e32 v9, 0x400000, v8
	v_and_or_b32 v10, 0x3fffff, v8, v10
	v_lshrrev_b32_e32 v8, 23, v8
	s_delay_alu instid0(VALU_DEP_3) | instskip(NEXT) | instid1(VALU_DEP_3)
	v_cmp_ne_u32_e32 vcc_lo, 0, v9
	v_cmp_ne_u32_e64 s3, 0, v10
	s_delay_alu instid0(VALU_DEP_1) | instskip(NEXT) | instid1(SALU_CYCLE_1)
	s_and_b32 s3, vcc_lo, s3
	v_cndmask_b32_e64 v9, 0, 1, s3
	s_delay_alu instid0(VALU_DEP_1)
	v_add_nc_u32_e32 v9, v8, v9
; %bb.35:
	s_or_b32 exec_lo, exec_lo, s23
	s_mov_b32 s23, -1
	s_mov_b32 s3, 0
	global_store_b8 v[0:1], v9, off
.LBB161_36:
	s_mov_b32 s34, 0
.LBB161_37:
	s_delay_alu instid0(SALU_CYCLE_1)
	s_and_b32 vcc_lo, exec_lo, s34
	s_cbranch_vccz .LBB161_40
; %bb.38:
	v_cmp_eq_u16_e32 vcc_lo, 29, v6
	s_mov_b32 s3, -1
	s_cbranch_vccz .LBB161_40
; %bb.39:
	v_cvt_f32_f16_e32 v8, v2
	v_mov_b32_e32 v9, 0
	s_mov_b32 s3, 0
	s_mov_b32 s23, -1
	s_delay_alu instid0(VALU_DEP_2)
	v_cvt_u32_f32_e32 v8, v8
	global_store_b64 v[0:1], v[8:9], off
.LBB161_40:
	s_mov_b32 s34, 0
.LBB161_41:
	s_delay_alu instid0(SALU_CYCLE_1)
	s_and_b32 vcc_lo, exec_lo, s34
	s_cbranch_vccz .LBB161_57
; %bb.42:
	v_cmp_gt_i16_e32 vcc_lo, 27, v6
	s_mov_b32 s23, -1
	s_cbranch_vccnz .LBB161_48
; %bb.43:
	v_cmp_lt_i16_e32 vcc_lo, 27, v6
	s_cbranch_vccz .LBB161_45
; %bb.44:
	v_cvt_f32_f16_e32 v8, v2
	s_mov_b32 s23, 0
	s_delay_alu instid0(VALU_DEP_1)
	v_cvt_u32_f32_e32 v8, v8
	global_store_b32 v[0:1], v8, off
.LBB161_45:
	s_and_not1_b32 vcc_lo, exec_lo, s23
	s_cbranch_vccnz .LBB161_47
; %bb.46:
	v_cvt_u16_f16_e32 v8, v2
	global_store_b16 v[0:1], v8, off
.LBB161_47:
	s_mov_b32 s23, 0
.LBB161_48:
	s_delay_alu instid0(SALU_CYCLE_1)
	s_and_not1_b32 vcc_lo, exec_lo, s23
	s_cbranch_vccnz .LBB161_56
; %bb.49:
	v_cvt_f32_f16_e32 v8, v2
	v_mov_b32_e32 v10, 0x80
	s_mov_b32 s23, exec_lo
	s_delay_alu instid0(VALU_DEP_2) | instskip(NEXT) | instid1(VALU_DEP_1)
	v_and_b32_e32 v9, 0x7fffffff, v8
	v_cmpx_gt_u32_e32 0x43800000, v9
	s_cbranch_execz .LBB161_55
; %bb.50:
	v_cmp_lt_u32_e32 vcc_lo, 0x3bffffff, v9
	s_mov_b32 s34, 0
                                        ; implicit-def: $vgpr9
	s_and_saveexec_b32 s35, vcc_lo
	s_delay_alu instid0(SALU_CYCLE_1)
	s_xor_b32 s35, exec_lo, s35
	s_cbranch_execz .LBB161_150
; %bb.51:
	v_bfe_u32 v9, v8, 20, 1
	s_mov_b32 s34, exec_lo
	s_delay_alu instid0(VALU_DEP_1) | instskip(NEXT) | instid1(VALU_DEP_1)
	v_add3_u32 v9, v8, v9, 0x487ffff
	v_lshrrev_b32_e32 v9, 20, v9
	s_or_saveexec_b32 s35, s35
                                        ; implicit-def: $sgpr38
	s_delay_alu instid0(SALU_CYCLE_1)
	s_xor_b32 exec_lo, exec_lo, s35
	s_cbranch_execnz .LBB161_151
.LBB161_52:
	s_or_b32 exec_lo, exec_lo, s35
	v_mov_b32_e32 v10, s38
	s_and_saveexec_b32 s35, s34
.LBB161_53:
	v_lshrrev_b32_e32 v8, 24, v8
	s_delay_alu instid0(VALU_DEP_1)
	v_and_or_b32 v10, 0x80, v8, v9
.LBB161_54:
	s_or_b32 exec_lo, exec_lo, s35
.LBB161_55:
	s_delay_alu instid0(SALU_CYCLE_1)
	s_or_b32 exec_lo, exec_lo, s23
	global_store_b8 v[0:1], v10, off
.LBB161_56:
	s_mov_b32 s23, -1
.LBB161_57:
	s_mov_b32 s34, 0
.LBB161_58:
	s_delay_alu instid0(SALU_CYCLE_1)
	s_and_b32 vcc_lo, exec_lo, s34
	s_cbranch_vccz .LBB161_99
; %bb.59:
	v_cmp_lt_i16_e32 vcc_lo, 22, v6
	s_mov_b32 s34, -1
	s_cbranch_vccz .LBB161_91
; %bb.60:
	v_cmp_gt_i16_e32 vcc_lo, 24, v6
	s_mov_b32 s23, -1
	s_cbranch_vccnz .LBB161_80
; %bb.61:
	v_cmp_lt_i16_e32 vcc_lo, 24, v6
	s_cbranch_vccz .LBB161_69
; %bb.62:
	v_cvt_f32_f16_e32 v8, v2
	v_mov_b32_e32 v10, 0x80
	s_mov_b32 s23, exec_lo
	s_delay_alu instid0(VALU_DEP_2) | instskip(NEXT) | instid1(VALU_DEP_1)
	v_and_b32_e32 v9, 0x7fffffff, v8
	v_cmpx_gt_u32_e32 0x47800000, v9
	s_cbranch_execz .LBB161_68
; %bb.63:
	v_cmp_lt_u32_e32 vcc_lo, 0x37ffffff, v9
	s_mov_b32 s34, 0
                                        ; implicit-def: $vgpr9
	s_and_saveexec_b32 s35, vcc_lo
	s_delay_alu instid0(SALU_CYCLE_1)
	s_xor_b32 s35, exec_lo, s35
	s_cbranch_execz .LBB161_341
; %bb.64:
	v_bfe_u32 v9, v8, 21, 1
	s_mov_b32 s34, exec_lo
	s_delay_alu instid0(VALU_DEP_1) | instskip(NEXT) | instid1(VALU_DEP_1)
	v_add3_u32 v9, v8, v9, 0x88fffff
	v_lshrrev_b32_e32 v9, 21, v9
	s_or_saveexec_b32 s35, s35
                                        ; implicit-def: $sgpr38
	s_delay_alu instid0(SALU_CYCLE_1)
	s_xor_b32 exec_lo, exec_lo, s35
	s_cbranch_execnz .LBB161_342
.LBB161_65:
	s_or_b32 exec_lo, exec_lo, s35
	v_mov_b32_e32 v10, s38
	s_and_saveexec_b32 s35, s34
.LBB161_66:
	v_lshrrev_b32_e32 v8, 24, v8
	s_delay_alu instid0(VALU_DEP_1)
	v_and_or_b32 v10, 0x80, v8, v9
.LBB161_67:
	s_or_b32 exec_lo, exec_lo, s35
.LBB161_68:
	s_delay_alu instid0(SALU_CYCLE_1)
	s_or_b32 exec_lo, exec_lo, s23
	s_mov_b32 s23, 0
	global_store_b8 v[0:1], v10, off
.LBB161_69:
	s_and_b32 vcc_lo, exec_lo, s23
	s_cbranch_vccz .LBB161_79
; %bb.70:
	v_cvt_f32_f16_e32 v8, v2
	s_mov_b32 s23, exec_lo
                                        ; implicit-def: $vgpr9
	s_delay_alu instid0(VALU_DEP_1) | instskip(NEXT) | instid1(VALU_DEP_1)
	v_and_b32_e32 v10, 0x7fffffff, v8
	v_cmpx_gt_u32_e32 0x43f00000, v10
	s_xor_b32 s23, exec_lo, s23
	s_cbranch_execz .LBB161_76
; %bb.71:
	s_mov_b32 s34, exec_lo
                                        ; implicit-def: $vgpr9
	v_cmpx_lt_u32_e32 0x3c7fffff, v10
	s_xor_b32 s34, exec_lo, s34
; %bb.72:
	v_bfe_u32 v9, v8, 20, 1
	s_delay_alu instid0(VALU_DEP_1) | instskip(NEXT) | instid1(VALU_DEP_1)
	v_add3_u32 v9, v8, v9, 0x407ffff
	v_and_b32_e32 v10, 0xff00000, v9
	v_lshrrev_b32_e32 v9, 20, v9
	s_delay_alu instid0(VALU_DEP_2) | instskip(NEXT) | instid1(VALU_DEP_2)
	v_cmp_ne_u32_e32 vcc_lo, 0x7f00000, v10
	v_cndmask_b32_e32 v9, 0x7e, v9, vcc_lo
; %bb.73:
	s_and_not1_saveexec_b32 s34, s34
; %bb.74:
	v_add_f32_e64 v9, 0x46800000, |v8|
; %bb.75:
	s_or_b32 exec_lo, exec_lo, s34
                                        ; implicit-def: $vgpr10
.LBB161_76:
	s_and_not1_saveexec_b32 s23, s23
; %bb.77:
	v_mov_b32_e32 v9, 0x7f
	v_cmp_lt_u32_e32 vcc_lo, 0x7f800000, v10
	s_delay_alu instid0(VALU_DEP_2)
	v_cndmask_b32_e32 v9, 0x7e, v9, vcc_lo
; %bb.78:
	s_or_b32 exec_lo, exec_lo, s23
	v_lshrrev_b32_e32 v8, 24, v8
	s_delay_alu instid0(VALU_DEP_1)
	v_and_or_b32 v8, 0x80, v8, v9
	global_store_b8 v[0:1], v8, off
.LBB161_79:
	s_mov_b32 s23, 0
.LBB161_80:
	s_delay_alu instid0(SALU_CYCLE_1)
	s_and_not1_b32 vcc_lo, exec_lo, s23
	s_cbranch_vccnz .LBB161_90
; %bb.81:
	v_cvt_f32_f16_e32 v8, v2
	s_mov_b32 s23, exec_lo
                                        ; implicit-def: $vgpr9
	s_delay_alu instid0(VALU_DEP_1) | instskip(NEXT) | instid1(VALU_DEP_1)
	v_and_b32_e32 v10, 0x7fffffff, v8
	v_cmpx_gt_u32_e32 0x47800000, v10
	s_xor_b32 s23, exec_lo, s23
	s_cbranch_execz .LBB161_87
; %bb.82:
	s_mov_b32 s34, exec_lo
                                        ; implicit-def: $vgpr9
	v_cmpx_lt_u32_e32 0x387fffff, v10
	s_xor_b32 s34, exec_lo, s34
; %bb.83:
	v_bfe_u32 v9, v8, 21, 1
	s_delay_alu instid0(VALU_DEP_1) | instskip(NEXT) | instid1(VALU_DEP_1)
	v_add3_u32 v9, v8, v9, 0x80fffff
	v_lshrrev_b32_e32 v9, 21, v9
; %bb.84:
	s_and_not1_saveexec_b32 s34, s34
; %bb.85:
	v_add_f32_e64 v9, 0x43000000, |v8|
; %bb.86:
	s_or_b32 exec_lo, exec_lo, s34
                                        ; implicit-def: $vgpr10
.LBB161_87:
	s_and_not1_saveexec_b32 s23, s23
; %bb.88:
	v_mov_b32_e32 v9, 0x7f
	v_cmp_lt_u32_e32 vcc_lo, 0x7f800000, v10
	s_delay_alu instid0(VALU_DEP_2)
	v_cndmask_b32_e32 v9, 0x7c, v9, vcc_lo
; %bb.89:
	s_or_b32 exec_lo, exec_lo, s23
	v_lshrrev_b32_e32 v8, 24, v8
	s_delay_alu instid0(VALU_DEP_1)
	v_and_or_b32 v8, 0x80, v8, v9
	global_store_b8 v[0:1], v8, off
.LBB161_90:
	s_mov_b32 s34, 0
	s_mov_b32 s23, -1
.LBB161_91:
	s_and_not1_b32 vcc_lo, exec_lo, s34
	s_cbranch_vccnz .LBB161_99
; %bb.92:
	v_cmp_lt_i16_e32 vcc_lo, 14, v6
	s_mov_b32 s34, -1
	s_cbranch_vccz .LBB161_96
; %bb.93:
	v_cmp_eq_u16_e32 vcc_lo, 15, v6
	s_mov_b32 s3, -1
	s_cbranch_vccz .LBB161_95
; %bb.94:
	v_cvt_f32_f16_e32 v8, v2
	v_cmp_o_f16_e32 vcc_lo, v2, v2
	s_mov_b32 s23, -1
	s_mov_b32 s3, 0
	s_delay_alu instid0(VALU_DEP_2) | instskip(NEXT) | instid1(VALU_DEP_1)
	v_bfe_u32 v9, v8, 16, 1
	v_add3_u32 v8, v8, v9, 0x7fff
	s_delay_alu instid0(VALU_DEP_1) | instskip(NEXT) | instid1(VALU_DEP_1)
	v_lshrrev_b32_e32 v8, 16, v8
	v_cndmask_b32_e32 v8, 0x7fc0, v8, vcc_lo
	global_store_b16 v[0:1], v8, off
.LBB161_95:
	s_mov_b32 s34, 0
.LBB161_96:
	s_delay_alu instid0(SALU_CYCLE_1)
	s_and_b32 vcc_lo, exec_lo, s34
	s_cbranch_vccz .LBB161_99
; %bb.97:
	v_cmp_eq_u16_e32 vcc_lo, 11, v6
	s_mov_b32 s3, -1
	s_cbranch_vccz .LBB161_99
; %bb.98:
	v_cmp_neq_f16_e32 vcc_lo, 0, v7
	s_mov_b32 s3, 0
	s_mov_b32 s23, -1
	s_or_b32 s2, s2, vcc_lo
	s_delay_alu instid0(SALU_CYCLE_1)
	v_cndmask_b32_e64 v7, 0, 1, s2
	global_store_b8 v[0:1], v7, off
.LBB161_99:
.LBB161_100:
	s_and_not1_b32 vcc_lo, exec_lo, s23
	s_cbranch_vccz .LBB161_140
	s_branch .LBB161_261
.LBB161_101:
	s_and_b32 vcc_lo, exec_lo, s34
	s_cbranch_vccz .LBB161_100
; %bb.102:
	v_cmp_gt_i16_e32 vcc_lo, 5, v6
	s_mov_b32 s2, -1
	s_cbranch_vccnz .LBB161_123
; %bb.103:
	v_cmp_gt_i16_e32 vcc_lo, 8, v6
	s_cbranch_vccnz .LBB161_113
; %bb.104:
	v_cmp_gt_i16_e32 vcc_lo, 9, v6
	s_cbranch_vccnz .LBB161_110
; %bb.105:
	v_cmp_lt_i16_e32 vcc_lo, 9, v6
	s_cbranch_vccz .LBB161_107
; %bb.106:
	v_cvt_f32_f16_e32 v7, v2
	v_mov_b32_e32 v9, 0
	s_mov_b32 s2, 0
	s_delay_alu instid0(VALU_DEP_2) | instskip(NEXT) | instid1(VALU_DEP_2)
	v_cvt_f64_f32_e32 v[7:8], v7
	v_mov_b32_e32 v10, v9
	global_store_b128 v[0:1], v[7:10], off
.LBB161_107:
	s_and_not1_b32 vcc_lo, exec_lo, s2
	s_cbranch_vccnz .LBB161_109
; %bb.108:
	v_cvt_f32_f16_e32 v7, v2
	v_mov_b32_e32 v8, 0
	global_store_b64 v[0:1], v[7:8], off
.LBB161_109:
	s_mov_b32 s2, 0
.LBB161_110:
	s_delay_alu instid0(SALU_CYCLE_1)
	s_and_not1_b32 vcc_lo, exec_lo, s2
	s_cbranch_vccnz .LBB161_112
; %bb.111:
	v_and_b32_e32 v7, 0xffff, v2
	global_store_b32 v[0:1], v7, off
.LBB161_112:
	s_mov_b32 s2, 0
.LBB161_113:
	s_delay_alu instid0(SALU_CYCLE_1)
	s_and_not1_b32 vcc_lo, exec_lo, s2
	s_cbranch_vccnz .LBB161_122
; %bb.114:
	v_cmp_gt_i16_e32 vcc_lo, 6, v6
	s_mov_b32 s2, -1
	s_cbranch_vccnz .LBB161_120
; %bb.115:
	v_cmp_lt_i16_e32 vcc_lo, 6, v6
	s_cbranch_vccz .LBB161_117
; %bb.116:
	v_cvt_f32_f16_e32 v7, v2
	s_mov_b32 s2, 0
	s_delay_alu instid0(VALU_DEP_1)
	v_cvt_f64_f32_e32 v[7:8], v7
	global_store_b64 v[0:1], v[7:8], off
.LBB161_117:
	s_and_not1_b32 vcc_lo, exec_lo, s2
	s_cbranch_vccnz .LBB161_119
; %bb.118:
	v_cvt_f32_f16_e32 v7, v2
	global_store_b32 v[0:1], v7, off
.LBB161_119:
	s_mov_b32 s2, 0
.LBB161_120:
	s_delay_alu instid0(SALU_CYCLE_1)
	s_and_not1_b32 vcc_lo, exec_lo, s2
	s_cbranch_vccnz .LBB161_122
; %bb.121:
	global_store_b16 v[0:1], v2, off
.LBB161_122:
	s_mov_b32 s2, 0
.LBB161_123:
	s_delay_alu instid0(SALU_CYCLE_1)
	s_and_not1_b32 vcc_lo, exec_lo, s2
	s_cbranch_vccnz .LBB161_139
; %bb.124:
	v_cmp_gt_i16_e32 vcc_lo, 2, v6
	s_mov_b32 s2, -1
	s_cbranch_vccnz .LBB161_134
; %bb.125:
	v_cmp_gt_i16_e32 vcc_lo, 3, v6
	s_cbranch_vccnz .LBB161_131
; %bb.126:
	v_cmp_lt_i16_e32 vcc_lo, 3, v6
	s_cbranch_vccz .LBB161_128
; %bb.127:
	v_cvt_f32_f16_e32 v7, v2
	s_mov_b32 s2, 0
	s_delay_alu instid0(VALU_DEP_1) | instskip(NEXT) | instid1(VALU_DEP_1)
	v_cvt_i32_f32_e32 v7, v7
	v_ashrrev_i32_e32 v8, 31, v7
	global_store_b64 v[0:1], v[7:8], off
.LBB161_128:
	s_and_not1_b32 vcc_lo, exec_lo, s2
	s_cbranch_vccnz .LBB161_130
; %bb.129:
	v_cvt_f32_f16_e32 v7, v2
	s_delay_alu instid0(VALU_DEP_1)
	v_cvt_i32_f32_e32 v7, v7
	global_store_b32 v[0:1], v7, off
.LBB161_130:
	s_mov_b32 s2, 0
.LBB161_131:
	s_delay_alu instid0(SALU_CYCLE_1)
	s_and_not1_b32 vcc_lo, exec_lo, s2
	s_cbranch_vccnz .LBB161_133
; %bb.132:
	v_cvt_i16_f16_e32 v7, v2
	global_store_b16 v[0:1], v7, off
.LBB161_133:
	s_mov_b32 s2, 0
.LBB161_134:
	s_delay_alu instid0(SALU_CYCLE_1)
	s_and_not1_b32 vcc_lo, exec_lo, s2
	s_cbranch_vccnz .LBB161_139
; %bb.135:
	v_cmp_lt_i16_e32 vcc_lo, 0, v6
	s_mov_b32 s2, -1
	s_cbranch_vccz .LBB161_137
; %bb.136:
	v_cvt_i16_f16_e32 v6, v2
	s_mov_b32 s2, 0
	global_store_b8 v[0:1], v6, off
.LBB161_137:
	s_and_not1_b32 vcc_lo, exec_lo, s2
	s_cbranch_vccnz .LBB161_139
; %bb.138:
	v_cvt_f32_f16_e32 v2, v2
	s_delay_alu instid0(VALU_DEP_1)
	v_cvt_i32_f32_e32 v2, v2
	global_store_b8 v[0:1], v2, off
.LBB161_139:
.LBB161_140:
	v_add_nc_u32_e32 v5, 0x80, v5
	s_mov_b32 s2, -1
	s_branch .LBB161_262
.LBB161_141:
	s_mov_b32 s2, 0
                                        ; implicit-def: $vgpr8
	s_cbranch_execnz .LBB161_178
	s_branch .LBB161_212
.LBB161_142:
	s_mov_b32 s3, -1
	s_mov_b32 s2, 0
                                        ; implicit-def: $vgpr8
	s_branch .LBB161_159
.LBB161_143:
	s_mov_b32 s3, -1
	s_mov_b32 s2, 0
                                        ; implicit-def: $vgpr8
	s_branch .LBB161_154
.LBB161_144:
	s_mov_b32 s3, -1
	s_branch .LBB161_146
.LBB161_145:
	s_mov_b32 s22, -1
.LBB161_146:
	s_mov_b32 s2, 0
                                        ; implicit-def: $vgpr8
.LBB161_147:
	s_and_b32 vcc_lo, exec_lo, s3
	s_cbranch_vccz .LBB161_153
; %bb.148:
	v_cmp_eq_u16_e32 vcc_lo, 44, v4
	s_cbranch_vccz .LBB161_152
; %bb.149:
	global_load_u8 v6, v[1:2], off
	s_mov_b32 s22, 0
	s_mov_b32 s2, -1
	s_waitcnt vmcnt(0)
	v_lshlrev_b32_e32 v7, 23, v6
	v_cmp_ne_u32_e32 vcc_lo, 0xff, v6
	s_delay_alu instid0(VALU_DEP_2) | instskip(NEXT) | instid1(VALU_DEP_1)
	v_cvt_f16_f32_e32 v7, v7
	v_cndmask_b32_e32 v7, 0x7e00, v7, vcc_lo
	v_cmp_ne_u32_e32 vcc_lo, 0, v6
	s_delay_alu instid0(VALU_DEP_2)
	v_cndmask_b32_e32 v8, 0, v7, vcc_lo
	s_branch .LBB161_153
.LBB161_150:
	s_or_saveexec_b32 s35, s35
                                        ; implicit-def: $sgpr38
	s_delay_alu instid0(SALU_CYCLE_1)
	s_xor_b32 exec_lo, exec_lo, s35
	s_cbranch_execz .LBB161_52
.LBB161_151:
	v_add_f32_e64 v9, 0x46000000, |v8|
	s_and_not1_b32 s34, s34, exec_lo
	s_mov_b32 s38, 0
	s_delay_alu instid0(VALU_DEP_1) | instskip(NEXT) | instid1(VALU_DEP_1)
	v_and_b32_e32 v9, 0xff, v9
	v_cmp_ne_u32_e32 vcc_lo, 0, v9
	s_and_b32 s39, vcc_lo, exec_lo
	s_delay_alu instid0(SALU_CYCLE_1)
	s_or_b32 s34, s34, s39
	s_or_b32 exec_lo, exec_lo, s35
	v_mov_b32_e32 v10, s38
	s_and_saveexec_b32 s35, s34
	s_cbranch_execnz .LBB161_53
	s_branch .LBB161_54
.LBB161_152:
	s_mov_b32 s22, -1
                                        ; implicit-def: $vgpr8
.LBB161_153:
	s_mov_b32 s3, 0
.LBB161_154:
	s_delay_alu instid0(SALU_CYCLE_1)
	s_and_b32 vcc_lo, exec_lo, s3
	s_cbranch_vccz .LBB161_158
; %bb.155:
	v_cmp_eq_u16_e32 vcc_lo, 29, v4
	s_cbranch_vccz .LBB161_157
; %bb.156:
	global_load_b64 v[6:7], v[1:2], off
	s_mov_b32 s2, -1
	s_mov_b32 s22, 0
	s_mov_b32 s3, 0
	s_waitcnt vmcnt(0)
	v_clz_i32_u32_e32 v8, v7
	s_delay_alu instid0(VALU_DEP_1) | instskip(NEXT) | instid1(VALU_DEP_1)
	v_min_u32_e32 v8, 32, v8
	v_lshlrev_b64 v[6:7], v8, v[6:7]
	s_delay_alu instid0(VALU_DEP_1) | instskip(NEXT) | instid1(VALU_DEP_1)
	v_min_u32_e32 v6, 1, v6
	v_or_b32_e32 v6, v7, v6
	v_sub_nc_u32_e32 v7, 32, v8
	s_delay_alu instid0(VALU_DEP_2) | instskip(NEXT) | instid1(VALU_DEP_1)
	v_cvt_f32_u32_e32 v6, v6
	v_ldexp_f32 v6, v6, v7
	s_delay_alu instid0(VALU_DEP_1)
	v_cvt_f16_f32_e32 v8, v6
	s_branch .LBB161_159
.LBB161_157:
	s_mov_b32 s22, -1
                                        ; implicit-def: $vgpr8
.LBB161_158:
	s_mov_b32 s3, 0
.LBB161_159:
	s_delay_alu instid0(SALU_CYCLE_1)
	s_and_b32 vcc_lo, exec_lo, s3
	s_cbranch_vccz .LBB161_177
; %bb.160:
	v_cmp_gt_i16_e32 vcc_lo, 27, v4
	s_cbranch_vccnz .LBB161_163
; %bb.161:
	v_cmp_lt_i16_e32 vcc_lo, 27, v4
	s_cbranch_vccz .LBB161_164
; %bb.162:
	global_load_b32 v6, v[1:2], off
	s_mov_b32 s2, 0
	s_waitcnt vmcnt(0)
	v_cvt_f32_u32_e32 v6, v6
	s_delay_alu instid0(VALU_DEP_1)
	v_cvt_f16_f32_e32 v8, v6
	s_branch .LBB161_165
.LBB161_163:
	s_mov_b32 s2, -1
                                        ; implicit-def: $vgpr8
	s_branch .LBB161_168
.LBB161_164:
	s_mov_b32 s2, -1
                                        ; implicit-def: $vgpr8
.LBB161_165:
	s_delay_alu instid0(SALU_CYCLE_1)
	s_and_not1_b32 vcc_lo, exec_lo, s2
	s_cbranch_vccnz .LBB161_167
; %bb.166:
	global_load_u16 v6, v[1:2], off
	s_waitcnt vmcnt(0)
	v_cvt_f16_u16_e32 v8, v6
.LBB161_167:
	s_mov_b32 s2, 0
.LBB161_168:
	s_delay_alu instid0(SALU_CYCLE_1)
	s_and_not1_b32 vcc_lo, exec_lo, s2
	s_cbranch_vccnz .LBB161_176
; %bb.169:
	global_load_u8 v6, v[1:2], off
	s_mov_b32 s2, 0
	s_mov_b32 s23, exec_lo
                                        ; implicit-def: $sgpr3
	s_waitcnt vmcnt(0)
	v_cmpx_lt_i16_e32 0x7f, v6
	s_xor_b32 s23, exec_lo, s23
	s_cbranch_execz .LBB161_189
; %bb.170:
	s_mov_b32 s2, -1
	s_mov_b32 s34, exec_lo
                                        ; implicit-def: $sgpr3
	v_cmpx_eq_u16_e32 0x80, v6
; %bb.171:
	s_movk_i32 s3, 0x7e00
	s_xor_b32 s2, exec_lo, -1
; %bb.172:
	s_or_b32 exec_lo, exec_lo, s34
	s_delay_alu instid0(SALU_CYCLE_1)
	s_and_b32 s2, s2, exec_lo
	s_or_saveexec_b32 s23, s23
	v_mov_b32_e32 v8, s3
	s_xor_b32 exec_lo, exec_lo, s23
	s_cbranch_execnz .LBB161_190
.LBB161_173:
	s_or_b32 exec_lo, exec_lo, s23
	s_and_saveexec_b32 s3, s2
	s_cbranch_execz .LBB161_175
.LBB161_174:
	v_and_b32_e32 v7, 0xffff, v6
	v_lshlrev_b32_e32 v6, 24, v6
	s_delay_alu instid0(VALU_DEP_2) | instskip(NEXT) | instid1(VALU_DEP_2)
	v_and_b32_e32 v8, 7, v7
	v_and_b32_e32 v6, 0x80000000, v6
	s_delay_alu instid0(VALU_DEP_2) | instskip(NEXT) | instid1(VALU_DEP_1)
	v_clz_i32_u32_e32 v9, v8
	v_min_u32_e32 v9, 32, v9
	s_delay_alu instid0(VALU_DEP_1) | instskip(SKIP_1) | instid1(VALU_DEP_2)
	v_subrev_nc_u32_e32 v10, 28, v9
	v_sub_nc_u32_e32 v9, 29, v9
	v_lshlrev_b32_e32 v10, v10, v7
	v_bfe_u32 v7, v7, 3, 4
	s_delay_alu instid0(VALU_DEP_2) | instskip(NEXT) | instid1(VALU_DEP_2)
	v_and_b32_e32 v10, 7, v10
	v_cmp_eq_u32_e32 vcc_lo, 0, v7
	s_delay_alu instid0(VALU_DEP_2) | instskip(NEXT) | instid1(VALU_DEP_1)
	v_dual_cndmask_b32 v7, v7, v9 :: v_dual_cndmask_b32 v8, v8, v10
	v_lshl_add_u32 v7, v7, 23, 0x3b800000
	s_delay_alu instid0(VALU_DEP_2) | instskip(NEXT) | instid1(VALU_DEP_1)
	v_lshlrev_b32_e32 v8, 20, v8
	v_or3_b32 v6, v6, v7, v8
	s_delay_alu instid0(VALU_DEP_1)
	v_cvt_f16_f32_e32 v8, v6
.LBB161_175:
	s_or_b32 exec_lo, exec_lo, s3
.LBB161_176:
	s_mov_b32 s2, -1
.LBB161_177:
	s_branch .LBB161_212
.LBB161_178:
	v_cmp_lt_i16_e32 vcc_lo, 22, v4
	s_cbranch_vccz .LBB161_188
; %bb.179:
	v_cmp_gt_i16_e32 vcc_lo, 24, v4
	s_cbranch_vccnz .LBB161_191
; %bb.180:
	v_cmp_lt_i16_e32 vcc_lo, 24, v4
	s_cbranch_vccz .LBB161_192
; %bb.181:
	global_load_u8 v6, v[1:2], off
	s_mov_b32 s2, 0
	s_mov_b32 s23, exec_lo
                                        ; implicit-def: $sgpr3
	s_waitcnt vmcnt(0)
	v_cmpx_lt_i16_e32 0x7f, v6
	s_xor_b32 s23, exec_lo, s23
	s_cbranch_execz .LBB161_204
; %bb.182:
	s_mov_b32 s2, -1
	s_mov_b32 s34, exec_lo
                                        ; implicit-def: $sgpr3
	v_cmpx_eq_u16_e32 0x80, v6
; %bb.183:
	s_movk_i32 s3, 0x7e00
	s_xor_b32 s2, exec_lo, -1
; %bb.184:
	s_or_b32 exec_lo, exec_lo, s34
	s_delay_alu instid0(SALU_CYCLE_1)
	s_and_b32 s2, s2, exec_lo
	s_or_saveexec_b32 s23, s23
	v_mov_b32_e32 v8, s3
	s_xor_b32 exec_lo, exec_lo, s23
	s_cbranch_execnz .LBB161_205
.LBB161_185:
	s_or_b32 exec_lo, exec_lo, s23
	s_and_saveexec_b32 s3, s2
	s_cbranch_execz .LBB161_187
.LBB161_186:
	v_and_b32_e32 v7, 0xffff, v6
	v_lshlrev_b32_e32 v6, 24, v6
	s_delay_alu instid0(VALU_DEP_2) | instskip(NEXT) | instid1(VALU_DEP_2)
	v_and_b32_e32 v8, 3, v7
	v_and_b32_e32 v6, 0x80000000, v6
	s_delay_alu instid0(VALU_DEP_2) | instskip(NEXT) | instid1(VALU_DEP_1)
	v_clz_i32_u32_e32 v9, v8
	v_min_u32_e32 v9, 32, v9
	s_delay_alu instid0(VALU_DEP_1) | instskip(SKIP_1) | instid1(VALU_DEP_2)
	v_subrev_nc_u32_e32 v10, 29, v9
	v_sub_nc_u32_e32 v9, 30, v9
	v_lshlrev_b32_e32 v10, v10, v7
	v_bfe_u32 v7, v7, 2, 5
	s_delay_alu instid0(VALU_DEP_2) | instskip(NEXT) | instid1(VALU_DEP_2)
	v_and_b32_e32 v10, 3, v10
	v_cmp_eq_u32_e32 vcc_lo, 0, v7
	s_delay_alu instid0(VALU_DEP_2) | instskip(NEXT) | instid1(VALU_DEP_1)
	v_dual_cndmask_b32 v7, v7, v9 :: v_dual_cndmask_b32 v8, v8, v10
	v_lshl_add_u32 v7, v7, 23, 0x37800000
	s_delay_alu instid0(VALU_DEP_2) | instskip(NEXT) | instid1(VALU_DEP_1)
	v_lshlrev_b32_e32 v8, 21, v8
	v_or3_b32 v6, v6, v7, v8
	s_delay_alu instid0(VALU_DEP_1)
	v_cvt_f16_f32_e32 v8, v6
.LBB161_187:
	s_or_b32 exec_lo, exec_lo, s3
	s_mov_b32 s2, 0
	s_branch .LBB161_193
.LBB161_188:
	s_mov_b32 s3, -1
                                        ; implicit-def: $vgpr8
	s_branch .LBB161_199
.LBB161_189:
	s_or_saveexec_b32 s23, s23
	v_mov_b32_e32 v8, s3
	s_xor_b32 exec_lo, exec_lo, s23
	s_cbranch_execz .LBB161_173
.LBB161_190:
	v_cmp_ne_u16_e32 vcc_lo, 0, v6
	v_mov_b32_e32 v8, v6
	s_and_not1_b32 s2, s2, exec_lo
	s_and_b32 s3, vcc_lo, exec_lo
	s_delay_alu instid0(SALU_CYCLE_1)
	s_or_b32 s2, s2, s3
	s_or_b32 exec_lo, exec_lo, s23
	s_and_saveexec_b32 s3, s2
	s_cbranch_execnz .LBB161_174
	s_branch .LBB161_175
.LBB161_191:
	s_mov_b32 s2, -1
                                        ; implicit-def: $vgpr8
	s_branch .LBB161_196
.LBB161_192:
	s_mov_b32 s2, -1
                                        ; implicit-def: $vgpr8
.LBB161_193:
	s_delay_alu instid0(SALU_CYCLE_1)
	s_and_b32 vcc_lo, exec_lo, s2
	s_cbranch_vccz .LBB161_195
; %bb.194:
	global_load_u8 v6, v[1:2], off
	s_waitcnt vmcnt(0)
	v_lshlrev_b32_e32 v6, 24, v6
	s_delay_alu instid0(VALU_DEP_1) | instskip(NEXT) | instid1(VALU_DEP_1)
	v_and_b32_e32 v7, 0x7f000000, v6
	v_clz_i32_u32_e32 v8, v7
	v_add_nc_u32_e32 v10, 0x1000000, v7
	v_cmp_ne_u32_e32 vcc_lo, 0, v7
	s_delay_alu instid0(VALU_DEP_3) | instskip(NEXT) | instid1(VALU_DEP_1)
	v_min_u32_e32 v8, 32, v8
	v_sub_nc_u32_e64 v8, v8, 4 clamp
	s_delay_alu instid0(VALU_DEP_1) | instskip(SKIP_1) | instid1(VALU_DEP_2)
	v_lshlrev_b32_e32 v9, v8, v7
	v_lshlrev_b32_e32 v8, 23, v8
	v_lshrrev_b32_e32 v9, 4, v9
	s_delay_alu instid0(VALU_DEP_1) | instskip(SKIP_1) | instid1(VALU_DEP_2)
	v_sub_nc_u32_e32 v8, v9, v8
	v_ashrrev_i32_e32 v9, 8, v10
	v_add_nc_u32_e32 v8, 0x3c000000, v8
	s_delay_alu instid0(VALU_DEP_1) | instskip(NEXT) | instid1(VALU_DEP_1)
	v_and_or_b32 v8, 0x7f800000, v9, v8
	v_cndmask_b32_e32 v7, 0, v8, vcc_lo
	s_delay_alu instid0(VALU_DEP_1) | instskip(NEXT) | instid1(VALU_DEP_1)
	v_and_or_b32 v6, 0x80000000, v6, v7
	v_cvt_f16_f32_e32 v8, v6
.LBB161_195:
	s_mov_b32 s2, 0
.LBB161_196:
	s_delay_alu instid0(SALU_CYCLE_1)
	s_and_not1_b32 vcc_lo, exec_lo, s2
	s_cbranch_vccnz .LBB161_198
; %bb.197:
	global_load_u8 v6, v[1:2], off
	s_waitcnt vmcnt(0)
	v_lshlrev_b32_e32 v7, 25, v6
	v_lshlrev_b16 v6, 8, v6
	s_delay_alu instid0(VALU_DEP_2) | instskip(NEXT) | instid1(VALU_DEP_2)
	v_lshrrev_b32_e32 v8, 4, v7
	v_and_or_b32 v9, 0x7f00, v6, 0.5
	v_bfe_i32 v6, v6, 0, 16
	s_delay_alu instid0(VALU_DEP_3) | instskip(NEXT) | instid1(VALU_DEP_1)
	v_or_b32_e32 v8, 0x70000000, v8
	v_dual_add_f32 v9, -0.5, v9 :: v_dual_mul_f32 v8, 0x7800000, v8
	v_cmp_gt_u32_e32 vcc_lo, 0x8000000, v7
	s_delay_alu instid0(VALU_DEP_2) | instskip(NEXT) | instid1(VALU_DEP_1)
	v_cndmask_b32_e32 v7, v8, v9, vcc_lo
	v_and_or_b32 v6, 0x80000000, v6, v7
	s_delay_alu instid0(VALU_DEP_1)
	v_cvt_f16_f32_e32 v8, v6
.LBB161_198:
	s_mov_b32 s3, 0
	s_mov_b32 s2, -1
.LBB161_199:
	s_and_not1_b32 vcc_lo, exec_lo, s3
	s_cbranch_vccnz .LBB161_212
; %bb.200:
	v_cmp_lt_i16_e32 vcc_lo, 14, v4
	s_cbranch_vccz .LBB161_203
; %bb.201:
	v_cmp_eq_u16_e32 vcc_lo, 15, v4
	s_cbranch_vccz .LBB161_206
; %bb.202:
	global_load_u16 v6, v[1:2], off
	s_mov_b32 s2, -1
	s_mov_b32 s22, 0
	s_waitcnt vmcnt(0)
	v_lshlrev_b32_e32 v6, 16, v6
	s_delay_alu instid0(VALU_DEP_1)
	v_cvt_f16_f32_e32 v8, v6
	s_branch .LBB161_207
.LBB161_203:
	s_mov_b32 s3, -1
                                        ; implicit-def: $vgpr8
	s_branch .LBB161_208
.LBB161_204:
	s_or_saveexec_b32 s23, s23
	v_mov_b32_e32 v8, s3
	s_xor_b32 exec_lo, exec_lo, s23
	s_cbranch_execz .LBB161_185
.LBB161_205:
	v_cmp_ne_u16_e32 vcc_lo, 0, v6
	v_mov_b32_e32 v8, v6
	s_and_not1_b32 s2, s2, exec_lo
	s_and_b32 s3, vcc_lo, exec_lo
	s_delay_alu instid0(SALU_CYCLE_1)
	s_or_b32 s2, s2, s3
	s_or_b32 exec_lo, exec_lo, s23
	s_and_saveexec_b32 s3, s2
	s_cbranch_execnz .LBB161_186
	s_branch .LBB161_187
.LBB161_206:
	s_mov_b32 s22, -1
                                        ; implicit-def: $vgpr8
.LBB161_207:
	s_mov_b32 s3, 0
.LBB161_208:
	s_delay_alu instid0(SALU_CYCLE_1)
	s_and_b32 vcc_lo, exec_lo, s3
	s_cbranch_vccz .LBB161_212
; %bb.209:
	v_cmp_eq_u16_e32 vcc_lo, 11, v4
	s_cbranch_vccz .LBB161_211
; %bb.210:
	global_load_u8 v6, v[1:2], off
	s_mov_b32 s22, 0
	s_mov_b32 s2, -1
	s_waitcnt vmcnt(0)
	v_cmp_ne_u16_e32 vcc_lo, 0, v6
	v_cndmask_b32_e64 v8, 0, 0x3c00, vcc_lo
	s_branch .LBB161_212
.LBB161_211:
	s_mov_b32 s22, -1
                                        ; implicit-def: $vgpr8
.LBB161_212:
	s_branch .LBB161_23
.LBB161_213:
	v_cmp_gt_i16_e32 vcc_lo, 5, v4
	s_cbranch_vccnz .LBB161_218
; %bb.214:
	v_cmp_gt_i16_e32 vcc_lo, 8, v4
	s_cbranch_vccnz .LBB161_219
; %bb.215:
	;; [unrolled: 3-line block ×3, first 2 shown]
	v_cmp_lt_i16_e32 vcc_lo, 9, v4
	s_cbranch_vccz .LBB161_221
; %bb.217:
	global_load_b64 v[6:7], v[1:2], off
	s_mov_b32 s2, 0
	s_waitcnt vmcnt(0)
	v_cvt_f32_f64_e32 v6, v[6:7]
	s_delay_alu instid0(VALU_DEP_1)
	v_cvt_f16_f32_e32 v8, v6
	s_branch .LBB161_222
.LBB161_218:
                                        ; implicit-def: $vgpr8
	s_branch .LBB161_240
.LBB161_219:
	s_mov_b32 s2, -1
                                        ; implicit-def: $vgpr8
	s_branch .LBB161_228
.LBB161_220:
	s_mov_b32 s2, -1
                                        ; implicit-def: $vgpr8
	s_branch .LBB161_225
.LBB161_221:
	s_mov_b32 s2, -1
                                        ; implicit-def: $vgpr8
.LBB161_222:
	s_delay_alu instid0(SALU_CYCLE_1)
	s_and_not1_b32 vcc_lo, exec_lo, s2
	s_cbranch_vccnz .LBB161_224
; %bb.223:
	global_load_b32 v6, v[1:2], off
	s_waitcnt vmcnt(0)
	v_cvt_f16_f32_e32 v8, v6
.LBB161_224:
	s_mov_b32 s2, 0
.LBB161_225:
	s_delay_alu instid0(SALU_CYCLE_1)
	s_and_not1_b32 vcc_lo, exec_lo, s2
	s_cbranch_vccnz .LBB161_227
; %bb.226:
	global_load_b32 v8, v[1:2], off
.LBB161_227:
	s_mov_b32 s2, 0
.LBB161_228:
	s_delay_alu instid0(SALU_CYCLE_1)
	s_and_not1_b32 vcc_lo, exec_lo, s2
	s_cbranch_vccnz .LBB161_239
; %bb.229:
	v_cmp_gt_i16_e32 vcc_lo, 6, v4
	s_cbranch_vccnz .LBB161_232
; %bb.230:
	v_cmp_lt_i16_e32 vcc_lo, 6, v4
	s_cbranch_vccz .LBB161_233
; %bb.231:
	global_load_b64 v[6:7], v[1:2], off
	s_mov_b32 s2, 0
	s_waitcnt vmcnt(0)
	v_cvt_f32_f64_e32 v6, v[6:7]
	s_delay_alu instid0(VALU_DEP_1)
	v_cvt_f16_f32_e32 v8, v6
	s_branch .LBB161_234
.LBB161_232:
	s_mov_b32 s2, -1
                                        ; implicit-def: $vgpr8
	s_branch .LBB161_237
.LBB161_233:
	s_mov_b32 s2, -1
                                        ; implicit-def: $vgpr8
.LBB161_234:
	s_delay_alu instid0(SALU_CYCLE_1)
	s_and_not1_b32 vcc_lo, exec_lo, s2
	s_cbranch_vccnz .LBB161_236
; %bb.235:
	global_load_b32 v6, v[1:2], off
	s_waitcnt vmcnt(0)
	v_cvt_f16_f32_e32 v8, v6
.LBB161_236:
	s_mov_b32 s2, 0
.LBB161_237:
	s_delay_alu instid0(SALU_CYCLE_1)
	s_and_not1_b32 vcc_lo, exec_lo, s2
	s_cbranch_vccnz .LBB161_239
; %bb.238:
	global_load_u16 v8, v[1:2], off
.LBB161_239:
	s_cbranch_execnz .LBB161_259
.LBB161_240:
	v_cmp_gt_i16_e32 vcc_lo, 2, v4
	s_cbranch_vccnz .LBB161_244
; %bb.241:
	v_cmp_gt_i16_e32 vcc_lo, 3, v4
	s_cbranch_vccnz .LBB161_245
; %bb.242:
	v_cmp_lt_i16_e32 vcc_lo, 3, v4
	s_cbranch_vccz .LBB161_246
; %bb.243:
	global_load_b64 v[6:7], v[1:2], off
	s_mov_b32 s2, 0
	s_waitcnt vmcnt(0)
	v_xor_b32_e32 v8, v6, v7
	v_cls_i32_e32 v9, v7
	s_delay_alu instid0(VALU_DEP_2) | instskip(NEXT) | instid1(VALU_DEP_2)
	v_ashrrev_i32_e32 v8, 31, v8
	v_add_nc_u32_e32 v9, -1, v9
	s_delay_alu instid0(VALU_DEP_2) | instskip(NEXT) | instid1(VALU_DEP_1)
	v_add_nc_u32_e32 v8, 32, v8
	v_min_u32_e32 v8, v9, v8
	s_delay_alu instid0(VALU_DEP_1) | instskip(NEXT) | instid1(VALU_DEP_1)
	v_lshlrev_b64 v[6:7], v8, v[6:7]
	v_min_u32_e32 v6, 1, v6
	s_delay_alu instid0(VALU_DEP_1) | instskip(SKIP_1) | instid1(VALU_DEP_2)
	v_or_b32_e32 v6, v7, v6
	v_sub_nc_u32_e32 v7, 32, v8
	v_cvt_f32_i32_e32 v6, v6
	s_delay_alu instid0(VALU_DEP_1) | instskip(NEXT) | instid1(VALU_DEP_1)
	v_ldexp_f32 v6, v6, v7
	v_cvt_f16_f32_e32 v8, v6
	s_branch .LBB161_247
.LBB161_244:
	s_mov_b32 s2, -1
                                        ; implicit-def: $vgpr8
	s_branch .LBB161_253
.LBB161_245:
	s_mov_b32 s2, -1
                                        ; implicit-def: $vgpr8
	s_branch .LBB161_250
.LBB161_246:
	s_mov_b32 s2, -1
                                        ; implicit-def: $vgpr8
.LBB161_247:
	s_delay_alu instid0(SALU_CYCLE_1)
	s_and_not1_b32 vcc_lo, exec_lo, s2
	s_cbranch_vccnz .LBB161_249
; %bb.248:
	global_load_b32 v6, v[1:2], off
	s_waitcnt vmcnt(0)
	v_cvt_f32_i32_e32 v6, v6
	s_delay_alu instid0(VALU_DEP_1)
	v_cvt_f16_f32_e32 v8, v6
.LBB161_249:
	s_mov_b32 s2, 0
.LBB161_250:
	s_delay_alu instid0(SALU_CYCLE_1)
	s_and_not1_b32 vcc_lo, exec_lo, s2
	s_cbranch_vccnz .LBB161_252
; %bb.251:
	global_load_u16 v6, v[1:2], off
	s_waitcnt vmcnt(0)
	v_cvt_f16_i16_e32 v8, v6
.LBB161_252:
	s_mov_b32 s2, 0
.LBB161_253:
	s_delay_alu instid0(SALU_CYCLE_1)
	s_and_not1_b32 vcc_lo, exec_lo, s2
	s_cbranch_vccnz .LBB161_259
; %bb.254:
	v_cmp_lt_i16_e32 vcc_lo, 0, v4
	s_mov_b32 s2, 0
	s_cbranch_vccz .LBB161_256
; %bb.255:
	global_load_i8 v6, v[1:2], off
	s_waitcnt vmcnt(0)
	v_cvt_f16_i16_e32 v8, v6
	s_branch .LBB161_257
.LBB161_256:
	s_mov_b32 s2, -1
                                        ; implicit-def: $vgpr8
.LBB161_257:
	s_delay_alu instid0(SALU_CYCLE_1)
	s_and_not1_b32 vcc_lo, exec_lo, s2
	s_cbranch_vccnz .LBB161_259
; %bb.258:
	global_load_u8 v1, v[1:2], off
	s_waitcnt vmcnt(0)
	v_cvt_f16_u16_e32 v8, v1
.LBB161_259:
	s_branch .LBB161_24
.LBB161_260:
	s_mov_b32 s3, 0
.LBB161_261:
	s_mov_b32 s2, 0
                                        ; implicit-def: $vgpr5
.LBB161_262:
	s_and_b32 s34, s3, exec_lo
	s_and_b32 s35, s22, exec_lo
	s_or_not1_b32 s3, s2, exec_lo
.LBB161_263:
	s_or_b32 exec_lo, exec_lo, s36
	s_mov_b32 s22, 0
	s_mov_b32 s2, 0
                                        ; implicit-def: $vgpr1_vgpr2
                                        ; implicit-def: $vgpr0
                                        ; implicit-def: $vgpr6
	s_and_saveexec_b32 s36, s3
	s_cbranch_execz .LBB161_906
; %bb.264:
	s_mov_b32 s2, -1
	s_mov_b32 s37, s35
	s_mov_b32 s38, s34
	s_mov_b32 s39, exec_lo
	v_cmpx_gt_i32_e64 s30, v5
	s_cbranch_execz .LBB161_533
; %bb.265:
	s_and_not1_b32 vcc_lo, exec_lo, s27
	s_cbranch_vccnz .LBB161_270
; %bb.266:
	v_dual_mov_b32 v0, 0 :: v_dual_mov_b32 v1, 0
	s_and_not1_b32 vcc_lo, exec_lo, s33
	s_mov_b32 s37, 0
	s_cbranch_vccnz .LBB161_275
; %bb.267:
	v_mov_b32_e32 v0, 0
	s_add_i32 s40, s31, 1
	s_cmp_eq_u32 s25, 2
	s_mov_b32 s38, 0
	s_cbranch_scc1 .LBB161_271
; %bb.268:
	v_dual_mov_b32 v1, 0 :: v_dual_mov_b32 v0, 0
	v_mov_b32_e32 v2, v5
	s_and_b32 s38, s40, 28
	s_mov_b32 s41, 0
	s_mov_b64 s[2:3], s[20:21]
	s_mov_b64 s[22:23], s[16:17]
.LBB161_269:                            ; =>This Inner Loop Header: Depth=1
	s_clause 0x1
	s_load_b256 s[44:51], s[22:23], 0x4
	s_load_b128 s[60:63], s[22:23], 0x24
	s_load_b256 s[52:59], s[2:3], 0x0
	s_add_u32 s22, s22, 48
	s_addc_u32 s23, s23, 0
	s_add_i32 s41, s41, 4
	s_add_u32 s2, s2, 32
	s_addc_u32 s3, s3, 0
	s_cmp_eq_u32 s38, s41
	s_waitcnt lgkmcnt(0)
	v_mul_hi_u32 v6, s45, v2
	s_delay_alu instid0(VALU_DEP_1) | instskip(NEXT) | instid1(VALU_DEP_1)
	v_add_nc_u32_e32 v6, v2, v6
	v_lshrrev_b32_e32 v6, s46, v6
	s_delay_alu instid0(VALU_DEP_1) | instskip(SKIP_1) | instid1(VALU_DEP_2)
	v_mul_hi_u32 v7, s48, v6
	v_mul_lo_u32 v9, v6, s44
	v_add_nc_u32_e32 v7, v6, v7
	s_delay_alu instid0(VALU_DEP_2) | instskip(NEXT) | instid1(VALU_DEP_2)
	v_sub_nc_u32_e32 v2, v2, v9
	v_lshrrev_b32_e32 v7, s49, v7
	s_delay_alu instid0(VALU_DEP_2) | instskip(SKIP_2) | instid1(VALU_DEP_3)
	v_mul_lo_u32 v9, v2, s52
	v_mul_lo_u32 v11, v2, s53
	s_waitcnt vmcnt(0)
	v_mul_hi_u32 v8, s51, v7
	s_delay_alu instid0(VALU_DEP_1) | instskip(NEXT) | instid1(VALU_DEP_1)
	v_add_nc_u32_e32 v8, v7, v8
	v_lshrrev_b32_e32 v8, s60, v8
	s_delay_alu instid0(VALU_DEP_1) | instskip(SKIP_1) | instid1(VALU_DEP_2)
	v_mul_hi_u32 v10, s62, v8
	v_mul_lo_u32 v12, v8, s50
	v_add_nc_u32_e32 v2, v8, v10
	v_mul_lo_u32 v10, v7, s47
	s_delay_alu instid0(VALU_DEP_3) | instskip(NEXT) | instid1(VALU_DEP_3)
	v_sub_nc_u32_e32 v7, v7, v12
	v_lshrrev_b32_e32 v2, s63, v2
	s_delay_alu instid0(VALU_DEP_2) | instskip(SKIP_2) | instid1(VALU_DEP_4)
	v_mul_lo_u32 v12, v7, s56
	v_mul_lo_u32 v7, v7, s57
	v_sub_nc_u32_e32 v6, v6, v10
	v_mul_lo_u32 v13, v2, s61
	s_delay_alu instid0(VALU_DEP_2) | instskip(SKIP_1) | instid1(VALU_DEP_3)
	v_mul_lo_u32 v10, v6, s54
	v_mul_lo_u32 v6, v6, s55
	v_sub_nc_u32_e32 v8, v8, v13
	s_delay_alu instid0(VALU_DEP_3) | instskip(NEXT) | instid1(VALU_DEP_2)
	v_add3_u32 v0, v9, v0, v10
	v_mul_lo_u32 v13, v8, s58
	v_mul_lo_u32 v8, v8, s59
	v_add3_u32 v1, v11, v1, v6
	s_delay_alu instid0(VALU_DEP_3) | instskip(NEXT) | instid1(VALU_DEP_2)
	v_add3_u32 v0, v12, v0, v13
	v_add3_u32 v1, v7, v1, v8
	s_cbranch_scc0 .LBB161_269
	s_branch .LBB161_272
.LBB161_270:
	s_mov_b32 s37, -1
                                        ; implicit-def: $vgpr0
                                        ; implicit-def: $vgpr1
	s_branch .LBB161_275
.LBB161_271:
	v_dual_mov_b32 v2, v5 :: v_dual_mov_b32 v1, 0
.LBB161_272:
	s_and_b32 s40, s40, 3
	s_delay_alu instid0(SALU_CYCLE_1)
	s_cmp_eq_u32 s40, 0
	s_cbranch_scc1 .LBB161_275
; %bb.273:
	s_lshl_b32 s2, s38, 3
	s_mul_i32 s22, s38, 12
	s_add_u32 s2, s2, s16
	s_addc_u32 s3, s17, 0
	s_add_u32 s2, s2, 0xc4
	s_addc_u32 s3, s3, 0
	;; [unrolled: 2-line block ×3, first 2 shown]
	.p2align	6
.LBB161_274:                            ; =>This Inner Loop Header: Depth=1
	s_clause 0x1
	s_load_b64 s[42:43], s[22:23], 0x4
	s_load_b32 s38, s[22:23], 0xc
	s_load_b64 s[44:45], s[2:3], 0x0
	s_add_u32 s22, s22, 12
	s_addc_u32 s23, s23, 0
	s_add_u32 s2, s2, 8
	s_addc_u32 s3, s3, 0
	s_add_i32 s40, s40, -1
	s_delay_alu instid0(SALU_CYCLE_1) | instskip(SKIP_2) | instid1(VALU_DEP_1)
	s_cmp_lg_u32 s40, 0
	s_waitcnt lgkmcnt(0)
	v_mul_hi_u32 v6, s43, v2
	v_add_nc_u32_e32 v6, v2, v6
	s_delay_alu instid0(VALU_DEP_1) | instskip(NEXT) | instid1(VALU_DEP_1)
	v_lshrrev_b32_e32 v9, s38, v6
	v_mul_lo_u32 v6, v9, s42
	s_delay_alu instid0(VALU_DEP_1) | instskip(NEXT) | instid1(VALU_DEP_1)
	v_sub_nc_u32_e32 v2, v2, v6
	v_mad_u64_u32 v[6:7], null, v2, s44, v[0:1]
	s_waitcnt vmcnt(0)
	v_mad_u64_u32 v[7:8], null, v2, s45, v[1:2]
	v_mov_b32_e32 v2, v9
	s_delay_alu instid0(VALU_DEP_2)
	v_dual_mov_b32 v0, v6 :: v_dual_mov_b32 v1, v7
	s_cbranch_scc1 .LBB161_274
.LBB161_275:
	s_and_not1_b32 vcc_lo, exec_lo, s37
	s_cbranch_vccnz .LBB161_278
; %bb.276:
	s_waitcnt lgkmcnt(0)
	v_mul_hi_u32 v0, s13, v5
	s_and_not1_b32 vcc_lo, exec_lo, s29
	s_delay_alu instid0(VALU_DEP_1) | instskip(NEXT) | instid1(VALU_DEP_1)
	v_add_nc_u32_e32 v0, v5, v0
	v_lshrrev_b32_e32 v2, s14, v0
	s_delay_alu instid0(VALU_DEP_1) | instskip(NEXT) | instid1(VALU_DEP_1)
	v_mul_lo_u32 v0, v2, s12
	v_sub_nc_u32_e32 v1, v5, v0
	s_delay_alu instid0(VALU_DEP_1)
	v_mul_lo_u32 v0, v1, s8
	v_mul_lo_u32 v1, v1, s9
	s_cbranch_vccnz .LBB161_278
; %bb.277:
	v_mul_hi_u32 v6, s18, v2
	s_delay_alu instid0(VALU_DEP_1) | instskip(NEXT) | instid1(VALU_DEP_1)
	v_add_nc_u32_e32 v6, v2, v6
	v_lshrrev_b32_e32 v6, s19, v6
	s_delay_alu instid0(VALU_DEP_1) | instskip(NEXT) | instid1(VALU_DEP_1)
	v_mul_lo_u32 v6, v6, s15
	v_sub_nc_u32_e32 v2, v2, v6
	s_delay_alu instid0(VALU_DEP_1) | instskip(SKIP_2) | instid1(VALU_DEP_1)
	v_mad_u64_u32 v[6:7], null, v2, s10, v[0:1]
	s_waitcnt vmcnt(0)
	v_mad_u64_u32 v[7:8], null, v2, s11, v[1:2]
	v_dual_mov_b32 v0, v6 :: v_dual_mov_b32 v1, v7
.LBB161_278:
	v_cmp_gt_i16_e32 vcc_lo, 11, v4
	s_waitcnt lgkmcnt(0)
	s_delay_alu instid0(VALU_DEP_2) | instskip(NEXT) | instid1(VALU_DEP_1)
	v_add_co_u32 v1, s2, s6, v1
	v_add_co_ci_u32_e64 v2, null, s7, 0, s2
	s_mov_b32 s2, 0
	s_cbranch_vccnz .LBB161_285
; %bb.279:
	v_cmp_lt_i16_e32 vcc_lo, 25, v4
	s_cbranch_vccz .LBB161_334
; %bb.280:
	v_cmp_lt_i16_e32 vcc_lo, 28, v4
	s_cbranch_vccz .LBB161_335
	;; [unrolled: 3-line block ×4, first 2 shown]
; %bb.283:
	v_cmp_eq_u16_e32 vcc_lo, 46, v4
	s_mov_b32 s3, 0
	s_cbranch_vccz .LBB161_343
; %bb.284:
	global_load_b32 v6, v[1:2], off
	s_mov_b32 s2, -1
	s_mov_b32 s22, 0
	s_waitcnt vmcnt(0)
	v_lshlrev_b32_e32 v6, 16, v6
	s_delay_alu instid0(VALU_DEP_1)
	v_cvt_f16_f32_e32 v8, v6
	s_branch .LBB161_345
.LBB161_285:
	s_mov_b32 s22, s35
                                        ; implicit-def: $vgpr8
	s_cbranch_execnz .LBB161_482
.LBB161_286:
	s_and_not1_b32 vcc_lo, exec_lo, s2
	s_cbranch_vccnz .LBB161_530
.LBB161_287:
	s_waitcnt vmcnt(0)
	s_delay_alu instid0(VALU_DEP_1)
	v_cvt_f32_f16_e32 v1, v8
	s_mov_b32 s2, 0xbf317218
	s_mov_b32 s23, 0
	s_mov_b32 s37, -1
	s_mov_b32 s3, s34
	v_mul_f32_e32 v2, 0x3fb8aa3b, v1
	s_delay_alu instid0(VALU_DEP_1) | instskip(NEXT) | instid1(VALU_DEP_1)
	v_rndne_f32_e32 v2, v2
	v_fma_mix_f32 v6, v2, s2, v8 op_sel_hi:[0,0,1]
	v_cvt_i32_f32_e32 v9, v2
	v_cmp_eq_f32_e32 vcc_lo, 0x43000000, v2
	s_mov_b32 s2, 0x395133b1
	s_delay_alu instid0(VALU_DEP_3) | instskip(NEXT) | instid1(VALU_DEP_3)
	v_fmamk_f32 v6, v2, 0x3102e308, v6
	v_cndmask_b32_e64 v2, v9, 0x7f, vcc_lo
	s_delay_alu instid0(VALU_DEP_1) | instskip(NEXT) | instid1(VALU_DEP_1)
	v_ldexp_f32 v2, 1.0, v2
	v_add_f32_e32 v9, -1.0, v2
	s_delay_alu instid0(VALU_DEP_4) | instskip(SKIP_1) | instid1(VALU_DEP_2)
	v_fmaak_f32 v7, s2, v6, 0x3ab69700
	v_add_co_u32 v0, s2, s4, v0
	v_fmaak_f32 v7, v6, v7, 0x3c0887f9
	s_delay_alu instid0(VALU_DEP_1) | instskip(NEXT) | instid1(VALU_DEP_1)
	v_fmaak_f32 v7, v6, v7, 0x3d2aaa81
	v_fmaak_f32 v7, v6, v7, 0x3e2aaaab
	s_delay_alu instid0(VALU_DEP_1) | instskip(NEXT) | instid1(VALU_DEP_1)
	v_fma_f32 v7, v6, v7, 0.5
	v_mul_f32_e32 v7, v6, v7
	s_delay_alu instid0(VALU_DEP_1) | instskip(NEXT) | instid1(VALU_DEP_1)
	v_fmac_f32_e32 v6, v6, v7
	v_dual_fmac_f32 v9, v2, v6 :: v_dual_and_b32 v6, 0xff, v3
	s_delay_alu instid0(VALU_DEP_1) | instskip(NEXT) | instid1(VALU_DEP_1)
	v_add_f32_e32 v2, v9, v9
	v_cndmask_b32_e32 v2, v9, v2, vcc_lo
	v_cmp_nlt_f32_e32 vcc_lo, 0x42b17217, v1
	s_delay_alu instid0(VALU_DEP_2) | instskip(SKIP_1) | instid1(VALU_DEP_2)
	v_cndmask_b32_e32 v1, 0x7f800000, v2, vcc_lo
	v_cmp_gt_i16_e32 vcc_lo, 11, v6
	v_cvt_f16_f32_e32 v7, v1
	v_add_co_ci_u32_e64 v1, null, s5, 0, s2
	v_cmp_gt_f16_e64 s2, 0xcc40, v8
	s_delay_alu instid0(VALU_DEP_1)
	v_cndmask_b32_e64 v2, v7, 0xbc00, s2
	s_cbranch_vccnz .LBB161_294
; %bb.288:
	v_cmp_lt_i16_e32 vcc_lo, 25, v6
	s_cbranch_vccz .LBB161_336
; %bb.289:
	v_cmp_lt_i16_e32 vcc_lo, 28, v6
	s_cbranch_vccz .LBB161_338
	;; [unrolled: 3-line block ×4, first 2 shown]
; %bb.292:
	v_cmp_eq_u16_e32 vcc_lo, 46, v6
	s_mov_b32 s37, 0
	s_mov_b32 s3, -1
	s_cbranch_vccz .LBB161_349
; %bb.293:
	v_cvt_f32_f16_e32 v8, v2
	v_cmp_o_f16_e32 vcc_lo, v2, v2
	s_mov_b32 s23, -1
	s_mov_b32 s3, 0
	s_delay_alu instid0(VALU_DEP_2) | instskip(NEXT) | instid1(VALU_DEP_1)
	v_bfe_u32 v9, v8, 16, 1
	v_add3_u32 v8, v8, v9, 0x7fff
	s_delay_alu instid0(VALU_DEP_1) | instskip(NEXT) | instid1(VALU_DEP_1)
	v_lshrrev_b32_e32 v8, 16, v8
	v_cndmask_b32_e32 v8, 0x7fc0, v8, vcc_lo
	global_store_b32 v[0:1], v8, off
	s_branch .LBB161_349
.LBB161_294:
	s_and_b32 vcc_lo, exec_lo, s37
	s_cbranch_vccz .LBB161_418
; %bb.295:
	v_cmp_gt_i16_e32 vcc_lo, 5, v6
	s_mov_b32 s2, -1
	s_cbranch_vccnz .LBB161_316
; %bb.296:
	v_cmp_gt_i16_e32 vcc_lo, 8, v6
	s_cbranch_vccnz .LBB161_306
; %bb.297:
	v_cmp_gt_i16_e32 vcc_lo, 9, v6
	s_cbranch_vccnz .LBB161_303
; %bb.298:
	v_cmp_lt_i16_e32 vcc_lo, 9, v6
	s_cbranch_vccz .LBB161_300
; %bb.299:
	v_cvt_f32_f16_e32 v7, v2
	v_mov_b32_e32 v9, 0
	s_mov_b32 s2, 0
	s_delay_alu instid0(VALU_DEP_2) | instskip(NEXT) | instid1(VALU_DEP_2)
	v_cvt_f64_f32_e32 v[7:8], v7
	v_mov_b32_e32 v10, v9
	global_store_b128 v[0:1], v[7:10], off
.LBB161_300:
	s_and_not1_b32 vcc_lo, exec_lo, s2
	s_cbranch_vccnz .LBB161_302
; %bb.301:
	v_cvt_f32_f16_e32 v7, v2
	v_mov_b32_e32 v8, 0
	global_store_b64 v[0:1], v[7:8], off
.LBB161_302:
	s_mov_b32 s2, 0
.LBB161_303:
	s_delay_alu instid0(SALU_CYCLE_1)
	s_and_not1_b32 vcc_lo, exec_lo, s2
	s_cbranch_vccnz .LBB161_305
; %bb.304:
	v_and_b32_e32 v7, 0xffff, v2
	global_store_b32 v[0:1], v7, off
.LBB161_305:
	s_mov_b32 s2, 0
.LBB161_306:
	s_delay_alu instid0(SALU_CYCLE_1)
	s_and_not1_b32 vcc_lo, exec_lo, s2
	s_cbranch_vccnz .LBB161_315
; %bb.307:
	v_cmp_gt_i16_e32 vcc_lo, 6, v6
	s_mov_b32 s2, -1
	s_cbranch_vccnz .LBB161_313
; %bb.308:
	v_cmp_lt_i16_e32 vcc_lo, 6, v6
	s_cbranch_vccz .LBB161_310
; %bb.309:
	v_cvt_f32_f16_e32 v7, v2
	s_mov_b32 s2, 0
	s_delay_alu instid0(VALU_DEP_1)
	v_cvt_f64_f32_e32 v[7:8], v7
	global_store_b64 v[0:1], v[7:8], off
.LBB161_310:
	s_and_not1_b32 vcc_lo, exec_lo, s2
	s_cbranch_vccnz .LBB161_312
; %bb.311:
	v_cvt_f32_f16_e32 v7, v2
	global_store_b32 v[0:1], v7, off
.LBB161_312:
	s_mov_b32 s2, 0
.LBB161_313:
	s_delay_alu instid0(SALU_CYCLE_1)
	s_and_not1_b32 vcc_lo, exec_lo, s2
	s_cbranch_vccnz .LBB161_315
; %bb.314:
	global_store_b16 v[0:1], v2, off
.LBB161_315:
	s_mov_b32 s2, 0
.LBB161_316:
	s_delay_alu instid0(SALU_CYCLE_1)
	s_and_not1_b32 vcc_lo, exec_lo, s2
	s_cbranch_vccnz .LBB161_332
; %bb.317:
	v_cmp_gt_i16_e32 vcc_lo, 2, v6
	s_mov_b32 s2, -1
	s_cbranch_vccnz .LBB161_327
; %bb.318:
	v_cmp_gt_i16_e32 vcc_lo, 3, v6
	s_cbranch_vccnz .LBB161_324
; %bb.319:
	v_cmp_lt_i16_e32 vcc_lo, 3, v6
	s_cbranch_vccz .LBB161_321
; %bb.320:
	v_cvt_f32_f16_e32 v7, v2
	s_mov_b32 s2, 0
	s_delay_alu instid0(VALU_DEP_1) | instskip(NEXT) | instid1(VALU_DEP_1)
	v_cvt_i32_f32_e32 v7, v7
	v_ashrrev_i32_e32 v8, 31, v7
	global_store_b64 v[0:1], v[7:8], off
.LBB161_321:
	s_and_not1_b32 vcc_lo, exec_lo, s2
	s_cbranch_vccnz .LBB161_323
; %bb.322:
	v_cvt_f32_f16_e32 v7, v2
	s_delay_alu instid0(VALU_DEP_1)
	v_cvt_i32_f32_e32 v7, v7
	global_store_b32 v[0:1], v7, off
.LBB161_323:
	s_mov_b32 s2, 0
.LBB161_324:
	s_delay_alu instid0(SALU_CYCLE_1)
	s_and_not1_b32 vcc_lo, exec_lo, s2
	s_cbranch_vccnz .LBB161_326
; %bb.325:
	v_cvt_i16_f16_e32 v7, v2
	global_store_b16 v[0:1], v7, off
.LBB161_326:
	s_mov_b32 s2, 0
.LBB161_327:
	s_delay_alu instid0(SALU_CYCLE_1)
	s_and_not1_b32 vcc_lo, exec_lo, s2
	s_cbranch_vccnz .LBB161_332
; %bb.328:
	v_cmp_lt_i16_e32 vcc_lo, 0, v6
	s_mov_b32 s2, -1
	s_cbranch_vccz .LBB161_330
; %bb.329:
	v_cvt_i16_f16_e32 v6, v2
	s_mov_b32 s2, 0
	global_store_b8 v[0:1], v6, off
.LBB161_330:
	s_and_not1_b32 vcc_lo, exec_lo, s2
	s_cbranch_vccnz .LBB161_332
; %bb.331:
	v_cvt_f32_f16_e32 v2, v2
	s_delay_alu instid0(VALU_DEP_1)
	v_cvt_i32_f32_e32 v2, v2
	global_store_b8 v[0:1], v2, off
.LBB161_332:
	s_branch .LBB161_419
.LBB161_333:
	s_mov_b32 s2, 0
	s_branch .LBB161_531
.LBB161_334:
	s_mov_b32 s3, -1
	s_mov_b32 s22, s35
                                        ; implicit-def: $vgpr8
	s_branch .LBB161_446
.LBB161_335:
	s_mov_b32 s3, -1
	s_mov_b32 s22, s35
                                        ; implicit-def: $vgpr8
	s_branch .LBB161_427
.LBB161_336:
	s_mov_b32 s3, s34
	s_branch .LBB161_376
.LBB161_337:
	s_mov_b32 s3, -1
	s_mov_b32 s22, s35
                                        ; implicit-def: $vgpr8
	s_branch .LBB161_422
.LBB161_338:
	s_mov_b32 s3, s34
	s_branch .LBB161_359
.LBB161_339:
	s_mov_b32 s3, -1
	s_mov_b32 s22, s35
	s_branch .LBB161_344
.LBB161_340:
	s_mov_b32 s3, s34
	s_branch .LBB161_355
.LBB161_341:
	s_or_saveexec_b32 s35, s35
                                        ; implicit-def: $sgpr38
	s_delay_alu instid0(SALU_CYCLE_1)
	s_xor_b32 exec_lo, exec_lo, s35
	s_cbranch_execz .LBB161_65
.LBB161_342:
	v_add_f32_e64 v9, 0x42800000, |v8|
	s_and_not1_b32 s34, s34, exec_lo
	s_mov_b32 s38, 0
	s_delay_alu instid0(VALU_DEP_1) | instskip(NEXT) | instid1(VALU_DEP_1)
	v_and_b32_e32 v9, 0xff, v9
	v_cmp_ne_u32_e32 vcc_lo, 0, v9
	s_and_b32 s39, vcc_lo, exec_lo
	s_delay_alu instid0(SALU_CYCLE_1)
	s_or_b32 s34, s34, s39
	s_or_b32 exec_lo, exec_lo, s35
	v_mov_b32_e32 v10, s38
	s_and_saveexec_b32 s35, s34
	s_cbranch_execnz .LBB161_66
	s_branch .LBB161_67
.LBB161_343:
	s_mov_b32 s22, -1
.LBB161_344:
                                        ; implicit-def: $vgpr8
.LBB161_345:
	s_and_b32 vcc_lo, exec_lo, s3
	s_cbranch_vccz .LBB161_421
; %bb.346:
	v_cmp_eq_u16_e32 vcc_lo, 44, v4
	s_cbranch_vccz .LBB161_420
; %bb.347:
	global_load_u8 v6, v[1:2], off
	s_mov_b32 s22, 0
	s_mov_b32 s2, -1
	s_waitcnt vmcnt(0)
	v_lshlrev_b32_e32 v7, 23, v6
	v_cmp_ne_u32_e32 vcc_lo, 0xff, v6
	s_delay_alu instid0(VALU_DEP_2) | instskip(NEXT) | instid1(VALU_DEP_1)
	v_cvt_f16_f32_e32 v7, v7
	v_cndmask_b32_e32 v7, 0x7e00, v7, vcc_lo
	v_cmp_ne_u32_e32 vcc_lo, 0, v6
	s_delay_alu instid0(VALU_DEP_2)
	v_cndmask_b32_e32 v8, 0, v7, vcc_lo
	s_branch .LBB161_421
.LBB161_348:
	s_mov_b32 s3, s34
.LBB161_349:
	s_and_b32 vcc_lo, exec_lo, s37
	s_cbranch_vccz .LBB161_354
; %bb.350:
	v_cmp_eq_u16_e32 vcc_lo, 44, v6
	s_mov_b32 s3, -1
	s_cbranch_vccz .LBB161_354
; %bb.351:
	v_cvt_f32_f16_e32 v8, v2
	v_mov_b32_e32 v9, 0xff
	s_mov_b32 s23, exec_lo
	s_delay_alu instid0(VALU_DEP_2) | instskip(NEXT) | instid1(VALU_DEP_1)
	v_bfe_u32 v10, v8, 23, 8
	v_cmpx_ne_u32_e32 0xff, v10
; %bb.352:
	v_and_b32_e32 v9, 0x400000, v8
	v_and_or_b32 v10, 0x3fffff, v8, v10
	v_lshrrev_b32_e32 v8, 23, v8
	s_delay_alu instid0(VALU_DEP_3) | instskip(NEXT) | instid1(VALU_DEP_3)
	v_cmp_ne_u32_e32 vcc_lo, 0, v9
	v_cmp_ne_u32_e64 s3, 0, v10
	s_delay_alu instid0(VALU_DEP_1) | instskip(NEXT) | instid1(SALU_CYCLE_1)
	s_and_b32 s3, vcc_lo, s3
	v_cndmask_b32_e64 v9, 0, 1, s3
	s_delay_alu instid0(VALU_DEP_1)
	v_add_nc_u32_e32 v9, v8, v9
; %bb.353:
	s_or_b32 exec_lo, exec_lo, s23
	s_mov_b32 s23, -1
	s_mov_b32 s3, 0
	global_store_b8 v[0:1], v9, off
.LBB161_354:
	s_mov_b32 s37, 0
.LBB161_355:
	s_delay_alu instid0(SALU_CYCLE_1)
	s_and_b32 vcc_lo, exec_lo, s37
	s_cbranch_vccz .LBB161_358
; %bb.356:
	v_cmp_eq_u16_e32 vcc_lo, 29, v6
	s_mov_b32 s3, -1
	s_cbranch_vccz .LBB161_358
; %bb.357:
	v_cvt_f32_f16_e32 v8, v2
	v_mov_b32_e32 v9, 0
	s_mov_b32 s3, 0
	s_mov_b32 s23, -1
	s_mov_b32 s37, 0
	v_cvt_u32_f32_e32 v8, v8
	global_store_b64 v[0:1], v[8:9], off
	s_branch .LBB161_359
.LBB161_358:
	s_mov_b32 s37, 0
.LBB161_359:
	s_delay_alu instid0(SALU_CYCLE_1)
	s_and_b32 vcc_lo, exec_lo, s37
	s_cbranch_vccz .LBB161_375
; %bb.360:
	v_cmp_gt_i16_e32 vcc_lo, 27, v6
	s_mov_b32 s23, -1
	s_cbranch_vccnz .LBB161_366
; %bb.361:
	v_cmp_lt_i16_e32 vcc_lo, 27, v6
	s_cbranch_vccz .LBB161_363
; %bb.362:
	v_cvt_f32_f16_e32 v8, v2
	s_mov_b32 s23, 0
	s_delay_alu instid0(VALU_DEP_1)
	v_cvt_u32_f32_e32 v8, v8
	global_store_b32 v[0:1], v8, off
.LBB161_363:
	s_and_not1_b32 vcc_lo, exec_lo, s23
	s_cbranch_vccnz .LBB161_365
; %bb.364:
	v_cvt_u16_f16_e32 v8, v2
	global_store_b16 v[0:1], v8, off
.LBB161_365:
	s_mov_b32 s23, 0
.LBB161_366:
	s_delay_alu instid0(SALU_CYCLE_1)
	s_and_not1_b32 vcc_lo, exec_lo, s23
	s_cbranch_vccnz .LBB161_374
; %bb.367:
	v_cvt_f32_f16_e32 v8, v2
	v_mov_b32_e32 v10, 0x80
	s_mov_b32 s23, exec_lo
	s_delay_alu instid0(VALU_DEP_2) | instskip(NEXT) | instid1(VALU_DEP_1)
	v_and_b32_e32 v9, 0x7fffffff, v8
	v_cmpx_gt_u32_e32 0x43800000, v9
	s_cbranch_execz .LBB161_373
; %bb.368:
	v_cmp_lt_u32_e32 vcc_lo, 0x3bffffff, v9
	s_mov_b32 s37, 0
                                        ; implicit-def: $vgpr9
	s_and_saveexec_b32 s38, vcc_lo
	s_delay_alu instid0(SALU_CYCLE_1)
	s_xor_b32 s38, exec_lo, s38
	s_cbranch_execz .LBB161_559
; %bb.369:
	v_bfe_u32 v9, v8, 20, 1
	s_mov_b32 s37, exec_lo
	s_delay_alu instid0(VALU_DEP_1) | instskip(NEXT) | instid1(VALU_DEP_1)
	v_add3_u32 v9, v8, v9, 0x487ffff
	v_lshrrev_b32_e32 v9, 20, v9
	s_or_saveexec_b32 s38, s38
                                        ; implicit-def: $sgpr40
	s_delay_alu instid0(SALU_CYCLE_1)
	s_xor_b32 exec_lo, exec_lo, s38
	s_cbranch_execnz .LBB161_560
.LBB161_370:
	s_or_b32 exec_lo, exec_lo, s38
	v_mov_b32_e32 v10, s40
	s_and_saveexec_b32 s38, s37
.LBB161_371:
	v_lshrrev_b32_e32 v8, 24, v8
	s_delay_alu instid0(VALU_DEP_1)
	v_and_or_b32 v10, 0x80, v8, v9
.LBB161_372:
	s_or_b32 exec_lo, exec_lo, s38
.LBB161_373:
	s_delay_alu instid0(SALU_CYCLE_1)
	s_or_b32 exec_lo, exec_lo, s23
	global_store_b8 v[0:1], v10, off
.LBB161_374:
	s_mov_b32 s23, -1
.LBB161_375:
	s_mov_b32 s37, 0
.LBB161_376:
	s_delay_alu instid0(SALU_CYCLE_1)
	s_and_b32 vcc_lo, exec_lo, s37
	s_cbranch_vccz .LBB161_417
; %bb.377:
	v_cmp_lt_i16_e32 vcc_lo, 22, v6
	s_mov_b32 s37, -1
	s_cbranch_vccz .LBB161_409
; %bb.378:
	v_cmp_gt_i16_e32 vcc_lo, 24, v6
	s_mov_b32 s23, -1
	s_cbranch_vccnz .LBB161_398
; %bb.379:
	v_cmp_lt_i16_e32 vcc_lo, 24, v6
	s_cbranch_vccz .LBB161_387
; %bb.380:
	v_cvt_f32_f16_e32 v8, v2
	v_mov_b32_e32 v10, 0x80
	s_mov_b32 s23, exec_lo
	s_delay_alu instid0(VALU_DEP_2) | instskip(NEXT) | instid1(VALU_DEP_1)
	v_and_b32_e32 v9, 0x7fffffff, v8
	v_cmpx_gt_u32_e32 0x47800000, v9
	s_cbranch_execz .LBB161_386
; %bb.381:
	v_cmp_lt_u32_e32 vcc_lo, 0x37ffffff, v9
	s_mov_b32 s37, 0
                                        ; implicit-def: $vgpr9
	s_and_saveexec_b32 s38, vcc_lo
	s_delay_alu instid0(SALU_CYCLE_1)
	s_xor_b32 s38, exec_lo, s38
	s_cbranch_execz .LBB161_562
; %bb.382:
	v_bfe_u32 v9, v8, 21, 1
	s_mov_b32 s37, exec_lo
	s_delay_alu instid0(VALU_DEP_1) | instskip(NEXT) | instid1(VALU_DEP_1)
	v_add3_u32 v9, v8, v9, 0x88fffff
	v_lshrrev_b32_e32 v9, 21, v9
	s_or_saveexec_b32 s38, s38
                                        ; implicit-def: $sgpr40
	s_delay_alu instid0(SALU_CYCLE_1)
	s_xor_b32 exec_lo, exec_lo, s38
	s_cbranch_execnz .LBB161_563
.LBB161_383:
	s_or_b32 exec_lo, exec_lo, s38
	v_mov_b32_e32 v10, s40
	s_and_saveexec_b32 s38, s37
.LBB161_384:
	v_lshrrev_b32_e32 v8, 24, v8
	s_delay_alu instid0(VALU_DEP_1)
	v_and_or_b32 v10, 0x80, v8, v9
.LBB161_385:
	s_or_b32 exec_lo, exec_lo, s38
.LBB161_386:
	s_delay_alu instid0(SALU_CYCLE_1)
	s_or_b32 exec_lo, exec_lo, s23
	s_mov_b32 s23, 0
	global_store_b8 v[0:1], v10, off
.LBB161_387:
	s_and_b32 vcc_lo, exec_lo, s23
	s_cbranch_vccz .LBB161_397
; %bb.388:
	v_cvt_f32_f16_e32 v8, v2
	s_mov_b32 s23, exec_lo
                                        ; implicit-def: $vgpr9
	s_delay_alu instid0(VALU_DEP_1) | instskip(NEXT) | instid1(VALU_DEP_1)
	v_and_b32_e32 v10, 0x7fffffff, v8
	v_cmpx_gt_u32_e32 0x43f00000, v10
	s_xor_b32 s23, exec_lo, s23
	s_cbranch_execz .LBB161_394
; %bb.389:
	s_mov_b32 s37, exec_lo
                                        ; implicit-def: $vgpr9
	v_cmpx_lt_u32_e32 0x3c7fffff, v10
	s_xor_b32 s37, exec_lo, s37
; %bb.390:
	v_bfe_u32 v9, v8, 20, 1
	s_delay_alu instid0(VALU_DEP_1) | instskip(NEXT) | instid1(VALU_DEP_1)
	v_add3_u32 v9, v8, v9, 0x407ffff
	v_and_b32_e32 v10, 0xff00000, v9
	v_lshrrev_b32_e32 v9, 20, v9
	s_delay_alu instid0(VALU_DEP_2) | instskip(NEXT) | instid1(VALU_DEP_2)
	v_cmp_ne_u32_e32 vcc_lo, 0x7f00000, v10
	v_cndmask_b32_e32 v9, 0x7e, v9, vcc_lo
; %bb.391:
	s_and_not1_saveexec_b32 s37, s37
; %bb.392:
	v_add_f32_e64 v9, 0x46800000, |v8|
; %bb.393:
	s_or_b32 exec_lo, exec_lo, s37
                                        ; implicit-def: $vgpr10
.LBB161_394:
	s_and_not1_saveexec_b32 s23, s23
; %bb.395:
	v_mov_b32_e32 v9, 0x7f
	v_cmp_lt_u32_e32 vcc_lo, 0x7f800000, v10
	s_delay_alu instid0(VALU_DEP_2)
	v_cndmask_b32_e32 v9, 0x7e, v9, vcc_lo
; %bb.396:
	s_or_b32 exec_lo, exec_lo, s23
	v_lshrrev_b32_e32 v8, 24, v8
	s_delay_alu instid0(VALU_DEP_1)
	v_and_or_b32 v8, 0x80, v8, v9
	global_store_b8 v[0:1], v8, off
.LBB161_397:
	s_mov_b32 s23, 0
.LBB161_398:
	s_delay_alu instid0(SALU_CYCLE_1)
	s_and_not1_b32 vcc_lo, exec_lo, s23
	s_cbranch_vccnz .LBB161_408
; %bb.399:
	v_cvt_f32_f16_e32 v8, v2
	s_mov_b32 s23, exec_lo
                                        ; implicit-def: $vgpr9
	s_delay_alu instid0(VALU_DEP_1) | instskip(NEXT) | instid1(VALU_DEP_1)
	v_and_b32_e32 v10, 0x7fffffff, v8
	v_cmpx_gt_u32_e32 0x47800000, v10
	s_xor_b32 s23, exec_lo, s23
	s_cbranch_execz .LBB161_405
; %bb.400:
	s_mov_b32 s37, exec_lo
                                        ; implicit-def: $vgpr9
	v_cmpx_lt_u32_e32 0x387fffff, v10
	s_xor_b32 s37, exec_lo, s37
; %bb.401:
	v_bfe_u32 v9, v8, 21, 1
	s_delay_alu instid0(VALU_DEP_1) | instskip(NEXT) | instid1(VALU_DEP_1)
	v_add3_u32 v9, v8, v9, 0x80fffff
	v_lshrrev_b32_e32 v9, 21, v9
; %bb.402:
	s_and_not1_saveexec_b32 s37, s37
; %bb.403:
	v_add_f32_e64 v9, 0x43000000, |v8|
; %bb.404:
	s_or_b32 exec_lo, exec_lo, s37
                                        ; implicit-def: $vgpr10
.LBB161_405:
	s_and_not1_saveexec_b32 s23, s23
; %bb.406:
	v_mov_b32_e32 v9, 0x7f
	v_cmp_lt_u32_e32 vcc_lo, 0x7f800000, v10
	s_delay_alu instid0(VALU_DEP_2)
	v_cndmask_b32_e32 v9, 0x7c, v9, vcc_lo
; %bb.407:
	s_or_b32 exec_lo, exec_lo, s23
	v_lshrrev_b32_e32 v8, 24, v8
	s_delay_alu instid0(VALU_DEP_1)
	v_and_or_b32 v8, 0x80, v8, v9
	global_store_b8 v[0:1], v8, off
.LBB161_408:
	s_mov_b32 s37, 0
	s_mov_b32 s23, -1
.LBB161_409:
	s_and_not1_b32 vcc_lo, exec_lo, s37
	s_cbranch_vccnz .LBB161_417
; %bb.410:
	v_cmp_lt_i16_e32 vcc_lo, 14, v6
	s_mov_b32 s37, -1
	s_cbranch_vccz .LBB161_414
; %bb.411:
	v_cmp_eq_u16_e32 vcc_lo, 15, v6
	s_mov_b32 s3, -1
	s_cbranch_vccz .LBB161_413
; %bb.412:
	v_cvt_f32_f16_e32 v8, v2
	v_cmp_o_f16_e32 vcc_lo, v2, v2
	s_mov_b32 s23, -1
	s_mov_b32 s3, 0
	s_delay_alu instid0(VALU_DEP_2) | instskip(NEXT) | instid1(VALU_DEP_1)
	v_bfe_u32 v9, v8, 16, 1
	v_add3_u32 v8, v8, v9, 0x7fff
	s_delay_alu instid0(VALU_DEP_1) | instskip(NEXT) | instid1(VALU_DEP_1)
	v_lshrrev_b32_e32 v8, 16, v8
	v_cndmask_b32_e32 v8, 0x7fc0, v8, vcc_lo
	global_store_b16 v[0:1], v8, off
.LBB161_413:
	s_mov_b32 s37, 0
.LBB161_414:
	s_delay_alu instid0(SALU_CYCLE_1)
	s_and_b32 vcc_lo, exec_lo, s37
	s_cbranch_vccz .LBB161_417
; %bb.415:
	v_cmp_eq_u16_e32 vcc_lo, 11, v6
	s_mov_b32 s3, -1
	s_cbranch_vccz .LBB161_417
; %bb.416:
	v_cmp_neq_f16_e32 vcc_lo, 0, v7
	s_mov_b32 s3, 0
	s_mov_b32 s23, -1
	s_or_b32 s2, s2, vcc_lo
	s_delay_alu instid0(SALU_CYCLE_1)
	v_cndmask_b32_e64 v7, 0, 1, s2
	global_store_b8 v[0:1], v7, off
.LBB161_417:
.LBB161_418:
	s_and_not1_b32 vcc_lo, exec_lo, s23
	s_cbranch_vccnz .LBB161_333
.LBB161_419:
	v_add_nc_u32_e32 v5, 0x80, v5
	s_mov_b32 s2, -1
	s_branch .LBB161_532
.LBB161_420:
	s_mov_b32 s22, -1
                                        ; implicit-def: $vgpr8
.LBB161_421:
	s_mov_b32 s3, 0
.LBB161_422:
	s_delay_alu instid0(SALU_CYCLE_1)
	s_and_b32 vcc_lo, exec_lo, s3
	s_cbranch_vccz .LBB161_426
; %bb.423:
	v_cmp_eq_u16_e32 vcc_lo, 29, v4
	s_cbranch_vccz .LBB161_425
; %bb.424:
	global_load_b64 v[6:7], v[1:2], off
	s_mov_b32 s2, -1
	s_mov_b32 s22, 0
	s_mov_b32 s3, 0
	s_waitcnt vmcnt(0)
	v_clz_i32_u32_e32 v8, v7
	s_delay_alu instid0(VALU_DEP_1) | instskip(NEXT) | instid1(VALU_DEP_1)
	v_min_u32_e32 v8, 32, v8
	v_lshlrev_b64 v[6:7], v8, v[6:7]
	s_delay_alu instid0(VALU_DEP_1) | instskip(NEXT) | instid1(VALU_DEP_1)
	v_min_u32_e32 v6, 1, v6
	v_or_b32_e32 v6, v7, v6
	v_sub_nc_u32_e32 v7, 32, v8
	s_delay_alu instid0(VALU_DEP_2) | instskip(NEXT) | instid1(VALU_DEP_1)
	v_cvt_f32_u32_e32 v6, v6
	v_ldexp_f32 v6, v6, v7
	s_delay_alu instid0(VALU_DEP_1)
	v_cvt_f16_f32_e32 v8, v6
	s_branch .LBB161_427
.LBB161_425:
	s_mov_b32 s22, -1
                                        ; implicit-def: $vgpr8
.LBB161_426:
	s_mov_b32 s3, 0
.LBB161_427:
	s_delay_alu instid0(SALU_CYCLE_1)
	s_and_b32 vcc_lo, exec_lo, s3
	s_cbranch_vccz .LBB161_445
; %bb.428:
	v_cmp_gt_i16_e32 vcc_lo, 27, v4
	s_cbranch_vccnz .LBB161_431
; %bb.429:
	v_cmp_lt_i16_e32 vcc_lo, 27, v4
	s_cbranch_vccz .LBB161_432
; %bb.430:
	global_load_b32 v6, v[1:2], off
	s_mov_b32 s2, 0
	s_waitcnt vmcnt(0)
	v_cvt_f32_u32_e32 v6, v6
	s_delay_alu instid0(VALU_DEP_1)
	v_cvt_f16_f32_e32 v8, v6
	s_branch .LBB161_433
.LBB161_431:
	s_mov_b32 s2, -1
                                        ; implicit-def: $vgpr8
	s_branch .LBB161_436
.LBB161_432:
	s_mov_b32 s2, -1
                                        ; implicit-def: $vgpr8
.LBB161_433:
	s_delay_alu instid0(SALU_CYCLE_1)
	s_and_not1_b32 vcc_lo, exec_lo, s2
	s_cbranch_vccnz .LBB161_435
; %bb.434:
	global_load_u16 v6, v[1:2], off
	s_waitcnt vmcnt(0)
	v_cvt_f16_u16_e32 v8, v6
.LBB161_435:
	s_mov_b32 s2, 0
.LBB161_436:
	s_delay_alu instid0(SALU_CYCLE_1)
	s_and_not1_b32 vcc_lo, exec_lo, s2
	s_cbranch_vccnz .LBB161_444
; %bb.437:
	global_load_u8 v6, v[1:2], off
	s_mov_b32 s2, 0
	s_mov_b32 s23, exec_lo
                                        ; implicit-def: $sgpr3
	s_waitcnt vmcnt(0)
	v_cmpx_lt_i16_e32 0x7f, v6
	s_xor_b32 s23, exec_lo, s23
	s_cbranch_execz .LBB161_458
; %bb.438:
	s_mov_b32 s2, -1
	s_mov_b32 s37, exec_lo
                                        ; implicit-def: $sgpr3
	v_cmpx_eq_u16_e32 0x80, v6
; %bb.439:
	s_movk_i32 s3, 0x7e00
	s_xor_b32 s2, exec_lo, -1
; %bb.440:
	s_or_b32 exec_lo, exec_lo, s37
	s_delay_alu instid0(SALU_CYCLE_1)
	s_and_b32 s2, s2, exec_lo
	s_or_saveexec_b32 s23, s23
	v_mov_b32_e32 v8, s3
	s_xor_b32 exec_lo, exec_lo, s23
	s_cbranch_execnz .LBB161_459
.LBB161_441:
	s_or_b32 exec_lo, exec_lo, s23
	s_and_saveexec_b32 s3, s2
	s_cbranch_execz .LBB161_443
.LBB161_442:
	v_and_b32_e32 v7, 0xffff, v6
	v_lshlrev_b32_e32 v6, 24, v6
	s_delay_alu instid0(VALU_DEP_2) | instskip(NEXT) | instid1(VALU_DEP_2)
	v_and_b32_e32 v8, 7, v7
	v_and_b32_e32 v6, 0x80000000, v6
	s_delay_alu instid0(VALU_DEP_2) | instskip(NEXT) | instid1(VALU_DEP_1)
	v_clz_i32_u32_e32 v9, v8
	v_min_u32_e32 v9, 32, v9
	s_delay_alu instid0(VALU_DEP_1) | instskip(SKIP_1) | instid1(VALU_DEP_2)
	v_subrev_nc_u32_e32 v10, 28, v9
	v_sub_nc_u32_e32 v9, 29, v9
	v_lshlrev_b32_e32 v10, v10, v7
	v_bfe_u32 v7, v7, 3, 4
	s_delay_alu instid0(VALU_DEP_2) | instskip(NEXT) | instid1(VALU_DEP_2)
	v_and_b32_e32 v10, 7, v10
	v_cmp_eq_u32_e32 vcc_lo, 0, v7
	s_delay_alu instid0(VALU_DEP_2) | instskip(NEXT) | instid1(VALU_DEP_1)
	v_dual_cndmask_b32 v7, v7, v9 :: v_dual_cndmask_b32 v8, v8, v10
	v_lshl_add_u32 v7, v7, 23, 0x3b800000
	s_delay_alu instid0(VALU_DEP_2) | instskip(NEXT) | instid1(VALU_DEP_1)
	v_lshlrev_b32_e32 v8, 20, v8
	v_or3_b32 v6, v6, v7, v8
	s_delay_alu instid0(VALU_DEP_1)
	v_cvt_f16_f32_e32 v8, v6
.LBB161_443:
	s_or_b32 exec_lo, exec_lo, s3
.LBB161_444:
	s_mov_b32 s2, -1
.LBB161_445:
	s_mov_b32 s3, 0
.LBB161_446:
	s_delay_alu instid0(SALU_CYCLE_1)
	s_and_b32 vcc_lo, exec_lo, s3
	s_cbranch_vccz .LBB161_481
; %bb.447:
	v_cmp_lt_i16_e32 vcc_lo, 22, v4
	s_cbranch_vccz .LBB161_457
; %bb.448:
	v_cmp_gt_i16_e32 vcc_lo, 24, v4
	s_cbranch_vccnz .LBB161_460
; %bb.449:
	v_cmp_lt_i16_e32 vcc_lo, 24, v4
	s_cbranch_vccz .LBB161_461
; %bb.450:
	global_load_u8 v6, v[1:2], off
	s_mov_b32 s2, 0
	s_mov_b32 s23, exec_lo
                                        ; implicit-def: $sgpr3
	s_waitcnt vmcnt(0)
	v_cmpx_lt_i16_e32 0x7f, v6
	s_xor_b32 s23, exec_lo, s23
	s_cbranch_execz .LBB161_473
; %bb.451:
	s_mov_b32 s2, -1
	s_mov_b32 s37, exec_lo
                                        ; implicit-def: $sgpr3
	v_cmpx_eq_u16_e32 0x80, v6
; %bb.452:
	s_movk_i32 s3, 0x7e00
	s_xor_b32 s2, exec_lo, -1
; %bb.453:
	s_or_b32 exec_lo, exec_lo, s37
	s_delay_alu instid0(SALU_CYCLE_1)
	s_and_b32 s2, s2, exec_lo
	s_or_saveexec_b32 s23, s23
	v_mov_b32_e32 v8, s3
	s_xor_b32 exec_lo, exec_lo, s23
	s_cbranch_execnz .LBB161_474
.LBB161_454:
	s_or_b32 exec_lo, exec_lo, s23
	s_and_saveexec_b32 s3, s2
	s_cbranch_execz .LBB161_456
.LBB161_455:
	v_and_b32_e32 v7, 0xffff, v6
	v_lshlrev_b32_e32 v6, 24, v6
	s_delay_alu instid0(VALU_DEP_2) | instskip(NEXT) | instid1(VALU_DEP_2)
	v_and_b32_e32 v8, 3, v7
	v_and_b32_e32 v6, 0x80000000, v6
	s_delay_alu instid0(VALU_DEP_2) | instskip(NEXT) | instid1(VALU_DEP_1)
	v_clz_i32_u32_e32 v9, v8
	v_min_u32_e32 v9, 32, v9
	s_delay_alu instid0(VALU_DEP_1) | instskip(SKIP_1) | instid1(VALU_DEP_2)
	v_subrev_nc_u32_e32 v10, 29, v9
	v_sub_nc_u32_e32 v9, 30, v9
	v_lshlrev_b32_e32 v10, v10, v7
	v_bfe_u32 v7, v7, 2, 5
	s_delay_alu instid0(VALU_DEP_2) | instskip(NEXT) | instid1(VALU_DEP_2)
	v_and_b32_e32 v10, 3, v10
	v_cmp_eq_u32_e32 vcc_lo, 0, v7
	s_delay_alu instid0(VALU_DEP_2) | instskip(NEXT) | instid1(VALU_DEP_1)
	v_dual_cndmask_b32 v7, v7, v9 :: v_dual_cndmask_b32 v8, v8, v10
	v_lshl_add_u32 v7, v7, 23, 0x37800000
	s_delay_alu instid0(VALU_DEP_2) | instskip(NEXT) | instid1(VALU_DEP_1)
	v_lshlrev_b32_e32 v8, 21, v8
	v_or3_b32 v6, v6, v7, v8
	s_delay_alu instid0(VALU_DEP_1)
	v_cvt_f16_f32_e32 v8, v6
.LBB161_456:
	s_or_b32 exec_lo, exec_lo, s3
	s_mov_b32 s2, 0
	s_branch .LBB161_462
.LBB161_457:
	s_mov_b32 s3, -1
                                        ; implicit-def: $vgpr8
	s_branch .LBB161_468
.LBB161_458:
	s_or_saveexec_b32 s23, s23
	v_mov_b32_e32 v8, s3
	s_xor_b32 exec_lo, exec_lo, s23
	s_cbranch_execz .LBB161_441
.LBB161_459:
	v_cmp_ne_u16_e32 vcc_lo, 0, v6
	v_mov_b32_e32 v8, v6
	s_and_not1_b32 s2, s2, exec_lo
	s_and_b32 s3, vcc_lo, exec_lo
	s_delay_alu instid0(SALU_CYCLE_1)
	s_or_b32 s2, s2, s3
	s_or_b32 exec_lo, exec_lo, s23
	s_and_saveexec_b32 s3, s2
	s_cbranch_execnz .LBB161_442
	s_branch .LBB161_443
.LBB161_460:
	s_mov_b32 s2, -1
                                        ; implicit-def: $vgpr8
	s_branch .LBB161_465
.LBB161_461:
	s_mov_b32 s2, -1
                                        ; implicit-def: $vgpr8
.LBB161_462:
	s_delay_alu instid0(SALU_CYCLE_1)
	s_and_b32 vcc_lo, exec_lo, s2
	s_cbranch_vccz .LBB161_464
; %bb.463:
	global_load_u8 v6, v[1:2], off
	s_waitcnt vmcnt(0)
	v_lshlrev_b32_e32 v6, 24, v6
	s_delay_alu instid0(VALU_DEP_1) | instskip(NEXT) | instid1(VALU_DEP_1)
	v_and_b32_e32 v7, 0x7f000000, v6
	v_clz_i32_u32_e32 v8, v7
	v_add_nc_u32_e32 v10, 0x1000000, v7
	v_cmp_ne_u32_e32 vcc_lo, 0, v7
	s_delay_alu instid0(VALU_DEP_3) | instskip(NEXT) | instid1(VALU_DEP_1)
	v_min_u32_e32 v8, 32, v8
	v_sub_nc_u32_e64 v8, v8, 4 clamp
	s_delay_alu instid0(VALU_DEP_1) | instskip(SKIP_1) | instid1(VALU_DEP_2)
	v_lshlrev_b32_e32 v9, v8, v7
	v_lshlrev_b32_e32 v8, 23, v8
	v_lshrrev_b32_e32 v9, 4, v9
	s_delay_alu instid0(VALU_DEP_1) | instskip(SKIP_1) | instid1(VALU_DEP_2)
	v_sub_nc_u32_e32 v8, v9, v8
	v_ashrrev_i32_e32 v9, 8, v10
	v_add_nc_u32_e32 v8, 0x3c000000, v8
	s_delay_alu instid0(VALU_DEP_1) | instskip(NEXT) | instid1(VALU_DEP_1)
	v_and_or_b32 v8, 0x7f800000, v9, v8
	v_cndmask_b32_e32 v7, 0, v8, vcc_lo
	s_delay_alu instid0(VALU_DEP_1) | instskip(NEXT) | instid1(VALU_DEP_1)
	v_and_or_b32 v6, 0x80000000, v6, v7
	v_cvt_f16_f32_e32 v8, v6
.LBB161_464:
	s_mov_b32 s2, 0
.LBB161_465:
	s_delay_alu instid0(SALU_CYCLE_1)
	s_and_not1_b32 vcc_lo, exec_lo, s2
	s_cbranch_vccnz .LBB161_467
; %bb.466:
	global_load_u8 v6, v[1:2], off
	s_waitcnt vmcnt(0)
	v_lshlrev_b32_e32 v7, 25, v6
	v_lshlrev_b16 v6, 8, v6
	s_delay_alu instid0(VALU_DEP_2) | instskip(NEXT) | instid1(VALU_DEP_2)
	v_lshrrev_b32_e32 v8, 4, v7
	v_and_or_b32 v9, 0x7f00, v6, 0.5
	v_bfe_i32 v6, v6, 0, 16
	s_delay_alu instid0(VALU_DEP_3) | instskip(NEXT) | instid1(VALU_DEP_1)
	v_or_b32_e32 v8, 0x70000000, v8
	v_dual_add_f32 v9, -0.5, v9 :: v_dual_mul_f32 v8, 0x7800000, v8
	v_cmp_gt_u32_e32 vcc_lo, 0x8000000, v7
	s_delay_alu instid0(VALU_DEP_2) | instskip(NEXT) | instid1(VALU_DEP_1)
	v_cndmask_b32_e32 v7, v8, v9, vcc_lo
	v_and_or_b32 v6, 0x80000000, v6, v7
	s_delay_alu instid0(VALU_DEP_1)
	v_cvt_f16_f32_e32 v8, v6
.LBB161_467:
	s_mov_b32 s3, 0
	s_mov_b32 s2, -1
.LBB161_468:
	s_and_not1_b32 vcc_lo, exec_lo, s3
	s_cbranch_vccnz .LBB161_481
; %bb.469:
	v_cmp_lt_i16_e32 vcc_lo, 14, v4
	s_cbranch_vccz .LBB161_472
; %bb.470:
	v_cmp_eq_u16_e32 vcc_lo, 15, v4
	s_cbranch_vccz .LBB161_475
; %bb.471:
	global_load_u16 v6, v[1:2], off
	s_mov_b32 s2, -1
	s_mov_b32 s22, 0
	s_waitcnt vmcnt(0)
	v_lshlrev_b32_e32 v6, 16, v6
	s_delay_alu instid0(VALU_DEP_1)
	v_cvt_f16_f32_e32 v8, v6
	s_branch .LBB161_476
.LBB161_472:
	s_mov_b32 s3, -1
                                        ; implicit-def: $vgpr8
	s_branch .LBB161_477
.LBB161_473:
	s_or_saveexec_b32 s23, s23
	v_mov_b32_e32 v8, s3
	s_xor_b32 exec_lo, exec_lo, s23
	s_cbranch_execz .LBB161_454
.LBB161_474:
	v_cmp_ne_u16_e32 vcc_lo, 0, v6
	v_mov_b32_e32 v8, v6
	s_and_not1_b32 s2, s2, exec_lo
	s_and_b32 s3, vcc_lo, exec_lo
	s_delay_alu instid0(SALU_CYCLE_1)
	s_or_b32 s2, s2, s3
	s_or_b32 exec_lo, exec_lo, s23
	s_and_saveexec_b32 s3, s2
	s_cbranch_execnz .LBB161_455
	s_branch .LBB161_456
.LBB161_475:
	s_mov_b32 s22, -1
                                        ; implicit-def: $vgpr8
.LBB161_476:
	s_mov_b32 s3, 0
.LBB161_477:
	s_delay_alu instid0(SALU_CYCLE_1)
	s_and_b32 vcc_lo, exec_lo, s3
	s_cbranch_vccz .LBB161_481
; %bb.478:
	v_cmp_eq_u16_e32 vcc_lo, 11, v4
	s_cbranch_vccz .LBB161_480
; %bb.479:
	global_load_u8 v6, v[1:2], off
	s_mov_b32 s22, 0
	s_mov_b32 s2, -1
	s_waitcnt vmcnt(0)
	v_cmp_ne_u16_e32 vcc_lo, 0, v6
	v_cndmask_b32_e64 v8, 0, 0x3c00, vcc_lo
	s_branch .LBB161_481
.LBB161_480:
	s_mov_b32 s22, -1
                                        ; implicit-def: $vgpr8
.LBB161_481:
	s_branch .LBB161_286
.LBB161_482:
	v_cmp_gt_i16_e32 vcc_lo, 5, v4
	s_cbranch_vccnz .LBB161_487
; %bb.483:
	v_cmp_gt_i16_e32 vcc_lo, 8, v4
	s_cbranch_vccnz .LBB161_488
; %bb.484:
	;; [unrolled: 3-line block ×3, first 2 shown]
	v_cmp_lt_i16_e32 vcc_lo, 9, v4
	s_cbranch_vccz .LBB161_490
; %bb.486:
	global_load_b64 v[6:7], v[1:2], off
	s_mov_b32 s2, 0
	s_waitcnt vmcnt(0)
	v_cvt_f32_f64_e32 v6, v[6:7]
	s_delay_alu instid0(VALU_DEP_1)
	v_cvt_f16_f32_e32 v8, v6
	s_branch .LBB161_491
.LBB161_487:
	s_mov_b32 s2, -1
                                        ; implicit-def: $vgpr8
	s_branch .LBB161_509
.LBB161_488:
	s_mov_b32 s2, -1
                                        ; implicit-def: $vgpr8
	s_branch .LBB161_497
.LBB161_489:
	s_mov_b32 s2, -1
                                        ; implicit-def: $vgpr8
	s_branch .LBB161_494
.LBB161_490:
	s_mov_b32 s2, -1
                                        ; implicit-def: $vgpr8
.LBB161_491:
	s_delay_alu instid0(SALU_CYCLE_1)
	s_and_not1_b32 vcc_lo, exec_lo, s2
	s_cbranch_vccnz .LBB161_493
; %bb.492:
	global_load_b32 v6, v[1:2], off
	s_waitcnt vmcnt(0)
	v_cvt_f16_f32_e32 v8, v6
.LBB161_493:
	s_mov_b32 s2, 0
.LBB161_494:
	s_delay_alu instid0(SALU_CYCLE_1)
	s_and_not1_b32 vcc_lo, exec_lo, s2
	s_cbranch_vccnz .LBB161_496
; %bb.495:
	global_load_b32 v8, v[1:2], off
.LBB161_496:
	s_mov_b32 s2, 0
.LBB161_497:
	s_delay_alu instid0(SALU_CYCLE_1)
	s_and_not1_b32 vcc_lo, exec_lo, s2
	s_cbranch_vccnz .LBB161_508
; %bb.498:
	v_cmp_gt_i16_e32 vcc_lo, 6, v4
	s_cbranch_vccnz .LBB161_501
; %bb.499:
	v_cmp_lt_i16_e32 vcc_lo, 6, v4
	s_cbranch_vccz .LBB161_502
; %bb.500:
	global_load_b64 v[6:7], v[1:2], off
	s_mov_b32 s2, 0
	s_waitcnt vmcnt(0)
	v_cvt_f32_f64_e32 v6, v[6:7]
	s_delay_alu instid0(VALU_DEP_1)
	v_cvt_f16_f32_e32 v8, v6
	s_branch .LBB161_503
.LBB161_501:
	s_mov_b32 s2, -1
                                        ; implicit-def: $vgpr8
	s_branch .LBB161_506
.LBB161_502:
	s_mov_b32 s2, -1
                                        ; implicit-def: $vgpr8
.LBB161_503:
	s_delay_alu instid0(SALU_CYCLE_1)
	s_and_not1_b32 vcc_lo, exec_lo, s2
	s_cbranch_vccnz .LBB161_505
; %bb.504:
	global_load_b32 v6, v[1:2], off
	s_waitcnt vmcnt(0)
	v_cvt_f16_f32_e32 v8, v6
.LBB161_505:
	s_mov_b32 s2, 0
.LBB161_506:
	s_delay_alu instid0(SALU_CYCLE_1)
	s_and_not1_b32 vcc_lo, exec_lo, s2
	s_cbranch_vccnz .LBB161_508
; %bb.507:
	global_load_u16 v8, v[1:2], off
.LBB161_508:
	s_mov_b32 s2, 0
.LBB161_509:
	s_delay_alu instid0(SALU_CYCLE_1)
	s_and_not1_b32 vcc_lo, exec_lo, s2
	s_cbranch_vccnz .LBB161_529
; %bb.510:
	v_cmp_gt_i16_e32 vcc_lo, 2, v4
	s_cbranch_vccnz .LBB161_514
; %bb.511:
	v_cmp_gt_i16_e32 vcc_lo, 3, v4
	s_cbranch_vccnz .LBB161_515
; %bb.512:
	v_cmp_lt_i16_e32 vcc_lo, 3, v4
	s_cbranch_vccz .LBB161_516
; %bb.513:
	global_load_b64 v[6:7], v[1:2], off
	s_mov_b32 s2, 0
	s_waitcnt vmcnt(0)
	v_xor_b32_e32 v8, v6, v7
	v_cls_i32_e32 v9, v7
	s_delay_alu instid0(VALU_DEP_2) | instskip(NEXT) | instid1(VALU_DEP_2)
	v_ashrrev_i32_e32 v8, 31, v8
	v_add_nc_u32_e32 v9, -1, v9
	s_delay_alu instid0(VALU_DEP_2) | instskip(NEXT) | instid1(VALU_DEP_1)
	v_add_nc_u32_e32 v8, 32, v8
	v_min_u32_e32 v8, v9, v8
	s_delay_alu instid0(VALU_DEP_1) | instskip(NEXT) | instid1(VALU_DEP_1)
	v_lshlrev_b64 v[6:7], v8, v[6:7]
	v_min_u32_e32 v6, 1, v6
	s_delay_alu instid0(VALU_DEP_1) | instskip(SKIP_1) | instid1(VALU_DEP_2)
	v_or_b32_e32 v6, v7, v6
	v_sub_nc_u32_e32 v7, 32, v8
	v_cvt_f32_i32_e32 v6, v6
	s_delay_alu instid0(VALU_DEP_1) | instskip(NEXT) | instid1(VALU_DEP_1)
	v_ldexp_f32 v6, v6, v7
	v_cvt_f16_f32_e32 v8, v6
	s_branch .LBB161_517
.LBB161_514:
	s_mov_b32 s2, -1
                                        ; implicit-def: $vgpr8
	s_branch .LBB161_523
.LBB161_515:
	s_mov_b32 s2, -1
                                        ; implicit-def: $vgpr8
	s_branch .LBB161_520
.LBB161_516:
	s_mov_b32 s2, -1
                                        ; implicit-def: $vgpr8
.LBB161_517:
	s_delay_alu instid0(SALU_CYCLE_1)
	s_and_not1_b32 vcc_lo, exec_lo, s2
	s_cbranch_vccnz .LBB161_519
; %bb.518:
	global_load_b32 v6, v[1:2], off
	s_waitcnt vmcnt(0)
	v_cvt_f32_i32_e32 v6, v6
	s_delay_alu instid0(VALU_DEP_1)
	v_cvt_f16_f32_e32 v8, v6
.LBB161_519:
	s_mov_b32 s2, 0
.LBB161_520:
	s_delay_alu instid0(SALU_CYCLE_1)
	s_and_not1_b32 vcc_lo, exec_lo, s2
	s_cbranch_vccnz .LBB161_522
; %bb.521:
	global_load_u16 v6, v[1:2], off
	s_waitcnt vmcnt(0)
	v_cvt_f16_i16_e32 v8, v6
.LBB161_522:
	s_mov_b32 s2, 0
.LBB161_523:
	s_delay_alu instid0(SALU_CYCLE_1)
	s_and_not1_b32 vcc_lo, exec_lo, s2
	s_cbranch_vccnz .LBB161_529
; %bb.524:
	v_cmp_lt_i16_e32 vcc_lo, 0, v4
	s_mov_b32 s2, 0
	s_cbranch_vccz .LBB161_526
; %bb.525:
	global_load_i8 v6, v[1:2], off
	s_waitcnt vmcnt(0)
	v_cvt_f16_i16_e32 v8, v6
	s_branch .LBB161_527
.LBB161_526:
	s_mov_b32 s2, -1
                                        ; implicit-def: $vgpr8
.LBB161_527:
	s_delay_alu instid0(SALU_CYCLE_1)
	s_and_not1_b32 vcc_lo, exec_lo, s2
	s_cbranch_vccnz .LBB161_529
; %bb.528:
	global_load_u8 v1, v[1:2], off
	s_waitcnt vmcnt(0)
	v_cvt_f16_u16_e32 v8, v1
.LBB161_529:
	s_branch .LBB161_287
.LBB161_530:
	s_mov_b32 s2, 0
	s_mov_b32 s3, s34
.LBB161_531:
                                        ; implicit-def: $vgpr5
.LBB161_532:
	s_and_not1_b32 s23, s34, exec_lo
	s_and_b32 s3, s3, exec_lo
	s_and_not1_b32 s37, s35, exec_lo
	s_and_b32 s22, s22, exec_lo
	s_or_b32 s38, s23, s3
	s_or_b32 s37, s37, s22
	s_or_not1_b32 s2, s2, exec_lo
.LBB161_533:
	s_or_b32 exec_lo, exec_lo, s39
	s_mov_b32 s3, 0
	s_mov_b32 s23, 0
	;; [unrolled: 1-line block ×3, first 2 shown]
                                        ; implicit-def: $vgpr1_vgpr2
                                        ; implicit-def: $vgpr0
                                        ; implicit-def: $vgpr6
	s_and_saveexec_b32 s39, s2
	s_cbranch_execz .LBB161_905
; %bb.534:
	s_mov_b32 s42, -1
	s_mov_b32 s22, s37
	s_mov_b32 s23, s38
	s_mov_b32 s40, exec_lo
	v_cmpx_gt_i32_e64 s30, v5
	s_cbranch_execz .LBB161_806
; %bb.535:
	s_and_not1_b32 vcc_lo, exec_lo, s27
	s_cbranch_vccnz .LBB161_540
; %bb.536:
	v_dual_mov_b32 v0, 0 :: v_dual_mov_b32 v1, 0
	s_and_not1_b32 vcc_lo, exec_lo, s33
	s_mov_b32 s41, 0
	s_cbranch_vccnz .LBB161_545
; %bb.537:
	v_mov_b32_e32 v0, 0
	s_add_i32 s43, s31, 1
	s_cmp_eq_u32 s25, 2
	s_mov_b32 s42, 0
	s_cbranch_scc1 .LBB161_541
; %bb.538:
	v_dual_mov_b32 v1, 0 :: v_dual_mov_b32 v0, 0
	v_mov_b32_e32 v2, v5
	s_and_b32 s42, s43, 28
	s_mov_b32 s44, 0
	s_mov_b64 s[2:3], s[20:21]
	s_mov_b64 s[22:23], s[16:17]
.LBB161_539:                            ; =>This Inner Loop Header: Depth=1
	s_clause 0x1
	s_load_b256 s[48:55], s[22:23], 0x4
	s_load_b128 s[64:67], s[22:23], 0x24
	s_load_b256 s[56:63], s[2:3], 0x0
	s_add_u32 s22, s22, 48
	s_addc_u32 s23, s23, 0
	s_add_i32 s44, s44, 4
	s_add_u32 s2, s2, 32
	s_addc_u32 s3, s3, 0
	s_cmp_eq_u32 s42, s44
	s_waitcnt lgkmcnt(0)
	v_mul_hi_u32 v6, s49, v2
	s_delay_alu instid0(VALU_DEP_1) | instskip(NEXT) | instid1(VALU_DEP_1)
	v_add_nc_u32_e32 v6, v2, v6
	v_lshrrev_b32_e32 v6, s50, v6
	s_delay_alu instid0(VALU_DEP_1) | instskip(SKIP_1) | instid1(VALU_DEP_2)
	v_mul_hi_u32 v7, s52, v6
	v_mul_lo_u32 v9, v6, s48
	v_add_nc_u32_e32 v7, v6, v7
	s_delay_alu instid0(VALU_DEP_2) | instskip(NEXT) | instid1(VALU_DEP_2)
	v_sub_nc_u32_e32 v2, v2, v9
	v_lshrrev_b32_e32 v7, s53, v7
	s_delay_alu instid0(VALU_DEP_2) | instskip(SKIP_2) | instid1(VALU_DEP_3)
	v_mul_lo_u32 v9, v2, s56
	v_mul_lo_u32 v11, v2, s57
	s_waitcnt vmcnt(0)
	v_mul_hi_u32 v8, s55, v7
	s_delay_alu instid0(VALU_DEP_1) | instskip(NEXT) | instid1(VALU_DEP_1)
	v_add_nc_u32_e32 v8, v7, v8
	v_lshrrev_b32_e32 v8, s64, v8
	s_delay_alu instid0(VALU_DEP_1) | instskip(SKIP_1) | instid1(VALU_DEP_2)
	v_mul_hi_u32 v10, s66, v8
	v_mul_lo_u32 v12, v8, s54
	v_add_nc_u32_e32 v2, v8, v10
	v_mul_lo_u32 v10, v7, s51
	s_delay_alu instid0(VALU_DEP_3) | instskip(NEXT) | instid1(VALU_DEP_3)
	v_sub_nc_u32_e32 v7, v7, v12
	v_lshrrev_b32_e32 v2, s67, v2
	s_delay_alu instid0(VALU_DEP_2) | instskip(SKIP_2) | instid1(VALU_DEP_4)
	v_mul_lo_u32 v12, v7, s60
	v_mul_lo_u32 v7, v7, s61
	v_sub_nc_u32_e32 v6, v6, v10
	v_mul_lo_u32 v13, v2, s65
	s_delay_alu instid0(VALU_DEP_2) | instskip(SKIP_1) | instid1(VALU_DEP_3)
	v_mul_lo_u32 v10, v6, s58
	v_mul_lo_u32 v6, v6, s59
	v_sub_nc_u32_e32 v8, v8, v13
	s_delay_alu instid0(VALU_DEP_3) | instskip(NEXT) | instid1(VALU_DEP_2)
	v_add3_u32 v0, v9, v0, v10
	v_mul_lo_u32 v13, v8, s62
	v_mul_lo_u32 v8, v8, s63
	v_add3_u32 v1, v11, v1, v6
	s_delay_alu instid0(VALU_DEP_3) | instskip(NEXT) | instid1(VALU_DEP_2)
	v_add3_u32 v0, v12, v0, v13
	v_add3_u32 v1, v7, v1, v8
	s_cbranch_scc0 .LBB161_539
	s_branch .LBB161_542
.LBB161_540:
	s_mov_b32 s41, -1
                                        ; implicit-def: $vgpr0
                                        ; implicit-def: $vgpr1
	s_branch .LBB161_545
.LBB161_541:
	v_dual_mov_b32 v2, v5 :: v_dual_mov_b32 v1, 0
.LBB161_542:
	s_and_b32 s43, s43, 3
	s_delay_alu instid0(SALU_CYCLE_1)
	s_cmp_eq_u32 s43, 0
	s_cbranch_scc1 .LBB161_545
; %bb.543:
	s_lshl_b32 s2, s42, 3
	s_mul_i32 s22, s42, 12
	s_add_u32 s2, s2, s16
	s_addc_u32 s3, s17, 0
	s_add_u32 s2, s2, 0xc4
	s_addc_u32 s3, s3, 0
	;; [unrolled: 2-line block ×3, first 2 shown]
	.p2align	6
.LBB161_544:                            ; =>This Inner Loop Header: Depth=1
	s_clause 0x1
	s_load_b64 s[44:45], s[22:23], 0x4
	s_load_b32 s42, s[22:23], 0xc
	s_load_b64 s[46:47], s[2:3], 0x0
	s_add_u32 s22, s22, 12
	s_addc_u32 s23, s23, 0
	s_add_u32 s2, s2, 8
	s_addc_u32 s3, s3, 0
	s_add_i32 s43, s43, -1
	s_delay_alu instid0(SALU_CYCLE_1) | instskip(SKIP_2) | instid1(VALU_DEP_1)
	s_cmp_lg_u32 s43, 0
	s_waitcnt lgkmcnt(0)
	v_mul_hi_u32 v6, s45, v2
	v_add_nc_u32_e32 v6, v2, v6
	s_delay_alu instid0(VALU_DEP_1) | instskip(NEXT) | instid1(VALU_DEP_1)
	v_lshrrev_b32_e32 v9, s42, v6
	v_mul_lo_u32 v6, v9, s44
	s_delay_alu instid0(VALU_DEP_1) | instskip(NEXT) | instid1(VALU_DEP_1)
	v_sub_nc_u32_e32 v2, v2, v6
	v_mad_u64_u32 v[6:7], null, v2, s46, v[0:1]
	s_waitcnt vmcnt(0)
	v_mad_u64_u32 v[7:8], null, v2, s47, v[1:2]
	v_mov_b32_e32 v2, v9
	s_delay_alu instid0(VALU_DEP_2)
	v_dual_mov_b32 v0, v6 :: v_dual_mov_b32 v1, v7
	s_cbranch_scc1 .LBB161_544
.LBB161_545:
	s_and_not1_b32 vcc_lo, exec_lo, s41
	s_cbranch_vccnz .LBB161_548
; %bb.546:
	s_waitcnt lgkmcnt(0)
	v_mul_hi_u32 v0, s13, v5
	s_and_not1_b32 vcc_lo, exec_lo, s29
	s_delay_alu instid0(VALU_DEP_1) | instskip(NEXT) | instid1(VALU_DEP_1)
	v_add_nc_u32_e32 v0, v5, v0
	v_lshrrev_b32_e32 v2, s14, v0
	s_delay_alu instid0(VALU_DEP_1) | instskip(NEXT) | instid1(VALU_DEP_1)
	v_mul_lo_u32 v0, v2, s12
	v_sub_nc_u32_e32 v1, v5, v0
	s_delay_alu instid0(VALU_DEP_1)
	v_mul_lo_u32 v0, v1, s8
	v_mul_lo_u32 v1, v1, s9
	s_cbranch_vccnz .LBB161_548
; %bb.547:
	v_mul_hi_u32 v6, s18, v2
	s_delay_alu instid0(VALU_DEP_1) | instskip(NEXT) | instid1(VALU_DEP_1)
	v_add_nc_u32_e32 v6, v2, v6
	v_lshrrev_b32_e32 v6, s19, v6
	s_delay_alu instid0(VALU_DEP_1) | instskip(NEXT) | instid1(VALU_DEP_1)
	v_mul_lo_u32 v6, v6, s15
	v_sub_nc_u32_e32 v2, v2, v6
	s_delay_alu instid0(VALU_DEP_1) | instskip(SKIP_2) | instid1(VALU_DEP_1)
	v_mad_u64_u32 v[6:7], null, v2, s10, v[0:1]
	s_waitcnt vmcnt(0)
	v_mad_u64_u32 v[7:8], null, v2, s11, v[1:2]
	v_dual_mov_b32 v0, v6 :: v_dual_mov_b32 v1, v7
.LBB161_548:
	v_cmp_gt_i16_e32 vcc_lo, 11, v4
	s_waitcnt lgkmcnt(0)
	s_delay_alu instid0(VALU_DEP_2) | instskip(NEXT) | instid1(VALU_DEP_1)
	v_add_co_u32 v1, s2, s6, v1
	v_add_co_ci_u32_e64 v2, null, s7, 0, s2
	s_mov_b32 s2, 0
	s_cbranch_vccnz .LBB161_555
; %bb.549:
	v_cmp_lt_i16_e32 vcc_lo, 25, v4
	s_cbranch_vccz .LBB161_556
; %bb.550:
	v_cmp_lt_i16_e32 vcc_lo, 28, v4
	s_cbranch_vccz .LBB161_557
	;; [unrolled: 3-line block ×4, first 2 shown]
; %bb.553:
	v_cmp_eq_u16_e32 vcc_lo, 46, v4
	s_mov_b32 s3, 0
	s_cbranch_vccz .LBB161_564
; %bb.554:
	global_load_b32 v6, v[1:2], off
	s_mov_b32 s2, -1
	s_mov_b32 s22, 0
	s_waitcnt vmcnt(0)
	v_lshlrev_b32_e32 v6, 16, v6
	s_delay_alu instid0(VALU_DEP_1)
	v_cvt_f16_f32_e32 v8, v6
	s_branch .LBB161_566
.LBB161_555:
	s_mov_b32 s3, -1
	s_mov_b32 s22, s37
                                        ; implicit-def: $vgpr8
	s_branch .LBB161_631
.LBB161_556:
	s_mov_b32 s3, -1
	s_mov_b32 s22, s37
                                        ; implicit-def: $vgpr8
	s_branch .LBB161_595
.LBB161_557:
	s_mov_b32 s3, -1
	s_mov_b32 s22, s37
                                        ; implicit-def: $vgpr8
	s_branch .LBB161_576
.LBB161_558:
	s_mov_b32 s3, -1
	s_mov_b32 s22, s37
                                        ; implicit-def: $vgpr8
	s_branch .LBB161_571
.LBB161_559:
	s_or_saveexec_b32 s38, s38
                                        ; implicit-def: $sgpr40
	s_delay_alu instid0(SALU_CYCLE_1)
	s_xor_b32 exec_lo, exec_lo, s38
	s_cbranch_execz .LBB161_370
.LBB161_560:
	v_add_f32_e64 v9, 0x46000000, |v8|
	s_and_not1_b32 s37, s37, exec_lo
	s_mov_b32 s40, 0
	s_delay_alu instid0(VALU_DEP_1) | instskip(NEXT) | instid1(VALU_DEP_1)
	v_and_b32_e32 v9, 0xff, v9
	v_cmp_ne_u32_e32 vcc_lo, 0, v9
	s_and_b32 s41, vcc_lo, exec_lo
	s_delay_alu instid0(SALU_CYCLE_1)
	s_or_b32 s37, s37, s41
	s_or_b32 exec_lo, exec_lo, s38
	v_mov_b32_e32 v10, s40
	s_and_saveexec_b32 s38, s37
	s_cbranch_execnz .LBB161_371
	s_branch .LBB161_372
.LBB161_561:
	s_mov_b32 s3, -1
	s_mov_b32 s22, s37
	s_branch .LBB161_565
.LBB161_562:
	s_or_saveexec_b32 s38, s38
                                        ; implicit-def: $sgpr40
	s_delay_alu instid0(SALU_CYCLE_1)
	s_xor_b32 exec_lo, exec_lo, s38
	s_cbranch_execz .LBB161_383
.LBB161_563:
	v_add_f32_e64 v9, 0x42800000, |v8|
	s_and_not1_b32 s37, s37, exec_lo
	s_mov_b32 s40, 0
	s_delay_alu instid0(VALU_DEP_1) | instskip(NEXT) | instid1(VALU_DEP_1)
	v_and_b32_e32 v9, 0xff, v9
	v_cmp_ne_u32_e32 vcc_lo, 0, v9
	s_and_b32 s41, vcc_lo, exec_lo
	s_delay_alu instid0(SALU_CYCLE_1)
	s_or_b32 s37, s37, s41
	s_or_b32 exec_lo, exec_lo, s38
	v_mov_b32_e32 v10, s40
	s_and_saveexec_b32 s38, s37
	s_cbranch_execnz .LBB161_384
	s_branch .LBB161_385
.LBB161_564:
	s_mov_b32 s22, -1
.LBB161_565:
                                        ; implicit-def: $vgpr8
.LBB161_566:
	s_and_b32 vcc_lo, exec_lo, s3
	s_cbranch_vccz .LBB161_570
; %bb.567:
	v_cmp_eq_u16_e32 vcc_lo, 44, v4
	s_cbranch_vccz .LBB161_569
; %bb.568:
	global_load_u8 v6, v[1:2], off
	s_mov_b32 s22, 0
	s_mov_b32 s2, -1
	s_waitcnt vmcnt(0)
	v_lshlrev_b32_e32 v7, 23, v6
	v_cmp_ne_u32_e32 vcc_lo, 0xff, v6
	s_delay_alu instid0(VALU_DEP_2) | instskip(NEXT) | instid1(VALU_DEP_1)
	v_cvt_f16_f32_e32 v7, v7
	v_cndmask_b32_e32 v7, 0x7e00, v7, vcc_lo
	v_cmp_ne_u32_e32 vcc_lo, 0, v6
	s_delay_alu instid0(VALU_DEP_2)
	v_cndmask_b32_e32 v8, 0, v7, vcc_lo
	s_branch .LBB161_570
.LBB161_569:
	s_mov_b32 s22, -1
                                        ; implicit-def: $vgpr8
.LBB161_570:
	s_mov_b32 s3, 0
.LBB161_571:
	s_delay_alu instid0(SALU_CYCLE_1)
	s_and_b32 vcc_lo, exec_lo, s3
	s_cbranch_vccz .LBB161_575
; %bb.572:
	v_cmp_eq_u16_e32 vcc_lo, 29, v4
	s_cbranch_vccz .LBB161_574
; %bb.573:
	global_load_b64 v[6:7], v[1:2], off
	s_mov_b32 s2, -1
	s_mov_b32 s22, 0
	s_mov_b32 s3, 0
	s_waitcnt vmcnt(0)
	v_clz_i32_u32_e32 v8, v7
	s_delay_alu instid0(VALU_DEP_1) | instskip(NEXT) | instid1(VALU_DEP_1)
	v_min_u32_e32 v8, 32, v8
	v_lshlrev_b64 v[6:7], v8, v[6:7]
	s_delay_alu instid0(VALU_DEP_1) | instskip(NEXT) | instid1(VALU_DEP_1)
	v_min_u32_e32 v6, 1, v6
	v_or_b32_e32 v6, v7, v6
	v_sub_nc_u32_e32 v7, 32, v8
	s_delay_alu instid0(VALU_DEP_2) | instskip(NEXT) | instid1(VALU_DEP_1)
	v_cvt_f32_u32_e32 v6, v6
	v_ldexp_f32 v6, v6, v7
	s_delay_alu instid0(VALU_DEP_1)
	v_cvt_f16_f32_e32 v8, v6
	s_branch .LBB161_576
.LBB161_574:
	s_mov_b32 s22, -1
                                        ; implicit-def: $vgpr8
.LBB161_575:
	s_mov_b32 s3, 0
.LBB161_576:
	s_delay_alu instid0(SALU_CYCLE_1)
	s_and_b32 vcc_lo, exec_lo, s3
	s_cbranch_vccz .LBB161_594
; %bb.577:
	v_cmp_gt_i16_e32 vcc_lo, 27, v4
	s_cbranch_vccnz .LBB161_580
; %bb.578:
	v_cmp_lt_i16_e32 vcc_lo, 27, v4
	s_cbranch_vccz .LBB161_581
; %bb.579:
	global_load_b32 v6, v[1:2], off
	s_mov_b32 s2, 0
	s_waitcnt vmcnt(0)
	v_cvt_f32_u32_e32 v6, v6
	s_delay_alu instid0(VALU_DEP_1)
	v_cvt_f16_f32_e32 v8, v6
	s_branch .LBB161_582
.LBB161_580:
	s_mov_b32 s2, -1
                                        ; implicit-def: $vgpr8
	s_branch .LBB161_585
.LBB161_581:
	s_mov_b32 s2, -1
                                        ; implicit-def: $vgpr8
.LBB161_582:
	s_delay_alu instid0(SALU_CYCLE_1)
	s_and_not1_b32 vcc_lo, exec_lo, s2
	s_cbranch_vccnz .LBB161_584
; %bb.583:
	global_load_u16 v6, v[1:2], off
	s_waitcnt vmcnt(0)
	v_cvt_f16_u16_e32 v8, v6
.LBB161_584:
	s_mov_b32 s2, 0
.LBB161_585:
	s_delay_alu instid0(SALU_CYCLE_1)
	s_and_not1_b32 vcc_lo, exec_lo, s2
	s_cbranch_vccnz .LBB161_593
; %bb.586:
	global_load_u8 v6, v[1:2], off
	s_mov_b32 s2, 0
	s_mov_b32 s23, exec_lo
                                        ; implicit-def: $sgpr3
	s_waitcnt vmcnt(0)
	v_cmpx_lt_i16_e32 0x7f, v6
	s_xor_b32 s23, exec_lo, s23
	s_cbranch_execz .LBB161_607
; %bb.587:
	s_mov_b32 s2, -1
	s_mov_b32 s41, exec_lo
                                        ; implicit-def: $sgpr3
	v_cmpx_eq_u16_e32 0x80, v6
; %bb.588:
	s_movk_i32 s3, 0x7e00
	s_xor_b32 s2, exec_lo, -1
; %bb.589:
	s_or_b32 exec_lo, exec_lo, s41
	s_delay_alu instid0(SALU_CYCLE_1)
	s_and_b32 s2, s2, exec_lo
	s_or_saveexec_b32 s23, s23
	v_mov_b32_e32 v8, s3
	s_xor_b32 exec_lo, exec_lo, s23
	s_cbranch_execnz .LBB161_608
.LBB161_590:
	s_or_b32 exec_lo, exec_lo, s23
	s_and_saveexec_b32 s3, s2
	s_cbranch_execz .LBB161_592
.LBB161_591:
	v_and_b32_e32 v7, 0xffff, v6
	v_lshlrev_b32_e32 v6, 24, v6
	s_delay_alu instid0(VALU_DEP_2) | instskip(NEXT) | instid1(VALU_DEP_2)
	v_and_b32_e32 v8, 7, v7
	v_and_b32_e32 v6, 0x80000000, v6
	s_delay_alu instid0(VALU_DEP_2) | instskip(NEXT) | instid1(VALU_DEP_1)
	v_clz_i32_u32_e32 v9, v8
	v_min_u32_e32 v9, 32, v9
	s_delay_alu instid0(VALU_DEP_1) | instskip(SKIP_1) | instid1(VALU_DEP_2)
	v_subrev_nc_u32_e32 v10, 28, v9
	v_sub_nc_u32_e32 v9, 29, v9
	v_lshlrev_b32_e32 v10, v10, v7
	v_bfe_u32 v7, v7, 3, 4
	s_delay_alu instid0(VALU_DEP_2) | instskip(NEXT) | instid1(VALU_DEP_2)
	v_and_b32_e32 v10, 7, v10
	v_cmp_eq_u32_e32 vcc_lo, 0, v7
	s_delay_alu instid0(VALU_DEP_2) | instskip(NEXT) | instid1(VALU_DEP_1)
	v_dual_cndmask_b32 v7, v7, v9 :: v_dual_cndmask_b32 v8, v8, v10
	v_lshl_add_u32 v7, v7, 23, 0x3b800000
	s_delay_alu instid0(VALU_DEP_2) | instskip(NEXT) | instid1(VALU_DEP_1)
	v_lshlrev_b32_e32 v8, 20, v8
	v_or3_b32 v6, v6, v7, v8
	s_delay_alu instid0(VALU_DEP_1)
	v_cvt_f16_f32_e32 v8, v6
.LBB161_592:
	s_or_b32 exec_lo, exec_lo, s3
.LBB161_593:
	s_mov_b32 s2, -1
.LBB161_594:
	s_mov_b32 s3, 0
.LBB161_595:
	s_delay_alu instid0(SALU_CYCLE_1)
	s_and_b32 vcc_lo, exec_lo, s3
	s_cbranch_vccz .LBB161_630
; %bb.596:
	v_cmp_lt_i16_e32 vcc_lo, 22, v4
	s_cbranch_vccz .LBB161_606
; %bb.597:
	v_cmp_gt_i16_e32 vcc_lo, 24, v4
	s_cbranch_vccnz .LBB161_609
; %bb.598:
	v_cmp_lt_i16_e32 vcc_lo, 24, v4
	s_cbranch_vccz .LBB161_610
; %bb.599:
	global_load_u8 v6, v[1:2], off
	s_mov_b32 s2, 0
	s_mov_b32 s23, exec_lo
                                        ; implicit-def: $sgpr3
	s_waitcnt vmcnt(0)
	v_cmpx_lt_i16_e32 0x7f, v6
	s_xor_b32 s23, exec_lo, s23
	s_cbranch_execz .LBB161_622
; %bb.600:
	s_mov_b32 s2, -1
	s_mov_b32 s41, exec_lo
                                        ; implicit-def: $sgpr3
	v_cmpx_eq_u16_e32 0x80, v6
; %bb.601:
	s_movk_i32 s3, 0x7e00
	s_xor_b32 s2, exec_lo, -1
; %bb.602:
	s_or_b32 exec_lo, exec_lo, s41
	s_delay_alu instid0(SALU_CYCLE_1)
	s_and_b32 s2, s2, exec_lo
	s_or_saveexec_b32 s23, s23
	v_mov_b32_e32 v8, s3
	s_xor_b32 exec_lo, exec_lo, s23
	s_cbranch_execnz .LBB161_623
.LBB161_603:
	s_or_b32 exec_lo, exec_lo, s23
	s_and_saveexec_b32 s3, s2
	s_cbranch_execz .LBB161_605
.LBB161_604:
	v_and_b32_e32 v7, 0xffff, v6
	v_lshlrev_b32_e32 v6, 24, v6
	s_delay_alu instid0(VALU_DEP_2) | instskip(NEXT) | instid1(VALU_DEP_2)
	v_and_b32_e32 v8, 3, v7
	v_and_b32_e32 v6, 0x80000000, v6
	s_delay_alu instid0(VALU_DEP_2) | instskip(NEXT) | instid1(VALU_DEP_1)
	v_clz_i32_u32_e32 v9, v8
	v_min_u32_e32 v9, 32, v9
	s_delay_alu instid0(VALU_DEP_1) | instskip(SKIP_1) | instid1(VALU_DEP_2)
	v_subrev_nc_u32_e32 v10, 29, v9
	v_sub_nc_u32_e32 v9, 30, v9
	v_lshlrev_b32_e32 v10, v10, v7
	v_bfe_u32 v7, v7, 2, 5
	s_delay_alu instid0(VALU_DEP_2) | instskip(NEXT) | instid1(VALU_DEP_2)
	v_and_b32_e32 v10, 3, v10
	v_cmp_eq_u32_e32 vcc_lo, 0, v7
	s_delay_alu instid0(VALU_DEP_2) | instskip(NEXT) | instid1(VALU_DEP_1)
	v_dual_cndmask_b32 v7, v7, v9 :: v_dual_cndmask_b32 v8, v8, v10
	v_lshl_add_u32 v7, v7, 23, 0x37800000
	s_delay_alu instid0(VALU_DEP_2) | instskip(NEXT) | instid1(VALU_DEP_1)
	v_lshlrev_b32_e32 v8, 21, v8
	v_or3_b32 v6, v6, v7, v8
	s_delay_alu instid0(VALU_DEP_1)
	v_cvt_f16_f32_e32 v8, v6
.LBB161_605:
	s_or_b32 exec_lo, exec_lo, s3
	s_mov_b32 s2, 0
	s_branch .LBB161_611
.LBB161_606:
	s_mov_b32 s3, -1
                                        ; implicit-def: $vgpr8
	s_branch .LBB161_617
.LBB161_607:
	s_or_saveexec_b32 s23, s23
	v_mov_b32_e32 v8, s3
	s_xor_b32 exec_lo, exec_lo, s23
	s_cbranch_execz .LBB161_590
.LBB161_608:
	v_cmp_ne_u16_e32 vcc_lo, 0, v6
	v_mov_b32_e32 v8, v6
	s_and_not1_b32 s2, s2, exec_lo
	s_and_b32 s3, vcc_lo, exec_lo
	s_delay_alu instid0(SALU_CYCLE_1)
	s_or_b32 s2, s2, s3
	s_or_b32 exec_lo, exec_lo, s23
	s_and_saveexec_b32 s3, s2
	s_cbranch_execnz .LBB161_591
	s_branch .LBB161_592
.LBB161_609:
	s_mov_b32 s2, -1
                                        ; implicit-def: $vgpr8
	s_branch .LBB161_614
.LBB161_610:
	s_mov_b32 s2, -1
                                        ; implicit-def: $vgpr8
.LBB161_611:
	s_delay_alu instid0(SALU_CYCLE_1)
	s_and_b32 vcc_lo, exec_lo, s2
	s_cbranch_vccz .LBB161_613
; %bb.612:
	global_load_u8 v6, v[1:2], off
	s_waitcnt vmcnt(0)
	v_lshlrev_b32_e32 v6, 24, v6
	s_delay_alu instid0(VALU_DEP_1) | instskip(NEXT) | instid1(VALU_DEP_1)
	v_and_b32_e32 v7, 0x7f000000, v6
	v_clz_i32_u32_e32 v8, v7
	v_add_nc_u32_e32 v10, 0x1000000, v7
	v_cmp_ne_u32_e32 vcc_lo, 0, v7
	s_delay_alu instid0(VALU_DEP_3) | instskip(NEXT) | instid1(VALU_DEP_1)
	v_min_u32_e32 v8, 32, v8
	v_sub_nc_u32_e64 v8, v8, 4 clamp
	s_delay_alu instid0(VALU_DEP_1) | instskip(SKIP_1) | instid1(VALU_DEP_2)
	v_lshlrev_b32_e32 v9, v8, v7
	v_lshlrev_b32_e32 v8, 23, v8
	v_lshrrev_b32_e32 v9, 4, v9
	s_delay_alu instid0(VALU_DEP_1) | instskip(SKIP_1) | instid1(VALU_DEP_2)
	v_sub_nc_u32_e32 v8, v9, v8
	v_ashrrev_i32_e32 v9, 8, v10
	v_add_nc_u32_e32 v8, 0x3c000000, v8
	s_delay_alu instid0(VALU_DEP_1) | instskip(NEXT) | instid1(VALU_DEP_1)
	v_and_or_b32 v8, 0x7f800000, v9, v8
	v_cndmask_b32_e32 v7, 0, v8, vcc_lo
	s_delay_alu instid0(VALU_DEP_1) | instskip(NEXT) | instid1(VALU_DEP_1)
	v_and_or_b32 v6, 0x80000000, v6, v7
	v_cvt_f16_f32_e32 v8, v6
.LBB161_613:
	s_mov_b32 s2, 0
.LBB161_614:
	s_delay_alu instid0(SALU_CYCLE_1)
	s_and_not1_b32 vcc_lo, exec_lo, s2
	s_cbranch_vccnz .LBB161_616
; %bb.615:
	global_load_u8 v6, v[1:2], off
	s_waitcnt vmcnt(0)
	v_lshlrev_b32_e32 v7, 25, v6
	v_lshlrev_b16 v6, 8, v6
	s_delay_alu instid0(VALU_DEP_2) | instskip(NEXT) | instid1(VALU_DEP_2)
	v_lshrrev_b32_e32 v8, 4, v7
	v_and_or_b32 v9, 0x7f00, v6, 0.5
	v_bfe_i32 v6, v6, 0, 16
	s_delay_alu instid0(VALU_DEP_3) | instskip(NEXT) | instid1(VALU_DEP_1)
	v_or_b32_e32 v8, 0x70000000, v8
	v_dual_add_f32 v9, -0.5, v9 :: v_dual_mul_f32 v8, 0x7800000, v8
	v_cmp_gt_u32_e32 vcc_lo, 0x8000000, v7
	s_delay_alu instid0(VALU_DEP_2) | instskip(NEXT) | instid1(VALU_DEP_1)
	v_cndmask_b32_e32 v7, v8, v9, vcc_lo
	v_and_or_b32 v6, 0x80000000, v6, v7
	s_delay_alu instid0(VALU_DEP_1)
	v_cvt_f16_f32_e32 v8, v6
.LBB161_616:
	s_mov_b32 s3, 0
	s_mov_b32 s2, -1
.LBB161_617:
	s_and_not1_b32 vcc_lo, exec_lo, s3
	s_cbranch_vccnz .LBB161_630
; %bb.618:
	v_cmp_lt_i16_e32 vcc_lo, 14, v4
	s_cbranch_vccz .LBB161_621
; %bb.619:
	v_cmp_eq_u16_e32 vcc_lo, 15, v4
	s_cbranch_vccz .LBB161_624
; %bb.620:
	global_load_u16 v6, v[1:2], off
	s_mov_b32 s2, -1
	s_mov_b32 s22, 0
	s_waitcnt vmcnt(0)
	v_lshlrev_b32_e32 v6, 16, v6
	s_delay_alu instid0(VALU_DEP_1)
	v_cvt_f16_f32_e32 v8, v6
	s_branch .LBB161_625
.LBB161_621:
	s_mov_b32 s3, -1
                                        ; implicit-def: $vgpr8
	s_branch .LBB161_626
.LBB161_622:
	s_or_saveexec_b32 s23, s23
	v_mov_b32_e32 v8, s3
	s_xor_b32 exec_lo, exec_lo, s23
	s_cbranch_execz .LBB161_603
.LBB161_623:
	v_cmp_ne_u16_e32 vcc_lo, 0, v6
	v_mov_b32_e32 v8, v6
	s_and_not1_b32 s2, s2, exec_lo
	s_and_b32 s3, vcc_lo, exec_lo
	s_delay_alu instid0(SALU_CYCLE_1)
	s_or_b32 s2, s2, s3
	s_or_b32 exec_lo, exec_lo, s23
	s_and_saveexec_b32 s3, s2
	s_cbranch_execnz .LBB161_604
	s_branch .LBB161_605
.LBB161_624:
	s_mov_b32 s22, -1
                                        ; implicit-def: $vgpr8
.LBB161_625:
	s_mov_b32 s3, 0
.LBB161_626:
	s_delay_alu instid0(SALU_CYCLE_1)
	s_and_b32 vcc_lo, exec_lo, s3
	s_cbranch_vccz .LBB161_630
; %bb.627:
	v_cmp_eq_u16_e32 vcc_lo, 11, v4
	s_cbranch_vccz .LBB161_629
; %bb.628:
	global_load_u8 v6, v[1:2], off
	s_mov_b32 s22, 0
	s_mov_b32 s2, -1
	s_waitcnt vmcnt(0)
	v_cmp_ne_u16_e32 vcc_lo, 0, v6
	v_cndmask_b32_e64 v8, 0, 0x3c00, vcc_lo
	s_branch .LBB161_630
.LBB161_629:
	s_mov_b32 s22, -1
                                        ; implicit-def: $vgpr8
.LBB161_630:
	s_mov_b32 s3, 0
.LBB161_631:
	s_delay_alu instid0(SALU_CYCLE_1)
	s_and_b32 vcc_lo, exec_lo, s3
	s_cbranch_vccz .LBB161_680
; %bb.632:
	v_cmp_gt_i16_e32 vcc_lo, 5, v4
	s_cbranch_vccnz .LBB161_637
; %bb.633:
	v_cmp_gt_i16_e32 vcc_lo, 8, v4
	s_cbranch_vccnz .LBB161_638
	;; [unrolled: 3-line block ×3, first 2 shown]
; %bb.635:
	v_cmp_lt_i16_e32 vcc_lo, 9, v4
	s_cbranch_vccz .LBB161_640
; %bb.636:
	global_load_b64 v[6:7], v[1:2], off
	s_mov_b32 s2, 0
	s_waitcnt vmcnt(0)
	v_cvt_f32_f64_e32 v6, v[6:7]
	s_delay_alu instid0(VALU_DEP_1)
	v_cvt_f16_f32_e32 v8, v6
	s_branch .LBB161_641
.LBB161_637:
	s_mov_b32 s2, -1
                                        ; implicit-def: $vgpr8
	s_branch .LBB161_659
.LBB161_638:
	s_mov_b32 s2, -1
                                        ; implicit-def: $vgpr8
	s_branch .LBB161_647
.LBB161_639:
	s_mov_b32 s2, -1
                                        ; implicit-def: $vgpr8
	s_branch .LBB161_644
.LBB161_640:
	s_mov_b32 s2, -1
                                        ; implicit-def: $vgpr8
.LBB161_641:
	s_delay_alu instid0(SALU_CYCLE_1)
	s_and_not1_b32 vcc_lo, exec_lo, s2
	s_cbranch_vccnz .LBB161_643
; %bb.642:
	global_load_b32 v6, v[1:2], off
	s_waitcnt vmcnt(0)
	v_cvt_f16_f32_e32 v8, v6
.LBB161_643:
	s_mov_b32 s2, 0
.LBB161_644:
	s_delay_alu instid0(SALU_CYCLE_1)
	s_and_not1_b32 vcc_lo, exec_lo, s2
	s_cbranch_vccnz .LBB161_646
; %bb.645:
	global_load_b32 v8, v[1:2], off
.LBB161_646:
	s_mov_b32 s2, 0
.LBB161_647:
	s_delay_alu instid0(SALU_CYCLE_1)
	s_and_not1_b32 vcc_lo, exec_lo, s2
	s_cbranch_vccnz .LBB161_658
; %bb.648:
	v_cmp_gt_i16_e32 vcc_lo, 6, v4
	s_cbranch_vccnz .LBB161_651
; %bb.649:
	v_cmp_lt_i16_e32 vcc_lo, 6, v4
	s_cbranch_vccz .LBB161_652
; %bb.650:
	global_load_b64 v[6:7], v[1:2], off
	s_mov_b32 s2, 0
	s_waitcnt vmcnt(0)
	v_cvt_f32_f64_e32 v6, v[6:7]
	s_delay_alu instid0(VALU_DEP_1)
	v_cvt_f16_f32_e32 v8, v6
	s_branch .LBB161_653
.LBB161_651:
	s_mov_b32 s2, -1
                                        ; implicit-def: $vgpr8
	s_branch .LBB161_656
.LBB161_652:
	s_mov_b32 s2, -1
                                        ; implicit-def: $vgpr8
.LBB161_653:
	s_delay_alu instid0(SALU_CYCLE_1)
	s_and_not1_b32 vcc_lo, exec_lo, s2
	s_cbranch_vccnz .LBB161_655
; %bb.654:
	global_load_b32 v6, v[1:2], off
	s_waitcnt vmcnt(0)
	v_cvt_f16_f32_e32 v8, v6
.LBB161_655:
	s_mov_b32 s2, 0
.LBB161_656:
	s_delay_alu instid0(SALU_CYCLE_1)
	s_and_not1_b32 vcc_lo, exec_lo, s2
	s_cbranch_vccnz .LBB161_658
; %bb.657:
	global_load_u16 v8, v[1:2], off
.LBB161_658:
	s_mov_b32 s2, 0
.LBB161_659:
	s_delay_alu instid0(SALU_CYCLE_1)
	s_and_not1_b32 vcc_lo, exec_lo, s2
	s_cbranch_vccnz .LBB161_679
; %bb.660:
	v_cmp_gt_i16_e32 vcc_lo, 2, v4
	s_cbranch_vccnz .LBB161_664
; %bb.661:
	v_cmp_gt_i16_e32 vcc_lo, 3, v4
	s_cbranch_vccnz .LBB161_665
; %bb.662:
	v_cmp_lt_i16_e32 vcc_lo, 3, v4
	s_cbranch_vccz .LBB161_666
; %bb.663:
	global_load_b64 v[6:7], v[1:2], off
	s_mov_b32 s2, 0
	s_waitcnt vmcnt(0)
	v_xor_b32_e32 v8, v6, v7
	v_cls_i32_e32 v9, v7
	s_delay_alu instid0(VALU_DEP_2) | instskip(NEXT) | instid1(VALU_DEP_2)
	v_ashrrev_i32_e32 v8, 31, v8
	v_add_nc_u32_e32 v9, -1, v9
	s_delay_alu instid0(VALU_DEP_2) | instskip(NEXT) | instid1(VALU_DEP_1)
	v_add_nc_u32_e32 v8, 32, v8
	v_min_u32_e32 v8, v9, v8
	s_delay_alu instid0(VALU_DEP_1) | instskip(NEXT) | instid1(VALU_DEP_1)
	v_lshlrev_b64 v[6:7], v8, v[6:7]
	v_min_u32_e32 v6, 1, v6
	s_delay_alu instid0(VALU_DEP_1) | instskip(SKIP_1) | instid1(VALU_DEP_2)
	v_or_b32_e32 v6, v7, v6
	v_sub_nc_u32_e32 v7, 32, v8
	v_cvt_f32_i32_e32 v6, v6
	s_delay_alu instid0(VALU_DEP_1) | instskip(NEXT) | instid1(VALU_DEP_1)
	v_ldexp_f32 v6, v6, v7
	v_cvt_f16_f32_e32 v8, v6
	s_branch .LBB161_667
.LBB161_664:
	s_mov_b32 s2, -1
                                        ; implicit-def: $vgpr8
	s_branch .LBB161_673
.LBB161_665:
	s_mov_b32 s2, -1
                                        ; implicit-def: $vgpr8
	s_branch .LBB161_670
.LBB161_666:
	s_mov_b32 s2, -1
                                        ; implicit-def: $vgpr8
.LBB161_667:
	s_delay_alu instid0(SALU_CYCLE_1)
	s_and_not1_b32 vcc_lo, exec_lo, s2
	s_cbranch_vccnz .LBB161_669
; %bb.668:
	global_load_b32 v6, v[1:2], off
	s_waitcnt vmcnt(0)
	v_cvt_f32_i32_e32 v6, v6
	s_delay_alu instid0(VALU_DEP_1)
	v_cvt_f16_f32_e32 v8, v6
.LBB161_669:
	s_mov_b32 s2, 0
.LBB161_670:
	s_delay_alu instid0(SALU_CYCLE_1)
	s_and_not1_b32 vcc_lo, exec_lo, s2
	s_cbranch_vccnz .LBB161_672
; %bb.671:
	global_load_u16 v6, v[1:2], off
	s_waitcnt vmcnt(0)
	v_cvt_f16_i16_e32 v8, v6
.LBB161_672:
	s_mov_b32 s2, 0
.LBB161_673:
	s_delay_alu instid0(SALU_CYCLE_1)
	s_and_not1_b32 vcc_lo, exec_lo, s2
	s_cbranch_vccnz .LBB161_679
; %bb.674:
	v_cmp_lt_i16_e32 vcc_lo, 0, v4
	s_mov_b32 s2, 0
	s_cbranch_vccz .LBB161_676
; %bb.675:
	global_load_i8 v6, v[1:2], off
	s_waitcnt vmcnt(0)
	v_cvt_f16_i16_e32 v8, v6
	s_branch .LBB161_677
.LBB161_676:
	s_mov_b32 s2, -1
                                        ; implicit-def: $vgpr8
.LBB161_677:
	s_delay_alu instid0(SALU_CYCLE_1)
	s_and_not1_b32 vcc_lo, exec_lo, s2
	s_cbranch_vccnz .LBB161_679
; %bb.678:
	global_load_u8 v1, v[1:2], off
	s_waitcnt vmcnt(0)
	v_cvt_f16_u16_e32 v8, v1
.LBB161_679:
	s_mov_b32 s2, -1
.LBB161_680:
	s_delay_alu instid0(SALU_CYCLE_1)
	s_and_not1_b32 vcc_lo, exec_lo, s2
	s_cbranch_vccnz .LBB161_688
; %bb.681:
	s_waitcnt vmcnt(0)
	v_cvt_f32_f16_e32 v1, v8
	s_mov_b32 s2, 0xbf317218
	s_mov_b32 s23, 0
	s_mov_b32 s41, -1
	s_mov_b32 s3, s38
	v_mul_f32_e32 v2, 0x3fb8aa3b, v1
	s_delay_alu instid0(VALU_DEP_1) | instskip(NEXT) | instid1(VALU_DEP_1)
	v_rndne_f32_e32 v2, v2
	v_fma_mix_f32 v6, v2, s2, v8 op_sel_hi:[0,0,1]
	v_cvt_i32_f32_e32 v9, v2
	v_cmp_eq_f32_e32 vcc_lo, 0x43000000, v2
	s_mov_b32 s2, 0x395133b1
	s_delay_alu instid0(VALU_DEP_3) | instskip(NEXT) | instid1(VALU_DEP_3)
	v_fmamk_f32 v6, v2, 0x3102e308, v6
	v_cndmask_b32_e64 v2, v9, 0x7f, vcc_lo
	s_delay_alu instid0(VALU_DEP_1) | instskip(NEXT) | instid1(VALU_DEP_1)
	v_ldexp_f32 v2, 1.0, v2
	v_add_f32_e32 v9, -1.0, v2
	s_delay_alu instid0(VALU_DEP_4) | instskip(SKIP_1) | instid1(VALU_DEP_2)
	v_fmaak_f32 v7, s2, v6, 0x3ab69700
	v_add_co_u32 v0, s2, s4, v0
	v_fmaak_f32 v7, v6, v7, 0x3c0887f9
	s_delay_alu instid0(VALU_DEP_1) | instskip(NEXT) | instid1(VALU_DEP_1)
	v_fmaak_f32 v7, v6, v7, 0x3d2aaa81
	v_fmaak_f32 v7, v6, v7, 0x3e2aaaab
	s_delay_alu instid0(VALU_DEP_1) | instskip(NEXT) | instid1(VALU_DEP_1)
	v_fma_f32 v7, v6, v7, 0.5
	v_mul_f32_e32 v7, v6, v7
	s_delay_alu instid0(VALU_DEP_1) | instskip(NEXT) | instid1(VALU_DEP_1)
	v_fmac_f32_e32 v6, v6, v7
	v_dual_fmac_f32 v9, v2, v6 :: v_dual_and_b32 v6, 0xff, v3
	s_delay_alu instid0(VALU_DEP_1) | instskip(NEXT) | instid1(VALU_DEP_1)
	v_add_f32_e32 v2, v9, v9
	v_cndmask_b32_e32 v2, v9, v2, vcc_lo
	v_cmp_nlt_f32_e32 vcc_lo, 0x42b17217, v1
	s_delay_alu instid0(VALU_DEP_2) | instskip(SKIP_1) | instid1(VALU_DEP_2)
	v_cndmask_b32_e32 v1, 0x7f800000, v2, vcc_lo
	v_cmp_gt_i16_e32 vcc_lo, 11, v6
	v_cvt_f16_f32_e32 v7, v1
	v_add_co_ci_u32_e64 v1, null, s5, 0, s2
	v_cmp_gt_f16_e64 s2, 0xcc40, v8
	s_delay_alu instid0(VALU_DEP_1)
	v_cndmask_b32_e64 v2, v7, 0xbc00, s2
	s_cbranch_vccnz .LBB161_689
; %bb.682:
	v_cmp_lt_i16_e32 vcc_lo, 25, v6
	s_cbranch_vccz .LBB161_730
; %bb.683:
	v_cmp_lt_i16_e32 vcc_lo, 28, v6
	s_cbranch_vccz .LBB161_731
	;; [unrolled: 3-line block ×4, first 2 shown]
; %bb.686:
	v_cmp_eq_u16_e32 vcc_lo, 46, v6
	s_mov_b32 s41, 0
	s_mov_b32 s3, -1
	s_cbranch_vccz .LBB161_734
; %bb.687:
	v_cvt_f32_f16_e32 v8, v2
	v_cmp_o_f16_e32 vcc_lo, v2, v2
	s_mov_b32 s23, -1
	s_mov_b32 s3, 0
	s_delay_alu instid0(VALU_DEP_2) | instskip(NEXT) | instid1(VALU_DEP_1)
	v_bfe_u32 v9, v8, 16, 1
	v_add3_u32 v8, v8, v9, 0x7fff
	s_delay_alu instid0(VALU_DEP_1) | instskip(NEXT) | instid1(VALU_DEP_1)
	v_lshrrev_b32_e32 v8, 16, v8
	v_cndmask_b32_e32 v8, 0x7fc0, v8, vcc_lo
	global_store_b32 v[0:1], v8, off
	s_branch .LBB161_734
.LBB161_688:
	s_mov_b32 s2, 0
	s_mov_b32 s3, s38
	s_branch .LBB161_729
.LBB161_689:
	s_and_b32 vcc_lo, exec_lo, s41
	s_cbranch_vccz .LBB161_803
; %bb.690:
	v_cmp_gt_i16_e32 vcc_lo, 5, v6
	s_mov_b32 s2, -1
	s_cbranch_vccnz .LBB161_711
; %bb.691:
	v_cmp_gt_i16_e32 vcc_lo, 8, v6
	s_cbranch_vccnz .LBB161_701
; %bb.692:
	v_cmp_gt_i16_e32 vcc_lo, 9, v6
	s_cbranch_vccnz .LBB161_698
; %bb.693:
	v_cmp_lt_i16_e32 vcc_lo, 9, v6
	s_cbranch_vccz .LBB161_695
; %bb.694:
	v_cvt_f32_f16_e32 v7, v2
	v_mov_b32_e32 v9, 0
	s_mov_b32 s2, 0
	s_delay_alu instid0(VALU_DEP_2) | instskip(NEXT) | instid1(VALU_DEP_2)
	v_cvt_f64_f32_e32 v[7:8], v7
	v_mov_b32_e32 v10, v9
	global_store_b128 v[0:1], v[7:10], off
.LBB161_695:
	s_and_not1_b32 vcc_lo, exec_lo, s2
	s_cbranch_vccnz .LBB161_697
; %bb.696:
	v_cvt_f32_f16_e32 v7, v2
	v_mov_b32_e32 v8, 0
	global_store_b64 v[0:1], v[7:8], off
.LBB161_697:
	s_mov_b32 s2, 0
.LBB161_698:
	s_delay_alu instid0(SALU_CYCLE_1)
	s_and_not1_b32 vcc_lo, exec_lo, s2
	s_cbranch_vccnz .LBB161_700
; %bb.699:
	v_and_b32_e32 v7, 0xffff, v2
	global_store_b32 v[0:1], v7, off
.LBB161_700:
	s_mov_b32 s2, 0
.LBB161_701:
	s_delay_alu instid0(SALU_CYCLE_1)
	s_and_not1_b32 vcc_lo, exec_lo, s2
	s_cbranch_vccnz .LBB161_710
; %bb.702:
	v_cmp_gt_i16_e32 vcc_lo, 6, v6
	s_mov_b32 s2, -1
	s_cbranch_vccnz .LBB161_708
; %bb.703:
	v_cmp_lt_i16_e32 vcc_lo, 6, v6
	s_cbranch_vccz .LBB161_705
; %bb.704:
	v_cvt_f32_f16_e32 v7, v2
	s_mov_b32 s2, 0
	s_delay_alu instid0(VALU_DEP_1)
	v_cvt_f64_f32_e32 v[7:8], v7
	global_store_b64 v[0:1], v[7:8], off
.LBB161_705:
	s_and_not1_b32 vcc_lo, exec_lo, s2
	s_cbranch_vccnz .LBB161_707
; %bb.706:
	v_cvt_f32_f16_e32 v7, v2
	global_store_b32 v[0:1], v7, off
.LBB161_707:
	s_mov_b32 s2, 0
.LBB161_708:
	s_delay_alu instid0(SALU_CYCLE_1)
	s_and_not1_b32 vcc_lo, exec_lo, s2
	s_cbranch_vccnz .LBB161_710
; %bb.709:
	global_store_b16 v[0:1], v2, off
.LBB161_710:
	s_mov_b32 s2, 0
.LBB161_711:
	s_delay_alu instid0(SALU_CYCLE_1)
	s_and_not1_b32 vcc_lo, exec_lo, s2
	s_cbranch_vccnz .LBB161_727
; %bb.712:
	v_cmp_gt_i16_e32 vcc_lo, 2, v6
	s_mov_b32 s2, -1
	s_cbranch_vccnz .LBB161_722
; %bb.713:
	v_cmp_gt_i16_e32 vcc_lo, 3, v6
	s_cbranch_vccnz .LBB161_719
; %bb.714:
	v_cmp_lt_i16_e32 vcc_lo, 3, v6
	s_cbranch_vccz .LBB161_716
; %bb.715:
	v_cvt_f32_f16_e32 v7, v2
	s_mov_b32 s2, 0
	s_delay_alu instid0(VALU_DEP_1) | instskip(NEXT) | instid1(VALU_DEP_1)
	v_cvt_i32_f32_e32 v7, v7
	v_ashrrev_i32_e32 v8, 31, v7
	global_store_b64 v[0:1], v[7:8], off
.LBB161_716:
	s_and_not1_b32 vcc_lo, exec_lo, s2
	s_cbranch_vccnz .LBB161_718
; %bb.717:
	v_cvt_f32_f16_e32 v7, v2
	s_delay_alu instid0(VALU_DEP_1)
	v_cvt_i32_f32_e32 v7, v7
	global_store_b32 v[0:1], v7, off
.LBB161_718:
	s_mov_b32 s2, 0
.LBB161_719:
	s_delay_alu instid0(SALU_CYCLE_1)
	s_and_not1_b32 vcc_lo, exec_lo, s2
	s_cbranch_vccnz .LBB161_721
; %bb.720:
	v_cvt_i16_f16_e32 v7, v2
	global_store_b16 v[0:1], v7, off
.LBB161_721:
	s_mov_b32 s2, 0
.LBB161_722:
	s_delay_alu instid0(SALU_CYCLE_1)
	s_and_not1_b32 vcc_lo, exec_lo, s2
	s_cbranch_vccnz .LBB161_727
; %bb.723:
	v_cmp_lt_i16_e32 vcc_lo, 0, v6
	s_mov_b32 s2, -1
	s_cbranch_vccz .LBB161_725
; %bb.724:
	v_cvt_i16_f16_e32 v6, v2
	s_mov_b32 s2, 0
	global_store_b8 v[0:1], v6, off
.LBB161_725:
	s_and_not1_b32 vcc_lo, exec_lo, s2
	s_cbranch_vccnz .LBB161_727
; %bb.726:
	v_cvt_f32_f16_e32 v2, v2
	s_delay_alu instid0(VALU_DEP_1)
	v_cvt_i32_f32_e32 v2, v2
	global_store_b8 v[0:1], v2, off
.LBB161_727:
	s_branch .LBB161_804
.LBB161_728:
	s_mov_b32 s2, 0
.LBB161_729:
                                        ; implicit-def: $vgpr5
	s_branch .LBB161_805
.LBB161_730:
	s_mov_b32 s3, s38
	s_branch .LBB161_761
.LBB161_731:
	s_mov_b32 s3, s38
	s_branch .LBB161_744
.LBB161_732:
	s_mov_b32 s3, s38
	s_branch .LBB161_740
.LBB161_733:
	s_mov_b32 s3, s38
.LBB161_734:
	s_and_b32 vcc_lo, exec_lo, s41
	s_cbranch_vccz .LBB161_739
; %bb.735:
	v_cmp_eq_u16_e32 vcc_lo, 44, v6
	s_mov_b32 s3, -1
	s_cbranch_vccz .LBB161_739
; %bb.736:
	v_cvt_f32_f16_e32 v8, v2
	v_mov_b32_e32 v9, 0xff
	s_mov_b32 s23, exec_lo
	s_delay_alu instid0(VALU_DEP_2) | instskip(NEXT) | instid1(VALU_DEP_1)
	v_bfe_u32 v10, v8, 23, 8
	v_cmpx_ne_u32_e32 0xff, v10
; %bb.737:
	v_and_b32_e32 v9, 0x400000, v8
	v_and_or_b32 v10, 0x3fffff, v8, v10
	v_lshrrev_b32_e32 v8, 23, v8
	s_delay_alu instid0(VALU_DEP_3) | instskip(NEXT) | instid1(VALU_DEP_3)
	v_cmp_ne_u32_e32 vcc_lo, 0, v9
	v_cmp_ne_u32_e64 s3, 0, v10
	s_delay_alu instid0(VALU_DEP_1) | instskip(NEXT) | instid1(SALU_CYCLE_1)
	s_and_b32 s3, vcc_lo, s3
	v_cndmask_b32_e64 v9, 0, 1, s3
	s_delay_alu instid0(VALU_DEP_1)
	v_add_nc_u32_e32 v9, v8, v9
; %bb.738:
	s_or_b32 exec_lo, exec_lo, s23
	s_mov_b32 s23, -1
	s_mov_b32 s3, 0
	global_store_b8 v[0:1], v9, off
.LBB161_739:
	s_mov_b32 s41, 0
.LBB161_740:
	s_delay_alu instid0(SALU_CYCLE_1)
	s_and_b32 vcc_lo, exec_lo, s41
	s_cbranch_vccz .LBB161_743
; %bb.741:
	v_cmp_eq_u16_e32 vcc_lo, 29, v6
	s_mov_b32 s3, -1
	s_cbranch_vccz .LBB161_743
; %bb.742:
	v_cvt_f32_f16_e32 v8, v2
	v_mov_b32_e32 v9, 0
	s_mov_b32 s3, 0
	s_mov_b32 s23, -1
	s_mov_b32 s41, 0
	v_cvt_u32_f32_e32 v8, v8
	global_store_b64 v[0:1], v[8:9], off
	s_branch .LBB161_744
.LBB161_743:
	s_mov_b32 s41, 0
.LBB161_744:
	s_delay_alu instid0(SALU_CYCLE_1)
	s_and_b32 vcc_lo, exec_lo, s41
	s_cbranch_vccz .LBB161_760
; %bb.745:
	v_cmp_gt_i16_e32 vcc_lo, 27, v6
	s_mov_b32 s23, -1
	s_cbranch_vccnz .LBB161_751
; %bb.746:
	v_cmp_lt_i16_e32 vcc_lo, 27, v6
	s_cbranch_vccz .LBB161_748
; %bb.747:
	v_cvt_f32_f16_e32 v8, v2
	s_mov_b32 s23, 0
	s_delay_alu instid0(VALU_DEP_1)
	v_cvt_u32_f32_e32 v8, v8
	global_store_b32 v[0:1], v8, off
.LBB161_748:
	s_and_not1_b32 vcc_lo, exec_lo, s23
	s_cbranch_vccnz .LBB161_750
; %bb.749:
	v_cvt_u16_f16_e32 v8, v2
	global_store_b16 v[0:1], v8, off
.LBB161_750:
	s_mov_b32 s23, 0
.LBB161_751:
	s_delay_alu instid0(SALU_CYCLE_1)
	s_and_not1_b32 vcc_lo, exec_lo, s23
	s_cbranch_vccnz .LBB161_759
; %bb.752:
	v_cvt_f32_f16_e32 v8, v2
	v_mov_b32_e32 v10, 0x80
	s_mov_b32 s23, exec_lo
	s_delay_alu instid0(VALU_DEP_2) | instskip(NEXT) | instid1(VALU_DEP_1)
	v_and_b32_e32 v9, 0x7fffffff, v8
	v_cmpx_gt_u32_e32 0x43800000, v9
	s_cbranch_execz .LBB161_758
; %bb.753:
	v_cmp_lt_u32_e32 vcc_lo, 0x3bffffff, v9
	s_mov_b32 s41, 0
                                        ; implicit-def: $vgpr9
	s_and_saveexec_b32 s42, vcc_lo
	s_delay_alu instid0(SALU_CYCLE_1)
	s_xor_b32 s42, exec_lo, s42
	s_cbranch_execz .LBB161_832
; %bb.754:
	v_bfe_u32 v9, v8, 20, 1
	s_mov_b32 s41, exec_lo
	s_delay_alu instid0(VALU_DEP_1) | instskip(NEXT) | instid1(VALU_DEP_1)
	v_add3_u32 v9, v8, v9, 0x487ffff
	v_lshrrev_b32_e32 v9, 20, v9
	s_or_saveexec_b32 s42, s42
                                        ; implicit-def: $sgpr43
	s_delay_alu instid0(SALU_CYCLE_1)
	s_xor_b32 exec_lo, exec_lo, s42
	s_cbranch_execnz .LBB161_833
.LBB161_755:
	s_or_b32 exec_lo, exec_lo, s42
	v_mov_b32_e32 v10, s43
	s_and_saveexec_b32 s42, s41
.LBB161_756:
	v_lshrrev_b32_e32 v8, 24, v8
	s_delay_alu instid0(VALU_DEP_1)
	v_and_or_b32 v10, 0x80, v8, v9
.LBB161_757:
	s_or_b32 exec_lo, exec_lo, s42
.LBB161_758:
	s_delay_alu instid0(SALU_CYCLE_1)
	s_or_b32 exec_lo, exec_lo, s23
	global_store_b8 v[0:1], v10, off
.LBB161_759:
	s_mov_b32 s23, -1
.LBB161_760:
	s_mov_b32 s41, 0
.LBB161_761:
	s_delay_alu instid0(SALU_CYCLE_1)
	s_and_b32 vcc_lo, exec_lo, s41
	s_cbranch_vccz .LBB161_802
; %bb.762:
	v_cmp_lt_i16_e32 vcc_lo, 22, v6
	s_mov_b32 s41, -1
	s_cbranch_vccz .LBB161_794
; %bb.763:
	v_cmp_gt_i16_e32 vcc_lo, 24, v6
	s_mov_b32 s23, -1
	s_cbranch_vccnz .LBB161_783
; %bb.764:
	v_cmp_lt_i16_e32 vcc_lo, 24, v6
	s_cbranch_vccz .LBB161_772
; %bb.765:
	v_cvt_f32_f16_e32 v8, v2
	v_mov_b32_e32 v10, 0x80
	s_mov_b32 s23, exec_lo
	s_delay_alu instid0(VALU_DEP_2) | instskip(NEXT) | instid1(VALU_DEP_1)
	v_and_b32_e32 v9, 0x7fffffff, v8
	v_cmpx_gt_u32_e32 0x47800000, v9
	s_cbranch_execz .LBB161_771
; %bb.766:
	v_cmp_lt_u32_e32 vcc_lo, 0x37ffffff, v9
	s_mov_b32 s41, 0
                                        ; implicit-def: $vgpr9
	s_and_saveexec_b32 s42, vcc_lo
	s_delay_alu instid0(SALU_CYCLE_1)
	s_xor_b32 s42, exec_lo, s42
	s_cbranch_execz .LBB161_835
; %bb.767:
	v_bfe_u32 v9, v8, 21, 1
	s_mov_b32 s41, exec_lo
	s_delay_alu instid0(VALU_DEP_1) | instskip(NEXT) | instid1(VALU_DEP_1)
	v_add3_u32 v9, v8, v9, 0x88fffff
	v_lshrrev_b32_e32 v9, 21, v9
	s_or_saveexec_b32 s42, s42
                                        ; implicit-def: $sgpr43
	s_delay_alu instid0(SALU_CYCLE_1)
	s_xor_b32 exec_lo, exec_lo, s42
	s_cbranch_execnz .LBB161_836
.LBB161_768:
	s_or_b32 exec_lo, exec_lo, s42
	v_mov_b32_e32 v10, s43
	s_and_saveexec_b32 s42, s41
.LBB161_769:
	v_lshrrev_b32_e32 v8, 24, v8
	s_delay_alu instid0(VALU_DEP_1)
	v_and_or_b32 v10, 0x80, v8, v9
.LBB161_770:
	s_or_b32 exec_lo, exec_lo, s42
.LBB161_771:
	s_delay_alu instid0(SALU_CYCLE_1)
	s_or_b32 exec_lo, exec_lo, s23
	s_mov_b32 s23, 0
	global_store_b8 v[0:1], v10, off
.LBB161_772:
	s_and_b32 vcc_lo, exec_lo, s23
	s_cbranch_vccz .LBB161_782
; %bb.773:
	v_cvt_f32_f16_e32 v8, v2
	s_mov_b32 s23, exec_lo
                                        ; implicit-def: $vgpr9
	s_delay_alu instid0(VALU_DEP_1) | instskip(NEXT) | instid1(VALU_DEP_1)
	v_and_b32_e32 v10, 0x7fffffff, v8
	v_cmpx_gt_u32_e32 0x43f00000, v10
	s_xor_b32 s23, exec_lo, s23
	s_cbranch_execz .LBB161_779
; %bb.774:
	s_mov_b32 s41, exec_lo
                                        ; implicit-def: $vgpr9
	v_cmpx_lt_u32_e32 0x3c7fffff, v10
	s_xor_b32 s41, exec_lo, s41
; %bb.775:
	v_bfe_u32 v9, v8, 20, 1
	s_delay_alu instid0(VALU_DEP_1) | instskip(NEXT) | instid1(VALU_DEP_1)
	v_add3_u32 v9, v8, v9, 0x407ffff
	v_and_b32_e32 v10, 0xff00000, v9
	v_lshrrev_b32_e32 v9, 20, v9
	s_delay_alu instid0(VALU_DEP_2) | instskip(NEXT) | instid1(VALU_DEP_2)
	v_cmp_ne_u32_e32 vcc_lo, 0x7f00000, v10
	v_cndmask_b32_e32 v9, 0x7e, v9, vcc_lo
; %bb.776:
	s_and_not1_saveexec_b32 s41, s41
; %bb.777:
	v_add_f32_e64 v9, 0x46800000, |v8|
; %bb.778:
	s_or_b32 exec_lo, exec_lo, s41
                                        ; implicit-def: $vgpr10
.LBB161_779:
	s_and_not1_saveexec_b32 s23, s23
; %bb.780:
	v_mov_b32_e32 v9, 0x7f
	v_cmp_lt_u32_e32 vcc_lo, 0x7f800000, v10
	s_delay_alu instid0(VALU_DEP_2)
	v_cndmask_b32_e32 v9, 0x7e, v9, vcc_lo
; %bb.781:
	s_or_b32 exec_lo, exec_lo, s23
	v_lshrrev_b32_e32 v8, 24, v8
	s_delay_alu instid0(VALU_DEP_1)
	v_and_or_b32 v8, 0x80, v8, v9
	global_store_b8 v[0:1], v8, off
.LBB161_782:
	s_mov_b32 s23, 0
.LBB161_783:
	s_delay_alu instid0(SALU_CYCLE_1)
	s_and_not1_b32 vcc_lo, exec_lo, s23
	s_cbranch_vccnz .LBB161_793
; %bb.784:
	v_cvt_f32_f16_e32 v8, v2
	s_mov_b32 s23, exec_lo
                                        ; implicit-def: $vgpr9
	s_delay_alu instid0(VALU_DEP_1) | instskip(NEXT) | instid1(VALU_DEP_1)
	v_and_b32_e32 v10, 0x7fffffff, v8
	v_cmpx_gt_u32_e32 0x47800000, v10
	s_xor_b32 s23, exec_lo, s23
	s_cbranch_execz .LBB161_790
; %bb.785:
	s_mov_b32 s41, exec_lo
                                        ; implicit-def: $vgpr9
	v_cmpx_lt_u32_e32 0x387fffff, v10
	s_xor_b32 s41, exec_lo, s41
; %bb.786:
	v_bfe_u32 v9, v8, 21, 1
	s_delay_alu instid0(VALU_DEP_1) | instskip(NEXT) | instid1(VALU_DEP_1)
	v_add3_u32 v9, v8, v9, 0x80fffff
	v_lshrrev_b32_e32 v9, 21, v9
; %bb.787:
	s_and_not1_saveexec_b32 s41, s41
; %bb.788:
	v_add_f32_e64 v9, 0x43000000, |v8|
; %bb.789:
	s_or_b32 exec_lo, exec_lo, s41
                                        ; implicit-def: $vgpr10
.LBB161_790:
	s_and_not1_saveexec_b32 s23, s23
; %bb.791:
	v_mov_b32_e32 v9, 0x7f
	v_cmp_lt_u32_e32 vcc_lo, 0x7f800000, v10
	s_delay_alu instid0(VALU_DEP_2)
	v_cndmask_b32_e32 v9, 0x7c, v9, vcc_lo
; %bb.792:
	s_or_b32 exec_lo, exec_lo, s23
	v_lshrrev_b32_e32 v8, 24, v8
	s_delay_alu instid0(VALU_DEP_1)
	v_and_or_b32 v8, 0x80, v8, v9
	global_store_b8 v[0:1], v8, off
.LBB161_793:
	s_mov_b32 s41, 0
	s_mov_b32 s23, -1
.LBB161_794:
	s_and_not1_b32 vcc_lo, exec_lo, s41
	s_cbranch_vccnz .LBB161_802
; %bb.795:
	v_cmp_lt_i16_e32 vcc_lo, 14, v6
	s_mov_b32 s41, -1
	s_cbranch_vccz .LBB161_799
; %bb.796:
	v_cmp_eq_u16_e32 vcc_lo, 15, v6
	s_mov_b32 s3, -1
	s_cbranch_vccz .LBB161_798
; %bb.797:
	v_cvt_f32_f16_e32 v8, v2
	v_cmp_o_f16_e32 vcc_lo, v2, v2
	s_mov_b32 s23, -1
	s_mov_b32 s3, 0
	s_delay_alu instid0(VALU_DEP_2) | instskip(NEXT) | instid1(VALU_DEP_1)
	v_bfe_u32 v9, v8, 16, 1
	v_add3_u32 v8, v8, v9, 0x7fff
	s_delay_alu instid0(VALU_DEP_1) | instskip(NEXT) | instid1(VALU_DEP_1)
	v_lshrrev_b32_e32 v8, 16, v8
	v_cndmask_b32_e32 v8, 0x7fc0, v8, vcc_lo
	global_store_b16 v[0:1], v8, off
.LBB161_798:
	s_mov_b32 s41, 0
.LBB161_799:
	s_delay_alu instid0(SALU_CYCLE_1)
	s_and_b32 vcc_lo, exec_lo, s41
	s_cbranch_vccz .LBB161_802
; %bb.800:
	v_cmp_eq_u16_e32 vcc_lo, 11, v6
	s_mov_b32 s3, -1
	s_cbranch_vccz .LBB161_802
; %bb.801:
	v_cmp_neq_f16_e32 vcc_lo, 0, v7
	s_mov_b32 s3, 0
	s_mov_b32 s23, -1
	s_or_b32 s2, s2, vcc_lo
	s_delay_alu instid0(SALU_CYCLE_1)
	v_cndmask_b32_e64 v7, 0, 1, s2
	global_store_b8 v[0:1], v7, off
.LBB161_802:
.LBB161_803:
	s_and_not1_b32 vcc_lo, exec_lo, s23
	s_cbranch_vccnz .LBB161_728
.LBB161_804:
	v_add_nc_u32_e32 v5, 0x80, v5
	s_mov_b32 s2, -1
.LBB161_805:
	s_and_not1_b32 s23, s38, exec_lo
	s_and_b32 s3, s3, exec_lo
	s_and_not1_b32 s41, s37, exec_lo
	s_and_b32 s22, s22, exec_lo
	s_or_b32 s23, s23, s3
	s_or_b32 s22, s41, s22
	s_or_not1_b32 s42, s2, exec_lo
.LBB161_806:
	s_or_b32 exec_lo, exec_lo, s40
	s_mov_b32 s2, 0
	s_mov_b32 s3, 0
	;; [unrolled: 1-line block ×3, first 2 shown]
                                        ; implicit-def: $vgpr1_vgpr2
                                        ; implicit-def: $vgpr0
                                        ; implicit-def: $vgpr6
	s_and_saveexec_b32 s40, s42
	s_cbranch_execz .LBB161_904
; %bb.807:
	v_cmp_gt_i32_e32 vcc_lo, s30, v5
	s_mov_b32 s43, s22
	s_mov_b32 s42, 0
                                        ; implicit-def: $vgpr1_vgpr2
                                        ; implicit-def: $vgpr0
                                        ; implicit-def: $vgpr6
	s_and_saveexec_b32 s30, vcc_lo
	s_cbranch_execz .LBB161_903
; %bb.808:
	s_and_not1_b32 vcc_lo, exec_lo, s27
	s_cbranch_vccnz .LBB161_813
; %bb.809:
	v_dual_mov_b32 v0, 0 :: v_dual_mov_b32 v1, 0
	s_and_not1_b32 vcc_lo, exec_lo, s33
	s_mov_b32 s33, 0
	s_cbranch_vccnz .LBB161_818
; %bb.810:
	v_mov_b32_e32 v0, 0
	s_add_i32 s41, s31, 1
	s_cmp_eq_u32 s25, 2
	s_mov_b32 s31, 0
	s_cbranch_scc1 .LBB161_814
; %bb.811:
	v_dual_mov_b32 v1, 0 :: v_dual_mov_b32 v0, 0
	v_mov_b32_e32 v2, v5
	s_and_b32 s31, s41, 28
	s_mov_b64 s[2:3], s[16:17]
.LBB161_812:                            ; =>This Inner Loop Header: Depth=1
	s_clause 0x1
	s_load_b256 s[44:51], s[2:3], 0x4
	s_load_b128 s[60:63], s[2:3], 0x24
	s_load_b256 s[52:59], s[20:21], 0x0
	s_add_u32 s2, s2, 48
	s_addc_u32 s3, s3, 0
	s_add_i32 s42, s42, 4
	s_add_u32 s20, s20, 32
	s_addc_u32 s21, s21, 0
	s_cmp_eq_u32 s31, s42
	s_waitcnt lgkmcnt(0)
	v_mul_hi_u32 v6, s45, v2
	s_delay_alu instid0(VALU_DEP_1) | instskip(NEXT) | instid1(VALU_DEP_1)
	v_add_nc_u32_e32 v6, v2, v6
	v_lshrrev_b32_e32 v6, s46, v6
	s_delay_alu instid0(VALU_DEP_1) | instskip(SKIP_1) | instid1(VALU_DEP_2)
	v_mul_hi_u32 v7, s48, v6
	v_mul_lo_u32 v9, v6, s44
	v_add_nc_u32_e32 v7, v6, v7
	s_delay_alu instid0(VALU_DEP_2) | instskip(NEXT) | instid1(VALU_DEP_2)
	v_sub_nc_u32_e32 v2, v2, v9
	v_lshrrev_b32_e32 v7, s49, v7
	s_delay_alu instid0(VALU_DEP_2) | instskip(SKIP_2) | instid1(VALU_DEP_3)
	v_mul_lo_u32 v9, v2, s52
	v_mul_lo_u32 v11, v2, s53
	s_waitcnt vmcnt(0)
	v_mul_hi_u32 v8, s51, v7
	s_delay_alu instid0(VALU_DEP_1) | instskip(NEXT) | instid1(VALU_DEP_1)
	v_add_nc_u32_e32 v8, v7, v8
	v_lshrrev_b32_e32 v8, s60, v8
	s_delay_alu instid0(VALU_DEP_1) | instskip(SKIP_1) | instid1(VALU_DEP_2)
	v_mul_hi_u32 v10, s62, v8
	v_mul_lo_u32 v12, v8, s50
	v_add_nc_u32_e32 v2, v8, v10
	v_mul_lo_u32 v10, v7, s47
	s_delay_alu instid0(VALU_DEP_3) | instskip(NEXT) | instid1(VALU_DEP_3)
	v_sub_nc_u32_e32 v7, v7, v12
	v_lshrrev_b32_e32 v2, s63, v2
	s_delay_alu instid0(VALU_DEP_2) | instskip(SKIP_2) | instid1(VALU_DEP_4)
	v_mul_lo_u32 v12, v7, s56
	v_mul_lo_u32 v7, v7, s57
	v_sub_nc_u32_e32 v6, v6, v10
	v_mul_lo_u32 v13, v2, s61
	s_delay_alu instid0(VALU_DEP_2) | instskip(SKIP_1) | instid1(VALU_DEP_3)
	v_mul_lo_u32 v10, v6, s54
	v_mul_lo_u32 v6, v6, s55
	v_sub_nc_u32_e32 v8, v8, v13
	s_delay_alu instid0(VALU_DEP_3) | instskip(NEXT) | instid1(VALU_DEP_2)
	v_add3_u32 v0, v9, v0, v10
	v_mul_lo_u32 v13, v8, s58
	v_mul_lo_u32 v8, v8, s59
	v_add3_u32 v1, v11, v1, v6
	s_delay_alu instid0(VALU_DEP_3) | instskip(NEXT) | instid1(VALU_DEP_2)
	v_add3_u32 v0, v12, v0, v13
	v_add3_u32 v1, v7, v1, v8
	s_cbranch_scc0 .LBB161_812
	s_branch .LBB161_815
.LBB161_813:
	s_mov_b32 s33, -1
                                        ; implicit-def: $vgpr0
                                        ; implicit-def: $vgpr1
	s_branch .LBB161_818
.LBB161_814:
	v_dual_mov_b32 v2, v5 :: v_dual_mov_b32 v1, 0
.LBB161_815:
	s_and_b32 s41, s41, 3
	s_delay_alu instid0(SALU_CYCLE_1)
	s_cmp_eq_u32 s41, 0
	s_cbranch_scc1 .LBB161_818
; %bb.816:
	s_lshl_b32 s2, s31, 3
	s_mul_i32 s20, s31, 12
	s_add_u32 s2, s2, s16
	s_addc_u32 s3, s17, 0
	s_add_u32 s2, s2, 0xc4
	s_addc_u32 s3, s3, 0
	;; [unrolled: 2-line block ×3, first 2 shown]
.LBB161_817:                            ; =>This Inner Loop Header: Depth=1
	s_clause 0x1
	s_load_b64 s[42:43], s[20:21], 0x4
	s_load_b32 s31, s[20:21], 0xc
	s_load_b64 s[44:45], s[2:3], 0x0
	s_add_u32 s20, s20, 12
	s_addc_u32 s21, s21, 0
	s_add_u32 s2, s2, 8
	s_addc_u32 s3, s3, 0
	s_add_i32 s41, s41, -1
	s_delay_alu instid0(SALU_CYCLE_1) | instskip(SKIP_2) | instid1(VALU_DEP_1)
	s_cmp_lg_u32 s41, 0
	s_waitcnt lgkmcnt(0)
	v_mul_hi_u32 v6, s43, v2
	v_add_nc_u32_e32 v6, v2, v6
	s_delay_alu instid0(VALU_DEP_1) | instskip(NEXT) | instid1(VALU_DEP_1)
	v_lshrrev_b32_e32 v9, s31, v6
	v_mul_lo_u32 v6, v9, s42
	s_delay_alu instid0(VALU_DEP_1) | instskip(NEXT) | instid1(VALU_DEP_1)
	v_sub_nc_u32_e32 v2, v2, v6
	v_mad_u64_u32 v[6:7], null, v2, s44, v[0:1]
	s_waitcnt vmcnt(0)
	v_mad_u64_u32 v[7:8], null, v2, s45, v[1:2]
	v_mov_b32_e32 v2, v9
	s_delay_alu instid0(VALU_DEP_2)
	v_dual_mov_b32 v0, v6 :: v_dual_mov_b32 v1, v7
	s_cbranch_scc1 .LBB161_817
.LBB161_818:
	s_and_not1_b32 vcc_lo, exec_lo, s33
	s_cbranch_vccnz .LBB161_821
; %bb.819:
	s_waitcnt lgkmcnt(0)
	v_mul_hi_u32 v0, s13, v5
	s_and_not1_b32 vcc_lo, exec_lo, s29
	s_delay_alu instid0(VALU_DEP_1) | instskip(NEXT) | instid1(VALU_DEP_1)
	v_add_nc_u32_e32 v0, v5, v0
	v_lshrrev_b32_e32 v2, s14, v0
	s_delay_alu instid0(VALU_DEP_1) | instskip(NEXT) | instid1(VALU_DEP_1)
	v_mul_lo_u32 v0, v2, s12
	v_sub_nc_u32_e32 v1, v5, v0
	s_delay_alu instid0(VALU_DEP_1)
	v_mul_lo_u32 v0, v1, s8
	v_mul_lo_u32 v1, v1, s9
	s_cbranch_vccnz .LBB161_821
; %bb.820:
	v_mul_hi_u32 v5, s18, v2
	s_delay_alu instid0(VALU_DEP_1) | instskip(NEXT) | instid1(VALU_DEP_1)
	v_add_nc_u32_e32 v5, v2, v5
	v_lshrrev_b32_e32 v5, s19, v5
	s_delay_alu instid0(VALU_DEP_1) | instskip(NEXT) | instid1(VALU_DEP_1)
	v_mul_lo_u32 v5, v5, s15
	v_sub_nc_u32_e32 v2, v2, v5
	s_delay_alu instid0(VALU_DEP_1) | instskip(SKIP_1) | instid1(VALU_DEP_1)
	v_mad_u64_u32 v[5:6], null, v2, s10, v[0:1]
	v_mad_u64_u32 v[6:7], null, v2, s11, v[1:2]
	v_dual_mov_b32 v0, v5 :: v_dual_mov_b32 v1, v6
.LBB161_821:
	v_cmp_gt_i16_e32 vcc_lo, 11, v4
	s_waitcnt lgkmcnt(0)
	s_delay_alu instid0(VALU_DEP_2) | instskip(NEXT) | instid1(VALU_DEP_1)
	v_add_co_u32 v1, s2, s6, v1
	v_add_co_ci_u32_e64 v2, null, s7, 0, s2
	s_mov_b32 s6, 0
	s_cbranch_vccnz .LBB161_828
; %bb.822:
	v_cmp_lt_i16_e32 vcc_lo, 25, v4
	s_mov_b32 s3, 0
	s_cbranch_vccz .LBB161_829
; %bb.823:
	v_cmp_lt_i16_e32 vcc_lo, 28, v4
	s_cbranch_vccz .LBB161_830
; %bb.824:
	v_cmp_lt_i16_e32 vcc_lo, 43, v4
	;; [unrolled: 3-line block ×3, first 2 shown]
	s_cbranch_vccz .LBB161_834
; %bb.826:
	v_cmp_eq_u16_e32 vcc_lo, 46, v4
	s_mov_b32 s7, 0
	s_cbranch_vccz .LBB161_837
; %bb.827:
	global_load_b32 v5, v[1:2], off
	s_mov_b32 s2, 0
	s_mov_b32 s6, -1
	s_waitcnt vmcnt(0)
	v_lshlrev_b32_e32 v5, 16, v5
	s_delay_alu instid0(VALU_DEP_1)
	v_cvt_f16_f32_e32 v6, v5
	s_branch .LBB161_839
.LBB161_828:
	s_mov_b32 s7, -1
	s_mov_b32 s3, 0
	s_mov_b32 s2, s22
                                        ; implicit-def: $vgpr6
	s_branch .LBB161_902
.LBB161_829:
	s_mov_b32 s7, -1
	s_mov_b32 s2, s22
                                        ; implicit-def: $vgpr6
	s_branch .LBB161_868
.LBB161_830:
	s_mov_b32 s7, -1
	s_mov_b32 s2, s22
                                        ; implicit-def: $vgpr6
	s_branch .LBB161_849
.LBB161_831:
	s_mov_b32 s7, -1
	s_mov_b32 s2, s22
                                        ; implicit-def: $vgpr6
	s_branch .LBB161_844
.LBB161_832:
	s_or_saveexec_b32 s42, s42
                                        ; implicit-def: $sgpr43
	s_delay_alu instid0(SALU_CYCLE_1)
	s_xor_b32 exec_lo, exec_lo, s42
	s_cbranch_execz .LBB161_755
.LBB161_833:
	v_add_f32_e64 v9, 0x46000000, |v8|
	s_and_not1_b32 s41, s41, exec_lo
	s_mov_b32 s43, 0
	s_delay_alu instid0(VALU_DEP_1) | instskip(NEXT) | instid1(VALU_DEP_1)
	v_and_b32_e32 v9, 0xff, v9
	v_cmp_ne_u32_e32 vcc_lo, 0, v9
	s_and_b32 s44, vcc_lo, exec_lo
	s_delay_alu instid0(SALU_CYCLE_1)
	s_or_b32 s41, s41, s44
	s_or_b32 exec_lo, exec_lo, s42
	v_mov_b32_e32 v10, s43
	s_and_saveexec_b32 s42, s41
	s_cbranch_execnz .LBB161_756
	s_branch .LBB161_757
.LBB161_834:
	s_mov_b32 s7, -1
	s_mov_b32 s2, s22
	s_branch .LBB161_838
.LBB161_835:
	s_or_saveexec_b32 s42, s42
                                        ; implicit-def: $sgpr43
	s_delay_alu instid0(SALU_CYCLE_1)
	s_xor_b32 exec_lo, exec_lo, s42
	s_cbranch_execz .LBB161_768
.LBB161_836:
	v_add_f32_e64 v9, 0x42800000, |v8|
	s_and_not1_b32 s41, s41, exec_lo
	s_mov_b32 s43, 0
	s_delay_alu instid0(VALU_DEP_1) | instskip(NEXT) | instid1(VALU_DEP_1)
	v_and_b32_e32 v9, 0xff, v9
	v_cmp_ne_u32_e32 vcc_lo, 0, v9
	s_and_b32 s44, vcc_lo, exec_lo
	s_delay_alu instid0(SALU_CYCLE_1)
	s_or_b32 s41, s41, s44
	s_or_b32 exec_lo, exec_lo, s42
	v_mov_b32_e32 v10, s43
	s_and_saveexec_b32 s42, s41
	s_cbranch_execnz .LBB161_769
	s_branch .LBB161_770
.LBB161_837:
	s_mov_b32 s2, -1
.LBB161_838:
                                        ; implicit-def: $vgpr6
.LBB161_839:
	s_and_b32 vcc_lo, exec_lo, s7
	s_cbranch_vccz .LBB161_843
; %bb.840:
	v_cmp_eq_u16_e32 vcc_lo, 44, v4
	s_cbranch_vccz .LBB161_842
; %bb.841:
	global_load_u8 v5, v[1:2], off
	s_mov_b32 s2, 0
	s_mov_b32 s6, -1
	s_waitcnt vmcnt(0)
	v_lshlrev_b32_e32 v6, 23, v5
	v_cmp_ne_u32_e32 vcc_lo, 0xff, v5
	s_delay_alu instid0(VALU_DEP_2) | instskip(NEXT) | instid1(VALU_DEP_1)
	v_cvt_f16_f32_e32 v6, v6
	v_cndmask_b32_e32 v6, 0x7e00, v6, vcc_lo
	v_cmp_ne_u32_e32 vcc_lo, 0, v5
	s_delay_alu instid0(VALU_DEP_2)
	v_cndmask_b32_e32 v6, 0, v6, vcc_lo
	s_branch .LBB161_843
.LBB161_842:
	s_mov_b32 s2, -1
                                        ; implicit-def: $vgpr6
.LBB161_843:
	s_mov_b32 s7, 0
.LBB161_844:
	s_delay_alu instid0(SALU_CYCLE_1)
	s_and_b32 vcc_lo, exec_lo, s7
	s_cbranch_vccz .LBB161_848
; %bb.845:
	v_cmp_eq_u16_e32 vcc_lo, 29, v4
	s_cbranch_vccz .LBB161_847
; %bb.846:
	global_load_b64 v[5:6], v[1:2], off
	s_mov_b32 s2, 0
	s_mov_b32 s6, -1
	s_mov_b32 s7, 0
	s_waitcnt vmcnt(0)
	v_clz_i32_u32_e32 v7, v6
	s_delay_alu instid0(VALU_DEP_1) | instskip(NEXT) | instid1(VALU_DEP_1)
	v_min_u32_e32 v7, 32, v7
	v_lshlrev_b64 v[5:6], v7, v[5:6]
	s_delay_alu instid0(VALU_DEP_1) | instskip(NEXT) | instid1(VALU_DEP_1)
	v_min_u32_e32 v5, 1, v5
	v_or_b32_e32 v5, v6, v5
	v_sub_nc_u32_e32 v6, 32, v7
	s_delay_alu instid0(VALU_DEP_2) | instskip(NEXT) | instid1(VALU_DEP_1)
	v_cvt_f32_u32_e32 v5, v5
	v_ldexp_f32 v5, v5, v6
	s_delay_alu instid0(VALU_DEP_1)
	v_cvt_f16_f32_e32 v6, v5
	s_branch .LBB161_849
.LBB161_847:
	s_mov_b32 s2, -1
                                        ; implicit-def: $vgpr6
.LBB161_848:
	s_mov_b32 s7, 0
.LBB161_849:
	s_delay_alu instid0(SALU_CYCLE_1)
	s_and_b32 vcc_lo, exec_lo, s7
	s_cbranch_vccz .LBB161_867
; %bb.850:
	v_cmp_gt_i16_e32 vcc_lo, 27, v4
	s_cbranch_vccnz .LBB161_853
; %bb.851:
	v_cmp_lt_i16_e32 vcc_lo, 27, v4
	s_cbranch_vccz .LBB161_854
; %bb.852:
	global_load_b32 v5, v[1:2], off
	s_mov_b32 s6, 0
	s_waitcnt vmcnt(0)
	v_cvt_f32_u32_e32 v5, v5
	s_delay_alu instid0(VALU_DEP_1)
	v_cvt_f16_f32_e32 v6, v5
	s_branch .LBB161_855
.LBB161_853:
	s_mov_b32 s6, -1
                                        ; implicit-def: $vgpr6
	s_branch .LBB161_858
.LBB161_854:
	s_mov_b32 s6, -1
                                        ; implicit-def: $vgpr6
.LBB161_855:
	s_delay_alu instid0(SALU_CYCLE_1)
	s_and_not1_b32 vcc_lo, exec_lo, s6
	s_cbranch_vccnz .LBB161_857
; %bb.856:
	global_load_u16 v5, v[1:2], off
	s_waitcnt vmcnt(0)
	v_cvt_f16_u16_e32 v6, v5
.LBB161_857:
	s_mov_b32 s6, 0
.LBB161_858:
	s_delay_alu instid0(SALU_CYCLE_1)
	s_and_not1_b32 vcc_lo, exec_lo, s6
	s_cbranch_vccnz .LBB161_866
; %bb.859:
	global_load_u8 v5, v[1:2], off
	s_mov_b32 s6, 0
	s_mov_b32 s8, exec_lo
                                        ; implicit-def: $sgpr7
	s_waitcnt vmcnt(0)
	v_cmpx_lt_i16_e32 0x7f, v5
	s_xor_b32 s8, exec_lo, s8
	s_cbranch_execz .LBB161_880
; %bb.860:
	s_mov_b32 s6, -1
	s_mov_b32 s9, exec_lo
                                        ; implicit-def: $sgpr7
	v_cmpx_eq_u16_e32 0x80, v5
; %bb.861:
	s_movk_i32 s7, 0x7e00
	s_xor_b32 s6, exec_lo, -1
; %bb.862:
	s_or_b32 exec_lo, exec_lo, s9
	s_delay_alu instid0(SALU_CYCLE_1)
	s_and_b32 s6, s6, exec_lo
	s_or_saveexec_b32 s8, s8
	v_mov_b32_e32 v6, s7
	s_xor_b32 exec_lo, exec_lo, s8
	s_cbranch_execnz .LBB161_881
.LBB161_863:
	s_or_b32 exec_lo, exec_lo, s8
	s_and_saveexec_b32 s7, s6
	s_cbranch_execz .LBB161_865
.LBB161_864:
	v_and_b32_e32 v6, 0xffff, v5
	v_lshlrev_b32_e32 v5, 24, v5
	s_delay_alu instid0(VALU_DEP_2) | instskip(NEXT) | instid1(VALU_DEP_2)
	v_and_b32_e32 v7, 7, v6
	v_and_b32_e32 v5, 0x80000000, v5
	s_delay_alu instid0(VALU_DEP_2) | instskip(NEXT) | instid1(VALU_DEP_1)
	v_clz_i32_u32_e32 v8, v7
	v_min_u32_e32 v8, 32, v8
	s_delay_alu instid0(VALU_DEP_1) | instskip(SKIP_1) | instid1(VALU_DEP_2)
	v_subrev_nc_u32_e32 v9, 28, v8
	v_sub_nc_u32_e32 v8, 29, v8
	v_lshlrev_b32_e32 v9, v9, v6
	v_bfe_u32 v6, v6, 3, 4
	s_delay_alu instid0(VALU_DEP_2) | instskip(NEXT) | instid1(VALU_DEP_2)
	v_and_b32_e32 v9, 7, v9
	v_cmp_eq_u32_e32 vcc_lo, 0, v6
	s_delay_alu instid0(VALU_DEP_2) | instskip(NEXT) | instid1(VALU_DEP_1)
	v_dual_cndmask_b32 v6, v6, v8 :: v_dual_cndmask_b32 v7, v7, v9
	v_lshl_add_u32 v6, v6, 23, 0x3b800000
	s_delay_alu instid0(VALU_DEP_2) | instskip(NEXT) | instid1(VALU_DEP_1)
	v_lshlrev_b32_e32 v7, 20, v7
	v_or3_b32 v5, v5, v6, v7
	s_delay_alu instid0(VALU_DEP_1)
	v_cvt_f16_f32_e32 v6, v5
.LBB161_865:
	s_or_b32 exec_lo, exec_lo, s7
.LBB161_866:
	s_mov_b32 s6, -1
.LBB161_867:
	s_mov_b32 s7, 0
.LBB161_868:
	s_delay_alu instid0(SALU_CYCLE_1)
	s_and_b32 vcc_lo, exec_lo, s7
	s_cbranch_vccz .LBB161_901
; %bb.869:
	v_cmp_lt_i16_e32 vcc_lo, 22, v4
	s_cbranch_vccz .LBB161_879
; %bb.870:
	v_cmp_gt_i16_e32 vcc_lo, 24, v4
	s_cbranch_vccnz .LBB161_882
; %bb.871:
	v_cmp_lt_i16_e32 vcc_lo, 24, v4
	s_cbranch_vccz .LBB161_883
; %bb.872:
	global_load_u8 v5, v[1:2], off
	s_mov_b32 s7, exec_lo
                                        ; implicit-def: $sgpr6
	s_waitcnt vmcnt(0)
	v_cmpx_lt_i16_e32 0x7f, v5
	s_xor_b32 s7, exec_lo, s7
	s_cbranch_execz .LBB161_895
; %bb.873:
	s_mov_b32 s3, -1
	s_mov_b32 s8, exec_lo
                                        ; implicit-def: $sgpr6
	v_cmpx_eq_u16_e32 0x80, v5
; %bb.874:
	s_movk_i32 s6, 0x7e00
	s_xor_b32 s3, exec_lo, -1
; %bb.875:
	s_or_b32 exec_lo, exec_lo, s8
	s_delay_alu instid0(SALU_CYCLE_1)
	s_and_b32 s3, s3, exec_lo
	s_or_saveexec_b32 s7, s7
	v_mov_b32_e32 v6, s6
	s_xor_b32 exec_lo, exec_lo, s7
	s_cbranch_execnz .LBB161_896
.LBB161_876:
	s_or_b32 exec_lo, exec_lo, s7
	s_and_saveexec_b32 s6, s3
	s_cbranch_execz .LBB161_878
.LBB161_877:
	v_and_b32_e32 v6, 0xffff, v5
	v_lshlrev_b32_e32 v5, 24, v5
	s_delay_alu instid0(VALU_DEP_2) | instskip(NEXT) | instid1(VALU_DEP_2)
	v_and_b32_e32 v7, 3, v6
	v_and_b32_e32 v5, 0x80000000, v5
	s_delay_alu instid0(VALU_DEP_2) | instskip(NEXT) | instid1(VALU_DEP_1)
	v_clz_i32_u32_e32 v8, v7
	v_min_u32_e32 v8, 32, v8
	s_delay_alu instid0(VALU_DEP_1) | instskip(SKIP_1) | instid1(VALU_DEP_2)
	v_subrev_nc_u32_e32 v9, 29, v8
	v_sub_nc_u32_e32 v8, 30, v8
	v_lshlrev_b32_e32 v9, v9, v6
	v_bfe_u32 v6, v6, 2, 5
	s_delay_alu instid0(VALU_DEP_2) | instskip(NEXT) | instid1(VALU_DEP_2)
	v_and_b32_e32 v9, 3, v9
	v_cmp_eq_u32_e32 vcc_lo, 0, v6
	s_delay_alu instid0(VALU_DEP_2) | instskip(NEXT) | instid1(VALU_DEP_1)
	v_dual_cndmask_b32 v6, v6, v8 :: v_dual_cndmask_b32 v7, v7, v9
	v_lshl_add_u32 v6, v6, 23, 0x37800000
	s_delay_alu instid0(VALU_DEP_2) | instskip(NEXT) | instid1(VALU_DEP_1)
	v_lshlrev_b32_e32 v7, 21, v7
	v_or3_b32 v5, v5, v6, v7
	s_delay_alu instid0(VALU_DEP_1)
	v_cvt_f16_f32_e32 v6, v5
.LBB161_878:
	s_or_b32 exec_lo, exec_lo, s6
	s_mov_b32 s3, 0
	s_branch .LBB161_884
.LBB161_879:
	s_mov_b32 s3, -1
                                        ; implicit-def: $vgpr6
	s_branch .LBB161_890
.LBB161_880:
	s_or_saveexec_b32 s8, s8
	v_mov_b32_e32 v6, s7
	s_xor_b32 exec_lo, exec_lo, s8
	s_cbranch_execz .LBB161_863
.LBB161_881:
	v_cmp_ne_u16_e32 vcc_lo, 0, v5
	v_mov_b32_e32 v6, v5
	s_and_not1_b32 s6, s6, exec_lo
	s_and_b32 s7, vcc_lo, exec_lo
	s_delay_alu instid0(SALU_CYCLE_1)
	s_or_b32 s6, s6, s7
	s_or_b32 exec_lo, exec_lo, s8
	s_and_saveexec_b32 s7, s6
	s_cbranch_execnz .LBB161_864
	s_branch .LBB161_865
.LBB161_882:
	s_mov_b32 s3, -1
                                        ; implicit-def: $vgpr6
	s_branch .LBB161_887
.LBB161_883:
	s_mov_b32 s3, -1
                                        ; implicit-def: $vgpr6
.LBB161_884:
	s_delay_alu instid0(SALU_CYCLE_1)
	s_and_b32 vcc_lo, exec_lo, s3
	s_cbranch_vccz .LBB161_886
; %bb.885:
	global_load_u8 v5, v[1:2], off
	s_waitcnt vmcnt(0)
	v_lshlrev_b32_e32 v5, 24, v5
	s_delay_alu instid0(VALU_DEP_1) | instskip(NEXT) | instid1(VALU_DEP_1)
	v_and_b32_e32 v6, 0x7f000000, v5
	v_clz_i32_u32_e32 v7, v6
	v_add_nc_u32_e32 v9, 0x1000000, v6
	v_cmp_ne_u32_e32 vcc_lo, 0, v6
	s_delay_alu instid0(VALU_DEP_3) | instskip(NEXT) | instid1(VALU_DEP_1)
	v_min_u32_e32 v7, 32, v7
	v_sub_nc_u32_e64 v7, v7, 4 clamp
	s_delay_alu instid0(VALU_DEP_1) | instskip(SKIP_1) | instid1(VALU_DEP_2)
	v_lshlrev_b32_e32 v8, v7, v6
	v_lshlrev_b32_e32 v7, 23, v7
	v_lshrrev_b32_e32 v8, 4, v8
	s_delay_alu instid0(VALU_DEP_1) | instskip(SKIP_1) | instid1(VALU_DEP_2)
	v_sub_nc_u32_e32 v7, v8, v7
	v_ashrrev_i32_e32 v8, 8, v9
	v_add_nc_u32_e32 v7, 0x3c000000, v7
	s_delay_alu instid0(VALU_DEP_1) | instskip(NEXT) | instid1(VALU_DEP_1)
	v_and_or_b32 v7, 0x7f800000, v8, v7
	v_cndmask_b32_e32 v6, 0, v7, vcc_lo
	s_delay_alu instid0(VALU_DEP_1) | instskip(NEXT) | instid1(VALU_DEP_1)
	v_and_or_b32 v5, 0x80000000, v5, v6
	v_cvt_f16_f32_e32 v6, v5
.LBB161_886:
	s_mov_b32 s3, 0
.LBB161_887:
	s_delay_alu instid0(SALU_CYCLE_1)
	s_and_not1_b32 vcc_lo, exec_lo, s3
	s_cbranch_vccnz .LBB161_889
; %bb.888:
	global_load_u8 v5, v[1:2], off
	s_waitcnt vmcnt(0)
	v_lshlrev_b32_e32 v6, 25, v5
	v_lshlrev_b16 v5, 8, v5
	s_delay_alu instid0(VALU_DEP_2) | instskip(NEXT) | instid1(VALU_DEP_2)
	v_lshrrev_b32_e32 v7, 4, v6
	v_and_or_b32 v8, 0x7f00, v5, 0.5
	v_bfe_i32 v5, v5, 0, 16
	s_delay_alu instid0(VALU_DEP_3) | instskip(NEXT) | instid1(VALU_DEP_1)
	v_or_b32_e32 v7, 0x70000000, v7
	v_dual_add_f32 v8, -0.5, v8 :: v_dual_mul_f32 v7, 0x7800000, v7
	v_cmp_gt_u32_e32 vcc_lo, 0x8000000, v6
	s_delay_alu instid0(VALU_DEP_2) | instskip(NEXT) | instid1(VALU_DEP_1)
	v_cndmask_b32_e32 v6, v7, v8, vcc_lo
	v_and_or_b32 v5, 0x80000000, v5, v6
	s_delay_alu instid0(VALU_DEP_1)
	v_cvt_f16_f32_e32 v6, v5
.LBB161_889:
	s_mov_b32 s3, 0
	s_mov_b32 s6, -1
.LBB161_890:
	s_and_not1_b32 vcc_lo, exec_lo, s3
	s_mov_b32 s3, 0
	s_cbranch_vccnz .LBB161_901
; %bb.891:
	v_cmp_lt_i16_e32 vcc_lo, 14, v4
	s_cbranch_vccz .LBB161_894
; %bb.892:
	v_cmp_eq_u16_e32 vcc_lo, 15, v4
	s_cbranch_vccz .LBB161_897
; %bb.893:
	global_load_u16 v5, v[1:2], off
	s_mov_b32 s2, 0
	s_mov_b32 s6, -1
	s_waitcnt vmcnt(0)
	v_lshlrev_b32_e32 v5, 16, v5
	s_delay_alu instid0(VALU_DEP_1)
	v_cvt_f16_f32_e32 v6, v5
	s_branch .LBB161_899
.LBB161_894:
	s_mov_b32 s3, -1
	s_branch .LBB161_898
.LBB161_895:
	s_or_saveexec_b32 s7, s7
	v_mov_b32_e32 v6, s6
	s_xor_b32 exec_lo, exec_lo, s7
	s_cbranch_execz .LBB161_876
.LBB161_896:
	v_cmp_ne_u16_e32 vcc_lo, 0, v5
	v_mov_b32_e32 v6, v5
	s_and_not1_b32 s3, s3, exec_lo
	s_and_b32 s6, vcc_lo, exec_lo
	s_delay_alu instid0(SALU_CYCLE_1)
	s_or_b32 s3, s3, s6
	s_or_b32 exec_lo, exec_lo, s7
	s_and_saveexec_b32 s6, s3
	s_cbranch_execnz .LBB161_877
	s_branch .LBB161_878
.LBB161_897:
	s_mov_b32 s2, -1
.LBB161_898:
                                        ; implicit-def: $vgpr6
.LBB161_899:
	s_and_b32 vcc_lo, exec_lo, s3
	s_mov_b32 s3, 0
	s_cbranch_vccz .LBB161_901
; %bb.900:
	v_cmp_ne_u16_e32 vcc_lo, 11, v4
	s_and_not1_b32 s2, s2, exec_lo
	s_mov_b32 s3, -1
                                        ; implicit-def: $vgpr6
	s_and_b32 s7, vcc_lo, exec_lo
	s_delay_alu instid0(SALU_CYCLE_1)
	s_or_b32 s2, s2, s7
.LBB161_901:
	s_mov_b32 s7, 0
.LBB161_902:
	s_and_b32 s41, s6, exec_lo
	s_and_b32 s42, s7, exec_lo
	s_and_not1_b32 s6, s22, exec_lo
	s_and_b32 s7, s2, exec_lo
	s_and_b32 s2, s3, exec_lo
	s_or_b32 s43, s6, s7
.LBB161_903:
	s_or_b32 exec_lo, exec_lo, s30
	s_waitcnt lgkmcnt(0)
	s_and_not1_b32 s6, s22, exec_lo
	s_and_b32 s7, s43, exec_lo
	s_and_b32 s41, s41, exec_lo
	;; [unrolled: 1-line block ×4, first 2 shown]
	s_or_b32 s22, s6, s7
.LBB161_904:
	s_or_b32 exec_lo, exec_lo, s40
	s_waitcnt lgkmcnt(0)
	s_and_not1_b32 s6, s38, exec_lo
	s_and_b32 s7, s23, exec_lo
	s_and_b32 s40, s41, exec_lo
	s_or_b32 s38, s6, s7
	s_and_not1_b32 s6, s37, exec_lo
	s_and_b32 s7, s22, exec_lo
	s_and_b32 s23, s3, exec_lo
	;; [unrolled: 1-line block ×3, first 2 shown]
	s_or_b32 s37, s6, s7
.LBB161_905:
	s_or_b32 exec_lo, exec_lo, s39
	s_delay_alu instid0(SALU_CYCLE_1)
	s_and_not1_b32 s2, s34, exec_lo
	s_waitcnt lgkmcnt(0)
	s_and_b32 s6, s38, exec_lo
	s_and_b32 s7, s37, exec_lo
	s_or_b32 s34, s2, s6
	s_and_not1_b32 s6, s35, exec_lo
	s_and_b32 s2, s40, exec_lo
	s_and_b32 s22, s23, exec_lo
	;; [unrolled: 1-line block ×3, first 2 shown]
	s_or_b32 s35, s6, s7
.LBB161_906:
	s_or_b32 exec_lo, exec_lo, s36
	s_waitcnt lgkmcnt(0)
	s_mov_b32 s6, 0
	s_and_saveexec_b32 s3, s35
	s_cbranch_execnz .LBB161_918
; %bb.907:
	s_or_b32 exec_lo, exec_lo, s3
	s_and_saveexec_b32 s3, s37
	s_delay_alu instid0(SALU_CYCLE_1)
	s_xor_b32 s3, exec_lo, s3
	s_cbranch_execz .LBB161_909
.LBB161_908:
	global_load_u8 v5, v[1:2], off
	s_or_b32 s2, s2, exec_lo
	s_waitcnt vmcnt(0)
	v_cmp_ne_u16_e32 vcc_lo, 0, v5
	v_cndmask_b32_e64 v6, 0, 0x3c00, vcc_lo
.LBB161_909:
	s_or_b32 exec_lo, exec_lo, s3
	s_and_saveexec_b32 s3, s22
	s_cbranch_execz .LBB161_957
; %bb.910:
	v_cmp_gt_i16_e32 vcc_lo, 5, v4
	s_cbranch_vccnz .LBB161_915
; %bb.911:
	v_cmp_gt_i16_e32 vcc_lo, 8, v4
	s_cbranch_vccnz .LBB161_916
	;; [unrolled: 3-line block ×3, first 2 shown]
; %bb.913:
	v_cmp_lt_i16_e32 vcc_lo, 9, v4
	s_cbranch_vccz .LBB161_920
; %bb.914:
	global_load_b64 v[5:6], v[1:2], off
	s_mov_b32 s7, 0
	s_waitcnt vmcnt(0)
	v_cvt_f32_f64_e32 v5, v[5:6]
	s_delay_alu instid0(VALU_DEP_1)
	v_cvt_f16_f32_e32 v6, v5
	s_branch .LBB161_921
.LBB161_915:
                                        ; implicit-def: $vgpr6
	s_branch .LBB161_938
.LBB161_916:
                                        ; implicit-def: $vgpr6
	s_branch .LBB161_927
.LBB161_917:
	s_mov_b32 s7, -1
                                        ; implicit-def: $vgpr6
	s_branch .LBB161_924
.LBB161_918:
	s_cbranch_execnz .LBB161_1188
; %bb.919:
	s_mov_b32 s6, exec_lo
	s_and_not1_b32 s37, s37, exec_lo
                                        ; implicit-def: $vgpr6
	s_or_b32 exec_lo, exec_lo, s3
	s_and_saveexec_b32 s3, s37
	s_delay_alu instid0(SALU_CYCLE_1)
	s_xor_b32 s3, exec_lo, s3
	s_cbranch_execnz .LBB161_908
	s_branch .LBB161_909
.LBB161_920:
	s_mov_b32 s7, -1
                                        ; implicit-def: $vgpr6
.LBB161_921:
	s_delay_alu instid0(SALU_CYCLE_1)
	s_and_not1_b32 vcc_lo, exec_lo, s7
	s_cbranch_vccnz .LBB161_923
; %bb.922:
	global_load_b32 v5, v[1:2], off
	s_waitcnt vmcnt(0)
	v_cvt_f16_f32_e32 v6, v5
.LBB161_923:
	s_mov_b32 s7, 0
.LBB161_924:
	s_delay_alu instid0(SALU_CYCLE_1)
	s_and_not1_b32 vcc_lo, exec_lo, s7
	s_cbranch_vccnz .LBB161_926
; %bb.925:
	global_load_b32 v6, v[1:2], off
.LBB161_926:
	s_cbranch_execnz .LBB161_937
.LBB161_927:
	v_cmp_gt_i16_e32 vcc_lo, 6, v4
	s_cbranch_vccnz .LBB161_930
; %bb.928:
	v_cmp_lt_i16_e32 vcc_lo, 6, v4
	s_cbranch_vccz .LBB161_931
; %bb.929:
	global_load_b64 v[5:6], v[1:2], off
	s_mov_b32 s7, 0
	s_waitcnt vmcnt(0)
	v_cvt_f32_f64_e32 v5, v[5:6]
	s_delay_alu instid0(VALU_DEP_1)
	v_cvt_f16_f32_e32 v6, v5
	s_branch .LBB161_932
.LBB161_930:
	s_mov_b32 s7, -1
                                        ; implicit-def: $vgpr6
	s_branch .LBB161_935
.LBB161_931:
	s_mov_b32 s7, -1
                                        ; implicit-def: $vgpr6
.LBB161_932:
	s_delay_alu instid0(SALU_CYCLE_1)
	s_and_not1_b32 vcc_lo, exec_lo, s7
	s_cbranch_vccnz .LBB161_934
; %bb.933:
	global_load_b32 v5, v[1:2], off
	s_waitcnt vmcnt(0)
	v_cvt_f16_f32_e32 v6, v5
.LBB161_934:
	s_mov_b32 s7, 0
.LBB161_935:
	s_delay_alu instid0(SALU_CYCLE_1)
	s_and_not1_b32 vcc_lo, exec_lo, s7
	s_cbranch_vccnz .LBB161_937
; %bb.936:
	global_load_u16 v6, v[1:2], off
.LBB161_937:
	s_cbranch_execnz .LBB161_956
.LBB161_938:
	v_cmp_gt_i16_e32 vcc_lo, 2, v4
	s_cbranch_vccnz .LBB161_942
; %bb.939:
	v_cmp_gt_i16_e32 vcc_lo, 3, v4
	s_cbranch_vccnz .LBB161_943
; %bb.940:
	v_cmp_lt_i16_e32 vcc_lo, 3, v4
	s_cbranch_vccz .LBB161_944
; %bb.941:
	global_load_b64 v[5:6], v[1:2], off
	s_mov_b32 s7, 0
	s_waitcnt vmcnt(0)
	v_xor_b32_e32 v7, v5, v6
	v_cls_i32_e32 v8, v6
	s_delay_alu instid0(VALU_DEP_2) | instskip(NEXT) | instid1(VALU_DEP_2)
	v_ashrrev_i32_e32 v7, 31, v7
	v_add_nc_u32_e32 v8, -1, v8
	s_delay_alu instid0(VALU_DEP_2) | instskip(NEXT) | instid1(VALU_DEP_1)
	v_add_nc_u32_e32 v7, 32, v7
	v_min_u32_e32 v7, v8, v7
	s_delay_alu instid0(VALU_DEP_1) | instskip(NEXT) | instid1(VALU_DEP_1)
	v_lshlrev_b64 v[5:6], v7, v[5:6]
	v_min_u32_e32 v5, 1, v5
	s_delay_alu instid0(VALU_DEP_1) | instskip(SKIP_1) | instid1(VALU_DEP_2)
	v_or_b32_e32 v5, v6, v5
	v_sub_nc_u32_e32 v6, 32, v7
	v_cvt_f32_i32_e32 v5, v5
	s_delay_alu instid0(VALU_DEP_1) | instskip(NEXT) | instid1(VALU_DEP_1)
	v_ldexp_f32 v5, v5, v6
	v_cvt_f16_f32_e32 v6, v5
	s_branch .LBB161_945
.LBB161_942:
                                        ; implicit-def: $vgpr6
	s_branch .LBB161_951
.LBB161_943:
	s_mov_b32 s7, -1
                                        ; implicit-def: $vgpr6
	s_branch .LBB161_948
.LBB161_944:
	s_mov_b32 s7, -1
                                        ; implicit-def: $vgpr6
.LBB161_945:
	s_delay_alu instid0(SALU_CYCLE_1)
	s_and_not1_b32 vcc_lo, exec_lo, s7
	s_cbranch_vccnz .LBB161_947
; %bb.946:
	global_load_b32 v5, v[1:2], off
	s_waitcnt vmcnt(0)
	v_cvt_f32_i32_e32 v5, v5
	s_delay_alu instid0(VALU_DEP_1)
	v_cvt_f16_f32_e32 v6, v5
.LBB161_947:
	s_mov_b32 s7, 0
.LBB161_948:
	s_delay_alu instid0(SALU_CYCLE_1)
	s_and_not1_b32 vcc_lo, exec_lo, s7
	s_cbranch_vccnz .LBB161_950
; %bb.949:
	global_load_u16 v5, v[1:2], off
	s_waitcnt vmcnt(0)
	v_cvt_f16_i16_e32 v6, v5
.LBB161_950:
	s_cbranch_execnz .LBB161_956
.LBB161_951:
	v_cmp_lt_i16_e32 vcc_lo, 0, v4
	s_mov_b32 s7, 0
	s_cbranch_vccz .LBB161_953
; %bb.952:
	global_load_i8 v4, v[1:2], off
	s_waitcnt vmcnt(0)
	v_cvt_f16_i16_e32 v6, v4
	s_branch .LBB161_954
.LBB161_953:
	s_mov_b32 s7, -1
                                        ; implicit-def: $vgpr6
.LBB161_954:
	s_delay_alu instid0(SALU_CYCLE_1)
	s_and_not1_b32 vcc_lo, exec_lo, s7
	s_cbranch_vccnz .LBB161_956
; %bb.955:
	global_load_u8 v1, v[1:2], off
	s_waitcnt vmcnt(0)
	v_cvt_f16_u16_e32 v6, v1
.LBB161_956:
	s_or_b32 s2, s2, exec_lo
.LBB161_957:
	s_or_b32 exec_lo, exec_lo, s3
	s_mov_b32 s3, 0
	s_mov_b32 s8, 0
                                        ; implicit-def: $sgpr9
                                        ; implicit-def: $vgpr5
                                        ; implicit-def: $vgpr1_vgpr2
                                        ; implicit-def: $vgpr4
                                        ; implicit-def: $vgpr7
	s_and_saveexec_b32 s7, s2
	s_cbranch_execz .LBB161_1034
; %bb.958:
	s_waitcnt vmcnt(0)
	v_cvt_f32_f16_e32 v1, v6
	s_mov_b32 s2, 0xbf317218
	s_mov_b32 s10, 0
	;; [unrolled: 1-line block ×3, first 2 shown]
	s_delay_alu instid0(VALU_DEP_1) | instskip(NEXT) | instid1(VALU_DEP_1)
	v_mul_f32_e32 v2, 0x3fb8aa3b, v1
	v_rndne_f32_e32 v2, v2
	s_delay_alu instid0(VALU_DEP_1) | instskip(SKIP_3) | instid1(VALU_DEP_3)
	v_fma_mix_f32 v4, v2, s2, v6 op_sel_hi:[0,0,1]
	v_cvt_i32_f32_e32 v7, v2
	v_cmp_eq_f32_e32 vcc_lo, 0x43000000, v2
	s_mov_b32 s2, 0x395133b1
	v_fmamk_f32 v4, v2, 0x3102e308, v4
	s_delay_alu instid0(VALU_DEP_3) | instskip(NEXT) | instid1(VALU_DEP_1)
	v_cndmask_b32_e64 v2, v7, 0x7f, vcc_lo
	v_ldexp_f32 v2, 1.0, v2
	s_delay_alu instid0(VALU_DEP_1) | instskip(NEXT) | instid1(VALU_DEP_4)
	v_add_f32_e32 v7, -1.0, v2
	v_fmaak_f32 v5, s2, v4, 0x3ab69700
	s_delay_alu instid0(VALU_DEP_1) | instskip(NEXT) | instid1(VALU_DEP_1)
	v_fmaak_f32 v5, v4, v5, 0x3c0887f9
	v_fmaak_f32 v5, v4, v5, 0x3d2aaa81
	s_delay_alu instid0(VALU_DEP_1) | instskip(NEXT) | instid1(VALU_DEP_1)
	v_fmaak_f32 v5, v4, v5, 0x3e2aaaab
	v_fma_f32 v5, v4, v5, 0.5
	s_delay_alu instid0(VALU_DEP_1) | instskip(NEXT) | instid1(VALU_DEP_1)
	v_mul_f32_e32 v5, v4, v5
	v_dual_fmac_f32 v4, v4, v5 :: v_dual_and_b32 v5, 0xff, v3
	s_delay_alu instid0(VALU_DEP_1) | instskip(NEXT) | instid1(VALU_DEP_1)
	v_fmac_f32_e32 v7, v2, v4
	v_add_f32_e32 v2, v7, v7
	s_delay_alu instid0(VALU_DEP_1) | instskip(SKIP_1) | instid1(VALU_DEP_2)
	v_cndmask_b32_e32 v2, v7, v2, vcc_lo
	v_cmp_nlt_f32_e32 vcc_lo, 0x42b17217, v1
	v_cndmask_b32_e32 v1, 0x7f800000, v2, vcc_lo
	v_cmp_gt_i16_e32 vcc_lo, 11, v5
	s_delay_alu instid0(VALU_DEP_2) | instskip(SKIP_1) | instid1(VALU_DEP_1)
	v_cvt_f16_f32_e32 v7, v1
	v_add_co_u32 v1, s2, s4, v0
	v_add_co_ci_u32_e64 v2, null, s5, 0, s2
	v_cmp_gt_f16_e64 s2, 0xcc40, v6
	s_mov_b32 s4, -1
	s_delay_alu instid0(VALU_DEP_1)
	v_cndmask_b32_e64 v4, v7, 0xbc00, s2
	s_cbranch_vccnz .LBB161_1033
; %bb.959:
	v_cmp_lt_i16_e32 vcc_lo, 25, v5
	s_mov_b32 s3, s34
	s_cbranch_vccz .LBB161_992
; %bb.960:
	v_cmp_lt_i16_e32 vcc_lo, 28, v5
	s_mov_b32 s3, s34
	s_cbranch_vccz .LBB161_976
	;; [unrolled: 4-line block ×4, first 2 shown]
; %bb.963:
	v_cmp_eq_u16_e32 vcc_lo, 46, v5
	s_mov_b32 s3, -1
	s_cbranch_vccz .LBB161_965
; %bb.964:
	v_cvt_f32_f16_e32 v0, v4
	v_cmp_o_f16_e32 vcc_lo, v4, v4
	s_mov_b32 s3, 0
	s_delay_alu instid0(VALU_DEP_2) | instskip(NEXT) | instid1(VALU_DEP_1)
	v_bfe_u32 v3, v0, 16, 1
	v_add3_u32 v0, v0, v3, 0x7fff
	s_delay_alu instid0(VALU_DEP_1) | instskip(NEXT) | instid1(VALU_DEP_1)
	v_lshrrev_b32_e32 v0, 16, v0
	v_cndmask_b32_e32 v0, 0x7fc0, v0, vcc_lo
	global_store_b32 v[1:2], v0, off
.LBB161_965:
	s_mov_b32 s4, 0
.LBB161_966:
	s_delay_alu instid0(SALU_CYCLE_1)
	s_and_b32 vcc_lo, exec_lo, s4
	s_cbranch_vccz .LBB161_971
; %bb.967:
	v_cmp_eq_u16_e32 vcc_lo, 44, v5
	s_mov_b32 s3, -1
	s_cbranch_vccz .LBB161_971
; %bb.968:
	v_cvt_f32_f16_e32 v0, v4
	v_mov_b32_e32 v3, 0xff
	s_mov_b32 s4, exec_lo
	s_delay_alu instid0(VALU_DEP_2) | instskip(NEXT) | instid1(VALU_DEP_1)
	v_bfe_u32 v6, v0, 23, 8
	v_cmpx_ne_u32_e32 0xff, v6
; %bb.969:
	v_and_b32_e32 v3, 0x400000, v0
	v_and_or_b32 v6, 0x3fffff, v0, v6
	v_lshrrev_b32_e32 v0, 23, v0
	s_delay_alu instid0(VALU_DEP_3) | instskip(NEXT) | instid1(VALU_DEP_3)
	v_cmp_ne_u32_e32 vcc_lo, 0, v3
	v_cmp_ne_u32_e64 s3, 0, v6
	s_delay_alu instid0(VALU_DEP_1) | instskip(NEXT) | instid1(SALU_CYCLE_1)
	s_and_b32 s3, vcc_lo, s3
	v_cndmask_b32_e64 v3, 0, 1, s3
	s_delay_alu instid0(VALU_DEP_1)
	v_add_nc_u32_e32 v3, v0, v3
; %bb.970:
	s_or_b32 exec_lo, exec_lo, s4
	s_mov_b32 s3, 0
	global_store_b8 v[1:2], v3, off
.LBB161_971:
	s_mov_b32 s4, 0
.LBB161_972:
	s_delay_alu instid0(SALU_CYCLE_1)
	s_and_b32 vcc_lo, exec_lo, s4
	s_cbranch_vccz .LBB161_975
; %bb.973:
	v_cmp_eq_u16_e32 vcc_lo, 29, v5
	s_mov_b32 s3, -1
	s_cbranch_vccz .LBB161_975
; %bb.974:
	v_cvt_f32_f16_e32 v0, v4
	v_mov_b32_e32 v9, 0
	s_mov_b32 s3, 0
	s_delay_alu instid0(VALU_DEP_2)
	v_cvt_u32_f32_e32 v8, v0
	global_store_b64 v[1:2], v[8:9], off
.LBB161_975:
	s_mov_b32 s4, 0
.LBB161_976:
	s_delay_alu instid0(SALU_CYCLE_1)
	s_and_b32 vcc_lo, exec_lo, s4
	s_cbranch_vccz .LBB161_991
; %bb.977:
	v_cmp_gt_i16_e32 vcc_lo, 27, v5
	s_mov_b32 s4, -1
	s_cbranch_vccnz .LBB161_983
; %bb.978:
	v_cmp_lt_i16_e32 vcc_lo, 27, v5
	s_cbranch_vccz .LBB161_980
; %bb.979:
	v_cvt_f32_f16_e32 v0, v4
	s_mov_b32 s4, 0
	s_delay_alu instid0(VALU_DEP_1)
	v_cvt_u32_f32_e32 v0, v0
	global_store_b32 v[1:2], v0, off
.LBB161_980:
	s_and_not1_b32 vcc_lo, exec_lo, s4
	s_cbranch_vccnz .LBB161_982
; %bb.981:
	v_cvt_u16_f16_e32 v0, v4
	global_store_b16 v[1:2], v0, off
.LBB161_982:
	s_mov_b32 s4, 0
.LBB161_983:
	s_delay_alu instid0(SALU_CYCLE_1)
	s_and_not1_b32 vcc_lo, exec_lo, s4
	s_cbranch_vccnz .LBB161_991
; %bb.984:
	v_cvt_f32_f16_e32 v0, v4
	v_mov_b32_e32 v6, 0x80
	s_mov_b32 s4, exec_lo
	s_delay_alu instid0(VALU_DEP_2) | instskip(NEXT) | instid1(VALU_DEP_1)
	v_and_b32_e32 v3, 0x7fffffff, v0
	v_cmpx_gt_u32_e32 0x43800000, v3
	s_cbranch_execz .LBB161_990
; %bb.985:
	v_cmp_lt_u32_e32 vcc_lo, 0x3bffffff, v3
	s_mov_b32 s5, 0
                                        ; implicit-def: $vgpr3
	s_and_saveexec_b32 s8, vcc_lo
	s_delay_alu instid0(SALU_CYCLE_1)
	s_xor_b32 s8, exec_lo, s8
	s_cbranch_execz .LBB161_1279
; %bb.986:
	v_bfe_u32 v3, v0, 20, 1
	s_mov_b32 s5, exec_lo
	s_delay_alu instid0(VALU_DEP_1) | instskip(NEXT) | instid1(VALU_DEP_1)
	v_add3_u32 v3, v0, v3, 0x487ffff
	v_lshrrev_b32_e32 v3, 20, v3
	s_or_saveexec_b32 s8, s8
                                        ; implicit-def: $sgpr9
	s_delay_alu instid0(SALU_CYCLE_1)
	s_xor_b32 exec_lo, exec_lo, s8
	s_cbranch_execnz .LBB161_1280
.LBB161_987:
	s_or_b32 exec_lo, exec_lo, s8
	v_mov_b32_e32 v6, s9
	s_and_saveexec_b32 s8, s5
.LBB161_988:
	v_lshrrev_b32_e32 v0, 24, v0
	s_delay_alu instid0(VALU_DEP_1)
	v_and_or_b32 v6, 0x80, v0, v3
.LBB161_989:
	s_or_b32 exec_lo, exec_lo, s8
.LBB161_990:
	s_delay_alu instid0(SALU_CYCLE_1)
	s_or_b32 exec_lo, exec_lo, s4
	global_store_b8 v[1:2], v6, off
.LBB161_991:
	s_mov_b32 s4, 0
.LBB161_992:
	s_delay_alu instid0(SALU_CYCLE_1)
	s_and_b32 vcc_lo, exec_lo, s4
	s_mov_b32 s4, 0
	s_cbranch_vccz .LBB161_1032
; %bb.993:
	v_cmp_lt_i16_e32 vcc_lo, 22, v5
	s_mov_b32 s5, -1
	s_cbranch_vccz .LBB161_1025
; %bb.994:
	v_cmp_gt_i16_e32 vcc_lo, 24, v5
	s_cbranch_vccnz .LBB161_1014
; %bb.995:
	v_cmp_lt_i16_e32 vcc_lo, 24, v5
	s_cbranch_vccz .LBB161_1003
; %bb.996:
	v_cvt_f32_f16_e32 v0, v4
	v_mov_b32_e32 v6, 0x80
	s_mov_b32 s5, exec_lo
	s_delay_alu instid0(VALU_DEP_2) | instskip(NEXT) | instid1(VALU_DEP_1)
	v_and_b32_e32 v3, 0x7fffffff, v0
	v_cmpx_gt_u32_e32 0x47800000, v3
	s_cbranch_execz .LBB161_1002
; %bb.997:
	v_cmp_lt_u32_e32 vcc_lo, 0x37ffffff, v3
	s_mov_b32 s8, 0
                                        ; implicit-def: $vgpr3
	s_and_saveexec_b32 s9, vcc_lo
	s_delay_alu instid0(SALU_CYCLE_1)
	s_xor_b32 s9, exec_lo, s9
	s_cbranch_execz .LBB161_1323
; %bb.998:
	v_bfe_u32 v3, v0, 21, 1
	s_mov_b32 s8, exec_lo
	s_delay_alu instid0(VALU_DEP_1) | instskip(NEXT) | instid1(VALU_DEP_1)
	v_add3_u32 v3, v0, v3, 0x88fffff
	v_lshrrev_b32_e32 v3, 21, v3
	s_or_saveexec_b32 s9, s9
                                        ; implicit-def: $sgpr10
	s_delay_alu instid0(SALU_CYCLE_1)
	s_xor_b32 exec_lo, exec_lo, s9
	s_cbranch_execnz .LBB161_1324
.LBB161_999:
	s_or_b32 exec_lo, exec_lo, s9
	v_mov_b32_e32 v6, s10
	s_and_saveexec_b32 s9, s8
.LBB161_1000:
	v_lshrrev_b32_e32 v0, 24, v0
	s_delay_alu instid0(VALU_DEP_1)
	v_and_or_b32 v6, 0x80, v0, v3
.LBB161_1001:
	s_or_b32 exec_lo, exec_lo, s9
.LBB161_1002:
	s_delay_alu instid0(SALU_CYCLE_1)
	s_or_b32 exec_lo, exec_lo, s5
	s_mov_b32 s5, 0
	global_store_b8 v[1:2], v6, off
.LBB161_1003:
	s_and_b32 vcc_lo, exec_lo, s5
	s_cbranch_vccz .LBB161_1013
; %bb.1004:
	v_cvt_f32_f16_e32 v0, v4
	s_mov_b32 s5, exec_lo
                                        ; implicit-def: $vgpr3
	s_delay_alu instid0(VALU_DEP_1) | instskip(NEXT) | instid1(VALU_DEP_1)
	v_and_b32_e32 v6, 0x7fffffff, v0
	v_cmpx_gt_u32_e32 0x43f00000, v6
	s_xor_b32 s5, exec_lo, s5
	s_cbranch_execz .LBB161_1010
; %bb.1005:
	s_mov_b32 s8, exec_lo
                                        ; implicit-def: $vgpr3
	v_cmpx_lt_u32_e32 0x3c7fffff, v6
	s_xor_b32 s8, exec_lo, s8
; %bb.1006:
	v_bfe_u32 v3, v0, 20, 1
	s_delay_alu instid0(VALU_DEP_1) | instskip(NEXT) | instid1(VALU_DEP_1)
	v_add3_u32 v3, v0, v3, 0x407ffff
	v_and_b32_e32 v6, 0xff00000, v3
	v_lshrrev_b32_e32 v3, 20, v3
	s_delay_alu instid0(VALU_DEP_2) | instskip(NEXT) | instid1(VALU_DEP_2)
	v_cmp_ne_u32_e32 vcc_lo, 0x7f00000, v6
	v_cndmask_b32_e32 v3, 0x7e, v3, vcc_lo
; %bb.1007:
	s_and_not1_saveexec_b32 s8, s8
; %bb.1008:
	v_add_f32_e64 v3, 0x46800000, |v0|
; %bb.1009:
	s_or_b32 exec_lo, exec_lo, s8
                                        ; implicit-def: $vgpr6
.LBB161_1010:
	s_and_not1_saveexec_b32 s5, s5
; %bb.1011:
	v_mov_b32_e32 v3, 0x7f
	v_cmp_lt_u32_e32 vcc_lo, 0x7f800000, v6
	s_delay_alu instid0(VALU_DEP_2)
	v_cndmask_b32_e32 v3, 0x7e, v3, vcc_lo
; %bb.1012:
	s_or_b32 exec_lo, exec_lo, s5
	v_lshrrev_b32_e32 v0, 24, v0
	s_delay_alu instid0(VALU_DEP_1)
	v_and_or_b32 v0, 0x80, v0, v3
	global_store_b8 v[1:2], v0, off
.LBB161_1013:
	s_mov_b32 s5, 0
.LBB161_1014:
	s_delay_alu instid0(SALU_CYCLE_1)
	s_and_not1_b32 vcc_lo, exec_lo, s5
	s_cbranch_vccnz .LBB161_1024
; %bb.1015:
	v_cvt_f32_f16_e32 v0, v4
	s_mov_b32 s5, exec_lo
                                        ; implicit-def: $vgpr3
	s_delay_alu instid0(VALU_DEP_1) | instskip(NEXT) | instid1(VALU_DEP_1)
	v_and_b32_e32 v6, 0x7fffffff, v0
	v_cmpx_gt_u32_e32 0x47800000, v6
	s_xor_b32 s5, exec_lo, s5
	s_cbranch_execz .LBB161_1021
; %bb.1016:
	s_mov_b32 s8, exec_lo
                                        ; implicit-def: $vgpr3
	v_cmpx_lt_u32_e32 0x387fffff, v6
	s_xor_b32 s8, exec_lo, s8
; %bb.1017:
	v_bfe_u32 v3, v0, 21, 1
	s_delay_alu instid0(VALU_DEP_1) | instskip(NEXT) | instid1(VALU_DEP_1)
	v_add3_u32 v3, v0, v3, 0x80fffff
	v_lshrrev_b32_e32 v3, 21, v3
; %bb.1018:
	s_and_not1_saveexec_b32 s8, s8
; %bb.1019:
	v_add_f32_e64 v3, 0x43000000, |v0|
; %bb.1020:
	s_or_b32 exec_lo, exec_lo, s8
                                        ; implicit-def: $vgpr6
.LBB161_1021:
	s_and_not1_saveexec_b32 s5, s5
; %bb.1022:
	v_mov_b32_e32 v3, 0x7f
	v_cmp_lt_u32_e32 vcc_lo, 0x7f800000, v6
	s_delay_alu instid0(VALU_DEP_2)
	v_cndmask_b32_e32 v3, 0x7c, v3, vcc_lo
; %bb.1023:
	s_or_b32 exec_lo, exec_lo, s5
	v_lshrrev_b32_e32 v0, 24, v0
	s_delay_alu instid0(VALU_DEP_1)
	v_and_or_b32 v0, 0x80, v0, v3
	global_store_b8 v[1:2], v0, off
.LBB161_1024:
	s_mov_b32 s5, 0
.LBB161_1025:
	s_delay_alu instid0(SALU_CYCLE_1)
	s_and_not1_b32 vcc_lo, exec_lo, s5
	s_mov_b32 s10, 0
	s_cbranch_vccnz .LBB161_1033
; %bb.1026:
	v_cmp_lt_i16_e32 vcc_lo, 14, v5
	s_mov_b32 s5, -1
	s_cbranch_vccz .LBB161_1030
; %bb.1027:
	v_cmp_eq_u16_e32 vcc_lo, 15, v5
	s_mov_b32 s3, -1
	s_cbranch_vccz .LBB161_1029
; %bb.1028:
	v_cvt_f32_f16_e32 v0, v4
	v_cmp_o_f16_e32 vcc_lo, v4, v4
	s_mov_b32 s3, 0
	s_delay_alu instid0(VALU_DEP_2) | instskip(NEXT) | instid1(VALU_DEP_1)
	v_bfe_u32 v3, v0, 16, 1
	v_add3_u32 v0, v0, v3, 0x7fff
	s_delay_alu instid0(VALU_DEP_1) | instskip(NEXT) | instid1(VALU_DEP_1)
	v_lshrrev_b32_e32 v0, 16, v0
	v_cndmask_b32_e32 v0, 0x7fc0, v0, vcc_lo
	global_store_b16 v[1:2], v0, off
.LBB161_1029:
	s_mov_b32 s5, 0
.LBB161_1030:
	s_delay_alu instid0(SALU_CYCLE_1)
	s_and_b32 vcc_lo, exec_lo, s5
	s_cbranch_vccz .LBB161_1033
; %bb.1031:
	v_cmp_ne_u16_e32 vcc_lo, 11, v5
	s_and_not1_b32 s3, s3, exec_lo
	s_mov_b32 s10, -1
	s_and_b32 s5, vcc_lo, exec_lo
	s_delay_alu instid0(SALU_CYCLE_1)
	s_or_b32 s3, s3, s5
	s_branch .LBB161_1033
.LBB161_1032:
	s_mov_b32 s10, 0
.LBB161_1033:
	s_and_b32 s9, s2, exec_lo
	s_and_b32 s8, s4, exec_lo
	s_and_not1_b32 s2, s34, exec_lo
	s_and_b32 s4, s3, exec_lo
	s_and_b32 s3, s10, exec_lo
	s_or_b32 s34, s2, s4
.LBB161_1034:
	s_or_b32 exec_lo, exec_lo, s7
	s_and_saveexec_b32 s2, s34
	s_cbranch_execnz .LBB161_1148
; %bb.1035:
	s_or_b32 exec_lo, exec_lo, s2
	s_and_saveexec_b32 s2, s3
	s_delay_alu instid0(SALU_CYCLE_1)
	s_xor_b32 s2, exec_lo, s2
	s_cbranch_execz .LBB161_1037
.LBB161_1036:
	v_cmp_neq_f16_e32 vcc_lo, 0, v7
	s_or_b32 s3, s9, vcc_lo
	s_delay_alu instid0(SALU_CYCLE_1)
	v_cndmask_b32_e64 v0, 0, 1, s3
	global_store_b8 v[1:2], v0, off
.LBB161_1037:
	s_or_b32 exec_lo, exec_lo, s2
	s_and_saveexec_b32 s2, s8
	s_delay_alu instid0(SALU_CYCLE_1)
	s_xor_b32 s2, exec_lo, s2
	s_cbranch_execz .LBB161_1075
; %bb.1038:
	v_cmp_gt_i16_e32 vcc_lo, 5, v5
	s_mov_b32 s3, -1
	s_cbranch_vccnz .LBB161_1059
; %bb.1039:
	v_cmp_gt_i16_e32 vcc_lo, 8, v5
	s_cbranch_vccnz .LBB161_1049
; %bb.1040:
	v_cmp_gt_i16_e32 vcc_lo, 9, v5
	s_cbranch_vccnz .LBB161_1046
; %bb.1041:
	v_cmp_lt_i16_e32 vcc_lo, 9, v5
	s_cbranch_vccz .LBB161_1043
; %bb.1042:
	v_cvt_f32_f16_e32 v0, v4
	s_waitcnt vmcnt(0)
	v_mov_b32_e32 v8, 0
	s_mov_b32 s3, 0
	s_delay_alu instid0(VALU_DEP_2) | instskip(NEXT) | instid1(VALU_DEP_2)
	v_cvt_f64_f32_e32 v[6:7], v0
	v_mov_b32_e32 v9, v8
	global_store_b128 v[1:2], v[6:9], off
.LBB161_1043:
	s_and_not1_b32 vcc_lo, exec_lo, s3
	s_cbranch_vccnz .LBB161_1045
; %bb.1044:
	s_waitcnt vmcnt(0)
	v_cvt_f32_f16_e32 v6, v4
	v_mov_b32_e32 v7, 0
	global_store_b64 v[1:2], v[6:7], off
.LBB161_1045:
	s_mov_b32 s3, 0
.LBB161_1046:
	s_delay_alu instid0(SALU_CYCLE_1)
	s_and_not1_b32 vcc_lo, exec_lo, s3
	s_cbranch_vccnz .LBB161_1048
; %bb.1047:
	v_and_b32_e32 v0, 0xffff, v4
	global_store_b32 v[1:2], v0, off
.LBB161_1048:
	s_mov_b32 s3, 0
.LBB161_1049:
	s_delay_alu instid0(SALU_CYCLE_1)
	s_and_not1_b32 vcc_lo, exec_lo, s3
	s_cbranch_vccnz .LBB161_1058
; %bb.1050:
	v_cmp_gt_i16_e32 vcc_lo, 6, v5
	s_mov_b32 s3, -1
	s_cbranch_vccnz .LBB161_1056
; %bb.1051:
	v_cmp_lt_i16_e32 vcc_lo, 6, v5
	s_cbranch_vccz .LBB161_1053
; %bb.1052:
	v_cvt_f32_f16_e32 v0, v4
	s_mov_b32 s3, 0
	s_waitcnt vmcnt(0)
	s_delay_alu instid0(VALU_DEP_1)
	v_cvt_f64_f32_e32 v[6:7], v0
	global_store_b64 v[1:2], v[6:7], off
.LBB161_1053:
	s_and_not1_b32 vcc_lo, exec_lo, s3
	s_cbranch_vccnz .LBB161_1055
; %bb.1054:
	v_cvt_f32_f16_e32 v0, v4
	global_store_b32 v[1:2], v0, off
.LBB161_1055:
	s_mov_b32 s3, 0
.LBB161_1056:
	s_delay_alu instid0(SALU_CYCLE_1)
	s_and_not1_b32 vcc_lo, exec_lo, s3
	s_cbranch_vccnz .LBB161_1058
; %bb.1057:
	global_store_b16 v[1:2], v4, off
.LBB161_1058:
	s_mov_b32 s3, 0
.LBB161_1059:
	s_delay_alu instid0(SALU_CYCLE_1)
	s_and_not1_b32 vcc_lo, exec_lo, s3
	s_cbranch_vccnz .LBB161_1075
; %bb.1060:
	v_cmp_gt_i16_e32 vcc_lo, 2, v5
	s_mov_b32 s3, -1
	s_cbranch_vccnz .LBB161_1070
; %bb.1061:
	v_cmp_gt_i16_e32 vcc_lo, 3, v5
	s_cbranch_vccnz .LBB161_1067
; %bb.1062:
	v_cmp_lt_i16_e32 vcc_lo, 3, v5
	s_cbranch_vccz .LBB161_1064
; %bb.1063:
	v_cvt_f32_f16_e32 v0, v4
	s_mov_b32 s3, 0
	s_waitcnt vmcnt(0)
	s_delay_alu instid0(VALU_DEP_1) | instskip(NEXT) | instid1(VALU_DEP_1)
	v_cvt_i32_f32_e32 v6, v0
	v_ashrrev_i32_e32 v7, 31, v6
	global_store_b64 v[1:2], v[6:7], off
.LBB161_1064:
	s_and_not1_b32 vcc_lo, exec_lo, s3
	s_cbranch_vccnz .LBB161_1066
; %bb.1065:
	v_cvt_f32_f16_e32 v0, v4
	s_delay_alu instid0(VALU_DEP_1)
	v_cvt_i32_f32_e32 v0, v0
	global_store_b32 v[1:2], v0, off
.LBB161_1066:
	s_mov_b32 s3, 0
.LBB161_1067:
	s_delay_alu instid0(SALU_CYCLE_1)
	s_and_not1_b32 vcc_lo, exec_lo, s3
	s_cbranch_vccnz .LBB161_1069
; %bb.1068:
	v_cvt_i16_f16_e32 v0, v4
	global_store_b16 v[1:2], v0, off
.LBB161_1069:
	s_mov_b32 s3, 0
.LBB161_1070:
	s_delay_alu instid0(SALU_CYCLE_1)
	s_and_not1_b32 vcc_lo, exec_lo, s3
	s_cbranch_vccnz .LBB161_1075
; %bb.1071:
	v_cmp_lt_i16_e32 vcc_lo, 0, v5
	s_mov_b32 s3, -1
	s_cbranch_vccz .LBB161_1073
; %bb.1072:
	v_cvt_i16_f16_e32 v0, v4
	s_mov_b32 s3, 0
	global_store_b8 v[1:2], v0, off
.LBB161_1073:
	s_and_not1_b32 vcc_lo, exec_lo, s3
	s_cbranch_vccnz .LBB161_1075
; %bb.1074:
	v_cvt_f32_f16_e32 v0, v4
	s_delay_alu instid0(VALU_DEP_1)
	v_cvt_i32_f32_e32 v0, v0
	global_store_b8 v[1:2], v0, off
.LBB161_1075:
	s_or_b32 exec_lo, exec_lo, s2
	s_delay_alu instid0(SALU_CYCLE_1)
	s_and_b32 s8, s6, exec_lo
                                        ; implicit-def: $vgpr8
                                        ; implicit-def: $vgpr5
.LBB161_1076:
	s_or_saveexec_b32 s9, s28
	s_mov_b32 s4, 0
                                        ; implicit-def: $sgpr5
                                        ; implicit-def: $vgpr0_vgpr1
                                        ; implicit-def: $vgpr6
                                        ; implicit-def: $vgpr2
                                        ; implicit-def: $vgpr3
	s_xor_b32 exec_lo, exec_lo, s9
	s_cbranch_execz .LBB161_2092
; %bb.1077:
	v_cndmask_b32_e64 v0, 0, 1, s27
	s_and_not1_b32 vcc_lo, exec_lo, s27
	s_cbranch_vccnz .LBB161_1083
; %bb.1078:
	v_mov_b32_e32 v3, 0
	v_mov_b32_e32 v7, 0
	s_cmp_lg_u32 s24, 0
	s_mov_b32 s6, 0
	s_cbranch_scc0 .LBB161_1087
; %bb.1079:
	s_min_u32 s7, s25, 15
	v_mov_b32_e32 v3, 0
	s_add_i32 s7, s7, 1
	s_cmp_eq_u32 s25, 2
	s_mov_b32 s10, 0
	s_cbranch_scc1 .LBB161_1084
; %bb.1080:
	v_mov_b32_e32 v7, 0
	v_mov_b32_e32 v3, 0
	;; [unrolled: 1-line block ×3, first 2 shown]
	s_add_u32 s2, s16, 0xc4
	s_addc_u32 s3, s17, 0
	s_and_b32 s10, s7, 28
	s_mov_b32 s11, 0
	s_mov_b64 s[4:5], s[16:17]
.LBB161_1081:                           ; =>This Inner Loop Header: Depth=1
	s_clause 0x1
	s_load_b256 s[36:43], s[4:5], 0x4
	s_load_b128 s[12:15], s[4:5], 0x24
	s_load_b256 s[44:51], s[2:3], 0x0
	s_add_u32 s4, s4, 48
	s_addc_u32 s5, s5, 0
	s_add_i32 s11, s11, 4
	s_add_u32 s2, s2, 32
	s_addc_u32 s3, s3, 0
	s_cmp_lg_u32 s10, s11
	s_waitcnt lgkmcnt(0)
	v_mul_hi_u32 v2, s37, v1
	s_delay_alu instid0(VALU_DEP_1) | instskip(NEXT) | instid1(VALU_DEP_1)
	v_add_nc_u32_e32 v2, v1, v2
	v_lshrrev_b32_e32 v2, s38, v2
	s_delay_alu instid0(VALU_DEP_1) | instskip(SKIP_1) | instid1(VALU_DEP_2)
	v_mul_hi_u32 v4, s40, v2
	v_mul_lo_u32 v9, v2, s36
	v_add_nc_u32_e32 v4, v2, v4
	s_delay_alu instid0(VALU_DEP_2) | instskip(NEXT) | instid1(VALU_DEP_2)
	v_sub_nc_u32_e32 v1, v1, v9
	v_lshrrev_b32_e32 v4, s41, v4
	s_delay_alu instid0(VALU_DEP_2) | instskip(SKIP_2) | instid1(VALU_DEP_3)
	v_mul_lo_u32 v9, v1, s44
	v_mul_lo_u32 v11, v1, s45
	s_waitcnt vmcnt(0)
	v_mul_hi_u32 v6, s43, v4
	s_delay_alu instid0(VALU_DEP_1) | instskip(NEXT) | instid1(VALU_DEP_1)
	v_add_nc_u32_e32 v6, v4, v6
	v_lshrrev_b32_e32 v6, s12, v6
	s_delay_alu instid0(VALU_DEP_1) | instskip(SKIP_1) | instid1(VALU_DEP_2)
	v_mul_hi_u32 v10, s14, v6
	v_mul_lo_u32 v12, v6, s42
	v_add_nc_u32_e32 v1, v6, v10
	v_mul_lo_u32 v10, v4, s39
	s_delay_alu instid0(VALU_DEP_3) | instskip(NEXT) | instid1(VALU_DEP_3)
	v_sub_nc_u32_e32 v4, v4, v12
	v_lshrrev_b32_e32 v1, s15, v1
	s_delay_alu instid0(VALU_DEP_2) | instskip(SKIP_2) | instid1(VALU_DEP_4)
	v_mul_lo_u32 v12, v4, s48
	v_mul_lo_u32 v4, v4, s49
	v_sub_nc_u32_e32 v2, v2, v10
	v_mul_lo_u32 v13, v1, s13
	s_delay_alu instid0(VALU_DEP_2) | instskip(SKIP_1) | instid1(VALU_DEP_3)
	v_mul_lo_u32 v10, v2, s46
	v_mul_lo_u32 v2, v2, s47
	v_sub_nc_u32_e32 v6, v6, v13
	s_delay_alu instid0(VALU_DEP_3) | instskip(NEXT) | instid1(VALU_DEP_2)
	v_add3_u32 v3, v9, v3, v10
	v_mul_lo_u32 v13, v6, s50
	v_mul_lo_u32 v6, v6, s51
	v_add3_u32 v2, v11, v7, v2
	s_delay_alu instid0(VALU_DEP_3) | instskip(NEXT) | instid1(VALU_DEP_2)
	v_add3_u32 v3, v12, v3, v13
	v_add3_u32 v7, v4, v2, v6
	s_cbranch_scc1 .LBB161_1081
; %bb.1082:
	s_and_b32 s7, s7, 3
	s_delay_alu instid0(SALU_CYCLE_1)
	s_cmp_eq_u32 s7, 0
	s_cbranch_scc0 .LBB161_1085
	s_branch .LBB161_1087
.LBB161_1083:
	s_mov_b32 s6, -1
                                        ; implicit-def: $vgpr3
                                        ; implicit-def: $vgpr7
	s_branch .LBB161_1087
.LBB161_1084:
	v_mov_b32_e32 v1, v5
	v_mov_b32_e32 v7, 0
	s_and_b32 s7, s7, 3
	s_delay_alu instid0(SALU_CYCLE_1)
	s_cmp_eq_u32 s7, 0
	s_cbranch_scc1 .LBB161_1087
.LBB161_1085:
	s_lshl_b32 s2, s10, 3
	s_mul_i32 s4, s10, 12
	s_add_u32 s2, s2, s16
	s_addc_u32 s3, 0, s17
	s_add_u32 s2, s2, 0xc4
	s_addc_u32 s3, s3, 0
	;; [unrolled: 2-line block ×3, first 2 shown]
	.p2align	6
.LBB161_1086:                           ; =>This Inner Loop Header: Depth=1
	s_clause 0x1
	s_load_b64 s[10:11], s[4:5], 0x4
	s_load_b32 s14, s[4:5], 0xc
	s_load_b64 s[12:13], s[2:3], 0x0
	s_add_u32 s4, s4, 12
	s_addc_u32 s5, s5, 0
	s_add_u32 s2, s2, 8
	s_addc_u32 s3, s3, 0
	s_add_i32 s7, s7, -1
	s_delay_alu instid0(SALU_CYCLE_1) | instskip(SKIP_2) | instid1(VALU_DEP_1)
	s_cmp_lg_u32 s7, 0
	s_waitcnt lgkmcnt(0)
	v_mul_hi_u32 v2, s11, v1
	v_add_nc_u32_e32 v2, v1, v2
	s_delay_alu instid0(VALU_DEP_1) | instskip(NEXT) | instid1(VALU_DEP_1)
	v_lshrrev_b32_e32 v4, s14, v2
	v_mul_lo_u32 v2, v4, s10
	s_delay_alu instid0(VALU_DEP_1) | instskip(NEXT) | instid1(VALU_DEP_1)
	v_sub_nc_u32_e32 v1, v1, v2
	v_mad_u64_u32 v[9:10], null, v1, s12, v[3:4]
	s_waitcnt vmcnt(0)
	v_mad_u64_u32 v[2:3], null, v1, s13, v[7:8]
	v_mov_b32_e32 v1, v4
	s_delay_alu instid0(VALU_DEP_3) | instskip(NEXT) | instid1(VALU_DEP_3)
	v_mov_b32_e32 v3, v9
	v_mov_b32_e32 v7, v2
	s_cbranch_scc1 .LBB161_1086
.LBB161_1087:
	s_and_not1_b32 vcc_lo, exec_lo, s6
	s_cbranch_vccnz .LBB161_1090
; %bb.1088:
	s_clause 0x1
	s_load_b128 s[4:7], s[16:17], 0x4
	s_load_b64 s[2:3], s[16:17], 0xc4
	s_cmp_lt_u32 s24, 2
	s_waitcnt lgkmcnt(0)
	v_mul_hi_u32 v1, s5, v5
	s_delay_alu instid0(VALU_DEP_1) | instskip(NEXT) | instid1(VALU_DEP_1)
	v_add_nc_u32_e32 v1, v5, v1
	v_lshrrev_b32_e32 v1, s6, v1
	s_delay_alu instid0(VALU_DEP_1) | instskip(NEXT) | instid1(VALU_DEP_1)
	v_mul_lo_u32 v2, v1, s4
	v_sub_nc_u32_e32 v2, v5, v2
	s_delay_alu instid0(VALU_DEP_1)
	v_mul_lo_u32 v3, v2, s2
	v_mul_lo_u32 v7, v2, s3
	s_cbranch_scc1 .LBB161_1090
; %bb.1089:
	s_clause 0x1
	s_load_b128 s[4:7], s[16:17], 0x10
	s_load_b64 s[2:3], s[16:17], 0xcc
	s_waitcnt lgkmcnt(0)
	v_mul_hi_u32 v2, s5, v1
	s_delay_alu instid0(VALU_DEP_1) | instskip(NEXT) | instid1(VALU_DEP_1)
	v_add_nc_u32_e32 v2, v1, v2
	v_lshrrev_b32_e32 v2, s6, v2
	s_delay_alu instid0(VALU_DEP_1) | instskip(NEXT) | instid1(VALU_DEP_1)
	v_mul_lo_u32 v2, v2, s4
	v_sub_nc_u32_e32 v4, v1, v2
	s_delay_alu instid0(VALU_DEP_1) | instskip(SKIP_2) | instid1(VALU_DEP_2)
	v_mad_u64_u32 v[1:2], null, v4, s2, v[3:4]
	s_waitcnt vmcnt(0)
	v_mad_u64_u32 v[2:3], null, v4, s3, v[7:8]
	v_mov_b32_e32 v3, v1
	s_delay_alu instid0(VALU_DEP_2)
	v_mov_b32_e32 v7, v2
.LBB161_1090:
	v_cmp_ne_u32_e32 vcc_lo, 1, v0
	v_add_nc_u32_e32 v1, 0x80, v5
	s_cbranch_vccnz .LBB161_1096
; %bb.1091:
	v_mov_b32_e32 v2, 0
	s_waitcnt vmcnt(0)
	v_mov_b32_e32 v6, 0
	s_cmp_lg_u32 s24, 0
	s_mov_b32 s6, 0
	s_cbranch_scc0 .LBB161_1100
; %bb.1092:
	s_min_u32 s7, s25, 15
	v_mov_b32_e32 v2, 0
	s_add_i32 s7, s7, 1
	s_cmp_eq_u32 s25, 2
	s_mov_b32 s10, 0
	s_cbranch_scc1 .LBB161_1097
; %bb.1093:
	v_mov_b32_e32 v6, 0
	v_mov_b32_e32 v2, 0
	;; [unrolled: 1-line block ×3, first 2 shown]
	s_add_u32 s2, s16, 0xc4
	s_addc_u32 s3, s17, 0
	s_and_b32 s10, s7, 28
	s_mov_b32 s11, 0
	s_mov_b64 s[4:5], s[16:17]
.LBB161_1094:                           ; =>This Inner Loop Header: Depth=1
	s_clause 0x1
	s_load_b256 s[36:43], s[4:5], 0x4
	s_load_b128 s[12:15], s[4:5], 0x24
	s_load_b256 s[44:51], s[2:3], 0x0
	s_add_u32 s4, s4, 48
	s_addc_u32 s5, s5, 0
	s_add_i32 s11, s11, 4
	s_add_u32 s2, s2, 32
	s_addc_u32 s3, s3, 0
	s_cmp_lg_u32 s10, s11
	s_waitcnt lgkmcnt(0)
	v_mul_hi_u32 v9, s37, v4
	s_delay_alu instid0(VALU_DEP_1) | instskip(NEXT) | instid1(VALU_DEP_1)
	v_add_nc_u32_e32 v9, v4, v9
	v_lshrrev_b32_e32 v9, s38, v9
	s_delay_alu instid0(VALU_DEP_1) | instskip(SKIP_1) | instid1(VALU_DEP_2)
	v_mul_hi_u32 v10, s40, v9
	v_mul_lo_u32 v12, v9, s36
	v_add_nc_u32_e32 v10, v9, v10
	s_delay_alu instid0(VALU_DEP_2) | instskip(NEXT) | instid1(VALU_DEP_2)
	v_sub_nc_u32_e32 v4, v4, v12
	v_lshrrev_b32_e32 v10, s41, v10
	s_delay_alu instid0(VALU_DEP_2) | instskip(SKIP_1) | instid1(VALU_DEP_3)
	v_mul_lo_u32 v12, v4, s44
	v_mul_lo_u32 v14, v4, s45
	v_mul_hi_u32 v11, s43, v10
	s_delay_alu instid0(VALU_DEP_1) | instskip(NEXT) | instid1(VALU_DEP_1)
	v_add_nc_u32_e32 v11, v10, v11
	v_lshrrev_b32_e32 v11, s12, v11
	s_delay_alu instid0(VALU_DEP_1) | instskip(SKIP_1) | instid1(VALU_DEP_2)
	v_mul_hi_u32 v13, s14, v11
	v_mul_lo_u32 v15, v11, s42
	v_add_nc_u32_e32 v4, v11, v13
	v_mul_lo_u32 v13, v10, s39
	s_delay_alu instid0(VALU_DEP_3) | instskip(NEXT) | instid1(VALU_DEP_3)
	v_sub_nc_u32_e32 v10, v10, v15
	v_lshrrev_b32_e32 v4, s15, v4
	s_delay_alu instid0(VALU_DEP_2) | instskip(SKIP_2) | instid1(VALU_DEP_4)
	v_mul_lo_u32 v15, v10, s48
	v_mul_lo_u32 v10, v10, s49
	v_sub_nc_u32_e32 v9, v9, v13
	v_mul_lo_u32 v16, v4, s13
	s_delay_alu instid0(VALU_DEP_2) | instskip(SKIP_1) | instid1(VALU_DEP_3)
	v_mul_lo_u32 v13, v9, s46
	v_mul_lo_u32 v9, v9, s47
	v_sub_nc_u32_e32 v11, v11, v16
	s_delay_alu instid0(VALU_DEP_3) | instskip(NEXT) | instid1(VALU_DEP_2)
	v_add3_u32 v2, v12, v2, v13
	v_mul_lo_u32 v16, v11, s50
	v_mul_lo_u32 v11, v11, s51
	v_add3_u32 v6, v14, v6, v9
	s_delay_alu instid0(VALU_DEP_3) | instskip(NEXT) | instid1(VALU_DEP_2)
	v_add3_u32 v2, v15, v2, v16
	v_add3_u32 v6, v10, v6, v11
	s_cbranch_scc1 .LBB161_1094
; %bb.1095:
	s_and_b32 s7, s7, 3
	s_delay_alu instid0(SALU_CYCLE_1)
	s_cmp_eq_u32 s7, 0
	s_cbranch_scc0 .LBB161_1098
	s_branch .LBB161_1100
.LBB161_1096:
	s_mov_b32 s6, -1
                                        ; implicit-def: $vgpr2
                                        ; implicit-def: $vgpr6
	s_branch .LBB161_1100
.LBB161_1097:
	v_mov_b32_e32 v4, v1
	v_mov_b32_e32 v6, 0
	s_and_b32 s7, s7, 3
	s_delay_alu instid0(SALU_CYCLE_1)
	s_cmp_eq_u32 s7, 0
	s_cbranch_scc1 .LBB161_1100
.LBB161_1098:
	s_lshl_b32 s2, s10, 3
	s_mul_i32 s4, s10, 12
	s_add_u32 s2, s2, s16
	s_addc_u32 s3, 0, s17
	s_add_u32 s2, s2, 0xc4
	s_addc_u32 s3, s3, 0
	;; [unrolled: 2-line block ×3, first 2 shown]
	.p2align	6
.LBB161_1099:                           ; =>This Inner Loop Header: Depth=1
	s_clause 0x1
	s_load_b64 s[10:11], s[4:5], 0x4
	s_load_b32 s14, s[4:5], 0xc
	s_load_b64 s[12:13], s[2:3], 0x0
	s_add_u32 s4, s4, 12
	s_addc_u32 s5, s5, 0
	s_add_u32 s2, s2, 8
	s_addc_u32 s3, s3, 0
	s_add_i32 s7, s7, -1
	s_delay_alu instid0(SALU_CYCLE_1) | instskip(SKIP_2) | instid1(VALU_DEP_1)
	s_cmp_lg_u32 s7, 0
	s_waitcnt lgkmcnt(0)
	v_mul_hi_u32 v9, s11, v4
	v_add_nc_u32_e32 v9, v4, v9
	s_delay_alu instid0(VALU_DEP_1) | instskip(NEXT) | instid1(VALU_DEP_1)
	v_lshrrev_b32_e32 v12, s14, v9
	v_mul_lo_u32 v9, v12, s10
	s_delay_alu instid0(VALU_DEP_1) | instskip(NEXT) | instid1(VALU_DEP_1)
	v_sub_nc_u32_e32 v4, v4, v9
	v_mad_u64_u32 v[9:10], null, v4, s12, v[2:3]
	v_mad_u64_u32 v[10:11], null, v4, s13, v[6:7]
	v_mov_b32_e32 v4, v12
	s_delay_alu instid0(VALU_DEP_3) | instskip(NEXT) | instid1(VALU_DEP_3)
	v_mov_b32_e32 v2, v9
	v_mov_b32_e32 v6, v10
	s_cbranch_scc1 .LBB161_1099
.LBB161_1100:
	s_and_not1_b32 vcc_lo, exec_lo, s6
	s_cbranch_vccnz .LBB161_1103
; %bb.1101:
	s_clause 0x1
	s_load_b128 s[4:7], s[16:17], 0x4
	s_load_b64 s[2:3], s[16:17], 0xc4
	s_cmp_lt_u32 s24, 2
	s_waitcnt lgkmcnt(0)
	v_mul_hi_u32 v2, s5, v1
	s_delay_alu instid0(VALU_DEP_1) | instskip(NEXT) | instid1(VALU_DEP_1)
	v_add_nc_u32_e32 v2, v1, v2
	v_lshrrev_b32_e32 v4, s6, v2
	s_delay_alu instid0(VALU_DEP_1) | instskip(NEXT) | instid1(VALU_DEP_1)
	v_mul_lo_u32 v2, v4, s4
	v_sub_nc_u32_e32 v1, v1, v2
	s_delay_alu instid0(VALU_DEP_1)
	v_mul_lo_u32 v2, v1, s2
	s_waitcnt vmcnt(0)
	v_mul_lo_u32 v6, v1, s3
	s_cbranch_scc1 .LBB161_1103
; %bb.1102:
	s_clause 0x1
	s_load_b128 s[4:7], s[16:17], 0x10
	s_load_b64 s[2:3], s[16:17], 0xcc
	s_waitcnt lgkmcnt(0)
	v_mul_hi_u32 v1, s5, v4
	s_delay_alu instid0(VALU_DEP_1) | instskip(NEXT) | instid1(VALU_DEP_1)
	v_add_nc_u32_e32 v1, v4, v1
	v_lshrrev_b32_e32 v1, s6, v1
	s_delay_alu instid0(VALU_DEP_1) | instskip(NEXT) | instid1(VALU_DEP_1)
	v_mul_lo_u32 v1, v1, s4
	v_sub_nc_u32_e32 v4, v4, v1
	s_delay_alu instid0(VALU_DEP_1) | instskip(SKIP_1) | instid1(VALU_DEP_2)
	v_mad_u64_u32 v[9:10], null, v4, s2, v[2:3]
	v_mad_u64_u32 v[1:2], null, v4, s3, v[6:7]
	v_mov_b32_e32 v2, v9
	s_delay_alu instid0(VALU_DEP_2)
	v_mov_b32_e32 v6, v1
.LBB161_1103:
	v_cmp_ne_u32_e32 vcc_lo, 1, v0
	v_add_nc_u32_e32 v4, 0x100, v5
	s_cbranch_vccnz .LBB161_1109
; %bb.1104:
	v_mov_b32_e32 v1, 0
	v_mov_b32_e32 v5, 0
	s_cmp_lg_u32 s24, 0
	s_mov_b32 s6, 0
	s_cbranch_scc0 .LBB161_1113
; %bb.1105:
	s_min_u32 s7, s25, 15
	v_mov_b32_e32 v1, 0
	s_add_i32 s7, s7, 1
	s_cmp_eq_u32 s25, 2
	s_mov_b32 s10, 0
	s_cbranch_scc1 .LBB161_1110
; %bb.1106:
	v_mov_b32_e32 v5, 0
	v_mov_b32_e32 v1, 0
	;; [unrolled: 1-line block ×3, first 2 shown]
	s_add_u32 s2, s16, 0xc4
	s_addc_u32 s3, s17, 0
	s_and_b32 s10, s7, 28
	s_mov_b32 s11, 0
	s_mov_b64 s[4:5], s[16:17]
.LBB161_1107:                           ; =>This Inner Loop Header: Depth=1
	s_clause 0x1
	s_load_b256 s[36:43], s[4:5], 0x4
	s_load_b128 s[12:15], s[4:5], 0x24
	s_load_b256 s[44:51], s[2:3], 0x0
	s_add_u32 s4, s4, 48
	s_addc_u32 s5, s5, 0
	s_add_i32 s11, s11, 4
	s_add_u32 s2, s2, 32
	s_addc_u32 s3, s3, 0
	s_cmp_lg_u32 s10, s11
	s_waitcnt lgkmcnt(0)
	v_mul_hi_u32 v10, s37, v9
	s_delay_alu instid0(VALU_DEP_1) | instskip(NEXT) | instid1(VALU_DEP_1)
	v_add_nc_u32_e32 v10, v9, v10
	v_lshrrev_b32_e32 v10, s38, v10
	s_delay_alu instid0(VALU_DEP_1) | instskip(SKIP_1) | instid1(VALU_DEP_2)
	v_mul_hi_u32 v11, s40, v10
	v_mul_lo_u32 v13, v10, s36
	v_add_nc_u32_e32 v11, v10, v11
	s_delay_alu instid0(VALU_DEP_2) | instskip(NEXT) | instid1(VALU_DEP_2)
	v_sub_nc_u32_e32 v9, v9, v13
	v_lshrrev_b32_e32 v11, s41, v11
	s_delay_alu instid0(VALU_DEP_2) | instskip(SKIP_1) | instid1(VALU_DEP_3)
	v_mul_lo_u32 v13, v9, s44
	v_mul_lo_u32 v15, v9, s45
	v_mul_hi_u32 v12, s43, v11
	s_delay_alu instid0(VALU_DEP_1) | instskip(NEXT) | instid1(VALU_DEP_1)
	v_add_nc_u32_e32 v12, v11, v12
	v_lshrrev_b32_e32 v12, s12, v12
	s_delay_alu instid0(VALU_DEP_1) | instskip(SKIP_1) | instid1(VALU_DEP_2)
	v_mul_hi_u32 v14, s14, v12
	v_mul_lo_u32 v16, v12, s42
	v_add_nc_u32_e32 v9, v12, v14
	v_mul_lo_u32 v14, v11, s39
	s_delay_alu instid0(VALU_DEP_3) | instskip(NEXT) | instid1(VALU_DEP_3)
	v_sub_nc_u32_e32 v11, v11, v16
	v_lshrrev_b32_e32 v9, s15, v9
	s_delay_alu instid0(VALU_DEP_2) | instskip(SKIP_2) | instid1(VALU_DEP_4)
	v_mul_lo_u32 v16, v11, s48
	v_mul_lo_u32 v11, v11, s49
	v_sub_nc_u32_e32 v10, v10, v14
	v_mul_lo_u32 v17, v9, s13
	s_delay_alu instid0(VALU_DEP_2) | instskip(SKIP_1) | instid1(VALU_DEP_3)
	v_mul_lo_u32 v14, v10, s46
	v_mul_lo_u32 v10, v10, s47
	v_sub_nc_u32_e32 v12, v12, v17
	s_delay_alu instid0(VALU_DEP_3) | instskip(NEXT) | instid1(VALU_DEP_2)
	v_add3_u32 v1, v13, v1, v14
	v_mul_lo_u32 v17, v12, s50
	v_mul_lo_u32 v12, v12, s51
	v_add3_u32 v5, v15, v5, v10
	s_delay_alu instid0(VALU_DEP_3) | instskip(NEXT) | instid1(VALU_DEP_2)
	v_add3_u32 v1, v16, v1, v17
	v_add3_u32 v5, v11, v5, v12
	s_cbranch_scc1 .LBB161_1107
; %bb.1108:
	s_and_b32 s7, s7, 3
	s_delay_alu instid0(SALU_CYCLE_1)
	s_cmp_eq_u32 s7, 0
	s_cbranch_scc0 .LBB161_1111
	s_branch .LBB161_1113
.LBB161_1109:
	s_mov_b32 s6, -1
                                        ; implicit-def: $vgpr1
                                        ; implicit-def: $vgpr5
	s_branch .LBB161_1113
.LBB161_1110:
	v_mov_b32_e32 v9, v4
	v_mov_b32_e32 v5, 0
	s_and_b32 s7, s7, 3
	s_delay_alu instid0(SALU_CYCLE_1)
	s_cmp_eq_u32 s7, 0
	s_cbranch_scc1 .LBB161_1113
.LBB161_1111:
	s_lshl_b32 s2, s10, 3
	s_mul_i32 s4, s10, 12
	s_add_u32 s2, s2, s16
	s_addc_u32 s3, 0, s17
	s_add_u32 s2, s2, 0xc4
	s_addc_u32 s3, s3, 0
	;; [unrolled: 2-line block ×3, first 2 shown]
	.p2align	6
.LBB161_1112:                           ; =>This Inner Loop Header: Depth=1
	s_clause 0x1
	s_load_b64 s[10:11], s[4:5], 0x4
	s_load_b32 s14, s[4:5], 0xc
	s_load_b64 s[12:13], s[2:3], 0x0
	s_add_u32 s4, s4, 12
	s_addc_u32 s5, s5, 0
	s_add_u32 s2, s2, 8
	s_addc_u32 s3, s3, 0
	s_add_i32 s7, s7, -1
	s_delay_alu instid0(SALU_CYCLE_1) | instskip(SKIP_2) | instid1(VALU_DEP_1)
	s_cmp_lg_u32 s7, 0
	s_waitcnt lgkmcnt(0)
	v_mul_hi_u32 v10, s11, v9
	v_add_nc_u32_e32 v10, v9, v10
	s_delay_alu instid0(VALU_DEP_1) | instskip(NEXT) | instid1(VALU_DEP_1)
	v_lshrrev_b32_e32 v13, s14, v10
	v_mul_lo_u32 v10, v13, s10
	s_delay_alu instid0(VALU_DEP_1) | instskip(NEXT) | instid1(VALU_DEP_1)
	v_sub_nc_u32_e32 v9, v9, v10
	v_mad_u64_u32 v[10:11], null, v9, s12, v[1:2]
	s_waitcnt vmcnt(0)
	v_mad_u64_u32 v[11:12], null, v9, s13, v[5:6]
	v_mov_b32_e32 v9, v13
	s_delay_alu instid0(VALU_DEP_3) | instskip(NEXT) | instid1(VALU_DEP_3)
	v_mov_b32_e32 v1, v10
	v_mov_b32_e32 v5, v11
	s_cbranch_scc1 .LBB161_1112
.LBB161_1113:
	s_and_not1_b32 vcc_lo, exec_lo, s6
	s_cbranch_vccnz .LBB161_1116
; %bb.1114:
	s_clause 0x1
	s_load_b128 s[4:7], s[16:17], 0x4
	s_load_b64 s[2:3], s[16:17], 0xc4
	s_cmp_lt_u32 s24, 2
	s_waitcnt lgkmcnt(0)
	v_mul_hi_u32 v1, s5, v4
	s_delay_alu instid0(VALU_DEP_1) | instskip(NEXT) | instid1(VALU_DEP_1)
	v_add_nc_u32_e32 v1, v4, v1
	v_lshrrev_b32_e32 v9, s6, v1
	s_delay_alu instid0(VALU_DEP_1) | instskip(NEXT) | instid1(VALU_DEP_1)
	v_mul_lo_u32 v1, v9, s4
	v_sub_nc_u32_e32 v4, v4, v1
	s_delay_alu instid0(VALU_DEP_1)
	v_mul_lo_u32 v1, v4, s2
	v_mul_lo_u32 v5, v4, s3
	s_cbranch_scc1 .LBB161_1116
; %bb.1115:
	s_clause 0x1
	s_load_b128 s[4:7], s[16:17], 0x10
	s_load_b64 s[2:3], s[16:17], 0xcc
	s_waitcnt lgkmcnt(0)
	v_mul_hi_u32 v4, s5, v9
	s_delay_alu instid0(VALU_DEP_1) | instskip(NEXT) | instid1(VALU_DEP_1)
	v_add_nc_u32_e32 v4, v9, v4
	v_lshrrev_b32_e32 v4, s6, v4
	s_delay_alu instid0(VALU_DEP_1) | instskip(NEXT) | instid1(VALU_DEP_1)
	v_mul_lo_u32 v4, v4, s4
	v_sub_nc_u32_e32 v4, v9, v4
	s_delay_alu instid0(VALU_DEP_1) | instskip(SKIP_2) | instid1(VALU_DEP_2)
	v_mad_u64_u32 v[9:10], null, v4, s2, v[1:2]
	s_waitcnt vmcnt(0)
	v_mad_u64_u32 v[10:11], null, v4, s3, v[5:6]
	v_mov_b32_e32 v1, v9
	s_delay_alu instid0(VALU_DEP_2)
	v_mov_b32_e32 v5, v10
.LBB161_1116:
	v_cmp_ne_u32_e32 vcc_lo, 1, v0
	s_cbranch_vccnz .LBB161_1122
; %bb.1117:
	v_mov_b32_e32 v0, 0
	v_mov_b32_e32 v4, 0
	s_cmp_lg_u32 s24, 0
	s_mov_b32 s6, 0
	s_cbranch_scc0 .LBB161_1126
; %bb.1118:
	s_min_u32 s7, s25, 15
	v_mov_b32_e32 v0, 0
	s_add_i32 s7, s7, 1
	s_cmp_eq_u32 s25, 2
	s_mov_b32 s10, 0
	s_cbranch_scc1 .LBB161_1123
; %bb.1119:
	s_waitcnt vmcnt(0)
	v_dual_mov_b32 v4, 0 :: v_dual_mov_b32 v9, v8
	v_mov_b32_e32 v0, 0
	s_add_u32 s2, s16, 0xc4
	s_addc_u32 s3, s17, 0
	s_and_b32 s10, s7, 28
	s_mov_b32 s11, 0
	s_mov_b64 s[4:5], s[16:17]
.LBB161_1120:                           ; =>This Inner Loop Header: Depth=1
	s_clause 0x1
	s_load_b256 s[36:43], s[4:5], 0x4
	s_load_b128 s[12:15], s[4:5], 0x24
	s_load_b256 s[44:51], s[2:3], 0x0
	s_add_u32 s4, s4, 48
	s_addc_u32 s5, s5, 0
	s_add_i32 s11, s11, 4
	s_add_u32 s2, s2, 32
	s_addc_u32 s3, s3, 0
	s_cmp_lg_u32 s10, s11
	s_waitcnt lgkmcnt(0)
	v_mul_hi_u32 v10, s37, v9
	s_delay_alu instid0(VALU_DEP_1) | instskip(NEXT) | instid1(VALU_DEP_1)
	v_add_nc_u32_e32 v10, v9, v10
	v_lshrrev_b32_e32 v10, s38, v10
	s_delay_alu instid0(VALU_DEP_1) | instskip(SKIP_1) | instid1(VALU_DEP_2)
	v_mul_hi_u32 v11, s40, v10
	v_mul_lo_u32 v13, v10, s36
	v_add_nc_u32_e32 v11, v10, v11
	s_delay_alu instid0(VALU_DEP_2) | instskip(NEXT) | instid1(VALU_DEP_2)
	v_sub_nc_u32_e32 v9, v9, v13
	v_lshrrev_b32_e32 v11, s41, v11
	s_delay_alu instid0(VALU_DEP_2) | instskip(SKIP_1) | instid1(VALU_DEP_3)
	v_mul_lo_u32 v13, v9, s44
	v_mul_lo_u32 v15, v9, s45
	v_mul_hi_u32 v12, s43, v11
	s_delay_alu instid0(VALU_DEP_1) | instskip(NEXT) | instid1(VALU_DEP_1)
	v_add_nc_u32_e32 v12, v11, v12
	v_lshrrev_b32_e32 v12, s12, v12
	s_delay_alu instid0(VALU_DEP_1) | instskip(SKIP_1) | instid1(VALU_DEP_2)
	v_mul_hi_u32 v14, s14, v12
	v_mul_lo_u32 v16, v12, s42
	v_add_nc_u32_e32 v9, v12, v14
	v_mul_lo_u32 v14, v11, s39
	s_delay_alu instid0(VALU_DEP_3) | instskip(NEXT) | instid1(VALU_DEP_3)
	v_sub_nc_u32_e32 v11, v11, v16
	v_lshrrev_b32_e32 v9, s15, v9
	s_delay_alu instid0(VALU_DEP_2) | instskip(SKIP_2) | instid1(VALU_DEP_4)
	v_mul_lo_u32 v16, v11, s48
	v_mul_lo_u32 v11, v11, s49
	v_sub_nc_u32_e32 v10, v10, v14
	v_mul_lo_u32 v17, v9, s13
	s_delay_alu instid0(VALU_DEP_2) | instskip(SKIP_1) | instid1(VALU_DEP_3)
	v_mul_lo_u32 v14, v10, s46
	v_mul_lo_u32 v10, v10, s47
	v_sub_nc_u32_e32 v12, v12, v17
	s_delay_alu instid0(VALU_DEP_3) | instskip(NEXT) | instid1(VALU_DEP_2)
	v_add3_u32 v0, v13, v0, v14
	v_mul_lo_u32 v17, v12, s50
	v_mul_lo_u32 v12, v12, s51
	v_add3_u32 v4, v15, v4, v10
	s_delay_alu instid0(VALU_DEP_3) | instskip(NEXT) | instid1(VALU_DEP_2)
	v_add3_u32 v0, v16, v0, v17
	v_add3_u32 v4, v11, v4, v12
	s_cbranch_scc1 .LBB161_1120
; %bb.1121:
	s_and_b32 s7, s7, 3
	s_delay_alu instid0(SALU_CYCLE_1)
	s_cmp_eq_u32 s7, 0
	s_cbranch_scc0 .LBB161_1124
	s_branch .LBB161_1126
.LBB161_1122:
	s_mov_b32 s6, -1
                                        ; implicit-def: $vgpr0
                                        ; implicit-def: $vgpr4
	s_branch .LBB161_1126
.LBB161_1123:
	s_waitcnt vmcnt(0)
	v_dual_mov_b32 v9, v8 :: v_dual_mov_b32 v4, 0
	s_and_b32 s7, s7, 3
	s_delay_alu instid0(SALU_CYCLE_1)
	s_cmp_eq_u32 s7, 0
	s_cbranch_scc1 .LBB161_1126
.LBB161_1124:
	s_lshl_b32 s2, s10, 3
	s_mul_i32 s4, s10, 12
	s_add_u32 s2, s2, s16
	s_addc_u32 s3, 0, s17
	s_add_u32 s2, s2, 0xc4
	s_addc_u32 s3, s3, 0
	;; [unrolled: 2-line block ×3, first 2 shown]
	.p2align	6
.LBB161_1125:                           ; =>This Inner Loop Header: Depth=1
	s_clause 0x1
	s_load_b64 s[10:11], s[4:5], 0x4
	s_load_b32 s14, s[4:5], 0xc
	s_load_b64 s[12:13], s[2:3], 0x0
	s_add_u32 s4, s4, 12
	s_addc_u32 s5, s5, 0
	s_add_u32 s2, s2, 8
	s_addc_u32 s3, s3, 0
	s_add_i32 s7, s7, -1
	s_delay_alu instid0(SALU_CYCLE_1) | instskip(SKIP_2) | instid1(VALU_DEP_1)
	s_cmp_lg_u32 s7, 0
	s_waitcnt lgkmcnt(0)
	v_mul_hi_u32 v10, s11, v9
	v_add_nc_u32_e32 v10, v9, v10
	s_delay_alu instid0(VALU_DEP_1) | instskip(NEXT) | instid1(VALU_DEP_1)
	v_lshrrev_b32_e32 v13, s14, v10
	v_mul_lo_u32 v10, v13, s10
	s_delay_alu instid0(VALU_DEP_1) | instskip(NEXT) | instid1(VALU_DEP_1)
	v_sub_nc_u32_e32 v9, v9, v10
	v_mad_u64_u32 v[10:11], null, v9, s12, v[0:1]
	v_mad_u64_u32 v[11:12], null, v9, s13, v[4:5]
	s_delay_alu instid0(VALU_DEP_2) | instskip(NEXT) | instid1(VALU_DEP_2)
	v_dual_mov_b32 v9, v13 :: v_dual_mov_b32 v0, v10
	v_mov_b32_e32 v4, v11
	s_cbranch_scc1 .LBB161_1125
.LBB161_1126:
	s_and_not1_b32 vcc_lo, exec_lo, s6
	s_cbranch_vccnz .LBB161_1129
; %bb.1127:
	s_clause 0x1
	s_load_b128 s[4:7], s[16:17], 0x4
	s_load_b64 s[2:3], s[16:17], 0xc4
	s_cmp_lt_u32 s24, 2
	s_waitcnt vmcnt(0) lgkmcnt(0)
	v_mul_hi_u32 v0, s5, v8
	s_delay_alu instid0(VALU_DEP_1) | instskip(NEXT) | instid1(VALU_DEP_1)
	v_add_nc_u32_e32 v0, v8, v0
	v_lshrrev_b32_e32 v9, s6, v0
	s_delay_alu instid0(VALU_DEP_1) | instskip(NEXT) | instid1(VALU_DEP_1)
	v_mul_lo_u32 v0, v9, s4
	v_sub_nc_u32_e32 v4, v8, v0
	s_delay_alu instid0(VALU_DEP_1)
	v_mul_lo_u32 v0, v4, s2
	v_mul_lo_u32 v4, v4, s3
	s_cbranch_scc1 .LBB161_1129
; %bb.1128:
	s_clause 0x1
	s_load_b128 s[4:7], s[16:17], 0x10
	s_load_b64 s[2:3], s[16:17], 0xcc
	s_waitcnt lgkmcnt(0)
	v_mul_hi_u32 v8, s5, v9
	s_delay_alu instid0(VALU_DEP_1) | instskip(NEXT) | instid1(VALU_DEP_1)
	v_add_nc_u32_e32 v8, v9, v8
	v_lshrrev_b32_e32 v8, s6, v8
	s_delay_alu instid0(VALU_DEP_1) | instskip(NEXT) | instid1(VALU_DEP_1)
	v_mul_lo_u32 v8, v8, s4
	v_sub_nc_u32_e32 v11, v9, v8
	s_delay_alu instid0(VALU_DEP_1) | instskip(SKIP_1) | instid1(VALU_DEP_2)
	v_mad_u64_u32 v[8:9], null, v11, s2, v[0:1]
	v_mad_u64_u32 v[9:10], null, v11, s3, v[4:5]
	v_mov_b32_e32 v0, v8
	s_delay_alu instid0(VALU_DEP_2)
	v_mov_b32_e32 v4, v9
.LBB161_1129:
	s_clause 0x1
	s_load_b32 s0, s[0:1], 0x160
	s_load_b128 s[4:7], s[16:17], 0x148
	s_mov_b32 s10, 0
	s_waitcnt lgkmcnt(0)
	s_lshr_b32 s1, s0, 16
	s_delay_alu instid0(SALU_CYCLE_1) | instskip(SKIP_3) | instid1(VALU_DEP_3)
	v_and_b32_e64 v9, 0xff, s1
	v_add_co_u32 v7, s1, s6, v7
	s_waitcnt vmcnt(0)
	v_add_co_ci_u32_e64 v8, null, s7, 0, s1
	v_cmp_gt_i16_e32 vcc_lo, 11, v9
	s_cbranch_vccnz .LBB161_1136
; %bb.1130:
	v_cmp_lt_i16_e32 vcc_lo, 25, v9
	s_mov_b32 s3, 0
	s_cbranch_vccz .LBB161_1142
; %bb.1131:
	v_cmp_lt_i16_e32 vcc_lo, 28, v9
	s_cbranch_vccz .LBB161_1144
; %bb.1132:
	v_cmp_lt_i16_e32 vcc_lo, 43, v9
	;; [unrolled: 3-line block ×3, first 2 shown]
	s_cbranch_vccz .LBB161_1150
; %bb.1134:
	v_cmp_eq_u16_e32 vcc_lo, 46, v9
	s_mov_b32 s2, 0
	s_cbranch_vccz .LBB161_1192
; %bb.1135:
	global_load_b32 v10, v[7:8], off
	s_mov_b32 s1, 0
	s_mov_b32 s10, -1
	s_waitcnt vmcnt(0)
	v_lshlrev_b32_e32 v10, 16, v10
	s_delay_alu instid0(VALU_DEP_1)
	v_cvt_f16_f32_e32 v10, v10
	s_branch .LBB161_1194
.LBB161_1136:
	s_mov_b32 s2, s8
                                        ; implicit-def: $vgpr10
	s_cbranch_execz .LBB161_1257
; %bb.1137:
	v_cmp_gt_i16_e32 vcc_lo, 5, v9
	s_cbranch_vccnz .LBB161_1143
; %bb.1138:
	v_cmp_gt_i16_e32 vcc_lo, 8, v9
	s_cbranch_vccnz .LBB161_1145
	;; [unrolled: 3-line block ×3, first 2 shown]
; %bb.1140:
	v_cmp_lt_i16_e32 vcc_lo, 9, v9
	s_cbranch_vccz .LBB161_1151
; %bb.1141:
	global_load_b64 v[10:11], v[7:8], off
	s_mov_b32 s1, 0
	s_waitcnt vmcnt(0)
	v_cvt_f32_f64_e32 v10, v[10:11]
	s_delay_alu instid0(VALU_DEP_1)
	v_cvt_f16_f32_e32 v10, v10
	s_branch .LBB161_1152
.LBB161_1142:
	s_mov_b32 s1, 0
                                        ; implicit-def: $vgpr10
	s_cbranch_execnz .LBB161_1222
	s_branch .LBB161_1253
.LBB161_1143:
                                        ; implicit-def: $vgpr10
	s_branch .LBB161_1169
.LBB161_1144:
	s_mov_b32 s2, -1
	s_mov_b32 s1, 0
                                        ; implicit-def: $vgpr10
	s_branch .LBB161_1203
.LBB161_1145:
                                        ; implicit-def: $vgpr10
	s_branch .LBB161_1158
.LBB161_1146:
	s_mov_b32 s1, 0
                                        ; implicit-def: $vgpr10
	s_cbranch_execnz .LBB161_1199
	s_branch .LBB161_1202
.LBB161_1147:
	s_mov_b32 s1, -1
                                        ; implicit-def: $vgpr10
	s_branch .LBB161_1155
.LBB161_1148:
	s_cbranch_execnz .LBB161_1190
; %bb.1149:
	s_or_b32 s6, s6, exec_lo
	s_and_not1_b32 s3, s3, exec_lo
	s_or_b32 exec_lo, exec_lo, s2
	s_and_saveexec_b32 s2, s3
	s_delay_alu instid0(SALU_CYCLE_1)
	s_xor_b32 s2, exec_lo, s2
	s_cbranch_execnz .LBB161_1036
	s_branch .LBB161_1037
.LBB161_1150:
	s_mov_b32 s2, -1
	s_mov_b32 s1, 0
	s_branch .LBB161_1193
.LBB161_1151:
	s_mov_b32 s1, -1
                                        ; implicit-def: $vgpr10
.LBB161_1152:
	s_delay_alu instid0(SALU_CYCLE_1)
	s_and_not1_b32 vcc_lo, exec_lo, s1
	s_cbranch_vccnz .LBB161_1154
; %bb.1153:
	global_load_b32 v10, v[7:8], off
	s_waitcnt vmcnt(0)
	v_cvt_f16_f32_e32 v10, v10
.LBB161_1154:
	s_mov_b32 s1, 0
.LBB161_1155:
	s_delay_alu instid0(SALU_CYCLE_1)
	s_and_not1_b32 vcc_lo, exec_lo, s1
	s_cbranch_vccnz .LBB161_1157
; %bb.1156:
	global_load_b32 v10, v[7:8], off
.LBB161_1157:
	s_cbranch_execnz .LBB161_1168
.LBB161_1158:
	v_cmp_gt_i16_e32 vcc_lo, 6, v9
	s_cbranch_vccnz .LBB161_1161
; %bb.1159:
	v_cmp_lt_i16_e32 vcc_lo, 6, v9
	s_cbranch_vccz .LBB161_1162
; %bb.1160:
	global_load_b64 v[10:11], v[7:8], off
	s_mov_b32 s1, 0
	s_waitcnt vmcnt(0)
	v_cvt_f32_f64_e32 v10, v[10:11]
	s_delay_alu instid0(VALU_DEP_1)
	v_cvt_f16_f32_e32 v10, v10
	s_branch .LBB161_1163
.LBB161_1161:
	s_mov_b32 s1, -1
                                        ; implicit-def: $vgpr10
	s_branch .LBB161_1166
.LBB161_1162:
	s_mov_b32 s1, -1
                                        ; implicit-def: $vgpr10
.LBB161_1163:
	s_delay_alu instid0(SALU_CYCLE_1)
	s_and_not1_b32 vcc_lo, exec_lo, s1
	s_cbranch_vccnz .LBB161_1165
; %bb.1164:
	global_load_b32 v10, v[7:8], off
	s_waitcnt vmcnt(0)
	v_cvt_f16_f32_e32 v10, v10
.LBB161_1165:
	s_mov_b32 s1, 0
.LBB161_1166:
	s_delay_alu instid0(SALU_CYCLE_1)
	s_and_not1_b32 vcc_lo, exec_lo, s1
	s_cbranch_vccnz .LBB161_1168
; %bb.1167:
	global_load_u16 v10, v[7:8], off
.LBB161_1168:
	s_cbranch_execnz .LBB161_1187
.LBB161_1169:
	v_cmp_gt_i16_e32 vcc_lo, 2, v9
	s_cbranch_vccnz .LBB161_1173
; %bb.1170:
	v_cmp_gt_i16_e32 vcc_lo, 3, v9
	s_cbranch_vccnz .LBB161_1174
; %bb.1171:
	v_cmp_lt_i16_e32 vcc_lo, 3, v9
	s_cbranch_vccz .LBB161_1175
; %bb.1172:
	global_load_b64 v[10:11], v[7:8], off
	s_mov_b32 s1, 0
	s_waitcnt vmcnt(0)
	v_xor_b32_e32 v12, v10, v11
	v_cls_i32_e32 v13, v11
	s_delay_alu instid0(VALU_DEP_2) | instskip(NEXT) | instid1(VALU_DEP_2)
	v_ashrrev_i32_e32 v12, 31, v12
	v_add_nc_u32_e32 v13, -1, v13
	s_delay_alu instid0(VALU_DEP_2) | instskip(NEXT) | instid1(VALU_DEP_1)
	v_add_nc_u32_e32 v12, 32, v12
	v_min_u32_e32 v12, v13, v12
	s_delay_alu instid0(VALU_DEP_1) | instskip(NEXT) | instid1(VALU_DEP_1)
	v_lshlrev_b64 v[10:11], v12, v[10:11]
	v_min_u32_e32 v10, 1, v10
	s_delay_alu instid0(VALU_DEP_1) | instskip(SKIP_1) | instid1(VALU_DEP_2)
	v_or_b32_e32 v10, v11, v10
	v_sub_nc_u32_e32 v11, 32, v12
	v_cvt_f32_i32_e32 v10, v10
	s_delay_alu instid0(VALU_DEP_1) | instskip(NEXT) | instid1(VALU_DEP_1)
	v_ldexp_f32 v10, v10, v11
	v_cvt_f16_f32_e32 v10, v10
	s_branch .LBB161_1176
.LBB161_1173:
                                        ; implicit-def: $vgpr10
	s_branch .LBB161_1182
.LBB161_1174:
	s_mov_b32 s1, -1
                                        ; implicit-def: $vgpr10
	s_branch .LBB161_1179
.LBB161_1175:
	s_mov_b32 s1, -1
                                        ; implicit-def: $vgpr10
.LBB161_1176:
	s_delay_alu instid0(SALU_CYCLE_1)
	s_and_not1_b32 vcc_lo, exec_lo, s1
	s_cbranch_vccnz .LBB161_1178
; %bb.1177:
	global_load_b32 v10, v[7:8], off
	s_waitcnt vmcnt(0)
	v_cvt_f32_i32_e32 v10, v10
	s_delay_alu instid0(VALU_DEP_1)
	v_cvt_f16_f32_e32 v10, v10
.LBB161_1178:
	s_mov_b32 s1, 0
.LBB161_1179:
	s_delay_alu instid0(SALU_CYCLE_1)
	s_and_not1_b32 vcc_lo, exec_lo, s1
	s_cbranch_vccnz .LBB161_1181
; %bb.1180:
	global_load_u16 v10, v[7:8], off
	s_waitcnt vmcnt(0)
	v_cvt_f16_i16_e32 v10, v10
.LBB161_1181:
	s_cbranch_execnz .LBB161_1187
.LBB161_1182:
	v_cmp_lt_i16_e32 vcc_lo, 0, v9
	s_mov_b32 s1, 0
	s_cbranch_vccz .LBB161_1184
; %bb.1183:
	global_load_i8 v10, v[7:8], off
	s_waitcnt vmcnt(0)
	v_cvt_f16_i16_e32 v10, v10
	s_branch .LBB161_1185
.LBB161_1184:
	s_mov_b32 s1, -1
                                        ; implicit-def: $vgpr10
.LBB161_1185:
	s_delay_alu instid0(SALU_CYCLE_1)
	s_and_not1_b32 vcc_lo, exec_lo, s1
	s_cbranch_vccnz .LBB161_1187
; %bb.1186:
	global_load_u8 v7, v[7:8], off
	s_waitcnt vmcnt(0)
	v_cvt_f16_u16_e32 v10, v7
.LBB161_1187:
	s_branch .LBB161_1258
.LBB161_1188:
	s_trap 2
	s_sendmsg_rtn_b32 s0, sendmsg(MSG_RTN_GET_DOORBELL)
	s_mov_b32 ttmp2, m0
	s_waitcnt lgkmcnt(0)
	s_and_b32 s0, s0, 0x3ff
	s_delay_alu instid0(SALU_CYCLE_1) | instskip(NEXT) | instid1(SALU_CYCLE_1)
	s_bitset1_b32 s0, 10
	s_mov_b32 m0, s0
	s_sendmsg sendmsg(MSG_INTERRUPT)
	s_mov_b32 m0, ttmp2
.LBB161_1189:                           ; =>This Inner Loop Header: Depth=1
	s_sethalt 5
	s_branch .LBB161_1189
.LBB161_1190:
	s_trap 2
	s_sendmsg_rtn_b32 s0, sendmsg(MSG_RTN_GET_DOORBELL)
	s_mov_b32 ttmp2, m0
	s_waitcnt lgkmcnt(0)
	s_and_b32 s0, s0, 0x3ff
	s_delay_alu instid0(SALU_CYCLE_1) | instskip(NEXT) | instid1(SALU_CYCLE_1)
	s_bitset1_b32 s0, 10
	s_mov_b32 m0, s0
	s_sendmsg sendmsg(MSG_INTERRUPT)
	s_mov_b32 m0, ttmp2
.LBB161_1191:                           ; =>This Inner Loop Header: Depth=1
	s_sethalt 5
	s_branch .LBB161_1191
.LBB161_1192:
	s_mov_b32 s1, -1
.LBB161_1193:
                                        ; implicit-def: $vgpr10
.LBB161_1194:
	s_and_b32 vcc_lo, exec_lo, s2
	s_cbranch_vccz .LBB161_1197
; %bb.1195:
	v_cmp_eq_u16_e32 vcc_lo, 44, v9
	s_cbranch_vccz .LBB161_1198
; %bb.1196:
	global_load_u8 v10, v[7:8], off
	s_mov_b32 s1, 0
	s_mov_b32 s10, -1
	s_waitcnt vmcnt(0)
	v_lshlrev_b32_e32 v11, 23, v10
	v_cmp_ne_u32_e32 vcc_lo, 0xff, v10
	s_delay_alu instid0(VALU_DEP_2) | instskip(NEXT) | instid1(VALU_DEP_1)
	v_cvt_f16_f32_e32 v11, v11
	v_cndmask_b32_e32 v11, 0x7e00, v11, vcc_lo
	v_cmp_ne_u32_e32 vcc_lo, 0, v10
	s_delay_alu instid0(VALU_DEP_2)
	v_cndmask_b32_e32 v10, 0, v11, vcc_lo
.LBB161_1197:
	s_branch .LBB161_1202
.LBB161_1198:
	s_mov_b32 s1, -1
                                        ; implicit-def: $vgpr10
	s_branch .LBB161_1202
.LBB161_1199:
	v_cmp_eq_u16_e32 vcc_lo, 29, v9
	s_cbranch_vccz .LBB161_1201
; %bb.1200:
	global_load_b64 v[10:11], v[7:8], off
	s_mov_b32 s1, 0
	s_mov_b32 s10, -1
	s_mov_b32 s2, 0
	s_waitcnt vmcnt(0)
	v_clz_i32_u32_e32 v12, v11
	s_delay_alu instid0(VALU_DEP_1) | instskip(NEXT) | instid1(VALU_DEP_1)
	v_min_u32_e32 v12, 32, v12
	v_lshlrev_b64 v[10:11], v12, v[10:11]
	s_delay_alu instid0(VALU_DEP_1) | instskip(NEXT) | instid1(VALU_DEP_1)
	v_min_u32_e32 v10, 1, v10
	v_or_b32_e32 v10, v11, v10
	v_sub_nc_u32_e32 v11, 32, v12
	s_delay_alu instid0(VALU_DEP_2) | instskip(NEXT) | instid1(VALU_DEP_1)
	v_cvt_f32_u32_e32 v10, v10
	v_ldexp_f32 v10, v10, v11
	s_delay_alu instid0(VALU_DEP_1)
	v_cvt_f16_f32_e32 v10, v10
	s_branch .LBB161_1203
.LBB161_1201:
	s_mov_b32 s1, -1
                                        ; implicit-def: $vgpr10
.LBB161_1202:
	s_mov_b32 s2, 0
.LBB161_1203:
	s_delay_alu instid0(SALU_CYCLE_1)
	s_and_b32 vcc_lo, exec_lo, s2
	s_cbranch_vccz .LBB161_1221
; %bb.1204:
	v_cmp_gt_i16_e32 vcc_lo, 27, v9
	s_cbranch_vccnz .LBB161_1207
; %bb.1205:
	v_cmp_lt_i16_e32 vcc_lo, 27, v9
	s_cbranch_vccz .LBB161_1208
; %bb.1206:
	global_load_b32 v10, v[7:8], off
	s_mov_b32 s2, 0
	s_waitcnt vmcnt(0)
	v_cvt_f32_u32_e32 v10, v10
	s_delay_alu instid0(VALU_DEP_1)
	v_cvt_f16_f32_e32 v10, v10
	s_branch .LBB161_1209
.LBB161_1207:
	s_mov_b32 s2, -1
                                        ; implicit-def: $vgpr10
	s_branch .LBB161_1212
.LBB161_1208:
	s_mov_b32 s2, -1
                                        ; implicit-def: $vgpr10
.LBB161_1209:
	s_delay_alu instid0(SALU_CYCLE_1)
	s_and_not1_b32 vcc_lo, exec_lo, s2
	s_cbranch_vccnz .LBB161_1211
; %bb.1210:
	global_load_u16 v10, v[7:8], off
	s_waitcnt vmcnt(0)
	v_cvt_f16_u16_e32 v10, v10
.LBB161_1211:
	s_mov_b32 s2, 0
.LBB161_1212:
	s_delay_alu instid0(SALU_CYCLE_1)
	s_and_not1_b32 vcc_lo, exec_lo, s2
	s_cbranch_vccnz .LBB161_1220
; %bb.1213:
	global_load_u8 v11, v[7:8], off
	s_mov_b32 s2, 0
	s_mov_b32 s11, exec_lo
                                        ; implicit-def: $sgpr10
	s_waitcnt vmcnt(0)
	v_cmpx_lt_i16_e32 0x7f, v11
	s_xor_b32 s11, exec_lo, s11
	s_cbranch_execz .LBB161_1233
; %bb.1214:
	s_mov_b32 s2, -1
	s_mov_b32 s12, exec_lo
                                        ; implicit-def: $sgpr10
	v_cmpx_eq_u16_e32 0x80, v11
; %bb.1215:
	s_movk_i32 s10, 0x7e00
	s_xor_b32 s2, exec_lo, -1
; %bb.1216:
	s_or_b32 exec_lo, exec_lo, s12
	s_delay_alu instid0(SALU_CYCLE_1)
	s_and_b32 s2, s2, exec_lo
	s_or_saveexec_b32 s11, s11
	v_mov_b32_e32 v10, s10
	s_xor_b32 exec_lo, exec_lo, s11
	s_cbranch_execnz .LBB161_1234
.LBB161_1217:
	s_or_b32 exec_lo, exec_lo, s11
	s_and_saveexec_b32 s10, s2
	s_cbranch_execz .LBB161_1219
.LBB161_1218:
	v_and_b32_e32 v10, 0xffff, v11
	s_delay_alu instid0(VALU_DEP_1) | instskip(NEXT) | instid1(VALU_DEP_1)
	v_and_b32_e32 v12, 7, v10
	v_clz_i32_u32_e32 v13, v12
	s_delay_alu instid0(VALU_DEP_1) | instskip(NEXT) | instid1(VALU_DEP_1)
	v_min_u32_e32 v13, 32, v13
	v_subrev_nc_u32_e32 v14, 28, v13
	v_sub_nc_u32_e32 v13, 29, v13
	s_delay_alu instid0(VALU_DEP_2) | instskip(SKIP_1) | instid1(VALU_DEP_2)
	v_lshlrev_b32_e32 v14, v14, v10
	v_bfe_u32 v10, v10, 3, 4
	v_and_b32_e32 v14, 7, v14
	s_delay_alu instid0(VALU_DEP_2) | instskip(SKIP_1) | instid1(VALU_DEP_1)
	v_cmp_eq_u32_e32 vcc_lo, 0, v10
	v_dual_cndmask_b32 v10, v10, v13 :: v_dual_lshlrev_b32 v11, 24, v11
	v_dual_cndmask_b32 v12, v12, v14 :: v_dual_and_b32 v11, 0x80000000, v11
	s_delay_alu instid0(VALU_DEP_2) | instskip(NEXT) | instid1(VALU_DEP_2)
	v_lshl_add_u32 v10, v10, 23, 0x3b800000
	v_lshlrev_b32_e32 v12, 20, v12
	s_delay_alu instid0(VALU_DEP_1) | instskip(NEXT) | instid1(VALU_DEP_1)
	v_or3_b32 v10, v11, v10, v12
	v_cvt_f16_f32_e32 v10, v10
.LBB161_1219:
	s_or_b32 exec_lo, exec_lo, s10
.LBB161_1220:
	s_mov_b32 s10, -1
.LBB161_1221:
	s_branch .LBB161_1253
.LBB161_1222:
	v_cmp_lt_i16_e32 vcc_lo, 22, v9
	s_cbranch_vccz .LBB161_1232
; %bb.1223:
	v_cmp_gt_i16_e32 vcc_lo, 24, v9
	s_cbranch_vccnz .LBB161_1235
; %bb.1224:
	v_cmp_lt_i16_e32 vcc_lo, 24, v9
	s_cbranch_vccz .LBB161_1236
; %bb.1225:
	global_load_u8 v11, v[7:8], off
	s_mov_b32 s2, 0
	s_mov_b32 s10, exec_lo
                                        ; implicit-def: $sgpr3
	s_waitcnt vmcnt(0)
	v_cmpx_lt_i16_e32 0x7f, v11
	s_xor_b32 s10, exec_lo, s10
	s_cbranch_execz .LBB161_1247
; %bb.1226:
	s_mov_b32 s2, -1
	s_mov_b32 s11, exec_lo
                                        ; implicit-def: $sgpr3
	v_cmpx_eq_u16_e32 0x80, v11
; %bb.1227:
	s_movk_i32 s3, 0x7e00
	s_xor_b32 s2, exec_lo, -1
; %bb.1228:
	s_or_b32 exec_lo, exec_lo, s11
	s_delay_alu instid0(SALU_CYCLE_1)
	s_and_b32 s2, s2, exec_lo
	s_or_saveexec_b32 s10, s10
	v_mov_b32_e32 v10, s3
	s_xor_b32 exec_lo, exec_lo, s10
	s_cbranch_execnz .LBB161_1248
.LBB161_1229:
	s_or_b32 exec_lo, exec_lo, s10
	s_and_saveexec_b32 s3, s2
	s_cbranch_execz .LBB161_1231
.LBB161_1230:
	v_and_b32_e32 v10, 0xffff, v11
	s_delay_alu instid0(VALU_DEP_1) | instskip(NEXT) | instid1(VALU_DEP_1)
	v_and_b32_e32 v12, 3, v10
	v_clz_i32_u32_e32 v13, v12
	s_delay_alu instid0(VALU_DEP_1) | instskip(NEXT) | instid1(VALU_DEP_1)
	v_min_u32_e32 v13, 32, v13
	v_subrev_nc_u32_e32 v14, 29, v13
	v_sub_nc_u32_e32 v13, 30, v13
	s_delay_alu instid0(VALU_DEP_2) | instskip(SKIP_1) | instid1(VALU_DEP_2)
	v_lshlrev_b32_e32 v14, v14, v10
	v_bfe_u32 v10, v10, 2, 5
	v_and_b32_e32 v14, 3, v14
	s_delay_alu instid0(VALU_DEP_2) | instskip(SKIP_1) | instid1(VALU_DEP_1)
	v_cmp_eq_u32_e32 vcc_lo, 0, v10
	v_dual_cndmask_b32 v10, v10, v13 :: v_dual_lshlrev_b32 v11, 24, v11
	v_dual_cndmask_b32 v12, v12, v14 :: v_dual_and_b32 v11, 0x80000000, v11
	s_delay_alu instid0(VALU_DEP_2) | instskip(NEXT) | instid1(VALU_DEP_2)
	v_lshl_add_u32 v10, v10, 23, 0x37800000
	v_lshlrev_b32_e32 v12, 21, v12
	s_delay_alu instid0(VALU_DEP_1) | instskip(NEXT) | instid1(VALU_DEP_1)
	v_or3_b32 v10, v11, v10, v12
	v_cvt_f16_f32_e32 v10, v10
.LBB161_1231:
	s_or_b32 exec_lo, exec_lo, s3
	s_mov_b32 s2, 0
	s_branch .LBB161_1237
.LBB161_1232:
                                        ; implicit-def: $vgpr10
	s_mov_b32 s3, 0
	s_branch .LBB161_1243
.LBB161_1233:
	s_or_saveexec_b32 s11, s11
	v_mov_b32_e32 v10, s10
	s_xor_b32 exec_lo, exec_lo, s11
	s_cbranch_execz .LBB161_1217
.LBB161_1234:
	v_cmp_ne_u16_e32 vcc_lo, 0, v11
	v_mov_b32_e32 v10, v11
	s_and_not1_b32 s2, s2, exec_lo
	s_and_b32 s10, vcc_lo, exec_lo
	s_delay_alu instid0(SALU_CYCLE_1)
	s_or_b32 s2, s2, s10
	s_or_b32 exec_lo, exec_lo, s11
	s_and_saveexec_b32 s10, s2
	s_cbranch_execnz .LBB161_1218
	s_branch .LBB161_1219
.LBB161_1235:
	s_mov_b32 s2, -1
                                        ; implicit-def: $vgpr10
	s_branch .LBB161_1240
.LBB161_1236:
	s_mov_b32 s2, -1
                                        ; implicit-def: $vgpr10
.LBB161_1237:
	s_delay_alu instid0(SALU_CYCLE_1)
	s_and_b32 vcc_lo, exec_lo, s2
	s_cbranch_vccz .LBB161_1239
; %bb.1238:
	global_load_u8 v10, v[7:8], off
	s_waitcnt vmcnt(0)
	v_lshlrev_b32_e32 v10, 24, v10
	s_delay_alu instid0(VALU_DEP_1) | instskip(NEXT) | instid1(VALU_DEP_1)
	v_and_b32_e32 v11, 0x7f000000, v10
	v_clz_i32_u32_e32 v12, v11
	v_add_nc_u32_e32 v14, 0x1000000, v11
	v_cmp_ne_u32_e32 vcc_lo, 0, v11
	s_delay_alu instid0(VALU_DEP_3) | instskip(NEXT) | instid1(VALU_DEP_1)
	v_min_u32_e32 v12, 32, v12
	v_sub_nc_u32_e64 v12, v12, 4 clamp
	s_delay_alu instid0(VALU_DEP_1) | instskip(SKIP_1) | instid1(VALU_DEP_2)
	v_lshlrev_b32_e32 v13, v12, v11
	v_lshlrev_b32_e32 v12, 23, v12
	v_lshrrev_b32_e32 v13, 4, v13
	s_delay_alu instid0(VALU_DEP_1) | instskip(SKIP_1) | instid1(VALU_DEP_2)
	v_sub_nc_u32_e32 v12, v13, v12
	v_ashrrev_i32_e32 v13, 8, v14
	v_add_nc_u32_e32 v12, 0x3c000000, v12
	s_delay_alu instid0(VALU_DEP_1) | instskip(NEXT) | instid1(VALU_DEP_1)
	v_and_or_b32 v12, 0x7f800000, v13, v12
	v_cndmask_b32_e32 v11, 0, v12, vcc_lo
	s_delay_alu instid0(VALU_DEP_1) | instskip(NEXT) | instid1(VALU_DEP_1)
	v_and_or_b32 v10, 0x80000000, v10, v11
	v_cvt_f16_f32_e32 v10, v10
.LBB161_1239:
	s_mov_b32 s2, 0
.LBB161_1240:
	s_delay_alu instid0(SALU_CYCLE_1)
	s_and_not1_b32 vcc_lo, exec_lo, s2
	s_cbranch_vccnz .LBB161_1242
; %bb.1241:
	global_load_u8 v10, v[7:8], off
	s_waitcnt vmcnt(0)
	v_lshlrev_b32_e32 v11, 25, v10
	v_lshlrev_b16 v10, 8, v10
	s_delay_alu instid0(VALU_DEP_2) | instskip(NEXT) | instid1(VALU_DEP_2)
	v_lshrrev_b32_e32 v12, 4, v11
	v_and_or_b32 v13, 0x7f00, v10, 0.5
	v_bfe_i32 v10, v10, 0, 16
	s_delay_alu instid0(VALU_DEP_3) | instskip(NEXT) | instid1(VALU_DEP_1)
	v_or_b32_e32 v12, 0x70000000, v12
	v_dual_add_f32 v13, -0.5, v13 :: v_dual_mul_f32 v12, 0x7800000, v12
	v_cmp_gt_u32_e32 vcc_lo, 0x8000000, v11
	s_delay_alu instid0(VALU_DEP_2) | instskip(NEXT) | instid1(VALU_DEP_1)
	v_cndmask_b32_e32 v11, v12, v13, vcc_lo
	v_and_or_b32 v10, 0x80000000, v10, v11
	s_delay_alu instid0(VALU_DEP_1)
	v_cvt_f16_f32_e32 v10, v10
.LBB161_1242:
	s_mov_b32 s10, -1
	s_mov_b32 s3, 0
	s_cbranch_execnz .LBB161_1253
.LBB161_1243:
	v_cmp_lt_i16_e32 vcc_lo, 14, v9
	s_cbranch_vccz .LBB161_1246
; %bb.1244:
	v_cmp_eq_u16_e32 vcc_lo, 15, v9
	s_cbranch_vccz .LBB161_1249
; %bb.1245:
	global_load_u16 v10, v[7:8], off
	s_mov_b32 s1, 0
	s_mov_b32 s10, -1
	s_waitcnt vmcnt(0)
	v_lshlrev_b32_e32 v10, 16, v10
	s_delay_alu instid0(VALU_DEP_1)
	v_cvt_f16_f32_e32 v10, v10
	s_branch .LBB161_1250
.LBB161_1246:
	s_mov_b32 s2, -1
                                        ; implicit-def: $vgpr10
	s_branch .LBB161_1251
.LBB161_1247:
	s_or_saveexec_b32 s10, s10
	v_mov_b32_e32 v10, s3
	s_xor_b32 exec_lo, exec_lo, s10
	s_cbranch_execz .LBB161_1229
.LBB161_1248:
	v_cmp_ne_u16_e32 vcc_lo, 0, v11
	v_mov_b32_e32 v10, v11
	s_and_not1_b32 s2, s2, exec_lo
	s_and_b32 s3, vcc_lo, exec_lo
	s_delay_alu instid0(SALU_CYCLE_1)
	s_or_b32 s2, s2, s3
	s_or_b32 exec_lo, exec_lo, s10
	s_and_saveexec_b32 s3, s2
	s_cbranch_execnz .LBB161_1230
	s_branch .LBB161_1231
.LBB161_1249:
	s_mov_b32 s1, -1
                                        ; implicit-def: $vgpr10
.LBB161_1250:
	s_mov_b32 s2, 0
.LBB161_1251:
	s_delay_alu instid0(SALU_CYCLE_1)
	s_and_b32 vcc_lo, exec_lo, s2
	s_cbranch_vccz .LBB161_1253
; %bb.1252:
	v_cmp_ne_u16_e64 s1, 11, v9
	s_mov_b32 s3, -1
                                        ; implicit-def: $vgpr10
.LBB161_1253:
	s_delay_alu instid0(VALU_DEP_1)
	s_and_b32 vcc_lo, exec_lo, s1
	s_mov_b32 s2, s8
	s_cbranch_vccnz .LBB161_1277
; %bb.1254:
	s_and_not1_b32 vcc_lo, exec_lo, s3
	s_cbranch_vccnz .LBB161_1256
.LBB161_1255:
	global_load_u8 v10, v[7:8], off
	s_mov_b32 s10, -1
	s_waitcnt vmcnt(0)
	v_cmp_ne_u16_e32 vcc_lo, 0, v10
	v_cndmask_b32_e64 v10, 0, 0x3c00, vcc_lo
.LBB161_1256:
.LBB161_1257:
	s_and_not1_b32 vcc_lo, exec_lo, s10
	s_cbranch_vccnz .LBB161_2090
.LBB161_1258:
	v_cmp_gt_i16_e32 vcc_lo, 11, v9
	v_add_co_u32 v6, s1, s6, v6
	s_delay_alu instid0(VALU_DEP_1)
	v_add_co_ci_u32_e64 v7, null, s7, 0, s1
	s_mov_b32 s10, 0
	s_cbranch_vccnz .LBB161_1265
; %bb.1259:
	v_cmp_lt_i16_e32 vcc_lo, 25, v9
	s_mov_b32 s3, 0
	s_cbranch_vccz .LBB161_1271
; %bb.1260:
	v_cmp_lt_i16_e32 vcc_lo, 28, v9
	s_cbranch_vccz .LBB161_1273
; %bb.1261:
	v_cmp_lt_i16_e32 vcc_lo, 43, v9
	;; [unrolled: 3-line block ×3, first 2 shown]
	s_cbranch_vccz .LBB161_1281
; %bb.1263:
	v_cmp_eq_u16_e32 vcc_lo, 46, v9
	s_mov_b32 s11, 0
	s_cbranch_vccz .LBB161_1325
; %bb.1264:
	global_load_b32 v8, v[6:7], off
	s_mov_b32 s1, 0
	s_mov_b32 s10, -1
	s_waitcnt vmcnt(0)
	v_lshlrev_b32_e32 v8, 16, v8
	s_delay_alu instid0(VALU_DEP_1)
	v_cvt_f16_f32_e32 v8, v8
	s_branch .LBB161_1327
.LBB161_1265:
                                        ; implicit-def: $vgpr8
	s_cbranch_execz .LBB161_1392
; %bb.1266:
	v_cmp_gt_i16_e32 vcc_lo, 5, v9
	s_cbranch_vccnz .LBB161_1272
; %bb.1267:
	v_cmp_gt_i16_e32 vcc_lo, 8, v9
	s_cbranch_vccnz .LBB161_1274
	;; [unrolled: 3-line block ×3, first 2 shown]
; %bb.1269:
	v_cmp_lt_i16_e32 vcc_lo, 9, v9
	s_cbranch_vccz .LBB161_1282
; %bb.1270:
	global_load_b64 v[11:12], v[6:7], off
	s_mov_b32 s1, 0
	s_waitcnt vmcnt(0)
	v_cvt_f32_f64_e32 v8, v[11:12]
	s_delay_alu instid0(VALU_DEP_1)
	v_cvt_f16_f32_e32 v8, v8
	s_branch .LBB161_1283
.LBB161_1271:
	s_mov_b32 s1, 0
                                        ; implicit-def: $vgpr8
	s_cbranch_execnz .LBB161_1356
	s_branch .LBB161_1388
.LBB161_1272:
                                        ; implicit-def: $vgpr8
	s_branch .LBB161_1301
.LBB161_1273:
	s_mov_b32 s11, -1
	s_mov_b32 s1, 0
                                        ; implicit-def: $vgpr8
	s_branch .LBB161_1337
.LBB161_1274:
	s_mov_b32 s1, -1
                                        ; implicit-def: $vgpr8
	s_branch .LBB161_1289
.LBB161_1275:
	s_mov_b32 s11, -1
	s_mov_b32 s1, 0
                                        ; implicit-def: $vgpr8
	s_branch .LBB161_1332
.LBB161_1276:
	s_mov_b32 s1, -1
                                        ; implicit-def: $vgpr8
	s_branch .LBB161_1286
.LBB161_1277:
	s_cbranch_execnz .LBB161_1321
; %bb.1278:
	s_or_b32 s2, s8, exec_lo
                                        ; implicit-def: $vgpr10
	s_cbranch_execz .LBB161_1255
	s_branch .LBB161_1256
.LBB161_1279:
	s_or_saveexec_b32 s8, s8
                                        ; implicit-def: $sgpr9
	s_delay_alu instid0(SALU_CYCLE_1)
	s_xor_b32 exec_lo, exec_lo, s8
	s_cbranch_execz .LBB161_987
.LBB161_1280:
	v_add_f32_e64 v3, 0x46000000, |v0|
	s_and_not1_b32 s5, s5, exec_lo
	s_mov_b32 s9, 0
	s_delay_alu instid0(VALU_DEP_1) | instskip(NEXT) | instid1(VALU_DEP_1)
	v_and_b32_e32 v3, 0xff, v3
	v_cmp_ne_u32_e32 vcc_lo, 0, v3
	s_and_b32 s10, vcc_lo, exec_lo
	s_delay_alu instid0(SALU_CYCLE_1)
	s_or_b32 s5, s5, s10
	s_or_b32 exec_lo, exec_lo, s8
	v_mov_b32_e32 v6, s9
	s_and_saveexec_b32 s8, s5
	s_cbranch_execnz .LBB161_988
	s_branch .LBB161_989
.LBB161_1281:
	s_mov_b32 s11, -1
	s_mov_b32 s1, 0
	s_branch .LBB161_1326
.LBB161_1282:
	s_mov_b32 s1, -1
                                        ; implicit-def: $vgpr8
.LBB161_1283:
	s_delay_alu instid0(SALU_CYCLE_1)
	s_and_not1_b32 vcc_lo, exec_lo, s1
	s_cbranch_vccnz .LBB161_1285
; %bb.1284:
	global_load_b32 v8, v[6:7], off
	s_waitcnt vmcnt(0)
	v_cvt_f16_f32_e32 v8, v8
.LBB161_1285:
	s_mov_b32 s1, 0
.LBB161_1286:
	s_delay_alu instid0(SALU_CYCLE_1)
	s_and_not1_b32 vcc_lo, exec_lo, s1
	s_cbranch_vccnz .LBB161_1288
; %bb.1287:
	global_load_b32 v8, v[6:7], off
.LBB161_1288:
	s_mov_b32 s1, 0
.LBB161_1289:
	s_delay_alu instid0(SALU_CYCLE_1)
	s_and_not1_b32 vcc_lo, exec_lo, s1
	s_cbranch_vccnz .LBB161_1300
; %bb.1290:
	v_cmp_gt_i16_e32 vcc_lo, 6, v9
	s_cbranch_vccnz .LBB161_1293
; %bb.1291:
	v_cmp_lt_i16_e32 vcc_lo, 6, v9
	s_cbranch_vccz .LBB161_1294
; %bb.1292:
	global_load_b64 v[11:12], v[6:7], off
	s_mov_b32 s1, 0
	s_waitcnt vmcnt(0)
	v_cvt_f32_f64_e32 v8, v[11:12]
	s_delay_alu instid0(VALU_DEP_1)
	v_cvt_f16_f32_e32 v8, v8
	s_branch .LBB161_1295
.LBB161_1293:
	s_mov_b32 s1, -1
                                        ; implicit-def: $vgpr8
	s_branch .LBB161_1298
.LBB161_1294:
	s_mov_b32 s1, -1
                                        ; implicit-def: $vgpr8
.LBB161_1295:
	s_delay_alu instid0(SALU_CYCLE_1)
	s_and_not1_b32 vcc_lo, exec_lo, s1
	s_cbranch_vccnz .LBB161_1297
; %bb.1296:
	global_load_b32 v8, v[6:7], off
	s_waitcnt vmcnt(0)
	v_cvt_f16_f32_e32 v8, v8
.LBB161_1297:
	s_mov_b32 s1, 0
.LBB161_1298:
	s_delay_alu instid0(SALU_CYCLE_1)
	s_and_not1_b32 vcc_lo, exec_lo, s1
	s_cbranch_vccnz .LBB161_1300
; %bb.1299:
	global_load_u16 v8, v[6:7], off
.LBB161_1300:
	s_cbranch_execnz .LBB161_1320
.LBB161_1301:
	v_cmp_gt_i16_e32 vcc_lo, 2, v9
	s_cbranch_vccnz .LBB161_1305
; %bb.1302:
	v_cmp_gt_i16_e32 vcc_lo, 3, v9
	s_cbranch_vccnz .LBB161_1306
; %bb.1303:
	v_cmp_lt_i16_e32 vcc_lo, 3, v9
	s_cbranch_vccz .LBB161_1307
; %bb.1304:
	global_load_b64 v[11:12], v[6:7], off
	s_mov_b32 s1, 0
	s_waitcnt vmcnt(0)
	v_xor_b32_e32 v8, v11, v12
	v_cls_i32_e32 v13, v12
	s_delay_alu instid0(VALU_DEP_2) | instskip(NEXT) | instid1(VALU_DEP_2)
	v_ashrrev_i32_e32 v8, 31, v8
	v_add_nc_u32_e32 v13, -1, v13
	s_delay_alu instid0(VALU_DEP_2) | instskip(NEXT) | instid1(VALU_DEP_1)
	v_add_nc_u32_e32 v8, 32, v8
	v_min_u32_e32 v8, v13, v8
	s_delay_alu instid0(VALU_DEP_1) | instskip(SKIP_1) | instid1(VALU_DEP_2)
	v_lshlrev_b64 v[11:12], v8, v[11:12]
	v_sub_nc_u32_e32 v8, 32, v8
	v_min_u32_e32 v11, 1, v11
	s_delay_alu instid0(VALU_DEP_1) | instskip(NEXT) | instid1(VALU_DEP_1)
	v_or_b32_e32 v11, v12, v11
	v_cvt_f32_i32_e32 v11, v11
	s_delay_alu instid0(VALU_DEP_1) | instskip(NEXT) | instid1(VALU_DEP_1)
	v_ldexp_f32 v8, v11, v8
	v_cvt_f16_f32_e32 v8, v8
	s_branch .LBB161_1308
.LBB161_1305:
	s_mov_b32 s1, -1
                                        ; implicit-def: $vgpr8
	s_branch .LBB161_1314
.LBB161_1306:
	s_mov_b32 s1, -1
                                        ; implicit-def: $vgpr8
	s_branch .LBB161_1311
.LBB161_1307:
	s_mov_b32 s1, -1
                                        ; implicit-def: $vgpr8
.LBB161_1308:
	s_delay_alu instid0(SALU_CYCLE_1)
	s_and_not1_b32 vcc_lo, exec_lo, s1
	s_cbranch_vccnz .LBB161_1310
; %bb.1309:
	global_load_b32 v8, v[6:7], off
	s_waitcnt vmcnt(0)
	v_cvt_f32_i32_e32 v8, v8
	s_delay_alu instid0(VALU_DEP_1)
	v_cvt_f16_f32_e32 v8, v8
.LBB161_1310:
	s_mov_b32 s1, 0
.LBB161_1311:
	s_delay_alu instid0(SALU_CYCLE_1)
	s_and_not1_b32 vcc_lo, exec_lo, s1
	s_cbranch_vccnz .LBB161_1313
; %bb.1312:
	global_load_u16 v8, v[6:7], off
	s_waitcnt vmcnt(0)
	v_cvt_f16_i16_e32 v8, v8
.LBB161_1313:
	s_mov_b32 s1, 0
.LBB161_1314:
	s_delay_alu instid0(SALU_CYCLE_1)
	s_and_not1_b32 vcc_lo, exec_lo, s1
	s_cbranch_vccnz .LBB161_1320
; %bb.1315:
	v_cmp_lt_i16_e32 vcc_lo, 0, v9
	s_mov_b32 s1, 0
	s_cbranch_vccz .LBB161_1317
; %bb.1316:
	global_load_i8 v8, v[6:7], off
	s_waitcnt vmcnt(0)
	v_cvt_f16_i16_e32 v8, v8
	s_branch .LBB161_1318
.LBB161_1317:
	s_mov_b32 s1, -1
                                        ; implicit-def: $vgpr8
.LBB161_1318:
	s_delay_alu instid0(SALU_CYCLE_1)
	s_and_not1_b32 vcc_lo, exec_lo, s1
	s_cbranch_vccnz .LBB161_1320
; %bb.1319:
	global_load_u8 v6, v[6:7], off
	s_waitcnt vmcnt(0)
	v_cvt_f16_u16_e32 v8, v6
.LBB161_1320:
	s_branch .LBB161_1393
.LBB161_1321:
	s_trap 2
	s_sendmsg_rtn_b32 s0, sendmsg(MSG_RTN_GET_DOORBELL)
	s_mov_b32 ttmp2, m0
	s_waitcnt lgkmcnt(0)
	s_and_b32 s0, s0, 0x3ff
	s_delay_alu instid0(SALU_CYCLE_1) | instskip(NEXT) | instid1(SALU_CYCLE_1)
	s_bitset1_b32 s0, 10
	s_mov_b32 m0, s0
	s_sendmsg sendmsg(MSG_INTERRUPT)
	s_mov_b32 m0, ttmp2
.LBB161_1322:                           ; =>This Inner Loop Header: Depth=1
	s_sethalt 5
	s_branch .LBB161_1322
.LBB161_1323:
	s_or_saveexec_b32 s9, s9
                                        ; implicit-def: $sgpr10
	s_delay_alu instid0(SALU_CYCLE_1)
	s_xor_b32 exec_lo, exec_lo, s9
	s_cbranch_execz .LBB161_999
.LBB161_1324:
	v_add_f32_e64 v3, 0x42800000, |v0|
	s_and_not1_b32 s8, s8, exec_lo
	s_mov_b32 s10, 0
	s_delay_alu instid0(VALU_DEP_1) | instskip(NEXT) | instid1(VALU_DEP_1)
	v_and_b32_e32 v3, 0xff, v3
	v_cmp_ne_u32_e32 vcc_lo, 0, v3
	s_and_b32 s11, vcc_lo, exec_lo
	s_delay_alu instid0(SALU_CYCLE_1)
	s_or_b32 s8, s8, s11
	s_or_b32 exec_lo, exec_lo, s9
	v_mov_b32_e32 v6, s10
	s_and_saveexec_b32 s9, s8
	s_cbranch_execnz .LBB161_1000
	s_branch .LBB161_1001
.LBB161_1325:
	s_mov_b32 s1, -1
.LBB161_1326:
                                        ; implicit-def: $vgpr8
.LBB161_1327:
	s_and_b32 vcc_lo, exec_lo, s11
	s_cbranch_vccz .LBB161_1331
; %bb.1328:
	v_cmp_eq_u16_e32 vcc_lo, 44, v9
	s_cbranch_vccz .LBB161_1330
; %bb.1329:
	global_load_u8 v8, v[6:7], off
	s_mov_b32 s1, 0
	s_mov_b32 s10, -1
	s_waitcnt vmcnt(0)
	v_lshlrev_b32_e32 v11, 23, v8
	v_cmp_ne_u32_e32 vcc_lo, 0xff, v8
	s_delay_alu instid0(VALU_DEP_2) | instskip(NEXT) | instid1(VALU_DEP_1)
	v_cvt_f16_f32_e32 v11, v11
	v_cndmask_b32_e32 v11, 0x7e00, v11, vcc_lo
	v_cmp_ne_u32_e32 vcc_lo, 0, v8
	s_delay_alu instid0(VALU_DEP_2)
	v_cndmask_b32_e32 v8, 0, v11, vcc_lo
	s_branch .LBB161_1331
.LBB161_1330:
	s_mov_b32 s1, -1
                                        ; implicit-def: $vgpr8
.LBB161_1331:
	s_mov_b32 s11, 0
.LBB161_1332:
	s_delay_alu instid0(SALU_CYCLE_1)
	s_and_b32 vcc_lo, exec_lo, s11
	s_cbranch_vccz .LBB161_1336
; %bb.1333:
	v_cmp_eq_u16_e32 vcc_lo, 29, v9
	s_cbranch_vccz .LBB161_1335
; %bb.1334:
	global_load_b64 v[11:12], v[6:7], off
	s_mov_b32 s1, 0
	s_mov_b32 s10, -1
	s_mov_b32 s11, 0
	s_waitcnt vmcnt(0)
	v_clz_i32_u32_e32 v8, v12
	s_delay_alu instid0(VALU_DEP_1) | instskip(NEXT) | instid1(VALU_DEP_1)
	v_min_u32_e32 v8, 32, v8
	v_lshlrev_b64 v[11:12], v8, v[11:12]
	v_sub_nc_u32_e32 v8, 32, v8
	s_delay_alu instid0(VALU_DEP_2) | instskip(NEXT) | instid1(VALU_DEP_1)
	v_min_u32_e32 v11, 1, v11
	v_or_b32_e32 v11, v12, v11
	s_delay_alu instid0(VALU_DEP_1) | instskip(NEXT) | instid1(VALU_DEP_1)
	v_cvt_f32_u32_e32 v11, v11
	v_ldexp_f32 v8, v11, v8
	s_delay_alu instid0(VALU_DEP_1)
	v_cvt_f16_f32_e32 v8, v8
	s_branch .LBB161_1337
.LBB161_1335:
	s_mov_b32 s1, -1
                                        ; implicit-def: $vgpr8
.LBB161_1336:
	s_mov_b32 s11, 0
.LBB161_1337:
	s_delay_alu instid0(SALU_CYCLE_1)
	s_and_b32 vcc_lo, exec_lo, s11
	s_cbranch_vccz .LBB161_1355
; %bb.1338:
	v_cmp_gt_i16_e32 vcc_lo, 27, v9
	s_cbranch_vccnz .LBB161_1341
; %bb.1339:
	v_cmp_lt_i16_e32 vcc_lo, 27, v9
	s_cbranch_vccz .LBB161_1342
; %bb.1340:
	global_load_b32 v8, v[6:7], off
	s_mov_b32 s10, 0
	s_waitcnt vmcnt(0)
	v_cvt_f32_u32_e32 v8, v8
	s_delay_alu instid0(VALU_DEP_1)
	v_cvt_f16_f32_e32 v8, v8
	s_branch .LBB161_1343
.LBB161_1341:
	s_mov_b32 s10, -1
                                        ; implicit-def: $vgpr8
	s_branch .LBB161_1346
.LBB161_1342:
	s_mov_b32 s10, -1
                                        ; implicit-def: $vgpr8
.LBB161_1343:
	s_delay_alu instid0(SALU_CYCLE_1)
	s_and_not1_b32 vcc_lo, exec_lo, s10
	s_cbranch_vccnz .LBB161_1345
; %bb.1344:
	global_load_u16 v8, v[6:7], off
	s_waitcnt vmcnt(0)
	v_cvt_f16_u16_e32 v8, v8
.LBB161_1345:
	s_mov_b32 s10, 0
.LBB161_1346:
	s_delay_alu instid0(SALU_CYCLE_1)
	s_and_not1_b32 vcc_lo, exec_lo, s10
	s_cbranch_vccnz .LBB161_1354
; %bb.1347:
	global_load_u8 v11, v[6:7], off
	s_mov_b32 s10, 0
	s_mov_b32 s12, exec_lo
                                        ; implicit-def: $sgpr11
	s_waitcnt vmcnt(0)
	v_cmpx_lt_i16_e32 0x7f, v11
	s_xor_b32 s12, exec_lo, s12
	s_cbranch_execz .LBB161_1367
; %bb.1348:
	s_mov_b32 s10, -1
	s_mov_b32 s13, exec_lo
                                        ; implicit-def: $sgpr11
	v_cmpx_eq_u16_e32 0x80, v11
; %bb.1349:
	s_movk_i32 s11, 0x7e00
	s_xor_b32 s10, exec_lo, -1
; %bb.1350:
	s_or_b32 exec_lo, exec_lo, s13
	s_delay_alu instid0(SALU_CYCLE_1)
	s_and_b32 s10, s10, exec_lo
	s_or_saveexec_b32 s12, s12
	v_mov_b32_e32 v8, s11
	s_xor_b32 exec_lo, exec_lo, s12
	s_cbranch_execnz .LBB161_1368
.LBB161_1351:
	s_or_b32 exec_lo, exec_lo, s12
	s_and_saveexec_b32 s11, s10
	s_cbranch_execz .LBB161_1353
.LBB161_1352:
	v_and_b32_e32 v8, 0xffff, v11
	s_delay_alu instid0(VALU_DEP_1) | instskip(NEXT) | instid1(VALU_DEP_1)
	v_and_b32_e32 v12, 7, v8
	v_clz_i32_u32_e32 v13, v12
	s_delay_alu instid0(VALU_DEP_1) | instskip(NEXT) | instid1(VALU_DEP_1)
	v_min_u32_e32 v13, 32, v13
	v_subrev_nc_u32_e32 v14, 28, v13
	v_sub_nc_u32_e32 v13, 29, v13
	s_delay_alu instid0(VALU_DEP_2) | instskip(SKIP_1) | instid1(VALU_DEP_2)
	v_lshlrev_b32_e32 v14, v14, v8
	v_bfe_u32 v8, v8, 3, 4
	v_and_b32_e32 v14, 7, v14
	s_delay_alu instid0(VALU_DEP_2) | instskip(SKIP_1) | instid1(VALU_DEP_1)
	v_cmp_eq_u32_e32 vcc_lo, 0, v8
	v_dual_cndmask_b32 v8, v8, v13 :: v_dual_lshlrev_b32 v11, 24, v11
	v_dual_cndmask_b32 v12, v12, v14 :: v_dual_and_b32 v11, 0x80000000, v11
	s_delay_alu instid0(VALU_DEP_2) | instskip(NEXT) | instid1(VALU_DEP_2)
	v_lshl_add_u32 v8, v8, 23, 0x3b800000
	v_lshlrev_b32_e32 v12, 20, v12
	s_delay_alu instid0(VALU_DEP_1) | instskip(NEXT) | instid1(VALU_DEP_1)
	v_or3_b32 v8, v11, v8, v12
	v_cvt_f16_f32_e32 v8, v8
.LBB161_1353:
	s_or_b32 exec_lo, exec_lo, s11
.LBB161_1354:
	s_mov_b32 s10, -1
.LBB161_1355:
	s_branch .LBB161_1388
.LBB161_1356:
	v_cmp_lt_i16_e32 vcc_lo, 22, v9
	s_cbranch_vccz .LBB161_1366
; %bb.1357:
	v_cmp_gt_i16_e32 vcc_lo, 24, v9
	s_cbranch_vccnz .LBB161_1369
; %bb.1358:
	v_cmp_lt_i16_e32 vcc_lo, 24, v9
	s_cbranch_vccz .LBB161_1370
; %bb.1359:
	global_load_u8 v11, v[6:7], off
	s_mov_b32 s11, exec_lo
                                        ; implicit-def: $sgpr10
	s_waitcnt vmcnt(0)
	v_cmpx_lt_i16_e32 0x7f, v11
	s_xor_b32 s11, exec_lo, s11
	s_cbranch_execz .LBB161_1382
; %bb.1360:
	s_mov_b32 s3, -1
	s_mov_b32 s12, exec_lo
                                        ; implicit-def: $sgpr10
	v_cmpx_eq_u16_e32 0x80, v11
; %bb.1361:
	s_movk_i32 s10, 0x7e00
	s_xor_b32 s3, exec_lo, -1
; %bb.1362:
	s_or_b32 exec_lo, exec_lo, s12
	s_delay_alu instid0(SALU_CYCLE_1)
	s_and_b32 s3, s3, exec_lo
	s_or_saveexec_b32 s11, s11
	v_mov_b32_e32 v8, s10
	s_xor_b32 exec_lo, exec_lo, s11
	s_cbranch_execnz .LBB161_1383
.LBB161_1363:
	s_or_b32 exec_lo, exec_lo, s11
	s_and_saveexec_b32 s10, s3
	s_cbranch_execz .LBB161_1365
.LBB161_1364:
	v_and_b32_e32 v8, 0xffff, v11
	s_delay_alu instid0(VALU_DEP_1) | instskip(NEXT) | instid1(VALU_DEP_1)
	v_and_b32_e32 v12, 3, v8
	v_clz_i32_u32_e32 v13, v12
	s_delay_alu instid0(VALU_DEP_1) | instskip(NEXT) | instid1(VALU_DEP_1)
	v_min_u32_e32 v13, 32, v13
	v_subrev_nc_u32_e32 v14, 29, v13
	v_sub_nc_u32_e32 v13, 30, v13
	s_delay_alu instid0(VALU_DEP_2) | instskip(SKIP_1) | instid1(VALU_DEP_2)
	v_lshlrev_b32_e32 v14, v14, v8
	v_bfe_u32 v8, v8, 2, 5
	v_and_b32_e32 v14, 3, v14
	s_delay_alu instid0(VALU_DEP_2) | instskip(SKIP_1) | instid1(VALU_DEP_1)
	v_cmp_eq_u32_e32 vcc_lo, 0, v8
	v_dual_cndmask_b32 v8, v8, v13 :: v_dual_lshlrev_b32 v11, 24, v11
	v_dual_cndmask_b32 v12, v12, v14 :: v_dual_and_b32 v11, 0x80000000, v11
	s_delay_alu instid0(VALU_DEP_2) | instskip(NEXT) | instid1(VALU_DEP_2)
	v_lshl_add_u32 v8, v8, 23, 0x37800000
	v_lshlrev_b32_e32 v12, 21, v12
	s_delay_alu instid0(VALU_DEP_1) | instskip(NEXT) | instid1(VALU_DEP_1)
	v_or3_b32 v8, v11, v8, v12
	v_cvt_f16_f32_e32 v8, v8
.LBB161_1365:
	s_or_b32 exec_lo, exec_lo, s10
	s_mov_b32 s3, 0
	s_branch .LBB161_1371
.LBB161_1366:
	s_mov_b32 s3, -1
                                        ; implicit-def: $vgpr8
	s_branch .LBB161_1377
.LBB161_1367:
	s_or_saveexec_b32 s12, s12
	v_mov_b32_e32 v8, s11
	s_xor_b32 exec_lo, exec_lo, s12
	s_cbranch_execz .LBB161_1351
.LBB161_1368:
	v_cmp_ne_u16_e32 vcc_lo, 0, v11
	v_mov_b32_e32 v8, v11
	s_and_not1_b32 s10, s10, exec_lo
	s_and_b32 s11, vcc_lo, exec_lo
	s_delay_alu instid0(SALU_CYCLE_1)
	s_or_b32 s10, s10, s11
	s_or_b32 exec_lo, exec_lo, s12
	s_and_saveexec_b32 s11, s10
	s_cbranch_execnz .LBB161_1352
	s_branch .LBB161_1353
.LBB161_1369:
	s_mov_b32 s3, -1
                                        ; implicit-def: $vgpr8
	s_branch .LBB161_1374
.LBB161_1370:
	s_mov_b32 s3, -1
                                        ; implicit-def: $vgpr8
.LBB161_1371:
	s_delay_alu instid0(SALU_CYCLE_1)
	s_and_b32 vcc_lo, exec_lo, s3
	s_cbranch_vccz .LBB161_1373
; %bb.1372:
	global_load_u8 v8, v[6:7], off
	s_waitcnt vmcnt(0)
	v_lshlrev_b32_e32 v8, 24, v8
	s_delay_alu instid0(VALU_DEP_1) | instskip(NEXT) | instid1(VALU_DEP_1)
	v_and_b32_e32 v11, 0x7f000000, v8
	v_clz_i32_u32_e32 v12, v11
	v_cmp_ne_u32_e32 vcc_lo, 0, v11
	v_add_nc_u32_e32 v14, 0x1000000, v11
	s_delay_alu instid0(VALU_DEP_3) | instskip(NEXT) | instid1(VALU_DEP_1)
	v_min_u32_e32 v12, 32, v12
	v_sub_nc_u32_e64 v12, v12, 4 clamp
	s_delay_alu instid0(VALU_DEP_1) | instskip(SKIP_1) | instid1(VALU_DEP_2)
	v_lshlrev_b32_e32 v13, v12, v11
	v_lshlrev_b32_e32 v12, 23, v12
	v_lshrrev_b32_e32 v13, 4, v13
	s_delay_alu instid0(VALU_DEP_1) | instskip(SKIP_1) | instid1(VALU_DEP_2)
	v_sub_nc_u32_e32 v12, v13, v12
	v_ashrrev_i32_e32 v13, 8, v14
	v_add_nc_u32_e32 v12, 0x3c000000, v12
	s_delay_alu instid0(VALU_DEP_1) | instskip(NEXT) | instid1(VALU_DEP_1)
	v_and_or_b32 v12, 0x7f800000, v13, v12
	v_cndmask_b32_e32 v11, 0, v12, vcc_lo
	s_delay_alu instid0(VALU_DEP_1) | instskip(NEXT) | instid1(VALU_DEP_1)
	v_and_or_b32 v8, 0x80000000, v8, v11
	v_cvt_f16_f32_e32 v8, v8
.LBB161_1373:
	s_mov_b32 s3, 0
.LBB161_1374:
	s_delay_alu instid0(SALU_CYCLE_1)
	s_and_not1_b32 vcc_lo, exec_lo, s3
	s_cbranch_vccnz .LBB161_1376
; %bb.1375:
	global_load_u8 v8, v[6:7], off
	s_waitcnt vmcnt(0)
	v_lshlrev_b32_e32 v11, 25, v8
	v_lshlrev_b16 v8, 8, v8
	s_delay_alu instid0(VALU_DEP_2) | instskip(NEXT) | instid1(VALU_DEP_2)
	v_lshrrev_b32_e32 v12, 4, v11
	v_and_or_b32 v13, 0x7f00, v8, 0.5
	v_cmp_gt_u32_e32 vcc_lo, 0x8000000, v11
	v_bfe_i32 v8, v8, 0, 16
	s_delay_alu instid0(VALU_DEP_4) | instskip(NEXT) | instid1(VALU_DEP_1)
	v_or_b32_e32 v12, 0x70000000, v12
	v_dual_add_f32 v13, -0.5, v13 :: v_dual_mul_f32 v12, 0x7800000, v12
	s_delay_alu instid0(VALU_DEP_1) | instskip(NEXT) | instid1(VALU_DEP_1)
	v_cndmask_b32_e32 v11, v12, v13, vcc_lo
	v_and_or_b32 v8, 0x80000000, v8, v11
	s_delay_alu instid0(VALU_DEP_1)
	v_cvt_f16_f32_e32 v8, v8
.LBB161_1376:
	s_mov_b32 s3, 0
	s_mov_b32 s10, -1
.LBB161_1377:
	s_and_not1_b32 vcc_lo, exec_lo, s3
	s_mov_b32 s3, 0
	s_cbranch_vccnz .LBB161_1388
; %bb.1378:
	v_cmp_lt_i16_e32 vcc_lo, 14, v9
	s_cbranch_vccz .LBB161_1381
; %bb.1379:
	v_cmp_eq_u16_e32 vcc_lo, 15, v9
	s_cbranch_vccz .LBB161_1384
; %bb.1380:
	global_load_u16 v8, v[6:7], off
	s_mov_b32 s1, 0
	s_mov_b32 s10, -1
	s_waitcnt vmcnt(0)
	v_lshlrev_b32_e32 v8, 16, v8
	s_delay_alu instid0(VALU_DEP_1)
	v_cvt_f16_f32_e32 v8, v8
	s_branch .LBB161_1386
.LBB161_1381:
	s_mov_b32 s3, -1
	s_branch .LBB161_1385
.LBB161_1382:
	s_or_saveexec_b32 s11, s11
	v_mov_b32_e32 v8, s10
	s_xor_b32 exec_lo, exec_lo, s11
	s_cbranch_execz .LBB161_1363
.LBB161_1383:
	v_cmp_ne_u16_e32 vcc_lo, 0, v11
	v_mov_b32_e32 v8, v11
	s_and_not1_b32 s3, s3, exec_lo
	s_and_b32 s10, vcc_lo, exec_lo
	s_delay_alu instid0(SALU_CYCLE_1)
	s_or_b32 s3, s3, s10
	s_or_b32 exec_lo, exec_lo, s11
	s_and_saveexec_b32 s10, s3
	s_cbranch_execnz .LBB161_1364
	s_branch .LBB161_1365
.LBB161_1384:
	s_mov_b32 s1, -1
.LBB161_1385:
                                        ; implicit-def: $vgpr8
.LBB161_1386:
	s_and_b32 vcc_lo, exec_lo, s3
	s_mov_b32 s3, 0
	s_cbranch_vccz .LBB161_1388
; %bb.1387:
	v_cmp_ne_u16_e64 s1, 11, v9
	s_mov_b32 s3, -1
                                        ; implicit-def: $vgpr8
.LBB161_1388:
	s_delay_alu instid0(VALU_DEP_1)
	s_and_b32 vcc_lo, exec_lo, s1
	s_cbranch_vccnz .LBB161_1412
; %bb.1389:
	s_and_not1_b32 vcc_lo, exec_lo, s3
	s_cbranch_vccnz .LBB161_1391
.LBB161_1390:
	global_load_u8 v8, v[6:7], off
	s_mov_b32 s10, -1
	s_waitcnt vmcnt(0)
	v_cmp_ne_u16_e32 vcc_lo, 0, v8
	v_cndmask_b32_e64 v8, 0, 0x3c00, vcc_lo
.LBB161_1391:
.LBB161_1392:
	s_and_not1_b32 vcc_lo, exec_lo, s10
	s_cbranch_vccnz .LBB161_2090
.LBB161_1393:
	v_cmp_gt_i16_e32 vcc_lo, 11, v9
	v_add_co_u32 v5, s1, s6, v5
	s_delay_alu instid0(VALU_DEP_1)
	v_add_co_ci_u32_e64 v6, null, s7, 0, s1
	s_mov_b32 s10, 0
	s_cbranch_vccnz .LBB161_1400
; %bb.1394:
	v_cmp_lt_i16_e32 vcc_lo, 25, v9
	s_mov_b32 s3, 0
	s_cbranch_vccz .LBB161_1406
; %bb.1395:
	v_cmp_lt_i16_e32 vcc_lo, 28, v9
	s_cbranch_vccz .LBB161_1408
; %bb.1396:
	v_cmp_lt_i16_e32 vcc_lo, 43, v9
	;; [unrolled: 3-line block ×3, first 2 shown]
	s_cbranch_vccz .LBB161_1414
; %bb.1398:
	v_cmp_eq_u16_e32 vcc_lo, 46, v9
	s_mov_b32 s11, 0
	s_cbranch_vccz .LBB161_1457
; %bb.1399:
	global_load_b32 v7, v[5:6], off
	s_mov_b32 s1, 0
	s_mov_b32 s10, -1
	s_waitcnt vmcnt(0)
	v_lshlrev_b32_e32 v7, 16, v7
	s_delay_alu instid0(VALU_DEP_1)
	v_cvt_f16_f32_e32 v7, v7
	s_branch .LBB161_1459
.LBB161_1400:
                                        ; implicit-def: $vgpr7
	s_cbranch_execz .LBB161_1525
; %bb.1401:
	v_cmp_gt_i16_e32 vcc_lo, 5, v9
	s_cbranch_vccnz .LBB161_1407
; %bb.1402:
	v_cmp_gt_i16_e32 vcc_lo, 8, v9
	s_cbranch_vccnz .LBB161_1409
	;; [unrolled: 3-line block ×3, first 2 shown]
; %bb.1404:
	v_cmp_lt_i16_e32 vcc_lo, 9, v9
	s_cbranch_vccz .LBB161_1415
; %bb.1405:
	global_load_b64 v[11:12], v[5:6], off
	s_mov_b32 s1, 0
	s_waitcnt vmcnt(0)
	v_cvt_f32_f64_e32 v7, v[11:12]
	s_delay_alu instid0(VALU_DEP_1)
	v_cvt_f16_f32_e32 v7, v7
	s_branch .LBB161_1416
.LBB161_1406:
	s_mov_b32 s11, -1
	s_mov_b32 s1, 0
                                        ; implicit-def: $vgpr7
	s_branch .LBB161_1488
.LBB161_1407:
	s_mov_b32 s1, -1
                                        ; implicit-def: $vgpr7
	s_branch .LBB161_1434
.LBB161_1408:
	s_mov_b32 s11, -1
	s_mov_b32 s1, 0
                                        ; implicit-def: $vgpr7
	s_branch .LBB161_1469
.LBB161_1409:
	s_mov_b32 s1, -1
                                        ; implicit-def: $vgpr7
	s_branch .LBB161_1422
.LBB161_1410:
	s_mov_b32 s11, -1
	s_mov_b32 s1, 0
                                        ; implicit-def: $vgpr7
	s_branch .LBB161_1464
.LBB161_1411:
	s_mov_b32 s1, -1
                                        ; implicit-def: $vgpr7
	s_branch .LBB161_1419
.LBB161_1412:
	s_cbranch_execnz .LBB161_1455
; %bb.1413:
	s_or_b32 s2, s2, exec_lo
                                        ; implicit-def: $vgpr8
	s_cbranch_execz .LBB161_1390
	s_branch .LBB161_1391
.LBB161_1414:
	s_mov_b32 s11, -1
	s_mov_b32 s1, 0
	s_branch .LBB161_1458
.LBB161_1415:
	s_mov_b32 s1, -1
                                        ; implicit-def: $vgpr7
.LBB161_1416:
	s_delay_alu instid0(SALU_CYCLE_1)
	s_and_not1_b32 vcc_lo, exec_lo, s1
	s_cbranch_vccnz .LBB161_1418
; %bb.1417:
	global_load_b32 v7, v[5:6], off
	s_waitcnt vmcnt(0)
	v_cvt_f16_f32_e32 v7, v7
.LBB161_1418:
	s_mov_b32 s1, 0
.LBB161_1419:
	s_delay_alu instid0(SALU_CYCLE_1)
	s_and_not1_b32 vcc_lo, exec_lo, s1
	s_cbranch_vccnz .LBB161_1421
; %bb.1420:
	global_load_b32 v7, v[5:6], off
.LBB161_1421:
	s_mov_b32 s1, 0
.LBB161_1422:
	s_delay_alu instid0(SALU_CYCLE_1)
	s_and_not1_b32 vcc_lo, exec_lo, s1
	s_cbranch_vccnz .LBB161_1433
; %bb.1423:
	v_cmp_gt_i16_e32 vcc_lo, 6, v9
	s_cbranch_vccnz .LBB161_1426
; %bb.1424:
	v_cmp_lt_i16_e32 vcc_lo, 6, v9
	s_cbranch_vccz .LBB161_1427
; %bb.1425:
	global_load_b64 v[11:12], v[5:6], off
	s_mov_b32 s1, 0
	s_waitcnt vmcnt(0)
	v_cvt_f32_f64_e32 v7, v[11:12]
	s_delay_alu instid0(VALU_DEP_1)
	v_cvt_f16_f32_e32 v7, v7
	s_branch .LBB161_1428
.LBB161_1426:
	s_mov_b32 s1, -1
                                        ; implicit-def: $vgpr7
	s_branch .LBB161_1431
.LBB161_1427:
	s_mov_b32 s1, -1
                                        ; implicit-def: $vgpr7
.LBB161_1428:
	s_delay_alu instid0(SALU_CYCLE_1)
	s_and_not1_b32 vcc_lo, exec_lo, s1
	s_cbranch_vccnz .LBB161_1430
; %bb.1429:
	global_load_b32 v7, v[5:6], off
	s_waitcnt vmcnt(0)
	v_cvt_f16_f32_e32 v7, v7
.LBB161_1430:
	s_mov_b32 s1, 0
.LBB161_1431:
	s_delay_alu instid0(SALU_CYCLE_1)
	s_and_not1_b32 vcc_lo, exec_lo, s1
	s_cbranch_vccnz .LBB161_1433
; %bb.1432:
	global_load_u16 v7, v[5:6], off
.LBB161_1433:
	s_mov_b32 s1, 0
.LBB161_1434:
	s_delay_alu instid0(SALU_CYCLE_1)
	s_and_not1_b32 vcc_lo, exec_lo, s1
	s_cbranch_vccnz .LBB161_1454
; %bb.1435:
	v_cmp_gt_i16_e32 vcc_lo, 2, v9
	s_cbranch_vccnz .LBB161_1439
; %bb.1436:
	v_cmp_gt_i16_e32 vcc_lo, 3, v9
	s_cbranch_vccnz .LBB161_1440
; %bb.1437:
	v_cmp_lt_i16_e32 vcc_lo, 3, v9
	s_cbranch_vccz .LBB161_1441
; %bb.1438:
	global_load_b64 v[11:12], v[5:6], off
	s_mov_b32 s1, 0
	s_waitcnt vmcnt(0)
	v_xor_b32_e32 v7, v11, v12
	v_cls_i32_e32 v13, v12
	s_delay_alu instid0(VALU_DEP_2) | instskip(NEXT) | instid1(VALU_DEP_2)
	v_ashrrev_i32_e32 v7, 31, v7
	v_add_nc_u32_e32 v13, -1, v13
	s_delay_alu instid0(VALU_DEP_2) | instskip(NEXT) | instid1(VALU_DEP_1)
	v_add_nc_u32_e32 v7, 32, v7
	v_min_u32_e32 v7, v13, v7
	s_delay_alu instid0(VALU_DEP_1) | instskip(SKIP_1) | instid1(VALU_DEP_2)
	v_lshlrev_b64 v[11:12], v7, v[11:12]
	v_sub_nc_u32_e32 v7, 32, v7
	v_min_u32_e32 v11, 1, v11
	s_delay_alu instid0(VALU_DEP_1) | instskip(NEXT) | instid1(VALU_DEP_1)
	v_or_b32_e32 v11, v12, v11
	v_cvt_f32_i32_e32 v11, v11
	s_delay_alu instid0(VALU_DEP_1) | instskip(NEXT) | instid1(VALU_DEP_1)
	v_ldexp_f32 v7, v11, v7
	v_cvt_f16_f32_e32 v7, v7
	s_branch .LBB161_1442
.LBB161_1439:
	s_mov_b32 s1, -1
                                        ; implicit-def: $vgpr7
	s_branch .LBB161_1448
.LBB161_1440:
	s_mov_b32 s1, -1
                                        ; implicit-def: $vgpr7
	s_branch .LBB161_1445
.LBB161_1441:
	s_mov_b32 s1, -1
                                        ; implicit-def: $vgpr7
.LBB161_1442:
	s_delay_alu instid0(SALU_CYCLE_1)
	s_and_not1_b32 vcc_lo, exec_lo, s1
	s_cbranch_vccnz .LBB161_1444
; %bb.1443:
	global_load_b32 v7, v[5:6], off
	s_waitcnt vmcnt(0)
	v_cvt_f32_i32_e32 v7, v7
	s_delay_alu instid0(VALU_DEP_1)
	v_cvt_f16_f32_e32 v7, v7
.LBB161_1444:
	s_mov_b32 s1, 0
.LBB161_1445:
	s_delay_alu instid0(SALU_CYCLE_1)
	s_and_not1_b32 vcc_lo, exec_lo, s1
	s_cbranch_vccnz .LBB161_1447
; %bb.1446:
	global_load_u16 v7, v[5:6], off
	s_waitcnt vmcnt(0)
	v_cvt_f16_i16_e32 v7, v7
.LBB161_1447:
	s_mov_b32 s1, 0
.LBB161_1448:
	s_delay_alu instid0(SALU_CYCLE_1)
	s_and_not1_b32 vcc_lo, exec_lo, s1
	s_cbranch_vccnz .LBB161_1454
; %bb.1449:
	v_cmp_lt_i16_e32 vcc_lo, 0, v9
	s_mov_b32 s1, 0
	s_cbranch_vccz .LBB161_1451
; %bb.1450:
	global_load_i8 v7, v[5:6], off
	s_waitcnt vmcnt(0)
	v_cvt_f16_i16_e32 v7, v7
	s_branch .LBB161_1452
.LBB161_1451:
	s_mov_b32 s1, -1
                                        ; implicit-def: $vgpr7
.LBB161_1452:
	s_delay_alu instid0(SALU_CYCLE_1)
	s_and_not1_b32 vcc_lo, exec_lo, s1
	s_cbranch_vccnz .LBB161_1454
; %bb.1453:
	global_load_u8 v5, v[5:6], off
	s_waitcnt vmcnt(0)
	v_cvt_f16_u16_e32 v7, v5
.LBB161_1454:
	s_branch .LBB161_1526
.LBB161_1455:
	s_trap 2
	s_sendmsg_rtn_b32 s0, sendmsg(MSG_RTN_GET_DOORBELL)
	s_mov_b32 ttmp2, m0
	s_waitcnt lgkmcnt(0)
	s_and_b32 s0, s0, 0x3ff
	s_delay_alu instid0(SALU_CYCLE_1) | instskip(NEXT) | instid1(SALU_CYCLE_1)
	s_bitset1_b32 s0, 10
	s_mov_b32 m0, s0
	s_sendmsg sendmsg(MSG_INTERRUPT)
	s_mov_b32 m0, ttmp2
.LBB161_1456:                           ; =>This Inner Loop Header: Depth=1
	s_sethalt 5
	s_branch .LBB161_1456
.LBB161_1457:
	s_mov_b32 s1, -1
.LBB161_1458:
                                        ; implicit-def: $vgpr7
.LBB161_1459:
	s_and_b32 vcc_lo, exec_lo, s11
	s_cbranch_vccz .LBB161_1463
; %bb.1460:
	v_cmp_eq_u16_e32 vcc_lo, 44, v9
	s_cbranch_vccz .LBB161_1462
; %bb.1461:
	global_load_u8 v7, v[5:6], off
	s_mov_b32 s1, 0
	s_mov_b32 s10, -1
	s_waitcnt vmcnt(0)
	v_lshlrev_b32_e32 v11, 23, v7
	v_cmp_ne_u32_e32 vcc_lo, 0xff, v7
	s_delay_alu instid0(VALU_DEP_2) | instskip(NEXT) | instid1(VALU_DEP_1)
	v_cvt_f16_f32_e32 v11, v11
	v_cndmask_b32_e32 v11, 0x7e00, v11, vcc_lo
	v_cmp_ne_u32_e32 vcc_lo, 0, v7
	s_delay_alu instid0(VALU_DEP_2)
	v_cndmask_b32_e32 v7, 0, v11, vcc_lo
	s_branch .LBB161_1463
.LBB161_1462:
	s_mov_b32 s1, -1
                                        ; implicit-def: $vgpr7
.LBB161_1463:
	s_mov_b32 s11, 0
.LBB161_1464:
	s_delay_alu instid0(SALU_CYCLE_1)
	s_and_b32 vcc_lo, exec_lo, s11
	s_cbranch_vccz .LBB161_1468
; %bb.1465:
	v_cmp_eq_u16_e32 vcc_lo, 29, v9
	s_cbranch_vccz .LBB161_1467
; %bb.1466:
	global_load_b64 v[11:12], v[5:6], off
	s_mov_b32 s1, 0
	s_mov_b32 s10, -1
	s_mov_b32 s11, 0
	s_waitcnt vmcnt(0)
	v_clz_i32_u32_e32 v7, v12
	s_delay_alu instid0(VALU_DEP_1) | instskip(NEXT) | instid1(VALU_DEP_1)
	v_min_u32_e32 v7, 32, v7
	v_lshlrev_b64 v[11:12], v7, v[11:12]
	v_sub_nc_u32_e32 v7, 32, v7
	s_delay_alu instid0(VALU_DEP_2) | instskip(NEXT) | instid1(VALU_DEP_1)
	v_min_u32_e32 v11, 1, v11
	v_or_b32_e32 v11, v12, v11
	s_delay_alu instid0(VALU_DEP_1) | instskip(NEXT) | instid1(VALU_DEP_1)
	v_cvt_f32_u32_e32 v11, v11
	v_ldexp_f32 v7, v11, v7
	s_delay_alu instid0(VALU_DEP_1)
	v_cvt_f16_f32_e32 v7, v7
	s_branch .LBB161_1469
.LBB161_1467:
	s_mov_b32 s1, -1
                                        ; implicit-def: $vgpr7
.LBB161_1468:
	s_mov_b32 s11, 0
.LBB161_1469:
	s_delay_alu instid0(SALU_CYCLE_1)
	s_and_b32 vcc_lo, exec_lo, s11
	s_cbranch_vccz .LBB161_1487
; %bb.1470:
	v_cmp_gt_i16_e32 vcc_lo, 27, v9
	s_cbranch_vccnz .LBB161_1473
; %bb.1471:
	v_cmp_lt_i16_e32 vcc_lo, 27, v9
	s_cbranch_vccz .LBB161_1474
; %bb.1472:
	global_load_b32 v7, v[5:6], off
	s_mov_b32 s10, 0
	s_waitcnt vmcnt(0)
	v_cvt_f32_u32_e32 v7, v7
	s_delay_alu instid0(VALU_DEP_1)
	v_cvt_f16_f32_e32 v7, v7
	s_branch .LBB161_1475
.LBB161_1473:
	s_mov_b32 s10, -1
                                        ; implicit-def: $vgpr7
	s_branch .LBB161_1478
.LBB161_1474:
	s_mov_b32 s10, -1
                                        ; implicit-def: $vgpr7
.LBB161_1475:
	s_delay_alu instid0(SALU_CYCLE_1)
	s_and_not1_b32 vcc_lo, exec_lo, s10
	s_cbranch_vccnz .LBB161_1477
; %bb.1476:
	global_load_u16 v7, v[5:6], off
	s_waitcnt vmcnt(0)
	v_cvt_f16_u16_e32 v7, v7
.LBB161_1477:
	s_mov_b32 s10, 0
.LBB161_1478:
	s_delay_alu instid0(SALU_CYCLE_1)
	s_and_not1_b32 vcc_lo, exec_lo, s10
	s_cbranch_vccnz .LBB161_1486
; %bb.1479:
	global_load_u8 v11, v[5:6], off
	s_mov_b32 s10, 0
	s_mov_b32 s12, exec_lo
                                        ; implicit-def: $sgpr11
	s_waitcnt vmcnt(0)
	v_cmpx_lt_i16_e32 0x7f, v11
	s_xor_b32 s12, exec_lo, s12
	s_cbranch_execz .LBB161_1500
; %bb.1480:
	s_mov_b32 s10, -1
	s_mov_b32 s13, exec_lo
                                        ; implicit-def: $sgpr11
	v_cmpx_eq_u16_e32 0x80, v11
; %bb.1481:
	s_movk_i32 s11, 0x7e00
	s_xor_b32 s10, exec_lo, -1
; %bb.1482:
	s_or_b32 exec_lo, exec_lo, s13
	s_delay_alu instid0(SALU_CYCLE_1)
	s_and_b32 s10, s10, exec_lo
	s_or_saveexec_b32 s12, s12
	v_mov_b32_e32 v7, s11
	s_xor_b32 exec_lo, exec_lo, s12
	s_cbranch_execnz .LBB161_1501
.LBB161_1483:
	s_or_b32 exec_lo, exec_lo, s12
	s_and_saveexec_b32 s11, s10
	s_cbranch_execz .LBB161_1485
.LBB161_1484:
	v_and_b32_e32 v7, 0xffff, v11
	v_lshlrev_b32_e32 v11, 24, v11
	s_delay_alu instid0(VALU_DEP_2) | instskip(NEXT) | instid1(VALU_DEP_2)
	v_and_b32_e32 v12, 7, v7
	v_and_b32_e32 v11, 0x80000000, v11
	s_delay_alu instid0(VALU_DEP_2) | instskip(NEXT) | instid1(VALU_DEP_1)
	v_clz_i32_u32_e32 v13, v12
	v_min_u32_e32 v13, 32, v13
	s_delay_alu instid0(VALU_DEP_1) | instskip(SKIP_1) | instid1(VALU_DEP_2)
	v_subrev_nc_u32_e32 v14, 28, v13
	v_sub_nc_u32_e32 v13, 29, v13
	v_lshlrev_b32_e32 v14, v14, v7
	v_bfe_u32 v7, v7, 3, 4
	s_delay_alu instid0(VALU_DEP_2) | instskip(NEXT) | instid1(VALU_DEP_2)
	v_and_b32_e32 v14, 7, v14
	v_cmp_eq_u32_e32 vcc_lo, 0, v7
	s_delay_alu instid0(VALU_DEP_2) | instskip(NEXT) | instid1(VALU_DEP_1)
	v_dual_cndmask_b32 v7, v7, v13 :: v_dual_cndmask_b32 v12, v12, v14
	v_lshl_add_u32 v7, v7, 23, 0x3b800000
	s_delay_alu instid0(VALU_DEP_2) | instskip(NEXT) | instid1(VALU_DEP_1)
	v_lshlrev_b32_e32 v12, 20, v12
	v_or3_b32 v7, v11, v7, v12
	s_delay_alu instid0(VALU_DEP_1)
	v_cvt_f16_f32_e32 v7, v7
.LBB161_1485:
	s_or_b32 exec_lo, exec_lo, s11
.LBB161_1486:
	s_mov_b32 s10, -1
.LBB161_1487:
	s_mov_b32 s11, 0
.LBB161_1488:
	s_delay_alu instid0(SALU_CYCLE_1)
	s_and_b32 vcc_lo, exec_lo, s11
	s_cbranch_vccz .LBB161_1521
; %bb.1489:
	v_cmp_lt_i16_e32 vcc_lo, 22, v9
	s_cbranch_vccz .LBB161_1499
; %bb.1490:
	v_cmp_gt_i16_e32 vcc_lo, 24, v9
	s_cbranch_vccnz .LBB161_1502
; %bb.1491:
	v_cmp_lt_i16_e32 vcc_lo, 24, v9
	s_cbranch_vccz .LBB161_1503
; %bb.1492:
	global_load_u8 v11, v[5:6], off
	s_mov_b32 s11, exec_lo
                                        ; implicit-def: $sgpr10
	s_waitcnt vmcnt(0)
	v_cmpx_lt_i16_e32 0x7f, v11
	s_xor_b32 s11, exec_lo, s11
	s_cbranch_execz .LBB161_1515
; %bb.1493:
	s_mov_b32 s3, -1
	s_mov_b32 s12, exec_lo
                                        ; implicit-def: $sgpr10
	v_cmpx_eq_u16_e32 0x80, v11
; %bb.1494:
	s_movk_i32 s10, 0x7e00
	s_xor_b32 s3, exec_lo, -1
; %bb.1495:
	s_or_b32 exec_lo, exec_lo, s12
	s_delay_alu instid0(SALU_CYCLE_1)
	s_and_b32 s3, s3, exec_lo
	s_or_saveexec_b32 s11, s11
	v_mov_b32_e32 v7, s10
	s_xor_b32 exec_lo, exec_lo, s11
	s_cbranch_execnz .LBB161_1516
.LBB161_1496:
	s_or_b32 exec_lo, exec_lo, s11
	s_and_saveexec_b32 s10, s3
	s_cbranch_execz .LBB161_1498
.LBB161_1497:
	v_and_b32_e32 v7, 0xffff, v11
	v_lshlrev_b32_e32 v11, 24, v11
	s_delay_alu instid0(VALU_DEP_2) | instskip(NEXT) | instid1(VALU_DEP_2)
	v_and_b32_e32 v12, 3, v7
	v_and_b32_e32 v11, 0x80000000, v11
	s_delay_alu instid0(VALU_DEP_2) | instskip(NEXT) | instid1(VALU_DEP_1)
	v_clz_i32_u32_e32 v13, v12
	v_min_u32_e32 v13, 32, v13
	s_delay_alu instid0(VALU_DEP_1) | instskip(SKIP_1) | instid1(VALU_DEP_2)
	v_subrev_nc_u32_e32 v14, 29, v13
	v_sub_nc_u32_e32 v13, 30, v13
	v_lshlrev_b32_e32 v14, v14, v7
	v_bfe_u32 v7, v7, 2, 5
	s_delay_alu instid0(VALU_DEP_2) | instskip(NEXT) | instid1(VALU_DEP_2)
	v_and_b32_e32 v14, 3, v14
	v_cmp_eq_u32_e32 vcc_lo, 0, v7
	s_delay_alu instid0(VALU_DEP_2) | instskip(NEXT) | instid1(VALU_DEP_1)
	v_dual_cndmask_b32 v7, v7, v13 :: v_dual_cndmask_b32 v12, v12, v14
	v_lshl_add_u32 v7, v7, 23, 0x37800000
	s_delay_alu instid0(VALU_DEP_2) | instskip(NEXT) | instid1(VALU_DEP_1)
	v_lshlrev_b32_e32 v12, 21, v12
	v_or3_b32 v7, v11, v7, v12
	s_delay_alu instid0(VALU_DEP_1)
	v_cvt_f16_f32_e32 v7, v7
.LBB161_1498:
	s_or_b32 exec_lo, exec_lo, s10
	s_mov_b32 s3, 0
	s_branch .LBB161_1504
.LBB161_1499:
	s_mov_b32 s3, -1
                                        ; implicit-def: $vgpr7
	s_branch .LBB161_1510
.LBB161_1500:
	s_or_saveexec_b32 s12, s12
	v_mov_b32_e32 v7, s11
	s_xor_b32 exec_lo, exec_lo, s12
	s_cbranch_execz .LBB161_1483
.LBB161_1501:
	v_cmp_ne_u16_e32 vcc_lo, 0, v11
	v_mov_b32_e32 v7, v11
	s_and_not1_b32 s10, s10, exec_lo
	s_and_b32 s11, vcc_lo, exec_lo
	s_delay_alu instid0(SALU_CYCLE_1)
	s_or_b32 s10, s10, s11
	s_or_b32 exec_lo, exec_lo, s12
	s_and_saveexec_b32 s11, s10
	s_cbranch_execnz .LBB161_1484
	s_branch .LBB161_1485
.LBB161_1502:
	s_mov_b32 s3, -1
                                        ; implicit-def: $vgpr7
	s_branch .LBB161_1507
.LBB161_1503:
	s_mov_b32 s3, -1
                                        ; implicit-def: $vgpr7
.LBB161_1504:
	s_delay_alu instid0(SALU_CYCLE_1)
	s_and_b32 vcc_lo, exec_lo, s3
	s_cbranch_vccz .LBB161_1506
; %bb.1505:
	global_load_u8 v7, v[5:6], off
	s_waitcnt vmcnt(0)
	v_lshlrev_b32_e32 v7, 24, v7
	s_delay_alu instid0(VALU_DEP_1) | instskip(NEXT) | instid1(VALU_DEP_1)
	v_and_b32_e32 v11, 0x7f000000, v7
	v_clz_i32_u32_e32 v12, v11
	v_cmp_ne_u32_e32 vcc_lo, 0, v11
	v_add_nc_u32_e32 v14, 0x1000000, v11
	s_delay_alu instid0(VALU_DEP_3) | instskip(NEXT) | instid1(VALU_DEP_1)
	v_min_u32_e32 v12, 32, v12
	v_sub_nc_u32_e64 v12, v12, 4 clamp
	s_delay_alu instid0(VALU_DEP_1) | instskip(SKIP_1) | instid1(VALU_DEP_2)
	v_lshlrev_b32_e32 v13, v12, v11
	v_lshlrev_b32_e32 v12, 23, v12
	v_lshrrev_b32_e32 v13, 4, v13
	s_delay_alu instid0(VALU_DEP_1) | instskip(SKIP_1) | instid1(VALU_DEP_2)
	v_sub_nc_u32_e32 v12, v13, v12
	v_ashrrev_i32_e32 v13, 8, v14
	v_add_nc_u32_e32 v12, 0x3c000000, v12
	s_delay_alu instid0(VALU_DEP_1) | instskip(NEXT) | instid1(VALU_DEP_1)
	v_and_or_b32 v12, 0x7f800000, v13, v12
	v_cndmask_b32_e32 v11, 0, v12, vcc_lo
	s_delay_alu instid0(VALU_DEP_1) | instskip(NEXT) | instid1(VALU_DEP_1)
	v_and_or_b32 v7, 0x80000000, v7, v11
	v_cvt_f16_f32_e32 v7, v7
.LBB161_1506:
	s_mov_b32 s3, 0
.LBB161_1507:
	s_delay_alu instid0(SALU_CYCLE_1)
	s_and_not1_b32 vcc_lo, exec_lo, s3
	s_cbranch_vccnz .LBB161_1509
; %bb.1508:
	global_load_u8 v7, v[5:6], off
	s_waitcnt vmcnt(0)
	v_lshlrev_b32_e32 v11, 25, v7
	v_lshlrev_b16 v7, 8, v7
	s_delay_alu instid0(VALU_DEP_2) | instskip(NEXT) | instid1(VALU_DEP_2)
	v_lshrrev_b32_e32 v12, 4, v11
	v_and_or_b32 v13, 0x7f00, v7, 0.5
	v_bfe_i32 v7, v7, 0, 16
	s_delay_alu instid0(VALU_DEP_3) | instskip(NEXT) | instid1(VALU_DEP_1)
	v_or_b32_e32 v12, 0x70000000, v12
	v_dual_add_f32 v13, -0.5, v13 :: v_dual_mul_f32 v12, 0x7800000, v12
	v_cmp_gt_u32_e32 vcc_lo, 0x8000000, v11
	s_delay_alu instid0(VALU_DEP_2) | instskip(NEXT) | instid1(VALU_DEP_1)
	v_cndmask_b32_e32 v11, v12, v13, vcc_lo
	v_and_or_b32 v7, 0x80000000, v7, v11
	s_delay_alu instid0(VALU_DEP_1)
	v_cvt_f16_f32_e32 v7, v7
.LBB161_1509:
	s_mov_b32 s3, 0
	s_mov_b32 s10, -1
.LBB161_1510:
	s_and_not1_b32 vcc_lo, exec_lo, s3
	s_mov_b32 s3, 0
	s_cbranch_vccnz .LBB161_1521
; %bb.1511:
	v_cmp_lt_i16_e32 vcc_lo, 14, v9
	s_cbranch_vccz .LBB161_1514
; %bb.1512:
	v_cmp_eq_u16_e32 vcc_lo, 15, v9
	s_cbranch_vccz .LBB161_1517
; %bb.1513:
	global_load_u16 v7, v[5:6], off
	s_mov_b32 s1, 0
	s_mov_b32 s10, -1
	s_waitcnt vmcnt(0)
	v_lshlrev_b32_e32 v7, 16, v7
	s_delay_alu instid0(VALU_DEP_1)
	v_cvt_f16_f32_e32 v7, v7
	s_branch .LBB161_1519
.LBB161_1514:
	s_mov_b32 s3, -1
	s_branch .LBB161_1518
.LBB161_1515:
	s_or_saveexec_b32 s11, s11
	v_mov_b32_e32 v7, s10
	s_xor_b32 exec_lo, exec_lo, s11
	s_cbranch_execz .LBB161_1496
.LBB161_1516:
	v_cmp_ne_u16_e32 vcc_lo, 0, v11
	v_mov_b32_e32 v7, v11
	s_and_not1_b32 s3, s3, exec_lo
	s_and_b32 s10, vcc_lo, exec_lo
	s_delay_alu instid0(SALU_CYCLE_1)
	s_or_b32 s3, s3, s10
	s_or_b32 exec_lo, exec_lo, s11
	s_and_saveexec_b32 s10, s3
	s_cbranch_execnz .LBB161_1497
	s_branch .LBB161_1498
.LBB161_1517:
	s_mov_b32 s1, -1
.LBB161_1518:
                                        ; implicit-def: $vgpr7
.LBB161_1519:
	s_and_b32 vcc_lo, exec_lo, s3
	s_mov_b32 s3, 0
	s_cbranch_vccz .LBB161_1521
; %bb.1520:
	v_cmp_ne_u16_e64 s1, 11, v9
	s_mov_b32 s3, -1
                                        ; implicit-def: $vgpr7
.LBB161_1521:
	s_delay_alu instid0(VALU_DEP_1)
	s_and_b32 vcc_lo, exec_lo, s1
	s_cbranch_vccnz .LBB161_1537
; %bb.1522:
	s_and_not1_b32 vcc_lo, exec_lo, s3
	s_cbranch_vccnz .LBB161_1524
.LBB161_1523:
	global_load_u8 v7, v[5:6], off
	s_mov_b32 s10, -1
	s_waitcnt vmcnt(0)
	v_cmp_ne_u16_e32 vcc_lo, 0, v7
	v_cndmask_b32_e64 v7, 0, 0x3c00, vcc_lo
.LBB161_1524:
.LBB161_1525:
	s_and_not1_b32 vcc_lo, exec_lo, s10
	s_cbranch_vccnz .LBB161_2090
.LBB161_1526:
	v_cmp_gt_i16_e32 vcc_lo, 11, v9
	v_add_co_u32 v4, s1, s6, v4
	s_delay_alu instid0(VALU_DEP_1)
	v_add_co_ci_u32_e64 v5, null, s7, 0, s1
	s_mov_b32 s6, 0
	s_cbranch_vccnz .LBB161_1533
; %bb.1527:
	v_cmp_lt_i16_e32 vcc_lo, 25, v9
	s_mov_b32 s3, 0
	s_cbranch_vccz .LBB161_1534
; %bb.1528:
	v_cmp_lt_i16_e32 vcc_lo, 28, v9
	s_cbranch_vccz .LBB161_1535
; %bb.1529:
	v_cmp_lt_i16_e32 vcc_lo, 43, v9
	s_cbranch_vccz .LBB161_1536
; %bb.1530:
	v_cmp_lt_i16_e32 vcc_lo, 45, v9
	s_cbranch_vccz .LBB161_1539
; %bb.1531:
	v_cmp_eq_u16_e32 vcc_lo, 46, v9
	s_mov_b32 s7, 0
	s_cbranch_vccz .LBB161_1542
; %bb.1532:
	global_load_b32 v6, v[4:5], off
	s_mov_b32 s1, 0
	s_mov_b32 s6, -1
	s_waitcnt vmcnt(0)
	v_lshlrev_b32_e32 v6, 16, v6
	s_delay_alu instid0(VALU_DEP_1)
	v_cvt_f16_f32_e32 v11, v6
	s_branch .LBB161_1544
.LBB161_1533:
	s_mov_b32 s1, -1
                                        ; implicit-def: $vgpr11
	s_branch .LBB161_1610
.LBB161_1534:
	s_mov_b32 s7, -1
	s_mov_b32 s1, 0
                                        ; implicit-def: $vgpr11
	s_branch .LBB161_1573
.LBB161_1535:
	s_mov_b32 s7, -1
	s_mov_b32 s1, 0
                                        ; implicit-def: $vgpr11
	s_branch .LBB161_1554
.LBB161_1536:
	s_mov_b32 s7, -1
	s_mov_b32 s1, 0
                                        ; implicit-def: $vgpr11
	s_branch .LBB161_1549
.LBB161_1537:
	s_cbranch_execnz .LBB161_1540
; %bb.1538:
	s_or_b32 s2, s2, exec_lo
                                        ; implicit-def: $vgpr7
	s_cbranch_execz .LBB161_1523
	s_branch .LBB161_1524
.LBB161_1539:
	s_mov_b32 s7, -1
	s_mov_b32 s1, 0
	s_branch .LBB161_1543
.LBB161_1540:
	s_trap 2
	s_sendmsg_rtn_b32 s0, sendmsg(MSG_RTN_GET_DOORBELL)
	s_mov_b32 ttmp2, m0
	s_waitcnt lgkmcnt(0)
	s_and_b32 s0, s0, 0x3ff
	s_delay_alu instid0(SALU_CYCLE_1) | instskip(NEXT) | instid1(SALU_CYCLE_1)
	s_bitset1_b32 s0, 10
	s_mov_b32 m0, s0
	s_sendmsg sendmsg(MSG_INTERRUPT)
	s_mov_b32 m0, ttmp2
.LBB161_1541:                           ; =>This Inner Loop Header: Depth=1
	s_sethalt 5
	s_branch .LBB161_1541
.LBB161_1542:
	s_mov_b32 s1, -1
.LBB161_1543:
                                        ; implicit-def: $vgpr11
.LBB161_1544:
	s_and_b32 vcc_lo, exec_lo, s7
	s_cbranch_vccz .LBB161_1548
; %bb.1545:
	v_cmp_eq_u16_e32 vcc_lo, 44, v9
	s_cbranch_vccz .LBB161_1547
; %bb.1546:
	global_load_u8 v6, v[4:5], off
	s_mov_b32 s1, 0
	s_mov_b32 s6, -1
	s_waitcnt vmcnt(0)
	v_lshlrev_b32_e32 v11, 23, v6
	v_cmp_ne_u32_e32 vcc_lo, 0xff, v6
	s_delay_alu instid0(VALU_DEP_2) | instskip(NEXT) | instid1(VALU_DEP_1)
	v_cvt_f16_f32_e32 v11, v11
	v_cndmask_b32_e32 v11, 0x7e00, v11, vcc_lo
	v_cmp_ne_u32_e32 vcc_lo, 0, v6
	s_delay_alu instid0(VALU_DEP_2)
	v_cndmask_b32_e32 v11, 0, v11, vcc_lo
	s_branch .LBB161_1548
.LBB161_1547:
	s_mov_b32 s1, -1
                                        ; implicit-def: $vgpr11
.LBB161_1548:
	s_mov_b32 s7, 0
.LBB161_1549:
	s_delay_alu instid0(SALU_CYCLE_1)
	s_and_b32 vcc_lo, exec_lo, s7
	s_cbranch_vccz .LBB161_1553
; %bb.1550:
	v_cmp_eq_u16_e32 vcc_lo, 29, v9
	s_cbranch_vccz .LBB161_1552
; %bb.1551:
	global_load_b64 v[11:12], v[4:5], off
	s_mov_b32 s1, 0
	s_mov_b32 s6, -1
	s_mov_b32 s7, 0
	s_waitcnt vmcnt(0)
	v_clz_i32_u32_e32 v6, v12
	s_delay_alu instid0(VALU_DEP_1) | instskip(NEXT) | instid1(VALU_DEP_1)
	v_min_u32_e32 v6, 32, v6
	v_lshlrev_b64 v[11:12], v6, v[11:12]
	v_sub_nc_u32_e32 v6, 32, v6
	s_delay_alu instid0(VALU_DEP_2) | instskip(NEXT) | instid1(VALU_DEP_1)
	v_min_u32_e32 v11, 1, v11
	v_or_b32_e32 v11, v12, v11
	s_delay_alu instid0(VALU_DEP_1) | instskip(NEXT) | instid1(VALU_DEP_1)
	v_cvt_f32_u32_e32 v11, v11
	v_ldexp_f32 v6, v11, v6
	s_delay_alu instid0(VALU_DEP_1)
	v_cvt_f16_f32_e32 v11, v6
	s_branch .LBB161_1554
.LBB161_1552:
	s_mov_b32 s1, -1
                                        ; implicit-def: $vgpr11
.LBB161_1553:
	s_mov_b32 s7, 0
.LBB161_1554:
	s_delay_alu instid0(SALU_CYCLE_1)
	s_and_b32 vcc_lo, exec_lo, s7
	s_cbranch_vccz .LBB161_1572
; %bb.1555:
	v_cmp_gt_i16_e32 vcc_lo, 27, v9
	s_cbranch_vccnz .LBB161_1558
; %bb.1556:
	v_cmp_lt_i16_e32 vcc_lo, 27, v9
	s_cbranch_vccz .LBB161_1559
; %bb.1557:
	global_load_b32 v6, v[4:5], off
	s_mov_b32 s6, 0
	s_waitcnt vmcnt(0)
	v_cvt_f32_u32_e32 v6, v6
	s_delay_alu instid0(VALU_DEP_1)
	v_cvt_f16_f32_e32 v11, v6
	s_branch .LBB161_1560
.LBB161_1558:
	s_mov_b32 s6, -1
                                        ; implicit-def: $vgpr11
	s_branch .LBB161_1563
.LBB161_1559:
	s_mov_b32 s6, -1
                                        ; implicit-def: $vgpr11
.LBB161_1560:
	s_delay_alu instid0(SALU_CYCLE_1)
	s_and_not1_b32 vcc_lo, exec_lo, s6
	s_cbranch_vccnz .LBB161_1562
; %bb.1561:
	global_load_u16 v6, v[4:5], off
	s_waitcnt vmcnt(0)
	v_cvt_f16_u16_e32 v11, v6
.LBB161_1562:
	s_mov_b32 s6, 0
.LBB161_1563:
	s_delay_alu instid0(SALU_CYCLE_1)
	s_and_not1_b32 vcc_lo, exec_lo, s6
	s_cbranch_vccnz .LBB161_1571
; %bb.1564:
	global_load_u8 v6, v[4:5], off
	s_mov_b32 s6, 0
	s_mov_b32 s10, exec_lo
                                        ; implicit-def: $sgpr7
	s_waitcnt vmcnt(0)
	v_cmpx_lt_i16_e32 0x7f, v6
	s_xor_b32 s10, exec_lo, s10
	s_cbranch_execz .LBB161_1585
; %bb.1565:
	s_mov_b32 s6, -1
	s_mov_b32 s11, exec_lo
                                        ; implicit-def: $sgpr7
	v_cmpx_eq_u16_e32 0x80, v6
; %bb.1566:
	s_movk_i32 s7, 0x7e00
	s_xor_b32 s6, exec_lo, -1
; %bb.1567:
	s_or_b32 exec_lo, exec_lo, s11
	s_delay_alu instid0(SALU_CYCLE_1)
	s_and_b32 s6, s6, exec_lo
	s_or_saveexec_b32 s10, s10
	v_mov_b32_e32 v11, s7
	s_xor_b32 exec_lo, exec_lo, s10
	s_cbranch_execnz .LBB161_1586
.LBB161_1568:
	s_or_b32 exec_lo, exec_lo, s10
	s_and_saveexec_b32 s7, s6
	s_cbranch_execz .LBB161_1570
.LBB161_1569:
	v_and_b32_e32 v11, 0xffff, v6
	v_lshlrev_b32_e32 v6, 24, v6
	s_delay_alu instid0(VALU_DEP_2) | instskip(NEXT) | instid1(VALU_DEP_2)
	v_and_b32_e32 v12, 7, v11
	v_and_b32_e32 v6, 0x80000000, v6
	s_delay_alu instid0(VALU_DEP_2) | instskip(NEXT) | instid1(VALU_DEP_1)
	v_clz_i32_u32_e32 v13, v12
	v_min_u32_e32 v13, 32, v13
	s_delay_alu instid0(VALU_DEP_1) | instskip(SKIP_1) | instid1(VALU_DEP_2)
	v_subrev_nc_u32_e32 v14, 28, v13
	v_sub_nc_u32_e32 v13, 29, v13
	v_lshlrev_b32_e32 v14, v14, v11
	v_bfe_u32 v11, v11, 3, 4
	s_delay_alu instid0(VALU_DEP_2) | instskip(NEXT) | instid1(VALU_DEP_2)
	v_and_b32_e32 v14, 7, v14
	v_cmp_eq_u32_e32 vcc_lo, 0, v11
	s_delay_alu instid0(VALU_DEP_2) | instskip(NEXT) | instid1(VALU_DEP_1)
	v_dual_cndmask_b32 v11, v11, v13 :: v_dual_cndmask_b32 v12, v12, v14
	v_lshl_add_u32 v11, v11, 23, 0x3b800000
	s_delay_alu instid0(VALU_DEP_2) | instskip(NEXT) | instid1(VALU_DEP_1)
	v_lshlrev_b32_e32 v12, 20, v12
	v_or3_b32 v6, v6, v11, v12
	s_delay_alu instid0(VALU_DEP_1)
	v_cvt_f16_f32_e32 v11, v6
.LBB161_1570:
	s_or_b32 exec_lo, exec_lo, s7
.LBB161_1571:
	s_mov_b32 s6, -1
.LBB161_1572:
	s_mov_b32 s7, 0
.LBB161_1573:
	s_delay_alu instid0(SALU_CYCLE_1)
	s_and_b32 vcc_lo, exec_lo, s7
	s_cbranch_vccz .LBB161_1606
; %bb.1574:
	v_cmp_lt_i16_e32 vcc_lo, 22, v9
	s_cbranch_vccz .LBB161_1584
; %bb.1575:
	v_cmp_gt_i16_e32 vcc_lo, 24, v9
	s_cbranch_vccnz .LBB161_1587
; %bb.1576:
	v_cmp_lt_i16_e32 vcc_lo, 24, v9
	s_cbranch_vccz .LBB161_1588
; %bb.1577:
	global_load_u8 v6, v[4:5], off
	s_mov_b32 s7, exec_lo
                                        ; implicit-def: $sgpr6
	s_waitcnt vmcnt(0)
	v_cmpx_lt_i16_e32 0x7f, v6
	s_xor_b32 s7, exec_lo, s7
	s_cbranch_execz .LBB161_1600
; %bb.1578:
	s_mov_b32 s3, -1
	s_mov_b32 s10, exec_lo
                                        ; implicit-def: $sgpr6
	v_cmpx_eq_u16_e32 0x80, v6
; %bb.1579:
	s_movk_i32 s6, 0x7e00
	s_xor_b32 s3, exec_lo, -1
; %bb.1580:
	s_or_b32 exec_lo, exec_lo, s10
	s_delay_alu instid0(SALU_CYCLE_1)
	s_and_b32 s3, s3, exec_lo
	s_or_saveexec_b32 s7, s7
	v_mov_b32_e32 v11, s6
	s_xor_b32 exec_lo, exec_lo, s7
	s_cbranch_execnz .LBB161_1601
.LBB161_1581:
	s_or_b32 exec_lo, exec_lo, s7
	s_and_saveexec_b32 s6, s3
	s_cbranch_execz .LBB161_1583
.LBB161_1582:
	v_and_b32_e32 v11, 0xffff, v6
	v_lshlrev_b32_e32 v6, 24, v6
	s_delay_alu instid0(VALU_DEP_2) | instskip(NEXT) | instid1(VALU_DEP_2)
	v_and_b32_e32 v12, 3, v11
	v_and_b32_e32 v6, 0x80000000, v6
	s_delay_alu instid0(VALU_DEP_2) | instskip(NEXT) | instid1(VALU_DEP_1)
	v_clz_i32_u32_e32 v13, v12
	v_min_u32_e32 v13, 32, v13
	s_delay_alu instid0(VALU_DEP_1) | instskip(SKIP_1) | instid1(VALU_DEP_2)
	v_subrev_nc_u32_e32 v14, 29, v13
	v_sub_nc_u32_e32 v13, 30, v13
	v_lshlrev_b32_e32 v14, v14, v11
	v_bfe_u32 v11, v11, 2, 5
	s_delay_alu instid0(VALU_DEP_2) | instskip(NEXT) | instid1(VALU_DEP_2)
	v_and_b32_e32 v14, 3, v14
	v_cmp_eq_u32_e32 vcc_lo, 0, v11
	s_delay_alu instid0(VALU_DEP_2) | instskip(NEXT) | instid1(VALU_DEP_1)
	v_dual_cndmask_b32 v11, v11, v13 :: v_dual_cndmask_b32 v12, v12, v14
	v_lshl_add_u32 v11, v11, 23, 0x37800000
	s_delay_alu instid0(VALU_DEP_2) | instskip(NEXT) | instid1(VALU_DEP_1)
	v_lshlrev_b32_e32 v12, 21, v12
	v_or3_b32 v6, v6, v11, v12
	s_delay_alu instid0(VALU_DEP_1)
	v_cvt_f16_f32_e32 v11, v6
.LBB161_1583:
	s_or_b32 exec_lo, exec_lo, s6
	s_mov_b32 s3, 0
	s_branch .LBB161_1589
.LBB161_1584:
	s_mov_b32 s3, -1
                                        ; implicit-def: $vgpr11
	s_branch .LBB161_1595
.LBB161_1585:
	s_or_saveexec_b32 s10, s10
	v_mov_b32_e32 v11, s7
	s_xor_b32 exec_lo, exec_lo, s10
	s_cbranch_execz .LBB161_1568
.LBB161_1586:
	v_cmp_ne_u16_e32 vcc_lo, 0, v6
	v_mov_b32_e32 v11, v6
	s_and_not1_b32 s6, s6, exec_lo
	s_and_b32 s7, vcc_lo, exec_lo
	s_delay_alu instid0(SALU_CYCLE_1)
	s_or_b32 s6, s6, s7
	s_or_b32 exec_lo, exec_lo, s10
	s_and_saveexec_b32 s7, s6
	s_cbranch_execnz .LBB161_1569
	s_branch .LBB161_1570
.LBB161_1587:
	s_mov_b32 s3, -1
                                        ; implicit-def: $vgpr11
	s_branch .LBB161_1592
.LBB161_1588:
	s_mov_b32 s3, -1
                                        ; implicit-def: $vgpr11
.LBB161_1589:
	s_delay_alu instid0(SALU_CYCLE_1)
	s_and_b32 vcc_lo, exec_lo, s3
	s_cbranch_vccz .LBB161_1591
; %bb.1590:
	global_load_u8 v6, v[4:5], off
	s_waitcnt vmcnt(0)
	v_lshlrev_b32_e32 v6, 24, v6
	s_delay_alu instid0(VALU_DEP_1) | instskip(NEXT) | instid1(VALU_DEP_1)
	v_and_b32_e32 v11, 0x7f000000, v6
	v_clz_i32_u32_e32 v12, v11
	v_add_nc_u32_e32 v14, 0x1000000, v11
	v_cmp_ne_u32_e32 vcc_lo, 0, v11
	s_delay_alu instid0(VALU_DEP_3) | instskip(NEXT) | instid1(VALU_DEP_1)
	v_min_u32_e32 v12, 32, v12
	v_sub_nc_u32_e64 v12, v12, 4 clamp
	s_delay_alu instid0(VALU_DEP_1) | instskip(SKIP_1) | instid1(VALU_DEP_2)
	v_lshlrev_b32_e32 v13, v12, v11
	v_lshlrev_b32_e32 v12, 23, v12
	v_lshrrev_b32_e32 v13, 4, v13
	s_delay_alu instid0(VALU_DEP_1) | instskip(SKIP_1) | instid1(VALU_DEP_2)
	v_sub_nc_u32_e32 v12, v13, v12
	v_ashrrev_i32_e32 v13, 8, v14
	v_add_nc_u32_e32 v12, 0x3c000000, v12
	s_delay_alu instid0(VALU_DEP_1) | instskip(NEXT) | instid1(VALU_DEP_1)
	v_and_or_b32 v12, 0x7f800000, v13, v12
	v_cndmask_b32_e32 v11, 0, v12, vcc_lo
	s_delay_alu instid0(VALU_DEP_1) | instskip(NEXT) | instid1(VALU_DEP_1)
	v_and_or_b32 v6, 0x80000000, v6, v11
	v_cvt_f16_f32_e32 v11, v6
.LBB161_1591:
	s_mov_b32 s3, 0
.LBB161_1592:
	s_delay_alu instid0(SALU_CYCLE_1)
	s_and_not1_b32 vcc_lo, exec_lo, s3
	s_cbranch_vccnz .LBB161_1594
; %bb.1593:
	global_load_u8 v6, v[4:5], off
	s_waitcnt vmcnt(0)
	v_lshlrev_b32_e32 v11, 25, v6
	v_lshlrev_b16 v6, 8, v6
	s_delay_alu instid0(VALU_DEP_2) | instskip(NEXT) | instid1(VALU_DEP_2)
	v_lshrrev_b32_e32 v12, 4, v11
	v_and_or_b32 v13, 0x7f00, v6, 0.5
	v_bfe_i32 v6, v6, 0, 16
	s_delay_alu instid0(VALU_DEP_3) | instskip(NEXT) | instid1(VALU_DEP_1)
	v_or_b32_e32 v12, 0x70000000, v12
	v_dual_add_f32 v13, -0.5, v13 :: v_dual_mul_f32 v12, 0x7800000, v12
	v_cmp_gt_u32_e32 vcc_lo, 0x8000000, v11
	s_delay_alu instid0(VALU_DEP_2) | instskip(NEXT) | instid1(VALU_DEP_1)
	v_cndmask_b32_e32 v11, v12, v13, vcc_lo
	v_and_or_b32 v6, 0x80000000, v6, v11
	s_delay_alu instid0(VALU_DEP_1)
	v_cvt_f16_f32_e32 v11, v6
.LBB161_1594:
	s_mov_b32 s3, 0
	s_mov_b32 s6, -1
.LBB161_1595:
	s_and_not1_b32 vcc_lo, exec_lo, s3
	s_mov_b32 s3, 0
	s_cbranch_vccnz .LBB161_1606
; %bb.1596:
	v_cmp_lt_i16_e32 vcc_lo, 14, v9
	s_cbranch_vccz .LBB161_1599
; %bb.1597:
	v_cmp_eq_u16_e32 vcc_lo, 15, v9
	s_cbranch_vccz .LBB161_1602
; %bb.1598:
	global_load_u16 v6, v[4:5], off
	s_mov_b32 s1, 0
	s_mov_b32 s6, -1
	s_waitcnt vmcnt(0)
	v_lshlrev_b32_e32 v6, 16, v6
	s_delay_alu instid0(VALU_DEP_1)
	v_cvt_f16_f32_e32 v11, v6
	s_branch .LBB161_1604
.LBB161_1599:
	s_mov_b32 s3, -1
	s_branch .LBB161_1603
.LBB161_1600:
	s_or_saveexec_b32 s7, s7
	v_mov_b32_e32 v11, s6
	s_xor_b32 exec_lo, exec_lo, s7
	s_cbranch_execz .LBB161_1581
.LBB161_1601:
	v_cmp_ne_u16_e32 vcc_lo, 0, v6
	v_mov_b32_e32 v11, v6
	s_and_not1_b32 s3, s3, exec_lo
	s_and_b32 s6, vcc_lo, exec_lo
	s_delay_alu instid0(SALU_CYCLE_1)
	s_or_b32 s3, s3, s6
	s_or_b32 exec_lo, exec_lo, s7
	s_and_saveexec_b32 s6, s3
	s_cbranch_execnz .LBB161_1582
	s_branch .LBB161_1583
.LBB161_1602:
	s_mov_b32 s1, -1
.LBB161_1603:
                                        ; implicit-def: $vgpr11
.LBB161_1604:
	s_and_b32 vcc_lo, exec_lo, s3
	s_mov_b32 s3, 0
	s_cbranch_vccz .LBB161_1606
; %bb.1605:
	v_cmp_ne_u16_e64 s1, 11, v9
	s_mov_b32 s3, -1
                                        ; implicit-def: $vgpr11
.LBB161_1606:
	s_delay_alu instid0(VALU_DEP_1)
	s_and_b32 vcc_lo, exec_lo, s1
	s_cbranch_vccnz .LBB161_2135
; %bb.1607:
	s_and_not1_b32 vcc_lo, exec_lo, s3
	s_cbranch_vccnz .LBB161_1609
.LBB161_1608:
	global_load_u8 v6, v[4:5], off
	s_mov_b32 s6, -1
	s_waitcnt vmcnt(0)
	v_cmp_ne_u16_e32 vcc_lo, 0, v6
	v_cndmask_b32_e64 v11, 0, 0x3c00, vcc_lo
.LBB161_1609:
	s_mov_b32 s1, 0
.LBB161_1610:
	s_delay_alu instid0(SALU_CYCLE_1)
	s_and_b32 vcc_lo, exec_lo, s1
	s_cbranch_vccz .LBB161_1659
; %bb.1611:
	v_cmp_gt_i16_e32 vcc_lo, 5, v9
	s_cbranch_vccnz .LBB161_1616
; %bb.1612:
	v_cmp_gt_i16_e32 vcc_lo, 8, v9
	s_cbranch_vccnz .LBB161_1617
	;; [unrolled: 3-line block ×3, first 2 shown]
; %bb.1614:
	v_cmp_lt_i16_e32 vcc_lo, 9, v9
	s_cbranch_vccz .LBB161_1619
; %bb.1615:
	global_load_b64 v[11:12], v[4:5], off
	s_mov_b32 s1, 0
	s_waitcnt vmcnt(0)
	v_cvt_f32_f64_e32 v6, v[11:12]
	s_delay_alu instid0(VALU_DEP_1)
	v_cvt_f16_f32_e32 v11, v6
	s_branch .LBB161_1620
.LBB161_1616:
	s_mov_b32 s1, -1
                                        ; implicit-def: $vgpr11
	s_branch .LBB161_1638
.LBB161_1617:
	s_mov_b32 s1, -1
                                        ; implicit-def: $vgpr11
	s_branch .LBB161_1626
.LBB161_1618:
	s_mov_b32 s1, -1
                                        ; implicit-def: $vgpr11
	s_branch .LBB161_1623
.LBB161_1619:
	s_mov_b32 s1, -1
                                        ; implicit-def: $vgpr11
.LBB161_1620:
	s_delay_alu instid0(SALU_CYCLE_1)
	s_and_not1_b32 vcc_lo, exec_lo, s1
	s_cbranch_vccnz .LBB161_1622
; %bb.1621:
	global_load_b32 v6, v[4:5], off
	s_waitcnt vmcnt(0)
	v_cvt_f16_f32_e32 v11, v6
.LBB161_1622:
	s_mov_b32 s1, 0
.LBB161_1623:
	s_delay_alu instid0(SALU_CYCLE_1)
	s_and_not1_b32 vcc_lo, exec_lo, s1
	s_cbranch_vccnz .LBB161_1625
; %bb.1624:
	global_load_b32 v11, v[4:5], off
.LBB161_1625:
	s_mov_b32 s1, 0
.LBB161_1626:
	s_delay_alu instid0(SALU_CYCLE_1)
	s_and_not1_b32 vcc_lo, exec_lo, s1
	s_cbranch_vccnz .LBB161_1637
; %bb.1627:
	v_cmp_gt_i16_e32 vcc_lo, 6, v9
	s_cbranch_vccnz .LBB161_1630
; %bb.1628:
	v_cmp_lt_i16_e32 vcc_lo, 6, v9
	s_cbranch_vccz .LBB161_1631
; %bb.1629:
	global_load_b64 v[11:12], v[4:5], off
	s_mov_b32 s1, 0
	s_waitcnt vmcnt(0)
	v_cvt_f32_f64_e32 v6, v[11:12]
	s_delay_alu instid0(VALU_DEP_1)
	v_cvt_f16_f32_e32 v11, v6
	s_branch .LBB161_1632
.LBB161_1630:
	s_mov_b32 s1, -1
                                        ; implicit-def: $vgpr11
	s_branch .LBB161_1635
.LBB161_1631:
	s_mov_b32 s1, -1
                                        ; implicit-def: $vgpr11
.LBB161_1632:
	s_delay_alu instid0(SALU_CYCLE_1)
	s_and_not1_b32 vcc_lo, exec_lo, s1
	s_cbranch_vccnz .LBB161_1634
; %bb.1633:
	global_load_b32 v6, v[4:5], off
	s_waitcnt vmcnt(0)
	v_cvt_f16_f32_e32 v11, v6
.LBB161_1634:
	s_mov_b32 s1, 0
.LBB161_1635:
	s_delay_alu instid0(SALU_CYCLE_1)
	s_and_not1_b32 vcc_lo, exec_lo, s1
	s_cbranch_vccnz .LBB161_1637
; %bb.1636:
	global_load_u16 v11, v[4:5], off
.LBB161_1637:
	s_mov_b32 s1, 0
.LBB161_1638:
	s_delay_alu instid0(SALU_CYCLE_1)
	s_and_not1_b32 vcc_lo, exec_lo, s1
	s_cbranch_vccnz .LBB161_1658
; %bb.1639:
	v_cmp_gt_i16_e32 vcc_lo, 2, v9
	s_cbranch_vccnz .LBB161_1643
; %bb.1640:
	v_cmp_gt_i16_e32 vcc_lo, 3, v9
	s_cbranch_vccnz .LBB161_1644
; %bb.1641:
	v_cmp_lt_i16_e32 vcc_lo, 3, v9
	s_cbranch_vccz .LBB161_1645
; %bb.1642:
	global_load_b64 v[11:12], v[4:5], off
	s_mov_b32 s1, 0
	s_waitcnt vmcnt(0)
	v_xor_b32_e32 v6, v11, v12
	v_cls_i32_e32 v13, v12
	s_delay_alu instid0(VALU_DEP_2) | instskip(NEXT) | instid1(VALU_DEP_2)
	v_ashrrev_i32_e32 v6, 31, v6
	v_add_nc_u32_e32 v13, -1, v13
	s_delay_alu instid0(VALU_DEP_2) | instskip(NEXT) | instid1(VALU_DEP_1)
	v_add_nc_u32_e32 v6, 32, v6
	v_min_u32_e32 v6, v13, v6
	s_delay_alu instid0(VALU_DEP_1) | instskip(SKIP_1) | instid1(VALU_DEP_2)
	v_lshlrev_b64 v[11:12], v6, v[11:12]
	v_sub_nc_u32_e32 v6, 32, v6
	v_min_u32_e32 v11, 1, v11
	s_delay_alu instid0(VALU_DEP_1) | instskip(NEXT) | instid1(VALU_DEP_1)
	v_or_b32_e32 v11, v12, v11
	v_cvt_f32_i32_e32 v11, v11
	s_delay_alu instid0(VALU_DEP_1) | instskip(NEXT) | instid1(VALU_DEP_1)
	v_ldexp_f32 v6, v11, v6
	v_cvt_f16_f32_e32 v11, v6
	s_branch .LBB161_1646
.LBB161_1643:
	s_mov_b32 s1, -1
                                        ; implicit-def: $vgpr11
	s_branch .LBB161_1652
.LBB161_1644:
	s_mov_b32 s1, -1
                                        ; implicit-def: $vgpr11
	s_branch .LBB161_1649
.LBB161_1645:
	s_mov_b32 s1, -1
                                        ; implicit-def: $vgpr11
.LBB161_1646:
	s_delay_alu instid0(SALU_CYCLE_1)
	s_and_not1_b32 vcc_lo, exec_lo, s1
	s_cbranch_vccnz .LBB161_1648
; %bb.1647:
	global_load_b32 v6, v[4:5], off
	s_waitcnt vmcnt(0)
	v_cvt_f32_i32_e32 v6, v6
	s_delay_alu instid0(VALU_DEP_1)
	v_cvt_f16_f32_e32 v11, v6
.LBB161_1648:
	s_mov_b32 s1, 0
.LBB161_1649:
	s_delay_alu instid0(SALU_CYCLE_1)
	s_and_not1_b32 vcc_lo, exec_lo, s1
	s_cbranch_vccnz .LBB161_1651
; %bb.1650:
	global_load_u16 v6, v[4:5], off
	s_waitcnt vmcnt(0)
	v_cvt_f16_i16_e32 v11, v6
.LBB161_1651:
	s_mov_b32 s1, 0
.LBB161_1652:
	s_delay_alu instid0(SALU_CYCLE_1)
	s_and_not1_b32 vcc_lo, exec_lo, s1
	s_cbranch_vccnz .LBB161_1658
; %bb.1653:
	v_cmp_lt_i16_e32 vcc_lo, 0, v9
	s_mov_b32 s1, 0
	s_cbranch_vccz .LBB161_1655
; %bb.1654:
	global_load_i8 v6, v[4:5], off
	s_waitcnt vmcnt(0)
	v_cvt_f16_i16_e32 v11, v6
	s_branch .LBB161_1656
.LBB161_1655:
	s_mov_b32 s1, -1
                                        ; implicit-def: $vgpr11
.LBB161_1656:
	s_delay_alu instid0(SALU_CYCLE_1)
	s_and_not1_b32 vcc_lo, exec_lo, s1
	s_cbranch_vccnz .LBB161_1658
; %bb.1657:
	global_load_u8 v4, v[4:5], off
	s_waitcnt vmcnt(0)
	v_cvt_f16_u16_e32 v11, v4
.LBB161_1658:
	s_mov_b32 s6, -1
.LBB161_1659:
	s_delay_alu instid0(SALU_CYCLE_1)
	s_and_not1_b32 vcc_lo, exec_lo, s6
	s_cbranch_vccnz .LBB161_2090
; %bb.1660:
	s_waitcnt vmcnt(0)
	v_cvt_f32_f16_e32 v4, v10
	s_mov_b32 s1, 0xbf317218
	s_lshr_b32 s0, s0, 8
	s_mov_b32 s6, 0
	s_delay_alu instid0(VALU_DEP_1) | instskip(NEXT) | instid1(VALU_DEP_1)
	v_mul_f32_e32 v5, 0x3fb8aa3b, v4
	v_rndne_f32_e32 v5, v5
	s_delay_alu instid0(VALU_DEP_1) | instskip(SKIP_3) | instid1(VALU_DEP_3)
	v_fma_mix_f32 v6, v5, s1, v10 op_sel_hi:[0,0,1]
	v_cvt_i32_f32_e32 v12, v5
	v_cmp_eq_f32_e32 vcc_lo, 0x43000000, v5
	s_mov_b32 s1, 0x395133b1
	v_fmamk_f32 v6, v5, 0x3102e308, v6
	s_delay_alu instid0(VALU_DEP_3) | instskip(NEXT) | instid1(VALU_DEP_1)
	v_cndmask_b32_e64 v5, v12, 0x7f, vcc_lo
	v_ldexp_f32 v5, 1.0, v5
	s_delay_alu instid0(VALU_DEP_3) | instskip(SKIP_1) | instid1(VALU_DEP_2)
	v_fmaak_f32 v9, s1, v6, 0x3ab69700
	s_mov_b32 s1, -1
	v_add_f32_e32 v12, -1.0, v5
	s_delay_alu instid0(VALU_DEP_2) | instskip(NEXT) | instid1(VALU_DEP_1)
	v_fmaak_f32 v9, v6, v9, 0x3c0887f9
	v_fmaak_f32 v9, v6, v9, 0x3d2aaa81
	s_delay_alu instid0(VALU_DEP_1) | instskip(NEXT) | instid1(VALU_DEP_1)
	v_fmaak_f32 v9, v6, v9, 0x3e2aaaab
	v_fma_f32 v9, v6, v9, 0.5
	s_delay_alu instid0(VALU_DEP_1) | instskip(NEXT) | instid1(VALU_DEP_1)
	v_mul_f32_e32 v9, v6, v9
	v_fmac_f32_e32 v6, v6, v9
	s_delay_alu instid0(VALU_DEP_1) | instskip(SKIP_2) | instid1(VALU_DEP_3)
	v_fmac_f32_e32 v12, v5, v6
	v_and_b32_e64 v6, 0xff, s0
	v_add_co_u32 v3, s0, s4, v3
	v_add_f32_e32 v5, v12, v12
	s_delay_alu instid0(VALU_DEP_1) | instskip(SKIP_1) | instid1(VALU_DEP_2)
	v_cndmask_b32_e32 v5, v12, v5, vcc_lo
	v_cmp_nlt_f32_e32 vcc_lo, 0x42b17217, v4
	v_cndmask_b32_e32 v4, 0x7f800000, v5, vcc_lo
	v_cmp_gt_i16_e32 vcc_lo, 11, v6
	s_delay_alu instid0(VALU_DEP_2) | instskip(SKIP_2) | instid1(VALU_DEP_1)
	v_cvt_f16_f32_e32 v9, v4
	v_add_co_ci_u32_e64 v4, null, s5, 0, s0
	v_cmp_gt_f16_e64 s0, 0xcc40, v10
	v_cndmask_b32_e64 v5, v9, 0xbc00, s0
	s_cbranch_vccnz .LBB161_1738
; %bb.1661:
	v_cmp_lt_i16_e32 vcc_lo, 25, v6
	s_mov_b32 s7, -1
	s_mov_b32 s3, 0
	s_mov_b32 s1, 0
	s_cbranch_vccz .LBB161_1694
; %bb.1662:
	v_cmp_lt_i16_e32 vcc_lo, 28, v6
	s_cbranch_vccz .LBB161_1677
; %bb.1663:
	v_cmp_lt_i16_e32 vcc_lo, 43, v6
	;; [unrolled: 3-line block ×3, first 2 shown]
	s_cbranch_vccz .LBB161_1667
; %bb.1665:
	v_cmp_eq_u16_e32 vcc_lo, 46, v6
	s_mov_b32 s1, -1
	s_mov_b32 s7, 0
	s_cbranch_vccz .LBB161_1667
; %bb.1666:
	v_cvt_f32_f16_e32 v10, v5
	v_cmp_o_f16_e32 vcc_lo, v5, v5
	s_mov_b32 s1, 0
	s_mov_b32 s6, -1
	s_delay_alu instid0(VALU_DEP_2) | instskip(NEXT) | instid1(VALU_DEP_1)
	v_bfe_u32 v12, v10, 16, 1
	v_add3_u32 v10, v10, v12, 0x7fff
	s_delay_alu instid0(VALU_DEP_1) | instskip(NEXT) | instid1(VALU_DEP_1)
	v_lshrrev_b32_e32 v10, 16, v10
	v_cndmask_b32_e32 v10, 0x7fc0, v10, vcc_lo
	global_store_b32 v[3:4], v10, off
.LBB161_1667:
	s_and_b32 vcc_lo, exec_lo, s7
	s_cbranch_vccz .LBB161_1672
; %bb.1668:
	v_cmp_eq_u16_e32 vcc_lo, 44, v6
	s_mov_b32 s1, -1
	s_cbranch_vccz .LBB161_1672
; %bb.1669:
	v_cvt_f32_f16_e32 v10, v5
	v_mov_b32_e32 v12, 0xff
	s_mov_b32 s6, exec_lo
	s_delay_alu instid0(VALU_DEP_2) | instskip(NEXT) | instid1(VALU_DEP_1)
	v_bfe_u32 v13, v10, 23, 8
	v_cmpx_ne_u32_e32 0xff, v13
; %bb.1670:
	v_and_b32_e32 v12, 0x400000, v10
	v_and_or_b32 v13, 0x3fffff, v10, v13
	v_lshrrev_b32_e32 v10, 23, v10
	s_delay_alu instid0(VALU_DEP_3) | instskip(NEXT) | instid1(VALU_DEP_3)
	v_cmp_ne_u32_e32 vcc_lo, 0, v12
	v_cmp_ne_u32_e64 s1, 0, v13
	s_delay_alu instid0(VALU_DEP_1) | instskip(NEXT) | instid1(SALU_CYCLE_1)
	s_and_b32 s1, vcc_lo, s1
	v_cndmask_b32_e64 v12, 0, 1, s1
	s_delay_alu instid0(VALU_DEP_1)
	v_add_nc_u32_e32 v12, v10, v12
; %bb.1671:
	s_or_b32 exec_lo, exec_lo, s6
	s_mov_b32 s1, 0
	s_mov_b32 s6, -1
	global_store_b8 v[3:4], v12, off
.LBB161_1672:
	s_mov_b32 s7, 0
.LBB161_1673:
	s_delay_alu instid0(SALU_CYCLE_1)
	s_and_b32 vcc_lo, exec_lo, s7
	s_cbranch_vccz .LBB161_1676
; %bb.1674:
	v_cmp_eq_u16_e32 vcc_lo, 29, v6
	s_mov_b32 s1, -1
	s_cbranch_vccz .LBB161_1676
; %bb.1675:
	v_cvt_f32_f16_e32 v10, v5
	v_mov_b32_e32 v13, 0
	s_mov_b32 s1, 0
	s_mov_b32 s6, -1
	s_delay_alu instid0(VALU_DEP_2)
	v_cvt_u32_f32_e32 v12, v10
	global_store_b64 v[3:4], v[12:13], off
.LBB161_1676:
	s_mov_b32 s7, 0
.LBB161_1677:
	s_delay_alu instid0(SALU_CYCLE_1)
	s_and_b32 vcc_lo, exec_lo, s7
	s_cbranch_vccz .LBB161_1693
; %bb.1678:
	v_cmp_gt_i16_e32 vcc_lo, 27, v6
	s_mov_b32 s6, -1
	s_cbranch_vccnz .LBB161_1684
; %bb.1679:
	v_cmp_lt_i16_e32 vcc_lo, 27, v6
	s_cbranch_vccz .LBB161_1681
; %bb.1680:
	v_cvt_f32_f16_e32 v10, v5
	s_mov_b32 s6, 0
	s_delay_alu instid0(VALU_DEP_1)
	v_cvt_u32_f32_e32 v10, v10
	global_store_b32 v[3:4], v10, off
.LBB161_1681:
	s_and_not1_b32 vcc_lo, exec_lo, s6
	s_cbranch_vccnz .LBB161_1683
; %bb.1682:
	v_cvt_u16_f16_e32 v10, v5
	global_store_b16 v[3:4], v10, off
.LBB161_1683:
	s_mov_b32 s6, 0
.LBB161_1684:
	s_delay_alu instid0(SALU_CYCLE_1)
	s_and_not1_b32 vcc_lo, exec_lo, s6
	s_cbranch_vccnz .LBB161_1692
; %bb.1685:
	v_cvt_f32_f16_e32 v10, v5
	v_mov_b32_e32 v13, 0x80
	s_mov_b32 s6, exec_lo
	s_delay_alu instid0(VALU_DEP_2) | instskip(NEXT) | instid1(VALU_DEP_1)
	v_and_b32_e32 v12, 0x7fffffff, v10
	v_cmpx_gt_u32_e32 0x43800000, v12
	s_cbranch_execz .LBB161_1691
; %bb.1686:
	v_cmp_lt_u32_e32 vcc_lo, 0x3bffffff, v12
	s_mov_b32 s7, 0
                                        ; implicit-def: $vgpr12
	s_and_saveexec_b32 s10, vcc_lo
	s_delay_alu instid0(SALU_CYCLE_1)
	s_xor_b32 s10, exec_lo, s10
	s_cbranch_execz .LBB161_2137
; %bb.1687:
	v_bfe_u32 v12, v10, 20, 1
	s_mov_b32 s7, exec_lo
	s_delay_alu instid0(VALU_DEP_1) | instskip(NEXT) | instid1(VALU_DEP_1)
	v_add3_u32 v12, v10, v12, 0x487ffff
	v_lshrrev_b32_e32 v12, 20, v12
	s_or_saveexec_b32 s10, s10
                                        ; implicit-def: $sgpr11
	s_delay_alu instid0(SALU_CYCLE_1)
	s_xor_b32 exec_lo, exec_lo, s10
	s_cbranch_execnz .LBB161_2138
.LBB161_1688:
	s_or_b32 exec_lo, exec_lo, s10
	v_mov_b32_e32 v13, s11
	s_and_saveexec_b32 s10, s7
.LBB161_1689:
	v_lshrrev_b32_e32 v10, 24, v10
	s_delay_alu instid0(VALU_DEP_1)
	v_and_or_b32 v13, 0x80, v10, v12
.LBB161_1690:
	s_or_b32 exec_lo, exec_lo, s10
.LBB161_1691:
	s_delay_alu instid0(SALU_CYCLE_1)
	s_or_b32 exec_lo, exec_lo, s6
	global_store_b8 v[3:4], v13, off
.LBB161_1692:
	s_mov_b32 s6, -1
.LBB161_1693:
	s_mov_b32 s7, 0
.LBB161_1694:
	s_delay_alu instid0(SALU_CYCLE_1)
	s_and_b32 vcc_lo, exec_lo, s7
	s_cbranch_vccz .LBB161_1734
; %bb.1695:
	v_cmp_lt_i16_e32 vcc_lo, 22, v6
	s_mov_b32 s3, -1
	s_cbranch_vccz .LBB161_1727
; %bb.1696:
	v_cmp_gt_i16_e32 vcc_lo, 24, v6
	s_cbranch_vccnz .LBB161_1716
; %bb.1697:
	v_cmp_lt_i16_e32 vcc_lo, 24, v6
	s_cbranch_vccz .LBB161_1705
; %bb.1698:
	v_cvt_f32_f16_e32 v10, v5
	v_mov_b32_e32 v13, 0x80
	s_mov_b32 s3, exec_lo
	s_delay_alu instid0(VALU_DEP_2) | instskip(NEXT) | instid1(VALU_DEP_1)
	v_and_b32_e32 v12, 0x7fffffff, v10
	v_cmpx_gt_u32_e32 0x47800000, v12
	s_cbranch_execz .LBB161_1704
; %bb.1699:
	v_cmp_lt_u32_e32 vcc_lo, 0x37ffffff, v12
	s_mov_b32 s6, 0
                                        ; implicit-def: $vgpr12
	s_and_saveexec_b32 s7, vcc_lo
	s_delay_alu instid0(SALU_CYCLE_1)
	s_xor_b32 s7, exec_lo, s7
	s_cbranch_execz .LBB161_2143
; %bb.1700:
	v_bfe_u32 v12, v10, 21, 1
	s_mov_b32 s6, exec_lo
	s_delay_alu instid0(VALU_DEP_1) | instskip(NEXT) | instid1(VALU_DEP_1)
	v_add3_u32 v12, v10, v12, 0x88fffff
	v_lshrrev_b32_e32 v12, 21, v12
	s_or_saveexec_b32 s7, s7
                                        ; implicit-def: $sgpr10
	s_delay_alu instid0(SALU_CYCLE_1)
	s_xor_b32 exec_lo, exec_lo, s7
	s_cbranch_execnz .LBB161_2144
.LBB161_1701:
	s_or_b32 exec_lo, exec_lo, s7
	v_mov_b32_e32 v13, s10
	s_and_saveexec_b32 s7, s6
.LBB161_1702:
	v_lshrrev_b32_e32 v10, 24, v10
	s_delay_alu instid0(VALU_DEP_1)
	v_and_or_b32 v13, 0x80, v10, v12
.LBB161_1703:
	s_or_b32 exec_lo, exec_lo, s7
.LBB161_1704:
	s_delay_alu instid0(SALU_CYCLE_1)
	s_or_b32 exec_lo, exec_lo, s3
	s_mov_b32 s3, 0
	global_store_b8 v[3:4], v13, off
.LBB161_1705:
	s_and_b32 vcc_lo, exec_lo, s3
	s_cbranch_vccz .LBB161_1715
; %bb.1706:
	v_cvt_f32_f16_e32 v10, v5
	s_mov_b32 s3, exec_lo
                                        ; implicit-def: $vgpr12
	s_delay_alu instid0(VALU_DEP_1) | instskip(NEXT) | instid1(VALU_DEP_1)
	v_and_b32_e32 v13, 0x7fffffff, v10
	v_cmpx_gt_u32_e32 0x43f00000, v13
	s_xor_b32 s3, exec_lo, s3
	s_cbranch_execz .LBB161_1712
; %bb.1707:
	s_mov_b32 s6, exec_lo
                                        ; implicit-def: $vgpr12
	v_cmpx_lt_u32_e32 0x3c7fffff, v13
	s_xor_b32 s6, exec_lo, s6
; %bb.1708:
	v_bfe_u32 v12, v10, 20, 1
	s_delay_alu instid0(VALU_DEP_1) | instskip(NEXT) | instid1(VALU_DEP_1)
	v_add3_u32 v12, v10, v12, 0x407ffff
	v_and_b32_e32 v13, 0xff00000, v12
	v_lshrrev_b32_e32 v12, 20, v12
	s_delay_alu instid0(VALU_DEP_2) | instskip(NEXT) | instid1(VALU_DEP_2)
	v_cmp_ne_u32_e32 vcc_lo, 0x7f00000, v13
	v_cndmask_b32_e32 v12, 0x7e, v12, vcc_lo
; %bb.1709:
	s_and_not1_saveexec_b32 s6, s6
; %bb.1710:
	v_add_f32_e64 v12, 0x46800000, |v10|
; %bb.1711:
	s_or_b32 exec_lo, exec_lo, s6
                                        ; implicit-def: $vgpr13
.LBB161_1712:
	s_and_not1_saveexec_b32 s3, s3
; %bb.1713:
	v_mov_b32_e32 v12, 0x7f
	v_cmp_lt_u32_e32 vcc_lo, 0x7f800000, v13
	s_delay_alu instid0(VALU_DEP_2)
	v_cndmask_b32_e32 v12, 0x7e, v12, vcc_lo
; %bb.1714:
	s_or_b32 exec_lo, exec_lo, s3
	v_lshrrev_b32_e32 v10, 24, v10
	s_delay_alu instid0(VALU_DEP_1)
	v_and_or_b32 v10, 0x80, v10, v12
	global_store_b8 v[3:4], v10, off
.LBB161_1715:
	s_mov_b32 s3, 0
.LBB161_1716:
	s_delay_alu instid0(SALU_CYCLE_1)
	s_and_not1_b32 vcc_lo, exec_lo, s3
	s_cbranch_vccnz .LBB161_1726
; %bb.1717:
	v_cvt_f32_f16_e32 v10, v5
	s_mov_b32 s3, exec_lo
                                        ; implicit-def: $vgpr12
	s_delay_alu instid0(VALU_DEP_1) | instskip(NEXT) | instid1(VALU_DEP_1)
	v_and_b32_e32 v13, 0x7fffffff, v10
	v_cmpx_gt_u32_e32 0x47800000, v13
	s_xor_b32 s3, exec_lo, s3
	s_cbranch_execz .LBB161_1723
; %bb.1718:
	s_mov_b32 s6, exec_lo
                                        ; implicit-def: $vgpr12
	v_cmpx_lt_u32_e32 0x387fffff, v13
	s_xor_b32 s6, exec_lo, s6
; %bb.1719:
	v_bfe_u32 v12, v10, 21, 1
	s_delay_alu instid0(VALU_DEP_1) | instskip(NEXT) | instid1(VALU_DEP_1)
	v_add3_u32 v12, v10, v12, 0x80fffff
	v_lshrrev_b32_e32 v12, 21, v12
; %bb.1720:
	s_and_not1_saveexec_b32 s6, s6
; %bb.1721:
	v_add_f32_e64 v12, 0x43000000, |v10|
; %bb.1722:
	s_or_b32 exec_lo, exec_lo, s6
                                        ; implicit-def: $vgpr13
.LBB161_1723:
	s_and_not1_saveexec_b32 s3, s3
; %bb.1724:
	v_mov_b32_e32 v12, 0x7f
	v_cmp_lt_u32_e32 vcc_lo, 0x7f800000, v13
	s_delay_alu instid0(VALU_DEP_2)
	v_cndmask_b32_e32 v12, 0x7c, v12, vcc_lo
; %bb.1725:
	s_or_b32 exec_lo, exec_lo, s3
	v_lshrrev_b32_e32 v10, 24, v10
	s_delay_alu instid0(VALU_DEP_1)
	v_and_or_b32 v10, 0x80, v10, v12
	global_store_b8 v[3:4], v10, off
.LBB161_1726:
	s_mov_b32 s3, 0
	s_mov_b32 s6, -1
.LBB161_1727:
	s_and_not1_b32 vcc_lo, exec_lo, s3
	s_mov_b32 s3, 0
	s_cbranch_vccnz .LBB161_1734
; %bb.1728:
	v_cmp_lt_i16_e32 vcc_lo, 14, v6
	s_mov_b32 s3, -1
	s_cbranch_vccz .LBB161_1732
; %bb.1729:
	v_cmp_eq_u16_e32 vcc_lo, 15, v6
	s_mov_b32 s1, -1
	s_cbranch_vccz .LBB161_1731
; %bb.1730:
	v_cvt_f32_f16_e32 v10, v5
	v_cmp_o_f16_e32 vcc_lo, v5, v5
	s_mov_b32 s1, 0
	s_mov_b32 s6, -1
	s_delay_alu instid0(VALU_DEP_2) | instskip(NEXT) | instid1(VALU_DEP_1)
	v_bfe_u32 v12, v10, 16, 1
	v_add3_u32 v10, v10, v12, 0x7fff
	s_delay_alu instid0(VALU_DEP_1) | instskip(NEXT) | instid1(VALU_DEP_1)
	v_lshrrev_b32_e32 v10, 16, v10
	v_cndmask_b32_e32 v10, 0x7fc0, v10, vcc_lo
	global_store_b16 v[3:4], v10, off
.LBB161_1731:
	s_mov_b32 s3, 0
.LBB161_1732:
	s_delay_alu instid0(SALU_CYCLE_1)
	s_and_b32 vcc_lo, exec_lo, s3
	s_mov_b32 s3, 0
	s_cbranch_vccz .LBB161_1734
; %bb.1733:
	v_cmp_ne_u16_e64 s1, 11, v6
	s_mov_b32 s3, -1
.LBB161_1734:
	s_delay_alu instid0(VALU_DEP_1)
	s_and_b32 vcc_lo, exec_lo, s1
	s_cbranch_vccnz .LBB161_2141
; %bb.1735:
	s_and_not1_b32 vcc_lo, exec_lo, s3
	s_cbranch_vccnz .LBB161_1737
.LBB161_1736:
	v_cmp_neq_f16_e32 vcc_lo, 0, v9
	s_mov_b32 s6, -1
	s_or_b32 s0, s0, vcc_lo
	s_delay_alu instid0(SALU_CYCLE_1)
	v_cndmask_b32_e64 v9, 0, 1, s0
	global_store_b8 v[3:4], v9, off
.LBB161_1737:
	s_mov_b32 s1, 0
.LBB161_1738:
	s_delay_alu instid0(SALU_CYCLE_1)
	s_and_b32 vcc_lo, exec_lo, s1
	s_cbranch_vccz .LBB161_1777
; %bb.1739:
	v_cmp_gt_i16_e32 vcc_lo, 5, v6
	s_mov_b32 s0, -1
	s_cbranch_vccnz .LBB161_1760
; %bb.1740:
	v_cmp_gt_i16_e32 vcc_lo, 8, v6
	s_cbranch_vccnz .LBB161_1750
; %bb.1741:
	v_cmp_gt_i16_e32 vcc_lo, 9, v6
	s_cbranch_vccnz .LBB161_1747
; %bb.1742:
	v_cmp_lt_i16_e32 vcc_lo, 9, v6
	s_cbranch_vccz .LBB161_1744
; %bb.1743:
	v_cvt_f32_f16_e32 v9, v5
	v_mov_b32_e32 v14, 0
	s_mov_b32 s0, 0
	s_delay_alu instid0(VALU_DEP_2) | instskip(NEXT) | instid1(VALU_DEP_2)
	v_cvt_f64_f32_e32 v[12:13], v9
	v_mov_b32_e32 v15, v14
	global_store_b128 v[3:4], v[12:15], off
.LBB161_1744:
	s_and_not1_b32 vcc_lo, exec_lo, s0
	s_cbranch_vccnz .LBB161_1746
; %bb.1745:
	v_cvt_f32_f16_e32 v9, v5
	v_mov_b32_e32 v10, 0
	global_store_b64 v[3:4], v[9:10], off
.LBB161_1746:
	s_mov_b32 s0, 0
.LBB161_1747:
	s_delay_alu instid0(SALU_CYCLE_1)
	s_and_not1_b32 vcc_lo, exec_lo, s0
	s_cbranch_vccnz .LBB161_1749
; %bb.1748:
	v_and_b32_e32 v9, 0xffff, v5
	global_store_b32 v[3:4], v9, off
.LBB161_1749:
	s_mov_b32 s0, 0
.LBB161_1750:
	s_delay_alu instid0(SALU_CYCLE_1)
	s_and_not1_b32 vcc_lo, exec_lo, s0
	s_cbranch_vccnz .LBB161_1759
; %bb.1751:
	v_cmp_gt_i16_e32 vcc_lo, 6, v6
	s_mov_b32 s0, -1
	s_cbranch_vccnz .LBB161_1757
; %bb.1752:
	v_cmp_lt_i16_e32 vcc_lo, 6, v6
	s_cbranch_vccz .LBB161_1754
; %bb.1753:
	v_cvt_f32_f16_e32 v9, v5
	s_mov_b32 s0, 0
	s_delay_alu instid0(VALU_DEP_1)
	v_cvt_f64_f32_e32 v[9:10], v9
	global_store_b64 v[3:4], v[9:10], off
.LBB161_1754:
	s_and_not1_b32 vcc_lo, exec_lo, s0
	s_cbranch_vccnz .LBB161_1756
; %bb.1755:
	v_cvt_f32_f16_e32 v9, v5
	global_store_b32 v[3:4], v9, off
.LBB161_1756:
	s_mov_b32 s0, 0
.LBB161_1757:
	s_delay_alu instid0(SALU_CYCLE_1)
	s_and_not1_b32 vcc_lo, exec_lo, s0
	s_cbranch_vccnz .LBB161_1759
; %bb.1758:
	global_store_b16 v[3:4], v5, off
.LBB161_1759:
	s_mov_b32 s0, 0
.LBB161_1760:
	s_delay_alu instid0(SALU_CYCLE_1)
	s_and_not1_b32 vcc_lo, exec_lo, s0
	s_cbranch_vccnz .LBB161_1776
; %bb.1761:
	v_cmp_gt_i16_e32 vcc_lo, 2, v6
	s_mov_b32 s0, -1
	s_cbranch_vccnz .LBB161_1771
; %bb.1762:
	v_cmp_gt_i16_e32 vcc_lo, 3, v6
	s_cbranch_vccnz .LBB161_1768
; %bb.1763:
	v_cmp_lt_i16_e32 vcc_lo, 3, v6
	s_cbranch_vccz .LBB161_1765
; %bb.1764:
	v_cvt_f32_f16_e32 v9, v5
	s_mov_b32 s0, 0
	s_delay_alu instid0(VALU_DEP_1) | instskip(NEXT) | instid1(VALU_DEP_1)
	v_cvt_i32_f32_e32 v9, v9
	v_ashrrev_i32_e32 v10, 31, v9
	global_store_b64 v[3:4], v[9:10], off
.LBB161_1765:
	s_and_not1_b32 vcc_lo, exec_lo, s0
	s_cbranch_vccnz .LBB161_1767
; %bb.1766:
	v_cvt_f32_f16_e32 v9, v5
	s_delay_alu instid0(VALU_DEP_1)
	v_cvt_i32_f32_e32 v9, v9
	global_store_b32 v[3:4], v9, off
.LBB161_1767:
	s_mov_b32 s0, 0
.LBB161_1768:
	s_delay_alu instid0(SALU_CYCLE_1)
	s_and_not1_b32 vcc_lo, exec_lo, s0
	s_cbranch_vccnz .LBB161_1770
; %bb.1769:
	v_cvt_i16_f16_e32 v9, v5
	global_store_b16 v[3:4], v9, off
.LBB161_1770:
	s_mov_b32 s0, 0
.LBB161_1771:
	s_delay_alu instid0(SALU_CYCLE_1)
	s_and_not1_b32 vcc_lo, exec_lo, s0
	s_cbranch_vccnz .LBB161_1776
; %bb.1772:
	v_cmp_lt_i16_e32 vcc_lo, 0, v6
	s_mov_b32 s0, -1
	s_cbranch_vccz .LBB161_1774
; %bb.1773:
	v_cvt_i16_f16_e32 v9, v5
	s_mov_b32 s0, 0
	global_store_b8 v[3:4], v9, off
.LBB161_1774:
	s_and_not1_b32 vcc_lo, exec_lo, s0
	s_cbranch_vccnz .LBB161_1776
; %bb.1775:
	v_cvt_f32_f16_e32 v5, v5
	s_delay_alu instid0(VALU_DEP_1)
	v_cvt_i32_f32_e32 v5, v5
	global_store_b8 v[3:4], v5, off
.LBB161_1776:
	s_mov_b32 s6, -1
.LBB161_1777:
	s_delay_alu instid0(SALU_CYCLE_1)
	s_and_not1_b32 vcc_lo, exec_lo, s6
	s_cbranch_vccnz .LBB161_2090
; %bb.1778:
	v_cvt_f32_f16_e32 v3, v8
	s_mov_b32 s0, 0xbf317218
	s_mov_b32 s6, 0
	s_mov_b32 s1, -1
	s_delay_alu instid0(VALU_DEP_1) | instskip(NEXT) | instid1(VALU_DEP_1)
	v_mul_f32_e32 v4, 0x3fb8aa3b, v3
	v_rndne_f32_e32 v4, v4
	s_delay_alu instid0(VALU_DEP_1) | instskip(SKIP_3) | instid1(VALU_DEP_3)
	v_fma_mix_f32 v5, v4, s0, v8 op_sel_hi:[0,0,1]
	v_cvt_i32_f32_e32 v10, v4
	v_cmp_eq_f32_e32 vcc_lo, 0x43000000, v4
	s_mov_b32 s0, 0x395133b1
	v_fmamk_f32 v5, v4, 0x3102e308, v5
	s_delay_alu instid0(VALU_DEP_3) | instskip(NEXT) | instid1(VALU_DEP_1)
	v_cndmask_b32_e64 v4, v10, 0x7f, vcc_lo
	v_ldexp_f32 v4, 1.0, v4
	s_delay_alu instid0(VALU_DEP_1) | instskip(SKIP_1) | instid1(VALU_DEP_2)
	v_dual_add_f32 v10, -1.0, v4 :: v_dual_fmaak_f32 v9, s0, v5, 0x3ab69700
	v_add_co_u32 v2, s0, s4, v2
	v_fmaak_f32 v9, v5, v9, 0x3c0887f9
	s_delay_alu instid0(VALU_DEP_1) | instskip(NEXT) | instid1(VALU_DEP_1)
	v_fmaak_f32 v9, v5, v9, 0x3d2aaa81
	v_fmaak_f32 v9, v5, v9, 0x3e2aaaab
	s_delay_alu instid0(VALU_DEP_1) | instskip(NEXT) | instid1(VALU_DEP_1)
	v_fma_f32 v9, v5, v9, 0.5
	v_mul_f32_e32 v9, v5, v9
	s_delay_alu instid0(VALU_DEP_1) | instskip(NEXT) | instid1(VALU_DEP_1)
	v_fmac_f32_e32 v5, v5, v9
	v_fmac_f32_e32 v10, v4, v5
	s_delay_alu instid0(VALU_DEP_1) | instskip(NEXT) | instid1(VALU_DEP_1)
	v_add_f32_e32 v4, v10, v10
	v_cndmask_b32_e32 v4, v10, v4, vcc_lo
	v_cmp_nlt_f32_e32 vcc_lo, 0x42b17217, v3
	s_delay_alu instid0(VALU_DEP_2) | instskip(SKIP_1) | instid1(VALU_DEP_2)
	v_cndmask_b32_e32 v3, 0x7f800000, v4, vcc_lo
	v_cmp_gt_i16_e32 vcc_lo, 11, v6
	v_cvt_f16_f32_e32 v5, v3
	v_add_co_ci_u32_e64 v3, null, s5, 0, s0
	v_cmp_gt_f16_e64 s0, 0xcc40, v8
	s_delay_alu instid0(VALU_DEP_1)
	v_cndmask_b32_e64 v4, v5, 0xbc00, s0
	s_cbranch_vccnz .LBB161_1856
; %bb.1779:
	v_cmp_lt_i16_e32 vcc_lo, 25, v6
	s_mov_b32 s7, -1
	s_mov_b32 s3, 0
	s_mov_b32 s1, 0
	s_cbranch_vccz .LBB161_1812
; %bb.1780:
	v_cmp_lt_i16_e32 vcc_lo, 28, v6
	s_cbranch_vccz .LBB161_1795
; %bb.1781:
	v_cmp_lt_i16_e32 vcc_lo, 43, v6
	;; [unrolled: 3-line block ×3, first 2 shown]
	s_cbranch_vccz .LBB161_1785
; %bb.1783:
	v_cmp_eq_u16_e32 vcc_lo, 46, v6
	s_mov_b32 s1, -1
	s_mov_b32 s7, 0
	s_cbranch_vccz .LBB161_1785
; %bb.1784:
	v_cvt_f32_f16_e32 v8, v4
	v_cmp_o_f16_e32 vcc_lo, v4, v4
	s_mov_b32 s1, 0
	s_mov_b32 s6, -1
	s_delay_alu instid0(VALU_DEP_2) | instskip(NEXT) | instid1(VALU_DEP_1)
	v_bfe_u32 v9, v8, 16, 1
	v_add3_u32 v8, v8, v9, 0x7fff
	s_delay_alu instid0(VALU_DEP_1) | instskip(NEXT) | instid1(VALU_DEP_1)
	v_lshrrev_b32_e32 v8, 16, v8
	v_cndmask_b32_e32 v8, 0x7fc0, v8, vcc_lo
	global_store_b32 v[2:3], v8, off
.LBB161_1785:
	s_and_b32 vcc_lo, exec_lo, s7
	s_cbranch_vccz .LBB161_1790
; %bb.1786:
	v_cmp_eq_u16_e32 vcc_lo, 44, v6
	s_mov_b32 s1, -1
	s_cbranch_vccz .LBB161_1790
; %bb.1787:
	v_cvt_f32_f16_e32 v8, v4
	v_mov_b32_e32 v9, 0xff
	s_mov_b32 s6, exec_lo
	s_delay_alu instid0(VALU_DEP_2) | instskip(NEXT) | instid1(VALU_DEP_1)
	v_bfe_u32 v10, v8, 23, 8
	v_cmpx_ne_u32_e32 0xff, v10
; %bb.1788:
	v_and_b32_e32 v9, 0x400000, v8
	v_and_or_b32 v10, 0x3fffff, v8, v10
	v_lshrrev_b32_e32 v8, 23, v8
	s_delay_alu instid0(VALU_DEP_3) | instskip(NEXT) | instid1(VALU_DEP_3)
	v_cmp_ne_u32_e32 vcc_lo, 0, v9
	v_cmp_ne_u32_e64 s1, 0, v10
	s_delay_alu instid0(VALU_DEP_1) | instskip(NEXT) | instid1(SALU_CYCLE_1)
	s_and_b32 s1, vcc_lo, s1
	v_cndmask_b32_e64 v9, 0, 1, s1
	s_delay_alu instid0(VALU_DEP_1)
	v_add_nc_u32_e32 v9, v8, v9
; %bb.1789:
	s_or_b32 exec_lo, exec_lo, s6
	s_mov_b32 s1, 0
	s_mov_b32 s6, -1
	global_store_b8 v[2:3], v9, off
.LBB161_1790:
	s_mov_b32 s7, 0
.LBB161_1791:
	s_delay_alu instid0(SALU_CYCLE_1)
	s_and_b32 vcc_lo, exec_lo, s7
	s_cbranch_vccz .LBB161_1794
; %bb.1792:
	v_cmp_eq_u16_e32 vcc_lo, 29, v6
	s_mov_b32 s1, -1
	s_cbranch_vccz .LBB161_1794
; %bb.1793:
	v_cvt_f32_f16_e32 v8, v4
	v_mov_b32_e32 v9, 0
	s_mov_b32 s1, 0
	s_mov_b32 s6, -1
	s_delay_alu instid0(VALU_DEP_2)
	v_cvt_u32_f32_e32 v8, v8
	global_store_b64 v[2:3], v[8:9], off
.LBB161_1794:
	s_mov_b32 s7, 0
.LBB161_1795:
	s_delay_alu instid0(SALU_CYCLE_1)
	s_and_b32 vcc_lo, exec_lo, s7
	s_cbranch_vccz .LBB161_1811
; %bb.1796:
	v_cmp_gt_i16_e32 vcc_lo, 27, v6
	s_mov_b32 s6, -1
	s_cbranch_vccnz .LBB161_1802
; %bb.1797:
	v_cmp_lt_i16_e32 vcc_lo, 27, v6
	s_cbranch_vccz .LBB161_1799
; %bb.1798:
	v_cvt_f32_f16_e32 v8, v4
	s_mov_b32 s6, 0
	s_delay_alu instid0(VALU_DEP_1)
	v_cvt_u32_f32_e32 v8, v8
	global_store_b32 v[2:3], v8, off
.LBB161_1799:
	s_and_not1_b32 vcc_lo, exec_lo, s6
	s_cbranch_vccnz .LBB161_1801
; %bb.1800:
	v_cvt_u16_f16_e32 v8, v4
	global_store_b16 v[2:3], v8, off
.LBB161_1801:
	s_mov_b32 s6, 0
.LBB161_1802:
	s_delay_alu instid0(SALU_CYCLE_1)
	s_and_not1_b32 vcc_lo, exec_lo, s6
	s_cbranch_vccnz .LBB161_1810
; %bb.1803:
	v_cvt_f32_f16_e32 v8, v4
	v_mov_b32_e32 v10, 0x80
	s_mov_b32 s6, exec_lo
	s_delay_alu instid0(VALU_DEP_2) | instskip(NEXT) | instid1(VALU_DEP_1)
	v_and_b32_e32 v9, 0x7fffffff, v8
	v_cmpx_gt_u32_e32 0x43800000, v9
	s_cbranch_execz .LBB161_1809
; %bb.1804:
	v_cmp_lt_u32_e32 vcc_lo, 0x3bffffff, v9
	s_mov_b32 s7, 0
                                        ; implicit-def: $vgpr9
	s_and_saveexec_b32 s10, vcc_lo
	s_delay_alu instid0(SALU_CYCLE_1)
	s_xor_b32 s10, exec_lo, s10
	s_cbranch_execz .LBB161_2145
; %bb.1805:
	v_bfe_u32 v9, v8, 20, 1
	s_mov_b32 s7, exec_lo
	s_delay_alu instid0(VALU_DEP_1) | instskip(NEXT) | instid1(VALU_DEP_1)
	v_add3_u32 v9, v8, v9, 0x487ffff
	v_lshrrev_b32_e32 v9, 20, v9
	s_or_saveexec_b32 s10, s10
                                        ; implicit-def: $sgpr11
	s_delay_alu instid0(SALU_CYCLE_1)
	s_xor_b32 exec_lo, exec_lo, s10
	s_cbranch_execnz .LBB161_2146
.LBB161_1806:
	s_or_b32 exec_lo, exec_lo, s10
	v_mov_b32_e32 v10, s11
	s_and_saveexec_b32 s10, s7
.LBB161_1807:
	v_lshrrev_b32_e32 v8, 24, v8
	s_delay_alu instid0(VALU_DEP_1)
	v_and_or_b32 v10, 0x80, v8, v9
.LBB161_1808:
	s_or_b32 exec_lo, exec_lo, s10
.LBB161_1809:
	s_delay_alu instid0(SALU_CYCLE_1)
	s_or_b32 exec_lo, exec_lo, s6
	global_store_b8 v[2:3], v10, off
.LBB161_1810:
	s_mov_b32 s6, -1
.LBB161_1811:
	s_mov_b32 s7, 0
.LBB161_1812:
	s_delay_alu instid0(SALU_CYCLE_1)
	s_and_b32 vcc_lo, exec_lo, s7
	s_cbranch_vccz .LBB161_1852
; %bb.1813:
	v_cmp_lt_i16_e32 vcc_lo, 22, v6
	s_mov_b32 s3, -1
	s_cbranch_vccz .LBB161_1845
; %bb.1814:
	v_cmp_gt_i16_e32 vcc_lo, 24, v6
	s_cbranch_vccnz .LBB161_1834
; %bb.1815:
	v_cmp_lt_i16_e32 vcc_lo, 24, v6
	s_cbranch_vccz .LBB161_1823
; %bb.1816:
	v_cvt_f32_f16_e32 v8, v4
	v_mov_b32_e32 v10, 0x80
	s_mov_b32 s3, exec_lo
	s_delay_alu instid0(VALU_DEP_2) | instskip(NEXT) | instid1(VALU_DEP_1)
	v_and_b32_e32 v9, 0x7fffffff, v8
	v_cmpx_gt_u32_e32 0x47800000, v9
	s_cbranch_execz .LBB161_1822
; %bb.1817:
	v_cmp_lt_u32_e32 vcc_lo, 0x37ffffff, v9
	s_mov_b32 s6, 0
                                        ; implicit-def: $vgpr9
	s_and_saveexec_b32 s7, vcc_lo
	s_delay_alu instid0(SALU_CYCLE_1)
	s_xor_b32 s7, exec_lo, s7
	s_cbranch_execz .LBB161_2151
; %bb.1818:
	v_bfe_u32 v9, v8, 21, 1
	s_mov_b32 s6, exec_lo
	s_delay_alu instid0(VALU_DEP_1) | instskip(NEXT) | instid1(VALU_DEP_1)
	v_add3_u32 v9, v8, v9, 0x88fffff
	v_lshrrev_b32_e32 v9, 21, v9
	s_or_saveexec_b32 s7, s7
                                        ; implicit-def: $sgpr10
	s_delay_alu instid0(SALU_CYCLE_1)
	s_xor_b32 exec_lo, exec_lo, s7
	s_cbranch_execnz .LBB161_2152
.LBB161_1819:
	s_or_b32 exec_lo, exec_lo, s7
	v_mov_b32_e32 v10, s10
	s_and_saveexec_b32 s7, s6
.LBB161_1820:
	v_lshrrev_b32_e32 v8, 24, v8
	s_delay_alu instid0(VALU_DEP_1)
	v_and_or_b32 v10, 0x80, v8, v9
.LBB161_1821:
	s_or_b32 exec_lo, exec_lo, s7
.LBB161_1822:
	s_delay_alu instid0(SALU_CYCLE_1)
	s_or_b32 exec_lo, exec_lo, s3
	s_mov_b32 s3, 0
	global_store_b8 v[2:3], v10, off
.LBB161_1823:
	s_and_b32 vcc_lo, exec_lo, s3
	s_cbranch_vccz .LBB161_1833
; %bb.1824:
	v_cvt_f32_f16_e32 v8, v4
	s_mov_b32 s3, exec_lo
                                        ; implicit-def: $vgpr9
	s_delay_alu instid0(VALU_DEP_1) | instskip(NEXT) | instid1(VALU_DEP_1)
	v_and_b32_e32 v10, 0x7fffffff, v8
	v_cmpx_gt_u32_e32 0x43f00000, v10
	s_xor_b32 s3, exec_lo, s3
	s_cbranch_execz .LBB161_1830
; %bb.1825:
	s_mov_b32 s6, exec_lo
                                        ; implicit-def: $vgpr9
	v_cmpx_lt_u32_e32 0x3c7fffff, v10
	s_xor_b32 s6, exec_lo, s6
; %bb.1826:
	v_bfe_u32 v9, v8, 20, 1
	s_delay_alu instid0(VALU_DEP_1) | instskip(NEXT) | instid1(VALU_DEP_1)
	v_add3_u32 v9, v8, v9, 0x407ffff
	v_and_b32_e32 v10, 0xff00000, v9
	v_lshrrev_b32_e32 v9, 20, v9
	s_delay_alu instid0(VALU_DEP_2) | instskip(NEXT) | instid1(VALU_DEP_2)
	v_cmp_ne_u32_e32 vcc_lo, 0x7f00000, v10
	v_cndmask_b32_e32 v9, 0x7e, v9, vcc_lo
; %bb.1827:
	s_and_not1_saveexec_b32 s6, s6
; %bb.1828:
	v_add_f32_e64 v9, 0x46800000, |v8|
; %bb.1829:
	s_or_b32 exec_lo, exec_lo, s6
                                        ; implicit-def: $vgpr10
.LBB161_1830:
	s_and_not1_saveexec_b32 s3, s3
; %bb.1831:
	v_mov_b32_e32 v9, 0x7f
	v_cmp_lt_u32_e32 vcc_lo, 0x7f800000, v10
	s_delay_alu instid0(VALU_DEP_2)
	v_cndmask_b32_e32 v9, 0x7e, v9, vcc_lo
; %bb.1832:
	s_or_b32 exec_lo, exec_lo, s3
	v_lshrrev_b32_e32 v8, 24, v8
	s_delay_alu instid0(VALU_DEP_1)
	v_and_or_b32 v8, 0x80, v8, v9
	global_store_b8 v[2:3], v8, off
.LBB161_1833:
	s_mov_b32 s3, 0
.LBB161_1834:
	s_delay_alu instid0(SALU_CYCLE_1)
	s_and_not1_b32 vcc_lo, exec_lo, s3
	s_cbranch_vccnz .LBB161_1844
; %bb.1835:
	v_cvt_f32_f16_e32 v8, v4
	s_mov_b32 s3, exec_lo
                                        ; implicit-def: $vgpr9
	s_delay_alu instid0(VALU_DEP_1) | instskip(NEXT) | instid1(VALU_DEP_1)
	v_and_b32_e32 v10, 0x7fffffff, v8
	v_cmpx_gt_u32_e32 0x47800000, v10
	s_xor_b32 s3, exec_lo, s3
	s_cbranch_execz .LBB161_1841
; %bb.1836:
	s_mov_b32 s6, exec_lo
                                        ; implicit-def: $vgpr9
	v_cmpx_lt_u32_e32 0x387fffff, v10
	s_xor_b32 s6, exec_lo, s6
; %bb.1837:
	v_bfe_u32 v9, v8, 21, 1
	s_delay_alu instid0(VALU_DEP_1) | instskip(NEXT) | instid1(VALU_DEP_1)
	v_add3_u32 v9, v8, v9, 0x80fffff
	v_lshrrev_b32_e32 v9, 21, v9
; %bb.1838:
	s_and_not1_saveexec_b32 s6, s6
; %bb.1839:
	v_add_f32_e64 v9, 0x43000000, |v8|
; %bb.1840:
	s_or_b32 exec_lo, exec_lo, s6
                                        ; implicit-def: $vgpr10
.LBB161_1841:
	s_and_not1_saveexec_b32 s3, s3
; %bb.1842:
	v_mov_b32_e32 v9, 0x7f
	v_cmp_lt_u32_e32 vcc_lo, 0x7f800000, v10
	s_delay_alu instid0(VALU_DEP_2)
	v_cndmask_b32_e32 v9, 0x7c, v9, vcc_lo
; %bb.1843:
	s_or_b32 exec_lo, exec_lo, s3
	v_lshrrev_b32_e32 v8, 24, v8
	s_delay_alu instid0(VALU_DEP_1)
	v_and_or_b32 v8, 0x80, v8, v9
	global_store_b8 v[2:3], v8, off
.LBB161_1844:
	s_mov_b32 s3, 0
	s_mov_b32 s6, -1
.LBB161_1845:
	s_and_not1_b32 vcc_lo, exec_lo, s3
	s_mov_b32 s3, 0
	s_cbranch_vccnz .LBB161_1852
; %bb.1846:
	v_cmp_lt_i16_e32 vcc_lo, 14, v6
	s_mov_b32 s3, -1
	s_cbranch_vccz .LBB161_1850
; %bb.1847:
	v_cmp_eq_u16_e32 vcc_lo, 15, v6
	s_mov_b32 s1, -1
	s_cbranch_vccz .LBB161_1849
; %bb.1848:
	v_cvt_f32_f16_e32 v8, v4
	v_cmp_o_f16_e32 vcc_lo, v4, v4
	s_mov_b32 s1, 0
	s_mov_b32 s6, -1
	s_delay_alu instid0(VALU_DEP_2) | instskip(NEXT) | instid1(VALU_DEP_1)
	v_bfe_u32 v9, v8, 16, 1
	v_add3_u32 v8, v8, v9, 0x7fff
	s_delay_alu instid0(VALU_DEP_1) | instskip(NEXT) | instid1(VALU_DEP_1)
	v_lshrrev_b32_e32 v8, 16, v8
	v_cndmask_b32_e32 v8, 0x7fc0, v8, vcc_lo
	global_store_b16 v[2:3], v8, off
.LBB161_1849:
	s_mov_b32 s3, 0
.LBB161_1850:
	s_delay_alu instid0(SALU_CYCLE_1)
	s_and_b32 vcc_lo, exec_lo, s3
	s_mov_b32 s3, 0
	s_cbranch_vccz .LBB161_1852
; %bb.1851:
	v_cmp_ne_u16_e64 s1, 11, v6
	s_mov_b32 s3, -1
.LBB161_1852:
	s_delay_alu instid0(VALU_DEP_1)
	s_and_b32 vcc_lo, exec_lo, s1
	s_cbranch_vccnz .LBB161_2149
; %bb.1853:
	s_and_not1_b32 vcc_lo, exec_lo, s3
	s_cbranch_vccnz .LBB161_1855
.LBB161_1854:
	v_cmp_neq_f16_e32 vcc_lo, 0, v5
	s_mov_b32 s6, -1
	s_or_b32 s0, s0, vcc_lo
	s_delay_alu instid0(SALU_CYCLE_1)
	v_cndmask_b32_e64 v5, 0, 1, s0
	global_store_b8 v[2:3], v5, off
.LBB161_1855:
	s_mov_b32 s1, 0
.LBB161_1856:
	s_delay_alu instid0(SALU_CYCLE_1)
	s_and_b32 vcc_lo, exec_lo, s1
	s_cbranch_vccz .LBB161_1895
; %bb.1857:
	v_cmp_gt_i16_e32 vcc_lo, 5, v6
	s_mov_b32 s0, -1
	s_cbranch_vccnz .LBB161_1878
; %bb.1858:
	v_cmp_gt_i16_e32 vcc_lo, 8, v6
	s_cbranch_vccnz .LBB161_1868
; %bb.1859:
	v_cmp_gt_i16_e32 vcc_lo, 9, v6
	s_cbranch_vccnz .LBB161_1865
; %bb.1860:
	v_cmp_lt_i16_e32 vcc_lo, 9, v6
	s_cbranch_vccz .LBB161_1862
; %bb.1861:
	v_cvt_f32_f16_e32 v5, v4
	v_mov_b32_e32 v14, 0
	s_mov_b32 s0, 0
	s_delay_alu instid0(VALU_DEP_2) | instskip(NEXT) | instid1(VALU_DEP_2)
	v_cvt_f64_f32_e32 v[12:13], v5
	v_mov_b32_e32 v15, v14
	global_store_b128 v[2:3], v[12:15], off
.LBB161_1862:
	s_and_not1_b32 vcc_lo, exec_lo, s0
	s_cbranch_vccnz .LBB161_1864
; %bb.1863:
	v_cvt_f32_f16_e32 v8, v4
	v_mov_b32_e32 v9, 0
	global_store_b64 v[2:3], v[8:9], off
.LBB161_1864:
	s_mov_b32 s0, 0
.LBB161_1865:
	s_delay_alu instid0(SALU_CYCLE_1)
	s_and_not1_b32 vcc_lo, exec_lo, s0
	s_cbranch_vccnz .LBB161_1867
; %bb.1866:
	v_and_b32_e32 v5, 0xffff, v4
	global_store_b32 v[2:3], v5, off
.LBB161_1867:
	s_mov_b32 s0, 0
.LBB161_1868:
	s_delay_alu instid0(SALU_CYCLE_1)
	s_and_not1_b32 vcc_lo, exec_lo, s0
	s_cbranch_vccnz .LBB161_1877
; %bb.1869:
	v_cmp_gt_i16_e32 vcc_lo, 6, v6
	s_mov_b32 s0, -1
	s_cbranch_vccnz .LBB161_1875
; %bb.1870:
	v_cmp_lt_i16_e32 vcc_lo, 6, v6
	s_cbranch_vccz .LBB161_1872
; %bb.1871:
	v_cvt_f32_f16_e32 v5, v4
	s_mov_b32 s0, 0
	s_delay_alu instid0(VALU_DEP_1)
	v_cvt_f64_f32_e32 v[8:9], v5
	global_store_b64 v[2:3], v[8:9], off
.LBB161_1872:
	s_and_not1_b32 vcc_lo, exec_lo, s0
	s_cbranch_vccnz .LBB161_1874
; %bb.1873:
	v_cvt_f32_f16_e32 v5, v4
	global_store_b32 v[2:3], v5, off
.LBB161_1874:
	s_mov_b32 s0, 0
.LBB161_1875:
	s_delay_alu instid0(SALU_CYCLE_1)
	s_and_not1_b32 vcc_lo, exec_lo, s0
	s_cbranch_vccnz .LBB161_1877
; %bb.1876:
	global_store_b16 v[2:3], v4, off
.LBB161_1877:
	s_mov_b32 s0, 0
.LBB161_1878:
	s_delay_alu instid0(SALU_CYCLE_1)
	s_and_not1_b32 vcc_lo, exec_lo, s0
	s_cbranch_vccnz .LBB161_1894
; %bb.1879:
	v_cmp_gt_i16_e32 vcc_lo, 2, v6
	s_mov_b32 s0, -1
	s_cbranch_vccnz .LBB161_1889
; %bb.1880:
	v_cmp_gt_i16_e32 vcc_lo, 3, v6
	s_cbranch_vccnz .LBB161_1886
; %bb.1881:
	v_cmp_lt_i16_e32 vcc_lo, 3, v6
	s_cbranch_vccz .LBB161_1883
; %bb.1882:
	v_cvt_f32_f16_e32 v5, v4
	s_mov_b32 s0, 0
	s_delay_alu instid0(VALU_DEP_1) | instskip(NEXT) | instid1(VALU_DEP_1)
	v_cvt_i32_f32_e32 v8, v5
	v_ashrrev_i32_e32 v9, 31, v8
	global_store_b64 v[2:3], v[8:9], off
.LBB161_1883:
	s_and_not1_b32 vcc_lo, exec_lo, s0
	s_cbranch_vccnz .LBB161_1885
; %bb.1884:
	v_cvt_f32_f16_e32 v5, v4
	s_delay_alu instid0(VALU_DEP_1)
	v_cvt_i32_f32_e32 v5, v5
	global_store_b32 v[2:3], v5, off
.LBB161_1885:
	s_mov_b32 s0, 0
.LBB161_1886:
	s_delay_alu instid0(SALU_CYCLE_1)
	s_and_not1_b32 vcc_lo, exec_lo, s0
	s_cbranch_vccnz .LBB161_1888
; %bb.1887:
	v_cvt_i16_f16_e32 v5, v4
	global_store_b16 v[2:3], v5, off
.LBB161_1888:
	s_mov_b32 s0, 0
.LBB161_1889:
	s_delay_alu instid0(SALU_CYCLE_1)
	s_and_not1_b32 vcc_lo, exec_lo, s0
	s_cbranch_vccnz .LBB161_1894
; %bb.1890:
	v_cmp_lt_i16_e32 vcc_lo, 0, v6
	s_mov_b32 s0, -1
	s_cbranch_vccz .LBB161_1892
; %bb.1891:
	v_cvt_i16_f16_e32 v5, v4
	s_mov_b32 s0, 0
	global_store_b8 v[2:3], v5, off
.LBB161_1892:
	s_and_not1_b32 vcc_lo, exec_lo, s0
	s_cbranch_vccnz .LBB161_1894
; %bb.1893:
	v_cvt_f32_f16_e32 v4, v4
	s_delay_alu instid0(VALU_DEP_1)
	v_cvt_i32_f32_e32 v4, v4
	global_store_b8 v[2:3], v4, off
.LBB161_1894:
	s_mov_b32 s6, -1
.LBB161_1895:
	s_delay_alu instid0(SALU_CYCLE_1)
	s_and_not1_b32 vcc_lo, exec_lo, s6
	s_cbranch_vccnz .LBB161_2090
; %bb.1896:
	v_cvt_f32_f16_e32 v2, v7
	s_mov_b32 s0, 0xbf317218
	s_mov_b32 s6, 0
	s_mov_b32 s1, -1
	s_delay_alu instid0(VALU_DEP_1) | instskip(NEXT) | instid1(VALU_DEP_1)
	v_mul_f32_e32 v3, 0x3fb8aa3b, v2
	v_rndne_f32_e32 v3, v3
	s_delay_alu instid0(VALU_DEP_1) | instskip(SKIP_3) | instid1(VALU_DEP_3)
	v_fma_mix_f32 v4, v3, s0, v7 op_sel_hi:[0,0,1]
	v_cvt_i32_f32_e32 v8, v3
	v_cmp_eq_f32_e32 vcc_lo, 0x43000000, v3
	s_mov_b32 s0, 0x395133b1
	v_fmamk_f32 v4, v3, 0x3102e308, v4
	s_delay_alu instid0(VALU_DEP_3) | instskip(NEXT) | instid1(VALU_DEP_1)
	v_cndmask_b32_e64 v3, v8, 0x7f, vcc_lo
	v_ldexp_f32 v3, 1.0, v3
	s_delay_alu instid0(VALU_DEP_3) | instskip(SKIP_1) | instid1(VALU_DEP_2)
	v_fmaak_f32 v5, s0, v4, 0x3ab69700
	v_add_co_u32 v1, s0, s4, v1
	v_dual_add_f32 v8, -1.0, v3 :: v_dual_fmaak_f32 v5, v4, v5, 0x3c0887f9
	s_delay_alu instid0(VALU_DEP_1) | instskip(NEXT) | instid1(VALU_DEP_1)
	v_fmaak_f32 v5, v4, v5, 0x3d2aaa81
	v_fmaak_f32 v5, v4, v5, 0x3e2aaaab
	s_delay_alu instid0(VALU_DEP_1) | instskip(NEXT) | instid1(VALU_DEP_1)
	v_fma_f32 v5, v4, v5, 0.5
	v_mul_f32_e32 v5, v4, v5
	s_delay_alu instid0(VALU_DEP_1) | instskip(NEXT) | instid1(VALU_DEP_1)
	v_fmac_f32_e32 v4, v4, v5
	v_fmac_f32_e32 v8, v3, v4
	s_delay_alu instid0(VALU_DEP_1) | instskip(NEXT) | instid1(VALU_DEP_1)
	v_add_f32_e32 v3, v8, v8
	v_cndmask_b32_e32 v3, v8, v3, vcc_lo
	v_cmp_nlt_f32_e32 vcc_lo, 0x42b17217, v2
	s_delay_alu instid0(VALU_DEP_2) | instskip(SKIP_1) | instid1(VALU_DEP_2)
	v_cndmask_b32_e32 v2, 0x7f800000, v3, vcc_lo
	v_cmp_gt_i16_e32 vcc_lo, 11, v6
	v_cvt_f16_f32_e32 v4, v2
	v_add_co_ci_u32_e64 v2, null, s5, 0, s0
	v_cmp_gt_f16_e64 s0, 0xcc40, v7
	s_delay_alu instid0(VALU_DEP_1)
	v_cndmask_b32_e64 v3, v4, 0xbc00, s0
	s_cbranch_vccnz .LBB161_1974
; %bb.1897:
	v_cmp_lt_i16_e32 vcc_lo, 25, v6
	s_mov_b32 s7, -1
	s_mov_b32 s3, 0
	s_mov_b32 s1, 0
	s_cbranch_vccz .LBB161_1930
; %bb.1898:
	v_cmp_lt_i16_e32 vcc_lo, 28, v6
	s_cbranch_vccz .LBB161_1913
; %bb.1899:
	v_cmp_lt_i16_e32 vcc_lo, 43, v6
	;; [unrolled: 3-line block ×3, first 2 shown]
	s_cbranch_vccz .LBB161_1903
; %bb.1901:
	v_cmp_eq_u16_e32 vcc_lo, 46, v6
	s_mov_b32 s1, -1
	s_mov_b32 s7, 0
	s_cbranch_vccz .LBB161_1903
; %bb.1902:
	v_cvt_f32_f16_e32 v5, v3
	v_cmp_o_f16_e32 vcc_lo, v3, v3
	s_mov_b32 s1, 0
	s_mov_b32 s6, -1
	s_delay_alu instid0(VALU_DEP_2) | instskip(NEXT) | instid1(VALU_DEP_1)
	v_bfe_u32 v7, v5, 16, 1
	v_add3_u32 v5, v5, v7, 0x7fff
	s_delay_alu instid0(VALU_DEP_1) | instskip(NEXT) | instid1(VALU_DEP_1)
	v_lshrrev_b32_e32 v5, 16, v5
	v_cndmask_b32_e32 v5, 0x7fc0, v5, vcc_lo
	global_store_b32 v[1:2], v5, off
.LBB161_1903:
	s_and_b32 vcc_lo, exec_lo, s7
	s_cbranch_vccz .LBB161_1908
; %bb.1904:
	v_cmp_eq_u16_e32 vcc_lo, 44, v6
	s_mov_b32 s1, -1
	s_cbranch_vccz .LBB161_1908
; %bb.1905:
	v_cvt_f32_f16_e32 v5, v3
	v_mov_b32_e32 v7, 0xff
	s_mov_b32 s6, exec_lo
	s_delay_alu instid0(VALU_DEP_2) | instskip(NEXT) | instid1(VALU_DEP_1)
	v_bfe_u32 v8, v5, 23, 8
	v_cmpx_ne_u32_e32 0xff, v8
; %bb.1906:
	v_and_b32_e32 v7, 0x400000, v5
	v_and_or_b32 v8, 0x3fffff, v5, v8
	v_lshrrev_b32_e32 v5, 23, v5
	s_delay_alu instid0(VALU_DEP_3) | instskip(NEXT) | instid1(VALU_DEP_3)
	v_cmp_ne_u32_e32 vcc_lo, 0, v7
	v_cmp_ne_u32_e64 s1, 0, v8
	s_delay_alu instid0(VALU_DEP_1) | instskip(NEXT) | instid1(SALU_CYCLE_1)
	s_and_b32 s1, vcc_lo, s1
	v_cndmask_b32_e64 v7, 0, 1, s1
	s_delay_alu instid0(VALU_DEP_1)
	v_add_nc_u32_e32 v7, v5, v7
; %bb.1907:
	s_or_b32 exec_lo, exec_lo, s6
	s_mov_b32 s1, 0
	s_mov_b32 s6, -1
	global_store_b8 v[1:2], v7, off
.LBB161_1908:
	s_mov_b32 s7, 0
.LBB161_1909:
	s_delay_alu instid0(SALU_CYCLE_1)
	s_and_b32 vcc_lo, exec_lo, s7
	s_cbranch_vccz .LBB161_1912
; %bb.1910:
	v_cmp_eq_u16_e32 vcc_lo, 29, v6
	s_mov_b32 s1, -1
	s_cbranch_vccz .LBB161_1912
; %bb.1911:
	v_cvt_f32_f16_e32 v5, v3
	v_mov_b32_e32 v8, 0
	s_mov_b32 s1, 0
	s_mov_b32 s6, -1
	s_delay_alu instid0(VALU_DEP_2)
	v_cvt_u32_f32_e32 v7, v5
	global_store_b64 v[1:2], v[7:8], off
.LBB161_1912:
	s_mov_b32 s7, 0
.LBB161_1913:
	s_delay_alu instid0(SALU_CYCLE_1)
	s_and_b32 vcc_lo, exec_lo, s7
	s_cbranch_vccz .LBB161_1929
; %bb.1914:
	v_cmp_gt_i16_e32 vcc_lo, 27, v6
	s_mov_b32 s6, -1
	s_cbranch_vccnz .LBB161_1920
; %bb.1915:
	v_cmp_lt_i16_e32 vcc_lo, 27, v6
	s_cbranch_vccz .LBB161_1917
; %bb.1916:
	v_cvt_f32_f16_e32 v5, v3
	s_mov_b32 s6, 0
	s_delay_alu instid0(VALU_DEP_1)
	v_cvt_u32_f32_e32 v5, v5
	global_store_b32 v[1:2], v5, off
.LBB161_1917:
	s_and_not1_b32 vcc_lo, exec_lo, s6
	s_cbranch_vccnz .LBB161_1919
; %bb.1918:
	v_cvt_u16_f16_e32 v5, v3
	global_store_b16 v[1:2], v5, off
.LBB161_1919:
	s_mov_b32 s6, 0
.LBB161_1920:
	s_delay_alu instid0(SALU_CYCLE_1)
	s_and_not1_b32 vcc_lo, exec_lo, s6
	s_cbranch_vccnz .LBB161_1928
; %bb.1921:
	v_cvt_f32_f16_e32 v5, v3
	v_mov_b32_e32 v8, 0x80
	s_mov_b32 s6, exec_lo
	s_delay_alu instid0(VALU_DEP_2) | instskip(NEXT) | instid1(VALU_DEP_1)
	v_and_b32_e32 v7, 0x7fffffff, v5
	v_cmpx_gt_u32_e32 0x43800000, v7
	s_cbranch_execz .LBB161_1927
; %bb.1922:
	v_cmp_lt_u32_e32 vcc_lo, 0x3bffffff, v7
	s_mov_b32 s7, 0
                                        ; implicit-def: $vgpr7
	s_and_saveexec_b32 s10, vcc_lo
	s_delay_alu instid0(SALU_CYCLE_1)
	s_xor_b32 s10, exec_lo, s10
	s_cbranch_execz .LBB161_2153
; %bb.1923:
	v_bfe_u32 v7, v5, 20, 1
	s_mov_b32 s7, exec_lo
	s_delay_alu instid0(VALU_DEP_1) | instskip(NEXT) | instid1(VALU_DEP_1)
	v_add3_u32 v7, v5, v7, 0x487ffff
	v_lshrrev_b32_e32 v7, 20, v7
	s_or_saveexec_b32 s10, s10
                                        ; implicit-def: $sgpr11
	s_delay_alu instid0(SALU_CYCLE_1)
	s_xor_b32 exec_lo, exec_lo, s10
	s_cbranch_execnz .LBB161_2154
.LBB161_1924:
	s_or_b32 exec_lo, exec_lo, s10
	v_mov_b32_e32 v8, s11
	s_and_saveexec_b32 s10, s7
.LBB161_1925:
	v_lshrrev_b32_e32 v5, 24, v5
	s_delay_alu instid0(VALU_DEP_1)
	v_and_or_b32 v8, 0x80, v5, v7
.LBB161_1926:
	s_or_b32 exec_lo, exec_lo, s10
.LBB161_1927:
	s_delay_alu instid0(SALU_CYCLE_1)
	s_or_b32 exec_lo, exec_lo, s6
	global_store_b8 v[1:2], v8, off
.LBB161_1928:
	s_mov_b32 s6, -1
.LBB161_1929:
	s_mov_b32 s7, 0
.LBB161_1930:
	s_delay_alu instid0(SALU_CYCLE_1)
	s_and_b32 vcc_lo, exec_lo, s7
	s_cbranch_vccz .LBB161_1970
; %bb.1931:
	v_cmp_lt_i16_e32 vcc_lo, 22, v6
	s_mov_b32 s3, -1
	s_cbranch_vccz .LBB161_1963
; %bb.1932:
	v_cmp_gt_i16_e32 vcc_lo, 24, v6
	s_cbranch_vccnz .LBB161_1952
; %bb.1933:
	v_cmp_lt_i16_e32 vcc_lo, 24, v6
	s_cbranch_vccz .LBB161_1941
; %bb.1934:
	v_cvt_f32_f16_e32 v5, v3
	v_mov_b32_e32 v8, 0x80
	s_mov_b32 s3, exec_lo
	s_delay_alu instid0(VALU_DEP_2) | instskip(NEXT) | instid1(VALU_DEP_1)
	v_and_b32_e32 v7, 0x7fffffff, v5
	v_cmpx_gt_u32_e32 0x47800000, v7
	s_cbranch_execz .LBB161_1940
; %bb.1935:
	v_cmp_lt_u32_e32 vcc_lo, 0x37ffffff, v7
	s_mov_b32 s6, 0
                                        ; implicit-def: $vgpr7
	s_and_saveexec_b32 s7, vcc_lo
	s_delay_alu instid0(SALU_CYCLE_1)
	s_xor_b32 s7, exec_lo, s7
	s_cbranch_execz .LBB161_2159
; %bb.1936:
	v_bfe_u32 v7, v5, 21, 1
	s_mov_b32 s6, exec_lo
	s_delay_alu instid0(VALU_DEP_1) | instskip(NEXT) | instid1(VALU_DEP_1)
	v_add3_u32 v7, v5, v7, 0x88fffff
	v_lshrrev_b32_e32 v7, 21, v7
	s_or_saveexec_b32 s7, s7
                                        ; implicit-def: $sgpr10
	s_delay_alu instid0(SALU_CYCLE_1)
	s_xor_b32 exec_lo, exec_lo, s7
	s_cbranch_execnz .LBB161_2160
.LBB161_1937:
	s_or_b32 exec_lo, exec_lo, s7
	v_mov_b32_e32 v8, s10
	s_and_saveexec_b32 s7, s6
.LBB161_1938:
	v_lshrrev_b32_e32 v5, 24, v5
	s_delay_alu instid0(VALU_DEP_1)
	v_and_or_b32 v8, 0x80, v5, v7
.LBB161_1939:
	s_or_b32 exec_lo, exec_lo, s7
.LBB161_1940:
	s_delay_alu instid0(SALU_CYCLE_1)
	s_or_b32 exec_lo, exec_lo, s3
	s_mov_b32 s3, 0
	global_store_b8 v[1:2], v8, off
.LBB161_1941:
	s_and_b32 vcc_lo, exec_lo, s3
	s_cbranch_vccz .LBB161_1951
; %bb.1942:
	v_cvt_f32_f16_e32 v5, v3
	s_mov_b32 s3, exec_lo
                                        ; implicit-def: $vgpr7
	s_delay_alu instid0(VALU_DEP_1) | instskip(NEXT) | instid1(VALU_DEP_1)
	v_and_b32_e32 v8, 0x7fffffff, v5
	v_cmpx_gt_u32_e32 0x43f00000, v8
	s_xor_b32 s3, exec_lo, s3
	s_cbranch_execz .LBB161_1948
; %bb.1943:
	s_mov_b32 s6, exec_lo
                                        ; implicit-def: $vgpr7
	v_cmpx_lt_u32_e32 0x3c7fffff, v8
	s_xor_b32 s6, exec_lo, s6
; %bb.1944:
	v_bfe_u32 v7, v5, 20, 1
	s_delay_alu instid0(VALU_DEP_1) | instskip(NEXT) | instid1(VALU_DEP_1)
	v_add3_u32 v7, v5, v7, 0x407ffff
	v_and_b32_e32 v8, 0xff00000, v7
	v_lshrrev_b32_e32 v7, 20, v7
	s_delay_alu instid0(VALU_DEP_2) | instskip(NEXT) | instid1(VALU_DEP_2)
	v_cmp_ne_u32_e32 vcc_lo, 0x7f00000, v8
	v_cndmask_b32_e32 v7, 0x7e, v7, vcc_lo
; %bb.1945:
	s_and_not1_saveexec_b32 s6, s6
; %bb.1946:
	v_add_f32_e64 v7, 0x46800000, |v5|
; %bb.1947:
	s_or_b32 exec_lo, exec_lo, s6
                                        ; implicit-def: $vgpr8
.LBB161_1948:
	s_and_not1_saveexec_b32 s3, s3
; %bb.1949:
	v_mov_b32_e32 v7, 0x7f
	v_cmp_lt_u32_e32 vcc_lo, 0x7f800000, v8
	s_delay_alu instid0(VALU_DEP_2)
	v_cndmask_b32_e32 v7, 0x7e, v7, vcc_lo
; %bb.1950:
	s_or_b32 exec_lo, exec_lo, s3
	v_lshrrev_b32_e32 v5, 24, v5
	s_delay_alu instid0(VALU_DEP_1)
	v_and_or_b32 v5, 0x80, v5, v7
	global_store_b8 v[1:2], v5, off
.LBB161_1951:
	s_mov_b32 s3, 0
.LBB161_1952:
	s_delay_alu instid0(SALU_CYCLE_1)
	s_and_not1_b32 vcc_lo, exec_lo, s3
	s_cbranch_vccnz .LBB161_1962
; %bb.1953:
	v_cvt_f32_f16_e32 v5, v3
	s_mov_b32 s3, exec_lo
                                        ; implicit-def: $vgpr7
	s_delay_alu instid0(VALU_DEP_1) | instskip(NEXT) | instid1(VALU_DEP_1)
	v_and_b32_e32 v8, 0x7fffffff, v5
	v_cmpx_gt_u32_e32 0x47800000, v8
	s_xor_b32 s3, exec_lo, s3
	s_cbranch_execz .LBB161_1959
; %bb.1954:
	s_mov_b32 s6, exec_lo
                                        ; implicit-def: $vgpr7
	v_cmpx_lt_u32_e32 0x387fffff, v8
	s_xor_b32 s6, exec_lo, s6
; %bb.1955:
	v_bfe_u32 v7, v5, 21, 1
	s_delay_alu instid0(VALU_DEP_1) | instskip(NEXT) | instid1(VALU_DEP_1)
	v_add3_u32 v7, v5, v7, 0x80fffff
	v_lshrrev_b32_e32 v7, 21, v7
; %bb.1956:
	s_and_not1_saveexec_b32 s6, s6
; %bb.1957:
	v_add_f32_e64 v7, 0x43000000, |v5|
; %bb.1958:
	s_or_b32 exec_lo, exec_lo, s6
                                        ; implicit-def: $vgpr8
.LBB161_1959:
	s_and_not1_saveexec_b32 s3, s3
; %bb.1960:
	v_mov_b32_e32 v7, 0x7f
	v_cmp_lt_u32_e32 vcc_lo, 0x7f800000, v8
	s_delay_alu instid0(VALU_DEP_2)
	v_cndmask_b32_e32 v7, 0x7c, v7, vcc_lo
; %bb.1961:
	s_or_b32 exec_lo, exec_lo, s3
	v_lshrrev_b32_e32 v5, 24, v5
	s_delay_alu instid0(VALU_DEP_1)
	v_and_or_b32 v5, 0x80, v5, v7
	global_store_b8 v[1:2], v5, off
.LBB161_1962:
	s_mov_b32 s3, 0
	s_mov_b32 s6, -1
.LBB161_1963:
	s_and_not1_b32 vcc_lo, exec_lo, s3
	s_mov_b32 s3, 0
	s_cbranch_vccnz .LBB161_1970
; %bb.1964:
	v_cmp_lt_i16_e32 vcc_lo, 14, v6
	s_mov_b32 s3, -1
	s_cbranch_vccz .LBB161_1968
; %bb.1965:
	v_cmp_eq_u16_e32 vcc_lo, 15, v6
	s_mov_b32 s1, -1
	s_cbranch_vccz .LBB161_1967
; %bb.1966:
	v_cvt_f32_f16_e32 v5, v3
	v_cmp_o_f16_e32 vcc_lo, v3, v3
	s_mov_b32 s1, 0
	s_mov_b32 s6, -1
	s_delay_alu instid0(VALU_DEP_2) | instskip(NEXT) | instid1(VALU_DEP_1)
	v_bfe_u32 v7, v5, 16, 1
	v_add3_u32 v5, v5, v7, 0x7fff
	s_delay_alu instid0(VALU_DEP_1) | instskip(NEXT) | instid1(VALU_DEP_1)
	v_lshrrev_b32_e32 v5, 16, v5
	v_cndmask_b32_e32 v5, 0x7fc0, v5, vcc_lo
	global_store_b16 v[1:2], v5, off
.LBB161_1967:
	s_mov_b32 s3, 0
.LBB161_1968:
	s_delay_alu instid0(SALU_CYCLE_1)
	s_and_b32 vcc_lo, exec_lo, s3
	s_mov_b32 s3, 0
	s_cbranch_vccz .LBB161_1970
; %bb.1969:
	v_cmp_ne_u16_e64 s1, 11, v6
	s_mov_b32 s3, -1
.LBB161_1970:
	s_delay_alu instid0(VALU_DEP_1)
	s_and_b32 vcc_lo, exec_lo, s1
	s_cbranch_vccnz .LBB161_2157
; %bb.1971:
	s_and_not1_b32 vcc_lo, exec_lo, s3
	s_cbranch_vccnz .LBB161_1973
.LBB161_1972:
	v_cmp_neq_f16_e32 vcc_lo, 0, v4
	s_mov_b32 s6, -1
	s_or_b32 s0, s0, vcc_lo
	s_delay_alu instid0(SALU_CYCLE_1)
	v_cndmask_b32_e64 v4, 0, 1, s0
	global_store_b8 v[1:2], v4, off
.LBB161_1973:
	s_mov_b32 s1, 0
.LBB161_1974:
	s_delay_alu instid0(SALU_CYCLE_1)
	s_and_b32 vcc_lo, exec_lo, s1
	s_cbranch_vccz .LBB161_2013
; %bb.1975:
	v_cmp_gt_i16_e32 vcc_lo, 5, v6
	s_mov_b32 s0, -1
	s_cbranch_vccnz .LBB161_1996
; %bb.1976:
	v_cmp_gt_i16_e32 vcc_lo, 8, v6
	s_cbranch_vccnz .LBB161_1986
; %bb.1977:
	v_cmp_gt_i16_e32 vcc_lo, 9, v6
	s_cbranch_vccnz .LBB161_1983
; %bb.1978:
	v_cmp_lt_i16_e32 vcc_lo, 9, v6
	s_cbranch_vccz .LBB161_1980
; %bb.1979:
	v_cvt_f32_f16_e32 v4, v3
	v_mov_b32_e32 v9, 0
	s_mov_b32 s0, 0
	s_delay_alu instid0(VALU_DEP_2) | instskip(NEXT) | instid1(VALU_DEP_2)
	v_cvt_f64_f32_e32 v[7:8], v4
	v_mov_b32_e32 v10, v9
	global_store_b128 v[1:2], v[7:10], off
.LBB161_1980:
	s_and_not1_b32 vcc_lo, exec_lo, s0
	s_cbranch_vccnz .LBB161_1982
; %bb.1981:
	v_cvt_f32_f16_e32 v4, v3
	v_mov_b32_e32 v5, 0
	global_store_b64 v[1:2], v[4:5], off
.LBB161_1982:
	s_mov_b32 s0, 0
.LBB161_1983:
	s_delay_alu instid0(SALU_CYCLE_1)
	s_and_not1_b32 vcc_lo, exec_lo, s0
	s_cbranch_vccnz .LBB161_1985
; %bb.1984:
	v_and_b32_e32 v4, 0xffff, v3
	global_store_b32 v[1:2], v4, off
.LBB161_1985:
	s_mov_b32 s0, 0
.LBB161_1986:
	s_delay_alu instid0(SALU_CYCLE_1)
	s_and_not1_b32 vcc_lo, exec_lo, s0
	s_cbranch_vccnz .LBB161_1995
; %bb.1987:
	v_cmp_gt_i16_e32 vcc_lo, 6, v6
	s_mov_b32 s0, -1
	s_cbranch_vccnz .LBB161_1993
; %bb.1988:
	v_cmp_lt_i16_e32 vcc_lo, 6, v6
	s_cbranch_vccz .LBB161_1990
; %bb.1989:
	v_cvt_f32_f16_e32 v4, v3
	s_mov_b32 s0, 0
	s_delay_alu instid0(VALU_DEP_1)
	v_cvt_f64_f32_e32 v[4:5], v4
	global_store_b64 v[1:2], v[4:5], off
.LBB161_1990:
	s_and_not1_b32 vcc_lo, exec_lo, s0
	s_cbranch_vccnz .LBB161_1992
; %bb.1991:
	v_cvt_f32_f16_e32 v4, v3
	global_store_b32 v[1:2], v4, off
.LBB161_1992:
	s_mov_b32 s0, 0
.LBB161_1993:
	s_delay_alu instid0(SALU_CYCLE_1)
	s_and_not1_b32 vcc_lo, exec_lo, s0
	s_cbranch_vccnz .LBB161_1995
; %bb.1994:
	global_store_b16 v[1:2], v3, off
.LBB161_1995:
	s_mov_b32 s0, 0
.LBB161_1996:
	s_delay_alu instid0(SALU_CYCLE_1)
	s_and_not1_b32 vcc_lo, exec_lo, s0
	s_cbranch_vccnz .LBB161_2012
; %bb.1997:
	v_cmp_gt_i16_e32 vcc_lo, 2, v6
	s_mov_b32 s0, -1
	s_cbranch_vccnz .LBB161_2007
; %bb.1998:
	v_cmp_gt_i16_e32 vcc_lo, 3, v6
	s_cbranch_vccnz .LBB161_2004
; %bb.1999:
	v_cmp_lt_i16_e32 vcc_lo, 3, v6
	s_cbranch_vccz .LBB161_2001
; %bb.2000:
	v_cvt_f32_f16_e32 v4, v3
	s_mov_b32 s0, 0
	s_delay_alu instid0(VALU_DEP_1) | instskip(NEXT) | instid1(VALU_DEP_1)
	v_cvt_i32_f32_e32 v4, v4
	v_ashrrev_i32_e32 v5, 31, v4
	global_store_b64 v[1:2], v[4:5], off
.LBB161_2001:
	s_and_not1_b32 vcc_lo, exec_lo, s0
	s_cbranch_vccnz .LBB161_2003
; %bb.2002:
	v_cvt_f32_f16_e32 v4, v3
	s_delay_alu instid0(VALU_DEP_1)
	v_cvt_i32_f32_e32 v4, v4
	global_store_b32 v[1:2], v4, off
.LBB161_2003:
	s_mov_b32 s0, 0
.LBB161_2004:
	s_delay_alu instid0(SALU_CYCLE_1)
	s_and_not1_b32 vcc_lo, exec_lo, s0
	s_cbranch_vccnz .LBB161_2006
; %bb.2005:
	v_cvt_i16_f16_e32 v4, v3
	global_store_b16 v[1:2], v4, off
.LBB161_2006:
	s_mov_b32 s0, 0
.LBB161_2007:
	s_delay_alu instid0(SALU_CYCLE_1)
	s_and_not1_b32 vcc_lo, exec_lo, s0
	s_cbranch_vccnz .LBB161_2012
; %bb.2008:
	v_cmp_lt_i16_e32 vcc_lo, 0, v6
	s_mov_b32 s0, -1
	s_cbranch_vccz .LBB161_2010
; %bb.2009:
	v_cvt_i16_f16_e32 v4, v3
	s_mov_b32 s0, 0
	global_store_b8 v[1:2], v4, off
.LBB161_2010:
	s_and_not1_b32 vcc_lo, exec_lo, s0
	s_cbranch_vccnz .LBB161_2012
; %bb.2011:
	v_cvt_f32_f16_e32 v3, v3
	s_delay_alu instid0(VALU_DEP_1)
	v_cvt_i32_f32_e32 v3, v3
	global_store_b8 v[1:2], v3, off
.LBB161_2012:
	s_mov_b32 s6, -1
.LBB161_2013:
	s_delay_alu instid0(SALU_CYCLE_1)
	s_and_not1_b32 vcc_lo, exec_lo, s6
	s_cbranch_vccnz .LBB161_2090
; %bb.2014:
	v_cvt_f32_f16_e32 v1, v11
	s_mov_b32 s0, 0xbf317218
	v_cmp_gt_f16_e64 s1, 0xcc40, v11
	s_mov_b32 s3, 0
	s_delay_alu instid0(VALU_DEP_2) | instskip(NEXT) | instid1(VALU_DEP_1)
	v_mul_f32_e32 v2, 0x3fb8aa3b, v1
	v_rndne_f32_e32 v2, v2
	s_delay_alu instid0(VALU_DEP_1) | instskip(SKIP_3) | instid1(VALU_DEP_3)
	v_fma_mix_f32 v3, v2, s0, v11 op_sel_hi:[0,0,1]
	v_cvt_i32_f32_e32 v5, v2
	v_cmp_eq_f32_e32 vcc_lo, 0x43000000, v2
	s_mov_b32 s0, 0x395133b1
	v_fmamk_f32 v3, v2, 0x3102e308, v3
	s_delay_alu instid0(VALU_DEP_3) | instskip(NEXT) | instid1(VALU_DEP_1)
	v_cndmask_b32_e64 v2, v5, 0x7f, vcc_lo
	v_ldexp_f32 v2, 1.0, v2
	s_delay_alu instid0(VALU_DEP_3) | instskip(SKIP_1) | instid1(VALU_DEP_2)
	v_fmaak_f32 v4, s0, v3, 0x3ab69700
	v_add_co_u32 v0, s0, s4, v0
	v_dual_add_f32 v5, -1.0, v2 :: v_dual_fmaak_f32 v4, v3, v4, 0x3c0887f9
	s_delay_alu instid0(VALU_DEP_1) | instskip(NEXT) | instid1(VALU_DEP_1)
	v_fmaak_f32 v4, v3, v4, 0x3d2aaa81
	v_fmaak_f32 v4, v3, v4, 0x3e2aaaab
	s_delay_alu instid0(VALU_DEP_1) | instskip(NEXT) | instid1(VALU_DEP_1)
	v_fma_f32 v4, v3, v4, 0.5
	v_mul_f32_e32 v4, v3, v4
	s_delay_alu instid0(VALU_DEP_1) | instskip(NEXT) | instid1(VALU_DEP_1)
	v_fmac_f32_e32 v3, v3, v4
	v_fmac_f32_e32 v5, v2, v3
	s_delay_alu instid0(VALU_DEP_1) | instskip(NEXT) | instid1(VALU_DEP_1)
	v_add_f32_e32 v2, v5, v5
	v_cndmask_b32_e32 v2, v5, v2, vcc_lo
	v_cmp_nlt_f32_e32 vcc_lo, 0x42b17217, v1
	s_delay_alu instid0(VALU_DEP_2) | instskip(SKIP_1) | instid1(VALU_DEP_2)
	v_cndmask_b32_e32 v1, 0x7f800000, v2, vcc_lo
	v_cmp_gt_i16_e32 vcc_lo, 11, v6
	v_cvt_f16_f32_e32 v3, v1
	v_add_co_ci_u32_e64 v1, null, s5, 0, s0
	s_mov_b32 s0, -1
	s_delay_alu instid0(VALU_DEP_2)
	v_cndmask_b32_e64 v2, v3, 0xbc00, s1
	s_cbranch_vccnz .LBB161_2091
; %bb.2015:
	v_cmp_lt_i16_e32 vcc_lo, 25, v6
	s_mov_b32 s4, -1
	s_mov_b32 s0, 0
	s_cbranch_vccz .LBB161_2048
; %bb.2016:
	v_cmp_lt_i16_e32 vcc_lo, 28, v6
	s_cbranch_vccz .LBB161_2032
; %bb.2017:
	v_cmp_lt_i16_e32 vcc_lo, 43, v6
	s_cbranch_vccz .LBB161_2028
; %bb.2018:
	v_cmp_lt_i16_e32 vcc_lo, 45, v6
	s_cbranch_vccz .LBB161_2022
; %bb.2019:
	v_cmp_eq_u16_e32 vcc_lo, 46, v6
	s_mov_b32 s0, -1
	s_cbranch_vccz .LBB161_2021
; %bb.2020:
	v_cvt_f32_f16_e32 v4, v2
	v_cmp_o_f16_e32 vcc_lo, v2, v2
	s_mov_b32 s0, 0
	s_delay_alu instid0(VALU_DEP_2) | instskip(NEXT) | instid1(VALU_DEP_1)
	v_bfe_u32 v5, v4, 16, 1
	v_add3_u32 v4, v4, v5, 0x7fff
	s_delay_alu instid0(VALU_DEP_1) | instskip(NEXT) | instid1(VALU_DEP_1)
	v_lshrrev_b32_e32 v4, 16, v4
	v_cndmask_b32_e32 v4, 0x7fc0, v4, vcc_lo
	global_store_b32 v[0:1], v4, off
.LBB161_2021:
	s_mov_b32 s4, 0
.LBB161_2022:
	s_delay_alu instid0(SALU_CYCLE_1)
	s_and_b32 vcc_lo, exec_lo, s4
	s_cbranch_vccz .LBB161_2027
; %bb.2023:
	v_cmp_eq_u16_e32 vcc_lo, 44, v6
	s_mov_b32 s0, -1
	s_cbranch_vccz .LBB161_2027
; %bb.2024:
	v_cvt_f32_f16_e32 v4, v2
	v_mov_b32_e32 v5, 0xff
	s_mov_b32 s4, exec_lo
	s_delay_alu instid0(VALU_DEP_2) | instskip(NEXT) | instid1(VALU_DEP_1)
	v_bfe_u32 v7, v4, 23, 8
	v_cmpx_ne_u32_e32 0xff, v7
; %bb.2025:
	v_and_b32_e32 v5, 0x400000, v4
	v_and_or_b32 v7, 0x3fffff, v4, v7
	v_lshrrev_b32_e32 v4, 23, v4
	s_delay_alu instid0(VALU_DEP_3) | instskip(NEXT) | instid1(VALU_DEP_3)
	v_cmp_ne_u32_e32 vcc_lo, 0, v5
	v_cmp_ne_u32_e64 s0, 0, v7
	s_delay_alu instid0(VALU_DEP_1) | instskip(NEXT) | instid1(SALU_CYCLE_1)
	s_and_b32 s0, vcc_lo, s0
	v_cndmask_b32_e64 v5, 0, 1, s0
	s_delay_alu instid0(VALU_DEP_1)
	v_add_nc_u32_e32 v5, v4, v5
; %bb.2026:
	s_or_b32 exec_lo, exec_lo, s4
	s_mov_b32 s0, 0
	global_store_b8 v[0:1], v5, off
.LBB161_2027:
	s_mov_b32 s4, 0
.LBB161_2028:
	s_delay_alu instid0(SALU_CYCLE_1)
	s_and_b32 vcc_lo, exec_lo, s4
	s_cbranch_vccz .LBB161_2031
; %bb.2029:
	v_cmp_eq_u16_e32 vcc_lo, 29, v6
	s_mov_b32 s0, -1
	s_cbranch_vccz .LBB161_2031
; %bb.2030:
	v_cvt_f32_f16_e32 v4, v2
	v_mov_b32_e32 v5, 0
	s_mov_b32 s0, 0
	s_delay_alu instid0(VALU_DEP_2)
	v_cvt_u32_f32_e32 v4, v4
	global_store_b64 v[0:1], v[4:5], off
.LBB161_2031:
	s_mov_b32 s4, 0
.LBB161_2032:
	s_delay_alu instid0(SALU_CYCLE_1)
	s_and_b32 vcc_lo, exec_lo, s4
	s_cbranch_vccz .LBB161_2047
; %bb.2033:
	v_cmp_gt_i16_e32 vcc_lo, 27, v6
	s_mov_b32 s4, -1
	s_cbranch_vccnz .LBB161_2039
; %bb.2034:
	v_cmp_lt_i16_e32 vcc_lo, 27, v6
	s_cbranch_vccz .LBB161_2036
; %bb.2035:
	v_cvt_f32_f16_e32 v4, v2
	s_mov_b32 s4, 0
	s_delay_alu instid0(VALU_DEP_1)
	v_cvt_u32_f32_e32 v4, v4
	global_store_b32 v[0:1], v4, off
.LBB161_2036:
	s_and_not1_b32 vcc_lo, exec_lo, s4
	s_cbranch_vccnz .LBB161_2038
; %bb.2037:
	v_cvt_u16_f16_e32 v4, v2
	global_store_b16 v[0:1], v4, off
.LBB161_2038:
	s_mov_b32 s4, 0
.LBB161_2039:
	s_delay_alu instid0(SALU_CYCLE_1)
	s_and_not1_b32 vcc_lo, exec_lo, s4
	s_cbranch_vccnz .LBB161_2047
; %bb.2040:
	v_cvt_f32_f16_e32 v4, v2
	v_mov_b32_e32 v7, 0x80
	s_mov_b32 s4, exec_lo
	s_delay_alu instid0(VALU_DEP_2) | instskip(NEXT) | instid1(VALU_DEP_1)
	v_and_b32_e32 v5, 0x7fffffff, v4
	v_cmpx_gt_u32_e32 0x43800000, v5
	s_cbranch_execz .LBB161_2046
; %bb.2041:
	v_cmp_lt_u32_e32 vcc_lo, 0x3bffffff, v5
	s_mov_b32 s5, 0
                                        ; implicit-def: $vgpr5
	s_and_saveexec_b32 s6, vcc_lo
	s_delay_alu instid0(SALU_CYCLE_1)
	s_xor_b32 s6, exec_lo, s6
	s_cbranch_execz .LBB161_2161
; %bb.2042:
	v_bfe_u32 v5, v4, 20, 1
	s_mov_b32 s5, exec_lo
	s_delay_alu instid0(VALU_DEP_1) | instskip(NEXT) | instid1(VALU_DEP_1)
	v_add3_u32 v5, v4, v5, 0x487ffff
	v_lshrrev_b32_e32 v5, 20, v5
	s_or_saveexec_b32 s6, s6
                                        ; implicit-def: $sgpr7
	s_delay_alu instid0(SALU_CYCLE_1)
	s_xor_b32 exec_lo, exec_lo, s6
	s_cbranch_execnz .LBB161_2162
.LBB161_2043:
	s_or_b32 exec_lo, exec_lo, s6
	v_mov_b32_e32 v7, s7
	s_and_saveexec_b32 s6, s5
.LBB161_2044:
	v_lshrrev_b32_e32 v4, 24, v4
	s_delay_alu instid0(VALU_DEP_1)
	v_and_or_b32 v7, 0x80, v4, v5
.LBB161_2045:
	s_or_b32 exec_lo, exec_lo, s6
.LBB161_2046:
	s_delay_alu instid0(SALU_CYCLE_1)
	s_or_b32 exec_lo, exec_lo, s4
	global_store_b8 v[0:1], v7, off
.LBB161_2047:
	s_mov_b32 s4, 0
.LBB161_2048:
	s_delay_alu instid0(SALU_CYCLE_1)
	s_and_b32 vcc_lo, exec_lo, s4
	s_cbranch_vccz .LBB161_2088
; %bb.2049:
	v_cmp_lt_i16_e32 vcc_lo, 22, v6
	s_mov_b32 s3, -1
	s_cbranch_vccz .LBB161_2081
; %bb.2050:
	v_cmp_gt_i16_e32 vcc_lo, 24, v6
	s_cbranch_vccnz .LBB161_2070
; %bb.2051:
	v_cmp_lt_i16_e32 vcc_lo, 24, v6
	s_cbranch_vccz .LBB161_2059
; %bb.2052:
	v_cvt_f32_f16_e32 v4, v2
	v_mov_b32_e32 v7, 0x80
	s_mov_b32 s3, exec_lo
	s_delay_alu instid0(VALU_DEP_2) | instskip(NEXT) | instid1(VALU_DEP_1)
	v_and_b32_e32 v5, 0x7fffffff, v4
	v_cmpx_gt_u32_e32 0x47800000, v5
	s_cbranch_execz .LBB161_2058
; %bb.2053:
	v_cmp_lt_u32_e32 vcc_lo, 0x37ffffff, v5
	s_mov_b32 s4, 0
                                        ; implicit-def: $vgpr5
	s_and_saveexec_b32 s5, vcc_lo
	s_delay_alu instid0(SALU_CYCLE_1)
	s_xor_b32 s5, exec_lo, s5
	s_cbranch_execz .LBB161_2167
; %bb.2054:
	v_bfe_u32 v5, v4, 21, 1
	s_mov_b32 s4, exec_lo
	s_delay_alu instid0(VALU_DEP_1) | instskip(NEXT) | instid1(VALU_DEP_1)
	v_add3_u32 v5, v4, v5, 0x88fffff
	v_lshrrev_b32_e32 v5, 21, v5
	s_or_saveexec_b32 s5, s5
                                        ; implicit-def: $sgpr6
	s_delay_alu instid0(SALU_CYCLE_1)
	s_xor_b32 exec_lo, exec_lo, s5
	s_cbranch_execnz .LBB161_2168
.LBB161_2055:
	s_or_b32 exec_lo, exec_lo, s5
	v_mov_b32_e32 v7, s6
	s_and_saveexec_b32 s5, s4
.LBB161_2056:
	v_lshrrev_b32_e32 v4, 24, v4
	s_delay_alu instid0(VALU_DEP_1)
	v_and_or_b32 v7, 0x80, v4, v5
.LBB161_2057:
	s_or_b32 exec_lo, exec_lo, s5
.LBB161_2058:
	s_delay_alu instid0(SALU_CYCLE_1)
	s_or_b32 exec_lo, exec_lo, s3
	s_mov_b32 s3, 0
	global_store_b8 v[0:1], v7, off
.LBB161_2059:
	s_and_b32 vcc_lo, exec_lo, s3
	s_cbranch_vccz .LBB161_2069
; %bb.2060:
	v_cvt_f32_f16_e32 v4, v2
	s_mov_b32 s3, exec_lo
                                        ; implicit-def: $vgpr5
	s_delay_alu instid0(VALU_DEP_1) | instskip(NEXT) | instid1(VALU_DEP_1)
	v_and_b32_e32 v7, 0x7fffffff, v4
	v_cmpx_gt_u32_e32 0x43f00000, v7
	s_xor_b32 s3, exec_lo, s3
	s_cbranch_execz .LBB161_2066
; %bb.2061:
	s_mov_b32 s4, exec_lo
                                        ; implicit-def: $vgpr5
	v_cmpx_lt_u32_e32 0x3c7fffff, v7
	s_xor_b32 s4, exec_lo, s4
; %bb.2062:
	v_bfe_u32 v5, v4, 20, 1
	s_delay_alu instid0(VALU_DEP_1) | instskip(NEXT) | instid1(VALU_DEP_1)
	v_add3_u32 v5, v4, v5, 0x407ffff
	v_and_b32_e32 v7, 0xff00000, v5
	v_lshrrev_b32_e32 v5, 20, v5
	s_delay_alu instid0(VALU_DEP_2) | instskip(NEXT) | instid1(VALU_DEP_2)
	v_cmp_ne_u32_e32 vcc_lo, 0x7f00000, v7
	v_cndmask_b32_e32 v5, 0x7e, v5, vcc_lo
; %bb.2063:
	s_and_not1_saveexec_b32 s4, s4
; %bb.2064:
	v_add_f32_e64 v5, 0x46800000, |v4|
; %bb.2065:
	s_or_b32 exec_lo, exec_lo, s4
                                        ; implicit-def: $vgpr7
.LBB161_2066:
	s_and_not1_saveexec_b32 s3, s3
; %bb.2067:
	v_mov_b32_e32 v5, 0x7f
	v_cmp_lt_u32_e32 vcc_lo, 0x7f800000, v7
	s_delay_alu instid0(VALU_DEP_2)
	v_cndmask_b32_e32 v5, 0x7e, v5, vcc_lo
; %bb.2068:
	s_or_b32 exec_lo, exec_lo, s3
	v_lshrrev_b32_e32 v4, 24, v4
	s_delay_alu instid0(VALU_DEP_1)
	v_and_or_b32 v4, 0x80, v4, v5
	global_store_b8 v[0:1], v4, off
.LBB161_2069:
	s_mov_b32 s3, 0
.LBB161_2070:
	s_delay_alu instid0(SALU_CYCLE_1)
	s_and_not1_b32 vcc_lo, exec_lo, s3
	s_cbranch_vccnz .LBB161_2080
; %bb.2071:
	v_cvt_f32_f16_e32 v4, v2
	s_mov_b32 s3, exec_lo
                                        ; implicit-def: $vgpr5
	s_delay_alu instid0(VALU_DEP_1) | instskip(NEXT) | instid1(VALU_DEP_1)
	v_and_b32_e32 v7, 0x7fffffff, v4
	v_cmpx_gt_u32_e32 0x47800000, v7
	s_xor_b32 s3, exec_lo, s3
	s_cbranch_execz .LBB161_2077
; %bb.2072:
	s_mov_b32 s4, exec_lo
                                        ; implicit-def: $vgpr5
	v_cmpx_lt_u32_e32 0x387fffff, v7
	s_xor_b32 s4, exec_lo, s4
; %bb.2073:
	v_bfe_u32 v5, v4, 21, 1
	s_delay_alu instid0(VALU_DEP_1) | instskip(NEXT) | instid1(VALU_DEP_1)
	v_add3_u32 v5, v4, v5, 0x80fffff
	v_lshrrev_b32_e32 v5, 21, v5
; %bb.2074:
	s_and_not1_saveexec_b32 s4, s4
; %bb.2075:
	v_add_f32_e64 v5, 0x43000000, |v4|
; %bb.2076:
	s_or_b32 exec_lo, exec_lo, s4
                                        ; implicit-def: $vgpr7
.LBB161_2077:
	s_and_not1_saveexec_b32 s3, s3
; %bb.2078:
	v_mov_b32_e32 v5, 0x7f
	v_cmp_lt_u32_e32 vcc_lo, 0x7f800000, v7
	s_delay_alu instid0(VALU_DEP_2)
	v_cndmask_b32_e32 v5, 0x7c, v5, vcc_lo
; %bb.2079:
	s_or_b32 exec_lo, exec_lo, s3
	v_lshrrev_b32_e32 v4, 24, v4
	s_delay_alu instid0(VALU_DEP_1)
	v_and_or_b32 v4, 0x80, v4, v5
	global_store_b8 v[0:1], v4, off
.LBB161_2080:
	s_mov_b32 s3, 0
.LBB161_2081:
	s_delay_alu instid0(SALU_CYCLE_1)
	s_and_not1_b32 vcc_lo, exec_lo, s3
	s_mov_b32 s3, 0
	s_cbranch_vccnz .LBB161_2088
; %bb.2082:
	v_cmp_lt_i16_e32 vcc_lo, 14, v6
	s_mov_b32 s3, -1
	s_cbranch_vccz .LBB161_2086
; %bb.2083:
	v_cmp_eq_u16_e32 vcc_lo, 15, v6
	s_mov_b32 s0, -1
	s_cbranch_vccz .LBB161_2085
; %bb.2084:
	v_cvt_f32_f16_e32 v4, v2
	v_cmp_o_f16_e32 vcc_lo, v2, v2
	s_mov_b32 s0, 0
	s_delay_alu instid0(VALU_DEP_2) | instskip(NEXT) | instid1(VALU_DEP_1)
	v_bfe_u32 v5, v4, 16, 1
	v_add3_u32 v4, v4, v5, 0x7fff
	s_delay_alu instid0(VALU_DEP_1) | instskip(NEXT) | instid1(VALU_DEP_1)
	v_lshrrev_b32_e32 v4, 16, v4
	v_cndmask_b32_e32 v4, 0x7fc0, v4, vcc_lo
	global_store_b16 v[0:1], v4, off
.LBB161_2085:
	s_mov_b32 s3, 0
.LBB161_2086:
	s_delay_alu instid0(SALU_CYCLE_1)
	s_and_b32 vcc_lo, exec_lo, s3
	s_mov_b32 s3, 0
	s_cbranch_vccz .LBB161_2088
; %bb.2087:
	v_cmp_ne_u16_e64 s0, 11, v6
	s_mov_b32 s3, -1
.LBB161_2088:
	s_delay_alu instid0(VALU_DEP_1)
	s_and_b32 vcc_lo, exec_lo, s0
	s_cbranch_vccnz .LBB161_2165
.LBB161_2089:
	s_mov_b32 s0, 0
	s_branch .LBB161_2091
.LBB161_2090:
	s_mov_b32 s0, 0
	s_mov_b32 s3, 0
                                        ; implicit-def: $sgpr1
                                        ; implicit-def: $vgpr0_vgpr1
                                        ; implicit-def: $vgpr6
                                        ; implicit-def: $vgpr2
                                        ; implicit-def: $vgpr3
.LBB161_2091:
	s_and_b32 s5, s1, exec_lo
	s_and_b32 s4, s0, exec_lo
	s_and_not1_b32 s0, s8, exec_lo
	s_and_b32 s1, s2, exec_lo
	s_and_b32 s26, s3, exec_lo
	s_or_b32 s8, s0, s1
.LBB161_2092:
	s_or_b32 exec_lo, exec_lo, s9
	s_and_saveexec_b32 s0, s8
	s_cbranch_execz .LBB161_2095
; %bb.2093:
	; divergent unreachable
	s_or_b32 exec_lo, exec_lo, s0
	s_and_saveexec_b32 s0, s26
	s_delay_alu instid0(SALU_CYCLE_1)
	s_xor_b32 s0, exec_lo, s0
	s_cbranch_execnz .LBB161_2096
.LBB161_2094:
	s_or_b32 exec_lo, exec_lo, s0
	s_and_saveexec_b32 s0, s4
	s_cbranch_execnz .LBB161_2097
	s_branch .LBB161_2134
.LBB161_2095:
	s_or_b32 exec_lo, exec_lo, s0
	s_and_saveexec_b32 s0, s26
	s_delay_alu instid0(SALU_CYCLE_1)
	s_xor_b32 s0, exec_lo, s0
	s_cbranch_execz .LBB161_2094
.LBB161_2096:
	v_cmp_neq_f16_e32 vcc_lo, 0, v3
	s_or_b32 s1, s5, vcc_lo
	s_delay_alu instid0(SALU_CYCLE_1)
	v_cndmask_b32_e64 v3, 0, 1, s1
	global_store_b8 v[0:1], v3, off
	s_or_b32 exec_lo, exec_lo, s0
	s_and_saveexec_b32 s0, s4
	s_cbranch_execz .LBB161_2134
.LBB161_2097:
	s_waitcnt vmcnt(0)
	v_cmp_gt_i16_e32 vcc_lo, 5, v6
	s_mov_b32 s0, -1
	s_cbranch_vccnz .LBB161_2118
; %bb.2098:
	v_cmp_gt_i16_e32 vcc_lo, 8, v6
	s_cbranch_vccnz .LBB161_2108
; %bb.2099:
	v_cmp_gt_i16_e32 vcc_lo, 9, v6
	s_cbranch_vccnz .LBB161_2105
; %bb.2100:
	v_cmp_lt_i16_e32 vcc_lo, 9, v6
	s_cbranch_vccz .LBB161_2102
; %bb.2101:
	v_cvt_f32_f16_e32 v3, v2
	v_mov_b32_e32 v9, 0
	s_mov_b32 s0, 0
	s_delay_alu instid0(VALU_DEP_2) | instskip(NEXT) | instid1(VALU_DEP_2)
	v_cvt_f64_f32_e32 v[7:8], v3
	v_mov_b32_e32 v10, v9
	global_store_b128 v[0:1], v[7:10], off
.LBB161_2102:
	s_and_not1_b32 vcc_lo, exec_lo, s0
	s_cbranch_vccnz .LBB161_2104
; %bb.2103:
	v_cvt_f32_f16_e32 v3, v2
	v_mov_b32_e32 v4, 0
	global_store_b64 v[0:1], v[3:4], off
.LBB161_2104:
	s_mov_b32 s0, 0
.LBB161_2105:
	s_delay_alu instid0(SALU_CYCLE_1)
	s_and_not1_b32 vcc_lo, exec_lo, s0
	s_cbranch_vccnz .LBB161_2107
; %bb.2106:
	v_and_b32_e32 v3, 0xffff, v2
	global_store_b32 v[0:1], v3, off
.LBB161_2107:
	s_mov_b32 s0, 0
.LBB161_2108:
	s_delay_alu instid0(SALU_CYCLE_1)
	s_and_not1_b32 vcc_lo, exec_lo, s0
	s_cbranch_vccnz .LBB161_2117
; %bb.2109:
	v_cmp_gt_i16_e32 vcc_lo, 6, v6
	s_mov_b32 s0, -1
	s_cbranch_vccnz .LBB161_2115
; %bb.2110:
	v_cmp_lt_i16_e32 vcc_lo, 6, v6
	s_cbranch_vccz .LBB161_2112
; %bb.2111:
	v_cvt_f32_f16_e32 v3, v2
	s_mov_b32 s0, 0
	s_delay_alu instid0(VALU_DEP_1)
	v_cvt_f64_f32_e32 v[3:4], v3
	global_store_b64 v[0:1], v[3:4], off
.LBB161_2112:
	s_and_not1_b32 vcc_lo, exec_lo, s0
	s_cbranch_vccnz .LBB161_2114
; %bb.2113:
	v_cvt_f32_f16_e32 v3, v2
	global_store_b32 v[0:1], v3, off
.LBB161_2114:
	s_mov_b32 s0, 0
.LBB161_2115:
	s_delay_alu instid0(SALU_CYCLE_1)
	s_and_not1_b32 vcc_lo, exec_lo, s0
	s_cbranch_vccnz .LBB161_2117
; %bb.2116:
	global_store_b16 v[0:1], v2, off
.LBB161_2117:
	s_mov_b32 s0, 0
.LBB161_2118:
	s_delay_alu instid0(SALU_CYCLE_1)
	s_and_not1_b32 vcc_lo, exec_lo, s0
	s_cbranch_vccnz .LBB161_2134
; %bb.2119:
	v_cmp_gt_i16_e32 vcc_lo, 2, v6
	s_mov_b32 s0, -1
	s_cbranch_vccnz .LBB161_2129
; %bb.2120:
	v_cmp_gt_i16_e32 vcc_lo, 3, v6
	s_cbranch_vccnz .LBB161_2126
; %bb.2121:
	v_cmp_lt_i16_e32 vcc_lo, 3, v6
	s_cbranch_vccz .LBB161_2123
; %bb.2122:
	v_cvt_f32_f16_e32 v3, v2
	s_mov_b32 s0, 0
	s_delay_alu instid0(VALU_DEP_1) | instskip(NEXT) | instid1(VALU_DEP_1)
	v_cvt_i32_f32_e32 v3, v3
	v_ashrrev_i32_e32 v4, 31, v3
	global_store_b64 v[0:1], v[3:4], off
.LBB161_2123:
	s_and_not1_b32 vcc_lo, exec_lo, s0
	s_cbranch_vccnz .LBB161_2125
; %bb.2124:
	v_cvt_f32_f16_e32 v3, v2
	s_delay_alu instid0(VALU_DEP_1)
	v_cvt_i32_f32_e32 v3, v3
	global_store_b32 v[0:1], v3, off
.LBB161_2125:
	s_mov_b32 s0, 0
.LBB161_2126:
	s_delay_alu instid0(SALU_CYCLE_1)
	s_and_not1_b32 vcc_lo, exec_lo, s0
	s_cbranch_vccnz .LBB161_2128
; %bb.2127:
	v_cvt_i16_f16_e32 v3, v2
	global_store_b16 v[0:1], v3, off
.LBB161_2128:
	s_mov_b32 s0, 0
.LBB161_2129:
	s_delay_alu instid0(SALU_CYCLE_1)
	s_and_not1_b32 vcc_lo, exec_lo, s0
	s_cbranch_vccnz .LBB161_2134
; %bb.2130:
	v_cmp_lt_i16_e32 vcc_lo, 0, v6
	s_mov_b32 s0, -1
	s_cbranch_vccz .LBB161_2132
; %bb.2131:
	v_cvt_i16_f16_e32 v3, v2
	s_mov_b32 s0, 0
	global_store_b8 v[0:1], v3, off
.LBB161_2132:
	s_and_not1_b32 vcc_lo, exec_lo, s0
	s_cbranch_vccnz .LBB161_2134
; %bb.2133:
	v_cvt_f32_f16_e32 v2, v2
	s_delay_alu instid0(VALU_DEP_1)
	v_cvt_i32_f32_e32 v2, v2
	global_store_b8 v[0:1], v2, off
	s_nop 0
	s_sendmsg sendmsg(MSG_DEALLOC_VGPRS)
	s_endpgm
.LBB161_2134:
	s_nop 0
	s_sendmsg sendmsg(MSG_DEALLOC_VGPRS)
	s_endpgm
.LBB161_2135:
	s_cbranch_execnz .LBB161_2139
; %bb.2136:
	s_or_b32 s2, s2, exec_lo
                                        ; implicit-def: $vgpr11
	s_cbranch_execz .LBB161_1608
	s_branch .LBB161_1609
.LBB161_2137:
	s_or_saveexec_b32 s10, s10
                                        ; implicit-def: $sgpr11
	s_delay_alu instid0(SALU_CYCLE_1)
	s_xor_b32 exec_lo, exec_lo, s10
	s_cbranch_execz .LBB161_1688
.LBB161_2138:
	v_add_f32_e64 v12, 0x46000000, |v10|
	s_and_not1_b32 s7, s7, exec_lo
	s_mov_b32 s11, 0
	s_delay_alu instid0(VALU_DEP_1) | instskip(NEXT) | instid1(VALU_DEP_1)
	v_and_b32_e32 v12, 0xff, v12
	v_cmp_ne_u32_e32 vcc_lo, 0, v12
	s_and_b32 s12, vcc_lo, exec_lo
	s_delay_alu instid0(SALU_CYCLE_1)
	s_or_b32 s7, s7, s12
	s_or_b32 exec_lo, exec_lo, s10
	v_mov_b32_e32 v13, s11
	s_and_saveexec_b32 s10, s7
	s_cbranch_execnz .LBB161_1689
	s_branch .LBB161_1690
.LBB161_2139:
	s_trap 2
	s_sendmsg_rtn_b32 s0, sendmsg(MSG_RTN_GET_DOORBELL)
	s_mov_b32 ttmp2, m0
	s_waitcnt lgkmcnt(0)
	s_and_b32 s0, s0, 0x3ff
	s_delay_alu instid0(SALU_CYCLE_1) | instskip(NEXT) | instid1(SALU_CYCLE_1)
	s_bitset1_b32 s0, 10
	s_mov_b32 m0, s0
	s_sendmsg sendmsg(MSG_INTERRUPT)
	s_mov_b32 m0, ttmp2
.LBB161_2140:                           ; =>This Inner Loop Header: Depth=1
	s_sethalt 5
	s_branch .LBB161_2140
.LBB161_2141:
	s_cbranch_execnz .LBB161_2147
; %bb.2142:
	s_or_b32 s2, s2, exec_lo
	s_cbranch_execz .LBB161_1736
	s_branch .LBB161_1737
.LBB161_2143:
	s_or_saveexec_b32 s7, s7
                                        ; implicit-def: $sgpr10
	s_delay_alu instid0(SALU_CYCLE_1)
	s_xor_b32 exec_lo, exec_lo, s7
	s_cbranch_execz .LBB161_1701
.LBB161_2144:
	v_add_f32_e64 v12, 0x42800000, |v10|
	s_and_not1_b32 s6, s6, exec_lo
	s_mov_b32 s10, 0
	s_delay_alu instid0(VALU_DEP_1) | instskip(NEXT) | instid1(VALU_DEP_1)
	v_and_b32_e32 v12, 0xff, v12
	v_cmp_ne_u32_e32 vcc_lo, 0, v12
	s_and_b32 s11, vcc_lo, exec_lo
	s_delay_alu instid0(SALU_CYCLE_1)
	s_or_b32 s6, s6, s11
	s_or_b32 exec_lo, exec_lo, s7
	v_mov_b32_e32 v13, s10
	s_and_saveexec_b32 s7, s6
	s_cbranch_execnz .LBB161_1702
	s_branch .LBB161_1703
.LBB161_2145:
	s_or_saveexec_b32 s10, s10
                                        ; implicit-def: $sgpr11
	s_delay_alu instid0(SALU_CYCLE_1)
	s_xor_b32 exec_lo, exec_lo, s10
	s_cbranch_execz .LBB161_1806
.LBB161_2146:
	v_add_f32_e64 v9, 0x46000000, |v8|
	s_and_not1_b32 s7, s7, exec_lo
	s_mov_b32 s11, 0
	s_delay_alu instid0(VALU_DEP_1) | instskip(NEXT) | instid1(VALU_DEP_1)
	v_and_b32_e32 v9, 0xff, v9
	v_cmp_ne_u32_e32 vcc_lo, 0, v9
	s_and_b32 s12, vcc_lo, exec_lo
	s_delay_alu instid0(SALU_CYCLE_1)
	s_or_b32 s7, s7, s12
	s_or_b32 exec_lo, exec_lo, s10
	v_mov_b32_e32 v10, s11
	s_and_saveexec_b32 s10, s7
	s_cbranch_execnz .LBB161_1807
	s_branch .LBB161_1808
.LBB161_2147:
	s_trap 2
	s_sendmsg_rtn_b32 s0, sendmsg(MSG_RTN_GET_DOORBELL)
	s_mov_b32 ttmp2, m0
	s_waitcnt lgkmcnt(0)
	s_and_b32 s0, s0, 0x3ff
	s_delay_alu instid0(SALU_CYCLE_1) | instskip(NEXT) | instid1(SALU_CYCLE_1)
	s_bitset1_b32 s0, 10
	s_mov_b32 m0, s0
	s_sendmsg sendmsg(MSG_INTERRUPT)
	s_mov_b32 m0, ttmp2
.LBB161_2148:                           ; =>This Inner Loop Header: Depth=1
	s_sethalt 5
	s_branch .LBB161_2148
.LBB161_2149:
	s_cbranch_execnz .LBB161_2155
; %bb.2150:
	s_or_b32 s2, s2, exec_lo
	s_cbranch_execz .LBB161_1854
	s_branch .LBB161_1855
.LBB161_2151:
	s_or_saveexec_b32 s7, s7
                                        ; implicit-def: $sgpr10
	s_delay_alu instid0(SALU_CYCLE_1)
	s_xor_b32 exec_lo, exec_lo, s7
	s_cbranch_execz .LBB161_1819
.LBB161_2152:
	v_add_f32_e64 v9, 0x42800000, |v8|
	s_and_not1_b32 s6, s6, exec_lo
	s_mov_b32 s10, 0
	s_delay_alu instid0(VALU_DEP_1) | instskip(NEXT) | instid1(VALU_DEP_1)
	v_and_b32_e32 v9, 0xff, v9
	v_cmp_ne_u32_e32 vcc_lo, 0, v9
	s_and_b32 s11, vcc_lo, exec_lo
	s_delay_alu instid0(SALU_CYCLE_1)
	s_or_b32 s6, s6, s11
	s_or_b32 exec_lo, exec_lo, s7
	v_mov_b32_e32 v10, s10
	s_and_saveexec_b32 s7, s6
	s_cbranch_execnz .LBB161_1820
	s_branch .LBB161_1821
.LBB161_2153:
	s_or_saveexec_b32 s10, s10
                                        ; implicit-def: $sgpr11
	s_delay_alu instid0(SALU_CYCLE_1)
	s_xor_b32 exec_lo, exec_lo, s10
	s_cbranch_execz .LBB161_1924
.LBB161_2154:
	v_add_f32_e64 v7, 0x46000000, |v5|
	s_and_not1_b32 s7, s7, exec_lo
	s_mov_b32 s11, 0
	s_delay_alu instid0(VALU_DEP_1) | instskip(NEXT) | instid1(VALU_DEP_1)
	v_and_b32_e32 v7, 0xff, v7
	v_cmp_ne_u32_e32 vcc_lo, 0, v7
	s_and_b32 s12, vcc_lo, exec_lo
	s_delay_alu instid0(SALU_CYCLE_1)
	s_or_b32 s7, s7, s12
	s_or_b32 exec_lo, exec_lo, s10
	v_mov_b32_e32 v8, s11
	s_and_saveexec_b32 s10, s7
	s_cbranch_execnz .LBB161_1925
	s_branch .LBB161_1926
.LBB161_2155:
	s_trap 2
	s_sendmsg_rtn_b32 s0, sendmsg(MSG_RTN_GET_DOORBELL)
	s_mov_b32 ttmp2, m0
	s_waitcnt lgkmcnt(0)
	s_and_b32 s0, s0, 0x3ff
	s_delay_alu instid0(SALU_CYCLE_1) | instskip(NEXT) | instid1(SALU_CYCLE_1)
	s_bitset1_b32 s0, 10
	s_mov_b32 m0, s0
	s_sendmsg sendmsg(MSG_INTERRUPT)
	s_mov_b32 m0, ttmp2
.LBB161_2156:                           ; =>This Inner Loop Header: Depth=1
	s_sethalt 5
	s_branch .LBB161_2156
.LBB161_2157:
	s_cbranch_execnz .LBB161_2163
; %bb.2158:
	s_or_b32 s2, s2, exec_lo
	s_cbranch_execz .LBB161_1972
	s_branch .LBB161_1973
.LBB161_2159:
	s_or_saveexec_b32 s7, s7
                                        ; implicit-def: $sgpr10
	s_delay_alu instid0(SALU_CYCLE_1)
	s_xor_b32 exec_lo, exec_lo, s7
	s_cbranch_execz .LBB161_1937
.LBB161_2160:
	v_add_f32_e64 v7, 0x42800000, |v5|
	s_and_not1_b32 s6, s6, exec_lo
	s_mov_b32 s10, 0
	s_delay_alu instid0(VALU_DEP_1) | instskip(NEXT) | instid1(VALU_DEP_1)
	v_and_b32_e32 v7, 0xff, v7
	v_cmp_ne_u32_e32 vcc_lo, 0, v7
	s_and_b32 s11, vcc_lo, exec_lo
	s_delay_alu instid0(SALU_CYCLE_1)
	s_or_b32 s6, s6, s11
	s_or_b32 exec_lo, exec_lo, s7
	v_mov_b32_e32 v8, s10
	s_and_saveexec_b32 s7, s6
	s_cbranch_execnz .LBB161_1938
	s_branch .LBB161_1939
.LBB161_2161:
	s_or_saveexec_b32 s6, s6
                                        ; implicit-def: $sgpr7
	s_delay_alu instid0(SALU_CYCLE_1)
	s_xor_b32 exec_lo, exec_lo, s6
	s_cbranch_execz .LBB161_2043
.LBB161_2162:
	v_add_f32_e64 v5, 0x46000000, |v4|
	s_and_not1_b32 s5, s5, exec_lo
	s_mov_b32 s7, 0
	s_delay_alu instid0(VALU_DEP_1) | instskip(NEXT) | instid1(VALU_DEP_1)
	v_and_b32_e32 v5, 0xff, v5
	v_cmp_ne_u32_e32 vcc_lo, 0, v5
	s_and_b32 s10, vcc_lo, exec_lo
	s_delay_alu instid0(SALU_CYCLE_1)
	s_or_b32 s5, s5, s10
	s_or_b32 exec_lo, exec_lo, s6
	v_mov_b32_e32 v7, s7
	s_and_saveexec_b32 s6, s5
	s_cbranch_execnz .LBB161_2044
	s_branch .LBB161_2045
.LBB161_2163:
	s_trap 2
	s_sendmsg_rtn_b32 s0, sendmsg(MSG_RTN_GET_DOORBELL)
	s_mov_b32 ttmp2, m0
	s_waitcnt lgkmcnt(0)
	s_and_b32 s0, s0, 0x3ff
	s_delay_alu instid0(SALU_CYCLE_1) | instskip(NEXT) | instid1(SALU_CYCLE_1)
	s_bitset1_b32 s0, 10
	s_mov_b32 m0, s0
	s_sendmsg sendmsg(MSG_INTERRUPT)
	s_mov_b32 m0, ttmp2
.LBB161_2164:                           ; =>This Inner Loop Header: Depth=1
	s_sethalt 5
	s_branch .LBB161_2164
.LBB161_2165:
	s_cbranch_execnz .LBB161_2169
; %bb.2166:
	s_mov_b32 s3, 0
	s_or_b32 s2, s2, exec_lo
	s_branch .LBB161_2089
.LBB161_2167:
	s_or_saveexec_b32 s5, s5
                                        ; implicit-def: $sgpr6
	s_delay_alu instid0(SALU_CYCLE_1)
	s_xor_b32 exec_lo, exec_lo, s5
	s_cbranch_execz .LBB161_2055
.LBB161_2168:
	v_add_f32_e64 v5, 0x42800000, |v4|
	s_and_not1_b32 s4, s4, exec_lo
	s_mov_b32 s6, 0
	s_delay_alu instid0(VALU_DEP_1) | instskip(NEXT) | instid1(VALU_DEP_1)
	v_and_b32_e32 v5, 0xff, v5
	v_cmp_ne_u32_e32 vcc_lo, 0, v5
	s_and_b32 s7, vcc_lo, exec_lo
	s_delay_alu instid0(SALU_CYCLE_1)
	s_or_b32 s4, s4, s7
	s_or_b32 exec_lo, exec_lo, s5
	v_mov_b32_e32 v7, s6
	s_and_saveexec_b32 s5, s4
	s_cbranch_execnz .LBB161_2056
	s_branch .LBB161_2057
.LBB161_2169:
	s_trap 2
	s_sendmsg_rtn_b32 s0, sendmsg(MSG_RTN_GET_DOORBELL)
	s_mov_b32 ttmp2, m0
	s_waitcnt lgkmcnt(0)
	s_and_b32 s0, s0, 0x3ff
	s_delay_alu instid0(SALU_CYCLE_1) | instskip(NEXT) | instid1(SALU_CYCLE_1)
	s_bitset1_b32 s0, 10
	s_mov_b32 m0, s0
	s_sendmsg sendmsg(MSG_INTERRUPT)
	s_mov_b32 m0, ttmp2
.LBB161_2170:                           ; =>This Inner Loop Header: Depth=1
	s_sethalt 5
	s_branch .LBB161_2170
	.section	.rodata,"a",@progbits
	.p2align	6, 0x0
	.amdhsa_kernel _ZN2at6native32elementwise_kernel_manual_unrollILi128ELi4EZNS0_15gpu_kernel_implIZZZNS0_17expm1_kernel_cudaERNS_18TensorIteratorBaseEENKUlvE_clEvENKUlvE4_clEvEUlN3c104HalfEE_EEvS4_RKT_EUlibE0_EEviT1_
		.amdhsa_group_segment_fixed_size 0
		.amdhsa_private_segment_fixed_size 0
		.amdhsa_kernarg_size 360
		.amdhsa_user_sgpr_count 15
		.amdhsa_user_sgpr_dispatch_ptr 0
		.amdhsa_user_sgpr_queue_ptr 0
		.amdhsa_user_sgpr_kernarg_segment_ptr 1
		.amdhsa_user_sgpr_dispatch_id 0
		.amdhsa_user_sgpr_private_segment_size 0
		.amdhsa_wavefront_size32 1
		.amdhsa_uses_dynamic_stack 0
		.amdhsa_enable_private_segment 0
		.amdhsa_system_sgpr_workgroup_id_x 1
		.amdhsa_system_sgpr_workgroup_id_y 0
		.amdhsa_system_sgpr_workgroup_id_z 0
		.amdhsa_system_sgpr_workgroup_info 0
		.amdhsa_system_vgpr_workitem_id 0
		.amdhsa_next_free_vgpr 18
		.amdhsa_next_free_sgpr 68
		.amdhsa_reserve_vcc 1
		.amdhsa_float_round_mode_32 0
		.amdhsa_float_round_mode_16_64 0
		.amdhsa_float_denorm_mode_32 3
		.amdhsa_float_denorm_mode_16_64 3
		.amdhsa_dx10_clamp 1
		.amdhsa_ieee_mode 1
		.amdhsa_fp16_overflow 0
		.amdhsa_workgroup_processor_mode 1
		.amdhsa_memory_ordered 1
		.amdhsa_forward_progress 0
		.amdhsa_shared_vgpr_count 0
		.amdhsa_exception_fp_ieee_invalid_op 0
		.amdhsa_exception_fp_denorm_src 0
		.amdhsa_exception_fp_ieee_div_zero 0
		.amdhsa_exception_fp_ieee_overflow 0
		.amdhsa_exception_fp_ieee_underflow 0
		.amdhsa_exception_fp_ieee_inexact 0
		.amdhsa_exception_int_div_zero 0
	.end_amdhsa_kernel
	.section	.text._ZN2at6native32elementwise_kernel_manual_unrollILi128ELi4EZNS0_15gpu_kernel_implIZZZNS0_17expm1_kernel_cudaERNS_18TensorIteratorBaseEENKUlvE_clEvENKUlvE4_clEvEUlN3c104HalfEE_EEvS4_RKT_EUlibE0_EEviT1_,"axG",@progbits,_ZN2at6native32elementwise_kernel_manual_unrollILi128ELi4EZNS0_15gpu_kernel_implIZZZNS0_17expm1_kernel_cudaERNS_18TensorIteratorBaseEENKUlvE_clEvENKUlvE4_clEvEUlN3c104HalfEE_EEvS4_RKT_EUlibE0_EEviT1_,comdat
.Lfunc_end161:
	.size	_ZN2at6native32elementwise_kernel_manual_unrollILi128ELi4EZNS0_15gpu_kernel_implIZZZNS0_17expm1_kernel_cudaERNS_18TensorIteratorBaseEENKUlvE_clEvENKUlvE4_clEvEUlN3c104HalfEE_EEvS4_RKT_EUlibE0_EEviT1_, .Lfunc_end161-_ZN2at6native32elementwise_kernel_manual_unrollILi128ELi4EZNS0_15gpu_kernel_implIZZZNS0_17expm1_kernel_cudaERNS_18TensorIteratorBaseEENKUlvE_clEvENKUlvE4_clEvEUlN3c104HalfEE_EEvS4_RKT_EUlibE0_EEviT1_
                                        ; -- End function
	.section	.AMDGPU.csdata,"",@progbits
; Kernel info:
; codeLenInByte = 43180
; NumSgprs: 70
; NumVgprs: 18
; ScratchSize: 0
; MemoryBound: 0
; FloatMode: 240
; IeeeMode: 1
; LDSByteSize: 0 bytes/workgroup (compile time only)
; SGPRBlocks: 8
; VGPRBlocks: 2
; NumSGPRsForWavesPerEU: 70
; NumVGPRsForWavesPerEU: 18
; Occupancy: 16
; WaveLimiterHint : 1
; COMPUTE_PGM_RSRC2:SCRATCH_EN: 0
; COMPUTE_PGM_RSRC2:USER_SGPR: 15
; COMPUTE_PGM_RSRC2:TRAP_HANDLER: 0
; COMPUTE_PGM_RSRC2:TGID_X_EN: 1
; COMPUTE_PGM_RSRC2:TGID_Y_EN: 0
; COMPUTE_PGM_RSRC2:TGID_Z_EN: 0
; COMPUTE_PGM_RSRC2:TIDIG_COMP_CNT: 0
	.section	.text._ZN2at6native29vectorized_elementwise_kernelILi16EZZZNS0_17rsqrt_kernel_cudaERNS_18TensorIteratorBaseEENKUlvE_clEvENKUlvE_clEvEUlN3c107complexIdEEE_St5arrayIPcLm2EEEEviT0_T1_,"axG",@progbits,_ZN2at6native29vectorized_elementwise_kernelILi16EZZZNS0_17rsqrt_kernel_cudaERNS_18TensorIteratorBaseEENKUlvE_clEvENKUlvE_clEvEUlN3c107complexIdEEE_St5arrayIPcLm2EEEEviT0_T1_,comdat
	.globl	_ZN2at6native29vectorized_elementwise_kernelILi16EZZZNS0_17rsqrt_kernel_cudaERNS_18TensorIteratorBaseEENKUlvE_clEvENKUlvE_clEvEUlN3c107complexIdEEE_St5arrayIPcLm2EEEEviT0_T1_ ; -- Begin function _ZN2at6native29vectorized_elementwise_kernelILi16EZZZNS0_17rsqrt_kernel_cudaERNS_18TensorIteratorBaseEENKUlvE_clEvENKUlvE_clEvEUlN3c107complexIdEEE_St5arrayIPcLm2EEEEviT0_T1_
	.p2align	8
	.type	_ZN2at6native29vectorized_elementwise_kernelILi16EZZZNS0_17rsqrt_kernel_cudaERNS_18TensorIteratorBaseEENKUlvE_clEvENKUlvE_clEvEUlN3c107complexIdEEE_St5arrayIPcLm2EEEEviT0_T1_,@function
_ZN2at6native29vectorized_elementwise_kernelILi16EZZZNS0_17rsqrt_kernel_cudaERNS_18TensorIteratorBaseEENKUlvE_clEvENKUlvE_clEvEUlN3c107complexIdEEE_St5arrayIPcLm2EEEEviT0_T1_: ; @_ZN2at6native29vectorized_elementwise_kernelILi16EZZZNS0_17rsqrt_kernel_cudaERNS_18TensorIteratorBaseEENKUlvE_clEvENKUlvE_clEvEUlN3c107complexIdEEE_St5arrayIPcLm2EEEEviT0_T1_
; %bb.0:
	s_clause 0x1
	s_load_b32 s2, s[0:1], 0x0
	s_load_b128 s[4:7], s[0:1], 0x8
	s_lshl_b32 s8, s15, 10
	s_mov_b32 s0, -1
	s_waitcnt lgkmcnt(0)
	s_sub_i32 s10, s2, s8
	s_delay_alu instid0(SALU_CYCLE_1)
	s_cmpk_gt_i32 s10, 0x3ff
	s_cbranch_scc0 .LBB162_162
; %bb.1:
	s_ashr_i32 s9, s8, 31
	v_lshlrev_b32_e32 v25, 6, v0
	s_lshl_b64 s[2:3], s[8:9], 4
	v_mov_b32_e32 v13, 0
	v_mov_b32_e32 v14, 0
	s_add_u32 s0, s6, s2
	s_addc_u32 s1, s7, s3
	s_clause 0x3
	global_load_b128 v[19:22], v25, s[0:1]
	global_load_b128 v[15:18], v25, s[0:1] offset:16
	global_load_b128 v[1:4], v25, s[0:1] offset:48
	;; [unrolled: 1-line block ×3, first 2 shown]
	s_waitcnt vmcnt(3)
	v_cmp_neq_f64_e32 vcc_lo, 0, v[19:20]
	v_cmp_neq_f64_e64 s0, 0, v[21:22]
	s_delay_alu instid0(VALU_DEP_1) | instskip(NEXT) | instid1(SALU_CYCLE_1)
	s_or_b32 s0, vcc_lo, s0
	s_and_saveexec_b32 s9, s0
	s_cbranch_execz .LBB162_33
; %bb.2:
	s_mov_b32 s0, 0
	s_mov_b32 s1, 0x7ff00000
	v_mov_b32_e32 v13, s0
	v_mov_b32_e32 v14, s1
	s_mov_b32 s11, exec_lo
	v_cmpx_neq_f64_e64 0x7ff00000, |v[21:22]|
	s_cbranch_execz .LBB162_32
; %bb.3:
	s_mov_b32 s0, exec_lo
	v_cmpx_o_f64_e32 v[19:20], v[19:20]
	s_xor_b32 s12, exec_lo, s0
	s_cbranch_execz .LBB162_29
; %bb.4:
	s_mov_b32 s1, exec_lo
	v_cmpx_neq_f64_e64 0x7ff00000, |v[19:20]|
	s_xor_b32 s13, exec_lo, s1
	s_cbranch_execz .LBB162_22
; %bb.5:
	v_max_f64 v[5:6], |v[21:22]|, |v[21:22]|
	v_max_f64 v[7:8], |v[19:20]|, |v[19:20]|
	s_mov_b32 s0, 0x99fcef32
	s_mov_b32 s1, 0x7fda8279
                                        ; implicit-def: $sgpr14
	s_delay_alu instid0(VALU_DEP_1) | instskip(NEXT) | instid1(VALU_DEP_1)
	v_max_f64 v[5:6], v[7:8], v[5:6]
	v_cmp_nle_f64_e64 s0, s[0:1], v[5:6]
	s_delay_alu instid0(VALU_DEP_1) | instskip(NEXT) | instid1(SALU_CYCLE_1)
	s_and_saveexec_b32 s1, s0
	s_xor_b32 s1, exec_lo, s1
	s_cbranch_execz .LBB162_9
; %bb.6:
	v_cmp_ge_f64_e64 s14, 0x200000, |v[19:20]|
	v_cmp_ge_f64_e64 s15, 0x200000, |v[21:22]|
	s_delay_alu instid0(VALU_DEP_1)
	s_and_b32 s16, s14, s15
	s_mov_b32 s14, 0
	s_and_saveexec_b32 s15, s16
; %bb.7:
	v_mul_f64 v[19:20], v[19:20], 4.0
	v_mul_f64 v[21:22], v[21:22], 4.0
	s_mov_b32 s14, exec_lo
; %bb.8:
	s_or_b32 exec_lo, exec_lo, s15
	s_delay_alu instid0(SALU_CYCLE_1)
	s_and_b32 s14, s14, exec_lo
.LBB162_9:
	s_and_not1_saveexec_b32 s1, s1
; %bb.10:
	s_delay_alu instid0(VALU_DEP_2) | instskip(NEXT) | instid1(VALU_DEP_2)
	v_ldexp_f64 v[19:20], v[19:20], -2
	v_ldexp_f64 v[21:22], v[21:22], -2
	s_and_not1_b32 s14, s14, exec_lo
; %bb.11:
	s_or_b32 exec_lo, exec_lo, s1
	s_delay_alu instid0(VALU_DEP_1) | instskip(NEXT) | instid1(VALU_DEP_3)
	v_max_f64 v[5:6], |v[21:22]|, |v[21:22]|
	v_max_f64 v[7:8], |v[19:20]|, |v[19:20]|
	v_cmp_class_f64_e64 s15, v[19:20], 0x204
	v_cmp_class_f64_e64 s16, v[21:22], 0x204
	v_cmp_le_f64_e64 s1, 0, v[19:20]
	s_delay_alu instid0(VALU_DEP_4) | instskip(NEXT) | instid1(VALU_DEP_3)
	v_max_f64 v[5:6], v[7:8], v[5:6]
	s_or_b32 s15, s16, s15
	s_delay_alu instid0(VALU_DEP_1) | instskip(NEXT) | instid1(VALU_DEP_1)
	v_frexp_exp_i32_f64_e32 v26, v[5:6]
	v_sub_nc_u32_e32 v7, 0, v26
	s_delay_alu instid0(VALU_DEP_1) | instskip(SKIP_1) | instid1(VALU_DEP_2)
	v_ldexp_f64 v[5:6], |v[21:22]|, v7
	v_ldexp_f64 v[7:8], |v[19:20]|, v7
	v_mul_f64 v[5:6], v[5:6], v[5:6]
	s_delay_alu instid0(VALU_DEP_1) | instskip(NEXT) | instid1(VALU_DEP_1)
	v_fma_f64 v[5:6], v[7:8], v[7:8], v[5:6]
	v_rsq_f64_e32 v[7:8], v[5:6]
	v_cmp_eq_f64_e32 vcc_lo, 0, v[5:6]
	s_waitcnt_depctr 0xfff
	v_mul_f64 v[13:14], v[5:6], v[7:8]
	v_mul_f64 v[7:8], v[7:8], 0.5
	s_delay_alu instid0(VALU_DEP_1) | instskip(NEXT) | instid1(VALU_DEP_1)
	v_fma_f64 v[23:24], -v[7:8], v[13:14], 0.5
	v_fma_f64 v[13:14], v[13:14], v[23:24], v[13:14]
	v_fma_f64 v[7:8], v[7:8], v[23:24], v[7:8]
	s_delay_alu instid0(VALU_DEP_2) | instskip(NEXT) | instid1(VALU_DEP_1)
	v_fma_f64 v[23:24], -v[13:14], v[13:14], v[5:6]
	v_fma_f64 v[7:8], v[23:24], v[7:8], v[13:14]
	s_delay_alu instid0(VALU_DEP_1) | instskip(SKIP_1) | instid1(VALU_DEP_2)
	v_dual_cndmask_b32 v6, v8, v6 :: v_dual_cndmask_b32 v5, v7, v5
	v_cmp_o_f64_e32 vcc_lo, v[21:22], v[21:22]
	v_ldexp_f64 v[5:6], v[5:6], v26
	s_delay_alu instid0(VALU_DEP_1) | instskip(NEXT) | instid1(VALU_DEP_2)
	v_cndmask_b32_e32 v5, 0, v5, vcc_lo
	v_cndmask_b32_e32 v6, 0x7ff80000, v6, vcc_lo
	s_delay_alu instid0(VALU_DEP_2) | instskip(NEXT) | instid1(VALU_DEP_2)
	v_cndmask_b32_e64 v5, v5, 0, s15
	v_cndmask_b32_e64 v6, v6, 0x7ff00000, s15
	s_and_saveexec_b32 s15, s1
	s_delay_alu instid0(SALU_CYCLE_1)
	s_xor_b32 s1, exec_lo, s15
	s_cbranch_execz .LBB162_17
; %bb.12:
	s_delay_alu instid0(VALU_DEP_1) | instskip(NEXT) | instid1(VALU_DEP_1)
	v_add_f64 v[5:6], v[19:20], v[5:6]
	v_mul_f64 v[5:6], v[5:6], 0.5
	s_delay_alu instid0(VALU_DEP_1) | instskip(SKIP_1) | instid1(VALU_DEP_1)
	v_cmp_gt_f64_e32 vcc_lo, 0x10000000, v[5:6]
	v_cndmask_b32_e64 v7, 0, 1, vcc_lo
	v_lshlrev_b32_e32 v7, 8, v7
	s_delay_alu instid0(VALU_DEP_1) | instskip(NEXT) | instid1(VALU_DEP_1)
	v_ldexp_f64 v[5:6], v[5:6], v7
	v_rsq_f64_e32 v[7:8], v[5:6]
	s_waitcnt_depctr 0xfff
	v_mul_f64 v[13:14], v[5:6], v[7:8]
	v_mul_f64 v[7:8], v[7:8], 0.5
	s_delay_alu instid0(VALU_DEP_1) | instskip(NEXT) | instid1(VALU_DEP_1)
	v_fma_f64 v[19:20], -v[7:8], v[13:14], 0.5
	v_fma_f64 v[13:14], v[13:14], v[19:20], v[13:14]
	v_fma_f64 v[7:8], v[7:8], v[19:20], v[7:8]
	s_delay_alu instid0(VALU_DEP_2) | instskip(NEXT) | instid1(VALU_DEP_1)
	v_fma_f64 v[19:20], -v[13:14], v[13:14], v[5:6]
	v_fma_f64 v[13:14], v[19:20], v[7:8], v[13:14]
	s_delay_alu instid0(VALU_DEP_1) | instskip(NEXT) | instid1(VALU_DEP_1)
	v_fma_f64 v[19:20], -v[13:14], v[13:14], v[5:6]
	v_fma_f64 v[7:8], v[19:20], v[7:8], v[13:14]
	v_cndmask_b32_e64 v13, 0, 0xffffff80, vcc_lo
	v_cmp_class_f64_e64 vcc_lo, v[5:6], 0x260
	s_delay_alu instid0(VALU_DEP_2) | instskip(NEXT) | instid1(VALU_DEP_1)
	v_ldexp_f64 v[7:8], v[7:8], v13
	v_dual_cndmask_b32 v20, v8, v6 :: v_dual_cndmask_b32 v19, v7, v5
	s_delay_alu instid0(VALU_DEP_1) | instskip(NEXT) | instid1(VALU_DEP_1)
	v_add_f64 v[5:6], v[19:20], v[19:20]
	v_div_scale_f64 v[7:8], null, v[5:6], v[5:6], v[21:22]
	s_delay_alu instid0(VALU_DEP_1) | instskip(SKIP_2) | instid1(VALU_DEP_1)
	v_rcp_f64_e32 v[13:14], v[7:8]
	s_waitcnt_depctr 0xfff
	v_fma_f64 v[23:24], -v[7:8], v[13:14], 1.0
	v_fma_f64 v[13:14], v[13:14], v[23:24], v[13:14]
	s_delay_alu instid0(VALU_DEP_1) | instskip(NEXT) | instid1(VALU_DEP_1)
	v_fma_f64 v[23:24], -v[7:8], v[13:14], 1.0
	v_fma_f64 v[13:14], v[13:14], v[23:24], v[13:14]
	v_div_scale_f64 v[23:24], vcc_lo, v[21:22], v[5:6], v[21:22]
	s_delay_alu instid0(VALU_DEP_1) | instskip(NEXT) | instid1(VALU_DEP_1)
	v_mul_f64 v[26:27], v[23:24], v[13:14]
	v_fma_f64 v[7:8], -v[7:8], v[26:27], v[23:24]
	s_delay_alu instid0(VALU_DEP_1) | instskip(NEXT) | instid1(VALU_DEP_1)
	v_div_fmas_f64 v[7:8], v[7:8], v[13:14], v[26:27]
	v_div_fixup_f64 v[21:22], v[7:8], v[5:6], v[21:22]
                                        ; implicit-def: $vgpr5_vgpr6
	s_and_not1_saveexec_b32 s1, s1
	s_cbranch_execnz .LBB162_18
.LBB162_13:
	s_or_b32 exec_lo, exec_lo, s1
	s_and_saveexec_b32 s1, s0
	s_delay_alu instid0(SALU_CYCLE_1)
	s_xor_b32 s0, exec_lo, s1
	s_cbranch_execz .LBB162_19
.LBB162_14:
	s_and_saveexec_b32 s1, s14
; %bb.15:
	s_delay_alu instid0(VALU_DEP_2) | instskip(NEXT) | instid1(VALU_DEP_2)
	v_mul_f64 v[19:20], v[19:20], 0.5
	v_mul_f64 v[21:22], v[21:22], 0.5
; %bb.16:
	s_or_b32 exec_lo, exec_lo, s1
	s_and_not1_saveexec_b32 s0, s0
	s_cbranch_execnz .LBB162_20
	s_branch .LBB162_21
.LBB162_17:
	s_and_not1_saveexec_b32 s1, s1
	s_cbranch_execz .LBB162_13
.LBB162_18:
	v_add_f64 v[5:6], v[5:6], -v[19:20]
	s_delay_alu instid0(VALU_DEP_1) | instskip(NEXT) | instid1(VALU_DEP_1)
	v_mul_f64 v[5:6], v[5:6], 0.5
	v_cmp_gt_f64_e32 vcc_lo, 0x10000000, v[5:6]
	v_cndmask_b32_e64 v7, 0, 1, vcc_lo
	s_delay_alu instid0(VALU_DEP_1) | instskip(NEXT) | instid1(VALU_DEP_1)
	v_lshlrev_b32_e32 v7, 8, v7
	v_ldexp_f64 v[5:6], v[5:6], v7
	s_delay_alu instid0(VALU_DEP_1) | instskip(SKIP_3) | instid1(VALU_DEP_1)
	v_rsq_f64_e32 v[7:8], v[5:6]
	s_waitcnt_depctr 0xfff
	v_mul_f64 v[13:14], v[5:6], v[7:8]
	v_mul_f64 v[7:8], v[7:8], 0.5
	v_fma_f64 v[19:20], -v[7:8], v[13:14], 0.5
	s_delay_alu instid0(VALU_DEP_1) | instskip(SKIP_1) | instid1(VALU_DEP_2)
	v_fma_f64 v[13:14], v[13:14], v[19:20], v[13:14]
	v_fma_f64 v[7:8], v[7:8], v[19:20], v[7:8]
	v_fma_f64 v[19:20], -v[13:14], v[13:14], v[5:6]
	s_delay_alu instid0(VALU_DEP_1) | instskip(NEXT) | instid1(VALU_DEP_1)
	v_fma_f64 v[13:14], v[19:20], v[7:8], v[13:14]
	v_fma_f64 v[19:20], -v[13:14], v[13:14], v[5:6]
	s_delay_alu instid0(VALU_DEP_1) | instskip(SKIP_3) | instid1(VALU_DEP_3)
	v_fma_f64 v[7:8], v[19:20], v[7:8], v[13:14]
	v_cndmask_b32_e64 v13, 0, 0xffffff80, vcc_lo
	v_cmp_class_f64_e64 vcc_lo, v[5:6], 0x260
	v_and_b32_e32 v14, 0x7fffffff, v22
	v_ldexp_f64 v[7:8], v[7:8], v13
	s_delay_alu instid0(VALU_DEP_1) | instskip(NEXT) | instid1(VALU_DEP_1)
	v_dual_cndmask_b32 v6, v8, v6 :: v_dual_cndmask_b32 v5, v7, v5
	v_add_f64 v[7:8], v[5:6], v[5:6]
	v_bfi_b32 v6, 0x7fffffff, v6, v22
	v_mov_b32_e32 v13, v21
	s_delay_alu instid0(VALU_DEP_1) | instskip(SKIP_1) | instid1(VALU_DEP_2)
	v_div_scale_f64 v[19:20], null, v[7:8], v[7:8], v[13:14]
	v_div_scale_f64 v[13:14], vcc_lo, v[13:14], v[7:8], v[13:14]
	v_rcp_f64_e32 v[23:24], v[19:20]
	s_waitcnt_depctr 0xfff
	v_fma_f64 v[26:27], -v[19:20], v[23:24], 1.0
	s_delay_alu instid0(VALU_DEP_1) | instskip(NEXT) | instid1(VALU_DEP_1)
	v_fma_f64 v[23:24], v[23:24], v[26:27], v[23:24]
	v_fma_f64 v[26:27], -v[19:20], v[23:24], 1.0
	s_delay_alu instid0(VALU_DEP_1) | instskip(NEXT) | instid1(VALU_DEP_1)
	v_fma_f64 v[23:24], v[23:24], v[26:27], v[23:24]
	v_mul_f64 v[26:27], v[13:14], v[23:24]
	s_delay_alu instid0(VALU_DEP_1) | instskip(NEXT) | instid1(VALU_DEP_1)
	v_fma_f64 v[13:14], -v[19:20], v[26:27], v[13:14]
	v_div_fmas_f64 v[13:14], v[13:14], v[23:24], v[26:27]
	s_delay_alu instid0(VALU_DEP_1) | instskip(SKIP_3) | instid1(SALU_CYCLE_1)
	v_div_fixup_f64 v[19:20], v[13:14], v[7:8], |v[21:22]|
	v_dual_mov_b32 v22, v6 :: v_dual_mov_b32 v21, v5
	s_or_b32 exec_lo, exec_lo, s1
	s_and_saveexec_b32 s1, s0
	s_xor_b32 s0, exec_lo, s1
	s_cbranch_execnz .LBB162_14
.LBB162_19:
	s_and_not1_saveexec_b32 s0, s0
.LBB162_20:
	s_delay_alu instid0(VALU_DEP_2) | instskip(NEXT) | instid1(VALU_DEP_2)
	v_add_f64 v[19:20], v[19:20], v[19:20]
	v_add_f64 v[21:22], v[21:22], v[21:22]
.LBB162_21:
	s_or_b32 exec_lo, exec_lo, s0
.LBB162_22:
	s_and_not1_saveexec_b32 s0, s13
	s_cbranch_execz .LBB162_28
; %bb.23:
	s_delay_alu instid0(VALU_DEP_1) | instskip(SKIP_1) | instid1(VALU_DEP_3)
	v_add_f64 v[5:6], v[21:22], -v[21:22]
	s_mov_b32 s1, exec_lo
	v_cmpx_lt_i64_e32 -1, v[19:20]
	s_xor_b32 s1, exec_lo, s1
; %bb.24:
	s_delay_alu instid0(VALU_DEP_2) | instskip(NEXT) | instid1(VALU_DEP_1)
	v_bfi_b32 v6, 0x7fffffff, v6, v22
	v_dual_mov_b32 v22, v6 :: v_dual_mov_b32 v21, v5
                                        ; implicit-def: $vgpr5_vgpr6
; %bb.25:
	s_and_not1_saveexec_b32 s1, s1
; %bb.26:
	s_delay_alu instid0(VALU_DEP_1) | instskip(SKIP_1) | instid1(VALU_DEP_2)
	v_bfi_b32 v20, 0x7fffffff, v20, v22
	v_and_b32_e32 v6, 0x7fffffff, v6
	v_dual_mov_b32 v22, v20 :: v_dual_mov_b32 v21, v19
	s_delay_alu instid0(VALU_DEP_2)
	v_dual_mov_b32 v20, v6 :: v_dual_mov_b32 v19, v5
; %bb.27:
	s_or_b32 exec_lo, exec_lo, s1
.LBB162_28:
	s_delay_alu instid0(SALU_CYCLE_1)
	s_or_b32 exec_lo, exec_lo, s0
.LBB162_29:
	s_and_not1_saveexec_b32 s0, s12
; %bb.30:
	s_delay_alu instid0(VALU_DEP_1) | instskip(NEXT) | instid1(VALU_DEP_1)
	v_add_f64 v[5:6], v[21:22], -v[21:22]
	v_div_scale_f64 v[7:8], vcc_lo, v[5:6], v[5:6], v[5:6]
	s_delay_alu instid0(VALU_DEP_1) | instskip(SKIP_2) | instid1(VALU_DEP_1)
	v_rcp_f64_e32 v[13:14], v[7:8]
	s_waitcnt_depctr 0xfff
	v_fma_f64 v[21:22], -v[7:8], v[13:14], 1.0
	v_fma_f64 v[13:14], v[13:14], v[21:22], v[13:14]
	s_delay_alu instid0(VALU_DEP_1) | instskip(NEXT) | instid1(VALU_DEP_1)
	v_fma_f64 v[21:22], -v[7:8], v[13:14], 1.0
	v_fma_f64 v[13:14], v[13:14], v[21:22], v[13:14]
	s_delay_alu instid0(VALU_DEP_1) | instskip(NEXT) | instid1(VALU_DEP_1)
	v_mul_f64 v[21:22], v[7:8], v[13:14]
	v_fma_f64 v[7:8], -v[7:8], v[21:22], v[7:8]
	s_delay_alu instid0(VALU_DEP_1) | instskip(NEXT) | instid1(VALU_DEP_1)
	v_div_fmas_f64 v[7:8], v[7:8], v[13:14], v[21:22]
	v_div_fixup_f64 v[21:22], v[7:8], v[5:6], v[5:6]
; %bb.31:
	s_or_b32 exec_lo, exec_lo, s0
	v_dual_mov_b32 v13, v19 :: v_dual_mov_b32 v14, v20
.LBB162_32:
	s_or_b32 exec_lo, exec_lo, s11
.LBB162_33:
	s_delay_alu instid0(SALU_CYCLE_1) | instskip(NEXT) | instid1(VALU_DEP_1)
	s_or_b32 exec_lo, exec_lo, s9
	v_cmp_gt_f64_e32 vcc_lo, 0, v[13:14]
	s_delay_alu instid0(VALU_DEP_3) | instskip(SKIP_2) | instid1(VALU_DEP_2)
	v_cmp_gt_f64_e64 s0, 0, v[21:22]
	v_xor_b32_e32 v5, 0x80000000, v14
	v_xor_b32_e32 v6, 0x80000000, v22
                                        ; implicit-def: $vgpr7_vgpr8
	v_cndmask_b32_e32 v20, v14, v5, vcc_lo
	s_delay_alu instid0(VALU_DEP_2) | instskip(SKIP_3) | instid1(VALU_DEP_1)
	v_cndmask_b32_e64 v24, v22, v6, s0
	v_cndmask_b32_e32 v19, v13, v13, vcc_lo
	v_cndmask_b32_e64 v23, v21, v21, s0
	s_mov_b32 s0, exec_lo
	v_cmpx_ge_f64_e32 v[19:20], v[23:24]
	s_xor_b32 s1, exec_lo, s0
	s_cbranch_execz .LBB162_39
; %bb.34:
	v_cmp_neq_f64_e32 vcc_lo, 0, v[13:14]
	v_cmp_neq_f64_e64 s0, 0, v[21:22]
                                        ; implicit-def: $vgpr7_vgpr8
	s_delay_alu instid0(VALU_DEP_1) | instskip(NEXT) | instid1(SALU_CYCLE_1)
	s_or_b32 s0, vcc_lo, s0
	s_and_saveexec_b32 s9, s0
	s_delay_alu instid0(SALU_CYCLE_1)
	s_xor_b32 s0, exec_lo, s9
	s_cbranch_execz .LBB162_36
; %bb.35:
	v_div_scale_f64 v[5:6], null, v[13:14], v[13:14], v[21:22]
	v_div_scale_f64 v[23:24], vcc_lo, v[21:22], v[13:14], v[21:22]
	s_delay_alu instid0(VALU_DEP_2) | instskip(SKIP_2) | instid1(VALU_DEP_1)
	v_rcp_f64_e32 v[7:8], v[5:6]
	s_waitcnt_depctr 0xfff
	v_fma_f64 v[19:20], -v[5:6], v[7:8], 1.0
	v_fma_f64 v[7:8], v[7:8], v[19:20], v[7:8]
	s_delay_alu instid0(VALU_DEP_1) | instskip(NEXT) | instid1(VALU_DEP_1)
	v_fma_f64 v[19:20], -v[5:6], v[7:8], 1.0
	v_fma_f64 v[7:8], v[7:8], v[19:20], v[7:8]
	s_delay_alu instid0(VALU_DEP_1) | instskip(NEXT) | instid1(VALU_DEP_1)
	v_mul_f64 v[19:20], v[23:24], v[7:8]
	v_fma_f64 v[5:6], -v[5:6], v[19:20], v[23:24]
	s_delay_alu instid0(VALU_DEP_1) | instskip(NEXT) | instid1(VALU_DEP_1)
	v_div_fmas_f64 v[5:6], v[5:6], v[7:8], v[19:20]
	v_div_fixup_f64 v[5:6], v[5:6], v[13:14], v[21:22]
	s_delay_alu instid0(VALU_DEP_1) | instskip(NEXT) | instid1(VALU_DEP_1)
	v_fma_f64 v[7:8], v[21:22], v[5:6], v[13:14]
	v_div_scale_f64 v[13:14], null, v[7:8], v[7:8], 1.0
	v_div_scale_f64 v[23:24], vcc_lo, 1.0, v[7:8], 1.0
	s_delay_alu instid0(VALU_DEP_2) | instskip(SKIP_2) | instid1(VALU_DEP_1)
	v_rcp_f64_e32 v[19:20], v[13:14]
	s_waitcnt_depctr 0xfff
	v_fma_f64 v[21:22], -v[13:14], v[19:20], 1.0
	v_fma_f64 v[19:20], v[19:20], v[21:22], v[19:20]
	s_delay_alu instid0(VALU_DEP_1) | instskip(NEXT) | instid1(VALU_DEP_1)
	v_fma_f64 v[21:22], -v[13:14], v[19:20], 1.0
	v_fma_f64 v[19:20], v[19:20], v[21:22], v[19:20]
	s_delay_alu instid0(VALU_DEP_1) | instskip(NEXT) | instid1(VALU_DEP_1)
	v_mul_f64 v[21:22], v[23:24], v[19:20]
	v_fma_f64 v[13:14], -v[13:14], v[21:22], v[23:24]
                                        ; implicit-def: $vgpr23_vgpr24
	s_delay_alu instid0(VALU_DEP_1) | instskip(SKIP_1) | instid1(VALU_DEP_2)
	v_div_fmas_f64 v[13:14], v[13:14], v[19:20], v[21:22]
	v_fma_f64 v[19:20], v[5:6], 0, 1.0
	v_div_fixup_f64 v[7:8], v[13:14], v[7:8], 1.0
	v_add_f64 v[13:14], -v[5:6], 0
	s_delay_alu instid0(VALU_DEP_2) | instskip(NEXT) | instid1(VALU_DEP_2)
	v_mul_f64 v[5:6], v[19:20], v[7:8]
	v_mul_f64 v[7:8], v[13:14], v[7:8]
                                        ; implicit-def: $vgpr19_vgpr20
.LBB162_36:
	s_and_not1_saveexec_b32 s9, s0
	s_cbranch_execz .LBB162_38
; %bb.37:
	v_div_scale_f64 v[5:6], null, v[19:20], v[19:20], 1.0
	v_div_scale_f64 v[7:8], null, v[23:24], v[23:24], 0
	v_div_scale_f64 v[30:31], vcc_lo, 1.0, v[19:20], 1.0
	s_delay_alu instid0(VALU_DEP_3) | instskip(NEXT) | instid1(VALU_DEP_2)
	v_rcp_f64_e32 v[13:14], v[5:6]
	v_rcp_f64_e32 v[21:22], v[7:8]
	s_waitcnt_depctr 0xfff
	v_fma_f64 v[26:27], -v[5:6], v[13:14], 1.0
	v_fma_f64 v[28:29], -v[7:8], v[21:22], 1.0
	s_delay_alu instid0(VALU_DEP_2) | instskip(NEXT) | instid1(VALU_DEP_2)
	v_fma_f64 v[13:14], v[13:14], v[26:27], v[13:14]
	v_fma_f64 v[21:22], v[21:22], v[28:29], v[21:22]
	s_delay_alu instid0(VALU_DEP_2) | instskip(NEXT) | instid1(VALU_DEP_2)
	v_fma_f64 v[26:27], -v[5:6], v[13:14], 1.0
	v_fma_f64 v[28:29], -v[7:8], v[21:22], 1.0
	s_delay_alu instid0(VALU_DEP_2) | instskip(SKIP_1) | instid1(VALU_DEP_3)
	v_fma_f64 v[13:14], v[13:14], v[26:27], v[13:14]
	v_div_scale_f64 v[26:27], s0, 0, v[23:24], 0
	v_fma_f64 v[21:22], v[21:22], v[28:29], v[21:22]
	s_delay_alu instid0(VALU_DEP_3) | instskip(NEXT) | instid1(VALU_DEP_2)
	v_mul_f64 v[28:29], v[30:31], v[13:14]
	v_mul_f64 v[32:33], v[26:27], v[21:22]
	s_delay_alu instid0(VALU_DEP_2) | instskip(NEXT) | instid1(VALU_DEP_2)
	v_fma_f64 v[5:6], -v[5:6], v[28:29], v[30:31]
	v_fma_f64 v[7:8], -v[7:8], v[32:33], v[26:27]
	s_delay_alu instid0(VALU_DEP_2) | instskip(SKIP_1) | instid1(VALU_DEP_2)
	v_div_fmas_f64 v[5:6], v[5:6], v[13:14], v[28:29]
	s_mov_b32 vcc_lo, s0
	v_div_fmas_f64 v[7:8], v[7:8], v[21:22], v[32:33]
	s_delay_alu instid0(VALU_DEP_2) | instskip(NEXT) | instid1(VALU_DEP_2)
	v_div_fixup_f64 v[5:6], v[5:6], v[19:20], 1.0
	v_div_fixup_f64 v[7:8], v[7:8], v[23:24], 0
.LBB162_38:
	s_or_b32 exec_lo, exec_lo, s9
                                        ; implicit-def: $vgpr21_vgpr22
                                        ; implicit-def: $vgpr13_vgpr14
.LBB162_39:
	s_and_not1_saveexec_b32 s0, s1
	s_cbranch_execz .LBB162_41
; %bb.40:
	v_div_scale_f64 v[5:6], null, v[21:22], v[21:22], v[13:14]
	v_div_scale_f64 v[23:24], vcc_lo, v[13:14], v[21:22], v[13:14]
	s_delay_alu instid0(VALU_DEP_2) | instskip(SKIP_2) | instid1(VALU_DEP_1)
	v_rcp_f64_e32 v[7:8], v[5:6]
	s_waitcnt_depctr 0xfff
	v_fma_f64 v[19:20], -v[5:6], v[7:8], 1.0
	v_fma_f64 v[7:8], v[7:8], v[19:20], v[7:8]
	s_delay_alu instid0(VALU_DEP_1) | instskip(NEXT) | instid1(VALU_DEP_1)
	v_fma_f64 v[19:20], -v[5:6], v[7:8], 1.0
	v_fma_f64 v[7:8], v[7:8], v[19:20], v[7:8]
	s_delay_alu instid0(VALU_DEP_1) | instskip(NEXT) | instid1(VALU_DEP_1)
	v_mul_f64 v[19:20], v[23:24], v[7:8]
	v_fma_f64 v[5:6], -v[5:6], v[19:20], v[23:24]
	s_delay_alu instid0(VALU_DEP_1) | instskip(NEXT) | instid1(VALU_DEP_1)
	v_div_fmas_f64 v[5:6], v[5:6], v[7:8], v[19:20]
	v_div_fixup_f64 v[5:6], v[5:6], v[21:22], v[13:14]
	s_delay_alu instid0(VALU_DEP_1) | instskip(NEXT) | instid1(VALU_DEP_1)
	v_fma_f64 v[7:8], v[13:14], v[5:6], v[21:22]
	v_div_scale_f64 v[13:14], null, v[7:8], v[7:8], 1.0
	v_div_scale_f64 v[23:24], vcc_lo, 1.0, v[7:8], 1.0
	s_delay_alu instid0(VALU_DEP_2) | instskip(SKIP_2) | instid1(VALU_DEP_1)
	v_rcp_f64_e32 v[19:20], v[13:14]
	s_waitcnt_depctr 0xfff
	v_fma_f64 v[21:22], -v[13:14], v[19:20], 1.0
	v_fma_f64 v[19:20], v[19:20], v[21:22], v[19:20]
	s_delay_alu instid0(VALU_DEP_1) | instskip(NEXT) | instid1(VALU_DEP_1)
	v_fma_f64 v[21:22], -v[13:14], v[19:20], 1.0
	v_fma_f64 v[19:20], v[19:20], v[21:22], v[19:20]
	s_delay_alu instid0(VALU_DEP_1) | instskip(NEXT) | instid1(VALU_DEP_1)
	v_mul_f64 v[21:22], v[23:24], v[19:20]
	v_fma_f64 v[13:14], -v[13:14], v[21:22], v[23:24]
	s_delay_alu instid0(VALU_DEP_1) | instskip(SKIP_1) | instid1(VALU_DEP_2)
	v_div_fmas_f64 v[13:14], v[13:14], v[19:20], v[21:22]
	v_add_f64 v[19:20], v[5:6], 0
	v_div_fixup_f64 v[7:8], v[13:14], v[7:8], 1.0
	v_fma_f64 v[13:14], v[5:6], 0, -1.0
	s_delay_alu instid0(VALU_DEP_2) | instskip(NEXT) | instid1(VALU_DEP_2)
	v_mul_f64 v[5:6], v[19:20], v[7:8]
	v_mul_f64 v[7:8], v[13:14], v[7:8]
.LBB162_41:
	s_or_b32 exec_lo, exec_lo, s0
	s_waitcnt vmcnt(2)
	v_cmp_neq_f64_e32 vcc_lo, 0, v[15:16]
	v_cmp_neq_f64_e64 s0, 0, v[17:18]
	v_mov_b32_e32 v19, 0
	v_mov_b32_e32 v20, 0
	s_delay_alu instid0(VALU_DEP_3) | instskip(NEXT) | instid1(SALU_CYCLE_1)
	s_or_b32 s0, vcc_lo, s0
	s_and_saveexec_b32 s9, s0
	s_cbranch_execz .LBB162_73
; %bb.42:
	s_mov_b32 s0, 0
	s_mov_b32 s1, 0x7ff00000
	v_mov_b32_e32 v19, s0
	v_mov_b32_e32 v20, s1
	s_mov_b32 s11, exec_lo
	v_cmpx_neq_f64_e64 0x7ff00000, |v[17:18]|
	s_cbranch_execz .LBB162_72
; %bb.43:
	s_mov_b32 s0, exec_lo
	v_cmpx_o_f64_e32 v[15:16], v[15:16]
	s_xor_b32 s12, exec_lo, s0
	s_cbranch_execz .LBB162_69
; %bb.44:
	s_mov_b32 s1, exec_lo
	v_cmpx_neq_f64_e64 0x7ff00000, |v[15:16]|
	s_xor_b32 s13, exec_lo, s1
	s_cbranch_execz .LBB162_62
; %bb.45:
	v_max_f64 v[13:14], |v[17:18]|, |v[17:18]|
	v_max_f64 v[19:20], |v[15:16]|, |v[15:16]|
	s_mov_b32 s0, 0x99fcef32
	s_mov_b32 s1, 0x7fda8279
                                        ; implicit-def: $sgpr14
	s_delay_alu instid0(VALU_DEP_1) | instskip(NEXT) | instid1(VALU_DEP_1)
	v_max_f64 v[13:14], v[19:20], v[13:14]
	v_cmp_nle_f64_e64 s0, s[0:1], v[13:14]
	s_delay_alu instid0(VALU_DEP_1) | instskip(NEXT) | instid1(SALU_CYCLE_1)
	s_and_saveexec_b32 s1, s0
	s_xor_b32 s1, exec_lo, s1
	s_cbranch_execz .LBB162_49
; %bb.46:
	v_cmp_ge_f64_e64 s14, 0x200000, |v[15:16]|
	v_cmp_ge_f64_e64 s15, 0x200000, |v[17:18]|
	s_delay_alu instid0(VALU_DEP_1)
	s_and_b32 s16, s14, s15
	s_mov_b32 s14, 0
	s_and_saveexec_b32 s15, s16
; %bb.47:
	v_mul_f64 v[15:16], v[15:16], 4.0
	v_mul_f64 v[17:18], v[17:18], 4.0
	s_mov_b32 s14, exec_lo
; %bb.48:
	s_or_b32 exec_lo, exec_lo, s15
	s_delay_alu instid0(SALU_CYCLE_1)
	s_and_b32 s14, s14, exec_lo
.LBB162_49:
	s_and_not1_saveexec_b32 s1, s1
; %bb.50:
	s_delay_alu instid0(VALU_DEP_2) | instskip(NEXT) | instid1(VALU_DEP_2)
	v_ldexp_f64 v[15:16], v[15:16], -2
	v_ldexp_f64 v[17:18], v[17:18], -2
	s_and_not1_b32 s14, s14, exec_lo
; %bb.51:
	s_or_b32 exec_lo, exec_lo, s1
	s_delay_alu instid0(VALU_DEP_1) | instskip(NEXT) | instid1(VALU_DEP_3)
	v_max_f64 v[13:14], |v[17:18]|, |v[17:18]|
	v_max_f64 v[19:20], |v[15:16]|, |v[15:16]|
	v_cmp_class_f64_e64 s15, v[15:16], 0x204
	v_cmp_class_f64_e64 s16, v[17:18], 0x204
	v_cmp_le_f64_e64 s1, 0, v[15:16]
	s_delay_alu instid0(VALU_DEP_4) | instskip(NEXT) | instid1(VALU_DEP_3)
	v_max_f64 v[13:14], v[19:20], v[13:14]
	s_or_b32 s15, s16, s15
	s_delay_alu instid0(VALU_DEP_1) | instskip(NEXT) | instid1(VALU_DEP_1)
	v_frexp_exp_i32_f64_e32 v26, v[13:14]
	v_sub_nc_u32_e32 v19, 0, v26
	s_delay_alu instid0(VALU_DEP_1) | instskip(SKIP_1) | instid1(VALU_DEP_2)
	v_ldexp_f64 v[13:14], |v[17:18]|, v19
	v_ldexp_f64 v[19:20], |v[15:16]|, v19
	v_mul_f64 v[13:14], v[13:14], v[13:14]
	s_delay_alu instid0(VALU_DEP_1) | instskip(NEXT) | instid1(VALU_DEP_1)
	v_fma_f64 v[13:14], v[19:20], v[19:20], v[13:14]
	v_rsq_f64_e32 v[19:20], v[13:14]
	v_cmp_eq_f64_e32 vcc_lo, 0, v[13:14]
	s_waitcnt_depctr 0xfff
	v_mul_f64 v[21:22], v[13:14], v[19:20]
	v_mul_f64 v[19:20], v[19:20], 0.5
	s_delay_alu instid0(VALU_DEP_1) | instskip(NEXT) | instid1(VALU_DEP_1)
	v_fma_f64 v[23:24], -v[19:20], v[21:22], 0.5
	v_fma_f64 v[21:22], v[21:22], v[23:24], v[21:22]
	v_fma_f64 v[19:20], v[19:20], v[23:24], v[19:20]
	s_delay_alu instid0(VALU_DEP_2) | instskip(NEXT) | instid1(VALU_DEP_1)
	v_fma_f64 v[23:24], -v[21:22], v[21:22], v[13:14]
	v_fma_f64 v[19:20], v[23:24], v[19:20], v[21:22]
	s_delay_alu instid0(VALU_DEP_1) | instskip(SKIP_1) | instid1(VALU_DEP_2)
	v_dual_cndmask_b32 v14, v20, v14 :: v_dual_cndmask_b32 v13, v19, v13
	v_cmp_o_f64_e32 vcc_lo, v[17:18], v[17:18]
	v_ldexp_f64 v[13:14], v[13:14], v26
	s_delay_alu instid0(VALU_DEP_1) | instskip(NEXT) | instid1(VALU_DEP_2)
	v_cndmask_b32_e32 v13, 0, v13, vcc_lo
	v_cndmask_b32_e32 v14, 0x7ff80000, v14, vcc_lo
	s_delay_alu instid0(VALU_DEP_2) | instskip(NEXT) | instid1(VALU_DEP_2)
	v_cndmask_b32_e64 v13, v13, 0, s15
	v_cndmask_b32_e64 v14, v14, 0x7ff00000, s15
	s_and_saveexec_b32 s15, s1
	s_delay_alu instid0(SALU_CYCLE_1)
	s_xor_b32 s1, exec_lo, s15
	s_cbranch_execz .LBB162_57
; %bb.52:
	s_delay_alu instid0(VALU_DEP_1) | instskip(NEXT) | instid1(VALU_DEP_1)
	v_add_f64 v[13:14], v[15:16], v[13:14]
	v_mul_f64 v[13:14], v[13:14], 0.5
	s_delay_alu instid0(VALU_DEP_1) | instskip(SKIP_1) | instid1(VALU_DEP_1)
	v_cmp_gt_f64_e32 vcc_lo, 0x10000000, v[13:14]
	v_cndmask_b32_e64 v15, 0, 1, vcc_lo
	v_lshlrev_b32_e32 v15, 8, v15
	s_delay_alu instid0(VALU_DEP_1) | instskip(NEXT) | instid1(VALU_DEP_1)
	v_ldexp_f64 v[13:14], v[13:14], v15
	v_rsq_f64_e32 v[15:16], v[13:14]
	s_waitcnt_depctr 0xfff
	v_mul_f64 v[19:20], v[13:14], v[15:16]
	v_mul_f64 v[15:16], v[15:16], 0.5
	s_delay_alu instid0(VALU_DEP_1) | instskip(NEXT) | instid1(VALU_DEP_1)
	v_fma_f64 v[21:22], -v[15:16], v[19:20], 0.5
	v_fma_f64 v[19:20], v[19:20], v[21:22], v[19:20]
	v_fma_f64 v[15:16], v[15:16], v[21:22], v[15:16]
	s_delay_alu instid0(VALU_DEP_2) | instskip(NEXT) | instid1(VALU_DEP_1)
	v_fma_f64 v[21:22], -v[19:20], v[19:20], v[13:14]
	v_fma_f64 v[19:20], v[21:22], v[15:16], v[19:20]
	s_delay_alu instid0(VALU_DEP_1) | instskip(NEXT) | instid1(VALU_DEP_1)
	v_fma_f64 v[21:22], -v[19:20], v[19:20], v[13:14]
	v_fma_f64 v[15:16], v[21:22], v[15:16], v[19:20]
	v_cndmask_b32_e64 v19, 0, 0xffffff80, vcc_lo
	v_cmp_class_f64_e64 vcc_lo, v[13:14], 0x260
	s_delay_alu instid0(VALU_DEP_2) | instskip(NEXT) | instid1(VALU_DEP_1)
	v_ldexp_f64 v[15:16], v[15:16], v19
	v_dual_cndmask_b32 v16, v16, v14 :: v_dual_cndmask_b32 v15, v15, v13
	s_delay_alu instid0(VALU_DEP_1) | instskip(NEXT) | instid1(VALU_DEP_1)
	v_add_f64 v[13:14], v[15:16], v[15:16]
	v_div_scale_f64 v[19:20], null, v[13:14], v[13:14], v[17:18]
	s_delay_alu instid0(VALU_DEP_1) | instskip(SKIP_2) | instid1(VALU_DEP_1)
	v_rcp_f64_e32 v[21:22], v[19:20]
	s_waitcnt_depctr 0xfff
	v_fma_f64 v[23:24], -v[19:20], v[21:22], 1.0
	v_fma_f64 v[21:22], v[21:22], v[23:24], v[21:22]
	s_delay_alu instid0(VALU_DEP_1) | instskip(NEXT) | instid1(VALU_DEP_1)
	v_fma_f64 v[23:24], -v[19:20], v[21:22], 1.0
	v_fma_f64 v[21:22], v[21:22], v[23:24], v[21:22]
	v_div_scale_f64 v[23:24], vcc_lo, v[17:18], v[13:14], v[17:18]
	s_delay_alu instid0(VALU_DEP_1) | instskip(NEXT) | instid1(VALU_DEP_1)
	v_mul_f64 v[26:27], v[23:24], v[21:22]
	v_fma_f64 v[19:20], -v[19:20], v[26:27], v[23:24]
	s_delay_alu instid0(VALU_DEP_1) | instskip(NEXT) | instid1(VALU_DEP_1)
	v_div_fmas_f64 v[19:20], v[19:20], v[21:22], v[26:27]
	v_div_fixup_f64 v[17:18], v[19:20], v[13:14], v[17:18]
                                        ; implicit-def: $vgpr13_vgpr14
	s_and_not1_saveexec_b32 s1, s1
	s_cbranch_execnz .LBB162_58
.LBB162_53:
	s_or_b32 exec_lo, exec_lo, s1
	s_and_saveexec_b32 s1, s0
	s_delay_alu instid0(SALU_CYCLE_1)
	s_xor_b32 s0, exec_lo, s1
	s_cbranch_execz .LBB162_59
.LBB162_54:
	s_and_saveexec_b32 s1, s14
; %bb.55:
	s_delay_alu instid0(VALU_DEP_2) | instskip(NEXT) | instid1(VALU_DEP_2)
	v_mul_f64 v[15:16], v[15:16], 0.5
	v_mul_f64 v[17:18], v[17:18], 0.5
; %bb.56:
	s_or_b32 exec_lo, exec_lo, s1
	s_and_not1_saveexec_b32 s0, s0
	s_cbranch_execnz .LBB162_60
	s_branch .LBB162_61
.LBB162_57:
	s_and_not1_saveexec_b32 s1, s1
	s_cbranch_execz .LBB162_53
.LBB162_58:
	v_add_f64 v[13:14], v[13:14], -v[15:16]
	s_delay_alu instid0(VALU_DEP_1) | instskip(NEXT) | instid1(VALU_DEP_1)
	v_mul_f64 v[13:14], v[13:14], 0.5
	v_cmp_gt_f64_e32 vcc_lo, 0x10000000, v[13:14]
	v_cndmask_b32_e64 v15, 0, 1, vcc_lo
	s_delay_alu instid0(VALU_DEP_1) | instskip(NEXT) | instid1(VALU_DEP_1)
	v_lshlrev_b32_e32 v15, 8, v15
	v_ldexp_f64 v[13:14], v[13:14], v15
	s_delay_alu instid0(VALU_DEP_1) | instskip(SKIP_3) | instid1(VALU_DEP_1)
	v_rsq_f64_e32 v[15:16], v[13:14]
	s_waitcnt_depctr 0xfff
	v_mul_f64 v[19:20], v[13:14], v[15:16]
	v_mul_f64 v[15:16], v[15:16], 0.5
	v_fma_f64 v[21:22], -v[15:16], v[19:20], 0.5
	s_delay_alu instid0(VALU_DEP_1) | instskip(SKIP_1) | instid1(VALU_DEP_2)
	v_fma_f64 v[19:20], v[19:20], v[21:22], v[19:20]
	v_fma_f64 v[15:16], v[15:16], v[21:22], v[15:16]
	v_fma_f64 v[21:22], -v[19:20], v[19:20], v[13:14]
	s_delay_alu instid0(VALU_DEP_1) | instskip(NEXT) | instid1(VALU_DEP_1)
	v_fma_f64 v[19:20], v[21:22], v[15:16], v[19:20]
	v_fma_f64 v[21:22], -v[19:20], v[19:20], v[13:14]
	s_delay_alu instid0(VALU_DEP_1) | instskip(SKIP_3) | instid1(VALU_DEP_3)
	v_fma_f64 v[15:16], v[21:22], v[15:16], v[19:20]
	v_cndmask_b32_e64 v19, 0, 0xffffff80, vcc_lo
	v_cmp_class_f64_e64 vcc_lo, v[13:14], 0x260
	v_and_b32_e32 v20, 0x7fffffff, v18
	v_ldexp_f64 v[15:16], v[15:16], v19
	s_delay_alu instid0(VALU_DEP_1) | instskip(NEXT) | instid1(VALU_DEP_1)
	v_dual_cndmask_b32 v14, v16, v14 :: v_dual_cndmask_b32 v13, v15, v13
	v_add_f64 v[15:16], v[13:14], v[13:14]
	v_bfi_b32 v14, 0x7fffffff, v14, v18
	v_mov_b32_e32 v19, v17
	s_delay_alu instid0(VALU_DEP_1) | instskip(SKIP_1) | instid1(VALU_DEP_2)
	v_div_scale_f64 v[21:22], null, v[15:16], v[15:16], v[19:20]
	v_div_scale_f64 v[19:20], vcc_lo, v[19:20], v[15:16], v[19:20]
	v_rcp_f64_e32 v[23:24], v[21:22]
	s_waitcnt_depctr 0xfff
	v_fma_f64 v[26:27], -v[21:22], v[23:24], 1.0
	s_delay_alu instid0(VALU_DEP_1) | instskip(NEXT) | instid1(VALU_DEP_1)
	v_fma_f64 v[23:24], v[23:24], v[26:27], v[23:24]
	v_fma_f64 v[26:27], -v[21:22], v[23:24], 1.0
	s_delay_alu instid0(VALU_DEP_1) | instskip(NEXT) | instid1(VALU_DEP_1)
	v_fma_f64 v[23:24], v[23:24], v[26:27], v[23:24]
	v_mul_f64 v[26:27], v[19:20], v[23:24]
	s_delay_alu instid0(VALU_DEP_1) | instskip(NEXT) | instid1(VALU_DEP_1)
	v_fma_f64 v[19:20], -v[21:22], v[26:27], v[19:20]
	v_div_fmas_f64 v[19:20], v[19:20], v[23:24], v[26:27]
	s_delay_alu instid0(VALU_DEP_1) | instskip(SKIP_3) | instid1(SALU_CYCLE_1)
	v_div_fixup_f64 v[15:16], v[19:20], v[15:16], |v[17:18]|
	v_dual_mov_b32 v18, v14 :: v_dual_mov_b32 v17, v13
	s_or_b32 exec_lo, exec_lo, s1
	s_and_saveexec_b32 s1, s0
	s_xor_b32 s0, exec_lo, s1
	s_cbranch_execnz .LBB162_54
.LBB162_59:
	s_and_not1_saveexec_b32 s0, s0
.LBB162_60:
	s_delay_alu instid0(VALU_DEP_2) | instskip(NEXT) | instid1(VALU_DEP_2)
	v_add_f64 v[15:16], v[15:16], v[15:16]
	v_add_f64 v[17:18], v[17:18], v[17:18]
.LBB162_61:
	s_or_b32 exec_lo, exec_lo, s0
.LBB162_62:
	s_and_not1_saveexec_b32 s0, s13
	s_cbranch_execz .LBB162_68
; %bb.63:
	s_delay_alu instid0(VALU_DEP_1) | instskip(SKIP_1) | instid1(VALU_DEP_3)
	v_add_f64 v[13:14], v[17:18], -v[17:18]
	s_mov_b32 s1, exec_lo
	v_cmpx_lt_i64_e32 -1, v[15:16]
	s_xor_b32 s1, exec_lo, s1
; %bb.64:
	s_delay_alu instid0(VALU_DEP_2) | instskip(NEXT) | instid1(VALU_DEP_1)
	v_bfi_b32 v14, 0x7fffffff, v14, v18
	v_dual_mov_b32 v18, v14 :: v_dual_mov_b32 v17, v13
                                        ; implicit-def: $vgpr13_vgpr14
; %bb.65:
	s_and_not1_saveexec_b32 s1, s1
; %bb.66:
	s_delay_alu instid0(VALU_DEP_1) | instskip(SKIP_1) | instid1(VALU_DEP_2)
	v_bfi_b32 v16, 0x7fffffff, v16, v18
	v_and_b32_e32 v14, 0x7fffffff, v14
	v_dual_mov_b32 v18, v16 :: v_dual_mov_b32 v17, v15
	s_delay_alu instid0(VALU_DEP_2)
	v_dual_mov_b32 v16, v14 :: v_dual_mov_b32 v15, v13
; %bb.67:
	s_or_b32 exec_lo, exec_lo, s1
.LBB162_68:
	s_delay_alu instid0(SALU_CYCLE_1)
	s_or_b32 exec_lo, exec_lo, s0
.LBB162_69:
	s_and_not1_saveexec_b32 s0, s12
; %bb.70:
	s_delay_alu instid0(VALU_DEP_1) | instskip(NEXT) | instid1(VALU_DEP_1)
	v_add_f64 v[13:14], v[17:18], -v[17:18]
	v_div_scale_f64 v[17:18], vcc_lo, v[13:14], v[13:14], v[13:14]
	s_delay_alu instid0(VALU_DEP_1) | instskip(SKIP_2) | instid1(VALU_DEP_1)
	v_rcp_f64_e32 v[19:20], v[17:18]
	s_waitcnt_depctr 0xfff
	v_fma_f64 v[21:22], -v[17:18], v[19:20], 1.0
	v_fma_f64 v[19:20], v[19:20], v[21:22], v[19:20]
	s_delay_alu instid0(VALU_DEP_1) | instskip(NEXT) | instid1(VALU_DEP_1)
	v_fma_f64 v[21:22], -v[17:18], v[19:20], 1.0
	v_fma_f64 v[19:20], v[19:20], v[21:22], v[19:20]
	s_delay_alu instid0(VALU_DEP_1) | instskip(NEXT) | instid1(VALU_DEP_1)
	v_mul_f64 v[21:22], v[17:18], v[19:20]
	v_fma_f64 v[17:18], -v[17:18], v[21:22], v[17:18]
	s_delay_alu instid0(VALU_DEP_1) | instskip(NEXT) | instid1(VALU_DEP_1)
	v_div_fmas_f64 v[17:18], v[17:18], v[19:20], v[21:22]
	v_div_fixup_f64 v[17:18], v[17:18], v[13:14], v[13:14]
; %bb.71:
	s_or_b32 exec_lo, exec_lo, s0
	v_dual_mov_b32 v20, v16 :: v_dual_mov_b32 v19, v15
.LBB162_72:
	s_or_b32 exec_lo, exec_lo, s11
.LBB162_73:
	s_delay_alu instid0(SALU_CYCLE_1) | instskip(NEXT) | instid1(VALU_DEP_1)
	s_or_b32 exec_lo, exec_lo, s9
	v_cmp_gt_f64_e32 vcc_lo, 0, v[19:20]
	s_delay_alu instid0(VALU_DEP_3) | instskip(SKIP_2) | instid1(VALU_DEP_2)
	v_cmp_gt_f64_e64 s0, 0, v[17:18]
	v_xor_b32_e32 v13, 0x80000000, v20
	v_xor_b32_e32 v14, 0x80000000, v18
                                        ; implicit-def: $vgpr15_vgpr16
	v_dual_cndmask_b32 v22, v20, v13 :: v_dual_cndmask_b32 v21, v19, v19
	s_delay_alu instid0(VALU_DEP_2) | instskip(SKIP_2) | instid1(VALU_DEP_1)
	v_cndmask_b32_e64 v24, v18, v14, s0
	v_cndmask_b32_e64 v23, v17, v17, s0
	s_mov_b32 s0, exec_lo
	v_cmpx_ge_f64_e32 v[21:22], v[23:24]
	s_xor_b32 s1, exec_lo, s0
	s_cbranch_execz .LBB162_79
; %bb.74:
	v_cmp_neq_f64_e32 vcc_lo, 0, v[19:20]
	v_cmp_neq_f64_e64 s0, 0, v[17:18]
                                        ; implicit-def: $vgpr15_vgpr16
	s_delay_alu instid0(VALU_DEP_1) | instskip(NEXT) | instid1(SALU_CYCLE_1)
	s_or_b32 s0, vcc_lo, s0
	s_and_saveexec_b32 s9, s0
	s_delay_alu instid0(SALU_CYCLE_1)
	s_xor_b32 s0, exec_lo, s9
	s_cbranch_execz .LBB162_76
; %bb.75:
	v_div_scale_f64 v[13:14], null, v[19:20], v[19:20], v[17:18]
	v_div_scale_f64 v[23:24], vcc_lo, v[17:18], v[19:20], v[17:18]
	s_delay_alu instid0(VALU_DEP_2) | instskip(SKIP_2) | instid1(VALU_DEP_1)
	v_rcp_f64_e32 v[15:16], v[13:14]
	s_waitcnt_depctr 0xfff
	v_fma_f64 v[21:22], -v[13:14], v[15:16], 1.0
	v_fma_f64 v[15:16], v[15:16], v[21:22], v[15:16]
	s_delay_alu instid0(VALU_DEP_1) | instskip(NEXT) | instid1(VALU_DEP_1)
	v_fma_f64 v[21:22], -v[13:14], v[15:16], 1.0
	v_fma_f64 v[15:16], v[15:16], v[21:22], v[15:16]
	s_delay_alu instid0(VALU_DEP_1) | instskip(NEXT) | instid1(VALU_DEP_1)
	v_mul_f64 v[21:22], v[23:24], v[15:16]
	v_fma_f64 v[13:14], -v[13:14], v[21:22], v[23:24]
	s_delay_alu instid0(VALU_DEP_1) | instskip(NEXT) | instid1(VALU_DEP_1)
	v_div_fmas_f64 v[13:14], v[13:14], v[15:16], v[21:22]
	v_div_fixup_f64 v[13:14], v[13:14], v[19:20], v[17:18]
	s_delay_alu instid0(VALU_DEP_1) | instskip(NEXT) | instid1(VALU_DEP_1)
	v_fma_f64 v[15:16], v[17:18], v[13:14], v[19:20]
	v_div_scale_f64 v[17:18], null, v[15:16], v[15:16], 1.0
	v_div_scale_f64 v[23:24], vcc_lo, 1.0, v[15:16], 1.0
	s_delay_alu instid0(VALU_DEP_2) | instskip(SKIP_2) | instid1(VALU_DEP_1)
	v_rcp_f64_e32 v[19:20], v[17:18]
	s_waitcnt_depctr 0xfff
	v_fma_f64 v[21:22], -v[17:18], v[19:20], 1.0
	v_fma_f64 v[19:20], v[19:20], v[21:22], v[19:20]
	s_delay_alu instid0(VALU_DEP_1) | instskip(NEXT) | instid1(VALU_DEP_1)
	v_fma_f64 v[21:22], -v[17:18], v[19:20], 1.0
	v_fma_f64 v[19:20], v[19:20], v[21:22], v[19:20]
	s_delay_alu instid0(VALU_DEP_1) | instskip(NEXT) | instid1(VALU_DEP_1)
	v_mul_f64 v[21:22], v[23:24], v[19:20]
	v_fma_f64 v[17:18], -v[17:18], v[21:22], v[23:24]
                                        ; implicit-def: $vgpr23_vgpr24
	s_delay_alu instid0(VALU_DEP_1) | instskip(SKIP_1) | instid1(VALU_DEP_2)
	v_div_fmas_f64 v[17:18], v[17:18], v[19:20], v[21:22]
	v_fma_f64 v[19:20], v[13:14], 0, 1.0
                                        ; implicit-def: $vgpr21_vgpr22
	v_div_fixup_f64 v[15:16], v[17:18], v[15:16], 1.0
	v_add_f64 v[17:18], -v[13:14], 0
	s_delay_alu instid0(VALU_DEP_2) | instskip(NEXT) | instid1(VALU_DEP_2)
	v_mul_f64 v[13:14], v[19:20], v[15:16]
	v_mul_f64 v[15:16], v[17:18], v[15:16]
.LBB162_76:
	s_and_not1_saveexec_b32 s9, s0
	s_cbranch_execz .LBB162_78
; %bb.77:
	v_div_scale_f64 v[13:14], null, v[21:22], v[21:22], 1.0
	v_div_scale_f64 v[15:16], null, v[23:24], v[23:24], 0
	v_div_scale_f64 v[30:31], vcc_lo, 1.0, v[21:22], 1.0
	s_delay_alu instid0(VALU_DEP_3) | instskip(NEXT) | instid1(VALU_DEP_2)
	v_rcp_f64_e32 v[17:18], v[13:14]
	v_rcp_f64_e32 v[19:20], v[15:16]
	s_waitcnt_depctr 0xfff
	v_fma_f64 v[26:27], -v[13:14], v[17:18], 1.0
	v_fma_f64 v[28:29], -v[15:16], v[19:20], 1.0
	s_delay_alu instid0(VALU_DEP_2) | instskip(NEXT) | instid1(VALU_DEP_2)
	v_fma_f64 v[17:18], v[17:18], v[26:27], v[17:18]
	v_fma_f64 v[19:20], v[19:20], v[28:29], v[19:20]
	s_delay_alu instid0(VALU_DEP_2) | instskip(NEXT) | instid1(VALU_DEP_2)
	v_fma_f64 v[26:27], -v[13:14], v[17:18], 1.0
	v_fma_f64 v[28:29], -v[15:16], v[19:20], 1.0
	s_delay_alu instid0(VALU_DEP_2) | instskip(SKIP_1) | instid1(VALU_DEP_3)
	v_fma_f64 v[17:18], v[17:18], v[26:27], v[17:18]
	v_div_scale_f64 v[26:27], s0, 0, v[23:24], 0
	v_fma_f64 v[19:20], v[19:20], v[28:29], v[19:20]
	s_delay_alu instid0(VALU_DEP_3) | instskip(NEXT) | instid1(VALU_DEP_2)
	v_mul_f64 v[28:29], v[30:31], v[17:18]
	v_mul_f64 v[32:33], v[26:27], v[19:20]
	s_delay_alu instid0(VALU_DEP_2) | instskip(NEXT) | instid1(VALU_DEP_2)
	v_fma_f64 v[13:14], -v[13:14], v[28:29], v[30:31]
	v_fma_f64 v[15:16], -v[15:16], v[32:33], v[26:27]
	s_delay_alu instid0(VALU_DEP_2) | instskip(SKIP_1) | instid1(VALU_DEP_2)
	v_div_fmas_f64 v[13:14], v[13:14], v[17:18], v[28:29]
	s_mov_b32 vcc_lo, s0
	v_div_fmas_f64 v[15:16], v[15:16], v[19:20], v[32:33]
	s_delay_alu instid0(VALU_DEP_2) | instskip(NEXT) | instid1(VALU_DEP_2)
	v_div_fixup_f64 v[13:14], v[13:14], v[21:22], 1.0
	v_div_fixup_f64 v[15:16], v[15:16], v[23:24], 0
.LBB162_78:
	s_or_b32 exec_lo, exec_lo, s9
                                        ; implicit-def: $vgpr17_vgpr18
                                        ; implicit-def: $vgpr19_vgpr20
.LBB162_79:
	s_and_not1_saveexec_b32 s0, s1
	s_cbranch_execz .LBB162_81
; %bb.80:
	v_div_scale_f64 v[13:14], null, v[17:18], v[17:18], v[19:20]
	v_div_scale_f64 v[23:24], vcc_lo, v[19:20], v[17:18], v[19:20]
	s_delay_alu instid0(VALU_DEP_2) | instskip(SKIP_2) | instid1(VALU_DEP_1)
	v_rcp_f64_e32 v[15:16], v[13:14]
	s_waitcnt_depctr 0xfff
	v_fma_f64 v[21:22], -v[13:14], v[15:16], 1.0
	v_fma_f64 v[15:16], v[15:16], v[21:22], v[15:16]
	s_delay_alu instid0(VALU_DEP_1) | instskip(NEXT) | instid1(VALU_DEP_1)
	v_fma_f64 v[21:22], -v[13:14], v[15:16], 1.0
	v_fma_f64 v[15:16], v[15:16], v[21:22], v[15:16]
	s_delay_alu instid0(VALU_DEP_1) | instskip(NEXT) | instid1(VALU_DEP_1)
	v_mul_f64 v[21:22], v[23:24], v[15:16]
	v_fma_f64 v[13:14], -v[13:14], v[21:22], v[23:24]
	s_delay_alu instid0(VALU_DEP_1) | instskip(NEXT) | instid1(VALU_DEP_1)
	v_div_fmas_f64 v[13:14], v[13:14], v[15:16], v[21:22]
	v_div_fixup_f64 v[13:14], v[13:14], v[17:18], v[19:20]
	s_delay_alu instid0(VALU_DEP_1) | instskip(NEXT) | instid1(VALU_DEP_1)
	v_fma_f64 v[15:16], v[19:20], v[13:14], v[17:18]
	v_div_scale_f64 v[17:18], null, v[15:16], v[15:16], 1.0
	v_div_scale_f64 v[23:24], vcc_lo, 1.0, v[15:16], 1.0
	s_delay_alu instid0(VALU_DEP_2) | instskip(SKIP_2) | instid1(VALU_DEP_1)
	v_rcp_f64_e32 v[19:20], v[17:18]
	s_waitcnt_depctr 0xfff
	v_fma_f64 v[21:22], -v[17:18], v[19:20], 1.0
	v_fma_f64 v[19:20], v[19:20], v[21:22], v[19:20]
	s_delay_alu instid0(VALU_DEP_1) | instskip(NEXT) | instid1(VALU_DEP_1)
	v_fma_f64 v[21:22], -v[17:18], v[19:20], 1.0
	v_fma_f64 v[19:20], v[19:20], v[21:22], v[19:20]
	s_delay_alu instid0(VALU_DEP_1) | instskip(NEXT) | instid1(VALU_DEP_1)
	v_mul_f64 v[21:22], v[23:24], v[19:20]
	v_fma_f64 v[17:18], -v[17:18], v[21:22], v[23:24]
	s_delay_alu instid0(VALU_DEP_1) | instskip(SKIP_1) | instid1(VALU_DEP_2)
	v_div_fmas_f64 v[17:18], v[17:18], v[19:20], v[21:22]
	v_add_f64 v[19:20], v[13:14], 0
	v_div_fixup_f64 v[15:16], v[17:18], v[15:16], 1.0
	v_fma_f64 v[17:18], v[13:14], 0, -1.0
	s_delay_alu instid0(VALU_DEP_2) | instskip(NEXT) | instid1(VALU_DEP_2)
	v_mul_f64 v[13:14], v[19:20], v[15:16]
	v_mul_f64 v[15:16], v[17:18], v[15:16]
.LBB162_81:
	s_or_b32 exec_lo, exec_lo, s0
	s_waitcnt vmcnt(0)
	v_cmp_neq_f64_e32 vcc_lo, 0, v[9:10]
	v_cmp_neq_f64_e64 s0, 0, v[11:12]
	v_mov_b32_e32 v21, 0
	v_mov_b32_e32 v22, 0
	s_delay_alu instid0(VALU_DEP_3) | instskip(NEXT) | instid1(SALU_CYCLE_1)
	s_or_b32 s0, vcc_lo, s0
	s_and_saveexec_b32 s9, s0
	s_cbranch_execz .LBB162_113
; %bb.82:
	s_mov_b32 s0, 0
	s_mov_b32 s1, 0x7ff00000
	v_mov_b32_e32 v21, s0
	v_mov_b32_e32 v22, s1
	s_mov_b32 s11, exec_lo
	v_cmpx_neq_f64_e64 0x7ff00000, |v[11:12]|
	s_cbranch_execz .LBB162_112
; %bb.83:
	s_mov_b32 s0, exec_lo
	v_cmpx_o_f64_e32 v[9:10], v[9:10]
	s_xor_b32 s12, exec_lo, s0
	s_cbranch_execz .LBB162_109
; %bb.84:
	s_mov_b32 s1, exec_lo
	v_cmpx_neq_f64_e64 0x7ff00000, |v[9:10]|
	s_xor_b32 s13, exec_lo, s1
	s_cbranch_execz .LBB162_102
; %bb.85:
	v_max_f64 v[17:18], |v[11:12]|, |v[11:12]|
	v_max_f64 v[19:20], |v[9:10]|, |v[9:10]|
	s_mov_b32 s0, 0x99fcef32
	s_mov_b32 s1, 0x7fda8279
                                        ; implicit-def: $sgpr14
	s_delay_alu instid0(VALU_DEP_1) | instskip(NEXT) | instid1(VALU_DEP_1)
	v_max_f64 v[17:18], v[19:20], v[17:18]
	v_cmp_nle_f64_e64 s0, s[0:1], v[17:18]
	s_delay_alu instid0(VALU_DEP_1) | instskip(NEXT) | instid1(SALU_CYCLE_1)
	s_and_saveexec_b32 s1, s0
	s_xor_b32 s1, exec_lo, s1
	s_cbranch_execz .LBB162_89
; %bb.86:
	v_cmp_ge_f64_e64 s14, 0x200000, |v[9:10]|
	v_cmp_ge_f64_e64 s15, 0x200000, |v[11:12]|
	s_delay_alu instid0(VALU_DEP_1)
	s_and_b32 s16, s14, s15
	s_mov_b32 s14, 0
	s_and_saveexec_b32 s15, s16
; %bb.87:
	v_mul_f64 v[9:10], v[9:10], 4.0
	v_mul_f64 v[11:12], v[11:12], 4.0
	s_mov_b32 s14, exec_lo
; %bb.88:
	s_or_b32 exec_lo, exec_lo, s15
	s_delay_alu instid0(SALU_CYCLE_1)
	s_and_b32 s14, s14, exec_lo
.LBB162_89:
	s_and_not1_saveexec_b32 s1, s1
; %bb.90:
	s_delay_alu instid0(VALU_DEP_2) | instskip(NEXT) | instid1(VALU_DEP_2)
	v_ldexp_f64 v[9:10], v[9:10], -2
	v_ldexp_f64 v[11:12], v[11:12], -2
	s_and_not1_b32 s14, s14, exec_lo
; %bb.91:
	s_or_b32 exec_lo, exec_lo, s1
	s_delay_alu instid0(VALU_DEP_1) | instskip(NEXT) | instid1(VALU_DEP_3)
	v_max_f64 v[17:18], |v[11:12]|, |v[11:12]|
	v_max_f64 v[19:20], |v[9:10]|, |v[9:10]|
	v_cmp_class_f64_e64 s15, v[9:10], 0x204
	v_cmp_class_f64_e64 s16, v[11:12], 0x204
	v_cmp_le_f64_e64 s1, 0, v[9:10]
	s_delay_alu instid0(VALU_DEP_4) | instskip(NEXT) | instid1(VALU_DEP_3)
	v_max_f64 v[17:18], v[19:20], v[17:18]
	s_or_b32 s15, s16, s15
	s_delay_alu instid0(VALU_DEP_1) | instskip(NEXT) | instid1(VALU_DEP_1)
	v_frexp_exp_i32_f64_e32 v26, v[17:18]
	v_sub_nc_u32_e32 v19, 0, v26
	s_delay_alu instid0(VALU_DEP_1) | instskip(SKIP_1) | instid1(VALU_DEP_2)
	v_ldexp_f64 v[17:18], |v[11:12]|, v19
	v_ldexp_f64 v[19:20], |v[9:10]|, v19
	v_mul_f64 v[17:18], v[17:18], v[17:18]
	s_delay_alu instid0(VALU_DEP_1) | instskip(NEXT) | instid1(VALU_DEP_1)
	v_fma_f64 v[17:18], v[19:20], v[19:20], v[17:18]
	v_rsq_f64_e32 v[19:20], v[17:18]
	v_cmp_eq_f64_e32 vcc_lo, 0, v[17:18]
	s_waitcnt_depctr 0xfff
	v_mul_f64 v[21:22], v[17:18], v[19:20]
	v_mul_f64 v[19:20], v[19:20], 0.5
	s_delay_alu instid0(VALU_DEP_1) | instskip(NEXT) | instid1(VALU_DEP_1)
	v_fma_f64 v[23:24], -v[19:20], v[21:22], 0.5
	v_fma_f64 v[21:22], v[21:22], v[23:24], v[21:22]
	v_fma_f64 v[19:20], v[19:20], v[23:24], v[19:20]
	s_delay_alu instid0(VALU_DEP_2) | instskip(NEXT) | instid1(VALU_DEP_1)
	v_fma_f64 v[23:24], -v[21:22], v[21:22], v[17:18]
	v_fma_f64 v[19:20], v[23:24], v[19:20], v[21:22]
	s_delay_alu instid0(VALU_DEP_1) | instskip(SKIP_1) | instid1(VALU_DEP_2)
	v_dual_cndmask_b32 v18, v20, v18 :: v_dual_cndmask_b32 v17, v19, v17
	v_cmp_o_f64_e32 vcc_lo, v[11:12], v[11:12]
	v_ldexp_f64 v[17:18], v[17:18], v26
	s_delay_alu instid0(VALU_DEP_1) | instskip(NEXT) | instid1(VALU_DEP_2)
	v_cndmask_b32_e32 v17, 0, v17, vcc_lo
	v_cndmask_b32_e32 v18, 0x7ff80000, v18, vcc_lo
	s_delay_alu instid0(VALU_DEP_2) | instskip(NEXT) | instid1(VALU_DEP_2)
	v_cndmask_b32_e64 v17, v17, 0, s15
	v_cndmask_b32_e64 v18, v18, 0x7ff00000, s15
	s_and_saveexec_b32 s15, s1
	s_delay_alu instid0(SALU_CYCLE_1)
	s_xor_b32 s1, exec_lo, s15
	s_cbranch_execz .LBB162_97
; %bb.92:
	s_delay_alu instid0(VALU_DEP_1) | instskip(NEXT) | instid1(VALU_DEP_1)
	v_add_f64 v[9:10], v[9:10], v[17:18]
	v_mul_f64 v[9:10], v[9:10], 0.5
	s_delay_alu instid0(VALU_DEP_1) | instskip(SKIP_1) | instid1(VALU_DEP_1)
	v_cmp_gt_f64_e32 vcc_lo, 0x10000000, v[9:10]
	v_cndmask_b32_e64 v17, 0, 1, vcc_lo
	v_lshlrev_b32_e32 v17, 8, v17
	s_delay_alu instid0(VALU_DEP_1) | instskip(NEXT) | instid1(VALU_DEP_1)
	v_ldexp_f64 v[9:10], v[9:10], v17
	v_rsq_f64_e32 v[17:18], v[9:10]
	s_waitcnt_depctr 0xfff
	v_mul_f64 v[19:20], v[9:10], v[17:18]
	v_mul_f64 v[17:18], v[17:18], 0.5
	s_delay_alu instid0(VALU_DEP_1) | instskip(NEXT) | instid1(VALU_DEP_1)
	v_fma_f64 v[21:22], -v[17:18], v[19:20], 0.5
	v_fma_f64 v[19:20], v[19:20], v[21:22], v[19:20]
	v_fma_f64 v[17:18], v[17:18], v[21:22], v[17:18]
	s_delay_alu instid0(VALU_DEP_2) | instskip(NEXT) | instid1(VALU_DEP_1)
	v_fma_f64 v[21:22], -v[19:20], v[19:20], v[9:10]
	v_fma_f64 v[19:20], v[21:22], v[17:18], v[19:20]
	s_delay_alu instid0(VALU_DEP_1) | instskip(NEXT) | instid1(VALU_DEP_1)
	v_fma_f64 v[21:22], -v[19:20], v[19:20], v[9:10]
	v_fma_f64 v[17:18], v[21:22], v[17:18], v[19:20]
	v_cndmask_b32_e64 v19, 0, 0xffffff80, vcc_lo
	v_cmp_class_f64_e64 vcc_lo, v[9:10], 0x260
	s_delay_alu instid0(VALU_DEP_2) | instskip(NEXT) | instid1(VALU_DEP_1)
	v_ldexp_f64 v[17:18], v[17:18], v19
	v_dual_cndmask_b32 v10, v18, v10 :: v_dual_cndmask_b32 v9, v17, v9
	s_delay_alu instid0(VALU_DEP_1) | instskip(NEXT) | instid1(VALU_DEP_1)
	v_add_f64 v[17:18], v[9:10], v[9:10]
	v_div_scale_f64 v[19:20], null, v[17:18], v[17:18], v[11:12]
	s_delay_alu instid0(VALU_DEP_1) | instskip(SKIP_2) | instid1(VALU_DEP_1)
	v_rcp_f64_e32 v[21:22], v[19:20]
	s_waitcnt_depctr 0xfff
	v_fma_f64 v[23:24], -v[19:20], v[21:22], 1.0
	v_fma_f64 v[21:22], v[21:22], v[23:24], v[21:22]
	s_delay_alu instid0(VALU_DEP_1) | instskip(NEXT) | instid1(VALU_DEP_1)
	v_fma_f64 v[23:24], -v[19:20], v[21:22], 1.0
	v_fma_f64 v[21:22], v[21:22], v[23:24], v[21:22]
	v_div_scale_f64 v[23:24], vcc_lo, v[11:12], v[17:18], v[11:12]
	s_delay_alu instid0(VALU_DEP_1) | instskip(NEXT) | instid1(VALU_DEP_1)
	v_mul_f64 v[26:27], v[23:24], v[21:22]
	v_fma_f64 v[19:20], -v[19:20], v[26:27], v[23:24]
	s_delay_alu instid0(VALU_DEP_1) | instskip(NEXT) | instid1(VALU_DEP_1)
	v_div_fmas_f64 v[19:20], v[19:20], v[21:22], v[26:27]
	v_div_fixup_f64 v[11:12], v[19:20], v[17:18], v[11:12]
                                        ; implicit-def: $vgpr17_vgpr18
	s_and_not1_saveexec_b32 s1, s1
	s_cbranch_execnz .LBB162_98
.LBB162_93:
	s_or_b32 exec_lo, exec_lo, s1
	s_and_saveexec_b32 s1, s0
	s_delay_alu instid0(SALU_CYCLE_1)
	s_xor_b32 s0, exec_lo, s1
	s_cbranch_execz .LBB162_99
.LBB162_94:
	s_and_saveexec_b32 s1, s14
; %bb.95:
	s_delay_alu instid0(VALU_DEP_2) | instskip(NEXT) | instid1(VALU_DEP_2)
	v_mul_f64 v[9:10], v[9:10], 0.5
	v_mul_f64 v[11:12], v[11:12], 0.5
; %bb.96:
	s_or_b32 exec_lo, exec_lo, s1
	s_and_not1_saveexec_b32 s0, s0
	s_cbranch_execnz .LBB162_100
	s_branch .LBB162_101
.LBB162_97:
	s_and_not1_saveexec_b32 s1, s1
	s_cbranch_execz .LBB162_93
.LBB162_98:
	v_add_f64 v[9:10], v[17:18], -v[9:10]
	s_delay_alu instid0(VALU_DEP_1) | instskip(NEXT) | instid1(VALU_DEP_1)
	v_mul_f64 v[9:10], v[9:10], 0.5
	v_cmp_gt_f64_e32 vcc_lo, 0x10000000, v[9:10]
	v_cndmask_b32_e64 v17, 0, 1, vcc_lo
	s_delay_alu instid0(VALU_DEP_1) | instskip(NEXT) | instid1(VALU_DEP_1)
	v_lshlrev_b32_e32 v17, 8, v17
	v_ldexp_f64 v[9:10], v[9:10], v17
	s_delay_alu instid0(VALU_DEP_1) | instskip(SKIP_3) | instid1(VALU_DEP_1)
	v_rsq_f64_e32 v[17:18], v[9:10]
	s_waitcnt_depctr 0xfff
	v_mul_f64 v[19:20], v[9:10], v[17:18]
	v_mul_f64 v[17:18], v[17:18], 0.5
	v_fma_f64 v[21:22], -v[17:18], v[19:20], 0.5
	s_delay_alu instid0(VALU_DEP_1) | instskip(SKIP_1) | instid1(VALU_DEP_2)
	v_fma_f64 v[19:20], v[19:20], v[21:22], v[19:20]
	v_fma_f64 v[17:18], v[17:18], v[21:22], v[17:18]
	v_fma_f64 v[21:22], -v[19:20], v[19:20], v[9:10]
	s_delay_alu instid0(VALU_DEP_1) | instskip(NEXT) | instid1(VALU_DEP_1)
	v_fma_f64 v[19:20], v[21:22], v[17:18], v[19:20]
	v_fma_f64 v[21:22], -v[19:20], v[19:20], v[9:10]
	s_delay_alu instid0(VALU_DEP_1) | instskip(SKIP_3) | instid1(VALU_DEP_3)
	v_fma_f64 v[17:18], v[21:22], v[17:18], v[19:20]
	v_cndmask_b32_e64 v19, 0, 0xffffff80, vcc_lo
	v_cmp_class_f64_e64 vcc_lo, v[9:10], 0x260
	v_and_b32_e32 v20, 0x7fffffff, v12
	v_ldexp_f64 v[17:18], v[17:18], v19
	s_delay_alu instid0(VALU_DEP_1) | instskip(NEXT) | instid1(VALU_DEP_1)
	v_dual_cndmask_b32 v18, v18, v10 :: v_dual_cndmask_b32 v17, v17, v9
	v_add_f64 v[9:10], v[17:18], v[17:18]
	v_bfi_b32 v18, 0x7fffffff, v18, v12
	v_mov_b32_e32 v19, v11
	s_delay_alu instid0(VALU_DEP_1) | instskip(SKIP_1) | instid1(VALU_DEP_2)
	v_div_scale_f64 v[21:22], null, v[9:10], v[9:10], v[19:20]
	v_div_scale_f64 v[19:20], vcc_lo, v[19:20], v[9:10], v[19:20]
	v_rcp_f64_e32 v[23:24], v[21:22]
	s_waitcnt_depctr 0xfff
	v_fma_f64 v[26:27], -v[21:22], v[23:24], 1.0
	s_delay_alu instid0(VALU_DEP_1) | instskip(NEXT) | instid1(VALU_DEP_1)
	v_fma_f64 v[23:24], v[23:24], v[26:27], v[23:24]
	v_fma_f64 v[26:27], -v[21:22], v[23:24], 1.0
	s_delay_alu instid0(VALU_DEP_1) | instskip(NEXT) | instid1(VALU_DEP_1)
	v_fma_f64 v[23:24], v[23:24], v[26:27], v[23:24]
	v_mul_f64 v[26:27], v[19:20], v[23:24]
	s_delay_alu instid0(VALU_DEP_1) | instskip(NEXT) | instid1(VALU_DEP_1)
	v_fma_f64 v[19:20], -v[21:22], v[26:27], v[19:20]
	v_div_fmas_f64 v[19:20], v[19:20], v[23:24], v[26:27]
	s_delay_alu instid0(VALU_DEP_1) | instskip(SKIP_3) | instid1(SALU_CYCLE_1)
	v_div_fixup_f64 v[9:10], v[19:20], v[9:10], |v[11:12]|
	v_dual_mov_b32 v11, v17 :: v_dual_mov_b32 v12, v18
	s_or_b32 exec_lo, exec_lo, s1
	s_and_saveexec_b32 s1, s0
	s_xor_b32 s0, exec_lo, s1
	s_cbranch_execnz .LBB162_94
.LBB162_99:
	s_and_not1_saveexec_b32 s0, s0
.LBB162_100:
	s_delay_alu instid0(VALU_DEP_2) | instskip(NEXT) | instid1(VALU_DEP_2)
	v_add_f64 v[9:10], v[9:10], v[9:10]
	v_add_f64 v[11:12], v[11:12], v[11:12]
.LBB162_101:
	s_or_b32 exec_lo, exec_lo, s0
.LBB162_102:
	s_and_not1_saveexec_b32 s0, s13
	s_cbranch_execz .LBB162_108
; %bb.103:
	s_delay_alu instid0(VALU_DEP_1) | instskip(SKIP_1) | instid1(VALU_DEP_3)
	v_add_f64 v[17:18], v[11:12], -v[11:12]
	s_mov_b32 s1, exec_lo
	v_cmpx_lt_i64_e32 -1, v[9:10]
	s_xor_b32 s1, exec_lo, s1
; %bb.104:
	s_delay_alu instid0(VALU_DEP_2) | instskip(NEXT) | instid1(VALU_DEP_1)
	v_bfi_b32 v18, 0x7fffffff, v18, v12
	v_dual_mov_b32 v11, v17 :: v_dual_mov_b32 v12, v18
                                        ; implicit-def: $vgpr17_vgpr18
; %bb.105:
	s_and_not1_saveexec_b32 s1, s1
; %bb.106:
	s_delay_alu instid0(VALU_DEP_1) | instskip(SKIP_1) | instid1(VALU_DEP_2)
	v_bfi_b32 v10, 0x7fffffff, v10, v12
	v_and_b32_e32 v18, 0x7fffffff, v18
	v_dual_mov_b32 v12, v10 :: v_dual_mov_b32 v11, v9
	s_delay_alu instid0(VALU_DEP_2)
	v_dual_mov_b32 v9, v17 :: v_dual_mov_b32 v10, v18
; %bb.107:
	s_or_b32 exec_lo, exec_lo, s1
.LBB162_108:
	s_delay_alu instid0(SALU_CYCLE_1)
	s_or_b32 exec_lo, exec_lo, s0
.LBB162_109:
	s_and_not1_saveexec_b32 s0, s12
; %bb.110:
	s_delay_alu instid0(VALU_DEP_1) | instskip(NEXT) | instid1(VALU_DEP_1)
	v_add_f64 v[11:12], v[11:12], -v[11:12]
	v_div_scale_f64 v[17:18], vcc_lo, v[11:12], v[11:12], v[11:12]
	s_delay_alu instid0(VALU_DEP_1) | instskip(SKIP_2) | instid1(VALU_DEP_1)
	v_rcp_f64_e32 v[19:20], v[17:18]
	s_waitcnt_depctr 0xfff
	v_fma_f64 v[21:22], -v[17:18], v[19:20], 1.0
	v_fma_f64 v[19:20], v[19:20], v[21:22], v[19:20]
	s_delay_alu instid0(VALU_DEP_1) | instskip(NEXT) | instid1(VALU_DEP_1)
	v_fma_f64 v[21:22], -v[17:18], v[19:20], 1.0
	v_fma_f64 v[19:20], v[19:20], v[21:22], v[19:20]
	s_delay_alu instid0(VALU_DEP_1) | instskip(NEXT) | instid1(VALU_DEP_1)
	v_mul_f64 v[21:22], v[17:18], v[19:20]
	v_fma_f64 v[17:18], -v[17:18], v[21:22], v[17:18]
	s_delay_alu instid0(VALU_DEP_1) | instskip(NEXT) | instid1(VALU_DEP_1)
	v_div_fmas_f64 v[17:18], v[17:18], v[19:20], v[21:22]
	v_div_fixup_f64 v[11:12], v[17:18], v[11:12], v[11:12]
; %bb.111:
	s_or_b32 exec_lo, exec_lo, s0
	v_dual_mov_b32 v22, v10 :: v_dual_mov_b32 v21, v9
.LBB162_112:
	s_or_b32 exec_lo, exec_lo, s11
.LBB162_113:
	s_delay_alu instid0(SALU_CYCLE_1) | instskip(NEXT) | instid1(VALU_DEP_1)
	s_or_b32 exec_lo, exec_lo, s9
	v_cmp_gt_f64_e32 vcc_lo, 0, v[21:22]
	s_delay_alu instid0(VALU_DEP_3) | instskip(SKIP_2) | instid1(VALU_DEP_2)
	v_cmp_gt_f64_e64 s0, 0, v[11:12]
	v_xor_b32_e32 v9, 0x80000000, v22
	v_xor_b32_e32 v17, 0x80000000, v12
                                        ; implicit-def: $vgpr19_vgpr20
	v_cndmask_b32_e32 v10, v22, v9, vcc_lo
	s_delay_alu instid0(VALU_DEP_2) | instskip(SKIP_3) | instid1(VALU_DEP_1)
	v_cndmask_b32_e64 v24, v12, v17, s0
	v_cndmask_b32_e32 v9, v21, v21, vcc_lo
	v_cndmask_b32_e64 v23, v11, v11, s0
	s_mov_b32 s0, exec_lo
	v_cmpx_ge_f64_e32 v[9:10], v[23:24]
	s_xor_b32 s1, exec_lo, s0
	s_cbranch_execz .LBB162_119
; %bb.114:
	v_cmp_neq_f64_e32 vcc_lo, 0, v[21:22]
	v_cmp_neq_f64_e64 s0, 0, v[11:12]
                                        ; implicit-def: $vgpr19_vgpr20
	s_delay_alu instid0(VALU_DEP_1) | instskip(NEXT) | instid1(SALU_CYCLE_1)
	s_or_b32 s0, vcc_lo, s0
	s_and_saveexec_b32 s9, s0
	s_delay_alu instid0(SALU_CYCLE_1)
	s_xor_b32 s0, exec_lo, s9
	s_cbranch_execz .LBB162_116
; %bb.115:
	v_div_scale_f64 v[9:10], null, v[21:22], v[21:22], v[11:12]
	v_div_scale_f64 v[23:24], vcc_lo, v[11:12], v[21:22], v[11:12]
	s_delay_alu instid0(VALU_DEP_2) | instskip(SKIP_2) | instid1(VALU_DEP_1)
	v_rcp_f64_e32 v[17:18], v[9:10]
	s_waitcnt_depctr 0xfff
	v_fma_f64 v[19:20], -v[9:10], v[17:18], 1.0
	v_fma_f64 v[17:18], v[17:18], v[19:20], v[17:18]
	s_delay_alu instid0(VALU_DEP_1) | instskip(NEXT) | instid1(VALU_DEP_1)
	v_fma_f64 v[19:20], -v[9:10], v[17:18], 1.0
	v_fma_f64 v[17:18], v[17:18], v[19:20], v[17:18]
	s_delay_alu instid0(VALU_DEP_1) | instskip(NEXT) | instid1(VALU_DEP_1)
	v_mul_f64 v[19:20], v[23:24], v[17:18]
	v_fma_f64 v[9:10], -v[9:10], v[19:20], v[23:24]
	s_delay_alu instid0(VALU_DEP_1) | instskip(NEXT) | instid1(VALU_DEP_1)
	v_div_fmas_f64 v[9:10], v[9:10], v[17:18], v[19:20]
	v_div_fixup_f64 v[9:10], v[9:10], v[21:22], v[11:12]
	s_delay_alu instid0(VALU_DEP_1) | instskip(NEXT) | instid1(VALU_DEP_1)
	v_fma_f64 v[11:12], v[11:12], v[9:10], v[21:22]
	v_div_scale_f64 v[17:18], null, v[11:12], v[11:12], 1.0
	v_div_scale_f64 v[23:24], vcc_lo, 1.0, v[11:12], 1.0
	s_delay_alu instid0(VALU_DEP_2) | instskip(SKIP_2) | instid1(VALU_DEP_1)
	v_rcp_f64_e32 v[19:20], v[17:18]
	s_waitcnt_depctr 0xfff
	v_fma_f64 v[21:22], -v[17:18], v[19:20], 1.0
	v_fma_f64 v[19:20], v[19:20], v[21:22], v[19:20]
	s_delay_alu instid0(VALU_DEP_1) | instskip(NEXT) | instid1(VALU_DEP_1)
	v_fma_f64 v[21:22], -v[17:18], v[19:20], 1.0
	v_fma_f64 v[19:20], v[19:20], v[21:22], v[19:20]
	s_delay_alu instid0(VALU_DEP_1) | instskip(NEXT) | instid1(VALU_DEP_1)
	v_mul_f64 v[21:22], v[23:24], v[19:20]
	v_fma_f64 v[17:18], -v[17:18], v[21:22], v[23:24]
                                        ; implicit-def: $vgpr23_vgpr24
	s_delay_alu instid0(VALU_DEP_1) | instskip(SKIP_2) | instid1(VALU_DEP_3)
	v_div_fmas_f64 v[17:18], v[17:18], v[19:20], v[21:22]
	v_fma_f64 v[19:20], v[9:10], 0, 1.0
	v_add_f64 v[9:10], -v[9:10], 0
	v_div_fixup_f64 v[11:12], v[17:18], v[11:12], 1.0
	s_delay_alu instid0(VALU_DEP_1) | instskip(NEXT) | instid1(VALU_DEP_3)
	v_mul_f64 v[17:18], v[19:20], v[11:12]
	v_mul_f64 v[19:20], v[9:10], v[11:12]
                                        ; implicit-def: $vgpr9_vgpr10
.LBB162_116:
	s_and_not1_saveexec_b32 s9, s0
	s_cbranch_execz .LBB162_118
; %bb.117:
	v_div_scale_f64 v[11:12], null, v[9:10], v[9:10], 1.0
	v_div_scale_f64 v[17:18], null, v[23:24], v[23:24], 0
	v_div_scale_f64 v[30:31], vcc_lo, 1.0, v[9:10], 1.0
	s_delay_alu instid0(VALU_DEP_3) | instskip(NEXT) | instid1(VALU_DEP_2)
	v_rcp_f64_e32 v[19:20], v[11:12]
	v_rcp_f64_e32 v[21:22], v[17:18]
	s_waitcnt_depctr 0xfff
	v_fma_f64 v[26:27], -v[11:12], v[19:20], 1.0
	v_fma_f64 v[28:29], -v[17:18], v[21:22], 1.0
	s_delay_alu instid0(VALU_DEP_2) | instskip(NEXT) | instid1(VALU_DEP_2)
	v_fma_f64 v[19:20], v[19:20], v[26:27], v[19:20]
	v_fma_f64 v[21:22], v[21:22], v[28:29], v[21:22]
	s_delay_alu instid0(VALU_DEP_2) | instskip(NEXT) | instid1(VALU_DEP_2)
	v_fma_f64 v[26:27], -v[11:12], v[19:20], 1.0
	v_fma_f64 v[28:29], -v[17:18], v[21:22], 1.0
	s_delay_alu instid0(VALU_DEP_2) | instskip(SKIP_1) | instid1(VALU_DEP_3)
	v_fma_f64 v[19:20], v[19:20], v[26:27], v[19:20]
	v_div_scale_f64 v[26:27], s0, 0, v[23:24], 0
	v_fma_f64 v[21:22], v[21:22], v[28:29], v[21:22]
	s_delay_alu instid0(VALU_DEP_3) | instskip(NEXT) | instid1(VALU_DEP_2)
	v_mul_f64 v[28:29], v[30:31], v[19:20]
	v_mul_f64 v[32:33], v[26:27], v[21:22]
	s_delay_alu instid0(VALU_DEP_2) | instskip(NEXT) | instid1(VALU_DEP_2)
	v_fma_f64 v[11:12], -v[11:12], v[28:29], v[30:31]
	v_fma_f64 v[17:18], -v[17:18], v[32:33], v[26:27]
	s_delay_alu instid0(VALU_DEP_2) | instskip(SKIP_1) | instid1(VALU_DEP_2)
	v_div_fmas_f64 v[11:12], v[11:12], v[19:20], v[28:29]
	s_mov_b32 vcc_lo, s0
	v_div_fmas_f64 v[19:20], v[17:18], v[21:22], v[32:33]
	s_delay_alu instid0(VALU_DEP_2) | instskip(NEXT) | instid1(VALU_DEP_2)
	v_div_fixup_f64 v[17:18], v[11:12], v[9:10], 1.0
	v_div_fixup_f64 v[19:20], v[19:20], v[23:24], 0
.LBB162_118:
	s_or_b32 exec_lo, exec_lo, s9
                                        ; implicit-def: $vgpr11_vgpr12
                                        ; implicit-def: $vgpr21_vgpr22
.LBB162_119:
	s_and_not1_saveexec_b32 s0, s1
	s_cbranch_execz .LBB162_121
; %bb.120:
	v_div_scale_f64 v[9:10], null, v[11:12], v[11:12], v[21:22]
	v_div_scale_f64 v[23:24], vcc_lo, v[21:22], v[11:12], v[21:22]
	s_delay_alu instid0(VALU_DEP_2) | instskip(SKIP_2) | instid1(VALU_DEP_1)
	v_rcp_f64_e32 v[17:18], v[9:10]
	s_waitcnt_depctr 0xfff
	v_fma_f64 v[19:20], -v[9:10], v[17:18], 1.0
	v_fma_f64 v[17:18], v[17:18], v[19:20], v[17:18]
	s_delay_alu instid0(VALU_DEP_1) | instskip(NEXT) | instid1(VALU_DEP_1)
	v_fma_f64 v[19:20], -v[9:10], v[17:18], 1.0
	v_fma_f64 v[17:18], v[17:18], v[19:20], v[17:18]
	s_delay_alu instid0(VALU_DEP_1) | instskip(NEXT) | instid1(VALU_DEP_1)
	v_mul_f64 v[19:20], v[23:24], v[17:18]
	v_fma_f64 v[9:10], -v[9:10], v[19:20], v[23:24]
	s_delay_alu instid0(VALU_DEP_1) | instskip(NEXT) | instid1(VALU_DEP_1)
	v_div_fmas_f64 v[9:10], v[9:10], v[17:18], v[19:20]
	v_div_fixup_f64 v[9:10], v[9:10], v[11:12], v[21:22]
	s_delay_alu instid0(VALU_DEP_1) | instskip(NEXT) | instid1(VALU_DEP_1)
	v_fma_f64 v[11:12], v[21:22], v[9:10], v[11:12]
	v_div_scale_f64 v[17:18], null, v[11:12], v[11:12], 1.0
	v_div_scale_f64 v[23:24], vcc_lo, 1.0, v[11:12], 1.0
	s_delay_alu instid0(VALU_DEP_2) | instskip(SKIP_2) | instid1(VALU_DEP_1)
	v_rcp_f64_e32 v[19:20], v[17:18]
	s_waitcnt_depctr 0xfff
	v_fma_f64 v[21:22], -v[17:18], v[19:20], 1.0
	v_fma_f64 v[19:20], v[19:20], v[21:22], v[19:20]
	s_delay_alu instid0(VALU_DEP_1) | instskip(NEXT) | instid1(VALU_DEP_1)
	v_fma_f64 v[21:22], -v[17:18], v[19:20], 1.0
	v_fma_f64 v[19:20], v[19:20], v[21:22], v[19:20]
	s_delay_alu instid0(VALU_DEP_1) | instskip(NEXT) | instid1(VALU_DEP_1)
	v_mul_f64 v[21:22], v[23:24], v[19:20]
	v_fma_f64 v[17:18], -v[17:18], v[21:22], v[23:24]
	s_delay_alu instid0(VALU_DEP_1) | instskip(SKIP_2) | instid1(VALU_DEP_3)
	v_div_fmas_f64 v[17:18], v[17:18], v[19:20], v[21:22]
	v_add_f64 v[19:20], v[9:10], 0
	v_fma_f64 v[9:10], v[9:10], 0, -1.0
	v_div_fixup_f64 v[11:12], v[17:18], v[11:12], 1.0
	s_delay_alu instid0(VALU_DEP_1) | instskip(NEXT) | instid1(VALU_DEP_3)
	v_mul_f64 v[17:18], v[19:20], v[11:12]
	v_mul_f64 v[19:20], v[9:10], v[11:12]
.LBB162_121:
	s_or_b32 exec_lo, exec_lo, s0
	v_cmp_neq_f64_e32 vcc_lo, 0, v[1:2]
	v_cmp_neq_f64_e64 s0, 0, v[3:4]
	v_mov_b32_e32 v21, 0
	v_mov_b32_e32 v22, 0
	s_delay_alu instid0(VALU_DEP_3) | instskip(NEXT) | instid1(SALU_CYCLE_1)
	s_or_b32 s0, vcc_lo, s0
	s_and_saveexec_b32 s9, s0
	s_cbranch_execz .LBB162_153
; %bb.122:
	s_mov_b32 s0, 0
	s_mov_b32 s1, 0x7ff00000
	v_mov_b32_e32 v21, s0
	v_mov_b32_e32 v22, s1
	s_mov_b32 s11, exec_lo
	v_cmpx_neq_f64_e64 0x7ff00000, |v[3:4]|
	s_cbranch_execz .LBB162_152
; %bb.123:
	s_mov_b32 s0, exec_lo
	v_cmpx_o_f64_e32 v[1:2], v[1:2]
	s_xor_b32 s12, exec_lo, s0
	s_cbranch_execz .LBB162_149
; %bb.124:
	s_mov_b32 s1, exec_lo
	v_cmpx_neq_f64_e64 0x7ff00000, |v[1:2]|
	s_xor_b32 s13, exec_lo, s1
	s_cbranch_execz .LBB162_142
; %bb.125:
	v_max_f64 v[9:10], |v[3:4]|, |v[3:4]|
	v_max_f64 v[11:12], |v[1:2]|, |v[1:2]|
	s_mov_b32 s0, 0x99fcef32
	s_mov_b32 s1, 0x7fda8279
                                        ; implicit-def: $sgpr14
	s_delay_alu instid0(VALU_DEP_1) | instskip(NEXT) | instid1(VALU_DEP_1)
	v_max_f64 v[9:10], v[11:12], v[9:10]
	v_cmp_nle_f64_e64 s0, s[0:1], v[9:10]
	s_delay_alu instid0(VALU_DEP_1) | instskip(NEXT) | instid1(SALU_CYCLE_1)
	s_and_saveexec_b32 s1, s0
	s_xor_b32 s1, exec_lo, s1
	s_cbranch_execz .LBB162_129
; %bb.126:
	v_cmp_ge_f64_e64 s14, 0x200000, |v[1:2]|
	v_cmp_ge_f64_e64 s15, 0x200000, |v[3:4]|
	s_delay_alu instid0(VALU_DEP_1)
	s_and_b32 s16, s14, s15
	s_mov_b32 s14, 0
	s_and_saveexec_b32 s15, s16
; %bb.127:
	v_mul_f64 v[1:2], v[1:2], 4.0
	v_mul_f64 v[3:4], v[3:4], 4.0
	s_mov_b32 s14, exec_lo
; %bb.128:
	s_or_b32 exec_lo, exec_lo, s15
	s_delay_alu instid0(SALU_CYCLE_1)
	s_and_b32 s14, s14, exec_lo
.LBB162_129:
	s_and_not1_saveexec_b32 s1, s1
; %bb.130:
	s_delay_alu instid0(VALU_DEP_2) | instskip(NEXT) | instid1(VALU_DEP_2)
	v_ldexp_f64 v[1:2], v[1:2], -2
	v_ldexp_f64 v[3:4], v[3:4], -2
	s_and_not1_b32 s14, s14, exec_lo
; %bb.131:
	s_or_b32 exec_lo, exec_lo, s1
	s_delay_alu instid0(VALU_DEP_1) | instskip(NEXT) | instid1(VALU_DEP_3)
	v_max_f64 v[9:10], |v[3:4]|, |v[3:4]|
	v_max_f64 v[11:12], |v[1:2]|, |v[1:2]|
	v_cmp_class_f64_e64 s15, v[1:2], 0x204
	v_cmp_class_f64_e64 s16, v[3:4], 0x204
	v_cmp_le_f64_e64 s1, 0, v[1:2]
	s_delay_alu instid0(VALU_DEP_4) | instskip(NEXT) | instid1(VALU_DEP_3)
	v_max_f64 v[9:10], v[11:12], v[9:10]
	s_or_b32 s15, s16, s15
	s_delay_alu instid0(VALU_DEP_1) | instskip(NEXT) | instid1(VALU_DEP_1)
	v_frexp_exp_i32_f64_e32 v26, v[9:10]
	v_sub_nc_u32_e32 v11, 0, v26
	s_delay_alu instid0(VALU_DEP_1) | instskip(SKIP_1) | instid1(VALU_DEP_2)
	v_ldexp_f64 v[9:10], |v[3:4]|, v11
	v_ldexp_f64 v[11:12], |v[1:2]|, v11
	v_mul_f64 v[9:10], v[9:10], v[9:10]
	s_delay_alu instid0(VALU_DEP_1) | instskip(NEXT) | instid1(VALU_DEP_1)
	v_fma_f64 v[9:10], v[11:12], v[11:12], v[9:10]
	v_rsq_f64_e32 v[11:12], v[9:10]
	v_cmp_eq_f64_e32 vcc_lo, 0, v[9:10]
	s_waitcnt_depctr 0xfff
	v_mul_f64 v[21:22], v[9:10], v[11:12]
	v_mul_f64 v[11:12], v[11:12], 0.5
	s_delay_alu instid0(VALU_DEP_1) | instskip(NEXT) | instid1(VALU_DEP_1)
	v_fma_f64 v[23:24], -v[11:12], v[21:22], 0.5
	v_fma_f64 v[21:22], v[21:22], v[23:24], v[21:22]
	v_fma_f64 v[11:12], v[11:12], v[23:24], v[11:12]
	s_delay_alu instid0(VALU_DEP_2) | instskip(NEXT) | instid1(VALU_DEP_1)
	v_fma_f64 v[23:24], -v[21:22], v[21:22], v[9:10]
	v_fma_f64 v[11:12], v[23:24], v[11:12], v[21:22]
	s_delay_alu instid0(VALU_DEP_1) | instskip(SKIP_1) | instid1(VALU_DEP_2)
	v_dual_cndmask_b32 v10, v12, v10 :: v_dual_cndmask_b32 v9, v11, v9
	v_cmp_o_f64_e32 vcc_lo, v[3:4], v[3:4]
	v_ldexp_f64 v[9:10], v[9:10], v26
	s_delay_alu instid0(VALU_DEP_1) | instskip(NEXT) | instid1(VALU_DEP_2)
	v_cndmask_b32_e32 v9, 0, v9, vcc_lo
	v_cndmask_b32_e32 v10, 0x7ff80000, v10, vcc_lo
	s_delay_alu instid0(VALU_DEP_2) | instskip(NEXT) | instid1(VALU_DEP_2)
	v_cndmask_b32_e64 v9, v9, 0, s15
	v_cndmask_b32_e64 v10, v10, 0x7ff00000, s15
	s_and_saveexec_b32 s15, s1
	s_delay_alu instid0(SALU_CYCLE_1)
	s_xor_b32 s1, exec_lo, s15
	s_cbranch_execz .LBB162_137
; %bb.132:
	s_delay_alu instid0(VALU_DEP_1) | instskip(NEXT) | instid1(VALU_DEP_1)
	v_add_f64 v[1:2], v[1:2], v[9:10]
	v_mul_f64 v[1:2], v[1:2], 0.5
	s_delay_alu instid0(VALU_DEP_1) | instskip(SKIP_1) | instid1(VALU_DEP_1)
	v_cmp_gt_f64_e32 vcc_lo, 0x10000000, v[1:2]
	v_cndmask_b32_e64 v9, 0, 1, vcc_lo
	v_lshlrev_b32_e32 v9, 8, v9
	s_delay_alu instid0(VALU_DEP_1) | instskip(NEXT) | instid1(VALU_DEP_1)
	v_ldexp_f64 v[1:2], v[1:2], v9
	v_rsq_f64_e32 v[9:10], v[1:2]
	s_waitcnt_depctr 0xfff
	v_mul_f64 v[11:12], v[1:2], v[9:10]
	v_mul_f64 v[9:10], v[9:10], 0.5
	s_delay_alu instid0(VALU_DEP_1) | instskip(NEXT) | instid1(VALU_DEP_1)
	v_fma_f64 v[21:22], -v[9:10], v[11:12], 0.5
	v_fma_f64 v[11:12], v[11:12], v[21:22], v[11:12]
	v_fma_f64 v[9:10], v[9:10], v[21:22], v[9:10]
	s_delay_alu instid0(VALU_DEP_2) | instskip(NEXT) | instid1(VALU_DEP_1)
	v_fma_f64 v[21:22], -v[11:12], v[11:12], v[1:2]
	v_fma_f64 v[11:12], v[21:22], v[9:10], v[11:12]
	s_delay_alu instid0(VALU_DEP_1) | instskip(NEXT) | instid1(VALU_DEP_1)
	v_fma_f64 v[21:22], -v[11:12], v[11:12], v[1:2]
	v_fma_f64 v[9:10], v[21:22], v[9:10], v[11:12]
	v_cndmask_b32_e64 v11, 0, 0xffffff80, vcc_lo
	v_cmp_class_f64_e64 vcc_lo, v[1:2], 0x260
	s_delay_alu instid0(VALU_DEP_2) | instskip(NEXT) | instid1(VALU_DEP_1)
	v_ldexp_f64 v[9:10], v[9:10], v11
	v_dual_cndmask_b32 v2, v10, v2 :: v_dual_cndmask_b32 v1, v9, v1
	s_delay_alu instid0(VALU_DEP_1) | instskip(NEXT) | instid1(VALU_DEP_1)
	v_add_f64 v[9:10], v[1:2], v[1:2]
	v_div_scale_f64 v[11:12], null, v[9:10], v[9:10], v[3:4]
	s_delay_alu instid0(VALU_DEP_1) | instskip(SKIP_2) | instid1(VALU_DEP_1)
	v_rcp_f64_e32 v[21:22], v[11:12]
	s_waitcnt_depctr 0xfff
	v_fma_f64 v[23:24], -v[11:12], v[21:22], 1.0
	v_fma_f64 v[21:22], v[21:22], v[23:24], v[21:22]
	s_delay_alu instid0(VALU_DEP_1) | instskip(NEXT) | instid1(VALU_DEP_1)
	v_fma_f64 v[23:24], -v[11:12], v[21:22], 1.0
	v_fma_f64 v[21:22], v[21:22], v[23:24], v[21:22]
	v_div_scale_f64 v[23:24], vcc_lo, v[3:4], v[9:10], v[3:4]
	s_delay_alu instid0(VALU_DEP_1) | instskip(NEXT) | instid1(VALU_DEP_1)
	v_mul_f64 v[26:27], v[23:24], v[21:22]
	v_fma_f64 v[11:12], -v[11:12], v[26:27], v[23:24]
	s_delay_alu instid0(VALU_DEP_1) | instskip(NEXT) | instid1(VALU_DEP_1)
	v_div_fmas_f64 v[11:12], v[11:12], v[21:22], v[26:27]
	v_div_fixup_f64 v[3:4], v[11:12], v[9:10], v[3:4]
                                        ; implicit-def: $vgpr9_vgpr10
	s_and_not1_saveexec_b32 s1, s1
	s_cbranch_execnz .LBB162_138
.LBB162_133:
	s_or_b32 exec_lo, exec_lo, s1
	s_and_saveexec_b32 s1, s0
	s_delay_alu instid0(SALU_CYCLE_1)
	s_xor_b32 s0, exec_lo, s1
	s_cbranch_execz .LBB162_139
.LBB162_134:
	s_and_saveexec_b32 s1, s14
; %bb.135:
	s_delay_alu instid0(VALU_DEP_2) | instskip(NEXT) | instid1(VALU_DEP_2)
	v_mul_f64 v[1:2], v[1:2], 0.5
	v_mul_f64 v[3:4], v[3:4], 0.5
; %bb.136:
	s_or_b32 exec_lo, exec_lo, s1
	s_and_not1_saveexec_b32 s0, s0
	s_cbranch_execnz .LBB162_140
	s_branch .LBB162_141
.LBB162_137:
	s_and_not1_saveexec_b32 s1, s1
	s_cbranch_execz .LBB162_133
.LBB162_138:
	v_add_f64 v[1:2], v[9:10], -v[1:2]
	s_delay_alu instid0(VALU_DEP_1) | instskip(NEXT) | instid1(VALU_DEP_1)
	v_mul_f64 v[1:2], v[1:2], 0.5
	v_cmp_gt_f64_e32 vcc_lo, 0x10000000, v[1:2]
	v_cndmask_b32_e64 v9, 0, 1, vcc_lo
	s_delay_alu instid0(VALU_DEP_1) | instskip(NEXT) | instid1(VALU_DEP_1)
	v_lshlrev_b32_e32 v9, 8, v9
	v_ldexp_f64 v[1:2], v[1:2], v9
	s_delay_alu instid0(VALU_DEP_1) | instskip(SKIP_3) | instid1(VALU_DEP_1)
	v_rsq_f64_e32 v[9:10], v[1:2]
	s_waitcnt_depctr 0xfff
	v_mul_f64 v[11:12], v[1:2], v[9:10]
	v_mul_f64 v[9:10], v[9:10], 0.5
	v_fma_f64 v[21:22], -v[9:10], v[11:12], 0.5
	s_delay_alu instid0(VALU_DEP_1) | instskip(SKIP_1) | instid1(VALU_DEP_2)
	v_fma_f64 v[11:12], v[11:12], v[21:22], v[11:12]
	v_fma_f64 v[9:10], v[9:10], v[21:22], v[9:10]
	v_fma_f64 v[21:22], -v[11:12], v[11:12], v[1:2]
	s_delay_alu instid0(VALU_DEP_1) | instskip(NEXT) | instid1(VALU_DEP_1)
	v_fma_f64 v[11:12], v[21:22], v[9:10], v[11:12]
	v_fma_f64 v[21:22], -v[11:12], v[11:12], v[1:2]
	s_delay_alu instid0(VALU_DEP_1) | instskip(SKIP_3) | instid1(VALU_DEP_3)
	v_fma_f64 v[9:10], v[21:22], v[9:10], v[11:12]
	v_cndmask_b32_e64 v11, 0, 0xffffff80, vcc_lo
	v_cmp_class_f64_e64 vcc_lo, v[1:2], 0x260
	v_and_b32_e32 v12, 0x7fffffff, v4
	v_ldexp_f64 v[9:10], v[9:10], v11
	s_delay_alu instid0(VALU_DEP_1) | instskip(NEXT) | instid1(VALU_DEP_1)
	v_dual_cndmask_b32 v10, v10, v2 :: v_dual_cndmask_b32 v9, v9, v1
	v_add_f64 v[1:2], v[9:10], v[9:10]
	v_bfi_b32 v10, 0x7fffffff, v10, v4
	v_mov_b32_e32 v11, v3
	s_delay_alu instid0(VALU_DEP_1) | instskip(SKIP_1) | instid1(VALU_DEP_2)
	v_div_scale_f64 v[21:22], null, v[1:2], v[1:2], v[11:12]
	v_div_scale_f64 v[11:12], vcc_lo, v[11:12], v[1:2], v[11:12]
	v_rcp_f64_e32 v[23:24], v[21:22]
	s_waitcnt_depctr 0xfff
	v_fma_f64 v[26:27], -v[21:22], v[23:24], 1.0
	s_delay_alu instid0(VALU_DEP_1) | instskip(NEXT) | instid1(VALU_DEP_1)
	v_fma_f64 v[23:24], v[23:24], v[26:27], v[23:24]
	v_fma_f64 v[26:27], -v[21:22], v[23:24], 1.0
	s_delay_alu instid0(VALU_DEP_1) | instskip(NEXT) | instid1(VALU_DEP_1)
	v_fma_f64 v[23:24], v[23:24], v[26:27], v[23:24]
	v_mul_f64 v[26:27], v[11:12], v[23:24]
	s_delay_alu instid0(VALU_DEP_1) | instskip(NEXT) | instid1(VALU_DEP_1)
	v_fma_f64 v[11:12], -v[21:22], v[26:27], v[11:12]
	v_div_fmas_f64 v[11:12], v[11:12], v[23:24], v[26:27]
	s_delay_alu instid0(VALU_DEP_1) | instskip(SKIP_3) | instid1(SALU_CYCLE_1)
	v_div_fixup_f64 v[1:2], v[11:12], v[1:2], |v[3:4]|
	v_dual_mov_b32 v3, v9 :: v_dual_mov_b32 v4, v10
	s_or_b32 exec_lo, exec_lo, s1
	s_and_saveexec_b32 s1, s0
	s_xor_b32 s0, exec_lo, s1
	s_cbranch_execnz .LBB162_134
.LBB162_139:
	s_and_not1_saveexec_b32 s0, s0
.LBB162_140:
	s_delay_alu instid0(VALU_DEP_2) | instskip(NEXT) | instid1(VALU_DEP_2)
	v_add_f64 v[1:2], v[1:2], v[1:2]
	v_add_f64 v[3:4], v[3:4], v[3:4]
.LBB162_141:
	s_or_b32 exec_lo, exec_lo, s0
.LBB162_142:
	s_and_not1_saveexec_b32 s0, s13
	s_cbranch_execz .LBB162_148
; %bb.143:
	s_delay_alu instid0(VALU_DEP_1) | instskip(SKIP_1) | instid1(VALU_DEP_3)
	v_add_f64 v[9:10], v[3:4], -v[3:4]
	s_mov_b32 s1, exec_lo
	v_cmpx_lt_i64_e32 -1, v[1:2]
	s_xor_b32 s1, exec_lo, s1
; %bb.144:
	s_delay_alu instid0(VALU_DEP_2) | instskip(NEXT) | instid1(VALU_DEP_1)
	v_bfi_b32 v10, 0x7fffffff, v10, v4
	v_dual_mov_b32 v3, v9 :: v_dual_mov_b32 v4, v10
                                        ; implicit-def: $vgpr9_vgpr10
; %bb.145:
	s_and_not1_saveexec_b32 s1, s1
; %bb.146:
	s_delay_alu instid0(VALU_DEP_1) | instskip(SKIP_1) | instid1(VALU_DEP_2)
	v_bfi_b32 v2, 0x7fffffff, v2, v4
	v_and_b32_e32 v10, 0x7fffffff, v10
	v_dual_mov_b32 v4, v2 :: v_dual_mov_b32 v3, v1
	s_delay_alu instid0(VALU_DEP_2)
	v_dual_mov_b32 v1, v9 :: v_dual_mov_b32 v2, v10
; %bb.147:
	s_or_b32 exec_lo, exec_lo, s1
.LBB162_148:
	s_delay_alu instid0(SALU_CYCLE_1)
	s_or_b32 exec_lo, exec_lo, s0
.LBB162_149:
	s_and_not1_saveexec_b32 s0, s12
; %bb.150:
	s_delay_alu instid0(VALU_DEP_1) | instskip(NEXT) | instid1(VALU_DEP_1)
	v_add_f64 v[3:4], v[3:4], -v[3:4]
	v_div_scale_f64 v[9:10], vcc_lo, v[3:4], v[3:4], v[3:4]
	s_delay_alu instid0(VALU_DEP_1) | instskip(SKIP_2) | instid1(VALU_DEP_1)
	v_rcp_f64_e32 v[11:12], v[9:10]
	s_waitcnt_depctr 0xfff
	v_fma_f64 v[21:22], -v[9:10], v[11:12], 1.0
	v_fma_f64 v[11:12], v[11:12], v[21:22], v[11:12]
	s_delay_alu instid0(VALU_DEP_1) | instskip(NEXT) | instid1(VALU_DEP_1)
	v_fma_f64 v[21:22], -v[9:10], v[11:12], 1.0
	v_fma_f64 v[11:12], v[11:12], v[21:22], v[11:12]
	s_delay_alu instid0(VALU_DEP_1) | instskip(NEXT) | instid1(VALU_DEP_1)
	v_mul_f64 v[21:22], v[9:10], v[11:12]
	v_fma_f64 v[9:10], -v[9:10], v[21:22], v[9:10]
	s_delay_alu instid0(VALU_DEP_1) | instskip(NEXT) | instid1(VALU_DEP_1)
	v_div_fmas_f64 v[9:10], v[9:10], v[11:12], v[21:22]
	v_div_fixup_f64 v[3:4], v[9:10], v[3:4], v[3:4]
; %bb.151:
	s_or_b32 exec_lo, exec_lo, s0
	v_dual_mov_b32 v22, v2 :: v_dual_mov_b32 v21, v1
.LBB162_152:
	s_or_b32 exec_lo, exec_lo, s11
.LBB162_153:
	s_delay_alu instid0(SALU_CYCLE_1) | instskip(NEXT) | instid1(VALU_DEP_1)
	s_or_b32 exec_lo, exec_lo, s9
	v_cmp_gt_f64_e32 vcc_lo, 0, v[21:22]
	s_delay_alu instid0(VALU_DEP_3) | instskip(SKIP_2) | instid1(VALU_DEP_2)
	v_cmp_gt_f64_e64 s0, 0, v[3:4]
	v_xor_b32_e32 v1, 0x80000000, v22
	v_xor_b32_e32 v9, 0x80000000, v4
                                        ; implicit-def: $vgpr11_vgpr12
	v_cndmask_b32_e32 v2, v22, v1, vcc_lo
	s_delay_alu instid0(VALU_DEP_2) | instskip(SKIP_3) | instid1(VALU_DEP_1)
	v_cndmask_b32_e64 v24, v4, v9, s0
	v_cndmask_b32_e32 v1, v21, v21, vcc_lo
	v_cndmask_b32_e64 v23, v3, v3, s0
	s_mov_b32 s0, exec_lo
	v_cmpx_ge_f64_e32 v[1:2], v[23:24]
	s_xor_b32 s1, exec_lo, s0
	s_cbranch_execz .LBB162_159
; %bb.154:
	v_cmp_neq_f64_e32 vcc_lo, 0, v[21:22]
	v_cmp_neq_f64_e64 s0, 0, v[3:4]
                                        ; implicit-def: $vgpr11_vgpr12
	s_delay_alu instid0(VALU_DEP_1) | instskip(NEXT) | instid1(SALU_CYCLE_1)
	s_or_b32 s0, vcc_lo, s0
	s_and_saveexec_b32 s9, s0
	s_delay_alu instid0(SALU_CYCLE_1)
	s_xor_b32 s0, exec_lo, s9
	s_cbranch_execz .LBB162_156
; %bb.155:
	v_div_scale_f64 v[1:2], null, v[21:22], v[21:22], v[3:4]
	v_div_scale_f64 v[23:24], vcc_lo, v[3:4], v[21:22], v[3:4]
	s_delay_alu instid0(VALU_DEP_2) | instskip(SKIP_2) | instid1(VALU_DEP_1)
	v_rcp_f64_e32 v[9:10], v[1:2]
	s_waitcnt_depctr 0xfff
	v_fma_f64 v[11:12], -v[1:2], v[9:10], 1.0
	v_fma_f64 v[9:10], v[9:10], v[11:12], v[9:10]
	s_delay_alu instid0(VALU_DEP_1) | instskip(NEXT) | instid1(VALU_DEP_1)
	v_fma_f64 v[11:12], -v[1:2], v[9:10], 1.0
	v_fma_f64 v[9:10], v[9:10], v[11:12], v[9:10]
	s_delay_alu instid0(VALU_DEP_1) | instskip(NEXT) | instid1(VALU_DEP_1)
	v_mul_f64 v[11:12], v[23:24], v[9:10]
	v_fma_f64 v[1:2], -v[1:2], v[11:12], v[23:24]
	s_delay_alu instid0(VALU_DEP_1) | instskip(NEXT) | instid1(VALU_DEP_1)
	v_div_fmas_f64 v[1:2], v[1:2], v[9:10], v[11:12]
	v_div_fixup_f64 v[1:2], v[1:2], v[21:22], v[3:4]
	s_delay_alu instid0(VALU_DEP_1) | instskip(NEXT) | instid1(VALU_DEP_1)
	v_fma_f64 v[3:4], v[3:4], v[1:2], v[21:22]
	v_div_scale_f64 v[9:10], null, v[3:4], v[3:4], 1.0
	v_div_scale_f64 v[23:24], vcc_lo, 1.0, v[3:4], 1.0
	s_delay_alu instid0(VALU_DEP_2) | instskip(SKIP_2) | instid1(VALU_DEP_1)
	v_rcp_f64_e32 v[11:12], v[9:10]
	s_waitcnt_depctr 0xfff
	v_fma_f64 v[21:22], -v[9:10], v[11:12], 1.0
	v_fma_f64 v[11:12], v[11:12], v[21:22], v[11:12]
	s_delay_alu instid0(VALU_DEP_1) | instskip(NEXT) | instid1(VALU_DEP_1)
	v_fma_f64 v[21:22], -v[9:10], v[11:12], 1.0
	v_fma_f64 v[11:12], v[11:12], v[21:22], v[11:12]
	s_delay_alu instid0(VALU_DEP_1) | instskip(NEXT) | instid1(VALU_DEP_1)
	v_mul_f64 v[21:22], v[23:24], v[11:12]
	v_fma_f64 v[9:10], -v[9:10], v[21:22], v[23:24]
                                        ; implicit-def: $vgpr23_vgpr24
	s_delay_alu instid0(VALU_DEP_1) | instskip(SKIP_2) | instid1(VALU_DEP_3)
	v_div_fmas_f64 v[9:10], v[9:10], v[11:12], v[21:22]
	v_fma_f64 v[11:12], v[1:2], 0, 1.0
	v_add_f64 v[1:2], -v[1:2], 0
	v_div_fixup_f64 v[3:4], v[9:10], v[3:4], 1.0
	s_delay_alu instid0(VALU_DEP_1) | instskip(NEXT) | instid1(VALU_DEP_3)
	v_mul_f64 v[9:10], v[11:12], v[3:4]
	v_mul_f64 v[11:12], v[1:2], v[3:4]
                                        ; implicit-def: $vgpr1_vgpr2
.LBB162_156:
	s_and_not1_saveexec_b32 s9, s0
	s_cbranch_execz .LBB162_158
; %bb.157:
	v_div_scale_f64 v[3:4], null, v[1:2], v[1:2], 1.0
	v_div_scale_f64 v[9:10], null, v[23:24], v[23:24], 0
	v_div_scale_f64 v[30:31], vcc_lo, 1.0, v[1:2], 1.0
	s_delay_alu instid0(VALU_DEP_3) | instskip(NEXT) | instid1(VALU_DEP_2)
	v_rcp_f64_e32 v[11:12], v[3:4]
	v_rcp_f64_e32 v[21:22], v[9:10]
	s_waitcnt_depctr 0xfff
	v_fma_f64 v[26:27], -v[3:4], v[11:12], 1.0
	v_fma_f64 v[28:29], -v[9:10], v[21:22], 1.0
	s_delay_alu instid0(VALU_DEP_2) | instskip(NEXT) | instid1(VALU_DEP_2)
	v_fma_f64 v[11:12], v[11:12], v[26:27], v[11:12]
	v_fma_f64 v[21:22], v[21:22], v[28:29], v[21:22]
	s_delay_alu instid0(VALU_DEP_2) | instskip(NEXT) | instid1(VALU_DEP_2)
	v_fma_f64 v[26:27], -v[3:4], v[11:12], 1.0
	v_fma_f64 v[28:29], -v[9:10], v[21:22], 1.0
	s_delay_alu instid0(VALU_DEP_2) | instskip(SKIP_1) | instid1(VALU_DEP_3)
	v_fma_f64 v[11:12], v[11:12], v[26:27], v[11:12]
	v_div_scale_f64 v[26:27], s0, 0, v[23:24], 0
	v_fma_f64 v[21:22], v[21:22], v[28:29], v[21:22]
	s_delay_alu instid0(VALU_DEP_3) | instskip(NEXT) | instid1(VALU_DEP_2)
	v_mul_f64 v[28:29], v[30:31], v[11:12]
	v_mul_f64 v[32:33], v[26:27], v[21:22]
	s_delay_alu instid0(VALU_DEP_2) | instskip(NEXT) | instid1(VALU_DEP_2)
	v_fma_f64 v[3:4], -v[3:4], v[28:29], v[30:31]
	v_fma_f64 v[9:10], -v[9:10], v[32:33], v[26:27]
	s_delay_alu instid0(VALU_DEP_2) | instskip(SKIP_1) | instid1(VALU_DEP_2)
	v_div_fmas_f64 v[3:4], v[3:4], v[11:12], v[28:29]
	s_mov_b32 vcc_lo, s0
	v_div_fmas_f64 v[11:12], v[9:10], v[21:22], v[32:33]
	s_delay_alu instid0(VALU_DEP_2) | instskip(NEXT) | instid1(VALU_DEP_2)
	v_div_fixup_f64 v[9:10], v[3:4], v[1:2], 1.0
	v_div_fixup_f64 v[11:12], v[11:12], v[23:24], 0
.LBB162_158:
	s_or_b32 exec_lo, exec_lo, s9
                                        ; implicit-def: $vgpr3_vgpr4
                                        ; implicit-def: $vgpr21_vgpr22
.LBB162_159:
	s_and_not1_saveexec_b32 s0, s1
	s_cbranch_execz .LBB162_161
; %bb.160:
	v_div_scale_f64 v[1:2], null, v[3:4], v[3:4], v[21:22]
	v_div_scale_f64 v[23:24], vcc_lo, v[21:22], v[3:4], v[21:22]
	s_delay_alu instid0(VALU_DEP_2) | instskip(SKIP_2) | instid1(VALU_DEP_1)
	v_rcp_f64_e32 v[9:10], v[1:2]
	s_waitcnt_depctr 0xfff
	v_fma_f64 v[11:12], -v[1:2], v[9:10], 1.0
	v_fma_f64 v[9:10], v[9:10], v[11:12], v[9:10]
	s_delay_alu instid0(VALU_DEP_1) | instskip(NEXT) | instid1(VALU_DEP_1)
	v_fma_f64 v[11:12], -v[1:2], v[9:10], 1.0
	v_fma_f64 v[9:10], v[9:10], v[11:12], v[9:10]
	s_delay_alu instid0(VALU_DEP_1) | instskip(NEXT) | instid1(VALU_DEP_1)
	v_mul_f64 v[11:12], v[23:24], v[9:10]
	v_fma_f64 v[1:2], -v[1:2], v[11:12], v[23:24]
	s_delay_alu instid0(VALU_DEP_1) | instskip(NEXT) | instid1(VALU_DEP_1)
	v_div_fmas_f64 v[1:2], v[1:2], v[9:10], v[11:12]
	v_div_fixup_f64 v[1:2], v[1:2], v[3:4], v[21:22]
	s_delay_alu instid0(VALU_DEP_1) | instskip(NEXT) | instid1(VALU_DEP_1)
	v_fma_f64 v[3:4], v[21:22], v[1:2], v[3:4]
	v_div_scale_f64 v[9:10], null, v[3:4], v[3:4], 1.0
	v_div_scale_f64 v[23:24], vcc_lo, 1.0, v[3:4], 1.0
	s_delay_alu instid0(VALU_DEP_2) | instskip(SKIP_2) | instid1(VALU_DEP_1)
	v_rcp_f64_e32 v[11:12], v[9:10]
	s_waitcnt_depctr 0xfff
	v_fma_f64 v[21:22], -v[9:10], v[11:12], 1.0
	v_fma_f64 v[11:12], v[11:12], v[21:22], v[11:12]
	s_delay_alu instid0(VALU_DEP_1) | instskip(NEXT) | instid1(VALU_DEP_1)
	v_fma_f64 v[21:22], -v[9:10], v[11:12], 1.0
	v_fma_f64 v[11:12], v[11:12], v[21:22], v[11:12]
	s_delay_alu instid0(VALU_DEP_1) | instskip(NEXT) | instid1(VALU_DEP_1)
	v_mul_f64 v[21:22], v[23:24], v[11:12]
	v_fma_f64 v[9:10], -v[9:10], v[21:22], v[23:24]
	s_delay_alu instid0(VALU_DEP_1) | instskip(SKIP_2) | instid1(VALU_DEP_3)
	v_div_fmas_f64 v[9:10], v[9:10], v[11:12], v[21:22]
	v_add_f64 v[11:12], v[1:2], 0
	v_fma_f64 v[1:2], v[1:2], 0, -1.0
	v_div_fixup_f64 v[3:4], v[9:10], v[3:4], 1.0
	s_delay_alu instid0(VALU_DEP_1) | instskip(NEXT) | instid1(VALU_DEP_3)
	v_mul_f64 v[9:10], v[11:12], v[3:4]
	v_mul_f64 v[11:12], v[1:2], v[3:4]
.LBB162_161:
	s_or_b32 exec_lo, exec_lo, s0
	s_add_u32 s2, s4, s2
	s_addc_u32 s3, s5, s3
	s_mov_b32 s0, 0
	s_clause 0x3
	global_store_b128 v25, v[5:8], s[2:3]
	global_store_b128 v25, v[13:16], s[2:3] offset:16
	global_store_b128 v25, v[17:20], s[2:3] offset:32
	;; [unrolled: 1-line block ×3, first 2 shown]
.LBB162_162:
	s_and_b32 vcc_lo, exec_lo, s0
	s_cbranch_vccz .LBB162_347
; %bb.163:
	v_mov_b32_e32 v17, 0
	v_dual_mov_b32 v18, 0 :: v_dual_mov_b32 v5, v0
	v_cmp_gt_i32_e64 s0, s10, v0
	v_or_b32_e32 v21, s8, v0
	v_or_b32_e32 v26, 0x100, v0
	s_delay_alu instid0(VALU_DEP_4)
	v_dual_mov_b32 v13, v17 :: v_dual_mov_b32 v14, v18
	v_dual_mov_b32 v15, v17 :: v_dual_mov_b32 v16, v18
	s_and_saveexec_b32 s1, s0
	s_cbranch_execz .LBB162_165
; %bb.164:
	v_mov_b32_e32 v22, 0
	v_or_b32_e32 v5, 0x100, v0
	s_delay_alu instid0(VALU_DEP_2) | instskip(NEXT) | instid1(VALU_DEP_1)
	v_lshlrev_b64 v[1:2], 4, v[21:22]
	v_add_co_u32 v1, vcc_lo, s6, v1
	s_delay_alu instid0(VALU_DEP_2)
	v_add_co_ci_u32_e32 v2, vcc_lo, s7, v2, vcc_lo
	global_load_b128 v[13:16], v[1:2], off
.LBB162_165:
	s_or_b32 exec_lo, exec_lo, s1
	v_dual_mov_b32 v20, v18 :: v_dual_mov_b32 v19, v17
	s_mov_b32 s1, exec_lo
	v_cmpx_gt_i32_e64 s10, v5
	s_cbranch_execz .LBB162_167
; %bb.166:
	v_dual_mov_b32 v2, 0 :: v_dual_add_nc_u32 v1, s8, v5
	v_add_nc_u32_e32 v5, 0x100, v5
	s_delay_alu instid0(VALU_DEP_2) | instskip(NEXT) | instid1(VALU_DEP_1)
	v_lshlrev_b64 v[1:2], 4, v[1:2]
	v_add_co_u32 v1, vcc_lo, s6, v1
	s_delay_alu instid0(VALU_DEP_2)
	v_add_co_ci_u32_e32 v2, vcc_lo, s7, v2, vcc_lo
	global_load_b128 v[17:20], v[1:2], off
.LBB162_167:
	s_or_b32 exec_lo, exec_lo, s1
	v_mov_b32_e32 v1, 0
	v_mov_b32_e32 v2, 0
	s_mov_b32 s1, exec_lo
	s_delay_alu instid0(VALU_DEP_1)
	v_dual_mov_b32 v10, v2 :: v_dual_mov_b32 v9, v1
	v_dual_mov_b32 v12, v2 :: v_dual_mov_b32 v11, v1
	v_cmpx_gt_i32_e64 s10, v5
	s_cbranch_execz .LBB162_169
; %bb.168:
	v_dual_mov_b32 v4, 0 :: v_dual_add_nc_u32 v3, s8, v5
	v_add_nc_u32_e32 v5, 0x100, v5
	s_delay_alu instid0(VALU_DEP_2) | instskip(NEXT) | instid1(VALU_DEP_1)
	v_lshlrev_b64 v[3:4], 4, v[3:4]
	v_add_co_u32 v3, vcc_lo, s6, v3
	s_delay_alu instid0(VALU_DEP_2)
	v_add_co_ci_u32_e32 v4, vcc_lo, s7, v4, vcc_lo
	global_load_b128 v[9:12], v[3:4], off
.LBB162_169:
	s_or_b32 exec_lo, exec_lo, s1
	v_dual_mov_b32 v4, v2 :: v_dual_mov_b32 v3, v1
	s_mov_b32 s1, exec_lo
	v_cmpx_gt_i32_e64 s10, v5
	s_cbranch_execz .LBB162_171
; %bb.170:
	v_dual_mov_b32 v2, 0 :: v_dual_add_nc_u32 v1, s8, v5
	s_delay_alu instid0(VALU_DEP_1) | instskip(NEXT) | instid1(VALU_DEP_1)
	v_lshlrev_b64 v[1:2], 4, v[1:2]
	v_add_co_u32 v1, vcc_lo, s6, v1
	s_delay_alu instid0(VALU_DEP_2)
	v_add_co_ci_u32_e32 v2, vcc_lo, s7, v2, vcc_lo
	global_load_b128 v[1:4], v[1:2], off
.LBB162_171:
	s_or_b32 exec_lo, exec_lo, s1
	v_mov_b32_e32 v5, 0
	v_mov_b32_e32 v6, 0
	s_delay_alu instid0(VALU_DEP_1)
	v_dual_mov_b32 v8, v6 :: v_dual_mov_b32 v7, v5
	s_and_saveexec_b32 s3, s0
	s_cbranch_execz .LBB162_213
; %bb.172:
	s_waitcnt vmcnt(0)
	v_cmp_neq_f64_e32 vcc_lo, 0, v[13:14]
	v_cmp_neq_f64_e64 s1, 0, v[15:16]
	v_mov_b32_e32 v22, 0
	v_mov_b32_e32 v23, 0
	s_delay_alu instid0(VALU_DEP_3) | instskip(NEXT) | instid1(SALU_CYCLE_1)
	s_or_b32 s1, vcc_lo, s1
	s_and_saveexec_b32 s6, s1
	s_cbranch_execz .LBB162_204
; %bb.173:
	s_mov_b32 s12, 0
	s_mov_b32 s13, 0x7ff00000
	v_mov_b32_e32 v22, s12
	v_mov_b32_e32 v23, s13
	s_mov_b32 s7, exec_lo
	v_cmpx_neq_f64_e64 0x7ff00000, |v[15:16]|
	s_cbranch_execz .LBB162_203
; %bb.174:
	s_mov_b32 s1, exec_lo
	v_cmpx_o_f64_e32 v[13:14], v[13:14]
	s_xor_b32 s9, exec_lo, s1
	s_cbranch_execz .LBB162_200
; %bb.175:
	s_mov_b32 s2, exec_lo
	v_cmpx_neq_f64_e64 0x7ff00000, |v[13:14]|
	s_xor_b32 s11, exec_lo, s2
	s_cbranch_execz .LBB162_193
; %bb.176:
	v_max_f64 v[5:6], |v[15:16]|, |v[15:16]|
	v_max_f64 v[7:8], |v[13:14]|, |v[13:14]|
	s_mov_b32 s12, 0x99fcef32
	s_mov_b32 s13, 0x7fda8279
	s_delay_alu instid0(VALU_DEP_1) | instskip(NEXT) | instid1(VALU_DEP_1)
	v_max_f64 v[5:6], v[7:8], v[5:6]
	v_cmp_nle_f64_e64 s1, s[12:13], v[5:6]
                                        ; implicit-def: $sgpr12
	s_delay_alu instid0(VALU_DEP_1) | instskip(NEXT) | instid1(SALU_CYCLE_1)
	s_and_saveexec_b32 s2, s1
	s_xor_b32 s2, exec_lo, s2
	s_cbranch_execz .LBB162_180
; %bb.177:
	v_cmp_ge_f64_e64 s12, 0x200000, |v[13:14]|
	v_cmp_ge_f64_e64 s13, 0x200000, |v[15:16]|
	s_delay_alu instid0(VALU_DEP_1)
	s_and_b32 s14, s12, s13
	s_mov_b32 s12, 0
	s_and_saveexec_b32 s13, s14
; %bb.178:
	v_mul_f64 v[13:14], v[13:14], 4.0
	v_mul_f64 v[15:16], v[15:16], 4.0
	s_mov_b32 s12, exec_lo
; %bb.179:
	s_or_b32 exec_lo, exec_lo, s13
	s_delay_alu instid0(SALU_CYCLE_1)
	s_and_b32 s12, s12, exec_lo
.LBB162_180:
	s_and_not1_saveexec_b32 s2, s2
; %bb.181:
	s_delay_alu instid0(VALU_DEP_2) | instskip(NEXT) | instid1(VALU_DEP_2)
	v_ldexp_f64 v[13:14], v[13:14], -2
	v_ldexp_f64 v[15:16], v[15:16], -2
	s_and_not1_b32 s12, s12, exec_lo
; %bb.182:
	s_or_b32 exec_lo, exec_lo, s2
	s_delay_alu instid0(VALU_DEP_1) | instskip(NEXT) | instid1(VALU_DEP_3)
	v_max_f64 v[5:6], |v[15:16]|, |v[15:16]|
	v_max_f64 v[7:8], |v[13:14]|, |v[13:14]|
	v_cmp_class_f64_e64 s13, v[13:14], 0x204
	v_cmp_class_f64_e64 s14, v[15:16], 0x204
	v_cmp_le_f64_e64 s2, 0, v[13:14]
	s_delay_alu instid0(VALU_DEP_4) | instskip(NEXT) | instid1(VALU_DEP_3)
	v_max_f64 v[5:6], v[7:8], v[5:6]
	s_or_b32 s13, s14, s13
	s_delay_alu instid0(VALU_DEP_1) | instskip(NEXT) | instid1(VALU_DEP_1)
	v_frexp_exp_i32_f64_e32 v27, v[5:6]
	v_sub_nc_u32_e32 v7, 0, v27
	s_delay_alu instid0(VALU_DEP_1) | instskip(SKIP_1) | instid1(VALU_DEP_2)
	v_ldexp_f64 v[5:6], |v[15:16]|, v7
	v_ldexp_f64 v[7:8], |v[13:14]|, v7
	v_mul_f64 v[5:6], v[5:6], v[5:6]
	s_delay_alu instid0(VALU_DEP_1) | instskip(NEXT) | instid1(VALU_DEP_1)
	v_fma_f64 v[5:6], v[7:8], v[7:8], v[5:6]
	v_rsq_f64_e32 v[7:8], v[5:6]
	v_cmp_eq_f64_e32 vcc_lo, 0, v[5:6]
	s_waitcnt_depctr 0xfff
	v_mul_f64 v[22:23], v[5:6], v[7:8]
	v_mul_f64 v[7:8], v[7:8], 0.5
	s_delay_alu instid0(VALU_DEP_1) | instskip(NEXT) | instid1(VALU_DEP_1)
	v_fma_f64 v[24:25], -v[7:8], v[22:23], 0.5
	v_fma_f64 v[22:23], v[22:23], v[24:25], v[22:23]
	v_fma_f64 v[7:8], v[7:8], v[24:25], v[7:8]
	s_delay_alu instid0(VALU_DEP_2) | instskip(NEXT) | instid1(VALU_DEP_1)
	v_fma_f64 v[24:25], -v[22:23], v[22:23], v[5:6]
	v_fma_f64 v[7:8], v[24:25], v[7:8], v[22:23]
	s_delay_alu instid0(VALU_DEP_1) | instskip(SKIP_1) | instid1(VALU_DEP_2)
	v_dual_cndmask_b32 v6, v8, v6 :: v_dual_cndmask_b32 v5, v7, v5
	v_cmp_o_f64_e32 vcc_lo, v[15:16], v[15:16]
	v_ldexp_f64 v[5:6], v[5:6], v27
	s_delay_alu instid0(VALU_DEP_1) | instskip(NEXT) | instid1(VALU_DEP_2)
	v_cndmask_b32_e32 v5, 0, v5, vcc_lo
	v_cndmask_b32_e32 v6, 0x7ff80000, v6, vcc_lo
	s_delay_alu instid0(VALU_DEP_2) | instskip(NEXT) | instid1(VALU_DEP_2)
	v_cndmask_b32_e64 v5, v5, 0, s13
	v_cndmask_b32_e64 v6, v6, 0x7ff00000, s13
	s_and_saveexec_b32 s13, s2
	s_delay_alu instid0(SALU_CYCLE_1)
	s_xor_b32 s2, exec_lo, s13
	s_cbranch_execz .LBB162_188
; %bb.183:
	s_delay_alu instid0(VALU_DEP_1) | instskip(NEXT) | instid1(VALU_DEP_1)
	v_add_f64 v[5:6], v[13:14], v[5:6]
	v_mul_f64 v[5:6], v[5:6], 0.5
	s_delay_alu instid0(VALU_DEP_1) | instskip(SKIP_1) | instid1(VALU_DEP_1)
	v_cmp_gt_f64_e32 vcc_lo, 0x10000000, v[5:6]
	v_cndmask_b32_e64 v7, 0, 1, vcc_lo
	v_lshlrev_b32_e32 v7, 8, v7
	s_delay_alu instid0(VALU_DEP_1) | instskip(NEXT) | instid1(VALU_DEP_1)
	v_ldexp_f64 v[5:6], v[5:6], v7
	v_rsq_f64_e32 v[7:8], v[5:6]
	s_waitcnt_depctr 0xfff
	v_mul_f64 v[13:14], v[5:6], v[7:8]
	v_mul_f64 v[7:8], v[7:8], 0.5
	s_delay_alu instid0(VALU_DEP_1) | instskip(NEXT) | instid1(VALU_DEP_1)
	v_fma_f64 v[22:23], -v[7:8], v[13:14], 0.5
	v_fma_f64 v[13:14], v[13:14], v[22:23], v[13:14]
	v_fma_f64 v[7:8], v[7:8], v[22:23], v[7:8]
	s_delay_alu instid0(VALU_DEP_2) | instskip(NEXT) | instid1(VALU_DEP_1)
	v_fma_f64 v[22:23], -v[13:14], v[13:14], v[5:6]
	v_fma_f64 v[13:14], v[22:23], v[7:8], v[13:14]
	s_delay_alu instid0(VALU_DEP_1) | instskip(NEXT) | instid1(VALU_DEP_1)
	v_fma_f64 v[22:23], -v[13:14], v[13:14], v[5:6]
	v_fma_f64 v[7:8], v[22:23], v[7:8], v[13:14]
	v_cndmask_b32_e64 v13, 0, 0xffffff80, vcc_lo
	v_cmp_class_f64_e64 vcc_lo, v[5:6], 0x260
	s_delay_alu instid0(VALU_DEP_2) | instskip(NEXT) | instid1(VALU_DEP_1)
	v_ldexp_f64 v[7:8], v[7:8], v13
	v_dual_cndmask_b32 v14, v8, v6 :: v_dual_cndmask_b32 v13, v7, v5
	s_delay_alu instid0(VALU_DEP_1) | instskip(NEXT) | instid1(VALU_DEP_1)
	v_add_f64 v[5:6], v[13:14], v[13:14]
	v_div_scale_f64 v[7:8], null, v[5:6], v[5:6], v[15:16]
	s_delay_alu instid0(VALU_DEP_1) | instskip(SKIP_2) | instid1(VALU_DEP_1)
	v_rcp_f64_e32 v[22:23], v[7:8]
	s_waitcnt_depctr 0xfff
	v_fma_f64 v[24:25], -v[7:8], v[22:23], 1.0
	v_fma_f64 v[22:23], v[22:23], v[24:25], v[22:23]
	s_delay_alu instid0(VALU_DEP_1) | instskip(NEXT) | instid1(VALU_DEP_1)
	v_fma_f64 v[24:25], -v[7:8], v[22:23], 1.0
	v_fma_f64 v[22:23], v[22:23], v[24:25], v[22:23]
	v_div_scale_f64 v[24:25], vcc_lo, v[15:16], v[5:6], v[15:16]
	s_delay_alu instid0(VALU_DEP_1) | instskip(NEXT) | instid1(VALU_DEP_1)
	v_mul_f64 v[27:28], v[24:25], v[22:23]
	v_fma_f64 v[7:8], -v[7:8], v[27:28], v[24:25]
	s_delay_alu instid0(VALU_DEP_1) | instskip(NEXT) | instid1(VALU_DEP_1)
	v_div_fmas_f64 v[7:8], v[7:8], v[22:23], v[27:28]
	v_div_fixup_f64 v[15:16], v[7:8], v[5:6], v[15:16]
                                        ; implicit-def: $vgpr5_vgpr6
	s_and_not1_saveexec_b32 s2, s2
	s_cbranch_execnz .LBB162_189
.LBB162_184:
	s_or_b32 exec_lo, exec_lo, s2
	s_and_saveexec_b32 s2, s1
	s_delay_alu instid0(SALU_CYCLE_1)
	s_xor_b32 s1, exec_lo, s2
	s_cbranch_execz .LBB162_190
.LBB162_185:
	s_and_saveexec_b32 s2, s12
; %bb.186:
	s_delay_alu instid0(VALU_DEP_2) | instskip(NEXT) | instid1(VALU_DEP_2)
	v_mul_f64 v[13:14], v[13:14], 0.5
	v_mul_f64 v[15:16], v[15:16], 0.5
; %bb.187:
	s_or_b32 exec_lo, exec_lo, s2
	s_and_not1_saveexec_b32 s1, s1
	s_cbranch_execnz .LBB162_191
	s_branch .LBB162_192
.LBB162_188:
	s_and_not1_saveexec_b32 s2, s2
	s_cbranch_execz .LBB162_184
.LBB162_189:
	v_add_f64 v[5:6], v[5:6], -v[13:14]
	s_delay_alu instid0(VALU_DEP_1) | instskip(NEXT) | instid1(VALU_DEP_1)
	v_mul_f64 v[5:6], v[5:6], 0.5
	v_cmp_gt_f64_e32 vcc_lo, 0x10000000, v[5:6]
	v_cndmask_b32_e64 v7, 0, 1, vcc_lo
	s_delay_alu instid0(VALU_DEP_1) | instskip(NEXT) | instid1(VALU_DEP_1)
	v_lshlrev_b32_e32 v7, 8, v7
	v_ldexp_f64 v[5:6], v[5:6], v7
	s_delay_alu instid0(VALU_DEP_1) | instskip(SKIP_3) | instid1(VALU_DEP_1)
	v_rsq_f64_e32 v[7:8], v[5:6]
	s_waitcnt_depctr 0xfff
	v_mul_f64 v[13:14], v[5:6], v[7:8]
	v_mul_f64 v[7:8], v[7:8], 0.5
	v_fma_f64 v[22:23], -v[7:8], v[13:14], 0.5
	s_delay_alu instid0(VALU_DEP_1) | instskip(SKIP_1) | instid1(VALU_DEP_2)
	v_fma_f64 v[13:14], v[13:14], v[22:23], v[13:14]
	v_fma_f64 v[7:8], v[7:8], v[22:23], v[7:8]
	v_fma_f64 v[22:23], -v[13:14], v[13:14], v[5:6]
	s_delay_alu instid0(VALU_DEP_1) | instskip(NEXT) | instid1(VALU_DEP_1)
	v_fma_f64 v[13:14], v[22:23], v[7:8], v[13:14]
	v_fma_f64 v[22:23], -v[13:14], v[13:14], v[5:6]
	s_delay_alu instid0(VALU_DEP_1) | instskip(SKIP_3) | instid1(VALU_DEP_3)
	v_fma_f64 v[7:8], v[22:23], v[7:8], v[13:14]
	v_cndmask_b32_e64 v13, 0, 0xffffff80, vcc_lo
	v_cmp_class_f64_e64 vcc_lo, v[5:6], 0x260
	v_and_b32_e32 v14, 0x7fffffff, v16
	v_ldexp_f64 v[7:8], v[7:8], v13
	s_delay_alu instid0(VALU_DEP_1) | instskip(NEXT) | instid1(VALU_DEP_1)
	v_dual_cndmask_b32 v6, v8, v6 :: v_dual_cndmask_b32 v5, v7, v5
	v_add_f64 v[7:8], v[5:6], v[5:6]
	v_bfi_b32 v6, 0x7fffffff, v6, v16
	v_mov_b32_e32 v13, v15
	s_delay_alu instid0(VALU_DEP_1) | instskip(SKIP_1) | instid1(VALU_DEP_2)
	v_div_scale_f64 v[22:23], null, v[7:8], v[7:8], v[13:14]
	v_div_scale_f64 v[13:14], vcc_lo, v[13:14], v[7:8], v[13:14]
	v_rcp_f64_e32 v[24:25], v[22:23]
	s_waitcnt_depctr 0xfff
	v_fma_f64 v[27:28], -v[22:23], v[24:25], 1.0
	s_delay_alu instid0(VALU_DEP_1) | instskip(NEXT) | instid1(VALU_DEP_1)
	v_fma_f64 v[24:25], v[24:25], v[27:28], v[24:25]
	v_fma_f64 v[27:28], -v[22:23], v[24:25], 1.0
	s_delay_alu instid0(VALU_DEP_1) | instskip(NEXT) | instid1(VALU_DEP_1)
	v_fma_f64 v[24:25], v[24:25], v[27:28], v[24:25]
	v_mul_f64 v[27:28], v[13:14], v[24:25]
	s_delay_alu instid0(VALU_DEP_1) | instskip(NEXT) | instid1(VALU_DEP_1)
	v_fma_f64 v[13:14], -v[22:23], v[27:28], v[13:14]
	v_div_fmas_f64 v[13:14], v[13:14], v[24:25], v[27:28]
	s_delay_alu instid0(VALU_DEP_1) | instskip(SKIP_3) | instid1(SALU_CYCLE_1)
	v_div_fixup_f64 v[13:14], v[13:14], v[7:8], |v[15:16]|
	v_dual_mov_b32 v16, v6 :: v_dual_mov_b32 v15, v5
	s_or_b32 exec_lo, exec_lo, s2
	s_and_saveexec_b32 s2, s1
	s_xor_b32 s1, exec_lo, s2
	s_cbranch_execnz .LBB162_185
.LBB162_190:
	s_and_not1_saveexec_b32 s1, s1
.LBB162_191:
	s_delay_alu instid0(VALU_DEP_2) | instskip(NEXT) | instid1(VALU_DEP_2)
	v_add_f64 v[13:14], v[13:14], v[13:14]
	v_add_f64 v[15:16], v[15:16], v[15:16]
.LBB162_192:
	s_or_b32 exec_lo, exec_lo, s1
.LBB162_193:
	s_and_not1_saveexec_b32 s1, s11
	s_cbranch_execz .LBB162_199
; %bb.194:
	s_delay_alu instid0(VALU_DEP_1) | instskip(SKIP_1) | instid1(VALU_DEP_3)
	v_add_f64 v[5:6], v[15:16], -v[15:16]
	s_mov_b32 s2, exec_lo
	v_cmpx_lt_i64_e32 -1, v[13:14]
	s_xor_b32 s2, exec_lo, s2
; %bb.195:
	s_delay_alu instid0(VALU_DEP_2) | instskip(NEXT) | instid1(VALU_DEP_1)
	v_bfi_b32 v6, 0x7fffffff, v6, v16
	v_dual_mov_b32 v16, v6 :: v_dual_mov_b32 v15, v5
                                        ; implicit-def: $vgpr5_vgpr6
; %bb.196:
	s_and_not1_saveexec_b32 s2, s2
; %bb.197:
	s_delay_alu instid0(VALU_DEP_1) | instskip(SKIP_1) | instid1(VALU_DEP_2)
	v_bfi_b32 v14, 0x7fffffff, v14, v16
	v_and_b32_e32 v6, 0x7fffffff, v6
	v_dual_mov_b32 v16, v14 :: v_dual_mov_b32 v15, v13
	s_delay_alu instid0(VALU_DEP_2)
	v_dual_mov_b32 v14, v6 :: v_dual_mov_b32 v13, v5
; %bb.198:
	s_or_b32 exec_lo, exec_lo, s2
.LBB162_199:
	s_delay_alu instid0(SALU_CYCLE_1)
	s_or_b32 exec_lo, exec_lo, s1
.LBB162_200:
	s_and_not1_saveexec_b32 s1, s9
; %bb.201:
	s_delay_alu instid0(VALU_DEP_1) | instskip(NEXT) | instid1(VALU_DEP_1)
	v_add_f64 v[5:6], v[15:16], -v[15:16]
	v_div_scale_f64 v[7:8], vcc_lo, v[5:6], v[5:6], v[5:6]
	s_delay_alu instid0(VALU_DEP_1) | instskip(SKIP_2) | instid1(VALU_DEP_1)
	v_rcp_f64_e32 v[15:16], v[7:8]
	s_waitcnt_depctr 0xfff
	v_fma_f64 v[22:23], -v[7:8], v[15:16], 1.0
	v_fma_f64 v[15:16], v[15:16], v[22:23], v[15:16]
	s_delay_alu instid0(VALU_DEP_1) | instskip(NEXT) | instid1(VALU_DEP_1)
	v_fma_f64 v[22:23], -v[7:8], v[15:16], 1.0
	v_fma_f64 v[15:16], v[15:16], v[22:23], v[15:16]
	s_delay_alu instid0(VALU_DEP_1) | instskip(NEXT) | instid1(VALU_DEP_1)
	v_mul_f64 v[22:23], v[7:8], v[15:16]
	v_fma_f64 v[7:8], -v[7:8], v[22:23], v[7:8]
	s_delay_alu instid0(VALU_DEP_1) | instskip(NEXT) | instid1(VALU_DEP_1)
	v_div_fmas_f64 v[7:8], v[7:8], v[15:16], v[22:23]
	v_div_fixup_f64 v[15:16], v[7:8], v[5:6], v[5:6]
; %bb.202:
	s_or_b32 exec_lo, exec_lo, s1
	v_dual_mov_b32 v23, v14 :: v_dual_mov_b32 v22, v13
.LBB162_203:
	s_or_b32 exec_lo, exec_lo, s7
.LBB162_204:
	s_delay_alu instid0(SALU_CYCLE_1) | instskip(NEXT) | instid1(VALU_DEP_1)
	s_or_b32 exec_lo, exec_lo, s6
	v_cmp_gt_f64_e32 vcc_lo, 0, v[22:23]
	s_delay_alu instid0(VALU_DEP_3) | instskip(SKIP_2) | instid1(VALU_DEP_2)
	v_cmp_gt_f64_e64 s1, 0, v[15:16]
	v_xor_b32_e32 v5, 0x80000000, v23
	v_xor_b32_e32 v6, 0x80000000, v16
	v_dual_cndmask_b32 v14, v23, v5 :: v_dual_cndmask_b32 v13, v22, v22
	s_delay_alu instid0(VALU_DEP_2) | instskip(SKIP_2) | instid1(VALU_DEP_1)
	v_cndmask_b32_e64 v25, v16, v6, s1
	v_cndmask_b32_e64 v24, v15, v15, s1
                                        ; implicit-def: $vgpr5_vgpr6
	s_mov_b32 s1, exec_lo
	v_cmpx_ge_f64_e32 v[13:14], v[24:25]
	s_xor_b32 s2, exec_lo, s1
	s_cbranch_execz .LBB162_210
; %bb.205:
	v_cmp_neq_f64_e32 vcc_lo, 0, v[22:23]
	v_cmp_neq_f64_e64 s1, 0, v[15:16]
                                        ; implicit-def: $vgpr5_vgpr6
	s_delay_alu instid0(VALU_DEP_1) | instskip(NEXT) | instid1(SALU_CYCLE_1)
	s_or_b32 s1, vcc_lo, s1
	s_and_saveexec_b32 s6, s1
	s_delay_alu instid0(SALU_CYCLE_1)
	s_xor_b32 s1, exec_lo, s6
	s_cbranch_execz .LBB162_207
; %bb.206:
	v_div_scale_f64 v[5:6], null, v[22:23], v[22:23], v[15:16]
	v_div_scale_f64 v[24:25], vcc_lo, v[15:16], v[22:23], v[15:16]
	s_delay_alu instid0(VALU_DEP_2) | instskip(SKIP_2) | instid1(VALU_DEP_1)
	v_rcp_f64_e32 v[7:8], v[5:6]
	s_waitcnt_depctr 0xfff
	v_fma_f64 v[13:14], -v[5:6], v[7:8], 1.0
	v_fma_f64 v[7:8], v[7:8], v[13:14], v[7:8]
	s_delay_alu instid0(VALU_DEP_1) | instskip(NEXT) | instid1(VALU_DEP_1)
	v_fma_f64 v[13:14], -v[5:6], v[7:8], 1.0
	v_fma_f64 v[7:8], v[7:8], v[13:14], v[7:8]
	s_delay_alu instid0(VALU_DEP_1) | instskip(NEXT) | instid1(VALU_DEP_1)
	v_mul_f64 v[13:14], v[24:25], v[7:8]
	v_fma_f64 v[5:6], -v[5:6], v[13:14], v[24:25]
	s_delay_alu instid0(VALU_DEP_1) | instskip(NEXT) | instid1(VALU_DEP_1)
	v_div_fmas_f64 v[5:6], v[5:6], v[7:8], v[13:14]
	v_div_fixup_f64 v[5:6], v[5:6], v[22:23], v[15:16]
	s_delay_alu instid0(VALU_DEP_1) | instskip(NEXT) | instid1(VALU_DEP_1)
	v_fma_f64 v[7:8], v[15:16], v[5:6], v[22:23]
	v_div_scale_f64 v[13:14], null, v[7:8], v[7:8], 1.0
	v_div_scale_f64 v[24:25], vcc_lo, 1.0, v[7:8], 1.0
	s_delay_alu instid0(VALU_DEP_2) | instskip(SKIP_2) | instid1(VALU_DEP_1)
	v_rcp_f64_e32 v[15:16], v[13:14]
	s_waitcnt_depctr 0xfff
	v_fma_f64 v[22:23], -v[13:14], v[15:16], 1.0
	v_fma_f64 v[15:16], v[15:16], v[22:23], v[15:16]
	s_delay_alu instid0(VALU_DEP_1) | instskip(NEXT) | instid1(VALU_DEP_1)
	v_fma_f64 v[22:23], -v[13:14], v[15:16], 1.0
	v_fma_f64 v[15:16], v[15:16], v[22:23], v[15:16]
	s_delay_alu instid0(VALU_DEP_1) | instskip(NEXT) | instid1(VALU_DEP_1)
	v_mul_f64 v[22:23], v[24:25], v[15:16]
	v_fma_f64 v[13:14], -v[13:14], v[22:23], v[24:25]
                                        ; implicit-def: $vgpr24_vgpr25
	s_delay_alu instid0(VALU_DEP_1) | instskip(SKIP_1) | instid1(VALU_DEP_2)
	v_div_fmas_f64 v[13:14], v[13:14], v[15:16], v[22:23]
	v_fma_f64 v[15:16], v[5:6], 0, 1.0
	v_div_fixup_f64 v[7:8], v[13:14], v[7:8], 1.0
	v_add_f64 v[13:14], -v[5:6], 0
	s_delay_alu instid0(VALU_DEP_2) | instskip(NEXT) | instid1(VALU_DEP_2)
	v_mul_f64 v[5:6], v[15:16], v[7:8]
	v_mul_f64 v[7:8], v[13:14], v[7:8]
                                        ; implicit-def: $vgpr13_vgpr14
.LBB162_207:
	s_and_not1_saveexec_b32 s6, s1
	s_cbranch_execz .LBB162_209
; %bb.208:
	v_div_scale_f64 v[5:6], null, v[13:14], v[13:14], 1.0
	v_div_scale_f64 v[7:8], null, v[24:25], v[24:25], 0
	v_div_scale_f64 v[31:32], vcc_lo, 1.0, v[13:14], 1.0
	s_delay_alu instid0(VALU_DEP_3) | instskip(NEXT) | instid1(VALU_DEP_2)
	v_rcp_f64_e32 v[15:16], v[5:6]
	v_rcp_f64_e32 v[22:23], v[7:8]
	s_waitcnt_depctr 0xfff
	v_fma_f64 v[27:28], -v[5:6], v[15:16], 1.0
	v_fma_f64 v[29:30], -v[7:8], v[22:23], 1.0
	s_delay_alu instid0(VALU_DEP_2) | instskip(NEXT) | instid1(VALU_DEP_2)
	v_fma_f64 v[15:16], v[15:16], v[27:28], v[15:16]
	v_fma_f64 v[22:23], v[22:23], v[29:30], v[22:23]
	s_delay_alu instid0(VALU_DEP_2) | instskip(NEXT) | instid1(VALU_DEP_2)
	v_fma_f64 v[27:28], -v[5:6], v[15:16], 1.0
	v_fma_f64 v[29:30], -v[7:8], v[22:23], 1.0
	s_delay_alu instid0(VALU_DEP_2) | instskip(SKIP_1) | instid1(VALU_DEP_3)
	v_fma_f64 v[15:16], v[15:16], v[27:28], v[15:16]
	v_div_scale_f64 v[27:28], s1, 0, v[24:25], 0
	v_fma_f64 v[22:23], v[22:23], v[29:30], v[22:23]
	s_delay_alu instid0(VALU_DEP_3) | instskip(NEXT) | instid1(VALU_DEP_2)
	v_mul_f64 v[29:30], v[31:32], v[15:16]
	v_mul_f64 v[33:34], v[27:28], v[22:23]
	s_delay_alu instid0(VALU_DEP_2) | instskip(NEXT) | instid1(VALU_DEP_2)
	v_fma_f64 v[5:6], -v[5:6], v[29:30], v[31:32]
	v_fma_f64 v[7:8], -v[7:8], v[33:34], v[27:28]
	s_delay_alu instid0(VALU_DEP_2) | instskip(SKIP_1) | instid1(VALU_DEP_2)
	v_div_fmas_f64 v[5:6], v[5:6], v[15:16], v[29:30]
	s_mov_b32 vcc_lo, s1
	v_div_fmas_f64 v[7:8], v[7:8], v[22:23], v[33:34]
	s_delay_alu instid0(VALU_DEP_2) | instskip(NEXT) | instid1(VALU_DEP_2)
	v_div_fixup_f64 v[5:6], v[5:6], v[13:14], 1.0
	v_div_fixup_f64 v[7:8], v[7:8], v[24:25], 0
.LBB162_209:
	s_or_b32 exec_lo, exec_lo, s6
                                        ; implicit-def: $vgpr15_vgpr16
                                        ; implicit-def: $vgpr22_vgpr23
.LBB162_210:
	s_and_not1_saveexec_b32 s1, s2
	s_cbranch_execz .LBB162_212
; %bb.211:
	v_div_scale_f64 v[5:6], null, v[15:16], v[15:16], v[22:23]
	v_div_scale_f64 v[24:25], vcc_lo, v[22:23], v[15:16], v[22:23]
	s_delay_alu instid0(VALU_DEP_2) | instskip(SKIP_2) | instid1(VALU_DEP_1)
	v_rcp_f64_e32 v[7:8], v[5:6]
	s_waitcnt_depctr 0xfff
	v_fma_f64 v[13:14], -v[5:6], v[7:8], 1.0
	v_fma_f64 v[7:8], v[7:8], v[13:14], v[7:8]
	s_delay_alu instid0(VALU_DEP_1) | instskip(NEXT) | instid1(VALU_DEP_1)
	v_fma_f64 v[13:14], -v[5:6], v[7:8], 1.0
	v_fma_f64 v[7:8], v[7:8], v[13:14], v[7:8]
	s_delay_alu instid0(VALU_DEP_1) | instskip(NEXT) | instid1(VALU_DEP_1)
	v_mul_f64 v[13:14], v[24:25], v[7:8]
	v_fma_f64 v[5:6], -v[5:6], v[13:14], v[24:25]
	s_delay_alu instid0(VALU_DEP_1) | instskip(NEXT) | instid1(VALU_DEP_1)
	v_div_fmas_f64 v[5:6], v[5:6], v[7:8], v[13:14]
	v_div_fixup_f64 v[5:6], v[5:6], v[15:16], v[22:23]
	s_delay_alu instid0(VALU_DEP_1) | instskip(NEXT) | instid1(VALU_DEP_1)
	v_fma_f64 v[7:8], v[22:23], v[5:6], v[15:16]
	v_div_scale_f64 v[13:14], null, v[7:8], v[7:8], 1.0
	v_div_scale_f64 v[24:25], vcc_lo, 1.0, v[7:8], 1.0
	s_delay_alu instid0(VALU_DEP_2) | instskip(SKIP_2) | instid1(VALU_DEP_1)
	v_rcp_f64_e32 v[15:16], v[13:14]
	s_waitcnt_depctr 0xfff
	v_fma_f64 v[22:23], -v[13:14], v[15:16], 1.0
	v_fma_f64 v[15:16], v[15:16], v[22:23], v[15:16]
	s_delay_alu instid0(VALU_DEP_1) | instskip(NEXT) | instid1(VALU_DEP_1)
	v_fma_f64 v[22:23], -v[13:14], v[15:16], 1.0
	v_fma_f64 v[15:16], v[15:16], v[22:23], v[15:16]
	s_delay_alu instid0(VALU_DEP_1) | instskip(NEXT) | instid1(VALU_DEP_1)
	v_mul_f64 v[22:23], v[24:25], v[15:16]
	v_fma_f64 v[13:14], -v[13:14], v[22:23], v[24:25]
	s_delay_alu instid0(VALU_DEP_1) | instskip(SKIP_1) | instid1(VALU_DEP_2)
	v_div_fmas_f64 v[13:14], v[13:14], v[15:16], v[22:23]
	v_add_f64 v[15:16], v[5:6], 0
	v_div_fixup_f64 v[7:8], v[13:14], v[7:8], 1.0
	v_fma_f64 v[13:14], v[5:6], 0, -1.0
	s_delay_alu instid0(VALU_DEP_2) | instskip(NEXT) | instid1(VALU_DEP_2)
	v_mul_f64 v[5:6], v[15:16], v[7:8]
	v_mul_f64 v[7:8], v[13:14], v[7:8]
.LBB162_212:
	s_or_b32 exec_lo, exec_lo, s1
.LBB162_213:
	s_delay_alu instid0(SALU_CYCLE_1) | instskip(SKIP_4) | instid1(VALU_DEP_1)
	s_or_b32 exec_lo, exec_lo, s3
	s_waitcnt vmcnt(0)
	v_mov_b32_e32 v13, 0
	v_mov_b32_e32 v14, 0
	s_mov_b32 s3, exec_lo
	v_dual_mov_b32 v16, v14 :: v_dual_mov_b32 v15, v13
	v_cmpx_gt_i32_e64 s10, v26
	s_cbranch_execz .LBB162_255
; %bb.214:
	v_cmp_neq_f64_e32 vcc_lo, 0, v[17:18]
	v_cmp_neq_f64_e64 s1, 0, v[19:20]
	v_mov_b32_e32 v22, 0
	v_mov_b32_e32 v23, 0
	s_delay_alu instid0(VALU_DEP_3) | instskip(NEXT) | instid1(SALU_CYCLE_1)
	s_or_b32 s1, vcc_lo, s1
	s_and_saveexec_b32 s6, s1
	s_cbranch_execz .LBB162_246
; %bb.215:
	s_mov_b32 s12, 0
	s_mov_b32 s13, 0x7ff00000
	v_mov_b32_e32 v22, s12
	v_mov_b32_e32 v23, s13
	s_mov_b32 s7, exec_lo
	v_cmpx_neq_f64_e64 0x7ff00000, |v[19:20]|
	s_cbranch_execz .LBB162_245
; %bb.216:
	s_mov_b32 s1, exec_lo
	v_cmpx_o_f64_e32 v[17:18], v[17:18]
	s_xor_b32 s9, exec_lo, s1
	s_cbranch_execz .LBB162_242
; %bb.217:
	s_mov_b32 s2, exec_lo
	v_cmpx_neq_f64_e64 0x7ff00000, |v[17:18]|
	s_xor_b32 s11, exec_lo, s2
	s_cbranch_execz .LBB162_235
; %bb.218:
	v_max_f64 v[13:14], |v[19:20]|, |v[19:20]|
	v_max_f64 v[15:16], |v[17:18]|, |v[17:18]|
	s_mov_b32 s12, 0x99fcef32
	s_mov_b32 s13, 0x7fda8279
	s_delay_alu instid0(VALU_DEP_1) | instskip(NEXT) | instid1(VALU_DEP_1)
	v_max_f64 v[13:14], v[15:16], v[13:14]
	v_cmp_nle_f64_e64 s1, s[12:13], v[13:14]
                                        ; implicit-def: $sgpr12
	s_delay_alu instid0(VALU_DEP_1) | instskip(NEXT) | instid1(SALU_CYCLE_1)
	s_and_saveexec_b32 s2, s1
	s_xor_b32 s2, exec_lo, s2
	s_cbranch_execz .LBB162_222
; %bb.219:
	v_cmp_ge_f64_e64 s12, 0x200000, |v[17:18]|
	v_cmp_ge_f64_e64 s13, 0x200000, |v[19:20]|
	s_delay_alu instid0(VALU_DEP_1)
	s_and_b32 s14, s12, s13
	s_mov_b32 s12, 0
	s_and_saveexec_b32 s13, s14
; %bb.220:
	v_mul_f64 v[17:18], v[17:18], 4.0
	v_mul_f64 v[19:20], v[19:20], 4.0
	s_mov_b32 s12, exec_lo
; %bb.221:
	s_or_b32 exec_lo, exec_lo, s13
	s_delay_alu instid0(SALU_CYCLE_1)
	s_and_b32 s12, s12, exec_lo
.LBB162_222:
	s_and_not1_saveexec_b32 s2, s2
; %bb.223:
	s_delay_alu instid0(VALU_DEP_2) | instskip(NEXT) | instid1(VALU_DEP_2)
	v_ldexp_f64 v[17:18], v[17:18], -2
	v_ldexp_f64 v[19:20], v[19:20], -2
	s_and_not1_b32 s12, s12, exec_lo
; %bb.224:
	s_or_b32 exec_lo, exec_lo, s2
	s_delay_alu instid0(VALU_DEP_1) | instskip(NEXT) | instid1(VALU_DEP_3)
	v_max_f64 v[13:14], |v[19:20]|, |v[19:20]|
	v_max_f64 v[15:16], |v[17:18]|, |v[17:18]|
	v_cmp_class_f64_e64 s13, v[17:18], 0x204
	v_cmp_class_f64_e64 s14, v[19:20], 0x204
	v_cmp_le_f64_e64 s2, 0, v[17:18]
	s_delay_alu instid0(VALU_DEP_4) | instskip(NEXT) | instid1(VALU_DEP_3)
	v_max_f64 v[13:14], v[15:16], v[13:14]
	s_or_b32 s13, s14, s13
	s_delay_alu instid0(VALU_DEP_1) | instskip(NEXT) | instid1(VALU_DEP_1)
	v_frexp_exp_i32_f64_e32 v27, v[13:14]
	v_sub_nc_u32_e32 v15, 0, v27
	s_delay_alu instid0(VALU_DEP_1) | instskip(SKIP_1) | instid1(VALU_DEP_2)
	v_ldexp_f64 v[13:14], |v[19:20]|, v15
	v_ldexp_f64 v[15:16], |v[17:18]|, v15
	v_mul_f64 v[13:14], v[13:14], v[13:14]
	s_delay_alu instid0(VALU_DEP_1) | instskip(NEXT) | instid1(VALU_DEP_1)
	v_fma_f64 v[13:14], v[15:16], v[15:16], v[13:14]
	v_rsq_f64_e32 v[15:16], v[13:14]
	v_cmp_eq_f64_e32 vcc_lo, 0, v[13:14]
	s_waitcnt_depctr 0xfff
	v_mul_f64 v[22:23], v[13:14], v[15:16]
	v_mul_f64 v[15:16], v[15:16], 0.5
	s_delay_alu instid0(VALU_DEP_1) | instskip(NEXT) | instid1(VALU_DEP_1)
	v_fma_f64 v[24:25], -v[15:16], v[22:23], 0.5
	v_fma_f64 v[22:23], v[22:23], v[24:25], v[22:23]
	v_fma_f64 v[15:16], v[15:16], v[24:25], v[15:16]
	s_delay_alu instid0(VALU_DEP_2) | instskip(NEXT) | instid1(VALU_DEP_1)
	v_fma_f64 v[24:25], -v[22:23], v[22:23], v[13:14]
	v_fma_f64 v[15:16], v[24:25], v[15:16], v[22:23]
	s_delay_alu instid0(VALU_DEP_1) | instskip(SKIP_1) | instid1(VALU_DEP_2)
	v_dual_cndmask_b32 v14, v16, v14 :: v_dual_cndmask_b32 v13, v15, v13
	v_cmp_o_f64_e32 vcc_lo, v[19:20], v[19:20]
	v_ldexp_f64 v[13:14], v[13:14], v27
	s_delay_alu instid0(VALU_DEP_1) | instskip(NEXT) | instid1(VALU_DEP_2)
	v_cndmask_b32_e32 v13, 0, v13, vcc_lo
	v_cndmask_b32_e32 v14, 0x7ff80000, v14, vcc_lo
	s_delay_alu instid0(VALU_DEP_2) | instskip(NEXT) | instid1(VALU_DEP_2)
	v_cndmask_b32_e64 v13, v13, 0, s13
	v_cndmask_b32_e64 v14, v14, 0x7ff00000, s13
	s_and_saveexec_b32 s13, s2
	s_delay_alu instid0(SALU_CYCLE_1)
	s_xor_b32 s2, exec_lo, s13
	s_cbranch_execz .LBB162_230
; %bb.225:
	s_delay_alu instid0(VALU_DEP_1) | instskip(NEXT) | instid1(VALU_DEP_1)
	v_add_f64 v[13:14], v[17:18], v[13:14]
	v_mul_f64 v[13:14], v[13:14], 0.5
	s_delay_alu instid0(VALU_DEP_1) | instskip(SKIP_1) | instid1(VALU_DEP_1)
	v_cmp_gt_f64_e32 vcc_lo, 0x10000000, v[13:14]
	v_cndmask_b32_e64 v15, 0, 1, vcc_lo
	v_lshlrev_b32_e32 v15, 8, v15
	s_delay_alu instid0(VALU_DEP_1) | instskip(NEXT) | instid1(VALU_DEP_1)
	v_ldexp_f64 v[13:14], v[13:14], v15
	v_rsq_f64_e32 v[15:16], v[13:14]
	s_waitcnt_depctr 0xfff
	v_mul_f64 v[17:18], v[13:14], v[15:16]
	v_mul_f64 v[15:16], v[15:16], 0.5
	s_delay_alu instid0(VALU_DEP_1) | instskip(NEXT) | instid1(VALU_DEP_1)
	v_fma_f64 v[22:23], -v[15:16], v[17:18], 0.5
	v_fma_f64 v[17:18], v[17:18], v[22:23], v[17:18]
	v_fma_f64 v[15:16], v[15:16], v[22:23], v[15:16]
	s_delay_alu instid0(VALU_DEP_2) | instskip(NEXT) | instid1(VALU_DEP_1)
	v_fma_f64 v[22:23], -v[17:18], v[17:18], v[13:14]
	v_fma_f64 v[17:18], v[22:23], v[15:16], v[17:18]
	s_delay_alu instid0(VALU_DEP_1) | instskip(NEXT) | instid1(VALU_DEP_1)
	v_fma_f64 v[22:23], -v[17:18], v[17:18], v[13:14]
	v_fma_f64 v[15:16], v[22:23], v[15:16], v[17:18]
	v_cndmask_b32_e64 v17, 0, 0xffffff80, vcc_lo
	v_cmp_class_f64_e64 vcc_lo, v[13:14], 0x260
	s_delay_alu instid0(VALU_DEP_2) | instskip(NEXT) | instid1(VALU_DEP_1)
	v_ldexp_f64 v[15:16], v[15:16], v17
	v_dual_cndmask_b32 v18, v16, v14 :: v_dual_cndmask_b32 v17, v15, v13
	s_delay_alu instid0(VALU_DEP_1) | instskip(NEXT) | instid1(VALU_DEP_1)
	v_add_f64 v[13:14], v[17:18], v[17:18]
	v_div_scale_f64 v[15:16], null, v[13:14], v[13:14], v[19:20]
	s_delay_alu instid0(VALU_DEP_1) | instskip(SKIP_2) | instid1(VALU_DEP_1)
	v_rcp_f64_e32 v[22:23], v[15:16]
	s_waitcnt_depctr 0xfff
	v_fma_f64 v[24:25], -v[15:16], v[22:23], 1.0
	v_fma_f64 v[22:23], v[22:23], v[24:25], v[22:23]
	s_delay_alu instid0(VALU_DEP_1) | instskip(NEXT) | instid1(VALU_DEP_1)
	v_fma_f64 v[24:25], -v[15:16], v[22:23], 1.0
	v_fma_f64 v[22:23], v[22:23], v[24:25], v[22:23]
	v_div_scale_f64 v[24:25], vcc_lo, v[19:20], v[13:14], v[19:20]
	s_delay_alu instid0(VALU_DEP_1) | instskip(NEXT) | instid1(VALU_DEP_1)
	v_mul_f64 v[27:28], v[24:25], v[22:23]
	v_fma_f64 v[15:16], -v[15:16], v[27:28], v[24:25]
	s_delay_alu instid0(VALU_DEP_1) | instskip(NEXT) | instid1(VALU_DEP_1)
	v_div_fmas_f64 v[15:16], v[15:16], v[22:23], v[27:28]
	v_div_fixup_f64 v[19:20], v[15:16], v[13:14], v[19:20]
                                        ; implicit-def: $vgpr13_vgpr14
	s_and_not1_saveexec_b32 s2, s2
	s_cbranch_execnz .LBB162_231
.LBB162_226:
	s_or_b32 exec_lo, exec_lo, s2
	s_and_saveexec_b32 s2, s1
	s_delay_alu instid0(SALU_CYCLE_1)
	s_xor_b32 s1, exec_lo, s2
	s_cbranch_execz .LBB162_232
.LBB162_227:
	s_and_saveexec_b32 s2, s12
; %bb.228:
	s_delay_alu instid0(VALU_DEP_2) | instskip(NEXT) | instid1(VALU_DEP_2)
	v_mul_f64 v[17:18], v[17:18], 0.5
	v_mul_f64 v[19:20], v[19:20], 0.5
; %bb.229:
	s_or_b32 exec_lo, exec_lo, s2
	s_and_not1_saveexec_b32 s1, s1
	s_cbranch_execnz .LBB162_233
	s_branch .LBB162_234
.LBB162_230:
	s_and_not1_saveexec_b32 s2, s2
	s_cbranch_execz .LBB162_226
.LBB162_231:
	v_add_f64 v[13:14], v[13:14], -v[17:18]
	s_delay_alu instid0(VALU_DEP_1) | instskip(NEXT) | instid1(VALU_DEP_1)
	v_mul_f64 v[13:14], v[13:14], 0.5
	v_cmp_gt_f64_e32 vcc_lo, 0x10000000, v[13:14]
	v_cndmask_b32_e64 v15, 0, 1, vcc_lo
	s_delay_alu instid0(VALU_DEP_1) | instskip(NEXT) | instid1(VALU_DEP_1)
	v_lshlrev_b32_e32 v15, 8, v15
	v_ldexp_f64 v[13:14], v[13:14], v15
	s_delay_alu instid0(VALU_DEP_1) | instskip(SKIP_3) | instid1(VALU_DEP_1)
	v_rsq_f64_e32 v[15:16], v[13:14]
	s_waitcnt_depctr 0xfff
	v_mul_f64 v[17:18], v[13:14], v[15:16]
	v_mul_f64 v[15:16], v[15:16], 0.5
	v_fma_f64 v[22:23], -v[15:16], v[17:18], 0.5
	s_delay_alu instid0(VALU_DEP_1) | instskip(SKIP_1) | instid1(VALU_DEP_2)
	v_fma_f64 v[17:18], v[17:18], v[22:23], v[17:18]
	v_fma_f64 v[15:16], v[15:16], v[22:23], v[15:16]
	v_fma_f64 v[22:23], -v[17:18], v[17:18], v[13:14]
	s_delay_alu instid0(VALU_DEP_1) | instskip(NEXT) | instid1(VALU_DEP_1)
	v_fma_f64 v[17:18], v[22:23], v[15:16], v[17:18]
	v_fma_f64 v[22:23], -v[17:18], v[17:18], v[13:14]
	s_delay_alu instid0(VALU_DEP_1) | instskip(SKIP_3) | instid1(VALU_DEP_3)
	v_fma_f64 v[15:16], v[22:23], v[15:16], v[17:18]
	v_cndmask_b32_e64 v17, 0, 0xffffff80, vcc_lo
	v_cmp_class_f64_e64 vcc_lo, v[13:14], 0x260
	v_and_b32_e32 v18, 0x7fffffff, v20
	v_ldexp_f64 v[15:16], v[15:16], v17
	s_delay_alu instid0(VALU_DEP_1) | instskip(NEXT) | instid1(VALU_DEP_1)
	v_dual_cndmask_b32 v14, v16, v14 :: v_dual_cndmask_b32 v13, v15, v13
	v_add_f64 v[15:16], v[13:14], v[13:14]
	v_bfi_b32 v14, 0x7fffffff, v14, v20
	v_mov_b32_e32 v17, v19
	s_delay_alu instid0(VALU_DEP_1) | instskip(SKIP_1) | instid1(VALU_DEP_2)
	v_div_scale_f64 v[22:23], null, v[15:16], v[15:16], v[17:18]
	v_div_scale_f64 v[17:18], vcc_lo, v[17:18], v[15:16], v[17:18]
	v_rcp_f64_e32 v[24:25], v[22:23]
	s_waitcnt_depctr 0xfff
	v_fma_f64 v[27:28], -v[22:23], v[24:25], 1.0
	s_delay_alu instid0(VALU_DEP_1) | instskip(NEXT) | instid1(VALU_DEP_1)
	v_fma_f64 v[24:25], v[24:25], v[27:28], v[24:25]
	v_fma_f64 v[27:28], -v[22:23], v[24:25], 1.0
	s_delay_alu instid0(VALU_DEP_1) | instskip(NEXT) | instid1(VALU_DEP_1)
	v_fma_f64 v[24:25], v[24:25], v[27:28], v[24:25]
	v_mul_f64 v[27:28], v[17:18], v[24:25]
	s_delay_alu instid0(VALU_DEP_1) | instskip(NEXT) | instid1(VALU_DEP_1)
	v_fma_f64 v[17:18], -v[22:23], v[27:28], v[17:18]
	v_div_fmas_f64 v[17:18], v[17:18], v[24:25], v[27:28]
	s_delay_alu instid0(VALU_DEP_1) | instskip(SKIP_3) | instid1(SALU_CYCLE_1)
	v_div_fixup_f64 v[17:18], v[17:18], v[15:16], |v[19:20]|
	v_dual_mov_b32 v20, v14 :: v_dual_mov_b32 v19, v13
	s_or_b32 exec_lo, exec_lo, s2
	s_and_saveexec_b32 s2, s1
	s_xor_b32 s1, exec_lo, s2
	s_cbranch_execnz .LBB162_227
.LBB162_232:
	s_and_not1_saveexec_b32 s1, s1
.LBB162_233:
	s_delay_alu instid0(VALU_DEP_2) | instskip(NEXT) | instid1(VALU_DEP_2)
	v_add_f64 v[17:18], v[17:18], v[17:18]
	v_add_f64 v[19:20], v[19:20], v[19:20]
.LBB162_234:
	s_or_b32 exec_lo, exec_lo, s1
.LBB162_235:
	s_and_not1_saveexec_b32 s1, s11
	s_cbranch_execz .LBB162_241
; %bb.236:
	s_delay_alu instid0(VALU_DEP_1) | instskip(SKIP_1) | instid1(VALU_DEP_3)
	v_add_f64 v[13:14], v[19:20], -v[19:20]
	s_mov_b32 s2, exec_lo
	v_cmpx_lt_i64_e32 -1, v[17:18]
	s_xor_b32 s2, exec_lo, s2
; %bb.237:
	s_delay_alu instid0(VALU_DEP_2) | instskip(NEXT) | instid1(VALU_DEP_1)
	v_bfi_b32 v14, 0x7fffffff, v14, v20
	v_dual_mov_b32 v20, v14 :: v_dual_mov_b32 v19, v13
                                        ; implicit-def: $vgpr13_vgpr14
; %bb.238:
	s_and_not1_saveexec_b32 s2, s2
; %bb.239:
	s_delay_alu instid0(VALU_DEP_1) | instskip(SKIP_1) | instid1(VALU_DEP_2)
	v_bfi_b32 v18, 0x7fffffff, v18, v20
	v_and_b32_e32 v14, 0x7fffffff, v14
	v_dual_mov_b32 v20, v18 :: v_dual_mov_b32 v19, v17
	s_delay_alu instid0(VALU_DEP_2)
	v_dual_mov_b32 v18, v14 :: v_dual_mov_b32 v17, v13
; %bb.240:
	s_or_b32 exec_lo, exec_lo, s2
.LBB162_241:
	s_delay_alu instid0(SALU_CYCLE_1)
	s_or_b32 exec_lo, exec_lo, s1
.LBB162_242:
	s_and_not1_saveexec_b32 s1, s9
; %bb.243:
	s_delay_alu instid0(VALU_DEP_1) | instskip(NEXT) | instid1(VALU_DEP_1)
	v_add_f64 v[13:14], v[19:20], -v[19:20]
	v_div_scale_f64 v[15:16], vcc_lo, v[13:14], v[13:14], v[13:14]
	s_delay_alu instid0(VALU_DEP_1) | instskip(SKIP_2) | instid1(VALU_DEP_1)
	v_rcp_f64_e32 v[19:20], v[15:16]
	s_waitcnt_depctr 0xfff
	v_fma_f64 v[22:23], -v[15:16], v[19:20], 1.0
	v_fma_f64 v[19:20], v[19:20], v[22:23], v[19:20]
	s_delay_alu instid0(VALU_DEP_1) | instskip(NEXT) | instid1(VALU_DEP_1)
	v_fma_f64 v[22:23], -v[15:16], v[19:20], 1.0
	v_fma_f64 v[19:20], v[19:20], v[22:23], v[19:20]
	s_delay_alu instid0(VALU_DEP_1) | instskip(NEXT) | instid1(VALU_DEP_1)
	v_mul_f64 v[22:23], v[15:16], v[19:20]
	v_fma_f64 v[15:16], -v[15:16], v[22:23], v[15:16]
	s_delay_alu instid0(VALU_DEP_1) | instskip(NEXT) | instid1(VALU_DEP_1)
	v_div_fmas_f64 v[15:16], v[15:16], v[19:20], v[22:23]
	v_div_fixup_f64 v[19:20], v[15:16], v[13:14], v[13:14]
; %bb.244:
	s_or_b32 exec_lo, exec_lo, s1
	v_dual_mov_b32 v23, v18 :: v_dual_mov_b32 v22, v17
.LBB162_245:
	s_or_b32 exec_lo, exec_lo, s7
.LBB162_246:
	s_delay_alu instid0(SALU_CYCLE_1) | instskip(NEXT) | instid1(VALU_DEP_1)
	s_or_b32 exec_lo, exec_lo, s6
	v_cmp_gt_f64_e32 vcc_lo, 0, v[22:23]
	s_delay_alu instid0(VALU_DEP_3) | instskip(SKIP_2) | instid1(VALU_DEP_2)
	v_cmp_gt_f64_e64 s1, 0, v[19:20]
	v_xor_b32_e32 v13, 0x80000000, v23
	v_xor_b32_e32 v14, 0x80000000, v20
	v_dual_cndmask_b32 v18, v23, v13 :: v_dual_cndmask_b32 v17, v22, v22
	s_delay_alu instid0(VALU_DEP_2) | instskip(SKIP_2) | instid1(VALU_DEP_1)
	v_cndmask_b32_e64 v25, v20, v14, s1
	v_cndmask_b32_e64 v24, v19, v19, s1
                                        ; implicit-def: $vgpr13_vgpr14
	s_mov_b32 s1, exec_lo
	v_cmpx_ge_f64_e32 v[17:18], v[24:25]
	s_xor_b32 s2, exec_lo, s1
	s_cbranch_execz .LBB162_252
; %bb.247:
	v_cmp_neq_f64_e32 vcc_lo, 0, v[22:23]
	v_cmp_neq_f64_e64 s1, 0, v[19:20]
                                        ; implicit-def: $vgpr13_vgpr14
	s_delay_alu instid0(VALU_DEP_1) | instskip(NEXT) | instid1(SALU_CYCLE_1)
	s_or_b32 s1, vcc_lo, s1
	s_and_saveexec_b32 s6, s1
	s_delay_alu instid0(SALU_CYCLE_1)
	s_xor_b32 s1, exec_lo, s6
	s_cbranch_execz .LBB162_249
; %bb.248:
	v_div_scale_f64 v[13:14], null, v[22:23], v[22:23], v[19:20]
	v_div_scale_f64 v[24:25], vcc_lo, v[19:20], v[22:23], v[19:20]
	s_delay_alu instid0(VALU_DEP_2) | instskip(SKIP_2) | instid1(VALU_DEP_1)
	v_rcp_f64_e32 v[15:16], v[13:14]
	s_waitcnt_depctr 0xfff
	v_fma_f64 v[17:18], -v[13:14], v[15:16], 1.0
	v_fma_f64 v[15:16], v[15:16], v[17:18], v[15:16]
	s_delay_alu instid0(VALU_DEP_1) | instskip(NEXT) | instid1(VALU_DEP_1)
	v_fma_f64 v[17:18], -v[13:14], v[15:16], 1.0
	v_fma_f64 v[15:16], v[15:16], v[17:18], v[15:16]
	s_delay_alu instid0(VALU_DEP_1) | instskip(NEXT) | instid1(VALU_DEP_1)
	v_mul_f64 v[17:18], v[24:25], v[15:16]
	v_fma_f64 v[13:14], -v[13:14], v[17:18], v[24:25]
	s_delay_alu instid0(VALU_DEP_1) | instskip(NEXT) | instid1(VALU_DEP_1)
	v_div_fmas_f64 v[13:14], v[13:14], v[15:16], v[17:18]
	v_div_fixup_f64 v[13:14], v[13:14], v[22:23], v[19:20]
	s_delay_alu instid0(VALU_DEP_1) | instskip(NEXT) | instid1(VALU_DEP_1)
	v_fma_f64 v[15:16], v[19:20], v[13:14], v[22:23]
	v_div_scale_f64 v[17:18], null, v[15:16], v[15:16], 1.0
	v_div_scale_f64 v[24:25], vcc_lo, 1.0, v[15:16], 1.0
	s_delay_alu instid0(VALU_DEP_2) | instskip(SKIP_2) | instid1(VALU_DEP_1)
	v_rcp_f64_e32 v[19:20], v[17:18]
	s_waitcnt_depctr 0xfff
	v_fma_f64 v[22:23], -v[17:18], v[19:20], 1.0
	v_fma_f64 v[19:20], v[19:20], v[22:23], v[19:20]
	s_delay_alu instid0(VALU_DEP_1) | instskip(NEXT) | instid1(VALU_DEP_1)
	v_fma_f64 v[22:23], -v[17:18], v[19:20], 1.0
	v_fma_f64 v[19:20], v[19:20], v[22:23], v[19:20]
	s_delay_alu instid0(VALU_DEP_1) | instskip(NEXT) | instid1(VALU_DEP_1)
	v_mul_f64 v[22:23], v[24:25], v[19:20]
	v_fma_f64 v[17:18], -v[17:18], v[22:23], v[24:25]
                                        ; implicit-def: $vgpr24_vgpr25
	s_delay_alu instid0(VALU_DEP_1) | instskip(SKIP_1) | instid1(VALU_DEP_2)
	v_div_fmas_f64 v[17:18], v[17:18], v[19:20], v[22:23]
	v_fma_f64 v[19:20], v[13:14], 0, 1.0
	v_div_fixup_f64 v[15:16], v[17:18], v[15:16], 1.0
	v_add_f64 v[17:18], -v[13:14], 0
	s_delay_alu instid0(VALU_DEP_2) | instskip(NEXT) | instid1(VALU_DEP_2)
	v_mul_f64 v[13:14], v[19:20], v[15:16]
	v_mul_f64 v[15:16], v[17:18], v[15:16]
                                        ; implicit-def: $vgpr17_vgpr18
.LBB162_249:
	s_and_not1_saveexec_b32 s6, s1
	s_cbranch_execz .LBB162_251
; %bb.250:
	v_div_scale_f64 v[13:14], null, v[17:18], v[17:18], 1.0
	v_div_scale_f64 v[15:16], null, v[24:25], v[24:25], 0
	v_div_scale_f64 v[31:32], vcc_lo, 1.0, v[17:18], 1.0
	s_delay_alu instid0(VALU_DEP_3) | instskip(NEXT) | instid1(VALU_DEP_2)
	v_rcp_f64_e32 v[19:20], v[13:14]
	v_rcp_f64_e32 v[22:23], v[15:16]
	s_waitcnt_depctr 0xfff
	v_fma_f64 v[27:28], -v[13:14], v[19:20], 1.0
	v_fma_f64 v[29:30], -v[15:16], v[22:23], 1.0
	s_delay_alu instid0(VALU_DEP_2) | instskip(NEXT) | instid1(VALU_DEP_2)
	v_fma_f64 v[19:20], v[19:20], v[27:28], v[19:20]
	v_fma_f64 v[22:23], v[22:23], v[29:30], v[22:23]
	s_delay_alu instid0(VALU_DEP_2) | instskip(NEXT) | instid1(VALU_DEP_2)
	v_fma_f64 v[27:28], -v[13:14], v[19:20], 1.0
	v_fma_f64 v[29:30], -v[15:16], v[22:23], 1.0
	s_delay_alu instid0(VALU_DEP_2) | instskip(SKIP_1) | instid1(VALU_DEP_3)
	v_fma_f64 v[19:20], v[19:20], v[27:28], v[19:20]
	v_div_scale_f64 v[27:28], s1, 0, v[24:25], 0
	v_fma_f64 v[22:23], v[22:23], v[29:30], v[22:23]
	s_delay_alu instid0(VALU_DEP_3) | instskip(NEXT) | instid1(VALU_DEP_2)
	v_mul_f64 v[29:30], v[31:32], v[19:20]
	v_mul_f64 v[33:34], v[27:28], v[22:23]
	s_delay_alu instid0(VALU_DEP_2) | instskip(NEXT) | instid1(VALU_DEP_2)
	v_fma_f64 v[13:14], -v[13:14], v[29:30], v[31:32]
	v_fma_f64 v[15:16], -v[15:16], v[33:34], v[27:28]
	s_delay_alu instid0(VALU_DEP_2) | instskip(SKIP_1) | instid1(VALU_DEP_2)
	v_div_fmas_f64 v[13:14], v[13:14], v[19:20], v[29:30]
	s_mov_b32 vcc_lo, s1
	v_div_fmas_f64 v[15:16], v[15:16], v[22:23], v[33:34]
	s_delay_alu instid0(VALU_DEP_2) | instskip(NEXT) | instid1(VALU_DEP_2)
	v_div_fixup_f64 v[13:14], v[13:14], v[17:18], 1.0
	v_div_fixup_f64 v[15:16], v[15:16], v[24:25], 0
.LBB162_251:
	s_or_b32 exec_lo, exec_lo, s6
                                        ; implicit-def: $vgpr19_vgpr20
                                        ; implicit-def: $vgpr22_vgpr23
.LBB162_252:
	s_and_not1_saveexec_b32 s1, s2
	s_cbranch_execz .LBB162_254
; %bb.253:
	v_div_scale_f64 v[13:14], null, v[19:20], v[19:20], v[22:23]
	v_div_scale_f64 v[24:25], vcc_lo, v[22:23], v[19:20], v[22:23]
	s_delay_alu instid0(VALU_DEP_2) | instskip(SKIP_2) | instid1(VALU_DEP_1)
	v_rcp_f64_e32 v[15:16], v[13:14]
	s_waitcnt_depctr 0xfff
	v_fma_f64 v[17:18], -v[13:14], v[15:16], 1.0
	v_fma_f64 v[15:16], v[15:16], v[17:18], v[15:16]
	s_delay_alu instid0(VALU_DEP_1) | instskip(NEXT) | instid1(VALU_DEP_1)
	v_fma_f64 v[17:18], -v[13:14], v[15:16], 1.0
	v_fma_f64 v[15:16], v[15:16], v[17:18], v[15:16]
	s_delay_alu instid0(VALU_DEP_1) | instskip(NEXT) | instid1(VALU_DEP_1)
	v_mul_f64 v[17:18], v[24:25], v[15:16]
	v_fma_f64 v[13:14], -v[13:14], v[17:18], v[24:25]
	s_delay_alu instid0(VALU_DEP_1) | instskip(NEXT) | instid1(VALU_DEP_1)
	v_div_fmas_f64 v[13:14], v[13:14], v[15:16], v[17:18]
	v_div_fixup_f64 v[13:14], v[13:14], v[19:20], v[22:23]
	s_delay_alu instid0(VALU_DEP_1) | instskip(NEXT) | instid1(VALU_DEP_1)
	v_fma_f64 v[15:16], v[22:23], v[13:14], v[19:20]
	v_div_scale_f64 v[17:18], null, v[15:16], v[15:16], 1.0
	v_div_scale_f64 v[24:25], vcc_lo, 1.0, v[15:16], 1.0
	s_delay_alu instid0(VALU_DEP_2) | instskip(SKIP_2) | instid1(VALU_DEP_1)
	v_rcp_f64_e32 v[19:20], v[17:18]
	s_waitcnt_depctr 0xfff
	v_fma_f64 v[22:23], -v[17:18], v[19:20], 1.0
	v_fma_f64 v[19:20], v[19:20], v[22:23], v[19:20]
	s_delay_alu instid0(VALU_DEP_1) | instskip(NEXT) | instid1(VALU_DEP_1)
	v_fma_f64 v[22:23], -v[17:18], v[19:20], 1.0
	v_fma_f64 v[19:20], v[19:20], v[22:23], v[19:20]
	s_delay_alu instid0(VALU_DEP_1) | instskip(NEXT) | instid1(VALU_DEP_1)
	v_mul_f64 v[22:23], v[24:25], v[19:20]
	v_fma_f64 v[17:18], -v[17:18], v[22:23], v[24:25]
	s_delay_alu instid0(VALU_DEP_1) | instskip(SKIP_1) | instid1(VALU_DEP_2)
	v_div_fmas_f64 v[17:18], v[17:18], v[19:20], v[22:23]
	v_add_f64 v[19:20], v[13:14], 0
	v_div_fixup_f64 v[15:16], v[17:18], v[15:16], 1.0
	v_fma_f64 v[17:18], v[13:14], 0, -1.0
	s_delay_alu instid0(VALU_DEP_2) | instskip(NEXT) | instid1(VALU_DEP_2)
	v_mul_f64 v[13:14], v[19:20], v[15:16]
	v_mul_f64 v[15:16], v[17:18], v[15:16]
.LBB162_254:
	s_or_b32 exec_lo, exec_lo, s1
.LBB162_255:
	s_delay_alu instid0(SALU_CYCLE_1) | instskip(SKIP_3) | instid1(VALU_DEP_2)
	s_or_b32 exec_lo, exec_lo, s3
	v_mov_b32_e32 v17, 0
	v_or_b32_e32 v19, 0x200, v0
	v_mov_b32_e32 v18, 0
	v_cmp_gt_i32_e32 vcc_lo, s10, v19
	s_delay_alu instid0(VALU_DEP_2)
	v_dual_mov_b32 v20, v18 :: v_dual_mov_b32 v19, v17
	s_and_saveexec_b32 s3, vcc_lo
	s_cbranch_execz .LBB162_297
; %bb.256:
	v_cmp_neq_f64_e32 vcc_lo, 0, v[9:10]
	v_cmp_neq_f64_e64 s1, 0, v[11:12]
	v_mov_b32_e32 v22, 0
	v_mov_b32_e32 v23, 0
	s_delay_alu instid0(VALU_DEP_3) | instskip(NEXT) | instid1(SALU_CYCLE_1)
	s_or_b32 s1, vcc_lo, s1
	s_and_saveexec_b32 s6, s1
	s_cbranch_execz .LBB162_288
; %bb.257:
	s_mov_b32 s12, 0
	s_mov_b32 s13, 0x7ff00000
	v_mov_b32_e32 v22, s12
	v_mov_b32_e32 v23, s13
	s_mov_b32 s7, exec_lo
	v_cmpx_neq_f64_e64 0x7ff00000, |v[11:12]|
	s_cbranch_execz .LBB162_287
; %bb.258:
	s_mov_b32 s1, exec_lo
	v_cmpx_o_f64_e32 v[9:10], v[9:10]
	s_xor_b32 s9, exec_lo, s1
	s_cbranch_execz .LBB162_284
; %bb.259:
	s_mov_b32 s2, exec_lo
	v_cmpx_neq_f64_e64 0x7ff00000, |v[9:10]|
	s_xor_b32 s11, exec_lo, s2
	s_cbranch_execz .LBB162_277
; %bb.260:
	v_max_f64 v[17:18], |v[11:12]|, |v[11:12]|
	v_max_f64 v[19:20], |v[9:10]|, |v[9:10]|
	s_mov_b32 s12, 0x99fcef32
	s_mov_b32 s13, 0x7fda8279
	s_delay_alu instid0(VALU_DEP_1) | instskip(NEXT) | instid1(VALU_DEP_1)
	v_max_f64 v[17:18], v[19:20], v[17:18]
	v_cmp_nle_f64_e64 s1, s[12:13], v[17:18]
                                        ; implicit-def: $sgpr12
	s_delay_alu instid0(VALU_DEP_1) | instskip(NEXT) | instid1(SALU_CYCLE_1)
	s_and_saveexec_b32 s2, s1
	s_xor_b32 s2, exec_lo, s2
	s_cbranch_execz .LBB162_264
; %bb.261:
	v_cmp_ge_f64_e64 s12, 0x200000, |v[9:10]|
	v_cmp_ge_f64_e64 s13, 0x200000, |v[11:12]|
	s_delay_alu instid0(VALU_DEP_1)
	s_and_b32 s14, s12, s13
	s_mov_b32 s12, 0
	s_and_saveexec_b32 s13, s14
; %bb.262:
	v_mul_f64 v[9:10], v[9:10], 4.0
	v_mul_f64 v[11:12], v[11:12], 4.0
	s_mov_b32 s12, exec_lo
; %bb.263:
	s_or_b32 exec_lo, exec_lo, s13
	s_delay_alu instid0(SALU_CYCLE_1)
	s_and_b32 s12, s12, exec_lo
.LBB162_264:
	s_and_not1_saveexec_b32 s2, s2
; %bb.265:
	s_delay_alu instid0(VALU_DEP_2) | instskip(NEXT) | instid1(VALU_DEP_2)
	v_ldexp_f64 v[9:10], v[9:10], -2
	v_ldexp_f64 v[11:12], v[11:12], -2
	s_and_not1_b32 s12, s12, exec_lo
; %bb.266:
	s_or_b32 exec_lo, exec_lo, s2
	s_delay_alu instid0(VALU_DEP_1) | instskip(NEXT) | instid1(VALU_DEP_3)
	v_max_f64 v[17:18], |v[11:12]|, |v[11:12]|
	v_max_f64 v[19:20], |v[9:10]|, |v[9:10]|
	v_cmp_class_f64_e64 s13, v[9:10], 0x204
	v_cmp_class_f64_e64 s14, v[11:12], 0x204
	v_cmp_le_f64_e64 s2, 0, v[9:10]
	s_delay_alu instid0(VALU_DEP_4) | instskip(NEXT) | instid1(VALU_DEP_3)
	v_max_f64 v[17:18], v[19:20], v[17:18]
	s_or_b32 s13, s14, s13
	s_delay_alu instid0(VALU_DEP_1) | instskip(NEXT) | instid1(VALU_DEP_1)
	v_frexp_exp_i32_f64_e32 v27, v[17:18]
	v_sub_nc_u32_e32 v19, 0, v27
	s_delay_alu instid0(VALU_DEP_1) | instskip(SKIP_1) | instid1(VALU_DEP_2)
	v_ldexp_f64 v[17:18], |v[11:12]|, v19
	v_ldexp_f64 v[19:20], |v[9:10]|, v19
	v_mul_f64 v[17:18], v[17:18], v[17:18]
	s_delay_alu instid0(VALU_DEP_1) | instskip(NEXT) | instid1(VALU_DEP_1)
	v_fma_f64 v[17:18], v[19:20], v[19:20], v[17:18]
	v_rsq_f64_e32 v[19:20], v[17:18]
	v_cmp_eq_f64_e32 vcc_lo, 0, v[17:18]
	s_waitcnt_depctr 0xfff
	v_mul_f64 v[22:23], v[17:18], v[19:20]
	v_mul_f64 v[19:20], v[19:20], 0.5
	s_delay_alu instid0(VALU_DEP_1) | instskip(NEXT) | instid1(VALU_DEP_1)
	v_fma_f64 v[24:25], -v[19:20], v[22:23], 0.5
	v_fma_f64 v[22:23], v[22:23], v[24:25], v[22:23]
	v_fma_f64 v[19:20], v[19:20], v[24:25], v[19:20]
	s_delay_alu instid0(VALU_DEP_2) | instskip(NEXT) | instid1(VALU_DEP_1)
	v_fma_f64 v[24:25], -v[22:23], v[22:23], v[17:18]
	v_fma_f64 v[19:20], v[24:25], v[19:20], v[22:23]
	s_delay_alu instid0(VALU_DEP_1) | instskip(SKIP_1) | instid1(VALU_DEP_2)
	v_dual_cndmask_b32 v18, v20, v18 :: v_dual_cndmask_b32 v17, v19, v17
	v_cmp_o_f64_e32 vcc_lo, v[11:12], v[11:12]
	v_ldexp_f64 v[17:18], v[17:18], v27
	s_delay_alu instid0(VALU_DEP_1) | instskip(NEXT) | instid1(VALU_DEP_2)
	v_cndmask_b32_e32 v17, 0, v17, vcc_lo
	v_cndmask_b32_e32 v18, 0x7ff80000, v18, vcc_lo
	s_delay_alu instid0(VALU_DEP_2) | instskip(NEXT) | instid1(VALU_DEP_2)
	v_cndmask_b32_e64 v17, v17, 0, s13
	v_cndmask_b32_e64 v18, v18, 0x7ff00000, s13
	s_and_saveexec_b32 s13, s2
	s_delay_alu instid0(SALU_CYCLE_1)
	s_xor_b32 s2, exec_lo, s13
	s_cbranch_execz .LBB162_272
; %bb.267:
	s_delay_alu instid0(VALU_DEP_1) | instskip(NEXT) | instid1(VALU_DEP_1)
	v_add_f64 v[9:10], v[9:10], v[17:18]
	v_mul_f64 v[9:10], v[9:10], 0.5
	s_delay_alu instid0(VALU_DEP_1) | instskip(SKIP_1) | instid1(VALU_DEP_1)
	v_cmp_gt_f64_e32 vcc_lo, 0x10000000, v[9:10]
	v_cndmask_b32_e64 v17, 0, 1, vcc_lo
	v_lshlrev_b32_e32 v17, 8, v17
	s_delay_alu instid0(VALU_DEP_1) | instskip(NEXT) | instid1(VALU_DEP_1)
	v_ldexp_f64 v[9:10], v[9:10], v17
	v_rsq_f64_e32 v[17:18], v[9:10]
	s_waitcnt_depctr 0xfff
	v_mul_f64 v[19:20], v[9:10], v[17:18]
	v_mul_f64 v[17:18], v[17:18], 0.5
	s_delay_alu instid0(VALU_DEP_1) | instskip(NEXT) | instid1(VALU_DEP_1)
	v_fma_f64 v[22:23], -v[17:18], v[19:20], 0.5
	v_fma_f64 v[19:20], v[19:20], v[22:23], v[19:20]
	v_fma_f64 v[17:18], v[17:18], v[22:23], v[17:18]
	s_delay_alu instid0(VALU_DEP_2) | instskip(NEXT) | instid1(VALU_DEP_1)
	v_fma_f64 v[22:23], -v[19:20], v[19:20], v[9:10]
	v_fma_f64 v[19:20], v[22:23], v[17:18], v[19:20]
	s_delay_alu instid0(VALU_DEP_1) | instskip(NEXT) | instid1(VALU_DEP_1)
	v_fma_f64 v[22:23], -v[19:20], v[19:20], v[9:10]
	v_fma_f64 v[17:18], v[22:23], v[17:18], v[19:20]
	v_cndmask_b32_e64 v19, 0, 0xffffff80, vcc_lo
	v_cmp_class_f64_e64 vcc_lo, v[9:10], 0x260
	s_delay_alu instid0(VALU_DEP_2) | instskip(NEXT) | instid1(VALU_DEP_1)
	v_ldexp_f64 v[17:18], v[17:18], v19
	v_dual_cndmask_b32 v10, v18, v10 :: v_dual_cndmask_b32 v9, v17, v9
	s_delay_alu instid0(VALU_DEP_1) | instskip(NEXT) | instid1(VALU_DEP_1)
	v_add_f64 v[17:18], v[9:10], v[9:10]
	v_div_scale_f64 v[19:20], null, v[17:18], v[17:18], v[11:12]
	s_delay_alu instid0(VALU_DEP_1) | instskip(SKIP_2) | instid1(VALU_DEP_1)
	v_rcp_f64_e32 v[22:23], v[19:20]
	s_waitcnt_depctr 0xfff
	v_fma_f64 v[24:25], -v[19:20], v[22:23], 1.0
	v_fma_f64 v[22:23], v[22:23], v[24:25], v[22:23]
	s_delay_alu instid0(VALU_DEP_1) | instskip(NEXT) | instid1(VALU_DEP_1)
	v_fma_f64 v[24:25], -v[19:20], v[22:23], 1.0
	v_fma_f64 v[22:23], v[22:23], v[24:25], v[22:23]
	v_div_scale_f64 v[24:25], vcc_lo, v[11:12], v[17:18], v[11:12]
	s_delay_alu instid0(VALU_DEP_1) | instskip(NEXT) | instid1(VALU_DEP_1)
	v_mul_f64 v[27:28], v[24:25], v[22:23]
	v_fma_f64 v[19:20], -v[19:20], v[27:28], v[24:25]
	s_delay_alu instid0(VALU_DEP_1) | instskip(NEXT) | instid1(VALU_DEP_1)
	v_div_fmas_f64 v[19:20], v[19:20], v[22:23], v[27:28]
	v_div_fixup_f64 v[11:12], v[19:20], v[17:18], v[11:12]
                                        ; implicit-def: $vgpr17_vgpr18
	s_and_not1_saveexec_b32 s2, s2
	s_cbranch_execnz .LBB162_273
.LBB162_268:
	s_or_b32 exec_lo, exec_lo, s2
	s_and_saveexec_b32 s2, s1
	s_delay_alu instid0(SALU_CYCLE_1)
	s_xor_b32 s1, exec_lo, s2
	s_cbranch_execz .LBB162_274
.LBB162_269:
	s_and_saveexec_b32 s2, s12
; %bb.270:
	s_delay_alu instid0(VALU_DEP_2) | instskip(NEXT) | instid1(VALU_DEP_2)
	v_mul_f64 v[9:10], v[9:10], 0.5
	v_mul_f64 v[11:12], v[11:12], 0.5
; %bb.271:
	s_or_b32 exec_lo, exec_lo, s2
	s_and_not1_saveexec_b32 s1, s1
	s_cbranch_execnz .LBB162_275
	s_branch .LBB162_276
.LBB162_272:
	s_and_not1_saveexec_b32 s2, s2
	s_cbranch_execz .LBB162_268
.LBB162_273:
	v_add_f64 v[9:10], v[17:18], -v[9:10]
	s_delay_alu instid0(VALU_DEP_1) | instskip(NEXT) | instid1(VALU_DEP_1)
	v_mul_f64 v[9:10], v[9:10], 0.5
	v_cmp_gt_f64_e32 vcc_lo, 0x10000000, v[9:10]
	v_cndmask_b32_e64 v17, 0, 1, vcc_lo
	s_delay_alu instid0(VALU_DEP_1) | instskip(NEXT) | instid1(VALU_DEP_1)
	v_lshlrev_b32_e32 v17, 8, v17
	v_ldexp_f64 v[9:10], v[9:10], v17
	s_delay_alu instid0(VALU_DEP_1) | instskip(SKIP_3) | instid1(VALU_DEP_1)
	v_rsq_f64_e32 v[17:18], v[9:10]
	s_waitcnt_depctr 0xfff
	v_mul_f64 v[19:20], v[9:10], v[17:18]
	v_mul_f64 v[17:18], v[17:18], 0.5
	v_fma_f64 v[22:23], -v[17:18], v[19:20], 0.5
	s_delay_alu instid0(VALU_DEP_1) | instskip(SKIP_1) | instid1(VALU_DEP_2)
	v_fma_f64 v[19:20], v[19:20], v[22:23], v[19:20]
	v_fma_f64 v[17:18], v[17:18], v[22:23], v[17:18]
	v_fma_f64 v[22:23], -v[19:20], v[19:20], v[9:10]
	s_delay_alu instid0(VALU_DEP_1) | instskip(NEXT) | instid1(VALU_DEP_1)
	v_fma_f64 v[19:20], v[22:23], v[17:18], v[19:20]
	v_fma_f64 v[22:23], -v[19:20], v[19:20], v[9:10]
	s_delay_alu instid0(VALU_DEP_1) | instskip(SKIP_3) | instid1(VALU_DEP_3)
	v_fma_f64 v[17:18], v[22:23], v[17:18], v[19:20]
	v_cndmask_b32_e64 v19, 0, 0xffffff80, vcc_lo
	v_cmp_class_f64_e64 vcc_lo, v[9:10], 0x260
	v_and_b32_e32 v20, 0x7fffffff, v12
	v_ldexp_f64 v[17:18], v[17:18], v19
	s_delay_alu instid0(VALU_DEP_1) | instskip(NEXT) | instid1(VALU_DEP_1)
	v_dual_cndmask_b32 v18, v18, v10 :: v_dual_cndmask_b32 v17, v17, v9
	v_add_f64 v[9:10], v[17:18], v[17:18]
	v_bfi_b32 v18, 0x7fffffff, v18, v12
	v_mov_b32_e32 v19, v11
	s_delay_alu instid0(VALU_DEP_1) | instskip(SKIP_1) | instid1(VALU_DEP_2)
	v_div_scale_f64 v[22:23], null, v[9:10], v[9:10], v[19:20]
	v_div_scale_f64 v[19:20], vcc_lo, v[19:20], v[9:10], v[19:20]
	v_rcp_f64_e32 v[24:25], v[22:23]
	s_waitcnt_depctr 0xfff
	v_fma_f64 v[27:28], -v[22:23], v[24:25], 1.0
	s_delay_alu instid0(VALU_DEP_1) | instskip(NEXT) | instid1(VALU_DEP_1)
	v_fma_f64 v[24:25], v[24:25], v[27:28], v[24:25]
	v_fma_f64 v[27:28], -v[22:23], v[24:25], 1.0
	s_delay_alu instid0(VALU_DEP_1) | instskip(NEXT) | instid1(VALU_DEP_1)
	v_fma_f64 v[24:25], v[24:25], v[27:28], v[24:25]
	v_mul_f64 v[27:28], v[19:20], v[24:25]
	s_delay_alu instid0(VALU_DEP_1) | instskip(NEXT) | instid1(VALU_DEP_1)
	v_fma_f64 v[19:20], -v[22:23], v[27:28], v[19:20]
	v_div_fmas_f64 v[19:20], v[19:20], v[24:25], v[27:28]
	s_delay_alu instid0(VALU_DEP_1) | instskip(SKIP_3) | instid1(SALU_CYCLE_1)
	v_div_fixup_f64 v[9:10], v[19:20], v[9:10], |v[11:12]|
	v_dual_mov_b32 v11, v17 :: v_dual_mov_b32 v12, v18
	s_or_b32 exec_lo, exec_lo, s2
	s_and_saveexec_b32 s2, s1
	s_xor_b32 s1, exec_lo, s2
	s_cbranch_execnz .LBB162_269
.LBB162_274:
	s_and_not1_saveexec_b32 s1, s1
.LBB162_275:
	s_delay_alu instid0(VALU_DEP_2) | instskip(NEXT) | instid1(VALU_DEP_2)
	v_add_f64 v[9:10], v[9:10], v[9:10]
	v_add_f64 v[11:12], v[11:12], v[11:12]
.LBB162_276:
	s_or_b32 exec_lo, exec_lo, s1
.LBB162_277:
	s_and_not1_saveexec_b32 s1, s11
	s_cbranch_execz .LBB162_283
; %bb.278:
	s_delay_alu instid0(VALU_DEP_1) | instskip(SKIP_1) | instid1(VALU_DEP_3)
	v_add_f64 v[17:18], v[11:12], -v[11:12]
	s_mov_b32 s2, exec_lo
	v_cmpx_lt_i64_e32 -1, v[9:10]
	s_xor_b32 s2, exec_lo, s2
; %bb.279:
	s_delay_alu instid0(VALU_DEP_2) | instskip(NEXT) | instid1(VALU_DEP_1)
	v_bfi_b32 v18, 0x7fffffff, v18, v12
	v_dual_mov_b32 v11, v17 :: v_dual_mov_b32 v12, v18
                                        ; implicit-def: $vgpr17_vgpr18
; %bb.280:
	s_and_not1_saveexec_b32 s2, s2
; %bb.281:
	s_delay_alu instid0(VALU_DEP_1) | instskip(SKIP_1) | instid1(VALU_DEP_2)
	v_bfi_b32 v10, 0x7fffffff, v10, v12
	v_and_b32_e32 v18, 0x7fffffff, v18
	v_dual_mov_b32 v12, v10 :: v_dual_mov_b32 v11, v9
	s_delay_alu instid0(VALU_DEP_2)
	v_dual_mov_b32 v9, v17 :: v_dual_mov_b32 v10, v18
; %bb.282:
	s_or_b32 exec_lo, exec_lo, s2
.LBB162_283:
	s_delay_alu instid0(SALU_CYCLE_1)
	s_or_b32 exec_lo, exec_lo, s1
.LBB162_284:
	s_and_not1_saveexec_b32 s1, s9
; %bb.285:
	s_delay_alu instid0(VALU_DEP_1) | instskip(NEXT) | instid1(VALU_DEP_1)
	v_add_f64 v[11:12], v[11:12], -v[11:12]
	v_div_scale_f64 v[17:18], vcc_lo, v[11:12], v[11:12], v[11:12]
	s_delay_alu instid0(VALU_DEP_1) | instskip(SKIP_2) | instid1(VALU_DEP_1)
	v_rcp_f64_e32 v[19:20], v[17:18]
	s_waitcnt_depctr 0xfff
	v_fma_f64 v[22:23], -v[17:18], v[19:20], 1.0
	v_fma_f64 v[19:20], v[19:20], v[22:23], v[19:20]
	s_delay_alu instid0(VALU_DEP_1) | instskip(NEXT) | instid1(VALU_DEP_1)
	v_fma_f64 v[22:23], -v[17:18], v[19:20], 1.0
	v_fma_f64 v[19:20], v[19:20], v[22:23], v[19:20]
	s_delay_alu instid0(VALU_DEP_1) | instskip(NEXT) | instid1(VALU_DEP_1)
	v_mul_f64 v[22:23], v[17:18], v[19:20]
	v_fma_f64 v[17:18], -v[17:18], v[22:23], v[17:18]
	s_delay_alu instid0(VALU_DEP_1) | instskip(NEXT) | instid1(VALU_DEP_1)
	v_div_fmas_f64 v[17:18], v[17:18], v[19:20], v[22:23]
	v_div_fixup_f64 v[11:12], v[17:18], v[11:12], v[11:12]
; %bb.286:
	s_or_b32 exec_lo, exec_lo, s1
	v_dual_mov_b32 v23, v10 :: v_dual_mov_b32 v22, v9
.LBB162_287:
	s_or_b32 exec_lo, exec_lo, s7
.LBB162_288:
	s_delay_alu instid0(SALU_CYCLE_1) | instskip(NEXT) | instid1(VALU_DEP_1)
	s_or_b32 exec_lo, exec_lo, s6
	v_cmp_gt_f64_e32 vcc_lo, 0, v[22:23]
	s_delay_alu instid0(VALU_DEP_3) | instskip(SKIP_2) | instid1(VALU_DEP_2)
	v_cmp_gt_f64_e64 s1, 0, v[11:12]
	v_xor_b32_e32 v9, 0x80000000, v23
	v_xor_b32_e32 v17, 0x80000000, v12
	v_dual_cndmask_b32 v10, v23, v9 :: v_dual_cndmask_b32 v9, v22, v22
	s_delay_alu instid0(VALU_DEP_2) | instskip(SKIP_2) | instid1(VALU_DEP_1)
	v_cndmask_b32_e64 v25, v12, v17, s1
	v_cndmask_b32_e64 v24, v11, v11, s1
                                        ; implicit-def: $vgpr17_vgpr18
	s_mov_b32 s1, exec_lo
	v_cmpx_ge_f64_e32 v[9:10], v[24:25]
	s_xor_b32 s2, exec_lo, s1
	s_cbranch_execz .LBB162_294
; %bb.289:
	v_cmp_neq_f64_e32 vcc_lo, 0, v[22:23]
	v_cmp_neq_f64_e64 s1, 0, v[11:12]
                                        ; implicit-def: $vgpr17_vgpr18
	s_delay_alu instid0(VALU_DEP_1) | instskip(NEXT) | instid1(SALU_CYCLE_1)
	s_or_b32 s1, vcc_lo, s1
	s_and_saveexec_b32 s6, s1
	s_delay_alu instid0(SALU_CYCLE_1)
	s_xor_b32 s1, exec_lo, s6
	s_cbranch_execz .LBB162_291
; %bb.290:
	v_div_scale_f64 v[9:10], null, v[22:23], v[22:23], v[11:12]
	v_div_scale_f64 v[24:25], vcc_lo, v[11:12], v[22:23], v[11:12]
	s_delay_alu instid0(VALU_DEP_2) | instskip(SKIP_2) | instid1(VALU_DEP_1)
	v_rcp_f64_e32 v[17:18], v[9:10]
	s_waitcnt_depctr 0xfff
	v_fma_f64 v[19:20], -v[9:10], v[17:18], 1.0
	v_fma_f64 v[17:18], v[17:18], v[19:20], v[17:18]
	s_delay_alu instid0(VALU_DEP_1) | instskip(NEXT) | instid1(VALU_DEP_1)
	v_fma_f64 v[19:20], -v[9:10], v[17:18], 1.0
	v_fma_f64 v[17:18], v[17:18], v[19:20], v[17:18]
	s_delay_alu instid0(VALU_DEP_1) | instskip(NEXT) | instid1(VALU_DEP_1)
	v_mul_f64 v[19:20], v[24:25], v[17:18]
	v_fma_f64 v[9:10], -v[9:10], v[19:20], v[24:25]
	s_delay_alu instid0(VALU_DEP_1) | instskip(NEXT) | instid1(VALU_DEP_1)
	v_div_fmas_f64 v[9:10], v[9:10], v[17:18], v[19:20]
	v_div_fixup_f64 v[9:10], v[9:10], v[22:23], v[11:12]
	s_delay_alu instid0(VALU_DEP_1) | instskip(NEXT) | instid1(VALU_DEP_1)
	v_fma_f64 v[11:12], v[11:12], v[9:10], v[22:23]
	v_div_scale_f64 v[17:18], null, v[11:12], v[11:12], 1.0
	v_div_scale_f64 v[24:25], vcc_lo, 1.0, v[11:12], 1.0
	s_delay_alu instid0(VALU_DEP_2) | instskip(SKIP_2) | instid1(VALU_DEP_1)
	v_rcp_f64_e32 v[19:20], v[17:18]
	s_waitcnt_depctr 0xfff
	v_fma_f64 v[22:23], -v[17:18], v[19:20], 1.0
	v_fma_f64 v[19:20], v[19:20], v[22:23], v[19:20]
	s_delay_alu instid0(VALU_DEP_1) | instskip(NEXT) | instid1(VALU_DEP_1)
	v_fma_f64 v[22:23], -v[17:18], v[19:20], 1.0
	v_fma_f64 v[19:20], v[19:20], v[22:23], v[19:20]
	s_delay_alu instid0(VALU_DEP_1) | instskip(NEXT) | instid1(VALU_DEP_1)
	v_mul_f64 v[22:23], v[24:25], v[19:20]
	v_fma_f64 v[17:18], -v[17:18], v[22:23], v[24:25]
                                        ; implicit-def: $vgpr24_vgpr25
	s_delay_alu instid0(VALU_DEP_1) | instskip(SKIP_2) | instid1(VALU_DEP_3)
	v_div_fmas_f64 v[17:18], v[17:18], v[19:20], v[22:23]
	v_fma_f64 v[19:20], v[9:10], 0, 1.0
	v_add_f64 v[9:10], -v[9:10], 0
	v_div_fixup_f64 v[11:12], v[17:18], v[11:12], 1.0
	s_delay_alu instid0(VALU_DEP_1) | instskip(NEXT) | instid1(VALU_DEP_3)
	v_mul_f64 v[17:18], v[19:20], v[11:12]
	v_mul_f64 v[19:20], v[9:10], v[11:12]
                                        ; implicit-def: $vgpr9_vgpr10
.LBB162_291:
	s_and_not1_saveexec_b32 s6, s1
	s_cbranch_execz .LBB162_293
; %bb.292:
	v_div_scale_f64 v[11:12], null, v[9:10], v[9:10], 1.0
	v_div_scale_f64 v[17:18], null, v[24:25], v[24:25], 0
	v_div_scale_f64 v[31:32], vcc_lo, 1.0, v[9:10], 1.0
	s_delay_alu instid0(VALU_DEP_3) | instskip(NEXT) | instid1(VALU_DEP_2)
	v_rcp_f64_e32 v[19:20], v[11:12]
	v_rcp_f64_e32 v[22:23], v[17:18]
	s_waitcnt_depctr 0xfff
	v_fma_f64 v[27:28], -v[11:12], v[19:20], 1.0
	v_fma_f64 v[29:30], -v[17:18], v[22:23], 1.0
	s_delay_alu instid0(VALU_DEP_2) | instskip(NEXT) | instid1(VALU_DEP_2)
	v_fma_f64 v[19:20], v[19:20], v[27:28], v[19:20]
	v_fma_f64 v[22:23], v[22:23], v[29:30], v[22:23]
	s_delay_alu instid0(VALU_DEP_2) | instskip(NEXT) | instid1(VALU_DEP_2)
	v_fma_f64 v[27:28], -v[11:12], v[19:20], 1.0
	v_fma_f64 v[29:30], -v[17:18], v[22:23], 1.0
	s_delay_alu instid0(VALU_DEP_2) | instskip(SKIP_1) | instid1(VALU_DEP_3)
	v_fma_f64 v[19:20], v[19:20], v[27:28], v[19:20]
	v_div_scale_f64 v[27:28], s1, 0, v[24:25], 0
	v_fma_f64 v[22:23], v[22:23], v[29:30], v[22:23]
	s_delay_alu instid0(VALU_DEP_3) | instskip(NEXT) | instid1(VALU_DEP_2)
	v_mul_f64 v[29:30], v[31:32], v[19:20]
	v_mul_f64 v[33:34], v[27:28], v[22:23]
	s_delay_alu instid0(VALU_DEP_2) | instskip(NEXT) | instid1(VALU_DEP_2)
	v_fma_f64 v[11:12], -v[11:12], v[29:30], v[31:32]
	v_fma_f64 v[17:18], -v[17:18], v[33:34], v[27:28]
	s_delay_alu instid0(VALU_DEP_2) | instskip(SKIP_1) | instid1(VALU_DEP_2)
	v_div_fmas_f64 v[11:12], v[11:12], v[19:20], v[29:30]
	s_mov_b32 vcc_lo, s1
	v_div_fmas_f64 v[19:20], v[17:18], v[22:23], v[33:34]
	s_delay_alu instid0(VALU_DEP_2) | instskip(NEXT) | instid1(VALU_DEP_2)
	v_div_fixup_f64 v[17:18], v[11:12], v[9:10], 1.0
	v_div_fixup_f64 v[19:20], v[19:20], v[24:25], 0
.LBB162_293:
	s_or_b32 exec_lo, exec_lo, s6
                                        ; implicit-def: $vgpr11_vgpr12
                                        ; implicit-def: $vgpr22_vgpr23
.LBB162_294:
	s_and_not1_saveexec_b32 s1, s2
	s_cbranch_execz .LBB162_296
; %bb.295:
	v_div_scale_f64 v[9:10], null, v[11:12], v[11:12], v[22:23]
	v_div_scale_f64 v[24:25], vcc_lo, v[22:23], v[11:12], v[22:23]
	s_delay_alu instid0(VALU_DEP_2) | instskip(SKIP_2) | instid1(VALU_DEP_1)
	v_rcp_f64_e32 v[17:18], v[9:10]
	s_waitcnt_depctr 0xfff
	v_fma_f64 v[19:20], -v[9:10], v[17:18], 1.0
	v_fma_f64 v[17:18], v[17:18], v[19:20], v[17:18]
	s_delay_alu instid0(VALU_DEP_1) | instskip(NEXT) | instid1(VALU_DEP_1)
	v_fma_f64 v[19:20], -v[9:10], v[17:18], 1.0
	v_fma_f64 v[17:18], v[17:18], v[19:20], v[17:18]
	s_delay_alu instid0(VALU_DEP_1) | instskip(NEXT) | instid1(VALU_DEP_1)
	v_mul_f64 v[19:20], v[24:25], v[17:18]
	v_fma_f64 v[9:10], -v[9:10], v[19:20], v[24:25]
	s_delay_alu instid0(VALU_DEP_1) | instskip(NEXT) | instid1(VALU_DEP_1)
	v_div_fmas_f64 v[9:10], v[9:10], v[17:18], v[19:20]
	v_div_fixup_f64 v[9:10], v[9:10], v[11:12], v[22:23]
	s_delay_alu instid0(VALU_DEP_1) | instskip(NEXT) | instid1(VALU_DEP_1)
	v_fma_f64 v[11:12], v[22:23], v[9:10], v[11:12]
	v_div_scale_f64 v[17:18], null, v[11:12], v[11:12], 1.0
	v_div_scale_f64 v[24:25], vcc_lo, 1.0, v[11:12], 1.0
	s_delay_alu instid0(VALU_DEP_2) | instskip(SKIP_2) | instid1(VALU_DEP_1)
	v_rcp_f64_e32 v[19:20], v[17:18]
	s_waitcnt_depctr 0xfff
	v_fma_f64 v[22:23], -v[17:18], v[19:20], 1.0
	v_fma_f64 v[19:20], v[19:20], v[22:23], v[19:20]
	s_delay_alu instid0(VALU_DEP_1) | instskip(NEXT) | instid1(VALU_DEP_1)
	v_fma_f64 v[22:23], -v[17:18], v[19:20], 1.0
	v_fma_f64 v[19:20], v[19:20], v[22:23], v[19:20]
	s_delay_alu instid0(VALU_DEP_1) | instskip(NEXT) | instid1(VALU_DEP_1)
	v_mul_f64 v[22:23], v[24:25], v[19:20]
	v_fma_f64 v[17:18], -v[17:18], v[22:23], v[24:25]
	s_delay_alu instid0(VALU_DEP_1) | instskip(SKIP_2) | instid1(VALU_DEP_3)
	v_div_fmas_f64 v[17:18], v[17:18], v[19:20], v[22:23]
	v_add_f64 v[19:20], v[9:10], 0
	v_fma_f64 v[9:10], v[9:10], 0, -1.0
	v_div_fixup_f64 v[11:12], v[17:18], v[11:12], 1.0
	s_delay_alu instid0(VALU_DEP_1) | instskip(NEXT) | instid1(VALU_DEP_3)
	v_mul_f64 v[17:18], v[19:20], v[11:12]
	v_mul_f64 v[19:20], v[9:10], v[11:12]
.LBB162_296:
	s_or_b32 exec_lo, exec_lo, s1
.LBB162_297:
	s_delay_alu instid0(SALU_CYCLE_1) | instskip(SKIP_3) | instid1(VALU_DEP_2)
	s_or_b32 exec_lo, exec_lo, s3
	v_mov_b32_e32 v9, 0
	v_or_b32_e32 v11, 0x300, v0
	v_mov_b32_e32 v10, 0
	v_cmp_gt_i32_e32 vcc_lo, s10, v11
	s_delay_alu instid0(VALU_DEP_2)
	v_dual_mov_b32 v12, v10 :: v_dual_mov_b32 v11, v9
	s_and_saveexec_b32 s3, vcc_lo
	s_cbranch_execz .LBB162_314
; %bb.298:
	v_cmp_neq_f64_e32 vcc_lo, 0, v[1:2]
	v_cmp_neq_f64_e64 s1, 0, v[3:4]
	v_mov_b32_e32 v22, 0
	v_mov_b32_e32 v23, 0
	s_delay_alu instid0(VALU_DEP_3) | instskip(NEXT) | instid1(SALU_CYCLE_1)
	s_or_b32 s1, vcc_lo, s1
	s_and_saveexec_b32 s6, s1
	s_cbranch_execz .LBB162_334
; %bb.299:
	s_mov_b32 s12, 0
	s_mov_b32 s13, 0x7ff00000
	v_mov_b32_e32 v22, s12
	v_mov_b32_e32 v23, s13
	s_mov_b32 s7, exec_lo
	v_cmpx_neq_f64_e64 0x7ff00000, |v[3:4]|
	s_cbranch_execz .LBB162_333
; %bb.300:
	s_mov_b32 s1, exec_lo
	v_cmpx_o_f64_e32 v[1:2], v[1:2]
	s_xor_b32 s9, exec_lo, s1
	s_cbranch_execz .LBB162_330
; %bb.301:
	s_mov_b32 s2, exec_lo
	v_cmpx_neq_f64_e64 0x7ff00000, |v[1:2]|
	s_xor_b32 s11, exec_lo, s2
	s_cbranch_execz .LBB162_323
; %bb.302:
	v_max_f64 v[9:10], |v[3:4]|, |v[3:4]|
	v_max_f64 v[11:12], |v[1:2]|, |v[1:2]|
	s_mov_b32 s12, 0x99fcef32
	s_mov_b32 s13, 0x7fda8279
	s_delay_alu instid0(VALU_DEP_1) | instskip(NEXT) | instid1(VALU_DEP_1)
	v_max_f64 v[9:10], v[11:12], v[9:10]
	v_cmp_nle_f64_e64 s1, s[12:13], v[9:10]
                                        ; implicit-def: $sgpr12
	s_delay_alu instid0(VALU_DEP_1) | instskip(NEXT) | instid1(SALU_CYCLE_1)
	s_and_saveexec_b32 s2, s1
	s_xor_b32 s2, exec_lo, s2
	s_cbranch_execz .LBB162_306
; %bb.303:
	v_cmp_ge_f64_e64 s12, 0x200000, |v[1:2]|
	v_cmp_ge_f64_e64 s13, 0x200000, |v[3:4]|
	s_delay_alu instid0(VALU_DEP_1)
	s_and_b32 s14, s12, s13
	s_mov_b32 s12, 0
	s_and_saveexec_b32 s13, s14
; %bb.304:
	v_mul_f64 v[1:2], v[1:2], 4.0
	v_mul_f64 v[3:4], v[3:4], 4.0
	s_mov_b32 s12, exec_lo
; %bb.305:
	s_or_b32 exec_lo, exec_lo, s13
	s_delay_alu instid0(SALU_CYCLE_1)
	s_and_b32 s12, s12, exec_lo
.LBB162_306:
	s_and_not1_saveexec_b32 s2, s2
; %bb.307:
	s_delay_alu instid0(VALU_DEP_2) | instskip(NEXT) | instid1(VALU_DEP_2)
	v_ldexp_f64 v[1:2], v[1:2], -2
	v_ldexp_f64 v[3:4], v[3:4], -2
	s_and_not1_b32 s12, s12, exec_lo
; %bb.308:
	s_or_b32 exec_lo, exec_lo, s2
	s_delay_alu instid0(VALU_DEP_1) | instskip(NEXT) | instid1(VALU_DEP_3)
	v_max_f64 v[9:10], |v[3:4]|, |v[3:4]|
	v_max_f64 v[11:12], |v[1:2]|, |v[1:2]|
	v_cmp_class_f64_e64 s13, v[1:2], 0x204
	v_cmp_class_f64_e64 s14, v[3:4], 0x204
	v_cmp_le_f64_e64 s2, 0, v[1:2]
	s_delay_alu instid0(VALU_DEP_4) | instskip(NEXT) | instid1(VALU_DEP_3)
	v_max_f64 v[9:10], v[11:12], v[9:10]
	s_or_b32 s13, s14, s13
	s_delay_alu instid0(VALU_DEP_1) | instskip(NEXT) | instid1(VALU_DEP_1)
	v_frexp_exp_i32_f64_e32 v27, v[9:10]
	v_sub_nc_u32_e32 v11, 0, v27
	s_delay_alu instid0(VALU_DEP_1) | instskip(SKIP_1) | instid1(VALU_DEP_2)
	v_ldexp_f64 v[9:10], |v[3:4]|, v11
	v_ldexp_f64 v[11:12], |v[1:2]|, v11
	v_mul_f64 v[9:10], v[9:10], v[9:10]
	s_delay_alu instid0(VALU_DEP_1) | instskip(NEXT) | instid1(VALU_DEP_1)
	v_fma_f64 v[9:10], v[11:12], v[11:12], v[9:10]
	v_rsq_f64_e32 v[11:12], v[9:10]
	v_cmp_eq_f64_e32 vcc_lo, 0, v[9:10]
	s_waitcnt_depctr 0xfff
	v_mul_f64 v[22:23], v[9:10], v[11:12]
	v_mul_f64 v[11:12], v[11:12], 0.5
	s_delay_alu instid0(VALU_DEP_1) | instskip(NEXT) | instid1(VALU_DEP_1)
	v_fma_f64 v[24:25], -v[11:12], v[22:23], 0.5
	v_fma_f64 v[22:23], v[22:23], v[24:25], v[22:23]
	v_fma_f64 v[11:12], v[11:12], v[24:25], v[11:12]
	s_delay_alu instid0(VALU_DEP_2) | instskip(NEXT) | instid1(VALU_DEP_1)
	v_fma_f64 v[24:25], -v[22:23], v[22:23], v[9:10]
	v_fma_f64 v[11:12], v[24:25], v[11:12], v[22:23]
	s_delay_alu instid0(VALU_DEP_1) | instskip(SKIP_1) | instid1(VALU_DEP_2)
	v_dual_cndmask_b32 v10, v12, v10 :: v_dual_cndmask_b32 v9, v11, v9
	v_cmp_o_f64_e32 vcc_lo, v[3:4], v[3:4]
	v_ldexp_f64 v[9:10], v[9:10], v27
	s_delay_alu instid0(VALU_DEP_1) | instskip(NEXT) | instid1(VALU_DEP_2)
	v_cndmask_b32_e32 v9, 0, v9, vcc_lo
	v_cndmask_b32_e32 v10, 0x7ff80000, v10, vcc_lo
	s_delay_alu instid0(VALU_DEP_2) | instskip(NEXT) | instid1(VALU_DEP_2)
	v_cndmask_b32_e64 v9, v9, 0, s13
	v_cndmask_b32_e64 v10, v10, 0x7ff00000, s13
	s_and_saveexec_b32 s13, s2
	s_delay_alu instid0(SALU_CYCLE_1)
	s_xor_b32 s2, exec_lo, s13
	s_cbranch_execz .LBB162_318
; %bb.309:
	s_delay_alu instid0(VALU_DEP_1) | instskip(NEXT) | instid1(VALU_DEP_1)
	v_add_f64 v[1:2], v[1:2], v[9:10]
	v_mul_f64 v[1:2], v[1:2], 0.5
	s_delay_alu instid0(VALU_DEP_1) | instskip(SKIP_1) | instid1(VALU_DEP_1)
	v_cmp_gt_f64_e32 vcc_lo, 0x10000000, v[1:2]
	v_cndmask_b32_e64 v9, 0, 1, vcc_lo
	v_lshlrev_b32_e32 v9, 8, v9
	s_delay_alu instid0(VALU_DEP_1) | instskip(NEXT) | instid1(VALU_DEP_1)
	v_ldexp_f64 v[1:2], v[1:2], v9
	v_rsq_f64_e32 v[9:10], v[1:2]
	s_waitcnt_depctr 0xfff
	v_mul_f64 v[11:12], v[1:2], v[9:10]
	v_mul_f64 v[9:10], v[9:10], 0.5
	s_delay_alu instid0(VALU_DEP_1) | instskip(NEXT) | instid1(VALU_DEP_1)
	v_fma_f64 v[22:23], -v[9:10], v[11:12], 0.5
	v_fma_f64 v[11:12], v[11:12], v[22:23], v[11:12]
	v_fma_f64 v[9:10], v[9:10], v[22:23], v[9:10]
	s_delay_alu instid0(VALU_DEP_2) | instskip(NEXT) | instid1(VALU_DEP_1)
	v_fma_f64 v[22:23], -v[11:12], v[11:12], v[1:2]
	v_fma_f64 v[11:12], v[22:23], v[9:10], v[11:12]
	s_delay_alu instid0(VALU_DEP_1) | instskip(NEXT) | instid1(VALU_DEP_1)
	v_fma_f64 v[22:23], -v[11:12], v[11:12], v[1:2]
	v_fma_f64 v[9:10], v[22:23], v[9:10], v[11:12]
	v_cndmask_b32_e64 v11, 0, 0xffffff80, vcc_lo
	v_cmp_class_f64_e64 vcc_lo, v[1:2], 0x260
	s_delay_alu instid0(VALU_DEP_2) | instskip(NEXT) | instid1(VALU_DEP_1)
	v_ldexp_f64 v[9:10], v[9:10], v11
	v_dual_cndmask_b32 v2, v10, v2 :: v_dual_cndmask_b32 v1, v9, v1
	s_delay_alu instid0(VALU_DEP_1) | instskip(NEXT) | instid1(VALU_DEP_1)
	v_add_f64 v[9:10], v[1:2], v[1:2]
	v_div_scale_f64 v[11:12], null, v[9:10], v[9:10], v[3:4]
	s_delay_alu instid0(VALU_DEP_1) | instskip(SKIP_2) | instid1(VALU_DEP_1)
	v_rcp_f64_e32 v[22:23], v[11:12]
	s_waitcnt_depctr 0xfff
	v_fma_f64 v[24:25], -v[11:12], v[22:23], 1.0
	v_fma_f64 v[22:23], v[22:23], v[24:25], v[22:23]
	s_delay_alu instid0(VALU_DEP_1) | instskip(NEXT) | instid1(VALU_DEP_1)
	v_fma_f64 v[24:25], -v[11:12], v[22:23], 1.0
	v_fma_f64 v[22:23], v[22:23], v[24:25], v[22:23]
	v_div_scale_f64 v[24:25], vcc_lo, v[3:4], v[9:10], v[3:4]
	s_delay_alu instid0(VALU_DEP_1) | instskip(NEXT) | instid1(VALU_DEP_1)
	v_mul_f64 v[27:28], v[24:25], v[22:23]
	v_fma_f64 v[11:12], -v[11:12], v[27:28], v[24:25]
	s_delay_alu instid0(VALU_DEP_1) | instskip(NEXT) | instid1(VALU_DEP_1)
	v_div_fmas_f64 v[11:12], v[11:12], v[22:23], v[27:28]
	v_div_fixup_f64 v[3:4], v[11:12], v[9:10], v[3:4]
                                        ; implicit-def: $vgpr9_vgpr10
	s_and_not1_saveexec_b32 s2, s2
	s_cbranch_execnz .LBB162_319
.LBB162_310:
	s_or_b32 exec_lo, exec_lo, s2
	s_and_saveexec_b32 s2, s1
	s_delay_alu instid0(SALU_CYCLE_1)
	s_xor_b32 s1, exec_lo, s2
	s_cbranch_execz .LBB162_320
.LBB162_311:
	s_and_saveexec_b32 s2, s12
; %bb.312:
	s_delay_alu instid0(VALU_DEP_2) | instskip(NEXT) | instid1(VALU_DEP_2)
	v_mul_f64 v[1:2], v[1:2], 0.5
	v_mul_f64 v[3:4], v[3:4], 0.5
; %bb.313:
	s_or_b32 exec_lo, exec_lo, s2
	s_and_not1_saveexec_b32 s1, s1
	s_cbranch_execnz .LBB162_321
	s_branch .LBB162_322
.LBB162_314:
	s_or_b32 exec_lo, exec_lo, s3
	s_and_saveexec_b32 s1, s0
	s_delay_alu instid0(SALU_CYCLE_1)
	s_xor_b32 s0, exec_lo, s1
	s_cbranch_execz .LBB162_343
.LBB162_315:
	v_mov_b32_e32 v22, 0
	s_delay_alu instid0(VALU_DEP_1) | instskip(NEXT) | instid1(VALU_DEP_1)
	v_lshlrev_b64 v[0:1], 4, v[21:22]
	v_add_co_u32 v2, vcc_lo, s4, v0
	s_delay_alu instid0(VALU_DEP_2) | instskip(SKIP_3) | instid1(SALU_CYCLE_1)
	v_add_co_ci_u32_e32 v3, vcc_lo, s5, v1, vcc_lo
	v_mov_b32_e32 v0, v26
	global_store_b128 v[2:3], v[5:8], off
	s_or_b32 exec_lo, exec_lo, s0
	s_mov_b32 s0, exec_lo
	v_cmpx_gt_i32_e64 s10, v0
	s_cbranch_execnz .LBB162_344
.LBB162_316:
	s_or_b32 exec_lo, exec_lo, s0
	s_delay_alu instid0(SALU_CYCLE_1)
	s_mov_b32 s0, exec_lo
	v_cmpx_gt_i32_e64 s10, v0
	s_cbranch_execz .LBB162_345
.LBB162_317:
	v_dual_mov_b32 v2, 0 :: v_dual_add_nc_u32 v1, s8, v0
	v_add_nc_u32_e32 v0, 0x100, v0
	s_delay_alu instid0(VALU_DEP_2) | instskip(NEXT) | instid1(VALU_DEP_1)
	v_lshlrev_b64 v[1:2], 4, v[1:2]
	v_add_co_u32 v1, vcc_lo, s4, v1
	s_delay_alu instid0(VALU_DEP_2) | instskip(SKIP_2) | instid1(SALU_CYCLE_1)
	v_add_co_ci_u32_e32 v2, vcc_lo, s5, v2, vcc_lo
	global_store_b128 v[1:2], v[17:20], off
	s_or_b32 exec_lo, exec_lo, s0
	s_mov_b32 s0, exec_lo
	v_cmpx_gt_i32_e64 s10, v0
	s_cbranch_execnz .LBB162_346
	s_branch .LBB162_347
.LBB162_318:
	s_and_not1_saveexec_b32 s2, s2
	s_cbranch_execz .LBB162_310
.LBB162_319:
	v_add_f64 v[1:2], v[9:10], -v[1:2]
	s_delay_alu instid0(VALU_DEP_1) | instskip(NEXT) | instid1(VALU_DEP_1)
	v_mul_f64 v[1:2], v[1:2], 0.5
	v_cmp_gt_f64_e32 vcc_lo, 0x10000000, v[1:2]
	v_cndmask_b32_e64 v9, 0, 1, vcc_lo
	s_delay_alu instid0(VALU_DEP_1) | instskip(NEXT) | instid1(VALU_DEP_1)
	v_lshlrev_b32_e32 v9, 8, v9
	v_ldexp_f64 v[1:2], v[1:2], v9
	s_delay_alu instid0(VALU_DEP_1) | instskip(SKIP_3) | instid1(VALU_DEP_1)
	v_rsq_f64_e32 v[9:10], v[1:2]
	s_waitcnt_depctr 0xfff
	v_mul_f64 v[11:12], v[1:2], v[9:10]
	v_mul_f64 v[9:10], v[9:10], 0.5
	v_fma_f64 v[22:23], -v[9:10], v[11:12], 0.5
	s_delay_alu instid0(VALU_DEP_1) | instskip(SKIP_1) | instid1(VALU_DEP_2)
	v_fma_f64 v[11:12], v[11:12], v[22:23], v[11:12]
	v_fma_f64 v[9:10], v[9:10], v[22:23], v[9:10]
	v_fma_f64 v[22:23], -v[11:12], v[11:12], v[1:2]
	s_delay_alu instid0(VALU_DEP_1) | instskip(NEXT) | instid1(VALU_DEP_1)
	v_fma_f64 v[11:12], v[22:23], v[9:10], v[11:12]
	v_fma_f64 v[22:23], -v[11:12], v[11:12], v[1:2]
	s_delay_alu instid0(VALU_DEP_1) | instskip(SKIP_3) | instid1(VALU_DEP_3)
	v_fma_f64 v[9:10], v[22:23], v[9:10], v[11:12]
	v_cndmask_b32_e64 v11, 0, 0xffffff80, vcc_lo
	v_cmp_class_f64_e64 vcc_lo, v[1:2], 0x260
	v_and_b32_e32 v12, 0x7fffffff, v4
	v_ldexp_f64 v[9:10], v[9:10], v11
	s_delay_alu instid0(VALU_DEP_1) | instskip(NEXT) | instid1(VALU_DEP_1)
	v_dual_cndmask_b32 v10, v10, v2 :: v_dual_cndmask_b32 v9, v9, v1
	v_add_f64 v[1:2], v[9:10], v[9:10]
	v_bfi_b32 v10, 0x7fffffff, v10, v4
	v_mov_b32_e32 v11, v3
	s_delay_alu instid0(VALU_DEP_1) | instskip(SKIP_1) | instid1(VALU_DEP_2)
	v_div_scale_f64 v[22:23], null, v[1:2], v[1:2], v[11:12]
	v_div_scale_f64 v[11:12], vcc_lo, v[11:12], v[1:2], v[11:12]
	v_rcp_f64_e32 v[24:25], v[22:23]
	s_waitcnt_depctr 0xfff
	v_fma_f64 v[27:28], -v[22:23], v[24:25], 1.0
	s_delay_alu instid0(VALU_DEP_1) | instskip(NEXT) | instid1(VALU_DEP_1)
	v_fma_f64 v[24:25], v[24:25], v[27:28], v[24:25]
	v_fma_f64 v[27:28], -v[22:23], v[24:25], 1.0
	s_delay_alu instid0(VALU_DEP_1) | instskip(NEXT) | instid1(VALU_DEP_1)
	v_fma_f64 v[24:25], v[24:25], v[27:28], v[24:25]
	v_mul_f64 v[27:28], v[11:12], v[24:25]
	s_delay_alu instid0(VALU_DEP_1) | instskip(NEXT) | instid1(VALU_DEP_1)
	v_fma_f64 v[11:12], -v[22:23], v[27:28], v[11:12]
	v_div_fmas_f64 v[11:12], v[11:12], v[24:25], v[27:28]
	s_delay_alu instid0(VALU_DEP_1) | instskip(SKIP_3) | instid1(SALU_CYCLE_1)
	v_div_fixup_f64 v[1:2], v[11:12], v[1:2], |v[3:4]|
	v_dual_mov_b32 v3, v9 :: v_dual_mov_b32 v4, v10
	s_or_b32 exec_lo, exec_lo, s2
	s_and_saveexec_b32 s2, s1
	s_xor_b32 s1, exec_lo, s2
	s_cbranch_execnz .LBB162_311
.LBB162_320:
	s_and_not1_saveexec_b32 s1, s1
.LBB162_321:
	s_delay_alu instid0(VALU_DEP_2) | instskip(NEXT) | instid1(VALU_DEP_2)
	v_add_f64 v[1:2], v[1:2], v[1:2]
	v_add_f64 v[3:4], v[3:4], v[3:4]
.LBB162_322:
	s_or_b32 exec_lo, exec_lo, s1
.LBB162_323:
	s_and_not1_saveexec_b32 s1, s11
	s_cbranch_execz .LBB162_329
; %bb.324:
	s_delay_alu instid0(VALU_DEP_1) | instskip(SKIP_1) | instid1(VALU_DEP_3)
	v_add_f64 v[9:10], v[3:4], -v[3:4]
	s_mov_b32 s2, exec_lo
	v_cmpx_lt_i64_e32 -1, v[1:2]
	s_xor_b32 s2, exec_lo, s2
; %bb.325:
	s_delay_alu instid0(VALU_DEP_2) | instskip(NEXT) | instid1(VALU_DEP_1)
	v_bfi_b32 v10, 0x7fffffff, v10, v4
	v_dual_mov_b32 v3, v9 :: v_dual_mov_b32 v4, v10
                                        ; implicit-def: $vgpr9_vgpr10
; %bb.326:
	s_and_not1_saveexec_b32 s2, s2
; %bb.327:
	s_delay_alu instid0(VALU_DEP_1) | instskip(SKIP_1) | instid1(VALU_DEP_2)
	v_bfi_b32 v2, 0x7fffffff, v2, v4
	v_and_b32_e32 v10, 0x7fffffff, v10
	v_dual_mov_b32 v4, v2 :: v_dual_mov_b32 v3, v1
	s_delay_alu instid0(VALU_DEP_2)
	v_dual_mov_b32 v1, v9 :: v_dual_mov_b32 v2, v10
; %bb.328:
	s_or_b32 exec_lo, exec_lo, s2
.LBB162_329:
	s_delay_alu instid0(SALU_CYCLE_1)
	s_or_b32 exec_lo, exec_lo, s1
.LBB162_330:
	s_and_not1_saveexec_b32 s1, s9
; %bb.331:
	s_delay_alu instid0(VALU_DEP_1) | instskip(NEXT) | instid1(VALU_DEP_1)
	v_add_f64 v[3:4], v[3:4], -v[3:4]
	v_div_scale_f64 v[9:10], vcc_lo, v[3:4], v[3:4], v[3:4]
	s_delay_alu instid0(VALU_DEP_1) | instskip(SKIP_2) | instid1(VALU_DEP_1)
	v_rcp_f64_e32 v[11:12], v[9:10]
	s_waitcnt_depctr 0xfff
	v_fma_f64 v[22:23], -v[9:10], v[11:12], 1.0
	v_fma_f64 v[11:12], v[11:12], v[22:23], v[11:12]
	s_delay_alu instid0(VALU_DEP_1) | instskip(NEXT) | instid1(VALU_DEP_1)
	v_fma_f64 v[22:23], -v[9:10], v[11:12], 1.0
	v_fma_f64 v[11:12], v[11:12], v[22:23], v[11:12]
	s_delay_alu instid0(VALU_DEP_1) | instskip(NEXT) | instid1(VALU_DEP_1)
	v_mul_f64 v[22:23], v[9:10], v[11:12]
	v_fma_f64 v[9:10], -v[9:10], v[22:23], v[9:10]
	s_delay_alu instid0(VALU_DEP_1) | instskip(NEXT) | instid1(VALU_DEP_1)
	v_div_fmas_f64 v[9:10], v[9:10], v[11:12], v[22:23]
	v_div_fixup_f64 v[3:4], v[9:10], v[3:4], v[3:4]
; %bb.332:
	s_or_b32 exec_lo, exec_lo, s1
	v_dual_mov_b32 v23, v2 :: v_dual_mov_b32 v22, v1
.LBB162_333:
	s_or_b32 exec_lo, exec_lo, s7
.LBB162_334:
	s_delay_alu instid0(SALU_CYCLE_1) | instskip(NEXT) | instid1(VALU_DEP_1)
	s_or_b32 exec_lo, exec_lo, s6
	v_cmp_gt_f64_e32 vcc_lo, 0, v[22:23]
	s_delay_alu instid0(VALU_DEP_3) | instskip(SKIP_2) | instid1(VALU_DEP_2)
	v_cmp_gt_f64_e64 s1, 0, v[3:4]
	v_xor_b32_e32 v1, 0x80000000, v23
	v_xor_b32_e32 v9, 0x80000000, v4
	v_dual_cndmask_b32 v2, v23, v1 :: v_dual_cndmask_b32 v1, v22, v22
	s_delay_alu instid0(VALU_DEP_2) | instskip(SKIP_2) | instid1(VALU_DEP_1)
	v_cndmask_b32_e64 v25, v4, v9, s1
	v_cndmask_b32_e64 v24, v3, v3, s1
                                        ; implicit-def: $vgpr9_vgpr10
	s_mov_b32 s1, exec_lo
	v_cmpx_ge_f64_e32 v[1:2], v[24:25]
	s_xor_b32 s2, exec_lo, s1
	s_cbranch_execz .LBB162_340
; %bb.335:
	v_cmp_neq_f64_e32 vcc_lo, 0, v[22:23]
	v_cmp_neq_f64_e64 s1, 0, v[3:4]
                                        ; implicit-def: $vgpr9_vgpr10
	s_delay_alu instid0(VALU_DEP_1) | instskip(NEXT) | instid1(SALU_CYCLE_1)
	s_or_b32 s1, vcc_lo, s1
	s_and_saveexec_b32 s6, s1
	s_delay_alu instid0(SALU_CYCLE_1)
	s_xor_b32 s1, exec_lo, s6
	s_cbranch_execz .LBB162_337
; %bb.336:
	v_div_scale_f64 v[1:2], null, v[22:23], v[22:23], v[3:4]
	v_div_scale_f64 v[24:25], vcc_lo, v[3:4], v[22:23], v[3:4]
	s_delay_alu instid0(VALU_DEP_2) | instskip(SKIP_2) | instid1(VALU_DEP_1)
	v_rcp_f64_e32 v[9:10], v[1:2]
	s_waitcnt_depctr 0xfff
	v_fma_f64 v[11:12], -v[1:2], v[9:10], 1.0
	v_fma_f64 v[9:10], v[9:10], v[11:12], v[9:10]
	s_delay_alu instid0(VALU_DEP_1) | instskip(NEXT) | instid1(VALU_DEP_1)
	v_fma_f64 v[11:12], -v[1:2], v[9:10], 1.0
	v_fma_f64 v[9:10], v[9:10], v[11:12], v[9:10]
	s_delay_alu instid0(VALU_DEP_1) | instskip(NEXT) | instid1(VALU_DEP_1)
	v_mul_f64 v[11:12], v[24:25], v[9:10]
	v_fma_f64 v[1:2], -v[1:2], v[11:12], v[24:25]
	s_delay_alu instid0(VALU_DEP_1) | instskip(NEXT) | instid1(VALU_DEP_1)
	v_div_fmas_f64 v[1:2], v[1:2], v[9:10], v[11:12]
	v_div_fixup_f64 v[1:2], v[1:2], v[22:23], v[3:4]
	s_delay_alu instid0(VALU_DEP_1) | instskip(NEXT) | instid1(VALU_DEP_1)
	v_fma_f64 v[3:4], v[3:4], v[1:2], v[22:23]
	v_div_scale_f64 v[9:10], null, v[3:4], v[3:4], 1.0
	v_div_scale_f64 v[24:25], vcc_lo, 1.0, v[3:4], 1.0
	s_delay_alu instid0(VALU_DEP_2) | instskip(SKIP_2) | instid1(VALU_DEP_1)
	v_rcp_f64_e32 v[11:12], v[9:10]
	s_waitcnt_depctr 0xfff
	v_fma_f64 v[22:23], -v[9:10], v[11:12], 1.0
	v_fma_f64 v[11:12], v[11:12], v[22:23], v[11:12]
	s_delay_alu instid0(VALU_DEP_1) | instskip(NEXT) | instid1(VALU_DEP_1)
	v_fma_f64 v[22:23], -v[9:10], v[11:12], 1.0
	v_fma_f64 v[11:12], v[11:12], v[22:23], v[11:12]
	s_delay_alu instid0(VALU_DEP_1) | instskip(NEXT) | instid1(VALU_DEP_1)
	v_mul_f64 v[22:23], v[24:25], v[11:12]
	v_fma_f64 v[9:10], -v[9:10], v[22:23], v[24:25]
                                        ; implicit-def: $vgpr24_vgpr25
	s_delay_alu instid0(VALU_DEP_1) | instskip(SKIP_2) | instid1(VALU_DEP_3)
	v_div_fmas_f64 v[9:10], v[9:10], v[11:12], v[22:23]
	v_fma_f64 v[11:12], v[1:2], 0, 1.0
	v_add_f64 v[1:2], -v[1:2], 0
	v_div_fixup_f64 v[3:4], v[9:10], v[3:4], 1.0
	s_delay_alu instid0(VALU_DEP_1) | instskip(NEXT) | instid1(VALU_DEP_3)
	v_mul_f64 v[9:10], v[11:12], v[3:4]
	v_mul_f64 v[11:12], v[1:2], v[3:4]
                                        ; implicit-def: $vgpr1_vgpr2
.LBB162_337:
	s_and_not1_saveexec_b32 s6, s1
	s_cbranch_execz .LBB162_339
; %bb.338:
	v_div_scale_f64 v[3:4], null, v[1:2], v[1:2], 1.0
	v_div_scale_f64 v[9:10], null, v[24:25], v[24:25], 0
	v_div_scale_f64 v[31:32], vcc_lo, 1.0, v[1:2], 1.0
	s_delay_alu instid0(VALU_DEP_3) | instskip(NEXT) | instid1(VALU_DEP_2)
	v_rcp_f64_e32 v[11:12], v[3:4]
	v_rcp_f64_e32 v[22:23], v[9:10]
	s_waitcnt_depctr 0xfff
	v_fma_f64 v[27:28], -v[3:4], v[11:12], 1.0
	v_fma_f64 v[29:30], -v[9:10], v[22:23], 1.0
	s_delay_alu instid0(VALU_DEP_2) | instskip(NEXT) | instid1(VALU_DEP_2)
	v_fma_f64 v[11:12], v[11:12], v[27:28], v[11:12]
	v_fma_f64 v[22:23], v[22:23], v[29:30], v[22:23]
	s_delay_alu instid0(VALU_DEP_2) | instskip(NEXT) | instid1(VALU_DEP_2)
	v_fma_f64 v[27:28], -v[3:4], v[11:12], 1.0
	v_fma_f64 v[29:30], -v[9:10], v[22:23], 1.0
	s_delay_alu instid0(VALU_DEP_2) | instskip(SKIP_1) | instid1(VALU_DEP_3)
	v_fma_f64 v[11:12], v[11:12], v[27:28], v[11:12]
	v_div_scale_f64 v[27:28], s1, 0, v[24:25], 0
	v_fma_f64 v[22:23], v[22:23], v[29:30], v[22:23]
	s_delay_alu instid0(VALU_DEP_3) | instskip(NEXT) | instid1(VALU_DEP_2)
	v_mul_f64 v[29:30], v[31:32], v[11:12]
	v_mul_f64 v[33:34], v[27:28], v[22:23]
	s_delay_alu instid0(VALU_DEP_2) | instskip(NEXT) | instid1(VALU_DEP_2)
	v_fma_f64 v[3:4], -v[3:4], v[29:30], v[31:32]
	v_fma_f64 v[9:10], -v[9:10], v[33:34], v[27:28]
	s_delay_alu instid0(VALU_DEP_2) | instskip(SKIP_1) | instid1(VALU_DEP_2)
	v_div_fmas_f64 v[3:4], v[3:4], v[11:12], v[29:30]
	s_mov_b32 vcc_lo, s1
	v_div_fmas_f64 v[11:12], v[9:10], v[22:23], v[33:34]
	s_delay_alu instid0(VALU_DEP_2) | instskip(NEXT) | instid1(VALU_DEP_2)
	v_div_fixup_f64 v[9:10], v[3:4], v[1:2], 1.0
	v_div_fixup_f64 v[11:12], v[11:12], v[24:25], 0
.LBB162_339:
	s_or_b32 exec_lo, exec_lo, s6
                                        ; implicit-def: $vgpr3_vgpr4
                                        ; implicit-def: $vgpr22_vgpr23
.LBB162_340:
	s_and_not1_saveexec_b32 s1, s2
	s_cbranch_execz .LBB162_342
; %bb.341:
	v_div_scale_f64 v[1:2], null, v[3:4], v[3:4], v[22:23]
	v_div_scale_f64 v[24:25], vcc_lo, v[22:23], v[3:4], v[22:23]
	s_delay_alu instid0(VALU_DEP_2) | instskip(SKIP_2) | instid1(VALU_DEP_1)
	v_rcp_f64_e32 v[9:10], v[1:2]
	s_waitcnt_depctr 0xfff
	v_fma_f64 v[11:12], -v[1:2], v[9:10], 1.0
	v_fma_f64 v[9:10], v[9:10], v[11:12], v[9:10]
	s_delay_alu instid0(VALU_DEP_1) | instskip(NEXT) | instid1(VALU_DEP_1)
	v_fma_f64 v[11:12], -v[1:2], v[9:10], 1.0
	v_fma_f64 v[9:10], v[9:10], v[11:12], v[9:10]
	s_delay_alu instid0(VALU_DEP_1) | instskip(NEXT) | instid1(VALU_DEP_1)
	v_mul_f64 v[11:12], v[24:25], v[9:10]
	v_fma_f64 v[1:2], -v[1:2], v[11:12], v[24:25]
	s_delay_alu instid0(VALU_DEP_1) | instskip(NEXT) | instid1(VALU_DEP_1)
	v_div_fmas_f64 v[1:2], v[1:2], v[9:10], v[11:12]
	v_div_fixup_f64 v[1:2], v[1:2], v[3:4], v[22:23]
	s_delay_alu instid0(VALU_DEP_1) | instskip(NEXT) | instid1(VALU_DEP_1)
	v_fma_f64 v[3:4], v[22:23], v[1:2], v[3:4]
	v_div_scale_f64 v[9:10], null, v[3:4], v[3:4], 1.0
	v_div_scale_f64 v[24:25], vcc_lo, 1.0, v[3:4], 1.0
	s_delay_alu instid0(VALU_DEP_2) | instskip(SKIP_2) | instid1(VALU_DEP_1)
	v_rcp_f64_e32 v[11:12], v[9:10]
	s_waitcnt_depctr 0xfff
	v_fma_f64 v[22:23], -v[9:10], v[11:12], 1.0
	v_fma_f64 v[11:12], v[11:12], v[22:23], v[11:12]
	s_delay_alu instid0(VALU_DEP_1) | instskip(NEXT) | instid1(VALU_DEP_1)
	v_fma_f64 v[22:23], -v[9:10], v[11:12], 1.0
	v_fma_f64 v[11:12], v[11:12], v[22:23], v[11:12]
	s_delay_alu instid0(VALU_DEP_1) | instskip(NEXT) | instid1(VALU_DEP_1)
	v_mul_f64 v[22:23], v[24:25], v[11:12]
	v_fma_f64 v[9:10], -v[9:10], v[22:23], v[24:25]
	s_delay_alu instid0(VALU_DEP_1) | instskip(SKIP_2) | instid1(VALU_DEP_3)
	v_div_fmas_f64 v[9:10], v[9:10], v[11:12], v[22:23]
	v_add_f64 v[11:12], v[1:2], 0
	v_fma_f64 v[1:2], v[1:2], 0, -1.0
	v_div_fixup_f64 v[3:4], v[9:10], v[3:4], 1.0
	s_delay_alu instid0(VALU_DEP_1) | instskip(NEXT) | instid1(VALU_DEP_3)
	v_mul_f64 v[9:10], v[11:12], v[3:4]
	v_mul_f64 v[11:12], v[1:2], v[3:4]
.LBB162_342:
	s_or_b32 exec_lo, exec_lo, s1
	s_delay_alu instid0(SALU_CYCLE_1) | instskip(SKIP_1) | instid1(SALU_CYCLE_1)
	s_or_b32 exec_lo, exec_lo, s3
	s_and_saveexec_b32 s1, s0
	s_xor_b32 s0, exec_lo, s1
	s_cbranch_execnz .LBB162_315
.LBB162_343:
	s_or_b32 exec_lo, exec_lo, s0
	s_delay_alu instid0(SALU_CYCLE_1)
	s_mov_b32 s0, exec_lo
	v_cmpx_gt_i32_e64 s10, v0
	s_cbranch_execz .LBB162_316
.LBB162_344:
	v_dual_mov_b32 v2, 0 :: v_dual_add_nc_u32 v1, s8, v0
	v_add_nc_u32_e32 v0, 0x100, v0
	s_delay_alu instid0(VALU_DEP_2) | instskip(NEXT) | instid1(VALU_DEP_1)
	v_lshlrev_b64 v[1:2], 4, v[1:2]
	v_add_co_u32 v1, vcc_lo, s4, v1
	s_delay_alu instid0(VALU_DEP_2) | instskip(SKIP_2) | instid1(SALU_CYCLE_1)
	v_add_co_ci_u32_e32 v2, vcc_lo, s5, v2, vcc_lo
	global_store_b128 v[1:2], v[13:16], off
	s_or_b32 exec_lo, exec_lo, s0
	s_mov_b32 s0, exec_lo
	v_cmpx_gt_i32_e64 s10, v0
	s_cbranch_execnz .LBB162_317
.LBB162_345:
	s_or_b32 exec_lo, exec_lo, s0
	s_delay_alu instid0(SALU_CYCLE_1)
	s_mov_b32 s0, exec_lo
	v_cmpx_gt_i32_e64 s10, v0
	s_cbranch_execz .LBB162_347
.LBB162_346:
	v_dual_mov_b32 v1, 0 :: v_dual_add_nc_u32 v0, s8, v0
	s_delay_alu instid0(VALU_DEP_1) | instskip(NEXT) | instid1(VALU_DEP_1)
	v_lshlrev_b64 v[0:1], 4, v[0:1]
	v_add_co_u32 v0, vcc_lo, s4, v0
	s_delay_alu instid0(VALU_DEP_2)
	v_add_co_ci_u32_e32 v1, vcc_lo, s5, v1, vcc_lo
	global_store_b128 v[0:1], v[9:12], off
.LBB162_347:
	s_nop 0
	s_sendmsg sendmsg(MSG_DEALLOC_VGPRS)
	s_endpgm
	.section	.rodata,"a",@progbits
	.p2align	6, 0x0
	.amdhsa_kernel _ZN2at6native29vectorized_elementwise_kernelILi16EZZZNS0_17rsqrt_kernel_cudaERNS_18TensorIteratorBaseEENKUlvE_clEvENKUlvE_clEvEUlN3c107complexIdEEE_St5arrayIPcLm2EEEEviT0_T1_
		.amdhsa_group_segment_fixed_size 0
		.amdhsa_private_segment_fixed_size 0
		.amdhsa_kernarg_size 24
		.amdhsa_user_sgpr_count 15
		.amdhsa_user_sgpr_dispatch_ptr 0
		.amdhsa_user_sgpr_queue_ptr 0
		.amdhsa_user_sgpr_kernarg_segment_ptr 1
		.amdhsa_user_sgpr_dispatch_id 0
		.amdhsa_user_sgpr_private_segment_size 0
		.amdhsa_wavefront_size32 1
		.amdhsa_uses_dynamic_stack 0
		.amdhsa_enable_private_segment 0
		.amdhsa_system_sgpr_workgroup_id_x 1
		.amdhsa_system_sgpr_workgroup_id_y 0
		.amdhsa_system_sgpr_workgroup_id_z 0
		.amdhsa_system_sgpr_workgroup_info 0
		.amdhsa_system_vgpr_workitem_id 0
		.amdhsa_next_free_vgpr 35
		.amdhsa_next_free_sgpr 17
		.amdhsa_reserve_vcc 1
		.amdhsa_float_round_mode_32 0
		.amdhsa_float_round_mode_16_64 0
		.amdhsa_float_denorm_mode_32 3
		.amdhsa_float_denorm_mode_16_64 3
		.amdhsa_dx10_clamp 1
		.amdhsa_ieee_mode 1
		.amdhsa_fp16_overflow 0
		.amdhsa_workgroup_processor_mode 1
		.amdhsa_memory_ordered 1
		.amdhsa_forward_progress 0
		.amdhsa_shared_vgpr_count 0
		.amdhsa_exception_fp_ieee_invalid_op 0
		.amdhsa_exception_fp_denorm_src 0
		.amdhsa_exception_fp_ieee_div_zero 0
		.amdhsa_exception_fp_ieee_overflow 0
		.amdhsa_exception_fp_ieee_underflow 0
		.amdhsa_exception_fp_ieee_inexact 0
		.amdhsa_exception_int_div_zero 0
	.end_amdhsa_kernel
	.section	.text._ZN2at6native29vectorized_elementwise_kernelILi16EZZZNS0_17rsqrt_kernel_cudaERNS_18TensorIteratorBaseEENKUlvE_clEvENKUlvE_clEvEUlN3c107complexIdEEE_St5arrayIPcLm2EEEEviT0_T1_,"axG",@progbits,_ZN2at6native29vectorized_elementwise_kernelILi16EZZZNS0_17rsqrt_kernel_cudaERNS_18TensorIteratorBaseEENKUlvE_clEvENKUlvE_clEvEUlN3c107complexIdEEE_St5arrayIPcLm2EEEEviT0_T1_,comdat
.Lfunc_end162:
	.size	_ZN2at6native29vectorized_elementwise_kernelILi16EZZZNS0_17rsqrt_kernel_cudaERNS_18TensorIteratorBaseEENKUlvE_clEvENKUlvE_clEvEUlN3c107complexIdEEE_St5arrayIPcLm2EEEEviT0_T1_, .Lfunc_end162-_ZN2at6native29vectorized_elementwise_kernelILi16EZZZNS0_17rsqrt_kernel_cudaERNS_18TensorIteratorBaseEENKUlvE_clEvENKUlvE_clEvEUlN3c107complexIdEEE_St5arrayIPcLm2EEEEviT0_T1_
                                        ; -- End function
	.section	.AMDGPU.csdata,"",@progbits
; Kernel info:
; codeLenInByte = 20608
; NumSgprs: 19
; NumVgprs: 35
; ScratchSize: 0
; MemoryBound: 1
; FloatMode: 240
; IeeeMode: 1
; LDSByteSize: 0 bytes/workgroup (compile time only)
; SGPRBlocks: 2
; VGPRBlocks: 4
; NumSGPRsForWavesPerEU: 19
; NumVGPRsForWavesPerEU: 35
; Occupancy: 16
; WaveLimiterHint : 0
; COMPUTE_PGM_RSRC2:SCRATCH_EN: 0
; COMPUTE_PGM_RSRC2:USER_SGPR: 15
; COMPUTE_PGM_RSRC2:TRAP_HANDLER: 0
; COMPUTE_PGM_RSRC2:TGID_X_EN: 1
; COMPUTE_PGM_RSRC2:TGID_Y_EN: 0
; COMPUTE_PGM_RSRC2:TGID_Z_EN: 0
; COMPUTE_PGM_RSRC2:TIDIG_COMP_CNT: 0
	.section	.text._ZN2at6native29vectorized_elementwise_kernelILi8EZZZNS0_17rsqrt_kernel_cudaERNS_18TensorIteratorBaseEENKUlvE_clEvENKUlvE_clEvEUlN3c107complexIdEEE_St5arrayIPcLm2EEEEviT0_T1_,"axG",@progbits,_ZN2at6native29vectorized_elementwise_kernelILi8EZZZNS0_17rsqrt_kernel_cudaERNS_18TensorIteratorBaseEENKUlvE_clEvENKUlvE_clEvEUlN3c107complexIdEEE_St5arrayIPcLm2EEEEviT0_T1_,comdat
	.globl	_ZN2at6native29vectorized_elementwise_kernelILi8EZZZNS0_17rsqrt_kernel_cudaERNS_18TensorIteratorBaseEENKUlvE_clEvENKUlvE_clEvEUlN3c107complexIdEEE_St5arrayIPcLm2EEEEviT0_T1_ ; -- Begin function _ZN2at6native29vectorized_elementwise_kernelILi8EZZZNS0_17rsqrt_kernel_cudaERNS_18TensorIteratorBaseEENKUlvE_clEvENKUlvE_clEvEUlN3c107complexIdEEE_St5arrayIPcLm2EEEEviT0_T1_
	.p2align	8
	.type	_ZN2at6native29vectorized_elementwise_kernelILi8EZZZNS0_17rsqrt_kernel_cudaERNS_18TensorIteratorBaseEENKUlvE_clEvENKUlvE_clEvEUlN3c107complexIdEEE_St5arrayIPcLm2EEEEviT0_T1_,@function
_ZN2at6native29vectorized_elementwise_kernelILi8EZZZNS0_17rsqrt_kernel_cudaERNS_18TensorIteratorBaseEENKUlvE_clEvENKUlvE_clEvEUlN3c107complexIdEEE_St5arrayIPcLm2EEEEviT0_T1_: ; @_ZN2at6native29vectorized_elementwise_kernelILi8EZZZNS0_17rsqrt_kernel_cudaERNS_18TensorIteratorBaseEENKUlvE_clEvENKUlvE_clEvEUlN3c107complexIdEEE_St5arrayIPcLm2EEEEviT0_T1_
; %bb.0:
	s_clause 0x1
	s_load_b32 s2, s[0:1], 0x0
	s_load_b128 s[4:7], s[0:1], 0x8
	s_lshl_b32 s8, s15, 10
	s_mov_b32 s0, -1
	s_waitcnt lgkmcnt(0)
	s_sub_i32 s10, s2, s8
	s_delay_alu instid0(SALU_CYCLE_1)
	s_cmpk_gt_i32 s10, 0x3ff
	s_cbranch_scc0 .LBB163_162
; %bb.1:
	s_ashr_i32 s9, s8, 31
	v_lshlrev_b32_e32 v25, 6, v0
	s_lshl_b64 s[2:3], s[8:9], 4
	v_mov_b32_e32 v13, 0
	v_mov_b32_e32 v14, 0
	s_add_u32 s0, s6, s2
	s_addc_u32 s1, s7, s3
	s_clause 0x3
	global_load_b128 v[19:22], v25, s[0:1]
	global_load_b128 v[15:18], v25, s[0:1] offset:16
	global_load_b128 v[1:4], v25, s[0:1] offset:48
	;; [unrolled: 1-line block ×3, first 2 shown]
	s_waitcnt vmcnt(3)
	v_cmp_neq_f64_e32 vcc_lo, 0, v[19:20]
	v_cmp_neq_f64_e64 s0, 0, v[21:22]
	s_delay_alu instid0(VALU_DEP_1) | instskip(NEXT) | instid1(SALU_CYCLE_1)
	s_or_b32 s0, vcc_lo, s0
	s_and_saveexec_b32 s9, s0
	s_cbranch_execz .LBB163_33
; %bb.2:
	s_mov_b32 s0, 0
	s_mov_b32 s1, 0x7ff00000
	v_mov_b32_e32 v13, s0
	v_mov_b32_e32 v14, s1
	s_mov_b32 s11, exec_lo
	v_cmpx_neq_f64_e64 0x7ff00000, |v[21:22]|
	s_cbranch_execz .LBB163_32
; %bb.3:
	s_mov_b32 s0, exec_lo
	v_cmpx_o_f64_e32 v[19:20], v[19:20]
	s_xor_b32 s12, exec_lo, s0
	s_cbranch_execz .LBB163_29
; %bb.4:
	s_mov_b32 s1, exec_lo
	v_cmpx_neq_f64_e64 0x7ff00000, |v[19:20]|
	s_xor_b32 s13, exec_lo, s1
	s_cbranch_execz .LBB163_22
; %bb.5:
	v_max_f64 v[5:6], |v[21:22]|, |v[21:22]|
	v_max_f64 v[7:8], |v[19:20]|, |v[19:20]|
	s_mov_b32 s0, 0x99fcef32
	s_mov_b32 s1, 0x7fda8279
                                        ; implicit-def: $sgpr14
	s_delay_alu instid0(VALU_DEP_1) | instskip(NEXT) | instid1(VALU_DEP_1)
	v_max_f64 v[5:6], v[7:8], v[5:6]
	v_cmp_nle_f64_e64 s0, s[0:1], v[5:6]
	s_delay_alu instid0(VALU_DEP_1) | instskip(NEXT) | instid1(SALU_CYCLE_1)
	s_and_saveexec_b32 s1, s0
	s_xor_b32 s1, exec_lo, s1
	s_cbranch_execz .LBB163_9
; %bb.6:
	v_cmp_ge_f64_e64 s14, 0x200000, |v[19:20]|
	v_cmp_ge_f64_e64 s15, 0x200000, |v[21:22]|
	s_delay_alu instid0(VALU_DEP_1)
	s_and_b32 s16, s14, s15
	s_mov_b32 s14, 0
	s_and_saveexec_b32 s15, s16
; %bb.7:
	v_mul_f64 v[19:20], v[19:20], 4.0
	v_mul_f64 v[21:22], v[21:22], 4.0
	s_mov_b32 s14, exec_lo
; %bb.8:
	s_or_b32 exec_lo, exec_lo, s15
	s_delay_alu instid0(SALU_CYCLE_1)
	s_and_b32 s14, s14, exec_lo
.LBB163_9:
	s_and_not1_saveexec_b32 s1, s1
; %bb.10:
	s_delay_alu instid0(VALU_DEP_2) | instskip(NEXT) | instid1(VALU_DEP_2)
	v_ldexp_f64 v[19:20], v[19:20], -2
	v_ldexp_f64 v[21:22], v[21:22], -2
	s_and_not1_b32 s14, s14, exec_lo
; %bb.11:
	s_or_b32 exec_lo, exec_lo, s1
	s_delay_alu instid0(VALU_DEP_1) | instskip(NEXT) | instid1(VALU_DEP_3)
	v_max_f64 v[5:6], |v[21:22]|, |v[21:22]|
	v_max_f64 v[7:8], |v[19:20]|, |v[19:20]|
	v_cmp_class_f64_e64 s15, v[19:20], 0x204
	v_cmp_class_f64_e64 s16, v[21:22], 0x204
	v_cmp_le_f64_e64 s1, 0, v[19:20]
	s_delay_alu instid0(VALU_DEP_4) | instskip(NEXT) | instid1(VALU_DEP_3)
	v_max_f64 v[5:6], v[7:8], v[5:6]
	s_or_b32 s15, s16, s15
	s_delay_alu instid0(VALU_DEP_1) | instskip(NEXT) | instid1(VALU_DEP_1)
	v_frexp_exp_i32_f64_e32 v26, v[5:6]
	v_sub_nc_u32_e32 v7, 0, v26
	s_delay_alu instid0(VALU_DEP_1) | instskip(SKIP_1) | instid1(VALU_DEP_2)
	v_ldexp_f64 v[5:6], |v[21:22]|, v7
	v_ldexp_f64 v[7:8], |v[19:20]|, v7
	v_mul_f64 v[5:6], v[5:6], v[5:6]
	s_delay_alu instid0(VALU_DEP_1) | instskip(NEXT) | instid1(VALU_DEP_1)
	v_fma_f64 v[5:6], v[7:8], v[7:8], v[5:6]
	v_rsq_f64_e32 v[7:8], v[5:6]
	v_cmp_eq_f64_e32 vcc_lo, 0, v[5:6]
	s_waitcnt_depctr 0xfff
	v_mul_f64 v[13:14], v[5:6], v[7:8]
	v_mul_f64 v[7:8], v[7:8], 0.5
	s_delay_alu instid0(VALU_DEP_1) | instskip(NEXT) | instid1(VALU_DEP_1)
	v_fma_f64 v[23:24], -v[7:8], v[13:14], 0.5
	v_fma_f64 v[13:14], v[13:14], v[23:24], v[13:14]
	v_fma_f64 v[7:8], v[7:8], v[23:24], v[7:8]
	s_delay_alu instid0(VALU_DEP_2) | instskip(NEXT) | instid1(VALU_DEP_1)
	v_fma_f64 v[23:24], -v[13:14], v[13:14], v[5:6]
	v_fma_f64 v[7:8], v[23:24], v[7:8], v[13:14]
	s_delay_alu instid0(VALU_DEP_1) | instskip(SKIP_1) | instid1(VALU_DEP_2)
	v_dual_cndmask_b32 v6, v8, v6 :: v_dual_cndmask_b32 v5, v7, v5
	v_cmp_o_f64_e32 vcc_lo, v[21:22], v[21:22]
	v_ldexp_f64 v[5:6], v[5:6], v26
	s_delay_alu instid0(VALU_DEP_1) | instskip(NEXT) | instid1(VALU_DEP_2)
	v_cndmask_b32_e32 v5, 0, v5, vcc_lo
	v_cndmask_b32_e32 v6, 0x7ff80000, v6, vcc_lo
	s_delay_alu instid0(VALU_DEP_2) | instskip(NEXT) | instid1(VALU_DEP_2)
	v_cndmask_b32_e64 v5, v5, 0, s15
	v_cndmask_b32_e64 v6, v6, 0x7ff00000, s15
	s_and_saveexec_b32 s15, s1
	s_delay_alu instid0(SALU_CYCLE_1)
	s_xor_b32 s1, exec_lo, s15
	s_cbranch_execz .LBB163_17
; %bb.12:
	s_delay_alu instid0(VALU_DEP_1) | instskip(NEXT) | instid1(VALU_DEP_1)
	v_add_f64 v[5:6], v[19:20], v[5:6]
	v_mul_f64 v[5:6], v[5:6], 0.5
	s_delay_alu instid0(VALU_DEP_1) | instskip(SKIP_1) | instid1(VALU_DEP_1)
	v_cmp_gt_f64_e32 vcc_lo, 0x10000000, v[5:6]
	v_cndmask_b32_e64 v7, 0, 1, vcc_lo
	v_lshlrev_b32_e32 v7, 8, v7
	s_delay_alu instid0(VALU_DEP_1) | instskip(NEXT) | instid1(VALU_DEP_1)
	v_ldexp_f64 v[5:6], v[5:6], v7
	v_rsq_f64_e32 v[7:8], v[5:6]
	s_waitcnt_depctr 0xfff
	v_mul_f64 v[13:14], v[5:6], v[7:8]
	v_mul_f64 v[7:8], v[7:8], 0.5
	s_delay_alu instid0(VALU_DEP_1) | instskip(NEXT) | instid1(VALU_DEP_1)
	v_fma_f64 v[19:20], -v[7:8], v[13:14], 0.5
	v_fma_f64 v[13:14], v[13:14], v[19:20], v[13:14]
	v_fma_f64 v[7:8], v[7:8], v[19:20], v[7:8]
	s_delay_alu instid0(VALU_DEP_2) | instskip(NEXT) | instid1(VALU_DEP_1)
	v_fma_f64 v[19:20], -v[13:14], v[13:14], v[5:6]
	v_fma_f64 v[13:14], v[19:20], v[7:8], v[13:14]
	s_delay_alu instid0(VALU_DEP_1) | instskip(NEXT) | instid1(VALU_DEP_1)
	v_fma_f64 v[19:20], -v[13:14], v[13:14], v[5:6]
	v_fma_f64 v[7:8], v[19:20], v[7:8], v[13:14]
	v_cndmask_b32_e64 v13, 0, 0xffffff80, vcc_lo
	v_cmp_class_f64_e64 vcc_lo, v[5:6], 0x260
	s_delay_alu instid0(VALU_DEP_2) | instskip(NEXT) | instid1(VALU_DEP_1)
	v_ldexp_f64 v[7:8], v[7:8], v13
	v_dual_cndmask_b32 v20, v8, v6 :: v_dual_cndmask_b32 v19, v7, v5
	s_delay_alu instid0(VALU_DEP_1) | instskip(NEXT) | instid1(VALU_DEP_1)
	v_add_f64 v[5:6], v[19:20], v[19:20]
	v_div_scale_f64 v[7:8], null, v[5:6], v[5:6], v[21:22]
	s_delay_alu instid0(VALU_DEP_1) | instskip(SKIP_2) | instid1(VALU_DEP_1)
	v_rcp_f64_e32 v[13:14], v[7:8]
	s_waitcnt_depctr 0xfff
	v_fma_f64 v[23:24], -v[7:8], v[13:14], 1.0
	v_fma_f64 v[13:14], v[13:14], v[23:24], v[13:14]
	s_delay_alu instid0(VALU_DEP_1) | instskip(NEXT) | instid1(VALU_DEP_1)
	v_fma_f64 v[23:24], -v[7:8], v[13:14], 1.0
	v_fma_f64 v[13:14], v[13:14], v[23:24], v[13:14]
	v_div_scale_f64 v[23:24], vcc_lo, v[21:22], v[5:6], v[21:22]
	s_delay_alu instid0(VALU_DEP_1) | instskip(NEXT) | instid1(VALU_DEP_1)
	v_mul_f64 v[26:27], v[23:24], v[13:14]
	v_fma_f64 v[7:8], -v[7:8], v[26:27], v[23:24]
	s_delay_alu instid0(VALU_DEP_1) | instskip(NEXT) | instid1(VALU_DEP_1)
	v_div_fmas_f64 v[7:8], v[7:8], v[13:14], v[26:27]
	v_div_fixup_f64 v[21:22], v[7:8], v[5:6], v[21:22]
                                        ; implicit-def: $vgpr5_vgpr6
	s_and_not1_saveexec_b32 s1, s1
	s_cbranch_execnz .LBB163_18
.LBB163_13:
	s_or_b32 exec_lo, exec_lo, s1
	s_and_saveexec_b32 s1, s0
	s_delay_alu instid0(SALU_CYCLE_1)
	s_xor_b32 s0, exec_lo, s1
	s_cbranch_execz .LBB163_19
.LBB163_14:
	s_and_saveexec_b32 s1, s14
; %bb.15:
	s_delay_alu instid0(VALU_DEP_2) | instskip(NEXT) | instid1(VALU_DEP_2)
	v_mul_f64 v[19:20], v[19:20], 0.5
	v_mul_f64 v[21:22], v[21:22], 0.5
; %bb.16:
	s_or_b32 exec_lo, exec_lo, s1
	s_and_not1_saveexec_b32 s0, s0
	s_cbranch_execnz .LBB163_20
	s_branch .LBB163_21
.LBB163_17:
	s_and_not1_saveexec_b32 s1, s1
	s_cbranch_execz .LBB163_13
.LBB163_18:
	v_add_f64 v[5:6], v[5:6], -v[19:20]
	s_delay_alu instid0(VALU_DEP_1) | instskip(NEXT) | instid1(VALU_DEP_1)
	v_mul_f64 v[5:6], v[5:6], 0.5
	v_cmp_gt_f64_e32 vcc_lo, 0x10000000, v[5:6]
	v_cndmask_b32_e64 v7, 0, 1, vcc_lo
	s_delay_alu instid0(VALU_DEP_1) | instskip(NEXT) | instid1(VALU_DEP_1)
	v_lshlrev_b32_e32 v7, 8, v7
	v_ldexp_f64 v[5:6], v[5:6], v7
	s_delay_alu instid0(VALU_DEP_1) | instskip(SKIP_3) | instid1(VALU_DEP_1)
	v_rsq_f64_e32 v[7:8], v[5:6]
	s_waitcnt_depctr 0xfff
	v_mul_f64 v[13:14], v[5:6], v[7:8]
	v_mul_f64 v[7:8], v[7:8], 0.5
	v_fma_f64 v[19:20], -v[7:8], v[13:14], 0.5
	s_delay_alu instid0(VALU_DEP_1) | instskip(SKIP_1) | instid1(VALU_DEP_2)
	v_fma_f64 v[13:14], v[13:14], v[19:20], v[13:14]
	v_fma_f64 v[7:8], v[7:8], v[19:20], v[7:8]
	v_fma_f64 v[19:20], -v[13:14], v[13:14], v[5:6]
	s_delay_alu instid0(VALU_DEP_1) | instskip(NEXT) | instid1(VALU_DEP_1)
	v_fma_f64 v[13:14], v[19:20], v[7:8], v[13:14]
	v_fma_f64 v[19:20], -v[13:14], v[13:14], v[5:6]
	s_delay_alu instid0(VALU_DEP_1) | instskip(SKIP_3) | instid1(VALU_DEP_3)
	v_fma_f64 v[7:8], v[19:20], v[7:8], v[13:14]
	v_cndmask_b32_e64 v13, 0, 0xffffff80, vcc_lo
	v_cmp_class_f64_e64 vcc_lo, v[5:6], 0x260
	v_and_b32_e32 v14, 0x7fffffff, v22
	v_ldexp_f64 v[7:8], v[7:8], v13
	s_delay_alu instid0(VALU_DEP_1) | instskip(NEXT) | instid1(VALU_DEP_1)
	v_dual_cndmask_b32 v6, v8, v6 :: v_dual_cndmask_b32 v5, v7, v5
	v_add_f64 v[7:8], v[5:6], v[5:6]
	v_bfi_b32 v6, 0x7fffffff, v6, v22
	v_mov_b32_e32 v13, v21
	s_delay_alu instid0(VALU_DEP_1) | instskip(SKIP_1) | instid1(VALU_DEP_2)
	v_div_scale_f64 v[19:20], null, v[7:8], v[7:8], v[13:14]
	v_div_scale_f64 v[13:14], vcc_lo, v[13:14], v[7:8], v[13:14]
	v_rcp_f64_e32 v[23:24], v[19:20]
	s_waitcnt_depctr 0xfff
	v_fma_f64 v[26:27], -v[19:20], v[23:24], 1.0
	s_delay_alu instid0(VALU_DEP_1) | instskip(NEXT) | instid1(VALU_DEP_1)
	v_fma_f64 v[23:24], v[23:24], v[26:27], v[23:24]
	v_fma_f64 v[26:27], -v[19:20], v[23:24], 1.0
	s_delay_alu instid0(VALU_DEP_1) | instskip(NEXT) | instid1(VALU_DEP_1)
	v_fma_f64 v[23:24], v[23:24], v[26:27], v[23:24]
	v_mul_f64 v[26:27], v[13:14], v[23:24]
	s_delay_alu instid0(VALU_DEP_1) | instskip(NEXT) | instid1(VALU_DEP_1)
	v_fma_f64 v[13:14], -v[19:20], v[26:27], v[13:14]
	v_div_fmas_f64 v[13:14], v[13:14], v[23:24], v[26:27]
	s_delay_alu instid0(VALU_DEP_1) | instskip(SKIP_3) | instid1(SALU_CYCLE_1)
	v_div_fixup_f64 v[19:20], v[13:14], v[7:8], |v[21:22]|
	v_dual_mov_b32 v22, v6 :: v_dual_mov_b32 v21, v5
	s_or_b32 exec_lo, exec_lo, s1
	s_and_saveexec_b32 s1, s0
	s_xor_b32 s0, exec_lo, s1
	s_cbranch_execnz .LBB163_14
.LBB163_19:
	s_and_not1_saveexec_b32 s0, s0
.LBB163_20:
	s_delay_alu instid0(VALU_DEP_2) | instskip(NEXT) | instid1(VALU_DEP_2)
	v_add_f64 v[19:20], v[19:20], v[19:20]
	v_add_f64 v[21:22], v[21:22], v[21:22]
.LBB163_21:
	s_or_b32 exec_lo, exec_lo, s0
.LBB163_22:
	s_and_not1_saveexec_b32 s0, s13
	s_cbranch_execz .LBB163_28
; %bb.23:
	s_delay_alu instid0(VALU_DEP_1) | instskip(SKIP_1) | instid1(VALU_DEP_3)
	v_add_f64 v[5:6], v[21:22], -v[21:22]
	s_mov_b32 s1, exec_lo
	v_cmpx_lt_i64_e32 -1, v[19:20]
	s_xor_b32 s1, exec_lo, s1
; %bb.24:
	s_delay_alu instid0(VALU_DEP_2) | instskip(NEXT) | instid1(VALU_DEP_1)
	v_bfi_b32 v6, 0x7fffffff, v6, v22
	v_dual_mov_b32 v22, v6 :: v_dual_mov_b32 v21, v5
                                        ; implicit-def: $vgpr5_vgpr6
; %bb.25:
	s_and_not1_saveexec_b32 s1, s1
; %bb.26:
	s_delay_alu instid0(VALU_DEP_1) | instskip(SKIP_1) | instid1(VALU_DEP_2)
	v_bfi_b32 v20, 0x7fffffff, v20, v22
	v_and_b32_e32 v6, 0x7fffffff, v6
	v_dual_mov_b32 v22, v20 :: v_dual_mov_b32 v21, v19
	s_delay_alu instid0(VALU_DEP_2)
	v_dual_mov_b32 v20, v6 :: v_dual_mov_b32 v19, v5
; %bb.27:
	s_or_b32 exec_lo, exec_lo, s1
.LBB163_28:
	s_delay_alu instid0(SALU_CYCLE_1)
	s_or_b32 exec_lo, exec_lo, s0
.LBB163_29:
	s_and_not1_saveexec_b32 s0, s12
; %bb.30:
	s_delay_alu instid0(VALU_DEP_1) | instskip(NEXT) | instid1(VALU_DEP_1)
	v_add_f64 v[5:6], v[21:22], -v[21:22]
	v_div_scale_f64 v[7:8], vcc_lo, v[5:6], v[5:6], v[5:6]
	s_delay_alu instid0(VALU_DEP_1) | instskip(SKIP_2) | instid1(VALU_DEP_1)
	v_rcp_f64_e32 v[13:14], v[7:8]
	s_waitcnt_depctr 0xfff
	v_fma_f64 v[21:22], -v[7:8], v[13:14], 1.0
	v_fma_f64 v[13:14], v[13:14], v[21:22], v[13:14]
	s_delay_alu instid0(VALU_DEP_1) | instskip(NEXT) | instid1(VALU_DEP_1)
	v_fma_f64 v[21:22], -v[7:8], v[13:14], 1.0
	v_fma_f64 v[13:14], v[13:14], v[21:22], v[13:14]
	s_delay_alu instid0(VALU_DEP_1) | instskip(NEXT) | instid1(VALU_DEP_1)
	v_mul_f64 v[21:22], v[7:8], v[13:14]
	v_fma_f64 v[7:8], -v[7:8], v[21:22], v[7:8]
	s_delay_alu instid0(VALU_DEP_1) | instskip(NEXT) | instid1(VALU_DEP_1)
	v_div_fmas_f64 v[7:8], v[7:8], v[13:14], v[21:22]
	v_div_fixup_f64 v[21:22], v[7:8], v[5:6], v[5:6]
; %bb.31:
	s_or_b32 exec_lo, exec_lo, s0
	v_dual_mov_b32 v13, v19 :: v_dual_mov_b32 v14, v20
.LBB163_32:
	s_or_b32 exec_lo, exec_lo, s11
.LBB163_33:
	s_delay_alu instid0(SALU_CYCLE_1) | instskip(NEXT) | instid1(VALU_DEP_1)
	s_or_b32 exec_lo, exec_lo, s9
	v_cmp_gt_f64_e32 vcc_lo, 0, v[13:14]
	s_delay_alu instid0(VALU_DEP_3) | instskip(SKIP_2) | instid1(VALU_DEP_2)
	v_cmp_gt_f64_e64 s0, 0, v[21:22]
	v_xor_b32_e32 v5, 0x80000000, v14
	v_xor_b32_e32 v6, 0x80000000, v22
                                        ; implicit-def: $vgpr7_vgpr8
	v_cndmask_b32_e32 v20, v14, v5, vcc_lo
	s_delay_alu instid0(VALU_DEP_2) | instskip(SKIP_3) | instid1(VALU_DEP_1)
	v_cndmask_b32_e64 v24, v22, v6, s0
	v_cndmask_b32_e32 v19, v13, v13, vcc_lo
	v_cndmask_b32_e64 v23, v21, v21, s0
	s_mov_b32 s0, exec_lo
	v_cmpx_ge_f64_e32 v[19:20], v[23:24]
	s_xor_b32 s1, exec_lo, s0
	s_cbranch_execz .LBB163_39
; %bb.34:
	v_cmp_neq_f64_e32 vcc_lo, 0, v[13:14]
	v_cmp_neq_f64_e64 s0, 0, v[21:22]
                                        ; implicit-def: $vgpr7_vgpr8
	s_delay_alu instid0(VALU_DEP_1) | instskip(NEXT) | instid1(SALU_CYCLE_1)
	s_or_b32 s0, vcc_lo, s0
	s_and_saveexec_b32 s9, s0
	s_delay_alu instid0(SALU_CYCLE_1)
	s_xor_b32 s0, exec_lo, s9
	s_cbranch_execz .LBB163_36
; %bb.35:
	v_div_scale_f64 v[5:6], null, v[13:14], v[13:14], v[21:22]
	v_div_scale_f64 v[23:24], vcc_lo, v[21:22], v[13:14], v[21:22]
	s_delay_alu instid0(VALU_DEP_2) | instskip(SKIP_2) | instid1(VALU_DEP_1)
	v_rcp_f64_e32 v[7:8], v[5:6]
	s_waitcnt_depctr 0xfff
	v_fma_f64 v[19:20], -v[5:6], v[7:8], 1.0
	v_fma_f64 v[7:8], v[7:8], v[19:20], v[7:8]
	s_delay_alu instid0(VALU_DEP_1) | instskip(NEXT) | instid1(VALU_DEP_1)
	v_fma_f64 v[19:20], -v[5:6], v[7:8], 1.0
	v_fma_f64 v[7:8], v[7:8], v[19:20], v[7:8]
	s_delay_alu instid0(VALU_DEP_1) | instskip(NEXT) | instid1(VALU_DEP_1)
	v_mul_f64 v[19:20], v[23:24], v[7:8]
	v_fma_f64 v[5:6], -v[5:6], v[19:20], v[23:24]
	s_delay_alu instid0(VALU_DEP_1) | instskip(NEXT) | instid1(VALU_DEP_1)
	v_div_fmas_f64 v[5:6], v[5:6], v[7:8], v[19:20]
	v_div_fixup_f64 v[5:6], v[5:6], v[13:14], v[21:22]
	s_delay_alu instid0(VALU_DEP_1) | instskip(NEXT) | instid1(VALU_DEP_1)
	v_fma_f64 v[7:8], v[21:22], v[5:6], v[13:14]
	v_div_scale_f64 v[13:14], null, v[7:8], v[7:8], 1.0
	v_div_scale_f64 v[23:24], vcc_lo, 1.0, v[7:8], 1.0
	s_delay_alu instid0(VALU_DEP_2) | instskip(SKIP_2) | instid1(VALU_DEP_1)
	v_rcp_f64_e32 v[19:20], v[13:14]
	s_waitcnt_depctr 0xfff
	v_fma_f64 v[21:22], -v[13:14], v[19:20], 1.0
	v_fma_f64 v[19:20], v[19:20], v[21:22], v[19:20]
	s_delay_alu instid0(VALU_DEP_1) | instskip(NEXT) | instid1(VALU_DEP_1)
	v_fma_f64 v[21:22], -v[13:14], v[19:20], 1.0
	v_fma_f64 v[19:20], v[19:20], v[21:22], v[19:20]
	s_delay_alu instid0(VALU_DEP_1) | instskip(NEXT) | instid1(VALU_DEP_1)
	v_mul_f64 v[21:22], v[23:24], v[19:20]
	v_fma_f64 v[13:14], -v[13:14], v[21:22], v[23:24]
                                        ; implicit-def: $vgpr23_vgpr24
	s_delay_alu instid0(VALU_DEP_1) | instskip(SKIP_1) | instid1(VALU_DEP_2)
	v_div_fmas_f64 v[13:14], v[13:14], v[19:20], v[21:22]
	v_fma_f64 v[19:20], v[5:6], 0, 1.0
	v_div_fixup_f64 v[7:8], v[13:14], v[7:8], 1.0
	v_add_f64 v[13:14], -v[5:6], 0
	s_delay_alu instid0(VALU_DEP_2) | instskip(NEXT) | instid1(VALU_DEP_2)
	v_mul_f64 v[5:6], v[19:20], v[7:8]
	v_mul_f64 v[7:8], v[13:14], v[7:8]
                                        ; implicit-def: $vgpr19_vgpr20
.LBB163_36:
	s_and_not1_saveexec_b32 s9, s0
	s_cbranch_execz .LBB163_38
; %bb.37:
	v_div_scale_f64 v[5:6], null, v[19:20], v[19:20], 1.0
	v_div_scale_f64 v[7:8], null, v[23:24], v[23:24], 0
	v_div_scale_f64 v[30:31], vcc_lo, 1.0, v[19:20], 1.0
	s_delay_alu instid0(VALU_DEP_3) | instskip(NEXT) | instid1(VALU_DEP_2)
	v_rcp_f64_e32 v[13:14], v[5:6]
	v_rcp_f64_e32 v[21:22], v[7:8]
	s_waitcnt_depctr 0xfff
	v_fma_f64 v[26:27], -v[5:6], v[13:14], 1.0
	v_fma_f64 v[28:29], -v[7:8], v[21:22], 1.0
	s_delay_alu instid0(VALU_DEP_2) | instskip(NEXT) | instid1(VALU_DEP_2)
	v_fma_f64 v[13:14], v[13:14], v[26:27], v[13:14]
	v_fma_f64 v[21:22], v[21:22], v[28:29], v[21:22]
	s_delay_alu instid0(VALU_DEP_2) | instskip(NEXT) | instid1(VALU_DEP_2)
	v_fma_f64 v[26:27], -v[5:6], v[13:14], 1.0
	v_fma_f64 v[28:29], -v[7:8], v[21:22], 1.0
	s_delay_alu instid0(VALU_DEP_2) | instskip(SKIP_1) | instid1(VALU_DEP_3)
	v_fma_f64 v[13:14], v[13:14], v[26:27], v[13:14]
	v_div_scale_f64 v[26:27], s0, 0, v[23:24], 0
	v_fma_f64 v[21:22], v[21:22], v[28:29], v[21:22]
	s_delay_alu instid0(VALU_DEP_3) | instskip(NEXT) | instid1(VALU_DEP_2)
	v_mul_f64 v[28:29], v[30:31], v[13:14]
	v_mul_f64 v[32:33], v[26:27], v[21:22]
	s_delay_alu instid0(VALU_DEP_2) | instskip(NEXT) | instid1(VALU_DEP_2)
	v_fma_f64 v[5:6], -v[5:6], v[28:29], v[30:31]
	v_fma_f64 v[7:8], -v[7:8], v[32:33], v[26:27]
	s_delay_alu instid0(VALU_DEP_2) | instskip(SKIP_1) | instid1(VALU_DEP_2)
	v_div_fmas_f64 v[5:6], v[5:6], v[13:14], v[28:29]
	s_mov_b32 vcc_lo, s0
	v_div_fmas_f64 v[7:8], v[7:8], v[21:22], v[32:33]
	s_delay_alu instid0(VALU_DEP_2) | instskip(NEXT) | instid1(VALU_DEP_2)
	v_div_fixup_f64 v[5:6], v[5:6], v[19:20], 1.0
	v_div_fixup_f64 v[7:8], v[7:8], v[23:24], 0
.LBB163_38:
	s_or_b32 exec_lo, exec_lo, s9
                                        ; implicit-def: $vgpr21_vgpr22
                                        ; implicit-def: $vgpr13_vgpr14
.LBB163_39:
	s_and_not1_saveexec_b32 s0, s1
	s_cbranch_execz .LBB163_41
; %bb.40:
	v_div_scale_f64 v[5:6], null, v[21:22], v[21:22], v[13:14]
	v_div_scale_f64 v[23:24], vcc_lo, v[13:14], v[21:22], v[13:14]
	s_delay_alu instid0(VALU_DEP_2) | instskip(SKIP_2) | instid1(VALU_DEP_1)
	v_rcp_f64_e32 v[7:8], v[5:6]
	s_waitcnt_depctr 0xfff
	v_fma_f64 v[19:20], -v[5:6], v[7:8], 1.0
	v_fma_f64 v[7:8], v[7:8], v[19:20], v[7:8]
	s_delay_alu instid0(VALU_DEP_1) | instskip(NEXT) | instid1(VALU_DEP_1)
	v_fma_f64 v[19:20], -v[5:6], v[7:8], 1.0
	v_fma_f64 v[7:8], v[7:8], v[19:20], v[7:8]
	s_delay_alu instid0(VALU_DEP_1) | instskip(NEXT) | instid1(VALU_DEP_1)
	v_mul_f64 v[19:20], v[23:24], v[7:8]
	v_fma_f64 v[5:6], -v[5:6], v[19:20], v[23:24]
	s_delay_alu instid0(VALU_DEP_1) | instskip(NEXT) | instid1(VALU_DEP_1)
	v_div_fmas_f64 v[5:6], v[5:6], v[7:8], v[19:20]
	v_div_fixup_f64 v[5:6], v[5:6], v[21:22], v[13:14]
	s_delay_alu instid0(VALU_DEP_1) | instskip(NEXT) | instid1(VALU_DEP_1)
	v_fma_f64 v[7:8], v[13:14], v[5:6], v[21:22]
	v_div_scale_f64 v[13:14], null, v[7:8], v[7:8], 1.0
	v_div_scale_f64 v[23:24], vcc_lo, 1.0, v[7:8], 1.0
	s_delay_alu instid0(VALU_DEP_2) | instskip(SKIP_2) | instid1(VALU_DEP_1)
	v_rcp_f64_e32 v[19:20], v[13:14]
	s_waitcnt_depctr 0xfff
	v_fma_f64 v[21:22], -v[13:14], v[19:20], 1.0
	v_fma_f64 v[19:20], v[19:20], v[21:22], v[19:20]
	s_delay_alu instid0(VALU_DEP_1) | instskip(NEXT) | instid1(VALU_DEP_1)
	v_fma_f64 v[21:22], -v[13:14], v[19:20], 1.0
	v_fma_f64 v[19:20], v[19:20], v[21:22], v[19:20]
	s_delay_alu instid0(VALU_DEP_1) | instskip(NEXT) | instid1(VALU_DEP_1)
	v_mul_f64 v[21:22], v[23:24], v[19:20]
	v_fma_f64 v[13:14], -v[13:14], v[21:22], v[23:24]
	s_delay_alu instid0(VALU_DEP_1) | instskip(SKIP_1) | instid1(VALU_DEP_2)
	v_div_fmas_f64 v[13:14], v[13:14], v[19:20], v[21:22]
	v_add_f64 v[19:20], v[5:6], 0
	v_div_fixup_f64 v[7:8], v[13:14], v[7:8], 1.0
	v_fma_f64 v[13:14], v[5:6], 0, -1.0
	s_delay_alu instid0(VALU_DEP_2) | instskip(NEXT) | instid1(VALU_DEP_2)
	v_mul_f64 v[5:6], v[19:20], v[7:8]
	v_mul_f64 v[7:8], v[13:14], v[7:8]
.LBB163_41:
	s_or_b32 exec_lo, exec_lo, s0
	s_waitcnt vmcnt(2)
	v_cmp_neq_f64_e32 vcc_lo, 0, v[15:16]
	v_cmp_neq_f64_e64 s0, 0, v[17:18]
	v_mov_b32_e32 v19, 0
	v_mov_b32_e32 v20, 0
	s_delay_alu instid0(VALU_DEP_3) | instskip(NEXT) | instid1(SALU_CYCLE_1)
	s_or_b32 s0, vcc_lo, s0
	s_and_saveexec_b32 s9, s0
	s_cbranch_execz .LBB163_73
; %bb.42:
	s_mov_b32 s0, 0
	s_mov_b32 s1, 0x7ff00000
	v_mov_b32_e32 v19, s0
	v_mov_b32_e32 v20, s1
	s_mov_b32 s11, exec_lo
	v_cmpx_neq_f64_e64 0x7ff00000, |v[17:18]|
	s_cbranch_execz .LBB163_72
; %bb.43:
	s_mov_b32 s0, exec_lo
	v_cmpx_o_f64_e32 v[15:16], v[15:16]
	s_xor_b32 s12, exec_lo, s0
	s_cbranch_execz .LBB163_69
; %bb.44:
	s_mov_b32 s1, exec_lo
	v_cmpx_neq_f64_e64 0x7ff00000, |v[15:16]|
	s_xor_b32 s13, exec_lo, s1
	s_cbranch_execz .LBB163_62
; %bb.45:
	v_max_f64 v[13:14], |v[17:18]|, |v[17:18]|
	v_max_f64 v[19:20], |v[15:16]|, |v[15:16]|
	s_mov_b32 s0, 0x99fcef32
	s_mov_b32 s1, 0x7fda8279
                                        ; implicit-def: $sgpr14
	s_delay_alu instid0(VALU_DEP_1) | instskip(NEXT) | instid1(VALU_DEP_1)
	v_max_f64 v[13:14], v[19:20], v[13:14]
	v_cmp_nle_f64_e64 s0, s[0:1], v[13:14]
	s_delay_alu instid0(VALU_DEP_1) | instskip(NEXT) | instid1(SALU_CYCLE_1)
	s_and_saveexec_b32 s1, s0
	s_xor_b32 s1, exec_lo, s1
	s_cbranch_execz .LBB163_49
; %bb.46:
	v_cmp_ge_f64_e64 s14, 0x200000, |v[15:16]|
	v_cmp_ge_f64_e64 s15, 0x200000, |v[17:18]|
	s_delay_alu instid0(VALU_DEP_1)
	s_and_b32 s16, s14, s15
	s_mov_b32 s14, 0
	s_and_saveexec_b32 s15, s16
; %bb.47:
	v_mul_f64 v[15:16], v[15:16], 4.0
	v_mul_f64 v[17:18], v[17:18], 4.0
	s_mov_b32 s14, exec_lo
; %bb.48:
	s_or_b32 exec_lo, exec_lo, s15
	s_delay_alu instid0(SALU_CYCLE_1)
	s_and_b32 s14, s14, exec_lo
.LBB163_49:
	s_and_not1_saveexec_b32 s1, s1
; %bb.50:
	s_delay_alu instid0(VALU_DEP_2) | instskip(NEXT) | instid1(VALU_DEP_2)
	v_ldexp_f64 v[15:16], v[15:16], -2
	v_ldexp_f64 v[17:18], v[17:18], -2
	s_and_not1_b32 s14, s14, exec_lo
; %bb.51:
	s_or_b32 exec_lo, exec_lo, s1
	s_delay_alu instid0(VALU_DEP_1) | instskip(NEXT) | instid1(VALU_DEP_3)
	v_max_f64 v[13:14], |v[17:18]|, |v[17:18]|
	v_max_f64 v[19:20], |v[15:16]|, |v[15:16]|
	v_cmp_class_f64_e64 s15, v[15:16], 0x204
	v_cmp_class_f64_e64 s16, v[17:18], 0x204
	v_cmp_le_f64_e64 s1, 0, v[15:16]
	s_delay_alu instid0(VALU_DEP_4) | instskip(NEXT) | instid1(VALU_DEP_3)
	v_max_f64 v[13:14], v[19:20], v[13:14]
	s_or_b32 s15, s16, s15
	s_delay_alu instid0(VALU_DEP_1) | instskip(NEXT) | instid1(VALU_DEP_1)
	v_frexp_exp_i32_f64_e32 v26, v[13:14]
	v_sub_nc_u32_e32 v19, 0, v26
	s_delay_alu instid0(VALU_DEP_1) | instskip(SKIP_1) | instid1(VALU_DEP_2)
	v_ldexp_f64 v[13:14], |v[17:18]|, v19
	v_ldexp_f64 v[19:20], |v[15:16]|, v19
	v_mul_f64 v[13:14], v[13:14], v[13:14]
	s_delay_alu instid0(VALU_DEP_1) | instskip(NEXT) | instid1(VALU_DEP_1)
	v_fma_f64 v[13:14], v[19:20], v[19:20], v[13:14]
	v_rsq_f64_e32 v[19:20], v[13:14]
	v_cmp_eq_f64_e32 vcc_lo, 0, v[13:14]
	s_waitcnt_depctr 0xfff
	v_mul_f64 v[21:22], v[13:14], v[19:20]
	v_mul_f64 v[19:20], v[19:20], 0.5
	s_delay_alu instid0(VALU_DEP_1) | instskip(NEXT) | instid1(VALU_DEP_1)
	v_fma_f64 v[23:24], -v[19:20], v[21:22], 0.5
	v_fma_f64 v[21:22], v[21:22], v[23:24], v[21:22]
	v_fma_f64 v[19:20], v[19:20], v[23:24], v[19:20]
	s_delay_alu instid0(VALU_DEP_2) | instskip(NEXT) | instid1(VALU_DEP_1)
	v_fma_f64 v[23:24], -v[21:22], v[21:22], v[13:14]
	v_fma_f64 v[19:20], v[23:24], v[19:20], v[21:22]
	s_delay_alu instid0(VALU_DEP_1) | instskip(SKIP_1) | instid1(VALU_DEP_2)
	v_dual_cndmask_b32 v14, v20, v14 :: v_dual_cndmask_b32 v13, v19, v13
	v_cmp_o_f64_e32 vcc_lo, v[17:18], v[17:18]
	v_ldexp_f64 v[13:14], v[13:14], v26
	s_delay_alu instid0(VALU_DEP_1) | instskip(NEXT) | instid1(VALU_DEP_2)
	v_cndmask_b32_e32 v13, 0, v13, vcc_lo
	v_cndmask_b32_e32 v14, 0x7ff80000, v14, vcc_lo
	s_delay_alu instid0(VALU_DEP_2) | instskip(NEXT) | instid1(VALU_DEP_2)
	v_cndmask_b32_e64 v13, v13, 0, s15
	v_cndmask_b32_e64 v14, v14, 0x7ff00000, s15
	s_and_saveexec_b32 s15, s1
	s_delay_alu instid0(SALU_CYCLE_1)
	s_xor_b32 s1, exec_lo, s15
	s_cbranch_execz .LBB163_57
; %bb.52:
	s_delay_alu instid0(VALU_DEP_1) | instskip(NEXT) | instid1(VALU_DEP_1)
	v_add_f64 v[13:14], v[15:16], v[13:14]
	v_mul_f64 v[13:14], v[13:14], 0.5
	s_delay_alu instid0(VALU_DEP_1) | instskip(SKIP_1) | instid1(VALU_DEP_1)
	v_cmp_gt_f64_e32 vcc_lo, 0x10000000, v[13:14]
	v_cndmask_b32_e64 v15, 0, 1, vcc_lo
	v_lshlrev_b32_e32 v15, 8, v15
	s_delay_alu instid0(VALU_DEP_1) | instskip(NEXT) | instid1(VALU_DEP_1)
	v_ldexp_f64 v[13:14], v[13:14], v15
	v_rsq_f64_e32 v[15:16], v[13:14]
	s_waitcnt_depctr 0xfff
	v_mul_f64 v[19:20], v[13:14], v[15:16]
	v_mul_f64 v[15:16], v[15:16], 0.5
	s_delay_alu instid0(VALU_DEP_1) | instskip(NEXT) | instid1(VALU_DEP_1)
	v_fma_f64 v[21:22], -v[15:16], v[19:20], 0.5
	v_fma_f64 v[19:20], v[19:20], v[21:22], v[19:20]
	v_fma_f64 v[15:16], v[15:16], v[21:22], v[15:16]
	s_delay_alu instid0(VALU_DEP_2) | instskip(NEXT) | instid1(VALU_DEP_1)
	v_fma_f64 v[21:22], -v[19:20], v[19:20], v[13:14]
	v_fma_f64 v[19:20], v[21:22], v[15:16], v[19:20]
	s_delay_alu instid0(VALU_DEP_1) | instskip(NEXT) | instid1(VALU_DEP_1)
	v_fma_f64 v[21:22], -v[19:20], v[19:20], v[13:14]
	v_fma_f64 v[15:16], v[21:22], v[15:16], v[19:20]
	v_cndmask_b32_e64 v19, 0, 0xffffff80, vcc_lo
	v_cmp_class_f64_e64 vcc_lo, v[13:14], 0x260
	s_delay_alu instid0(VALU_DEP_2) | instskip(NEXT) | instid1(VALU_DEP_1)
	v_ldexp_f64 v[15:16], v[15:16], v19
	v_dual_cndmask_b32 v16, v16, v14 :: v_dual_cndmask_b32 v15, v15, v13
	s_delay_alu instid0(VALU_DEP_1) | instskip(NEXT) | instid1(VALU_DEP_1)
	v_add_f64 v[13:14], v[15:16], v[15:16]
	v_div_scale_f64 v[19:20], null, v[13:14], v[13:14], v[17:18]
	s_delay_alu instid0(VALU_DEP_1) | instskip(SKIP_2) | instid1(VALU_DEP_1)
	v_rcp_f64_e32 v[21:22], v[19:20]
	s_waitcnt_depctr 0xfff
	v_fma_f64 v[23:24], -v[19:20], v[21:22], 1.0
	v_fma_f64 v[21:22], v[21:22], v[23:24], v[21:22]
	s_delay_alu instid0(VALU_DEP_1) | instskip(NEXT) | instid1(VALU_DEP_1)
	v_fma_f64 v[23:24], -v[19:20], v[21:22], 1.0
	v_fma_f64 v[21:22], v[21:22], v[23:24], v[21:22]
	v_div_scale_f64 v[23:24], vcc_lo, v[17:18], v[13:14], v[17:18]
	s_delay_alu instid0(VALU_DEP_1) | instskip(NEXT) | instid1(VALU_DEP_1)
	v_mul_f64 v[26:27], v[23:24], v[21:22]
	v_fma_f64 v[19:20], -v[19:20], v[26:27], v[23:24]
	s_delay_alu instid0(VALU_DEP_1) | instskip(NEXT) | instid1(VALU_DEP_1)
	v_div_fmas_f64 v[19:20], v[19:20], v[21:22], v[26:27]
	v_div_fixup_f64 v[17:18], v[19:20], v[13:14], v[17:18]
                                        ; implicit-def: $vgpr13_vgpr14
	s_and_not1_saveexec_b32 s1, s1
	s_cbranch_execnz .LBB163_58
.LBB163_53:
	s_or_b32 exec_lo, exec_lo, s1
	s_and_saveexec_b32 s1, s0
	s_delay_alu instid0(SALU_CYCLE_1)
	s_xor_b32 s0, exec_lo, s1
	s_cbranch_execz .LBB163_59
.LBB163_54:
	s_and_saveexec_b32 s1, s14
; %bb.55:
	s_delay_alu instid0(VALU_DEP_2) | instskip(NEXT) | instid1(VALU_DEP_2)
	v_mul_f64 v[15:16], v[15:16], 0.5
	v_mul_f64 v[17:18], v[17:18], 0.5
; %bb.56:
	s_or_b32 exec_lo, exec_lo, s1
	s_and_not1_saveexec_b32 s0, s0
	s_cbranch_execnz .LBB163_60
	s_branch .LBB163_61
.LBB163_57:
	s_and_not1_saveexec_b32 s1, s1
	s_cbranch_execz .LBB163_53
.LBB163_58:
	v_add_f64 v[13:14], v[13:14], -v[15:16]
	s_delay_alu instid0(VALU_DEP_1) | instskip(NEXT) | instid1(VALU_DEP_1)
	v_mul_f64 v[13:14], v[13:14], 0.5
	v_cmp_gt_f64_e32 vcc_lo, 0x10000000, v[13:14]
	v_cndmask_b32_e64 v15, 0, 1, vcc_lo
	s_delay_alu instid0(VALU_DEP_1) | instskip(NEXT) | instid1(VALU_DEP_1)
	v_lshlrev_b32_e32 v15, 8, v15
	v_ldexp_f64 v[13:14], v[13:14], v15
	s_delay_alu instid0(VALU_DEP_1) | instskip(SKIP_3) | instid1(VALU_DEP_1)
	v_rsq_f64_e32 v[15:16], v[13:14]
	s_waitcnt_depctr 0xfff
	v_mul_f64 v[19:20], v[13:14], v[15:16]
	v_mul_f64 v[15:16], v[15:16], 0.5
	v_fma_f64 v[21:22], -v[15:16], v[19:20], 0.5
	s_delay_alu instid0(VALU_DEP_1) | instskip(SKIP_1) | instid1(VALU_DEP_2)
	v_fma_f64 v[19:20], v[19:20], v[21:22], v[19:20]
	v_fma_f64 v[15:16], v[15:16], v[21:22], v[15:16]
	v_fma_f64 v[21:22], -v[19:20], v[19:20], v[13:14]
	s_delay_alu instid0(VALU_DEP_1) | instskip(NEXT) | instid1(VALU_DEP_1)
	v_fma_f64 v[19:20], v[21:22], v[15:16], v[19:20]
	v_fma_f64 v[21:22], -v[19:20], v[19:20], v[13:14]
	s_delay_alu instid0(VALU_DEP_1) | instskip(SKIP_3) | instid1(VALU_DEP_3)
	v_fma_f64 v[15:16], v[21:22], v[15:16], v[19:20]
	v_cndmask_b32_e64 v19, 0, 0xffffff80, vcc_lo
	v_cmp_class_f64_e64 vcc_lo, v[13:14], 0x260
	v_and_b32_e32 v20, 0x7fffffff, v18
	v_ldexp_f64 v[15:16], v[15:16], v19
	s_delay_alu instid0(VALU_DEP_1) | instskip(NEXT) | instid1(VALU_DEP_1)
	v_dual_cndmask_b32 v14, v16, v14 :: v_dual_cndmask_b32 v13, v15, v13
	v_add_f64 v[15:16], v[13:14], v[13:14]
	v_bfi_b32 v14, 0x7fffffff, v14, v18
	v_mov_b32_e32 v19, v17
	s_delay_alu instid0(VALU_DEP_1) | instskip(SKIP_1) | instid1(VALU_DEP_2)
	v_div_scale_f64 v[21:22], null, v[15:16], v[15:16], v[19:20]
	v_div_scale_f64 v[19:20], vcc_lo, v[19:20], v[15:16], v[19:20]
	v_rcp_f64_e32 v[23:24], v[21:22]
	s_waitcnt_depctr 0xfff
	v_fma_f64 v[26:27], -v[21:22], v[23:24], 1.0
	s_delay_alu instid0(VALU_DEP_1) | instskip(NEXT) | instid1(VALU_DEP_1)
	v_fma_f64 v[23:24], v[23:24], v[26:27], v[23:24]
	v_fma_f64 v[26:27], -v[21:22], v[23:24], 1.0
	s_delay_alu instid0(VALU_DEP_1) | instskip(NEXT) | instid1(VALU_DEP_1)
	v_fma_f64 v[23:24], v[23:24], v[26:27], v[23:24]
	v_mul_f64 v[26:27], v[19:20], v[23:24]
	s_delay_alu instid0(VALU_DEP_1) | instskip(NEXT) | instid1(VALU_DEP_1)
	v_fma_f64 v[19:20], -v[21:22], v[26:27], v[19:20]
	v_div_fmas_f64 v[19:20], v[19:20], v[23:24], v[26:27]
	s_delay_alu instid0(VALU_DEP_1) | instskip(SKIP_3) | instid1(SALU_CYCLE_1)
	v_div_fixup_f64 v[15:16], v[19:20], v[15:16], |v[17:18]|
	v_dual_mov_b32 v18, v14 :: v_dual_mov_b32 v17, v13
	s_or_b32 exec_lo, exec_lo, s1
	s_and_saveexec_b32 s1, s0
	s_xor_b32 s0, exec_lo, s1
	s_cbranch_execnz .LBB163_54
.LBB163_59:
	s_and_not1_saveexec_b32 s0, s0
.LBB163_60:
	s_delay_alu instid0(VALU_DEP_2) | instskip(NEXT) | instid1(VALU_DEP_2)
	v_add_f64 v[15:16], v[15:16], v[15:16]
	v_add_f64 v[17:18], v[17:18], v[17:18]
.LBB163_61:
	s_or_b32 exec_lo, exec_lo, s0
.LBB163_62:
	s_and_not1_saveexec_b32 s0, s13
	s_cbranch_execz .LBB163_68
; %bb.63:
	s_delay_alu instid0(VALU_DEP_1) | instskip(SKIP_1) | instid1(VALU_DEP_3)
	v_add_f64 v[13:14], v[17:18], -v[17:18]
	s_mov_b32 s1, exec_lo
	v_cmpx_lt_i64_e32 -1, v[15:16]
	s_xor_b32 s1, exec_lo, s1
; %bb.64:
	s_delay_alu instid0(VALU_DEP_2) | instskip(NEXT) | instid1(VALU_DEP_1)
	v_bfi_b32 v14, 0x7fffffff, v14, v18
	v_dual_mov_b32 v18, v14 :: v_dual_mov_b32 v17, v13
                                        ; implicit-def: $vgpr13_vgpr14
; %bb.65:
	s_and_not1_saveexec_b32 s1, s1
; %bb.66:
	s_delay_alu instid0(VALU_DEP_1) | instskip(SKIP_1) | instid1(VALU_DEP_2)
	v_bfi_b32 v16, 0x7fffffff, v16, v18
	v_and_b32_e32 v14, 0x7fffffff, v14
	v_dual_mov_b32 v18, v16 :: v_dual_mov_b32 v17, v15
	s_delay_alu instid0(VALU_DEP_2)
	v_dual_mov_b32 v16, v14 :: v_dual_mov_b32 v15, v13
; %bb.67:
	s_or_b32 exec_lo, exec_lo, s1
.LBB163_68:
	s_delay_alu instid0(SALU_CYCLE_1)
	s_or_b32 exec_lo, exec_lo, s0
.LBB163_69:
	s_and_not1_saveexec_b32 s0, s12
; %bb.70:
	s_delay_alu instid0(VALU_DEP_1) | instskip(NEXT) | instid1(VALU_DEP_1)
	v_add_f64 v[13:14], v[17:18], -v[17:18]
	v_div_scale_f64 v[17:18], vcc_lo, v[13:14], v[13:14], v[13:14]
	s_delay_alu instid0(VALU_DEP_1) | instskip(SKIP_2) | instid1(VALU_DEP_1)
	v_rcp_f64_e32 v[19:20], v[17:18]
	s_waitcnt_depctr 0xfff
	v_fma_f64 v[21:22], -v[17:18], v[19:20], 1.0
	v_fma_f64 v[19:20], v[19:20], v[21:22], v[19:20]
	s_delay_alu instid0(VALU_DEP_1) | instskip(NEXT) | instid1(VALU_DEP_1)
	v_fma_f64 v[21:22], -v[17:18], v[19:20], 1.0
	v_fma_f64 v[19:20], v[19:20], v[21:22], v[19:20]
	s_delay_alu instid0(VALU_DEP_1) | instskip(NEXT) | instid1(VALU_DEP_1)
	v_mul_f64 v[21:22], v[17:18], v[19:20]
	v_fma_f64 v[17:18], -v[17:18], v[21:22], v[17:18]
	s_delay_alu instid0(VALU_DEP_1) | instskip(NEXT) | instid1(VALU_DEP_1)
	v_div_fmas_f64 v[17:18], v[17:18], v[19:20], v[21:22]
	v_div_fixup_f64 v[17:18], v[17:18], v[13:14], v[13:14]
; %bb.71:
	s_or_b32 exec_lo, exec_lo, s0
	v_dual_mov_b32 v20, v16 :: v_dual_mov_b32 v19, v15
.LBB163_72:
	s_or_b32 exec_lo, exec_lo, s11
.LBB163_73:
	s_delay_alu instid0(SALU_CYCLE_1) | instskip(NEXT) | instid1(VALU_DEP_1)
	s_or_b32 exec_lo, exec_lo, s9
	v_cmp_gt_f64_e32 vcc_lo, 0, v[19:20]
	s_delay_alu instid0(VALU_DEP_3) | instskip(SKIP_2) | instid1(VALU_DEP_2)
	v_cmp_gt_f64_e64 s0, 0, v[17:18]
	v_xor_b32_e32 v13, 0x80000000, v20
	v_xor_b32_e32 v14, 0x80000000, v18
                                        ; implicit-def: $vgpr15_vgpr16
	v_dual_cndmask_b32 v22, v20, v13 :: v_dual_cndmask_b32 v21, v19, v19
	s_delay_alu instid0(VALU_DEP_2) | instskip(SKIP_2) | instid1(VALU_DEP_1)
	v_cndmask_b32_e64 v24, v18, v14, s0
	v_cndmask_b32_e64 v23, v17, v17, s0
	s_mov_b32 s0, exec_lo
	v_cmpx_ge_f64_e32 v[21:22], v[23:24]
	s_xor_b32 s1, exec_lo, s0
	s_cbranch_execz .LBB163_79
; %bb.74:
	v_cmp_neq_f64_e32 vcc_lo, 0, v[19:20]
	v_cmp_neq_f64_e64 s0, 0, v[17:18]
                                        ; implicit-def: $vgpr15_vgpr16
	s_delay_alu instid0(VALU_DEP_1) | instskip(NEXT) | instid1(SALU_CYCLE_1)
	s_or_b32 s0, vcc_lo, s0
	s_and_saveexec_b32 s9, s0
	s_delay_alu instid0(SALU_CYCLE_1)
	s_xor_b32 s0, exec_lo, s9
	s_cbranch_execz .LBB163_76
; %bb.75:
	v_div_scale_f64 v[13:14], null, v[19:20], v[19:20], v[17:18]
	v_div_scale_f64 v[23:24], vcc_lo, v[17:18], v[19:20], v[17:18]
	s_delay_alu instid0(VALU_DEP_2) | instskip(SKIP_2) | instid1(VALU_DEP_1)
	v_rcp_f64_e32 v[15:16], v[13:14]
	s_waitcnt_depctr 0xfff
	v_fma_f64 v[21:22], -v[13:14], v[15:16], 1.0
	v_fma_f64 v[15:16], v[15:16], v[21:22], v[15:16]
	s_delay_alu instid0(VALU_DEP_1) | instskip(NEXT) | instid1(VALU_DEP_1)
	v_fma_f64 v[21:22], -v[13:14], v[15:16], 1.0
	v_fma_f64 v[15:16], v[15:16], v[21:22], v[15:16]
	s_delay_alu instid0(VALU_DEP_1) | instskip(NEXT) | instid1(VALU_DEP_1)
	v_mul_f64 v[21:22], v[23:24], v[15:16]
	v_fma_f64 v[13:14], -v[13:14], v[21:22], v[23:24]
	s_delay_alu instid0(VALU_DEP_1) | instskip(NEXT) | instid1(VALU_DEP_1)
	v_div_fmas_f64 v[13:14], v[13:14], v[15:16], v[21:22]
	v_div_fixup_f64 v[13:14], v[13:14], v[19:20], v[17:18]
	s_delay_alu instid0(VALU_DEP_1) | instskip(NEXT) | instid1(VALU_DEP_1)
	v_fma_f64 v[15:16], v[17:18], v[13:14], v[19:20]
	v_div_scale_f64 v[17:18], null, v[15:16], v[15:16], 1.0
	v_div_scale_f64 v[23:24], vcc_lo, 1.0, v[15:16], 1.0
	s_delay_alu instid0(VALU_DEP_2) | instskip(SKIP_2) | instid1(VALU_DEP_1)
	v_rcp_f64_e32 v[19:20], v[17:18]
	s_waitcnt_depctr 0xfff
	v_fma_f64 v[21:22], -v[17:18], v[19:20], 1.0
	v_fma_f64 v[19:20], v[19:20], v[21:22], v[19:20]
	s_delay_alu instid0(VALU_DEP_1) | instskip(NEXT) | instid1(VALU_DEP_1)
	v_fma_f64 v[21:22], -v[17:18], v[19:20], 1.0
	v_fma_f64 v[19:20], v[19:20], v[21:22], v[19:20]
	s_delay_alu instid0(VALU_DEP_1) | instskip(NEXT) | instid1(VALU_DEP_1)
	v_mul_f64 v[21:22], v[23:24], v[19:20]
	v_fma_f64 v[17:18], -v[17:18], v[21:22], v[23:24]
                                        ; implicit-def: $vgpr23_vgpr24
	s_delay_alu instid0(VALU_DEP_1) | instskip(SKIP_1) | instid1(VALU_DEP_2)
	v_div_fmas_f64 v[17:18], v[17:18], v[19:20], v[21:22]
	v_fma_f64 v[19:20], v[13:14], 0, 1.0
                                        ; implicit-def: $vgpr21_vgpr22
	v_div_fixup_f64 v[15:16], v[17:18], v[15:16], 1.0
	v_add_f64 v[17:18], -v[13:14], 0
	s_delay_alu instid0(VALU_DEP_2) | instskip(NEXT) | instid1(VALU_DEP_2)
	v_mul_f64 v[13:14], v[19:20], v[15:16]
	v_mul_f64 v[15:16], v[17:18], v[15:16]
.LBB163_76:
	s_and_not1_saveexec_b32 s9, s0
	s_cbranch_execz .LBB163_78
; %bb.77:
	v_div_scale_f64 v[13:14], null, v[21:22], v[21:22], 1.0
	v_div_scale_f64 v[15:16], null, v[23:24], v[23:24], 0
	v_div_scale_f64 v[30:31], vcc_lo, 1.0, v[21:22], 1.0
	s_delay_alu instid0(VALU_DEP_3) | instskip(NEXT) | instid1(VALU_DEP_2)
	v_rcp_f64_e32 v[17:18], v[13:14]
	v_rcp_f64_e32 v[19:20], v[15:16]
	s_waitcnt_depctr 0xfff
	v_fma_f64 v[26:27], -v[13:14], v[17:18], 1.0
	v_fma_f64 v[28:29], -v[15:16], v[19:20], 1.0
	s_delay_alu instid0(VALU_DEP_2) | instskip(NEXT) | instid1(VALU_DEP_2)
	v_fma_f64 v[17:18], v[17:18], v[26:27], v[17:18]
	v_fma_f64 v[19:20], v[19:20], v[28:29], v[19:20]
	s_delay_alu instid0(VALU_DEP_2) | instskip(NEXT) | instid1(VALU_DEP_2)
	v_fma_f64 v[26:27], -v[13:14], v[17:18], 1.0
	v_fma_f64 v[28:29], -v[15:16], v[19:20], 1.0
	s_delay_alu instid0(VALU_DEP_2) | instskip(SKIP_1) | instid1(VALU_DEP_3)
	v_fma_f64 v[17:18], v[17:18], v[26:27], v[17:18]
	v_div_scale_f64 v[26:27], s0, 0, v[23:24], 0
	v_fma_f64 v[19:20], v[19:20], v[28:29], v[19:20]
	s_delay_alu instid0(VALU_DEP_3) | instskip(NEXT) | instid1(VALU_DEP_2)
	v_mul_f64 v[28:29], v[30:31], v[17:18]
	v_mul_f64 v[32:33], v[26:27], v[19:20]
	s_delay_alu instid0(VALU_DEP_2) | instskip(NEXT) | instid1(VALU_DEP_2)
	v_fma_f64 v[13:14], -v[13:14], v[28:29], v[30:31]
	v_fma_f64 v[15:16], -v[15:16], v[32:33], v[26:27]
	s_delay_alu instid0(VALU_DEP_2) | instskip(SKIP_1) | instid1(VALU_DEP_2)
	v_div_fmas_f64 v[13:14], v[13:14], v[17:18], v[28:29]
	s_mov_b32 vcc_lo, s0
	v_div_fmas_f64 v[15:16], v[15:16], v[19:20], v[32:33]
	s_delay_alu instid0(VALU_DEP_2) | instskip(NEXT) | instid1(VALU_DEP_2)
	v_div_fixup_f64 v[13:14], v[13:14], v[21:22], 1.0
	v_div_fixup_f64 v[15:16], v[15:16], v[23:24], 0
.LBB163_78:
	s_or_b32 exec_lo, exec_lo, s9
                                        ; implicit-def: $vgpr17_vgpr18
                                        ; implicit-def: $vgpr19_vgpr20
.LBB163_79:
	s_and_not1_saveexec_b32 s0, s1
	s_cbranch_execz .LBB163_81
; %bb.80:
	v_div_scale_f64 v[13:14], null, v[17:18], v[17:18], v[19:20]
	v_div_scale_f64 v[23:24], vcc_lo, v[19:20], v[17:18], v[19:20]
	s_delay_alu instid0(VALU_DEP_2) | instskip(SKIP_2) | instid1(VALU_DEP_1)
	v_rcp_f64_e32 v[15:16], v[13:14]
	s_waitcnt_depctr 0xfff
	v_fma_f64 v[21:22], -v[13:14], v[15:16], 1.0
	v_fma_f64 v[15:16], v[15:16], v[21:22], v[15:16]
	s_delay_alu instid0(VALU_DEP_1) | instskip(NEXT) | instid1(VALU_DEP_1)
	v_fma_f64 v[21:22], -v[13:14], v[15:16], 1.0
	v_fma_f64 v[15:16], v[15:16], v[21:22], v[15:16]
	s_delay_alu instid0(VALU_DEP_1) | instskip(NEXT) | instid1(VALU_DEP_1)
	v_mul_f64 v[21:22], v[23:24], v[15:16]
	v_fma_f64 v[13:14], -v[13:14], v[21:22], v[23:24]
	s_delay_alu instid0(VALU_DEP_1) | instskip(NEXT) | instid1(VALU_DEP_1)
	v_div_fmas_f64 v[13:14], v[13:14], v[15:16], v[21:22]
	v_div_fixup_f64 v[13:14], v[13:14], v[17:18], v[19:20]
	s_delay_alu instid0(VALU_DEP_1) | instskip(NEXT) | instid1(VALU_DEP_1)
	v_fma_f64 v[15:16], v[19:20], v[13:14], v[17:18]
	v_div_scale_f64 v[17:18], null, v[15:16], v[15:16], 1.0
	v_div_scale_f64 v[23:24], vcc_lo, 1.0, v[15:16], 1.0
	s_delay_alu instid0(VALU_DEP_2) | instskip(SKIP_2) | instid1(VALU_DEP_1)
	v_rcp_f64_e32 v[19:20], v[17:18]
	s_waitcnt_depctr 0xfff
	v_fma_f64 v[21:22], -v[17:18], v[19:20], 1.0
	v_fma_f64 v[19:20], v[19:20], v[21:22], v[19:20]
	s_delay_alu instid0(VALU_DEP_1) | instskip(NEXT) | instid1(VALU_DEP_1)
	v_fma_f64 v[21:22], -v[17:18], v[19:20], 1.0
	v_fma_f64 v[19:20], v[19:20], v[21:22], v[19:20]
	s_delay_alu instid0(VALU_DEP_1) | instskip(NEXT) | instid1(VALU_DEP_1)
	v_mul_f64 v[21:22], v[23:24], v[19:20]
	v_fma_f64 v[17:18], -v[17:18], v[21:22], v[23:24]
	s_delay_alu instid0(VALU_DEP_1) | instskip(SKIP_1) | instid1(VALU_DEP_2)
	v_div_fmas_f64 v[17:18], v[17:18], v[19:20], v[21:22]
	v_add_f64 v[19:20], v[13:14], 0
	v_div_fixup_f64 v[15:16], v[17:18], v[15:16], 1.0
	v_fma_f64 v[17:18], v[13:14], 0, -1.0
	s_delay_alu instid0(VALU_DEP_2) | instskip(NEXT) | instid1(VALU_DEP_2)
	v_mul_f64 v[13:14], v[19:20], v[15:16]
	v_mul_f64 v[15:16], v[17:18], v[15:16]
.LBB163_81:
	s_or_b32 exec_lo, exec_lo, s0
	s_waitcnt vmcnt(0)
	v_cmp_neq_f64_e32 vcc_lo, 0, v[9:10]
	v_cmp_neq_f64_e64 s0, 0, v[11:12]
	v_mov_b32_e32 v21, 0
	v_mov_b32_e32 v22, 0
	s_delay_alu instid0(VALU_DEP_3) | instskip(NEXT) | instid1(SALU_CYCLE_1)
	s_or_b32 s0, vcc_lo, s0
	s_and_saveexec_b32 s9, s0
	s_cbranch_execz .LBB163_113
; %bb.82:
	s_mov_b32 s0, 0
	s_mov_b32 s1, 0x7ff00000
	v_mov_b32_e32 v21, s0
	v_mov_b32_e32 v22, s1
	s_mov_b32 s11, exec_lo
	v_cmpx_neq_f64_e64 0x7ff00000, |v[11:12]|
	s_cbranch_execz .LBB163_112
; %bb.83:
	s_mov_b32 s0, exec_lo
	v_cmpx_o_f64_e32 v[9:10], v[9:10]
	s_xor_b32 s12, exec_lo, s0
	s_cbranch_execz .LBB163_109
; %bb.84:
	s_mov_b32 s1, exec_lo
	v_cmpx_neq_f64_e64 0x7ff00000, |v[9:10]|
	s_xor_b32 s13, exec_lo, s1
	s_cbranch_execz .LBB163_102
; %bb.85:
	v_max_f64 v[17:18], |v[11:12]|, |v[11:12]|
	v_max_f64 v[19:20], |v[9:10]|, |v[9:10]|
	s_mov_b32 s0, 0x99fcef32
	s_mov_b32 s1, 0x7fda8279
                                        ; implicit-def: $sgpr14
	s_delay_alu instid0(VALU_DEP_1) | instskip(NEXT) | instid1(VALU_DEP_1)
	v_max_f64 v[17:18], v[19:20], v[17:18]
	v_cmp_nle_f64_e64 s0, s[0:1], v[17:18]
	s_delay_alu instid0(VALU_DEP_1) | instskip(NEXT) | instid1(SALU_CYCLE_1)
	s_and_saveexec_b32 s1, s0
	s_xor_b32 s1, exec_lo, s1
	s_cbranch_execz .LBB163_89
; %bb.86:
	v_cmp_ge_f64_e64 s14, 0x200000, |v[9:10]|
	v_cmp_ge_f64_e64 s15, 0x200000, |v[11:12]|
	s_delay_alu instid0(VALU_DEP_1)
	s_and_b32 s16, s14, s15
	s_mov_b32 s14, 0
	s_and_saveexec_b32 s15, s16
; %bb.87:
	v_mul_f64 v[9:10], v[9:10], 4.0
	v_mul_f64 v[11:12], v[11:12], 4.0
	s_mov_b32 s14, exec_lo
; %bb.88:
	s_or_b32 exec_lo, exec_lo, s15
	s_delay_alu instid0(SALU_CYCLE_1)
	s_and_b32 s14, s14, exec_lo
.LBB163_89:
	s_and_not1_saveexec_b32 s1, s1
; %bb.90:
	s_delay_alu instid0(VALU_DEP_2) | instskip(NEXT) | instid1(VALU_DEP_2)
	v_ldexp_f64 v[9:10], v[9:10], -2
	v_ldexp_f64 v[11:12], v[11:12], -2
	s_and_not1_b32 s14, s14, exec_lo
; %bb.91:
	s_or_b32 exec_lo, exec_lo, s1
	s_delay_alu instid0(VALU_DEP_1) | instskip(NEXT) | instid1(VALU_DEP_3)
	v_max_f64 v[17:18], |v[11:12]|, |v[11:12]|
	v_max_f64 v[19:20], |v[9:10]|, |v[9:10]|
	v_cmp_class_f64_e64 s15, v[9:10], 0x204
	v_cmp_class_f64_e64 s16, v[11:12], 0x204
	v_cmp_le_f64_e64 s1, 0, v[9:10]
	s_delay_alu instid0(VALU_DEP_4) | instskip(NEXT) | instid1(VALU_DEP_3)
	v_max_f64 v[17:18], v[19:20], v[17:18]
	s_or_b32 s15, s16, s15
	s_delay_alu instid0(VALU_DEP_1) | instskip(NEXT) | instid1(VALU_DEP_1)
	v_frexp_exp_i32_f64_e32 v26, v[17:18]
	v_sub_nc_u32_e32 v19, 0, v26
	s_delay_alu instid0(VALU_DEP_1) | instskip(SKIP_1) | instid1(VALU_DEP_2)
	v_ldexp_f64 v[17:18], |v[11:12]|, v19
	v_ldexp_f64 v[19:20], |v[9:10]|, v19
	v_mul_f64 v[17:18], v[17:18], v[17:18]
	s_delay_alu instid0(VALU_DEP_1) | instskip(NEXT) | instid1(VALU_DEP_1)
	v_fma_f64 v[17:18], v[19:20], v[19:20], v[17:18]
	v_rsq_f64_e32 v[19:20], v[17:18]
	v_cmp_eq_f64_e32 vcc_lo, 0, v[17:18]
	s_waitcnt_depctr 0xfff
	v_mul_f64 v[21:22], v[17:18], v[19:20]
	v_mul_f64 v[19:20], v[19:20], 0.5
	s_delay_alu instid0(VALU_DEP_1) | instskip(NEXT) | instid1(VALU_DEP_1)
	v_fma_f64 v[23:24], -v[19:20], v[21:22], 0.5
	v_fma_f64 v[21:22], v[21:22], v[23:24], v[21:22]
	v_fma_f64 v[19:20], v[19:20], v[23:24], v[19:20]
	s_delay_alu instid0(VALU_DEP_2) | instskip(NEXT) | instid1(VALU_DEP_1)
	v_fma_f64 v[23:24], -v[21:22], v[21:22], v[17:18]
	v_fma_f64 v[19:20], v[23:24], v[19:20], v[21:22]
	s_delay_alu instid0(VALU_DEP_1) | instskip(SKIP_1) | instid1(VALU_DEP_2)
	v_dual_cndmask_b32 v18, v20, v18 :: v_dual_cndmask_b32 v17, v19, v17
	v_cmp_o_f64_e32 vcc_lo, v[11:12], v[11:12]
	v_ldexp_f64 v[17:18], v[17:18], v26
	s_delay_alu instid0(VALU_DEP_1) | instskip(NEXT) | instid1(VALU_DEP_2)
	v_cndmask_b32_e32 v17, 0, v17, vcc_lo
	v_cndmask_b32_e32 v18, 0x7ff80000, v18, vcc_lo
	s_delay_alu instid0(VALU_DEP_2) | instskip(NEXT) | instid1(VALU_DEP_2)
	v_cndmask_b32_e64 v17, v17, 0, s15
	v_cndmask_b32_e64 v18, v18, 0x7ff00000, s15
	s_and_saveexec_b32 s15, s1
	s_delay_alu instid0(SALU_CYCLE_1)
	s_xor_b32 s1, exec_lo, s15
	s_cbranch_execz .LBB163_97
; %bb.92:
	s_delay_alu instid0(VALU_DEP_1) | instskip(NEXT) | instid1(VALU_DEP_1)
	v_add_f64 v[9:10], v[9:10], v[17:18]
	v_mul_f64 v[9:10], v[9:10], 0.5
	s_delay_alu instid0(VALU_DEP_1) | instskip(SKIP_1) | instid1(VALU_DEP_1)
	v_cmp_gt_f64_e32 vcc_lo, 0x10000000, v[9:10]
	v_cndmask_b32_e64 v17, 0, 1, vcc_lo
	v_lshlrev_b32_e32 v17, 8, v17
	s_delay_alu instid0(VALU_DEP_1) | instskip(NEXT) | instid1(VALU_DEP_1)
	v_ldexp_f64 v[9:10], v[9:10], v17
	v_rsq_f64_e32 v[17:18], v[9:10]
	s_waitcnt_depctr 0xfff
	v_mul_f64 v[19:20], v[9:10], v[17:18]
	v_mul_f64 v[17:18], v[17:18], 0.5
	s_delay_alu instid0(VALU_DEP_1) | instskip(NEXT) | instid1(VALU_DEP_1)
	v_fma_f64 v[21:22], -v[17:18], v[19:20], 0.5
	v_fma_f64 v[19:20], v[19:20], v[21:22], v[19:20]
	v_fma_f64 v[17:18], v[17:18], v[21:22], v[17:18]
	s_delay_alu instid0(VALU_DEP_2) | instskip(NEXT) | instid1(VALU_DEP_1)
	v_fma_f64 v[21:22], -v[19:20], v[19:20], v[9:10]
	v_fma_f64 v[19:20], v[21:22], v[17:18], v[19:20]
	s_delay_alu instid0(VALU_DEP_1) | instskip(NEXT) | instid1(VALU_DEP_1)
	v_fma_f64 v[21:22], -v[19:20], v[19:20], v[9:10]
	v_fma_f64 v[17:18], v[21:22], v[17:18], v[19:20]
	v_cndmask_b32_e64 v19, 0, 0xffffff80, vcc_lo
	v_cmp_class_f64_e64 vcc_lo, v[9:10], 0x260
	s_delay_alu instid0(VALU_DEP_2) | instskip(NEXT) | instid1(VALU_DEP_1)
	v_ldexp_f64 v[17:18], v[17:18], v19
	v_dual_cndmask_b32 v10, v18, v10 :: v_dual_cndmask_b32 v9, v17, v9
	s_delay_alu instid0(VALU_DEP_1) | instskip(NEXT) | instid1(VALU_DEP_1)
	v_add_f64 v[17:18], v[9:10], v[9:10]
	v_div_scale_f64 v[19:20], null, v[17:18], v[17:18], v[11:12]
	s_delay_alu instid0(VALU_DEP_1) | instskip(SKIP_2) | instid1(VALU_DEP_1)
	v_rcp_f64_e32 v[21:22], v[19:20]
	s_waitcnt_depctr 0xfff
	v_fma_f64 v[23:24], -v[19:20], v[21:22], 1.0
	v_fma_f64 v[21:22], v[21:22], v[23:24], v[21:22]
	s_delay_alu instid0(VALU_DEP_1) | instskip(NEXT) | instid1(VALU_DEP_1)
	v_fma_f64 v[23:24], -v[19:20], v[21:22], 1.0
	v_fma_f64 v[21:22], v[21:22], v[23:24], v[21:22]
	v_div_scale_f64 v[23:24], vcc_lo, v[11:12], v[17:18], v[11:12]
	s_delay_alu instid0(VALU_DEP_1) | instskip(NEXT) | instid1(VALU_DEP_1)
	v_mul_f64 v[26:27], v[23:24], v[21:22]
	v_fma_f64 v[19:20], -v[19:20], v[26:27], v[23:24]
	s_delay_alu instid0(VALU_DEP_1) | instskip(NEXT) | instid1(VALU_DEP_1)
	v_div_fmas_f64 v[19:20], v[19:20], v[21:22], v[26:27]
	v_div_fixup_f64 v[11:12], v[19:20], v[17:18], v[11:12]
                                        ; implicit-def: $vgpr17_vgpr18
	s_and_not1_saveexec_b32 s1, s1
	s_cbranch_execnz .LBB163_98
.LBB163_93:
	s_or_b32 exec_lo, exec_lo, s1
	s_and_saveexec_b32 s1, s0
	s_delay_alu instid0(SALU_CYCLE_1)
	s_xor_b32 s0, exec_lo, s1
	s_cbranch_execz .LBB163_99
.LBB163_94:
	s_and_saveexec_b32 s1, s14
; %bb.95:
	s_delay_alu instid0(VALU_DEP_2) | instskip(NEXT) | instid1(VALU_DEP_2)
	v_mul_f64 v[9:10], v[9:10], 0.5
	v_mul_f64 v[11:12], v[11:12], 0.5
; %bb.96:
	s_or_b32 exec_lo, exec_lo, s1
	s_and_not1_saveexec_b32 s0, s0
	s_cbranch_execnz .LBB163_100
	s_branch .LBB163_101
.LBB163_97:
	s_and_not1_saveexec_b32 s1, s1
	s_cbranch_execz .LBB163_93
.LBB163_98:
	v_add_f64 v[9:10], v[17:18], -v[9:10]
	s_delay_alu instid0(VALU_DEP_1) | instskip(NEXT) | instid1(VALU_DEP_1)
	v_mul_f64 v[9:10], v[9:10], 0.5
	v_cmp_gt_f64_e32 vcc_lo, 0x10000000, v[9:10]
	v_cndmask_b32_e64 v17, 0, 1, vcc_lo
	s_delay_alu instid0(VALU_DEP_1) | instskip(NEXT) | instid1(VALU_DEP_1)
	v_lshlrev_b32_e32 v17, 8, v17
	v_ldexp_f64 v[9:10], v[9:10], v17
	s_delay_alu instid0(VALU_DEP_1) | instskip(SKIP_3) | instid1(VALU_DEP_1)
	v_rsq_f64_e32 v[17:18], v[9:10]
	s_waitcnt_depctr 0xfff
	v_mul_f64 v[19:20], v[9:10], v[17:18]
	v_mul_f64 v[17:18], v[17:18], 0.5
	v_fma_f64 v[21:22], -v[17:18], v[19:20], 0.5
	s_delay_alu instid0(VALU_DEP_1) | instskip(SKIP_1) | instid1(VALU_DEP_2)
	v_fma_f64 v[19:20], v[19:20], v[21:22], v[19:20]
	v_fma_f64 v[17:18], v[17:18], v[21:22], v[17:18]
	v_fma_f64 v[21:22], -v[19:20], v[19:20], v[9:10]
	s_delay_alu instid0(VALU_DEP_1) | instskip(NEXT) | instid1(VALU_DEP_1)
	v_fma_f64 v[19:20], v[21:22], v[17:18], v[19:20]
	v_fma_f64 v[21:22], -v[19:20], v[19:20], v[9:10]
	s_delay_alu instid0(VALU_DEP_1) | instskip(SKIP_3) | instid1(VALU_DEP_3)
	v_fma_f64 v[17:18], v[21:22], v[17:18], v[19:20]
	v_cndmask_b32_e64 v19, 0, 0xffffff80, vcc_lo
	v_cmp_class_f64_e64 vcc_lo, v[9:10], 0x260
	v_and_b32_e32 v20, 0x7fffffff, v12
	v_ldexp_f64 v[17:18], v[17:18], v19
	s_delay_alu instid0(VALU_DEP_1) | instskip(NEXT) | instid1(VALU_DEP_1)
	v_dual_cndmask_b32 v18, v18, v10 :: v_dual_cndmask_b32 v17, v17, v9
	v_add_f64 v[9:10], v[17:18], v[17:18]
	v_bfi_b32 v18, 0x7fffffff, v18, v12
	v_mov_b32_e32 v19, v11
	s_delay_alu instid0(VALU_DEP_1) | instskip(SKIP_1) | instid1(VALU_DEP_2)
	v_div_scale_f64 v[21:22], null, v[9:10], v[9:10], v[19:20]
	v_div_scale_f64 v[19:20], vcc_lo, v[19:20], v[9:10], v[19:20]
	v_rcp_f64_e32 v[23:24], v[21:22]
	s_waitcnt_depctr 0xfff
	v_fma_f64 v[26:27], -v[21:22], v[23:24], 1.0
	s_delay_alu instid0(VALU_DEP_1) | instskip(NEXT) | instid1(VALU_DEP_1)
	v_fma_f64 v[23:24], v[23:24], v[26:27], v[23:24]
	v_fma_f64 v[26:27], -v[21:22], v[23:24], 1.0
	s_delay_alu instid0(VALU_DEP_1) | instskip(NEXT) | instid1(VALU_DEP_1)
	v_fma_f64 v[23:24], v[23:24], v[26:27], v[23:24]
	v_mul_f64 v[26:27], v[19:20], v[23:24]
	s_delay_alu instid0(VALU_DEP_1) | instskip(NEXT) | instid1(VALU_DEP_1)
	v_fma_f64 v[19:20], -v[21:22], v[26:27], v[19:20]
	v_div_fmas_f64 v[19:20], v[19:20], v[23:24], v[26:27]
	s_delay_alu instid0(VALU_DEP_1) | instskip(SKIP_3) | instid1(SALU_CYCLE_1)
	v_div_fixup_f64 v[9:10], v[19:20], v[9:10], |v[11:12]|
	v_dual_mov_b32 v11, v17 :: v_dual_mov_b32 v12, v18
	s_or_b32 exec_lo, exec_lo, s1
	s_and_saveexec_b32 s1, s0
	s_xor_b32 s0, exec_lo, s1
	s_cbranch_execnz .LBB163_94
.LBB163_99:
	s_and_not1_saveexec_b32 s0, s0
.LBB163_100:
	s_delay_alu instid0(VALU_DEP_2) | instskip(NEXT) | instid1(VALU_DEP_2)
	v_add_f64 v[9:10], v[9:10], v[9:10]
	v_add_f64 v[11:12], v[11:12], v[11:12]
.LBB163_101:
	s_or_b32 exec_lo, exec_lo, s0
.LBB163_102:
	s_and_not1_saveexec_b32 s0, s13
	s_cbranch_execz .LBB163_108
; %bb.103:
	s_delay_alu instid0(VALU_DEP_1) | instskip(SKIP_1) | instid1(VALU_DEP_3)
	v_add_f64 v[17:18], v[11:12], -v[11:12]
	s_mov_b32 s1, exec_lo
	v_cmpx_lt_i64_e32 -1, v[9:10]
	s_xor_b32 s1, exec_lo, s1
; %bb.104:
	s_delay_alu instid0(VALU_DEP_2) | instskip(NEXT) | instid1(VALU_DEP_1)
	v_bfi_b32 v18, 0x7fffffff, v18, v12
	v_dual_mov_b32 v11, v17 :: v_dual_mov_b32 v12, v18
                                        ; implicit-def: $vgpr17_vgpr18
; %bb.105:
	s_and_not1_saveexec_b32 s1, s1
; %bb.106:
	s_delay_alu instid0(VALU_DEP_1) | instskip(SKIP_1) | instid1(VALU_DEP_2)
	v_bfi_b32 v10, 0x7fffffff, v10, v12
	v_and_b32_e32 v18, 0x7fffffff, v18
	v_dual_mov_b32 v12, v10 :: v_dual_mov_b32 v11, v9
	s_delay_alu instid0(VALU_DEP_2)
	v_dual_mov_b32 v9, v17 :: v_dual_mov_b32 v10, v18
; %bb.107:
	s_or_b32 exec_lo, exec_lo, s1
.LBB163_108:
	s_delay_alu instid0(SALU_CYCLE_1)
	s_or_b32 exec_lo, exec_lo, s0
.LBB163_109:
	s_and_not1_saveexec_b32 s0, s12
; %bb.110:
	s_delay_alu instid0(VALU_DEP_1) | instskip(NEXT) | instid1(VALU_DEP_1)
	v_add_f64 v[11:12], v[11:12], -v[11:12]
	v_div_scale_f64 v[17:18], vcc_lo, v[11:12], v[11:12], v[11:12]
	s_delay_alu instid0(VALU_DEP_1) | instskip(SKIP_2) | instid1(VALU_DEP_1)
	v_rcp_f64_e32 v[19:20], v[17:18]
	s_waitcnt_depctr 0xfff
	v_fma_f64 v[21:22], -v[17:18], v[19:20], 1.0
	v_fma_f64 v[19:20], v[19:20], v[21:22], v[19:20]
	s_delay_alu instid0(VALU_DEP_1) | instskip(NEXT) | instid1(VALU_DEP_1)
	v_fma_f64 v[21:22], -v[17:18], v[19:20], 1.0
	v_fma_f64 v[19:20], v[19:20], v[21:22], v[19:20]
	s_delay_alu instid0(VALU_DEP_1) | instskip(NEXT) | instid1(VALU_DEP_1)
	v_mul_f64 v[21:22], v[17:18], v[19:20]
	v_fma_f64 v[17:18], -v[17:18], v[21:22], v[17:18]
	s_delay_alu instid0(VALU_DEP_1) | instskip(NEXT) | instid1(VALU_DEP_1)
	v_div_fmas_f64 v[17:18], v[17:18], v[19:20], v[21:22]
	v_div_fixup_f64 v[11:12], v[17:18], v[11:12], v[11:12]
; %bb.111:
	s_or_b32 exec_lo, exec_lo, s0
	v_dual_mov_b32 v22, v10 :: v_dual_mov_b32 v21, v9
.LBB163_112:
	s_or_b32 exec_lo, exec_lo, s11
.LBB163_113:
	s_delay_alu instid0(SALU_CYCLE_1) | instskip(NEXT) | instid1(VALU_DEP_1)
	s_or_b32 exec_lo, exec_lo, s9
	v_cmp_gt_f64_e32 vcc_lo, 0, v[21:22]
	s_delay_alu instid0(VALU_DEP_3) | instskip(SKIP_2) | instid1(VALU_DEP_2)
	v_cmp_gt_f64_e64 s0, 0, v[11:12]
	v_xor_b32_e32 v9, 0x80000000, v22
	v_xor_b32_e32 v17, 0x80000000, v12
                                        ; implicit-def: $vgpr19_vgpr20
	v_cndmask_b32_e32 v10, v22, v9, vcc_lo
	s_delay_alu instid0(VALU_DEP_2) | instskip(SKIP_3) | instid1(VALU_DEP_1)
	v_cndmask_b32_e64 v24, v12, v17, s0
	v_cndmask_b32_e32 v9, v21, v21, vcc_lo
	v_cndmask_b32_e64 v23, v11, v11, s0
	s_mov_b32 s0, exec_lo
	v_cmpx_ge_f64_e32 v[9:10], v[23:24]
	s_xor_b32 s1, exec_lo, s0
	s_cbranch_execz .LBB163_119
; %bb.114:
	v_cmp_neq_f64_e32 vcc_lo, 0, v[21:22]
	v_cmp_neq_f64_e64 s0, 0, v[11:12]
                                        ; implicit-def: $vgpr19_vgpr20
	s_delay_alu instid0(VALU_DEP_1) | instskip(NEXT) | instid1(SALU_CYCLE_1)
	s_or_b32 s0, vcc_lo, s0
	s_and_saveexec_b32 s9, s0
	s_delay_alu instid0(SALU_CYCLE_1)
	s_xor_b32 s0, exec_lo, s9
	s_cbranch_execz .LBB163_116
; %bb.115:
	v_div_scale_f64 v[9:10], null, v[21:22], v[21:22], v[11:12]
	v_div_scale_f64 v[23:24], vcc_lo, v[11:12], v[21:22], v[11:12]
	s_delay_alu instid0(VALU_DEP_2) | instskip(SKIP_2) | instid1(VALU_DEP_1)
	v_rcp_f64_e32 v[17:18], v[9:10]
	s_waitcnt_depctr 0xfff
	v_fma_f64 v[19:20], -v[9:10], v[17:18], 1.0
	v_fma_f64 v[17:18], v[17:18], v[19:20], v[17:18]
	s_delay_alu instid0(VALU_DEP_1) | instskip(NEXT) | instid1(VALU_DEP_1)
	v_fma_f64 v[19:20], -v[9:10], v[17:18], 1.0
	v_fma_f64 v[17:18], v[17:18], v[19:20], v[17:18]
	s_delay_alu instid0(VALU_DEP_1) | instskip(NEXT) | instid1(VALU_DEP_1)
	v_mul_f64 v[19:20], v[23:24], v[17:18]
	v_fma_f64 v[9:10], -v[9:10], v[19:20], v[23:24]
	s_delay_alu instid0(VALU_DEP_1) | instskip(NEXT) | instid1(VALU_DEP_1)
	v_div_fmas_f64 v[9:10], v[9:10], v[17:18], v[19:20]
	v_div_fixup_f64 v[9:10], v[9:10], v[21:22], v[11:12]
	s_delay_alu instid0(VALU_DEP_1) | instskip(NEXT) | instid1(VALU_DEP_1)
	v_fma_f64 v[11:12], v[11:12], v[9:10], v[21:22]
	v_div_scale_f64 v[17:18], null, v[11:12], v[11:12], 1.0
	v_div_scale_f64 v[23:24], vcc_lo, 1.0, v[11:12], 1.0
	s_delay_alu instid0(VALU_DEP_2) | instskip(SKIP_2) | instid1(VALU_DEP_1)
	v_rcp_f64_e32 v[19:20], v[17:18]
	s_waitcnt_depctr 0xfff
	v_fma_f64 v[21:22], -v[17:18], v[19:20], 1.0
	v_fma_f64 v[19:20], v[19:20], v[21:22], v[19:20]
	s_delay_alu instid0(VALU_DEP_1) | instskip(NEXT) | instid1(VALU_DEP_1)
	v_fma_f64 v[21:22], -v[17:18], v[19:20], 1.0
	v_fma_f64 v[19:20], v[19:20], v[21:22], v[19:20]
	s_delay_alu instid0(VALU_DEP_1) | instskip(NEXT) | instid1(VALU_DEP_1)
	v_mul_f64 v[21:22], v[23:24], v[19:20]
	v_fma_f64 v[17:18], -v[17:18], v[21:22], v[23:24]
                                        ; implicit-def: $vgpr23_vgpr24
	s_delay_alu instid0(VALU_DEP_1) | instskip(SKIP_2) | instid1(VALU_DEP_3)
	v_div_fmas_f64 v[17:18], v[17:18], v[19:20], v[21:22]
	v_fma_f64 v[19:20], v[9:10], 0, 1.0
	v_add_f64 v[9:10], -v[9:10], 0
	v_div_fixup_f64 v[11:12], v[17:18], v[11:12], 1.0
	s_delay_alu instid0(VALU_DEP_1) | instskip(NEXT) | instid1(VALU_DEP_3)
	v_mul_f64 v[17:18], v[19:20], v[11:12]
	v_mul_f64 v[19:20], v[9:10], v[11:12]
                                        ; implicit-def: $vgpr9_vgpr10
.LBB163_116:
	s_and_not1_saveexec_b32 s9, s0
	s_cbranch_execz .LBB163_118
; %bb.117:
	v_div_scale_f64 v[11:12], null, v[9:10], v[9:10], 1.0
	v_div_scale_f64 v[17:18], null, v[23:24], v[23:24], 0
	v_div_scale_f64 v[30:31], vcc_lo, 1.0, v[9:10], 1.0
	s_delay_alu instid0(VALU_DEP_3) | instskip(NEXT) | instid1(VALU_DEP_2)
	v_rcp_f64_e32 v[19:20], v[11:12]
	v_rcp_f64_e32 v[21:22], v[17:18]
	s_waitcnt_depctr 0xfff
	v_fma_f64 v[26:27], -v[11:12], v[19:20], 1.0
	v_fma_f64 v[28:29], -v[17:18], v[21:22], 1.0
	s_delay_alu instid0(VALU_DEP_2) | instskip(NEXT) | instid1(VALU_DEP_2)
	v_fma_f64 v[19:20], v[19:20], v[26:27], v[19:20]
	v_fma_f64 v[21:22], v[21:22], v[28:29], v[21:22]
	s_delay_alu instid0(VALU_DEP_2) | instskip(NEXT) | instid1(VALU_DEP_2)
	v_fma_f64 v[26:27], -v[11:12], v[19:20], 1.0
	v_fma_f64 v[28:29], -v[17:18], v[21:22], 1.0
	s_delay_alu instid0(VALU_DEP_2) | instskip(SKIP_1) | instid1(VALU_DEP_3)
	v_fma_f64 v[19:20], v[19:20], v[26:27], v[19:20]
	v_div_scale_f64 v[26:27], s0, 0, v[23:24], 0
	v_fma_f64 v[21:22], v[21:22], v[28:29], v[21:22]
	s_delay_alu instid0(VALU_DEP_3) | instskip(NEXT) | instid1(VALU_DEP_2)
	v_mul_f64 v[28:29], v[30:31], v[19:20]
	v_mul_f64 v[32:33], v[26:27], v[21:22]
	s_delay_alu instid0(VALU_DEP_2) | instskip(NEXT) | instid1(VALU_DEP_2)
	v_fma_f64 v[11:12], -v[11:12], v[28:29], v[30:31]
	v_fma_f64 v[17:18], -v[17:18], v[32:33], v[26:27]
	s_delay_alu instid0(VALU_DEP_2) | instskip(SKIP_1) | instid1(VALU_DEP_2)
	v_div_fmas_f64 v[11:12], v[11:12], v[19:20], v[28:29]
	s_mov_b32 vcc_lo, s0
	v_div_fmas_f64 v[19:20], v[17:18], v[21:22], v[32:33]
	s_delay_alu instid0(VALU_DEP_2) | instskip(NEXT) | instid1(VALU_DEP_2)
	v_div_fixup_f64 v[17:18], v[11:12], v[9:10], 1.0
	v_div_fixup_f64 v[19:20], v[19:20], v[23:24], 0
.LBB163_118:
	s_or_b32 exec_lo, exec_lo, s9
                                        ; implicit-def: $vgpr11_vgpr12
                                        ; implicit-def: $vgpr21_vgpr22
.LBB163_119:
	s_and_not1_saveexec_b32 s0, s1
	s_cbranch_execz .LBB163_121
; %bb.120:
	v_div_scale_f64 v[9:10], null, v[11:12], v[11:12], v[21:22]
	v_div_scale_f64 v[23:24], vcc_lo, v[21:22], v[11:12], v[21:22]
	s_delay_alu instid0(VALU_DEP_2) | instskip(SKIP_2) | instid1(VALU_DEP_1)
	v_rcp_f64_e32 v[17:18], v[9:10]
	s_waitcnt_depctr 0xfff
	v_fma_f64 v[19:20], -v[9:10], v[17:18], 1.0
	v_fma_f64 v[17:18], v[17:18], v[19:20], v[17:18]
	s_delay_alu instid0(VALU_DEP_1) | instskip(NEXT) | instid1(VALU_DEP_1)
	v_fma_f64 v[19:20], -v[9:10], v[17:18], 1.0
	v_fma_f64 v[17:18], v[17:18], v[19:20], v[17:18]
	s_delay_alu instid0(VALU_DEP_1) | instskip(NEXT) | instid1(VALU_DEP_1)
	v_mul_f64 v[19:20], v[23:24], v[17:18]
	v_fma_f64 v[9:10], -v[9:10], v[19:20], v[23:24]
	s_delay_alu instid0(VALU_DEP_1) | instskip(NEXT) | instid1(VALU_DEP_1)
	v_div_fmas_f64 v[9:10], v[9:10], v[17:18], v[19:20]
	v_div_fixup_f64 v[9:10], v[9:10], v[11:12], v[21:22]
	s_delay_alu instid0(VALU_DEP_1) | instskip(NEXT) | instid1(VALU_DEP_1)
	v_fma_f64 v[11:12], v[21:22], v[9:10], v[11:12]
	v_div_scale_f64 v[17:18], null, v[11:12], v[11:12], 1.0
	v_div_scale_f64 v[23:24], vcc_lo, 1.0, v[11:12], 1.0
	s_delay_alu instid0(VALU_DEP_2) | instskip(SKIP_2) | instid1(VALU_DEP_1)
	v_rcp_f64_e32 v[19:20], v[17:18]
	s_waitcnt_depctr 0xfff
	v_fma_f64 v[21:22], -v[17:18], v[19:20], 1.0
	v_fma_f64 v[19:20], v[19:20], v[21:22], v[19:20]
	s_delay_alu instid0(VALU_DEP_1) | instskip(NEXT) | instid1(VALU_DEP_1)
	v_fma_f64 v[21:22], -v[17:18], v[19:20], 1.0
	v_fma_f64 v[19:20], v[19:20], v[21:22], v[19:20]
	s_delay_alu instid0(VALU_DEP_1) | instskip(NEXT) | instid1(VALU_DEP_1)
	v_mul_f64 v[21:22], v[23:24], v[19:20]
	v_fma_f64 v[17:18], -v[17:18], v[21:22], v[23:24]
	s_delay_alu instid0(VALU_DEP_1) | instskip(SKIP_2) | instid1(VALU_DEP_3)
	v_div_fmas_f64 v[17:18], v[17:18], v[19:20], v[21:22]
	v_add_f64 v[19:20], v[9:10], 0
	v_fma_f64 v[9:10], v[9:10], 0, -1.0
	v_div_fixup_f64 v[11:12], v[17:18], v[11:12], 1.0
	s_delay_alu instid0(VALU_DEP_1) | instskip(NEXT) | instid1(VALU_DEP_3)
	v_mul_f64 v[17:18], v[19:20], v[11:12]
	v_mul_f64 v[19:20], v[9:10], v[11:12]
.LBB163_121:
	s_or_b32 exec_lo, exec_lo, s0
	v_cmp_neq_f64_e32 vcc_lo, 0, v[1:2]
	v_cmp_neq_f64_e64 s0, 0, v[3:4]
	v_mov_b32_e32 v21, 0
	v_mov_b32_e32 v22, 0
	s_delay_alu instid0(VALU_DEP_3) | instskip(NEXT) | instid1(SALU_CYCLE_1)
	s_or_b32 s0, vcc_lo, s0
	s_and_saveexec_b32 s9, s0
	s_cbranch_execz .LBB163_153
; %bb.122:
	s_mov_b32 s0, 0
	s_mov_b32 s1, 0x7ff00000
	v_mov_b32_e32 v21, s0
	v_mov_b32_e32 v22, s1
	s_mov_b32 s11, exec_lo
	v_cmpx_neq_f64_e64 0x7ff00000, |v[3:4]|
	s_cbranch_execz .LBB163_152
; %bb.123:
	s_mov_b32 s0, exec_lo
	v_cmpx_o_f64_e32 v[1:2], v[1:2]
	s_xor_b32 s12, exec_lo, s0
	s_cbranch_execz .LBB163_149
; %bb.124:
	s_mov_b32 s1, exec_lo
	v_cmpx_neq_f64_e64 0x7ff00000, |v[1:2]|
	s_xor_b32 s13, exec_lo, s1
	s_cbranch_execz .LBB163_142
; %bb.125:
	v_max_f64 v[9:10], |v[3:4]|, |v[3:4]|
	v_max_f64 v[11:12], |v[1:2]|, |v[1:2]|
	s_mov_b32 s0, 0x99fcef32
	s_mov_b32 s1, 0x7fda8279
                                        ; implicit-def: $sgpr14
	s_delay_alu instid0(VALU_DEP_1) | instskip(NEXT) | instid1(VALU_DEP_1)
	v_max_f64 v[9:10], v[11:12], v[9:10]
	v_cmp_nle_f64_e64 s0, s[0:1], v[9:10]
	s_delay_alu instid0(VALU_DEP_1) | instskip(NEXT) | instid1(SALU_CYCLE_1)
	s_and_saveexec_b32 s1, s0
	s_xor_b32 s1, exec_lo, s1
	s_cbranch_execz .LBB163_129
; %bb.126:
	v_cmp_ge_f64_e64 s14, 0x200000, |v[1:2]|
	v_cmp_ge_f64_e64 s15, 0x200000, |v[3:4]|
	s_delay_alu instid0(VALU_DEP_1)
	s_and_b32 s16, s14, s15
	s_mov_b32 s14, 0
	s_and_saveexec_b32 s15, s16
; %bb.127:
	v_mul_f64 v[1:2], v[1:2], 4.0
	v_mul_f64 v[3:4], v[3:4], 4.0
	s_mov_b32 s14, exec_lo
; %bb.128:
	s_or_b32 exec_lo, exec_lo, s15
	s_delay_alu instid0(SALU_CYCLE_1)
	s_and_b32 s14, s14, exec_lo
.LBB163_129:
	s_and_not1_saveexec_b32 s1, s1
; %bb.130:
	s_delay_alu instid0(VALU_DEP_2) | instskip(NEXT) | instid1(VALU_DEP_2)
	v_ldexp_f64 v[1:2], v[1:2], -2
	v_ldexp_f64 v[3:4], v[3:4], -2
	s_and_not1_b32 s14, s14, exec_lo
; %bb.131:
	s_or_b32 exec_lo, exec_lo, s1
	s_delay_alu instid0(VALU_DEP_1) | instskip(NEXT) | instid1(VALU_DEP_3)
	v_max_f64 v[9:10], |v[3:4]|, |v[3:4]|
	v_max_f64 v[11:12], |v[1:2]|, |v[1:2]|
	v_cmp_class_f64_e64 s15, v[1:2], 0x204
	v_cmp_class_f64_e64 s16, v[3:4], 0x204
	v_cmp_le_f64_e64 s1, 0, v[1:2]
	s_delay_alu instid0(VALU_DEP_4) | instskip(NEXT) | instid1(VALU_DEP_3)
	v_max_f64 v[9:10], v[11:12], v[9:10]
	s_or_b32 s15, s16, s15
	s_delay_alu instid0(VALU_DEP_1) | instskip(NEXT) | instid1(VALU_DEP_1)
	v_frexp_exp_i32_f64_e32 v26, v[9:10]
	v_sub_nc_u32_e32 v11, 0, v26
	s_delay_alu instid0(VALU_DEP_1) | instskip(SKIP_1) | instid1(VALU_DEP_2)
	v_ldexp_f64 v[9:10], |v[3:4]|, v11
	v_ldexp_f64 v[11:12], |v[1:2]|, v11
	v_mul_f64 v[9:10], v[9:10], v[9:10]
	s_delay_alu instid0(VALU_DEP_1) | instskip(NEXT) | instid1(VALU_DEP_1)
	v_fma_f64 v[9:10], v[11:12], v[11:12], v[9:10]
	v_rsq_f64_e32 v[11:12], v[9:10]
	v_cmp_eq_f64_e32 vcc_lo, 0, v[9:10]
	s_waitcnt_depctr 0xfff
	v_mul_f64 v[21:22], v[9:10], v[11:12]
	v_mul_f64 v[11:12], v[11:12], 0.5
	s_delay_alu instid0(VALU_DEP_1) | instskip(NEXT) | instid1(VALU_DEP_1)
	v_fma_f64 v[23:24], -v[11:12], v[21:22], 0.5
	v_fma_f64 v[21:22], v[21:22], v[23:24], v[21:22]
	v_fma_f64 v[11:12], v[11:12], v[23:24], v[11:12]
	s_delay_alu instid0(VALU_DEP_2) | instskip(NEXT) | instid1(VALU_DEP_1)
	v_fma_f64 v[23:24], -v[21:22], v[21:22], v[9:10]
	v_fma_f64 v[11:12], v[23:24], v[11:12], v[21:22]
	s_delay_alu instid0(VALU_DEP_1) | instskip(SKIP_1) | instid1(VALU_DEP_2)
	v_dual_cndmask_b32 v10, v12, v10 :: v_dual_cndmask_b32 v9, v11, v9
	v_cmp_o_f64_e32 vcc_lo, v[3:4], v[3:4]
	v_ldexp_f64 v[9:10], v[9:10], v26
	s_delay_alu instid0(VALU_DEP_1) | instskip(NEXT) | instid1(VALU_DEP_2)
	v_cndmask_b32_e32 v9, 0, v9, vcc_lo
	v_cndmask_b32_e32 v10, 0x7ff80000, v10, vcc_lo
	s_delay_alu instid0(VALU_DEP_2) | instskip(NEXT) | instid1(VALU_DEP_2)
	v_cndmask_b32_e64 v9, v9, 0, s15
	v_cndmask_b32_e64 v10, v10, 0x7ff00000, s15
	s_and_saveexec_b32 s15, s1
	s_delay_alu instid0(SALU_CYCLE_1)
	s_xor_b32 s1, exec_lo, s15
	s_cbranch_execz .LBB163_137
; %bb.132:
	s_delay_alu instid0(VALU_DEP_1) | instskip(NEXT) | instid1(VALU_DEP_1)
	v_add_f64 v[1:2], v[1:2], v[9:10]
	v_mul_f64 v[1:2], v[1:2], 0.5
	s_delay_alu instid0(VALU_DEP_1) | instskip(SKIP_1) | instid1(VALU_DEP_1)
	v_cmp_gt_f64_e32 vcc_lo, 0x10000000, v[1:2]
	v_cndmask_b32_e64 v9, 0, 1, vcc_lo
	v_lshlrev_b32_e32 v9, 8, v9
	s_delay_alu instid0(VALU_DEP_1) | instskip(NEXT) | instid1(VALU_DEP_1)
	v_ldexp_f64 v[1:2], v[1:2], v9
	v_rsq_f64_e32 v[9:10], v[1:2]
	s_waitcnt_depctr 0xfff
	v_mul_f64 v[11:12], v[1:2], v[9:10]
	v_mul_f64 v[9:10], v[9:10], 0.5
	s_delay_alu instid0(VALU_DEP_1) | instskip(NEXT) | instid1(VALU_DEP_1)
	v_fma_f64 v[21:22], -v[9:10], v[11:12], 0.5
	v_fma_f64 v[11:12], v[11:12], v[21:22], v[11:12]
	v_fma_f64 v[9:10], v[9:10], v[21:22], v[9:10]
	s_delay_alu instid0(VALU_DEP_2) | instskip(NEXT) | instid1(VALU_DEP_1)
	v_fma_f64 v[21:22], -v[11:12], v[11:12], v[1:2]
	v_fma_f64 v[11:12], v[21:22], v[9:10], v[11:12]
	s_delay_alu instid0(VALU_DEP_1) | instskip(NEXT) | instid1(VALU_DEP_1)
	v_fma_f64 v[21:22], -v[11:12], v[11:12], v[1:2]
	v_fma_f64 v[9:10], v[21:22], v[9:10], v[11:12]
	v_cndmask_b32_e64 v11, 0, 0xffffff80, vcc_lo
	v_cmp_class_f64_e64 vcc_lo, v[1:2], 0x260
	s_delay_alu instid0(VALU_DEP_2) | instskip(NEXT) | instid1(VALU_DEP_1)
	v_ldexp_f64 v[9:10], v[9:10], v11
	v_dual_cndmask_b32 v2, v10, v2 :: v_dual_cndmask_b32 v1, v9, v1
	s_delay_alu instid0(VALU_DEP_1) | instskip(NEXT) | instid1(VALU_DEP_1)
	v_add_f64 v[9:10], v[1:2], v[1:2]
	v_div_scale_f64 v[11:12], null, v[9:10], v[9:10], v[3:4]
	s_delay_alu instid0(VALU_DEP_1) | instskip(SKIP_2) | instid1(VALU_DEP_1)
	v_rcp_f64_e32 v[21:22], v[11:12]
	s_waitcnt_depctr 0xfff
	v_fma_f64 v[23:24], -v[11:12], v[21:22], 1.0
	v_fma_f64 v[21:22], v[21:22], v[23:24], v[21:22]
	s_delay_alu instid0(VALU_DEP_1) | instskip(NEXT) | instid1(VALU_DEP_1)
	v_fma_f64 v[23:24], -v[11:12], v[21:22], 1.0
	v_fma_f64 v[21:22], v[21:22], v[23:24], v[21:22]
	v_div_scale_f64 v[23:24], vcc_lo, v[3:4], v[9:10], v[3:4]
	s_delay_alu instid0(VALU_DEP_1) | instskip(NEXT) | instid1(VALU_DEP_1)
	v_mul_f64 v[26:27], v[23:24], v[21:22]
	v_fma_f64 v[11:12], -v[11:12], v[26:27], v[23:24]
	s_delay_alu instid0(VALU_DEP_1) | instskip(NEXT) | instid1(VALU_DEP_1)
	v_div_fmas_f64 v[11:12], v[11:12], v[21:22], v[26:27]
	v_div_fixup_f64 v[3:4], v[11:12], v[9:10], v[3:4]
                                        ; implicit-def: $vgpr9_vgpr10
	s_and_not1_saveexec_b32 s1, s1
	s_cbranch_execnz .LBB163_138
.LBB163_133:
	s_or_b32 exec_lo, exec_lo, s1
	s_and_saveexec_b32 s1, s0
	s_delay_alu instid0(SALU_CYCLE_1)
	s_xor_b32 s0, exec_lo, s1
	s_cbranch_execz .LBB163_139
.LBB163_134:
	s_and_saveexec_b32 s1, s14
; %bb.135:
	s_delay_alu instid0(VALU_DEP_2) | instskip(NEXT) | instid1(VALU_DEP_2)
	v_mul_f64 v[1:2], v[1:2], 0.5
	v_mul_f64 v[3:4], v[3:4], 0.5
; %bb.136:
	s_or_b32 exec_lo, exec_lo, s1
	s_and_not1_saveexec_b32 s0, s0
	s_cbranch_execnz .LBB163_140
	s_branch .LBB163_141
.LBB163_137:
	s_and_not1_saveexec_b32 s1, s1
	s_cbranch_execz .LBB163_133
.LBB163_138:
	v_add_f64 v[1:2], v[9:10], -v[1:2]
	s_delay_alu instid0(VALU_DEP_1) | instskip(NEXT) | instid1(VALU_DEP_1)
	v_mul_f64 v[1:2], v[1:2], 0.5
	v_cmp_gt_f64_e32 vcc_lo, 0x10000000, v[1:2]
	v_cndmask_b32_e64 v9, 0, 1, vcc_lo
	s_delay_alu instid0(VALU_DEP_1) | instskip(NEXT) | instid1(VALU_DEP_1)
	v_lshlrev_b32_e32 v9, 8, v9
	v_ldexp_f64 v[1:2], v[1:2], v9
	s_delay_alu instid0(VALU_DEP_1) | instskip(SKIP_3) | instid1(VALU_DEP_1)
	v_rsq_f64_e32 v[9:10], v[1:2]
	s_waitcnt_depctr 0xfff
	v_mul_f64 v[11:12], v[1:2], v[9:10]
	v_mul_f64 v[9:10], v[9:10], 0.5
	v_fma_f64 v[21:22], -v[9:10], v[11:12], 0.5
	s_delay_alu instid0(VALU_DEP_1) | instskip(SKIP_1) | instid1(VALU_DEP_2)
	v_fma_f64 v[11:12], v[11:12], v[21:22], v[11:12]
	v_fma_f64 v[9:10], v[9:10], v[21:22], v[9:10]
	v_fma_f64 v[21:22], -v[11:12], v[11:12], v[1:2]
	s_delay_alu instid0(VALU_DEP_1) | instskip(NEXT) | instid1(VALU_DEP_1)
	v_fma_f64 v[11:12], v[21:22], v[9:10], v[11:12]
	v_fma_f64 v[21:22], -v[11:12], v[11:12], v[1:2]
	s_delay_alu instid0(VALU_DEP_1) | instskip(SKIP_3) | instid1(VALU_DEP_3)
	v_fma_f64 v[9:10], v[21:22], v[9:10], v[11:12]
	v_cndmask_b32_e64 v11, 0, 0xffffff80, vcc_lo
	v_cmp_class_f64_e64 vcc_lo, v[1:2], 0x260
	v_and_b32_e32 v12, 0x7fffffff, v4
	v_ldexp_f64 v[9:10], v[9:10], v11
	s_delay_alu instid0(VALU_DEP_1) | instskip(NEXT) | instid1(VALU_DEP_1)
	v_dual_cndmask_b32 v10, v10, v2 :: v_dual_cndmask_b32 v9, v9, v1
	v_add_f64 v[1:2], v[9:10], v[9:10]
	v_bfi_b32 v10, 0x7fffffff, v10, v4
	v_mov_b32_e32 v11, v3
	s_delay_alu instid0(VALU_DEP_1) | instskip(SKIP_1) | instid1(VALU_DEP_2)
	v_div_scale_f64 v[21:22], null, v[1:2], v[1:2], v[11:12]
	v_div_scale_f64 v[11:12], vcc_lo, v[11:12], v[1:2], v[11:12]
	v_rcp_f64_e32 v[23:24], v[21:22]
	s_waitcnt_depctr 0xfff
	v_fma_f64 v[26:27], -v[21:22], v[23:24], 1.0
	s_delay_alu instid0(VALU_DEP_1) | instskip(NEXT) | instid1(VALU_DEP_1)
	v_fma_f64 v[23:24], v[23:24], v[26:27], v[23:24]
	v_fma_f64 v[26:27], -v[21:22], v[23:24], 1.0
	s_delay_alu instid0(VALU_DEP_1) | instskip(NEXT) | instid1(VALU_DEP_1)
	v_fma_f64 v[23:24], v[23:24], v[26:27], v[23:24]
	v_mul_f64 v[26:27], v[11:12], v[23:24]
	s_delay_alu instid0(VALU_DEP_1) | instskip(NEXT) | instid1(VALU_DEP_1)
	v_fma_f64 v[11:12], -v[21:22], v[26:27], v[11:12]
	v_div_fmas_f64 v[11:12], v[11:12], v[23:24], v[26:27]
	s_delay_alu instid0(VALU_DEP_1) | instskip(SKIP_3) | instid1(SALU_CYCLE_1)
	v_div_fixup_f64 v[1:2], v[11:12], v[1:2], |v[3:4]|
	v_dual_mov_b32 v3, v9 :: v_dual_mov_b32 v4, v10
	s_or_b32 exec_lo, exec_lo, s1
	s_and_saveexec_b32 s1, s0
	s_xor_b32 s0, exec_lo, s1
	s_cbranch_execnz .LBB163_134
.LBB163_139:
	s_and_not1_saveexec_b32 s0, s0
.LBB163_140:
	s_delay_alu instid0(VALU_DEP_2) | instskip(NEXT) | instid1(VALU_DEP_2)
	v_add_f64 v[1:2], v[1:2], v[1:2]
	v_add_f64 v[3:4], v[3:4], v[3:4]
.LBB163_141:
	s_or_b32 exec_lo, exec_lo, s0
.LBB163_142:
	s_and_not1_saveexec_b32 s0, s13
	s_cbranch_execz .LBB163_148
; %bb.143:
	s_delay_alu instid0(VALU_DEP_1) | instskip(SKIP_1) | instid1(VALU_DEP_3)
	v_add_f64 v[9:10], v[3:4], -v[3:4]
	s_mov_b32 s1, exec_lo
	v_cmpx_lt_i64_e32 -1, v[1:2]
	s_xor_b32 s1, exec_lo, s1
; %bb.144:
	s_delay_alu instid0(VALU_DEP_2) | instskip(NEXT) | instid1(VALU_DEP_1)
	v_bfi_b32 v10, 0x7fffffff, v10, v4
	v_dual_mov_b32 v3, v9 :: v_dual_mov_b32 v4, v10
                                        ; implicit-def: $vgpr9_vgpr10
; %bb.145:
	s_and_not1_saveexec_b32 s1, s1
; %bb.146:
	s_delay_alu instid0(VALU_DEP_1) | instskip(SKIP_1) | instid1(VALU_DEP_2)
	v_bfi_b32 v2, 0x7fffffff, v2, v4
	v_and_b32_e32 v10, 0x7fffffff, v10
	v_dual_mov_b32 v4, v2 :: v_dual_mov_b32 v3, v1
	s_delay_alu instid0(VALU_DEP_2)
	v_dual_mov_b32 v1, v9 :: v_dual_mov_b32 v2, v10
; %bb.147:
	s_or_b32 exec_lo, exec_lo, s1
.LBB163_148:
	s_delay_alu instid0(SALU_CYCLE_1)
	s_or_b32 exec_lo, exec_lo, s0
.LBB163_149:
	s_and_not1_saveexec_b32 s0, s12
; %bb.150:
	s_delay_alu instid0(VALU_DEP_1) | instskip(NEXT) | instid1(VALU_DEP_1)
	v_add_f64 v[3:4], v[3:4], -v[3:4]
	v_div_scale_f64 v[9:10], vcc_lo, v[3:4], v[3:4], v[3:4]
	s_delay_alu instid0(VALU_DEP_1) | instskip(SKIP_2) | instid1(VALU_DEP_1)
	v_rcp_f64_e32 v[11:12], v[9:10]
	s_waitcnt_depctr 0xfff
	v_fma_f64 v[21:22], -v[9:10], v[11:12], 1.0
	v_fma_f64 v[11:12], v[11:12], v[21:22], v[11:12]
	s_delay_alu instid0(VALU_DEP_1) | instskip(NEXT) | instid1(VALU_DEP_1)
	v_fma_f64 v[21:22], -v[9:10], v[11:12], 1.0
	v_fma_f64 v[11:12], v[11:12], v[21:22], v[11:12]
	s_delay_alu instid0(VALU_DEP_1) | instskip(NEXT) | instid1(VALU_DEP_1)
	v_mul_f64 v[21:22], v[9:10], v[11:12]
	v_fma_f64 v[9:10], -v[9:10], v[21:22], v[9:10]
	s_delay_alu instid0(VALU_DEP_1) | instskip(NEXT) | instid1(VALU_DEP_1)
	v_div_fmas_f64 v[9:10], v[9:10], v[11:12], v[21:22]
	v_div_fixup_f64 v[3:4], v[9:10], v[3:4], v[3:4]
; %bb.151:
	s_or_b32 exec_lo, exec_lo, s0
	v_dual_mov_b32 v22, v2 :: v_dual_mov_b32 v21, v1
.LBB163_152:
	s_or_b32 exec_lo, exec_lo, s11
.LBB163_153:
	s_delay_alu instid0(SALU_CYCLE_1) | instskip(NEXT) | instid1(VALU_DEP_1)
	s_or_b32 exec_lo, exec_lo, s9
	v_cmp_gt_f64_e32 vcc_lo, 0, v[21:22]
	s_delay_alu instid0(VALU_DEP_3) | instskip(SKIP_2) | instid1(VALU_DEP_2)
	v_cmp_gt_f64_e64 s0, 0, v[3:4]
	v_xor_b32_e32 v1, 0x80000000, v22
	v_xor_b32_e32 v9, 0x80000000, v4
                                        ; implicit-def: $vgpr11_vgpr12
	v_cndmask_b32_e32 v2, v22, v1, vcc_lo
	s_delay_alu instid0(VALU_DEP_2) | instskip(SKIP_3) | instid1(VALU_DEP_1)
	v_cndmask_b32_e64 v24, v4, v9, s0
	v_cndmask_b32_e32 v1, v21, v21, vcc_lo
	v_cndmask_b32_e64 v23, v3, v3, s0
	s_mov_b32 s0, exec_lo
	v_cmpx_ge_f64_e32 v[1:2], v[23:24]
	s_xor_b32 s1, exec_lo, s0
	s_cbranch_execz .LBB163_159
; %bb.154:
	v_cmp_neq_f64_e32 vcc_lo, 0, v[21:22]
	v_cmp_neq_f64_e64 s0, 0, v[3:4]
                                        ; implicit-def: $vgpr11_vgpr12
	s_delay_alu instid0(VALU_DEP_1) | instskip(NEXT) | instid1(SALU_CYCLE_1)
	s_or_b32 s0, vcc_lo, s0
	s_and_saveexec_b32 s9, s0
	s_delay_alu instid0(SALU_CYCLE_1)
	s_xor_b32 s0, exec_lo, s9
	s_cbranch_execz .LBB163_156
; %bb.155:
	v_div_scale_f64 v[1:2], null, v[21:22], v[21:22], v[3:4]
	v_div_scale_f64 v[23:24], vcc_lo, v[3:4], v[21:22], v[3:4]
	s_delay_alu instid0(VALU_DEP_2) | instskip(SKIP_2) | instid1(VALU_DEP_1)
	v_rcp_f64_e32 v[9:10], v[1:2]
	s_waitcnt_depctr 0xfff
	v_fma_f64 v[11:12], -v[1:2], v[9:10], 1.0
	v_fma_f64 v[9:10], v[9:10], v[11:12], v[9:10]
	s_delay_alu instid0(VALU_DEP_1) | instskip(NEXT) | instid1(VALU_DEP_1)
	v_fma_f64 v[11:12], -v[1:2], v[9:10], 1.0
	v_fma_f64 v[9:10], v[9:10], v[11:12], v[9:10]
	s_delay_alu instid0(VALU_DEP_1) | instskip(NEXT) | instid1(VALU_DEP_1)
	v_mul_f64 v[11:12], v[23:24], v[9:10]
	v_fma_f64 v[1:2], -v[1:2], v[11:12], v[23:24]
	s_delay_alu instid0(VALU_DEP_1) | instskip(NEXT) | instid1(VALU_DEP_1)
	v_div_fmas_f64 v[1:2], v[1:2], v[9:10], v[11:12]
	v_div_fixup_f64 v[1:2], v[1:2], v[21:22], v[3:4]
	s_delay_alu instid0(VALU_DEP_1) | instskip(NEXT) | instid1(VALU_DEP_1)
	v_fma_f64 v[3:4], v[3:4], v[1:2], v[21:22]
	v_div_scale_f64 v[9:10], null, v[3:4], v[3:4], 1.0
	v_div_scale_f64 v[23:24], vcc_lo, 1.0, v[3:4], 1.0
	s_delay_alu instid0(VALU_DEP_2) | instskip(SKIP_2) | instid1(VALU_DEP_1)
	v_rcp_f64_e32 v[11:12], v[9:10]
	s_waitcnt_depctr 0xfff
	v_fma_f64 v[21:22], -v[9:10], v[11:12], 1.0
	v_fma_f64 v[11:12], v[11:12], v[21:22], v[11:12]
	s_delay_alu instid0(VALU_DEP_1) | instskip(NEXT) | instid1(VALU_DEP_1)
	v_fma_f64 v[21:22], -v[9:10], v[11:12], 1.0
	v_fma_f64 v[11:12], v[11:12], v[21:22], v[11:12]
	s_delay_alu instid0(VALU_DEP_1) | instskip(NEXT) | instid1(VALU_DEP_1)
	v_mul_f64 v[21:22], v[23:24], v[11:12]
	v_fma_f64 v[9:10], -v[9:10], v[21:22], v[23:24]
                                        ; implicit-def: $vgpr23_vgpr24
	s_delay_alu instid0(VALU_DEP_1) | instskip(SKIP_2) | instid1(VALU_DEP_3)
	v_div_fmas_f64 v[9:10], v[9:10], v[11:12], v[21:22]
	v_fma_f64 v[11:12], v[1:2], 0, 1.0
	v_add_f64 v[1:2], -v[1:2], 0
	v_div_fixup_f64 v[3:4], v[9:10], v[3:4], 1.0
	s_delay_alu instid0(VALU_DEP_1) | instskip(NEXT) | instid1(VALU_DEP_3)
	v_mul_f64 v[9:10], v[11:12], v[3:4]
	v_mul_f64 v[11:12], v[1:2], v[3:4]
                                        ; implicit-def: $vgpr1_vgpr2
.LBB163_156:
	s_and_not1_saveexec_b32 s9, s0
	s_cbranch_execz .LBB163_158
; %bb.157:
	v_div_scale_f64 v[3:4], null, v[1:2], v[1:2], 1.0
	v_div_scale_f64 v[9:10], null, v[23:24], v[23:24], 0
	v_div_scale_f64 v[30:31], vcc_lo, 1.0, v[1:2], 1.0
	s_delay_alu instid0(VALU_DEP_3) | instskip(NEXT) | instid1(VALU_DEP_2)
	v_rcp_f64_e32 v[11:12], v[3:4]
	v_rcp_f64_e32 v[21:22], v[9:10]
	s_waitcnt_depctr 0xfff
	v_fma_f64 v[26:27], -v[3:4], v[11:12], 1.0
	v_fma_f64 v[28:29], -v[9:10], v[21:22], 1.0
	s_delay_alu instid0(VALU_DEP_2) | instskip(NEXT) | instid1(VALU_DEP_2)
	v_fma_f64 v[11:12], v[11:12], v[26:27], v[11:12]
	v_fma_f64 v[21:22], v[21:22], v[28:29], v[21:22]
	s_delay_alu instid0(VALU_DEP_2) | instskip(NEXT) | instid1(VALU_DEP_2)
	v_fma_f64 v[26:27], -v[3:4], v[11:12], 1.0
	v_fma_f64 v[28:29], -v[9:10], v[21:22], 1.0
	s_delay_alu instid0(VALU_DEP_2) | instskip(SKIP_1) | instid1(VALU_DEP_3)
	v_fma_f64 v[11:12], v[11:12], v[26:27], v[11:12]
	v_div_scale_f64 v[26:27], s0, 0, v[23:24], 0
	v_fma_f64 v[21:22], v[21:22], v[28:29], v[21:22]
	s_delay_alu instid0(VALU_DEP_3) | instskip(NEXT) | instid1(VALU_DEP_2)
	v_mul_f64 v[28:29], v[30:31], v[11:12]
	v_mul_f64 v[32:33], v[26:27], v[21:22]
	s_delay_alu instid0(VALU_DEP_2) | instskip(NEXT) | instid1(VALU_DEP_2)
	v_fma_f64 v[3:4], -v[3:4], v[28:29], v[30:31]
	v_fma_f64 v[9:10], -v[9:10], v[32:33], v[26:27]
	s_delay_alu instid0(VALU_DEP_2) | instskip(SKIP_1) | instid1(VALU_DEP_2)
	v_div_fmas_f64 v[3:4], v[3:4], v[11:12], v[28:29]
	s_mov_b32 vcc_lo, s0
	v_div_fmas_f64 v[11:12], v[9:10], v[21:22], v[32:33]
	s_delay_alu instid0(VALU_DEP_2) | instskip(NEXT) | instid1(VALU_DEP_2)
	v_div_fixup_f64 v[9:10], v[3:4], v[1:2], 1.0
	v_div_fixup_f64 v[11:12], v[11:12], v[23:24], 0
.LBB163_158:
	s_or_b32 exec_lo, exec_lo, s9
                                        ; implicit-def: $vgpr3_vgpr4
                                        ; implicit-def: $vgpr21_vgpr22
.LBB163_159:
	s_and_not1_saveexec_b32 s0, s1
	s_cbranch_execz .LBB163_161
; %bb.160:
	v_div_scale_f64 v[1:2], null, v[3:4], v[3:4], v[21:22]
	v_div_scale_f64 v[23:24], vcc_lo, v[21:22], v[3:4], v[21:22]
	s_delay_alu instid0(VALU_DEP_2) | instskip(SKIP_2) | instid1(VALU_DEP_1)
	v_rcp_f64_e32 v[9:10], v[1:2]
	s_waitcnt_depctr 0xfff
	v_fma_f64 v[11:12], -v[1:2], v[9:10], 1.0
	v_fma_f64 v[9:10], v[9:10], v[11:12], v[9:10]
	s_delay_alu instid0(VALU_DEP_1) | instskip(NEXT) | instid1(VALU_DEP_1)
	v_fma_f64 v[11:12], -v[1:2], v[9:10], 1.0
	v_fma_f64 v[9:10], v[9:10], v[11:12], v[9:10]
	s_delay_alu instid0(VALU_DEP_1) | instskip(NEXT) | instid1(VALU_DEP_1)
	v_mul_f64 v[11:12], v[23:24], v[9:10]
	v_fma_f64 v[1:2], -v[1:2], v[11:12], v[23:24]
	s_delay_alu instid0(VALU_DEP_1) | instskip(NEXT) | instid1(VALU_DEP_1)
	v_div_fmas_f64 v[1:2], v[1:2], v[9:10], v[11:12]
	v_div_fixup_f64 v[1:2], v[1:2], v[3:4], v[21:22]
	s_delay_alu instid0(VALU_DEP_1) | instskip(NEXT) | instid1(VALU_DEP_1)
	v_fma_f64 v[3:4], v[21:22], v[1:2], v[3:4]
	v_div_scale_f64 v[9:10], null, v[3:4], v[3:4], 1.0
	v_div_scale_f64 v[23:24], vcc_lo, 1.0, v[3:4], 1.0
	s_delay_alu instid0(VALU_DEP_2) | instskip(SKIP_2) | instid1(VALU_DEP_1)
	v_rcp_f64_e32 v[11:12], v[9:10]
	s_waitcnt_depctr 0xfff
	v_fma_f64 v[21:22], -v[9:10], v[11:12], 1.0
	v_fma_f64 v[11:12], v[11:12], v[21:22], v[11:12]
	s_delay_alu instid0(VALU_DEP_1) | instskip(NEXT) | instid1(VALU_DEP_1)
	v_fma_f64 v[21:22], -v[9:10], v[11:12], 1.0
	v_fma_f64 v[11:12], v[11:12], v[21:22], v[11:12]
	s_delay_alu instid0(VALU_DEP_1) | instskip(NEXT) | instid1(VALU_DEP_1)
	v_mul_f64 v[21:22], v[23:24], v[11:12]
	v_fma_f64 v[9:10], -v[9:10], v[21:22], v[23:24]
	s_delay_alu instid0(VALU_DEP_1) | instskip(SKIP_2) | instid1(VALU_DEP_3)
	v_div_fmas_f64 v[9:10], v[9:10], v[11:12], v[21:22]
	v_add_f64 v[11:12], v[1:2], 0
	v_fma_f64 v[1:2], v[1:2], 0, -1.0
	v_div_fixup_f64 v[3:4], v[9:10], v[3:4], 1.0
	s_delay_alu instid0(VALU_DEP_1) | instskip(NEXT) | instid1(VALU_DEP_3)
	v_mul_f64 v[9:10], v[11:12], v[3:4]
	v_mul_f64 v[11:12], v[1:2], v[3:4]
.LBB163_161:
	s_or_b32 exec_lo, exec_lo, s0
	s_add_u32 s2, s4, s2
	s_addc_u32 s3, s5, s3
	s_mov_b32 s0, 0
	s_clause 0x3
	global_store_b128 v25, v[5:8], s[2:3]
	global_store_b128 v25, v[13:16], s[2:3] offset:16
	global_store_b128 v25, v[17:20], s[2:3] offset:32
	;; [unrolled: 1-line block ×3, first 2 shown]
.LBB163_162:
	s_and_b32 vcc_lo, exec_lo, s0
	s_cbranch_vccz .LBB163_347
; %bb.163:
	v_mov_b32_e32 v17, 0
	v_dual_mov_b32 v18, 0 :: v_dual_mov_b32 v5, v0
	v_cmp_gt_i32_e64 s0, s10, v0
	v_or_b32_e32 v21, s8, v0
	v_or_b32_e32 v26, 0x100, v0
	s_delay_alu instid0(VALU_DEP_4)
	v_dual_mov_b32 v13, v17 :: v_dual_mov_b32 v14, v18
	v_dual_mov_b32 v15, v17 :: v_dual_mov_b32 v16, v18
	s_and_saveexec_b32 s1, s0
	s_cbranch_execz .LBB163_165
; %bb.164:
	v_mov_b32_e32 v22, 0
	v_or_b32_e32 v5, 0x100, v0
	s_delay_alu instid0(VALU_DEP_2) | instskip(NEXT) | instid1(VALU_DEP_1)
	v_lshlrev_b64 v[1:2], 4, v[21:22]
	v_add_co_u32 v1, vcc_lo, s6, v1
	s_delay_alu instid0(VALU_DEP_2)
	v_add_co_ci_u32_e32 v2, vcc_lo, s7, v2, vcc_lo
	global_load_b128 v[13:16], v[1:2], off
.LBB163_165:
	s_or_b32 exec_lo, exec_lo, s1
	v_dual_mov_b32 v20, v18 :: v_dual_mov_b32 v19, v17
	s_mov_b32 s1, exec_lo
	v_cmpx_gt_i32_e64 s10, v5
	s_cbranch_execz .LBB163_167
; %bb.166:
	v_dual_mov_b32 v2, 0 :: v_dual_add_nc_u32 v1, s8, v5
	v_add_nc_u32_e32 v5, 0x100, v5
	s_delay_alu instid0(VALU_DEP_2) | instskip(NEXT) | instid1(VALU_DEP_1)
	v_lshlrev_b64 v[1:2], 4, v[1:2]
	v_add_co_u32 v1, vcc_lo, s6, v1
	s_delay_alu instid0(VALU_DEP_2)
	v_add_co_ci_u32_e32 v2, vcc_lo, s7, v2, vcc_lo
	global_load_b128 v[17:20], v[1:2], off
.LBB163_167:
	s_or_b32 exec_lo, exec_lo, s1
	v_mov_b32_e32 v1, 0
	v_mov_b32_e32 v2, 0
	s_mov_b32 s1, exec_lo
	s_delay_alu instid0(VALU_DEP_1)
	v_dual_mov_b32 v10, v2 :: v_dual_mov_b32 v9, v1
	v_dual_mov_b32 v12, v2 :: v_dual_mov_b32 v11, v1
	v_cmpx_gt_i32_e64 s10, v5
	s_cbranch_execz .LBB163_169
; %bb.168:
	v_dual_mov_b32 v4, 0 :: v_dual_add_nc_u32 v3, s8, v5
	v_add_nc_u32_e32 v5, 0x100, v5
	s_delay_alu instid0(VALU_DEP_2) | instskip(NEXT) | instid1(VALU_DEP_1)
	v_lshlrev_b64 v[3:4], 4, v[3:4]
	v_add_co_u32 v3, vcc_lo, s6, v3
	s_delay_alu instid0(VALU_DEP_2)
	v_add_co_ci_u32_e32 v4, vcc_lo, s7, v4, vcc_lo
	global_load_b128 v[9:12], v[3:4], off
.LBB163_169:
	s_or_b32 exec_lo, exec_lo, s1
	v_dual_mov_b32 v4, v2 :: v_dual_mov_b32 v3, v1
	s_mov_b32 s1, exec_lo
	v_cmpx_gt_i32_e64 s10, v5
	s_cbranch_execz .LBB163_171
; %bb.170:
	v_dual_mov_b32 v2, 0 :: v_dual_add_nc_u32 v1, s8, v5
	s_delay_alu instid0(VALU_DEP_1) | instskip(NEXT) | instid1(VALU_DEP_1)
	v_lshlrev_b64 v[1:2], 4, v[1:2]
	v_add_co_u32 v1, vcc_lo, s6, v1
	s_delay_alu instid0(VALU_DEP_2)
	v_add_co_ci_u32_e32 v2, vcc_lo, s7, v2, vcc_lo
	global_load_b128 v[1:4], v[1:2], off
.LBB163_171:
	s_or_b32 exec_lo, exec_lo, s1
	v_mov_b32_e32 v5, 0
	v_mov_b32_e32 v6, 0
	s_delay_alu instid0(VALU_DEP_1)
	v_dual_mov_b32 v8, v6 :: v_dual_mov_b32 v7, v5
	s_and_saveexec_b32 s3, s0
	s_cbranch_execz .LBB163_213
; %bb.172:
	s_waitcnt vmcnt(0)
	v_cmp_neq_f64_e32 vcc_lo, 0, v[13:14]
	v_cmp_neq_f64_e64 s1, 0, v[15:16]
	v_mov_b32_e32 v22, 0
	v_mov_b32_e32 v23, 0
	s_delay_alu instid0(VALU_DEP_3) | instskip(NEXT) | instid1(SALU_CYCLE_1)
	s_or_b32 s1, vcc_lo, s1
	s_and_saveexec_b32 s6, s1
	s_cbranch_execz .LBB163_204
; %bb.173:
	s_mov_b32 s12, 0
	s_mov_b32 s13, 0x7ff00000
	v_mov_b32_e32 v22, s12
	v_mov_b32_e32 v23, s13
	s_mov_b32 s7, exec_lo
	v_cmpx_neq_f64_e64 0x7ff00000, |v[15:16]|
	s_cbranch_execz .LBB163_203
; %bb.174:
	s_mov_b32 s1, exec_lo
	v_cmpx_o_f64_e32 v[13:14], v[13:14]
	s_xor_b32 s9, exec_lo, s1
	s_cbranch_execz .LBB163_200
; %bb.175:
	s_mov_b32 s2, exec_lo
	v_cmpx_neq_f64_e64 0x7ff00000, |v[13:14]|
	s_xor_b32 s11, exec_lo, s2
	s_cbranch_execz .LBB163_193
; %bb.176:
	v_max_f64 v[5:6], |v[15:16]|, |v[15:16]|
	v_max_f64 v[7:8], |v[13:14]|, |v[13:14]|
	s_mov_b32 s12, 0x99fcef32
	s_mov_b32 s13, 0x7fda8279
	s_delay_alu instid0(VALU_DEP_1) | instskip(NEXT) | instid1(VALU_DEP_1)
	v_max_f64 v[5:6], v[7:8], v[5:6]
	v_cmp_nle_f64_e64 s1, s[12:13], v[5:6]
                                        ; implicit-def: $sgpr12
	s_delay_alu instid0(VALU_DEP_1) | instskip(NEXT) | instid1(SALU_CYCLE_1)
	s_and_saveexec_b32 s2, s1
	s_xor_b32 s2, exec_lo, s2
	s_cbranch_execz .LBB163_180
; %bb.177:
	v_cmp_ge_f64_e64 s12, 0x200000, |v[13:14]|
	v_cmp_ge_f64_e64 s13, 0x200000, |v[15:16]|
	s_delay_alu instid0(VALU_DEP_1)
	s_and_b32 s14, s12, s13
	s_mov_b32 s12, 0
	s_and_saveexec_b32 s13, s14
; %bb.178:
	v_mul_f64 v[13:14], v[13:14], 4.0
	v_mul_f64 v[15:16], v[15:16], 4.0
	s_mov_b32 s12, exec_lo
; %bb.179:
	s_or_b32 exec_lo, exec_lo, s13
	s_delay_alu instid0(SALU_CYCLE_1)
	s_and_b32 s12, s12, exec_lo
.LBB163_180:
	s_and_not1_saveexec_b32 s2, s2
; %bb.181:
	s_delay_alu instid0(VALU_DEP_2) | instskip(NEXT) | instid1(VALU_DEP_2)
	v_ldexp_f64 v[13:14], v[13:14], -2
	v_ldexp_f64 v[15:16], v[15:16], -2
	s_and_not1_b32 s12, s12, exec_lo
; %bb.182:
	s_or_b32 exec_lo, exec_lo, s2
	s_delay_alu instid0(VALU_DEP_1) | instskip(NEXT) | instid1(VALU_DEP_3)
	v_max_f64 v[5:6], |v[15:16]|, |v[15:16]|
	v_max_f64 v[7:8], |v[13:14]|, |v[13:14]|
	v_cmp_class_f64_e64 s13, v[13:14], 0x204
	v_cmp_class_f64_e64 s14, v[15:16], 0x204
	v_cmp_le_f64_e64 s2, 0, v[13:14]
	s_delay_alu instid0(VALU_DEP_4) | instskip(NEXT) | instid1(VALU_DEP_3)
	v_max_f64 v[5:6], v[7:8], v[5:6]
	s_or_b32 s13, s14, s13
	s_delay_alu instid0(VALU_DEP_1) | instskip(NEXT) | instid1(VALU_DEP_1)
	v_frexp_exp_i32_f64_e32 v27, v[5:6]
	v_sub_nc_u32_e32 v7, 0, v27
	s_delay_alu instid0(VALU_DEP_1) | instskip(SKIP_1) | instid1(VALU_DEP_2)
	v_ldexp_f64 v[5:6], |v[15:16]|, v7
	v_ldexp_f64 v[7:8], |v[13:14]|, v7
	v_mul_f64 v[5:6], v[5:6], v[5:6]
	s_delay_alu instid0(VALU_DEP_1) | instskip(NEXT) | instid1(VALU_DEP_1)
	v_fma_f64 v[5:6], v[7:8], v[7:8], v[5:6]
	v_rsq_f64_e32 v[7:8], v[5:6]
	v_cmp_eq_f64_e32 vcc_lo, 0, v[5:6]
	s_waitcnt_depctr 0xfff
	v_mul_f64 v[22:23], v[5:6], v[7:8]
	v_mul_f64 v[7:8], v[7:8], 0.5
	s_delay_alu instid0(VALU_DEP_1) | instskip(NEXT) | instid1(VALU_DEP_1)
	v_fma_f64 v[24:25], -v[7:8], v[22:23], 0.5
	v_fma_f64 v[22:23], v[22:23], v[24:25], v[22:23]
	v_fma_f64 v[7:8], v[7:8], v[24:25], v[7:8]
	s_delay_alu instid0(VALU_DEP_2) | instskip(NEXT) | instid1(VALU_DEP_1)
	v_fma_f64 v[24:25], -v[22:23], v[22:23], v[5:6]
	v_fma_f64 v[7:8], v[24:25], v[7:8], v[22:23]
	s_delay_alu instid0(VALU_DEP_1) | instskip(SKIP_1) | instid1(VALU_DEP_2)
	v_dual_cndmask_b32 v6, v8, v6 :: v_dual_cndmask_b32 v5, v7, v5
	v_cmp_o_f64_e32 vcc_lo, v[15:16], v[15:16]
	v_ldexp_f64 v[5:6], v[5:6], v27
	s_delay_alu instid0(VALU_DEP_1) | instskip(NEXT) | instid1(VALU_DEP_2)
	v_cndmask_b32_e32 v5, 0, v5, vcc_lo
	v_cndmask_b32_e32 v6, 0x7ff80000, v6, vcc_lo
	s_delay_alu instid0(VALU_DEP_2) | instskip(NEXT) | instid1(VALU_DEP_2)
	v_cndmask_b32_e64 v5, v5, 0, s13
	v_cndmask_b32_e64 v6, v6, 0x7ff00000, s13
	s_and_saveexec_b32 s13, s2
	s_delay_alu instid0(SALU_CYCLE_1)
	s_xor_b32 s2, exec_lo, s13
	s_cbranch_execz .LBB163_188
; %bb.183:
	s_delay_alu instid0(VALU_DEP_1) | instskip(NEXT) | instid1(VALU_DEP_1)
	v_add_f64 v[5:6], v[13:14], v[5:6]
	v_mul_f64 v[5:6], v[5:6], 0.5
	s_delay_alu instid0(VALU_DEP_1) | instskip(SKIP_1) | instid1(VALU_DEP_1)
	v_cmp_gt_f64_e32 vcc_lo, 0x10000000, v[5:6]
	v_cndmask_b32_e64 v7, 0, 1, vcc_lo
	v_lshlrev_b32_e32 v7, 8, v7
	s_delay_alu instid0(VALU_DEP_1) | instskip(NEXT) | instid1(VALU_DEP_1)
	v_ldexp_f64 v[5:6], v[5:6], v7
	v_rsq_f64_e32 v[7:8], v[5:6]
	s_waitcnt_depctr 0xfff
	v_mul_f64 v[13:14], v[5:6], v[7:8]
	v_mul_f64 v[7:8], v[7:8], 0.5
	s_delay_alu instid0(VALU_DEP_1) | instskip(NEXT) | instid1(VALU_DEP_1)
	v_fma_f64 v[22:23], -v[7:8], v[13:14], 0.5
	v_fma_f64 v[13:14], v[13:14], v[22:23], v[13:14]
	v_fma_f64 v[7:8], v[7:8], v[22:23], v[7:8]
	s_delay_alu instid0(VALU_DEP_2) | instskip(NEXT) | instid1(VALU_DEP_1)
	v_fma_f64 v[22:23], -v[13:14], v[13:14], v[5:6]
	v_fma_f64 v[13:14], v[22:23], v[7:8], v[13:14]
	s_delay_alu instid0(VALU_DEP_1) | instskip(NEXT) | instid1(VALU_DEP_1)
	v_fma_f64 v[22:23], -v[13:14], v[13:14], v[5:6]
	v_fma_f64 v[7:8], v[22:23], v[7:8], v[13:14]
	v_cndmask_b32_e64 v13, 0, 0xffffff80, vcc_lo
	v_cmp_class_f64_e64 vcc_lo, v[5:6], 0x260
	s_delay_alu instid0(VALU_DEP_2) | instskip(NEXT) | instid1(VALU_DEP_1)
	v_ldexp_f64 v[7:8], v[7:8], v13
	v_dual_cndmask_b32 v14, v8, v6 :: v_dual_cndmask_b32 v13, v7, v5
	s_delay_alu instid0(VALU_DEP_1) | instskip(NEXT) | instid1(VALU_DEP_1)
	v_add_f64 v[5:6], v[13:14], v[13:14]
	v_div_scale_f64 v[7:8], null, v[5:6], v[5:6], v[15:16]
	s_delay_alu instid0(VALU_DEP_1) | instskip(SKIP_2) | instid1(VALU_DEP_1)
	v_rcp_f64_e32 v[22:23], v[7:8]
	s_waitcnt_depctr 0xfff
	v_fma_f64 v[24:25], -v[7:8], v[22:23], 1.0
	v_fma_f64 v[22:23], v[22:23], v[24:25], v[22:23]
	s_delay_alu instid0(VALU_DEP_1) | instskip(NEXT) | instid1(VALU_DEP_1)
	v_fma_f64 v[24:25], -v[7:8], v[22:23], 1.0
	v_fma_f64 v[22:23], v[22:23], v[24:25], v[22:23]
	v_div_scale_f64 v[24:25], vcc_lo, v[15:16], v[5:6], v[15:16]
	s_delay_alu instid0(VALU_DEP_1) | instskip(NEXT) | instid1(VALU_DEP_1)
	v_mul_f64 v[27:28], v[24:25], v[22:23]
	v_fma_f64 v[7:8], -v[7:8], v[27:28], v[24:25]
	s_delay_alu instid0(VALU_DEP_1) | instskip(NEXT) | instid1(VALU_DEP_1)
	v_div_fmas_f64 v[7:8], v[7:8], v[22:23], v[27:28]
	v_div_fixup_f64 v[15:16], v[7:8], v[5:6], v[15:16]
                                        ; implicit-def: $vgpr5_vgpr6
	s_and_not1_saveexec_b32 s2, s2
	s_cbranch_execnz .LBB163_189
.LBB163_184:
	s_or_b32 exec_lo, exec_lo, s2
	s_and_saveexec_b32 s2, s1
	s_delay_alu instid0(SALU_CYCLE_1)
	s_xor_b32 s1, exec_lo, s2
	s_cbranch_execz .LBB163_190
.LBB163_185:
	s_and_saveexec_b32 s2, s12
; %bb.186:
	s_delay_alu instid0(VALU_DEP_2) | instskip(NEXT) | instid1(VALU_DEP_2)
	v_mul_f64 v[13:14], v[13:14], 0.5
	v_mul_f64 v[15:16], v[15:16], 0.5
; %bb.187:
	s_or_b32 exec_lo, exec_lo, s2
	s_and_not1_saveexec_b32 s1, s1
	s_cbranch_execnz .LBB163_191
	s_branch .LBB163_192
.LBB163_188:
	s_and_not1_saveexec_b32 s2, s2
	s_cbranch_execz .LBB163_184
.LBB163_189:
	v_add_f64 v[5:6], v[5:6], -v[13:14]
	s_delay_alu instid0(VALU_DEP_1) | instskip(NEXT) | instid1(VALU_DEP_1)
	v_mul_f64 v[5:6], v[5:6], 0.5
	v_cmp_gt_f64_e32 vcc_lo, 0x10000000, v[5:6]
	v_cndmask_b32_e64 v7, 0, 1, vcc_lo
	s_delay_alu instid0(VALU_DEP_1) | instskip(NEXT) | instid1(VALU_DEP_1)
	v_lshlrev_b32_e32 v7, 8, v7
	v_ldexp_f64 v[5:6], v[5:6], v7
	s_delay_alu instid0(VALU_DEP_1) | instskip(SKIP_3) | instid1(VALU_DEP_1)
	v_rsq_f64_e32 v[7:8], v[5:6]
	s_waitcnt_depctr 0xfff
	v_mul_f64 v[13:14], v[5:6], v[7:8]
	v_mul_f64 v[7:8], v[7:8], 0.5
	v_fma_f64 v[22:23], -v[7:8], v[13:14], 0.5
	s_delay_alu instid0(VALU_DEP_1) | instskip(SKIP_1) | instid1(VALU_DEP_2)
	v_fma_f64 v[13:14], v[13:14], v[22:23], v[13:14]
	v_fma_f64 v[7:8], v[7:8], v[22:23], v[7:8]
	v_fma_f64 v[22:23], -v[13:14], v[13:14], v[5:6]
	s_delay_alu instid0(VALU_DEP_1) | instskip(NEXT) | instid1(VALU_DEP_1)
	v_fma_f64 v[13:14], v[22:23], v[7:8], v[13:14]
	v_fma_f64 v[22:23], -v[13:14], v[13:14], v[5:6]
	s_delay_alu instid0(VALU_DEP_1) | instskip(SKIP_3) | instid1(VALU_DEP_3)
	v_fma_f64 v[7:8], v[22:23], v[7:8], v[13:14]
	v_cndmask_b32_e64 v13, 0, 0xffffff80, vcc_lo
	v_cmp_class_f64_e64 vcc_lo, v[5:6], 0x260
	v_and_b32_e32 v14, 0x7fffffff, v16
	v_ldexp_f64 v[7:8], v[7:8], v13
	s_delay_alu instid0(VALU_DEP_1) | instskip(NEXT) | instid1(VALU_DEP_1)
	v_dual_cndmask_b32 v6, v8, v6 :: v_dual_cndmask_b32 v5, v7, v5
	v_add_f64 v[7:8], v[5:6], v[5:6]
	v_bfi_b32 v6, 0x7fffffff, v6, v16
	v_mov_b32_e32 v13, v15
	s_delay_alu instid0(VALU_DEP_1) | instskip(SKIP_1) | instid1(VALU_DEP_2)
	v_div_scale_f64 v[22:23], null, v[7:8], v[7:8], v[13:14]
	v_div_scale_f64 v[13:14], vcc_lo, v[13:14], v[7:8], v[13:14]
	v_rcp_f64_e32 v[24:25], v[22:23]
	s_waitcnt_depctr 0xfff
	v_fma_f64 v[27:28], -v[22:23], v[24:25], 1.0
	s_delay_alu instid0(VALU_DEP_1) | instskip(NEXT) | instid1(VALU_DEP_1)
	v_fma_f64 v[24:25], v[24:25], v[27:28], v[24:25]
	v_fma_f64 v[27:28], -v[22:23], v[24:25], 1.0
	s_delay_alu instid0(VALU_DEP_1) | instskip(NEXT) | instid1(VALU_DEP_1)
	v_fma_f64 v[24:25], v[24:25], v[27:28], v[24:25]
	v_mul_f64 v[27:28], v[13:14], v[24:25]
	s_delay_alu instid0(VALU_DEP_1) | instskip(NEXT) | instid1(VALU_DEP_1)
	v_fma_f64 v[13:14], -v[22:23], v[27:28], v[13:14]
	v_div_fmas_f64 v[13:14], v[13:14], v[24:25], v[27:28]
	s_delay_alu instid0(VALU_DEP_1) | instskip(SKIP_3) | instid1(SALU_CYCLE_1)
	v_div_fixup_f64 v[13:14], v[13:14], v[7:8], |v[15:16]|
	v_dual_mov_b32 v16, v6 :: v_dual_mov_b32 v15, v5
	s_or_b32 exec_lo, exec_lo, s2
	s_and_saveexec_b32 s2, s1
	s_xor_b32 s1, exec_lo, s2
	s_cbranch_execnz .LBB163_185
.LBB163_190:
	s_and_not1_saveexec_b32 s1, s1
.LBB163_191:
	s_delay_alu instid0(VALU_DEP_2) | instskip(NEXT) | instid1(VALU_DEP_2)
	v_add_f64 v[13:14], v[13:14], v[13:14]
	v_add_f64 v[15:16], v[15:16], v[15:16]
.LBB163_192:
	s_or_b32 exec_lo, exec_lo, s1
.LBB163_193:
	s_and_not1_saveexec_b32 s1, s11
	s_cbranch_execz .LBB163_199
; %bb.194:
	s_delay_alu instid0(VALU_DEP_1) | instskip(SKIP_1) | instid1(VALU_DEP_3)
	v_add_f64 v[5:6], v[15:16], -v[15:16]
	s_mov_b32 s2, exec_lo
	v_cmpx_lt_i64_e32 -1, v[13:14]
	s_xor_b32 s2, exec_lo, s2
; %bb.195:
	s_delay_alu instid0(VALU_DEP_2) | instskip(NEXT) | instid1(VALU_DEP_1)
	v_bfi_b32 v6, 0x7fffffff, v6, v16
	v_dual_mov_b32 v16, v6 :: v_dual_mov_b32 v15, v5
                                        ; implicit-def: $vgpr5_vgpr6
; %bb.196:
	s_and_not1_saveexec_b32 s2, s2
; %bb.197:
	s_delay_alu instid0(VALU_DEP_1) | instskip(SKIP_1) | instid1(VALU_DEP_2)
	v_bfi_b32 v14, 0x7fffffff, v14, v16
	v_and_b32_e32 v6, 0x7fffffff, v6
	v_dual_mov_b32 v16, v14 :: v_dual_mov_b32 v15, v13
	s_delay_alu instid0(VALU_DEP_2)
	v_dual_mov_b32 v14, v6 :: v_dual_mov_b32 v13, v5
; %bb.198:
	s_or_b32 exec_lo, exec_lo, s2
.LBB163_199:
	s_delay_alu instid0(SALU_CYCLE_1)
	s_or_b32 exec_lo, exec_lo, s1
.LBB163_200:
	s_and_not1_saveexec_b32 s1, s9
; %bb.201:
	s_delay_alu instid0(VALU_DEP_1) | instskip(NEXT) | instid1(VALU_DEP_1)
	v_add_f64 v[5:6], v[15:16], -v[15:16]
	v_div_scale_f64 v[7:8], vcc_lo, v[5:6], v[5:6], v[5:6]
	s_delay_alu instid0(VALU_DEP_1) | instskip(SKIP_2) | instid1(VALU_DEP_1)
	v_rcp_f64_e32 v[15:16], v[7:8]
	s_waitcnt_depctr 0xfff
	v_fma_f64 v[22:23], -v[7:8], v[15:16], 1.0
	v_fma_f64 v[15:16], v[15:16], v[22:23], v[15:16]
	s_delay_alu instid0(VALU_DEP_1) | instskip(NEXT) | instid1(VALU_DEP_1)
	v_fma_f64 v[22:23], -v[7:8], v[15:16], 1.0
	v_fma_f64 v[15:16], v[15:16], v[22:23], v[15:16]
	s_delay_alu instid0(VALU_DEP_1) | instskip(NEXT) | instid1(VALU_DEP_1)
	v_mul_f64 v[22:23], v[7:8], v[15:16]
	v_fma_f64 v[7:8], -v[7:8], v[22:23], v[7:8]
	s_delay_alu instid0(VALU_DEP_1) | instskip(NEXT) | instid1(VALU_DEP_1)
	v_div_fmas_f64 v[7:8], v[7:8], v[15:16], v[22:23]
	v_div_fixup_f64 v[15:16], v[7:8], v[5:6], v[5:6]
; %bb.202:
	s_or_b32 exec_lo, exec_lo, s1
	v_dual_mov_b32 v23, v14 :: v_dual_mov_b32 v22, v13
.LBB163_203:
	s_or_b32 exec_lo, exec_lo, s7
.LBB163_204:
	s_delay_alu instid0(SALU_CYCLE_1) | instskip(NEXT) | instid1(VALU_DEP_1)
	s_or_b32 exec_lo, exec_lo, s6
	v_cmp_gt_f64_e32 vcc_lo, 0, v[22:23]
	s_delay_alu instid0(VALU_DEP_3) | instskip(SKIP_2) | instid1(VALU_DEP_2)
	v_cmp_gt_f64_e64 s1, 0, v[15:16]
	v_xor_b32_e32 v5, 0x80000000, v23
	v_xor_b32_e32 v6, 0x80000000, v16
	v_dual_cndmask_b32 v14, v23, v5 :: v_dual_cndmask_b32 v13, v22, v22
	s_delay_alu instid0(VALU_DEP_2) | instskip(SKIP_2) | instid1(VALU_DEP_1)
	v_cndmask_b32_e64 v25, v16, v6, s1
	v_cndmask_b32_e64 v24, v15, v15, s1
                                        ; implicit-def: $vgpr5_vgpr6
	s_mov_b32 s1, exec_lo
	v_cmpx_ge_f64_e32 v[13:14], v[24:25]
	s_xor_b32 s2, exec_lo, s1
	s_cbranch_execz .LBB163_210
; %bb.205:
	v_cmp_neq_f64_e32 vcc_lo, 0, v[22:23]
	v_cmp_neq_f64_e64 s1, 0, v[15:16]
                                        ; implicit-def: $vgpr5_vgpr6
	s_delay_alu instid0(VALU_DEP_1) | instskip(NEXT) | instid1(SALU_CYCLE_1)
	s_or_b32 s1, vcc_lo, s1
	s_and_saveexec_b32 s6, s1
	s_delay_alu instid0(SALU_CYCLE_1)
	s_xor_b32 s1, exec_lo, s6
	s_cbranch_execz .LBB163_207
; %bb.206:
	v_div_scale_f64 v[5:6], null, v[22:23], v[22:23], v[15:16]
	v_div_scale_f64 v[24:25], vcc_lo, v[15:16], v[22:23], v[15:16]
	s_delay_alu instid0(VALU_DEP_2) | instskip(SKIP_2) | instid1(VALU_DEP_1)
	v_rcp_f64_e32 v[7:8], v[5:6]
	s_waitcnt_depctr 0xfff
	v_fma_f64 v[13:14], -v[5:6], v[7:8], 1.0
	v_fma_f64 v[7:8], v[7:8], v[13:14], v[7:8]
	s_delay_alu instid0(VALU_DEP_1) | instskip(NEXT) | instid1(VALU_DEP_1)
	v_fma_f64 v[13:14], -v[5:6], v[7:8], 1.0
	v_fma_f64 v[7:8], v[7:8], v[13:14], v[7:8]
	s_delay_alu instid0(VALU_DEP_1) | instskip(NEXT) | instid1(VALU_DEP_1)
	v_mul_f64 v[13:14], v[24:25], v[7:8]
	v_fma_f64 v[5:6], -v[5:6], v[13:14], v[24:25]
	s_delay_alu instid0(VALU_DEP_1) | instskip(NEXT) | instid1(VALU_DEP_1)
	v_div_fmas_f64 v[5:6], v[5:6], v[7:8], v[13:14]
	v_div_fixup_f64 v[5:6], v[5:6], v[22:23], v[15:16]
	s_delay_alu instid0(VALU_DEP_1) | instskip(NEXT) | instid1(VALU_DEP_1)
	v_fma_f64 v[7:8], v[15:16], v[5:6], v[22:23]
	v_div_scale_f64 v[13:14], null, v[7:8], v[7:8], 1.0
	v_div_scale_f64 v[24:25], vcc_lo, 1.0, v[7:8], 1.0
	s_delay_alu instid0(VALU_DEP_2) | instskip(SKIP_2) | instid1(VALU_DEP_1)
	v_rcp_f64_e32 v[15:16], v[13:14]
	s_waitcnt_depctr 0xfff
	v_fma_f64 v[22:23], -v[13:14], v[15:16], 1.0
	v_fma_f64 v[15:16], v[15:16], v[22:23], v[15:16]
	s_delay_alu instid0(VALU_DEP_1) | instskip(NEXT) | instid1(VALU_DEP_1)
	v_fma_f64 v[22:23], -v[13:14], v[15:16], 1.0
	v_fma_f64 v[15:16], v[15:16], v[22:23], v[15:16]
	s_delay_alu instid0(VALU_DEP_1) | instskip(NEXT) | instid1(VALU_DEP_1)
	v_mul_f64 v[22:23], v[24:25], v[15:16]
	v_fma_f64 v[13:14], -v[13:14], v[22:23], v[24:25]
                                        ; implicit-def: $vgpr24_vgpr25
	s_delay_alu instid0(VALU_DEP_1) | instskip(SKIP_1) | instid1(VALU_DEP_2)
	v_div_fmas_f64 v[13:14], v[13:14], v[15:16], v[22:23]
	v_fma_f64 v[15:16], v[5:6], 0, 1.0
	v_div_fixup_f64 v[7:8], v[13:14], v[7:8], 1.0
	v_add_f64 v[13:14], -v[5:6], 0
	s_delay_alu instid0(VALU_DEP_2) | instskip(NEXT) | instid1(VALU_DEP_2)
	v_mul_f64 v[5:6], v[15:16], v[7:8]
	v_mul_f64 v[7:8], v[13:14], v[7:8]
                                        ; implicit-def: $vgpr13_vgpr14
.LBB163_207:
	s_and_not1_saveexec_b32 s6, s1
	s_cbranch_execz .LBB163_209
; %bb.208:
	v_div_scale_f64 v[5:6], null, v[13:14], v[13:14], 1.0
	v_div_scale_f64 v[7:8], null, v[24:25], v[24:25], 0
	v_div_scale_f64 v[31:32], vcc_lo, 1.0, v[13:14], 1.0
	s_delay_alu instid0(VALU_DEP_3) | instskip(NEXT) | instid1(VALU_DEP_2)
	v_rcp_f64_e32 v[15:16], v[5:6]
	v_rcp_f64_e32 v[22:23], v[7:8]
	s_waitcnt_depctr 0xfff
	v_fma_f64 v[27:28], -v[5:6], v[15:16], 1.0
	v_fma_f64 v[29:30], -v[7:8], v[22:23], 1.0
	s_delay_alu instid0(VALU_DEP_2) | instskip(NEXT) | instid1(VALU_DEP_2)
	v_fma_f64 v[15:16], v[15:16], v[27:28], v[15:16]
	v_fma_f64 v[22:23], v[22:23], v[29:30], v[22:23]
	s_delay_alu instid0(VALU_DEP_2) | instskip(NEXT) | instid1(VALU_DEP_2)
	v_fma_f64 v[27:28], -v[5:6], v[15:16], 1.0
	v_fma_f64 v[29:30], -v[7:8], v[22:23], 1.0
	s_delay_alu instid0(VALU_DEP_2) | instskip(SKIP_1) | instid1(VALU_DEP_3)
	v_fma_f64 v[15:16], v[15:16], v[27:28], v[15:16]
	v_div_scale_f64 v[27:28], s1, 0, v[24:25], 0
	v_fma_f64 v[22:23], v[22:23], v[29:30], v[22:23]
	s_delay_alu instid0(VALU_DEP_3) | instskip(NEXT) | instid1(VALU_DEP_2)
	v_mul_f64 v[29:30], v[31:32], v[15:16]
	v_mul_f64 v[33:34], v[27:28], v[22:23]
	s_delay_alu instid0(VALU_DEP_2) | instskip(NEXT) | instid1(VALU_DEP_2)
	v_fma_f64 v[5:6], -v[5:6], v[29:30], v[31:32]
	v_fma_f64 v[7:8], -v[7:8], v[33:34], v[27:28]
	s_delay_alu instid0(VALU_DEP_2) | instskip(SKIP_1) | instid1(VALU_DEP_2)
	v_div_fmas_f64 v[5:6], v[5:6], v[15:16], v[29:30]
	s_mov_b32 vcc_lo, s1
	v_div_fmas_f64 v[7:8], v[7:8], v[22:23], v[33:34]
	s_delay_alu instid0(VALU_DEP_2) | instskip(NEXT) | instid1(VALU_DEP_2)
	v_div_fixup_f64 v[5:6], v[5:6], v[13:14], 1.0
	v_div_fixup_f64 v[7:8], v[7:8], v[24:25], 0
.LBB163_209:
	s_or_b32 exec_lo, exec_lo, s6
                                        ; implicit-def: $vgpr15_vgpr16
                                        ; implicit-def: $vgpr22_vgpr23
.LBB163_210:
	s_and_not1_saveexec_b32 s1, s2
	s_cbranch_execz .LBB163_212
; %bb.211:
	v_div_scale_f64 v[5:6], null, v[15:16], v[15:16], v[22:23]
	v_div_scale_f64 v[24:25], vcc_lo, v[22:23], v[15:16], v[22:23]
	s_delay_alu instid0(VALU_DEP_2) | instskip(SKIP_2) | instid1(VALU_DEP_1)
	v_rcp_f64_e32 v[7:8], v[5:6]
	s_waitcnt_depctr 0xfff
	v_fma_f64 v[13:14], -v[5:6], v[7:8], 1.0
	v_fma_f64 v[7:8], v[7:8], v[13:14], v[7:8]
	s_delay_alu instid0(VALU_DEP_1) | instskip(NEXT) | instid1(VALU_DEP_1)
	v_fma_f64 v[13:14], -v[5:6], v[7:8], 1.0
	v_fma_f64 v[7:8], v[7:8], v[13:14], v[7:8]
	s_delay_alu instid0(VALU_DEP_1) | instskip(NEXT) | instid1(VALU_DEP_1)
	v_mul_f64 v[13:14], v[24:25], v[7:8]
	v_fma_f64 v[5:6], -v[5:6], v[13:14], v[24:25]
	s_delay_alu instid0(VALU_DEP_1) | instskip(NEXT) | instid1(VALU_DEP_1)
	v_div_fmas_f64 v[5:6], v[5:6], v[7:8], v[13:14]
	v_div_fixup_f64 v[5:6], v[5:6], v[15:16], v[22:23]
	s_delay_alu instid0(VALU_DEP_1) | instskip(NEXT) | instid1(VALU_DEP_1)
	v_fma_f64 v[7:8], v[22:23], v[5:6], v[15:16]
	v_div_scale_f64 v[13:14], null, v[7:8], v[7:8], 1.0
	v_div_scale_f64 v[24:25], vcc_lo, 1.0, v[7:8], 1.0
	s_delay_alu instid0(VALU_DEP_2) | instskip(SKIP_2) | instid1(VALU_DEP_1)
	v_rcp_f64_e32 v[15:16], v[13:14]
	s_waitcnt_depctr 0xfff
	v_fma_f64 v[22:23], -v[13:14], v[15:16], 1.0
	v_fma_f64 v[15:16], v[15:16], v[22:23], v[15:16]
	s_delay_alu instid0(VALU_DEP_1) | instskip(NEXT) | instid1(VALU_DEP_1)
	v_fma_f64 v[22:23], -v[13:14], v[15:16], 1.0
	v_fma_f64 v[15:16], v[15:16], v[22:23], v[15:16]
	s_delay_alu instid0(VALU_DEP_1) | instskip(NEXT) | instid1(VALU_DEP_1)
	v_mul_f64 v[22:23], v[24:25], v[15:16]
	v_fma_f64 v[13:14], -v[13:14], v[22:23], v[24:25]
	s_delay_alu instid0(VALU_DEP_1) | instskip(SKIP_1) | instid1(VALU_DEP_2)
	v_div_fmas_f64 v[13:14], v[13:14], v[15:16], v[22:23]
	v_add_f64 v[15:16], v[5:6], 0
	v_div_fixup_f64 v[7:8], v[13:14], v[7:8], 1.0
	v_fma_f64 v[13:14], v[5:6], 0, -1.0
	s_delay_alu instid0(VALU_DEP_2) | instskip(NEXT) | instid1(VALU_DEP_2)
	v_mul_f64 v[5:6], v[15:16], v[7:8]
	v_mul_f64 v[7:8], v[13:14], v[7:8]
.LBB163_212:
	s_or_b32 exec_lo, exec_lo, s1
.LBB163_213:
	s_delay_alu instid0(SALU_CYCLE_1) | instskip(SKIP_4) | instid1(VALU_DEP_1)
	s_or_b32 exec_lo, exec_lo, s3
	s_waitcnt vmcnt(0)
	v_mov_b32_e32 v13, 0
	v_mov_b32_e32 v14, 0
	s_mov_b32 s3, exec_lo
	v_dual_mov_b32 v16, v14 :: v_dual_mov_b32 v15, v13
	v_cmpx_gt_i32_e64 s10, v26
	s_cbranch_execz .LBB163_255
; %bb.214:
	v_cmp_neq_f64_e32 vcc_lo, 0, v[17:18]
	v_cmp_neq_f64_e64 s1, 0, v[19:20]
	v_mov_b32_e32 v22, 0
	v_mov_b32_e32 v23, 0
	s_delay_alu instid0(VALU_DEP_3) | instskip(NEXT) | instid1(SALU_CYCLE_1)
	s_or_b32 s1, vcc_lo, s1
	s_and_saveexec_b32 s6, s1
	s_cbranch_execz .LBB163_246
; %bb.215:
	s_mov_b32 s12, 0
	s_mov_b32 s13, 0x7ff00000
	v_mov_b32_e32 v22, s12
	v_mov_b32_e32 v23, s13
	s_mov_b32 s7, exec_lo
	v_cmpx_neq_f64_e64 0x7ff00000, |v[19:20]|
	s_cbranch_execz .LBB163_245
; %bb.216:
	s_mov_b32 s1, exec_lo
	v_cmpx_o_f64_e32 v[17:18], v[17:18]
	s_xor_b32 s9, exec_lo, s1
	s_cbranch_execz .LBB163_242
; %bb.217:
	s_mov_b32 s2, exec_lo
	v_cmpx_neq_f64_e64 0x7ff00000, |v[17:18]|
	s_xor_b32 s11, exec_lo, s2
	s_cbranch_execz .LBB163_235
; %bb.218:
	v_max_f64 v[13:14], |v[19:20]|, |v[19:20]|
	v_max_f64 v[15:16], |v[17:18]|, |v[17:18]|
	s_mov_b32 s12, 0x99fcef32
	s_mov_b32 s13, 0x7fda8279
	s_delay_alu instid0(VALU_DEP_1) | instskip(NEXT) | instid1(VALU_DEP_1)
	v_max_f64 v[13:14], v[15:16], v[13:14]
	v_cmp_nle_f64_e64 s1, s[12:13], v[13:14]
                                        ; implicit-def: $sgpr12
	s_delay_alu instid0(VALU_DEP_1) | instskip(NEXT) | instid1(SALU_CYCLE_1)
	s_and_saveexec_b32 s2, s1
	s_xor_b32 s2, exec_lo, s2
	s_cbranch_execz .LBB163_222
; %bb.219:
	v_cmp_ge_f64_e64 s12, 0x200000, |v[17:18]|
	v_cmp_ge_f64_e64 s13, 0x200000, |v[19:20]|
	s_delay_alu instid0(VALU_DEP_1)
	s_and_b32 s14, s12, s13
	s_mov_b32 s12, 0
	s_and_saveexec_b32 s13, s14
; %bb.220:
	v_mul_f64 v[17:18], v[17:18], 4.0
	v_mul_f64 v[19:20], v[19:20], 4.0
	s_mov_b32 s12, exec_lo
; %bb.221:
	s_or_b32 exec_lo, exec_lo, s13
	s_delay_alu instid0(SALU_CYCLE_1)
	s_and_b32 s12, s12, exec_lo
.LBB163_222:
	s_and_not1_saveexec_b32 s2, s2
; %bb.223:
	s_delay_alu instid0(VALU_DEP_2) | instskip(NEXT) | instid1(VALU_DEP_2)
	v_ldexp_f64 v[17:18], v[17:18], -2
	v_ldexp_f64 v[19:20], v[19:20], -2
	s_and_not1_b32 s12, s12, exec_lo
; %bb.224:
	s_or_b32 exec_lo, exec_lo, s2
	s_delay_alu instid0(VALU_DEP_1) | instskip(NEXT) | instid1(VALU_DEP_3)
	v_max_f64 v[13:14], |v[19:20]|, |v[19:20]|
	v_max_f64 v[15:16], |v[17:18]|, |v[17:18]|
	v_cmp_class_f64_e64 s13, v[17:18], 0x204
	v_cmp_class_f64_e64 s14, v[19:20], 0x204
	v_cmp_le_f64_e64 s2, 0, v[17:18]
	s_delay_alu instid0(VALU_DEP_4) | instskip(NEXT) | instid1(VALU_DEP_3)
	v_max_f64 v[13:14], v[15:16], v[13:14]
	s_or_b32 s13, s14, s13
	s_delay_alu instid0(VALU_DEP_1) | instskip(NEXT) | instid1(VALU_DEP_1)
	v_frexp_exp_i32_f64_e32 v27, v[13:14]
	v_sub_nc_u32_e32 v15, 0, v27
	s_delay_alu instid0(VALU_DEP_1) | instskip(SKIP_1) | instid1(VALU_DEP_2)
	v_ldexp_f64 v[13:14], |v[19:20]|, v15
	v_ldexp_f64 v[15:16], |v[17:18]|, v15
	v_mul_f64 v[13:14], v[13:14], v[13:14]
	s_delay_alu instid0(VALU_DEP_1) | instskip(NEXT) | instid1(VALU_DEP_1)
	v_fma_f64 v[13:14], v[15:16], v[15:16], v[13:14]
	v_rsq_f64_e32 v[15:16], v[13:14]
	v_cmp_eq_f64_e32 vcc_lo, 0, v[13:14]
	s_waitcnt_depctr 0xfff
	v_mul_f64 v[22:23], v[13:14], v[15:16]
	v_mul_f64 v[15:16], v[15:16], 0.5
	s_delay_alu instid0(VALU_DEP_1) | instskip(NEXT) | instid1(VALU_DEP_1)
	v_fma_f64 v[24:25], -v[15:16], v[22:23], 0.5
	v_fma_f64 v[22:23], v[22:23], v[24:25], v[22:23]
	v_fma_f64 v[15:16], v[15:16], v[24:25], v[15:16]
	s_delay_alu instid0(VALU_DEP_2) | instskip(NEXT) | instid1(VALU_DEP_1)
	v_fma_f64 v[24:25], -v[22:23], v[22:23], v[13:14]
	v_fma_f64 v[15:16], v[24:25], v[15:16], v[22:23]
	s_delay_alu instid0(VALU_DEP_1) | instskip(SKIP_1) | instid1(VALU_DEP_2)
	v_dual_cndmask_b32 v14, v16, v14 :: v_dual_cndmask_b32 v13, v15, v13
	v_cmp_o_f64_e32 vcc_lo, v[19:20], v[19:20]
	v_ldexp_f64 v[13:14], v[13:14], v27
	s_delay_alu instid0(VALU_DEP_1) | instskip(NEXT) | instid1(VALU_DEP_2)
	v_cndmask_b32_e32 v13, 0, v13, vcc_lo
	v_cndmask_b32_e32 v14, 0x7ff80000, v14, vcc_lo
	s_delay_alu instid0(VALU_DEP_2) | instskip(NEXT) | instid1(VALU_DEP_2)
	v_cndmask_b32_e64 v13, v13, 0, s13
	v_cndmask_b32_e64 v14, v14, 0x7ff00000, s13
	s_and_saveexec_b32 s13, s2
	s_delay_alu instid0(SALU_CYCLE_1)
	s_xor_b32 s2, exec_lo, s13
	s_cbranch_execz .LBB163_230
; %bb.225:
	s_delay_alu instid0(VALU_DEP_1) | instskip(NEXT) | instid1(VALU_DEP_1)
	v_add_f64 v[13:14], v[17:18], v[13:14]
	v_mul_f64 v[13:14], v[13:14], 0.5
	s_delay_alu instid0(VALU_DEP_1) | instskip(SKIP_1) | instid1(VALU_DEP_1)
	v_cmp_gt_f64_e32 vcc_lo, 0x10000000, v[13:14]
	v_cndmask_b32_e64 v15, 0, 1, vcc_lo
	v_lshlrev_b32_e32 v15, 8, v15
	s_delay_alu instid0(VALU_DEP_1) | instskip(NEXT) | instid1(VALU_DEP_1)
	v_ldexp_f64 v[13:14], v[13:14], v15
	v_rsq_f64_e32 v[15:16], v[13:14]
	s_waitcnt_depctr 0xfff
	v_mul_f64 v[17:18], v[13:14], v[15:16]
	v_mul_f64 v[15:16], v[15:16], 0.5
	s_delay_alu instid0(VALU_DEP_1) | instskip(NEXT) | instid1(VALU_DEP_1)
	v_fma_f64 v[22:23], -v[15:16], v[17:18], 0.5
	v_fma_f64 v[17:18], v[17:18], v[22:23], v[17:18]
	v_fma_f64 v[15:16], v[15:16], v[22:23], v[15:16]
	s_delay_alu instid0(VALU_DEP_2) | instskip(NEXT) | instid1(VALU_DEP_1)
	v_fma_f64 v[22:23], -v[17:18], v[17:18], v[13:14]
	v_fma_f64 v[17:18], v[22:23], v[15:16], v[17:18]
	s_delay_alu instid0(VALU_DEP_1) | instskip(NEXT) | instid1(VALU_DEP_1)
	v_fma_f64 v[22:23], -v[17:18], v[17:18], v[13:14]
	v_fma_f64 v[15:16], v[22:23], v[15:16], v[17:18]
	v_cndmask_b32_e64 v17, 0, 0xffffff80, vcc_lo
	v_cmp_class_f64_e64 vcc_lo, v[13:14], 0x260
	s_delay_alu instid0(VALU_DEP_2) | instskip(NEXT) | instid1(VALU_DEP_1)
	v_ldexp_f64 v[15:16], v[15:16], v17
	v_dual_cndmask_b32 v18, v16, v14 :: v_dual_cndmask_b32 v17, v15, v13
	s_delay_alu instid0(VALU_DEP_1) | instskip(NEXT) | instid1(VALU_DEP_1)
	v_add_f64 v[13:14], v[17:18], v[17:18]
	v_div_scale_f64 v[15:16], null, v[13:14], v[13:14], v[19:20]
	s_delay_alu instid0(VALU_DEP_1) | instskip(SKIP_2) | instid1(VALU_DEP_1)
	v_rcp_f64_e32 v[22:23], v[15:16]
	s_waitcnt_depctr 0xfff
	v_fma_f64 v[24:25], -v[15:16], v[22:23], 1.0
	v_fma_f64 v[22:23], v[22:23], v[24:25], v[22:23]
	s_delay_alu instid0(VALU_DEP_1) | instskip(NEXT) | instid1(VALU_DEP_1)
	v_fma_f64 v[24:25], -v[15:16], v[22:23], 1.0
	v_fma_f64 v[22:23], v[22:23], v[24:25], v[22:23]
	v_div_scale_f64 v[24:25], vcc_lo, v[19:20], v[13:14], v[19:20]
	s_delay_alu instid0(VALU_DEP_1) | instskip(NEXT) | instid1(VALU_DEP_1)
	v_mul_f64 v[27:28], v[24:25], v[22:23]
	v_fma_f64 v[15:16], -v[15:16], v[27:28], v[24:25]
	s_delay_alu instid0(VALU_DEP_1) | instskip(NEXT) | instid1(VALU_DEP_1)
	v_div_fmas_f64 v[15:16], v[15:16], v[22:23], v[27:28]
	v_div_fixup_f64 v[19:20], v[15:16], v[13:14], v[19:20]
                                        ; implicit-def: $vgpr13_vgpr14
	s_and_not1_saveexec_b32 s2, s2
	s_cbranch_execnz .LBB163_231
.LBB163_226:
	s_or_b32 exec_lo, exec_lo, s2
	s_and_saveexec_b32 s2, s1
	s_delay_alu instid0(SALU_CYCLE_1)
	s_xor_b32 s1, exec_lo, s2
	s_cbranch_execz .LBB163_232
.LBB163_227:
	s_and_saveexec_b32 s2, s12
; %bb.228:
	s_delay_alu instid0(VALU_DEP_2) | instskip(NEXT) | instid1(VALU_DEP_2)
	v_mul_f64 v[17:18], v[17:18], 0.5
	v_mul_f64 v[19:20], v[19:20], 0.5
; %bb.229:
	s_or_b32 exec_lo, exec_lo, s2
	s_and_not1_saveexec_b32 s1, s1
	s_cbranch_execnz .LBB163_233
	s_branch .LBB163_234
.LBB163_230:
	s_and_not1_saveexec_b32 s2, s2
	s_cbranch_execz .LBB163_226
.LBB163_231:
	v_add_f64 v[13:14], v[13:14], -v[17:18]
	s_delay_alu instid0(VALU_DEP_1) | instskip(NEXT) | instid1(VALU_DEP_1)
	v_mul_f64 v[13:14], v[13:14], 0.5
	v_cmp_gt_f64_e32 vcc_lo, 0x10000000, v[13:14]
	v_cndmask_b32_e64 v15, 0, 1, vcc_lo
	s_delay_alu instid0(VALU_DEP_1) | instskip(NEXT) | instid1(VALU_DEP_1)
	v_lshlrev_b32_e32 v15, 8, v15
	v_ldexp_f64 v[13:14], v[13:14], v15
	s_delay_alu instid0(VALU_DEP_1) | instskip(SKIP_3) | instid1(VALU_DEP_1)
	v_rsq_f64_e32 v[15:16], v[13:14]
	s_waitcnt_depctr 0xfff
	v_mul_f64 v[17:18], v[13:14], v[15:16]
	v_mul_f64 v[15:16], v[15:16], 0.5
	v_fma_f64 v[22:23], -v[15:16], v[17:18], 0.5
	s_delay_alu instid0(VALU_DEP_1) | instskip(SKIP_1) | instid1(VALU_DEP_2)
	v_fma_f64 v[17:18], v[17:18], v[22:23], v[17:18]
	v_fma_f64 v[15:16], v[15:16], v[22:23], v[15:16]
	v_fma_f64 v[22:23], -v[17:18], v[17:18], v[13:14]
	s_delay_alu instid0(VALU_DEP_1) | instskip(NEXT) | instid1(VALU_DEP_1)
	v_fma_f64 v[17:18], v[22:23], v[15:16], v[17:18]
	v_fma_f64 v[22:23], -v[17:18], v[17:18], v[13:14]
	s_delay_alu instid0(VALU_DEP_1) | instskip(SKIP_3) | instid1(VALU_DEP_3)
	v_fma_f64 v[15:16], v[22:23], v[15:16], v[17:18]
	v_cndmask_b32_e64 v17, 0, 0xffffff80, vcc_lo
	v_cmp_class_f64_e64 vcc_lo, v[13:14], 0x260
	v_and_b32_e32 v18, 0x7fffffff, v20
	v_ldexp_f64 v[15:16], v[15:16], v17
	s_delay_alu instid0(VALU_DEP_1) | instskip(NEXT) | instid1(VALU_DEP_1)
	v_dual_cndmask_b32 v14, v16, v14 :: v_dual_cndmask_b32 v13, v15, v13
	v_add_f64 v[15:16], v[13:14], v[13:14]
	v_bfi_b32 v14, 0x7fffffff, v14, v20
	v_mov_b32_e32 v17, v19
	s_delay_alu instid0(VALU_DEP_1) | instskip(SKIP_1) | instid1(VALU_DEP_2)
	v_div_scale_f64 v[22:23], null, v[15:16], v[15:16], v[17:18]
	v_div_scale_f64 v[17:18], vcc_lo, v[17:18], v[15:16], v[17:18]
	v_rcp_f64_e32 v[24:25], v[22:23]
	s_waitcnt_depctr 0xfff
	v_fma_f64 v[27:28], -v[22:23], v[24:25], 1.0
	s_delay_alu instid0(VALU_DEP_1) | instskip(NEXT) | instid1(VALU_DEP_1)
	v_fma_f64 v[24:25], v[24:25], v[27:28], v[24:25]
	v_fma_f64 v[27:28], -v[22:23], v[24:25], 1.0
	s_delay_alu instid0(VALU_DEP_1) | instskip(NEXT) | instid1(VALU_DEP_1)
	v_fma_f64 v[24:25], v[24:25], v[27:28], v[24:25]
	v_mul_f64 v[27:28], v[17:18], v[24:25]
	s_delay_alu instid0(VALU_DEP_1) | instskip(NEXT) | instid1(VALU_DEP_1)
	v_fma_f64 v[17:18], -v[22:23], v[27:28], v[17:18]
	v_div_fmas_f64 v[17:18], v[17:18], v[24:25], v[27:28]
	s_delay_alu instid0(VALU_DEP_1) | instskip(SKIP_3) | instid1(SALU_CYCLE_1)
	v_div_fixup_f64 v[17:18], v[17:18], v[15:16], |v[19:20]|
	v_dual_mov_b32 v20, v14 :: v_dual_mov_b32 v19, v13
	s_or_b32 exec_lo, exec_lo, s2
	s_and_saveexec_b32 s2, s1
	s_xor_b32 s1, exec_lo, s2
	s_cbranch_execnz .LBB163_227
.LBB163_232:
	s_and_not1_saveexec_b32 s1, s1
.LBB163_233:
	s_delay_alu instid0(VALU_DEP_2) | instskip(NEXT) | instid1(VALU_DEP_2)
	v_add_f64 v[17:18], v[17:18], v[17:18]
	v_add_f64 v[19:20], v[19:20], v[19:20]
.LBB163_234:
	s_or_b32 exec_lo, exec_lo, s1
.LBB163_235:
	s_and_not1_saveexec_b32 s1, s11
	s_cbranch_execz .LBB163_241
; %bb.236:
	s_delay_alu instid0(VALU_DEP_1) | instskip(SKIP_1) | instid1(VALU_DEP_3)
	v_add_f64 v[13:14], v[19:20], -v[19:20]
	s_mov_b32 s2, exec_lo
	v_cmpx_lt_i64_e32 -1, v[17:18]
	s_xor_b32 s2, exec_lo, s2
; %bb.237:
	s_delay_alu instid0(VALU_DEP_2) | instskip(NEXT) | instid1(VALU_DEP_1)
	v_bfi_b32 v14, 0x7fffffff, v14, v20
	v_dual_mov_b32 v20, v14 :: v_dual_mov_b32 v19, v13
                                        ; implicit-def: $vgpr13_vgpr14
; %bb.238:
	s_and_not1_saveexec_b32 s2, s2
; %bb.239:
	s_delay_alu instid0(VALU_DEP_1) | instskip(SKIP_1) | instid1(VALU_DEP_2)
	v_bfi_b32 v18, 0x7fffffff, v18, v20
	v_and_b32_e32 v14, 0x7fffffff, v14
	v_dual_mov_b32 v20, v18 :: v_dual_mov_b32 v19, v17
	s_delay_alu instid0(VALU_DEP_2)
	v_dual_mov_b32 v18, v14 :: v_dual_mov_b32 v17, v13
; %bb.240:
	s_or_b32 exec_lo, exec_lo, s2
.LBB163_241:
	s_delay_alu instid0(SALU_CYCLE_1)
	s_or_b32 exec_lo, exec_lo, s1
.LBB163_242:
	s_and_not1_saveexec_b32 s1, s9
; %bb.243:
	s_delay_alu instid0(VALU_DEP_1) | instskip(NEXT) | instid1(VALU_DEP_1)
	v_add_f64 v[13:14], v[19:20], -v[19:20]
	v_div_scale_f64 v[15:16], vcc_lo, v[13:14], v[13:14], v[13:14]
	s_delay_alu instid0(VALU_DEP_1) | instskip(SKIP_2) | instid1(VALU_DEP_1)
	v_rcp_f64_e32 v[19:20], v[15:16]
	s_waitcnt_depctr 0xfff
	v_fma_f64 v[22:23], -v[15:16], v[19:20], 1.0
	v_fma_f64 v[19:20], v[19:20], v[22:23], v[19:20]
	s_delay_alu instid0(VALU_DEP_1) | instskip(NEXT) | instid1(VALU_DEP_1)
	v_fma_f64 v[22:23], -v[15:16], v[19:20], 1.0
	v_fma_f64 v[19:20], v[19:20], v[22:23], v[19:20]
	s_delay_alu instid0(VALU_DEP_1) | instskip(NEXT) | instid1(VALU_DEP_1)
	v_mul_f64 v[22:23], v[15:16], v[19:20]
	v_fma_f64 v[15:16], -v[15:16], v[22:23], v[15:16]
	s_delay_alu instid0(VALU_DEP_1) | instskip(NEXT) | instid1(VALU_DEP_1)
	v_div_fmas_f64 v[15:16], v[15:16], v[19:20], v[22:23]
	v_div_fixup_f64 v[19:20], v[15:16], v[13:14], v[13:14]
; %bb.244:
	s_or_b32 exec_lo, exec_lo, s1
	v_dual_mov_b32 v23, v18 :: v_dual_mov_b32 v22, v17
.LBB163_245:
	s_or_b32 exec_lo, exec_lo, s7
.LBB163_246:
	s_delay_alu instid0(SALU_CYCLE_1) | instskip(NEXT) | instid1(VALU_DEP_1)
	s_or_b32 exec_lo, exec_lo, s6
	v_cmp_gt_f64_e32 vcc_lo, 0, v[22:23]
	s_delay_alu instid0(VALU_DEP_3) | instskip(SKIP_2) | instid1(VALU_DEP_2)
	v_cmp_gt_f64_e64 s1, 0, v[19:20]
	v_xor_b32_e32 v13, 0x80000000, v23
	v_xor_b32_e32 v14, 0x80000000, v20
	v_dual_cndmask_b32 v18, v23, v13 :: v_dual_cndmask_b32 v17, v22, v22
	s_delay_alu instid0(VALU_DEP_2) | instskip(SKIP_2) | instid1(VALU_DEP_1)
	v_cndmask_b32_e64 v25, v20, v14, s1
	v_cndmask_b32_e64 v24, v19, v19, s1
                                        ; implicit-def: $vgpr13_vgpr14
	s_mov_b32 s1, exec_lo
	v_cmpx_ge_f64_e32 v[17:18], v[24:25]
	s_xor_b32 s2, exec_lo, s1
	s_cbranch_execz .LBB163_252
; %bb.247:
	v_cmp_neq_f64_e32 vcc_lo, 0, v[22:23]
	v_cmp_neq_f64_e64 s1, 0, v[19:20]
                                        ; implicit-def: $vgpr13_vgpr14
	s_delay_alu instid0(VALU_DEP_1) | instskip(NEXT) | instid1(SALU_CYCLE_1)
	s_or_b32 s1, vcc_lo, s1
	s_and_saveexec_b32 s6, s1
	s_delay_alu instid0(SALU_CYCLE_1)
	s_xor_b32 s1, exec_lo, s6
	s_cbranch_execz .LBB163_249
; %bb.248:
	v_div_scale_f64 v[13:14], null, v[22:23], v[22:23], v[19:20]
	v_div_scale_f64 v[24:25], vcc_lo, v[19:20], v[22:23], v[19:20]
	s_delay_alu instid0(VALU_DEP_2) | instskip(SKIP_2) | instid1(VALU_DEP_1)
	v_rcp_f64_e32 v[15:16], v[13:14]
	s_waitcnt_depctr 0xfff
	v_fma_f64 v[17:18], -v[13:14], v[15:16], 1.0
	v_fma_f64 v[15:16], v[15:16], v[17:18], v[15:16]
	s_delay_alu instid0(VALU_DEP_1) | instskip(NEXT) | instid1(VALU_DEP_1)
	v_fma_f64 v[17:18], -v[13:14], v[15:16], 1.0
	v_fma_f64 v[15:16], v[15:16], v[17:18], v[15:16]
	s_delay_alu instid0(VALU_DEP_1) | instskip(NEXT) | instid1(VALU_DEP_1)
	v_mul_f64 v[17:18], v[24:25], v[15:16]
	v_fma_f64 v[13:14], -v[13:14], v[17:18], v[24:25]
	s_delay_alu instid0(VALU_DEP_1) | instskip(NEXT) | instid1(VALU_DEP_1)
	v_div_fmas_f64 v[13:14], v[13:14], v[15:16], v[17:18]
	v_div_fixup_f64 v[13:14], v[13:14], v[22:23], v[19:20]
	s_delay_alu instid0(VALU_DEP_1) | instskip(NEXT) | instid1(VALU_DEP_1)
	v_fma_f64 v[15:16], v[19:20], v[13:14], v[22:23]
	v_div_scale_f64 v[17:18], null, v[15:16], v[15:16], 1.0
	v_div_scale_f64 v[24:25], vcc_lo, 1.0, v[15:16], 1.0
	s_delay_alu instid0(VALU_DEP_2) | instskip(SKIP_2) | instid1(VALU_DEP_1)
	v_rcp_f64_e32 v[19:20], v[17:18]
	s_waitcnt_depctr 0xfff
	v_fma_f64 v[22:23], -v[17:18], v[19:20], 1.0
	v_fma_f64 v[19:20], v[19:20], v[22:23], v[19:20]
	s_delay_alu instid0(VALU_DEP_1) | instskip(NEXT) | instid1(VALU_DEP_1)
	v_fma_f64 v[22:23], -v[17:18], v[19:20], 1.0
	v_fma_f64 v[19:20], v[19:20], v[22:23], v[19:20]
	s_delay_alu instid0(VALU_DEP_1) | instskip(NEXT) | instid1(VALU_DEP_1)
	v_mul_f64 v[22:23], v[24:25], v[19:20]
	v_fma_f64 v[17:18], -v[17:18], v[22:23], v[24:25]
                                        ; implicit-def: $vgpr24_vgpr25
	s_delay_alu instid0(VALU_DEP_1) | instskip(SKIP_1) | instid1(VALU_DEP_2)
	v_div_fmas_f64 v[17:18], v[17:18], v[19:20], v[22:23]
	v_fma_f64 v[19:20], v[13:14], 0, 1.0
	v_div_fixup_f64 v[15:16], v[17:18], v[15:16], 1.0
	v_add_f64 v[17:18], -v[13:14], 0
	s_delay_alu instid0(VALU_DEP_2) | instskip(NEXT) | instid1(VALU_DEP_2)
	v_mul_f64 v[13:14], v[19:20], v[15:16]
	v_mul_f64 v[15:16], v[17:18], v[15:16]
                                        ; implicit-def: $vgpr17_vgpr18
.LBB163_249:
	s_and_not1_saveexec_b32 s6, s1
	s_cbranch_execz .LBB163_251
; %bb.250:
	v_div_scale_f64 v[13:14], null, v[17:18], v[17:18], 1.0
	v_div_scale_f64 v[15:16], null, v[24:25], v[24:25], 0
	v_div_scale_f64 v[31:32], vcc_lo, 1.0, v[17:18], 1.0
	s_delay_alu instid0(VALU_DEP_3) | instskip(NEXT) | instid1(VALU_DEP_2)
	v_rcp_f64_e32 v[19:20], v[13:14]
	v_rcp_f64_e32 v[22:23], v[15:16]
	s_waitcnt_depctr 0xfff
	v_fma_f64 v[27:28], -v[13:14], v[19:20], 1.0
	v_fma_f64 v[29:30], -v[15:16], v[22:23], 1.0
	s_delay_alu instid0(VALU_DEP_2) | instskip(NEXT) | instid1(VALU_DEP_2)
	v_fma_f64 v[19:20], v[19:20], v[27:28], v[19:20]
	v_fma_f64 v[22:23], v[22:23], v[29:30], v[22:23]
	s_delay_alu instid0(VALU_DEP_2) | instskip(NEXT) | instid1(VALU_DEP_2)
	v_fma_f64 v[27:28], -v[13:14], v[19:20], 1.0
	v_fma_f64 v[29:30], -v[15:16], v[22:23], 1.0
	s_delay_alu instid0(VALU_DEP_2) | instskip(SKIP_1) | instid1(VALU_DEP_3)
	v_fma_f64 v[19:20], v[19:20], v[27:28], v[19:20]
	v_div_scale_f64 v[27:28], s1, 0, v[24:25], 0
	v_fma_f64 v[22:23], v[22:23], v[29:30], v[22:23]
	s_delay_alu instid0(VALU_DEP_3) | instskip(NEXT) | instid1(VALU_DEP_2)
	v_mul_f64 v[29:30], v[31:32], v[19:20]
	v_mul_f64 v[33:34], v[27:28], v[22:23]
	s_delay_alu instid0(VALU_DEP_2) | instskip(NEXT) | instid1(VALU_DEP_2)
	v_fma_f64 v[13:14], -v[13:14], v[29:30], v[31:32]
	v_fma_f64 v[15:16], -v[15:16], v[33:34], v[27:28]
	s_delay_alu instid0(VALU_DEP_2) | instskip(SKIP_1) | instid1(VALU_DEP_2)
	v_div_fmas_f64 v[13:14], v[13:14], v[19:20], v[29:30]
	s_mov_b32 vcc_lo, s1
	v_div_fmas_f64 v[15:16], v[15:16], v[22:23], v[33:34]
	s_delay_alu instid0(VALU_DEP_2) | instskip(NEXT) | instid1(VALU_DEP_2)
	v_div_fixup_f64 v[13:14], v[13:14], v[17:18], 1.0
	v_div_fixup_f64 v[15:16], v[15:16], v[24:25], 0
.LBB163_251:
	s_or_b32 exec_lo, exec_lo, s6
                                        ; implicit-def: $vgpr19_vgpr20
                                        ; implicit-def: $vgpr22_vgpr23
.LBB163_252:
	s_and_not1_saveexec_b32 s1, s2
	s_cbranch_execz .LBB163_254
; %bb.253:
	v_div_scale_f64 v[13:14], null, v[19:20], v[19:20], v[22:23]
	v_div_scale_f64 v[24:25], vcc_lo, v[22:23], v[19:20], v[22:23]
	s_delay_alu instid0(VALU_DEP_2) | instskip(SKIP_2) | instid1(VALU_DEP_1)
	v_rcp_f64_e32 v[15:16], v[13:14]
	s_waitcnt_depctr 0xfff
	v_fma_f64 v[17:18], -v[13:14], v[15:16], 1.0
	v_fma_f64 v[15:16], v[15:16], v[17:18], v[15:16]
	s_delay_alu instid0(VALU_DEP_1) | instskip(NEXT) | instid1(VALU_DEP_1)
	v_fma_f64 v[17:18], -v[13:14], v[15:16], 1.0
	v_fma_f64 v[15:16], v[15:16], v[17:18], v[15:16]
	s_delay_alu instid0(VALU_DEP_1) | instskip(NEXT) | instid1(VALU_DEP_1)
	v_mul_f64 v[17:18], v[24:25], v[15:16]
	v_fma_f64 v[13:14], -v[13:14], v[17:18], v[24:25]
	s_delay_alu instid0(VALU_DEP_1) | instskip(NEXT) | instid1(VALU_DEP_1)
	v_div_fmas_f64 v[13:14], v[13:14], v[15:16], v[17:18]
	v_div_fixup_f64 v[13:14], v[13:14], v[19:20], v[22:23]
	s_delay_alu instid0(VALU_DEP_1) | instskip(NEXT) | instid1(VALU_DEP_1)
	v_fma_f64 v[15:16], v[22:23], v[13:14], v[19:20]
	v_div_scale_f64 v[17:18], null, v[15:16], v[15:16], 1.0
	v_div_scale_f64 v[24:25], vcc_lo, 1.0, v[15:16], 1.0
	s_delay_alu instid0(VALU_DEP_2) | instskip(SKIP_2) | instid1(VALU_DEP_1)
	v_rcp_f64_e32 v[19:20], v[17:18]
	s_waitcnt_depctr 0xfff
	v_fma_f64 v[22:23], -v[17:18], v[19:20], 1.0
	v_fma_f64 v[19:20], v[19:20], v[22:23], v[19:20]
	s_delay_alu instid0(VALU_DEP_1) | instskip(NEXT) | instid1(VALU_DEP_1)
	v_fma_f64 v[22:23], -v[17:18], v[19:20], 1.0
	v_fma_f64 v[19:20], v[19:20], v[22:23], v[19:20]
	s_delay_alu instid0(VALU_DEP_1) | instskip(NEXT) | instid1(VALU_DEP_1)
	v_mul_f64 v[22:23], v[24:25], v[19:20]
	v_fma_f64 v[17:18], -v[17:18], v[22:23], v[24:25]
	s_delay_alu instid0(VALU_DEP_1) | instskip(SKIP_1) | instid1(VALU_DEP_2)
	v_div_fmas_f64 v[17:18], v[17:18], v[19:20], v[22:23]
	v_add_f64 v[19:20], v[13:14], 0
	v_div_fixup_f64 v[15:16], v[17:18], v[15:16], 1.0
	v_fma_f64 v[17:18], v[13:14], 0, -1.0
	s_delay_alu instid0(VALU_DEP_2) | instskip(NEXT) | instid1(VALU_DEP_2)
	v_mul_f64 v[13:14], v[19:20], v[15:16]
	v_mul_f64 v[15:16], v[17:18], v[15:16]
.LBB163_254:
	s_or_b32 exec_lo, exec_lo, s1
.LBB163_255:
	s_delay_alu instid0(SALU_CYCLE_1) | instskip(SKIP_3) | instid1(VALU_DEP_2)
	s_or_b32 exec_lo, exec_lo, s3
	v_mov_b32_e32 v17, 0
	v_or_b32_e32 v19, 0x200, v0
	v_mov_b32_e32 v18, 0
	v_cmp_gt_i32_e32 vcc_lo, s10, v19
	s_delay_alu instid0(VALU_DEP_2)
	v_dual_mov_b32 v20, v18 :: v_dual_mov_b32 v19, v17
	s_and_saveexec_b32 s3, vcc_lo
	s_cbranch_execz .LBB163_297
; %bb.256:
	v_cmp_neq_f64_e32 vcc_lo, 0, v[9:10]
	v_cmp_neq_f64_e64 s1, 0, v[11:12]
	v_mov_b32_e32 v22, 0
	v_mov_b32_e32 v23, 0
	s_delay_alu instid0(VALU_DEP_3) | instskip(NEXT) | instid1(SALU_CYCLE_1)
	s_or_b32 s1, vcc_lo, s1
	s_and_saveexec_b32 s6, s1
	s_cbranch_execz .LBB163_288
; %bb.257:
	s_mov_b32 s12, 0
	s_mov_b32 s13, 0x7ff00000
	v_mov_b32_e32 v22, s12
	v_mov_b32_e32 v23, s13
	s_mov_b32 s7, exec_lo
	v_cmpx_neq_f64_e64 0x7ff00000, |v[11:12]|
	s_cbranch_execz .LBB163_287
; %bb.258:
	s_mov_b32 s1, exec_lo
	v_cmpx_o_f64_e32 v[9:10], v[9:10]
	s_xor_b32 s9, exec_lo, s1
	s_cbranch_execz .LBB163_284
; %bb.259:
	s_mov_b32 s2, exec_lo
	v_cmpx_neq_f64_e64 0x7ff00000, |v[9:10]|
	s_xor_b32 s11, exec_lo, s2
	s_cbranch_execz .LBB163_277
; %bb.260:
	v_max_f64 v[17:18], |v[11:12]|, |v[11:12]|
	v_max_f64 v[19:20], |v[9:10]|, |v[9:10]|
	s_mov_b32 s12, 0x99fcef32
	s_mov_b32 s13, 0x7fda8279
	s_delay_alu instid0(VALU_DEP_1) | instskip(NEXT) | instid1(VALU_DEP_1)
	v_max_f64 v[17:18], v[19:20], v[17:18]
	v_cmp_nle_f64_e64 s1, s[12:13], v[17:18]
                                        ; implicit-def: $sgpr12
	s_delay_alu instid0(VALU_DEP_1) | instskip(NEXT) | instid1(SALU_CYCLE_1)
	s_and_saveexec_b32 s2, s1
	s_xor_b32 s2, exec_lo, s2
	s_cbranch_execz .LBB163_264
; %bb.261:
	v_cmp_ge_f64_e64 s12, 0x200000, |v[9:10]|
	v_cmp_ge_f64_e64 s13, 0x200000, |v[11:12]|
	s_delay_alu instid0(VALU_DEP_1)
	s_and_b32 s14, s12, s13
	s_mov_b32 s12, 0
	s_and_saveexec_b32 s13, s14
; %bb.262:
	v_mul_f64 v[9:10], v[9:10], 4.0
	v_mul_f64 v[11:12], v[11:12], 4.0
	s_mov_b32 s12, exec_lo
; %bb.263:
	s_or_b32 exec_lo, exec_lo, s13
	s_delay_alu instid0(SALU_CYCLE_1)
	s_and_b32 s12, s12, exec_lo
.LBB163_264:
	s_and_not1_saveexec_b32 s2, s2
; %bb.265:
	s_delay_alu instid0(VALU_DEP_2) | instskip(NEXT) | instid1(VALU_DEP_2)
	v_ldexp_f64 v[9:10], v[9:10], -2
	v_ldexp_f64 v[11:12], v[11:12], -2
	s_and_not1_b32 s12, s12, exec_lo
; %bb.266:
	s_or_b32 exec_lo, exec_lo, s2
	s_delay_alu instid0(VALU_DEP_1) | instskip(NEXT) | instid1(VALU_DEP_3)
	v_max_f64 v[17:18], |v[11:12]|, |v[11:12]|
	v_max_f64 v[19:20], |v[9:10]|, |v[9:10]|
	v_cmp_class_f64_e64 s13, v[9:10], 0x204
	v_cmp_class_f64_e64 s14, v[11:12], 0x204
	v_cmp_le_f64_e64 s2, 0, v[9:10]
	s_delay_alu instid0(VALU_DEP_4) | instskip(NEXT) | instid1(VALU_DEP_3)
	v_max_f64 v[17:18], v[19:20], v[17:18]
	s_or_b32 s13, s14, s13
	s_delay_alu instid0(VALU_DEP_1) | instskip(NEXT) | instid1(VALU_DEP_1)
	v_frexp_exp_i32_f64_e32 v27, v[17:18]
	v_sub_nc_u32_e32 v19, 0, v27
	s_delay_alu instid0(VALU_DEP_1) | instskip(SKIP_1) | instid1(VALU_DEP_2)
	v_ldexp_f64 v[17:18], |v[11:12]|, v19
	v_ldexp_f64 v[19:20], |v[9:10]|, v19
	v_mul_f64 v[17:18], v[17:18], v[17:18]
	s_delay_alu instid0(VALU_DEP_1) | instskip(NEXT) | instid1(VALU_DEP_1)
	v_fma_f64 v[17:18], v[19:20], v[19:20], v[17:18]
	v_rsq_f64_e32 v[19:20], v[17:18]
	v_cmp_eq_f64_e32 vcc_lo, 0, v[17:18]
	s_waitcnt_depctr 0xfff
	v_mul_f64 v[22:23], v[17:18], v[19:20]
	v_mul_f64 v[19:20], v[19:20], 0.5
	s_delay_alu instid0(VALU_DEP_1) | instskip(NEXT) | instid1(VALU_DEP_1)
	v_fma_f64 v[24:25], -v[19:20], v[22:23], 0.5
	v_fma_f64 v[22:23], v[22:23], v[24:25], v[22:23]
	v_fma_f64 v[19:20], v[19:20], v[24:25], v[19:20]
	s_delay_alu instid0(VALU_DEP_2) | instskip(NEXT) | instid1(VALU_DEP_1)
	v_fma_f64 v[24:25], -v[22:23], v[22:23], v[17:18]
	v_fma_f64 v[19:20], v[24:25], v[19:20], v[22:23]
	s_delay_alu instid0(VALU_DEP_1) | instskip(SKIP_1) | instid1(VALU_DEP_2)
	v_dual_cndmask_b32 v18, v20, v18 :: v_dual_cndmask_b32 v17, v19, v17
	v_cmp_o_f64_e32 vcc_lo, v[11:12], v[11:12]
	v_ldexp_f64 v[17:18], v[17:18], v27
	s_delay_alu instid0(VALU_DEP_1) | instskip(NEXT) | instid1(VALU_DEP_2)
	v_cndmask_b32_e32 v17, 0, v17, vcc_lo
	v_cndmask_b32_e32 v18, 0x7ff80000, v18, vcc_lo
	s_delay_alu instid0(VALU_DEP_2) | instskip(NEXT) | instid1(VALU_DEP_2)
	v_cndmask_b32_e64 v17, v17, 0, s13
	v_cndmask_b32_e64 v18, v18, 0x7ff00000, s13
	s_and_saveexec_b32 s13, s2
	s_delay_alu instid0(SALU_CYCLE_1)
	s_xor_b32 s2, exec_lo, s13
	s_cbranch_execz .LBB163_272
; %bb.267:
	s_delay_alu instid0(VALU_DEP_1) | instskip(NEXT) | instid1(VALU_DEP_1)
	v_add_f64 v[9:10], v[9:10], v[17:18]
	v_mul_f64 v[9:10], v[9:10], 0.5
	s_delay_alu instid0(VALU_DEP_1) | instskip(SKIP_1) | instid1(VALU_DEP_1)
	v_cmp_gt_f64_e32 vcc_lo, 0x10000000, v[9:10]
	v_cndmask_b32_e64 v17, 0, 1, vcc_lo
	v_lshlrev_b32_e32 v17, 8, v17
	s_delay_alu instid0(VALU_DEP_1) | instskip(NEXT) | instid1(VALU_DEP_1)
	v_ldexp_f64 v[9:10], v[9:10], v17
	v_rsq_f64_e32 v[17:18], v[9:10]
	s_waitcnt_depctr 0xfff
	v_mul_f64 v[19:20], v[9:10], v[17:18]
	v_mul_f64 v[17:18], v[17:18], 0.5
	s_delay_alu instid0(VALU_DEP_1) | instskip(NEXT) | instid1(VALU_DEP_1)
	v_fma_f64 v[22:23], -v[17:18], v[19:20], 0.5
	v_fma_f64 v[19:20], v[19:20], v[22:23], v[19:20]
	v_fma_f64 v[17:18], v[17:18], v[22:23], v[17:18]
	s_delay_alu instid0(VALU_DEP_2) | instskip(NEXT) | instid1(VALU_DEP_1)
	v_fma_f64 v[22:23], -v[19:20], v[19:20], v[9:10]
	v_fma_f64 v[19:20], v[22:23], v[17:18], v[19:20]
	s_delay_alu instid0(VALU_DEP_1) | instskip(NEXT) | instid1(VALU_DEP_1)
	v_fma_f64 v[22:23], -v[19:20], v[19:20], v[9:10]
	v_fma_f64 v[17:18], v[22:23], v[17:18], v[19:20]
	v_cndmask_b32_e64 v19, 0, 0xffffff80, vcc_lo
	v_cmp_class_f64_e64 vcc_lo, v[9:10], 0x260
	s_delay_alu instid0(VALU_DEP_2) | instskip(NEXT) | instid1(VALU_DEP_1)
	v_ldexp_f64 v[17:18], v[17:18], v19
	v_dual_cndmask_b32 v10, v18, v10 :: v_dual_cndmask_b32 v9, v17, v9
	s_delay_alu instid0(VALU_DEP_1) | instskip(NEXT) | instid1(VALU_DEP_1)
	v_add_f64 v[17:18], v[9:10], v[9:10]
	v_div_scale_f64 v[19:20], null, v[17:18], v[17:18], v[11:12]
	s_delay_alu instid0(VALU_DEP_1) | instskip(SKIP_2) | instid1(VALU_DEP_1)
	v_rcp_f64_e32 v[22:23], v[19:20]
	s_waitcnt_depctr 0xfff
	v_fma_f64 v[24:25], -v[19:20], v[22:23], 1.0
	v_fma_f64 v[22:23], v[22:23], v[24:25], v[22:23]
	s_delay_alu instid0(VALU_DEP_1) | instskip(NEXT) | instid1(VALU_DEP_1)
	v_fma_f64 v[24:25], -v[19:20], v[22:23], 1.0
	v_fma_f64 v[22:23], v[22:23], v[24:25], v[22:23]
	v_div_scale_f64 v[24:25], vcc_lo, v[11:12], v[17:18], v[11:12]
	s_delay_alu instid0(VALU_DEP_1) | instskip(NEXT) | instid1(VALU_DEP_1)
	v_mul_f64 v[27:28], v[24:25], v[22:23]
	v_fma_f64 v[19:20], -v[19:20], v[27:28], v[24:25]
	s_delay_alu instid0(VALU_DEP_1) | instskip(NEXT) | instid1(VALU_DEP_1)
	v_div_fmas_f64 v[19:20], v[19:20], v[22:23], v[27:28]
	v_div_fixup_f64 v[11:12], v[19:20], v[17:18], v[11:12]
                                        ; implicit-def: $vgpr17_vgpr18
	s_and_not1_saveexec_b32 s2, s2
	s_cbranch_execnz .LBB163_273
.LBB163_268:
	s_or_b32 exec_lo, exec_lo, s2
	s_and_saveexec_b32 s2, s1
	s_delay_alu instid0(SALU_CYCLE_1)
	s_xor_b32 s1, exec_lo, s2
	s_cbranch_execz .LBB163_274
.LBB163_269:
	s_and_saveexec_b32 s2, s12
; %bb.270:
	s_delay_alu instid0(VALU_DEP_2) | instskip(NEXT) | instid1(VALU_DEP_2)
	v_mul_f64 v[9:10], v[9:10], 0.5
	v_mul_f64 v[11:12], v[11:12], 0.5
; %bb.271:
	s_or_b32 exec_lo, exec_lo, s2
	s_and_not1_saveexec_b32 s1, s1
	s_cbranch_execnz .LBB163_275
	s_branch .LBB163_276
.LBB163_272:
	s_and_not1_saveexec_b32 s2, s2
	s_cbranch_execz .LBB163_268
.LBB163_273:
	v_add_f64 v[9:10], v[17:18], -v[9:10]
	s_delay_alu instid0(VALU_DEP_1) | instskip(NEXT) | instid1(VALU_DEP_1)
	v_mul_f64 v[9:10], v[9:10], 0.5
	v_cmp_gt_f64_e32 vcc_lo, 0x10000000, v[9:10]
	v_cndmask_b32_e64 v17, 0, 1, vcc_lo
	s_delay_alu instid0(VALU_DEP_1) | instskip(NEXT) | instid1(VALU_DEP_1)
	v_lshlrev_b32_e32 v17, 8, v17
	v_ldexp_f64 v[9:10], v[9:10], v17
	s_delay_alu instid0(VALU_DEP_1) | instskip(SKIP_3) | instid1(VALU_DEP_1)
	v_rsq_f64_e32 v[17:18], v[9:10]
	s_waitcnt_depctr 0xfff
	v_mul_f64 v[19:20], v[9:10], v[17:18]
	v_mul_f64 v[17:18], v[17:18], 0.5
	v_fma_f64 v[22:23], -v[17:18], v[19:20], 0.5
	s_delay_alu instid0(VALU_DEP_1) | instskip(SKIP_1) | instid1(VALU_DEP_2)
	v_fma_f64 v[19:20], v[19:20], v[22:23], v[19:20]
	v_fma_f64 v[17:18], v[17:18], v[22:23], v[17:18]
	v_fma_f64 v[22:23], -v[19:20], v[19:20], v[9:10]
	s_delay_alu instid0(VALU_DEP_1) | instskip(NEXT) | instid1(VALU_DEP_1)
	v_fma_f64 v[19:20], v[22:23], v[17:18], v[19:20]
	v_fma_f64 v[22:23], -v[19:20], v[19:20], v[9:10]
	s_delay_alu instid0(VALU_DEP_1) | instskip(SKIP_3) | instid1(VALU_DEP_3)
	v_fma_f64 v[17:18], v[22:23], v[17:18], v[19:20]
	v_cndmask_b32_e64 v19, 0, 0xffffff80, vcc_lo
	v_cmp_class_f64_e64 vcc_lo, v[9:10], 0x260
	v_and_b32_e32 v20, 0x7fffffff, v12
	v_ldexp_f64 v[17:18], v[17:18], v19
	s_delay_alu instid0(VALU_DEP_1) | instskip(NEXT) | instid1(VALU_DEP_1)
	v_dual_cndmask_b32 v18, v18, v10 :: v_dual_cndmask_b32 v17, v17, v9
	v_add_f64 v[9:10], v[17:18], v[17:18]
	v_bfi_b32 v18, 0x7fffffff, v18, v12
	v_mov_b32_e32 v19, v11
	s_delay_alu instid0(VALU_DEP_1) | instskip(SKIP_1) | instid1(VALU_DEP_2)
	v_div_scale_f64 v[22:23], null, v[9:10], v[9:10], v[19:20]
	v_div_scale_f64 v[19:20], vcc_lo, v[19:20], v[9:10], v[19:20]
	v_rcp_f64_e32 v[24:25], v[22:23]
	s_waitcnt_depctr 0xfff
	v_fma_f64 v[27:28], -v[22:23], v[24:25], 1.0
	s_delay_alu instid0(VALU_DEP_1) | instskip(NEXT) | instid1(VALU_DEP_1)
	v_fma_f64 v[24:25], v[24:25], v[27:28], v[24:25]
	v_fma_f64 v[27:28], -v[22:23], v[24:25], 1.0
	s_delay_alu instid0(VALU_DEP_1) | instskip(NEXT) | instid1(VALU_DEP_1)
	v_fma_f64 v[24:25], v[24:25], v[27:28], v[24:25]
	v_mul_f64 v[27:28], v[19:20], v[24:25]
	s_delay_alu instid0(VALU_DEP_1) | instskip(NEXT) | instid1(VALU_DEP_1)
	v_fma_f64 v[19:20], -v[22:23], v[27:28], v[19:20]
	v_div_fmas_f64 v[19:20], v[19:20], v[24:25], v[27:28]
	s_delay_alu instid0(VALU_DEP_1) | instskip(SKIP_3) | instid1(SALU_CYCLE_1)
	v_div_fixup_f64 v[9:10], v[19:20], v[9:10], |v[11:12]|
	v_dual_mov_b32 v11, v17 :: v_dual_mov_b32 v12, v18
	s_or_b32 exec_lo, exec_lo, s2
	s_and_saveexec_b32 s2, s1
	s_xor_b32 s1, exec_lo, s2
	s_cbranch_execnz .LBB163_269
.LBB163_274:
	s_and_not1_saveexec_b32 s1, s1
.LBB163_275:
	s_delay_alu instid0(VALU_DEP_2) | instskip(NEXT) | instid1(VALU_DEP_2)
	v_add_f64 v[9:10], v[9:10], v[9:10]
	v_add_f64 v[11:12], v[11:12], v[11:12]
.LBB163_276:
	s_or_b32 exec_lo, exec_lo, s1
.LBB163_277:
	s_and_not1_saveexec_b32 s1, s11
	s_cbranch_execz .LBB163_283
; %bb.278:
	s_delay_alu instid0(VALU_DEP_1) | instskip(SKIP_1) | instid1(VALU_DEP_3)
	v_add_f64 v[17:18], v[11:12], -v[11:12]
	s_mov_b32 s2, exec_lo
	v_cmpx_lt_i64_e32 -1, v[9:10]
	s_xor_b32 s2, exec_lo, s2
; %bb.279:
	s_delay_alu instid0(VALU_DEP_2) | instskip(NEXT) | instid1(VALU_DEP_1)
	v_bfi_b32 v18, 0x7fffffff, v18, v12
	v_dual_mov_b32 v11, v17 :: v_dual_mov_b32 v12, v18
                                        ; implicit-def: $vgpr17_vgpr18
; %bb.280:
	s_and_not1_saveexec_b32 s2, s2
; %bb.281:
	s_delay_alu instid0(VALU_DEP_1) | instskip(SKIP_1) | instid1(VALU_DEP_2)
	v_bfi_b32 v10, 0x7fffffff, v10, v12
	v_and_b32_e32 v18, 0x7fffffff, v18
	v_dual_mov_b32 v12, v10 :: v_dual_mov_b32 v11, v9
	s_delay_alu instid0(VALU_DEP_2)
	v_dual_mov_b32 v9, v17 :: v_dual_mov_b32 v10, v18
; %bb.282:
	s_or_b32 exec_lo, exec_lo, s2
.LBB163_283:
	s_delay_alu instid0(SALU_CYCLE_1)
	s_or_b32 exec_lo, exec_lo, s1
.LBB163_284:
	s_and_not1_saveexec_b32 s1, s9
; %bb.285:
	s_delay_alu instid0(VALU_DEP_1) | instskip(NEXT) | instid1(VALU_DEP_1)
	v_add_f64 v[11:12], v[11:12], -v[11:12]
	v_div_scale_f64 v[17:18], vcc_lo, v[11:12], v[11:12], v[11:12]
	s_delay_alu instid0(VALU_DEP_1) | instskip(SKIP_2) | instid1(VALU_DEP_1)
	v_rcp_f64_e32 v[19:20], v[17:18]
	s_waitcnt_depctr 0xfff
	v_fma_f64 v[22:23], -v[17:18], v[19:20], 1.0
	v_fma_f64 v[19:20], v[19:20], v[22:23], v[19:20]
	s_delay_alu instid0(VALU_DEP_1) | instskip(NEXT) | instid1(VALU_DEP_1)
	v_fma_f64 v[22:23], -v[17:18], v[19:20], 1.0
	v_fma_f64 v[19:20], v[19:20], v[22:23], v[19:20]
	s_delay_alu instid0(VALU_DEP_1) | instskip(NEXT) | instid1(VALU_DEP_1)
	v_mul_f64 v[22:23], v[17:18], v[19:20]
	v_fma_f64 v[17:18], -v[17:18], v[22:23], v[17:18]
	s_delay_alu instid0(VALU_DEP_1) | instskip(NEXT) | instid1(VALU_DEP_1)
	v_div_fmas_f64 v[17:18], v[17:18], v[19:20], v[22:23]
	v_div_fixup_f64 v[11:12], v[17:18], v[11:12], v[11:12]
; %bb.286:
	s_or_b32 exec_lo, exec_lo, s1
	v_dual_mov_b32 v23, v10 :: v_dual_mov_b32 v22, v9
.LBB163_287:
	s_or_b32 exec_lo, exec_lo, s7
.LBB163_288:
	s_delay_alu instid0(SALU_CYCLE_1) | instskip(NEXT) | instid1(VALU_DEP_1)
	s_or_b32 exec_lo, exec_lo, s6
	v_cmp_gt_f64_e32 vcc_lo, 0, v[22:23]
	s_delay_alu instid0(VALU_DEP_3) | instskip(SKIP_2) | instid1(VALU_DEP_2)
	v_cmp_gt_f64_e64 s1, 0, v[11:12]
	v_xor_b32_e32 v9, 0x80000000, v23
	v_xor_b32_e32 v17, 0x80000000, v12
	v_dual_cndmask_b32 v10, v23, v9 :: v_dual_cndmask_b32 v9, v22, v22
	s_delay_alu instid0(VALU_DEP_2) | instskip(SKIP_2) | instid1(VALU_DEP_1)
	v_cndmask_b32_e64 v25, v12, v17, s1
	v_cndmask_b32_e64 v24, v11, v11, s1
                                        ; implicit-def: $vgpr17_vgpr18
	s_mov_b32 s1, exec_lo
	v_cmpx_ge_f64_e32 v[9:10], v[24:25]
	s_xor_b32 s2, exec_lo, s1
	s_cbranch_execz .LBB163_294
; %bb.289:
	v_cmp_neq_f64_e32 vcc_lo, 0, v[22:23]
	v_cmp_neq_f64_e64 s1, 0, v[11:12]
                                        ; implicit-def: $vgpr17_vgpr18
	s_delay_alu instid0(VALU_DEP_1) | instskip(NEXT) | instid1(SALU_CYCLE_1)
	s_or_b32 s1, vcc_lo, s1
	s_and_saveexec_b32 s6, s1
	s_delay_alu instid0(SALU_CYCLE_1)
	s_xor_b32 s1, exec_lo, s6
	s_cbranch_execz .LBB163_291
; %bb.290:
	v_div_scale_f64 v[9:10], null, v[22:23], v[22:23], v[11:12]
	v_div_scale_f64 v[24:25], vcc_lo, v[11:12], v[22:23], v[11:12]
	s_delay_alu instid0(VALU_DEP_2) | instskip(SKIP_2) | instid1(VALU_DEP_1)
	v_rcp_f64_e32 v[17:18], v[9:10]
	s_waitcnt_depctr 0xfff
	v_fma_f64 v[19:20], -v[9:10], v[17:18], 1.0
	v_fma_f64 v[17:18], v[17:18], v[19:20], v[17:18]
	s_delay_alu instid0(VALU_DEP_1) | instskip(NEXT) | instid1(VALU_DEP_1)
	v_fma_f64 v[19:20], -v[9:10], v[17:18], 1.0
	v_fma_f64 v[17:18], v[17:18], v[19:20], v[17:18]
	s_delay_alu instid0(VALU_DEP_1) | instskip(NEXT) | instid1(VALU_DEP_1)
	v_mul_f64 v[19:20], v[24:25], v[17:18]
	v_fma_f64 v[9:10], -v[9:10], v[19:20], v[24:25]
	s_delay_alu instid0(VALU_DEP_1) | instskip(NEXT) | instid1(VALU_DEP_1)
	v_div_fmas_f64 v[9:10], v[9:10], v[17:18], v[19:20]
	v_div_fixup_f64 v[9:10], v[9:10], v[22:23], v[11:12]
	s_delay_alu instid0(VALU_DEP_1) | instskip(NEXT) | instid1(VALU_DEP_1)
	v_fma_f64 v[11:12], v[11:12], v[9:10], v[22:23]
	v_div_scale_f64 v[17:18], null, v[11:12], v[11:12], 1.0
	v_div_scale_f64 v[24:25], vcc_lo, 1.0, v[11:12], 1.0
	s_delay_alu instid0(VALU_DEP_2) | instskip(SKIP_2) | instid1(VALU_DEP_1)
	v_rcp_f64_e32 v[19:20], v[17:18]
	s_waitcnt_depctr 0xfff
	v_fma_f64 v[22:23], -v[17:18], v[19:20], 1.0
	v_fma_f64 v[19:20], v[19:20], v[22:23], v[19:20]
	s_delay_alu instid0(VALU_DEP_1) | instskip(NEXT) | instid1(VALU_DEP_1)
	v_fma_f64 v[22:23], -v[17:18], v[19:20], 1.0
	v_fma_f64 v[19:20], v[19:20], v[22:23], v[19:20]
	s_delay_alu instid0(VALU_DEP_1) | instskip(NEXT) | instid1(VALU_DEP_1)
	v_mul_f64 v[22:23], v[24:25], v[19:20]
	v_fma_f64 v[17:18], -v[17:18], v[22:23], v[24:25]
                                        ; implicit-def: $vgpr24_vgpr25
	s_delay_alu instid0(VALU_DEP_1) | instskip(SKIP_2) | instid1(VALU_DEP_3)
	v_div_fmas_f64 v[17:18], v[17:18], v[19:20], v[22:23]
	v_fma_f64 v[19:20], v[9:10], 0, 1.0
	v_add_f64 v[9:10], -v[9:10], 0
	v_div_fixup_f64 v[11:12], v[17:18], v[11:12], 1.0
	s_delay_alu instid0(VALU_DEP_1) | instskip(NEXT) | instid1(VALU_DEP_3)
	v_mul_f64 v[17:18], v[19:20], v[11:12]
	v_mul_f64 v[19:20], v[9:10], v[11:12]
                                        ; implicit-def: $vgpr9_vgpr10
.LBB163_291:
	s_and_not1_saveexec_b32 s6, s1
	s_cbranch_execz .LBB163_293
; %bb.292:
	v_div_scale_f64 v[11:12], null, v[9:10], v[9:10], 1.0
	v_div_scale_f64 v[17:18], null, v[24:25], v[24:25], 0
	v_div_scale_f64 v[31:32], vcc_lo, 1.0, v[9:10], 1.0
	s_delay_alu instid0(VALU_DEP_3) | instskip(NEXT) | instid1(VALU_DEP_2)
	v_rcp_f64_e32 v[19:20], v[11:12]
	v_rcp_f64_e32 v[22:23], v[17:18]
	s_waitcnt_depctr 0xfff
	v_fma_f64 v[27:28], -v[11:12], v[19:20], 1.0
	v_fma_f64 v[29:30], -v[17:18], v[22:23], 1.0
	s_delay_alu instid0(VALU_DEP_2) | instskip(NEXT) | instid1(VALU_DEP_2)
	v_fma_f64 v[19:20], v[19:20], v[27:28], v[19:20]
	v_fma_f64 v[22:23], v[22:23], v[29:30], v[22:23]
	s_delay_alu instid0(VALU_DEP_2) | instskip(NEXT) | instid1(VALU_DEP_2)
	v_fma_f64 v[27:28], -v[11:12], v[19:20], 1.0
	v_fma_f64 v[29:30], -v[17:18], v[22:23], 1.0
	s_delay_alu instid0(VALU_DEP_2) | instskip(SKIP_1) | instid1(VALU_DEP_3)
	v_fma_f64 v[19:20], v[19:20], v[27:28], v[19:20]
	v_div_scale_f64 v[27:28], s1, 0, v[24:25], 0
	v_fma_f64 v[22:23], v[22:23], v[29:30], v[22:23]
	s_delay_alu instid0(VALU_DEP_3) | instskip(NEXT) | instid1(VALU_DEP_2)
	v_mul_f64 v[29:30], v[31:32], v[19:20]
	v_mul_f64 v[33:34], v[27:28], v[22:23]
	s_delay_alu instid0(VALU_DEP_2) | instskip(NEXT) | instid1(VALU_DEP_2)
	v_fma_f64 v[11:12], -v[11:12], v[29:30], v[31:32]
	v_fma_f64 v[17:18], -v[17:18], v[33:34], v[27:28]
	s_delay_alu instid0(VALU_DEP_2) | instskip(SKIP_1) | instid1(VALU_DEP_2)
	v_div_fmas_f64 v[11:12], v[11:12], v[19:20], v[29:30]
	s_mov_b32 vcc_lo, s1
	v_div_fmas_f64 v[19:20], v[17:18], v[22:23], v[33:34]
	s_delay_alu instid0(VALU_DEP_2) | instskip(NEXT) | instid1(VALU_DEP_2)
	v_div_fixup_f64 v[17:18], v[11:12], v[9:10], 1.0
	v_div_fixup_f64 v[19:20], v[19:20], v[24:25], 0
.LBB163_293:
	s_or_b32 exec_lo, exec_lo, s6
                                        ; implicit-def: $vgpr11_vgpr12
                                        ; implicit-def: $vgpr22_vgpr23
.LBB163_294:
	s_and_not1_saveexec_b32 s1, s2
	s_cbranch_execz .LBB163_296
; %bb.295:
	v_div_scale_f64 v[9:10], null, v[11:12], v[11:12], v[22:23]
	v_div_scale_f64 v[24:25], vcc_lo, v[22:23], v[11:12], v[22:23]
	s_delay_alu instid0(VALU_DEP_2) | instskip(SKIP_2) | instid1(VALU_DEP_1)
	v_rcp_f64_e32 v[17:18], v[9:10]
	s_waitcnt_depctr 0xfff
	v_fma_f64 v[19:20], -v[9:10], v[17:18], 1.0
	v_fma_f64 v[17:18], v[17:18], v[19:20], v[17:18]
	s_delay_alu instid0(VALU_DEP_1) | instskip(NEXT) | instid1(VALU_DEP_1)
	v_fma_f64 v[19:20], -v[9:10], v[17:18], 1.0
	v_fma_f64 v[17:18], v[17:18], v[19:20], v[17:18]
	s_delay_alu instid0(VALU_DEP_1) | instskip(NEXT) | instid1(VALU_DEP_1)
	v_mul_f64 v[19:20], v[24:25], v[17:18]
	v_fma_f64 v[9:10], -v[9:10], v[19:20], v[24:25]
	s_delay_alu instid0(VALU_DEP_1) | instskip(NEXT) | instid1(VALU_DEP_1)
	v_div_fmas_f64 v[9:10], v[9:10], v[17:18], v[19:20]
	v_div_fixup_f64 v[9:10], v[9:10], v[11:12], v[22:23]
	s_delay_alu instid0(VALU_DEP_1) | instskip(NEXT) | instid1(VALU_DEP_1)
	v_fma_f64 v[11:12], v[22:23], v[9:10], v[11:12]
	v_div_scale_f64 v[17:18], null, v[11:12], v[11:12], 1.0
	v_div_scale_f64 v[24:25], vcc_lo, 1.0, v[11:12], 1.0
	s_delay_alu instid0(VALU_DEP_2) | instskip(SKIP_2) | instid1(VALU_DEP_1)
	v_rcp_f64_e32 v[19:20], v[17:18]
	s_waitcnt_depctr 0xfff
	v_fma_f64 v[22:23], -v[17:18], v[19:20], 1.0
	v_fma_f64 v[19:20], v[19:20], v[22:23], v[19:20]
	s_delay_alu instid0(VALU_DEP_1) | instskip(NEXT) | instid1(VALU_DEP_1)
	v_fma_f64 v[22:23], -v[17:18], v[19:20], 1.0
	v_fma_f64 v[19:20], v[19:20], v[22:23], v[19:20]
	s_delay_alu instid0(VALU_DEP_1) | instskip(NEXT) | instid1(VALU_DEP_1)
	v_mul_f64 v[22:23], v[24:25], v[19:20]
	v_fma_f64 v[17:18], -v[17:18], v[22:23], v[24:25]
	s_delay_alu instid0(VALU_DEP_1) | instskip(SKIP_2) | instid1(VALU_DEP_3)
	v_div_fmas_f64 v[17:18], v[17:18], v[19:20], v[22:23]
	v_add_f64 v[19:20], v[9:10], 0
	v_fma_f64 v[9:10], v[9:10], 0, -1.0
	v_div_fixup_f64 v[11:12], v[17:18], v[11:12], 1.0
	s_delay_alu instid0(VALU_DEP_1) | instskip(NEXT) | instid1(VALU_DEP_3)
	v_mul_f64 v[17:18], v[19:20], v[11:12]
	v_mul_f64 v[19:20], v[9:10], v[11:12]
.LBB163_296:
	s_or_b32 exec_lo, exec_lo, s1
.LBB163_297:
	s_delay_alu instid0(SALU_CYCLE_1) | instskip(SKIP_3) | instid1(VALU_DEP_2)
	s_or_b32 exec_lo, exec_lo, s3
	v_mov_b32_e32 v9, 0
	v_or_b32_e32 v11, 0x300, v0
	v_mov_b32_e32 v10, 0
	v_cmp_gt_i32_e32 vcc_lo, s10, v11
	s_delay_alu instid0(VALU_DEP_2)
	v_dual_mov_b32 v12, v10 :: v_dual_mov_b32 v11, v9
	s_and_saveexec_b32 s3, vcc_lo
	s_cbranch_execz .LBB163_314
; %bb.298:
	v_cmp_neq_f64_e32 vcc_lo, 0, v[1:2]
	v_cmp_neq_f64_e64 s1, 0, v[3:4]
	v_mov_b32_e32 v22, 0
	v_mov_b32_e32 v23, 0
	s_delay_alu instid0(VALU_DEP_3) | instskip(NEXT) | instid1(SALU_CYCLE_1)
	s_or_b32 s1, vcc_lo, s1
	s_and_saveexec_b32 s6, s1
	s_cbranch_execz .LBB163_334
; %bb.299:
	s_mov_b32 s12, 0
	s_mov_b32 s13, 0x7ff00000
	v_mov_b32_e32 v22, s12
	v_mov_b32_e32 v23, s13
	s_mov_b32 s7, exec_lo
	v_cmpx_neq_f64_e64 0x7ff00000, |v[3:4]|
	s_cbranch_execz .LBB163_333
; %bb.300:
	s_mov_b32 s1, exec_lo
	v_cmpx_o_f64_e32 v[1:2], v[1:2]
	s_xor_b32 s9, exec_lo, s1
	s_cbranch_execz .LBB163_330
; %bb.301:
	s_mov_b32 s2, exec_lo
	v_cmpx_neq_f64_e64 0x7ff00000, |v[1:2]|
	s_xor_b32 s11, exec_lo, s2
	s_cbranch_execz .LBB163_323
; %bb.302:
	v_max_f64 v[9:10], |v[3:4]|, |v[3:4]|
	v_max_f64 v[11:12], |v[1:2]|, |v[1:2]|
	s_mov_b32 s12, 0x99fcef32
	s_mov_b32 s13, 0x7fda8279
	s_delay_alu instid0(VALU_DEP_1) | instskip(NEXT) | instid1(VALU_DEP_1)
	v_max_f64 v[9:10], v[11:12], v[9:10]
	v_cmp_nle_f64_e64 s1, s[12:13], v[9:10]
                                        ; implicit-def: $sgpr12
	s_delay_alu instid0(VALU_DEP_1) | instskip(NEXT) | instid1(SALU_CYCLE_1)
	s_and_saveexec_b32 s2, s1
	s_xor_b32 s2, exec_lo, s2
	s_cbranch_execz .LBB163_306
; %bb.303:
	v_cmp_ge_f64_e64 s12, 0x200000, |v[1:2]|
	v_cmp_ge_f64_e64 s13, 0x200000, |v[3:4]|
	s_delay_alu instid0(VALU_DEP_1)
	s_and_b32 s14, s12, s13
	s_mov_b32 s12, 0
	s_and_saveexec_b32 s13, s14
; %bb.304:
	v_mul_f64 v[1:2], v[1:2], 4.0
	v_mul_f64 v[3:4], v[3:4], 4.0
	s_mov_b32 s12, exec_lo
; %bb.305:
	s_or_b32 exec_lo, exec_lo, s13
	s_delay_alu instid0(SALU_CYCLE_1)
	s_and_b32 s12, s12, exec_lo
.LBB163_306:
	s_and_not1_saveexec_b32 s2, s2
; %bb.307:
	s_delay_alu instid0(VALU_DEP_2) | instskip(NEXT) | instid1(VALU_DEP_2)
	v_ldexp_f64 v[1:2], v[1:2], -2
	v_ldexp_f64 v[3:4], v[3:4], -2
	s_and_not1_b32 s12, s12, exec_lo
; %bb.308:
	s_or_b32 exec_lo, exec_lo, s2
	s_delay_alu instid0(VALU_DEP_1) | instskip(NEXT) | instid1(VALU_DEP_3)
	v_max_f64 v[9:10], |v[3:4]|, |v[3:4]|
	v_max_f64 v[11:12], |v[1:2]|, |v[1:2]|
	v_cmp_class_f64_e64 s13, v[1:2], 0x204
	v_cmp_class_f64_e64 s14, v[3:4], 0x204
	v_cmp_le_f64_e64 s2, 0, v[1:2]
	s_delay_alu instid0(VALU_DEP_4) | instskip(NEXT) | instid1(VALU_DEP_3)
	v_max_f64 v[9:10], v[11:12], v[9:10]
	s_or_b32 s13, s14, s13
	s_delay_alu instid0(VALU_DEP_1) | instskip(NEXT) | instid1(VALU_DEP_1)
	v_frexp_exp_i32_f64_e32 v27, v[9:10]
	v_sub_nc_u32_e32 v11, 0, v27
	s_delay_alu instid0(VALU_DEP_1) | instskip(SKIP_1) | instid1(VALU_DEP_2)
	v_ldexp_f64 v[9:10], |v[3:4]|, v11
	v_ldexp_f64 v[11:12], |v[1:2]|, v11
	v_mul_f64 v[9:10], v[9:10], v[9:10]
	s_delay_alu instid0(VALU_DEP_1) | instskip(NEXT) | instid1(VALU_DEP_1)
	v_fma_f64 v[9:10], v[11:12], v[11:12], v[9:10]
	v_rsq_f64_e32 v[11:12], v[9:10]
	v_cmp_eq_f64_e32 vcc_lo, 0, v[9:10]
	s_waitcnt_depctr 0xfff
	v_mul_f64 v[22:23], v[9:10], v[11:12]
	v_mul_f64 v[11:12], v[11:12], 0.5
	s_delay_alu instid0(VALU_DEP_1) | instskip(NEXT) | instid1(VALU_DEP_1)
	v_fma_f64 v[24:25], -v[11:12], v[22:23], 0.5
	v_fma_f64 v[22:23], v[22:23], v[24:25], v[22:23]
	v_fma_f64 v[11:12], v[11:12], v[24:25], v[11:12]
	s_delay_alu instid0(VALU_DEP_2) | instskip(NEXT) | instid1(VALU_DEP_1)
	v_fma_f64 v[24:25], -v[22:23], v[22:23], v[9:10]
	v_fma_f64 v[11:12], v[24:25], v[11:12], v[22:23]
	s_delay_alu instid0(VALU_DEP_1) | instskip(SKIP_1) | instid1(VALU_DEP_2)
	v_dual_cndmask_b32 v10, v12, v10 :: v_dual_cndmask_b32 v9, v11, v9
	v_cmp_o_f64_e32 vcc_lo, v[3:4], v[3:4]
	v_ldexp_f64 v[9:10], v[9:10], v27
	s_delay_alu instid0(VALU_DEP_1) | instskip(NEXT) | instid1(VALU_DEP_2)
	v_cndmask_b32_e32 v9, 0, v9, vcc_lo
	v_cndmask_b32_e32 v10, 0x7ff80000, v10, vcc_lo
	s_delay_alu instid0(VALU_DEP_2) | instskip(NEXT) | instid1(VALU_DEP_2)
	v_cndmask_b32_e64 v9, v9, 0, s13
	v_cndmask_b32_e64 v10, v10, 0x7ff00000, s13
	s_and_saveexec_b32 s13, s2
	s_delay_alu instid0(SALU_CYCLE_1)
	s_xor_b32 s2, exec_lo, s13
	s_cbranch_execz .LBB163_318
; %bb.309:
	s_delay_alu instid0(VALU_DEP_1) | instskip(NEXT) | instid1(VALU_DEP_1)
	v_add_f64 v[1:2], v[1:2], v[9:10]
	v_mul_f64 v[1:2], v[1:2], 0.5
	s_delay_alu instid0(VALU_DEP_1) | instskip(SKIP_1) | instid1(VALU_DEP_1)
	v_cmp_gt_f64_e32 vcc_lo, 0x10000000, v[1:2]
	v_cndmask_b32_e64 v9, 0, 1, vcc_lo
	v_lshlrev_b32_e32 v9, 8, v9
	s_delay_alu instid0(VALU_DEP_1) | instskip(NEXT) | instid1(VALU_DEP_1)
	v_ldexp_f64 v[1:2], v[1:2], v9
	v_rsq_f64_e32 v[9:10], v[1:2]
	s_waitcnt_depctr 0xfff
	v_mul_f64 v[11:12], v[1:2], v[9:10]
	v_mul_f64 v[9:10], v[9:10], 0.5
	s_delay_alu instid0(VALU_DEP_1) | instskip(NEXT) | instid1(VALU_DEP_1)
	v_fma_f64 v[22:23], -v[9:10], v[11:12], 0.5
	v_fma_f64 v[11:12], v[11:12], v[22:23], v[11:12]
	v_fma_f64 v[9:10], v[9:10], v[22:23], v[9:10]
	s_delay_alu instid0(VALU_DEP_2) | instskip(NEXT) | instid1(VALU_DEP_1)
	v_fma_f64 v[22:23], -v[11:12], v[11:12], v[1:2]
	v_fma_f64 v[11:12], v[22:23], v[9:10], v[11:12]
	s_delay_alu instid0(VALU_DEP_1) | instskip(NEXT) | instid1(VALU_DEP_1)
	v_fma_f64 v[22:23], -v[11:12], v[11:12], v[1:2]
	v_fma_f64 v[9:10], v[22:23], v[9:10], v[11:12]
	v_cndmask_b32_e64 v11, 0, 0xffffff80, vcc_lo
	v_cmp_class_f64_e64 vcc_lo, v[1:2], 0x260
	s_delay_alu instid0(VALU_DEP_2) | instskip(NEXT) | instid1(VALU_DEP_1)
	v_ldexp_f64 v[9:10], v[9:10], v11
	v_dual_cndmask_b32 v2, v10, v2 :: v_dual_cndmask_b32 v1, v9, v1
	s_delay_alu instid0(VALU_DEP_1) | instskip(NEXT) | instid1(VALU_DEP_1)
	v_add_f64 v[9:10], v[1:2], v[1:2]
	v_div_scale_f64 v[11:12], null, v[9:10], v[9:10], v[3:4]
	s_delay_alu instid0(VALU_DEP_1) | instskip(SKIP_2) | instid1(VALU_DEP_1)
	v_rcp_f64_e32 v[22:23], v[11:12]
	s_waitcnt_depctr 0xfff
	v_fma_f64 v[24:25], -v[11:12], v[22:23], 1.0
	v_fma_f64 v[22:23], v[22:23], v[24:25], v[22:23]
	s_delay_alu instid0(VALU_DEP_1) | instskip(NEXT) | instid1(VALU_DEP_1)
	v_fma_f64 v[24:25], -v[11:12], v[22:23], 1.0
	v_fma_f64 v[22:23], v[22:23], v[24:25], v[22:23]
	v_div_scale_f64 v[24:25], vcc_lo, v[3:4], v[9:10], v[3:4]
	s_delay_alu instid0(VALU_DEP_1) | instskip(NEXT) | instid1(VALU_DEP_1)
	v_mul_f64 v[27:28], v[24:25], v[22:23]
	v_fma_f64 v[11:12], -v[11:12], v[27:28], v[24:25]
	s_delay_alu instid0(VALU_DEP_1) | instskip(NEXT) | instid1(VALU_DEP_1)
	v_div_fmas_f64 v[11:12], v[11:12], v[22:23], v[27:28]
	v_div_fixup_f64 v[3:4], v[11:12], v[9:10], v[3:4]
                                        ; implicit-def: $vgpr9_vgpr10
	s_and_not1_saveexec_b32 s2, s2
	s_cbranch_execnz .LBB163_319
.LBB163_310:
	s_or_b32 exec_lo, exec_lo, s2
	s_and_saveexec_b32 s2, s1
	s_delay_alu instid0(SALU_CYCLE_1)
	s_xor_b32 s1, exec_lo, s2
	s_cbranch_execz .LBB163_320
.LBB163_311:
	s_and_saveexec_b32 s2, s12
; %bb.312:
	s_delay_alu instid0(VALU_DEP_2) | instskip(NEXT) | instid1(VALU_DEP_2)
	v_mul_f64 v[1:2], v[1:2], 0.5
	v_mul_f64 v[3:4], v[3:4], 0.5
; %bb.313:
	s_or_b32 exec_lo, exec_lo, s2
	s_and_not1_saveexec_b32 s1, s1
	s_cbranch_execnz .LBB163_321
	s_branch .LBB163_322
.LBB163_314:
	s_or_b32 exec_lo, exec_lo, s3
	s_and_saveexec_b32 s1, s0
	s_delay_alu instid0(SALU_CYCLE_1)
	s_xor_b32 s0, exec_lo, s1
	s_cbranch_execz .LBB163_343
.LBB163_315:
	v_mov_b32_e32 v22, 0
	s_delay_alu instid0(VALU_DEP_1) | instskip(NEXT) | instid1(VALU_DEP_1)
	v_lshlrev_b64 v[0:1], 4, v[21:22]
	v_add_co_u32 v2, vcc_lo, s4, v0
	s_delay_alu instid0(VALU_DEP_2) | instskip(SKIP_3) | instid1(SALU_CYCLE_1)
	v_add_co_ci_u32_e32 v3, vcc_lo, s5, v1, vcc_lo
	v_mov_b32_e32 v0, v26
	global_store_b128 v[2:3], v[5:8], off
	s_or_b32 exec_lo, exec_lo, s0
	s_mov_b32 s0, exec_lo
	v_cmpx_gt_i32_e64 s10, v0
	s_cbranch_execnz .LBB163_344
.LBB163_316:
	s_or_b32 exec_lo, exec_lo, s0
	s_delay_alu instid0(SALU_CYCLE_1)
	s_mov_b32 s0, exec_lo
	v_cmpx_gt_i32_e64 s10, v0
	s_cbranch_execz .LBB163_345
.LBB163_317:
	v_dual_mov_b32 v2, 0 :: v_dual_add_nc_u32 v1, s8, v0
	v_add_nc_u32_e32 v0, 0x100, v0
	s_delay_alu instid0(VALU_DEP_2) | instskip(NEXT) | instid1(VALU_DEP_1)
	v_lshlrev_b64 v[1:2], 4, v[1:2]
	v_add_co_u32 v1, vcc_lo, s4, v1
	s_delay_alu instid0(VALU_DEP_2) | instskip(SKIP_2) | instid1(SALU_CYCLE_1)
	v_add_co_ci_u32_e32 v2, vcc_lo, s5, v2, vcc_lo
	global_store_b128 v[1:2], v[17:20], off
	s_or_b32 exec_lo, exec_lo, s0
	s_mov_b32 s0, exec_lo
	v_cmpx_gt_i32_e64 s10, v0
	s_cbranch_execnz .LBB163_346
	s_branch .LBB163_347
.LBB163_318:
	s_and_not1_saveexec_b32 s2, s2
	s_cbranch_execz .LBB163_310
.LBB163_319:
	v_add_f64 v[1:2], v[9:10], -v[1:2]
	s_delay_alu instid0(VALU_DEP_1) | instskip(NEXT) | instid1(VALU_DEP_1)
	v_mul_f64 v[1:2], v[1:2], 0.5
	v_cmp_gt_f64_e32 vcc_lo, 0x10000000, v[1:2]
	v_cndmask_b32_e64 v9, 0, 1, vcc_lo
	s_delay_alu instid0(VALU_DEP_1) | instskip(NEXT) | instid1(VALU_DEP_1)
	v_lshlrev_b32_e32 v9, 8, v9
	v_ldexp_f64 v[1:2], v[1:2], v9
	s_delay_alu instid0(VALU_DEP_1) | instskip(SKIP_3) | instid1(VALU_DEP_1)
	v_rsq_f64_e32 v[9:10], v[1:2]
	s_waitcnt_depctr 0xfff
	v_mul_f64 v[11:12], v[1:2], v[9:10]
	v_mul_f64 v[9:10], v[9:10], 0.5
	v_fma_f64 v[22:23], -v[9:10], v[11:12], 0.5
	s_delay_alu instid0(VALU_DEP_1) | instskip(SKIP_1) | instid1(VALU_DEP_2)
	v_fma_f64 v[11:12], v[11:12], v[22:23], v[11:12]
	v_fma_f64 v[9:10], v[9:10], v[22:23], v[9:10]
	v_fma_f64 v[22:23], -v[11:12], v[11:12], v[1:2]
	s_delay_alu instid0(VALU_DEP_1) | instskip(NEXT) | instid1(VALU_DEP_1)
	v_fma_f64 v[11:12], v[22:23], v[9:10], v[11:12]
	v_fma_f64 v[22:23], -v[11:12], v[11:12], v[1:2]
	s_delay_alu instid0(VALU_DEP_1) | instskip(SKIP_3) | instid1(VALU_DEP_3)
	v_fma_f64 v[9:10], v[22:23], v[9:10], v[11:12]
	v_cndmask_b32_e64 v11, 0, 0xffffff80, vcc_lo
	v_cmp_class_f64_e64 vcc_lo, v[1:2], 0x260
	v_and_b32_e32 v12, 0x7fffffff, v4
	v_ldexp_f64 v[9:10], v[9:10], v11
	s_delay_alu instid0(VALU_DEP_1) | instskip(NEXT) | instid1(VALU_DEP_1)
	v_dual_cndmask_b32 v10, v10, v2 :: v_dual_cndmask_b32 v9, v9, v1
	v_add_f64 v[1:2], v[9:10], v[9:10]
	v_bfi_b32 v10, 0x7fffffff, v10, v4
	v_mov_b32_e32 v11, v3
	s_delay_alu instid0(VALU_DEP_1) | instskip(SKIP_1) | instid1(VALU_DEP_2)
	v_div_scale_f64 v[22:23], null, v[1:2], v[1:2], v[11:12]
	v_div_scale_f64 v[11:12], vcc_lo, v[11:12], v[1:2], v[11:12]
	v_rcp_f64_e32 v[24:25], v[22:23]
	s_waitcnt_depctr 0xfff
	v_fma_f64 v[27:28], -v[22:23], v[24:25], 1.0
	s_delay_alu instid0(VALU_DEP_1) | instskip(NEXT) | instid1(VALU_DEP_1)
	v_fma_f64 v[24:25], v[24:25], v[27:28], v[24:25]
	v_fma_f64 v[27:28], -v[22:23], v[24:25], 1.0
	s_delay_alu instid0(VALU_DEP_1) | instskip(NEXT) | instid1(VALU_DEP_1)
	v_fma_f64 v[24:25], v[24:25], v[27:28], v[24:25]
	v_mul_f64 v[27:28], v[11:12], v[24:25]
	s_delay_alu instid0(VALU_DEP_1) | instskip(NEXT) | instid1(VALU_DEP_1)
	v_fma_f64 v[11:12], -v[22:23], v[27:28], v[11:12]
	v_div_fmas_f64 v[11:12], v[11:12], v[24:25], v[27:28]
	s_delay_alu instid0(VALU_DEP_1) | instskip(SKIP_3) | instid1(SALU_CYCLE_1)
	v_div_fixup_f64 v[1:2], v[11:12], v[1:2], |v[3:4]|
	v_dual_mov_b32 v3, v9 :: v_dual_mov_b32 v4, v10
	s_or_b32 exec_lo, exec_lo, s2
	s_and_saveexec_b32 s2, s1
	s_xor_b32 s1, exec_lo, s2
	s_cbranch_execnz .LBB163_311
.LBB163_320:
	s_and_not1_saveexec_b32 s1, s1
.LBB163_321:
	s_delay_alu instid0(VALU_DEP_2) | instskip(NEXT) | instid1(VALU_DEP_2)
	v_add_f64 v[1:2], v[1:2], v[1:2]
	v_add_f64 v[3:4], v[3:4], v[3:4]
.LBB163_322:
	s_or_b32 exec_lo, exec_lo, s1
.LBB163_323:
	s_and_not1_saveexec_b32 s1, s11
	s_cbranch_execz .LBB163_329
; %bb.324:
	s_delay_alu instid0(VALU_DEP_1) | instskip(SKIP_1) | instid1(VALU_DEP_3)
	v_add_f64 v[9:10], v[3:4], -v[3:4]
	s_mov_b32 s2, exec_lo
	v_cmpx_lt_i64_e32 -1, v[1:2]
	s_xor_b32 s2, exec_lo, s2
; %bb.325:
	s_delay_alu instid0(VALU_DEP_2) | instskip(NEXT) | instid1(VALU_DEP_1)
	v_bfi_b32 v10, 0x7fffffff, v10, v4
	v_dual_mov_b32 v3, v9 :: v_dual_mov_b32 v4, v10
                                        ; implicit-def: $vgpr9_vgpr10
; %bb.326:
	s_and_not1_saveexec_b32 s2, s2
; %bb.327:
	s_delay_alu instid0(VALU_DEP_1) | instskip(SKIP_1) | instid1(VALU_DEP_2)
	v_bfi_b32 v2, 0x7fffffff, v2, v4
	v_and_b32_e32 v10, 0x7fffffff, v10
	v_dual_mov_b32 v4, v2 :: v_dual_mov_b32 v3, v1
	s_delay_alu instid0(VALU_DEP_2)
	v_dual_mov_b32 v1, v9 :: v_dual_mov_b32 v2, v10
; %bb.328:
	s_or_b32 exec_lo, exec_lo, s2
.LBB163_329:
	s_delay_alu instid0(SALU_CYCLE_1)
	s_or_b32 exec_lo, exec_lo, s1
.LBB163_330:
	s_and_not1_saveexec_b32 s1, s9
; %bb.331:
	s_delay_alu instid0(VALU_DEP_1) | instskip(NEXT) | instid1(VALU_DEP_1)
	v_add_f64 v[3:4], v[3:4], -v[3:4]
	v_div_scale_f64 v[9:10], vcc_lo, v[3:4], v[3:4], v[3:4]
	s_delay_alu instid0(VALU_DEP_1) | instskip(SKIP_2) | instid1(VALU_DEP_1)
	v_rcp_f64_e32 v[11:12], v[9:10]
	s_waitcnt_depctr 0xfff
	v_fma_f64 v[22:23], -v[9:10], v[11:12], 1.0
	v_fma_f64 v[11:12], v[11:12], v[22:23], v[11:12]
	s_delay_alu instid0(VALU_DEP_1) | instskip(NEXT) | instid1(VALU_DEP_1)
	v_fma_f64 v[22:23], -v[9:10], v[11:12], 1.0
	v_fma_f64 v[11:12], v[11:12], v[22:23], v[11:12]
	s_delay_alu instid0(VALU_DEP_1) | instskip(NEXT) | instid1(VALU_DEP_1)
	v_mul_f64 v[22:23], v[9:10], v[11:12]
	v_fma_f64 v[9:10], -v[9:10], v[22:23], v[9:10]
	s_delay_alu instid0(VALU_DEP_1) | instskip(NEXT) | instid1(VALU_DEP_1)
	v_div_fmas_f64 v[9:10], v[9:10], v[11:12], v[22:23]
	v_div_fixup_f64 v[3:4], v[9:10], v[3:4], v[3:4]
; %bb.332:
	s_or_b32 exec_lo, exec_lo, s1
	v_dual_mov_b32 v23, v2 :: v_dual_mov_b32 v22, v1
.LBB163_333:
	s_or_b32 exec_lo, exec_lo, s7
.LBB163_334:
	s_delay_alu instid0(SALU_CYCLE_1) | instskip(NEXT) | instid1(VALU_DEP_1)
	s_or_b32 exec_lo, exec_lo, s6
	v_cmp_gt_f64_e32 vcc_lo, 0, v[22:23]
	s_delay_alu instid0(VALU_DEP_3) | instskip(SKIP_2) | instid1(VALU_DEP_2)
	v_cmp_gt_f64_e64 s1, 0, v[3:4]
	v_xor_b32_e32 v1, 0x80000000, v23
	v_xor_b32_e32 v9, 0x80000000, v4
	v_dual_cndmask_b32 v2, v23, v1 :: v_dual_cndmask_b32 v1, v22, v22
	s_delay_alu instid0(VALU_DEP_2) | instskip(SKIP_2) | instid1(VALU_DEP_1)
	v_cndmask_b32_e64 v25, v4, v9, s1
	v_cndmask_b32_e64 v24, v3, v3, s1
                                        ; implicit-def: $vgpr9_vgpr10
	s_mov_b32 s1, exec_lo
	v_cmpx_ge_f64_e32 v[1:2], v[24:25]
	s_xor_b32 s2, exec_lo, s1
	s_cbranch_execz .LBB163_340
; %bb.335:
	v_cmp_neq_f64_e32 vcc_lo, 0, v[22:23]
	v_cmp_neq_f64_e64 s1, 0, v[3:4]
                                        ; implicit-def: $vgpr9_vgpr10
	s_delay_alu instid0(VALU_DEP_1) | instskip(NEXT) | instid1(SALU_CYCLE_1)
	s_or_b32 s1, vcc_lo, s1
	s_and_saveexec_b32 s6, s1
	s_delay_alu instid0(SALU_CYCLE_1)
	s_xor_b32 s1, exec_lo, s6
	s_cbranch_execz .LBB163_337
; %bb.336:
	v_div_scale_f64 v[1:2], null, v[22:23], v[22:23], v[3:4]
	v_div_scale_f64 v[24:25], vcc_lo, v[3:4], v[22:23], v[3:4]
	s_delay_alu instid0(VALU_DEP_2) | instskip(SKIP_2) | instid1(VALU_DEP_1)
	v_rcp_f64_e32 v[9:10], v[1:2]
	s_waitcnt_depctr 0xfff
	v_fma_f64 v[11:12], -v[1:2], v[9:10], 1.0
	v_fma_f64 v[9:10], v[9:10], v[11:12], v[9:10]
	s_delay_alu instid0(VALU_DEP_1) | instskip(NEXT) | instid1(VALU_DEP_1)
	v_fma_f64 v[11:12], -v[1:2], v[9:10], 1.0
	v_fma_f64 v[9:10], v[9:10], v[11:12], v[9:10]
	s_delay_alu instid0(VALU_DEP_1) | instskip(NEXT) | instid1(VALU_DEP_1)
	v_mul_f64 v[11:12], v[24:25], v[9:10]
	v_fma_f64 v[1:2], -v[1:2], v[11:12], v[24:25]
	s_delay_alu instid0(VALU_DEP_1) | instskip(NEXT) | instid1(VALU_DEP_1)
	v_div_fmas_f64 v[1:2], v[1:2], v[9:10], v[11:12]
	v_div_fixup_f64 v[1:2], v[1:2], v[22:23], v[3:4]
	s_delay_alu instid0(VALU_DEP_1) | instskip(NEXT) | instid1(VALU_DEP_1)
	v_fma_f64 v[3:4], v[3:4], v[1:2], v[22:23]
	v_div_scale_f64 v[9:10], null, v[3:4], v[3:4], 1.0
	v_div_scale_f64 v[24:25], vcc_lo, 1.0, v[3:4], 1.0
	s_delay_alu instid0(VALU_DEP_2) | instskip(SKIP_2) | instid1(VALU_DEP_1)
	v_rcp_f64_e32 v[11:12], v[9:10]
	s_waitcnt_depctr 0xfff
	v_fma_f64 v[22:23], -v[9:10], v[11:12], 1.0
	v_fma_f64 v[11:12], v[11:12], v[22:23], v[11:12]
	s_delay_alu instid0(VALU_DEP_1) | instskip(NEXT) | instid1(VALU_DEP_1)
	v_fma_f64 v[22:23], -v[9:10], v[11:12], 1.0
	v_fma_f64 v[11:12], v[11:12], v[22:23], v[11:12]
	s_delay_alu instid0(VALU_DEP_1) | instskip(NEXT) | instid1(VALU_DEP_1)
	v_mul_f64 v[22:23], v[24:25], v[11:12]
	v_fma_f64 v[9:10], -v[9:10], v[22:23], v[24:25]
                                        ; implicit-def: $vgpr24_vgpr25
	s_delay_alu instid0(VALU_DEP_1) | instskip(SKIP_2) | instid1(VALU_DEP_3)
	v_div_fmas_f64 v[9:10], v[9:10], v[11:12], v[22:23]
	v_fma_f64 v[11:12], v[1:2], 0, 1.0
	v_add_f64 v[1:2], -v[1:2], 0
	v_div_fixup_f64 v[3:4], v[9:10], v[3:4], 1.0
	s_delay_alu instid0(VALU_DEP_1) | instskip(NEXT) | instid1(VALU_DEP_3)
	v_mul_f64 v[9:10], v[11:12], v[3:4]
	v_mul_f64 v[11:12], v[1:2], v[3:4]
                                        ; implicit-def: $vgpr1_vgpr2
.LBB163_337:
	s_and_not1_saveexec_b32 s6, s1
	s_cbranch_execz .LBB163_339
; %bb.338:
	v_div_scale_f64 v[3:4], null, v[1:2], v[1:2], 1.0
	v_div_scale_f64 v[9:10], null, v[24:25], v[24:25], 0
	v_div_scale_f64 v[31:32], vcc_lo, 1.0, v[1:2], 1.0
	s_delay_alu instid0(VALU_DEP_3) | instskip(NEXT) | instid1(VALU_DEP_2)
	v_rcp_f64_e32 v[11:12], v[3:4]
	v_rcp_f64_e32 v[22:23], v[9:10]
	s_waitcnt_depctr 0xfff
	v_fma_f64 v[27:28], -v[3:4], v[11:12], 1.0
	v_fma_f64 v[29:30], -v[9:10], v[22:23], 1.0
	s_delay_alu instid0(VALU_DEP_2) | instskip(NEXT) | instid1(VALU_DEP_2)
	v_fma_f64 v[11:12], v[11:12], v[27:28], v[11:12]
	v_fma_f64 v[22:23], v[22:23], v[29:30], v[22:23]
	s_delay_alu instid0(VALU_DEP_2) | instskip(NEXT) | instid1(VALU_DEP_2)
	v_fma_f64 v[27:28], -v[3:4], v[11:12], 1.0
	v_fma_f64 v[29:30], -v[9:10], v[22:23], 1.0
	s_delay_alu instid0(VALU_DEP_2) | instskip(SKIP_1) | instid1(VALU_DEP_3)
	v_fma_f64 v[11:12], v[11:12], v[27:28], v[11:12]
	v_div_scale_f64 v[27:28], s1, 0, v[24:25], 0
	v_fma_f64 v[22:23], v[22:23], v[29:30], v[22:23]
	s_delay_alu instid0(VALU_DEP_3) | instskip(NEXT) | instid1(VALU_DEP_2)
	v_mul_f64 v[29:30], v[31:32], v[11:12]
	v_mul_f64 v[33:34], v[27:28], v[22:23]
	s_delay_alu instid0(VALU_DEP_2) | instskip(NEXT) | instid1(VALU_DEP_2)
	v_fma_f64 v[3:4], -v[3:4], v[29:30], v[31:32]
	v_fma_f64 v[9:10], -v[9:10], v[33:34], v[27:28]
	s_delay_alu instid0(VALU_DEP_2) | instskip(SKIP_1) | instid1(VALU_DEP_2)
	v_div_fmas_f64 v[3:4], v[3:4], v[11:12], v[29:30]
	s_mov_b32 vcc_lo, s1
	v_div_fmas_f64 v[11:12], v[9:10], v[22:23], v[33:34]
	s_delay_alu instid0(VALU_DEP_2) | instskip(NEXT) | instid1(VALU_DEP_2)
	v_div_fixup_f64 v[9:10], v[3:4], v[1:2], 1.0
	v_div_fixup_f64 v[11:12], v[11:12], v[24:25], 0
.LBB163_339:
	s_or_b32 exec_lo, exec_lo, s6
                                        ; implicit-def: $vgpr3_vgpr4
                                        ; implicit-def: $vgpr22_vgpr23
.LBB163_340:
	s_and_not1_saveexec_b32 s1, s2
	s_cbranch_execz .LBB163_342
; %bb.341:
	v_div_scale_f64 v[1:2], null, v[3:4], v[3:4], v[22:23]
	v_div_scale_f64 v[24:25], vcc_lo, v[22:23], v[3:4], v[22:23]
	s_delay_alu instid0(VALU_DEP_2) | instskip(SKIP_2) | instid1(VALU_DEP_1)
	v_rcp_f64_e32 v[9:10], v[1:2]
	s_waitcnt_depctr 0xfff
	v_fma_f64 v[11:12], -v[1:2], v[9:10], 1.0
	v_fma_f64 v[9:10], v[9:10], v[11:12], v[9:10]
	s_delay_alu instid0(VALU_DEP_1) | instskip(NEXT) | instid1(VALU_DEP_1)
	v_fma_f64 v[11:12], -v[1:2], v[9:10], 1.0
	v_fma_f64 v[9:10], v[9:10], v[11:12], v[9:10]
	s_delay_alu instid0(VALU_DEP_1) | instskip(NEXT) | instid1(VALU_DEP_1)
	v_mul_f64 v[11:12], v[24:25], v[9:10]
	v_fma_f64 v[1:2], -v[1:2], v[11:12], v[24:25]
	s_delay_alu instid0(VALU_DEP_1) | instskip(NEXT) | instid1(VALU_DEP_1)
	v_div_fmas_f64 v[1:2], v[1:2], v[9:10], v[11:12]
	v_div_fixup_f64 v[1:2], v[1:2], v[3:4], v[22:23]
	s_delay_alu instid0(VALU_DEP_1) | instskip(NEXT) | instid1(VALU_DEP_1)
	v_fma_f64 v[3:4], v[22:23], v[1:2], v[3:4]
	v_div_scale_f64 v[9:10], null, v[3:4], v[3:4], 1.0
	v_div_scale_f64 v[24:25], vcc_lo, 1.0, v[3:4], 1.0
	s_delay_alu instid0(VALU_DEP_2) | instskip(SKIP_2) | instid1(VALU_DEP_1)
	v_rcp_f64_e32 v[11:12], v[9:10]
	s_waitcnt_depctr 0xfff
	v_fma_f64 v[22:23], -v[9:10], v[11:12], 1.0
	v_fma_f64 v[11:12], v[11:12], v[22:23], v[11:12]
	s_delay_alu instid0(VALU_DEP_1) | instskip(NEXT) | instid1(VALU_DEP_1)
	v_fma_f64 v[22:23], -v[9:10], v[11:12], 1.0
	v_fma_f64 v[11:12], v[11:12], v[22:23], v[11:12]
	s_delay_alu instid0(VALU_DEP_1) | instskip(NEXT) | instid1(VALU_DEP_1)
	v_mul_f64 v[22:23], v[24:25], v[11:12]
	v_fma_f64 v[9:10], -v[9:10], v[22:23], v[24:25]
	s_delay_alu instid0(VALU_DEP_1) | instskip(SKIP_2) | instid1(VALU_DEP_3)
	v_div_fmas_f64 v[9:10], v[9:10], v[11:12], v[22:23]
	v_add_f64 v[11:12], v[1:2], 0
	v_fma_f64 v[1:2], v[1:2], 0, -1.0
	v_div_fixup_f64 v[3:4], v[9:10], v[3:4], 1.0
	s_delay_alu instid0(VALU_DEP_1) | instskip(NEXT) | instid1(VALU_DEP_3)
	v_mul_f64 v[9:10], v[11:12], v[3:4]
	v_mul_f64 v[11:12], v[1:2], v[3:4]
.LBB163_342:
	s_or_b32 exec_lo, exec_lo, s1
	s_delay_alu instid0(SALU_CYCLE_1) | instskip(SKIP_1) | instid1(SALU_CYCLE_1)
	s_or_b32 exec_lo, exec_lo, s3
	s_and_saveexec_b32 s1, s0
	s_xor_b32 s0, exec_lo, s1
	s_cbranch_execnz .LBB163_315
.LBB163_343:
	s_or_b32 exec_lo, exec_lo, s0
	s_delay_alu instid0(SALU_CYCLE_1)
	s_mov_b32 s0, exec_lo
	v_cmpx_gt_i32_e64 s10, v0
	s_cbranch_execz .LBB163_316
.LBB163_344:
	v_dual_mov_b32 v2, 0 :: v_dual_add_nc_u32 v1, s8, v0
	v_add_nc_u32_e32 v0, 0x100, v0
	s_delay_alu instid0(VALU_DEP_2) | instskip(NEXT) | instid1(VALU_DEP_1)
	v_lshlrev_b64 v[1:2], 4, v[1:2]
	v_add_co_u32 v1, vcc_lo, s4, v1
	s_delay_alu instid0(VALU_DEP_2) | instskip(SKIP_2) | instid1(SALU_CYCLE_1)
	v_add_co_ci_u32_e32 v2, vcc_lo, s5, v2, vcc_lo
	global_store_b128 v[1:2], v[13:16], off
	s_or_b32 exec_lo, exec_lo, s0
	s_mov_b32 s0, exec_lo
	v_cmpx_gt_i32_e64 s10, v0
	s_cbranch_execnz .LBB163_317
.LBB163_345:
	s_or_b32 exec_lo, exec_lo, s0
	s_delay_alu instid0(SALU_CYCLE_1)
	s_mov_b32 s0, exec_lo
	v_cmpx_gt_i32_e64 s10, v0
	s_cbranch_execz .LBB163_347
.LBB163_346:
	v_dual_mov_b32 v1, 0 :: v_dual_add_nc_u32 v0, s8, v0
	s_delay_alu instid0(VALU_DEP_1) | instskip(NEXT) | instid1(VALU_DEP_1)
	v_lshlrev_b64 v[0:1], 4, v[0:1]
	v_add_co_u32 v0, vcc_lo, s4, v0
	s_delay_alu instid0(VALU_DEP_2)
	v_add_co_ci_u32_e32 v1, vcc_lo, s5, v1, vcc_lo
	global_store_b128 v[0:1], v[9:12], off
.LBB163_347:
	s_nop 0
	s_sendmsg sendmsg(MSG_DEALLOC_VGPRS)
	s_endpgm
	.section	.rodata,"a",@progbits
	.p2align	6, 0x0
	.amdhsa_kernel _ZN2at6native29vectorized_elementwise_kernelILi8EZZZNS0_17rsqrt_kernel_cudaERNS_18TensorIteratorBaseEENKUlvE_clEvENKUlvE_clEvEUlN3c107complexIdEEE_St5arrayIPcLm2EEEEviT0_T1_
		.amdhsa_group_segment_fixed_size 0
		.amdhsa_private_segment_fixed_size 0
		.amdhsa_kernarg_size 24
		.amdhsa_user_sgpr_count 15
		.amdhsa_user_sgpr_dispatch_ptr 0
		.amdhsa_user_sgpr_queue_ptr 0
		.amdhsa_user_sgpr_kernarg_segment_ptr 1
		.amdhsa_user_sgpr_dispatch_id 0
		.amdhsa_user_sgpr_private_segment_size 0
		.amdhsa_wavefront_size32 1
		.amdhsa_uses_dynamic_stack 0
		.amdhsa_enable_private_segment 0
		.amdhsa_system_sgpr_workgroup_id_x 1
		.amdhsa_system_sgpr_workgroup_id_y 0
		.amdhsa_system_sgpr_workgroup_id_z 0
		.amdhsa_system_sgpr_workgroup_info 0
		.amdhsa_system_vgpr_workitem_id 0
		.amdhsa_next_free_vgpr 35
		.amdhsa_next_free_sgpr 17
		.amdhsa_reserve_vcc 1
		.amdhsa_float_round_mode_32 0
		.amdhsa_float_round_mode_16_64 0
		.amdhsa_float_denorm_mode_32 3
		.amdhsa_float_denorm_mode_16_64 3
		.amdhsa_dx10_clamp 1
		.amdhsa_ieee_mode 1
		.amdhsa_fp16_overflow 0
		.amdhsa_workgroup_processor_mode 1
		.amdhsa_memory_ordered 1
		.amdhsa_forward_progress 0
		.amdhsa_shared_vgpr_count 0
		.amdhsa_exception_fp_ieee_invalid_op 0
		.amdhsa_exception_fp_denorm_src 0
		.amdhsa_exception_fp_ieee_div_zero 0
		.amdhsa_exception_fp_ieee_overflow 0
		.amdhsa_exception_fp_ieee_underflow 0
		.amdhsa_exception_fp_ieee_inexact 0
		.amdhsa_exception_int_div_zero 0
	.end_amdhsa_kernel
	.section	.text._ZN2at6native29vectorized_elementwise_kernelILi8EZZZNS0_17rsqrt_kernel_cudaERNS_18TensorIteratorBaseEENKUlvE_clEvENKUlvE_clEvEUlN3c107complexIdEEE_St5arrayIPcLm2EEEEviT0_T1_,"axG",@progbits,_ZN2at6native29vectorized_elementwise_kernelILi8EZZZNS0_17rsqrt_kernel_cudaERNS_18TensorIteratorBaseEENKUlvE_clEvENKUlvE_clEvEUlN3c107complexIdEEE_St5arrayIPcLm2EEEEviT0_T1_,comdat
.Lfunc_end163:
	.size	_ZN2at6native29vectorized_elementwise_kernelILi8EZZZNS0_17rsqrt_kernel_cudaERNS_18TensorIteratorBaseEENKUlvE_clEvENKUlvE_clEvEUlN3c107complexIdEEE_St5arrayIPcLm2EEEEviT0_T1_, .Lfunc_end163-_ZN2at6native29vectorized_elementwise_kernelILi8EZZZNS0_17rsqrt_kernel_cudaERNS_18TensorIteratorBaseEENKUlvE_clEvENKUlvE_clEvEUlN3c107complexIdEEE_St5arrayIPcLm2EEEEviT0_T1_
                                        ; -- End function
	.section	.AMDGPU.csdata,"",@progbits
; Kernel info:
; codeLenInByte = 20608
; NumSgprs: 19
; NumVgprs: 35
; ScratchSize: 0
; MemoryBound: 1
; FloatMode: 240
; IeeeMode: 1
; LDSByteSize: 0 bytes/workgroup (compile time only)
; SGPRBlocks: 2
; VGPRBlocks: 4
; NumSGPRsForWavesPerEU: 19
; NumVGPRsForWavesPerEU: 35
; Occupancy: 16
; WaveLimiterHint : 0
; COMPUTE_PGM_RSRC2:SCRATCH_EN: 0
; COMPUTE_PGM_RSRC2:USER_SGPR: 15
; COMPUTE_PGM_RSRC2:TRAP_HANDLER: 0
; COMPUTE_PGM_RSRC2:TGID_X_EN: 1
; COMPUTE_PGM_RSRC2:TGID_Y_EN: 0
; COMPUTE_PGM_RSRC2:TGID_Z_EN: 0
; COMPUTE_PGM_RSRC2:TIDIG_COMP_CNT: 0
	.section	.text._ZN2at6native29vectorized_elementwise_kernelILi4EZZZNS0_17rsqrt_kernel_cudaERNS_18TensorIteratorBaseEENKUlvE_clEvENKUlvE_clEvEUlN3c107complexIdEEE_St5arrayIPcLm2EEEEviT0_T1_,"axG",@progbits,_ZN2at6native29vectorized_elementwise_kernelILi4EZZZNS0_17rsqrt_kernel_cudaERNS_18TensorIteratorBaseEENKUlvE_clEvENKUlvE_clEvEUlN3c107complexIdEEE_St5arrayIPcLm2EEEEviT0_T1_,comdat
	.globl	_ZN2at6native29vectorized_elementwise_kernelILi4EZZZNS0_17rsqrt_kernel_cudaERNS_18TensorIteratorBaseEENKUlvE_clEvENKUlvE_clEvEUlN3c107complexIdEEE_St5arrayIPcLm2EEEEviT0_T1_ ; -- Begin function _ZN2at6native29vectorized_elementwise_kernelILi4EZZZNS0_17rsqrt_kernel_cudaERNS_18TensorIteratorBaseEENKUlvE_clEvENKUlvE_clEvEUlN3c107complexIdEEE_St5arrayIPcLm2EEEEviT0_T1_
	.p2align	8
	.type	_ZN2at6native29vectorized_elementwise_kernelILi4EZZZNS0_17rsqrt_kernel_cudaERNS_18TensorIteratorBaseEENKUlvE_clEvENKUlvE_clEvEUlN3c107complexIdEEE_St5arrayIPcLm2EEEEviT0_T1_,@function
_ZN2at6native29vectorized_elementwise_kernelILi4EZZZNS0_17rsqrt_kernel_cudaERNS_18TensorIteratorBaseEENKUlvE_clEvENKUlvE_clEvEUlN3c107complexIdEEE_St5arrayIPcLm2EEEEviT0_T1_: ; @_ZN2at6native29vectorized_elementwise_kernelILi4EZZZNS0_17rsqrt_kernel_cudaERNS_18TensorIteratorBaseEENKUlvE_clEvENKUlvE_clEvEUlN3c107complexIdEEE_St5arrayIPcLm2EEEEviT0_T1_
; %bb.0:
	s_clause 0x1
	s_load_b32 s2, s[0:1], 0x0
	s_load_b128 s[4:7], s[0:1], 0x8
	s_lshl_b32 s8, s15, 10
	s_mov_b32 s0, -1
	s_waitcnt lgkmcnt(0)
	s_sub_i32 s10, s2, s8
	s_delay_alu instid0(SALU_CYCLE_1)
	s_cmpk_gt_i32 s10, 0x3ff
	s_cbranch_scc0 .LBB164_162
; %bb.1:
	s_ashr_i32 s9, s8, 31
	v_lshlrev_b32_e32 v25, 6, v0
	s_lshl_b64 s[2:3], s[8:9], 4
	v_mov_b32_e32 v13, 0
	v_mov_b32_e32 v14, 0
	s_add_u32 s0, s6, s2
	s_addc_u32 s1, s7, s3
	s_clause 0x3
	global_load_b128 v[19:22], v25, s[0:1]
	global_load_b128 v[15:18], v25, s[0:1] offset:16
	global_load_b128 v[1:4], v25, s[0:1] offset:48
	;; [unrolled: 1-line block ×3, first 2 shown]
	s_waitcnt vmcnt(3)
	v_cmp_neq_f64_e32 vcc_lo, 0, v[19:20]
	v_cmp_neq_f64_e64 s0, 0, v[21:22]
	s_delay_alu instid0(VALU_DEP_1) | instskip(NEXT) | instid1(SALU_CYCLE_1)
	s_or_b32 s0, vcc_lo, s0
	s_and_saveexec_b32 s9, s0
	s_cbranch_execz .LBB164_33
; %bb.2:
	s_mov_b32 s0, 0
	s_mov_b32 s1, 0x7ff00000
	v_mov_b32_e32 v13, s0
	v_mov_b32_e32 v14, s1
	s_mov_b32 s11, exec_lo
	v_cmpx_neq_f64_e64 0x7ff00000, |v[21:22]|
	s_cbranch_execz .LBB164_32
; %bb.3:
	s_mov_b32 s0, exec_lo
	v_cmpx_o_f64_e32 v[19:20], v[19:20]
	s_xor_b32 s12, exec_lo, s0
	s_cbranch_execz .LBB164_29
; %bb.4:
	s_mov_b32 s1, exec_lo
	v_cmpx_neq_f64_e64 0x7ff00000, |v[19:20]|
	s_xor_b32 s13, exec_lo, s1
	s_cbranch_execz .LBB164_22
; %bb.5:
	v_max_f64 v[5:6], |v[21:22]|, |v[21:22]|
	v_max_f64 v[7:8], |v[19:20]|, |v[19:20]|
	s_mov_b32 s0, 0x99fcef32
	s_mov_b32 s1, 0x7fda8279
                                        ; implicit-def: $sgpr14
	s_delay_alu instid0(VALU_DEP_1) | instskip(NEXT) | instid1(VALU_DEP_1)
	v_max_f64 v[5:6], v[7:8], v[5:6]
	v_cmp_nle_f64_e64 s0, s[0:1], v[5:6]
	s_delay_alu instid0(VALU_DEP_1) | instskip(NEXT) | instid1(SALU_CYCLE_1)
	s_and_saveexec_b32 s1, s0
	s_xor_b32 s1, exec_lo, s1
	s_cbranch_execz .LBB164_9
; %bb.6:
	v_cmp_ge_f64_e64 s14, 0x200000, |v[19:20]|
	v_cmp_ge_f64_e64 s15, 0x200000, |v[21:22]|
	s_delay_alu instid0(VALU_DEP_1)
	s_and_b32 s16, s14, s15
	s_mov_b32 s14, 0
	s_and_saveexec_b32 s15, s16
; %bb.7:
	v_mul_f64 v[19:20], v[19:20], 4.0
	v_mul_f64 v[21:22], v[21:22], 4.0
	s_mov_b32 s14, exec_lo
; %bb.8:
	s_or_b32 exec_lo, exec_lo, s15
	s_delay_alu instid0(SALU_CYCLE_1)
	s_and_b32 s14, s14, exec_lo
.LBB164_9:
	s_and_not1_saveexec_b32 s1, s1
; %bb.10:
	s_delay_alu instid0(VALU_DEP_2) | instskip(NEXT) | instid1(VALU_DEP_2)
	v_ldexp_f64 v[19:20], v[19:20], -2
	v_ldexp_f64 v[21:22], v[21:22], -2
	s_and_not1_b32 s14, s14, exec_lo
; %bb.11:
	s_or_b32 exec_lo, exec_lo, s1
	s_delay_alu instid0(VALU_DEP_1) | instskip(NEXT) | instid1(VALU_DEP_3)
	v_max_f64 v[5:6], |v[21:22]|, |v[21:22]|
	v_max_f64 v[7:8], |v[19:20]|, |v[19:20]|
	v_cmp_class_f64_e64 s15, v[19:20], 0x204
	v_cmp_class_f64_e64 s16, v[21:22], 0x204
	v_cmp_le_f64_e64 s1, 0, v[19:20]
	s_delay_alu instid0(VALU_DEP_4) | instskip(NEXT) | instid1(VALU_DEP_3)
	v_max_f64 v[5:6], v[7:8], v[5:6]
	s_or_b32 s15, s16, s15
	s_delay_alu instid0(VALU_DEP_1) | instskip(NEXT) | instid1(VALU_DEP_1)
	v_frexp_exp_i32_f64_e32 v26, v[5:6]
	v_sub_nc_u32_e32 v7, 0, v26
	s_delay_alu instid0(VALU_DEP_1) | instskip(SKIP_1) | instid1(VALU_DEP_2)
	v_ldexp_f64 v[5:6], |v[21:22]|, v7
	v_ldexp_f64 v[7:8], |v[19:20]|, v7
	v_mul_f64 v[5:6], v[5:6], v[5:6]
	s_delay_alu instid0(VALU_DEP_1) | instskip(NEXT) | instid1(VALU_DEP_1)
	v_fma_f64 v[5:6], v[7:8], v[7:8], v[5:6]
	v_rsq_f64_e32 v[7:8], v[5:6]
	v_cmp_eq_f64_e32 vcc_lo, 0, v[5:6]
	s_waitcnt_depctr 0xfff
	v_mul_f64 v[13:14], v[5:6], v[7:8]
	v_mul_f64 v[7:8], v[7:8], 0.5
	s_delay_alu instid0(VALU_DEP_1) | instskip(NEXT) | instid1(VALU_DEP_1)
	v_fma_f64 v[23:24], -v[7:8], v[13:14], 0.5
	v_fma_f64 v[13:14], v[13:14], v[23:24], v[13:14]
	v_fma_f64 v[7:8], v[7:8], v[23:24], v[7:8]
	s_delay_alu instid0(VALU_DEP_2) | instskip(NEXT) | instid1(VALU_DEP_1)
	v_fma_f64 v[23:24], -v[13:14], v[13:14], v[5:6]
	v_fma_f64 v[7:8], v[23:24], v[7:8], v[13:14]
	s_delay_alu instid0(VALU_DEP_1) | instskip(SKIP_1) | instid1(VALU_DEP_2)
	v_dual_cndmask_b32 v6, v8, v6 :: v_dual_cndmask_b32 v5, v7, v5
	v_cmp_o_f64_e32 vcc_lo, v[21:22], v[21:22]
	v_ldexp_f64 v[5:6], v[5:6], v26
	s_delay_alu instid0(VALU_DEP_1) | instskip(NEXT) | instid1(VALU_DEP_2)
	v_cndmask_b32_e32 v5, 0, v5, vcc_lo
	v_cndmask_b32_e32 v6, 0x7ff80000, v6, vcc_lo
	s_delay_alu instid0(VALU_DEP_2) | instskip(NEXT) | instid1(VALU_DEP_2)
	v_cndmask_b32_e64 v5, v5, 0, s15
	v_cndmask_b32_e64 v6, v6, 0x7ff00000, s15
	s_and_saveexec_b32 s15, s1
	s_delay_alu instid0(SALU_CYCLE_1)
	s_xor_b32 s1, exec_lo, s15
	s_cbranch_execz .LBB164_17
; %bb.12:
	s_delay_alu instid0(VALU_DEP_1) | instskip(NEXT) | instid1(VALU_DEP_1)
	v_add_f64 v[5:6], v[19:20], v[5:6]
	v_mul_f64 v[5:6], v[5:6], 0.5
	s_delay_alu instid0(VALU_DEP_1) | instskip(SKIP_1) | instid1(VALU_DEP_1)
	v_cmp_gt_f64_e32 vcc_lo, 0x10000000, v[5:6]
	v_cndmask_b32_e64 v7, 0, 1, vcc_lo
	v_lshlrev_b32_e32 v7, 8, v7
	s_delay_alu instid0(VALU_DEP_1) | instskip(NEXT) | instid1(VALU_DEP_1)
	v_ldexp_f64 v[5:6], v[5:6], v7
	v_rsq_f64_e32 v[7:8], v[5:6]
	s_waitcnt_depctr 0xfff
	v_mul_f64 v[13:14], v[5:6], v[7:8]
	v_mul_f64 v[7:8], v[7:8], 0.5
	s_delay_alu instid0(VALU_DEP_1) | instskip(NEXT) | instid1(VALU_DEP_1)
	v_fma_f64 v[19:20], -v[7:8], v[13:14], 0.5
	v_fma_f64 v[13:14], v[13:14], v[19:20], v[13:14]
	v_fma_f64 v[7:8], v[7:8], v[19:20], v[7:8]
	s_delay_alu instid0(VALU_DEP_2) | instskip(NEXT) | instid1(VALU_DEP_1)
	v_fma_f64 v[19:20], -v[13:14], v[13:14], v[5:6]
	v_fma_f64 v[13:14], v[19:20], v[7:8], v[13:14]
	s_delay_alu instid0(VALU_DEP_1) | instskip(NEXT) | instid1(VALU_DEP_1)
	v_fma_f64 v[19:20], -v[13:14], v[13:14], v[5:6]
	v_fma_f64 v[7:8], v[19:20], v[7:8], v[13:14]
	v_cndmask_b32_e64 v13, 0, 0xffffff80, vcc_lo
	v_cmp_class_f64_e64 vcc_lo, v[5:6], 0x260
	s_delay_alu instid0(VALU_DEP_2) | instskip(NEXT) | instid1(VALU_DEP_1)
	v_ldexp_f64 v[7:8], v[7:8], v13
	v_dual_cndmask_b32 v20, v8, v6 :: v_dual_cndmask_b32 v19, v7, v5
	s_delay_alu instid0(VALU_DEP_1) | instskip(NEXT) | instid1(VALU_DEP_1)
	v_add_f64 v[5:6], v[19:20], v[19:20]
	v_div_scale_f64 v[7:8], null, v[5:6], v[5:6], v[21:22]
	s_delay_alu instid0(VALU_DEP_1) | instskip(SKIP_2) | instid1(VALU_DEP_1)
	v_rcp_f64_e32 v[13:14], v[7:8]
	s_waitcnt_depctr 0xfff
	v_fma_f64 v[23:24], -v[7:8], v[13:14], 1.0
	v_fma_f64 v[13:14], v[13:14], v[23:24], v[13:14]
	s_delay_alu instid0(VALU_DEP_1) | instskip(NEXT) | instid1(VALU_DEP_1)
	v_fma_f64 v[23:24], -v[7:8], v[13:14], 1.0
	v_fma_f64 v[13:14], v[13:14], v[23:24], v[13:14]
	v_div_scale_f64 v[23:24], vcc_lo, v[21:22], v[5:6], v[21:22]
	s_delay_alu instid0(VALU_DEP_1) | instskip(NEXT) | instid1(VALU_DEP_1)
	v_mul_f64 v[26:27], v[23:24], v[13:14]
	v_fma_f64 v[7:8], -v[7:8], v[26:27], v[23:24]
	s_delay_alu instid0(VALU_DEP_1) | instskip(NEXT) | instid1(VALU_DEP_1)
	v_div_fmas_f64 v[7:8], v[7:8], v[13:14], v[26:27]
	v_div_fixup_f64 v[21:22], v[7:8], v[5:6], v[21:22]
                                        ; implicit-def: $vgpr5_vgpr6
	s_and_not1_saveexec_b32 s1, s1
	s_cbranch_execnz .LBB164_18
.LBB164_13:
	s_or_b32 exec_lo, exec_lo, s1
	s_and_saveexec_b32 s1, s0
	s_delay_alu instid0(SALU_CYCLE_1)
	s_xor_b32 s0, exec_lo, s1
	s_cbranch_execz .LBB164_19
.LBB164_14:
	s_and_saveexec_b32 s1, s14
; %bb.15:
	s_delay_alu instid0(VALU_DEP_2) | instskip(NEXT) | instid1(VALU_DEP_2)
	v_mul_f64 v[19:20], v[19:20], 0.5
	v_mul_f64 v[21:22], v[21:22], 0.5
; %bb.16:
	s_or_b32 exec_lo, exec_lo, s1
	s_and_not1_saveexec_b32 s0, s0
	s_cbranch_execnz .LBB164_20
	s_branch .LBB164_21
.LBB164_17:
	s_and_not1_saveexec_b32 s1, s1
	s_cbranch_execz .LBB164_13
.LBB164_18:
	v_add_f64 v[5:6], v[5:6], -v[19:20]
	s_delay_alu instid0(VALU_DEP_1) | instskip(NEXT) | instid1(VALU_DEP_1)
	v_mul_f64 v[5:6], v[5:6], 0.5
	v_cmp_gt_f64_e32 vcc_lo, 0x10000000, v[5:6]
	v_cndmask_b32_e64 v7, 0, 1, vcc_lo
	s_delay_alu instid0(VALU_DEP_1) | instskip(NEXT) | instid1(VALU_DEP_1)
	v_lshlrev_b32_e32 v7, 8, v7
	v_ldexp_f64 v[5:6], v[5:6], v7
	s_delay_alu instid0(VALU_DEP_1) | instskip(SKIP_3) | instid1(VALU_DEP_1)
	v_rsq_f64_e32 v[7:8], v[5:6]
	s_waitcnt_depctr 0xfff
	v_mul_f64 v[13:14], v[5:6], v[7:8]
	v_mul_f64 v[7:8], v[7:8], 0.5
	v_fma_f64 v[19:20], -v[7:8], v[13:14], 0.5
	s_delay_alu instid0(VALU_DEP_1) | instskip(SKIP_1) | instid1(VALU_DEP_2)
	v_fma_f64 v[13:14], v[13:14], v[19:20], v[13:14]
	v_fma_f64 v[7:8], v[7:8], v[19:20], v[7:8]
	v_fma_f64 v[19:20], -v[13:14], v[13:14], v[5:6]
	s_delay_alu instid0(VALU_DEP_1) | instskip(NEXT) | instid1(VALU_DEP_1)
	v_fma_f64 v[13:14], v[19:20], v[7:8], v[13:14]
	v_fma_f64 v[19:20], -v[13:14], v[13:14], v[5:6]
	s_delay_alu instid0(VALU_DEP_1) | instskip(SKIP_3) | instid1(VALU_DEP_3)
	v_fma_f64 v[7:8], v[19:20], v[7:8], v[13:14]
	v_cndmask_b32_e64 v13, 0, 0xffffff80, vcc_lo
	v_cmp_class_f64_e64 vcc_lo, v[5:6], 0x260
	v_and_b32_e32 v14, 0x7fffffff, v22
	v_ldexp_f64 v[7:8], v[7:8], v13
	s_delay_alu instid0(VALU_DEP_1) | instskip(NEXT) | instid1(VALU_DEP_1)
	v_dual_cndmask_b32 v6, v8, v6 :: v_dual_cndmask_b32 v5, v7, v5
	v_add_f64 v[7:8], v[5:6], v[5:6]
	v_bfi_b32 v6, 0x7fffffff, v6, v22
	v_mov_b32_e32 v13, v21
	s_delay_alu instid0(VALU_DEP_1) | instskip(SKIP_1) | instid1(VALU_DEP_2)
	v_div_scale_f64 v[19:20], null, v[7:8], v[7:8], v[13:14]
	v_div_scale_f64 v[13:14], vcc_lo, v[13:14], v[7:8], v[13:14]
	v_rcp_f64_e32 v[23:24], v[19:20]
	s_waitcnt_depctr 0xfff
	v_fma_f64 v[26:27], -v[19:20], v[23:24], 1.0
	s_delay_alu instid0(VALU_DEP_1) | instskip(NEXT) | instid1(VALU_DEP_1)
	v_fma_f64 v[23:24], v[23:24], v[26:27], v[23:24]
	v_fma_f64 v[26:27], -v[19:20], v[23:24], 1.0
	s_delay_alu instid0(VALU_DEP_1) | instskip(NEXT) | instid1(VALU_DEP_1)
	v_fma_f64 v[23:24], v[23:24], v[26:27], v[23:24]
	v_mul_f64 v[26:27], v[13:14], v[23:24]
	s_delay_alu instid0(VALU_DEP_1) | instskip(NEXT) | instid1(VALU_DEP_1)
	v_fma_f64 v[13:14], -v[19:20], v[26:27], v[13:14]
	v_div_fmas_f64 v[13:14], v[13:14], v[23:24], v[26:27]
	s_delay_alu instid0(VALU_DEP_1) | instskip(SKIP_3) | instid1(SALU_CYCLE_1)
	v_div_fixup_f64 v[19:20], v[13:14], v[7:8], |v[21:22]|
	v_dual_mov_b32 v22, v6 :: v_dual_mov_b32 v21, v5
	s_or_b32 exec_lo, exec_lo, s1
	s_and_saveexec_b32 s1, s0
	s_xor_b32 s0, exec_lo, s1
	s_cbranch_execnz .LBB164_14
.LBB164_19:
	s_and_not1_saveexec_b32 s0, s0
.LBB164_20:
	s_delay_alu instid0(VALU_DEP_2) | instskip(NEXT) | instid1(VALU_DEP_2)
	v_add_f64 v[19:20], v[19:20], v[19:20]
	v_add_f64 v[21:22], v[21:22], v[21:22]
.LBB164_21:
	s_or_b32 exec_lo, exec_lo, s0
.LBB164_22:
	s_and_not1_saveexec_b32 s0, s13
	s_cbranch_execz .LBB164_28
; %bb.23:
	s_delay_alu instid0(VALU_DEP_1) | instskip(SKIP_1) | instid1(VALU_DEP_3)
	v_add_f64 v[5:6], v[21:22], -v[21:22]
	s_mov_b32 s1, exec_lo
	v_cmpx_lt_i64_e32 -1, v[19:20]
	s_xor_b32 s1, exec_lo, s1
; %bb.24:
	s_delay_alu instid0(VALU_DEP_2) | instskip(NEXT) | instid1(VALU_DEP_1)
	v_bfi_b32 v6, 0x7fffffff, v6, v22
	v_dual_mov_b32 v22, v6 :: v_dual_mov_b32 v21, v5
                                        ; implicit-def: $vgpr5_vgpr6
; %bb.25:
	s_and_not1_saveexec_b32 s1, s1
; %bb.26:
	s_delay_alu instid0(VALU_DEP_1) | instskip(SKIP_1) | instid1(VALU_DEP_2)
	v_bfi_b32 v20, 0x7fffffff, v20, v22
	v_and_b32_e32 v6, 0x7fffffff, v6
	v_dual_mov_b32 v22, v20 :: v_dual_mov_b32 v21, v19
	s_delay_alu instid0(VALU_DEP_2)
	v_dual_mov_b32 v20, v6 :: v_dual_mov_b32 v19, v5
; %bb.27:
	s_or_b32 exec_lo, exec_lo, s1
.LBB164_28:
	s_delay_alu instid0(SALU_CYCLE_1)
	s_or_b32 exec_lo, exec_lo, s0
.LBB164_29:
	s_and_not1_saveexec_b32 s0, s12
; %bb.30:
	s_delay_alu instid0(VALU_DEP_1) | instskip(NEXT) | instid1(VALU_DEP_1)
	v_add_f64 v[5:6], v[21:22], -v[21:22]
	v_div_scale_f64 v[7:8], vcc_lo, v[5:6], v[5:6], v[5:6]
	s_delay_alu instid0(VALU_DEP_1) | instskip(SKIP_2) | instid1(VALU_DEP_1)
	v_rcp_f64_e32 v[13:14], v[7:8]
	s_waitcnt_depctr 0xfff
	v_fma_f64 v[21:22], -v[7:8], v[13:14], 1.0
	v_fma_f64 v[13:14], v[13:14], v[21:22], v[13:14]
	s_delay_alu instid0(VALU_DEP_1) | instskip(NEXT) | instid1(VALU_DEP_1)
	v_fma_f64 v[21:22], -v[7:8], v[13:14], 1.0
	v_fma_f64 v[13:14], v[13:14], v[21:22], v[13:14]
	s_delay_alu instid0(VALU_DEP_1) | instskip(NEXT) | instid1(VALU_DEP_1)
	v_mul_f64 v[21:22], v[7:8], v[13:14]
	v_fma_f64 v[7:8], -v[7:8], v[21:22], v[7:8]
	s_delay_alu instid0(VALU_DEP_1) | instskip(NEXT) | instid1(VALU_DEP_1)
	v_div_fmas_f64 v[7:8], v[7:8], v[13:14], v[21:22]
	v_div_fixup_f64 v[21:22], v[7:8], v[5:6], v[5:6]
; %bb.31:
	s_or_b32 exec_lo, exec_lo, s0
	v_dual_mov_b32 v13, v19 :: v_dual_mov_b32 v14, v20
.LBB164_32:
	s_or_b32 exec_lo, exec_lo, s11
.LBB164_33:
	s_delay_alu instid0(SALU_CYCLE_1) | instskip(NEXT) | instid1(VALU_DEP_1)
	s_or_b32 exec_lo, exec_lo, s9
	v_cmp_gt_f64_e32 vcc_lo, 0, v[13:14]
	s_delay_alu instid0(VALU_DEP_3) | instskip(SKIP_2) | instid1(VALU_DEP_2)
	v_cmp_gt_f64_e64 s0, 0, v[21:22]
	v_xor_b32_e32 v5, 0x80000000, v14
	v_xor_b32_e32 v6, 0x80000000, v22
                                        ; implicit-def: $vgpr7_vgpr8
	v_cndmask_b32_e32 v20, v14, v5, vcc_lo
	s_delay_alu instid0(VALU_DEP_2) | instskip(SKIP_3) | instid1(VALU_DEP_1)
	v_cndmask_b32_e64 v24, v22, v6, s0
	v_cndmask_b32_e32 v19, v13, v13, vcc_lo
	v_cndmask_b32_e64 v23, v21, v21, s0
	s_mov_b32 s0, exec_lo
	v_cmpx_ge_f64_e32 v[19:20], v[23:24]
	s_xor_b32 s1, exec_lo, s0
	s_cbranch_execz .LBB164_39
; %bb.34:
	v_cmp_neq_f64_e32 vcc_lo, 0, v[13:14]
	v_cmp_neq_f64_e64 s0, 0, v[21:22]
                                        ; implicit-def: $vgpr7_vgpr8
	s_delay_alu instid0(VALU_DEP_1) | instskip(NEXT) | instid1(SALU_CYCLE_1)
	s_or_b32 s0, vcc_lo, s0
	s_and_saveexec_b32 s9, s0
	s_delay_alu instid0(SALU_CYCLE_1)
	s_xor_b32 s0, exec_lo, s9
	s_cbranch_execz .LBB164_36
; %bb.35:
	v_div_scale_f64 v[5:6], null, v[13:14], v[13:14], v[21:22]
	v_div_scale_f64 v[23:24], vcc_lo, v[21:22], v[13:14], v[21:22]
	s_delay_alu instid0(VALU_DEP_2) | instskip(SKIP_2) | instid1(VALU_DEP_1)
	v_rcp_f64_e32 v[7:8], v[5:6]
	s_waitcnt_depctr 0xfff
	v_fma_f64 v[19:20], -v[5:6], v[7:8], 1.0
	v_fma_f64 v[7:8], v[7:8], v[19:20], v[7:8]
	s_delay_alu instid0(VALU_DEP_1) | instskip(NEXT) | instid1(VALU_DEP_1)
	v_fma_f64 v[19:20], -v[5:6], v[7:8], 1.0
	v_fma_f64 v[7:8], v[7:8], v[19:20], v[7:8]
	s_delay_alu instid0(VALU_DEP_1) | instskip(NEXT) | instid1(VALU_DEP_1)
	v_mul_f64 v[19:20], v[23:24], v[7:8]
	v_fma_f64 v[5:6], -v[5:6], v[19:20], v[23:24]
	s_delay_alu instid0(VALU_DEP_1) | instskip(NEXT) | instid1(VALU_DEP_1)
	v_div_fmas_f64 v[5:6], v[5:6], v[7:8], v[19:20]
	v_div_fixup_f64 v[5:6], v[5:6], v[13:14], v[21:22]
	s_delay_alu instid0(VALU_DEP_1) | instskip(NEXT) | instid1(VALU_DEP_1)
	v_fma_f64 v[7:8], v[21:22], v[5:6], v[13:14]
	v_div_scale_f64 v[13:14], null, v[7:8], v[7:8], 1.0
	v_div_scale_f64 v[23:24], vcc_lo, 1.0, v[7:8], 1.0
	s_delay_alu instid0(VALU_DEP_2) | instskip(SKIP_2) | instid1(VALU_DEP_1)
	v_rcp_f64_e32 v[19:20], v[13:14]
	s_waitcnt_depctr 0xfff
	v_fma_f64 v[21:22], -v[13:14], v[19:20], 1.0
	v_fma_f64 v[19:20], v[19:20], v[21:22], v[19:20]
	s_delay_alu instid0(VALU_DEP_1) | instskip(NEXT) | instid1(VALU_DEP_1)
	v_fma_f64 v[21:22], -v[13:14], v[19:20], 1.0
	v_fma_f64 v[19:20], v[19:20], v[21:22], v[19:20]
	s_delay_alu instid0(VALU_DEP_1) | instskip(NEXT) | instid1(VALU_DEP_1)
	v_mul_f64 v[21:22], v[23:24], v[19:20]
	v_fma_f64 v[13:14], -v[13:14], v[21:22], v[23:24]
                                        ; implicit-def: $vgpr23_vgpr24
	s_delay_alu instid0(VALU_DEP_1) | instskip(SKIP_1) | instid1(VALU_DEP_2)
	v_div_fmas_f64 v[13:14], v[13:14], v[19:20], v[21:22]
	v_fma_f64 v[19:20], v[5:6], 0, 1.0
	v_div_fixup_f64 v[7:8], v[13:14], v[7:8], 1.0
	v_add_f64 v[13:14], -v[5:6], 0
	s_delay_alu instid0(VALU_DEP_2) | instskip(NEXT) | instid1(VALU_DEP_2)
	v_mul_f64 v[5:6], v[19:20], v[7:8]
	v_mul_f64 v[7:8], v[13:14], v[7:8]
                                        ; implicit-def: $vgpr19_vgpr20
.LBB164_36:
	s_and_not1_saveexec_b32 s9, s0
	s_cbranch_execz .LBB164_38
; %bb.37:
	v_div_scale_f64 v[5:6], null, v[19:20], v[19:20], 1.0
	v_div_scale_f64 v[7:8], null, v[23:24], v[23:24], 0
	v_div_scale_f64 v[30:31], vcc_lo, 1.0, v[19:20], 1.0
	s_delay_alu instid0(VALU_DEP_3) | instskip(NEXT) | instid1(VALU_DEP_2)
	v_rcp_f64_e32 v[13:14], v[5:6]
	v_rcp_f64_e32 v[21:22], v[7:8]
	s_waitcnt_depctr 0xfff
	v_fma_f64 v[26:27], -v[5:6], v[13:14], 1.0
	v_fma_f64 v[28:29], -v[7:8], v[21:22], 1.0
	s_delay_alu instid0(VALU_DEP_2) | instskip(NEXT) | instid1(VALU_DEP_2)
	v_fma_f64 v[13:14], v[13:14], v[26:27], v[13:14]
	v_fma_f64 v[21:22], v[21:22], v[28:29], v[21:22]
	s_delay_alu instid0(VALU_DEP_2) | instskip(NEXT) | instid1(VALU_DEP_2)
	v_fma_f64 v[26:27], -v[5:6], v[13:14], 1.0
	v_fma_f64 v[28:29], -v[7:8], v[21:22], 1.0
	s_delay_alu instid0(VALU_DEP_2) | instskip(SKIP_1) | instid1(VALU_DEP_3)
	v_fma_f64 v[13:14], v[13:14], v[26:27], v[13:14]
	v_div_scale_f64 v[26:27], s0, 0, v[23:24], 0
	v_fma_f64 v[21:22], v[21:22], v[28:29], v[21:22]
	s_delay_alu instid0(VALU_DEP_3) | instskip(NEXT) | instid1(VALU_DEP_2)
	v_mul_f64 v[28:29], v[30:31], v[13:14]
	v_mul_f64 v[32:33], v[26:27], v[21:22]
	s_delay_alu instid0(VALU_DEP_2) | instskip(NEXT) | instid1(VALU_DEP_2)
	v_fma_f64 v[5:6], -v[5:6], v[28:29], v[30:31]
	v_fma_f64 v[7:8], -v[7:8], v[32:33], v[26:27]
	s_delay_alu instid0(VALU_DEP_2) | instskip(SKIP_1) | instid1(VALU_DEP_2)
	v_div_fmas_f64 v[5:6], v[5:6], v[13:14], v[28:29]
	s_mov_b32 vcc_lo, s0
	v_div_fmas_f64 v[7:8], v[7:8], v[21:22], v[32:33]
	s_delay_alu instid0(VALU_DEP_2) | instskip(NEXT) | instid1(VALU_DEP_2)
	v_div_fixup_f64 v[5:6], v[5:6], v[19:20], 1.0
	v_div_fixup_f64 v[7:8], v[7:8], v[23:24], 0
.LBB164_38:
	s_or_b32 exec_lo, exec_lo, s9
                                        ; implicit-def: $vgpr21_vgpr22
                                        ; implicit-def: $vgpr13_vgpr14
.LBB164_39:
	s_and_not1_saveexec_b32 s0, s1
	s_cbranch_execz .LBB164_41
; %bb.40:
	v_div_scale_f64 v[5:6], null, v[21:22], v[21:22], v[13:14]
	v_div_scale_f64 v[23:24], vcc_lo, v[13:14], v[21:22], v[13:14]
	s_delay_alu instid0(VALU_DEP_2) | instskip(SKIP_2) | instid1(VALU_DEP_1)
	v_rcp_f64_e32 v[7:8], v[5:6]
	s_waitcnt_depctr 0xfff
	v_fma_f64 v[19:20], -v[5:6], v[7:8], 1.0
	v_fma_f64 v[7:8], v[7:8], v[19:20], v[7:8]
	s_delay_alu instid0(VALU_DEP_1) | instskip(NEXT) | instid1(VALU_DEP_1)
	v_fma_f64 v[19:20], -v[5:6], v[7:8], 1.0
	v_fma_f64 v[7:8], v[7:8], v[19:20], v[7:8]
	s_delay_alu instid0(VALU_DEP_1) | instskip(NEXT) | instid1(VALU_DEP_1)
	v_mul_f64 v[19:20], v[23:24], v[7:8]
	v_fma_f64 v[5:6], -v[5:6], v[19:20], v[23:24]
	s_delay_alu instid0(VALU_DEP_1) | instskip(NEXT) | instid1(VALU_DEP_1)
	v_div_fmas_f64 v[5:6], v[5:6], v[7:8], v[19:20]
	v_div_fixup_f64 v[5:6], v[5:6], v[21:22], v[13:14]
	s_delay_alu instid0(VALU_DEP_1) | instskip(NEXT) | instid1(VALU_DEP_1)
	v_fma_f64 v[7:8], v[13:14], v[5:6], v[21:22]
	v_div_scale_f64 v[13:14], null, v[7:8], v[7:8], 1.0
	v_div_scale_f64 v[23:24], vcc_lo, 1.0, v[7:8], 1.0
	s_delay_alu instid0(VALU_DEP_2) | instskip(SKIP_2) | instid1(VALU_DEP_1)
	v_rcp_f64_e32 v[19:20], v[13:14]
	s_waitcnt_depctr 0xfff
	v_fma_f64 v[21:22], -v[13:14], v[19:20], 1.0
	v_fma_f64 v[19:20], v[19:20], v[21:22], v[19:20]
	s_delay_alu instid0(VALU_DEP_1) | instskip(NEXT) | instid1(VALU_DEP_1)
	v_fma_f64 v[21:22], -v[13:14], v[19:20], 1.0
	v_fma_f64 v[19:20], v[19:20], v[21:22], v[19:20]
	s_delay_alu instid0(VALU_DEP_1) | instskip(NEXT) | instid1(VALU_DEP_1)
	v_mul_f64 v[21:22], v[23:24], v[19:20]
	v_fma_f64 v[13:14], -v[13:14], v[21:22], v[23:24]
	s_delay_alu instid0(VALU_DEP_1) | instskip(SKIP_1) | instid1(VALU_DEP_2)
	v_div_fmas_f64 v[13:14], v[13:14], v[19:20], v[21:22]
	v_add_f64 v[19:20], v[5:6], 0
	v_div_fixup_f64 v[7:8], v[13:14], v[7:8], 1.0
	v_fma_f64 v[13:14], v[5:6], 0, -1.0
	s_delay_alu instid0(VALU_DEP_2) | instskip(NEXT) | instid1(VALU_DEP_2)
	v_mul_f64 v[5:6], v[19:20], v[7:8]
	v_mul_f64 v[7:8], v[13:14], v[7:8]
.LBB164_41:
	s_or_b32 exec_lo, exec_lo, s0
	s_waitcnt vmcnt(2)
	v_cmp_neq_f64_e32 vcc_lo, 0, v[15:16]
	v_cmp_neq_f64_e64 s0, 0, v[17:18]
	v_mov_b32_e32 v19, 0
	v_mov_b32_e32 v20, 0
	s_delay_alu instid0(VALU_DEP_3) | instskip(NEXT) | instid1(SALU_CYCLE_1)
	s_or_b32 s0, vcc_lo, s0
	s_and_saveexec_b32 s9, s0
	s_cbranch_execz .LBB164_73
; %bb.42:
	s_mov_b32 s0, 0
	s_mov_b32 s1, 0x7ff00000
	v_mov_b32_e32 v19, s0
	v_mov_b32_e32 v20, s1
	s_mov_b32 s11, exec_lo
	v_cmpx_neq_f64_e64 0x7ff00000, |v[17:18]|
	s_cbranch_execz .LBB164_72
; %bb.43:
	s_mov_b32 s0, exec_lo
	v_cmpx_o_f64_e32 v[15:16], v[15:16]
	s_xor_b32 s12, exec_lo, s0
	s_cbranch_execz .LBB164_69
; %bb.44:
	s_mov_b32 s1, exec_lo
	v_cmpx_neq_f64_e64 0x7ff00000, |v[15:16]|
	s_xor_b32 s13, exec_lo, s1
	s_cbranch_execz .LBB164_62
; %bb.45:
	v_max_f64 v[13:14], |v[17:18]|, |v[17:18]|
	v_max_f64 v[19:20], |v[15:16]|, |v[15:16]|
	s_mov_b32 s0, 0x99fcef32
	s_mov_b32 s1, 0x7fda8279
                                        ; implicit-def: $sgpr14
	s_delay_alu instid0(VALU_DEP_1) | instskip(NEXT) | instid1(VALU_DEP_1)
	v_max_f64 v[13:14], v[19:20], v[13:14]
	v_cmp_nle_f64_e64 s0, s[0:1], v[13:14]
	s_delay_alu instid0(VALU_DEP_1) | instskip(NEXT) | instid1(SALU_CYCLE_1)
	s_and_saveexec_b32 s1, s0
	s_xor_b32 s1, exec_lo, s1
	s_cbranch_execz .LBB164_49
; %bb.46:
	v_cmp_ge_f64_e64 s14, 0x200000, |v[15:16]|
	v_cmp_ge_f64_e64 s15, 0x200000, |v[17:18]|
	s_delay_alu instid0(VALU_DEP_1)
	s_and_b32 s16, s14, s15
	s_mov_b32 s14, 0
	s_and_saveexec_b32 s15, s16
; %bb.47:
	v_mul_f64 v[15:16], v[15:16], 4.0
	v_mul_f64 v[17:18], v[17:18], 4.0
	s_mov_b32 s14, exec_lo
; %bb.48:
	s_or_b32 exec_lo, exec_lo, s15
	s_delay_alu instid0(SALU_CYCLE_1)
	s_and_b32 s14, s14, exec_lo
.LBB164_49:
	s_and_not1_saveexec_b32 s1, s1
; %bb.50:
	s_delay_alu instid0(VALU_DEP_2) | instskip(NEXT) | instid1(VALU_DEP_2)
	v_ldexp_f64 v[15:16], v[15:16], -2
	v_ldexp_f64 v[17:18], v[17:18], -2
	s_and_not1_b32 s14, s14, exec_lo
; %bb.51:
	s_or_b32 exec_lo, exec_lo, s1
	s_delay_alu instid0(VALU_DEP_1) | instskip(NEXT) | instid1(VALU_DEP_3)
	v_max_f64 v[13:14], |v[17:18]|, |v[17:18]|
	v_max_f64 v[19:20], |v[15:16]|, |v[15:16]|
	v_cmp_class_f64_e64 s15, v[15:16], 0x204
	v_cmp_class_f64_e64 s16, v[17:18], 0x204
	v_cmp_le_f64_e64 s1, 0, v[15:16]
	s_delay_alu instid0(VALU_DEP_4) | instskip(NEXT) | instid1(VALU_DEP_3)
	v_max_f64 v[13:14], v[19:20], v[13:14]
	s_or_b32 s15, s16, s15
	s_delay_alu instid0(VALU_DEP_1) | instskip(NEXT) | instid1(VALU_DEP_1)
	v_frexp_exp_i32_f64_e32 v26, v[13:14]
	v_sub_nc_u32_e32 v19, 0, v26
	s_delay_alu instid0(VALU_DEP_1) | instskip(SKIP_1) | instid1(VALU_DEP_2)
	v_ldexp_f64 v[13:14], |v[17:18]|, v19
	v_ldexp_f64 v[19:20], |v[15:16]|, v19
	v_mul_f64 v[13:14], v[13:14], v[13:14]
	s_delay_alu instid0(VALU_DEP_1) | instskip(NEXT) | instid1(VALU_DEP_1)
	v_fma_f64 v[13:14], v[19:20], v[19:20], v[13:14]
	v_rsq_f64_e32 v[19:20], v[13:14]
	v_cmp_eq_f64_e32 vcc_lo, 0, v[13:14]
	s_waitcnt_depctr 0xfff
	v_mul_f64 v[21:22], v[13:14], v[19:20]
	v_mul_f64 v[19:20], v[19:20], 0.5
	s_delay_alu instid0(VALU_DEP_1) | instskip(NEXT) | instid1(VALU_DEP_1)
	v_fma_f64 v[23:24], -v[19:20], v[21:22], 0.5
	v_fma_f64 v[21:22], v[21:22], v[23:24], v[21:22]
	v_fma_f64 v[19:20], v[19:20], v[23:24], v[19:20]
	s_delay_alu instid0(VALU_DEP_2) | instskip(NEXT) | instid1(VALU_DEP_1)
	v_fma_f64 v[23:24], -v[21:22], v[21:22], v[13:14]
	v_fma_f64 v[19:20], v[23:24], v[19:20], v[21:22]
	s_delay_alu instid0(VALU_DEP_1) | instskip(SKIP_1) | instid1(VALU_DEP_2)
	v_dual_cndmask_b32 v14, v20, v14 :: v_dual_cndmask_b32 v13, v19, v13
	v_cmp_o_f64_e32 vcc_lo, v[17:18], v[17:18]
	v_ldexp_f64 v[13:14], v[13:14], v26
	s_delay_alu instid0(VALU_DEP_1) | instskip(NEXT) | instid1(VALU_DEP_2)
	v_cndmask_b32_e32 v13, 0, v13, vcc_lo
	v_cndmask_b32_e32 v14, 0x7ff80000, v14, vcc_lo
	s_delay_alu instid0(VALU_DEP_2) | instskip(NEXT) | instid1(VALU_DEP_2)
	v_cndmask_b32_e64 v13, v13, 0, s15
	v_cndmask_b32_e64 v14, v14, 0x7ff00000, s15
	s_and_saveexec_b32 s15, s1
	s_delay_alu instid0(SALU_CYCLE_1)
	s_xor_b32 s1, exec_lo, s15
	s_cbranch_execz .LBB164_57
; %bb.52:
	s_delay_alu instid0(VALU_DEP_1) | instskip(NEXT) | instid1(VALU_DEP_1)
	v_add_f64 v[13:14], v[15:16], v[13:14]
	v_mul_f64 v[13:14], v[13:14], 0.5
	s_delay_alu instid0(VALU_DEP_1) | instskip(SKIP_1) | instid1(VALU_DEP_1)
	v_cmp_gt_f64_e32 vcc_lo, 0x10000000, v[13:14]
	v_cndmask_b32_e64 v15, 0, 1, vcc_lo
	v_lshlrev_b32_e32 v15, 8, v15
	s_delay_alu instid0(VALU_DEP_1) | instskip(NEXT) | instid1(VALU_DEP_1)
	v_ldexp_f64 v[13:14], v[13:14], v15
	v_rsq_f64_e32 v[15:16], v[13:14]
	s_waitcnt_depctr 0xfff
	v_mul_f64 v[19:20], v[13:14], v[15:16]
	v_mul_f64 v[15:16], v[15:16], 0.5
	s_delay_alu instid0(VALU_DEP_1) | instskip(NEXT) | instid1(VALU_DEP_1)
	v_fma_f64 v[21:22], -v[15:16], v[19:20], 0.5
	v_fma_f64 v[19:20], v[19:20], v[21:22], v[19:20]
	v_fma_f64 v[15:16], v[15:16], v[21:22], v[15:16]
	s_delay_alu instid0(VALU_DEP_2) | instskip(NEXT) | instid1(VALU_DEP_1)
	v_fma_f64 v[21:22], -v[19:20], v[19:20], v[13:14]
	v_fma_f64 v[19:20], v[21:22], v[15:16], v[19:20]
	s_delay_alu instid0(VALU_DEP_1) | instskip(NEXT) | instid1(VALU_DEP_1)
	v_fma_f64 v[21:22], -v[19:20], v[19:20], v[13:14]
	v_fma_f64 v[15:16], v[21:22], v[15:16], v[19:20]
	v_cndmask_b32_e64 v19, 0, 0xffffff80, vcc_lo
	v_cmp_class_f64_e64 vcc_lo, v[13:14], 0x260
	s_delay_alu instid0(VALU_DEP_2) | instskip(NEXT) | instid1(VALU_DEP_1)
	v_ldexp_f64 v[15:16], v[15:16], v19
	v_dual_cndmask_b32 v16, v16, v14 :: v_dual_cndmask_b32 v15, v15, v13
	s_delay_alu instid0(VALU_DEP_1) | instskip(NEXT) | instid1(VALU_DEP_1)
	v_add_f64 v[13:14], v[15:16], v[15:16]
	v_div_scale_f64 v[19:20], null, v[13:14], v[13:14], v[17:18]
	s_delay_alu instid0(VALU_DEP_1) | instskip(SKIP_2) | instid1(VALU_DEP_1)
	v_rcp_f64_e32 v[21:22], v[19:20]
	s_waitcnt_depctr 0xfff
	v_fma_f64 v[23:24], -v[19:20], v[21:22], 1.0
	v_fma_f64 v[21:22], v[21:22], v[23:24], v[21:22]
	s_delay_alu instid0(VALU_DEP_1) | instskip(NEXT) | instid1(VALU_DEP_1)
	v_fma_f64 v[23:24], -v[19:20], v[21:22], 1.0
	v_fma_f64 v[21:22], v[21:22], v[23:24], v[21:22]
	v_div_scale_f64 v[23:24], vcc_lo, v[17:18], v[13:14], v[17:18]
	s_delay_alu instid0(VALU_DEP_1) | instskip(NEXT) | instid1(VALU_DEP_1)
	v_mul_f64 v[26:27], v[23:24], v[21:22]
	v_fma_f64 v[19:20], -v[19:20], v[26:27], v[23:24]
	s_delay_alu instid0(VALU_DEP_1) | instskip(NEXT) | instid1(VALU_DEP_1)
	v_div_fmas_f64 v[19:20], v[19:20], v[21:22], v[26:27]
	v_div_fixup_f64 v[17:18], v[19:20], v[13:14], v[17:18]
                                        ; implicit-def: $vgpr13_vgpr14
	s_and_not1_saveexec_b32 s1, s1
	s_cbranch_execnz .LBB164_58
.LBB164_53:
	s_or_b32 exec_lo, exec_lo, s1
	s_and_saveexec_b32 s1, s0
	s_delay_alu instid0(SALU_CYCLE_1)
	s_xor_b32 s0, exec_lo, s1
	s_cbranch_execz .LBB164_59
.LBB164_54:
	s_and_saveexec_b32 s1, s14
; %bb.55:
	s_delay_alu instid0(VALU_DEP_2) | instskip(NEXT) | instid1(VALU_DEP_2)
	v_mul_f64 v[15:16], v[15:16], 0.5
	v_mul_f64 v[17:18], v[17:18], 0.5
; %bb.56:
	s_or_b32 exec_lo, exec_lo, s1
	s_and_not1_saveexec_b32 s0, s0
	s_cbranch_execnz .LBB164_60
	s_branch .LBB164_61
.LBB164_57:
	s_and_not1_saveexec_b32 s1, s1
	s_cbranch_execz .LBB164_53
.LBB164_58:
	v_add_f64 v[13:14], v[13:14], -v[15:16]
	s_delay_alu instid0(VALU_DEP_1) | instskip(NEXT) | instid1(VALU_DEP_1)
	v_mul_f64 v[13:14], v[13:14], 0.5
	v_cmp_gt_f64_e32 vcc_lo, 0x10000000, v[13:14]
	v_cndmask_b32_e64 v15, 0, 1, vcc_lo
	s_delay_alu instid0(VALU_DEP_1) | instskip(NEXT) | instid1(VALU_DEP_1)
	v_lshlrev_b32_e32 v15, 8, v15
	v_ldexp_f64 v[13:14], v[13:14], v15
	s_delay_alu instid0(VALU_DEP_1) | instskip(SKIP_3) | instid1(VALU_DEP_1)
	v_rsq_f64_e32 v[15:16], v[13:14]
	s_waitcnt_depctr 0xfff
	v_mul_f64 v[19:20], v[13:14], v[15:16]
	v_mul_f64 v[15:16], v[15:16], 0.5
	v_fma_f64 v[21:22], -v[15:16], v[19:20], 0.5
	s_delay_alu instid0(VALU_DEP_1) | instskip(SKIP_1) | instid1(VALU_DEP_2)
	v_fma_f64 v[19:20], v[19:20], v[21:22], v[19:20]
	v_fma_f64 v[15:16], v[15:16], v[21:22], v[15:16]
	v_fma_f64 v[21:22], -v[19:20], v[19:20], v[13:14]
	s_delay_alu instid0(VALU_DEP_1) | instskip(NEXT) | instid1(VALU_DEP_1)
	v_fma_f64 v[19:20], v[21:22], v[15:16], v[19:20]
	v_fma_f64 v[21:22], -v[19:20], v[19:20], v[13:14]
	s_delay_alu instid0(VALU_DEP_1) | instskip(SKIP_3) | instid1(VALU_DEP_3)
	v_fma_f64 v[15:16], v[21:22], v[15:16], v[19:20]
	v_cndmask_b32_e64 v19, 0, 0xffffff80, vcc_lo
	v_cmp_class_f64_e64 vcc_lo, v[13:14], 0x260
	v_and_b32_e32 v20, 0x7fffffff, v18
	v_ldexp_f64 v[15:16], v[15:16], v19
	s_delay_alu instid0(VALU_DEP_1) | instskip(NEXT) | instid1(VALU_DEP_1)
	v_dual_cndmask_b32 v14, v16, v14 :: v_dual_cndmask_b32 v13, v15, v13
	v_add_f64 v[15:16], v[13:14], v[13:14]
	v_bfi_b32 v14, 0x7fffffff, v14, v18
	v_mov_b32_e32 v19, v17
	s_delay_alu instid0(VALU_DEP_1) | instskip(SKIP_1) | instid1(VALU_DEP_2)
	v_div_scale_f64 v[21:22], null, v[15:16], v[15:16], v[19:20]
	v_div_scale_f64 v[19:20], vcc_lo, v[19:20], v[15:16], v[19:20]
	v_rcp_f64_e32 v[23:24], v[21:22]
	s_waitcnt_depctr 0xfff
	v_fma_f64 v[26:27], -v[21:22], v[23:24], 1.0
	s_delay_alu instid0(VALU_DEP_1) | instskip(NEXT) | instid1(VALU_DEP_1)
	v_fma_f64 v[23:24], v[23:24], v[26:27], v[23:24]
	v_fma_f64 v[26:27], -v[21:22], v[23:24], 1.0
	s_delay_alu instid0(VALU_DEP_1) | instskip(NEXT) | instid1(VALU_DEP_1)
	v_fma_f64 v[23:24], v[23:24], v[26:27], v[23:24]
	v_mul_f64 v[26:27], v[19:20], v[23:24]
	s_delay_alu instid0(VALU_DEP_1) | instskip(NEXT) | instid1(VALU_DEP_1)
	v_fma_f64 v[19:20], -v[21:22], v[26:27], v[19:20]
	v_div_fmas_f64 v[19:20], v[19:20], v[23:24], v[26:27]
	s_delay_alu instid0(VALU_DEP_1) | instskip(SKIP_3) | instid1(SALU_CYCLE_1)
	v_div_fixup_f64 v[15:16], v[19:20], v[15:16], |v[17:18]|
	v_dual_mov_b32 v18, v14 :: v_dual_mov_b32 v17, v13
	s_or_b32 exec_lo, exec_lo, s1
	s_and_saveexec_b32 s1, s0
	s_xor_b32 s0, exec_lo, s1
	s_cbranch_execnz .LBB164_54
.LBB164_59:
	s_and_not1_saveexec_b32 s0, s0
.LBB164_60:
	s_delay_alu instid0(VALU_DEP_2) | instskip(NEXT) | instid1(VALU_DEP_2)
	v_add_f64 v[15:16], v[15:16], v[15:16]
	v_add_f64 v[17:18], v[17:18], v[17:18]
.LBB164_61:
	s_or_b32 exec_lo, exec_lo, s0
.LBB164_62:
	s_and_not1_saveexec_b32 s0, s13
	s_cbranch_execz .LBB164_68
; %bb.63:
	s_delay_alu instid0(VALU_DEP_1) | instskip(SKIP_1) | instid1(VALU_DEP_3)
	v_add_f64 v[13:14], v[17:18], -v[17:18]
	s_mov_b32 s1, exec_lo
	v_cmpx_lt_i64_e32 -1, v[15:16]
	s_xor_b32 s1, exec_lo, s1
; %bb.64:
	s_delay_alu instid0(VALU_DEP_2) | instskip(NEXT) | instid1(VALU_DEP_1)
	v_bfi_b32 v14, 0x7fffffff, v14, v18
	v_dual_mov_b32 v18, v14 :: v_dual_mov_b32 v17, v13
                                        ; implicit-def: $vgpr13_vgpr14
; %bb.65:
	s_and_not1_saveexec_b32 s1, s1
; %bb.66:
	s_delay_alu instid0(VALU_DEP_1) | instskip(SKIP_1) | instid1(VALU_DEP_2)
	v_bfi_b32 v16, 0x7fffffff, v16, v18
	v_and_b32_e32 v14, 0x7fffffff, v14
	v_dual_mov_b32 v18, v16 :: v_dual_mov_b32 v17, v15
	s_delay_alu instid0(VALU_DEP_2)
	v_dual_mov_b32 v16, v14 :: v_dual_mov_b32 v15, v13
; %bb.67:
	s_or_b32 exec_lo, exec_lo, s1
.LBB164_68:
	s_delay_alu instid0(SALU_CYCLE_1)
	s_or_b32 exec_lo, exec_lo, s0
.LBB164_69:
	s_and_not1_saveexec_b32 s0, s12
; %bb.70:
	s_delay_alu instid0(VALU_DEP_1) | instskip(NEXT) | instid1(VALU_DEP_1)
	v_add_f64 v[13:14], v[17:18], -v[17:18]
	v_div_scale_f64 v[17:18], vcc_lo, v[13:14], v[13:14], v[13:14]
	s_delay_alu instid0(VALU_DEP_1) | instskip(SKIP_2) | instid1(VALU_DEP_1)
	v_rcp_f64_e32 v[19:20], v[17:18]
	s_waitcnt_depctr 0xfff
	v_fma_f64 v[21:22], -v[17:18], v[19:20], 1.0
	v_fma_f64 v[19:20], v[19:20], v[21:22], v[19:20]
	s_delay_alu instid0(VALU_DEP_1) | instskip(NEXT) | instid1(VALU_DEP_1)
	v_fma_f64 v[21:22], -v[17:18], v[19:20], 1.0
	v_fma_f64 v[19:20], v[19:20], v[21:22], v[19:20]
	s_delay_alu instid0(VALU_DEP_1) | instskip(NEXT) | instid1(VALU_DEP_1)
	v_mul_f64 v[21:22], v[17:18], v[19:20]
	v_fma_f64 v[17:18], -v[17:18], v[21:22], v[17:18]
	s_delay_alu instid0(VALU_DEP_1) | instskip(NEXT) | instid1(VALU_DEP_1)
	v_div_fmas_f64 v[17:18], v[17:18], v[19:20], v[21:22]
	v_div_fixup_f64 v[17:18], v[17:18], v[13:14], v[13:14]
; %bb.71:
	s_or_b32 exec_lo, exec_lo, s0
	v_dual_mov_b32 v20, v16 :: v_dual_mov_b32 v19, v15
.LBB164_72:
	s_or_b32 exec_lo, exec_lo, s11
.LBB164_73:
	s_delay_alu instid0(SALU_CYCLE_1) | instskip(NEXT) | instid1(VALU_DEP_1)
	s_or_b32 exec_lo, exec_lo, s9
	v_cmp_gt_f64_e32 vcc_lo, 0, v[19:20]
	s_delay_alu instid0(VALU_DEP_3) | instskip(SKIP_2) | instid1(VALU_DEP_2)
	v_cmp_gt_f64_e64 s0, 0, v[17:18]
	v_xor_b32_e32 v13, 0x80000000, v20
	v_xor_b32_e32 v14, 0x80000000, v18
                                        ; implicit-def: $vgpr15_vgpr16
	v_dual_cndmask_b32 v22, v20, v13 :: v_dual_cndmask_b32 v21, v19, v19
	s_delay_alu instid0(VALU_DEP_2) | instskip(SKIP_2) | instid1(VALU_DEP_1)
	v_cndmask_b32_e64 v24, v18, v14, s0
	v_cndmask_b32_e64 v23, v17, v17, s0
	s_mov_b32 s0, exec_lo
	v_cmpx_ge_f64_e32 v[21:22], v[23:24]
	s_xor_b32 s1, exec_lo, s0
	s_cbranch_execz .LBB164_79
; %bb.74:
	v_cmp_neq_f64_e32 vcc_lo, 0, v[19:20]
	v_cmp_neq_f64_e64 s0, 0, v[17:18]
                                        ; implicit-def: $vgpr15_vgpr16
	s_delay_alu instid0(VALU_DEP_1) | instskip(NEXT) | instid1(SALU_CYCLE_1)
	s_or_b32 s0, vcc_lo, s0
	s_and_saveexec_b32 s9, s0
	s_delay_alu instid0(SALU_CYCLE_1)
	s_xor_b32 s0, exec_lo, s9
	s_cbranch_execz .LBB164_76
; %bb.75:
	v_div_scale_f64 v[13:14], null, v[19:20], v[19:20], v[17:18]
	v_div_scale_f64 v[23:24], vcc_lo, v[17:18], v[19:20], v[17:18]
	s_delay_alu instid0(VALU_DEP_2) | instskip(SKIP_2) | instid1(VALU_DEP_1)
	v_rcp_f64_e32 v[15:16], v[13:14]
	s_waitcnt_depctr 0xfff
	v_fma_f64 v[21:22], -v[13:14], v[15:16], 1.0
	v_fma_f64 v[15:16], v[15:16], v[21:22], v[15:16]
	s_delay_alu instid0(VALU_DEP_1) | instskip(NEXT) | instid1(VALU_DEP_1)
	v_fma_f64 v[21:22], -v[13:14], v[15:16], 1.0
	v_fma_f64 v[15:16], v[15:16], v[21:22], v[15:16]
	s_delay_alu instid0(VALU_DEP_1) | instskip(NEXT) | instid1(VALU_DEP_1)
	v_mul_f64 v[21:22], v[23:24], v[15:16]
	v_fma_f64 v[13:14], -v[13:14], v[21:22], v[23:24]
	s_delay_alu instid0(VALU_DEP_1) | instskip(NEXT) | instid1(VALU_DEP_1)
	v_div_fmas_f64 v[13:14], v[13:14], v[15:16], v[21:22]
	v_div_fixup_f64 v[13:14], v[13:14], v[19:20], v[17:18]
	s_delay_alu instid0(VALU_DEP_1) | instskip(NEXT) | instid1(VALU_DEP_1)
	v_fma_f64 v[15:16], v[17:18], v[13:14], v[19:20]
	v_div_scale_f64 v[17:18], null, v[15:16], v[15:16], 1.0
	v_div_scale_f64 v[23:24], vcc_lo, 1.0, v[15:16], 1.0
	s_delay_alu instid0(VALU_DEP_2) | instskip(SKIP_2) | instid1(VALU_DEP_1)
	v_rcp_f64_e32 v[19:20], v[17:18]
	s_waitcnt_depctr 0xfff
	v_fma_f64 v[21:22], -v[17:18], v[19:20], 1.0
	v_fma_f64 v[19:20], v[19:20], v[21:22], v[19:20]
	s_delay_alu instid0(VALU_DEP_1) | instskip(NEXT) | instid1(VALU_DEP_1)
	v_fma_f64 v[21:22], -v[17:18], v[19:20], 1.0
	v_fma_f64 v[19:20], v[19:20], v[21:22], v[19:20]
	s_delay_alu instid0(VALU_DEP_1) | instskip(NEXT) | instid1(VALU_DEP_1)
	v_mul_f64 v[21:22], v[23:24], v[19:20]
	v_fma_f64 v[17:18], -v[17:18], v[21:22], v[23:24]
                                        ; implicit-def: $vgpr23_vgpr24
	s_delay_alu instid0(VALU_DEP_1) | instskip(SKIP_1) | instid1(VALU_DEP_2)
	v_div_fmas_f64 v[17:18], v[17:18], v[19:20], v[21:22]
	v_fma_f64 v[19:20], v[13:14], 0, 1.0
                                        ; implicit-def: $vgpr21_vgpr22
	v_div_fixup_f64 v[15:16], v[17:18], v[15:16], 1.0
	v_add_f64 v[17:18], -v[13:14], 0
	s_delay_alu instid0(VALU_DEP_2) | instskip(NEXT) | instid1(VALU_DEP_2)
	v_mul_f64 v[13:14], v[19:20], v[15:16]
	v_mul_f64 v[15:16], v[17:18], v[15:16]
.LBB164_76:
	s_and_not1_saveexec_b32 s9, s0
	s_cbranch_execz .LBB164_78
; %bb.77:
	v_div_scale_f64 v[13:14], null, v[21:22], v[21:22], 1.0
	v_div_scale_f64 v[15:16], null, v[23:24], v[23:24], 0
	v_div_scale_f64 v[30:31], vcc_lo, 1.0, v[21:22], 1.0
	s_delay_alu instid0(VALU_DEP_3) | instskip(NEXT) | instid1(VALU_DEP_2)
	v_rcp_f64_e32 v[17:18], v[13:14]
	v_rcp_f64_e32 v[19:20], v[15:16]
	s_waitcnt_depctr 0xfff
	v_fma_f64 v[26:27], -v[13:14], v[17:18], 1.0
	v_fma_f64 v[28:29], -v[15:16], v[19:20], 1.0
	s_delay_alu instid0(VALU_DEP_2) | instskip(NEXT) | instid1(VALU_DEP_2)
	v_fma_f64 v[17:18], v[17:18], v[26:27], v[17:18]
	v_fma_f64 v[19:20], v[19:20], v[28:29], v[19:20]
	s_delay_alu instid0(VALU_DEP_2) | instskip(NEXT) | instid1(VALU_DEP_2)
	v_fma_f64 v[26:27], -v[13:14], v[17:18], 1.0
	v_fma_f64 v[28:29], -v[15:16], v[19:20], 1.0
	s_delay_alu instid0(VALU_DEP_2) | instskip(SKIP_1) | instid1(VALU_DEP_3)
	v_fma_f64 v[17:18], v[17:18], v[26:27], v[17:18]
	v_div_scale_f64 v[26:27], s0, 0, v[23:24], 0
	v_fma_f64 v[19:20], v[19:20], v[28:29], v[19:20]
	s_delay_alu instid0(VALU_DEP_3) | instskip(NEXT) | instid1(VALU_DEP_2)
	v_mul_f64 v[28:29], v[30:31], v[17:18]
	v_mul_f64 v[32:33], v[26:27], v[19:20]
	s_delay_alu instid0(VALU_DEP_2) | instskip(NEXT) | instid1(VALU_DEP_2)
	v_fma_f64 v[13:14], -v[13:14], v[28:29], v[30:31]
	v_fma_f64 v[15:16], -v[15:16], v[32:33], v[26:27]
	s_delay_alu instid0(VALU_DEP_2) | instskip(SKIP_1) | instid1(VALU_DEP_2)
	v_div_fmas_f64 v[13:14], v[13:14], v[17:18], v[28:29]
	s_mov_b32 vcc_lo, s0
	v_div_fmas_f64 v[15:16], v[15:16], v[19:20], v[32:33]
	s_delay_alu instid0(VALU_DEP_2) | instskip(NEXT) | instid1(VALU_DEP_2)
	v_div_fixup_f64 v[13:14], v[13:14], v[21:22], 1.0
	v_div_fixup_f64 v[15:16], v[15:16], v[23:24], 0
.LBB164_78:
	s_or_b32 exec_lo, exec_lo, s9
                                        ; implicit-def: $vgpr17_vgpr18
                                        ; implicit-def: $vgpr19_vgpr20
.LBB164_79:
	s_and_not1_saveexec_b32 s0, s1
	s_cbranch_execz .LBB164_81
; %bb.80:
	v_div_scale_f64 v[13:14], null, v[17:18], v[17:18], v[19:20]
	v_div_scale_f64 v[23:24], vcc_lo, v[19:20], v[17:18], v[19:20]
	s_delay_alu instid0(VALU_DEP_2) | instskip(SKIP_2) | instid1(VALU_DEP_1)
	v_rcp_f64_e32 v[15:16], v[13:14]
	s_waitcnt_depctr 0xfff
	v_fma_f64 v[21:22], -v[13:14], v[15:16], 1.0
	v_fma_f64 v[15:16], v[15:16], v[21:22], v[15:16]
	s_delay_alu instid0(VALU_DEP_1) | instskip(NEXT) | instid1(VALU_DEP_1)
	v_fma_f64 v[21:22], -v[13:14], v[15:16], 1.0
	v_fma_f64 v[15:16], v[15:16], v[21:22], v[15:16]
	s_delay_alu instid0(VALU_DEP_1) | instskip(NEXT) | instid1(VALU_DEP_1)
	v_mul_f64 v[21:22], v[23:24], v[15:16]
	v_fma_f64 v[13:14], -v[13:14], v[21:22], v[23:24]
	s_delay_alu instid0(VALU_DEP_1) | instskip(NEXT) | instid1(VALU_DEP_1)
	v_div_fmas_f64 v[13:14], v[13:14], v[15:16], v[21:22]
	v_div_fixup_f64 v[13:14], v[13:14], v[17:18], v[19:20]
	s_delay_alu instid0(VALU_DEP_1) | instskip(NEXT) | instid1(VALU_DEP_1)
	v_fma_f64 v[15:16], v[19:20], v[13:14], v[17:18]
	v_div_scale_f64 v[17:18], null, v[15:16], v[15:16], 1.0
	v_div_scale_f64 v[23:24], vcc_lo, 1.0, v[15:16], 1.0
	s_delay_alu instid0(VALU_DEP_2) | instskip(SKIP_2) | instid1(VALU_DEP_1)
	v_rcp_f64_e32 v[19:20], v[17:18]
	s_waitcnt_depctr 0xfff
	v_fma_f64 v[21:22], -v[17:18], v[19:20], 1.0
	v_fma_f64 v[19:20], v[19:20], v[21:22], v[19:20]
	s_delay_alu instid0(VALU_DEP_1) | instskip(NEXT) | instid1(VALU_DEP_1)
	v_fma_f64 v[21:22], -v[17:18], v[19:20], 1.0
	v_fma_f64 v[19:20], v[19:20], v[21:22], v[19:20]
	s_delay_alu instid0(VALU_DEP_1) | instskip(NEXT) | instid1(VALU_DEP_1)
	v_mul_f64 v[21:22], v[23:24], v[19:20]
	v_fma_f64 v[17:18], -v[17:18], v[21:22], v[23:24]
	s_delay_alu instid0(VALU_DEP_1) | instskip(SKIP_1) | instid1(VALU_DEP_2)
	v_div_fmas_f64 v[17:18], v[17:18], v[19:20], v[21:22]
	v_add_f64 v[19:20], v[13:14], 0
	v_div_fixup_f64 v[15:16], v[17:18], v[15:16], 1.0
	v_fma_f64 v[17:18], v[13:14], 0, -1.0
	s_delay_alu instid0(VALU_DEP_2) | instskip(NEXT) | instid1(VALU_DEP_2)
	v_mul_f64 v[13:14], v[19:20], v[15:16]
	v_mul_f64 v[15:16], v[17:18], v[15:16]
.LBB164_81:
	s_or_b32 exec_lo, exec_lo, s0
	s_waitcnt vmcnt(0)
	v_cmp_neq_f64_e32 vcc_lo, 0, v[9:10]
	v_cmp_neq_f64_e64 s0, 0, v[11:12]
	v_mov_b32_e32 v21, 0
	v_mov_b32_e32 v22, 0
	s_delay_alu instid0(VALU_DEP_3) | instskip(NEXT) | instid1(SALU_CYCLE_1)
	s_or_b32 s0, vcc_lo, s0
	s_and_saveexec_b32 s9, s0
	s_cbranch_execz .LBB164_113
; %bb.82:
	s_mov_b32 s0, 0
	s_mov_b32 s1, 0x7ff00000
	v_mov_b32_e32 v21, s0
	v_mov_b32_e32 v22, s1
	s_mov_b32 s11, exec_lo
	v_cmpx_neq_f64_e64 0x7ff00000, |v[11:12]|
	s_cbranch_execz .LBB164_112
; %bb.83:
	s_mov_b32 s0, exec_lo
	v_cmpx_o_f64_e32 v[9:10], v[9:10]
	s_xor_b32 s12, exec_lo, s0
	s_cbranch_execz .LBB164_109
; %bb.84:
	s_mov_b32 s1, exec_lo
	v_cmpx_neq_f64_e64 0x7ff00000, |v[9:10]|
	s_xor_b32 s13, exec_lo, s1
	s_cbranch_execz .LBB164_102
; %bb.85:
	v_max_f64 v[17:18], |v[11:12]|, |v[11:12]|
	v_max_f64 v[19:20], |v[9:10]|, |v[9:10]|
	s_mov_b32 s0, 0x99fcef32
	s_mov_b32 s1, 0x7fda8279
                                        ; implicit-def: $sgpr14
	s_delay_alu instid0(VALU_DEP_1) | instskip(NEXT) | instid1(VALU_DEP_1)
	v_max_f64 v[17:18], v[19:20], v[17:18]
	v_cmp_nle_f64_e64 s0, s[0:1], v[17:18]
	s_delay_alu instid0(VALU_DEP_1) | instskip(NEXT) | instid1(SALU_CYCLE_1)
	s_and_saveexec_b32 s1, s0
	s_xor_b32 s1, exec_lo, s1
	s_cbranch_execz .LBB164_89
; %bb.86:
	v_cmp_ge_f64_e64 s14, 0x200000, |v[9:10]|
	v_cmp_ge_f64_e64 s15, 0x200000, |v[11:12]|
	s_delay_alu instid0(VALU_DEP_1)
	s_and_b32 s16, s14, s15
	s_mov_b32 s14, 0
	s_and_saveexec_b32 s15, s16
; %bb.87:
	v_mul_f64 v[9:10], v[9:10], 4.0
	v_mul_f64 v[11:12], v[11:12], 4.0
	s_mov_b32 s14, exec_lo
; %bb.88:
	s_or_b32 exec_lo, exec_lo, s15
	s_delay_alu instid0(SALU_CYCLE_1)
	s_and_b32 s14, s14, exec_lo
.LBB164_89:
	s_and_not1_saveexec_b32 s1, s1
; %bb.90:
	s_delay_alu instid0(VALU_DEP_2) | instskip(NEXT) | instid1(VALU_DEP_2)
	v_ldexp_f64 v[9:10], v[9:10], -2
	v_ldexp_f64 v[11:12], v[11:12], -2
	s_and_not1_b32 s14, s14, exec_lo
; %bb.91:
	s_or_b32 exec_lo, exec_lo, s1
	s_delay_alu instid0(VALU_DEP_1) | instskip(NEXT) | instid1(VALU_DEP_3)
	v_max_f64 v[17:18], |v[11:12]|, |v[11:12]|
	v_max_f64 v[19:20], |v[9:10]|, |v[9:10]|
	v_cmp_class_f64_e64 s15, v[9:10], 0x204
	v_cmp_class_f64_e64 s16, v[11:12], 0x204
	v_cmp_le_f64_e64 s1, 0, v[9:10]
	s_delay_alu instid0(VALU_DEP_4) | instskip(NEXT) | instid1(VALU_DEP_3)
	v_max_f64 v[17:18], v[19:20], v[17:18]
	s_or_b32 s15, s16, s15
	s_delay_alu instid0(VALU_DEP_1) | instskip(NEXT) | instid1(VALU_DEP_1)
	v_frexp_exp_i32_f64_e32 v26, v[17:18]
	v_sub_nc_u32_e32 v19, 0, v26
	s_delay_alu instid0(VALU_DEP_1) | instskip(SKIP_1) | instid1(VALU_DEP_2)
	v_ldexp_f64 v[17:18], |v[11:12]|, v19
	v_ldexp_f64 v[19:20], |v[9:10]|, v19
	v_mul_f64 v[17:18], v[17:18], v[17:18]
	s_delay_alu instid0(VALU_DEP_1) | instskip(NEXT) | instid1(VALU_DEP_1)
	v_fma_f64 v[17:18], v[19:20], v[19:20], v[17:18]
	v_rsq_f64_e32 v[19:20], v[17:18]
	v_cmp_eq_f64_e32 vcc_lo, 0, v[17:18]
	s_waitcnt_depctr 0xfff
	v_mul_f64 v[21:22], v[17:18], v[19:20]
	v_mul_f64 v[19:20], v[19:20], 0.5
	s_delay_alu instid0(VALU_DEP_1) | instskip(NEXT) | instid1(VALU_DEP_1)
	v_fma_f64 v[23:24], -v[19:20], v[21:22], 0.5
	v_fma_f64 v[21:22], v[21:22], v[23:24], v[21:22]
	v_fma_f64 v[19:20], v[19:20], v[23:24], v[19:20]
	s_delay_alu instid0(VALU_DEP_2) | instskip(NEXT) | instid1(VALU_DEP_1)
	v_fma_f64 v[23:24], -v[21:22], v[21:22], v[17:18]
	v_fma_f64 v[19:20], v[23:24], v[19:20], v[21:22]
	s_delay_alu instid0(VALU_DEP_1) | instskip(SKIP_1) | instid1(VALU_DEP_2)
	v_dual_cndmask_b32 v18, v20, v18 :: v_dual_cndmask_b32 v17, v19, v17
	v_cmp_o_f64_e32 vcc_lo, v[11:12], v[11:12]
	v_ldexp_f64 v[17:18], v[17:18], v26
	s_delay_alu instid0(VALU_DEP_1) | instskip(NEXT) | instid1(VALU_DEP_2)
	v_cndmask_b32_e32 v17, 0, v17, vcc_lo
	v_cndmask_b32_e32 v18, 0x7ff80000, v18, vcc_lo
	s_delay_alu instid0(VALU_DEP_2) | instskip(NEXT) | instid1(VALU_DEP_2)
	v_cndmask_b32_e64 v17, v17, 0, s15
	v_cndmask_b32_e64 v18, v18, 0x7ff00000, s15
	s_and_saveexec_b32 s15, s1
	s_delay_alu instid0(SALU_CYCLE_1)
	s_xor_b32 s1, exec_lo, s15
	s_cbranch_execz .LBB164_97
; %bb.92:
	s_delay_alu instid0(VALU_DEP_1) | instskip(NEXT) | instid1(VALU_DEP_1)
	v_add_f64 v[9:10], v[9:10], v[17:18]
	v_mul_f64 v[9:10], v[9:10], 0.5
	s_delay_alu instid0(VALU_DEP_1) | instskip(SKIP_1) | instid1(VALU_DEP_1)
	v_cmp_gt_f64_e32 vcc_lo, 0x10000000, v[9:10]
	v_cndmask_b32_e64 v17, 0, 1, vcc_lo
	v_lshlrev_b32_e32 v17, 8, v17
	s_delay_alu instid0(VALU_DEP_1) | instskip(NEXT) | instid1(VALU_DEP_1)
	v_ldexp_f64 v[9:10], v[9:10], v17
	v_rsq_f64_e32 v[17:18], v[9:10]
	s_waitcnt_depctr 0xfff
	v_mul_f64 v[19:20], v[9:10], v[17:18]
	v_mul_f64 v[17:18], v[17:18], 0.5
	s_delay_alu instid0(VALU_DEP_1) | instskip(NEXT) | instid1(VALU_DEP_1)
	v_fma_f64 v[21:22], -v[17:18], v[19:20], 0.5
	v_fma_f64 v[19:20], v[19:20], v[21:22], v[19:20]
	v_fma_f64 v[17:18], v[17:18], v[21:22], v[17:18]
	s_delay_alu instid0(VALU_DEP_2) | instskip(NEXT) | instid1(VALU_DEP_1)
	v_fma_f64 v[21:22], -v[19:20], v[19:20], v[9:10]
	v_fma_f64 v[19:20], v[21:22], v[17:18], v[19:20]
	s_delay_alu instid0(VALU_DEP_1) | instskip(NEXT) | instid1(VALU_DEP_1)
	v_fma_f64 v[21:22], -v[19:20], v[19:20], v[9:10]
	v_fma_f64 v[17:18], v[21:22], v[17:18], v[19:20]
	v_cndmask_b32_e64 v19, 0, 0xffffff80, vcc_lo
	v_cmp_class_f64_e64 vcc_lo, v[9:10], 0x260
	s_delay_alu instid0(VALU_DEP_2) | instskip(NEXT) | instid1(VALU_DEP_1)
	v_ldexp_f64 v[17:18], v[17:18], v19
	v_dual_cndmask_b32 v10, v18, v10 :: v_dual_cndmask_b32 v9, v17, v9
	s_delay_alu instid0(VALU_DEP_1) | instskip(NEXT) | instid1(VALU_DEP_1)
	v_add_f64 v[17:18], v[9:10], v[9:10]
	v_div_scale_f64 v[19:20], null, v[17:18], v[17:18], v[11:12]
	s_delay_alu instid0(VALU_DEP_1) | instskip(SKIP_2) | instid1(VALU_DEP_1)
	v_rcp_f64_e32 v[21:22], v[19:20]
	s_waitcnt_depctr 0xfff
	v_fma_f64 v[23:24], -v[19:20], v[21:22], 1.0
	v_fma_f64 v[21:22], v[21:22], v[23:24], v[21:22]
	s_delay_alu instid0(VALU_DEP_1) | instskip(NEXT) | instid1(VALU_DEP_1)
	v_fma_f64 v[23:24], -v[19:20], v[21:22], 1.0
	v_fma_f64 v[21:22], v[21:22], v[23:24], v[21:22]
	v_div_scale_f64 v[23:24], vcc_lo, v[11:12], v[17:18], v[11:12]
	s_delay_alu instid0(VALU_DEP_1) | instskip(NEXT) | instid1(VALU_DEP_1)
	v_mul_f64 v[26:27], v[23:24], v[21:22]
	v_fma_f64 v[19:20], -v[19:20], v[26:27], v[23:24]
	s_delay_alu instid0(VALU_DEP_1) | instskip(NEXT) | instid1(VALU_DEP_1)
	v_div_fmas_f64 v[19:20], v[19:20], v[21:22], v[26:27]
	v_div_fixup_f64 v[11:12], v[19:20], v[17:18], v[11:12]
                                        ; implicit-def: $vgpr17_vgpr18
	s_and_not1_saveexec_b32 s1, s1
	s_cbranch_execnz .LBB164_98
.LBB164_93:
	s_or_b32 exec_lo, exec_lo, s1
	s_and_saveexec_b32 s1, s0
	s_delay_alu instid0(SALU_CYCLE_1)
	s_xor_b32 s0, exec_lo, s1
	s_cbranch_execz .LBB164_99
.LBB164_94:
	s_and_saveexec_b32 s1, s14
; %bb.95:
	s_delay_alu instid0(VALU_DEP_2) | instskip(NEXT) | instid1(VALU_DEP_2)
	v_mul_f64 v[9:10], v[9:10], 0.5
	v_mul_f64 v[11:12], v[11:12], 0.5
; %bb.96:
	s_or_b32 exec_lo, exec_lo, s1
	s_and_not1_saveexec_b32 s0, s0
	s_cbranch_execnz .LBB164_100
	s_branch .LBB164_101
.LBB164_97:
	s_and_not1_saveexec_b32 s1, s1
	s_cbranch_execz .LBB164_93
.LBB164_98:
	v_add_f64 v[9:10], v[17:18], -v[9:10]
	s_delay_alu instid0(VALU_DEP_1) | instskip(NEXT) | instid1(VALU_DEP_1)
	v_mul_f64 v[9:10], v[9:10], 0.5
	v_cmp_gt_f64_e32 vcc_lo, 0x10000000, v[9:10]
	v_cndmask_b32_e64 v17, 0, 1, vcc_lo
	s_delay_alu instid0(VALU_DEP_1) | instskip(NEXT) | instid1(VALU_DEP_1)
	v_lshlrev_b32_e32 v17, 8, v17
	v_ldexp_f64 v[9:10], v[9:10], v17
	s_delay_alu instid0(VALU_DEP_1) | instskip(SKIP_3) | instid1(VALU_DEP_1)
	v_rsq_f64_e32 v[17:18], v[9:10]
	s_waitcnt_depctr 0xfff
	v_mul_f64 v[19:20], v[9:10], v[17:18]
	v_mul_f64 v[17:18], v[17:18], 0.5
	v_fma_f64 v[21:22], -v[17:18], v[19:20], 0.5
	s_delay_alu instid0(VALU_DEP_1) | instskip(SKIP_1) | instid1(VALU_DEP_2)
	v_fma_f64 v[19:20], v[19:20], v[21:22], v[19:20]
	v_fma_f64 v[17:18], v[17:18], v[21:22], v[17:18]
	v_fma_f64 v[21:22], -v[19:20], v[19:20], v[9:10]
	s_delay_alu instid0(VALU_DEP_1) | instskip(NEXT) | instid1(VALU_DEP_1)
	v_fma_f64 v[19:20], v[21:22], v[17:18], v[19:20]
	v_fma_f64 v[21:22], -v[19:20], v[19:20], v[9:10]
	s_delay_alu instid0(VALU_DEP_1) | instskip(SKIP_3) | instid1(VALU_DEP_3)
	v_fma_f64 v[17:18], v[21:22], v[17:18], v[19:20]
	v_cndmask_b32_e64 v19, 0, 0xffffff80, vcc_lo
	v_cmp_class_f64_e64 vcc_lo, v[9:10], 0x260
	v_and_b32_e32 v20, 0x7fffffff, v12
	v_ldexp_f64 v[17:18], v[17:18], v19
	s_delay_alu instid0(VALU_DEP_1) | instskip(NEXT) | instid1(VALU_DEP_1)
	v_dual_cndmask_b32 v18, v18, v10 :: v_dual_cndmask_b32 v17, v17, v9
	v_add_f64 v[9:10], v[17:18], v[17:18]
	v_bfi_b32 v18, 0x7fffffff, v18, v12
	v_mov_b32_e32 v19, v11
	s_delay_alu instid0(VALU_DEP_1) | instskip(SKIP_1) | instid1(VALU_DEP_2)
	v_div_scale_f64 v[21:22], null, v[9:10], v[9:10], v[19:20]
	v_div_scale_f64 v[19:20], vcc_lo, v[19:20], v[9:10], v[19:20]
	v_rcp_f64_e32 v[23:24], v[21:22]
	s_waitcnt_depctr 0xfff
	v_fma_f64 v[26:27], -v[21:22], v[23:24], 1.0
	s_delay_alu instid0(VALU_DEP_1) | instskip(NEXT) | instid1(VALU_DEP_1)
	v_fma_f64 v[23:24], v[23:24], v[26:27], v[23:24]
	v_fma_f64 v[26:27], -v[21:22], v[23:24], 1.0
	s_delay_alu instid0(VALU_DEP_1) | instskip(NEXT) | instid1(VALU_DEP_1)
	v_fma_f64 v[23:24], v[23:24], v[26:27], v[23:24]
	v_mul_f64 v[26:27], v[19:20], v[23:24]
	s_delay_alu instid0(VALU_DEP_1) | instskip(NEXT) | instid1(VALU_DEP_1)
	v_fma_f64 v[19:20], -v[21:22], v[26:27], v[19:20]
	v_div_fmas_f64 v[19:20], v[19:20], v[23:24], v[26:27]
	s_delay_alu instid0(VALU_DEP_1) | instskip(SKIP_3) | instid1(SALU_CYCLE_1)
	v_div_fixup_f64 v[9:10], v[19:20], v[9:10], |v[11:12]|
	v_dual_mov_b32 v11, v17 :: v_dual_mov_b32 v12, v18
	s_or_b32 exec_lo, exec_lo, s1
	s_and_saveexec_b32 s1, s0
	s_xor_b32 s0, exec_lo, s1
	s_cbranch_execnz .LBB164_94
.LBB164_99:
	s_and_not1_saveexec_b32 s0, s0
.LBB164_100:
	s_delay_alu instid0(VALU_DEP_2) | instskip(NEXT) | instid1(VALU_DEP_2)
	v_add_f64 v[9:10], v[9:10], v[9:10]
	v_add_f64 v[11:12], v[11:12], v[11:12]
.LBB164_101:
	s_or_b32 exec_lo, exec_lo, s0
.LBB164_102:
	s_and_not1_saveexec_b32 s0, s13
	s_cbranch_execz .LBB164_108
; %bb.103:
	s_delay_alu instid0(VALU_DEP_1) | instskip(SKIP_1) | instid1(VALU_DEP_3)
	v_add_f64 v[17:18], v[11:12], -v[11:12]
	s_mov_b32 s1, exec_lo
	v_cmpx_lt_i64_e32 -1, v[9:10]
	s_xor_b32 s1, exec_lo, s1
; %bb.104:
	s_delay_alu instid0(VALU_DEP_2) | instskip(NEXT) | instid1(VALU_DEP_1)
	v_bfi_b32 v18, 0x7fffffff, v18, v12
	v_dual_mov_b32 v11, v17 :: v_dual_mov_b32 v12, v18
                                        ; implicit-def: $vgpr17_vgpr18
; %bb.105:
	s_and_not1_saveexec_b32 s1, s1
; %bb.106:
	s_delay_alu instid0(VALU_DEP_1) | instskip(SKIP_1) | instid1(VALU_DEP_2)
	v_bfi_b32 v10, 0x7fffffff, v10, v12
	v_and_b32_e32 v18, 0x7fffffff, v18
	v_dual_mov_b32 v12, v10 :: v_dual_mov_b32 v11, v9
	s_delay_alu instid0(VALU_DEP_2)
	v_dual_mov_b32 v9, v17 :: v_dual_mov_b32 v10, v18
; %bb.107:
	s_or_b32 exec_lo, exec_lo, s1
.LBB164_108:
	s_delay_alu instid0(SALU_CYCLE_1)
	s_or_b32 exec_lo, exec_lo, s0
.LBB164_109:
	s_and_not1_saveexec_b32 s0, s12
; %bb.110:
	s_delay_alu instid0(VALU_DEP_1) | instskip(NEXT) | instid1(VALU_DEP_1)
	v_add_f64 v[11:12], v[11:12], -v[11:12]
	v_div_scale_f64 v[17:18], vcc_lo, v[11:12], v[11:12], v[11:12]
	s_delay_alu instid0(VALU_DEP_1) | instskip(SKIP_2) | instid1(VALU_DEP_1)
	v_rcp_f64_e32 v[19:20], v[17:18]
	s_waitcnt_depctr 0xfff
	v_fma_f64 v[21:22], -v[17:18], v[19:20], 1.0
	v_fma_f64 v[19:20], v[19:20], v[21:22], v[19:20]
	s_delay_alu instid0(VALU_DEP_1) | instskip(NEXT) | instid1(VALU_DEP_1)
	v_fma_f64 v[21:22], -v[17:18], v[19:20], 1.0
	v_fma_f64 v[19:20], v[19:20], v[21:22], v[19:20]
	s_delay_alu instid0(VALU_DEP_1) | instskip(NEXT) | instid1(VALU_DEP_1)
	v_mul_f64 v[21:22], v[17:18], v[19:20]
	v_fma_f64 v[17:18], -v[17:18], v[21:22], v[17:18]
	s_delay_alu instid0(VALU_DEP_1) | instskip(NEXT) | instid1(VALU_DEP_1)
	v_div_fmas_f64 v[17:18], v[17:18], v[19:20], v[21:22]
	v_div_fixup_f64 v[11:12], v[17:18], v[11:12], v[11:12]
; %bb.111:
	s_or_b32 exec_lo, exec_lo, s0
	v_dual_mov_b32 v22, v10 :: v_dual_mov_b32 v21, v9
.LBB164_112:
	s_or_b32 exec_lo, exec_lo, s11
.LBB164_113:
	s_delay_alu instid0(SALU_CYCLE_1) | instskip(NEXT) | instid1(VALU_DEP_1)
	s_or_b32 exec_lo, exec_lo, s9
	v_cmp_gt_f64_e32 vcc_lo, 0, v[21:22]
	s_delay_alu instid0(VALU_DEP_3) | instskip(SKIP_2) | instid1(VALU_DEP_2)
	v_cmp_gt_f64_e64 s0, 0, v[11:12]
	v_xor_b32_e32 v9, 0x80000000, v22
	v_xor_b32_e32 v17, 0x80000000, v12
                                        ; implicit-def: $vgpr19_vgpr20
	v_cndmask_b32_e32 v10, v22, v9, vcc_lo
	s_delay_alu instid0(VALU_DEP_2) | instskip(SKIP_3) | instid1(VALU_DEP_1)
	v_cndmask_b32_e64 v24, v12, v17, s0
	v_cndmask_b32_e32 v9, v21, v21, vcc_lo
	v_cndmask_b32_e64 v23, v11, v11, s0
	s_mov_b32 s0, exec_lo
	v_cmpx_ge_f64_e32 v[9:10], v[23:24]
	s_xor_b32 s1, exec_lo, s0
	s_cbranch_execz .LBB164_119
; %bb.114:
	v_cmp_neq_f64_e32 vcc_lo, 0, v[21:22]
	v_cmp_neq_f64_e64 s0, 0, v[11:12]
                                        ; implicit-def: $vgpr19_vgpr20
	s_delay_alu instid0(VALU_DEP_1) | instskip(NEXT) | instid1(SALU_CYCLE_1)
	s_or_b32 s0, vcc_lo, s0
	s_and_saveexec_b32 s9, s0
	s_delay_alu instid0(SALU_CYCLE_1)
	s_xor_b32 s0, exec_lo, s9
	s_cbranch_execz .LBB164_116
; %bb.115:
	v_div_scale_f64 v[9:10], null, v[21:22], v[21:22], v[11:12]
	v_div_scale_f64 v[23:24], vcc_lo, v[11:12], v[21:22], v[11:12]
	s_delay_alu instid0(VALU_DEP_2) | instskip(SKIP_2) | instid1(VALU_DEP_1)
	v_rcp_f64_e32 v[17:18], v[9:10]
	s_waitcnt_depctr 0xfff
	v_fma_f64 v[19:20], -v[9:10], v[17:18], 1.0
	v_fma_f64 v[17:18], v[17:18], v[19:20], v[17:18]
	s_delay_alu instid0(VALU_DEP_1) | instskip(NEXT) | instid1(VALU_DEP_1)
	v_fma_f64 v[19:20], -v[9:10], v[17:18], 1.0
	v_fma_f64 v[17:18], v[17:18], v[19:20], v[17:18]
	s_delay_alu instid0(VALU_DEP_1) | instskip(NEXT) | instid1(VALU_DEP_1)
	v_mul_f64 v[19:20], v[23:24], v[17:18]
	v_fma_f64 v[9:10], -v[9:10], v[19:20], v[23:24]
	s_delay_alu instid0(VALU_DEP_1) | instskip(NEXT) | instid1(VALU_DEP_1)
	v_div_fmas_f64 v[9:10], v[9:10], v[17:18], v[19:20]
	v_div_fixup_f64 v[9:10], v[9:10], v[21:22], v[11:12]
	s_delay_alu instid0(VALU_DEP_1) | instskip(NEXT) | instid1(VALU_DEP_1)
	v_fma_f64 v[11:12], v[11:12], v[9:10], v[21:22]
	v_div_scale_f64 v[17:18], null, v[11:12], v[11:12], 1.0
	v_div_scale_f64 v[23:24], vcc_lo, 1.0, v[11:12], 1.0
	s_delay_alu instid0(VALU_DEP_2) | instskip(SKIP_2) | instid1(VALU_DEP_1)
	v_rcp_f64_e32 v[19:20], v[17:18]
	s_waitcnt_depctr 0xfff
	v_fma_f64 v[21:22], -v[17:18], v[19:20], 1.0
	v_fma_f64 v[19:20], v[19:20], v[21:22], v[19:20]
	s_delay_alu instid0(VALU_DEP_1) | instskip(NEXT) | instid1(VALU_DEP_1)
	v_fma_f64 v[21:22], -v[17:18], v[19:20], 1.0
	v_fma_f64 v[19:20], v[19:20], v[21:22], v[19:20]
	s_delay_alu instid0(VALU_DEP_1) | instskip(NEXT) | instid1(VALU_DEP_1)
	v_mul_f64 v[21:22], v[23:24], v[19:20]
	v_fma_f64 v[17:18], -v[17:18], v[21:22], v[23:24]
                                        ; implicit-def: $vgpr23_vgpr24
	s_delay_alu instid0(VALU_DEP_1) | instskip(SKIP_2) | instid1(VALU_DEP_3)
	v_div_fmas_f64 v[17:18], v[17:18], v[19:20], v[21:22]
	v_fma_f64 v[19:20], v[9:10], 0, 1.0
	v_add_f64 v[9:10], -v[9:10], 0
	v_div_fixup_f64 v[11:12], v[17:18], v[11:12], 1.0
	s_delay_alu instid0(VALU_DEP_1) | instskip(NEXT) | instid1(VALU_DEP_3)
	v_mul_f64 v[17:18], v[19:20], v[11:12]
	v_mul_f64 v[19:20], v[9:10], v[11:12]
                                        ; implicit-def: $vgpr9_vgpr10
.LBB164_116:
	s_and_not1_saveexec_b32 s9, s0
	s_cbranch_execz .LBB164_118
; %bb.117:
	v_div_scale_f64 v[11:12], null, v[9:10], v[9:10], 1.0
	v_div_scale_f64 v[17:18], null, v[23:24], v[23:24], 0
	v_div_scale_f64 v[30:31], vcc_lo, 1.0, v[9:10], 1.0
	s_delay_alu instid0(VALU_DEP_3) | instskip(NEXT) | instid1(VALU_DEP_2)
	v_rcp_f64_e32 v[19:20], v[11:12]
	v_rcp_f64_e32 v[21:22], v[17:18]
	s_waitcnt_depctr 0xfff
	v_fma_f64 v[26:27], -v[11:12], v[19:20], 1.0
	v_fma_f64 v[28:29], -v[17:18], v[21:22], 1.0
	s_delay_alu instid0(VALU_DEP_2) | instskip(NEXT) | instid1(VALU_DEP_2)
	v_fma_f64 v[19:20], v[19:20], v[26:27], v[19:20]
	v_fma_f64 v[21:22], v[21:22], v[28:29], v[21:22]
	s_delay_alu instid0(VALU_DEP_2) | instskip(NEXT) | instid1(VALU_DEP_2)
	v_fma_f64 v[26:27], -v[11:12], v[19:20], 1.0
	v_fma_f64 v[28:29], -v[17:18], v[21:22], 1.0
	s_delay_alu instid0(VALU_DEP_2) | instskip(SKIP_1) | instid1(VALU_DEP_3)
	v_fma_f64 v[19:20], v[19:20], v[26:27], v[19:20]
	v_div_scale_f64 v[26:27], s0, 0, v[23:24], 0
	v_fma_f64 v[21:22], v[21:22], v[28:29], v[21:22]
	s_delay_alu instid0(VALU_DEP_3) | instskip(NEXT) | instid1(VALU_DEP_2)
	v_mul_f64 v[28:29], v[30:31], v[19:20]
	v_mul_f64 v[32:33], v[26:27], v[21:22]
	s_delay_alu instid0(VALU_DEP_2) | instskip(NEXT) | instid1(VALU_DEP_2)
	v_fma_f64 v[11:12], -v[11:12], v[28:29], v[30:31]
	v_fma_f64 v[17:18], -v[17:18], v[32:33], v[26:27]
	s_delay_alu instid0(VALU_DEP_2) | instskip(SKIP_1) | instid1(VALU_DEP_2)
	v_div_fmas_f64 v[11:12], v[11:12], v[19:20], v[28:29]
	s_mov_b32 vcc_lo, s0
	v_div_fmas_f64 v[19:20], v[17:18], v[21:22], v[32:33]
	s_delay_alu instid0(VALU_DEP_2) | instskip(NEXT) | instid1(VALU_DEP_2)
	v_div_fixup_f64 v[17:18], v[11:12], v[9:10], 1.0
	v_div_fixup_f64 v[19:20], v[19:20], v[23:24], 0
.LBB164_118:
	s_or_b32 exec_lo, exec_lo, s9
                                        ; implicit-def: $vgpr11_vgpr12
                                        ; implicit-def: $vgpr21_vgpr22
.LBB164_119:
	s_and_not1_saveexec_b32 s0, s1
	s_cbranch_execz .LBB164_121
; %bb.120:
	v_div_scale_f64 v[9:10], null, v[11:12], v[11:12], v[21:22]
	v_div_scale_f64 v[23:24], vcc_lo, v[21:22], v[11:12], v[21:22]
	s_delay_alu instid0(VALU_DEP_2) | instskip(SKIP_2) | instid1(VALU_DEP_1)
	v_rcp_f64_e32 v[17:18], v[9:10]
	s_waitcnt_depctr 0xfff
	v_fma_f64 v[19:20], -v[9:10], v[17:18], 1.0
	v_fma_f64 v[17:18], v[17:18], v[19:20], v[17:18]
	s_delay_alu instid0(VALU_DEP_1) | instskip(NEXT) | instid1(VALU_DEP_1)
	v_fma_f64 v[19:20], -v[9:10], v[17:18], 1.0
	v_fma_f64 v[17:18], v[17:18], v[19:20], v[17:18]
	s_delay_alu instid0(VALU_DEP_1) | instskip(NEXT) | instid1(VALU_DEP_1)
	v_mul_f64 v[19:20], v[23:24], v[17:18]
	v_fma_f64 v[9:10], -v[9:10], v[19:20], v[23:24]
	s_delay_alu instid0(VALU_DEP_1) | instskip(NEXT) | instid1(VALU_DEP_1)
	v_div_fmas_f64 v[9:10], v[9:10], v[17:18], v[19:20]
	v_div_fixup_f64 v[9:10], v[9:10], v[11:12], v[21:22]
	s_delay_alu instid0(VALU_DEP_1) | instskip(NEXT) | instid1(VALU_DEP_1)
	v_fma_f64 v[11:12], v[21:22], v[9:10], v[11:12]
	v_div_scale_f64 v[17:18], null, v[11:12], v[11:12], 1.0
	v_div_scale_f64 v[23:24], vcc_lo, 1.0, v[11:12], 1.0
	s_delay_alu instid0(VALU_DEP_2) | instskip(SKIP_2) | instid1(VALU_DEP_1)
	v_rcp_f64_e32 v[19:20], v[17:18]
	s_waitcnt_depctr 0xfff
	v_fma_f64 v[21:22], -v[17:18], v[19:20], 1.0
	v_fma_f64 v[19:20], v[19:20], v[21:22], v[19:20]
	s_delay_alu instid0(VALU_DEP_1) | instskip(NEXT) | instid1(VALU_DEP_1)
	v_fma_f64 v[21:22], -v[17:18], v[19:20], 1.0
	v_fma_f64 v[19:20], v[19:20], v[21:22], v[19:20]
	s_delay_alu instid0(VALU_DEP_1) | instskip(NEXT) | instid1(VALU_DEP_1)
	v_mul_f64 v[21:22], v[23:24], v[19:20]
	v_fma_f64 v[17:18], -v[17:18], v[21:22], v[23:24]
	s_delay_alu instid0(VALU_DEP_1) | instskip(SKIP_2) | instid1(VALU_DEP_3)
	v_div_fmas_f64 v[17:18], v[17:18], v[19:20], v[21:22]
	v_add_f64 v[19:20], v[9:10], 0
	v_fma_f64 v[9:10], v[9:10], 0, -1.0
	v_div_fixup_f64 v[11:12], v[17:18], v[11:12], 1.0
	s_delay_alu instid0(VALU_DEP_1) | instskip(NEXT) | instid1(VALU_DEP_3)
	v_mul_f64 v[17:18], v[19:20], v[11:12]
	v_mul_f64 v[19:20], v[9:10], v[11:12]
.LBB164_121:
	s_or_b32 exec_lo, exec_lo, s0
	v_cmp_neq_f64_e32 vcc_lo, 0, v[1:2]
	v_cmp_neq_f64_e64 s0, 0, v[3:4]
	v_mov_b32_e32 v21, 0
	v_mov_b32_e32 v22, 0
	s_delay_alu instid0(VALU_DEP_3) | instskip(NEXT) | instid1(SALU_CYCLE_1)
	s_or_b32 s0, vcc_lo, s0
	s_and_saveexec_b32 s9, s0
	s_cbranch_execz .LBB164_153
; %bb.122:
	s_mov_b32 s0, 0
	s_mov_b32 s1, 0x7ff00000
	v_mov_b32_e32 v21, s0
	v_mov_b32_e32 v22, s1
	s_mov_b32 s11, exec_lo
	v_cmpx_neq_f64_e64 0x7ff00000, |v[3:4]|
	s_cbranch_execz .LBB164_152
; %bb.123:
	s_mov_b32 s0, exec_lo
	v_cmpx_o_f64_e32 v[1:2], v[1:2]
	s_xor_b32 s12, exec_lo, s0
	s_cbranch_execz .LBB164_149
; %bb.124:
	s_mov_b32 s1, exec_lo
	v_cmpx_neq_f64_e64 0x7ff00000, |v[1:2]|
	s_xor_b32 s13, exec_lo, s1
	s_cbranch_execz .LBB164_142
; %bb.125:
	v_max_f64 v[9:10], |v[3:4]|, |v[3:4]|
	v_max_f64 v[11:12], |v[1:2]|, |v[1:2]|
	s_mov_b32 s0, 0x99fcef32
	s_mov_b32 s1, 0x7fda8279
                                        ; implicit-def: $sgpr14
	s_delay_alu instid0(VALU_DEP_1) | instskip(NEXT) | instid1(VALU_DEP_1)
	v_max_f64 v[9:10], v[11:12], v[9:10]
	v_cmp_nle_f64_e64 s0, s[0:1], v[9:10]
	s_delay_alu instid0(VALU_DEP_1) | instskip(NEXT) | instid1(SALU_CYCLE_1)
	s_and_saveexec_b32 s1, s0
	s_xor_b32 s1, exec_lo, s1
	s_cbranch_execz .LBB164_129
; %bb.126:
	v_cmp_ge_f64_e64 s14, 0x200000, |v[1:2]|
	v_cmp_ge_f64_e64 s15, 0x200000, |v[3:4]|
	s_delay_alu instid0(VALU_DEP_1)
	s_and_b32 s16, s14, s15
	s_mov_b32 s14, 0
	s_and_saveexec_b32 s15, s16
; %bb.127:
	v_mul_f64 v[1:2], v[1:2], 4.0
	v_mul_f64 v[3:4], v[3:4], 4.0
	s_mov_b32 s14, exec_lo
; %bb.128:
	s_or_b32 exec_lo, exec_lo, s15
	s_delay_alu instid0(SALU_CYCLE_1)
	s_and_b32 s14, s14, exec_lo
.LBB164_129:
	s_and_not1_saveexec_b32 s1, s1
; %bb.130:
	s_delay_alu instid0(VALU_DEP_2) | instskip(NEXT) | instid1(VALU_DEP_2)
	v_ldexp_f64 v[1:2], v[1:2], -2
	v_ldexp_f64 v[3:4], v[3:4], -2
	s_and_not1_b32 s14, s14, exec_lo
; %bb.131:
	s_or_b32 exec_lo, exec_lo, s1
	s_delay_alu instid0(VALU_DEP_1) | instskip(NEXT) | instid1(VALU_DEP_3)
	v_max_f64 v[9:10], |v[3:4]|, |v[3:4]|
	v_max_f64 v[11:12], |v[1:2]|, |v[1:2]|
	v_cmp_class_f64_e64 s15, v[1:2], 0x204
	v_cmp_class_f64_e64 s16, v[3:4], 0x204
	v_cmp_le_f64_e64 s1, 0, v[1:2]
	s_delay_alu instid0(VALU_DEP_4) | instskip(NEXT) | instid1(VALU_DEP_3)
	v_max_f64 v[9:10], v[11:12], v[9:10]
	s_or_b32 s15, s16, s15
	s_delay_alu instid0(VALU_DEP_1) | instskip(NEXT) | instid1(VALU_DEP_1)
	v_frexp_exp_i32_f64_e32 v26, v[9:10]
	v_sub_nc_u32_e32 v11, 0, v26
	s_delay_alu instid0(VALU_DEP_1) | instskip(SKIP_1) | instid1(VALU_DEP_2)
	v_ldexp_f64 v[9:10], |v[3:4]|, v11
	v_ldexp_f64 v[11:12], |v[1:2]|, v11
	v_mul_f64 v[9:10], v[9:10], v[9:10]
	s_delay_alu instid0(VALU_DEP_1) | instskip(NEXT) | instid1(VALU_DEP_1)
	v_fma_f64 v[9:10], v[11:12], v[11:12], v[9:10]
	v_rsq_f64_e32 v[11:12], v[9:10]
	v_cmp_eq_f64_e32 vcc_lo, 0, v[9:10]
	s_waitcnt_depctr 0xfff
	v_mul_f64 v[21:22], v[9:10], v[11:12]
	v_mul_f64 v[11:12], v[11:12], 0.5
	s_delay_alu instid0(VALU_DEP_1) | instskip(NEXT) | instid1(VALU_DEP_1)
	v_fma_f64 v[23:24], -v[11:12], v[21:22], 0.5
	v_fma_f64 v[21:22], v[21:22], v[23:24], v[21:22]
	v_fma_f64 v[11:12], v[11:12], v[23:24], v[11:12]
	s_delay_alu instid0(VALU_DEP_2) | instskip(NEXT) | instid1(VALU_DEP_1)
	v_fma_f64 v[23:24], -v[21:22], v[21:22], v[9:10]
	v_fma_f64 v[11:12], v[23:24], v[11:12], v[21:22]
	s_delay_alu instid0(VALU_DEP_1) | instskip(SKIP_1) | instid1(VALU_DEP_2)
	v_dual_cndmask_b32 v10, v12, v10 :: v_dual_cndmask_b32 v9, v11, v9
	v_cmp_o_f64_e32 vcc_lo, v[3:4], v[3:4]
	v_ldexp_f64 v[9:10], v[9:10], v26
	s_delay_alu instid0(VALU_DEP_1) | instskip(NEXT) | instid1(VALU_DEP_2)
	v_cndmask_b32_e32 v9, 0, v9, vcc_lo
	v_cndmask_b32_e32 v10, 0x7ff80000, v10, vcc_lo
	s_delay_alu instid0(VALU_DEP_2) | instskip(NEXT) | instid1(VALU_DEP_2)
	v_cndmask_b32_e64 v9, v9, 0, s15
	v_cndmask_b32_e64 v10, v10, 0x7ff00000, s15
	s_and_saveexec_b32 s15, s1
	s_delay_alu instid0(SALU_CYCLE_1)
	s_xor_b32 s1, exec_lo, s15
	s_cbranch_execz .LBB164_137
; %bb.132:
	s_delay_alu instid0(VALU_DEP_1) | instskip(NEXT) | instid1(VALU_DEP_1)
	v_add_f64 v[1:2], v[1:2], v[9:10]
	v_mul_f64 v[1:2], v[1:2], 0.5
	s_delay_alu instid0(VALU_DEP_1) | instskip(SKIP_1) | instid1(VALU_DEP_1)
	v_cmp_gt_f64_e32 vcc_lo, 0x10000000, v[1:2]
	v_cndmask_b32_e64 v9, 0, 1, vcc_lo
	v_lshlrev_b32_e32 v9, 8, v9
	s_delay_alu instid0(VALU_DEP_1) | instskip(NEXT) | instid1(VALU_DEP_1)
	v_ldexp_f64 v[1:2], v[1:2], v9
	v_rsq_f64_e32 v[9:10], v[1:2]
	s_waitcnt_depctr 0xfff
	v_mul_f64 v[11:12], v[1:2], v[9:10]
	v_mul_f64 v[9:10], v[9:10], 0.5
	s_delay_alu instid0(VALU_DEP_1) | instskip(NEXT) | instid1(VALU_DEP_1)
	v_fma_f64 v[21:22], -v[9:10], v[11:12], 0.5
	v_fma_f64 v[11:12], v[11:12], v[21:22], v[11:12]
	v_fma_f64 v[9:10], v[9:10], v[21:22], v[9:10]
	s_delay_alu instid0(VALU_DEP_2) | instskip(NEXT) | instid1(VALU_DEP_1)
	v_fma_f64 v[21:22], -v[11:12], v[11:12], v[1:2]
	v_fma_f64 v[11:12], v[21:22], v[9:10], v[11:12]
	s_delay_alu instid0(VALU_DEP_1) | instskip(NEXT) | instid1(VALU_DEP_1)
	v_fma_f64 v[21:22], -v[11:12], v[11:12], v[1:2]
	v_fma_f64 v[9:10], v[21:22], v[9:10], v[11:12]
	v_cndmask_b32_e64 v11, 0, 0xffffff80, vcc_lo
	v_cmp_class_f64_e64 vcc_lo, v[1:2], 0x260
	s_delay_alu instid0(VALU_DEP_2) | instskip(NEXT) | instid1(VALU_DEP_1)
	v_ldexp_f64 v[9:10], v[9:10], v11
	v_dual_cndmask_b32 v2, v10, v2 :: v_dual_cndmask_b32 v1, v9, v1
	s_delay_alu instid0(VALU_DEP_1) | instskip(NEXT) | instid1(VALU_DEP_1)
	v_add_f64 v[9:10], v[1:2], v[1:2]
	v_div_scale_f64 v[11:12], null, v[9:10], v[9:10], v[3:4]
	s_delay_alu instid0(VALU_DEP_1) | instskip(SKIP_2) | instid1(VALU_DEP_1)
	v_rcp_f64_e32 v[21:22], v[11:12]
	s_waitcnt_depctr 0xfff
	v_fma_f64 v[23:24], -v[11:12], v[21:22], 1.0
	v_fma_f64 v[21:22], v[21:22], v[23:24], v[21:22]
	s_delay_alu instid0(VALU_DEP_1) | instskip(NEXT) | instid1(VALU_DEP_1)
	v_fma_f64 v[23:24], -v[11:12], v[21:22], 1.0
	v_fma_f64 v[21:22], v[21:22], v[23:24], v[21:22]
	v_div_scale_f64 v[23:24], vcc_lo, v[3:4], v[9:10], v[3:4]
	s_delay_alu instid0(VALU_DEP_1) | instskip(NEXT) | instid1(VALU_DEP_1)
	v_mul_f64 v[26:27], v[23:24], v[21:22]
	v_fma_f64 v[11:12], -v[11:12], v[26:27], v[23:24]
	s_delay_alu instid0(VALU_DEP_1) | instskip(NEXT) | instid1(VALU_DEP_1)
	v_div_fmas_f64 v[11:12], v[11:12], v[21:22], v[26:27]
	v_div_fixup_f64 v[3:4], v[11:12], v[9:10], v[3:4]
                                        ; implicit-def: $vgpr9_vgpr10
	s_and_not1_saveexec_b32 s1, s1
	s_cbranch_execnz .LBB164_138
.LBB164_133:
	s_or_b32 exec_lo, exec_lo, s1
	s_and_saveexec_b32 s1, s0
	s_delay_alu instid0(SALU_CYCLE_1)
	s_xor_b32 s0, exec_lo, s1
	s_cbranch_execz .LBB164_139
.LBB164_134:
	s_and_saveexec_b32 s1, s14
; %bb.135:
	s_delay_alu instid0(VALU_DEP_2) | instskip(NEXT) | instid1(VALU_DEP_2)
	v_mul_f64 v[1:2], v[1:2], 0.5
	v_mul_f64 v[3:4], v[3:4], 0.5
; %bb.136:
	s_or_b32 exec_lo, exec_lo, s1
	s_and_not1_saveexec_b32 s0, s0
	s_cbranch_execnz .LBB164_140
	s_branch .LBB164_141
.LBB164_137:
	s_and_not1_saveexec_b32 s1, s1
	s_cbranch_execz .LBB164_133
.LBB164_138:
	v_add_f64 v[1:2], v[9:10], -v[1:2]
	s_delay_alu instid0(VALU_DEP_1) | instskip(NEXT) | instid1(VALU_DEP_1)
	v_mul_f64 v[1:2], v[1:2], 0.5
	v_cmp_gt_f64_e32 vcc_lo, 0x10000000, v[1:2]
	v_cndmask_b32_e64 v9, 0, 1, vcc_lo
	s_delay_alu instid0(VALU_DEP_1) | instskip(NEXT) | instid1(VALU_DEP_1)
	v_lshlrev_b32_e32 v9, 8, v9
	v_ldexp_f64 v[1:2], v[1:2], v9
	s_delay_alu instid0(VALU_DEP_1) | instskip(SKIP_3) | instid1(VALU_DEP_1)
	v_rsq_f64_e32 v[9:10], v[1:2]
	s_waitcnt_depctr 0xfff
	v_mul_f64 v[11:12], v[1:2], v[9:10]
	v_mul_f64 v[9:10], v[9:10], 0.5
	v_fma_f64 v[21:22], -v[9:10], v[11:12], 0.5
	s_delay_alu instid0(VALU_DEP_1) | instskip(SKIP_1) | instid1(VALU_DEP_2)
	v_fma_f64 v[11:12], v[11:12], v[21:22], v[11:12]
	v_fma_f64 v[9:10], v[9:10], v[21:22], v[9:10]
	v_fma_f64 v[21:22], -v[11:12], v[11:12], v[1:2]
	s_delay_alu instid0(VALU_DEP_1) | instskip(NEXT) | instid1(VALU_DEP_1)
	v_fma_f64 v[11:12], v[21:22], v[9:10], v[11:12]
	v_fma_f64 v[21:22], -v[11:12], v[11:12], v[1:2]
	s_delay_alu instid0(VALU_DEP_1) | instskip(SKIP_3) | instid1(VALU_DEP_3)
	v_fma_f64 v[9:10], v[21:22], v[9:10], v[11:12]
	v_cndmask_b32_e64 v11, 0, 0xffffff80, vcc_lo
	v_cmp_class_f64_e64 vcc_lo, v[1:2], 0x260
	v_and_b32_e32 v12, 0x7fffffff, v4
	v_ldexp_f64 v[9:10], v[9:10], v11
	s_delay_alu instid0(VALU_DEP_1) | instskip(NEXT) | instid1(VALU_DEP_1)
	v_dual_cndmask_b32 v10, v10, v2 :: v_dual_cndmask_b32 v9, v9, v1
	v_add_f64 v[1:2], v[9:10], v[9:10]
	v_bfi_b32 v10, 0x7fffffff, v10, v4
	v_mov_b32_e32 v11, v3
	s_delay_alu instid0(VALU_DEP_1) | instskip(SKIP_1) | instid1(VALU_DEP_2)
	v_div_scale_f64 v[21:22], null, v[1:2], v[1:2], v[11:12]
	v_div_scale_f64 v[11:12], vcc_lo, v[11:12], v[1:2], v[11:12]
	v_rcp_f64_e32 v[23:24], v[21:22]
	s_waitcnt_depctr 0xfff
	v_fma_f64 v[26:27], -v[21:22], v[23:24], 1.0
	s_delay_alu instid0(VALU_DEP_1) | instskip(NEXT) | instid1(VALU_DEP_1)
	v_fma_f64 v[23:24], v[23:24], v[26:27], v[23:24]
	v_fma_f64 v[26:27], -v[21:22], v[23:24], 1.0
	s_delay_alu instid0(VALU_DEP_1) | instskip(NEXT) | instid1(VALU_DEP_1)
	v_fma_f64 v[23:24], v[23:24], v[26:27], v[23:24]
	v_mul_f64 v[26:27], v[11:12], v[23:24]
	s_delay_alu instid0(VALU_DEP_1) | instskip(NEXT) | instid1(VALU_DEP_1)
	v_fma_f64 v[11:12], -v[21:22], v[26:27], v[11:12]
	v_div_fmas_f64 v[11:12], v[11:12], v[23:24], v[26:27]
	s_delay_alu instid0(VALU_DEP_1) | instskip(SKIP_3) | instid1(SALU_CYCLE_1)
	v_div_fixup_f64 v[1:2], v[11:12], v[1:2], |v[3:4]|
	v_dual_mov_b32 v3, v9 :: v_dual_mov_b32 v4, v10
	s_or_b32 exec_lo, exec_lo, s1
	s_and_saveexec_b32 s1, s0
	s_xor_b32 s0, exec_lo, s1
	s_cbranch_execnz .LBB164_134
.LBB164_139:
	s_and_not1_saveexec_b32 s0, s0
.LBB164_140:
	s_delay_alu instid0(VALU_DEP_2) | instskip(NEXT) | instid1(VALU_DEP_2)
	v_add_f64 v[1:2], v[1:2], v[1:2]
	v_add_f64 v[3:4], v[3:4], v[3:4]
.LBB164_141:
	s_or_b32 exec_lo, exec_lo, s0
.LBB164_142:
	s_and_not1_saveexec_b32 s0, s13
	s_cbranch_execz .LBB164_148
; %bb.143:
	s_delay_alu instid0(VALU_DEP_1) | instskip(SKIP_1) | instid1(VALU_DEP_3)
	v_add_f64 v[9:10], v[3:4], -v[3:4]
	s_mov_b32 s1, exec_lo
	v_cmpx_lt_i64_e32 -1, v[1:2]
	s_xor_b32 s1, exec_lo, s1
; %bb.144:
	s_delay_alu instid0(VALU_DEP_2) | instskip(NEXT) | instid1(VALU_DEP_1)
	v_bfi_b32 v10, 0x7fffffff, v10, v4
	v_dual_mov_b32 v3, v9 :: v_dual_mov_b32 v4, v10
                                        ; implicit-def: $vgpr9_vgpr10
; %bb.145:
	s_and_not1_saveexec_b32 s1, s1
; %bb.146:
	s_delay_alu instid0(VALU_DEP_1) | instskip(SKIP_1) | instid1(VALU_DEP_2)
	v_bfi_b32 v2, 0x7fffffff, v2, v4
	v_and_b32_e32 v10, 0x7fffffff, v10
	v_dual_mov_b32 v4, v2 :: v_dual_mov_b32 v3, v1
	s_delay_alu instid0(VALU_DEP_2)
	v_dual_mov_b32 v1, v9 :: v_dual_mov_b32 v2, v10
; %bb.147:
	s_or_b32 exec_lo, exec_lo, s1
.LBB164_148:
	s_delay_alu instid0(SALU_CYCLE_1)
	s_or_b32 exec_lo, exec_lo, s0
.LBB164_149:
	s_and_not1_saveexec_b32 s0, s12
; %bb.150:
	s_delay_alu instid0(VALU_DEP_1) | instskip(NEXT) | instid1(VALU_DEP_1)
	v_add_f64 v[3:4], v[3:4], -v[3:4]
	v_div_scale_f64 v[9:10], vcc_lo, v[3:4], v[3:4], v[3:4]
	s_delay_alu instid0(VALU_DEP_1) | instskip(SKIP_2) | instid1(VALU_DEP_1)
	v_rcp_f64_e32 v[11:12], v[9:10]
	s_waitcnt_depctr 0xfff
	v_fma_f64 v[21:22], -v[9:10], v[11:12], 1.0
	v_fma_f64 v[11:12], v[11:12], v[21:22], v[11:12]
	s_delay_alu instid0(VALU_DEP_1) | instskip(NEXT) | instid1(VALU_DEP_1)
	v_fma_f64 v[21:22], -v[9:10], v[11:12], 1.0
	v_fma_f64 v[11:12], v[11:12], v[21:22], v[11:12]
	s_delay_alu instid0(VALU_DEP_1) | instskip(NEXT) | instid1(VALU_DEP_1)
	v_mul_f64 v[21:22], v[9:10], v[11:12]
	v_fma_f64 v[9:10], -v[9:10], v[21:22], v[9:10]
	s_delay_alu instid0(VALU_DEP_1) | instskip(NEXT) | instid1(VALU_DEP_1)
	v_div_fmas_f64 v[9:10], v[9:10], v[11:12], v[21:22]
	v_div_fixup_f64 v[3:4], v[9:10], v[3:4], v[3:4]
; %bb.151:
	s_or_b32 exec_lo, exec_lo, s0
	v_dual_mov_b32 v22, v2 :: v_dual_mov_b32 v21, v1
.LBB164_152:
	s_or_b32 exec_lo, exec_lo, s11
.LBB164_153:
	s_delay_alu instid0(SALU_CYCLE_1) | instskip(NEXT) | instid1(VALU_DEP_1)
	s_or_b32 exec_lo, exec_lo, s9
	v_cmp_gt_f64_e32 vcc_lo, 0, v[21:22]
	s_delay_alu instid0(VALU_DEP_3) | instskip(SKIP_2) | instid1(VALU_DEP_2)
	v_cmp_gt_f64_e64 s0, 0, v[3:4]
	v_xor_b32_e32 v1, 0x80000000, v22
	v_xor_b32_e32 v9, 0x80000000, v4
                                        ; implicit-def: $vgpr11_vgpr12
	v_cndmask_b32_e32 v2, v22, v1, vcc_lo
	s_delay_alu instid0(VALU_DEP_2) | instskip(SKIP_3) | instid1(VALU_DEP_1)
	v_cndmask_b32_e64 v24, v4, v9, s0
	v_cndmask_b32_e32 v1, v21, v21, vcc_lo
	v_cndmask_b32_e64 v23, v3, v3, s0
	s_mov_b32 s0, exec_lo
	v_cmpx_ge_f64_e32 v[1:2], v[23:24]
	s_xor_b32 s1, exec_lo, s0
	s_cbranch_execz .LBB164_159
; %bb.154:
	v_cmp_neq_f64_e32 vcc_lo, 0, v[21:22]
	v_cmp_neq_f64_e64 s0, 0, v[3:4]
                                        ; implicit-def: $vgpr11_vgpr12
	s_delay_alu instid0(VALU_DEP_1) | instskip(NEXT) | instid1(SALU_CYCLE_1)
	s_or_b32 s0, vcc_lo, s0
	s_and_saveexec_b32 s9, s0
	s_delay_alu instid0(SALU_CYCLE_1)
	s_xor_b32 s0, exec_lo, s9
	s_cbranch_execz .LBB164_156
; %bb.155:
	v_div_scale_f64 v[1:2], null, v[21:22], v[21:22], v[3:4]
	v_div_scale_f64 v[23:24], vcc_lo, v[3:4], v[21:22], v[3:4]
	s_delay_alu instid0(VALU_DEP_2) | instskip(SKIP_2) | instid1(VALU_DEP_1)
	v_rcp_f64_e32 v[9:10], v[1:2]
	s_waitcnt_depctr 0xfff
	v_fma_f64 v[11:12], -v[1:2], v[9:10], 1.0
	v_fma_f64 v[9:10], v[9:10], v[11:12], v[9:10]
	s_delay_alu instid0(VALU_DEP_1) | instskip(NEXT) | instid1(VALU_DEP_1)
	v_fma_f64 v[11:12], -v[1:2], v[9:10], 1.0
	v_fma_f64 v[9:10], v[9:10], v[11:12], v[9:10]
	s_delay_alu instid0(VALU_DEP_1) | instskip(NEXT) | instid1(VALU_DEP_1)
	v_mul_f64 v[11:12], v[23:24], v[9:10]
	v_fma_f64 v[1:2], -v[1:2], v[11:12], v[23:24]
	s_delay_alu instid0(VALU_DEP_1) | instskip(NEXT) | instid1(VALU_DEP_1)
	v_div_fmas_f64 v[1:2], v[1:2], v[9:10], v[11:12]
	v_div_fixup_f64 v[1:2], v[1:2], v[21:22], v[3:4]
	s_delay_alu instid0(VALU_DEP_1) | instskip(NEXT) | instid1(VALU_DEP_1)
	v_fma_f64 v[3:4], v[3:4], v[1:2], v[21:22]
	v_div_scale_f64 v[9:10], null, v[3:4], v[3:4], 1.0
	v_div_scale_f64 v[23:24], vcc_lo, 1.0, v[3:4], 1.0
	s_delay_alu instid0(VALU_DEP_2) | instskip(SKIP_2) | instid1(VALU_DEP_1)
	v_rcp_f64_e32 v[11:12], v[9:10]
	s_waitcnt_depctr 0xfff
	v_fma_f64 v[21:22], -v[9:10], v[11:12], 1.0
	v_fma_f64 v[11:12], v[11:12], v[21:22], v[11:12]
	s_delay_alu instid0(VALU_DEP_1) | instskip(NEXT) | instid1(VALU_DEP_1)
	v_fma_f64 v[21:22], -v[9:10], v[11:12], 1.0
	v_fma_f64 v[11:12], v[11:12], v[21:22], v[11:12]
	s_delay_alu instid0(VALU_DEP_1) | instskip(NEXT) | instid1(VALU_DEP_1)
	v_mul_f64 v[21:22], v[23:24], v[11:12]
	v_fma_f64 v[9:10], -v[9:10], v[21:22], v[23:24]
                                        ; implicit-def: $vgpr23_vgpr24
	s_delay_alu instid0(VALU_DEP_1) | instskip(SKIP_2) | instid1(VALU_DEP_3)
	v_div_fmas_f64 v[9:10], v[9:10], v[11:12], v[21:22]
	v_fma_f64 v[11:12], v[1:2], 0, 1.0
	v_add_f64 v[1:2], -v[1:2], 0
	v_div_fixup_f64 v[3:4], v[9:10], v[3:4], 1.0
	s_delay_alu instid0(VALU_DEP_1) | instskip(NEXT) | instid1(VALU_DEP_3)
	v_mul_f64 v[9:10], v[11:12], v[3:4]
	v_mul_f64 v[11:12], v[1:2], v[3:4]
                                        ; implicit-def: $vgpr1_vgpr2
.LBB164_156:
	s_and_not1_saveexec_b32 s9, s0
	s_cbranch_execz .LBB164_158
; %bb.157:
	v_div_scale_f64 v[3:4], null, v[1:2], v[1:2], 1.0
	v_div_scale_f64 v[9:10], null, v[23:24], v[23:24], 0
	v_div_scale_f64 v[30:31], vcc_lo, 1.0, v[1:2], 1.0
	s_delay_alu instid0(VALU_DEP_3) | instskip(NEXT) | instid1(VALU_DEP_2)
	v_rcp_f64_e32 v[11:12], v[3:4]
	v_rcp_f64_e32 v[21:22], v[9:10]
	s_waitcnt_depctr 0xfff
	v_fma_f64 v[26:27], -v[3:4], v[11:12], 1.0
	v_fma_f64 v[28:29], -v[9:10], v[21:22], 1.0
	s_delay_alu instid0(VALU_DEP_2) | instskip(NEXT) | instid1(VALU_DEP_2)
	v_fma_f64 v[11:12], v[11:12], v[26:27], v[11:12]
	v_fma_f64 v[21:22], v[21:22], v[28:29], v[21:22]
	s_delay_alu instid0(VALU_DEP_2) | instskip(NEXT) | instid1(VALU_DEP_2)
	v_fma_f64 v[26:27], -v[3:4], v[11:12], 1.0
	v_fma_f64 v[28:29], -v[9:10], v[21:22], 1.0
	s_delay_alu instid0(VALU_DEP_2) | instskip(SKIP_1) | instid1(VALU_DEP_3)
	v_fma_f64 v[11:12], v[11:12], v[26:27], v[11:12]
	v_div_scale_f64 v[26:27], s0, 0, v[23:24], 0
	v_fma_f64 v[21:22], v[21:22], v[28:29], v[21:22]
	s_delay_alu instid0(VALU_DEP_3) | instskip(NEXT) | instid1(VALU_DEP_2)
	v_mul_f64 v[28:29], v[30:31], v[11:12]
	v_mul_f64 v[32:33], v[26:27], v[21:22]
	s_delay_alu instid0(VALU_DEP_2) | instskip(NEXT) | instid1(VALU_DEP_2)
	v_fma_f64 v[3:4], -v[3:4], v[28:29], v[30:31]
	v_fma_f64 v[9:10], -v[9:10], v[32:33], v[26:27]
	s_delay_alu instid0(VALU_DEP_2) | instskip(SKIP_1) | instid1(VALU_DEP_2)
	v_div_fmas_f64 v[3:4], v[3:4], v[11:12], v[28:29]
	s_mov_b32 vcc_lo, s0
	v_div_fmas_f64 v[11:12], v[9:10], v[21:22], v[32:33]
	s_delay_alu instid0(VALU_DEP_2) | instskip(NEXT) | instid1(VALU_DEP_2)
	v_div_fixup_f64 v[9:10], v[3:4], v[1:2], 1.0
	v_div_fixup_f64 v[11:12], v[11:12], v[23:24], 0
.LBB164_158:
	s_or_b32 exec_lo, exec_lo, s9
                                        ; implicit-def: $vgpr3_vgpr4
                                        ; implicit-def: $vgpr21_vgpr22
.LBB164_159:
	s_and_not1_saveexec_b32 s0, s1
	s_cbranch_execz .LBB164_161
; %bb.160:
	v_div_scale_f64 v[1:2], null, v[3:4], v[3:4], v[21:22]
	v_div_scale_f64 v[23:24], vcc_lo, v[21:22], v[3:4], v[21:22]
	s_delay_alu instid0(VALU_DEP_2) | instskip(SKIP_2) | instid1(VALU_DEP_1)
	v_rcp_f64_e32 v[9:10], v[1:2]
	s_waitcnt_depctr 0xfff
	v_fma_f64 v[11:12], -v[1:2], v[9:10], 1.0
	v_fma_f64 v[9:10], v[9:10], v[11:12], v[9:10]
	s_delay_alu instid0(VALU_DEP_1) | instskip(NEXT) | instid1(VALU_DEP_1)
	v_fma_f64 v[11:12], -v[1:2], v[9:10], 1.0
	v_fma_f64 v[9:10], v[9:10], v[11:12], v[9:10]
	s_delay_alu instid0(VALU_DEP_1) | instskip(NEXT) | instid1(VALU_DEP_1)
	v_mul_f64 v[11:12], v[23:24], v[9:10]
	v_fma_f64 v[1:2], -v[1:2], v[11:12], v[23:24]
	s_delay_alu instid0(VALU_DEP_1) | instskip(NEXT) | instid1(VALU_DEP_1)
	v_div_fmas_f64 v[1:2], v[1:2], v[9:10], v[11:12]
	v_div_fixup_f64 v[1:2], v[1:2], v[3:4], v[21:22]
	s_delay_alu instid0(VALU_DEP_1) | instskip(NEXT) | instid1(VALU_DEP_1)
	v_fma_f64 v[3:4], v[21:22], v[1:2], v[3:4]
	v_div_scale_f64 v[9:10], null, v[3:4], v[3:4], 1.0
	v_div_scale_f64 v[23:24], vcc_lo, 1.0, v[3:4], 1.0
	s_delay_alu instid0(VALU_DEP_2) | instskip(SKIP_2) | instid1(VALU_DEP_1)
	v_rcp_f64_e32 v[11:12], v[9:10]
	s_waitcnt_depctr 0xfff
	v_fma_f64 v[21:22], -v[9:10], v[11:12], 1.0
	v_fma_f64 v[11:12], v[11:12], v[21:22], v[11:12]
	s_delay_alu instid0(VALU_DEP_1) | instskip(NEXT) | instid1(VALU_DEP_1)
	v_fma_f64 v[21:22], -v[9:10], v[11:12], 1.0
	v_fma_f64 v[11:12], v[11:12], v[21:22], v[11:12]
	s_delay_alu instid0(VALU_DEP_1) | instskip(NEXT) | instid1(VALU_DEP_1)
	v_mul_f64 v[21:22], v[23:24], v[11:12]
	v_fma_f64 v[9:10], -v[9:10], v[21:22], v[23:24]
	s_delay_alu instid0(VALU_DEP_1) | instskip(SKIP_2) | instid1(VALU_DEP_3)
	v_div_fmas_f64 v[9:10], v[9:10], v[11:12], v[21:22]
	v_add_f64 v[11:12], v[1:2], 0
	v_fma_f64 v[1:2], v[1:2], 0, -1.0
	v_div_fixup_f64 v[3:4], v[9:10], v[3:4], 1.0
	s_delay_alu instid0(VALU_DEP_1) | instskip(NEXT) | instid1(VALU_DEP_3)
	v_mul_f64 v[9:10], v[11:12], v[3:4]
	v_mul_f64 v[11:12], v[1:2], v[3:4]
.LBB164_161:
	s_or_b32 exec_lo, exec_lo, s0
	s_add_u32 s2, s4, s2
	s_addc_u32 s3, s5, s3
	s_mov_b32 s0, 0
	s_clause 0x3
	global_store_b128 v25, v[5:8], s[2:3]
	global_store_b128 v25, v[13:16], s[2:3] offset:16
	global_store_b128 v25, v[17:20], s[2:3] offset:32
	;; [unrolled: 1-line block ×3, first 2 shown]
.LBB164_162:
	s_and_b32 vcc_lo, exec_lo, s0
	s_cbranch_vccz .LBB164_347
; %bb.163:
	v_mov_b32_e32 v17, 0
	v_dual_mov_b32 v18, 0 :: v_dual_mov_b32 v5, v0
	v_cmp_gt_i32_e64 s0, s10, v0
	v_or_b32_e32 v21, s8, v0
	v_or_b32_e32 v26, 0x100, v0
	s_delay_alu instid0(VALU_DEP_4)
	v_dual_mov_b32 v13, v17 :: v_dual_mov_b32 v14, v18
	v_dual_mov_b32 v15, v17 :: v_dual_mov_b32 v16, v18
	s_and_saveexec_b32 s1, s0
	s_cbranch_execz .LBB164_165
; %bb.164:
	v_mov_b32_e32 v22, 0
	v_or_b32_e32 v5, 0x100, v0
	s_delay_alu instid0(VALU_DEP_2) | instskip(NEXT) | instid1(VALU_DEP_1)
	v_lshlrev_b64 v[1:2], 4, v[21:22]
	v_add_co_u32 v1, vcc_lo, s6, v1
	s_delay_alu instid0(VALU_DEP_2)
	v_add_co_ci_u32_e32 v2, vcc_lo, s7, v2, vcc_lo
	global_load_b128 v[13:16], v[1:2], off
.LBB164_165:
	s_or_b32 exec_lo, exec_lo, s1
	v_dual_mov_b32 v20, v18 :: v_dual_mov_b32 v19, v17
	s_mov_b32 s1, exec_lo
	v_cmpx_gt_i32_e64 s10, v5
	s_cbranch_execz .LBB164_167
; %bb.166:
	v_dual_mov_b32 v2, 0 :: v_dual_add_nc_u32 v1, s8, v5
	v_add_nc_u32_e32 v5, 0x100, v5
	s_delay_alu instid0(VALU_DEP_2) | instskip(NEXT) | instid1(VALU_DEP_1)
	v_lshlrev_b64 v[1:2], 4, v[1:2]
	v_add_co_u32 v1, vcc_lo, s6, v1
	s_delay_alu instid0(VALU_DEP_2)
	v_add_co_ci_u32_e32 v2, vcc_lo, s7, v2, vcc_lo
	global_load_b128 v[17:20], v[1:2], off
.LBB164_167:
	s_or_b32 exec_lo, exec_lo, s1
	v_mov_b32_e32 v1, 0
	v_mov_b32_e32 v2, 0
	s_mov_b32 s1, exec_lo
	s_delay_alu instid0(VALU_DEP_1)
	v_dual_mov_b32 v10, v2 :: v_dual_mov_b32 v9, v1
	v_dual_mov_b32 v12, v2 :: v_dual_mov_b32 v11, v1
	v_cmpx_gt_i32_e64 s10, v5
	s_cbranch_execz .LBB164_169
; %bb.168:
	v_dual_mov_b32 v4, 0 :: v_dual_add_nc_u32 v3, s8, v5
	v_add_nc_u32_e32 v5, 0x100, v5
	s_delay_alu instid0(VALU_DEP_2) | instskip(NEXT) | instid1(VALU_DEP_1)
	v_lshlrev_b64 v[3:4], 4, v[3:4]
	v_add_co_u32 v3, vcc_lo, s6, v3
	s_delay_alu instid0(VALU_DEP_2)
	v_add_co_ci_u32_e32 v4, vcc_lo, s7, v4, vcc_lo
	global_load_b128 v[9:12], v[3:4], off
.LBB164_169:
	s_or_b32 exec_lo, exec_lo, s1
	v_dual_mov_b32 v4, v2 :: v_dual_mov_b32 v3, v1
	s_mov_b32 s1, exec_lo
	v_cmpx_gt_i32_e64 s10, v5
	s_cbranch_execz .LBB164_171
; %bb.170:
	v_dual_mov_b32 v2, 0 :: v_dual_add_nc_u32 v1, s8, v5
	s_delay_alu instid0(VALU_DEP_1) | instskip(NEXT) | instid1(VALU_DEP_1)
	v_lshlrev_b64 v[1:2], 4, v[1:2]
	v_add_co_u32 v1, vcc_lo, s6, v1
	s_delay_alu instid0(VALU_DEP_2)
	v_add_co_ci_u32_e32 v2, vcc_lo, s7, v2, vcc_lo
	global_load_b128 v[1:4], v[1:2], off
.LBB164_171:
	s_or_b32 exec_lo, exec_lo, s1
	v_mov_b32_e32 v5, 0
	v_mov_b32_e32 v6, 0
	s_delay_alu instid0(VALU_DEP_1)
	v_dual_mov_b32 v8, v6 :: v_dual_mov_b32 v7, v5
	s_and_saveexec_b32 s3, s0
	s_cbranch_execz .LBB164_213
; %bb.172:
	s_waitcnt vmcnt(0)
	v_cmp_neq_f64_e32 vcc_lo, 0, v[13:14]
	v_cmp_neq_f64_e64 s1, 0, v[15:16]
	v_mov_b32_e32 v22, 0
	v_mov_b32_e32 v23, 0
	s_delay_alu instid0(VALU_DEP_3) | instskip(NEXT) | instid1(SALU_CYCLE_1)
	s_or_b32 s1, vcc_lo, s1
	s_and_saveexec_b32 s6, s1
	s_cbranch_execz .LBB164_204
; %bb.173:
	s_mov_b32 s12, 0
	s_mov_b32 s13, 0x7ff00000
	v_mov_b32_e32 v22, s12
	v_mov_b32_e32 v23, s13
	s_mov_b32 s7, exec_lo
	v_cmpx_neq_f64_e64 0x7ff00000, |v[15:16]|
	s_cbranch_execz .LBB164_203
; %bb.174:
	s_mov_b32 s1, exec_lo
	v_cmpx_o_f64_e32 v[13:14], v[13:14]
	s_xor_b32 s9, exec_lo, s1
	s_cbranch_execz .LBB164_200
; %bb.175:
	s_mov_b32 s2, exec_lo
	v_cmpx_neq_f64_e64 0x7ff00000, |v[13:14]|
	s_xor_b32 s11, exec_lo, s2
	s_cbranch_execz .LBB164_193
; %bb.176:
	v_max_f64 v[5:6], |v[15:16]|, |v[15:16]|
	v_max_f64 v[7:8], |v[13:14]|, |v[13:14]|
	s_mov_b32 s12, 0x99fcef32
	s_mov_b32 s13, 0x7fda8279
	s_delay_alu instid0(VALU_DEP_1) | instskip(NEXT) | instid1(VALU_DEP_1)
	v_max_f64 v[5:6], v[7:8], v[5:6]
	v_cmp_nle_f64_e64 s1, s[12:13], v[5:6]
                                        ; implicit-def: $sgpr12
	s_delay_alu instid0(VALU_DEP_1) | instskip(NEXT) | instid1(SALU_CYCLE_1)
	s_and_saveexec_b32 s2, s1
	s_xor_b32 s2, exec_lo, s2
	s_cbranch_execz .LBB164_180
; %bb.177:
	v_cmp_ge_f64_e64 s12, 0x200000, |v[13:14]|
	v_cmp_ge_f64_e64 s13, 0x200000, |v[15:16]|
	s_delay_alu instid0(VALU_DEP_1)
	s_and_b32 s14, s12, s13
	s_mov_b32 s12, 0
	s_and_saveexec_b32 s13, s14
; %bb.178:
	v_mul_f64 v[13:14], v[13:14], 4.0
	v_mul_f64 v[15:16], v[15:16], 4.0
	s_mov_b32 s12, exec_lo
; %bb.179:
	s_or_b32 exec_lo, exec_lo, s13
	s_delay_alu instid0(SALU_CYCLE_1)
	s_and_b32 s12, s12, exec_lo
.LBB164_180:
	s_and_not1_saveexec_b32 s2, s2
; %bb.181:
	s_delay_alu instid0(VALU_DEP_2) | instskip(NEXT) | instid1(VALU_DEP_2)
	v_ldexp_f64 v[13:14], v[13:14], -2
	v_ldexp_f64 v[15:16], v[15:16], -2
	s_and_not1_b32 s12, s12, exec_lo
; %bb.182:
	s_or_b32 exec_lo, exec_lo, s2
	s_delay_alu instid0(VALU_DEP_1) | instskip(NEXT) | instid1(VALU_DEP_3)
	v_max_f64 v[5:6], |v[15:16]|, |v[15:16]|
	v_max_f64 v[7:8], |v[13:14]|, |v[13:14]|
	v_cmp_class_f64_e64 s13, v[13:14], 0x204
	v_cmp_class_f64_e64 s14, v[15:16], 0x204
	v_cmp_le_f64_e64 s2, 0, v[13:14]
	s_delay_alu instid0(VALU_DEP_4) | instskip(NEXT) | instid1(VALU_DEP_3)
	v_max_f64 v[5:6], v[7:8], v[5:6]
	s_or_b32 s13, s14, s13
	s_delay_alu instid0(VALU_DEP_1) | instskip(NEXT) | instid1(VALU_DEP_1)
	v_frexp_exp_i32_f64_e32 v27, v[5:6]
	v_sub_nc_u32_e32 v7, 0, v27
	s_delay_alu instid0(VALU_DEP_1) | instskip(SKIP_1) | instid1(VALU_DEP_2)
	v_ldexp_f64 v[5:6], |v[15:16]|, v7
	v_ldexp_f64 v[7:8], |v[13:14]|, v7
	v_mul_f64 v[5:6], v[5:6], v[5:6]
	s_delay_alu instid0(VALU_DEP_1) | instskip(NEXT) | instid1(VALU_DEP_1)
	v_fma_f64 v[5:6], v[7:8], v[7:8], v[5:6]
	v_rsq_f64_e32 v[7:8], v[5:6]
	v_cmp_eq_f64_e32 vcc_lo, 0, v[5:6]
	s_waitcnt_depctr 0xfff
	v_mul_f64 v[22:23], v[5:6], v[7:8]
	v_mul_f64 v[7:8], v[7:8], 0.5
	s_delay_alu instid0(VALU_DEP_1) | instskip(NEXT) | instid1(VALU_DEP_1)
	v_fma_f64 v[24:25], -v[7:8], v[22:23], 0.5
	v_fma_f64 v[22:23], v[22:23], v[24:25], v[22:23]
	v_fma_f64 v[7:8], v[7:8], v[24:25], v[7:8]
	s_delay_alu instid0(VALU_DEP_2) | instskip(NEXT) | instid1(VALU_DEP_1)
	v_fma_f64 v[24:25], -v[22:23], v[22:23], v[5:6]
	v_fma_f64 v[7:8], v[24:25], v[7:8], v[22:23]
	s_delay_alu instid0(VALU_DEP_1) | instskip(SKIP_1) | instid1(VALU_DEP_2)
	v_dual_cndmask_b32 v6, v8, v6 :: v_dual_cndmask_b32 v5, v7, v5
	v_cmp_o_f64_e32 vcc_lo, v[15:16], v[15:16]
	v_ldexp_f64 v[5:6], v[5:6], v27
	s_delay_alu instid0(VALU_DEP_1) | instskip(NEXT) | instid1(VALU_DEP_2)
	v_cndmask_b32_e32 v5, 0, v5, vcc_lo
	v_cndmask_b32_e32 v6, 0x7ff80000, v6, vcc_lo
	s_delay_alu instid0(VALU_DEP_2) | instskip(NEXT) | instid1(VALU_DEP_2)
	v_cndmask_b32_e64 v5, v5, 0, s13
	v_cndmask_b32_e64 v6, v6, 0x7ff00000, s13
	s_and_saveexec_b32 s13, s2
	s_delay_alu instid0(SALU_CYCLE_1)
	s_xor_b32 s2, exec_lo, s13
	s_cbranch_execz .LBB164_188
; %bb.183:
	s_delay_alu instid0(VALU_DEP_1) | instskip(NEXT) | instid1(VALU_DEP_1)
	v_add_f64 v[5:6], v[13:14], v[5:6]
	v_mul_f64 v[5:6], v[5:6], 0.5
	s_delay_alu instid0(VALU_DEP_1) | instskip(SKIP_1) | instid1(VALU_DEP_1)
	v_cmp_gt_f64_e32 vcc_lo, 0x10000000, v[5:6]
	v_cndmask_b32_e64 v7, 0, 1, vcc_lo
	v_lshlrev_b32_e32 v7, 8, v7
	s_delay_alu instid0(VALU_DEP_1) | instskip(NEXT) | instid1(VALU_DEP_1)
	v_ldexp_f64 v[5:6], v[5:6], v7
	v_rsq_f64_e32 v[7:8], v[5:6]
	s_waitcnt_depctr 0xfff
	v_mul_f64 v[13:14], v[5:6], v[7:8]
	v_mul_f64 v[7:8], v[7:8], 0.5
	s_delay_alu instid0(VALU_DEP_1) | instskip(NEXT) | instid1(VALU_DEP_1)
	v_fma_f64 v[22:23], -v[7:8], v[13:14], 0.5
	v_fma_f64 v[13:14], v[13:14], v[22:23], v[13:14]
	v_fma_f64 v[7:8], v[7:8], v[22:23], v[7:8]
	s_delay_alu instid0(VALU_DEP_2) | instskip(NEXT) | instid1(VALU_DEP_1)
	v_fma_f64 v[22:23], -v[13:14], v[13:14], v[5:6]
	v_fma_f64 v[13:14], v[22:23], v[7:8], v[13:14]
	s_delay_alu instid0(VALU_DEP_1) | instskip(NEXT) | instid1(VALU_DEP_1)
	v_fma_f64 v[22:23], -v[13:14], v[13:14], v[5:6]
	v_fma_f64 v[7:8], v[22:23], v[7:8], v[13:14]
	v_cndmask_b32_e64 v13, 0, 0xffffff80, vcc_lo
	v_cmp_class_f64_e64 vcc_lo, v[5:6], 0x260
	s_delay_alu instid0(VALU_DEP_2) | instskip(NEXT) | instid1(VALU_DEP_1)
	v_ldexp_f64 v[7:8], v[7:8], v13
	v_dual_cndmask_b32 v14, v8, v6 :: v_dual_cndmask_b32 v13, v7, v5
	s_delay_alu instid0(VALU_DEP_1) | instskip(NEXT) | instid1(VALU_DEP_1)
	v_add_f64 v[5:6], v[13:14], v[13:14]
	v_div_scale_f64 v[7:8], null, v[5:6], v[5:6], v[15:16]
	s_delay_alu instid0(VALU_DEP_1) | instskip(SKIP_2) | instid1(VALU_DEP_1)
	v_rcp_f64_e32 v[22:23], v[7:8]
	s_waitcnt_depctr 0xfff
	v_fma_f64 v[24:25], -v[7:8], v[22:23], 1.0
	v_fma_f64 v[22:23], v[22:23], v[24:25], v[22:23]
	s_delay_alu instid0(VALU_DEP_1) | instskip(NEXT) | instid1(VALU_DEP_1)
	v_fma_f64 v[24:25], -v[7:8], v[22:23], 1.0
	v_fma_f64 v[22:23], v[22:23], v[24:25], v[22:23]
	v_div_scale_f64 v[24:25], vcc_lo, v[15:16], v[5:6], v[15:16]
	s_delay_alu instid0(VALU_DEP_1) | instskip(NEXT) | instid1(VALU_DEP_1)
	v_mul_f64 v[27:28], v[24:25], v[22:23]
	v_fma_f64 v[7:8], -v[7:8], v[27:28], v[24:25]
	s_delay_alu instid0(VALU_DEP_1) | instskip(NEXT) | instid1(VALU_DEP_1)
	v_div_fmas_f64 v[7:8], v[7:8], v[22:23], v[27:28]
	v_div_fixup_f64 v[15:16], v[7:8], v[5:6], v[15:16]
                                        ; implicit-def: $vgpr5_vgpr6
	s_and_not1_saveexec_b32 s2, s2
	s_cbranch_execnz .LBB164_189
.LBB164_184:
	s_or_b32 exec_lo, exec_lo, s2
	s_and_saveexec_b32 s2, s1
	s_delay_alu instid0(SALU_CYCLE_1)
	s_xor_b32 s1, exec_lo, s2
	s_cbranch_execz .LBB164_190
.LBB164_185:
	s_and_saveexec_b32 s2, s12
; %bb.186:
	s_delay_alu instid0(VALU_DEP_2) | instskip(NEXT) | instid1(VALU_DEP_2)
	v_mul_f64 v[13:14], v[13:14], 0.5
	v_mul_f64 v[15:16], v[15:16], 0.5
; %bb.187:
	s_or_b32 exec_lo, exec_lo, s2
	s_and_not1_saveexec_b32 s1, s1
	s_cbranch_execnz .LBB164_191
	s_branch .LBB164_192
.LBB164_188:
	s_and_not1_saveexec_b32 s2, s2
	s_cbranch_execz .LBB164_184
.LBB164_189:
	v_add_f64 v[5:6], v[5:6], -v[13:14]
	s_delay_alu instid0(VALU_DEP_1) | instskip(NEXT) | instid1(VALU_DEP_1)
	v_mul_f64 v[5:6], v[5:6], 0.5
	v_cmp_gt_f64_e32 vcc_lo, 0x10000000, v[5:6]
	v_cndmask_b32_e64 v7, 0, 1, vcc_lo
	s_delay_alu instid0(VALU_DEP_1) | instskip(NEXT) | instid1(VALU_DEP_1)
	v_lshlrev_b32_e32 v7, 8, v7
	v_ldexp_f64 v[5:6], v[5:6], v7
	s_delay_alu instid0(VALU_DEP_1) | instskip(SKIP_3) | instid1(VALU_DEP_1)
	v_rsq_f64_e32 v[7:8], v[5:6]
	s_waitcnt_depctr 0xfff
	v_mul_f64 v[13:14], v[5:6], v[7:8]
	v_mul_f64 v[7:8], v[7:8], 0.5
	v_fma_f64 v[22:23], -v[7:8], v[13:14], 0.5
	s_delay_alu instid0(VALU_DEP_1) | instskip(SKIP_1) | instid1(VALU_DEP_2)
	v_fma_f64 v[13:14], v[13:14], v[22:23], v[13:14]
	v_fma_f64 v[7:8], v[7:8], v[22:23], v[7:8]
	v_fma_f64 v[22:23], -v[13:14], v[13:14], v[5:6]
	s_delay_alu instid0(VALU_DEP_1) | instskip(NEXT) | instid1(VALU_DEP_1)
	v_fma_f64 v[13:14], v[22:23], v[7:8], v[13:14]
	v_fma_f64 v[22:23], -v[13:14], v[13:14], v[5:6]
	s_delay_alu instid0(VALU_DEP_1) | instskip(SKIP_3) | instid1(VALU_DEP_3)
	v_fma_f64 v[7:8], v[22:23], v[7:8], v[13:14]
	v_cndmask_b32_e64 v13, 0, 0xffffff80, vcc_lo
	v_cmp_class_f64_e64 vcc_lo, v[5:6], 0x260
	v_and_b32_e32 v14, 0x7fffffff, v16
	v_ldexp_f64 v[7:8], v[7:8], v13
	s_delay_alu instid0(VALU_DEP_1) | instskip(NEXT) | instid1(VALU_DEP_1)
	v_dual_cndmask_b32 v6, v8, v6 :: v_dual_cndmask_b32 v5, v7, v5
	v_add_f64 v[7:8], v[5:6], v[5:6]
	v_bfi_b32 v6, 0x7fffffff, v6, v16
	v_mov_b32_e32 v13, v15
	s_delay_alu instid0(VALU_DEP_1) | instskip(SKIP_1) | instid1(VALU_DEP_2)
	v_div_scale_f64 v[22:23], null, v[7:8], v[7:8], v[13:14]
	v_div_scale_f64 v[13:14], vcc_lo, v[13:14], v[7:8], v[13:14]
	v_rcp_f64_e32 v[24:25], v[22:23]
	s_waitcnt_depctr 0xfff
	v_fma_f64 v[27:28], -v[22:23], v[24:25], 1.0
	s_delay_alu instid0(VALU_DEP_1) | instskip(NEXT) | instid1(VALU_DEP_1)
	v_fma_f64 v[24:25], v[24:25], v[27:28], v[24:25]
	v_fma_f64 v[27:28], -v[22:23], v[24:25], 1.0
	s_delay_alu instid0(VALU_DEP_1) | instskip(NEXT) | instid1(VALU_DEP_1)
	v_fma_f64 v[24:25], v[24:25], v[27:28], v[24:25]
	v_mul_f64 v[27:28], v[13:14], v[24:25]
	s_delay_alu instid0(VALU_DEP_1) | instskip(NEXT) | instid1(VALU_DEP_1)
	v_fma_f64 v[13:14], -v[22:23], v[27:28], v[13:14]
	v_div_fmas_f64 v[13:14], v[13:14], v[24:25], v[27:28]
	s_delay_alu instid0(VALU_DEP_1) | instskip(SKIP_3) | instid1(SALU_CYCLE_1)
	v_div_fixup_f64 v[13:14], v[13:14], v[7:8], |v[15:16]|
	v_dual_mov_b32 v16, v6 :: v_dual_mov_b32 v15, v5
	s_or_b32 exec_lo, exec_lo, s2
	s_and_saveexec_b32 s2, s1
	s_xor_b32 s1, exec_lo, s2
	s_cbranch_execnz .LBB164_185
.LBB164_190:
	s_and_not1_saveexec_b32 s1, s1
.LBB164_191:
	s_delay_alu instid0(VALU_DEP_2) | instskip(NEXT) | instid1(VALU_DEP_2)
	v_add_f64 v[13:14], v[13:14], v[13:14]
	v_add_f64 v[15:16], v[15:16], v[15:16]
.LBB164_192:
	s_or_b32 exec_lo, exec_lo, s1
.LBB164_193:
	s_and_not1_saveexec_b32 s1, s11
	s_cbranch_execz .LBB164_199
; %bb.194:
	s_delay_alu instid0(VALU_DEP_1) | instskip(SKIP_1) | instid1(VALU_DEP_3)
	v_add_f64 v[5:6], v[15:16], -v[15:16]
	s_mov_b32 s2, exec_lo
	v_cmpx_lt_i64_e32 -1, v[13:14]
	s_xor_b32 s2, exec_lo, s2
; %bb.195:
	s_delay_alu instid0(VALU_DEP_2) | instskip(NEXT) | instid1(VALU_DEP_1)
	v_bfi_b32 v6, 0x7fffffff, v6, v16
	v_dual_mov_b32 v16, v6 :: v_dual_mov_b32 v15, v5
                                        ; implicit-def: $vgpr5_vgpr6
; %bb.196:
	s_and_not1_saveexec_b32 s2, s2
; %bb.197:
	s_delay_alu instid0(VALU_DEP_1) | instskip(SKIP_1) | instid1(VALU_DEP_2)
	v_bfi_b32 v14, 0x7fffffff, v14, v16
	v_and_b32_e32 v6, 0x7fffffff, v6
	v_dual_mov_b32 v16, v14 :: v_dual_mov_b32 v15, v13
	s_delay_alu instid0(VALU_DEP_2)
	v_dual_mov_b32 v14, v6 :: v_dual_mov_b32 v13, v5
; %bb.198:
	s_or_b32 exec_lo, exec_lo, s2
.LBB164_199:
	s_delay_alu instid0(SALU_CYCLE_1)
	s_or_b32 exec_lo, exec_lo, s1
.LBB164_200:
	s_and_not1_saveexec_b32 s1, s9
; %bb.201:
	s_delay_alu instid0(VALU_DEP_1) | instskip(NEXT) | instid1(VALU_DEP_1)
	v_add_f64 v[5:6], v[15:16], -v[15:16]
	v_div_scale_f64 v[7:8], vcc_lo, v[5:6], v[5:6], v[5:6]
	s_delay_alu instid0(VALU_DEP_1) | instskip(SKIP_2) | instid1(VALU_DEP_1)
	v_rcp_f64_e32 v[15:16], v[7:8]
	s_waitcnt_depctr 0xfff
	v_fma_f64 v[22:23], -v[7:8], v[15:16], 1.0
	v_fma_f64 v[15:16], v[15:16], v[22:23], v[15:16]
	s_delay_alu instid0(VALU_DEP_1) | instskip(NEXT) | instid1(VALU_DEP_1)
	v_fma_f64 v[22:23], -v[7:8], v[15:16], 1.0
	v_fma_f64 v[15:16], v[15:16], v[22:23], v[15:16]
	s_delay_alu instid0(VALU_DEP_1) | instskip(NEXT) | instid1(VALU_DEP_1)
	v_mul_f64 v[22:23], v[7:8], v[15:16]
	v_fma_f64 v[7:8], -v[7:8], v[22:23], v[7:8]
	s_delay_alu instid0(VALU_DEP_1) | instskip(NEXT) | instid1(VALU_DEP_1)
	v_div_fmas_f64 v[7:8], v[7:8], v[15:16], v[22:23]
	v_div_fixup_f64 v[15:16], v[7:8], v[5:6], v[5:6]
; %bb.202:
	s_or_b32 exec_lo, exec_lo, s1
	v_dual_mov_b32 v23, v14 :: v_dual_mov_b32 v22, v13
.LBB164_203:
	s_or_b32 exec_lo, exec_lo, s7
.LBB164_204:
	s_delay_alu instid0(SALU_CYCLE_1) | instskip(NEXT) | instid1(VALU_DEP_1)
	s_or_b32 exec_lo, exec_lo, s6
	v_cmp_gt_f64_e32 vcc_lo, 0, v[22:23]
	s_delay_alu instid0(VALU_DEP_3) | instskip(SKIP_2) | instid1(VALU_DEP_2)
	v_cmp_gt_f64_e64 s1, 0, v[15:16]
	v_xor_b32_e32 v5, 0x80000000, v23
	v_xor_b32_e32 v6, 0x80000000, v16
	v_dual_cndmask_b32 v14, v23, v5 :: v_dual_cndmask_b32 v13, v22, v22
	s_delay_alu instid0(VALU_DEP_2) | instskip(SKIP_2) | instid1(VALU_DEP_1)
	v_cndmask_b32_e64 v25, v16, v6, s1
	v_cndmask_b32_e64 v24, v15, v15, s1
                                        ; implicit-def: $vgpr5_vgpr6
	s_mov_b32 s1, exec_lo
	v_cmpx_ge_f64_e32 v[13:14], v[24:25]
	s_xor_b32 s2, exec_lo, s1
	s_cbranch_execz .LBB164_210
; %bb.205:
	v_cmp_neq_f64_e32 vcc_lo, 0, v[22:23]
	v_cmp_neq_f64_e64 s1, 0, v[15:16]
                                        ; implicit-def: $vgpr5_vgpr6
	s_delay_alu instid0(VALU_DEP_1) | instskip(NEXT) | instid1(SALU_CYCLE_1)
	s_or_b32 s1, vcc_lo, s1
	s_and_saveexec_b32 s6, s1
	s_delay_alu instid0(SALU_CYCLE_1)
	s_xor_b32 s1, exec_lo, s6
	s_cbranch_execz .LBB164_207
; %bb.206:
	v_div_scale_f64 v[5:6], null, v[22:23], v[22:23], v[15:16]
	v_div_scale_f64 v[24:25], vcc_lo, v[15:16], v[22:23], v[15:16]
	s_delay_alu instid0(VALU_DEP_2) | instskip(SKIP_2) | instid1(VALU_DEP_1)
	v_rcp_f64_e32 v[7:8], v[5:6]
	s_waitcnt_depctr 0xfff
	v_fma_f64 v[13:14], -v[5:6], v[7:8], 1.0
	v_fma_f64 v[7:8], v[7:8], v[13:14], v[7:8]
	s_delay_alu instid0(VALU_DEP_1) | instskip(NEXT) | instid1(VALU_DEP_1)
	v_fma_f64 v[13:14], -v[5:6], v[7:8], 1.0
	v_fma_f64 v[7:8], v[7:8], v[13:14], v[7:8]
	s_delay_alu instid0(VALU_DEP_1) | instskip(NEXT) | instid1(VALU_DEP_1)
	v_mul_f64 v[13:14], v[24:25], v[7:8]
	v_fma_f64 v[5:6], -v[5:6], v[13:14], v[24:25]
	s_delay_alu instid0(VALU_DEP_1) | instskip(NEXT) | instid1(VALU_DEP_1)
	v_div_fmas_f64 v[5:6], v[5:6], v[7:8], v[13:14]
	v_div_fixup_f64 v[5:6], v[5:6], v[22:23], v[15:16]
	s_delay_alu instid0(VALU_DEP_1) | instskip(NEXT) | instid1(VALU_DEP_1)
	v_fma_f64 v[7:8], v[15:16], v[5:6], v[22:23]
	v_div_scale_f64 v[13:14], null, v[7:8], v[7:8], 1.0
	v_div_scale_f64 v[24:25], vcc_lo, 1.0, v[7:8], 1.0
	s_delay_alu instid0(VALU_DEP_2) | instskip(SKIP_2) | instid1(VALU_DEP_1)
	v_rcp_f64_e32 v[15:16], v[13:14]
	s_waitcnt_depctr 0xfff
	v_fma_f64 v[22:23], -v[13:14], v[15:16], 1.0
	v_fma_f64 v[15:16], v[15:16], v[22:23], v[15:16]
	s_delay_alu instid0(VALU_DEP_1) | instskip(NEXT) | instid1(VALU_DEP_1)
	v_fma_f64 v[22:23], -v[13:14], v[15:16], 1.0
	v_fma_f64 v[15:16], v[15:16], v[22:23], v[15:16]
	s_delay_alu instid0(VALU_DEP_1) | instskip(NEXT) | instid1(VALU_DEP_1)
	v_mul_f64 v[22:23], v[24:25], v[15:16]
	v_fma_f64 v[13:14], -v[13:14], v[22:23], v[24:25]
                                        ; implicit-def: $vgpr24_vgpr25
	s_delay_alu instid0(VALU_DEP_1) | instskip(SKIP_1) | instid1(VALU_DEP_2)
	v_div_fmas_f64 v[13:14], v[13:14], v[15:16], v[22:23]
	v_fma_f64 v[15:16], v[5:6], 0, 1.0
	v_div_fixup_f64 v[7:8], v[13:14], v[7:8], 1.0
	v_add_f64 v[13:14], -v[5:6], 0
	s_delay_alu instid0(VALU_DEP_2) | instskip(NEXT) | instid1(VALU_DEP_2)
	v_mul_f64 v[5:6], v[15:16], v[7:8]
	v_mul_f64 v[7:8], v[13:14], v[7:8]
                                        ; implicit-def: $vgpr13_vgpr14
.LBB164_207:
	s_and_not1_saveexec_b32 s6, s1
	s_cbranch_execz .LBB164_209
; %bb.208:
	v_div_scale_f64 v[5:6], null, v[13:14], v[13:14], 1.0
	v_div_scale_f64 v[7:8], null, v[24:25], v[24:25], 0
	v_div_scale_f64 v[31:32], vcc_lo, 1.0, v[13:14], 1.0
	s_delay_alu instid0(VALU_DEP_3) | instskip(NEXT) | instid1(VALU_DEP_2)
	v_rcp_f64_e32 v[15:16], v[5:6]
	v_rcp_f64_e32 v[22:23], v[7:8]
	s_waitcnt_depctr 0xfff
	v_fma_f64 v[27:28], -v[5:6], v[15:16], 1.0
	v_fma_f64 v[29:30], -v[7:8], v[22:23], 1.0
	s_delay_alu instid0(VALU_DEP_2) | instskip(NEXT) | instid1(VALU_DEP_2)
	v_fma_f64 v[15:16], v[15:16], v[27:28], v[15:16]
	v_fma_f64 v[22:23], v[22:23], v[29:30], v[22:23]
	s_delay_alu instid0(VALU_DEP_2) | instskip(NEXT) | instid1(VALU_DEP_2)
	v_fma_f64 v[27:28], -v[5:6], v[15:16], 1.0
	v_fma_f64 v[29:30], -v[7:8], v[22:23], 1.0
	s_delay_alu instid0(VALU_DEP_2) | instskip(SKIP_1) | instid1(VALU_DEP_3)
	v_fma_f64 v[15:16], v[15:16], v[27:28], v[15:16]
	v_div_scale_f64 v[27:28], s1, 0, v[24:25], 0
	v_fma_f64 v[22:23], v[22:23], v[29:30], v[22:23]
	s_delay_alu instid0(VALU_DEP_3) | instskip(NEXT) | instid1(VALU_DEP_2)
	v_mul_f64 v[29:30], v[31:32], v[15:16]
	v_mul_f64 v[33:34], v[27:28], v[22:23]
	s_delay_alu instid0(VALU_DEP_2) | instskip(NEXT) | instid1(VALU_DEP_2)
	v_fma_f64 v[5:6], -v[5:6], v[29:30], v[31:32]
	v_fma_f64 v[7:8], -v[7:8], v[33:34], v[27:28]
	s_delay_alu instid0(VALU_DEP_2) | instskip(SKIP_1) | instid1(VALU_DEP_2)
	v_div_fmas_f64 v[5:6], v[5:6], v[15:16], v[29:30]
	s_mov_b32 vcc_lo, s1
	v_div_fmas_f64 v[7:8], v[7:8], v[22:23], v[33:34]
	s_delay_alu instid0(VALU_DEP_2) | instskip(NEXT) | instid1(VALU_DEP_2)
	v_div_fixup_f64 v[5:6], v[5:6], v[13:14], 1.0
	v_div_fixup_f64 v[7:8], v[7:8], v[24:25], 0
.LBB164_209:
	s_or_b32 exec_lo, exec_lo, s6
                                        ; implicit-def: $vgpr15_vgpr16
                                        ; implicit-def: $vgpr22_vgpr23
.LBB164_210:
	s_and_not1_saveexec_b32 s1, s2
	s_cbranch_execz .LBB164_212
; %bb.211:
	v_div_scale_f64 v[5:6], null, v[15:16], v[15:16], v[22:23]
	v_div_scale_f64 v[24:25], vcc_lo, v[22:23], v[15:16], v[22:23]
	s_delay_alu instid0(VALU_DEP_2) | instskip(SKIP_2) | instid1(VALU_DEP_1)
	v_rcp_f64_e32 v[7:8], v[5:6]
	s_waitcnt_depctr 0xfff
	v_fma_f64 v[13:14], -v[5:6], v[7:8], 1.0
	v_fma_f64 v[7:8], v[7:8], v[13:14], v[7:8]
	s_delay_alu instid0(VALU_DEP_1) | instskip(NEXT) | instid1(VALU_DEP_1)
	v_fma_f64 v[13:14], -v[5:6], v[7:8], 1.0
	v_fma_f64 v[7:8], v[7:8], v[13:14], v[7:8]
	s_delay_alu instid0(VALU_DEP_1) | instskip(NEXT) | instid1(VALU_DEP_1)
	v_mul_f64 v[13:14], v[24:25], v[7:8]
	v_fma_f64 v[5:6], -v[5:6], v[13:14], v[24:25]
	s_delay_alu instid0(VALU_DEP_1) | instskip(NEXT) | instid1(VALU_DEP_1)
	v_div_fmas_f64 v[5:6], v[5:6], v[7:8], v[13:14]
	v_div_fixup_f64 v[5:6], v[5:6], v[15:16], v[22:23]
	s_delay_alu instid0(VALU_DEP_1) | instskip(NEXT) | instid1(VALU_DEP_1)
	v_fma_f64 v[7:8], v[22:23], v[5:6], v[15:16]
	v_div_scale_f64 v[13:14], null, v[7:8], v[7:8], 1.0
	v_div_scale_f64 v[24:25], vcc_lo, 1.0, v[7:8], 1.0
	s_delay_alu instid0(VALU_DEP_2) | instskip(SKIP_2) | instid1(VALU_DEP_1)
	v_rcp_f64_e32 v[15:16], v[13:14]
	s_waitcnt_depctr 0xfff
	v_fma_f64 v[22:23], -v[13:14], v[15:16], 1.0
	v_fma_f64 v[15:16], v[15:16], v[22:23], v[15:16]
	s_delay_alu instid0(VALU_DEP_1) | instskip(NEXT) | instid1(VALU_DEP_1)
	v_fma_f64 v[22:23], -v[13:14], v[15:16], 1.0
	v_fma_f64 v[15:16], v[15:16], v[22:23], v[15:16]
	s_delay_alu instid0(VALU_DEP_1) | instskip(NEXT) | instid1(VALU_DEP_1)
	v_mul_f64 v[22:23], v[24:25], v[15:16]
	v_fma_f64 v[13:14], -v[13:14], v[22:23], v[24:25]
	s_delay_alu instid0(VALU_DEP_1) | instskip(SKIP_1) | instid1(VALU_DEP_2)
	v_div_fmas_f64 v[13:14], v[13:14], v[15:16], v[22:23]
	v_add_f64 v[15:16], v[5:6], 0
	v_div_fixup_f64 v[7:8], v[13:14], v[7:8], 1.0
	v_fma_f64 v[13:14], v[5:6], 0, -1.0
	s_delay_alu instid0(VALU_DEP_2) | instskip(NEXT) | instid1(VALU_DEP_2)
	v_mul_f64 v[5:6], v[15:16], v[7:8]
	v_mul_f64 v[7:8], v[13:14], v[7:8]
.LBB164_212:
	s_or_b32 exec_lo, exec_lo, s1
.LBB164_213:
	s_delay_alu instid0(SALU_CYCLE_1) | instskip(SKIP_4) | instid1(VALU_DEP_1)
	s_or_b32 exec_lo, exec_lo, s3
	s_waitcnt vmcnt(0)
	v_mov_b32_e32 v13, 0
	v_mov_b32_e32 v14, 0
	s_mov_b32 s3, exec_lo
	v_dual_mov_b32 v16, v14 :: v_dual_mov_b32 v15, v13
	v_cmpx_gt_i32_e64 s10, v26
	s_cbranch_execz .LBB164_255
; %bb.214:
	v_cmp_neq_f64_e32 vcc_lo, 0, v[17:18]
	v_cmp_neq_f64_e64 s1, 0, v[19:20]
	v_mov_b32_e32 v22, 0
	v_mov_b32_e32 v23, 0
	s_delay_alu instid0(VALU_DEP_3) | instskip(NEXT) | instid1(SALU_CYCLE_1)
	s_or_b32 s1, vcc_lo, s1
	s_and_saveexec_b32 s6, s1
	s_cbranch_execz .LBB164_246
; %bb.215:
	s_mov_b32 s12, 0
	s_mov_b32 s13, 0x7ff00000
	v_mov_b32_e32 v22, s12
	v_mov_b32_e32 v23, s13
	s_mov_b32 s7, exec_lo
	v_cmpx_neq_f64_e64 0x7ff00000, |v[19:20]|
	s_cbranch_execz .LBB164_245
; %bb.216:
	s_mov_b32 s1, exec_lo
	v_cmpx_o_f64_e32 v[17:18], v[17:18]
	s_xor_b32 s9, exec_lo, s1
	s_cbranch_execz .LBB164_242
; %bb.217:
	s_mov_b32 s2, exec_lo
	v_cmpx_neq_f64_e64 0x7ff00000, |v[17:18]|
	s_xor_b32 s11, exec_lo, s2
	s_cbranch_execz .LBB164_235
; %bb.218:
	v_max_f64 v[13:14], |v[19:20]|, |v[19:20]|
	v_max_f64 v[15:16], |v[17:18]|, |v[17:18]|
	s_mov_b32 s12, 0x99fcef32
	s_mov_b32 s13, 0x7fda8279
	s_delay_alu instid0(VALU_DEP_1) | instskip(NEXT) | instid1(VALU_DEP_1)
	v_max_f64 v[13:14], v[15:16], v[13:14]
	v_cmp_nle_f64_e64 s1, s[12:13], v[13:14]
                                        ; implicit-def: $sgpr12
	s_delay_alu instid0(VALU_DEP_1) | instskip(NEXT) | instid1(SALU_CYCLE_1)
	s_and_saveexec_b32 s2, s1
	s_xor_b32 s2, exec_lo, s2
	s_cbranch_execz .LBB164_222
; %bb.219:
	v_cmp_ge_f64_e64 s12, 0x200000, |v[17:18]|
	v_cmp_ge_f64_e64 s13, 0x200000, |v[19:20]|
	s_delay_alu instid0(VALU_DEP_1)
	s_and_b32 s14, s12, s13
	s_mov_b32 s12, 0
	s_and_saveexec_b32 s13, s14
; %bb.220:
	v_mul_f64 v[17:18], v[17:18], 4.0
	v_mul_f64 v[19:20], v[19:20], 4.0
	s_mov_b32 s12, exec_lo
; %bb.221:
	s_or_b32 exec_lo, exec_lo, s13
	s_delay_alu instid0(SALU_CYCLE_1)
	s_and_b32 s12, s12, exec_lo
.LBB164_222:
	s_and_not1_saveexec_b32 s2, s2
; %bb.223:
	s_delay_alu instid0(VALU_DEP_2) | instskip(NEXT) | instid1(VALU_DEP_2)
	v_ldexp_f64 v[17:18], v[17:18], -2
	v_ldexp_f64 v[19:20], v[19:20], -2
	s_and_not1_b32 s12, s12, exec_lo
; %bb.224:
	s_or_b32 exec_lo, exec_lo, s2
	s_delay_alu instid0(VALU_DEP_1) | instskip(NEXT) | instid1(VALU_DEP_3)
	v_max_f64 v[13:14], |v[19:20]|, |v[19:20]|
	v_max_f64 v[15:16], |v[17:18]|, |v[17:18]|
	v_cmp_class_f64_e64 s13, v[17:18], 0x204
	v_cmp_class_f64_e64 s14, v[19:20], 0x204
	v_cmp_le_f64_e64 s2, 0, v[17:18]
	s_delay_alu instid0(VALU_DEP_4) | instskip(NEXT) | instid1(VALU_DEP_3)
	v_max_f64 v[13:14], v[15:16], v[13:14]
	s_or_b32 s13, s14, s13
	s_delay_alu instid0(VALU_DEP_1) | instskip(NEXT) | instid1(VALU_DEP_1)
	v_frexp_exp_i32_f64_e32 v27, v[13:14]
	v_sub_nc_u32_e32 v15, 0, v27
	s_delay_alu instid0(VALU_DEP_1) | instskip(SKIP_1) | instid1(VALU_DEP_2)
	v_ldexp_f64 v[13:14], |v[19:20]|, v15
	v_ldexp_f64 v[15:16], |v[17:18]|, v15
	v_mul_f64 v[13:14], v[13:14], v[13:14]
	s_delay_alu instid0(VALU_DEP_1) | instskip(NEXT) | instid1(VALU_DEP_1)
	v_fma_f64 v[13:14], v[15:16], v[15:16], v[13:14]
	v_rsq_f64_e32 v[15:16], v[13:14]
	v_cmp_eq_f64_e32 vcc_lo, 0, v[13:14]
	s_waitcnt_depctr 0xfff
	v_mul_f64 v[22:23], v[13:14], v[15:16]
	v_mul_f64 v[15:16], v[15:16], 0.5
	s_delay_alu instid0(VALU_DEP_1) | instskip(NEXT) | instid1(VALU_DEP_1)
	v_fma_f64 v[24:25], -v[15:16], v[22:23], 0.5
	v_fma_f64 v[22:23], v[22:23], v[24:25], v[22:23]
	v_fma_f64 v[15:16], v[15:16], v[24:25], v[15:16]
	s_delay_alu instid0(VALU_DEP_2) | instskip(NEXT) | instid1(VALU_DEP_1)
	v_fma_f64 v[24:25], -v[22:23], v[22:23], v[13:14]
	v_fma_f64 v[15:16], v[24:25], v[15:16], v[22:23]
	s_delay_alu instid0(VALU_DEP_1) | instskip(SKIP_1) | instid1(VALU_DEP_2)
	v_dual_cndmask_b32 v14, v16, v14 :: v_dual_cndmask_b32 v13, v15, v13
	v_cmp_o_f64_e32 vcc_lo, v[19:20], v[19:20]
	v_ldexp_f64 v[13:14], v[13:14], v27
	s_delay_alu instid0(VALU_DEP_1) | instskip(NEXT) | instid1(VALU_DEP_2)
	v_cndmask_b32_e32 v13, 0, v13, vcc_lo
	v_cndmask_b32_e32 v14, 0x7ff80000, v14, vcc_lo
	s_delay_alu instid0(VALU_DEP_2) | instskip(NEXT) | instid1(VALU_DEP_2)
	v_cndmask_b32_e64 v13, v13, 0, s13
	v_cndmask_b32_e64 v14, v14, 0x7ff00000, s13
	s_and_saveexec_b32 s13, s2
	s_delay_alu instid0(SALU_CYCLE_1)
	s_xor_b32 s2, exec_lo, s13
	s_cbranch_execz .LBB164_230
; %bb.225:
	s_delay_alu instid0(VALU_DEP_1) | instskip(NEXT) | instid1(VALU_DEP_1)
	v_add_f64 v[13:14], v[17:18], v[13:14]
	v_mul_f64 v[13:14], v[13:14], 0.5
	s_delay_alu instid0(VALU_DEP_1) | instskip(SKIP_1) | instid1(VALU_DEP_1)
	v_cmp_gt_f64_e32 vcc_lo, 0x10000000, v[13:14]
	v_cndmask_b32_e64 v15, 0, 1, vcc_lo
	v_lshlrev_b32_e32 v15, 8, v15
	s_delay_alu instid0(VALU_DEP_1) | instskip(NEXT) | instid1(VALU_DEP_1)
	v_ldexp_f64 v[13:14], v[13:14], v15
	v_rsq_f64_e32 v[15:16], v[13:14]
	s_waitcnt_depctr 0xfff
	v_mul_f64 v[17:18], v[13:14], v[15:16]
	v_mul_f64 v[15:16], v[15:16], 0.5
	s_delay_alu instid0(VALU_DEP_1) | instskip(NEXT) | instid1(VALU_DEP_1)
	v_fma_f64 v[22:23], -v[15:16], v[17:18], 0.5
	v_fma_f64 v[17:18], v[17:18], v[22:23], v[17:18]
	v_fma_f64 v[15:16], v[15:16], v[22:23], v[15:16]
	s_delay_alu instid0(VALU_DEP_2) | instskip(NEXT) | instid1(VALU_DEP_1)
	v_fma_f64 v[22:23], -v[17:18], v[17:18], v[13:14]
	v_fma_f64 v[17:18], v[22:23], v[15:16], v[17:18]
	s_delay_alu instid0(VALU_DEP_1) | instskip(NEXT) | instid1(VALU_DEP_1)
	v_fma_f64 v[22:23], -v[17:18], v[17:18], v[13:14]
	v_fma_f64 v[15:16], v[22:23], v[15:16], v[17:18]
	v_cndmask_b32_e64 v17, 0, 0xffffff80, vcc_lo
	v_cmp_class_f64_e64 vcc_lo, v[13:14], 0x260
	s_delay_alu instid0(VALU_DEP_2) | instskip(NEXT) | instid1(VALU_DEP_1)
	v_ldexp_f64 v[15:16], v[15:16], v17
	v_dual_cndmask_b32 v18, v16, v14 :: v_dual_cndmask_b32 v17, v15, v13
	s_delay_alu instid0(VALU_DEP_1) | instskip(NEXT) | instid1(VALU_DEP_1)
	v_add_f64 v[13:14], v[17:18], v[17:18]
	v_div_scale_f64 v[15:16], null, v[13:14], v[13:14], v[19:20]
	s_delay_alu instid0(VALU_DEP_1) | instskip(SKIP_2) | instid1(VALU_DEP_1)
	v_rcp_f64_e32 v[22:23], v[15:16]
	s_waitcnt_depctr 0xfff
	v_fma_f64 v[24:25], -v[15:16], v[22:23], 1.0
	v_fma_f64 v[22:23], v[22:23], v[24:25], v[22:23]
	s_delay_alu instid0(VALU_DEP_1) | instskip(NEXT) | instid1(VALU_DEP_1)
	v_fma_f64 v[24:25], -v[15:16], v[22:23], 1.0
	v_fma_f64 v[22:23], v[22:23], v[24:25], v[22:23]
	v_div_scale_f64 v[24:25], vcc_lo, v[19:20], v[13:14], v[19:20]
	s_delay_alu instid0(VALU_DEP_1) | instskip(NEXT) | instid1(VALU_DEP_1)
	v_mul_f64 v[27:28], v[24:25], v[22:23]
	v_fma_f64 v[15:16], -v[15:16], v[27:28], v[24:25]
	s_delay_alu instid0(VALU_DEP_1) | instskip(NEXT) | instid1(VALU_DEP_1)
	v_div_fmas_f64 v[15:16], v[15:16], v[22:23], v[27:28]
	v_div_fixup_f64 v[19:20], v[15:16], v[13:14], v[19:20]
                                        ; implicit-def: $vgpr13_vgpr14
	s_and_not1_saveexec_b32 s2, s2
	s_cbranch_execnz .LBB164_231
.LBB164_226:
	s_or_b32 exec_lo, exec_lo, s2
	s_and_saveexec_b32 s2, s1
	s_delay_alu instid0(SALU_CYCLE_1)
	s_xor_b32 s1, exec_lo, s2
	s_cbranch_execz .LBB164_232
.LBB164_227:
	s_and_saveexec_b32 s2, s12
; %bb.228:
	s_delay_alu instid0(VALU_DEP_2) | instskip(NEXT) | instid1(VALU_DEP_2)
	v_mul_f64 v[17:18], v[17:18], 0.5
	v_mul_f64 v[19:20], v[19:20], 0.5
; %bb.229:
	s_or_b32 exec_lo, exec_lo, s2
	s_and_not1_saveexec_b32 s1, s1
	s_cbranch_execnz .LBB164_233
	s_branch .LBB164_234
.LBB164_230:
	s_and_not1_saveexec_b32 s2, s2
	s_cbranch_execz .LBB164_226
.LBB164_231:
	v_add_f64 v[13:14], v[13:14], -v[17:18]
	s_delay_alu instid0(VALU_DEP_1) | instskip(NEXT) | instid1(VALU_DEP_1)
	v_mul_f64 v[13:14], v[13:14], 0.5
	v_cmp_gt_f64_e32 vcc_lo, 0x10000000, v[13:14]
	v_cndmask_b32_e64 v15, 0, 1, vcc_lo
	s_delay_alu instid0(VALU_DEP_1) | instskip(NEXT) | instid1(VALU_DEP_1)
	v_lshlrev_b32_e32 v15, 8, v15
	v_ldexp_f64 v[13:14], v[13:14], v15
	s_delay_alu instid0(VALU_DEP_1) | instskip(SKIP_3) | instid1(VALU_DEP_1)
	v_rsq_f64_e32 v[15:16], v[13:14]
	s_waitcnt_depctr 0xfff
	v_mul_f64 v[17:18], v[13:14], v[15:16]
	v_mul_f64 v[15:16], v[15:16], 0.5
	v_fma_f64 v[22:23], -v[15:16], v[17:18], 0.5
	s_delay_alu instid0(VALU_DEP_1) | instskip(SKIP_1) | instid1(VALU_DEP_2)
	v_fma_f64 v[17:18], v[17:18], v[22:23], v[17:18]
	v_fma_f64 v[15:16], v[15:16], v[22:23], v[15:16]
	v_fma_f64 v[22:23], -v[17:18], v[17:18], v[13:14]
	s_delay_alu instid0(VALU_DEP_1) | instskip(NEXT) | instid1(VALU_DEP_1)
	v_fma_f64 v[17:18], v[22:23], v[15:16], v[17:18]
	v_fma_f64 v[22:23], -v[17:18], v[17:18], v[13:14]
	s_delay_alu instid0(VALU_DEP_1) | instskip(SKIP_3) | instid1(VALU_DEP_3)
	v_fma_f64 v[15:16], v[22:23], v[15:16], v[17:18]
	v_cndmask_b32_e64 v17, 0, 0xffffff80, vcc_lo
	v_cmp_class_f64_e64 vcc_lo, v[13:14], 0x260
	v_and_b32_e32 v18, 0x7fffffff, v20
	v_ldexp_f64 v[15:16], v[15:16], v17
	s_delay_alu instid0(VALU_DEP_1) | instskip(NEXT) | instid1(VALU_DEP_1)
	v_dual_cndmask_b32 v14, v16, v14 :: v_dual_cndmask_b32 v13, v15, v13
	v_add_f64 v[15:16], v[13:14], v[13:14]
	v_bfi_b32 v14, 0x7fffffff, v14, v20
	v_mov_b32_e32 v17, v19
	s_delay_alu instid0(VALU_DEP_1) | instskip(SKIP_1) | instid1(VALU_DEP_2)
	v_div_scale_f64 v[22:23], null, v[15:16], v[15:16], v[17:18]
	v_div_scale_f64 v[17:18], vcc_lo, v[17:18], v[15:16], v[17:18]
	v_rcp_f64_e32 v[24:25], v[22:23]
	s_waitcnt_depctr 0xfff
	v_fma_f64 v[27:28], -v[22:23], v[24:25], 1.0
	s_delay_alu instid0(VALU_DEP_1) | instskip(NEXT) | instid1(VALU_DEP_1)
	v_fma_f64 v[24:25], v[24:25], v[27:28], v[24:25]
	v_fma_f64 v[27:28], -v[22:23], v[24:25], 1.0
	s_delay_alu instid0(VALU_DEP_1) | instskip(NEXT) | instid1(VALU_DEP_1)
	v_fma_f64 v[24:25], v[24:25], v[27:28], v[24:25]
	v_mul_f64 v[27:28], v[17:18], v[24:25]
	s_delay_alu instid0(VALU_DEP_1) | instskip(NEXT) | instid1(VALU_DEP_1)
	v_fma_f64 v[17:18], -v[22:23], v[27:28], v[17:18]
	v_div_fmas_f64 v[17:18], v[17:18], v[24:25], v[27:28]
	s_delay_alu instid0(VALU_DEP_1) | instskip(SKIP_3) | instid1(SALU_CYCLE_1)
	v_div_fixup_f64 v[17:18], v[17:18], v[15:16], |v[19:20]|
	v_dual_mov_b32 v20, v14 :: v_dual_mov_b32 v19, v13
	s_or_b32 exec_lo, exec_lo, s2
	s_and_saveexec_b32 s2, s1
	s_xor_b32 s1, exec_lo, s2
	s_cbranch_execnz .LBB164_227
.LBB164_232:
	s_and_not1_saveexec_b32 s1, s1
.LBB164_233:
	s_delay_alu instid0(VALU_DEP_2) | instskip(NEXT) | instid1(VALU_DEP_2)
	v_add_f64 v[17:18], v[17:18], v[17:18]
	v_add_f64 v[19:20], v[19:20], v[19:20]
.LBB164_234:
	s_or_b32 exec_lo, exec_lo, s1
.LBB164_235:
	s_and_not1_saveexec_b32 s1, s11
	s_cbranch_execz .LBB164_241
; %bb.236:
	s_delay_alu instid0(VALU_DEP_1) | instskip(SKIP_1) | instid1(VALU_DEP_3)
	v_add_f64 v[13:14], v[19:20], -v[19:20]
	s_mov_b32 s2, exec_lo
	v_cmpx_lt_i64_e32 -1, v[17:18]
	s_xor_b32 s2, exec_lo, s2
; %bb.237:
	s_delay_alu instid0(VALU_DEP_2) | instskip(NEXT) | instid1(VALU_DEP_1)
	v_bfi_b32 v14, 0x7fffffff, v14, v20
	v_dual_mov_b32 v20, v14 :: v_dual_mov_b32 v19, v13
                                        ; implicit-def: $vgpr13_vgpr14
; %bb.238:
	s_and_not1_saveexec_b32 s2, s2
; %bb.239:
	s_delay_alu instid0(VALU_DEP_1) | instskip(SKIP_1) | instid1(VALU_DEP_2)
	v_bfi_b32 v18, 0x7fffffff, v18, v20
	v_and_b32_e32 v14, 0x7fffffff, v14
	v_dual_mov_b32 v20, v18 :: v_dual_mov_b32 v19, v17
	s_delay_alu instid0(VALU_DEP_2)
	v_dual_mov_b32 v18, v14 :: v_dual_mov_b32 v17, v13
; %bb.240:
	s_or_b32 exec_lo, exec_lo, s2
.LBB164_241:
	s_delay_alu instid0(SALU_CYCLE_1)
	s_or_b32 exec_lo, exec_lo, s1
.LBB164_242:
	s_and_not1_saveexec_b32 s1, s9
; %bb.243:
	s_delay_alu instid0(VALU_DEP_1) | instskip(NEXT) | instid1(VALU_DEP_1)
	v_add_f64 v[13:14], v[19:20], -v[19:20]
	v_div_scale_f64 v[15:16], vcc_lo, v[13:14], v[13:14], v[13:14]
	s_delay_alu instid0(VALU_DEP_1) | instskip(SKIP_2) | instid1(VALU_DEP_1)
	v_rcp_f64_e32 v[19:20], v[15:16]
	s_waitcnt_depctr 0xfff
	v_fma_f64 v[22:23], -v[15:16], v[19:20], 1.0
	v_fma_f64 v[19:20], v[19:20], v[22:23], v[19:20]
	s_delay_alu instid0(VALU_DEP_1) | instskip(NEXT) | instid1(VALU_DEP_1)
	v_fma_f64 v[22:23], -v[15:16], v[19:20], 1.0
	v_fma_f64 v[19:20], v[19:20], v[22:23], v[19:20]
	s_delay_alu instid0(VALU_DEP_1) | instskip(NEXT) | instid1(VALU_DEP_1)
	v_mul_f64 v[22:23], v[15:16], v[19:20]
	v_fma_f64 v[15:16], -v[15:16], v[22:23], v[15:16]
	s_delay_alu instid0(VALU_DEP_1) | instskip(NEXT) | instid1(VALU_DEP_1)
	v_div_fmas_f64 v[15:16], v[15:16], v[19:20], v[22:23]
	v_div_fixup_f64 v[19:20], v[15:16], v[13:14], v[13:14]
; %bb.244:
	s_or_b32 exec_lo, exec_lo, s1
	v_dual_mov_b32 v23, v18 :: v_dual_mov_b32 v22, v17
.LBB164_245:
	s_or_b32 exec_lo, exec_lo, s7
.LBB164_246:
	s_delay_alu instid0(SALU_CYCLE_1) | instskip(NEXT) | instid1(VALU_DEP_1)
	s_or_b32 exec_lo, exec_lo, s6
	v_cmp_gt_f64_e32 vcc_lo, 0, v[22:23]
	s_delay_alu instid0(VALU_DEP_3) | instskip(SKIP_2) | instid1(VALU_DEP_2)
	v_cmp_gt_f64_e64 s1, 0, v[19:20]
	v_xor_b32_e32 v13, 0x80000000, v23
	v_xor_b32_e32 v14, 0x80000000, v20
	v_dual_cndmask_b32 v18, v23, v13 :: v_dual_cndmask_b32 v17, v22, v22
	s_delay_alu instid0(VALU_DEP_2) | instskip(SKIP_2) | instid1(VALU_DEP_1)
	v_cndmask_b32_e64 v25, v20, v14, s1
	v_cndmask_b32_e64 v24, v19, v19, s1
                                        ; implicit-def: $vgpr13_vgpr14
	s_mov_b32 s1, exec_lo
	v_cmpx_ge_f64_e32 v[17:18], v[24:25]
	s_xor_b32 s2, exec_lo, s1
	s_cbranch_execz .LBB164_252
; %bb.247:
	v_cmp_neq_f64_e32 vcc_lo, 0, v[22:23]
	v_cmp_neq_f64_e64 s1, 0, v[19:20]
                                        ; implicit-def: $vgpr13_vgpr14
	s_delay_alu instid0(VALU_DEP_1) | instskip(NEXT) | instid1(SALU_CYCLE_1)
	s_or_b32 s1, vcc_lo, s1
	s_and_saveexec_b32 s6, s1
	s_delay_alu instid0(SALU_CYCLE_1)
	s_xor_b32 s1, exec_lo, s6
	s_cbranch_execz .LBB164_249
; %bb.248:
	v_div_scale_f64 v[13:14], null, v[22:23], v[22:23], v[19:20]
	v_div_scale_f64 v[24:25], vcc_lo, v[19:20], v[22:23], v[19:20]
	s_delay_alu instid0(VALU_DEP_2) | instskip(SKIP_2) | instid1(VALU_DEP_1)
	v_rcp_f64_e32 v[15:16], v[13:14]
	s_waitcnt_depctr 0xfff
	v_fma_f64 v[17:18], -v[13:14], v[15:16], 1.0
	v_fma_f64 v[15:16], v[15:16], v[17:18], v[15:16]
	s_delay_alu instid0(VALU_DEP_1) | instskip(NEXT) | instid1(VALU_DEP_1)
	v_fma_f64 v[17:18], -v[13:14], v[15:16], 1.0
	v_fma_f64 v[15:16], v[15:16], v[17:18], v[15:16]
	s_delay_alu instid0(VALU_DEP_1) | instskip(NEXT) | instid1(VALU_DEP_1)
	v_mul_f64 v[17:18], v[24:25], v[15:16]
	v_fma_f64 v[13:14], -v[13:14], v[17:18], v[24:25]
	s_delay_alu instid0(VALU_DEP_1) | instskip(NEXT) | instid1(VALU_DEP_1)
	v_div_fmas_f64 v[13:14], v[13:14], v[15:16], v[17:18]
	v_div_fixup_f64 v[13:14], v[13:14], v[22:23], v[19:20]
	s_delay_alu instid0(VALU_DEP_1) | instskip(NEXT) | instid1(VALU_DEP_1)
	v_fma_f64 v[15:16], v[19:20], v[13:14], v[22:23]
	v_div_scale_f64 v[17:18], null, v[15:16], v[15:16], 1.0
	v_div_scale_f64 v[24:25], vcc_lo, 1.0, v[15:16], 1.0
	s_delay_alu instid0(VALU_DEP_2) | instskip(SKIP_2) | instid1(VALU_DEP_1)
	v_rcp_f64_e32 v[19:20], v[17:18]
	s_waitcnt_depctr 0xfff
	v_fma_f64 v[22:23], -v[17:18], v[19:20], 1.0
	v_fma_f64 v[19:20], v[19:20], v[22:23], v[19:20]
	s_delay_alu instid0(VALU_DEP_1) | instskip(NEXT) | instid1(VALU_DEP_1)
	v_fma_f64 v[22:23], -v[17:18], v[19:20], 1.0
	v_fma_f64 v[19:20], v[19:20], v[22:23], v[19:20]
	s_delay_alu instid0(VALU_DEP_1) | instskip(NEXT) | instid1(VALU_DEP_1)
	v_mul_f64 v[22:23], v[24:25], v[19:20]
	v_fma_f64 v[17:18], -v[17:18], v[22:23], v[24:25]
                                        ; implicit-def: $vgpr24_vgpr25
	s_delay_alu instid0(VALU_DEP_1) | instskip(SKIP_1) | instid1(VALU_DEP_2)
	v_div_fmas_f64 v[17:18], v[17:18], v[19:20], v[22:23]
	v_fma_f64 v[19:20], v[13:14], 0, 1.0
	v_div_fixup_f64 v[15:16], v[17:18], v[15:16], 1.0
	v_add_f64 v[17:18], -v[13:14], 0
	s_delay_alu instid0(VALU_DEP_2) | instskip(NEXT) | instid1(VALU_DEP_2)
	v_mul_f64 v[13:14], v[19:20], v[15:16]
	v_mul_f64 v[15:16], v[17:18], v[15:16]
                                        ; implicit-def: $vgpr17_vgpr18
.LBB164_249:
	s_and_not1_saveexec_b32 s6, s1
	s_cbranch_execz .LBB164_251
; %bb.250:
	v_div_scale_f64 v[13:14], null, v[17:18], v[17:18], 1.0
	v_div_scale_f64 v[15:16], null, v[24:25], v[24:25], 0
	v_div_scale_f64 v[31:32], vcc_lo, 1.0, v[17:18], 1.0
	s_delay_alu instid0(VALU_DEP_3) | instskip(NEXT) | instid1(VALU_DEP_2)
	v_rcp_f64_e32 v[19:20], v[13:14]
	v_rcp_f64_e32 v[22:23], v[15:16]
	s_waitcnt_depctr 0xfff
	v_fma_f64 v[27:28], -v[13:14], v[19:20], 1.0
	v_fma_f64 v[29:30], -v[15:16], v[22:23], 1.0
	s_delay_alu instid0(VALU_DEP_2) | instskip(NEXT) | instid1(VALU_DEP_2)
	v_fma_f64 v[19:20], v[19:20], v[27:28], v[19:20]
	v_fma_f64 v[22:23], v[22:23], v[29:30], v[22:23]
	s_delay_alu instid0(VALU_DEP_2) | instskip(NEXT) | instid1(VALU_DEP_2)
	v_fma_f64 v[27:28], -v[13:14], v[19:20], 1.0
	v_fma_f64 v[29:30], -v[15:16], v[22:23], 1.0
	s_delay_alu instid0(VALU_DEP_2) | instskip(SKIP_1) | instid1(VALU_DEP_3)
	v_fma_f64 v[19:20], v[19:20], v[27:28], v[19:20]
	v_div_scale_f64 v[27:28], s1, 0, v[24:25], 0
	v_fma_f64 v[22:23], v[22:23], v[29:30], v[22:23]
	s_delay_alu instid0(VALU_DEP_3) | instskip(NEXT) | instid1(VALU_DEP_2)
	v_mul_f64 v[29:30], v[31:32], v[19:20]
	v_mul_f64 v[33:34], v[27:28], v[22:23]
	s_delay_alu instid0(VALU_DEP_2) | instskip(NEXT) | instid1(VALU_DEP_2)
	v_fma_f64 v[13:14], -v[13:14], v[29:30], v[31:32]
	v_fma_f64 v[15:16], -v[15:16], v[33:34], v[27:28]
	s_delay_alu instid0(VALU_DEP_2) | instskip(SKIP_1) | instid1(VALU_DEP_2)
	v_div_fmas_f64 v[13:14], v[13:14], v[19:20], v[29:30]
	s_mov_b32 vcc_lo, s1
	v_div_fmas_f64 v[15:16], v[15:16], v[22:23], v[33:34]
	s_delay_alu instid0(VALU_DEP_2) | instskip(NEXT) | instid1(VALU_DEP_2)
	v_div_fixup_f64 v[13:14], v[13:14], v[17:18], 1.0
	v_div_fixup_f64 v[15:16], v[15:16], v[24:25], 0
.LBB164_251:
	s_or_b32 exec_lo, exec_lo, s6
                                        ; implicit-def: $vgpr19_vgpr20
                                        ; implicit-def: $vgpr22_vgpr23
.LBB164_252:
	s_and_not1_saveexec_b32 s1, s2
	s_cbranch_execz .LBB164_254
; %bb.253:
	v_div_scale_f64 v[13:14], null, v[19:20], v[19:20], v[22:23]
	v_div_scale_f64 v[24:25], vcc_lo, v[22:23], v[19:20], v[22:23]
	s_delay_alu instid0(VALU_DEP_2) | instskip(SKIP_2) | instid1(VALU_DEP_1)
	v_rcp_f64_e32 v[15:16], v[13:14]
	s_waitcnt_depctr 0xfff
	v_fma_f64 v[17:18], -v[13:14], v[15:16], 1.0
	v_fma_f64 v[15:16], v[15:16], v[17:18], v[15:16]
	s_delay_alu instid0(VALU_DEP_1) | instskip(NEXT) | instid1(VALU_DEP_1)
	v_fma_f64 v[17:18], -v[13:14], v[15:16], 1.0
	v_fma_f64 v[15:16], v[15:16], v[17:18], v[15:16]
	s_delay_alu instid0(VALU_DEP_1) | instskip(NEXT) | instid1(VALU_DEP_1)
	v_mul_f64 v[17:18], v[24:25], v[15:16]
	v_fma_f64 v[13:14], -v[13:14], v[17:18], v[24:25]
	s_delay_alu instid0(VALU_DEP_1) | instskip(NEXT) | instid1(VALU_DEP_1)
	v_div_fmas_f64 v[13:14], v[13:14], v[15:16], v[17:18]
	v_div_fixup_f64 v[13:14], v[13:14], v[19:20], v[22:23]
	s_delay_alu instid0(VALU_DEP_1) | instskip(NEXT) | instid1(VALU_DEP_1)
	v_fma_f64 v[15:16], v[22:23], v[13:14], v[19:20]
	v_div_scale_f64 v[17:18], null, v[15:16], v[15:16], 1.0
	v_div_scale_f64 v[24:25], vcc_lo, 1.0, v[15:16], 1.0
	s_delay_alu instid0(VALU_DEP_2) | instskip(SKIP_2) | instid1(VALU_DEP_1)
	v_rcp_f64_e32 v[19:20], v[17:18]
	s_waitcnt_depctr 0xfff
	v_fma_f64 v[22:23], -v[17:18], v[19:20], 1.0
	v_fma_f64 v[19:20], v[19:20], v[22:23], v[19:20]
	s_delay_alu instid0(VALU_DEP_1) | instskip(NEXT) | instid1(VALU_DEP_1)
	v_fma_f64 v[22:23], -v[17:18], v[19:20], 1.0
	v_fma_f64 v[19:20], v[19:20], v[22:23], v[19:20]
	s_delay_alu instid0(VALU_DEP_1) | instskip(NEXT) | instid1(VALU_DEP_1)
	v_mul_f64 v[22:23], v[24:25], v[19:20]
	v_fma_f64 v[17:18], -v[17:18], v[22:23], v[24:25]
	s_delay_alu instid0(VALU_DEP_1) | instskip(SKIP_1) | instid1(VALU_DEP_2)
	v_div_fmas_f64 v[17:18], v[17:18], v[19:20], v[22:23]
	v_add_f64 v[19:20], v[13:14], 0
	v_div_fixup_f64 v[15:16], v[17:18], v[15:16], 1.0
	v_fma_f64 v[17:18], v[13:14], 0, -1.0
	s_delay_alu instid0(VALU_DEP_2) | instskip(NEXT) | instid1(VALU_DEP_2)
	v_mul_f64 v[13:14], v[19:20], v[15:16]
	v_mul_f64 v[15:16], v[17:18], v[15:16]
.LBB164_254:
	s_or_b32 exec_lo, exec_lo, s1
.LBB164_255:
	s_delay_alu instid0(SALU_CYCLE_1) | instskip(SKIP_3) | instid1(VALU_DEP_2)
	s_or_b32 exec_lo, exec_lo, s3
	v_mov_b32_e32 v17, 0
	v_or_b32_e32 v19, 0x200, v0
	v_mov_b32_e32 v18, 0
	v_cmp_gt_i32_e32 vcc_lo, s10, v19
	s_delay_alu instid0(VALU_DEP_2)
	v_dual_mov_b32 v20, v18 :: v_dual_mov_b32 v19, v17
	s_and_saveexec_b32 s3, vcc_lo
	s_cbranch_execz .LBB164_297
; %bb.256:
	v_cmp_neq_f64_e32 vcc_lo, 0, v[9:10]
	v_cmp_neq_f64_e64 s1, 0, v[11:12]
	v_mov_b32_e32 v22, 0
	v_mov_b32_e32 v23, 0
	s_delay_alu instid0(VALU_DEP_3) | instskip(NEXT) | instid1(SALU_CYCLE_1)
	s_or_b32 s1, vcc_lo, s1
	s_and_saveexec_b32 s6, s1
	s_cbranch_execz .LBB164_288
; %bb.257:
	s_mov_b32 s12, 0
	s_mov_b32 s13, 0x7ff00000
	v_mov_b32_e32 v22, s12
	v_mov_b32_e32 v23, s13
	s_mov_b32 s7, exec_lo
	v_cmpx_neq_f64_e64 0x7ff00000, |v[11:12]|
	s_cbranch_execz .LBB164_287
; %bb.258:
	s_mov_b32 s1, exec_lo
	v_cmpx_o_f64_e32 v[9:10], v[9:10]
	s_xor_b32 s9, exec_lo, s1
	s_cbranch_execz .LBB164_284
; %bb.259:
	s_mov_b32 s2, exec_lo
	v_cmpx_neq_f64_e64 0x7ff00000, |v[9:10]|
	s_xor_b32 s11, exec_lo, s2
	s_cbranch_execz .LBB164_277
; %bb.260:
	v_max_f64 v[17:18], |v[11:12]|, |v[11:12]|
	v_max_f64 v[19:20], |v[9:10]|, |v[9:10]|
	s_mov_b32 s12, 0x99fcef32
	s_mov_b32 s13, 0x7fda8279
	s_delay_alu instid0(VALU_DEP_1) | instskip(NEXT) | instid1(VALU_DEP_1)
	v_max_f64 v[17:18], v[19:20], v[17:18]
	v_cmp_nle_f64_e64 s1, s[12:13], v[17:18]
                                        ; implicit-def: $sgpr12
	s_delay_alu instid0(VALU_DEP_1) | instskip(NEXT) | instid1(SALU_CYCLE_1)
	s_and_saveexec_b32 s2, s1
	s_xor_b32 s2, exec_lo, s2
	s_cbranch_execz .LBB164_264
; %bb.261:
	v_cmp_ge_f64_e64 s12, 0x200000, |v[9:10]|
	v_cmp_ge_f64_e64 s13, 0x200000, |v[11:12]|
	s_delay_alu instid0(VALU_DEP_1)
	s_and_b32 s14, s12, s13
	s_mov_b32 s12, 0
	s_and_saveexec_b32 s13, s14
; %bb.262:
	v_mul_f64 v[9:10], v[9:10], 4.0
	v_mul_f64 v[11:12], v[11:12], 4.0
	s_mov_b32 s12, exec_lo
; %bb.263:
	s_or_b32 exec_lo, exec_lo, s13
	s_delay_alu instid0(SALU_CYCLE_1)
	s_and_b32 s12, s12, exec_lo
.LBB164_264:
	s_and_not1_saveexec_b32 s2, s2
; %bb.265:
	s_delay_alu instid0(VALU_DEP_2) | instskip(NEXT) | instid1(VALU_DEP_2)
	v_ldexp_f64 v[9:10], v[9:10], -2
	v_ldexp_f64 v[11:12], v[11:12], -2
	s_and_not1_b32 s12, s12, exec_lo
; %bb.266:
	s_or_b32 exec_lo, exec_lo, s2
	s_delay_alu instid0(VALU_DEP_1) | instskip(NEXT) | instid1(VALU_DEP_3)
	v_max_f64 v[17:18], |v[11:12]|, |v[11:12]|
	v_max_f64 v[19:20], |v[9:10]|, |v[9:10]|
	v_cmp_class_f64_e64 s13, v[9:10], 0x204
	v_cmp_class_f64_e64 s14, v[11:12], 0x204
	v_cmp_le_f64_e64 s2, 0, v[9:10]
	s_delay_alu instid0(VALU_DEP_4) | instskip(NEXT) | instid1(VALU_DEP_3)
	v_max_f64 v[17:18], v[19:20], v[17:18]
	s_or_b32 s13, s14, s13
	s_delay_alu instid0(VALU_DEP_1) | instskip(NEXT) | instid1(VALU_DEP_1)
	v_frexp_exp_i32_f64_e32 v27, v[17:18]
	v_sub_nc_u32_e32 v19, 0, v27
	s_delay_alu instid0(VALU_DEP_1) | instskip(SKIP_1) | instid1(VALU_DEP_2)
	v_ldexp_f64 v[17:18], |v[11:12]|, v19
	v_ldexp_f64 v[19:20], |v[9:10]|, v19
	v_mul_f64 v[17:18], v[17:18], v[17:18]
	s_delay_alu instid0(VALU_DEP_1) | instskip(NEXT) | instid1(VALU_DEP_1)
	v_fma_f64 v[17:18], v[19:20], v[19:20], v[17:18]
	v_rsq_f64_e32 v[19:20], v[17:18]
	v_cmp_eq_f64_e32 vcc_lo, 0, v[17:18]
	s_waitcnt_depctr 0xfff
	v_mul_f64 v[22:23], v[17:18], v[19:20]
	v_mul_f64 v[19:20], v[19:20], 0.5
	s_delay_alu instid0(VALU_DEP_1) | instskip(NEXT) | instid1(VALU_DEP_1)
	v_fma_f64 v[24:25], -v[19:20], v[22:23], 0.5
	v_fma_f64 v[22:23], v[22:23], v[24:25], v[22:23]
	v_fma_f64 v[19:20], v[19:20], v[24:25], v[19:20]
	s_delay_alu instid0(VALU_DEP_2) | instskip(NEXT) | instid1(VALU_DEP_1)
	v_fma_f64 v[24:25], -v[22:23], v[22:23], v[17:18]
	v_fma_f64 v[19:20], v[24:25], v[19:20], v[22:23]
	s_delay_alu instid0(VALU_DEP_1) | instskip(SKIP_1) | instid1(VALU_DEP_2)
	v_dual_cndmask_b32 v18, v20, v18 :: v_dual_cndmask_b32 v17, v19, v17
	v_cmp_o_f64_e32 vcc_lo, v[11:12], v[11:12]
	v_ldexp_f64 v[17:18], v[17:18], v27
	s_delay_alu instid0(VALU_DEP_1) | instskip(NEXT) | instid1(VALU_DEP_2)
	v_cndmask_b32_e32 v17, 0, v17, vcc_lo
	v_cndmask_b32_e32 v18, 0x7ff80000, v18, vcc_lo
	s_delay_alu instid0(VALU_DEP_2) | instskip(NEXT) | instid1(VALU_DEP_2)
	v_cndmask_b32_e64 v17, v17, 0, s13
	v_cndmask_b32_e64 v18, v18, 0x7ff00000, s13
	s_and_saveexec_b32 s13, s2
	s_delay_alu instid0(SALU_CYCLE_1)
	s_xor_b32 s2, exec_lo, s13
	s_cbranch_execz .LBB164_272
; %bb.267:
	s_delay_alu instid0(VALU_DEP_1) | instskip(NEXT) | instid1(VALU_DEP_1)
	v_add_f64 v[9:10], v[9:10], v[17:18]
	v_mul_f64 v[9:10], v[9:10], 0.5
	s_delay_alu instid0(VALU_DEP_1) | instskip(SKIP_1) | instid1(VALU_DEP_1)
	v_cmp_gt_f64_e32 vcc_lo, 0x10000000, v[9:10]
	v_cndmask_b32_e64 v17, 0, 1, vcc_lo
	v_lshlrev_b32_e32 v17, 8, v17
	s_delay_alu instid0(VALU_DEP_1) | instskip(NEXT) | instid1(VALU_DEP_1)
	v_ldexp_f64 v[9:10], v[9:10], v17
	v_rsq_f64_e32 v[17:18], v[9:10]
	s_waitcnt_depctr 0xfff
	v_mul_f64 v[19:20], v[9:10], v[17:18]
	v_mul_f64 v[17:18], v[17:18], 0.5
	s_delay_alu instid0(VALU_DEP_1) | instskip(NEXT) | instid1(VALU_DEP_1)
	v_fma_f64 v[22:23], -v[17:18], v[19:20], 0.5
	v_fma_f64 v[19:20], v[19:20], v[22:23], v[19:20]
	v_fma_f64 v[17:18], v[17:18], v[22:23], v[17:18]
	s_delay_alu instid0(VALU_DEP_2) | instskip(NEXT) | instid1(VALU_DEP_1)
	v_fma_f64 v[22:23], -v[19:20], v[19:20], v[9:10]
	v_fma_f64 v[19:20], v[22:23], v[17:18], v[19:20]
	s_delay_alu instid0(VALU_DEP_1) | instskip(NEXT) | instid1(VALU_DEP_1)
	v_fma_f64 v[22:23], -v[19:20], v[19:20], v[9:10]
	v_fma_f64 v[17:18], v[22:23], v[17:18], v[19:20]
	v_cndmask_b32_e64 v19, 0, 0xffffff80, vcc_lo
	v_cmp_class_f64_e64 vcc_lo, v[9:10], 0x260
	s_delay_alu instid0(VALU_DEP_2) | instskip(NEXT) | instid1(VALU_DEP_1)
	v_ldexp_f64 v[17:18], v[17:18], v19
	v_dual_cndmask_b32 v10, v18, v10 :: v_dual_cndmask_b32 v9, v17, v9
	s_delay_alu instid0(VALU_DEP_1) | instskip(NEXT) | instid1(VALU_DEP_1)
	v_add_f64 v[17:18], v[9:10], v[9:10]
	v_div_scale_f64 v[19:20], null, v[17:18], v[17:18], v[11:12]
	s_delay_alu instid0(VALU_DEP_1) | instskip(SKIP_2) | instid1(VALU_DEP_1)
	v_rcp_f64_e32 v[22:23], v[19:20]
	s_waitcnt_depctr 0xfff
	v_fma_f64 v[24:25], -v[19:20], v[22:23], 1.0
	v_fma_f64 v[22:23], v[22:23], v[24:25], v[22:23]
	s_delay_alu instid0(VALU_DEP_1) | instskip(NEXT) | instid1(VALU_DEP_1)
	v_fma_f64 v[24:25], -v[19:20], v[22:23], 1.0
	v_fma_f64 v[22:23], v[22:23], v[24:25], v[22:23]
	v_div_scale_f64 v[24:25], vcc_lo, v[11:12], v[17:18], v[11:12]
	s_delay_alu instid0(VALU_DEP_1) | instskip(NEXT) | instid1(VALU_DEP_1)
	v_mul_f64 v[27:28], v[24:25], v[22:23]
	v_fma_f64 v[19:20], -v[19:20], v[27:28], v[24:25]
	s_delay_alu instid0(VALU_DEP_1) | instskip(NEXT) | instid1(VALU_DEP_1)
	v_div_fmas_f64 v[19:20], v[19:20], v[22:23], v[27:28]
	v_div_fixup_f64 v[11:12], v[19:20], v[17:18], v[11:12]
                                        ; implicit-def: $vgpr17_vgpr18
	s_and_not1_saveexec_b32 s2, s2
	s_cbranch_execnz .LBB164_273
.LBB164_268:
	s_or_b32 exec_lo, exec_lo, s2
	s_and_saveexec_b32 s2, s1
	s_delay_alu instid0(SALU_CYCLE_1)
	s_xor_b32 s1, exec_lo, s2
	s_cbranch_execz .LBB164_274
.LBB164_269:
	s_and_saveexec_b32 s2, s12
; %bb.270:
	s_delay_alu instid0(VALU_DEP_2) | instskip(NEXT) | instid1(VALU_DEP_2)
	v_mul_f64 v[9:10], v[9:10], 0.5
	v_mul_f64 v[11:12], v[11:12], 0.5
; %bb.271:
	s_or_b32 exec_lo, exec_lo, s2
	s_and_not1_saveexec_b32 s1, s1
	s_cbranch_execnz .LBB164_275
	s_branch .LBB164_276
.LBB164_272:
	s_and_not1_saveexec_b32 s2, s2
	s_cbranch_execz .LBB164_268
.LBB164_273:
	v_add_f64 v[9:10], v[17:18], -v[9:10]
	s_delay_alu instid0(VALU_DEP_1) | instskip(NEXT) | instid1(VALU_DEP_1)
	v_mul_f64 v[9:10], v[9:10], 0.5
	v_cmp_gt_f64_e32 vcc_lo, 0x10000000, v[9:10]
	v_cndmask_b32_e64 v17, 0, 1, vcc_lo
	s_delay_alu instid0(VALU_DEP_1) | instskip(NEXT) | instid1(VALU_DEP_1)
	v_lshlrev_b32_e32 v17, 8, v17
	v_ldexp_f64 v[9:10], v[9:10], v17
	s_delay_alu instid0(VALU_DEP_1) | instskip(SKIP_3) | instid1(VALU_DEP_1)
	v_rsq_f64_e32 v[17:18], v[9:10]
	s_waitcnt_depctr 0xfff
	v_mul_f64 v[19:20], v[9:10], v[17:18]
	v_mul_f64 v[17:18], v[17:18], 0.5
	v_fma_f64 v[22:23], -v[17:18], v[19:20], 0.5
	s_delay_alu instid0(VALU_DEP_1) | instskip(SKIP_1) | instid1(VALU_DEP_2)
	v_fma_f64 v[19:20], v[19:20], v[22:23], v[19:20]
	v_fma_f64 v[17:18], v[17:18], v[22:23], v[17:18]
	v_fma_f64 v[22:23], -v[19:20], v[19:20], v[9:10]
	s_delay_alu instid0(VALU_DEP_1) | instskip(NEXT) | instid1(VALU_DEP_1)
	v_fma_f64 v[19:20], v[22:23], v[17:18], v[19:20]
	v_fma_f64 v[22:23], -v[19:20], v[19:20], v[9:10]
	s_delay_alu instid0(VALU_DEP_1) | instskip(SKIP_3) | instid1(VALU_DEP_3)
	v_fma_f64 v[17:18], v[22:23], v[17:18], v[19:20]
	v_cndmask_b32_e64 v19, 0, 0xffffff80, vcc_lo
	v_cmp_class_f64_e64 vcc_lo, v[9:10], 0x260
	v_and_b32_e32 v20, 0x7fffffff, v12
	v_ldexp_f64 v[17:18], v[17:18], v19
	s_delay_alu instid0(VALU_DEP_1) | instskip(NEXT) | instid1(VALU_DEP_1)
	v_dual_cndmask_b32 v18, v18, v10 :: v_dual_cndmask_b32 v17, v17, v9
	v_add_f64 v[9:10], v[17:18], v[17:18]
	v_bfi_b32 v18, 0x7fffffff, v18, v12
	v_mov_b32_e32 v19, v11
	s_delay_alu instid0(VALU_DEP_1) | instskip(SKIP_1) | instid1(VALU_DEP_2)
	v_div_scale_f64 v[22:23], null, v[9:10], v[9:10], v[19:20]
	v_div_scale_f64 v[19:20], vcc_lo, v[19:20], v[9:10], v[19:20]
	v_rcp_f64_e32 v[24:25], v[22:23]
	s_waitcnt_depctr 0xfff
	v_fma_f64 v[27:28], -v[22:23], v[24:25], 1.0
	s_delay_alu instid0(VALU_DEP_1) | instskip(NEXT) | instid1(VALU_DEP_1)
	v_fma_f64 v[24:25], v[24:25], v[27:28], v[24:25]
	v_fma_f64 v[27:28], -v[22:23], v[24:25], 1.0
	s_delay_alu instid0(VALU_DEP_1) | instskip(NEXT) | instid1(VALU_DEP_1)
	v_fma_f64 v[24:25], v[24:25], v[27:28], v[24:25]
	v_mul_f64 v[27:28], v[19:20], v[24:25]
	s_delay_alu instid0(VALU_DEP_1) | instskip(NEXT) | instid1(VALU_DEP_1)
	v_fma_f64 v[19:20], -v[22:23], v[27:28], v[19:20]
	v_div_fmas_f64 v[19:20], v[19:20], v[24:25], v[27:28]
	s_delay_alu instid0(VALU_DEP_1) | instskip(SKIP_3) | instid1(SALU_CYCLE_1)
	v_div_fixup_f64 v[9:10], v[19:20], v[9:10], |v[11:12]|
	v_dual_mov_b32 v11, v17 :: v_dual_mov_b32 v12, v18
	s_or_b32 exec_lo, exec_lo, s2
	s_and_saveexec_b32 s2, s1
	s_xor_b32 s1, exec_lo, s2
	s_cbranch_execnz .LBB164_269
.LBB164_274:
	s_and_not1_saveexec_b32 s1, s1
.LBB164_275:
	s_delay_alu instid0(VALU_DEP_2) | instskip(NEXT) | instid1(VALU_DEP_2)
	v_add_f64 v[9:10], v[9:10], v[9:10]
	v_add_f64 v[11:12], v[11:12], v[11:12]
.LBB164_276:
	s_or_b32 exec_lo, exec_lo, s1
.LBB164_277:
	s_and_not1_saveexec_b32 s1, s11
	s_cbranch_execz .LBB164_283
; %bb.278:
	s_delay_alu instid0(VALU_DEP_1) | instskip(SKIP_1) | instid1(VALU_DEP_3)
	v_add_f64 v[17:18], v[11:12], -v[11:12]
	s_mov_b32 s2, exec_lo
	v_cmpx_lt_i64_e32 -1, v[9:10]
	s_xor_b32 s2, exec_lo, s2
; %bb.279:
	s_delay_alu instid0(VALU_DEP_2) | instskip(NEXT) | instid1(VALU_DEP_1)
	v_bfi_b32 v18, 0x7fffffff, v18, v12
	v_dual_mov_b32 v11, v17 :: v_dual_mov_b32 v12, v18
                                        ; implicit-def: $vgpr17_vgpr18
; %bb.280:
	s_and_not1_saveexec_b32 s2, s2
; %bb.281:
	s_delay_alu instid0(VALU_DEP_1) | instskip(SKIP_1) | instid1(VALU_DEP_2)
	v_bfi_b32 v10, 0x7fffffff, v10, v12
	v_and_b32_e32 v18, 0x7fffffff, v18
	v_dual_mov_b32 v12, v10 :: v_dual_mov_b32 v11, v9
	s_delay_alu instid0(VALU_DEP_2)
	v_dual_mov_b32 v9, v17 :: v_dual_mov_b32 v10, v18
; %bb.282:
	s_or_b32 exec_lo, exec_lo, s2
.LBB164_283:
	s_delay_alu instid0(SALU_CYCLE_1)
	s_or_b32 exec_lo, exec_lo, s1
.LBB164_284:
	s_and_not1_saveexec_b32 s1, s9
; %bb.285:
	s_delay_alu instid0(VALU_DEP_1) | instskip(NEXT) | instid1(VALU_DEP_1)
	v_add_f64 v[11:12], v[11:12], -v[11:12]
	v_div_scale_f64 v[17:18], vcc_lo, v[11:12], v[11:12], v[11:12]
	s_delay_alu instid0(VALU_DEP_1) | instskip(SKIP_2) | instid1(VALU_DEP_1)
	v_rcp_f64_e32 v[19:20], v[17:18]
	s_waitcnt_depctr 0xfff
	v_fma_f64 v[22:23], -v[17:18], v[19:20], 1.0
	v_fma_f64 v[19:20], v[19:20], v[22:23], v[19:20]
	s_delay_alu instid0(VALU_DEP_1) | instskip(NEXT) | instid1(VALU_DEP_1)
	v_fma_f64 v[22:23], -v[17:18], v[19:20], 1.0
	v_fma_f64 v[19:20], v[19:20], v[22:23], v[19:20]
	s_delay_alu instid0(VALU_DEP_1) | instskip(NEXT) | instid1(VALU_DEP_1)
	v_mul_f64 v[22:23], v[17:18], v[19:20]
	v_fma_f64 v[17:18], -v[17:18], v[22:23], v[17:18]
	s_delay_alu instid0(VALU_DEP_1) | instskip(NEXT) | instid1(VALU_DEP_1)
	v_div_fmas_f64 v[17:18], v[17:18], v[19:20], v[22:23]
	v_div_fixup_f64 v[11:12], v[17:18], v[11:12], v[11:12]
; %bb.286:
	s_or_b32 exec_lo, exec_lo, s1
	v_dual_mov_b32 v23, v10 :: v_dual_mov_b32 v22, v9
.LBB164_287:
	s_or_b32 exec_lo, exec_lo, s7
.LBB164_288:
	s_delay_alu instid0(SALU_CYCLE_1) | instskip(NEXT) | instid1(VALU_DEP_1)
	s_or_b32 exec_lo, exec_lo, s6
	v_cmp_gt_f64_e32 vcc_lo, 0, v[22:23]
	s_delay_alu instid0(VALU_DEP_3) | instskip(SKIP_2) | instid1(VALU_DEP_2)
	v_cmp_gt_f64_e64 s1, 0, v[11:12]
	v_xor_b32_e32 v9, 0x80000000, v23
	v_xor_b32_e32 v17, 0x80000000, v12
	v_dual_cndmask_b32 v10, v23, v9 :: v_dual_cndmask_b32 v9, v22, v22
	s_delay_alu instid0(VALU_DEP_2) | instskip(SKIP_2) | instid1(VALU_DEP_1)
	v_cndmask_b32_e64 v25, v12, v17, s1
	v_cndmask_b32_e64 v24, v11, v11, s1
                                        ; implicit-def: $vgpr17_vgpr18
	s_mov_b32 s1, exec_lo
	v_cmpx_ge_f64_e32 v[9:10], v[24:25]
	s_xor_b32 s2, exec_lo, s1
	s_cbranch_execz .LBB164_294
; %bb.289:
	v_cmp_neq_f64_e32 vcc_lo, 0, v[22:23]
	v_cmp_neq_f64_e64 s1, 0, v[11:12]
                                        ; implicit-def: $vgpr17_vgpr18
	s_delay_alu instid0(VALU_DEP_1) | instskip(NEXT) | instid1(SALU_CYCLE_1)
	s_or_b32 s1, vcc_lo, s1
	s_and_saveexec_b32 s6, s1
	s_delay_alu instid0(SALU_CYCLE_1)
	s_xor_b32 s1, exec_lo, s6
	s_cbranch_execz .LBB164_291
; %bb.290:
	v_div_scale_f64 v[9:10], null, v[22:23], v[22:23], v[11:12]
	v_div_scale_f64 v[24:25], vcc_lo, v[11:12], v[22:23], v[11:12]
	s_delay_alu instid0(VALU_DEP_2) | instskip(SKIP_2) | instid1(VALU_DEP_1)
	v_rcp_f64_e32 v[17:18], v[9:10]
	s_waitcnt_depctr 0xfff
	v_fma_f64 v[19:20], -v[9:10], v[17:18], 1.0
	v_fma_f64 v[17:18], v[17:18], v[19:20], v[17:18]
	s_delay_alu instid0(VALU_DEP_1) | instskip(NEXT) | instid1(VALU_DEP_1)
	v_fma_f64 v[19:20], -v[9:10], v[17:18], 1.0
	v_fma_f64 v[17:18], v[17:18], v[19:20], v[17:18]
	s_delay_alu instid0(VALU_DEP_1) | instskip(NEXT) | instid1(VALU_DEP_1)
	v_mul_f64 v[19:20], v[24:25], v[17:18]
	v_fma_f64 v[9:10], -v[9:10], v[19:20], v[24:25]
	s_delay_alu instid0(VALU_DEP_1) | instskip(NEXT) | instid1(VALU_DEP_1)
	v_div_fmas_f64 v[9:10], v[9:10], v[17:18], v[19:20]
	v_div_fixup_f64 v[9:10], v[9:10], v[22:23], v[11:12]
	s_delay_alu instid0(VALU_DEP_1) | instskip(NEXT) | instid1(VALU_DEP_1)
	v_fma_f64 v[11:12], v[11:12], v[9:10], v[22:23]
	v_div_scale_f64 v[17:18], null, v[11:12], v[11:12], 1.0
	v_div_scale_f64 v[24:25], vcc_lo, 1.0, v[11:12], 1.0
	s_delay_alu instid0(VALU_DEP_2) | instskip(SKIP_2) | instid1(VALU_DEP_1)
	v_rcp_f64_e32 v[19:20], v[17:18]
	s_waitcnt_depctr 0xfff
	v_fma_f64 v[22:23], -v[17:18], v[19:20], 1.0
	v_fma_f64 v[19:20], v[19:20], v[22:23], v[19:20]
	s_delay_alu instid0(VALU_DEP_1) | instskip(NEXT) | instid1(VALU_DEP_1)
	v_fma_f64 v[22:23], -v[17:18], v[19:20], 1.0
	v_fma_f64 v[19:20], v[19:20], v[22:23], v[19:20]
	s_delay_alu instid0(VALU_DEP_1) | instskip(NEXT) | instid1(VALU_DEP_1)
	v_mul_f64 v[22:23], v[24:25], v[19:20]
	v_fma_f64 v[17:18], -v[17:18], v[22:23], v[24:25]
                                        ; implicit-def: $vgpr24_vgpr25
	s_delay_alu instid0(VALU_DEP_1) | instskip(SKIP_2) | instid1(VALU_DEP_3)
	v_div_fmas_f64 v[17:18], v[17:18], v[19:20], v[22:23]
	v_fma_f64 v[19:20], v[9:10], 0, 1.0
	v_add_f64 v[9:10], -v[9:10], 0
	v_div_fixup_f64 v[11:12], v[17:18], v[11:12], 1.0
	s_delay_alu instid0(VALU_DEP_1) | instskip(NEXT) | instid1(VALU_DEP_3)
	v_mul_f64 v[17:18], v[19:20], v[11:12]
	v_mul_f64 v[19:20], v[9:10], v[11:12]
                                        ; implicit-def: $vgpr9_vgpr10
.LBB164_291:
	s_and_not1_saveexec_b32 s6, s1
	s_cbranch_execz .LBB164_293
; %bb.292:
	v_div_scale_f64 v[11:12], null, v[9:10], v[9:10], 1.0
	v_div_scale_f64 v[17:18], null, v[24:25], v[24:25], 0
	v_div_scale_f64 v[31:32], vcc_lo, 1.0, v[9:10], 1.0
	s_delay_alu instid0(VALU_DEP_3) | instskip(NEXT) | instid1(VALU_DEP_2)
	v_rcp_f64_e32 v[19:20], v[11:12]
	v_rcp_f64_e32 v[22:23], v[17:18]
	s_waitcnt_depctr 0xfff
	v_fma_f64 v[27:28], -v[11:12], v[19:20], 1.0
	v_fma_f64 v[29:30], -v[17:18], v[22:23], 1.0
	s_delay_alu instid0(VALU_DEP_2) | instskip(NEXT) | instid1(VALU_DEP_2)
	v_fma_f64 v[19:20], v[19:20], v[27:28], v[19:20]
	v_fma_f64 v[22:23], v[22:23], v[29:30], v[22:23]
	s_delay_alu instid0(VALU_DEP_2) | instskip(NEXT) | instid1(VALU_DEP_2)
	v_fma_f64 v[27:28], -v[11:12], v[19:20], 1.0
	v_fma_f64 v[29:30], -v[17:18], v[22:23], 1.0
	s_delay_alu instid0(VALU_DEP_2) | instskip(SKIP_1) | instid1(VALU_DEP_3)
	v_fma_f64 v[19:20], v[19:20], v[27:28], v[19:20]
	v_div_scale_f64 v[27:28], s1, 0, v[24:25], 0
	v_fma_f64 v[22:23], v[22:23], v[29:30], v[22:23]
	s_delay_alu instid0(VALU_DEP_3) | instskip(NEXT) | instid1(VALU_DEP_2)
	v_mul_f64 v[29:30], v[31:32], v[19:20]
	v_mul_f64 v[33:34], v[27:28], v[22:23]
	s_delay_alu instid0(VALU_DEP_2) | instskip(NEXT) | instid1(VALU_DEP_2)
	v_fma_f64 v[11:12], -v[11:12], v[29:30], v[31:32]
	v_fma_f64 v[17:18], -v[17:18], v[33:34], v[27:28]
	s_delay_alu instid0(VALU_DEP_2) | instskip(SKIP_1) | instid1(VALU_DEP_2)
	v_div_fmas_f64 v[11:12], v[11:12], v[19:20], v[29:30]
	s_mov_b32 vcc_lo, s1
	v_div_fmas_f64 v[19:20], v[17:18], v[22:23], v[33:34]
	s_delay_alu instid0(VALU_DEP_2) | instskip(NEXT) | instid1(VALU_DEP_2)
	v_div_fixup_f64 v[17:18], v[11:12], v[9:10], 1.0
	v_div_fixup_f64 v[19:20], v[19:20], v[24:25], 0
.LBB164_293:
	s_or_b32 exec_lo, exec_lo, s6
                                        ; implicit-def: $vgpr11_vgpr12
                                        ; implicit-def: $vgpr22_vgpr23
.LBB164_294:
	s_and_not1_saveexec_b32 s1, s2
	s_cbranch_execz .LBB164_296
; %bb.295:
	v_div_scale_f64 v[9:10], null, v[11:12], v[11:12], v[22:23]
	v_div_scale_f64 v[24:25], vcc_lo, v[22:23], v[11:12], v[22:23]
	s_delay_alu instid0(VALU_DEP_2) | instskip(SKIP_2) | instid1(VALU_DEP_1)
	v_rcp_f64_e32 v[17:18], v[9:10]
	s_waitcnt_depctr 0xfff
	v_fma_f64 v[19:20], -v[9:10], v[17:18], 1.0
	v_fma_f64 v[17:18], v[17:18], v[19:20], v[17:18]
	s_delay_alu instid0(VALU_DEP_1) | instskip(NEXT) | instid1(VALU_DEP_1)
	v_fma_f64 v[19:20], -v[9:10], v[17:18], 1.0
	v_fma_f64 v[17:18], v[17:18], v[19:20], v[17:18]
	s_delay_alu instid0(VALU_DEP_1) | instskip(NEXT) | instid1(VALU_DEP_1)
	v_mul_f64 v[19:20], v[24:25], v[17:18]
	v_fma_f64 v[9:10], -v[9:10], v[19:20], v[24:25]
	s_delay_alu instid0(VALU_DEP_1) | instskip(NEXT) | instid1(VALU_DEP_1)
	v_div_fmas_f64 v[9:10], v[9:10], v[17:18], v[19:20]
	v_div_fixup_f64 v[9:10], v[9:10], v[11:12], v[22:23]
	s_delay_alu instid0(VALU_DEP_1) | instskip(NEXT) | instid1(VALU_DEP_1)
	v_fma_f64 v[11:12], v[22:23], v[9:10], v[11:12]
	v_div_scale_f64 v[17:18], null, v[11:12], v[11:12], 1.0
	v_div_scale_f64 v[24:25], vcc_lo, 1.0, v[11:12], 1.0
	s_delay_alu instid0(VALU_DEP_2) | instskip(SKIP_2) | instid1(VALU_DEP_1)
	v_rcp_f64_e32 v[19:20], v[17:18]
	s_waitcnt_depctr 0xfff
	v_fma_f64 v[22:23], -v[17:18], v[19:20], 1.0
	v_fma_f64 v[19:20], v[19:20], v[22:23], v[19:20]
	s_delay_alu instid0(VALU_DEP_1) | instskip(NEXT) | instid1(VALU_DEP_1)
	v_fma_f64 v[22:23], -v[17:18], v[19:20], 1.0
	v_fma_f64 v[19:20], v[19:20], v[22:23], v[19:20]
	s_delay_alu instid0(VALU_DEP_1) | instskip(NEXT) | instid1(VALU_DEP_1)
	v_mul_f64 v[22:23], v[24:25], v[19:20]
	v_fma_f64 v[17:18], -v[17:18], v[22:23], v[24:25]
	s_delay_alu instid0(VALU_DEP_1) | instskip(SKIP_2) | instid1(VALU_DEP_3)
	v_div_fmas_f64 v[17:18], v[17:18], v[19:20], v[22:23]
	v_add_f64 v[19:20], v[9:10], 0
	v_fma_f64 v[9:10], v[9:10], 0, -1.0
	v_div_fixup_f64 v[11:12], v[17:18], v[11:12], 1.0
	s_delay_alu instid0(VALU_DEP_1) | instskip(NEXT) | instid1(VALU_DEP_3)
	v_mul_f64 v[17:18], v[19:20], v[11:12]
	v_mul_f64 v[19:20], v[9:10], v[11:12]
.LBB164_296:
	s_or_b32 exec_lo, exec_lo, s1
.LBB164_297:
	s_delay_alu instid0(SALU_CYCLE_1) | instskip(SKIP_3) | instid1(VALU_DEP_2)
	s_or_b32 exec_lo, exec_lo, s3
	v_mov_b32_e32 v9, 0
	v_or_b32_e32 v11, 0x300, v0
	v_mov_b32_e32 v10, 0
	v_cmp_gt_i32_e32 vcc_lo, s10, v11
	s_delay_alu instid0(VALU_DEP_2)
	v_dual_mov_b32 v12, v10 :: v_dual_mov_b32 v11, v9
	s_and_saveexec_b32 s3, vcc_lo
	s_cbranch_execz .LBB164_314
; %bb.298:
	v_cmp_neq_f64_e32 vcc_lo, 0, v[1:2]
	v_cmp_neq_f64_e64 s1, 0, v[3:4]
	v_mov_b32_e32 v22, 0
	v_mov_b32_e32 v23, 0
	s_delay_alu instid0(VALU_DEP_3) | instskip(NEXT) | instid1(SALU_CYCLE_1)
	s_or_b32 s1, vcc_lo, s1
	s_and_saveexec_b32 s6, s1
	s_cbranch_execz .LBB164_334
; %bb.299:
	s_mov_b32 s12, 0
	s_mov_b32 s13, 0x7ff00000
	v_mov_b32_e32 v22, s12
	v_mov_b32_e32 v23, s13
	s_mov_b32 s7, exec_lo
	v_cmpx_neq_f64_e64 0x7ff00000, |v[3:4]|
	s_cbranch_execz .LBB164_333
; %bb.300:
	s_mov_b32 s1, exec_lo
	v_cmpx_o_f64_e32 v[1:2], v[1:2]
	s_xor_b32 s9, exec_lo, s1
	s_cbranch_execz .LBB164_330
; %bb.301:
	s_mov_b32 s2, exec_lo
	v_cmpx_neq_f64_e64 0x7ff00000, |v[1:2]|
	s_xor_b32 s11, exec_lo, s2
	s_cbranch_execz .LBB164_323
; %bb.302:
	v_max_f64 v[9:10], |v[3:4]|, |v[3:4]|
	v_max_f64 v[11:12], |v[1:2]|, |v[1:2]|
	s_mov_b32 s12, 0x99fcef32
	s_mov_b32 s13, 0x7fda8279
	s_delay_alu instid0(VALU_DEP_1) | instskip(NEXT) | instid1(VALU_DEP_1)
	v_max_f64 v[9:10], v[11:12], v[9:10]
	v_cmp_nle_f64_e64 s1, s[12:13], v[9:10]
                                        ; implicit-def: $sgpr12
	s_delay_alu instid0(VALU_DEP_1) | instskip(NEXT) | instid1(SALU_CYCLE_1)
	s_and_saveexec_b32 s2, s1
	s_xor_b32 s2, exec_lo, s2
	s_cbranch_execz .LBB164_306
; %bb.303:
	v_cmp_ge_f64_e64 s12, 0x200000, |v[1:2]|
	v_cmp_ge_f64_e64 s13, 0x200000, |v[3:4]|
	s_delay_alu instid0(VALU_DEP_1)
	s_and_b32 s14, s12, s13
	s_mov_b32 s12, 0
	s_and_saveexec_b32 s13, s14
; %bb.304:
	v_mul_f64 v[1:2], v[1:2], 4.0
	v_mul_f64 v[3:4], v[3:4], 4.0
	s_mov_b32 s12, exec_lo
; %bb.305:
	s_or_b32 exec_lo, exec_lo, s13
	s_delay_alu instid0(SALU_CYCLE_1)
	s_and_b32 s12, s12, exec_lo
.LBB164_306:
	s_and_not1_saveexec_b32 s2, s2
; %bb.307:
	s_delay_alu instid0(VALU_DEP_2) | instskip(NEXT) | instid1(VALU_DEP_2)
	v_ldexp_f64 v[1:2], v[1:2], -2
	v_ldexp_f64 v[3:4], v[3:4], -2
	s_and_not1_b32 s12, s12, exec_lo
; %bb.308:
	s_or_b32 exec_lo, exec_lo, s2
	s_delay_alu instid0(VALU_DEP_1) | instskip(NEXT) | instid1(VALU_DEP_3)
	v_max_f64 v[9:10], |v[3:4]|, |v[3:4]|
	v_max_f64 v[11:12], |v[1:2]|, |v[1:2]|
	v_cmp_class_f64_e64 s13, v[1:2], 0x204
	v_cmp_class_f64_e64 s14, v[3:4], 0x204
	v_cmp_le_f64_e64 s2, 0, v[1:2]
	s_delay_alu instid0(VALU_DEP_4) | instskip(NEXT) | instid1(VALU_DEP_3)
	v_max_f64 v[9:10], v[11:12], v[9:10]
	s_or_b32 s13, s14, s13
	s_delay_alu instid0(VALU_DEP_1) | instskip(NEXT) | instid1(VALU_DEP_1)
	v_frexp_exp_i32_f64_e32 v27, v[9:10]
	v_sub_nc_u32_e32 v11, 0, v27
	s_delay_alu instid0(VALU_DEP_1) | instskip(SKIP_1) | instid1(VALU_DEP_2)
	v_ldexp_f64 v[9:10], |v[3:4]|, v11
	v_ldexp_f64 v[11:12], |v[1:2]|, v11
	v_mul_f64 v[9:10], v[9:10], v[9:10]
	s_delay_alu instid0(VALU_DEP_1) | instskip(NEXT) | instid1(VALU_DEP_1)
	v_fma_f64 v[9:10], v[11:12], v[11:12], v[9:10]
	v_rsq_f64_e32 v[11:12], v[9:10]
	v_cmp_eq_f64_e32 vcc_lo, 0, v[9:10]
	s_waitcnt_depctr 0xfff
	v_mul_f64 v[22:23], v[9:10], v[11:12]
	v_mul_f64 v[11:12], v[11:12], 0.5
	s_delay_alu instid0(VALU_DEP_1) | instskip(NEXT) | instid1(VALU_DEP_1)
	v_fma_f64 v[24:25], -v[11:12], v[22:23], 0.5
	v_fma_f64 v[22:23], v[22:23], v[24:25], v[22:23]
	v_fma_f64 v[11:12], v[11:12], v[24:25], v[11:12]
	s_delay_alu instid0(VALU_DEP_2) | instskip(NEXT) | instid1(VALU_DEP_1)
	v_fma_f64 v[24:25], -v[22:23], v[22:23], v[9:10]
	v_fma_f64 v[11:12], v[24:25], v[11:12], v[22:23]
	s_delay_alu instid0(VALU_DEP_1) | instskip(SKIP_1) | instid1(VALU_DEP_2)
	v_dual_cndmask_b32 v10, v12, v10 :: v_dual_cndmask_b32 v9, v11, v9
	v_cmp_o_f64_e32 vcc_lo, v[3:4], v[3:4]
	v_ldexp_f64 v[9:10], v[9:10], v27
	s_delay_alu instid0(VALU_DEP_1) | instskip(NEXT) | instid1(VALU_DEP_2)
	v_cndmask_b32_e32 v9, 0, v9, vcc_lo
	v_cndmask_b32_e32 v10, 0x7ff80000, v10, vcc_lo
	s_delay_alu instid0(VALU_DEP_2) | instskip(NEXT) | instid1(VALU_DEP_2)
	v_cndmask_b32_e64 v9, v9, 0, s13
	v_cndmask_b32_e64 v10, v10, 0x7ff00000, s13
	s_and_saveexec_b32 s13, s2
	s_delay_alu instid0(SALU_CYCLE_1)
	s_xor_b32 s2, exec_lo, s13
	s_cbranch_execz .LBB164_318
; %bb.309:
	s_delay_alu instid0(VALU_DEP_1) | instskip(NEXT) | instid1(VALU_DEP_1)
	v_add_f64 v[1:2], v[1:2], v[9:10]
	v_mul_f64 v[1:2], v[1:2], 0.5
	s_delay_alu instid0(VALU_DEP_1) | instskip(SKIP_1) | instid1(VALU_DEP_1)
	v_cmp_gt_f64_e32 vcc_lo, 0x10000000, v[1:2]
	v_cndmask_b32_e64 v9, 0, 1, vcc_lo
	v_lshlrev_b32_e32 v9, 8, v9
	s_delay_alu instid0(VALU_DEP_1) | instskip(NEXT) | instid1(VALU_DEP_1)
	v_ldexp_f64 v[1:2], v[1:2], v9
	v_rsq_f64_e32 v[9:10], v[1:2]
	s_waitcnt_depctr 0xfff
	v_mul_f64 v[11:12], v[1:2], v[9:10]
	v_mul_f64 v[9:10], v[9:10], 0.5
	s_delay_alu instid0(VALU_DEP_1) | instskip(NEXT) | instid1(VALU_DEP_1)
	v_fma_f64 v[22:23], -v[9:10], v[11:12], 0.5
	v_fma_f64 v[11:12], v[11:12], v[22:23], v[11:12]
	v_fma_f64 v[9:10], v[9:10], v[22:23], v[9:10]
	s_delay_alu instid0(VALU_DEP_2) | instskip(NEXT) | instid1(VALU_DEP_1)
	v_fma_f64 v[22:23], -v[11:12], v[11:12], v[1:2]
	v_fma_f64 v[11:12], v[22:23], v[9:10], v[11:12]
	s_delay_alu instid0(VALU_DEP_1) | instskip(NEXT) | instid1(VALU_DEP_1)
	v_fma_f64 v[22:23], -v[11:12], v[11:12], v[1:2]
	v_fma_f64 v[9:10], v[22:23], v[9:10], v[11:12]
	v_cndmask_b32_e64 v11, 0, 0xffffff80, vcc_lo
	v_cmp_class_f64_e64 vcc_lo, v[1:2], 0x260
	s_delay_alu instid0(VALU_DEP_2) | instskip(NEXT) | instid1(VALU_DEP_1)
	v_ldexp_f64 v[9:10], v[9:10], v11
	v_dual_cndmask_b32 v2, v10, v2 :: v_dual_cndmask_b32 v1, v9, v1
	s_delay_alu instid0(VALU_DEP_1) | instskip(NEXT) | instid1(VALU_DEP_1)
	v_add_f64 v[9:10], v[1:2], v[1:2]
	v_div_scale_f64 v[11:12], null, v[9:10], v[9:10], v[3:4]
	s_delay_alu instid0(VALU_DEP_1) | instskip(SKIP_2) | instid1(VALU_DEP_1)
	v_rcp_f64_e32 v[22:23], v[11:12]
	s_waitcnt_depctr 0xfff
	v_fma_f64 v[24:25], -v[11:12], v[22:23], 1.0
	v_fma_f64 v[22:23], v[22:23], v[24:25], v[22:23]
	s_delay_alu instid0(VALU_DEP_1) | instskip(NEXT) | instid1(VALU_DEP_1)
	v_fma_f64 v[24:25], -v[11:12], v[22:23], 1.0
	v_fma_f64 v[22:23], v[22:23], v[24:25], v[22:23]
	v_div_scale_f64 v[24:25], vcc_lo, v[3:4], v[9:10], v[3:4]
	s_delay_alu instid0(VALU_DEP_1) | instskip(NEXT) | instid1(VALU_DEP_1)
	v_mul_f64 v[27:28], v[24:25], v[22:23]
	v_fma_f64 v[11:12], -v[11:12], v[27:28], v[24:25]
	s_delay_alu instid0(VALU_DEP_1) | instskip(NEXT) | instid1(VALU_DEP_1)
	v_div_fmas_f64 v[11:12], v[11:12], v[22:23], v[27:28]
	v_div_fixup_f64 v[3:4], v[11:12], v[9:10], v[3:4]
                                        ; implicit-def: $vgpr9_vgpr10
	s_and_not1_saveexec_b32 s2, s2
	s_cbranch_execnz .LBB164_319
.LBB164_310:
	s_or_b32 exec_lo, exec_lo, s2
	s_and_saveexec_b32 s2, s1
	s_delay_alu instid0(SALU_CYCLE_1)
	s_xor_b32 s1, exec_lo, s2
	s_cbranch_execz .LBB164_320
.LBB164_311:
	s_and_saveexec_b32 s2, s12
; %bb.312:
	s_delay_alu instid0(VALU_DEP_2) | instskip(NEXT) | instid1(VALU_DEP_2)
	v_mul_f64 v[1:2], v[1:2], 0.5
	v_mul_f64 v[3:4], v[3:4], 0.5
; %bb.313:
	s_or_b32 exec_lo, exec_lo, s2
	s_and_not1_saveexec_b32 s1, s1
	s_cbranch_execnz .LBB164_321
	s_branch .LBB164_322
.LBB164_314:
	s_or_b32 exec_lo, exec_lo, s3
	s_and_saveexec_b32 s1, s0
	s_delay_alu instid0(SALU_CYCLE_1)
	s_xor_b32 s0, exec_lo, s1
	s_cbranch_execz .LBB164_343
.LBB164_315:
	v_mov_b32_e32 v22, 0
	s_delay_alu instid0(VALU_DEP_1) | instskip(NEXT) | instid1(VALU_DEP_1)
	v_lshlrev_b64 v[0:1], 4, v[21:22]
	v_add_co_u32 v2, vcc_lo, s4, v0
	s_delay_alu instid0(VALU_DEP_2) | instskip(SKIP_3) | instid1(SALU_CYCLE_1)
	v_add_co_ci_u32_e32 v3, vcc_lo, s5, v1, vcc_lo
	v_mov_b32_e32 v0, v26
	global_store_b128 v[2:3], v[5:8], off
	s_or_b32 exec_lo, exec_lo, s0
	s_mov_b32 s0, exec_lo
	v_cmpx_gt_i32_e64 s10, v0
	s_cbranch_execnz .LBB164_344
.LBB164_316:
	s_or_b32 exec_lo, exec_lo, s0
	s_delay_alu instid0(SALU_CYCLE_1)
	s_mov_b32 s0, exec_lo
	v_cmpx_gt_i32_e64 s10, v0
	s_cbranch_execz .LBB164_345
.LBB164_317:
	v_dual_mov_b32 v2, 0 :: v_dual_add_nc_u32 v1, s8, v0
	v_add_nc_u32_e32 v0, 0x100, v0
	s_delay_alu instid0(VALU_DEP_2) | instskip(NEXT) | instid1(VALU_DEP_1)
	v_lshlrev_b64 v[1:2], 4, v[1:2]
	v_add_co_u32 v1, vcc_lo, s4, v1
	s_delay_alu instid0(VALU_DEP_2) | instskip(SKIP_2) | instid1(SALU_CYCLE_1)
	v_add_co_ci_u32_e32 v2, vcc_lo, s5, v2, vcc_lo
	global_store_b128 v[1:2], v[17:20], off
	s_or_b32 exec_lo, exec_lo, s0
	s_mov_b32 s0, exec_lo
	v_cmpx_gt_i32_e64 s10, v0
	s_cbranch_execnz .LBB164_346
	s_branch .LBB164_347
.LBB164_318:
	s_and_not1_saveexec_b32 s2, s2
	s_cbranch_execz .LBB164_310
.LBB164_319:
	v_add_f64 v[1:2], v[9:10], -v[1:2]
	s_delay_alu instid0(VALU_DEP_1) | instskip(NEXT) | instid1(VALU_DEP_1)
	v_mul_f64 v[1:2], v[1:2], 0.5
	v_cmp_gt_f64_e32 vcc_lo, 0x10000000, v[1:2]
	v_cndmask_b32_e64 v9, 0, 1, vcc_lo
	s_delay_alu instid0(VALU_DEP_1) | instskip(NEXT) | instid1(VALU_DEP_1)
	v_lshlrev_b32_e32 v9, 8, v9
	v_ldexp_f64 v[1:2], v[1:2], v9
	s_delay_alu instid0(VALU_DEP_1) | instskip(SKIP_3) | instid1(VALU_DEP_1)
	v_rsq_f64_e32 v[9:10], v[1:2]
	s_waitcnt_depctr 0xfff
	v_mul_f64 v[11:12], v[1:2], v[9:10]
	v_mul_f64 v[9:10], v[9:10], 0.5
	v_fma_f64 v[22:23], -v[9:10], v[11:12], 0.5
	s_delay_alu instid0(VALU_DEP_1) | instskip(SKIP_1) | instid1(VALU_DEP_2)
	v_fma_f64 v[11:12], v[11:12], v[22:23], v[11:12]
	v_fma_f64 v[9:10], v[9:10], v[22:23], v[9:10]
	v_fma_f64 v[22:23], -v[11:12], v[11:12], v[1:2]
	s_delay_alu instid0(VALU_DEP_1) | instskip(NEXT) | instid1(VALU_DEP_1)
	v_fma_f64 v[11:12], v[22:23], v[9:10], v[11:12]
	v_fma_f64 v[22:23], -v[11:12], v[11:12], v[1:2]
	s_delay_alu instid0(VALU_DEP_1) | instskip(SKIP_3) | instid1(VALU_DEP_3)
	v_fma_f64 v[9:10], v[22:23], v[9:10], v[11:12]
	v_cndmask_b32_e64 v11, 0, 0xffffff80, vcc_lo
	v_cmp_class_f64_e64 vcc_lo, v[1:2], 0x260
	v_and_b32_e32 v12, 0x7fffffff, v4
	v_ldexp_f64 v[9:10], v[9:10], v11
	s_delay_alu instid0(VALU_DEP_1) | instskip(NEXT) | instid1(VALU_DEP_1)
	v_dual_cndmask_b32 v10, v10, v2 :: v_dual_cndmask_b32 v9, v9, v1
	v_add_f64 v[1:2], v[9:10], v[9:10]
	v_bfi_b32 v10, 0x7fffffff, v10, v4
	v_mov_b32_e32 v11, v3
	s_delay_alu instid0(VALU_DEP_1) | instskip(SKIP_1) | instid1(VALU_DEP_2)
	v_div_scale_f64 v[22:23], null, v[1:2], v[1:2], v[11:12]
	v_div_scale_f64 v[11:12], vcc_lo, v[11:12], v[1:2], v[11:12]
	v_rcp_f64_e32 v[24:25], v[22:23]
	s_waitcnt_depctr 0xfff
	v_fma_f64 v[27:28], -v[22:23], v[24:25], 1.0
	s_delay_alu instid0(VALU_DEP_1) | instskip(NEXT) | instid1(VALU_DEP_1)
	v_fma_f64 v[24:25], v[24:25], v[27:28], v[24:25]
	v_fma_f64 v[27:28], -v[22:23], v[24:25], 1.0
	s_delay_alu instid0(VALU_DEP_1) | instskip(NEXT) | instid1(VALU_DEP_1)
	v_fma_f64 v[24:25], v[24:25], v[27:28], v[24:25]
	v_mul_f64 v[27:28], v[11:12], v[24:25]
	s_delay_alu instid0(VALU_DEP_1) | instskip(NEXT) | instid1(VALU_DEP_1)
	v_fma_f64 v[11:12], -v[22:23], v[27:28], v[11:12]
	v_div_fmas_f64 v[11:12], v[11:12], v[24:25], v[27:28]
	s_delay_alu instid0(VALU_DEP_1) | instskip(SKIP_3) | instid1(SALU_CYCLE_1)
	v_div_fixup_f64 v[1:2], v[11:12], v[1:2], |v[3:4]|
	v_dual_mov_b32 v3, v9 :: v_dual_mov_b32 v4, v10
	s_or_b32 exec_lo, exec_lo, s2
	s_and_saveexec_b32 s2, s1
	s_xor_b32 s1, exec_lo, s2
	s_cbranch_execnz .LBB164_311
.LBB164_320:
	s_and_not1_saveexec_b32 s1, s1
.LBB164_321:
	s_delay_alu instid0(VALU_DEP_2) | instskip(NEXT) | instid1(VALU_DEP_2)
	v_add_f64 v[1:2], v[1:2], v[1:2]
	v_add_f64 v[3:4], v[3:4], v[3:4]
.LBB164_322:
	s_or_b32 exec_lo, exec_lo, s1
.LBB164_323:
	s_and_not1_saveexec_b32 s1, s11
	s_cbranch_execz .LBB164_329
; %bb.324:
	s_delay_alu instid0(VALU_DEP_1) | instskip(SKIP_1) | instid1(VALU_DEP_3)
	v_add_f64 v[9:10], v[3:4], -v[3:4]
	s_mov_b32 s2, exec_lo
	v_cmpx_lt_i64_e32 -1, v[1:2]
	s_xor_b32 s2, exec_lo, s2
; %bb.325:
	s_delay_alu instid0(VALU_DEP_2) | instskip(NEXT) | instid1(VALU_DEP_1)
	v_bfi_b32 v10, 0x7fffffff, v10, v4
	v_dual_mov_b32 v3, v9 :: v_dual_mov_b32 v4, v10
                                        ; implicit-def: $vgpr9_vgpr10
; %bb.326:
	s_and_not1_saveexec_b32 s2, s2
; %bb.327:
	s_delay_alu instid0(VALU_DEP_1) | instskip(SKIP_1) | instid1(VALU_DEP_2)
	v_bfi_b32 v2, 0x7fffffff, v2, v4
	v_and_b32_e32 v10, 0x7fffffff, v10
	v_dual_mov_b32 v4, v2 :: v_dual_mov_b32 v3, v1
	s_delay_alu instid0(VALU_DEP_2)
	v_dual_mov_b32 v1, v9 :: v_dual_mov_b32 v2, v10
; %bb.328:
	s_or_b32 exec_lo, exec_lo, s2
.LBB164_329:
	s_delay_alu instid0(SALU_CYCLE_1)
	s_or_b32 exec_lo, exec_lo, s1
.LBB164_330:
	s_and_not1_saveexec_b32 s1, s9
; %bb.331:
	s_delay_alu instid0(VALU_DEP_1) | instskip(NEXT) | instid1(VALU_DEP_1)
	v_add_f64 v[3:4], v[3:4], -v[3:4]
	v_div_scale_f64 v[9:10], vcc_lo, v[3:4], v[3:4], v[3:4]
	s_delay_alu instid0(VALU_DEP_1) | instskip(SKIP_2) | instid1(VALU_DEP_1)
	v_rcp_f64_e32 v[11:12], v[9:10]
	s_waitcnt_depctr 0xfff
	v_fma_f64 v[22:23], -v[9:10], v[11:12], 1.0
	v_fma_f64 v[11:12], v[11:12], v[22:23], v[11:12]
	s_delay_alu instid0(VALU_DEP_1) | instskip(NEXT) | instid1(VALU_DEP_1)
	v_fma_f64 v[22:23], -v[9:10], v[11:12], 1.0
	v_fma_f64 v[11:12], v[11:12], v[22:23], v[11:12]
	s_delay_alu instid0(VALU_DEP_1) | instskip(NEXT) | instid1(VALU_DEP_1)
	v_mul_f64 v[22:23], v[9:10], v[11:12]
	v_fma_f64 v[9:10], -v[9:10], v[22:23], v[9:10]
	s_delay_alu instid0(VALU_DEP_1) | instskip(NEXT) | instid1(VALU_DEP_1)
	v_div_fmas_f64 v[9:10], v[9:10], v[11:12], v[22:23]
	v_div_fixup_f64 v[3:4], v[9:10], v[3:4], v[3:4]
; %bb.332:
	s_or_b32 exec_lo, exec_lo, s1
	v_dual_mov_b32 v23, v2 :: v_dual_mov_b32 v22, v1
.LBB164_333:
	s_or_b32 exec_lo, exec_lo, s7
.LBB164_334:
	s_delay_alu instid0(SALU_CYCLE_1) | instskip(NEXT) | instid1(VALU_DEP_1)
	s_or_b32 exec_lo, exec_lo, s6
	v_cmp_gt_f64_e32 vcc_lo, 0, v[22:23]
	s_delay_alu instid0(VALU_DEP_3) | instskip(SKIP_2) | instid1(VALU_DEP_2)
	v_cmp_gt_f64_e64 s1, 0, v[3:4]
	v_xor_b32_e32 v1, 0x80000000, v23
	v_xor_b32_e32 v9, 0x80000000, v4
	v_dual_cndmask_b32 v2, v23, v1 :: v_dual_cndmask_b32 v1, v22, v22
	s_delay_alu instid0(VALU_DEP_2) | instskip(SKIP_2) | instid1(VALU_DEP_1)
	v_cndmask_b32_e64 v25, v4, v9, s1
	v_cndmask_b32_e64 v24, v3, v3, s1
                                        ; implicit-def: $vgpr9_vgpr10
	s_mov_b32 s1, exec_lo
	v_cmpx_ge_f64_e32 v[1:2], v[24:25]
	s_xor_b32 s2, exec_lo, s1
	s_cbranch_execz .LBB164_340
; %bb.335:
	v_cmp_neq_f64_e32 vcc_lo, 0, v[22:23]
	v_cmp_neq_f64_e64 s1, 0, v[3:4]
                                        ; implicit-def: $vgpr9_vgpr10
	s_delay_alu instid0(VALU_DEP_1) | instskip(NEXT) | instid1(SALU_CYCLE_1)
	s_or_b32 s1, vcc_lo, s1
	s_and_saveexec_b32 s6, s1
	s_delay_alu instid0(SALU_CYCLE_1)
	s_xor_b32 s1, exec_lo, s6
	s_cbranch_execz .LBB164_337
; %bb.336:
	v_div_scale_f64 v[1:2], null, v[22:23], v[22:23], v[3:4]
	v_div_scale_f64 v[24:25], vcc_lo, v[3:4], v[22:23], v[3:4]
	s_delay_alu instid0(VALU_DEP_2) | instskip(SKIP_2) | instid1(VALU_DEP_1)
	v_rcp_f64_e32 v[9:10], v[1:2]
	s_waitcnt_depctr 0xfff
	v_fma_f64 v[11:12], -v[1:2], v[9:10], 1.0
	v_fma_f64 v[9:10], v[9:10], v[11:12], v[9:10]
	s_delay_alu instid0(VALU_DEP_1) | instskip(NEXT) | instid1(VALU_DEP_1)
	v_fma_f64 v[11:12], -v[1:2], v[9:10], 1.0
	v_fma_f64 v[9:10], v[9:10], v[11:12], v[9:10]
	s_delay_alu instid0(VALU_DEP_1) | instskip(NEXT) | instid1(VALU_DEP_1)
	v_mul_f64 v[11:12], v[24:25], v[9:10]
	v_fma_f64 v[1:2], -v[1:2], v[11:12], v[24:25]
	s_delay_alu instid0(VALU_DEP_1) | instskip(NEXT) | instid1(VALU_DEP_1)
	v_div_fmas_f64 v[1:2], v[1:2], v[9:10], v[11:12]
	v_div_fixup_f64 v[1:2], v[1:2], v[22:23], v[3:4]
	s_delay_alu instid0(VALU_DEP_1) | instskip(NEXT) | instid1(VALU_DEP_1)
	v_fma_f64 v[3:4], v[3:4], v[1:2], v[22:23]
	v_div_scale_f64 v[9:10], null, v[3:4], v[3:4], 1.0
	v_div_scale_f64 v[24:25], vcc_lo, 1.0, v[3:4], 1.0
	s_delay_alu instid0(VALU_DEP_2) | instskip(SKIP_2) | instid1(VALU_DEP_1)
	v_rcp_f64_e32 v[11:12], v[9:10]
	s_waitcnt_depctr 0xfff
	v_fma_f64 v[22:23], -v[9:10], v[11:12], 1.0
	v_fma_f64 v[11:12], v[11:12], v[22:23], v[11:12]
	s_delay_alu instid0(VALU_DEP_1) | instskip(NEXT) | instid1(VALU_DEP_1)
	v_fma_f64 v[22:23], -v[9:10], v[11:12], 1.0
	v_fma_f64 v[11:12], v[11:12], v[22:23], v[11:12]
	s_delay_alu instid0(VALU_DEP_1) | instskip(NEXT) | instid1(VALU_DEP_1)
	v_mul_f64 v[22:23], v[24:25], v[11:12]
	v_fma_f64 v[9:10], -v[9:10], v[22:23], v[24:25]
                                        ; implicit-def: $vgpr24_vgpr25
	s_delay_alu instid0(VALU_DEP_1) | instskip(SKIP_2) | instid1(VALU_DEP_3)
	v_div_fmas_f64 v[9:10], v[9:10], v[11:12], v[22:23]
	v_fma_f64 v[11:12], v[1:2], 0, 1.0
	v_add_f64 v[1:2], -v[1:2], 0
	v_div_fixup_f64 v[3:4], v[9:10], v[3:4], 1.0
	s_delay_alu instid0(VALU_DEP_1) | instskip(NEXT) | instid1(VALU_DEP_3)
	v_mul_f64 v[9:10], v[11:12], v[3:4]
	v_mul_f64 v[11:12], v[1:2], v[3:4]
                                        ; implicit-def: $vgpr1_vgpr2
.LBB164_337:
	s_and_not1_saveexec_b32 s6, s1
	s_cbranch_execz .LBB164_339
; %bb.338:
	v_div_scale_f64 v[3:4], null, v[1:2], v[1:2], 1.0
	v_div_scale_f64 v[9:10], null, v[24:25], v[24:25], 0
	v_div_scale_f64 v[31:32], vcc_lo, 1.0, v[1:2], 1.0
	s_delay_alu instid0(VALU_DEP_3) | instskip(NEXT) | instid1(VALU_DEP_2)
	v_rcp_f64_e32 v[11:12], v[3:4]
	v_rcp_f64_e32 v[22:23], v[9:10]
	s_waitcnt_depctr 0xfff
	v_fma_f64 v[27:28], -v[3:4], v[11:12], 1.0
	v_fma_f64 v[29:30], -v[9:10], v[22:23], 1.0
	s_delay_alu instid0(VALU_DEP_2) | instskip(NEXT) | instid1(VALU_DEP_2)
	v_fma_f64 v[11:12], v[11:12], v[27:28], v[11:12]
	v_fma_f64 v[22:23], v[22:23], v[29:30], v[22:23]
	s_delay_alu instid0(VALU_DEP_2) | instskip(NEXT) | instid1(VALU_DEP_2)
	v_fma_f64 v[27:28], -v[3:4], v[11:12], 1.0
	v_fma_f64 v[29:30], -v[9:10], v[22:23], 1.0
	s_delay_alu instid0(VALU_DEP_2) | instskip(SKIP_1) | instid1(VALU_DEP_3)
	v_fma_f64 v[11:12], v[11:12], v[27:28], v[11:12]
	v_div_scale_f64 v[27:28], s1, 0, v[24:25], 0
	v_fma_f64 v[22:23], v[22:23], v[29:30], v[22:23]
	s_delay_alu instid0(VALU_DEP_3) | instskip(NEXT) | instid1(VALU_DEP_2)
	v_mul_f64 v[29:30], v[31:32], v[11:12]
	v_mul_f64 v[33:34], v[27:28], v[22:23]
	s_delay_alu instid0(VALU_DEP_2) | instskip(NEXT) | instid1(VALU_DEP_2)
	v_fma_f64 v[3:4], -v[3:4], v[29:30], v[31:32]
	v_fma_f64 v[9:10], -v[9:10], v[33:34], v[27:28]
	s_delay_alu instid0(VALU_DEP_2) | instskip(SKIP_1) | instid1(VALU_DEP_2)
	v_div_fmas_f64 v[3:4], v[3:4], v[11:12], v[29:30]
	s_mov_b32 vcc_lo, s1
	v_div_fmas_f64 v[11:12], v[9:10], v[22:23], v[33:34]
	s_delay_alu instid0(VALU_DEP_2) | instskip(NEXT) | instid1(VALU_DEP_2)
	v_div_fixup_f64 v[9:10], v[3:4], v[1:2], 1.0
	v_div_fixup_f64 v[11:12], v[11:12], v[24:25], 0
.LBB164_339:
	s_or_b32 exec_lo, exec_lo, s6
                                        ; implicit-def: $vgpr3_vgpr4
                                        ; implicit-def: $vgpr22_vgpr23
.LBB164_340:
	s_and_not1_saveexec_b32 s1, s2
	s_cbranch_execz .LBB164_342
; %bb.341:
	v_div_scale_f64 v[1:2], null, v[3:4], v[3:4], v[22:23]
	v_div_scale_f64 v[24:25], vcc_lo, v[22:23], v[3:4], v[22:23]
	s_delay_alu instid0(VALU_DEP_2) | instskip(SKIP_2) | instid1(VALU_DEP_1)
	v_rcp_f64_e32 v[9:10], v[1:2]
	s_waitcnt_depctr 0xfff
	v_fma_f64 v[11:12], -v[1:2], v[9:10], 1.0
	v_fma_f64 v[9:10], v[9:10], v[11:12], v[9:10]
	s_delay_alu instid0(VALU_DEP_1) | instskip(NEXT) | instid1(VALU_DEP_1)
	v_fma_f64 v[11:12], -v[1:2], v[9:10], 1.0
	v_fma_f64 v[9:10], v[9:10], v[11:12], v[9:10]
	s_delay_alu instid0(VALU_DEP_1) | instskip(NEXT) | instid1(VALU_DEP_1)
	v_mul_f64 v[11:12], v[24:25], v[9:10]
	v_fma_f64 v[1:2], -v[1:2], v[11:12], v[24:25]
	s_delay_alu instid0(VALU_DEP_1) | instskip(NEXT) | instid1(VALU_DEP_1)
	v_div_fmas_f64 v[1:2], v[1:2], v[9:10], v[11:12]
	v_div_fixup_f64 v[1:2], v[1:2], v[3:4], v[22:23]
	s_delay_alu instid0(VALU_DEP_1) | instskip(NEXT) | instid1(VALU_DEP_1)
	v_fma_f64 v[3:4], v[22:23], v[1:2], v[3:4]
	v_div_scale_f64 v[9:10], null, v[3:4], v[3:4], 1.0
	v_div_scale_f64 v[24:25], vcc_lo, 1.0, v[3:4], 1.0
	s_delay_alu instid0(VALU_DEP_2) | instskip(SKIP_2) | instid1(VALU_DEP_1)
	v_rcp_f64_e32 v[11:12], v[9:10]
	s_waitcnt_depctr 0xfff
	v_fma_f64 v[22:23], -v[9:10], v[11:12], 1.0
	v_fma_f64 v[11:12], v[11:12], v[22:23], v[11:12]
	s_delay_alu instid0(VALU_DEP_1) | instskip(NEXT) | instid1(VALU_DEP_1)
	v_fma_f64 v[22:23], -v[9:10], v[11:12], 1.0
	v_fma_f64 v[11:12], v[11:12], v[22:23], v[11:12]
	s_delay_alu instid0(VALU_DEP_1) | instskip(NEXT) | instid1(VALU_DEP_1)
	v_mul_f64 v[22:23], v[24:25], v[11:12]
	v_fma_f64 v[9:10], -v[9:10], v[22:23], v[24:25]
	s_delay_alu instid0(VALU_DEP_1) | instskip(SKIP_2) | instid1(VALU_DEP_3)
	v_div_fmas_f64 v[9:10], v[9:10], v[11:12], v[22:23]
	v_add_f64 v[11:12], v[1:2], 0
	v_fma_f64 v[1:2], v[1:2], 0, -1.0
	v_div_fixup_f64 v[3:4], v[9:10], v[3:4], 1.0
	s_delay_alu instid0(VALU_DEP_1) | instskip(NEXT) | instid1(VALU_DEP_3)
	v_mul_f64 v[9:10], v[11:12], v[3:4]
	v_mul_f64 v[11:12], v[1:2], v[3:4]
.LBB164_342:
	s_or_b32 exec_lo, exec_lo, s1
	s_delay_alu instid0(SALU_CYCLE_1) | instskip(SKIP_1) | instid1(SALU_CYCLE_1)
	s_or_b32 exec_lo, exec_lo, s3
	s_and_saveexec_b32 s1, s0
	s_xor_b32 s0, exec_lo, s1
	s_cbranch_execnz .LBB164_315
.LBB164_343:
	s_or_b32 exec_lo, exec_lo, s0
	s_delay_alu instid0(SALU_CYCLE_1)
	s_mov_b32 s0, exec_lo
	v_cmpx_gt_i32_e64 s10, v0
	s_cbranch_execz .LBB164_316
.LBB164_344:
	v_dual_mov_b32 v2, 0 :: v_dual_add_nc_u32 v1, s8, v0
	v_add_nc_u32_e32 v0, 0x100, v0
	s_delay_alu instid0(VALU_DEP_2) | instskip(NEXT) | instid1(VALU_DEP_1)
	v_lshlrev_b64 v[1:2], 4, v[1:2]
	v_add_co_u32 v1, vcc_lo, s4, v1
	s_delay_alu instid0(VALU_DEP_2) | instskip(SKIP_2) | instid1(SALU_CYCLE_1)
	v_add_co_ci_u32_e32 v2, vcc_lo, s5, v2, vcc_lo
	global_store_b128 v[1:2], v[13:16], off
	s_or_b32 exec_lo, exec_lo, s0
	s_mov_b32 s0, exec_lo
	v_cmpx_gt_i32_e64 s10, v0
	s_cbranch_execnz .LBB164_317
.LBB164_345:
	s_or_b32 exec_lo, exec_lo, s0
	s_delay_alu instid0(SALU_CYCLE_1)
	s_mov_b32 s0, exec_lo
	v_cmpx_gt_i32_e64 s10, v0
	s_cbranch_execz .LBB164_347
.LBB164_346:
	v_dual_mov_b32 v1, 0 :: v_dual_add_nc_u32 v0, s8, v0
	s_delay_alu instid0(VALU_DEP_1) | instskip(NEXT) | instid1(VALU_DEP_1)
	v_lshlrev_b64 v[0:1], 4, v[0:1]
	v_add_co_u32 v0, vcc_lo, s4, v0
	s_delay_alu instid0(VALU_DEP_2)
	v_add_co_ci_u32_e32 v1, vcc_lo, s5, v1, vcc_lo
	global_store_b128 v[0:1], v[9:12], off
.LBB164_347:
	s_nop 0
	s_sendmsg sendmsg(MSG_DEALLOC_VGPRS)
	s_endpgm
	.section	.rodata,"a",@progbits
	.p2align	6, 0x0
	.amdhsa_kernel _ZN2at6native29vectorized_elementwise_kernelILi4EZZZNS0_17rsqrt_kernel_cudaERNS_18TensorIteratorBaseEENKUlvE_clEvENKUlvE_clEvEUlN3c107complexIdEEE_St5arrayIPcLm2EEEEviT0_T1_
		.amdhsa_group_segment_fixed_size 0
		.amdhsa_private_segment_fixed_size 0
		.amdhsa_kernarg_size 24
		.amdhsa_user_sgpr_count 15
		.amdhsa_user_sgpr_dispatch_ptr 0
		.amdhsa_user_sgpr_queue_ptr 0
		.amdhsa_user_sgpr_kernarg_segment_ptr 1
		.amdhsa_user_sgpr_dispatch_id 0
		.amdhsa_user_sgpr_private_segment_size 0
		.amdhsa_wavefront_size32 1
		.amdhsa_uses_dynamic_stack 0
		.amdhsa_enable_private_segment 0
		.amdhsa_system_sgpr_workgroup_id_x 1
		.amdhsa_system_sgpr_workgroup_id_y 0
		.amdhsa_system_sgpr_workgroup_id_z 0
		.amdhsa_system_sgpr_workgroup_info 0
		.amdhsa_system_vgpr_workitem_id 0
		.amdhsa_next_free_vgpr 35
		.amdhsa_next_free_sgpr 17
		.amdhsa_reserve_vcc 1
		.amdhsa_float_round_mode_32 0
		.amdhsa_float_round_mode_16_64 0
		.amdhsa_float_denorm_mode_32 3
		.amdhsa_float_denorm_mode_16_64 3
		.amdhsa_dx10_clamp 1
		.amdhsa_ieee_mode 1
		.amdhsa_fp16_overflow 0
		.amdhsa_workgroup_processor_mode 1
		.amdhsa_memory_ordered 1
		.amdhsa_forward_progress 0
		.amdhsa_shared_vgpr_count 0
		.amdhsa_exception_fp_ieee_invalid_op 0
		.amdhsa_exception_fp_denorm_src 0
		.amdhsa_exception_fp_ieee_div_zero 0
		.amdhsa_exception_fp_ieee_overflow 0
		.amdhsa_exception_fp_ieee_underflow 0
		.amdhsa_exception_fp_ieee_inexact 0
		.amdhsa_exception_int_div_zero 0
	.end_amdhsa_kernel
	.section	.text._ZN2at6native29vectorized_elementwise_kernelILi4EZZZNS0_17rsqrt_kernel_cudaERNS_18TensorIteratorBaseEENKUlvE_clEvENKUlvE_clEvEUlN3c107complexIdEEE_St5arrayIPcLm2EEEEviT0_T1_,"axG",@progbits,_ZN2at6native29vectorized_elementwise_kernelILi4EZZZNS0_17rsqrt_kernel_cudaERNS_18TensorIteratorBaseEENKUlvE_clEvENKUlvE_clEvEUlN3c107complexIdEEE_St5arrayIPcLm2EEEEviT0_T1_,comdat
.Lfunc_end164:
	.size	_ZN2at6native29vectorized_elementwise_kernelILi4EZZZNS0_17rsqrt_kernel_cudaERNS_18TensorIteratorBaseEENKUlvE_clEvENKUlvE_clEvEUlN3c107complexIdEEE_St5arrayIPcLm2EEEEviT0_T1_, .Lfunc_end164-_ZN2at6native29vectorized_elementwise_kernelILi4EZZZNS0_17rsqrt_kernel_cudaERNS_18TensorIteratorBaseEENKUlvE_clEvENKUlvE_clEvEUlN3c107complexIdEEE_St5arrayIPcLm2EEEEviT0_T1_
                                        ; -- End function
	.section	.AMDGPU.csdata,"",@progbits
; Kernel info:
; codeLenInByte = 20608
; NumSgprs: 19
; NumVgprs: 35
; ScratchSize: 0
; MemoryBound: 1
; FloatMode: 240
; IeeeMode: 1
; LDSByteSize: 0 bytes/workgroup (compile time only)
; SGPRBlocks: 2
; VGPRBlocks: 4
; NumSGPRsForWavesPerEU: 19
; NumVGPRsForWavesPerEU: 35
; Occupancy: 16
; WaveLimiterHint : 0
; COMPUTE_PGM_RSRC2:SCRATCH_EN: 0
; COMPUTE_PGM_RSRC2:USER_SGPR: 15
; COMPUTE_PGM_RSRC2:TRAP_HANDLER: 0
; COMPUTE_PGM_RSRC2:TGID_X_EN: 1
; COMPUTE_PGM_RSRC2:TGID_Y_EN: 0
; COMPUTE_PGM_RSRC2:TGID_Z_EN: 0
; COMPUTE_PGM_RSRC2:TIDIG_COMP_CNT: 0
	.section	.text._ZN2at6native29vectorized_elementwise_kernelILi2EZZZNS0_17rsqrt_kernel_cudaERNS_18TensorIteratorBaseEENKUlvE_clEvENKUlvE_clEvEUlN3c107complexIdEEE_St5arrayIPcLm2EEEEviT0_T1_,"axG",@progbits,_ZN2at6native29vectorized_elementwise_kernelILi2EZZZNS0_17rsqrt_kernel_cudaERNS_18TensorIteratorBaseEENKUlvE_clEvENKUlvE_clEvEUlN3c107complexIdEEE_St5arrayIPcLm2EEEEviT0_T1_,comdat
	.globl	_ZN2at6native29vectorized_elementwise_kernelILi2EZZZNS0_17rsqrt_kernel_cudaERNS_18TensorIteratorBaseEENKUlvE_clEvENKUlvE_clEvEUlN3c107complexIdEEE_St5arrayIPcLm2EEEEviT0_T1_ ; -- Begin function _ZN2at6native29vectorized_elementwise_kernelILi2EZZZNS0_17rsqrt_kernel_cudaERNS_18TensorIteratorBaseEENKUlvE_clEvENKUlvE_clEvEUlN3c107complexIdEEE_St5arrayIPcLm2EEEEviT0_T1_
	.p2align	8
	.type	_ZN2at6native29vectorized_elementwise_kernelILi2EZZZNS0_17rsqrt_kernel_cudaERNS_18TensorIteratorBaseEENKUlvE_clEvENKUlvE_clEvEUlN3c107complexIdEEE_St5arrayIPcLm2EEEEviT0_T1_,@function
_ZN2at6native29vectorized_elementwise_kernelILi2EZZZNS0_17rsqrt_kernel_cudaERNS_18TensorIteratorBaseEENKUlvE_clEvENKUlvE_clEvEUlN3c107complexIdEEE_St5arrayIPcLm2EEEEviT0_T1_: ; @_ZN2at6native29vectorized_elementwise_kernelILi2EZZZNS0_17rsqrt_kernel_cudaERNS_18TensorIteratorBaseEENKUlvE_clEvENKUlvE_clEvEUlN3c107complexIdEEE_St5arrayIPcLm2EEEEviT0_T1_
; %bb.0:
	s_clause 0x1
	s_load_b32 s2, s[0:1], 0x0
	s_load_b128 s[4:7], s[0:1], 0x8
	s_lshl_b32 s8, s15, 10
	s_mov_b32 s0, -1
	s_waitcnt lgkmcnt(0)
	s_sub_i32 s10, s2, s8
	s_delay_alu instid0(SALU_CYCLE_1)
	s_cmpk_gt_i32 s10, 0x3ff
	s_cbranch_scc0 .LBB165_162
; %bb.1:
	s_ashr_i32 s9, s8, 31
	v_lshlrev_b32_e32 v25, 5, v0
	s_lshl_b64 s[2:3], s[8:9], 4
	v_mov_b32_e32 v13, 0
	v_mov_b32_e32 v14, 0
	s_add_u32 s0, s6, s2
	s_addc_u32 s1, s7, s3
	v_add_co_u32 v1, s9, s0, v25
	global_load_b128 v[19:22], v25, s[0:1]
	v_add_co_ci_u32_e64 v2, null, s1, 0, s9
	v_add_co_u32 v1, vcc_lo, 0x2000, v1
	s_delay_alu instid0(VALU_DEP_2)
	v_add_co_ci_u32_e32 v2, vcc_lo, 0, v2, vcc_lo
	s_clause 0x2
	global_load_b128 v[15:18], v25, s[0:1] offset:16
	global_load_b128 v[9:12], v[1:2], off
	global_load_b128 v[1:4], v[1:2], off offset:16
	s_waitcnt vmcnt(3)
	v_cmp_neq_f64_e32 vcc_lo, 0, v[19:20]
	v_cmp_neq_f64_e64 s0, 0, v[21:22]
	s_delay_alu instid0(VALU_DEP_1) | instskip(NEXT) | instid1(SALU_CYCLE_1)
	s_or_b32 s0, vcc_lo, s0
	s_and_saveexec_b32 s9, s0
	s_cbranch_execz .LBB165_33
; %bb.2:
	s_mov_b32 s0, 0
	s_mov_b32 s1, 0x7ff00000
	v_mov_b32_e32 v13, s0
	v_mov_b32_e32 v14, s1
	s_mov_b32 s11, exec_lo
	v_cmpx_neq_f64_e64 0x7ff00000, |v[21:22]|
	s_cbranch_execz .LBB165_32
; %bb.3:
	s_mov_b32 s0, exec_lo
	v_cmpx_o_f64_e32 v[19:20], v[19:20]
	s_xor_b32 s12, exec_lo, s0
	s_cbranch_execz .LBB165_29
; %bb.4:
	s_mov_b32 s1, exec_lo
	v_cmpx_neq_f64_e64 0x7ff00000, |v[19:20]|
	s_xor_b32 s13, exec_lo, s1
	s_cbranch_execz .LBB165_22
; %bb.5:
	v_max_f64 v[5:6], |v[21:22]|, |v[21:22]|
	v_max_f64 v[7:8], |v[19:20]|, |v[19:20]|
	s_mov_b32 s0, 0x99fcef32
	s_mov_b32 s1, 0x7fda8279
                                        ; implicit-def: $sgpr14
	s_delay_alu instid0(VALU_DEP_1) | instskip(NEXT) | instid1(VALU_DEP_1)
	v_max_f64 v[5:6], v[7:8], v[5:6]
	v_cmp_nle_f64_e64 s0, s[0:1], v[5:6]
	s_delay_alu instid0(VALU_DEP_1) | instskip(NEXT) | instid1(SALU_CYCLE_1)
	s_and_saveexec_b32 s1, s0
	s_xor_b32 s1, exec_lo, s1
	s_cbranch_execz .LBB165_9
; %bb.6:
	v_cmp_ge_f64_e64 s14, 0x200000, |v[19:20]|
	v_cmp_ge_f64_e64 s15, 0x200000, |v[21:22]|
	s_delay_alu instid0(VALU_DEP_1)
	s_and_b32 s16, s14, s15
	s_mov_b32 s14, 0
	s_and_saveexec_b32 s15, s16
; %bb.7:
	v_mul_f64 v[19:20], v[19:20], 4.0
	v_mul_f64 v[21:22], v[21:22], 4.0
	s_mov_b32 s14, exec_lo
; %bb.8:
	s_or_b32 exec_lo, exec_lo, s15
	s_delay_alu instid0(SALU_CYCLE_1)
	s_and_b32 s14, s14, exec_lo
.LBB165_9:
	s_and_not1_saveexec_b32 s1, s1
; %bb.10:
	s_delay_alu instid0(VALU_DEP_2) | instskip(NEXT) | instid1(VALU_DEP_2)
	v_ldexp_f64 v[19:20], v[19:20], -2
	v_ldexp_f64 v[21:22], v[21:22], -2
	s_and_not1_b32 s14, s14, exec_lo
; %bb.11:
	s_or_b32 exec_lo, exec_lo, s1
	s_delay_alu instid0(VALU_DEP_1) | instskip(NEXT) | instid1(VALU_DEP_3)
	v_max_f64 v[5:6], |v[21:22]|, |v[21:22]|
	v_max_f64 v[7:8], |v[19:20]|, |v[19:20]|
	v_cmp_class_f64_e64 s15, v[19:20], 0x204
	v_cmp_class_f64_e64 s16, v[21:22], 0x204
	v_cmp_le_f64_e64 s1, 0, v[19:20]
	s_delay_alu instid0(VALU_DEP_4) | instskip(NEXT) | instid1(VALU_DEP_3)
	v_max_f64 v[5:6], v[7:8], v[5:6]
	s_or_b32 s15, s16, s15
	s_delay_alu instid0(VALU_DEP_1) | instskip(NEXT) | instid1(VALU_DEP_1)
	v_frexp_exp_i32_f64_e32 v26, v[5:6]
	v_sub_nc_u32_e32 v7, 0, v26
	s_delay_alu instid0(VALU_DEP_1) | instskip(SKIP_1) | instid1(VALU_DEP_2)
	v_ldexp_f64 v[5:6], |v[21:22]|, v7
	v_ldexp_f64 v[7:8], |v[19:20]|, v7
	v_mul_f64 v[5:6], v[5:6], v[5:6]
	s_delay_alu instid0(VALU_DEP_1) | instskip(NEXT) | instid1(VALU_DEP_1)
	v_fma_f64 v[5:6], v[7:8], v[7:8], v[5:6]
	v_rsq_f64_e32 v[7:8], v[5:6]
	v_cmp_eq_f64_e32 vcc_lo, 0, v[5:6]
	s_waitcnt_depctr 0xfff
	v_mul_f64 v[13:14], v[5:6], v[7:8]
	v_mul_f64 v[7:8], v[7:8], 0.5
	s_delay_alu instid0(VALU_DEP_1) | instskip(NEXT) | instid1(VALU_DEP_1)
	v_fma_f64 v[23:24], -v[7:8], v[13:14], 0.5
	v_fma_f64 v[13:14], v[13:14], v[23:24], v[13:14]
	v_fma_f64 v[7:8], v[7:8], v[23:24], v[7:8]
	s_delay_alu instid0(VALU_DEP_2) | instskip(NEXT) | instid1(VALU_DEP_1)
	v_fma_f64 v[23:24], -v[13:14], v[13:14], v[5:6]
	v_fma_f64 v[7:8], v[23:24], v[7:8], v[13:14]
	s_delay_alu instid0(VALU_DEP_1) | instskip(SKIP_1) | instid1(VALU_DEP_2)
	v_dual_cndmask_b32 v6, v8, v6 :: v_dual_cndmask_b32 v5, v7, v5
	v_cmp_o_f64_e32 vcc_lo, v[21:22], v[21:22]
	v_ldexp_f64 v[5:6], v[5:6], v26
	s_delay_alu instid0(VALU_DEP_1) | instskip(NEXT) | instid1(VALU_DEP_2)
	v_cndmask_b32_e32 v5, 0, v5, vcc_lo
	v_cndmask_b32_e32 v6, 0x7ff80000, v6, vcc_lo
	s_delay_alu instid0(VALU_DEP_2) | instskip(NEXT) | instid1(VALU_DEP_2)
	v_cndmask_b32_e64 v5, v5, 0, s15
	v_cndmask_b32_e64 v6, v6, 0x7ff00000, s15
	s_and_saveexec_b32 s15, s1
	s_delay_alu instid0(SALU_CYCLE_1)
	s_xor_b32 s1, exec_lo, s15
	s_cbranch_execz .LBB165_17
; %bb.12:
	s_delay_alu instid0(VALU_DEP_1) | instskip(NEXT) | instid1(VALU_DEP_1)
	v_add_f64 v[5:6], v[19:20], v[5:6]
	v_mul_f64 v[5:6], v[5:6], 0.5
	s_delay_alu instid0(VALU_DEP_1) | instskip(SKIP_1) | instid1(VALU_DEP_1)
	v_cmp_gt_f64_e32 vcc_lo, 0x10000000, v[5:6]
	v_cndmask_b32_e64 v7, 0, 1, vcc_lo
	v_lshlrev_b32_e32 v7, 8, v7
	s_delay_alu instid0(VALU_DEP_1) | instskip(NEXT) | instid1(VALU_DEP_1)
	v_ldexp_f64 v[5:6], v[5:6], v7
	v_rsq_f64_e32 v[7:8], v[5:6]
	s_waitcnt_depctr 0xfff
	v_mul_f64 v[13:14], v[5:6], v[7:8]
	v_mul_f64 v[7:8], v[7:8], 0.5
	s_delay_alu instid0(VALU_DEP_1) | instskip(NEXT) | instid1(VALU_DEP_1)
	v_fma_f64 v[19:20], -v[7:8], v[13:14], 0.5
	v_fma_f64 v[13:14], v[13:14], v[19:20], v[13:14]
	v_fma_f64 v[7:8], v[7:8], v[19:20], v[7:8]
	s_delay_alu instid0(VALU_DEP_2) | instskip(NEXT) | instid1(VALU_DEP_1)
	v_fma_f64 v[19:20], -v[13:14], v[13:14], v[5:6]
	v_fma_f64 v[13:14], v[19:20], v[7:8], v[13:14]
	s_delay_alu instid0(VALU_DEP_1) | instskip(NEXT) | instid1(VALU_DEP_1)
	v_fma_f64 v[19:20], -v[13:14], v[13:14], v[5:6]
	v_fma_f64 v[7:8], v[19:20], v[7:8], v[13:14]
	v_cndmask_b32_e64 v13, 0, 0xffffff80, vcc_lo
	v_cmp_class_f64_e64 vcc_lo, v[5:6], 0x260
	s_delay_alu instid0(VALU_DEP_2) | instskip(NEXT) | instid1(VALU_DEP_1)
	v_ldexp_f64 v[7:8], v[7:8], v13
	v_dual_cndmask_b32 v20, v8, v6 :: v_dual_cndmask_b32 v19, v7, v5
	s_delay_alu instid0(VALU_DEP_1) | instskip(NEXT) | instid1(VALU_DEP_1)
	v_add_f64 v[5:6], v[19:20], v[19:20]
	v_div_scale_f64 v[7:8], null, v[5:6], v[5:6], v[21:22]
	s_delay_alu instid0(VALU_DEP_1) | instskip(SKIP_2) | instid1(VALU_DEP_1)
	v_rcp_f64_e32 v[13:14], v[7:8]
	s_waitcnt_depctr 0xfff
	v_fma_f64 v[23:24], -v[7:8], v[13:14], 1.0
	v_fma_f64 v[13:14], v[13:14], v[23:24], v[13:14]
	s_delay_alu instid0(VALU_DEP_1) | instskip(NEXT) | instid1(VALU_DEP_1)
	v_fma_f64 v[23:24], -v[7:8], v[13:14], 1.0
	v_fma_f64 v[13:14], v[13:14], v[23:24], v[13:14]
	v_div_scale_f64 v[23:24], vcc_lo, v[21:22], v[5:6], v[21:22]
	s_delay_alu instid0(VALU_DEP_1) | instskip(NEXT) | instid1(VALU_DEP_1)
	v_mul_f64 v[26:27], v[23:24], v[13:14]
	v_fma_f64 v[7:8], -v[7:8], v[26:27], v[23:24]
	s_delay_alu instid0(VALU_DEP_1) | instskip(NEXT) | instid1(VALU_DEP_1)
	v_div_fmas_f64 v[7:8], v[7:8], v[13:14], v[26:27]
	v_div_fixup_f64 v[21:22], v[7:8], v[5:6], v[21:22]
                                        ; implicit-def: $vgpr5_vgpr6
	s_and_not1_saveexec_b32 s1, s1
	s_cbranch_execnz .LBB165_18
.LBB165_13:
	s_or_b32 exec_lo, exec_lo, s1
	s_and_saveexec_b32 s1, s0
	s_delay_alu instid0(SALU_CYCLE_1)
	s_xor_b32 s0, exec_lo, s1
	s_cbranch_execz .LBB165_19
.LBB165_14:
	s_and_saveexec_b32 s1, s14
; %bb.15:
	s_delay_alu instid0(VALU_DEP_2) | instskip(NEXT) | instid1(VALU_DEP_2)
	v_mul_f64 v[19:20], v[19:20], 0.5
	v_mul_f64 v[21:22], v[21:22], 0.5
; %bb.16:
	s_or_b32 exec_lo, exec_lo, s1
	s_and_not1_saveexec_b32 s0, s0
	s_cbranch_execnz .LBB165_20
	s_branch .LBB165_21
.LBB165_17:
	s_and_not1_saveexec_b32 s1, s1
	s_cbranch_execz .LBB165_13
.LBB165_18:
	v_add_f64 v[5:6], v[5:6], -v[19:20]
	s_delay_alu instid0(VALU_DEP_1) | instskip(NEXT) | instid1(VALU_DEP_1)
	v_mul_f64 v[5:6], v[5:6], 0.5
	v_cmp_gt_f64_e32 vcc_lo, 0x10000000, v[5:6]
	v_cndmask_b32_e64 v7, 0, 1, vcc_lo
	s_delay_alu instid0(VALU_DEP_1) | instskip(NEXT) | instid1(VALU_DEP_1)
	v_lshlrev_b32_e32 v7, 8, v7
	v_ldexp_f64 v[5:6], v[5:6], v7
	s_delay_alu instid0(VALU_DEP_1) | instskip(SKIP_3) | instid1(VALU_DEP_1)
	v_rsq_f64_e32 v[7:8], v[5:6]
	s_waitcnt_depctr 0xfff
	v_mul_f64 v[13:14], v[5:6], v[7:8]
	v_mul_f64 v[7:8], v[7:8], 0.5
	v_fma_f64 v[19:20], -v[7:8], v[13:14], 0.5
	s_delay_alu instid0(VALU_DEP_1) | instskip(SKIP_1) | instid1(VALU_DEP_2)
	v_fma_f64 v[13:14], v[13:14], v[19:20], v[13:14]
	v_fma_f64 v[7:8], v[7:8], v[19:20], v[7:8]
	v_fma_f64 v[19:20], -v[13:14], v[13:14], v[5:6]
	s_delay_alu instid0(VALU_DEP_1) | instskip(NEXT) | instid1(VALU_DEP_1)
	v_fma_f64 v[13:14], v[19:20], v[7:8], v[13:14]
	v_fma_f64 v[19:20], -v[13:14], v[13:14], v[5:6]
	s_delay_alu instid0(VALU_DEP_1) | instskip(SKIP_3) | instid1(VALU_DEP_3)
	v_fma_f64 v[7:8], v[19:20], v[7:8], v[13:14]
	v_cndmask_b32_e64 v13, 0, 0xffffff80, vcc_lo
	v_cmp_class_f64_e64 vcc_lo, v[5:6], 0x260
	v_and_b32_e32 v14, 0x7fffffff, v22
	v_ldexp_f64 v[7:8], v[7:8], v13
	s_delay_alu instid0(VALU_DEP_1) | instskip(NEXT) | instid1(VALU_DEP_1)
	v_dual_cndmask_b32 v6, v8, v6 :: v_dual_cndmask_b32 v5, v7, v5
	v_add_f64 v[7:8], v[5:6], v[5:6]
	v_bfi_b32 v6, 0x7fffffff, v6, v22
	v_mov_b32_e32 v13, v21
	s_delay_alu instid0(VALU_DEP_1) | instskip(SKIP_1) | instid1(VALU_DEP_2)
	v_div_scale_f64 v[19:20], null, v[7:8], v[7:8], v[13:14]
	v_div_scale_f64 v[13:14], vcc_lo, v[13:14], v[7:8], v[13:14]
	v_rcp_f64_e32 v[23:24], v[19:20]
	s_waitcnt_depctr 0xfff
	v_fma_f64 v[26:27], -v[19:20], v[23:24], 1.0
	s_delay_alu instid0(VALU_DEP_1) | instskip(NEXT) | instid1(VALU_DEP_1)
	v_fma_f64 v[23:24], v[23:24], v[26:27], v[23:24]
	v_fma_f64 v[26:27], -v[19:20], v[23:24], 1.0
	s_delay_alu instid0(VALU_DEP_1) | instskip(NEXT) | instid1(VALU_DEP_1)
	v_fma_f64 v[23:24], v[23:24], v[26:27], v[23:24]
	v_mul_f64 v[26:27], v[13:14], v[23:24]
	s_delay_alu instid0(VALU_DEP_1) | instskip(NEXT) | instid1(VALU_DEP_1)
	v_fma_f64 v[13:14], -v[19:20], v[26:27], v[13:14]
	v_div_fmas_f64 v[13:14], v[13:14], v[23:24], v[26:27]
	s_delay_alu instid0(VALU_DEP_1) | instskip(SKIP_3) | instid1(SALU_CYCLE_1)
	v_div_fixup_f64 v[19:20], v[13:14], v[7:8], |v[21:22]|
	v_dual_mov_b32 v22, v6 :: v_dual_mov_b32 v21, v5
	s_or_b32 exec_lo, exec_lo, s1
	s_and_saveexec_b32 s1, s0
	s_xor_b32 s0, exec_lo, s1
	s_cbranch_execnz .LBB165_14
.LBB165_19:
	s_and_not1_saveexec_b32 s0, s0
.LBB165_20:
	s_delay_alu instid0(VALU_DEP_2) | instskip(NEXT) | instid1(VALU_DEP_2)
	v_add_f64 v[19:20], v[19:20], v[19:20]
	v_add_f64 v[21:22], v[21:22], v[21:22]
.LBB165_21:
	s_or_b32 exec_lo, exec_lo, s0
.LBB165_22:
	s_and_not1_saveexec_b32 s0, s13
	s_cbranch_execz .LBB165_28
; %bb.23:
	s_delay_alu instid0(VALU_DEP_1) | instskip(SKIP_1) | instid1(VALU_DEP_3)
	v_add_f64 v[5:6], v[21:22], -v[21:22]
	s_mov_b32 s1, exec_lo
	v_cmpx_lt_i64_e32 -1, v[19:20]
	s_xor_b32 s1, exec_lo, s1
; %bb.24:
	s_delay_alu instid0(VALU_DEP_2) | instskip(NEXT) | instid1(VALU_DEP_1)
	v_bfi_b32 v6, 0x7fffffff, v6, v22
	v_dual_mov_b32 v22, v6 :: v_dual_mov_b32 v21, v5
                                        ; implicit-def: $vgpr5_vgpr6
; %bb.25:
	s_and_not1_saveexec_b32 s1, s1
; %bb.26:
	s_delay_alu instid0(VALU_DEP_1) | instskip(SKIP_1) | instid1(VALU_DEP_2)
	v_bfi_b32 v20, 0x7fffffff, v20, v22
	v_and_b32_e32 v6, 0x7fffffff, v6
	v_dual_mov_b32 v22, v20 :: v_dual_mov_b32 v21, v19
	s_delay_alu instid0(VALU_DEP_2)
	v_dual_mov_b32 v20, v6 :: v_dual_mov_b32 v19, v5
; %bb.27:
	s_or_b32 exec_lo, exec_lo, s1
.LBB165_28:
	s_delay_alu instid0(SALU_CYCLE_1)
	s_or_b32 exec_lo, exec_lo, s0
.LBB165_29:
	s_and_not1_saveexec_b32 s0, s12
; %bb.30:
	s_delay_alu instid0(VALU_DEP_1) | instskip(NEXT) | instid1(VALU_DEP_1)
	v_add_f64 v[5:6], v[21:22], -v[21:22]
	v_div_scale_f64 v[7:8], vcc_lo, v[5:6], v[5:6], v[5:6]
	s_delay_alu instid0(VALU_DEP_1) | instskip(SKIP_2) | instid1(VALU_DEP_1)
	v_rcp_f64_e32 v[13:14], v[7:8]
	s_waitcnt_depctr 0xfff
	v_fma_f64 v[21:22], -v[7:8], v[13:14], 1.0
	v_fma_f64 v[13:14], v[13:14], v[21:22], v[13:14]
	s_delay_alu instid0(VALU_DEP_1) | instskip(NEXT) | instid1(VALU_DEP_1)
	v_fma_f64 v[21:22], -v[7:8], v[13:14], 1.0
	v_fma_f64 v[13:14], v[13:14], v[21:22], v[13:14]
	s_delay_alu instid0(VALU_DEP_1) | instskip(NEXT) | instid1(VALU_DEP_1)
	v_mul_f64 v[21:22], v[7:8], v[13:14]
	v_fma_f64 v[7:8], -v[7:8], v[21:22], v[7:8]
	s_delay_alu instid0(VALU_DEP_1) | instskip(NEXT) | instid1(VALU_DEP_1)
	v_div_fmas_f64 v[7:8], v[7:8], v[13:14], v[21:22]
	v_div_fixup_f64 v[21:22], v[7:8], v[5:6], v[5:6]
; %bb.31:
	s_or_b32 exec_lo, exec_lo, s0
	v_dual_mov_b32 v13, v19 :: v_dual_mov_b32 v14, v20
.LBB165_32:
	s_or_b32 exec_lo, exec_lo, s11
.LBB165_33:
	s_delay_alu instid0(SALU_CYCLE_1) | instskip(NEXT) | instid1(VALU_DEP_1)
	s_or_b32 exec_lo, exec_lo, s9
	v_cmp_gt_f64_e32 vcc_lo, 0, v[13:14]
	s_delay_alu instid0(VALU_DEP_3) | instskip(SKIP_2) | instid1(VALU_DEP_2)
	v_cmp_gt_f64_e64 s0, 0, v[21:22]
	v_xor_b32_e32 v5, 0x80000000, v14
	v_xor_b32_e32 v6, 0x80000000, v22
                                        ; implicit-def: $vgpr7_vgpr8
	v_cndmask_b32_e32 v20, v14, v5, vcc_lo
	s_delay_alu instid0(VALU_DEP_2) | instskip(SKIP_3) | instid1(VALU_DEP_1)
	v_cndmask_b32_e64 v24, v22, v6, s0
	v_cndmask_b32_e32 v19, v13, v13, vcc_lo
	v_cndmask_b32_e64 v23, v21, v21, s0
	s_mov_b32 s0, exec_lo
	v_cmpx_ge_f64_e32 v[19:20], v[23:24]
	s_xor_b32 s1, exec_lo, s0
	s_cbranch_execz .LBB165_39
; %bb.34:
	v_cmp_neq_f64_e32 vcc_lo, 0, v[13:14]
	v_cmp_neq_f64_e64 s0, 0, v[21:22]
                                        ; implicit-def: $vgpr7_vgpr8
	s_delay_alu instid0(VALU_DEP_1) | instskip(NEXT) | instid1(SALU_CYCLE_1)
	s_or_b32 s0, vcc_lo, s0
	s_and_saveexec_b32 s9, s0
	s_delay_alu instid0(SALU_CYCLE_1)
	s_xor_b32 s0, exec_lo, s9
	s_cbranch_execz .LBB165_36
; %bb.35:
	v_div_scale_f64 v[5:6], null, v[13:14], v[13:14], v[21:22]
	v_div_scale_f64 v[23:24], vcc_lo, v[21:22], v[13:14], v[21:22]
	s_delay_alu instid0(VALU_DEP_2) | instskip(SKIP_2) | instid1(VALU_DEP_1)
	v_rcp_f64_e32 v[7:8], v[5:6]
	s_waitcnt_depctr 0xfff
	v_fma_f64 v[19:20], -v[5:6], v[7:8], 1.0
	v_fma_f64 v[7:8], v[7:8], v[19:20], v[7:8]
	s_delay_alu instid0(VALU_DEP_1) | instskip(NEXT) | instid1(VALU_DEP_1)
	v_fma_f64 v[19:20], -v[5:6], v[7:8], 1.0
	v_fma_f64 v[7:8], v[7:8], v[19:20], v[7:8]
	s_delay_alu instid0(VALU_DEP_1) | instskip(NEXT) | instid1(VALU_DEP_1)
	v_mul_f64 v[19:20], v[23:24], v[7:8]
	v_fma_f64 v[5:6], -v[5:6], v[19:20], v[23:24]
	s_delay_alu instid0(VALU_DEP_1) | instskip(NEXT) | instid1(VALU_DEP_1)
	v_div_fmas_f64 v[5:6], v[5:6], v[7:8], v[19:20]
	v_div_fixup_f64 v[5:6], v[5:6], v[13:14], v[21:22]
	s_delay_alu instid0(VALU_DEP_1) | instskip(NEXT) | instid1(VALU_DEP_1)
	v_fma_f64 v[7:8], v[21:22], v[5:6], v[13:14]
	v_div_scale_f64 v[13:14], null, v[7:8], v[7:8], 1.0
	v_div_scale_f64 v[23:24], vcc_lo, 1.0, v[7:8], 1.0
	s_delay_alu instid0(VALU_DEP_2) | instskip(SKIP_2) | instid1(VALU_DEP_1)
	v_rcp_f64_e32 v[19:20], v[13:14]
	s_waitcnt_depctr 0xfff
	v_fma_f64 v[21:22], -v[13:14], v[19:20], 1.0
	v_fma_f64 v[19:20], v[19:20], v[21:22], v[19:20]
	s_delay_alu instid0(VALU_DEP_1) | instskip(NEXT) | instid1(VALU_DEP_1)
	v_fma_f64 v[21:22], -v[13:14], v[19:20], 1.0
	v_fma_f64 v[19:20], v[19:20], v[21:22], v[19:20]
	s_delay_alu instid0(VALU_DEP_1) | instskip(NEXT) | instid1(VALU_DEP_1)
	v_mul_f64 v[21:22], v[23:24], v[19:20]
	v_fma_f64 v[13:14], -v[13:14], v[21:22], v[23:24]
                                        ; implicit-def: $vgpr23_vgpr24
	s_delay_alu instid0(VALU_DEP_1) | instskip(SKIP_1) | instid1(VALU_DEP_2)
	v_div_fmas_f64 v[13:14], v[13:14], v[19:20], v[21:22]
	v_fma_f64 v[19:20], v[5:6], 0, 1.0
	v_div_fixup_f64 v[7:8], v[13:14], v[7:8], 1.0
	v_add_f64 v[13:14], -v[5:6], 0
	s_delay_alu instid0(VALU_DEP_2) | instskip(NEXT) | instid1(VALU_DEP_2)
	v_mul_f64 v[5:6], v[19:20], v[7:8]
	v_mul_f64 v[7:8], v[13:14], v[7:8]
                                        ; implicit-def: $vgpr19_vgpr20
.LBB165_36:
	s_and_not1_saveexec_b32 s9, s0
	s_cbranch_execz .LBB165_38
; %bb.37:
	v_div_scale_f64 v[5:6], null, v[19:20], v[19:20], 1.0
	v_div_scale_f64 v[7:8], null, v[23:24], v[23:24], 0
	v_div_scale_f64 v[30:31], vcc_lo, 1.0, v[19:20], 1.0
	s_delay_alu instid0(VALU_DEP_3) | instskip(NEXT) | instid1(VALU_DEP_2)
	v_rcp_f64_e32 v[13:14], v[5:6]
	v_rcp_f64_e32 v[21:22], v[7:8]
	s_waitcnt_depctr 0xfff
	v_fma_f64 v[26:27], -v[5:6], v[13:14], 1.0
	v_fma_f64 v[28:29], -v[7:8], v[21:22], 1.0
	s_delay_alu instid0(VALU_DEP_2) | instskip(NEXT) | instid1(VALU_DEP_2)
	v_fma_f64 v[13:14], v[13:14], v[26:27], v[13:14]
	v_fma_f64 v[21:22], v[21:22], v[28:29], v[21:22]
	s_delay_alu instid0(VALU_DEP_2) | instskip(NEXT) | instid1(VALU_DEP_2)
	v_fma_f64 v[26:27], -v[5:6], v[13:14], 1.0
	v_fma_f64 v[28:29], -v[7:8], v[21:22], 1.0
	s_delay_alu instid0(VALU_DEP_2) | instskip(SKIP_1) | instid1(VALU_DEP_3)
	v_fma_f64 v[13:14], v[13:14], v[26:27], v[13:14]
	v_div_scale_f64 v[26:27], s0, 0, v[23:24], 0
	v_fma_f64 v[21:22], v[21:22], v[28:29], v[21:22]
	s_delay_alu instid0(VALU_DEP_3) | instskip(NEXT) | instid1(VALU_DEP_2)
	v_mul_f64 v[28:29], v[30:31], v[13:14]
	v_mul_f64 v[32:33], v[26:27], v[21:22]
	s_delay_alu instid0(VALU_DEP_2) | instskip(NEXT) | instid1(VALU_DEP_2)
	v_fma_f64 v[5:6], -v[5:6], v[28:29], v[30:31]
	v_fma_f64 v[7:8], -v[7:8], v[32:33], v[26:27]
	s_delay_alu instid0(VALU_DEP_2) | instskip(SKIP_1) | instid1(VALU_DEP_2)
	v_div_fmas_f64 v[5:6], v[5:6], v[13:14], v[28:29]
	s_mov_b32 vcc_lo, s0
	v_div_fmas_f64 v[7:8], v[7:8], v[21:22], v[32:33]
	s_delay_alu instid0(VALU_DEP_2) | instskip(NEXT) | instid1(VALU_DEP_2)
	v_div_fixup_f64 v[5:6], v[5:6], v[19:20], 1.0
	v_div_fixup_f64 v[7:8], v[7:8], v[23:24], 0
.LBB165_38:
	s_or_b32 exec_lo, exec_lo, s9
                                        ; implicit-def: $vgpr21_vgpr22
                                        ; implicit-def: $vgpr13_vgpr14
.LBB165_39:
	s_and_not1_saveexec_b32 s0, s1
	s_cbranch_execz .LBB165_41
; %bb.40:
	v_div_scale_f64 v[5:6], null, v[21:22], v[21:22], v[13:14]
	v_div_scale_f64 v[23:24], vcc_lo, v[13:14], v[21:22], v[13:14]
	s_delay_alu instid0(VALU_DEP_2) | instskip(SKIP_2) | instid1(VALU_DEP_1)
	v_rcp_f64_e32 v[7:8], v[5:6]
	s_waitcnt_depctr 0xfff
	v_fma_f64 v[19:20], -v[5:6], v[7:8], 1.0
	v_fma_f64 v[7:8], v[7:8], v[19:20], v[7:8]
	s_delay_alu instid0(VALU_DEP_1) | instskip(NEXT) | instid1(VALU_DEP_1)
	v_fma_f64 v[19:20], -v[5:6], v[7:8], 1.0
	v_fma_f64 v[7:8], v[7:8], v[19:20], v[7:8]
	s_delay_alu instid0(VALU_DEP_1) | instskip(NEXT) | instid1(VALU_DEP_1)
	v_mul_f64 v[19:20], v[23:24], v[7:8]
	v_fma_f64 v[5:6], -v[5:6], v[19:20], v[23:24]
	s_delay_alu instid0(VALU_DEP_1) | instskip(NEXT) | instid1(VALU_DEP_1)
	v_div_fmas_f64 v[5:6], v[5:6], v[7:8], v[19:20]
	v_div_fixup_f64 v[5:6], v[5:6], v[21:22], v[13:14]
	s_delay_alu instid0(VALU_DEP_1) | instskip(NEXT) | instid1(VALU_DEP_1)
	v_fma_f64 v[7:8], v[13:14], v[5:6], v[21:22]
	v_div_scale_f64 v[13:14], null, v[7:8], v[7:8], 1.0
	v_div_scale_f64 v[23:24], vcc_lo, 1.0, v[7:8], 1.0
	s_delay_alu instid0(VALU_DEP_2) | instskip(SKIP_2) | instid1(VALU_DEP_1)
	v_rcp_f64_e32 v[19:20], v[13:14]
	s_waitcnt_depctr 0xfff
	v_fma_f64 v[21:22], -v[13:14], v[19:20], 1.0
	v_fma_f64 v[19:20], v[19:20], v[21:22], v[19:20]
	s_delay_alu instid0(VALU_DEP_1) | instskip(NEXT) | instid1(VALU_DEP_1)
	v_fma_f64 v[21:22], -v[13:14], v[19:20], 1.0
	v_fma_f64 v[19:20], v[19:20], v[21:22], v[19:20]
	s_delay_alu instid0(VALU_DEP_1) | instskip(NEXT) | instid1(VALU_DEP_1)
	v_mul_f64 v[21:22], v[23:24], v[19:20]
	v_fma_f64 v[13:14], -v[13:14], v[21:22], v[23:24]
	s_delay_alu instid0(VALU_DEP_1) | instskip(SKIP_1) | instid1(VALU_DEP_2)
	v_div_fmas_f64 v[13:14], v[13:14], v[19:20], v[21:22]
	v_add_f64 v[19:20], v[5:6], 0
	v_div_fixup_f64 v[7:8], v[13:14], v[7:8], 1.0
	v_fma_f64 v[13:14], v[5:6], 0, -1.0
	s_delay_alu instid0(VALU_DEP_2) | instskip(NEXT) | instid1(VALU_DEP_2)
	v_mul_f64 v[5:6], v[19:20], v[7:8]
	v_mul_f64 v[7:8], v[13:14], v[7:8]
.LBB165_41:
	s_or_b32 exec_lo, exec_lo, s0
	s_waitcnt vmcnt(2)
	v_cmp_neq_f64_e32 vcc_lo, 0, v[15:16]
	v_cmp_neq_f64_e64 s0, 0, v[17:18]
	v_mov_b32_e32 v19, 0
	v_mov_b32_e32 v20, 0
	s_delay_alu instid0(VALU_DEP_3) | instskip(NEXT) | instid1(SALU_CYCLE_1)
	s_or_b32 s0, vcc_lo, s0
	s_and_saveexec_b32 s9, s0
	s_cbranch_execz .LBB165_73
; %bb.42:
	s_mov_b32 s0, 0
	s_mov_b32 s1, 0x7ff00000
	v_mov_b32_e32 v19, s0
	v_mov_b32_e32 v20, s1
	s_mov_b32 s11, exec_lo
	v_cmpx_neq_f64_e64 0x7ff00000, |v[17:18]|
	s_cbranch_execz .LBB165_72
; %bb.43:
	s_mov_b32 s0, exec_lo
	v_cmpx_o_f64_e32 v[15:16], v[15:16]
	s_xor_b32 s12, exec_lo, s0
	s_cbranch_execz .LBB165_69
; %bb.44:
	s_mov_b32 s1, exec_lo
	v_cmpx_neq_f64_e64 0x7ff00000, |v[15:16]|
	s_xor_b32 s13, exec_lo, s1
	s_cbranch_execz .LBB165_62
; %bb.45:
	v_max_f64 v[13:14], |v[17:18]|, |v[17:18]|
	v_max_f64 v[19:20], |v[15:16]|, |v[15:16]|
	s_mov_b32 s0, 0x99fcef32
	s_mov_b32 s1, 0x7fda8279
                                        ; implicit-def: $sgpr14
	s_delay_alu instid0(VALU_DEP_1) | instskip(NEXT) | instid1(VALU_DEP_1)
	v_max_f64 v[13:14], v[19:20], v[13:14]
	v_cmp_nle_f64_e64 s0, s[0:1], v[13:14]
	s_delay_alu instid0(VALU_DEP_1) | instskip(NEXT) | instid1(SALU_CYCLE_1)
	s_and_saveexec_b32 s1, s0
	s_xor_b32 s1, exec_lo, s1
	s_cbranch_execz .LBB165_49
; %bb.46:
	v_cmp_ge_f64_e64 s14, 0x200000, |v[15:16]|
	v_cmp_ge_f64_e64 s15, 0x200000, |v[17:18]|
	s_delay_alu instid0(VALU_DEP_1)
	s_and_b32 s16, s14, s15
	s_mov_b32 s14, 0
	s_and_saveexec_b32 s15, s16
; %bb.47:
	v_mul_f64 v[15:16], v[15:16], 4.0
	v_mul_f64 v[17:18], v[17:18], 4.0
	s_mov_b32 s14, exec_lo
; %bb.48:
	s_or_b32 exec_lo, exec_lo, s15
	s_delay_alu instid0(SALU_CYCLE_1)
	s_and_b32 s14, s14, exec_lo
.LBB165_49:
	s_and_not1_saveexec_b32 s1, s1
; %bb.50:
	s_delay_alu instid0(VALU_DEP_2) | instskip(NEXT) | instid1(VALU_DEP_2)
	v_ldexp_f64 v[15:16], v[15:16], -2
	v_ldexp_f64 v[17:18], v[17:18], -2
	s_and_not1_b32 s14, s14, exec_lo
; %bb.51:
	s_or_b32 exec_lo, exec_lo, s1
	s_delay_alu instid0(VALU_DEP_1) | instskip(NEXT) | instid1(VALU_DEP_3)
	v_max_f64 v[13:14], |v[17:18]|, |v[17:18]|
	v_max_f64 v[19:20], |v[15:16]|, |v[15:16]|
	v_cmp_class_f64_e64 s15, v[15:16], 0x204
	v_cmp_class_f64_e64 s16, v[17:18], 0x204
	v_cmp_le_f64_e64 s1, 0, v[15:16]
	s_delay_alu instid0(VALU_DEP_4) | instskip(NEXT) | instid1(VALU_DEP_3)
	v_max_f64 v[13:14], v[19:20], v[13:14]
	s_or_b32 s15, s16, s15
	s_delay_alu instid0(VALU_DEP_1) | instskip(NEXT) | instid1(VALU_DEP_1)
	v_frexp_exp_i32_f64_e32 v26, v[13:14]
	v_sub_nc_u32_e32 v19, 0, v26
	s_delay_alu instid0(VALU_DEP_1) | instskip(SKIP_1) | instid1(VALU_DEP_2)
	v_ldexp_f64 v[13:14], |v[17:18]|, v19
	v_ldexp_f64 v[19:20], |v[15:16]|, v19
	v_mul_f64 v[13:14], v[13:14], v[13:14]
	s_delay_alu instid0(VALU_DEP_1) | instskip(NEXT) | instid1(VALU_DEP_1)
	v_fma_f64 v[13:14], v[19:20], v[19:20], v[13:14]
	v_rsq_f64_e32 v[19:20], v[13:14]
	v_cmp_eq_f64_e32 vcc_lo, 0, v[13:14]
	s_waitcnt_depctr 0xfff
	v_mul_f64 v[21:22], v[13:14], v[19:20]
	v_mul_f64 v[19:20], v[19:20], 0.5
	s_delay_alu instid0(VALU_DEP_1) | instskip(NEXT) | instid1(VALU_DEP_1)
	v_fma_f64 v[23:24], -v[19:20], v[21:22], 0.5
	v_fma_f64 v[21:22], v[21:22], v[23:24], v[21:22]
	v_fma_f64 v[19:20], v[19:20], v[23:24], v[19:20]
	s_delay_alu instid0(VALU_DEP_2) | instskip(NEXT) | instid1(VALU_DEP_1)
	v_fma_f64 v[23:24], -v[21:22], v[21:22], v[13:14]
	v_fma_f64 v[19:20], v[23:24], v[19:20], v[21:22]
	s_delay_alu instid0(VALU_DEP_1) | instskip(SKIP_1) | instid1(VALU_DEP_2)
	v_dual_cndmask_b32 v14, v20, v14 :: v_dual_cndmask_b32 v13, v19, v13
	v_cmp_o_f64_e32 vcc_lo, v[17:18], v[17:18]
	v_ldexp_f64 v[13:14], v[13:14], v26
	s_delay_alu instid0(VALU_DEP_1) | instskip(NEXT) | instid1(VALU_DEP_2)
	v_cndmask_b32_e32 v13, 0, v13, vcc_lo
	v_cndmask_b32_e32 v14, 0x7ff80000, v14, vcc_lo
	s_delay_alu instid0(VALU_DEP_2) | instskip(NEXT) | instid1(VALU_DEP_2)
	v_cndmask_b32_e64 v13, v13, 0, s15
	v_cndmask_b32_e64 v14, v14, 0x7ff00000, s15
	s_and_saveexec_b32 s15, s1
	s_delay_alu instid0(SALU_CYCLE_1)
	s_xor_b32 s1, exec_lo, s15
	s_cbranch_execz .LBB165_57
; %bb.52:
	s_delay_alu instid0(VALU_DEP_1) | instskip(NEXT) | instid1(VALU_DEP_1)
	v_add_f64 v[13:14], v[15:16], v[13:14]
	v_mul_f64 v[13:14], v[13:14], 0.5
	s_delay_alu instid0(VALU_DEP_1) | instskip(SKIP_1) | instid1(VALU_DEP_1)
	v_cmp_gt_f64_e32 vcc_lo, 0x10000000, v[13:14]
	v_cndmask_b32_e64 v15, 0, 1, vcc_lo
	v_lshlrev_b32_e32 v15, 8, v15
	s_delay_alu instid0(VALU_DEP_1) | instskip(NEXT) | instid1(VALU_DEP_1)
	v_ldexp_f64 v[13:14], v[13:14], v15
	v_rsq_f64_e32 v[15:16], v[13:14]
	s_waitcnt_depctr 0xfff
	v_mul_f64 v[19:20], v[13:14], v[15:16]
	v_mul_f64 v[15:16], v[15:16], 0.5
	s_delay_alu instid0(VALU_DEP_1) | instskip(NEXT) | instid1(VALU_DEP_1)
	v_fma_f64 v[21:22], -v[15:16], v[19:20], 0.5
	v_fma_f64 v[19:20], v[19:20], v[21:22], v[19:20]
	v_fma_f64 v[15:16], v[15:16], v[21:22], v[15:16]
	s_delay_alu instid0(VALU_DEP_2) | instskip(NEXT) | instid1(VALU_DEP_1)
	v_fma_f64 v[21:22], -v[19:20], v[19:20], v[13:14]
	v_fma_f64 v[19:20], v[21:22], v[15:16], v[19:20]
	s_delay_alu instid0(VALU_DEP_1) | instskip(NEXT) | instid1(VALU_DEP_1)
	v_fma_f64 v[21:22], -v[19:20], v[19:20], v[13:14]
	v_fma_f64 v[15:16], v[21:22], v[15:16], v[19:20]
	v_cndmask_b32_e64 v19, 0, 0xffffff80, vcc_lo
	v_cmp_class_f64_e64 vcc_lo, v[13:14], 0x260
	s_delay_alu instid0(VALU_DEP_2) | instskip(NEXT) | instid1(VALU_DEP_1)
	v_ldexp_f64 v[15:16], v[15:16], v19
	v_dual_cndmask_b32 v16, v16, v14 :: v_dual_cndmask_b32 v15, v15, v13
	s_delay_alu instid0(VALU_DEP_1) | instskip(NEXT) | instid1(VALU_DEP_1)
	v_add_f64 v[13:14], v[15:16], v[15:16]
	v_div_scale_f64 v[19:20], null, v[13:14], v[13:14], v[17:18]
	s_delay_alu instid0(VALU_DEP_1) | instskip(SKIP_2) | instid1(VALU_DEP_1)
	v_rcp_f64_e32 v[21:22], v[19:20]
	s_waitcnt_depctr 0xfff
	v_fma_f64 v[23:24], -v[19:20], v[21:22], 1.0
	v_fma_f64 v[21:22], v[21:22], v[23:24], v[21:22]
	s_delay_alu instid0(VALU_DEP_1) | instskip(NEXT) | instid1(VALU_DEP_1)
	v_fma_f64 v[23:24], -v[19:20], v[21:22], 1.0
	v_fma_f64 v[21:22], v[21:22], v[23:24], v[21:22]
	v_div_scale_f64 v[23:24], vcc_lo, v[17:18], v[13:14], v[17:18]
	s_delay_alu instid0(VALU_DEP_1) | instskip(NEXT) | instid1(VALU_DEP_1)
	v_mul_f64 v[26:27], v[23:24], v[21:22]
	v_fma_f64 v[19:20], -v[19:20], v[26:27], v[23:24]
	s_delay_alu instid0(VALU_DEP_1) | instskip(NEXT) | instid1(VALU_DEP_1)
	v_div_fmas_f64 v[19:20], v[19:20], v[21:22], v[26:27]
	v_div_fixup_f64 v[17:18], v[19:20], v[13:14], v[17:18]
                                        ; implicit-def: $vgpr13_vgpr14
	s_and_not1_saveexec_b32 s1, s1
	s_cbranch_execnz .LBB165_58
.LBB165_53:
	s_or_b32 exec_lo, exec_lo, s1
	s_and_saveexec_b32 s1, s0
	s_delay_alu instid0(SALU_CYCLE_1)
	s_xor_b32 s0, exec_lo, s1
	s_cbranch_execz .LBB165_59
.LBB165_54:
	s_and_saveexec_b32 s1, s14
; %bb.55:
	s_delay_alu instid0(VALU_DEP_2) | instskip(NEXT) | instid1(VALU_DEP_2)
	v_mul_f64 v[15:16], v[15:16], 0.5
	v_mul_f64 v[17:18], v[17:18], 0.5
; %bb.56:
	s_or_b32 exec_lo, exec_lo, s1
	s_and_not1_saveexec_b32 s0, s0
	s_cbranch_execnz .LBB165_60
	s_branch .LBB165_61
.LBB165_57:
	s_and_not1_saveexec_b32 s1, s1
	s_cbranch_execz .LBB165_53
.LBB165_58:
	v_add_f64 v[13:14], v[13:14], -v[15:16]
	s_delay_alu instid0(VALU_DEP_1) | instskip(NEXT) | instid1(VALU_DEP_1)
	v_mul_f64 v[13:14], v[13:14], 0.5
	v_cmp_gt_f64_e32 vcc_lo, 0x10000000, v[13:14]
	v_cndmask_b32_e64 v15, 0, 1, vcc_lo
	s_delay_alu instid0(VALU_DEP_1) | instskip(NEXT) | instid1(VALU_DEP_1)
	v_lshlrev_b32_e32 v15, 8, v15
	v_ldexp_f64 v[13:14], v[13:14], v15
	s_delay_alu instid0(VALU_DEP_1) | instskip(SKIP_3) | instid1(VALU_DEP_1)
	v_rsq_f64_e32 v[15:16], v[13:14]
	s_waitcnt_depctr 0xfff
	v_mul_f64 v[19:20], v[13:14], v[15:16]
	v_mul_f64 v[15:16], v[15:16], 0.5
	v_fma_f64 v[21:22], -v[15:16], v[19:20], 0.5
	s_delay_alu instid0(VALU_DEP_1) | instskip(SKIP_1) | instid1(VALU_DEP_2)
	v_fma_f64 v[19:20], v[19:20], v[21:22], v[19:20]
	v_fma_f64 v[15:16], v[15:16], v[21:22], v[15:16]
	v_fma_f64 v[21:22], -v[19:20], v[19:20], v[13:14]
	s_delay_alu instid0(VALU_DEP_1) | instskip(NEXT) | instid1(VALU_DEP_1)
	v_fma_f64 v[19:20], v[21:22], v[15:16], v[19:20]
	v_fma_f64 v[21:22], -v[19:20], v[19:20], v[13:14]
	s_delay_alu instid0(VALU_DEP_1) | instskip(SKIP_3) | instid1(VALU_DEP_3)
	v_fma_f64 v[15:16], v[21:22], v[15:16], v[19:20]
	v_cndmask_b32_e64 v19, 0, 0xffffff80, vcc_lo
	v_cmp_class_f64_e64 vcc_lo, v[13:14], 0x260
	v_and_b32_e32 v20, 0x7fffffff, v18
	v_ldexp_f64 v[15:16], v[15:16], v19
	s_delay_alu instid0(VALU_DEP_1) | instskip(NEXT) | instid1(VALU_DEP_1)
	v_dual_cndmask_b32 v14, v16, v14 :: v_dual_cndmask_b32 v13, v15, v13
	v_add_f64 v[15:16], v[13:14], v[13:14]
	v_bfi_b32 v14, 0x7fffffff, v14, v18
	v_mov_b32_e32 v19, v17
	s_delay_alu instid0(VALU_DEP_1) | instskip(SKIP_1) | instid1(VALU_DEP_2)
	v_div_scale_f64 v[21:22], null, v[15:16], v[15:16], v[19:20]
	v_div_scale_f64 v[19:20], vcc_lo, v[19:20], v[15:16], v[19:20]
	v_rcp_f64_e32 v[23:24], v[21:22]
	s_waitcnt_depctr 0xfff
	v_fma_f64 v[26:27], -v[21:22], v[23:24], 1.0
	s_delay_alu instid0(VALU_DEP_1) | instskip(NEXT) | instid1(VALU_DEP_1)
	v_fma_f64 v[23:24], v[23:24], v[26:27], v[23:24]
	v_fma_f64 v[26:27], -v[21:22], v[23:24], 1.0
	s_delay_alu instid0(VALU_DEP_1) | instskip(NEXT) | instid1(VALU_DEP_1)
	v_fma_f64 v[23:24], v[23:24], v[26:27], v[23:24]
	v_mul_f64 v[26:27], v[19:20], v[23:24]
	s_delay_alu instid0(VALU_DEP_1) | instskip(NEXT) | instid1(VALU_DEP_1)
	v_fma_f64 v[19:20], -v[21:22], v[26:27], v[19:20]
	v_div_fmas_f64 v[19:20], v[19:20], v[23:24], v[26:27]
	s_delay_alu instid0(VALU_DEP_1) | instskip(SKIP_3) | instid1(SALU_CYCLE_1)
	v_div_fixup_f64 v[15:16], v[19:20], v[15:16], |v[17:18]|
	v_dual_mov_b32 v18, v14 :: v_dual_mov_b32 v17, v13
	s_or_b32 exec_lo, exec_lo, s1
	s_and_saveexec_b32 s1, s0
	s_xor_b32 s0, exec_lo, s1
	s_cbranch_execnz .LBB165_54
.LBB165_59:
	s_and_not1_saveexec_b32 s0, s0
.LBB165_60:
	s_delay_alu instid0(VALU_DEP_2) | instskip(NEXT) | instid1(VALU_DEP_2)
	v_add_f64 v[15:16], v[15:16], v[15:16]
	v_add_f64 v[17:18], v[17:18], v[17:18]
.LBB165_61:
	s_or_b32 exec_lo, exec_lo, s0
.LBB165_62:
	s_and_not1_saveexec_b32 s0, s13
	s_cbranch_execz .LBB165_68
; %bb.63:
	s_delay_alu instid0(VALU_DEP_1) | instskip(SKIP_1) | instid1(VALU_DEP_3)
	v_add_f64 v[13:14], v[17:18], -v[17:18]
	s_mov_b32 s1, exec_lo
	v_cmpx_lt_i64_e32 -1, v[15:16]
	s_xor_b32 s1, exec_lo, s1
; %bb.64:
	s_delay_alu instid0(VALU_DEP_2) | instskip(NEXT) | instid1(VALU_DEP_1)
	v_bfi_b32 v14, 0x7fffffff, v14, v18
	v_dual_mov_b32 v18, v14 :: v_dual_mov_b32 v17, v13
                                        ; implicit-def: $vgpr13_vgpr14
; %bb.65:
	s_and_not1_saveexec_b32 s1, s1
; %bb.66:
	s_delay_alu instid0(VALU_DEP_1) | instskip(SKIP_1) | instid1(VALU_DEP_2)
	v_bfi_b32 v16, 0x7fffffff, v16, v18
	v_and_b32_e32 v14, 0x7fffffff, v14
	v_dual_mov_b32 v18, v16 :: v_dual_mov_b32 v17, v15
	s_delay_alu instid0(VALU_DEP_2)
	v_dual_mov_b32 v16, v14 :: v_dual_mov_b32 v15, v13
; %bb.67:
	s_or_b32 exec_lo, exec_lo, s1
.LBB165_68:
	s_delay_alu instid0(SALU_CYCLE_1)
	s_or_b32 exec_lo, exec_lo, s0
.LBB165_69:
	s_and_not1_saveexec_b32 s0, s12
; %bb.70:
	s_delay_alu instid0(VALU_DEP_1) | instskip(NEXT) | instid1(VALU_DEP_1)
	v_add_f64 v[13:14], v[17:18], -v[17:18]
	v_div_scale_f64 v[17:18], vcc_lo, v[13:14], v[13:14], v[13:14]
	s_delay_alu instid0(VALU_DEP_1) | instskip(SKIP_2) | instid1(VALU_DEP_1)
	v_rcp_f64_e32 v[19:20], v[17:18]
	s_waitcnt_depctr 0xfff
	v_fma_f64 v[21:22], -v[17:18], v[19:20], 1.0
	v_fma_f64 v[19:20], v[19:20], v[21:22], v[19:20]
	s_delay_alu instid0(VALU_DEP_1) | instskip(NEXT) | instid1(VALU_DEP_1)
	v_fma_f64 v[21:22], -v[17:18], v[19:20], 1.0
	v_fma_f64 v[19:20], v[19:20], v[21:22], v[19:20]
	s_delay_alu instid0(VALU_DEP_1) | instskip(NEXT) | instid1(VALU_DEP_1)
	v_mul_f64 v[21:22], v[17:18], v[19:20]
	v_fma_f64 v[17:18], -v[17:18], v[21:22], v[17:18]
	s_delay_alu instid0(VALU_DEP_1) | instskip(NEXT) | instid1(VALU_DEP_1)
	v_div_fmas_f64 v[17:18], v[17:18], v[19:20], v[21:22]
	v_div_fixup_f64 v[17:18], v[17:18], v[13:14], v[13:14]
; %bb.71:
	s_or_b32 exec_lo, exec_lo, s0
	v_dual_mov_b32 v20, v16 :: v_dual_mov_b32 v19, v15
.LBB165_72:
	s_or_b32 exec_lo, exec_lo, s11
.LBB165_73:
	s_delay_alu instid0(SALU_CYCLE_1) | instskip(NEXT) | instid1(VALU_DEP_1)
	s_or_b32 exec_lo, exec_lo, s9
	v_cmp_gt_f64_e32 vcc_lo, 0, v[19:20]
	s_delay_alu instid0(VALU_DEP_3) | instskip(SKIP_2) | instid1(VALU_DEP_2)
	v_cmp_gt_f64_e64 s0, 0, v[17:18]
	v_xor_b32_e32 v13, 0x80000000, v20
	v_xor_b32_e32 v14, 0x80000000, v18
                                        ; implicit-def: $vgpr15_vgpr16
	v_dual_cndmask_b32 v22, v20, v13 :: v_dual_cndmask_b32 v21, v19, v19
	s_delay_alu instid0(VALU_DEP_2) | instskip(SKIP_2) | instid1(VALU_DEP_1)
	v_cndmask_b32_e64 v24, v18, v14, s0
	v_cndmask_b32_e64 v23, v17, v17, s0
	s_mov_b32 s0, exec_lo
	v_cmpx_ge_f64_e32 v[21:22], v[23:24]
	s_xor_b32 s1, exec_lo, s0
	s_cbranch_execz .LBB165_79
; %bb.74:
	v_cmp_neq_f64_e32 vcc_lo, 0, v[19:20]
	v_cmp_neq_f64_e64 s0, 0, v[17:18]
                                        ; implicit-def: $vgpr15_vgpr16
	s_delay_alu instid0(VALU_DEP_1) | instskip(NEXT) | instid1(SALU_CYCLE_1)
	s_or_b32 s0, vcc_lo, s0
	s_and_saveexec_b32 s9, s0
	s_delay_alu instid0(SALU_CYCLE_1)
	s_xor_b32 s0, exec_lo, s9
	s_cbranch_execz .LBB165_76
; %bb.75:
	v_div_scale_f64 v[13:14], null, v[19:20], v[19:20], v[17:18]
	v_div_scale_f64 v[23:24], vcc_lo, v[17:18], v[19:20], v[17:18]
	s_delay_alu instid0(VALU_DEP_2) | instskip(SKIP_2) | instid1(VALU_DEP_1)
	v_rcp_f64_e32 v[15:16], v[13:14]
	s_waitcnt_depctr 0xfff
	v_fma_f64 v[21:22], -v[13:14], v[15:16], 1.0
	v_fma_f64 v[15:16], v[15:16], v[21:22], v[15:16]
	s_delay_alu instid0(VALU_DEP_1) | instskip(NEXT) | instid1(VALU_DEP_1)
	v_fma_f64 v[21:22], -v[13:14], v[15:16], 1.0
	v_fma_f64 v[15:16], v[15:16], v[21:22], v[15:16]
	s_delay_alu instid0(VALU_DEP_1) | instskip(NEXT) | instid1(VALU_DEP_1)
	v_mul_f64 v[21:22], v[23:24], v[15:16]
	v_fma_f64 v[13:14], -v[13:14], v[21:22], v[23:24]
	s_delay_alu instid0(VALU_DEP_1) | instskip(NEXT) | instid1(VALU_DEP_1)
	v_div_fmas_f64 v[13:14], v[13:14], v[15:16], v[21:22]
	v_div_fixup_f64 v[13:14], v[13:14], v[19:20], v[17:18]
	s_delay_alu instid0(VALU_DEP_1) | instskip(NEXT) | instid1(VALU_DEP_1)
	v_fma_f64 v[15:16], v[17:18], v[13:14], v[19:20]
	v_div_scale_f64 v[17:18], null, v[15:16], v[15:16], 1.0
	v_div_scale_f64 v[23:24], vcc_lo, 1.0, v[15:16], 1.0
	s_delay_alu instid0(VALU_DEP_2) | instskip(SKIP_2) | instid1(VALU_DEP_1)
	v_rcp_f64_e32 v[19:20], v[17:18]
	s_waitcnt_depctr 0xfff
	v_fma_f64 v[21:22], -v[17:18], v[19:20], 1.0
	v_fma_f64 v[19:20], v[19:20], v[21:22], v[19:20]
	s_delay_alu instid0(VALU_DEP_1) | instskip(NEXT) | instid1(VALU_DEP_1)
	v_fma_f64 v[21:22], -v[17:18], v[19:20], 1.0
	v_fma_f64 v[19:20], v[19:20], v[21:22], v[19:20]
	s_delay_alu instid0(VALU_DEP_1) | instskip(NEXT) | instid1(VALU_DEP_1)
	v_mul_f64 v[21:22], v[23:24], v[19:20]
	v_fma_f64 v[17:18], -v[17:18], v[21:22], v[23:24]
                                        ; implicit-def: $vgpr23_vgpr24
	s_delay_alu instid0(VALU_DEP_1) | instskip(SKIP_1) | instid1(VALU_DEP_2)
	v_div_fmas_f64 v[17:18], v[17:18], v[19:20], v[21:22]
	v_fma_f64 v[19:20], v[13:14], 0, 1.0
                                        ; implicit-def: $vgpr21_vgpr22
	v_div_fixup_f64 v[15:16], v[17:18], v[15:16], 1.0
	v_add_f64 v[17:18], -v[13:14], 0
	s_delay_alu instid0(VALU_DEP_2) | instskip(NEXT) | instid1(VALU_DEP_2)
	v_mul_f64 v[13:14], v[19:20], v[15:16]
	v_mul_f64 v[15:16], v[17:18], v[15:16]
.LBB165_76:
	s_and_not1_saveexec_b32 s9, s0
	s_cbranch_execz .LBB165_78
; %bb.77:
	v_div_scale_f64 v[13:14], null, v[21:22], v[21:22], 1.0
	v_div_scale_f64 v[15:16], null, v[23:24], v[23:24], 0
	v_div_scale_f64 v[30:31], vcc_lo, 1.0, v[21:22], 1.0
	s_delay_alu instid0(VALU_DEP_3) | instskip(NEXT) | instid1(VALU_DEP_2)
	v_rcp_f64_e32 v[17:18], v[13:14]
	v_rcp_f64_e32 v[19:20], v[15:16]
	s_waitcnt_depctr 0xfff
	v_fma_f64 v[26:27], -v[13:14], v[17:18], 1.0
	v_fma_f64 v[28:29], -v[15:16], v[19:20], 1.0
	s_delay_alu instid0(VALU_DEP_2) | instskip(NEXT) | instid1(VALU_DEP_2)
	v_fma_f64 v[17:18], v[17:18], v[26:27], v[17:18]
	v_fma_f64 v[19:20], v[19:20], v[28:29], v[19:20]
	s_delay_alu instid0(VALU_DEP_2) | instskip(NEXT) | instid1(VALU_DEP_2)
	v_fma_f64 v[26:27], -v[13:14], v[17:18], 1.0
	v_fma_f64 v[28:29], -v[15:16], v[19:20], 1.0
	s_delay_alu instid0(VALU_DEP_2) | instskip(SKIP_1) | instid1(VALU_DEP_3)
	v_fma_f64 v[17:18], v[17:18], v[26:27], v[17:18]
	v_div_scale_f64 v[26:27], s0, 0, v[23:24], 0
	v_fma_f64 v[19:20], v[19:20], v[28:29], v[19:20]
	s_delay_alu instid0(VALU_DEP_3) | instskip(NEXT) | instid1(VALU_DEP_2)
	v_mul_f64 v[28:29], v[30:31], v[17:18]
	v_mul_f64 v[32:33], v[26:27], v[19:20]
	s_delay_alu instid0(VALU_DEP_2) | instskip(NEXT) | instid1(VALU_DEP_2)
	v_fma_f64 v[13:14], -v[13:14], v[28:29], v[30:31]
	v_fma_f64 v[15:16], -v[15:16], v[32:33], v[26:27]
	s_delay_alu instid0(VALU_DEP_2) | instskip(SKIP_1) | instid1(VALU_DEP_2)
	v_div_fmas_f64 v[13:14], v[13:14], v[17:18], v[28:29]
	s_mov_b32 vcc_lo, s0
	v_div_fmas_f64 v[15:16], v[15:16], v[19:20], v[32:33]
	s_delay_alu instid0(VALU_DEP_2) | instskip(NEXT) | instid1(VALU_DEP_2)
	v_div_fixup_f64 v[13:14], v[13:14], v[21:22], 1.0
	v_div_fixup_f64 v[15:16], v[15:16], v[23:24], 0
.LBB165_78:
	s_or_b32 exec_lo, exec_lo, s9
                                        ; implicit-def: $vgpr17_vgpr18
                                        ; implicit-def: $vgpr19_vgpr20
.LBB165_79:
	s_and_not1_saveexec_b32 s0, s1
	s_cbranch_execz .LBB165_81
; %bb.80:
	v_div_scale_f64 v[13:14], null, v[17:18], v[17:18], v[19:20]
	v_div_scale_f64 v[23:24], vcc_lo, v[19:20], v[17:18], v[19:20]
	s_delay_alu instid0(VALU_DEP_2) | instskip(SKIP_2) | instid1(VALU_DEP_1)
	v_rcp_f64_e32 v[15:16], v[13:14]
	s_waitcnt_depctr 0xfff
	v_fma_f64 v[21:22], -v[13:14], v[15:16], 1.0
	v_fma_f64 v[15:16], v[15:16], v[21:22], v[15:16]
	s_delay_alu instid0(VALU_DEP_1) | instskip(NEXT) | instid1(VALU_DEP_1)
	v_fma_f64 v[21:22], -v[13:14], v[15:16], 1.0
	v_fma_f64 v[15:16], v[15:16], v[21:22], v[15:16]
	s_delay_alu instid0(VALU_DEP_1) | instskip(NEXT) | instid1(VALU_DEP_1)
	v_mul_f64 v[21:22], v[23:24], v[15:16]
	v_fma_f64 v[13:14], -v[13:14], v[21:22], v[23:24]
	s_delay_alu instid0(VALU_DEP_1) | instskip(NEXT) | instid1(VALU_DEP_1)
	v_div_fmas_f64 v[13:14], v[13:14], v[15:16], v[21:22]
	v_div_fixup_f64 v[13:14], v[13:14], v[17:18], v[19:20]
	s_delay_alu instid0(VALU_DEP_1) | instskip(NEXT) | instid1(VALU_DEP_1)
	v_fma_f64 v[15:16], v[19:20], v[13:14], v[17:18]
	v_div_scale_f64 v[17:18], null, v[15:16], v[15:16], 1.0
	v_div_scale_f64 v[23:24], vcc_lo, 1.0, v[15:16], 1.0
	s_delay_alu instid0(VALU_DEP_2) | instskip(SKIP_2) | instid1(VALU_DEP_1)
	v_rcp_f64_e32 v[19:20], v[17:18]
	s_waitcnt_depctr 0xfff
	v_fma_f64 v[21:22], -v[17:18], v[19:20], 1.0
	v_fma_f64 v[19:20], v[19:20], v[21:22], v[19:20]
	s_delay_alu instid0(VALU_DEP_1) | instskip(NEXT) | instid1(VALU_DEP_1)
	v_fma_f64 v[21:22], -v[17:18], v[19:20], 1.0
	v_fma_f64 v[19:20], v[19:20], v[21:22], v[19:20]
	s_delay_alu instid0(VALU_DEP_1) | instskip(NEXT) | instid1(VALU_DEP_1)
	v_mul_f64 v[21:22], v[23:24], v[19:20]
	v_fma_f64 v[17:18], -v[17:18], v[21:22], v[23:24]
	s_delay_alu instid0(VALU_DEP_1) | instskip(SKIP_1) | instid1(VALU_DEP_2)
	v_div_fmas_f64 v[17:18], v[17:18], v[19:20], v[21:22]
	v_add_f64 v[19:20], v[13:14], 0
	v_div_fixup_f64 v[15:16], v[17:18], v[15:16], 1.0
	v_fma_f64 v[17:18], v[13:14], 0, -1.0
	s_delay_alu instid0(VALU_DEP_2) | instskip(NEXT) | instid1(VALU_DEP_2)
	v_mul_f64 v[13:14], v[19:20], v[15:16]
	v_mul_f64 v[15:16], v[17:18], v[15:16]
.LBB165_81:
	s_or_b32 exec_lo, exec_lo, s0
	s_waitcnt vmcnt(1)
	v_cmp_neq_f64_e32 vcc_lo, 0, v[9:10]
	v_cmp_neq_f64_e64 s0, 0, v[11:12]
	v_mov_b32_e32 v21, 0
	v_mov_b32_e32 v22, 0
	s_delay_alu instid0(VALU_DEP_3) | instskip(NEXT) | instid1(SALU_CYCLE_1)
	s_or_b32 s0, vcc_lo, s0
	s_and_saveexec_b32 s9, s0
	s_cbranch_execz .LBB165_113
; %bb.82:
	s_mov_b32 s0, 0
	s_mov_b32 s1, 0x7ff00000
	v_mov_b32_e32 v21, s0
	v_mov_b32_e32 v22, s1
	s_mov_b32 s11, exec_lo
	v_cmpx_neq_f64_e64 0x7ff00000, |v[11:12]|
	s_cbranch_execz .LBB165_112
; %bb.83:
	s_mov_b32 s0, exec_lo
	v_cmpx_o_f64_e32 v[9:10], v[9:10]
	s_xor_b32 s12, exec_lo, s0
	s_cbranch_execz .LBB165_109
; %bb.84:
	s_mov_b32 s1, exec_lo
	v_cmpx_neq_f64_e64 0x7ff00000, |v[9:10]|
	s_xor_b32 s13, exec_lo, s1
	s_cbranch_execz .LBB165_102
; %bb.85:
	v_max_f64 v[17:18], |v[11:12]|, |v[11:12]|
	v_max_f64 v[19:20], |v[9:10]|, |v[9:10]|
	s_mov_b32 s0, 0x99fcef32
	s_mov_b32 s1, 0x7fda8279
                                        ; implicit-def: $sgpr14
	s_delay_alu instid0(VALU_DEP_1) | instskip(NEXT) | instid1(VALU_DEP_1)
	v_max_f64 v[17:18], v[19:20], v[17:18]
	v_cmp_nle_f64_e64 s0, s[0:1], v[17:18]
	s_delay_alu instid0(VALU_DEP_1) | instskip(NEXT) | instid1(SALU_CYCLE_1)
	s_and_saveexec_b32 s1, s0
	s_xor_b32 s1, exec_lo, s1
	s_cbranch_execz .LBB165_89
; %bb.86:
	v_cmp_ge_f64_e64 s14, 0x200000, |v[9:10]|
	v_cmp_ge_f64_e64 s15, 0x200000, |v[11:12]|
	s_delay_alu instid0(VALU_DEP_1)
	s_and_b32 s16, s14, s15
	s_mov_b32 s14, 0
	s_and_saveexec_b32 s15, s16
; %bb.87:
	v_mul_f64 v[9:10], v[9:10], 4.0
	v_mul_f64 v[11:12], v[11:12], 4.0
	s_mov_b32 s14, exec_lo
; %bb.88:
	s_or_b32 exec_lo, exec_lo, s15
	s_delay_alu instid0(SALU_CYCLE_1)
	s_and_b32 s14, s14, exec_lo
.LBB165_89:
	s_and_not1_saveexec_b32 s1, s1
; %bb.90:
	s_delay_alu instid0(VALU_DEP_2) | instskip(NEXT) | instid1(VALU_DEP_2)
	v_ldexp_f64 v[9:10], v[9:10], -2
	v_ldexp_f64 v[11:12], v[11:12], -2
	s_and_not1_b32 s14, s14, exec_lo
; %bb.91:
	s_or_b32 exec_lo, exec_lo, s1
	s_delay_alu instid0(VALU_DEP_1) | instskip(NEXT) | instid1(VALU_DEP_3)
	v_max_f64 v[17:18], |v[11:12]|, |v[11:12]|
	v_max_f64 v[19:20], |v[9:10]|, |v[9:10]|
	v_cmp_class_f64_e64 s15, v[9:10], 0x204
	v_cmp_class_f64_e64 s16, v[11:12], 0x204
	v_cmp_le_f64_e64 s1, 0, v[9:10]
	s_delay_alu instid0(VALU_DEP_4) | instskip(NEXT) | instid1(VALU_DEP_3)
	v_max_f64 v[17:18], v[19:20], v[17:18]
	s_or_b32 s15, s16, s15
	s_delay_alu instid0(VALU_DEP_1) | instskip(NEXT) | instid1(VALU_DEP_1)
	v_frexp_exp_i32_f64_e32 v26, v[17:18]
	v_sub_nc_u32_e32 v19, 0, v26
	s_delay_alu instid0(VALU_DEP_1) | instskip(SKIP_1) | instid1(VALU_DEP_2)
	v_ldexp_f64 v[17:18], |v[11:12]|, v19
	v_ldexp_f64 v[19:20], |v[9:10]|, v19
	v_mul_f64 v[17:18], v[17:18], v[17:18]
	s_delay_alu instid0(VALU_DEP_1) | instskip(NEXT) | instid1(VALU_DEP_1)
	v_fma_f64 v[17:18], v[19:20], v[19:20], v[17:18]
	v_rsq_f64_e32 v[19:20], v[17:18]
	v_cmp_eq_f64_e32 vcc_lo, 0, v[17:18]
	s_waitcnt_depctr 0xfff
	v_mul_f64 v[21:22], v[17:18], v[19:20]
	v_mul_f64 v[19:20], v[19:20], 0.5
	s_delay_alu instid0(VALU_DEP_1) | instskip(NEXT) | instid1(VALU_DEP_1)
	v_fma_f64 v[23:24], -v[19:20], v[21:22], 0.5
	v_fma_f64 v[21:22], v[21:22], v[23:24], v[21:22]
	v_fma_f64 v[19:20], v[19:20], v[23:24], v[19:20]
	s_delay_alu instid0(VALU_DEP_2) | instskip(NEXT) | instid1(VALU_DEP_1)
	v_fma_f64 v[23:24], -v[21:22], v[21:22], v[17:18]
	v_fma_f64 v[19:20], v[23:24], v[19:20], v[21:22]
	s_delay_alu instid0(VALU_DEP_1) | instskip(SKIP_1) | instid1(VALU_DEP_2)
	v_dual_cndmask_b32 v18, v20, v18 :: v_dual_cndmask_b32 v17, v19, v17
	v_cmp_o_f64_e32 vcc_lo, v[11:12], v[11:12]
	v_ldexp_f64 v[17:18], v[17:18], v26
	s_delay_alu instid0(VALU_DEP_1) | instskip(NEXT) | instid1(VALU_DEP_2)
	v_cndmask_b32_e32 v17, 0, v17, vcc_lo
	v_cndmask_b32_e32 v18, 0x7ff80000, v18, vcc_lo
	s_delay_alu instid0(VALU_DEP_2) | instskip(NEXT) | instid1(VALU_DEP_2)
	v_cndmask_b32_e64 v17, v17, 0, s15
	v_cndmask_b32_e64 v18, v18, 0x7ff00000, s15
	s_and_saveexec_b32 s15, s1
	s_delay_alu instid0(SALU_CYCLE_1)
	s_xor_b32 s1, exec_lo, s15
	s_cbranch_execz .LBB165_97
; %bb.92:
	s_delay_alu instid0(VALU_DEP_1) | instskip(NEXT) | instid1(VALU_DEP_1)
	v_add_f64 v[9:10], v[9:10], v[17:18]
	v_mul_f64 v[9:10], v[9:10], 0.5
	s_delay_alu instid0(VALU_DEP_1) | instskip(SKIP_1) | instid1(VALU_DEP_1)
	v_cmp_gt_f64_e32 vcc_lo, 0x10000000, v[9:10]
	v_cndmask_b32_e64 v17, 0, 1, vcc_lo
	v_lshlrev_b32_e32 v17, 8, v17
	s_delay_alu instid0(VALU_DEP_1) | instskip(NEXT) | instid1(VALU_DEP_1)
	v_ldexp_f64 v[9:10], v[9:10], v17
	v_rsq_f64_e32 v[17:18], v[9:10]
	s_waitcnt_depctr 0xfff
	v_mul_f64 v[19:20], v[9:10], v[17:18]
	v_mul_f64 v[17:18], v[17:18], 0.5
	s_delay_alu instid0(VALU_DEP_1) | instskip(NEXT) | instid1(VALU_DEP_1)
	v_fma_f64 v[21:22], -v[17:18], v[19:20], 0.5
	v_fma_f64 v[19:20], v[19:20], v[21:22], v[19:20]
	v_fma_f64 v[17:18], v[17:18], v[21:22], v[17:18]
	s_delay_alu instid0(VALU_DEP_2) | instskip(NEXT) | instid1(VALU_DEP_1)
	v_fma_f64 v[21:22], -v[19:20], v[19:20], v[9:10]
	v_fma_f64 v[19:20], v[21:22], v[17:18], v[19:20]
	s_delay_alu instid0(VALU_DEP_1) | instskip(NEXT) | instid1(VALU_DEP_1)
	v_fma_f64 v[21:22], -v[19:20], v[19:20], v[9:10]
	v_fma_f64 v[17:18], v[21:22], v[17:18], v[19:20]
	v_cndmask_b32_e64 v19, 0, 0xffffff80, vcc_lo
	v_cmp_class_f64_e64 vcc_lo, v[9:10], 0x260
	s_delay_alu instid0(VALU_DEP_2) | instskip(NEXT) | instid1(VALU_DEP_1)
	v_ldexp_f64 v[17:18], v[17:18], v19
	v_dual_cndmask_b32 v10, v18, v10 :: v_dual_cndmask_b32 v9, v17, v9
	s_delay_alu instid0(VALU_DEP_1) | instskip(NEXT) | instid1(VALU_DEP_1)
	v_add_f64 v[17:18], v[9:10], v[9:10]
	v_div_scale_f64 v[19:20], null, v[17:18], v[17:18], v[11:12]
	s_delay_alu instid0(VALU_DEP_1) | instskip(SKIP_2) | instid1(VALU_DEP_1)
	v_rcp_f64_e32 v[21:22], v[19:20]
	s_waitcnt_depctr 0xfff
	v_fma_f64 v[23:24], -v[19:20], v[21:22], 1.0
	v_fma_f64 v[21:22], v[21:22], v[23:24], v[21:22]
	s_delay_alu instid0(VALU_DEP_1) | instskip(NEXT) | instid1(VALU_DEP_1)
	v_fma_f64 v[23:24], -v[19:20], v[21:22], 1.0
	v_fma_f64 v[21:22], v[21:22], v[23:24], v[21:22]
	v_div_scale_f64 v[23:24], vcc_lo, v[11:12], v[17:18], v[11:12]
	s_delay_alu instid0(VALU_DEP_1) | instskip(NEXT) | instid1(VALU_DEP_1)
	v_mul_f64 v[26:27], v[23:24], v[21:22]
	v_fma_f64 v[19:20], -v[19:20], v[26:27], v[23:24]
	s_delay_alu instid0(VALU_DEP_1) | instskip(NEXT) | instid1(VALU_DEP_1)
	v_div_fmas_f64 v[19:20], v[19:20], v[21:22], v[26:27]
	v_div_fixup_f64 v[11:12], v[19:20], v[17:18], v[11:12]
                                        ; implicit-def: $vgpr17_vgpr18
	s_and_not1_saveexec_b32 s1, s1
	s_cbranch_execnz .LBB165_98
.LBB165_93:
	s_or_b32 exec_lo, exec_lo, s1
	s_and_saveexec_b32 s1, s0
	s_delay_alu instid0(SALU_CYCLE_1)
	s_xor_b32 s0, exec_lo, s1
	s_cbranch_execz .LBB165_99
.LBB165_94:
	s_and_saveexec_b32 s1, s14
; %bb.95:
	s_delay_alu instid0(VALU_DEP_2) | instskip(NEXT) | instid1(VALU_DEP_2)
	v_mul_f64 v[9:10], v[9:10], 0.5
	v_mul_f64 v[11:12], v[11:12], 0.5
; %bb.96:
	s_or_b32 exec_lo, exec_lo, s1
	s_and_not1_saveexec_b32 s0, s0
	s_cbranch_execnz .LBB165_100
	s_branch .LBB165_101
.LBB165_97:
	s_and_not1_saveexec_b32 s1, s1
	s_cbranch_execz .LBB165_93
.LBB165_98:
	v_add_f64 v[9:10], v[17:18], -v[9:10]
	s_delay_alu instid0(VALU_DEP_1) | instskip(NEXT) | instid1(VALU_DEP_1)
	v_mul_f64 v[9:10], v[9:10], 0.5
	v_cmp_gt_f64_e32 vcc_lo, 0x10000000, v[9:10]
	v_cndmask_b32_e64 v17, 0, 1, vcc_lo
	s_delay_alu instid0(VALU_DEP_1) | instskip(NEXT) | instid1(VALU_DEP_1)
	v_lshlrev_b32_e32 v17, 8, v17
	v_ldexp_f64 v[9:10], v[9:10], v17
	s_delay_alu instid0(VALU_DEP_1) | instskip(SKIP_3) | instid1(VALU_DEP_1)
	v_rsq_f64_e32 v[17:18], v[9:10]
	s_waitcnt_depctr 0xfff
	v_mul_f64 v[19:20], v[9:10], v[17:18]
	v_mul_f64 v[17:18], v[17:18], 0.5
	v_fma_f64 v[21:22], -v[17:18], v[19:20], 0.5
	s_delay_alu instid0(VALU_DEP_1) | instskip(SKIP_1) | instid1(VALU_DEP_2)
	v_fma_f64 v[19:20], v[19:20], v[21:22], v[19:20]
	v_fma_f64 v[17:18], v[17:18], v[21:22], v[17:18]
	v_fma_f64 v[21:22], -v[19:20], v[19:20], v[9:10]
	s_delay_alu instid0(VALU_DEP_1) | instskip(NEXT) | instid1(VALU_DEP_1)
	v_fma_f64 v[19:20], v[21:22], v[17:18], v[19:20]
	v_fma_f64 v[21:22], -v[19:20], v[19:20], v[9:10]
	s_delay_alu instid0(VALU_DEP_1) | instskip(SKIP_3) | instid1(VALU_DEP_3)
	v_fma_f64 v[17:18], v[21:22], v[17:18], v[19:20]
	v_cndmask_b32_e64 v19, 0, 0xffffff80, vcc_lo
	v_cmp_class_f64_e64 vcc_lo, v[9:10], 0x260
	v_and_b32_e32 v20, 0x7fffffff, v12
	v_ldexp_f64 v[17:18], v[17:18], v19
	s_delay_alu instid0(VALU_DEP_1) | instskip(NEXT) | instid1(VALU_DEP_1)
	v_dual_cndmask_b32 v18, v18, v10 :: v_dual_cndmask_b32 v17, v17, v9
	v_add_f64 v[9:10], v[17:18], v[17:18]
	v_bfi_b32 v18, 0x7fffffff, v18, v12
	v_mov_b32_e32 v19, v11
	s_delay_alu instid0(VALU_DEP_1) | instskip(SKIP_1) | instid1(VALU_DEP_2)
	v_div_scale_f64 v[21:22], null, v[9:10], v[9:10], v[19:20]
	v_div_scale_f64 v[19:20], vcc_lo, v[19:20], v[9:10], v[19:20]
	v_rcp_f64_e32 v[23:24], v[21:22]
	s_waitcnt_depctr 0xfff
	v_fma_f64 v[26:27], -v[21:22], v[23:24], 1.0
	s_delay_alu instid0(VALU_DEP_1) | instskip(NEXT) | instid1(VALU_DEP_1)
	v_fma_f64 v[23:24], v[23:24], v[26:27], v[23:24]
	v_fma_f64 v[26:27], -v[21:22], v[23:24], 1.0
	s_delay_alu instid0(VALU_DEP_1) | instskip(NEXT) | instid1(VALU_DEP_1)
	v_fma_f64 v[23:24], v[23:24], v[26:27], v[23:24]
	v_mul_f64 v[26:27], v[19:20], v[23:24]
	s_delay_alu instid0(VALU_DEP_1) | instskip(NEXT) | instid1(VALU_DEP_1)
	v_fma_f64 v[19:20], -v[21:22], v[26:27], v[19:20]
	v_div_fmas_f64 v[19:20], v[19:20], v[23:24], v[26:27]
	s_delay_alu instid0(VALU_DEP_1) | instskip(SKIP_3) | instid1(SALU_CYCLE_1)
	v_div_fixup_f64 v[9:10], v[19:20], v[9:10], |v[11:12]|
	v_dual_mov_b32 v11, v17 :: v_dual_mov_b32 v12, v18
	s_or_b32 exec_lo, exec_lo, s1
	s_and_saveexec_b32 s1, s0
	s_xor_b32 s0, exec_lo, s1
	s_cbranch_execnz .LBB165_94
.LBB165_99:
	s_and_not1_saveexec_b32 s0, s0
.LBB165_100:
	s_delay_alu instid0(VALU_DEP_2) | instskip(NEXT) | instid1(VALU_DEP_2)
	v_add_f64 v[9:10], v[9:10], v[9:10]
	v_add_f64 v[11:12], v[11:12], v[11:12]
.LBB165_101:
	s_or_b32 exec_lo, exec_lo, s0
.LBB165_102:
	s_and_not1_saveexec_b32 s0, s13
	s_cbranch_execz .LBB165_108
; %bb.103:
	s_delay_alu instid0(VALU_DEP_1) | instskip(SKIP_1) | instid1(VALU_DEP_3)
	v_add_f64 v[17:18], v[11:12], -v[11:12]
	s_mov_b32 s1, exec_lo
	v_cmpx_lt_i64_e32 -1, v[9:10]
	s_xor_b32 s1, exec_lo, s1
; %bb.104:
	s_delay_alu instid0(VALU_DEP_2) | instskip(NEXT) | instid1(VALU_DEP_1)
	v_bfi_b32 v18, 0x7fffffff, v18, v12
	v_dual_mov_b32 v11, v17 :: v_dual_mov_b32 v12, v18
                                        ; implicit-def: $vgpr17_vgpr18
; %bb.105:
	s_and_not1_saveexec_b32 s1, s1
; %bb.106:
	s_delay_alu instid0(VALU_DEP_1) | instskip(SKIP_1) | instid1(VALU_DEP_2)
	v_bfi_b32 v10, 0x7fffffff, v10, v12
	v_and_b32_e32 v18, 0x7fffffff, v18
	v_dual_mov_b32 v12, v10 :: v_dual_mov_b32 v11, v9
	s_delay_alu instid0(VALU_DEP_2)
	v_dual_mov_b32 v9, v17 :: v_dual_mov_b32 v10, v18
; %bb.107:
	s_or_b32 exec_lo, exec_lo, s1
.LBB165_108:
	s_delay_alu instid0(SALU_CYCLE_1)
	s_or_b32 exec_lo, exec_lo, s0
.LBB165_109:
	s_and_not1_saveexec_b32 s0, s12
; %bb.110:
	s_delay_alu instid0(VALU_DEP_1) | instskip(NEXT) | instid1(VALU_DEP_1)
	v_add_f64 v[11:12], v[11:12], -v[11:12]
	v_div_scale_f64 v[17:18], vcc_lo, v[11:12], v[11:12], v[11:12]
	s_delay_alu instid0(VALU_DEP_1) | instskip(SKIP_2) | instid1(VALU_DEP_1)
	v_rcp_f64_e32 v[19:20], v[17:18]
	s_waitcnt_depctr 0xfff
	v_fma_f64 v[21:22], -v[17:18], v[19:20], 1.0
	v_fma_f64 v[19:20], v[19:20], v[21:22], v[19:20]
	s_delay_alu instid0(VALU_DEP_1) | instskip(NEXT) | instid1(VALU_DEP_1)
	v_fma_f64 v[21:22], -v[17:18], v[19:20], 1.0
	v_fma_f64 v[19:20], v[19:20], v[21:22], v[19:20]
	s_delay_alu instid0(VALU_DEP_1) | instskip(NEXT) | instid1(VALU_DEP_1)
	v_mul_f64 v[21:22], v[17:18], v[19:20]
	v_fma_f64 v[17:18], -v[17:18], v[21:22], v[17:18]
	s_delay_alu instid0(VALU_DEP_1) | instskip(NEXT) | instid1(VALU_DEP_1)
	v_div_fmas_f64 v[17:18], v[17:18], v[19:20], v[21:22]
	v_div_fixup_f64 v[11:12], v[17:18], v[11:12], v[11:12]
; %bb.111:
	s_or_b32 exec_lo, exec_lo, s0
	v_dual_mov_b32 v22, v10 :: v_dual_mov_b32 v21, v9
.LBB165_112:
	s_or_b32 exec_lo, exec_lo, s11
.LBB165_113:
	s_delay_alu instid0(SALU_CYCLE_1) | instskip(NEXT) | instid1(VALU_DEP_1)
	s_or_b32 exec_lo, exec_lo, s9
	v_cmp_gt_f64_e32 vcc_lo, 0, v[21:22]
	s_delay_alu instid0(VALU_DEP_3) | instskip(SKIP_2) | instid1(VALU_DEP_2)
	v_cmp_gt_f64_e64 s0, 0, v[11:12]
	v_xor_b32_e32 v9, 0x80000000, v22
	v_xor_b32_e32 v17, 0x80000000, v12
                                        ; implicit-def: $vgpr19_vgpr20
	v_cndmask_b32_e32 v10, v22, v9, vcc_lo
	s_delay_alu instid0(VALU_DEP_2) | instskip(SKIP_3) | instid1(VALU_DEP_1)
	v_cndmask_b32_e64 v24, v12, v17, s0
	v_cndmask_b32_e32 v9, v21, v21, vcc_lo
	v_cndmask_b32_e64 v23, v11, v11, s0
	s_mov_b32 s0, exec_lo
	v_cmpx_ge_f64_e32 v[9:10], v[23:24]
	s_xor_b32 s1, exec_lo, s0
	s_cbranch_execz .LBB165_119
; %bb.114:
	v_cmp_neq_f64_e32 vcc_lo, 0, v[21:22]
	v_cmp_neq_f64_e64 s0, 0, v[11:12]
                                        ; implicit-def: $vgpr19_vgpr20
	s_delay_alu instid0(VALU_DEP_1) | instskip(NEXT) | instid1(SALU_CYCLE_1)
	s_or_b32 s0, vcc_lo, s0
	s_and_saveexec_b32 s9, s0
	s_delay_alu instid0(SALU_CYCLE_1)
	s_xor_b32 s0, exec_lo, s9
	s_cbranch_execz .LBB165_116
; %bb.115:
	v_div_scale_f64 v[9:10], null, v[21:22], v[21:22], v[11:12]
	v_div_scale_f64 v[23:24], vcc_lo, v[11:12], v[21:22], v[11:12]
	s_delay_alu instid0(VALU_DEP_2) | instskip(SKIP_2) | instid1(VALU_DEP_1)
	v_rcp_f64_e32 v[17:18], v[9:10]
	s_waitcnt_depctr 0xfff
	v_fma_f64 v[19:20], -v[9:10], v[17:18], 1.0
	v_fma_f64 v[17:18], v[17:18], v[19:20], v[17:18]
	s_delay_alu instid0(VALU_DEP_1) | instskip(NEXT) | instid1(VALU_DEP_1)
	v_fma_f64 v[19:20], -v[9:10], v[17:18], 1.0
	v_fma_f64 v[17:18], v[17:18], v[19:20], v[17:18]
	s_delay_alu instid0(VALU_DEP_1) | instskip(NEXT) | instid1(VALU_DEP_1)
	v_mul_f64 v[19:20], v[23:24], v[17:18]
	v_fma_f64 v[9:10], -v[9:10], v[19:20], v[23:24]
	s_delay_alu instid0(VALU_DEP_1) | instskip(NEXT) | instid1(VALU_DEP_1)
	v_div_fmas_f64 v[9:10], v[9:10], v[17:18], v[19:20]
	v_div_fixup_f64 v[9:10], v[9:10], v[21:22], v[11:12]
	s_delay_alu instid0(VALU_DEP_1) | instskip(NEXT) | instid1(VALU_DEP_1)
	v_fma_f64 v[11:12], v[11:12], v[9:10], v[21:22]
	v_div_scale_f64 v[17:18], null, v[11:12], v[11:12], 1.0
	v_div_scale_f64 v[23:24], vcc_lo, 1.0, v[11:12], 1.0
	s_delay_alu instid0(VALU_DEP_2) | instskip(SKIP_2) | instid1(VALU_DEP_1)
	v_rcp_f64_e32 v[19:20], v[17:18]
	s_waitcnt_depctr 0xfff
	v_fma_f64 v[21:22], -v[17:18], v[19:20], 1.0
	v_fma_f64 v[19:20], v[19:20], v[21:22], v[19:20]
	s_delay_alu instid0(VALU_DEP_1) | instskip(NEXT) | instid1(VALU_DEP_1)
	v_fma_f64 v[21:22], -v[17:18], v[19:20], 1.0
	v_fma_f64 v[19:20], v[19:20], v[21:22], v[19:20]
	s_delay_alu instid0(VALU_DEP_1) | instskip(NEXT) | instid1(VALU_DEP_1)
	v_mul_f64 v[21:22], v[23:24], v[19:20]
	v_fma_f64 v[17:18], -v[17:18], v[21:22], v[23:24]
                                        ; implicit-def: $vgpr23_vgpr24
	s_delay_alu instid0(VALU_DEP_1) | instskip(SKIP_2) | instid1(VALU_DEP_3)
	v_div_fmas_f64 v[17:18], v[17:18], v[19:20], v[21:22]
	v_fma_f64 v[19:20], v[9:10], 0, 1.0
	v_add_f64 v[9:10], -v[9:10], 0
	v_div_fixup_f64 v[11:12], v[17:18], v[11:12], 1.0
	s_delay_alu instid0(VALU_DEP_1) | instskip(NEXT) | instid1(VALU_DEP_3)
	v_mul_f64 v[17:18], v[19:20], v[11:12]
	v_mul_f64 v[19:20], v[9:10], v[11:12]
                                        ; implicit-def: $vgpr9_vgpr10
.LBB165_116:
	s_and_not1_saveexec_b32 s9, s0
	s_cbranch_execz .LBB165_118
; %bb.117:
	v_div_scale_f64 v[11:12], null, v[9:10], v[9:10], 1.0
	v_div_scale_f64 v[17:18], null, v[23:24], v[23:24], 0
	v_div_scale_f64 v[30:31], vcc_lo, 1.0, v[9:10], 1.0
	s_delay_alu instid0(VALU_DEP_3) | instskip(NEXT) | instid1(VALU_DEP_2)
	v_rcp_f64_e32 v[19:20], v[11:12]
	v_rcp_f64_e32 v[21:22], v[17:18]
	s_waitcnt_depctr 0xfff
	v_fma_f64 v[26:27], -v[11:12], v[19:20], 1.0
	v_fma_f64 v[28:29], -v[17:18], v[21:22], 1.0
	s_delay_alu instid0(VALU_DEP_2) | instskip(NEXT) | instid1(VALU_DEP_2)
	v_fma_f64 v[19:20], v[19:20], v[26:27], v[19:20]
	v_fma_f64 v[21:22], v[21:22], v[28:29], v[21:22]
	s_delay_alu instid0(VALU_DEP_2) | instskip(NEXT) | instid1(VALU_DEP_2)
	v_fma_f64 v[26:27], -v[11:12], v[19:20], 1.0
	v_fma_f64 v[28:29], -v[17:18], v[21:22], 1.0
	s_delay_alu instid0(VALU_DEP_2) | instskip(SKIP_1) | instid1(VALU_DEP_3)
	v_fma_f64 v[19:20], v[19:20], v[26:27], v[19:20]
	v_div_scale_f64 v[26:27], s0, 0, v[23:24], 0
	v_fma_f64 v[21:22], v[21:22], v[28:29], v[21:22]
	s_delay_alu instid0(VALU_DEP_3) | instskip(NEXT) | instid1(VALU_DEP_2)
	v_mul_f64 v[28:29], v[30:31], v[19:20]
	v_mul_f64 v[32:33], v[26:27], v[21:22]
	s_delay_alu instid0(VALU_DEP_2) | instskip(NEXT) | instid1(VALU_DEP_2)
	v_fma_f64 v[11:12], -v[11:12], v[28:29], v[30:31]
	v_fma_f64 v[17:18], -v[17:18], v[32:33], v[26:27]
	s_delay_alu instid0(VALU_DEP_2) | instskip(SKIP_1) | instid1(VALU_DEP_2)
	v_div_fmas_f64 v[11:12], v[11:12], v[19:20], v[28:29]
	s_mov_b32 vcc_lo, s0
	v_div_fmas_f64 v[19:20], v[17:18], v[21:22], v[32:33]
	s_delay_alu instid0(VALU_DEP_2) | instskip(NEXT) | instid1(VALU_DEP_2)
	v_div_fixup_f64 v[17:18], v[11:12], v[9:10], 1.0
	v_div_fixup_f64 v[19:20], v[19:20], v[23:24], 0
.LBB165_118:
	s_or_b32 exec_lo, exec_lo, s9
                                        ; implicit-def: $vgpr11_vgpr12
                                        ; implicit-def: $vgpr21_vgpr22
.LBB165_119:
	s_and_not1_saveexec_b32 s0, s1
	s_cbranch_execz .LBB165_121
; %bb.120:
	v_div_scale_f64 v[9:10], null, v[11:12], v[11:12], v[21:22]
	v_div_scale_f64 v[23:24], vcc_lo, v[21:22], v[11:12], v[21:22]
	s_delay_alu instid0(VALU_DEP_2) | instskip(SKIP_2) | instid1(VALU_DEP_1)
	v_rcp_f64_e32 v[17:18], v[9:10]
	s_waitcnt_depctr 0xfff
	v_fma_f64 v[19:20], -v[9:10], v[17:18], 1.0
	v_fma_f64 v[17:18], v[17:18], v[19:20], v[17:18]
	s_delay_alu instid0(VALU_DEP_1) | instskip(NEXT) | instid1(VALU_DEP_1)
	v_fma_f64 v[19:20], -v[9:10], v[17:18], 1.0
	v_fma_f64 v[17:18], v[17:18], v[19:20], v[17:18]
	s_delay_alu instid0(VALU_DEP_1) | instskip(NEXT) | instid1(VALU_DEP_1)
	v_mul_f64 v[19:20], v[23:24], v[17:18]
	v_fma_f64 v[9:10], -v[9:10], v[19:20], v[23:24]
	s_delay_alu instid0(VALU_DEP_1) | instskip(NEXT) | instid1(VALU_DEP_1)
	v_div_fmas_f64 v[9:10], v[9:10], v[17:18], v[19:20]
	v_div_fixup_f64 v[9:10], v[9:10], v[11:12], v[21:22]
	s_delay_alu instid0(VALU_DEP_1) | instskip(NEXT) | instid1(VALU_DEP_1)
	v_fma_f64 v[11:12], v[21:22], v[9:10], v[11:12]
	v_div_scale_f64 v[17:18], null, v[11:12], v[11:12], 1.0
	v_div_scale_f64 v[23:24], vcc_lo, 1.0, v[11:12], 1.0
	s_delay_alu instid0(VALU_DEP_2) | instskip(SKIP_2) | instid1(VALU_DEP_1)
	v_rcp_f64_e32 v[19:20], v[17:18]
	s_waitcnt_depctr 0xfff
	v_fma_f64 v[21:22], -v[17:18], v[19:20], 1.0
	v_fma_f64 v[19:20], v[19:20], v[21:22], v[19:20]
	s_delay_alu instid0(VALU_DEP_1) | instskip(NEXT) | instid1(VALU_DEP_1)
	v_fma_f64 v[21:22], -v[17:18], v[19:20], 1.0
	v_fma_f64 v[19:20], v[19:20], v[21:22], v[19:20]
	s_delay_alu instid0(VALU_DEP_1) | instskip(NEXT) | instid1(VALU_DEP_1)
	v_mul_f64 v[21:22], v[23:24], v[19:20]
	v_fma_f64 v[17:18], -v[17:18], v[21:22], v[23:24]
	s_delay_alu instid0(VALU_DEP_1) | instskip(SKIP_2) | instid1(VALU_DEP_3)
	v_div_fmas_f64 v[17:18], v[17:18], v[19:20], v[21:22]
	v_add_f64 v[19:20], v[9:10], 0
	v_fma_f64 v[9:10], v[9:10], 0, -1.0
	v_div_fixup_f64 v[11:12], v[17:18], v[11:12], 1.0
	s_delay_alu instid0(VALU_DEP_1) | instskip(NEXT) | instid1(VALU_DEP_3)
	v_mul_f64 v[17:18], v[19:20], v[11:12]
	v_mul_f64 v[19:20], v[9:10], v[11:12]
.LBB165_121:
	s_or_b32 exec_lo, exec_lo, s0
	s_waitcnt vmcnt(0)
	v_cmp_neq_f64_e32 vcc_lo, 0, v[1:2]
	v_cmp_neq_f64_e64 s0, 0, v[3:4]
	v_mov_b32_e32 v21, 0
	v_mov_b32_e32 v22, 0
	s_delay_alu instid0(VALU_DEP_3) | instskip(NEXT) | instid1(SALU_CYCLE_1)
	s_or_b32 s0, vcc_lo, s0
	s_and_saveexec_b32 s9, s0
	s_cbranch_execz .LBB165_153
; %bb.122:
	s_mov_b32 s0, 0
	s_mov_b32 s1, 0x7ff00000
	v_mov_b32_e32 v21, s0
	v_mov_b32_e32 v22, s1
	s_mov_b32 s11, exec_lo
	v_cmpx_neq_f64_e64 0x7ff00000, |v[3:4]|
	s_cbranch_execz .LBB165_152
; %bb.123:
	s_mov_b32 s0, exec_lo
	v_cmpx_o_f64_e32 v[1:2], v[1:2]
	s_xor_b32 s12, exec_lo, s0
	s_cbranch_execz .LBB165_149
; %bb.124:
	s_mov_b32 s1, exec_lo
	v_cmpx_neq_f64_e64 0x7ff00000, |v[1:2]|
	s_xor_b32 s13, exec_lo, s1
	s_cbranch_execz .LBB165_142
; %bb.125:
	v_max_f64 v[9:10], |v[3:4]|, |v[3:4]|
	v_max_f64 v[11:12], |v[1:2]|, |v[1:2]|
	s_mov_b32 s0, 0x99fcef32
	s_mov_b32 s1, 0x7fda8279
                                        ; implicit-def: $sgpr14
	s_delay_alu instid0(VALU_DEP_1) | instskip(NEXT) | instid1(VALU_DEP_1)
	v_max_f64 v[9:10], v[11:12], v[9:10]
	v_cmp_nle_f64_e64 s0, s[0:1], v[9:10]
	s_delay_alu instid0(VALU_DEP_1) | instskip(NEXT) | instid1(SALU_CYCLE_1)
	s_and_saveexec_b32 s1, s0
	s_xor_b32 s1, exec_lo, s1
	s_cbranch_execz .LBB165_129
; %bb.126:
	v_cmp_ge_f64_e64 s14, 0x200000, |v[1:2]|
	v_cmp_ge_f64_e64 s15, 0x200000, |v[3:4]|
	s_delay_alu instid0(VALU_DEP_1)
	s_and_b32 s16, s14, s15
	s_mov_b32 s14, 0
	s_and_saveexec_b32 s15, s16
; %bb.127:
	v_mul_f64 v[1:2], v[1:2], 4.0
	v_mul_f64 v[3:4], v[3:4], 4.0
	s_mov_b32 s14, exec_lo
; %bb.128:
	s_or_b32 exec_lo, exec_lo, s15
	s_delay_alu instid0(SALU_CYCLE_1)
	s_and_b32 s14, s14, exec_lo
.LBB165_129:
	s_and_not1_saveexec_b32 s1, s1
; %bb.130:
	s_delay_alu instid0(VALU_DEP_2) | instskip(NEXT) | instid1(VALU_DEP_2)
	v_ldexp_f64 v[1:2], v[1:2], -2
	v_ldexp_f64 v[3:4], v[3:4], -2
	s_and_not1_b32 s14, s14, exec_lo
; %bb.131:
	s_or_b32 exec_lo, exec_lo, s1
	s_delay_alu instid0(VALU_DEP_1) | instskip(NEXT) | instid1(VALU_DEP_3)
	v_max_f64 v[9:10], |v[3:4]|, |v[3:4]|
	v_max_f64 v[11:12], |v[1:2]|, |v[1:2]|
	v_cmp_class_f64_e64 s15, v[1:2], 0x204
	v_cmp_class_f64_e64 s16, v[3:4], 0x204
	v_cmp_le_f64_e64 s1, 0, v[1:2]
	s_delay_alu instid0(VALU_DEP_4) | instskip(NEXT) | instid1(VALU_DEP_3)
	v_max_f64 v[9:10], v[11:12], v[9:10]
	s_or_b32 s15, s16, s15
	s_delay_alu instid0(VALU_DEP_1) | instskip(NEXT) | instid1(VALU_DEP_1)
	v_frexp_exp_i32_f64_e32 v26, v[9:10]
	v_sub_nc_u32_e32 v11, 0, v26
	s_delay_alu instid0(VALU_DEP_1) | instskip(SKIP_1) | instid1(VALU_DEP_2)
	v_ldexp_f64 v[9:10], |v[3:4]|, v11
	v_ldexp_f64 v[11:12], |v[1:2]|, v11
	v_mul_f64 v[9:10], v[9:10], v[9:10]
	s_delay_alu instid0(VALU_DEP_1) | instskip(NEXT) | instid1(VALU_DEP_1)
	v_fma_f64 v[9:10], v[11:12], v[11:12], v[9:10]
	v_rsq_f64_e32 v[11:12], v[9:10]
	v_cmp_eq_f64_e32 vcc_lo, 0, v[9:10]
	s_waitcnt_depctr 0xfff
	v_mul_f64 v[21:22], v[9:10], v[11:12]
	v_mul_f64 v[11:12], v[11:12], 0.5
	s_delay_alu instid0(VALU_DEP_1) | instskip(NEXT) | instid1(VALU_DEP_1)
	v_fma_f64 v[23:24], -v[11:12], v[21:22], 0.5
	v_fma_f64 v[21:22], v[21:22], v[23:24], v[21:22]
	v_fma_f64 v[11:12], v[11:12], v[23:24], v[11:12]
	s_delay_alu instid0(VALU_DEP_2) | instskip(NEXT) | instid1(VALU_DEP_1)
	v_fma_f64 v[23:24], -v[21:22], v[21:22], v[9:10]
	v_fma_f64 v[11:12], v[23:24], v[11:12], v[21:22]
	s_delay_alu instid0(VALU_DEP_1) | instskip(SKIP_1) | instid1(VALU_DEP_2)
	v_dual_cndmask_b32 v10, v12, v10 :: v_dual_cndmask_b32 v9, v11, v9
	v_cmp_o_f64_e32 vcc_lo, v[3:4], v[3:4]
	v_ldexp_f64 v[9:10], v[9:10], v26
	s_delay_alu instid0(VALU_DEP_1) | instskip(NEXT) | instid1(VALU_DEP_2)
	v_cndmask_b32_e32 v9, 0, v9, vcc_lo
	v_cndmask_b32_e32 v10, 0x7ff80000, v10, vcc_lo
	s_delay_alu instid0(VALU_DEP_2) | instskip(NEXT) | instid1(VALU_DEP_2)
	v_cndmask_b32_e64 v9, v9, 0, s15
	v_cndmask_b32_e64 v10, v10, 0x7ff00000, s15
	s_and_saveexec_b32 s15, s1
	s_delay_alu instid0(SALU_CYCLE_1)
	s_xor_b32 s1, exec_lo, s15
	s_cbranch_execz .LBB165_137
; %bb.132:
	s_delay_alu instid0(VALU_DEP_1) | instskip(NEXT) | instid1(VALU_DEP_1)
	v_add_f64 v[1:2], v[1:2], v[9:10]
	v_mul_f64 v[1:2], v[1:2], 0.5
	s_delay_alu instid0(VALU_DEP_1) | instskip(SKIP_1) | instid1(VALU_DEP_1)
	v_cmp_gt_f64_e32 vcc_lo, 0x10000000, v[1:2]
	v_cndmask_b32_e64 v9, 0, 1, vcc_lo
	v_lshlrev_b32_e32 v9, 8, v9
	s_delay_alu instid0(VALU_DEP_1) | instskip(NEXT) | instid1(VALU_DEP_1)
	v_ldexp_f64 v[1:2], v[1:2], v9
	v_rsq_f64_e32 v[9:10], v[1:2]
	s_waitcnt_depctr 0xfff
	v_mul_f64 v[11:12], v[1:2], v[9:10]
	v_mul_f64 v[9:10], v[9:10], 0.5
	s_delay_alu instid0(VALU_DEP_1) | instskip(NEXT) | instid1(VALU_DEP_1)
	v_fma_f64 v[21:22], -v[9:10], v[11:12], 0.5
	v_fma_f64 v[11:12], v[11:12], v[21:22], v[11:12]
	v_fma_f64 v[9:10], v[9:10], v[21:22], v[9:10]
	s_delay_alu instid0(VALU_DEP_2) | instskip(NEXT) | instid1(VALU_DEP_1)
	v_fma_f64 v[21:22], -v[11:12], v[11:12], v[1:2]
	v_fma_f64 v[11:12], v[21:22], v[9:10], v[11:12]
	s_delay_alu instid0(VALU_DEP_1) | instskip(NEXT) | instid1(VALU_DEP_1)
	v_fma_f64 v[21:22], -v[11:12], v[11:12], v[1:2]
	v_fma_f64 v[9:10], v[21:22], v[9:10], v[11:12]
	v_cndmask_b32_e64 v11, 0, 0xffffff80, vcc_lo
	v_cmp_class_f64_e64 vcc_lo, v[1:2], 0x260
	s_delay_alu instid0(VALU_DEP_2) | instskip(NEXT) | instid1(VALU_DEP_1)
	v_ldexp_f64 v[9:10], v[9:10], v11
	v_dual_cndmask_b32 v2, v10, v2 :: v_dual_cndmask_b32 v1, v9, v1
	s_delay_alu instid0(VALU_DEP_1) | instskip(NEXT) | instid1(VALU_DEP_1)
	v_add_f64 v[9:10], v[1:2], v[1:2]
	v_div_scale_f64 v[11:12], null, v[9:10], v[9:10], v[3:4]
	s_delay_alu instid0(VALU_DEP_1) | instskip(SKIP_2) | instid1(VALU_DEP_1)
	v_rcp_f64_e32 v[21:22], v[11:12]
	s_waitcnt_depctr 0xfff
	v_fma_f64 v[23:24], -v[11:12], v[21:22], 1.0
	v_fma_f64 v[21:22], v[21:22], v[23:24], v[21:22]
	s_delay_alu instid0(VALU_DEP_1) | instskip(NEXT) | instid1(VALU_DEP_1)
	v_fma_f64 v[23:24], -v[11:12], v[21:22], 1.0
	v_fma_f64 v[21:22], v[21:22], v[23:24], v[21:22]
	v_div_scale_f64 v[23:24], vcc_lo, v[3:4], v[9:10], v[3:4]
	s_delay_alu instid0(VALU_DEP_1) | instskip(NEXT) | instid1(VALU_DEP_1)
	v_mul_f64 v[26:27], v[23:24], v[21:22]
	v_fma_f64 v[11:12], -v[11:12], v[26:27], v[23:24]
	s_delay_alu instid0(VALU_DEP_1) | instskip(NEXT) | instid1(VALU_DEP_1)
	v_div_fmas_f64 v[11:12], v[11:12], v[21:22], v[26:27]
	v_div_fixup_f64 v[3:4], v[11:12], v[9:10], v[3:4]
                                        ; implicit-def: $vgpr9_vgpr10
	s_and_not1_saveexec_b32 s1, s1
	s_cbranch_execnz .LBB165_138
.LBB165_133:
	s_or_b32 exec_lo, exec_lo, s1
	s_and_saveexec_b32 s1, s0
	s_delay_alu instid0(SALU_CYCLE_1)
	s_xor_b32 s0, exec_lo, s1
	s_cbranch_execz .LBB165_139
.LBB165_134:
	s_and_saveexec_b32 s1, s14
; %bb.135:
	s_delay_alu instid0(VALU_DEP_2) | instskip(NEXT) | instid1(VALU_DEP_2)
	v_mul_f64 v[1:2], v[1:2], 0.5
	v_mul_f64 v[3:4], v[3:4], 0.5
; %bb.136:
	s_or_b32 exec_lo, exec_lo, s1
	s_and_not1_saveexec_b32 s0, s0
	s_cbranch_execnz .LBB165_140
	s_branch .LBB165_141
.LBB165_137:
	s_and_not1_saveexec_b32 s1, s1
	s_cbranch_execz .LBB165_133
.LBB165_138:
	v_add_f64 v[1:2], v[9:10], -v[1:2]
	s_delay_alu instid0(VALU_DEP_1) | instskip(NEXT) | instid1(VALU_DEP_1)
	v_mul_f64 v[1:2], v[1:2], 0.5
	v_cmp_gt_f64_e32 vcc_lo, 0x10000000, v[1:2]
	v_cndmask_b32_e64 v9, 0, 1, vcc_lo
	s_delay_alu instid0(VALU_DEP_1) | instskip(NEXT) | instid1(VALU_DEP_1)
	v_lshlrev_b32_e32 v9, 8, v9
	v_ldexp_f64 v[1:2], v[1:2], v9
	s_delay_alu instid0(VALU_DEP_1) | instskip(SKIP_3) | instid1(VALU_DEP_1)
	v_rsq_f64_e32 v[9:10], v[1:2]
	s_waitcnt_depctr 0xfff
	v_mul_f64 v[11:12], v[1:2], v[9:10]
	v_mul_f64 v[9:10], v[9:10], 0.5
	v_fma_f64 v[21:22], -v[9:10], v[11:12], 0.5
	s_delay_alu instid0(VALU_DEP_1) | instskip(SKIP_1) | instid1(VALU_DEP_2)
	v_fma_f64 v[11:12], v[11:12], v[21:22], v[11:12]
	v_fma_f64 v[9:10], v[9:10], v[21:22], v[9:10]
	v_fma_f64 v[21:22], -v[11:12], v[11:12], v[1:2]
	s_delay_alu instid0(VALU_DEP_1) | instskip(NEXT) | instid1(VALU_DEP_1)
	v_fma_f64 v[11:12], v[21:22], v[9:10], v[11:12]
	v_fma_f64 v[21:22], -v[11:12], v[11:12], v[1:2]
	s_delay_alu instid0(VALU_DEP_1) | instskip(SKIP_3) | instid1(VALU_DEP_3)
	v_fma_f64 v[9:10], v[21:22], v[9:10], v[11:12]
	v_cndmask_b32_e64 v11, 0, 0xffffff80, vcc_lo
	v_cmp_class_f64_e64 vcc_lo, v[1:2], 0x260
	v_and_b32_e32 v12, 0x7fffffff, v4
	v_ldexp_f64 v[9:10], v[9:10], v11
	s_delay_alu instid0(VALU_DEP_1) | instskip(NEXT) | instid1(VALU_DEP_1)
	v_dual_cndmask_b32 v10, v10, v2 :: v_dual_cndmask_b32 v9, v9, v1
	v_add_f64 v[1:2], v[9:10], v[9:10]
	v_bfi_b32 v10, 0x7fffffff, v10, v4
	v_mov_b32_e32 v11, v3
	s_delay_alu instid0(VALU_DEP_1) | instskip(SKIP_1) | instid1(VALU_DEP_2)
	v_div_scale_f64 v[21:22], null, v[1:2], v[1:2], v[11:12]
	v_div_scale_f64 v[11:12], vcc_lo, v[11:12], v[1:2], v[11:12]
	v_rcp_f64_e32 v[23:24], v[21:22]
	s_waitcnt_depctr 0xfff
	v_fma_f64 v[26:27], -v[21:22], v[23:24], 1.0
	s_delay_alu instid0(VALU_DEP_1) | instskip(NEXT) | instid1(VALU_DEP_1)
	v_fma_f64 v[23:24], v[23:24], v[26:27], v[23:24]
	v_fma_f64 v[26:27], -v[21:22], v[23:24], 1.0
	s_delay_alu instid0(VALU_DEP_1) | instskip(NEXT) | instid1(VALU_DEP_1)
	v_fma_f64 v[23:24], v[23:24], v[26:27], v[23:24]
	v_mul_f64 v[26:27], v[11:12], v[23:24]
	s_delay_alu instid0(VALU_DEP_1) | instskip(NEXT) | instid1(VALU_DEP_1)
	v_fma_f64 v[11:12], -v[21:22], v[26:27], v[11:12]
	v_div_fmas_f64 v[11:12], v[11:12], v[23:24], v[26:27]
	s_delay_alu instid0(VALU_DEP_1) | instskip(SKIP_3) | instid1(SALU_CYCLE_1)
	v_div_fixup_f64 v[1:2], v[11:12], v[1:2], |v[3:4]|
	v_dual_mov_b32 v3, v9 :: v_dual_mov_b32 v4, v10
	s_or_b32 exec_lo, exec_lo, s1
	s_and_saveexec_b32 s1, s0
	s_xor_b32 s0, exec_lo, s1
	s_cbranch_execnz .LBB165_134
.LBB165_139:
	s_and_not1_saveexec_b32 s0, s0
.LBB165_140:
	s_delay_alu instid0(VALU_DEP_2) | instskip(NEXT) | instid1(VALU_DEP_2)
	v_add_f64 v[1:2], v[1:2], v[1:2]
	v_add_f64 v[3:4], v[3:4], v[3:4]
.LBB165_141:
	s_or_b32 exec_lo, exec_lo, s0
.LBB165_142:
	s_and_not1_saveexec_b32 s0, s13
	s_cbranch_execz .LBB165_148
; %bb.143:
	s_delay_alu instid0(VALU_DEP_1) | instskip(SKIP_1) | instid1(VALU_DEP_3)
	v_add_f64 v[9:10], v[3:4], -v[3:4]
	s_mov_b32 s1, exec_lo
	v_cmpx_lt_i64_e32 -1, v[1:2]
	s_xor_b32 s1, exec_lo, s1
; %bb.144:
	s_delay_alu instid0(VALU_DEP_2) | instskip(NEXT) | instid1(VALU_DEP_1)
	v_bfi_b32 v10, 0x7fffffff, v10, v4
	v_dual_mov_b32 v3, v9 :: v_dual_mov_b32 v4, v10
                                        ; implicit-def: $vgpr9_vgpr10
; %bb.145:
	s_and_not1_saveexec_b32 s1, s1
; %bb.146:
	s_delay_alu instid0(VALU_DEP_1) | instskip(SKIP_1) | instid1(VALU_DEP_2)
	v_bfi_b32 v2, 0x7fffffff, v2, v4
	v_and_b32_e32 v10, 0x7fffffff, v10
	v_dual_mov_b32 v4, v2 :: v_dual_mov_b32 v3, v1
	s_delay_alu instid0(VALU_DEP_2)
	v_dual_mov_b32 v1, v9 :: v_dual_mov_b32 v2, v10
; %bb.147:
	s_or_b32 exec_lo, exec_lo, s1
.LBB165_148:
	s_delay_alu instid0(SALU_CYCLE_1)
	s_or_b32 exec_lo, exec_lo, s0
.LBB165_149:
	s_and_not1_saveexec_b32 s0, s12
; %bb.150:
	s_delay_alu instid0(VALU_DEP_1) | instskip(NEXT) | instid1(VALU_DEP_1)
	v_add_f64 v[3:4], v[3:4], -v[3:4]
	v_div_scale_f64 v[9:10], vcc_lo, v[3:4], v[3:4], v[3:4]
	s_delay_alu instid0(VALU_DEP_1) | instskip(SKIP_2) | instid1(VALU_DEP_1)
	v_rcp_f64_e32 v[11:12], v[9:10]
	s_waitcnt_depctr 0xfff
	v_fma_f64 v[21:22], -v[9:10], v[11:12], 1.0
	v_fma_f64 v[11:12], v[11:12], v[21:22], v[11:12]
	s_delay_alu instid0(VALU_DEP_1) | instskip(NEXT) | instid1(VALU_DEP_1)
	v_fma_f64 v[21:22], -v[9:10], v[11:12], 1.0
	v_fma_f64 v[11:12], v[11:12], v[21:22], v[11:12]
	s_delay_alu instid0(VALU_DEP_1) | instskip(NEXT) | instid1(VALU_DEP_1)
	v_mul_f64 v[21:22], v[9:10], v[11:12]
	v_fma_f64 v[9:10], -v[9:10], v[21:22], v[9:10]
	s_delay_alu instid0(VALU_DEP_1) | instskip(NEXT) | instid1(VALU_DEP_1)
	v_div_fmas_f64 v[9:10], v[9:10], v[11:12], v[21:22]
	v_div_fixup_f64 v[3:4], v[9:10], v[3:4], v[3:4]
; %bb.151:
	s_or_b32 exec_lo, exec_lo, s0
	v_dual_mov_b32 v22, v2 :: v_dual_mov_b32 v21, v1
.LBB165_152:
	s_or_b32 exec_lo, exec_lo, s11
.LBB165_153:
	s_delay_alu instid0(SALU_CYCLE_1) | instskip(NEXT) | instid1(VALU_DEP_1)
	s_or_b32 exec_lo, exec_lo, s9
	v_cmp_gt_f64_e32 vcc_lo, 0, v[21:22]
	s_delay_alu instid0(VALU_DEP_3) | instskip(SKIP_2) | instid1(VALU_DEP_2)
	v_cmp_gt_f64_e64 s0, 0, v[3:4]
	v_xor_b32_e32 v1, 0x80000000, v22
	v_xor_b32_e32 v9, 0x80000000, v4
                                        ; implicit-def: $vgpr11_vgpr12
	v_cndmask_b32_e32 v2, v22, v1, vcc_lo
	s_delay_alu instid0(VALU_DEP_2) | instskip(SKIP_3) | instid1(VALU_DEP_1)
	v_cndmask_b32_e64 v24, v4, v9, s0
	v_cndmask_b32_e32 v1, v21, v21, vcc_lo
	v_cndmask_b32_e64 v23, v3, v3, s0
	s_mov_b32 s0, exec_lo
	v_cmpx_ge_f64_e32 v[1:2], v[23:24]
	s_xor_b32 s1, exec_lo, s0
	s_cbranch_execz .LBB165_159
; %bb.154:
	v_cmp_neq_f64_e32 vcc_lo, 0, v[21:22]
	v_cmp_neq_f64_e64 s0, 0, v[3:4]
                                        ; implicit-def: $vgpr11_vgpr12
	s_delay_alu instid0(VALU_DEP_1) | instskip(NEXT) | instid1(SALU_CYCLE_1)
	s_or_b32 s0, vcc_lo, s0
	s_and_saveexec_b32 s9, s0
	s_delay_alu instid0(SALU_CYCLE_1)
	s_xor_b32 s0, exec_lo, s9
	s_cbranch_execz .LBB165_156
; %bb.155:
	v_div_scale_f64 v[1:2], null, v[21:22], v[21:22], v[3:4]
	v_div_scale_f64 v[23:24], vcc_lo, v[3:4], v[21:22], v[3:4]
	s_delay_alu instid0(VALU_DEP_2) | instskip(SKIP_2) | instid1(VALU_DEP_1)
	v_rcp_f64_e32 v[9:10], v[1:2]
	s_waitcnt_depctr 0xfff
	v_fma_f64 v[11:12], -v[1:2], v[9:10], 1.0
	v_fma_f64 v[9:10], v[9:10], v[11:12], v[9:10]
	s_delay_alu instid0(VALU_DEP_1) | instskip(NEXT) | instid1(VALU_DEP_1)
	v_fma_f64 v[11:12], -v[1:2], v[9:10], 1.0
	v_fma_f64 v[9:10], v[9:10], v[11:12], v[9:10]
	s_delay_alu instid0(VALU_DEP_1) | instskip(NEXT) | instid1(VALU_DEP_1)
	v_mul_f64 v[11:12], v[23:24], v[9:10]
	v_fma_f64 v[1:2], -v[1:2], v[11:12], v[23:24]
	s_delay_alu instid0(VALU_DEP_1) | instskip(NEXT) | instid1(VALU_DEP_1)
	v_div_fmas_f64 v[1:2], v[1:2], v[9:10], v[11:12]
	v_div_fixup_f64 v[1:2], v[1:2], v[21:22], v[3:4]
	s_delay_alu instid0(VALU_DEP_1) | instskip(NEXT) | instid1(VALU_DEP_1)
	v_fma_f64 v[3:4], v[3:4], v[1:2], v[21:22]
	v_div_scale_f64 v[9:10], null, v[3:4], v[3:4], 1.0
	v_div_scale_f64 v[23:24], vcc_lo, 1.0, v[3:4], 1.0
	s_delay_alu instid0(VALU_DEP_2) | instskip(SKIP_2) | instid1(VALU_DEP_1)
	v_rcp_f64_e32 v[11:12], v[9:10]
	s_waitcnt_depctr 0xfff
	v_fma_f64 v[21:22], -v[9:10], v[11:12], 1.0
	v_fma_f64 v[11:12], v[11:12], v[21:22], v[11:12]
	s_delay_alu instid0(VALU_DEP_1) | instskip(NEXT) | instid1(VALU_DEP_1)
	v_fma_f64 v[21:22], -v[9:10], v[11:12], 1.0
	v_fma_f64 v[11:12], v[11:12], v[21:22], v[11:12]
	s_delay_alu instid0(VALU_DEP_1) | instskip(NEXT) | instid1(VALU_DEP_1)
	v_mul_f64 v[21:22], v[23:24], v[11:12]
	v_fma_f64 v[9:10], -v[9:10], v[21:22], v[23:24]
                                        ; implicit-def: $vgpr23_vgpr24
	s_delay_alu instid0(VALU_DEP_1) | instskip(SKIP_2) | instid1(VALU_DEP_3)
	v_div_fmas_f64 v[9:10], v[9:10], v[11:12], v[21:22]
	v_fma_f64 v[11:12], v[1:2], 0, 1.0
	v_add_f64 v[1:2], -v[1:2], 0
	v_div_fixup_f64 v[3:4], v[9:10], v[3:4], 1.0
	s_delay_alu instid0(VALU_DEP_1) | instskip(NEXT) | instid1(VALU_DEP_3)
	v_mul_f64 v[9:10], v[11:12], v[3:4]
	v_mul_f64 v[11:12], v[1:2], v[3:4]
                                        ; implicit-def: $vgpr1_vgpr2
.LBB165_156:
	s_and_not1_saveexec_b32 s9, s0
	s_cbranch_execz .LBB165_158
; %bb.157:
	v_div_scale_f64 v[3:4], null, v[1:2], v[1:2], 1.0
	v_div_scale_f64 v[9:10], null, v[23:24], v[23:24], 0
	v_div_scale_f64 v[30:31], vcc_lo, 1.0, v[1:2], 1.0
	s_delay_alu instid0(VALU_DEP_3) | instskip(NEXT) | instid1(VALU_DEP_2)
	v_rcp_f64_e32 v[11:12], v[3:4]
	v_rcp_f64_e32 v[21:22], v[9:10]
	s_waitcnt_depctr 0xfff
	v_fma_f64 v[26:27], -v[3:4], v[11:12], 1.0
	v_fma_f64 v[28:29], -v[9:10], v[21:22], 1.0
	s_delay_alu instid0(VALU_DEP_2) | instskip(NEXT) | instid1(VALU_DEP_2)
	v_fma_f64 v[11:12], v[11:12], v[26:27], v[11:12]
	v_fma_f64 v[21:22], v[21:22], v[28:29], v[21:22]
	s_delay_alu instid0(VALU_DEP_2) | instskip(NEXT) | instid1(VALU_DEP_2)
	v_fma_f64 v[26:27], -v[3:4], v[11:12], 1.0
	v_fma_f64 v[28:29], -v[9:10], v[21:22], 1.0
	s_delay_alu instid0(VALU_DEP_2) | instskip(SKIP_1) | instid1(VALU_DEP_3)
	v_fma_f64 v[11:12], v[11:12], v[26:27], v[11:12]
	v_div_scale_f64 v[26:27], s0, 0, v[23:24], 0
	v_fma_f64 v[21:22], v[21:22], v[28:29], v[21:22]
	s_delay_alu instid0(VALU_DEP_3) | instskip(NEXT) | instid1(VALU_DEP_2)
	v_mul_f64 v[28:29], v[30:31], v[11:12]
	v_mul_f64 v[32:33], v[26:27], v[21:22]
	s_delay_alu instid0(VALU_DEP_2) | instskip(NEXT) | instid1(VALU_DEP_2)
	v_fma_f64 v[3:4], -v[3:4], v[28:29], v[30:31]
	v_fma_f64 v[9:10], -v[9:10], v[32:33], v[26:27]
	s_delay_alu instid0(VALU_DEP_2) | instskip(SKIP_1) | instid1(VALU_DEP_2)
	v_div_fmas_f64 v[3:4], v[3:4], v[11:12], v[28:29]
	s_mov_b32 vcc_lo, s0
	v_div_fmas_f64 v[11:12], v[9:10], v[21:22], v[32:33]
	s_delay_alu instid0(VALU_DEP_2) | instskip(NEXT) | instid1(VALU_DEP_2)
	v_div_fixup_f64 v[9:10], v[3:4], v[1:2], 1.0
	v_div_fixup_f64 v[11:12], v[11:12], v[23:24], 0
.LBB165_158:
	s_or_b32 exec_lo, exec_lo, s9
                                        ; implicit-def: $vgpr3_vgpr4
                                        ; implicit-def: $vgpr21_vgpr22
.LBB165_159:
	s_and_not1_saveexec_b32 s0, s1
	s_cbranch_execz .LBB165_161
; %bb.160:
	v_div_scale_f64 v[1:2], null, v[3:4], v[3:4], v[21:22]
	v_div_scale_f64 v[23:24], vcc_lo, v[21:22], v[3:4], v[21:22]
	s_delay_alu instid0(VALU_DEP_2) | instskip(SKIP_2) | instid1(VALU_DEP_1)
	v_rcp_f64_e32 v[9:10], v[1:2]
	s_waitcnt_depctr 0xfff
	v_fma_f64 v[11:12], -v[1:2], v[9:10], 1.0
	v_fma_f64 v[9:10], v[9:10], v[11:12], v[9:10]
	s_delay_alu instid0(VALU_DEP_1) | instskip(NEXT) | instid1(VALU_DEP_1)
	v_fma_f64 v[11:12], -v[1:2], v[9:10], 1.0
	v_fma_f64 v[9:10], v[9:10], v[11:12], v[9:10]
	s_delay_alu instid0(VALU_DEP_1) | instskip(NEXT) | instid1(VALU_DEP_1)
	v_mul_f64 v[11:12], v[23:24], v[9:10]
	v_fma_f64 v[1:2], -v[1:2], v[11:12], v[23:24]
	s_delay_alu instid0(VALU_DEP_1) | instskip(NEXT) | instid1(VALU_DEP_1)
	v_div_fmas_f64 v[1:2], v[1:2], v[9:10], v[11:12]
	v_div_fixup_f64 v[1:2], v[1:2], v[3:4], v[21:22]
	s_delay_alu instid0(VALU_DEP_1) | instskip(NEXT) | instid1(VALU_DEP_1)
	v_fma_f64 v[3:4], v[21:22], v[1:2], v[3:4]
	v_div_scale_f64 v[9:10], null, v[3:4], v[3:4], 1.0
	v_div_scale_f64 v[23:24], vcc_lo, 1.0, v[3:4], 1.0
	s_delay_alu instid0(VALU_DEP_2) | instskip(SKIP_2) | instid1(VALU_DEP_1)
	v_rcp_f64_e32 v[11:12], v[9:10]
	s_waitcnt_depctr 0xfff
	v_fma_f64 v[21:22], -v[9:10], v[11:12], 1.0
	v_fma_f64 v[11:12], v[11:12], v[21:22], v[11:12]
	s_delay_alu instid0(VALU_DEP_1) | instskip(NEXT) | instid1(VALU_DEP_1)
	v_fma_f64 v[21:22], -v[9:10], v[11:12], 1.0
	v_fma_f64 v[11:12], v[11:12], v[21:22], v[11:12]
	s_delay_alu instid0(VALU_DEP_1) | instskip(NEXT) | instid1(VALU_DEP_1)
	v_mul_f64 v[21:22], v[23:24], v[11:12]
	v_fma_f64 v[9:10], -v[9:10], v[21:22], v[23:24]
	s_delay_alu instid0(VALU_DEP_1) | instskip(SKIP_2) | instid1(VALU_DEP_3)
	v_div_fmas_f64 v[9:10], v[9:10], v[11:12], v[21:22]
	v_add_f64 v[11:12], v[1:2], 0
	v_fma_f64 v[1:2], v[1:2], 0, -1.0
	v_div_fixup_f64 v[3:4], v[9:10], v[3:4], 1.0
	s_delay_alu instid0(VALU_DEP_1) | instskip(NEXT) | instid1(VALU_DEP_3)
	v_mul_f64 v[9:10], v[11:12], v[3:4]
	v_mul_f64 v[11:12], v[1:2], v[3:4]
.LBB165_161:
	s_or_b32 exec_lo, exec_lo, s0
	s_add_u32 s2, s4, s2
	s_addc_u32 s3, s5, s3
	v_add_co_u32 v1, s0, s2, v25
	s_delay_alu instid0(VALU_DEP_1) | instskip(SKIP_1) | instid1(VALU_DEP_2)
	v_add_co_ci_u32_e64 v2, null, s3, 0, s0
	s_mov_b32 s0, 0
	v_add_co_u32 v1, vcc_lo, 0x2000, v1
	s_delay_alu instid0(VALU_DEP_2)
	v_add_co_ci_u32_e32 v2, vcc_lo, 0, v2, vcc_lo
	s_clause 0x3
	global_store_b128 v25, v[5:8], s[2:3]
	global_store_b128 v25, v[13:16], s[2:3] offset:16
	global_store_b128 v[1:2], v[17:20], off
	global_store_b128 v[1:2], v[9:12], off offset:16
.LBB165_162:
	s_and_b32 vcc_lo, exec_lo, s0
	s_cbranch_vccz .LBB165_347
; %bb.163:
	v_mov_b32_e32 v17, 0
	v_dual_mov_b32 v18, 0 :: v_dual_mov_b32 v5, v0
	v_cmp_gt_i32_e64 s0, s10, v0
	v_or_b32_e32 v21, s8, v0
	v_or_b32_e32 v26, 0x100, v0
	s_delay_alu instid0(VALU_DEP_4)
	v_dual_mov_b32 v13, v17 :: v_dual_mov_b32 v14, v18
	v_dual_mov_b32 v15, v17 :: v_dual_mov_b32 v16, v18
	s_and_saveexec_b32 s1, s0
	s_cbranch_execz .LBB165_165
; %bb.164:
	v_mov_b32_e32 v22, 0
	v_or_b32_e32 v5, 0x100, v0
	s_delay_alu instid0(VALU_DEP_2) | instskip(NEXT) | instid1(VALU_DEP_1)
	v_lshlrev_b64 v[1:2], 4, v[21:22]
	v_add_co_u32 v1, vcc_lo, s6, v1
	s_delay_alu instid0(VALU_DEP_2)
	v_add_co_ci_u32_e32 v2, vcc_lo, s7, v2, vcc_lo
	global_load_b128 v[13:16], v[1:2], off
.LBB165_165:
	s_or_b32 exec_lo, exec_lo, s1
	v_dual_mov_b32 v20, v18 :: v_dual_mov_b32 v19, v17
	s_mov_b32 s1, exec_lo
	v_cmpx_gt_i32_e64 s10, v5
	s_cbranch_execz .LBB165_167
; %bb.166:
	v_dual_mov_b32 v2, 0 :: v_dual_add_nc_u32 v1, s8, v5
	v_add_nc_u32_e32 v5, 0x100, v5
	s_delay_alu instid0(VALU_DEP_2) | instskip(NEXT) | instid1(VALU_DEP_1)
	v_lshlrev_b64 v[1:2], 4, v[1:2]
	v_add_co_u32 v1, vcc_lo, s6, v1
	s_delay_alu instid0(VALU_DEP_2)
	v_add_co_ci_u32_e32 v2, vcc_lo, s7, v2, vcc_lo
	global_load_b128 v[17:20], v[1:2], off
.LBB165_167:
	s_or_b32 exec_lo, exec_lo, s1
	v_mov_b32_e32 v1, 0
	v_mov_b32_e32 v2, 0
	s_mov_b32 s1, exec_lo
	s_delay_alu instid0(VALU_DEP_1)
	v_dual_mov_b32 v10, v2 :: v_dual_mov_b32 v9, v1
	v_dual_mov_b32 v12, v2 :: v_dual_mov_b32 v11, v1
	v_cmpx_gt_i32_e64 s10, v5
	s_cbranch_execz .LBB165_169
; %bb.168:
	v_dual_mov_b32 v4, 0 :: v_dual_add_nc_u32 v3, s8, v5
	v_add_nc_u32_e32 v5, 0x100, v5
	s_delay_alu instid0(VALU_DEP_2) | instskip(NEXT) | instid1(VALU_DEP_1)
	v_lshlrev_b64 v[3:4], 4, v[3:4]
	v_add_co_u32 v3, vcc_lo, s6, v3
	s_delay_alu instid0(VALU_DEP_2)
	v_add_co_ci_u32_e32 v4, vcc_lo, s7, v4, vcc_lo
	global_load_b128 v[9:12], v[3:4], off
.LBB165_169:
	s_or_b32 exec_lo, exec_lo, s1
	v_dual_mov_b32 v4, v2 :: v_dual_mov_b32 v3, v1
	s_mov_b32 s1, exec_lo
	v_cmpx_gt_i32_e64 s10, v5
	s_cbranch_execz .LBB165_171
; %bb.170:
	v_dual_mov_b32 v2, 0 :: v_dual_add_nc_u32 v1, s8, v5
	s_delay_alu instid0(VALU_DEP_1) | instskip(NEXT) | instid1(VALU_DEP_1)
	v_lshlrev_b64 v[1:2], 4, v[1:2]
	v_add_co_u32 v1, vcc_lo, s6, v1
	s_delay_alu instid0(VALU_DEP_2)
	v_add_co_ci_u32_e32 v2, vcc_lo, s7, v2, vcc_lo
	global_load_b128 v[1:4], v[1:2], off
.LBB165_171:
	s_or_b32 exec_lo, exec_lo, s1
	v_mov_b32_e32 v5, 0
	v_mov_b32_e32 v6, 0
	s_delay_alu instid0(VALU_DEP_1)
	v_dual_mov_b32 v8, v6 :: v_dual_mov_b32 v7, v5
	s_and_saveexec_b32 s3, s0
	s_cbranch_execz .LBB165_213
; %bb.172:
	s_waitcnt vmcnt(0)
	v_cmp_neq_f64_e32 vcc_lo, 0, v[13:14]
	v_cmp_neq_f64_e64 s1, 0, v[15:16]
	v_mov_b32_e32 v22, 0
	v_mov_b32_e32 v23, 0
	s_delay_alu instid0(VALU_DEP_3) | instskip(NEXT) | instid1(SALU_CYCLE_1)
	s_or_b32 s1, vcc_lo, s1
	s_and_saveexec_b32 s6, s1
	s_cbranch_execz .LBB165_204
; %bb.173:
	s_mov_b32 s12, 0
	s_mov_b32 s13, 0x7ff00000
	v_mov_b32_e32 v22, s12
	v_mov_b32_e32 v23, s13
	s_mov_b32 s7, exec_lo
	v_cmpx_neq_f64_e64 0x7ff00000, |v[15:16]|
	s_cbranch_execz .LBB165_203
; %bb.174:
	s_mov_b32 s1, exec_lo
	v_cmpx_o_f64_e32 v[13:14], v[13:14]
	s_xor_b32 s9, exec_lo, s1
	s_cbranch_execz .LBB165_200
; %bb.175:
	s_mov_b32 s2, exec_lo
	v_cmpx_neq_f64_e64 0x7ff00000, |v[13:14]|
	s_xor_b32 s11, exec_lo, s2
	s_cbranch_execz .LBB165_193
; %bb.176:
	v_max_f64 v[5:6], |v[15:16]|, |v[15:16]|
	v_max_f64 v[7:8], |v[13:14]|, |v[13:14]|
	s_mov_b32 s12, 0x99fcef32
	s_mov_b32 s13, 0x7fda8279
	s_delay_alu instid0(VALU_DEP_1) | instskip(NEXT) | instid1(VALU_DEP_1)
	v_max_f64 v[5:6], v[7:8], v[5:6]
	v_cmp_nle_f64_e64 s1, s[12:13], v[5:6]
                                        ; implicit-def: $sgpr12
	s_delay_alu instid0(VALU_DEP_1) | instskip(NEXT) | instid1(SALU_CYCLE_1)
	s_and_saveexec_b32 s2, s1
	s_xor_b32 s2, exec_lo, s2
	s_cbranch_execz .LBB165_180
; %bb.177:
	v_cmp_ge_f64_e64 s12, 0x200000, |v[13:14]|
	v_cmp_ge_f64_e64 s13, 0x200000, |v[15:16]|
	s_delay_alu instid0(VALU_DEP_1)
	s_and_b32 s14, s12, s13
	s_mov_b32 s12, 0
	s_and_saveexec_b32 s13, s14
; %bb.178:
	v_mul_f64 v[13:14], v[13:14], 4.0
	v_mul_f64 v[15:16], v[15:16], 4.0
	s_mov_b32 s12, exec_lo
; %bb.179:
	s_or_b32 exec_lo, exec_lo, s13
	s_delay_alu instid0(SALU_CYCLE_1)
	s_and_b32 s12, s12, exec_lo
.LBB165_180:
	s_and_not1_saveexec_b32 s2, s2
; %bb.181:
	s_delay_alu instid0(VALU_DEP_2) | instskip(NEXT) | instid1(VALU_DEP_2)
	v_ldexp_f64 v[13:14], v[13:14], -2
	v_ldexp_f64 v[15:16], v[15:16], -2
	s_and_not1_b32 s12, s12, exec_lo
; %bb.182:
	s_or_b32 exec_lo, exec_lo, s2
	s_delay_alu instid0(VALU_DEP_1) | instskip(NEXT) | instid1(VALU_DEP_3)
	v_max_f64 v[5:6], |v[15:16]|, |v[15:16]|
	v_max_f64 v[7:8], |v[13:14]|, |v[13:14]|
	v_cmp_class_f64_e64 s13, v[13:14], 0x204
	v_cmp_class_f64_e64 s14, v[15:16], 0x204
	v_cmp_le_f64_e64 s2, 0, v[13:14]
	s_delay_alu instid0(VALU_DEP_4) | instskip(NEXT) | instid1(VALU_DEP_3)
	v_max_f64 v[5:6], v[7:8], v[5:6]
	s_or_b32 s13, s14, s13
	s_delay_alu instid0(VALU_DEP_1) | instskip(NEXT) | instid1(VALU_DEP_1)
	v_frexp_exp_i32_f64_e32 v27, v[5:6]
	v_sub_nc_u32_e32 v7, 0, v27
	s_delay_alu instid0(VALU_DEP_1) | instskip(SKIP_1) | instid1(VALU_DEP_2)
	v_ldexp_f64 v[5:6], |v[15:16]|, v7
	v_ldexp_f64 v[7:8], |v[13:14]|, v7
	v_mul_f64 v[5:6], v[5:6], v[5:6]
	s_delay_alu instid0(VALU_DEP_1) | instskip(NEXT) | instid1(VALU_DEP_1)
	v_fma_f64 v[5:6], v[7:8], v[7:8], v[5:6]
	v_rsq_f64_e32 v[7:8], v[5:6]
	v_cmp_eq_f64_e32 vcc_lo, 0, v[5:6]
	s_waitcnt_depctr 0xfff
	v_mul_f64 v[22:23], v[5:6], v[7:8]
	v_mul_f64 v[7:8], v[7:8], 0.5
	s_delay_alu instid0(VALU_DEP_1) | instskip(NEXT) | instid1(VALU_DEP_1)
	v_fma_f64 v[24:25], -v[7:8], v[22:23], 0.5
	v_fma_f64 v[22:23], v[22:23], v[24:25], v[22:23]
	v_fma_f64 v[7:8], v[7:8], v[24:25], v[7:8]
	s_delay_alu instid0(VALU_DEP_2) | instskip(NEXT) | instid1(VALU_DEP_1)
	v_fma_f64 v[24:25], -v[22:23], v[22:23], v[5:6]
	v_fma_f64 v[7:8], v[24:25], v[7:8], v[22:23]
	s_delay_alu instid0(VALU_DEP_1) | instskip(SKIP_1) | instid1(VALU_DEP_2)
	v_dual_cndmask_b32 v6, v8, v6 :: v_dual_cndmask_b32 v5, v7, v5
	v_cmp_o_f64_e32 vcc_lo, v[15:16], v[15:16]
	v_ldexp_f64 v[5:6], v[5:6], v27
	s_delay_alu instid0(VALU_DEP_1) | instskip(NEXT) | instid1(VALU_DEP_2)
	v_cndmask_b32_e32 v5, 0, v5, vcc_lo
	v_cndmask_b32_e32 v6, 0x7ff80000, v6, vcc_lo
	s_delay_alu instid0(VALU_DEP_2) | instskip(NEXT) | instid1(VALU_DEP_2)
	v_cndmask_b32_e64 v5, v5, 0, s13
	v_cndmask_b32_e64 v6, v6, 0x7ff00000, s13
	s_and_saveexec_b32 s13, s2
	s_delay_alu instid0(SALU_CYCLE_1)
	s_xor_b32 s2, exec_lo, s13
	s_cbranch_execz .LBB165_188
; %bb.183:
	s_delay_alu instid0(VALU_DEP_1) | instskip(NEXT) | instid1(VALU_DEP_1)
	v_add_f64 v[5:6], v[13:14], v[5:6]
	v_mul_f64 v[5:6], v[5:6], 0.5
	s_delay_alu instid0(VALU_DEP_1) | instskip(SKIP_1) | instid1(VALU_DEP_1)
	v_cmp_gt_f64_e32 vcc_lo, 0x10000000, v[5:6]
	v_cndmask_b32_e64 v7, 0, 1, vcc_lo
	v_lshlrev_b32_e32 v7, 8, v7
	s_delay_alu instid0(VALU_DEP_1) | instskip(NEXT) | instid1(VALU_DEP_1)
	v_ldexp_f64 v[5:6], v[5:6], v7
	v_rsq_f64_e32 v[7:8], v[5:6]
	s_waitcnt_depctr 0xfff
	v_mul_f64 v[13:14], v[5:6], v[7:8]
	v_mul_f64 v[7:8], v[7:8], 0.5
	s_delay_alu instid0(VALU_DEP_1) | instskip(NEXT) | instid1(VALU_DEP_1)
	v_fma_f64 v[22:23], -v[7:8], v[13:14], 0.5
	v_fma_f64 v[13:14], v[13:14], v[22:23], v[13:14]
	v_fma_f64 v[7:8], v[7:8], v[22:23], v[7:8]
	s_delay_alu instid0(VALU_DEP_2) | instskip(NEXT) | instid1(VALU_DEP_1)
	v_fma_f64 v[22:23], -v[13:14], v[13:14], v[5:6]
	v_fma_f64 v[13:14], v[22:23], v[7:8], v[13:14]
	s_delay_alu instid0(VALU_DEP_1) | instskip(NEXT) | instid1(VALU_DEP_1)
	v_fma_f64 v[22:23], -v[13:14], v[13:14], v[5:6]
	v_fma_f64 v[7:8], v[22:23], v[7:8], v[13:14]
	v_cndmask_b32_e64 v13, 0, 0xffffff80, vcc_lo
	v_cmp_class_f64_e64 vcc_lo, v[5:6], 0x260
	s_delay_alu instid0(VALU_DEP_2) | instskip(NEXT) | instid1(VALU_DEP_1)
	v_ldexp_f64 v[7:8], v[7:8], v13
	v_dual_cndmask_b32 v14, v8, v6 :: v_dual_cndmask_b32 v13, v7, v5
	s_delay_alu instid0(VALU_DEP_1) | instskip(NEXT) | instid1(VALU_DEP_1)
	v_add_f64 v[5:6], v[13:14], v[13:14]
	v_div_scale_f64 v[7:8], null, v[5:6], v[5:6], v[15:16]
	s_delay_alu instid0(VALU_DEP_1) | instskip(SKIP_2) | instid1(VALU_DEP_1)
	v_rcp_f64_e32 v[22:23], v[7:8]
	s_waitcnt_depctr 0xfff
	v_fma_f64 v[24:25], -v[7:8], v[22:23], 1.0
	v_fma_f64 v[22:23], v[22:23], v[24:25], v[22:23]
	s_delay_alu instid0(VALU_DEP_1) | instskip(NEXT) | instid1(VALU_DEP_1)
	v_fma_f64 v[24:25], -v[7:8], v[22:23], 1.0
	v_fma_f64 v[22:23], v[22:23], v[24:25], v[22:23]
	v_div_scale_f64 v[24:25], vcc_lo, v[15:16], v[5:6], v[15:16]
	s_delay_alu instid0(VALU_DEP_1) | instskip(NEXT) | instid1(VALU_DEP_1)
	v_mul_f64 v[27:28], v[24:25], v[22:23]
	v_fma_f64 v[7:8], -v[7:8], v[27:28], v[24:25]
	s_delay_alu instid0(VALU_DEP_1) | instskip(NEXT) | instid1(VALU_DEP_1)
	v_div_fmas_f64 v[7:8], v[7:8], v[22:23], v[27:28]
	v_div_fixup_f64 v[15:16], v[7:8], v[5:6], v[15:16]
                                        ; implicit-def: $vgpr5_vgpr6
	s_and_not1_saveexec_b32 s2, s2
	s_cbranch_execnz .LBB165_189
.LBB165_184:
	s_or_b32 exec_lo, exec_lo, s2
	s_and_saveexec_b32 s2, s1
	s_delay_alu instid0(SALU_CYCLE_1)
	s_xor_b32 s1, exec_lo, s2
	s_cbranch_execz .LBB165_190
.LBB165_185:
	s_and_saveexec_b32 s2, s12
; %bb.186:
	s_delay_alu instid0(VALU_DEP_2) | instskip(NEXT) | instid1(VALU_DEP_2)
	v_mul_f64 v[13:14], v[13:14], 0.5
	v_mul_f64 v[15:16], v[15:16], 0.5
; %bb.187:
	s_or_b32 exec_lo, exec_lo, s2
	s_and_not1_saveexec_b32 s1, s1
	s_cbranch_execnz .LBB165_191
	s_branch .LBB165_192
.LBB165_188:
	s_and_not1_saveexec_b32 s2, s2
	s_cbranch_execz .LBB165_184
.LBB165_189:
	v_add_f64 v[5:6], v[5:6], -v[13:14]
	s_delay_alu instid0(VALU_DEP_1) | instskip(NEXT) | instid1(VALU_DEP_1)
	v_mul_f64 v[5:6], v[5:6], 0.5
	v_cmp_gt_f64_e32 vcc_lo, 0x10000000, v[5:6]
	v_cndmask_b32_e64 v7, 0, 1, vcc_lo
	s_delay_alu instid0(VALU_DEP_1) | instskip(NEXT) | instid1(VALU_DEP_1)
	v_lshlrev_b32_e32 v7, 8, v7
	v_ldexp_f64 v[5:6], v[5:6], v7
	s_delay_alu instid0(VALU_DEP_1) | instskip(SKIP_3) | instid1(VALU_DEP_1)
	v_rsq_f64_e32 v[7:8], v[5:6]
	s_waitcnt_depctr 0xfff
	v_mul_f64 v[13:14], v[5:6], v[7:8]
	v_mul_f64 v[7:8], v[7:8], 0.5
	v_fma_f64 v[22:23], -v[7:8], v[13:14], 0.5
	s_delay_alu instid0(VALU_DEP_1) | instskip(SKIP_1) | instid1(VALU_DEP_2)
	v_fma_f64 v[13:14], v[13:14], v[22:23], v[13:14]
	v_fma_f64 v[7:8], v[7:8], v[22:23], v[7:8]
	v_fma_f64 v[22:23], -v[13:14], v[13:14], v[5:6]
	s_delay_alu instid0(VALU_DEP_1) | instskip(NEXT) | instid1(VALU_DEP_1)
	v_fma_f64 v[13:14], v[22:23], v[7:8], v[13:14]
	v_fma_f64 v[22:23], -v[13:14], v[13:14], v[5:6]
	s_delay_alu instid0(VALU_DEP_1) | instskip(SKIP_3) | instid1(VALU_DEP_3)
	v_fma_f64 v[7:8], v[22:23], v[7:8], v[13:14]
	v_cndmask_b32_e64 v13, 0, 0xffffff80, vcc_lo
	v_cmp_class_f64_e64 vcc_lo, v[5:6], 0x260
	v_and_b32_e32 v14, 0x7fffffff, v16
	v_ldexp_f64 v[7:8], v[7:8], v13
	s_delay_alu instid0(VALU_DEP_1) | instskip(NEXT) | instid1(VALU_DEP_1)
	v_dual_cndmask_b32 v6, v8, v6 :: v_dual_cndmask_b32 v5, v7, v5
	v_add_f64 v[7:8], v[5:6], v[5:6]
	v_bfi_b32 v6, 0x7fffffff, v6, v16
	v_mov_b32_e32 v13, v15
	s_delay_alu instid0(VALU_DEP_1) | instskip(SKIP_1) | instid1(VALU_DEP_2)
	v_div_scale_f64 v[22:23], null, v[7:8], v[7:8], v[13:14]
	v_div_scale_f64 v[13:14], vcc_lo, v[13:14], v[7:8], v[13:14]
	v_rcp_f64_e32 v[24:25], v[22:23]
	s_waitcnt_depctr 0xfff
	v_fma_f64 v[27:28], -v[22:23], v[24:25], 1.0
	s_delay_alu instid0(VALU_DEP_1) | instskip(NEXT) | instid1(VALU_DEP_1)
	v_fma_f64 v[24:25], v[24:25], v[27:28], v[24:25]
	v_fma_f64 v[27:28], -v[22:23], v[24:25], 1.0
	s_delay_alu instid0(VALU_DEP_1) | instskip(NEXT) | instid1(VALU_DEP_1)
	v_fma_f64 v[24:25], v[24:25], v[27:28], v[24:25]
	v_mul_f64 v[27:28], v[13:14], v[24:25]
	s_delay_alu instid0(VALU_DEP_1) | instskip(NEXT) | instid1(VALU_DEP_1)
	v_fma_f64 v[13:14], -v[22:23], v[27:28], v[13:14]
	v_div_fmas_f64 v[13:14], v[13:14], v[24:25], v[27:28]
	s_delay_alu instid0(VALU_DEP_1) | instskip(SKIP_3) | instid1(SALU_CYCLE_1)
	v_div_fixup_f64 v[13:14], v[13:14], v[7:8], |v[15:16]|
	v_dual_mov_b32 v16, v6 :: v_dual_mov_b32 v15, v5
	s_or_b32 exec_lo, exec_lo, s2
	s_and_saveexec_b32 s2, s1
	s_xor_b32 s1, exec_lo, s2
	s_cbranch_execnz .LBB165_185
.LBB165_190:
	s_and_not1_saveexec_b32 s1, s1
.LBB165_191:
	s_delay_alu instid0(VALU_DEP_2) | instskip(NEXT) | instid1(VALU_DEP_2)
	v_add_f64 v[13:14], v[13:14], v[13:14]
	v_add_f64 v[15:16], v[15:16], v[15:16]
.LBB165_192:
	s_or_b32 exec_lo, exec_lo, s1
.LBB165_193:
	s_and_not1_saveexec_b32 s1, s11
	s_cbranch_execz .LBB165_199
; %bb.194:
	s_delay_alu instid0(VALU_DEP_1) | instskip(SKIP_1) | instid1(VALU_DEP_3)
	v_add_f64 v[5:6], v[15:16], -v[15:16]
	s_mov_b32 s2, exec_lo
	v_cmpx_lt_i64_e32 -1, v[13:14]
	s_xor_b32 s2, exec_lo, s2
; %bb.195:
	s_delay_alu instid0(VALU_DEP_2) | instskip(NEXT) | instid1(VALU_DEP_1)
	v_bfi_b32 v6, 0x7fffffff, v6, v16
	v_dual_mov_b32 v16, v6 :: v_dual_mov_b32 v15, v5
                                        ; implicit-def: $vgpr5_vgpr6
; %bb.196:
	s_and_not1_saveexec_b32 s2, s2
; %bb.197:
	s_delay_alu instid0(VALU_DEP_1) | instskip(SKIP_1) | instid1(VALU_DEP_2)
	v_bfi_b32 v14, 0x7fffffff, v14, v16
	v_and_b32_e32 v6, 0x7fffffff, v6
	v_dual_mov_b32 v16, v14 :: v_dual_mov_b32 v15, v13
	s_delay_alu instid0(VALU_DEP_2)
	v_dual_mov_b32 v14, v6 :: v_dual_mov_b32 v13, v5
; %bb.198:
	s_or_b32 exec_lo, exec_lo, s2
.LBB165_199:
	s_delay_alu instid0(SALU_CYCLE_1)
	s_or_b32 exec_lo, exec_lo, s1
.LBB165_200:
	s_and_not1_saveexec_b32 s1, s9
; %bb.201:
	s_delay_alu instid0(VALU_DEP_1) | instskip(NEXT) | instid1(VALU_DEP_1)
	v_add_f64 v[5:6], v[15:16], -v[15:16]
	v_div_scale_f64 v[7:8], vcc_lo, v[5:6], v[5:6], v[5:6]
	s_delay_alu instid0(VALU_DEP_1) | instskip(SKIP_2) | instid1(VALU_DEP_1)
	v_rcp_f64_e32 v[15:16], v[7:8]
	s_waitcnt_depctr 0xfff
	v_fma_f64 v[22:23], -v[7:8], v[15:16], 1.0
	v_fma_f64 v[15:16], v[15:16], v[22:23], v[15:16]
	s_delay_alu instid0(VALU_DEP_1) | instskip(NEXT) | instid1(VALU_DEP_1)
	v_fma_f64 v[22:23], -v[7:8], v[15:16], 1.0
	v_fma_f64 v[15:16], v[15:16], v[22:23], v[15:16]
	s_delay_alu instid0(VALU_DEP_1) | instskip(NEXT) | instid1(VALU_DEP_1)
	v_mul_f64 v[22:23], v[7:8], v[15:16]
	v_fma_f64 v[7:8], -v[7:8], v[22:23], v[7:8]
	s_delay_alu instid0(VALU_DEP_1) | instskip(NEXT) | instid1(VALU_DEP_1)
	v_div_fmas_f64 v[7:8], v[7:8], v[15:16], v[22:23]
	v_div_fixup_f64 v[15:16], v[7:8], v[5:6], v[5:6]
; %bb.202:
	s_or_b32 exec_lo, exec_lo, s1
	v_dual_mov_b32 v23, v14 :: v_dual_mov_b32 v22, v13
.LBB165_203:
	s_or_b32 exec_lo, exec_lo, s7
.LBB165_204:
	s_delay_alu instid0(SALU_CYCLE_1) | instskip(NEXT) | instid1(VALU_DEP_1)
	s_or_b32 exec_lo, exec_lo, s6
	v_cmp_gt_f64_e32 vcc_lo, 0, v[22:23]
	s_delay_alu instid0(VALU_DEP_3) | instskip(SKIP_2) | instid1(VALU_DEP_2)
	v_cmp_gt_f64_e64 s1, 0, v[15:16]
	v_xor_b32_e32 v5, 0x80000000, v23
	v_xor_b32_e32 v6, 0x80000000, v16
	v_dual_cndmask_b32 v14, v23, v5 :: v_dual_cndmask_b32 v13, v22, v22
	s_delay_alu instid0(VALU_DEP_2) | instskip(SKIP_2) | instid1(VALU_DEP_1)
	v_cndmask_b32_e64 v25, v16, v6, s1
	v_cndmask_b32_e64 v24, v15, v15, s1
                                        ; implicit-def: $vgpr5_vgpr6
	s_mov_b32 s1, exec_lo
	v_cmpx_ge_f64_e32 v[13:14], v[24:25]
	s_xor_b32 s2, exec_lo, s1
	s_cbranch_execz .LBB165_210
; %bb.205:
	v_cmp_neq_f64_e32 vcc_lo, 0, v[22:23]
	v_cmp_neq_f64_e64 s1, 0, v[15:16]
                                        ; implicit-def: $vgpr5_vgpr6
	s_delay_alu instid0(VALU_DEP_1) | instskip(NEXT) | instid1(SALU_CYCLE_1)
	s_or_b32 s1, vcc_lo, s1
	s_and_saveexec_b32 s6, s1
	s_delay_alu instid0(SALU_CYCLE_1)
	s_xor_b32 s1, exec_lo, s6
	s_cbranch_execz .LBB165_207
; %bb.206:
	v_div_scale_f64 v[5:6], null, v[22:23], v[22:23], v[15:16]
	v_div_scale_f64 v[24:25], vcc_lo, v[15:16], v[22:23], v[15:16]
	s_delay_alu instid0(VALU_DEP_2) | instskip(SKIP_2) | instid1(VALU_DEP_1)
	v_rcp_f64_e32 v[7:8], v[5:6]
	s_waitcnt_depctr 0xfff
	v_fma_f64 v[13:14], -v[5:6], v[7:8], 1.0
	v_fma_f64 v[7:8], v[7:8], v[13:14], v[7:8]
	s_delay_alu instid0(VALU_DEP_1) | instskip(NEXT) | instid1(VALU_DEP_1)
	v_fma_f64 v[13:14], -v[5:6], v[7:8], 1.0
	v_fma_f64 v[7:8], v[7:8], v[13:14], v[7:8]
	s_delay_alu instid0(VALU_DEP_1) | instskip(NEXT) | instid1(VALU_DEP_1)
	v_mul_f64 v[13:14], v[24:25], v[7:8]
	v_fma_f64 v[5:6], -v[5:6], v[13:14], v[24:25]
	s_delay_alu instid0(VALU_DEP_1) | instskip(NEXT) | instid1(VALU_DEP_1)
	v_div_fmas_f64 v[5:6], v[5:6], v[7:8], v[13:14]
	v_div_fixup_f64 v[5:6], v[5:6], v[22:23], v[15:16]
	s_delay_alu instid0(VALU_DEP_1) | instskip(NEXT) | instid1(VALU_DEP_1)
	v_fma_f64 v[7:8], v[15:16], v[5:6], v[22:23]
	v_div_scale_f64 v[13:14], null, v[7:8], v[7:8], 1.0
	v_div_scale_f64 v[24:25], vcc_lo, 1.0, v[7:8], 1.0
	s_delay_alu instid0(VALU_DEP_2) | instskip(SKIP_2) | instid1(VALU_DEP_1)
	v_rcp_f64_e32 v[15:16], v[13:14]
	s_waitcnt_depctr 0xfff
	v_fma_f64 v[22:23], -v[13:14], v[15:16], 1.0
	v_fma_f64 v[15:16], v[15:16], v[22:23], v[15:16]
	s_delay_alu instid0(VALU_DEP_1) | instskip(NEXT) | instid1(VALU_DEP_1)
	v_fma_f64 v[22:23], -v[13:14], v[15:16], 1.0
	v_fma_f64 v[15:16], v[15:16], v[22:23], v[15:16]
	s_delay_alu instid0(VALU_DEP_1) | instskip(NEXT) | instid1(VALU_DEP_1)
	v_mul_f64 v[22:23], v[24:25], v[15:16]
	v_fma_f64 v[13:14], -v[13:14], v[22:23], v[24:25]
                                        ; implicit-def: $vgpr24_vgpr25
	s_delay_alu instid0(VALU_DEP_1) | instskip(SKIP_1) | instid1(VALU_DEP_2)
	v_div_fmas_f64 v[13:14], v[13:14], v[15:16], v[22:23]
	v_fma_f64 v[15:16], v[5:6], 0, 1.0
	v_div_fixup_f64 v[7:8], v[13:14], v[7:8], 1.0
	v_add_f64 v[13:14], -v[5:6], 0
	s_delay_alu instid0(VALU_DEP_2) | instskip(NEXT) | instid1(VALU_DEP_2)
	v_mul_f64 v[5:6], v[15:16], v[7:8]
	v_mul_f64 v[7:8], v[13:14], v[7:8]
                                        ; implicit-def: $vgpr13_vgpr14
.LBB165_207:
	s_and_not1_saveexec_b32 s6, s1
	s_cbranch_execz .LBB165_209
; %bb.208:
	v_div_scale_f64 v[5:6], null, v[13:14], v[13:14], 1.0
	v_div_scale_f64 v[7:8], null, v[24:25], v[24:25], 0
	v_div_scale_f64 v[31:32], vcc_lo, 1.0, v[13:14], 1.0
	s_delay_alu instid0(VALU_DEP_3) | instskip(NEXT) | instid1(VALU_DEP_2)
	v_rcp_f64_e32 v[15:16], v[5:6]
	v_rcp_f64_e32 v[22:23], v[7:8]
	s_waitcnt_depctr 0xfff
	v_fma_f64 v[27:28], -v[5:6], v[15:16], 1.0
	v_fma_f64 v[29:30], -v[7:8], v[22:23], 1.0
	s_delay_alu instid0(VALU_DEP_2) | instskip(NEXT) | instid1(VALU_DEP_2)
	v_fma_f64 v[15:16], v[15:16], v[27:28], v[15:16]
	v_fma_f64 v[22:23], v[22:23], v[29:30], v[22:23]
	s_delay_alu instid0(VALU_DEP_2) | instskip(NEXT) | instid1(VALU_DEP_2)
	v_fma_f64 v[27:28], -v[5:6], v[15:16], 1.0
	v_fma_f64 v[29:30], -v[7:8], v[22:23], 1.0
	s_delay_alu instid0(VALU_DEP_2) | instskip(SKIP_1) | instid1(VALU_DEP_3)
	v_fma_f64 v[15:16], v[15:16], v[27:28], v[15:16]
	v_div_scale_f64 v[27:28], s1, 0, v[24:25], 0
	v_fma_f64 v[22:23], v[22:23], v[29:30], v[22:23]
	s_delay_alu instid0(VALU_DEP_3) | instskip(NEXT) | instid1(VALU_DEP_2)
	v_mul_f64 v[29:30], v[31:32], v[15:16]
	v_mul_f64 v[33:34], v[27:28], v[22:23]
	s_delay_alu instid0(VALU_DEP_2) | instskip(NEXT) | instid1(VALU_DEP_2)
	v_fma_f64 v[5:6], -v[5:6], v[29:30], v[31:32]
	v_fma_f64 v[7:8], -v[7:8], v[33:34], v[27:28]
	s_delay_alu instid0(VALU_DEP_2) | instskip(SKIP_1) | instid1(VALU_DEP_2)
	v_div_fmas_f64 v[5:6], v[5:6], v[15:16], v[29:30]
	s_mov_b32 vcc_lo, s1
	v_div_fmas_f64 v[7:8], v[7:8], v[22:23], v[33:34]
	s_delay_alu instid0(VALU_DEP_2) | instskip(NEXT) | instid1(VALU_DEP_2)
	v_div_fixup_f64 v[5:6], v[5:6], v[13:14], 1.0
	v_div_fixup_f64 v[7:8], v[7:8], v[24:25], 0
.LBB165_209:
	s_or_b32 exec_lo, exec_lo, s6
                                        ; implicit-def: $vgpr15_vgpr16
                                        ; implicit-def: $vgpr22_vgpr23
.LBB165_210:
	s_and_not1_saveexec_b32 s1, s2
	s_cbranch_execz .LBB165_212
; %bb.211:
	v_div_scale_f64 v[5:6], null, v[15:16], v[15:16], v[22:23]
	v_div_scale_f64 v[24:25], vcc_lo, v[22:23], v[15:16], v[22:23]
	s_delay_alu instid0(VALU_DEP_2) | instskip(SKIP_2) | instid1(VALU_DEP_1)
	v_rcp_f64_e32 v[7:8], v[5:6]
	s_waitcnt_depctr 0xfff
	v_fma_f64 v[13:14], -v[5:6], v[7:8], 1.0
	v_fma_f64 v[7:8], v[7:8], v[13:14], v[7:8]
	s_delay_alu instid0(VALU_DEP_1) | instskip(NEXT) | instid1(VALU_DEP_1)
	v_fma_f64 v[13:14], -v[5:6], v[7:8], 1.0
	v_fma_f64 v[7:8], v[7:8], v[13:14], v[7:8]
	s_delay_alu instid0(VALU_DEP_1) | instskip(NEXT) | instid1(VALU_DEP_1)
	v_mul_f64 v[13:14], v[24:25], v[7:8]
	v_fma_f64 v[5:6], -v[5:6], v[13:14], v[24:25]
	s_delay_alu instid0(VALU_DEP_1) | instskip(NEXT) | instid1(VALU_DEP_1)
	v_div_fmas_f64 v[5:6], v[5:6], v[7:8], v[13:14]
	v_div_fixup_f64 v[5:6], v[5:6], v[15:16], v[22:23]
	s_delay_alu instid0(VALU_DEP_1) | instskip(NEXT) | instid1(VALU_DEP_1)
	v_fma_f64 v[7:8], v[22:23], v[5:6], v[15:16]
	v_div_scale_f64 v[13:14], null, v[7:8], v[7:8], 1.0
	v_div_scale_f64 v[24:25], vcc_lo, 1.0, v[7:8], 1.0
	s_delay_alu instid0(VALU_DEP_2) | instskip(SKIP_2) | instid1(VALU_DEP_1)
	v_rcp_f64_e32 v[15:16], v[13:14]
	s_waitcnt_depctr 0xfff
	v_fma_f64 v[22:23], -v[13:14], v[15:16], 1.0
	v_fma_f64 v[15:16], v[15:16], v[22:23], v[15:16]
	s_delay_alu instid0(VALU_DEP_1) | instskip(NEXT) | instid1(VALU_DEP_1)
	v_fma_f64 v[22:23], -v[13:14], v[15:16], 1.0
	v_fma_f64 v[15:16], v[15:16], v[22:23], v[15:16]
	s_delay_alu instid0(VALU_DEP_1) | instskip(NEXT) | instid1(VALU_DEP_1)
	v_mul_f64 v[22:23], v[24:25], v[15:16]
	v_fma_f64 v[13:14], -v[13:14], v[22:23], v[24:25]
	s_delay_alu instid0(VALU_DEP_1) | instskip(SKIP_1) | instid1(VALU_DEP_2)
	v_div_fmas_f64 v[13:14], v[13:14], v[15:16], v[22:23]
	v_add_f64 v[15:16], v[5:6], 0
	v_div_fixup_f64 v[7:8], v[13:14], v[7:8], 1.0
	v_fma_f64 v[13:14], v[5:6], 0, -1.0
	s_delay_alu instid0(VALU_DEP_2) | instskip(NEXT) | instid1(VALU_DEP_2)
	v_mul_f64 v[5:6], v[15:16], v[7:8]
	v_mul_f64 v[7:8], v[13:14], v[7:8]
.LBB165_212:
	s_or_b32 exec_lo, exec_lo, s1
.LBB165_213:
	s_delay_alu instid0(SALU_CYCLE_1) | instskip(SKIP_4) | instid1(VALU_DEP_1)
	s_or_b32 exec_lo, exec_lo, s3
	s_waitcnt vmcnt(0)
	v_mov_b32_e32 v13, 0
	v_mov_b32_e32 v14, 0
	s_mov_b32 s3, exec_lo
	v_dual_mov_b32 v16, v14 :: v_dual_mov_b32 v15, v13
	v_cmpx_gt_i32_e64 s10, v26
	s_cbranch_execz .LBB165_255
; %bb.214:
	v_cmp_neq_f64_e32 vcc_lo, 0, v[17:18]
	v_cmp_neq_f64_e64 s1, 0, v[19:20]
	v_mov_b32_e32 v22, 0
	v_mov_b32_e32 v23, 0
	s_delay_alu instid0(VALU_DEP_3) | instskip(NEXT) | instid1(SALU_CYCLE_1)
	s_or_b32 s1, vcc_lo, s1
	s_and_saveexec_b32 s6, s1
	s_cbranch_execz .LBB165_246
; %bb.215:
	s_mov_b32 s12, 0
	s_mov_b32 s13, 0x7ff00000
	v_mov_b32_e32 v22, s12
	v_mov_b32_e32 v23, s13
	s_mov_b32 s7, exec_lo
	v_cmpx_neq_f64_e64 0x7ff00000, |v[19:20]|
	s_cbranch_execz .LBB165_245
; %bb.216:
	s_mov_b32 s1, exec_lo
	v_cmpx_o_f64_e32 v[17:18], v[17:18]
	s_xor_b32 s9, exec_lo, s1
	s_cbranch_execz .LBB165_242
; %bb.217:
	s_mov_b32 s2, exec_lo
	v_cmpx_neq_f64_e64 0x7ff00000, |v[17:18]|
	s_xor_b32 s11, exec_lo, s2
	s_cbranch_execz .LBB165_235
; %bb.218:
	v_max_f64 v[13:14], |v[19:20]|, |v[19:20]|
	v_max_f64 v[15:16], |v[17:18]|, |v[17:18]|
	s_mov_b32 s12, 0x99fcef32
	s_mov_b32 s13, 0x7fda8279
	s_delay_alu instid0(VALU_DEP_1) | instskip(NEXT) | instid1(VALU_DEP_1)
	v_max_f64 v[13:14], v[15:16], v[13:14]
	v_cmp_nle_f64_e64 s1, s[12:13], v[13:14]
                                        ; implicit-def: $sgpr12
	s_delay_alu instid0(VALU_DEP_1) | instskip(NEXT) | instid1(SALU_CYCLE_1)
	s_and_saveexec_b32 s2, s1
	s_xor_b32 s2, exec_lo, s2
	s_cbranch_execz .LBB165_222
; %bb.219:
	v_cmp_ge_f64_e64 s12, 0x200000, |v[17:18]|
	v_cmp_ge_f64_e64 s13, 0x200000, |v[19:20]|
	s_delay_alu instid0(VALU_DEP_1)
	s_and_b32 s14, s12, s13
	s_mov_b32 s12, 0
	s_and_saveexec_b32 s13, s14
; %bb.220:
	v_mul_f64 v[17:18], v[17:18], 4.0
	v_mul_f64 v[19:20], v[19:20], 4.0
	s_mov_b32 s12, exec_lo
; %bb.221:
	s_or_b32 exec_lo, exec_lo, s13
	s_delay_alu instid0(SALU_CYCLE_1)
	s_and_b32 s12, s12, exec_lo
.LBB165_222:
	s_and_not1_saveexec_b32 s2, s2
; %bb.223:
	s_delay_alu instid0(VALU_DEP_2) | instskip(NEXT) | instid1(VALU_DEP_2)
	v_ldexp_f64 v[17:18], v[17:18], -2
	v_ldexp_f64 v[19:20], v[19:20], -2
	s_and_not1_b32 s12, s12, exec_lo
; %bb.224:
	s_or_b32 exec_lo, exec_lo, s2
	s_delay_alu instid0(VALU_DEP_1) | instskip(NEXT) | instid1(VALU_DEP_3)
	v_max_f64 v[13:14], |v[19:20]|, |v[19:20]|
	v_max_f64 v[15:16], |v[17:18]|, |v[17:18]|
	v_cmp_class_f64_e64 s13, v[17:18], 0x204
	v_cmp_class_f64_e64 s14, v[19:20], 0x204
	v_cmp_le_f64_e64 s2, 0, v[17:18]
	s_delay_alu instid0(VALU_DEP_4) | instskip(NEXT) | instid1(VALU_DEP_3)
	v_max_f64 v[13:14], v[15:16], v[13:14]
	s_or_b32 s13, s14, s13
	s_delay_alu instid0(VALU_DEP_1) | instskip(NEXT) | instid1(VALU_DEP_1)
	v_frexp_exp_i32_f64_e32 v27, v[13:14]
	v_sub_nc_u32_e32 v15, 0, v27
	s_delay_alu instid0(VALU_DEP_1) | instskip(SKIP_1) | instid1(VALU_DEP_2)
	v_ldexp_f64 v[13:14], |v[19:20]|, v15
	v_ldexp_f64 v[15:16], |v[17:18]|, v15
	v_mul_f64 v[13:14], v[13:14], v[13:14]
	s_delay_alu instid0(VALU_DEP_1) | instskip(NEXT) | instid1(VALU_DEP_1)
	v_fma_f64 v[13:14], v[15:16], v[15:16], v[13:14]
	v_rsq_f64_e32 v[15:16], v[13:14]
	v_cmp_eq_f64_e32 vcc_lo, 0, v[13:14]
	s_waitcnt_depctr 0xfff
	v_mul_f64 v[22:23], v[13:14], v[15:16]
	v_mul_f64 v[15:16], v[15:16], 0.5
	s_delay_alu instid0(VALU_DEP_1) | instskip(NEXT) | instid1(VALU_DEP_1)
	v_fma_f64 v[24:25], -v[15:16], v[22:23], 0.5
	v_fma_f64 v[22:23], v[22:23], v[24:25], v[22:23]
	v_fma_f64 v[15:16], v[15:16], v[24:25], v[15:16]
	s_delay_alu instid0(VALU_DEP_2) | instskip(NEXT) | instid1(VALU_DEP_1)
	v_fma_f64 v[24:25], -v[22:23], v[22:23], v[13:14]
	v_fma_f64 v[15:16], v[24:25], v[15:16], v[22:23]
	s_delay_alu instid0(VALU_DEP_1) | instskip(SKIP_1) | instid1(VALU_DEP_2)
	v_dual_cndmask_b32 v14, v16, v14 :: v_dual_cndmask_b32 v13, v15, v13
	v_cmp_o_f64_e32 vcc_lo, v[19:20], v[19:20]
	v_ldexp_f64 v[13:14], v[13:14], v27
	s_delay_alu instid0(VALU_DEP_1) | instskip(NEXT) | instid1(VALU_DEP_2)
	v_cndmask_b32_e32 v13, 0, v13, vcc_lo
	v_cndmask_b32_e32 v14, 0x7ff80000, v14, vcc_lo
	s_delay_alu instid0(VALU_DEP_2) | instskip(NEXT) | instid1(VALU_DEP_2)
	v_cndmask_b32_e64 v13, v13, 0, s13
	v_cndmask_b32_e64 v14, v14, 0x7ff00000, s13
	s_and_saveexec_b32 s13, s2
	s_delay_alu instid0(SALU_CYCLE_1)
	s_xor_b32 s2, exec_lo, s13
	s_cbranch_execz .LBB165_230
; %bb.225:
	s_delay_alu instid0(VALU_DEP_1) | instskip(NEXT) | instid1(VALU_DEP_1)
	v_add_f64 v[13:14], v[17:18], v[13:14]
	v_mul_f64 v[13:14], v[13:14], 0.5
	s_delay_alu instid0(VALU_DEP_1) | instskip(SKIP_1) | instid1(VALU_DEP_1)
	v_cmp_gt_f64_e32 vcc_lo, 0x10000000, v[13:14]
	v_cndmask_b32_e64 v15, 0, 1, vcc_lo
	v_lshlrev_b32_e32 v15, 8, v15
	s_delay_alu instid0(VALU_DEP_1) | instskip(NEXT) | instid1(VALU_DEP_1)
	v_ldexp_f64 v[13:14], v[13:14], v15
	v_rsq_f64_e32 v[15:16], v[13:14]
	s_waitcnt_depctr 0xfff
	v_mul_f64 v[17:18], v[13:14], v[15:16]
	v_mul_f64 v[15:16], v[15:16], 0.5
	s_delay_alu instid0(VALU_DEP_1) | instskip(NEXT) | instid1(VALU_DEP_1)
	v_fma_f64 v[22:23], -v[15:16], v[17:18], 0.5
	v_fma_f64 v[17:18], v[17:18], v[22:23], v[17:18]
	v_fma_f64 v[15:16], v[15:16], v[22:23], v[15:16]
	s_delay_alu instid0(VALU_DEP_2) | instskip(NEXT) | instid1(VALU_DEP_1)
	v_fma_f64 v[22:23], -v[17:18], v[17:18], v[13:14]
	v_fma_f64 v[17:18], v[22:23], v[15:16], v[17:18]
	s_delay_alu instid0(VALU_DEP_1) | instskip(NEXT) | instid1(VALU_DEP_1)
	v_fma_f64 v[22:23], -v[17:18], v[17:18], v[13:14]
	v_fma_f64 v[15:16], v[22:23], v[15:16], v[17:18]
	v_cndmask_b32_e64 v17, 0, 0xffffff80, vcc_lo
	v_cmp_class_f64_e64 vcc_lo, v[13:14], 0x260
	s_delay_alu instid0(VALU_DEP_2) | instskip(NEXT) | instid1(VALU_DEP_1)
	v_ldexp_f64 v[15:16], v[15:16], v17
	v_dual_cndmask_b32 v18, v16, v14 :: v_dual_cndmask_b32 v17, v15, v13
	s_delay_alu instid0(VALU_DEP_1) | instskip(NEXT) | instid1(VALU_DEP_1)
	v_add_f64 v[13:14], v[17:18], v[17:18]
	v_div_scale_f64 v[15:16], null, v[13:14], v[13:14], v[19:20]
	s_delay_alu instid0(VALU_DEP_1) | instskip(SKIP_2) | instid1(VALU_DEP_1)
	v_rcp_f64_e32 v[22:23], v[15:16]
	s_waitcnt_depctr 0xfff
	v_fma_f64 v[24:25], -v[15:16], v[22:23], 1.0
	v_fma_f64 v[22:23], v[22:23], v[24:25], v[22:23]
	s_delay_alu instid0(VALU_DEP_1) | instskip(NEXT) | instid1(VALU_DEP_1)
	v_fma_f64 v[24:25], -v[15:16], v[22:23], 1.0
	v_fma_f64 v[22:23], v[22:23], v[24:25], v[22:23]
	v_div_scale_f64 v[24:25], vcc_lo, v[19:20], v[13:14], v[19:20]
	s_delay_alu instid0(VALU_DEP_1) | instskip(NEXT) | instid1(VALU_DEP_1)
	v_mul_f64 v[27:28], v[24:25], v[22:23]
	v_fma_f64 v[15:16], -v[15:16], v[27:28], v[24:25]
	s_delay_alu instid0(VALU_DEP_1) | instskip(NEXT) | instid1(VALU_DEP_1)
	v_div_fmas_f64 v[15:16], v[15:16], v[22:23], v[27:28]
	v_div_fixup_f64 v[19:20], v[15:16], v[13:14], v[19:20]
                                        ; implicit-def: $vgpr13_vgpr14
	s_and_not1_saveexec_b32 s2, s2
	s_cbranch_execnz .LBB165_231
.LBB165_226:
	s_or_b32 exec_lo, exec_lo, s2
	s_and_saveexec_b32 s2, s1
	s_delay_alu instid0(SALU_CYCLE_1)
	s_xor_b32 s1, exec_lo, s2
	s_cbranch_execz .LBB165_232
.LBB165_227:
	s_and_saveexec_b32 s2, s12
; %bb.228:
	s_delay_alu instid0(VALU_DEP_2) | instskip(NEXT) | instid1(VALU_DEP_2)
	v_mul_f64 v[17:18], v[17:18], 0.5
	v_mul_f64 v[19:20], v[19:20], 0.5
; %bb.229:
	s_or_b32 exec_lo, exec_lo, s2
	s_and_not1_saveexec_b32 s1, s1
	s_cbranch_execnz .LBB165_233
	s_branch .LBB165_234
.LBB165_230:
	s_and_not1_saveexec_b32 s2, s2
	s_cbranch_execz .LBB165_226
.LBB165_231:
	v_add_f64 v[13:14], v[13:14], -v[17:18]
	s_delay_alu instid0(VALU_DEP_1) | instskip(NEXT) | instid1(VALU_DEP_1)
	v_mul_f64 v[13:14], v[13:14], 0.5
	v_cmp_gt_f64_e32 vcc_lo, 0x10000000, v[13:14]
	v_cndmask_b32_e64 v15, 0, 1, vcc_lo
	s_delay_alu instid0(VALU_DEP_1) | instskip(NEXT) | instid1(VALU_DEP_1)
	v_lshlrev_b32_e32 v15, 8, v15
	v_ldexp_f64 v[13:14], v[13:14], v15
	s_delay_alu instid0(VALU_DEP_1) | instskip(SKIP_3) | instid1(VALU_DEP_1)
	v_rsq_f64_e32 v[15:16], v[13:14]
	s_waitcnt_depctr 0xfff
	v_mul_f64 v[17:18], v[13:14], v[15:16]
	v_mul_f64 v[15:16], v[15:16], 0.5
	v_fma_f64 v[22:23], -v[15:16], v[17:18], 0.5
	s_delay_alu instid0(VALU_DEP_1) | instskip(SKIP_1) | instid1(VALU_DEP_2)
	v_fma_f64 v[17:18], v[17:18], v[22:23], v[17:18]
	v_fma_f64 v[15:16], v[15:16], v[22:23], v[15:16]
	v_fma_f64 v[22:23], -v[17:18], v[17:18], v[13:14]
	s_delay_alu instid0(VALU_DEP_1) | instskip(NEXT) | instid1(VALU_DEP_1)
	v_fma_f64 v[17:18], v[22:23], v[15:16], v[17:18]
	v_fma_f64 v[22:23], -v[17:18], v[17:18], v[13:14]
	s_delay_alu instid0(VALU_DEP_1) | instskip(SKIP_3) | instid1(VALU_DEP_3)
	v_fma_f64 v[15:16], v[22:23], v[15:16], v[17:18]
	v_cndmask_b32_e64 v17, 0, 0xffffff80, vcc_lo
	v_cmp_class_f64_e64 vcc_lo, v[13:14], 0x260
	v_and_b32_e32 v18, 0x7fffffff, v20
	v_ldexp_f64 v[15:16], v[15:16], v17
	s_delay_alu instid0(VALU_DEP_1) | instskip(NEXT) | instid1(VALU_DEP_1)
	v_dual_cndmask_b32 v14, v16, v14 :: v_dual_cndmask_b32 v13, v15, v13
	v_add_f64 v[15:16], v[13:14], v[13:14]
	v_bfi_b32 v14, 0x7fffffff, v14, v20
	v_mov_b32_e32 v17, v19
	s_delay_alu instid0(VALU_DEP_1) | instskip(SKIP_1) | instid1(VALU_DEP_2)
	v_div_scale_f64 v[22:23], null, v[15:16], v[15:16], v[17:18]
	v_div_scale_f64 v[17:18], vcc_lo, v[17:18], v[15:16], v[17:18]
	v_rcp_f64_e32 v[24:25], v[22:23]
	s_waitcnt_depctr 0xfff
	v_fma_f64 v[27:28], -v[22:23], v[24:25], 1.0
	s_delay_alu instid0(VALU_DEP_1) | instskip(NEXT) | instid1(VALU_DEP_1)
	v_fma_f64 v[24:25], v[24:25], v[27:28], v[24:25]
	v_fma_f64 v[27:28], -v[22:23], v[24:25], 1.0
	s_delay_alu instid0(VALU_DEP_1) | instskip(NEXT) | instid1(VALU_DEP_1)
	v_fma_f64 v[24:25], v[24:25], v[27:28], v[24:25]
	v_mul_f64 v[27:28], v[17:18], v[24:25]
	s_delay_alu instid0(VALU_DEP_1) | instskip(NEXT) | instid1(VALU_DEP_1)
	v_fma_f64 v[17:18], -v[22:23], v[27:28], v[17:18]
	v_div_fmas_f64 v[17:18], v[17:18], v[24:25], v[27:28]
	s_delay_alu instid0(VALU_DEP_1) | instskip(SKIP_3) | instid1(SALU_CYCLE_1)
	v_div_fixup_f64 v[17:18], v[17:18], v[15:16], |v[19:20]|
	v_dual_mov_b32 v20, v14 :: v_dual_mov_b32 v19, v13
	s_or_b32 exec_lo, exec_lo, s2
	s_and_saveexec_b32 s2, s1
	s_xor_b32 s1, exec_lo, s2
	s_cbranch_execnz .LBB165_227
.LBB165_232:
	s_and_not1_saveexec_b32 s1, s1
.LBB165_233:
	s_delay_alu instid0(VALU_DEP_2) | instskip(NEXT) | instid1(VALU_DEP_2)
	v_add_f64 v[17:18], v[17:18], v[17:18]
	v_add_f64 v[19:20], v[19:20], v[19:20]
.LBB165_234:
	s_or_b32 exec_lo, exec_lo, s1
.LBB165_235:
	s_and_not1_saveexec_b32 s1, s11
	s_cbranch_execz .LBB165_241
; %bb.236:
	s_delay_alu instid0(VALU_DEP_1) | instskip(SKIP_1) | instid1(VALU_DEP_3)
	v_add_f64 v[13:14], v[19:20], -v[19:20]
	s_mov_b32 s2, exec_lo
	v_cmpx_lt_i64_e32 -1, v[17:18]
	s_xor_b32 s2, exec_lo, s2
; %bb.237:
	s_delay_alu instid0(VALU_DEP_2) | instskip(NEXT) | instid1(VALU_DEP_1)
	v_bfi_b32 v14, 0x7fffffff, v14, v20
	v_dual_mov_b32 v20, v14 :: v_dual_mov_b32 v19, v13
                                        ; implicit-def: $vgpr13_vgpr14
; %bb.238:
	s_and_not1_saveexec_b32 s2, s2
; %bb.239:
	s_delay_alu instid0(VALU_DEP_1) | instskip(SKIP_1) | instid1(VALU_DEP_2)
	v_bfi_b32 v18, 0x7fffffff, v18, v20
	v_and_b32_e32 v14, 0x7fffffff, v14
	v_dual_mov_b32 v20, v18 :: v_dual_mov_b32 v19, v17
	s_delay_alu instid0(VALU_DEP_2)
	v_dual_mov_b32 v18, v14 :: v_dual_mov_b32 v17, v13
; %bb.240:
	s_or_b32 exec_lo, exec_lo, s2
.LBB165_241:
	s_delay_alu instid0(SALU_CYCLE_1)
	s_or_b32 exec_lo, exec_lo, s1
.LBB165_242:
	s_and_not1_saveexec_b32 s1, s9
; %bb.243:
	s_delay_alu instid0(VALU_DEP_1) | instskip(NEXT) | instid1(VALU_DEP_1)
	v_add_f64 v[13:14], v[19:20], -v[19:20]
	v_div_scale_f64 v[15:16], vcc_lo, v[13:14], v[13:14], v[13:14]
	s_delay_alu instid0(VALU_DEP_1) | instskip(SKIP_2) | instid1(VALU_DEP_1)
	v_rcp_f64_e32 v[19:20], v[15:16]
	s_waitcnt_depctr 0xfff
	v_fma_f64 v[22:23], -v[15:16], v[19:20], 1.0
	v_fma_f64 v[19:20], v[19:20], v[22:23], v[19:20]
	s_delay_alu instid0(VALU_DEP_1) | instskip(NEXT) | instid1(VALU_DEP_1)
	v_fma_f64 v[22:23], -v[15:16], v[19:20], 1.0
	v_fma_f64 v[19:20], v[19:20], v[22:23], v[19:20]
	s_delay_alu instid0(VALU_DEP_1) | instskip(NEXT) | instid1(VALU_DEP_1)
	v_mul_f64 v[22:23], v[15:16], v[19:20]
	v_fma_f64 v[15:16], -v[15:16], v[22:23], v[15:16]
	s_delay_alu instid0(VALU_DEP_1) | instskip(NEXT) | instid1(VALU_DEP_1)
	v_div_fmas_f64 v[15:16], v[15:16], v[19:20], v[22:23]
	v_div_fixup_f64 v[19:20], v[15:16], v[13:14], v[13:14]
; %bb.244:
	s_or_b32 exec_lo, exec_lo, s1
	v_dual_mov_b32 v23, v18 :: v_dual_mov_b32 v22, v17
.LBB165_245:
	s_or_b32 exec_lo, exec_lo, s7
.LBB165_246:
	s_delay_alu instid0(SALU_CYCLE_1) | instskip(NEXT) | instid1(VALU_DEP_1)
	s_or_b32 exec_lo, exec_lo, s6
	v_cmp_gt_f64_e32 vcc_lo, 0, v[22:23]
	s_delay_alu instid0(VALU_DEP_3) | instskip(SKIP_2) | instid1(VALU_DEP_2)
	v_cmp_gt_f64_e64 s1, 0, v[19:20]
	v_xor_b32_e32 v13, 0x80000000, v23
	v_xor_b32_e32 v14, 0x80000000, v20
	v_dual_cndmask_b32 v18, v23, v13 :: v_dual_cndmask_b32 v17, v22, v22
	s_delay_alu instid0(VALU_DEP_2) | instskip(SKIP_2) | instid1(VALU_DEP_1)
	v_cndmask_b32_e64 v25, v20, v14, s1
	v_cndmask_b32_e64 v24, v19, v19, s1
                                        ; implicit-def: $vgpr13_vgpr14
	s_mov_b32 s1, exec_lo
	v_cmpx_ge_f64_e32 v[17:18], v[24:25]
	s_xor_b32 s2, exec_lo, s1
	s_cbranch_execz .LBB165_252
; %bb.247:
	v_cmp_neq_f64_e32 vcc_lo, 0, v[22:23]
	v_cmp_neq_f64_e64 s1, 0, v[19:20]
                                        ; implicit-def: $vgpr13_vgpr14
	s_delay_alu instid0(VALU_DEP_1) | instskip(NEXT) | instid1(SALU_CYCLE_1)
	s_or_b32 s1, vcc_lo, s1
	s_and_saveexec_b32 s6, s1
	s_delay_alu instid0(SALU_CYCLE_1)
	s_xor_b32 s1, exec_lo, s6
	s_cbranch_execz .LBB165_249
; %bb.248:
	v_div_scale_f64 v[13:14], null, v[22:23], v[22:23], v[19:20]
	v_div_scale_f64 v[24:25], vcc_lo, v[19:20], v[22:23], v[19:20]
	s_delay_alu instid0(VALU_DEP_2) | instskip(SKIP_2) | instid1(VALU_DEP_1)
	v_rcp_f64_e32 v[15:16], v[13:14]
	s_waitcnt_depctr 0xfff
	v_fma_f64 v[17:18], -v[13:14], v[15:16], 1.0
	v_fma_f64 v[15:16], v[15:16], v[17:18], v[15:16]
	s_delay_alu instid0(VALU_DEP_1) | instskip(NEXT) | instid1(VALU_DEP_1)
	v_fma_f64 v[17:18], -v[13:14], v[15:16], 1.0
	v_fma_f64 v[15:16], v[15:16], v[17:18], v[15:16]
	s_delay_alu instid0(VALU_DEP_1) | instskip(NEXT) | instid1(VALU_DEP_1)
	v_mul_f64 v[17:18], v[24:25], v[15:16]
	v_fma_f64 v[13:14], -v[13:14], v[17:18], v[24:25]
	s_delay_alu instid0(VALU_DEP_1) | instskip(NEXT) | instid1(VALU_DEP_1)
	v_div_fmas_f64 v[13:14], v[13:14], v[15:16], v[17:18]
	v_div_fixup_f64 v[13:14], v[13:14], v[22:23], v[19:20]
	s_delay_alu instid0(VALU_DEP_1) | instskip(NEXT) | instid1(VALU_DEP_1)
	v_fma_f64 v[15:16], v[19:20], v[13:14], v[22:23]
	v_div_scale_f64 v[17:18], null, v[15:16], v[15:16], 1.0
	v_div_scale_f64 v[24:25], vcc_lo, 1.0, v[15:16], 1.0
	s_delay_alu instid0(VALU_DEP_2) | instskip(SKIP_2) | instid1(VALU_DEP_1)
	v_rcp_f64_e32 v[19:20], v[17:18]
	s_waitcnt_depctr 0xfff
	v_fma_f64 v[22:23], -v[17:18], v[19:20], 1.0
	v_fma_f64 v[19:20], v[19:20], v[22:23], v[19:20]
	s_delay_alu instid0(VALU_DEP_1) | instskip(NEXT) | instid1(VALU_DEP_1)
	v_fma_f64 v[22:23], -v[17:18], v[19:20], 1.0
	v_fma_f64 v[19:20], v[19:20], v[22:23], v[19:20]
	s_delay_alu instid0(VALU_DEP_1) | instskip(NEXT) | instid1(VALU_DEP_1)
	v_mul_f64 v[22:23], v[24:25], v[19:20]
	v_fma_f64 v[17:18], -v[17:18], v[22:23], v[24:25]
                                        ; implicit-def: $vgpr24_vgpr25
	s_delay_alu instid0(VALU_DEP_1) | instskip(SKIP_1) | instid1(VALU_DEP_2)
	v_div_fmas_f64 v[17:18], v[17:18], v[19:20], v[22:23]
	v_fma_f64 v[19:20], v[13:14], 0, 1.0
	v_div_fixup_f64 v[15:16], v[17:18], v[15:16], 1.0
	v_add_f64 v[17:18], -v[13:14], 0
	s_delay_alu instid0(VALU_DEP_2) | instskip(NEXT) | instid1(VALU_DEP_2)
	v_mul_f64 v[13:14], v[19:20], v[15:16]
	v_mul_f64 v[15:16], v[17:18], v[15:16]
                                        ; implicit-def: $vgpr17_vgpr18
.LBB165_249:
	s_and_not1_saveexec_b32 s6, s1
	s_cbranch_execz .LBB165_251
; %bb.250:
	v_div_scale_f64 v[13:14], null, v[17:18], v[17:18], 1.0
	v_div_scale_f64 v[15:16], null, v[24:25], v[24:25], 0
	v_div_scale_f64 v[31:32], vcc_lo, 1.0, v[17:18], 1.0
	s_delay_alu instid0(VALU_DEP_3) | instskip(NEXT) | instid1(VALU_DEP_2)
	v_rcp_f64_e32 v[19:20], v[13:14]
	v_rcp_f64_e32 v[22:23], v[15:16]
	s_waitcnt_depctr 0xfff
	v_fma_f64 v[27:28], -v[13:14], v[19:20], 1.0
	v_fma_f64 v[29:30], -v[15:16], v[22:23], 1.0
	s_delay_alu instid0(VALU_DEP_2) | instskip(NEXT) | instid1(VALU_DEP_2)
	v_fma_f64 v[19:20], v[19:20], v[27:28], v[19:20]
	v_fma_f64 v[22:23], v[22:23], v[29:30], v[22:23]
	s_delay_alu instid0(VALU_DEP_2) | instskip(NEXT) | instid1(VALU_DEP_2)
	v_fma_f64 v[27:28], -v[13:14], v[19:20], 1.0
	v_fma_f64 v[29:30], -v[15:16], v[22:23], 1.0
	s_delay_alu instid0(VALU_DEP_2) | instskip(SKIP_1) | instid1(VALU_DEP_3)
	v_fma_f64 v[19:20], v[19:20], v[27:28], v[19:20]
	v_div_scale_f64 v[27:28], s1, 0, v[24:25], 0
	v_fma_f64 v[22:23], v[22:23], v[29:30], v[22:23]
	s_delay_alu instid0(VALU_DEP_3) | instskip(NEXT) | instid1(VALU_DEP_2)
	v_mul_f64 v[29:30], v[31:32], v[19:20]
	v_mul_f64 v[33:34], v[27:28], v[22:23]
	s_delay_alu instid0(VALU_DEP_2) | instskip(NEXT) | instid1(VALU_DEP_2)
	v_fma_f64 v[13:14], -v[13:14], v[29:30], v[31:32]
	v_fma_f64 v[15:16], -v[15:16], v[33:34], v[27:28]
	s_delay_alu instid0(VALU_DEP_2) | instskip(SKIP_1) | instid1(VALU_DEP_2)
	v_div_fmas_f64 v[13:14], v[13:14], v[19:20], v[29:30]
	s_mov_b32 vcc_lo, s1
	v_div_fmas_f64 v[15:16], v[15:16], v[22:23], v[33:34]
	s_delay_alu instid0(VALU_DEP_2) | instskip(NEXT) | instid1(VALU_DEP_2)
	v_div_fixup_f64 v[13:14], v[13:14], v[17:18], 1.0
	v_div_fixup_f64 v[15:16], v[15:16], v[24:25], 0
.LBB165_251:
	s_or_b32 exec_lo, exec_lo, s6
                                        ; implicit-def: $vgpr19_vgpr20
                                        ; implicit-def: $vgpr22_vgpr23
.LBB165_252:
	s_and_not1_saveexec_b32 s1, s2
	s_cbranch_execz .LBB165_254
; %bb.253:
	v_div_scale_f64 v[13:14], null, v[19:20], v[19:20], v[22:23]
	v_div_scale_f64 v[24:25], vcc_lo, v[22:23], v[19:20], v[22:23]
	s_delay_alu instid0(VALU_DEP_2) | instskip(SKIP_2) | instid1(VALU_DEP_1)
	v_rcp_f64_e32 v[15:16], v[13:14]
	s_waitcnt_depctr 0xfff
	v_fma_f64 v[17:18], -v[13:14], v[15:16], 1.0
	v_fma_f64 v[15:16], v[15:16], v[17:18], v[15:16]
	s_delay_alu instid0(VALU_DEP_1) | instskip(NEXT) | instid1(VALU_DEP_1)
	v_fma_f64 v[17:18], -v[13:14], v[15:16], 1.0
	v_fma_f64 v[15:16], v[15:16], v[17:18], v[15:16]
	s_delay_alu instid0(VALU_DEP_1) | instskip(NEXT) | instid1(VALU_DEP_1)
	v_mul_f64 v[17:18], v[24:25], v[15:16]
	v_fma_f64 v[13:14], -v[13:14], v[17:18], v[24:25]
	s_delay_alu instid0(VALU_DEP_1) | instskip(NEXT) | instid1(VALU_DEP_1)
	v_div_fmas_f64 v[13:14], v[13:14], v[15:16], v[17:18]
	v_div_fixup_f64 v[13:14], v[13:14], v[19:20], v[22:23]
	s_delay_alu instid0(VALU_DEP_1) | instskip(NEXT) | instid1(VALU_DEP_1)
	v_fma_f64 v[15:16], v[22:23], v[13:14], v[19:20]
	v_div_scale_f64 v[17:18], null, v[15:16], v[15:16], 1.0
	v_div_scale_f64 v[24:25], vcc_lo, 1.0, v[15:16], 1.0
	s_delay_alu instid0(VALU_DEP_2) | instskip(SKIP_2) | instid1(VALU_DEP_1)
	v_rcp_f64_e32 v[19:20], v[17:18]
	s_waitcnt_depctr 0xfff
	v_fma_f64 v[22:23], -v[17:18], v[19:20], 1.0
	v_fma_f64 v[19:20], v[19:20], v[22:23], v[19:20]
	s_delay_alu instid0(VALU_DEP_1) | instskip(NEXT) | instid1(VALU_DEP_1)
	v_fma_f64 v[22:23], -v[17:18], v[19:20], 1.0
	v_fma_f64 v[19:20], v[19:20], v[22:23], v[19:20]
	s_delay_alu instid0(VALU_DEP_1) | instskip(NEXT) | instid1(VALU_DEP_1)
	v_mul_f64 v[22:23], v[24:25], v[19:20]
	v_fma_f64 v[17:18], -v[17:18], v[22:23], v[24:25]
	s_delay_alu instid0(VALU_DEP_1) | instskip(SKIP_1) | instid1(VALU_DEP_2)
	v_div_fmas_f64 v[17:18], v[17:18], v[19:20], v[22:23]
	v_add_f64 v[19:20], v[13:14], 0
	v_div_fixup_f64 v[15:16], v[17:18], v[15:16], 1.0
	v_fma_f64 v[17:18], v[13:14], 0, -1.0
	s_delay_alu instid0(VALU_DEP_2) | instskip(NEXT) | instid1(VALU_DEP_2)
	v_mul_f64 v[13:14], v[19:20], v[15:16]
	v_mul_f64 v[15:16], v[17:18], v[15:16]
.LBB165_254:
	s_or_b32 exec_lo, exec_lo, s1
.LBB165_255:
	s_delay_alu instid0(SALU_CYCLE_1) | instskip(SKIP_3) | instid1(VALU_DEP_2)
	s_or_b32 exec_lo, exec_lo, s3
	v_mov_b32_e32 v17, 0
	v_or_b32_e32 v19, 0x200, v0
	v_mov_b32_e32 v18, 0
	v_cmp_gt_i32_e32 vcc_lo, s10, v19
	s_delay_alu instid0(VALU_DEP_2)
	v_dual_mov_b32 v20, v18 :: v_dual_mov_b32 v19, v17
	s_and_saveexec_b32 s3, vcc_lo
	s_cbranch_execz .LBB165_297
; %bb.256:
	v_cmp_neq_f64_e32 vcc_lo, 0, v[9:10]
	v_cmp_neq_f64_e64 s1, 0, v[11:12]
	v_mov_b32_e32 v22, 0
	v_mov_b32_e32 v23, 0
	s_delay_alu instid0(VALU_DEP_3) | instskip(NEXT) | instid1(SALU_CYCLE_1)
	s_or_b32 s1, vcc_lo, s1
	s_and_saveexec_b32 s6, s1
	s_cbranch_execz .LBB165_288
; %bb.257:
	s_mov_b32 s12, 0
	s_mov_b32 s13, 0x7ff00000
	v_mov_b32_e32 v22, s12
	v_mov_b32_e32 v23, s13
	s_mov_b32 s7, exec_lo
	v_cmpx_neq_f64_e64 0x7ff00000, |v[11:12]|
	s_cbranch_execz .LBB165_287
; %bb.258:
	s_mov_b32 s1, exec_lo
	v_cmpx_o_f64_e32 v[9:10], v[9:10]
	s_xor_b32 s9, exec_lo, s1
	s_cbranch_execz .LBB165_284
; %bb.259:
	s_mov_b32 s2, exec_lo
	v_cmpx_neq_f64_e64 0x7ff00000, |v[9:10]|
	s_xor_b32 s11, exec_lo, s2
	s_cbranch_execz .LBB165_277
; %bb.260:
	v_max_f64 v[17:18], |v[11:12]|, |v[11:12]|
	v_max_f64 v[19:20], |v[9:10]|, |v[9:10]|
	s_mov_b32 s12, 0x99fcef32
	s_mov_b32 s13, 0x7fda8279
	s_delay_alu instid0(VALU_DEP_1) | instskip(NEXT) | instid1(VALU_DEP_1)
	v_max_f64 v[17:18], v[19:20], v[17:18]
	v_cmp_nle_f64_e64 s1, s[12:13], v[17:18]
                                        ; implicit-def: $sgpr12
	s_delay_alu instid0(VALU_DEP_1) | instskip(NEXT) | instid1(SALU_CYCLE_1)
	s_and_saveexec_b32 s2, s1
	s_xor_b32 s2, exec_lo, s2
	s_cbranch_execz .LBB165_264
; %bb.261:
	v_cmp_ge_f64_e64 s12, 0x200000, |v[9:10]|
	v_cmp_ge_f64_e64 s13, 0x200000, |v[11:12]|
	s_delay_alu instid0(VALU_DEP_1)
	s_and_b32 s14, s12, s13
	s_mov_b32 s12, 0
	s_and_saveexec_b32 s13, s14
; %bb.262:
	v_mul_f64 v[9:10], v[9:10], 4.0
	v_mul_f64 v[11:12], v[11:12], 4.0
	s_mov_b32 s12, exec_lo
; %bb.263:
	s_or_b32 exec_lo, exec_lo, s13
	s_delay_alu instid0(SALU_CYCLE_1)
	s_and_b32 s12, s12, exec_lo
.LBB165_264:
	s_and_not1_saveexec_b32 s2, s2
; %bb.265:
	s_delay_alu instid0(VALU_DEP_2) | instskip(NEXT) | instid1(VALU_DEP_2)
	v_ldexp_f64 v[9:10], v[9:10], -2
	v_ldexp_f64 v[11:12], v[11:12], -2
	s_and_not1_b32 s12, s12, exec_lo
; %bb.266:
	s_or_b32 exec_lo, exec_lo, s2
	s_delay_alu instid0(VALU_DEP_1) | instskip(NEXT) | instid1(VALU_DEP_3)
	v_max_f64 v[17:18], |v[11:12]|, |v[11:12]|
	v_max_f64 v[19:20], |v[9:10]|, |v[9:10]|
	v_cmp_class_f64_e64 s13, v[9:10], 0x204
	v_cmp_class_f64_e64 s14, v[11:12], 0x204
	v_cmp_le_f64_e64 s2, 0, v[9:10]
	s_delay_alu instid0(VALU_DEP_4) | instskip(NEXT) | instid1(VALU_DEP_3)
	v_max_f64 v[17:18], v[19:20], v[17:18]
	s_or_b32 s13, s14, s13
	s_delay_alu instid0(VALU_DEP_1) | instskip(NEXT) | instid1(VALU_DEP_1)
	v_frexp_exp_i32_f64_e32 v27, v[17:18]
	v_sub_nc_u32_e32 v19, 0, v27
	s_delay_alu instid0(VALU_DEP_1) | instskip(SKIP_1) | instid1(VALU_DEP_2)
	v_ldexp_f64 v[17:18], |v[11:12]|, v19
	v_ldexp_f64 v[19:20], |v[9:10]|, v19
	v_mul_f64 v[17:18], v[17:18], v[17:18]
	s_delay_alu instid0(VALU_DEP_1) | instskip(NEXT) | instid1(VALU_DEP_1)
	v_fma_f64 v[17:18], v[19:20], v[19:20], v[17:18]
	v_rsq_f64_e32 v[19:20], v[17:18]
	v_cmp_eq_f64_e32 vcc_lo, 0, v[17:18]
	s_waitcnt_depctr 0xfff
	v_mul_f64 v[22:23], v[17:18], v[19:20]
	v_mul_f64 v[19:20], v[19:20], 0.5
	s_delay_alu instid0(VALU_DEP_1) | instskip(NEXT) | instid1(VALU_DEP_1)
	v_fma_f64 v[24:25], -v[19:20], v[22:23], 0.5
	v_fma_f64 v[22:23], v[22:23], v[24:25], v[22:23]
	v_fma_f64 v[19:20], v[19:20], v[24:25], v[19:20]
	s_delay_alu instid0(VALU_DEP_2) | instskip(NEXT) | instid1(VALU_DEP_1)
	v_fma_f64 v[24:25], -v[22:23], v[22:23], v[17:18]
	v_fma_f64 v[19:20], v[24:25], v[19:20], v[22:23]
	s_delay_alu instid0(VALU_DEP_1) | instskip(SKIP_1) | instid1(VALU_DEP_2)
	v_dual_cndmask_b32 v18, v20, v18 :: v_dual_cndmask_b32 v17, v19, v17
	v_cmp_o_f64_e32 vcc_lo, v[11:12], v[11:12]
	v_ldexp_f64 v[17:18], v[17:18], v27
	s_delay_alu instid0(VALU_DEP_1) | instskip(NEXT) | instid1(VALU_DEP_2)
	v_cndmask_b32_e32 v17, 0, v17, vcc_lo
	v_cndmask_b32_e32 v18, 0x7ff80000, v18, vcc_lo
	s_delay_alu instid0(VALU_DEP_2) | instskip(NEXT) | instid1(VALU_DEP_2)
	v_cndmask_b32_e64 v17, v17, 0, s13
	v_cndmask_b32_e64 v18, v18, 0x7ff00000, s13
	s_and_saveexec_b32 s13, s2
	s_delay_alu instid0(SALU_CYCLE_1)
	s_xor_b32 s2, exec_lo, s13
	s_cbranch_execz .LBB165_272
; %bb.267:
	s_delay_alu instid0(VALU_DEP_1) | instskip(NEXT) | instid1(VALU_DEP_1)
	v_add_f64 v[9:10], v[9:10], v[17:18]
	v_mul_f64 v[9:10], v[9:10], 0.5
	s_delay_alu instid0(VALU_DEP_1) | instskip(SKIP_1) | instid1(VALU_DEP_1)
	v_cmp_gt_f64_e32 vcc_lo, 0x10000000, v[9:10]
	v_cndmask_b32_e64 v17, 0, 1, vcc_lo
	v_lshlrev_b32_e32 v17, 8, v17
	s_delay_alu instid0(VALU_DEP_1) | instskip(NEXT) | instid1(VALU_DEP_1)
	v_ldexp_f64 v[9:10], v[9:10], v17
	v_rsq_f64_e32 v[17:18], v[9:10]
	s_waitcnt_depctr 0xfff
	v_mul_f64 v[19:20], v[9:10], v[17:18]
	v_mul_f64 v[17:18], v[17:18], 0.5
	s_delay_alu instid0(VALU_DEP_1) | instskip(NEXT) | instid1(VALU_DEP_1)
	v_fma_f64 v[22:23], -v[17:18], v[19:20], 0.5
	v_fma_f64 v[19:20], v[19:20], v[22:23], v[19:20]
	v_fma_f64 v[17:18], v[17:18], v[22:23], v[17:18]
	s_delay_alu instid0(VALU_DEP_2) | instskip(NEXT) | instid1(VALU_DEP_1)
	v_fma_f64 v[22:23], -v[19:20], v[19:20], v[9:10]
	v_fma_f64 v[19:20], v[22:23], v[17:18], v[19:20]
	s_delay_alu instid0(VALU_DEP_1) | instskip(NEXT) | instid1(VALU_DEP_1)
	v_fma_f64 v[22:23], -v[19:20], v[19:20], v[9:10]
	v_fma_f64 v[17:18], v[22:23], v[17:18], v[19:20]
	v_cndmask_b32_e64 v19, 0, 0xffffff80, vcc_lo
	v_cmp_class_f64_e64 vcc_lo, v[9:10], 0x260
	s_delay_alu instid0(VALU_DEP_2) | instskip(NEXT) | instid1(VALU_DEP_1)
	v_ldexp_f64 v[17:18], v[17:18], v19
	v_dual_cndmask_b32 v10, v18, v10 :: v_dual_cndmask_b32 v9, v17, v9
	s_delay_alu instid0(VALU_DEP_1) | instskip(NEXT) | instid1(VALU_DEP_1)
	v_add_f64 v[17:18], v[9:10], v[9:10]
	v_div_scale_f64 v[19:20], null, v[17:18], v[17:18], v[11:12]
	s_delay_alu instid0(VALU_DEP_1) | instskip(SKIP_2) | instid1(VALU_DEP_1)
	v_rcp_f64_e32 v[22:23], v[19:20]
	s_waitcnt_depctr 0xfff
	v_fma_f64 v[24:25], -v[19:20], v[22:23], 1.0
	v_fma_f64 v[22:23], v[22:23], v[24:25], v[22:23]
	s_delay_alu instid0(VALU_DEP_1) | instskip(NEXT) | instid1(VALU_DEP_1)
	v_fma_f64 v[24:25], -v[19:20], v[22:23], 1.0
	v_fma_f64 v[22:23], v[22:23], v[24:25], v[22:23]
	v_div_scale_f64 v[24:25], vcc_lo, v[11:12], v[17:18], v[11:12]
	s_delay_alu instid0(VALU_DEP_1) | instskip(NEXT) | instid1(VALU_DEP_1)
	v_mul_f64 v[27:28], v[24:25], v[22:23]
	v_fma_f64 v[19:20], -v[19:20], v[27:28], v[24:25]
	s_delay_alu instid0(VALU_DEP_1) | instskip(NEXT) | instid1(VALU_DEP_1)
	v_div_fmas_f64 v[19:20], v[19:20], v[22:23], v[27:28]
	v_div_fixup_f64 v[11:12], v[19:20], v[17:18], v[11:12]
                                        ; implicit-def: $vgpr17_vgpr18
	s_and_not1_saveexec_b32 s2, s2
	s_cbranch_execnz .LBB165_273
.LBB165_268:
	s_or_b32 exec_lo, exec_lo, s2
	s_and_saveexec_b32 s2, s1
	s_delay_alu instid0(SALU_CYCLE_1)
	s_xor_b32 s1, exec_lo, s2
	s_cbranch_execz .LBB165_274
.LBB165_269:
	s_and_saveexec_b32 s2, s12
; %bb.270:
	s_delay_alu instid0(VALU_DEP_2) | instskip(NEXT) | instid1(VALU_DEP_2)
	v_mul_f64 v[9:10], v[9:10], 0.5
	v_mul_f64 v[11:12], v[11:12], 0.5
; %bb.271:
	s_or_b32 exec_lo, exec_lo, s2
	s_and_not1_saveexec_b32 s1, s1
	s_cbranch_execnz .LBB165_275
	s_branch .LBB165_276
.LBB165_272:
	s_and_not1_saveexec_b32 s2, s2
	s_cbranch_execz .LBB165_268
.LBB165_273:
	v_add_f64 v[9:10], v[17:18], -v[9:10]
	s_delay_alu instid0(VALU_DEP_1) | instskip(NEXT) | instid1(VALU_DEP_1)
	v_mul_f64 v[9:10], v[9:10], 0.5
	v_cmp_gt_f64_e32 vcc_lo, 0x10000000, v[9:10]
	v_cndmask_b32_e64 v17, 0, 1, vcc_lo
	s_delay_alu instid0(VALU_DEP_1) | instskip(NEXT) | instid1(VALU_DEP_1)
	v_lshlrev_b32_e32 v17, 8, v17
	v_ldexp_f64 v[9:10], v[9:10], v17
	s_delay_alu instid0(VALU_DEP_1) | instskip(SKIP_3) | instid1(VALU_DEP_1)
	v_rsq_f64_e32 v[17:18], v[9:10]
	s_waitcnt_depctr 0xfff
	v_mul_f64 v[19:20], v[9:10], v[17:18]
	v_mul_f64 v[17:18], v[17:18], 0.5
	v_fma_f64 v[22:23], -v[17:18], v[19:20], 0.5
	s_delay_alu instid0(VALU_DEP_1) | instskip(SKIP_1) | instid1(VALU_DEP_2)
	v_fma_f64 v[19:20], v[19:20], v[22:23], v[19:20]
	v_fma_f64 v[17:18], v[17:18], v[22:23], v[17:18]
	v_fma_f64 v[22:23], -v[19:20], v[19:20], v[9:10]
	s_delay_alu instid0(VALU_DEP_1) | instskip(NEXT) | instid1(VALU_DEP_1)
	v_fma_f64 v[19:20], v[22:23], v[17:18], v[19:20]
	v_fma_f64 v[22:23], -v[19:20], v[19:20], v[9:10]
	s_delay_alu instid0(VALU_DEP_1) | instskip(SKIP_3) | instid1(VALU_DEP_3)
	v_fma_f64 v[17:18], v[22:23], v[17:18], v[19:20]
	v_cndmask_b32_e64 v19, 0, 0xffffff80, vcc_lo
	v_cmp_class_f64_e64 vcc_lo, v[9:10], 0x260
	v_and_b32_e32 v20, 0x7fffffff, v12
	v_ldexp_f64 v[17:18], v[17:18], v19
	s_delay_alu instid0(VALU_DEP_1) | instskip(NEXT) | instid1(VALU_DEP_1)
	v_dual_cndmask_b32 v18, v18, v10 :: v_dual_cndmask_b32 v17, v17, v9
	v_add_f64 v[9:10], v[17:18], v[17:18]
	v_bfi_b32 v18, 0x7fffffff, v18, v12
	v_mov_b32_e32 v19, v11
	s_delay_alu instid0(VALU_DEP_1) | instskip(SKIP_1) | instid1(VALU_DEP_2)
	v_div_scale_f64 v[22:23], null, v[9:10], v[9:10], v[19:20]
	v_div_scale_f64 v[19:20], vcc_lo, v[19:20], v[9:10], v[19:20]
	v_rcp_f64_e32 v[24:25], v[22:23]
	s_waitcnt_depctr 0xfff
	v_fma_f64 v[27:28], -v[22:23], v[24:25], 1.0
	s_delay_alu instid0(VALU_DEP_1) | instskip(NEXT) | instid1(VALU_DEP_1)
	v_fma_f64 v[24:25], v[24:25], v[27:28], v[24:25]
	v_fma_f64 v[27:28], -v[22:23], v[24:25], 1.0
	s_delay_alu instid0(VALU_DEP_1) | instskip(NEXT) | instid1(VALU_DEP_1)
	v_fma_f64 v[24:25], v[24:25], v[27:28], v[24:25]
	v_mul_f64 v[27:28], v[19:20], v[24:25]
	s_delay_alu instid0(VALU_DEP_1) | instskip(NEXT) | instid1(VALU_DEP_1)
	v_fma_f64 v[19:20], -v[22:23], v[27:28], v[19:20]
	v_div_fmas_f64 v[19:20], v[19:20], v[24:25], v[27:28]
	s_delay_alu instid0(VALU_DEP_1) | instskip(SKIP_3) | instid1(SALU_CYCLE_1)
	v_div_fixup_f64 v[9:10], v[19:20], v[9:10], |v[11:12]|
	v_dual_mov_b32 v11, v17 :: v_dual_mov_b32 v12, v18
	s_or_b32 exec_lo, exec_lo, s2
	s_and_saveexec_b32 s2, s1
	s_xor_b32 s1, exec_lo, s2
	s_cbranch_execnz .LBB165_269
.LBB165_274:
	s_and_not1_saveexec_b32 s1, s1
.LBB165_275:
	s_delay_alu instid0(VALU_DEP_2) | instskip(NEXT) | instid1(VALU_DEP_2)
	v_add_f64 v[9:10], v[9:10], v[9:10]
	v_add_f64 v[11:12], v[11:12], v[11:12]
.LBB165_276:
	s_or_b32 exec_lo, exec_lo, s1
.LBB165_277:
	s_and_not1_saveexec_b32 s1, s11
	s_cbranch_execz .LBB165_283
; %bb.278:
	s_delay_alu instid0(VALU_DEP_1) | instskip(SKIP_1) | instid1(VALU_DEP_3)
	v_add_f64 v[17:18], v[11:12], -v[11:12]
	s_mov_b32 s2, exec_lo
	v_cmpx_lt_i64_e32 -1, v[9:10]
	s_xor_b32 s2, exec_lo, s2
; %bb.279:
	s_delay_alu instid0(VALU_DEP_2) | instskip(NEXT) | instid1(VALU_DEP_1)
	v_bfi_b32 v18, 0x7fffffff, v18, v12
	v_dual_mov_b32 v11, v17 :: v_dual_mov_b32 v12, v18
                                        ; implicit-def: $vgpr17_vgpr18
; %bb.280:
	s_and_not1_saveexec_b32 s2, s2
; %bb.281:
	s_delay_alu instid0(VALU_DEP_1) | instskip(SKIP_1) | instid1(VALU_DEP_2)
	v_bfi_b32 v10, 0x7fffffff, v10, v12
	v_and_b32_e32 v18, 0x7fffffff, v18
	v_dual_mov_b32 v12, v10 :: v_dual_mov_b32 v11, v9
	s_delay_alu instid0(VALU_DEP_2)
	v_dual_mov_b32 v9, v17 :: v_dual_mov_b32 v10, v18
; %bb.282:
	s_or_b32 exec_lo, exec_lo, s2
.LBB165_283:
	s_delay_alu instid0(SALU_CYCLE_1)
	s_or_b32 exec_lo, exec_lo, s1
.LBB165_284:
	s_and_not1_saveexec_b32 s1, s9
; %bb.285:
	s_delay_alu instid0(VALU_DEP_1) | instskip(NEXT) | instid1(VALU_DEP_1)
	v_add_f64 v[11:12], v[11:12], -v[11:12]
	v_div_scale_f64 v[17:18], vcc_lo, v[11:12], v[11:12], v[11:12]
	s_delay_alu instid0(VALU_DEP_1) | instskip(SKIP_2) | instid1(VALU_DEP_1)
	v_rcp_f64_e32 v[19:20], v[17:18]
	s_waitcnt_depctr 0xfff
	v_fma_f64 v[22:23], -v[17:18], v[19:20], 1.0
	v_fma_f64 v[19:20], v[19:20], v[22:23], v[19:20]
	s_delay_alu instid0(VALU_DEP_1) | instskip(NEXT) | instid1(VALU_DEP_1)
	v_fma_f64 v[22:23], -v[17:18], v[19:20], 1.0
	v_fma_f64 v[19:20], v[19:20], v[22:23], v[19:20]
	s_delay_alu instid0(VALU_DEP_1) | instskip(NEXT) | instid1(VALU_DEP_1)
	v_mul_f64 v[22:23], v[17:18], v[19:20]
	v_fma_f64 v[17:18], -v[17:18], v[22:23], v[17:18]
	s_delay_alu instid0(VALU_DEP_1) | instskip(NEXT) | instid1(VALU_DEP_1)
	v_div_fmas_f64 v[17:18], v[17:18], v[19:20], v[22:23]
	v_div_fixup_f64 v[11:12], v[17:18], v[11:12], v[11:12]
; %bb.286:
	s_or_b32 exec_lo, exec_lo, s1
	v_dual_mov_b32 v23, v10 :: v_dual_mov_b32 v22, v9
.LBB165_287:
	s_or_b32 exec_lo, exec_lo, s7
.LBB165_288:
	s_delay_alu instid0(SALU_CYCLE_1) | instskip(NEXT) | instid1(VALU_DEP_1)
	s_or_b32 exec_lo, exec_lo, s6
	v_cmp_gt_f64_e32 vcc_lo, 0, v[22:23]
	s_delay_alu instid0(VALU_DEP_3) | instskip(SKIP_2) | instid1(VALU_DEP_2)
	v_cmp_gt_f64_e64 s1, 0, v[11:12]
	v_xor_b32_e32 v9, 0x80000000, v23
	v_xor_b32_e32 v17, 0x80000000, v12
	v_dual_cndmask_b32 v10, v23, v9 :: v_dual_cndmask_b32 v9, v22, v22
	s_delay_alu instid0(VALU_DEP_2) | instskip(SKIP_2) | instid1(VALU_DEP_1)
	v_cndmask_b32_e64 v25, v12, v17, s1
	v_cndmask_b32_e64 v24, v11, v11, s1
                                        ; implicit-def: $vgpr17_vgpr18
	s_mov_b32 s1, exec_lo
	v_cmpx_ge_f64_e32 v[9:10], v[24:25]
	s_xor_b32 s2, exec_lo, s1
	s_cbranch_execz .LBB165_294
; %bb.289:
	v_cmp_neq_f64_e32 vcc_lo, 0, v[22:23]
	v_cmp_neq_f64_e64 s1, 0, v[11:12]
                                        ; implicit-def: $vgpr17_vgpr18
	s_delay_alu instid0(VALU_DEP_1) | instskip(NEXT) | instid1(SALU_CYCLE_1)
	s_or_b32 s1, vcc_lo, s1
	s_and_saveexec_b32 s6, s1
	s_delay_alu instid0(SALU_CYCLE_1)
	s_xor_b32 s1, exec_lo, s6
	s_cbranch_execz .LBB165_291
; %bb.290:
	v_div_scale_f64 v[9:10], null, v[22:23], v[22:23], v[11:12]
	v_div_scale_f64 v[24:25], vcc_lo, v[11:12], v[22:23], v[11:12]
	s_delay_alu instid0(VALU_DEP_2) | instskip(SKIP_2) | instid1(VALU_DEP_1)
	v_rcp_f64_e32 v[17:18], v[9:10]
	s_waitcnt_depctr 0xfff
	v_fma_f64 v[19:20], -v[9:10], v[17:18], 1.0
	v_fma_f64 v[17:18], v[17:18], v[19:20], v[17:18]
	s_delay_alu instid0(VALU_DEP_1) | instskip(NEXT) | instid1(VALU_DEP_1)
	v_fma_f64 v[19:20], -v[9:10], v[17:18], 1.0
	v_fma_f64 v[17:18], v[17:18], v[19:20], v[17:18]
	s_delay_alu instid0(VALU_DEP_1) | instskip(NEXT) | instid1(VALU_DEP_1)
	v_mul_f64 v[19:20], v[24:25], v[17:18]
	v_fma_f64 v[9:10], -v[9:10], v[19:20], v[24:25]
	s_delay_alu instid0(VALU_DEP_1) | instskip(NEXT) | instid1(VALU_DEP_1)
	v_div_fmas_f64 v[9:10], v[9:10], v[17:18], v[19:20]
	v_div_fixup_f64 v[9:10], v[9:10], v[22:23], v[11:12]
	s_delay_alu instid0(VALU_DEP_1) | instskip(NEXT) | instid1(VALU_DEP_1)
	v_fma_f64 v[11:12], v[11:12], v[9:10], v[22:23]
	v_div_scale_f64 v[17:18], null, v[11:12], v[11:12], 1.0
	v_div_scale_f64 v[24:25], vcc_lo, 1.0, v[11:12], 1.0
	s_delay_alu instid0(VALU_DEP_2) | instskip(SKIP_2) | instid1(VALU_DEP_1)
	v_rcp_f64_e32 v[19:20], v[17:18]
	s_waitcnt_depctr 0xfff
	v_fma_f64 v[22:23], -v[17:18], v[19:20], 1.0
	v_fma_f64 v[19:20], v[19:20], v[22:23], v[19:20]
	s_delay_alu instid0(VALU_DEP_1) | instskip(NEXT) | instid1(VALU_DEP_1)
	v_fma_f64 v[22:23], -v[17:18], v[19:20], 1.0
	v_fma_f64 v[19:20], v[19:20], v[22:23], v[19:20]
	s_delay_alu instid0(VALU_DEP_1) | instskip(NEXT) | instid1(VALU_DEP_1)
	v_mul_f64 v[22:23], v[24:25], v[19:20]
	v_fma_f64 v[17:18], -v[17:18], v[22:23], v[24:25]
                                        ; implicit-def: $vgpr24_vgpr25
	s_delay_alu instid0(VALU_DEP_1) | instskip(SKIP_2) | instid1(VALU_DEP_3)
	v_div_fmas_f64 v[17:18], v[17:18], v[19:20], v[22:23]
	v_fma_f64 v[19:20], v[9:10], 0, 1.0
	v_add_f64 v[9:10], -v[9:10], 0
	v_div_fixup_f64 v[11:12], v[17:18], v[11:12], 1.0
	s_delay_alu instid0(VALU_DEP_1) | instskip(NEXT) | instid1(VALU_DEP_3)
	v_mul_f64 v[17:18], v[19:20], v[11:12]
	v_mul_f64 v[19:20], v[9:10], v[11:12]
                                        ; implicit-def: $vgpr9_vgpr10
.LBB165_291:
	s_and_not1_saveexec_b32 s6, s1
	s_cbranch_execz .LBB165_293
; %bb.292:
	v_div_scale_f64 v[11:12], null, v[9:10], v[9:10], 1.0
	v_div_scale_f64 v[17:18], null, v[24:25], v[24:25], 0
	v_div_scale_f64 v[31:32], vcc_lo, 1.0, v[9:10], 1.0
	s_delay_alu instid0(VALU_DEP_3) | instskip(NEXT) | instid1(VALU_DEP_2)
	v_rcp_f64_e32 v[19:20], v[11:12]
	v_rcp_f64_e32 v[22:23], v[17:18]
	s_waitcnt_depctr 0xfff
	v_fma_f64 v[27:28], -v[11:12], v[19:20], 1.0
	v_fma_f64 v[29:30], -v[17:18], v[22:23], 1.0
	s_delay_alu instid0(VALU_DEP_2) | instskip(NEXT) | instid1(VALU_DEP_2)
	v_fma_f64 v[19:20], v[19:20], v[27:28], v[19:20]
	v_fma_f64 v[22:23], v[22:23], v[29:30], v[22:23]
	s_delay_alu instid0(VALU_DEP_2) | instskip(NEXT) | instid1(VALU_DEP_2)
	v_fma_f64 v[27:28], -v[11:12], v[19:20], 1.0
	v_fma_f64 v[29:30], -v[17:18], v[22:23], 1.0
	s_delay_alu instid0(VALU_DEP_2) | instskip(SKIP_1) | instid1(VALU_DEP_3)
	v_fma_f64 v[19:20], v[19:20], v[27:28], v[19:20]
	v_div_scale_f64 v[27:28], s1, 0, v[24:25], 0
	v_fma_f64 v[22:23], v[22:23], v[29:30], v[22:23]
	s_delay_alu instid0(VALU_DEP_3) | instskip(NEXT) | instid1(VALU_DEP_2)
	v_mul_f64 v[29:30], v[31:32], v[19:20]
	v_mul_f64 v[33:34], v[27:28], v[22:23]
	s_delay_alu instid0(VALU_DEP_2) | instskip(NEXT) | instid1(VALU_DEP_2)
	v_fma_f64 v[11:12], -v[11:12], v[29:30], v[31:32]
	v_fma_f64 v[17:18], -v[17:18], v[33:34], v[27:28]
	s_delay_alu instid0(VALU_DEP_2) | instskip(SKIP_1) | instid1(VALU_DEP_2)
	v_div_fmas_f64 v[11:12], v[11:12], v[19:20], v[29:30]
	s_mov_b32 vcc_lo, s1
	v_div_fmas_f64 v[19:20], v[17:18], v[22:23], v[33:34]
	s_delay_alu instid0(VALU_DEP_2) | instskip(NEXT) | instid1(VALU_DEP_2)
	v_div_fixup_f64 v[17:18], v[11:12], v[9:10], 1.0
	v_div_fixup_f64 v[19:20], v[19:20], v[24:25], 0
.LBB165_293:
	s_or_b32 exec_lo, exec_lo, s6
                                        ; implicit-def: $vgpr11_vgpr12
                                        ; implicit-def: $vgpr22_vgpr23
.LBB165_294:
	s_and_not1_saveexec_b32 s1, s2
	s_cbranch_execz .LBB165_296
; %bb.295:
	v_div_scale_f64 v[9:10], null, v[11:12], v[11:12], v[22:23]
	v_div_scale_f64 v[24:25], vcc_lo, v[22:23], v[11:12], v[22:23]
	s_delay_alu instid0(VALU_DEP_2) | instskip(SKIP_2) | instid1(VALU_DEP_1)
	v_rcp_f64_e32 v[17:18], v[9:10]
	s_waitcnt_depctr 0xfff
	v_fma_f64 v[19:20], -v[9:10], v[17:18], 1.0
	v_fma_f64 v[17:18], v[17:18], v[19:20], v[17:18]
	s_delay_alu instid0(VALU_DEP_1) | instskip(NEXT) | instid1(VALU_DEP_1)
	v_fma_f64 v[19:20], -v[9:10], v[17:18], 1.0
	v_fma_f64 v[17:18], v[17:18], v[19:20], v[17:18]
	s_delay_alu instid0(VALU_DEP_1) | instskip(NEXT) | instid1(VALU_DEP_1)
	v_mul_f64 v[19:20], v[24:25], v[17:18]
	v_fma_f64 v[9:10], -v[9:10], v[19:20], v[24:25]
	s_delay_alu instid0(VALU_DEP_1) | instskip(NEXT) | instid1(VALU_DEP_1)
	v_div_fmas_f64 v[9:10], v[9:10], v[17:18], v[19:20]
	v_div_fixup_f64 v[9:10], v[9:10], v[11:12], v[22:23]
	s_delay_alu instid0(VALU_DEP_1) | instskip(NEXT) | instid1(VALU_DEP_1)
	v_fma_f64 v[11:12], v[22:23], v[9:10], v[11:12]
	v_div_scale_f64 v[17:18], null, v[11:12], v[11:12], 1.0
	v_div_scale_f64 v[24:25], vcc_lo, 1.0, v[11:12], 1.0
	s_delay_alu instid0(VALU_DEP_2) | instskip(SKIP_2) | instid1(VALU_DEP_1)
	v_rcp_f64_e32 v[19:20], v[17:18]
	s_waitcnt_depctr 0xfff
	v_fma_f64 v[22:23], -v[17:18], v[19:20], 1.0
	v_fma_f64 v[19:20], v[19:20], v[22:23], v[19:20]
	s_delay_alu instid0(VALU_DEP_1) | instskip(NEXT) | instid1(VALU_DEP_1)
	v_fma_f64 v[22:23], -v[17:18], v[19:20], 1.0
	v_fma_f64 v[19:20], v[19:20], v[22:23], v[19:20]
	s_delay_alu instid0(VALU_DEP_1) | instskip(NEXT) | instid1(VALU_DEP_1)
	v_mul_f64 v[22:23], v[24:25], v[19:20]
	v_fma_f64 v[17:18], -v[17:18], v[22:23], v[24:25]
	s_delay_alu instid0(VALU_DEP_1) | instskip(SKIP_2) | instid1(VALU_DEP_3)
	v_div_fmas_f64 v[17:18], v[17:18], v[19:20], v[22:23]
	v_add_f64 v[19:20], v[9:10], 0
	v_fma_f64 v[9:10], v[9:10], 0, -1.0
	v_div_fixup_f64 v[11:12], v[17:18], v[11:12], 1.0
	s_delay_alu instid0(VALU_DEP_1) | instskip(NEXT) | instid1(VALU_DEP_3)
	v_mul_f64 v[17:18], v[19:20], v[11:12]
	v_mul_f64 v[19:20], v[9:10], v[11:12]
.LBB165_296:
	s_or_b32 exec_lo, exec_lo, s1
.LBB165_297:
	s_delay_alu instid0(SALU_CYCLE_1) | instskip(SKIP_3) | instid1(VALU_DEP_2)
	s_or_b32 exec_lo, exec_lo, s3
	v_mov_b32_e32 v9, 0
	v_or_b32_e32 v11, 0x300, v0
	v_mov_b32_e32 v10, 0
	v_cmp_gt_i32_e32 vcc_lo, s10, v11
	s_delay_alu instid0(VALU_DEP_2)
	v_dual_mov_b32 v12, v10 :: v_dual_mov_b32 v11, v9
	s_and_saveexec_b32 s3, vcc_lo
	s_cbranch_execz .LBB165_314
; %bb.298:
	v_cmp_neq_f64_e32 vcc_lo, 0, v[1:2]
	v_cmp_neq_f64_e64 s1, 0, v[3:4]
	v_mov_b32_e32 v22, 0
	v_mov_b32_e32 v23, 0
	s_delay_alu instid0(VALU_DEP_3) | instskip(NEXT) | instid1(SALU_CYCLE_1)
	s_or_b32 s1, vcc_lo, s1
	s_and_saveexec_b32 s6, s1
	s_cbranch_execz .LBB165_334
; %bb.299:
	s_mov_b32 s12, 0
	s_mov_b32 s13, 0x7ff00000
	v_mov_b32_e32 v22, s12
	v_mov_b32_e32 v23, s13
	s_mov_b32 s7, exec_lo
	v_cmpx_neq_f64_e64 0x7ff00000, |v[3:4]|
	s_cbranch_execz .LBB165_333
; %bb.300:
	s_mov_b32 s1, exec_lo
	v_cmpx_o_f64_e32 v[1:2], v[1:2]
	s_xor_b32 s9, exec_lo, s1
	s_cbranch_execz .LBB165_330
; %bb.301:
	s_mov_b32 s2, exec_lo
	v_cmpx_neq_f64_e64 0x7ff00000, |v[1:2]|
	s_xor_b32 s11, exec_lo, s2
	s_cbranch_execz .LBB165_323
; %bb.302:
	v_max_f64 v[9:10], |v[3:4]|, |v[3:4]|
	v_max_f64 v[11:12], |v[1:2]|, |v[1:2]|
	s_mov_b32 s12, 0x99fcef32
	s_mov_b32 s13, 0x7fda8279
	s_delay_alu instid0(VALU_DEP_1) | instskip(NEXT) | instid1(VALU_DEP_1)
	v_max_f64 v[9:10], v[11:12], v[9:10]
	v_cmp_nle_f64_e64 s1, s[12:13], v[9:10]
                                        ; implicit-def: $sgpr12
	s_delay_alu instid0(VALU_DEP_1) | instskip(NEXT) | instid1(SALU_CYCLE_1)
	s_and_saveexec_b32 s2, s1
	s_xor_b32 s2, exec_lo, s2
	s_cbranch_execz .LBB165_306
; %bb.303:
	v_cmp_ge_f64_e64 s12, 0x200000, |v[1:2]|
	v_cmp_ge_f64_e64 s13, 0x200000, |v[3:4]|
	s_delay_alu instid0(VALU_DEP_1)
	s_and_b32 s14, s12, s13
	s_mov_b32 s12, 0
	s_and_saveexec_b32 s13, s14
; %bb.304:
	v_mul_f64 v[1:2], v[1:2], 4.0
	v_mul_f64 v[3:4], v[3:4], 4.0
	s_mov_b32 s12, exec_lo
; %bb.305:
	s_or_b32 exec_lo, exec_lo, s13
	s_delay_alu instid0(SALU_CYCLE_1)
	s_and_b32 s12, s12, exec_lo
.LBB165_306:
	s_and_not1_saveexec_b32 s2, s2
; %bb.307:
	s_delay_alu instid0(VALU_DEP_2) | instskip(NEXT) | instid1(VALU_DEP_2)
	v_ldexp_f64 v[1:2], v[1:2], -2
	v_ldexp_f64 v[3:4], v[3:4], -2
	s_and_not1_b32 s12, s12, exec_lo
; %bb.308:
	s_or_b32 exec_lo, exec_lo, s2
	s_delay_alu instid0(VALU_DEP_1) | instskip(NEXT) | instid1(VALU_DEP_3)
	v_max_f64 v[9:10], |v[3:4]|, |v[3:4]|
	v_max_f64 v[11:12], |v[1:2]|, |v[1:2]|
	v_cmp_class_f64_e64 s13, v[1:2], 0x204
	v_cmp_class_f64_e64 s14, v[3:4], 0x204
	v_cmp_le_f64_e64 s2, 0, v[1:2]
	s_delay_alu instid0(VALU_DEP_4) | instskip(NEXT) | instid1(VALU_DEP_3)
	v_max_f64 v[9:10], v[11:12], v[9:10]
	s_or_b32 s13, s14, s13
	s_delay_alu instid0(VALU_DEP_1) | instskip(NEXT) | instid1(VALU_DEP_1)
	v_frexp_exp_i32_f64_e32 v27, v[9:10]
	v_sub_nc_u32_e32 v11, 0, v27
	s_delay_alu instid0(VALU_DEP_1) | instskip(SKIP_1) | instid1(VALU_DEP_2)
	v_ldexp_f64 v[9:10], |v[3:4]|, v11
	v_ldexp_f64 v[11:12], |v[1:2]|, v11
	v_mul_f64 v[9:10], v[9:10], v[9:10]
	s_delay_alu instid0(VALU_DEP_1) | instskip(NEXT) | instid1(VALU_DEP_1)
	v_fma_f64 v[9:10], v[11:12], v[11:12], v[9:10]
	v_rsq_f64_e32 v[11:12], v[9:10]
	v_cmp_eq_f64_e32 vcc_lo, 0, v[9:10]
	s_waitcnt_depctr 0xfff
	v_mul_f64 v[22:23], v[9:10], v[11:12]
	v_mul_f64 v[11:12], v[11:12], 0.5
	s_delay_alu instid0(VALU_DEP_1) | instskip(NEXT) | instid1(VALU_DEP_1)
	v_fma_f64 v[24:25], -v[11:12], v[22:23], 0.5
	v_fma_f64 v[22:23], v[22:23], v[24:25], v[22:23]
	v_fma_f64 v[11:12], v[11:12], v[24:25], v[11:12]
	s_delay_alu instid0(VALU_DEP_2) | instskip(NEXT) | instid1(VALU_DEP_1)
	v_fma_f64 v[24:25], -v[22:23], v[22:23], v[9:10]
	v_fma_f64 v[11:12], v[24:25], v[11:12], v[22:23]
	s_delay_alu instid0(VALU_DEP_1) | instskip(SKIP_1) | instid1(VALU_DEP_2)
	v_dual_cndmask_b32 v10, v12, v10 :: v_dual_cndmask_b32 v9, v11, v9
	v_cmp_o_f64_e32 vcc_lo, v[3:4], v[3:4]
	v_ldexp_f64 v[9:10], v[9:10], v27
	s_delay_alu instid0(VALU_DEP_1) | instskip(NEXT) | instid1(VALU_DEP_2)
	v_cndmask_b32_e32 v9, 0, v9, vcc_lo
	v_cndmask_b32_e32 v10, 0x7ff80000, v10, vcc_lo
	s_delay_alu instid0(VALU_DEP_2) | instskip(NEXT) | instid1(VALU_DEP_2)
	v_cndmask_b32_e64 v9, v9, 0, s13
	v_cndmask_b32_e64 v10, v10, 0x7ff00000, s13
	s_and_saveexec_b32 s13, s2
	s_delay_alu instid0(SALU_CYCLE_1)
	s_xor_b32 s2, exec_lo, s13
	s_cbranch_execz .LBB165_318
; %bb.309:
	s_delay_alu instid0(VALU_DEP_1) | instskip(NEXT) | instid1(VALU_DEP_1)
	v_add_f64 v[1:2], v[1:2], v[9:10]
	v_mul_f64 v[1:2], v[1:2], 0.5
	s_delay_alu instid0(VALU_DEP_1) | instskip(SKIP_1) | instid1(VALU_DEP_1)
	v_cmp_gt_f64_e32 vcc_lo, 0x10000000, v[1:2]
	v_cndmask_b32_e64 v9, 0, 1, vcc_lo
	v_lshlrev_b32_e32 v9, 8, v9
	s_delay_alu instid0(VALU_DEP_1) | instskip(NEXT) | instid1(VALU_DEP_1)
	v_ldexp_f64 v[1:2], v[1:2], v9
	v_rsq_f64_e32 v[9:10], v[1:2]
	s_waitcnt_depctr 0xfff
	v_mul_f64 v[11:12], v[1:2], v[9:10]
	v_mul_f64 v[9:10], v[9:10], 0.5
	s_delay_alu instid0(VALU_DEP_1) | instskip(NEXT) | instid1(VALU_DEP_1)
	v_fma_f64 v[22:23], -v[9:10], v[11:12], 0.5
	v_fma_f64 v[11:12], v[11:12], v[22:23], v[11:12]
	v_fma_f64 v[9:10], v[9:10], v[22:23], v[9:10]
	s_delay_alu instid0(VALU_DEP_2) | instskip(NEXT) | instid1(VALU_DEP_1)
	v_fma_f64 v[22:23], -v[11:12], v[11:12], v[1:2]
	v_fma_f64 v[11:12], v[22:23], v[9:10], v[11:12]
	s_delay_alu instid0(VALU_DEP_1) | instskip(NEXT) | instid1(VALU_DEP_1)
	v_fma_f64 v[22:23], -v[11:12], v[11:12], v[1:2]
	v_fma_f64 v[9:10], v[22:23], v[9:10], v[11:12]
	v_cndmask_b32_e64 v11, 0, 0xffffff80, vcc_lo
	v_cmp_class_f64_e64 vcc_lo, v[1:2], 0x260
	s_delay_alu instid0(VALU_DEP_2) | instskip(NEXT) | instid1(VALU_DEP_1)
	v_ldexp_f64 v[9:10], v[9:10], v11
	v_dual_cndmask_b32 v2, v10, v2 :: v_dual_cndmask_b32 v1, v9, v1
	s_delay_alu instid0(VALU_DEP_1) | instskip(NEXT) | instid1(VALU_DEP_1)
	v_add_f64 v[9:10], v[1:2], v[1:2]
	v_div_scale_f64 v[11:12], null, v[9:10], v[9:10], v[3:4]
	s_delay_alu instid0(VALU_DEP_1) | instskip(SKIP_2) | instid1(VALU_DEP_1)
	v_rcp_f64_e32 v[22:23], v[11:12]
	s_waitcnt_depctr 0xfff
	v_fma_f64 v[24:25], -v[11:12], v[22:23], 1.0
	v_fma_f64 v[22:23], v[22:23], v[24:25], v[22:23]
	s_delay_alu instid0(VALU_DEP_1) | instskip(NEXT) | instid1(VALU_DEP_1)
	v_fma_f64 v[24:25], -v[11:12], v[22:23], 1.0
	v_fma_f64 v[22:23], v[22:23], v[24:25], v[22:23]
	v_div_scale_f64 v[24:25], vcc_lo, v[3:4], v[9:10], v[3:4]
	s_delay_alu instid0(VALU_DEP_1) | instskip(NEXT) | instid1(VALU_DEP_1)
	v_mul_f64 v[27:28], v[24:25], v[22:23]
	v_fma_f64 v[11:12], -v[11:12], v[27:28], v[24:25]
	s_delay_alu instid0(VALU_DEP_1) | instskip(NEXT) | instid1(VALU_DEP_1)
	v_div_fmas_f64 v[11:12], v[11:12], v[22:23], v[27:28]
	v_div_fixup_f64 v[3:4], v[11:12], v[9:10], v[3:4]
                                        ; implicit-def: $vgpr9_vgpr10
	s_and_not1_saveexec_b32 s2, s2
	s_cbranch_execnz .LBB165_319
.LBB165_310:
	s_or_b32 exec_lo, exec_lo, s2
	s_and_saveexec_b32 s2, s1
	s_delay_alu instid0(SALU_CYCLE_1)
	s_xor_b32 s1, exec_lo, s2
	s_cbranch_execz .LBB165_320
.LBB165_311:
	s_and_saveexec_b32 s2, s12
; %bb.312:
	s_delay_alu instid0(VALU_DEP_2) | instskip(NEXT) | instid1(VALU_DEP_2)
	v_mul_f64 v[1:2], v[1:2], 0.5
	v_mul_f64 v[3:4], v[3:4], 0.5
; %bb.313:
	s_or_b32 exec_lo, exec_lo, s2
	s_and_not1_saveexec_b32 s1, s1
	s_cbranch_execnz .LBB165_321
	s_branch .LBB165_322
.LBB165_314:
	s_or_b32 exec_lo, exec_lo, s3
	s_and_saveexec_b32 s1, s0
	s_delay_alu instid0(SALU_CYCLE_1)
	s_xor_b32 s0, exec_lo, s1
	s_cbranch_execz .LBB165_343
.LBB165_315:
	v_mov_b32_e32 v22, 0
	s_delay_alu instid0(VALU_DEP_1) | instskip(NEXT) | instid1(VALU_DEP_1)
	v_lshlrev_b64 v[0:1], 4, v[21:22]
	v_add_co_u32 v2, vcc_lo, s4, v0
	s_delay_alu instid0(VALU_DEP_2) | instskip(SKIP_3) | instid1(SALU_CYCLE_1)
	v_add_co_ci_u32_e32 v3, vcc_lo, s5, v1, vcc_lo
	v_mov_b32_e32 v0, v26
	global_store_b128 v[2:3], v[5:8], off
	s_or_b32 exec_lo, exec_lo, s0
	s_mov_b32 s0, exec_lo
	v_cmpx_gt_i32_e64 s10, v0
	s_cbranch_execnz .LBB165_344
.LBB165_316:
	s_or_b32 exec_lo, exec_lo, s0
	s_delay_alu instid0(SALU_CYCLE_1)
	s_mov_b32 s0, exec_lo
	v_cmpx_gt_i32_e64 s10, v0
	s_cbranch_execz .LBB165_345
.LBB165_317:
	v_dual_mov_b32 v2, 0 :: v_dual_add_nc_u32 v1, s8, v0
	v_add_nc_u32_e32 v0, 0x100, v0
	s_delay_alu instid0(VALU_DEP_2) | instskip(NEXT) | instid1(VALU_DEP_1)
	v_lshlrev_b64 v[1:2], 4, v[1:2]
	v_add_co_u32 v1, vcc_lo, s4, v1
	s_delay_alu instid0(VALU_DEP_2) | instskip(SKIP_2) | instid1(SALU_CYCLE_1)
	v_add_co_ci_u32_e32 v2, vcc_lo, s5, v2, vcc_lo
	global_store_b128 v[1:2], v[17:20], off
	s_or_b32 exec_lo, exec_lo, s0
	s_mov_b32 s0, exec_lo
	v_cmpx_gt_i32_e64 s10, v0
	s_cbranch_execnz .LBB165_346
	s_branch .LBB165_347
.LBB165_318:
	s_and_not1_saveexec_b32 s2, s2
	s_cbranch_execz .LBB165_310
.LBB165_319:
	v_add_f64 v[1:2], v[9:10], -v[1:2]
	s_delay_alu instid0(VALU_DEP_1) | instskip(NEXT) | instid1(VALU_DEP_1)
	v_mul_f64 v[1:2], v[1:2], 0.5
	v_cmp_gt_f64_e32 vcc_lo, 0x10000000, v[1:2]
	v_cndmask_b32_e64 v9, 0, 1, vcc_lo
	s_delay_alu instid0(VALU_DEP_1) | instskip(NEXT) | instid1(VALU_DEP_1)
	v_lshlrev_b32_e32 v9, 8, v9
	v_ldexp_f64 v[1:2], v[1:2], v9
	s_delay_alu instid0(VALU_DEP_1) | instskip(SKIP_3) | instid1(VALU_DEP_1)
	v_rsq_f64_e32 v[9:10], v[1:2]
	s_waitcnt_depctr 0xfff
	v_mul_f64 v[11:12], v[1:2], v[9:10]
	v_mul_f64 v[9:10], v[9:10], 0.5
	v_fma_f64 v[22:23], -v[9:10], v[11:12], 0.5
	s_delay_alu instid0(VALU_DEP_1) | instskip(SKIP_1) | instid1(VALU_DEP_2)
	v_fma_f64 v[11:12], v[11:12], v[22:23], v[11:12]
	v_fma_f64 v[9:10], v[9:10], v[22:23], v[9:10]
	v_fma_f64 v[22:23], -v[11:12], v[11:12], v[1:2]
	s_delay_alu instid0(VALU_DEP_1) | instskip(NEXT) | instid1(VALU_DEP_1)
	v_fma_f64 v[11:12], v[22:23], v[9:10], v[11:12]
	v_fma_f64 v[22:23], -v[11:12], v[11:12], v[1:2]
	s_delay_alu instid0(VALU_DEP_1) | instskip(SKIP_3) | instid1(VALU_DEP_3)
	v_fma_f64 v[9:10], v[22:23], v[9:10], v[11:12]
	v_cndmask_b32_e64 v11, 0, 0xffffff80, vcc_lo
	v_cmp_class_f64_e64 vcc_lo, v[1:2], 0x260
	v_and_b32_e32 v12, 0x7fffffff, v4
	v_ldexp_f64 v[9:10], v[9:10], v11
	s_delay_alu instid0(VALU_DEP_1) | instskip(NEXT) | instid1(VALU_DEP_1)
	v_dual_cndmask_b32 v10, v10, v2 :: v_dual_cndmask_b32 v9, v9, v1
	v_add_f64 v[1:2], v[9:10], v[9:10]
	v_bfi_b32 v10, 0x7fffffff, v10, v4
	v_mov_b32_e32 v11, v3
	s_delay_alu instid0(VALU_DEP_1) | instskip(SKIP_1) | instid1(VALU_DEP_2)
	v_div_scale_f64 v[22:23], null, v[1:2], v[1:2], v[11:12]
	v_div_scale_f64 v[11:12], vcc_lo, v[11:12], v[1:2], v[11:12]
	v_rcp_f64_e32 v[24:25], v[22:23]
	s_waitcnt_depctr 0xfff
	v_fma_f64 v[27:28], -v[22:23], v[24:25], 1.0
	s_delay_alu instid0(VALU_DEP_1) | instskip(NEXT) | instid1(VALU_DEP_1)
	v_fma_f64 v[24:25], v[24:25], v[27:28], v[24:25]
	v_fma_f64 v[27:28], -v[22:23], v[24:25], 1.0
	s_delay_alu instid0(VALU_DEP_1) | instskip(NEXT) | instid1(VALU_DEP_1)
	v_fma_f64 v[24:25], v[24:25], v[27:28], v[24:25]
	v_mul_f64 v[27:28], v[11:12], v[24:25]
	s_delay_alu instid0(VALU_DEP_1) | instskip(NEXT) | instid1(VALU_DEP_1)
	v_fma_f64 v[11:12], -v[22:23], v[27:28], v[11:12]
	v_div_fmas_f64 v[11:12], v[11:12], v[24:25], v[27:28]
	s_delay_alu instid0(VALU_DEP_1) | instskip(SKIP_3) | instid1(SALU_CYCLE_1)
	v_div_fixup_f64 v[1:2], v[11:12], v[1:2], |v[3:4]|
	v_dual_mov_b32 v3, v9 :: v_dual_mov_b32 v4, v10
	s_or_b32 exec_lo, exec_lo, s2
	s_and_saveexec_b32 s2, s1
	s_xor_b32 s1, exec_lo, s2
	s_cbranch_execnz .LBB165_311
.LBB165_320:
	s_and_not1_saveexec_b32 s1, s1
.LBB165_321:
	s_delay_alu instid0(VALU_DEP_2) | instskip(NEXT) | instid1(VALU_DEP_2)
	v_add_f64 v[1:2], v[1:2], v[1:2]
	v_add_f64 v[3:4], v[3:4], v[3:4]
.LBB165_322:
	s_or_b32 exec_lo, exec_lo, s1
.LBB165_323:
	s_and_not1_saveexec_b32 s1, s11
	s_cbranch_execz .LBB165_329
; %bb.324:
	s_delay_alu instid0(VALU_DEP_1) | instskip(SKIP_1) | instid1(VALU_DEP_3)
	v_add_f64 v[9:10], v[3:4], -v[3:4]
	s_mov_b32 s2, exec_lo
	v_cmpx_lt_i64_e32 -1, v[1:2]
	s_xor_b32 s2, exec_lo, s2
; %bb.325:
	s_delay_alu instid0(VALU_DEP_2) | instskip(NEXT) | instid1(VALU_DEP_1)
	v_bfi_b32 v10, 0x7fffffff, v10, v4
	v_dual_mov_b32 v3, v9 :: v_dual_mov_b32 v4, v10
                                        ; implicit-def: $vgpr9_vgpr10
; %bb.326:
	s_and_not1_saveexec_b32 s2, s2
; %bb.327:
	s_delay_alu instid0(VALU_DEP_1) | instskip(SKIP_1) | instid1(VALU_DEP_2)
	v_bfi_b32 v2, 0x7fffffff, v2, v4
	v_and_b32_e32 v10, 0x7fffffff, v10
	v_dual_mov_b32 v4, v2 :: v_dual_mov_b32 v3, v1
	s_delay_alu instid0(VALU_DEP_2)
	v_dual_mov_b32 v1, v9 :: v_dual_mov_b32 v2, v10
; %bb.328:
	s_or_b32 exec_lo, exec_lo, s2
.LBB165_329:
	s_delay_alu instid0(SALU_CYCLE_1)
	s_or_b32 exec_lo, exec_lo, s1
.LBB165_330:
	s_and_not1_saveexec_b32 s1, s9
; %bb.331:
	s_delay_alu instid0(VALU_DEP_1) | instskip(NEXT) | instid1(VALU_DEP_1)
	v_add_f64 v[3:4], v[3:4], -v[3:4]
	v_div_scale_f64 v[9:10], vcc_lo, v[3:4], v[3:4], v[3:4]
	s_delay_alu instid0(VALU_DEP_1) | instskip(SKIP_2) | instid1(VALU_DEP_1)
	v_rcp_f64_e32 v[11:12], v[9:10]
	s_waitcnt_depctr 0xfff
	v_fma_f64 v[22:23], -v[9:10], v[11:12], 1.0
	v_fma_f64 v[11:12], v[11:12], v[22:23], v[11:12]
	s_delay_alu instid0(VALU_DEP_1) | instskip(NEXT) | instid1(VALU_DEP_1)
	v_fma_f64 v[22:23], -v[9:10], v[11:12], 1.0
	v_fma_f64 v[11:12], v[11:12], v[22:23], v[11:12]
	s_delay_alu instid0(VALU_DEP_1) | instskip(NEXT) | instid1(VALU_DEP_1)
	v_mul_f64 v[22:23], v[9:10], v[11:12]
	v_fma_f64 v[9:10], -v[9:10], v[22:23], v[9:10]
	s_delay_alu instid0(VALU_DEP_1) | instskip(NEXT) | instid1(VALU_DEP_1)
	v_div_fmas_f64 v[9:10], v[9:10], v[11:12], v[22:23]
	v_div_fixup_f64 v[3:4], v[9:10], v[3:4], v[3:4]
; %bb.332:
	s_or_b32 exec_lo, exec_lo, s1
	v_dual_mov_b32 v23, v2 :: v_dual_mov_b32 v22, v1
.LBB165_333:
	s_or_b32 exec_lo, exec_lo, s7
.LBB165_334:
	s_delay_alu instid0(SALU_CYCLE_1) | instskip(NEXT) | instid1(VALU_DEP_1)
	s_or_b32 exec_lo, exec_lo, s6
	v_cmp_gt_f64_e32 vcc_lo, 0, v[22:23]
	s_delay_alu instid0(VALU_DEP_3) | instskip(SKIP_2) | instid1(VALU_DEP_2)
	v_cmp_gt_f64_e64 s1, 0, v[3:4]
	v_xor_b32_e32 v1, 0x80000000, v23
	v_xor_b32_e32 v9, 0x80000000, v4
	v_dual_cndmask_b32 v2, v23, v1 :: v_dual_cndmask_b32 v1, v22, v22
	s_delay_alu instid0(VALU_DEP_2) | instskip(SKIP_2) | instid1(VALU_DEP_1)
	v_cndmask_b32_e64 v25, v4, v9, s1
	v_cndmask_b32_e64 v24, v3, v3, s1
                                        ; implicit-def: $vgpr9_vgpr10
	s_mov_b32 s1, exec_lo
	v_cmpx_ge_f64_e32 v[1:2], v[24:25]
	s_xor_b32 s2, exec_lo, s1
	s_cbranch_execz .LBB165_340
; %bb.335:
	v_cmp_neq_f64_e32 vcc_lo, 0, v[22:23]
	v_cmp_neq_f64_e64 s1, 0, v[3:4]
                                        ; implicit-def: $vgpr9_vgpr10
	s_delay_alu instid0(VALU_DEP_1) | instskip(NEXT) | instid1(SALU_CYCLE_1)
	s_or_b32 s1, vcc_lo, s1
	s_and_saveexec_b32 s6, s1
	s_delay_alu instid0(SALU_CYCLE_1)
	s_xor_b32 s1, exec_lo, s6
	s_cbranch_execz .LBB165_337
; %bb.336:
	v_div_scale_f64 v[1:2], null, v[22:23], v[22:23], v[3:4]
	v_div_scale_f64 v[24:25], vcc_lo, v[3:4], v[22:23], v[3:4]
	s_delay_alu instid0(VALU_DEP_2) | instskip(SKIP_2) | instid1(VALU_DEP_1)
	v_rcp_f64_e32 v[9:10], v[1:2]
	s_waitcnt_depctr 0xfff
	v_fma_f64 v[11:12], -v[1:2], v[9:10], 1.0
	v_fma_f64 v[9:10], v[9:10], v[11:12], v[9:10]
	s_delay_alu instid0(VALU_DEP_1) | instskip(NEXT) | instid1(VALU_DEP_1)
	v_fma_f64 v[11:12], -v[1:2], v[9:10], 1.0
	v_fma_f64 v[9:10], v[9:10], v[11:12], v[9:10]
	s_delay_alu instid0(VALU_DEP_1) | instskip(NEXT) | instid1(VALU_DEP_1)
	v_mul_f64 v[11:12], v[24:25], v[9:10]
	v_fma_f64 v[1:2], -v[1:2], v[11:12], v[24:25]
	s_delay_alu instid0(VALU_DEP_1) | instskip(NEXT) | instid1(VALU_DEP_1)
	v_div_fmas_f64 v[1:2], v[1:2], v[9:10], v[11:12]
	v_div_fixup_f64 v[1:2], v[1:2], v[22:23], v[3:4]
	s_delay_alu instid0(VALU_DEP_1) | instskip(NEXT) | instid1(VALU_DEP_1)
	v_fma_f64 v[3:4], v[3:4], v[1:2], v[22:23]
	v_div_scale_f64 v[9:10], null, v[3:4], v[3:4], 1.0
	v_div_scale_f64 v[24:25], vcc_lo, 1.0, v[3:4], 1.0
	s_delay_alu instid0(VALU_DEP_2) | instskip(SKIP_2) | instid1(VALU_DEP_1)
	v_rcp_f64_e32 v[11:12], v[9:10]
	s_waitcnt_depctr 0xfff
	v_fma_f64 v[22:23], -v[9:10], v[11:12], 1.0
	v_fma_f64 v[11:12], v[11:12], v[22:23], v[11:12]
	s_delay_alu instid0(VALU_DEP_1) | instskip(NEXT) | instid1(VALU_DEP_1)
	v_fma_f64 v[22:23], -v[9:10], v[11:12], 1.0
	v_fma_f64 v[11:12], v[11:12], v[22:23], v[11:12]
	s_delay_alu instid0(VALU_DEP_1) | instskip(NEXT) | instid1(VALU_DEP_1)
	v_mul_f64 v[22:23], v[24:25], v[11:12]
	v_fma_f64 v[9:10], -v[9:10], v[22:23], v[24:25]
                                        ; implicit-def: $vgpr24_vgpr25
	s_delay_alu instid0(VALU_DEP_1) | instskip(SKIP_2) | instid1(VALU_DEP_3)
	v_div_fmas_f64 v[9:10], v[9:10], v[11:12], v[22:23]
	v_fma_f64 v[11:12], v[1:2], 0, 1.0
	v_add_f64 v[1:2], -v[1:2], 0
	v_div_fixup_f64 v[3:4], v[9:10], v[3:4], 1.0
	s_delay_alu instid0(VALU_DEP_1) | instskip(NEXT) | instid1(VALU_DEP_3)
	v_mul_f64 v[9:10], v[11:12], v[3:4]
	v_mul_f64 v[11:12], v[1:2], v[3:4]
                                        ; implicit-def: $vgpr1_vgpr2
.LBB165_337:
	s_and_not1_saveexec_b32 s6, s1
	s_cbranch_execz .LBB165_339
; %bb.338:
	v_div_scale_f64 v[3:4], null, v[1:2], v[1:2], 1.0
	v_div_scale_f64 v[9:10], null, v[24:25], v[24:25], 0
	v_div_scale_f64 v[31:32], vcc_lo, 1.0, v[1:2], 1.0
	s_delay_alu instid0(VALU_DEP_3) | instskip(NEXT) | instid1(VALU_DEP_2)
	v_rcp_f64_e32 v[11:12], v[3:4]
	v_rcp_f64_e32 v[22:23], v[9:10]
	s_waitcnt_depctr 0xfff
	v_fma_f64 v[27:28], -v[3:4], v[11:12], 1.0
	v_fma_f64 v[29:30], -v[9:10], v[22:23], 1.0
	s_delay_alu instid0(VALU_DEP_2) | instskip(NEXT) | instid1(VALU_DEP_2)
	v_fma_f64 v[11:12], v[11:12], v[27:28], v[11:12]
	v_fma_f64 v[22:23], v[22:23], v[29:30], v[22:23]
	s_delay_alu instid0(VALU_DEP_2) | instskip(NEXT) | instid1(VALU_DEP_2)
	v_fma_f64 v[27:28], -v[3:4], v[11:12], 1.0
	v_fma_f64 v[29:30], -v[9:10], v[22:23], 1.0
	s_delay_alu instid0(VALU_DEP_2) | instskip(SKIP_1) | instid1(VALU_DEP_3)
	v_fma_f64 v[11:12], v[11:12], v[27:28], v[11:12]
	v_div_scale_f64 v[27:28], s1, 0, v[24:25], 0
	v_fma_f64 v[22:23], v[22:23], v[29:30], v[22:23]
	s_delay_alu instid0(VALU_DEP_3) | instskip(NEXT) | instid1(VALU_DEP_2)
	v_mul_f64 v[29:30], v[31:32], v[11:12]
	v_mul_f64 v[33:34], v[27:28], v[22:23]
	s_delay_alu instid0(VALU_DEP_2) | instskip(NEXT) | instid1(VALU_DEP_2)
	v_fma_f64 v[3:4], -v[3:4], v[29:30], v[31:32]
	v_fma_f64 v[9:10], -v[9:10], v[33:34], v[27:28]
	s_delay_alu instid0(VALU_DEP_2) | instskip(SKIP_1) | instid1(VALU_DEP_2)
	v_div_fmas_f64 v[3:4], v[3:4], v[11:12], v[29:30]
	s_mov_b32 vcc_lo, s1
	v_div_fmas_f64 v[11:12], v[9:10], v[22:23], v[33:34]
	s_delay_alu instid0(VALU_DEP_2) | instskip(NEXT) | instid1(VALU_DEP_2)
	v_div_fixup_f64 v[9:10], v[3:4], v[1:2], 1.0
	v_div_fixup_f64 v[11:12], v[11:12], v[24:25], 0
.LBB165_339:
	s_or_b32 exec_lo, exec_lo, s6
                                        ; implicit-def: $vgpr3_vgpr4
                                        ; implicit-def: $vgpr22_vgpr23
.LBB165_340:
	s_and_not1_saveexec_b32 s1, s2
	s_cbranch_execz .LBB165_342
; %bb.341:
	v_div_scale_f64 v[1:2], null, v[3:4], v[3:4], v[22:23]
	v_div_scale_f64 v[24:25], vcc_lo, v[22:23], v[3:4], v[22:23]
	s_delay_alu instid0(VALU_DEP_2) | instskip(SKIP_2) | instid1(VALU_DEP_1)
	v_rcp_f64_e32 v[9:10], v[1:2]
	s_waitcnt_depctr 0xfff
	v_fma_f64 v[11:12], -v[1:2], v[9:10], 1.0
	v_fma_f64 v[9:10], v[9:10], v[11:12], v[9:10]
	s_delay_alu instid0(VALU_DEP_1) | instskip(NEXT) | instid1(VALU_DEP_1)
	v_fma_f64 v[11:12], -v[1:2], v[9:10], 1.0
	v_fma_f64 v[9:10], v[9:10], v[11:12], v[9:10]
	s_delay_alu instid0(VALU_DEP_1) | instskip(NEXT) | instid1(VALU_DEP_1)
	v_mul_f64 v[11:12], v[24:25], v[9:10]
	v_fma_f64 v[1:2], -v[1:2], v[11:12], v[24:25]
	s_delay_alu instid0(VALU_DEP_1) | instskip(NEXT) | instid1(VALU_DEP_1)
	v_div_fmas_f64 v[1:2], v[1:2], v[9:10], v[11:12]
	v_div_fixup_f64 v[1:2], v[1:2], v[3:4], v[22:23]
	s_delay_alu instid0(VALU_DEP_1) | instskip(NEXT) | instid1(VALU_DEP_1)
	v_fma_f64 v[3:4], v[22:23], v[1:2], v[3:4]
	v_div_scale_f64 v[9:10], null, v[3:4], v[3:4], 1.0
	v_div_scale_f64 v[24:25], vcc_lo, 1.0, v[3:4], 1.0
	s_delay_alu instid0(VALU_DEP_2) | instskip(SKIP_2) | instid1(VALU_DEP_1)
	v_rcp_f64_e32 v[11:12], v[9:10]
	s_waitcnt_depctr 0xfff
	v_fma_f64 v[22:23], -v[9:10], v[11:12], 1.0
	v_fma_f64 v[11:12], v[11:12], v[22:23], v[11:12]
	s_delay_alu instid0(VALU_DEP_1) | instskip(NEXT) | instid1(VALU_DEP_1)
	v_fma_f64 v[22:23], -v[9:10], v[11:12], 1.0
	v_fma_f64 v[11:12], v[11:12], v[22:23], v[11:12]
	s_delay_alu instid0(VALU_DEP_1) | instskip(NEXT) | instid1(VALU_DEP_1)
	v_mul_f64 v[22:23], v[24:25], v[11:12]
	v_fma_f64 v[9:10], -v[9:10], v[22:23], v[24:25]
	s_delay_alu instid0(VALU_DEP_1) | instskip(SKIP_2) | instid1(VALU_DEP_3)
	v_div_fmas_f64 v[9:10], v[9:10], v[11:12], v[22:23]
	v_add_f64 v[11:12], v[1:2], 0
	v_fma_f64 v[1:2], v[1:2], 0, -1.0
	v_div_fixup_f64 v[3:4], v[9:10], v[3:4], 1.0
	s_delay_alu instid0(VALU_DEP_1) | instskip(NEXT) | instid1(VALU_DEP_3)
	v_mul_f64 v[9:10], v[11:12], v[3:4]
	v_mul_f64 v[11:12], v[1:2], v[3:4]
.LBB165_342:
	s_or_b32 exec_lo, exec_lo, s1
	s_delay_alu instid0(SALU_CYCLE_1) | instskip(SKIP_1) | instid1(SALU_CYCLE_1)
	s_or_b32 exec_lo, exec_lo, s3
	s_and_saveexec_b32 s1, s0
	s_xor_b32 s0, exec_lo, s1
	s_cbranch_execnz .LBB165_315
.LBB165_343:
	s_or_b32 exec_lo, exec_lo, s0
	s_delay_alu instid0(SALU_CYCLE_1)
	s_mov_b32 s0, exec_lo
	v_cmpx_gt_i32_e64 s10, v0
	s_cbranch_execz .LBB165_316
.LBB165_344:
	v_dual_mov_b32 v2, 0 :: v_dual_add_nc_u32 v1, s8, v0
	v_add_nc_u32_e32 v0, 0x100, v0
	s_delay_alu instid0(VALU_DEP_2) | instskip(NEXT) | instid1(VALU_DEP_1)
	v_lshlrev_b64 v[1:2], 4, v[1:2]
	v_add_co_u32 v1, vcc_lo, s4, v1
	s_delay_alu instid0(VALU_DEP_2) | instskip(SKIP_2) | instid1(SALU_CYCLE_1)
	v_add_co_ci_u32_e32 v2, vcc_lo, s5, v2, vcc_lo
	global_store_b128 v[1:2], v[13:16], off
	s_or_b32 exec_lo, exec_lo, s0
	s_mov_b32 s0, exec_lo
	v_cmpx_gt_i32_e64 s10, v0
	s_cbranch_execnz .LBB165_317
.LBB165_345:
	s_or_b32 exec_lo, exec_lo, s0
	s_delay_alu instid0(SALU_CYCLE_1)
	s_mov_b32 s0, exec_lo
	v_cmpx_gt_i32_e64 s10, v0
	s_cbranch_execz .LBB165_347
.LBB165_346:
	v_dual_mov_b32 v1, 0 :: v_dual_add_nc_u32 v0, s8, v0
	s_delay_alu instid0(VALU_DEP_1) | instskip(NEXT) | instid1(VALU_DEP_1)
	v_lshlrev_b64 v[0:1], 4, v[0:1]
	v_add_co_u32 v0, vcc_lo, s4, v0
	s_delay_alu instid0(VALU_DEP_2)
	v_add_co_ci_u32_e32 v1, vcc_lo, s5, v1, vcc_lo
	global_store_b128 v[0:1], v[9:12], off
.LBB165_347:
	s_nop 0
	s_sendmsg sendmsg(MSG_DEALLOC_VGPRS)
	s_endpgm
	.section	.rodata,"a",@progbits
	.p2align	6, 0x0
	.amdhsa_kernel _ZN2at6native29vectorized_elementwise_kernelILi2EZZZNS0_17rsqrt_kernel_cudaERNS_18TensorIteratorBaseEENKUlvE_clEvENKUlvE_clEvEUlN3c107complexIdEEE_St5arrayIPcLm2EEEEviT0_T1_
		.amdhsa_group_segment_fixed_size 0
		.amdhsa_private_segment_fixed_size 0
		.amdhsa_kernarg_size 24
		.amdhsa_user_sgpr_count 15
		.amdhsa_user_sgpr_dispatch_ptr 0
		.amdhsa_user_sgpr_queue_ptr 0
		.amdhsa_user_sgpr_kernarg_segment_ptr 1
		.amdhsa_user_sgpr_dispatch_id 0
		.amdhsa_user_sgpr_private_segment_size 0
		.amdhsa_wavefront_size32 1
		.amdhsa_uses_dynamic_stack 0
		.amdhsa_enable_private_segment 0
		.amdhsa_system_sgpr_workgroup_id_x 1
		.amdhsa_system_sgpr_workgroup_id_y 0
		.amdhsa_system_sgpr_workgroup_id_z 0
		.amdhsa_system_sgpr_workgroup_info 0
		.amdhsa_system_vgpr_workitem_id 0
		.amdhsa_next_free_vgpr 35
		.amdhsa_next_free_sgpr 17
		.amdhsa_reserve_vcc 1
		.amdhsa_float_round_mode_32 0
		.amdhsa_float_round_mode_16_64 0
		.amdhsa_float_denorm_mode_32 3
		.amdhsa_float_denorm_mode_16_64 3
		.amdhsa_dx10_clamp 1
		.amdhsa_ieee_mode 1
		.amdhsa_fp16_overflow 0
		.amdhsa_workgroup_processor_mode 1
		.amdhsa_memory_ordered 1
		.amdhsa_forward_progress 0
		.amdhsa_shared_vgpr_count 0
		.amdhsa_exception_fp_ieee_invalid_op 0
		.amdhsa_exception_fp_denorm_src 0
		.amdhsa_exception_fp_ieee_div_zero 0
		.amdhsa_exception_fp_ieee_overflow 0
		.amdhsa_exception_fp_ieee_underflow 0
		.amdhsa_exception_fp_ieee_inexact 0
		.amdhsa_exception_int_div_zero 0
	.end_amdhsa_kernel
	.section	.text._ZN2at6native29vectorized_elementwise_kernelILi2EZZZNS0_17rsqrt_kernel_cudaERNS_18TensorIteratorBaseEENKUlvE_clEvENKUlvE_clEvEUlN3c107complexIdEEE_St5arrayIPcLm2EEEEviT0_T1_,"axG",@progbits,_ZN2at6native29vectorized_elementwise_kernelILi2EZZZNS0_17rsqrt_kernel_cudaERNS_18TensorIteratorBaseEENKUlvE_clEvENKUlvE_clEvEUlN3c107complexIdEEE_St5arrayIPcLm2EEEEviT0_T1_,comdat
.Lfunc_end165:
	.size	_ZN2at6native29vectorized_elementwise_kernelILi2EZZZNS0_17rsqrt_kernel_cudaERNS_18TensorIteratorBaseEENKUlvE_clEvENKUlvE_clEvEUlN3c107complexIdEEE_St5arrayIPcLm2EEEEviT0_T1_, .Lfunc_end165-_ZN2at6native29vectorized_elementwise_kernelILi2EZZZNS0_17rsqrt_kernel_cudaERNS_18TensorIteratorBaseEENKUlvE_clEvENKUlvE_clEvEUlN3c107complexIdEEE_St5arrayIPcLm2EEEEviT0_T1_
                                        ; -- End function
	.section	.AMDGPU.csdata,"",@progbits
; Kernel info:
; codeLenInByte = 20688
; NumSgprs: 19
; NumVgprs: 35
; ScratchSize: 0
; MemoryBound: 0
; FloatMode: 240
; IeeeMode: 1
; LDSByteSize: 0 bytes/workgroup (compile time only)
; SGPRBlocks: 2
; VGPRBlocks: 4
; NumSGPRsForWavesPerEU: 19
; NumVGPRsForWavesPerEU: 35
; Occupancy: 16
; WaveLimiterHint : 1
; COMPUTE_PGM_RSRC2:SCRATCH_EN: 0
; COMPUTE_PGM_RSRC2:USER_SGPR: 15
; COMPUTE_PGM_RSRC2:TRAP_HANDLER: 0
; COMPUTE_PGM_RSRC2:TGID_X_EN: 1
; COMPUTE_PGM_RSRC2:TGID_Y_EN: 0
; COMPUTE_PGM_RSRC2:TGID_Z_EN: 0
; COMPUTE_PGM_RSRC2:TIDIG_COMP_CNT: 0
	.section	.text._ZN2at6native27unrolled_elementwise_kernelIZZZNS0_17rsqrt_kernel_cudaERNS_18TensorIteratorBaseEENKUlvE_clEvENKUlvE_clEvEUlN3c107complexIdEEE_St5arrayIPcLm2EELi4E23TrivialOffsetCalculatorILi1EjESE_NS0_6memory15LoadWithoutCastENSF_16StoreWithoutCastEEEviT_T0_T2_T3_T4_T5_,"axG",@progbits,_ZN2at6native27unrolled_elementwise_kernelIZZZNS0_17rsqrt_kernel_cudaERNS_18TensorIteratorBaseEENKUlvE_clEvENKUlvE_clEvEUlN3c107complexIdEEE_St5arrayIPcLm2EELi4E23TrivialOffsetCalculatorILi1EjESE_NS0_6memory15LoadWithoutCastENSF_16StoreWithoutCastEEEviT_T0_T2_T3_T4_T5_,comdat
	.globl	_ZN2at6native27unrolled_elementwise_kernelIZZZNS0_17rsqrt_kernel_cudaERNS_18TensorIteratorBaseEENKUlvE_clEvENKUlvE_clEvEUlN3c107complexIdEEE_St5arrayIPcLm2EELi4E23TrivialOffsetCalculatorILi1EjESE_NS0_6memory15LoadWithoutCastENSF_16StoreWithoutCastEEEviT_T0_T2_T3_T4_T5_ ; -- Begin function _ZN2at6native27unrolled_elementwise_kernelIZZZNS0_17rsqrt_kernel_cudaERNS_18TensorIteratorBaseEENKUlvE_clEvENKUlvE_clEvEUlN3c107complexIdEEE_St5arrayIPcLm2EELi4E23TrivialOffsetCalculatorILi1EjESE_NS0_6memory15LoadWithoutCastENSF_16StoreWithoutCastEEEviT_T0_T2_T3_T4_T5_
	.p2align	8
	.type	_ZN2at6native27unrolled_elementwise_kernelIZZZNS0_17rsqrt_kernel_cudaERNS_18TensorIteratorBaseEENKUlvE_clEvENKUlvE_clEvEUlN3c107complexIdEEE_St5arrayIPcLm2EELi4E23TrivialOffsetCalculatorILi1EjESE_NS0_6memory15LoadWithoutCastENSF_16StoreWithoutCastEEEviT_T0_T2_T3_T4_T5_,@function
_ZN2at6native27unrolled_elementwise_kernelIZZZNS0_17rsqrt_kernel_cudaERNS_18TensorIteratorBaseEENKUlvE_clEvENKUlvE_clEvEUlN3c107complexIdEEE_St5arrayIPcLm2EELi4E23TrivialOffsetCalculatorILi1EjESE_NS0_6memory15LoadWithoutCastENSF_16StoreWithoutCastEEEviT_T0_T2_T3_T4_T5_: ; @_ZN2at6native27unrolled_elementwise_kernelIZZZNS0_17rsqrt_kernel_cudaERNS_18TensorIteratorBaseEENKUlvE_clEvENKUlvE_clEvEUlN3c107complexIdEEE_St5arrayIPcLm2EELi4E23TrivialOffsetCalculatorILi1EjESE_NS0_6memory15LoadWithoutCastENSF_16StoreWithoutCastEEEviT_T0_T2_T3_T4_T5_
; %bb.0:
	s_clause 0x1
	s_load_b32 s2, s[0:1], 0x0
	s_load_b128 s[4:7], s[0:1], 0x8
	v_mov_b32_e32 v17, 0
	v_dual_mov_b32 v18, 0 :: v_dual_mov_b32 v5, v0
	s_lshl_b32 s3, s15, 10
	v_or_b32_e32 v26, 0x100, v0
	v_or_b32_e32 v21, s3, v0
	s_delay_alu instid0(VALU_DEP_3) | instskip(SKIP_3) | instid1(SALU_CYCLE_1)
	v_dual_mov_b32 v13, v17 :: v_dual_mov_b32 v14, v18
	v_dual_mov_b32 v15, v17 :: v_dual_mov_b32 v16, v18
	s_waitcnt lgkmcnt(0)
	s_sub_i32 s8, s2, s3
	v_cmp_gt_i32_e64 s0, s8, v0
	s_delay_alu instid0(VALU_DEP_1)
	s_and_saveexec_b32 s1, s0
	s_cbranch_execz .LBB166_2
; %bb.1:
	v_mov_b32_e32 v22, 0
	v_or_b32_e32 v5, 0x100, v0
	s_delay_alu instid0(VALU_DEP_2) | instskip(NEXT) | instid1(VALU_DEP_1)
	v_lshlrev_b64 v[1:2], 4, v[21:22]
	v_add_co_u32 v1, vcc_lo, s6, v1
	s_delay_alu instid0(VALU_DEP_2)
	v_add_co_ci_u32_e32 v2, vcc_lo, s7, v2, vcc_lo
	global_load_b128 v[13:16], v[1:2], off
.LBB166_2:
	s_or_b32 exec_lo, exec_lo, s1
	v_dual_mov_b32 v20, v18 :: v_dual_mov_b32 v19, v17
	s_mov_b32 s1, exec_lo
	v_cmpx_gt_i32_e64 s8, v5
	s_cbranch_execz .LBB166_4
; %bb.3:
	v_dual_mov_b32 v2, 0 :: v_dual_add_nc_u32 v1, s3, v5
	v_add_nc_u32_e32 v5, 0x100, v5
	s_delay_alu instid0(VALU_DEP_2) | instskip(NEXT) | instid1(VALU_DEP_1)
	v_lshlrev_b64 v[1:2], 4, v[1:2]
	v_add_co_u32 v1, vcc_lo, s6, v1
	s_delay_alu instid0(VALU_DEP_2)
	v_add_co_ci_u32_e32 v2, vcc_lo, s7, v2, vcc_lo
	global_load_b128 v[17:20], v[1:2], off
.LBB166_4:
	s_or_b32 exec_lo, exec_lo, s1
	v_mov_b32_e32 v1, 0
	v_mov_b32_e32 v2, 0
	s_mov_b32 s1, exec_lo
	s_delay_alu instid0(VALU_DEP_1)
	v_dual_mov_b32 v10, v2 :: v_dual_mov_b32 v9, v1
	v_dual_mov_b32 v12, v2 :: v_dual_mov_b32 v11, v1
	v_cmpx_gt_i32_e64 s8, v5
	s_cbranch_execz .LBB166_6
; %bb.5:
	v_dual_mov_b32 v4, 0 :: v_dual_add_nc_u32 v3, s3, v5
	v_add_nc_u32_e32 v5, 0x100, v5
	s_delay_alu instid0(VALU_DEP_2) | instskip(NEXT) | instid1(VALU_DEP_1)
	v_lshlrev_b64 v[3:4], 4, v[3:4]
	v_add_co_u32 v3, vcc_lo, s6, v3
	s_delay_alu instid0(VALU_DEP_2)
	v_add_co_ci_u32_e32 v4, vcc_lo, s7, v4, vcc_lo
	global_load_b128 v[9:12], v[3:4], off
.LBB166_6:
	s_or_b32 exec_lo, exec_lo, s1
	v_dual_mov_b32 v4, v2 :: v_dual_mov_b32 v3, v1
	s_mov_b32 s1, exec_lo
	v_cmpx_gt_i32_e64 s8, v5
	s_cbranch_execz .LBB166_8
; %bb.7:
	v_dual_mov_b32 v2, 0 :: v_dual_add_nc_u32 v1, s3, v5
	s_delay_alu instid0(VALU_DEP_1) | instskip(NEXT) | instid1(VALU_DEP_1)
	v_lshlrev_b64 v[1:2], 4, v[1:2]
	v_add_co_u32 v1, vcc_lo, s6, v1
	s_delay_alu instid0(VALU_DEP_2)
	v_add_co_ci_u32_e32 v2, vcc_lo, s7, v2, vcc_lo
	global_load_b128 v[1:4], v[1:2], off
.LBB166_8:
	s_or_b32 exec_lo, exec_lo, s1
	v_mov_b32_e32 v5, 0
	v_mov_b32_e32 v6, 0
	s_delay_alu instid0(VALU_DEP_1)
	v_dual_mov_b32 v8, v6 :: v_dual_mov_b32 v7, v5
	s_and_saveexec_b32 s6, s0
	s_cbranch_execz .LBB166_50
; %bb.9:
	s_waitcnt vmcnt(0)
	v_cmp_neq_f64_e32 vcc_lo, 0, v[13:14]
	v_cmp_neq_f64_e64 s1, 0, v[15:16]
	v_mov_b32_e32 v22, 0
	v_mov_b32_e32 v23, 0
	s_delay_alu instid0(VALU_DEP_3) | instskip(NEXT) | instid1(SALU_CYCLE_1)
	s_or_b32 s1, vcc_lo, s1
	s_and_saveexec_b32 s7, s1
	s_cbranch_execz .LBB166_41
; %bb.10:
	s_mov_b32 s10, 0
	s_mov_b32 s11, 0x7ff00000
	v_mov_b32_e32 v22, s10
	v_mov_b32_e32 v23, s11
	s_mov_b32 s9, exec_lo
	v_cmpx_neq_f64_e64 0x7ff00000, |v[15:16]|
	s_cbranch_execz .LBB166_40
; %bb.11:
	s_mov_b32 s1, exec_lo
	v_cmpx_o_f64_e32 v[13:14], v[13:14]
	s_xor_b32 s10, exec_lo, s1
	s_cbranch_execz .LBB166_37
; %bb.12:
	s_mov_b32 s2, exec_lo
	v_cmpx_neq_f64_e64 0x7ff00000, |v[13:14]|
	s_xor_b32 s11, exec_lo, s2
	s_cbranch_execz .LBB166_30
; %bb.13:
	v_max_f64 v[5:6], |v[15:16]|, |v[15:16]|
	v_max_f64 v[7:8], |v[13:14]|, |v[13:14]|
	s_mov_b32 s12, 0x99fcef32
	s_mov_b32 s13, 0x7fda8279
	s_delay_alu instid0(VALU_DEP_1) | instskip(NEXT) | instid1(VALU_DEP_1)
	v_max_f64 v[5:6], v[7:8], v[5:6]
	v_cmp_nle_f64_e64 s1, s[12:13], v[5:6]
                                        ; implicit-def: $sgpr12
	s_delay_alu instid0(VALU_DEP_1) | instskip(NEXT) | instid1(SALU_CYCLE_1)
	s_and_saveexec_b32 s2, s1
	s_xor_b32 s2, exec_lo, s2
	s_cbranch_execz .LBB166_17
; %bb.14:
	v_cmp_ge_f64_e64 s12, 0x200000, |v[13:14]|
	v_cmp_ge_f64_e64 s13, 0x200000, |v[15:16]|
	s_delay_alu instid0(VALU_DEP_1)
	s_and_b32 s14, s12, s13
	s_mov_b32 s12, 0
	s_and_saveexec_b32 s13, s14
; %bb.15:
	v_mul_f64 v[13:14], v[13:14], 4.0
	v_mul_f64 v[15:16], v[15:16], 4.0
	s_mov_b32 s12, exec_lo
; %bb.16:
	s_or_b32 exec_lo, exec_lo, s13
	s_delay_alu instid0(SALU_CYCLE_1)
	s_and_b32 s12, s12, exec_lo
.LBB166_17:
	s_and_not1_saveexec_b32 s2, s2
; %bb.18:
	s_delay_alu instid0(VALU_DEP_2) | instskip(NEXT) | instid1(VALU_DEP_2)
	v_ldexp_f64 v[13:14], v[13:14], -2
	v_ldexp_f64 v[15:16], v[15:16], -2
	s_and_not1_b32 s12, s12, exec_lo
; %bb.19:
	s_or_b32 exec_lo, exec_lo, s2
	s_delay_alu instid0(VALU_DEP_1) | instskip(NEXT) | instid1(VALU_DEP_3)
	v_max_f64 v[5:6], |v[15:16]|, |v[15:16]|
	v_max_f64 v[7:8], |v[13:14]|, |v[13:14]|
	v_cmp_class_f64_e64 s13, v[13:14], 0x204
	v_cmp_class_f64_e64 s14, v[15:16], 0x204
	v_cmp_le_f64_e64 s2, 0, v[13:14]
	s_delay_alu instid0(VALU_DEP_4) | instskip(NEXT) | instid1(VALU_DEP_3)
	v_max_f64 v[5:6], v[7:8], v[5:6]
	s_or_b32 s13, s14, s13
	s_delay_alu instid0(VALU_DEP_1) | instskip(NEXT) | instid1(VALU_DEP_1)
	v_frexp_exp_i32_f64_e32 v27, v[5:6]
	v_sub_nc_u32_e32 v7, 0, v27
	s_delay_alu instid0(VALU_DEP_1) | instskip(SKIP_1) | instid1(VALU_DEP_2)
	v_ldexp_f64 v[5:6], |v[15:16]|, v7
	v_ldexp_f64 v[7:8], |v[13:14]|, v7
	v_mul_f64 v[5:6], v[5:6], v[5:6]
	s_delay_alu instid0(VALU_DEP_1) | instskip(NEXT) | instid1(VALU_DEP_1)
	v_fma_f64 v[5:6], v[7:8], v[7:8], v[5:6]
	v_rsq_f64_e32 v[7:8], v[5:6]
	v_cmp_eq_f64_e32 vcc_lo, 0, v[5:6]
	s_waitcnt_depctr 0xfff
	v_mul_f64 v[22:23], v[5:6], v[7:8]
	v_mul_f64 v[7:8], v[7:8], 0.5
	s_delay_alu instid0(VALU_DEP_1) | instskip(NEXT) | instid1(VALU_DEP_1)
	v_fma_f64 v[24:25], -v[7:8], v[22:23], 0.5
	v_fma_f64 v[22:23], v[22:23], v[24:25], v[22:23]
	v_fma_f64 v[7:8], v[7:8], v[24:25], v[7:8]
	s_delay_alu instid0(VALU_DEP_2) | instskip(NEXT) | instid1(VALU_DEP_1)
	v_fma_f64 v[24:25], -v[22:23], v[22:23], v[5:6]
	v_fma_f64 v[7:8], v[24:25], v[7:8], v[22:23]
	s_delay_alu instid0(VALU_DEP_1) | instskip(SKIP_1) | instid1(VALU_DEP_2)
	v_dual_cndmask_b32 v6, v8, v6 :: v_dual_cndmask_b32 v5, v7, v5
	v_cmp_o_f64_e32 vcc_lo, v[15:16], v[15:16]
	v_ldexp_f64 v[5:6], v[5:6], v27
	s_delay_alu instid0(VALU_DEP_1) | instskip(NEXT) | instid1(VALU_DEP_2)
	v_cndmask_b32_e32 v5, 0, v5, vcc_lo
	v_cndmask_b32_e32 v6, 0x7ff80000, v6, vcc_lo
	s_delay_alu instid0(VALU_DEP_2) | instskip(NEXT) | instid1(VALU_DEP_2)
	v_cndmask_b32_e64 v5, v5, 0, s13
	v_cndmask_b32_e64 v6, v6, 0x7ff00000, s13
	s_and_saveexec_b32 s13, s2
	s_delay_alu instid0(SALU_CYCLE_1)
	s_xor_b32 s2, exec_lo, s13
	s_cbranch_execz .LBB166_25
; %bb.20:
	s_delay_alu instid0(VALU_DEP_1) | instskip(NEXT) | instid1(VALU_DEP_1)
	v_add_f64 v[5:6], v[13:14], v[5:6]
	v_mul_f64 v[5:6], v[5:6], 0.5
	s_delay_alu instid0(VALU_DEP_1) | instskip(SKIP_1) | instid1(VALU_DEP_1)
	v_cmp_gt_f64_e32 vcc_lo, 0x10000000, v[5:6]
	v_cndmask_b32_e64 v7, 0, 1, vcc_lo
	v_lshlrev_b32_e32 v7, 8, v7
	s_delay_alu instid0(VALU_DEP_1) | instskip(NEXT) | instid1(VALU_DEP_1)
	v_ldexp_f64 v[5:6], v[5:6], v7
	v_rsq_f64_e32 v[7:8], v[5:6]
	s_waitcnt_depctr 0xfff
	v_mul_f64 v[13:14], v[5:6], v[7:8]
	v_mul_f64 v[7:8], v[7:8], 0.5
	s_delay_alu instid0(VALU_DEP_1) | instskip(NEXT) | instid1(VALU_DEP_1)
	v_fma_f64 v[22:23], -v[7:8], v[13:14], 0.5
	v_fma_f64 v[13:14], v[13:14], v[22:23], v[13:14]
	v_fma_f64 v[7:8], v[7:8], v[22:23], v[7:8]
	s_delay_alu instid0(VALU_DEP_2) | instskip(NEXT) | instid1(VALU_DEP_1)
	v_fma_f64 v[22:23], -v[13:14], v[13:14], v[5:6]
	v_fma_f64 v[13:14], v[22:23], v[7:8], v[13:14]
	s_delay_alu instid0(VALU_DEP_1) | instskip(NEXT) | instid1(VALU_DEP_1)
	v_fma_f64 v[22:23], -v[13:14], v[13:14], v[5:6]
	v_fma_f64 v[7:8], v[22:23], v[7:8], v[13:14]
	v_cndmask_b32_e64 v13, 0, 0xffffff80, vcc_lo
	v_cmp_class_f64_e64 vcc_lo, v[5:6], 0x260
	s_delay_alu instid0(VALU_DEP_2) | instskip(NEXT) | instid1(VALU_DEP_1)
	v_ldexp_f64 v[7:8], v[7:8], v13
	v_dual_cndmask_b32 v14, v8, v6 :: v_dual_cndmask_b32 v13, v7, v5
	s_delay_alu instid0(VALU_DEP_1) | instskip(NEXT) | instid1(VALU_DEP_1)
	v_add_f64 v[5:6], v[13:14], v[13:14]
	v_div_scale_f64 v[7:8], null, v[5:6], v[5:6], v[15:16]
	s_delay_alu instid0(VALU_DEP_1) | instskip(SKIP_2) | instid1(VALU_DEP_1)
	v_rcp_f64_e32 v[22:23], v[7:8]
	s_waitcnt_depctr 0xfff
	v_fma_f64 v[24:25], -v[7:8], v[22:23], 1.0
	v_fma_f64 v[22:23], v[22:23], v[24:25], v[22:23]
	s_delay_alu instid0(VALU_DEP_1) | instskip(NEXT) | instid1(VALU_DEP_1)
	v_fma_f64 v[24:25], -v[7:8], v[22:23], 1.0
	v_fma_f64 v[22:23], v[22:23], v[24:25], v[22:23]
	v_div_scale_f64 v[24:25], vcc_lo, v[15:16], v[5:6], v[15:16]
	s_delay_alu instid0(VALU_DEP_1) | instskip(NEXT) | instid1(VALU_DEP_1)
	v_mul_f64 v[27:28], v[24:25], v[22:23]
	v_fma_f64 v[7:8], -v[7:8], v[27:28], v[24:25]
	s_delay_alu instid0(VALU_DEP_1) | instskip(NEXT) | instid1(VALU_DEP_1)
	v_div_fmas_f64 v[7:8], v[7:8], v[22:23], v[27:28]
	v_div_fixup_f64 v[15:16], v[7:8], v[5:6], v[15:16]
                                        ; implicit-def: $vgpr5_vgpr6
	s_and_not1_saveexec_b32 s2, s2
	s_cbranch_execnz .LBB166_26
.LBB166_21:
	s_or_b32 exec_lo, exec_lo, s2
	s_and_saveexec_b32 s2, s1
	s_delay_alu instid0(SALU_CYCLE_1)
	s_xor_b32 s1, exec_lo, s2
	s_cbranch_execz .LBB166_27
.LBB166_22:
	s_and_saveexec_b32 s2, s12
; %bb.23:
	s_delay_alu instid0(VALU_DEP_2) | instskip(NEXT) | instid1(VALU_DEP_2)
	v_mul_f64 v[13:14], v[13:14], 0.5
	v_mul_f64 v[15:16], v[15:16], 0.5
; %bb.24:
	s_or_b32 exec_lo, exec_lo, s2
	s_and_not1_saveexec_b32 s1, s1
	s_cbranch_execnz .LBB166_28
	s_branch .LBB166_29
.LBB166_25:
	s_and_not1_saveexec_b32 s2, s2
	s_cbranch_execz .LBB166_21
.LBB166_26:
	v_add_f64 v[5:6], v[5:6], -v[13:14]
	s_delay_alu instid0(VALU_DEP_1) | instskip(NEXT) | instid1(VALU_DEP_1)
	v_mul_f64 v[5:6], v[5:6], 0.5
	v_cmp_gt_f64_e32 vcc_lo, 0x10000000, v[5:6]
	v_cndmask_b32_e64 v7, 0, 1, vcc_lo
	s_delay_alu instid0(VALU_DEP_1) | instskip(NEXT) | instid1(VALU_DEP_1)
	v_lshlrev_b32_e32 v7, 8, v7
	v_ldexp_f64 v[5:6], v[5:6], v7
	s_delay_alu instid0(VALU_DEP_1) | instskip(SKIP_3) | instid1(VALU_DEP_1)
	v_rsq_f64_e32 v[7:8], v[5:6]
	s_waitcnt_depctr 0xfff
	v_mul_f64 v[13:14], v[5:6], v[7:8]
	v_mul_f64 v[7:8], v[7:8], 0.5
	v_fma_f64 v[22:23], -v[7:8], v[13:14], 0.5
	s_delay_alu instid0(VALU_DEP_1) | instskip(SKIP_1) | instid1(VALU_DEP_2)
	v_fma_f64 v[13:14], v[13:14], v[22:23], v[13:14]
	v_fma_f64 v[7:8], v[7:8], v[22:23], v[7:8]
	v_fma_f64 v[22:23], -v[13:14], v[13:14], v[5:6]
	s_delay_alu instid0(VALU_DEP_1) | instskip(NEXT) | instid1(VALU_DEP_1)
	v_fma_f64 v[13:14], v[22:23], v[7:8], v[13:14]
	v_fma_f64 v[22:23], -v[13:14], v[13:14], v[5:6]
	s_delay_alu instid0(VALU_DEP_1) | instskip(SKIP_3) | instid1(VALU_DEP_3)
	v_fma_f64 v[7:8], v[22:23], v[7:8], v[13:14]
	v_cndmask_b32_e64 v13, 0, 0xffffff80, vcc_lo
	v_cmp_class_f64_e64 vcc_lo, v[5:6], 0x260
	v_and_b32_e32 v14, 0x7fffffff, v16
	v_ldexp_f64 v[7:8], v[7:8], v13
	s_delay_alu instid0(VALU_DEP_1) | instskip(NEXT) | instid1(VALU_DEP_1)
	v_dual_cndmask_b32 v6, v8, v6 :: v_dual_cndmask_b32 v5, v7, v5
	v_add_f64 v[7:8], v[5:6], v[5:6]
	v_bfi_b32 v6, 0x7fffffff, v6, v16
	v_mov_b32_e32 v13, v15
	s_delay_alu instid0(VALU_DEP_1) | instskip(SKIP_1) | instid1(VALU_DEP_2)
	v_div_scale_f64 v[22:23], null, v[7:8], v[7:8], v[13:14]
	v_div_scale_f64 v[13:14], vcc_lo, v[13:14], v[7:8], v[13:14]
	v_rcp_f64_e32 v[24:25], v[22:23]
	s_waitcnt_depctr 0xfff
	v_fma_f64 v[27:28], -v[22:23], v[24:25], 1.0
	s_delay_alu instid0(VALU_DEP_1) | instskip(NEXT) | instid1(VALU_DEP_1)
	v_fma_f64 v[24:25], v[24:25], v[27:28], v[24:25]
	v_fma_f64 v[27:28], -v[22:23], v[24:25], 1.0
	s_delay_alu instid0(VALU_DEP_1) | instskip(NEXT) | instid1(VALU_DEP_1)
	v_fma_f64 v[24:25], v[24:25], v[27:28], v[24:25]
	v_mul_f64 v[27:28], v[13:14], v[24:25]
	s_delay_alu instid0(VALU_DEP_1) | instskip(NEXT) | instid1(VALU_DEP_1)
	v_fma_f64 v[13:14], -v[22:23], v[27:28], v[13:14]
	v_div_fmas_f64 v[13:14], v[13:14], v[24:25], v[27:28]
	s_delay_alu instid0(VALU_DEP_1) | instskip(SKIP_3) | instid1(SALU_CYCLE_1)
	v_div_fixup_f64 v[13:14], v[13:14], v[7:8], |v[15:16]|
	v_dual_mov_b32 v16, v6 :: v_dual_mov_b32 v15, v5
	s_or_b32 exec_lo, exec_lo, s2
	s_and_saveexec_b32 s2, s1
	s_xor_b32 s1, exec_lo, s2
	s_cbranch_execnz .LBB166_22
.LBB166_27:
	s_and_not1_saveexec_b32 s1, s1
.LBB166_28:
	s_delay_alu instid0(VALU_DEP_2) | instskip(NEXT) | instid1(VALU_DEP_2)
	v_add_f64 v[13:14], v[13:14], v[13:14]
	v_add_f64 v[15:16], v[15:16], v[15:16]
.LBB166_29:
	s_or_b32 exec_lo, exec_lo, s1
.LBB166_30:
	s_and_not1_saveexec_b32 s1, s11
	s_cbranch_execz .LBB166_36
; %bb.31:
	s_delay_alu instid0(VALU_DEP_1) | instskip(SKIP_1) | instid1(VALU_DEP_3)
	v_add_f64 v[5:6], v[15:16], -v[15:16]
	s_mov_b32 s2, exec_lo
	v_cmpx_lt_i64_e32 -1, v[13:14]
	s_xor_b32 s2, exec_lo, s2
; %bb.32:
	s_delay_alu instid0(VALU_DEP_2) | instskip(NEXT) | instid1(VALU_DEP_1)
	v_bfi_b32 v6, 0x7fffffff, v6, v16
	v_dual_mov_b32 v16, v6 :: v_dual_mov_b32 v15, v5
                                        ; implicit-def: $vgpr5_vgpr6
; %bb.33:
	s_and_not1_saveexec_b32 s2, s2
; %bb.34:
	s_delay_alu instid0(VALU_DEP_1) | instskip(SKIP_1) | instid1(VALU_DEP_2)
	v_bfi_b32 v14, 0x7fffffff, v14, v16
	v_and_b32_e32 v6, 0x7fffffff, v6
	v_dual_mov_b32 v16, v14 :: v_dual_mov_b32 v15, v13
	s_delay_alu instid0(VALU_DEP_2)
	v_dual_mov_b32 v14, v6 :: v_dual_mov_b32 v13, v5
; %bb.35:
	s_or_b32 exec_lo, exec_lo, s2
.LBB166_36:
	s_delay_alu instid0(SALU_CYCLE_1)
	s_or_b32 exec_lo, exec_lo, s1
.LBB166_37:
	s_and_not1_saveexec_b32 s1, s10
; %bb.38:
	s_delay_alu instid0(VALU_DEP_1) | instskip(NEXT) | instid1(VALU_DEP_1)
	v_add_f64 v[5:6], v[15:16], -v[15:16]
	v_div_scale_f64 v[7:8], vcc_lo, v[5:6], v[5:6], v[5:6]
	s_delay_alu instid0(VALU_DEP_1) | instskip(SKIP_2) | instid1(VALU_DEP_1)
	v_rcp_f64_e32 v[15:16], v[7:8]
	s_waitcnt_depctr 0xfff
	v_fma_f64 v[22:23], -v[7:8], v[15:16], 1.0
	v_fma_f64 v[15:16], v[15:16], v[22:23], v[15:16]
	s_delay_alu instid0(VALU_DEP_1) | instskip(NEXT) | instid1(VALU_DEP_1)
	v_fma_f64 v[22:23], -v[7:8], v[15:16], 1.0
	v_fma_f64 v[15:16], v[15:16], v[22:23], v[15:16]
	s_delay_alu instid0(VALU_DEP_1) | instskip(NEXT) | instid1(VALU_DEP_1)
	v_mul_f64 v[22:23], v[7:8], v[15:16]
	v_fma_f64 v[7:8], -v[7:8], v[22:23], v[7:8]
	s_delay_alu instid0(VALU_DEP_1) | instskip(NEXT) | instid1(VALU_DEP_1)
	v_div_fmas_f64 v[7:8], v[7:8], v[15:16], v[22:23]
	v_div_fixup_f64 v[15:16], v[7:8], v[5:6], v[5:6]
; %bb.39:
	s_or_b32 exec_lo, exec_lo, s1
	v_dual_mov_b32 v23, v14 :: v_dual_mov_b32 v22, v13
.LBB166_40:
	s_or_b32 exec_lo, exec_lo, s9
.LBB166_41:
	s_delay_alu instid0(SALU_CYCLE_1) | instskip(NEXT) | instid1(VALU_DEP_1)
	s_or_b32 exec_lo, exec_lo, s7
	v_cmp_gt_f64_e32 vcc_lo, 0, v[22:23]
	s_delay_alu instid0(VALU_DEP_3) | instskip(SKIP_2) | instid1(VALU_DEP_2)
	v_cmp_gt_f64_e64 s1, 0, v[15:16]
	v_xor_b32_e32 v5, 0x80000000, v23
	v_xor_b32_e32 v6, 0x80000000, v16
	v_dual_cndmask_b32 v14, v23, v5 :: v_dual_cndmask_b32 v13, v22, v22
	s_delay_alu instid0(VALU_DEP_2) | instskip(SKIP_2) | instid1(VALU_DEP_1)
	v_cndmask_b32_e64 v25, v16, v6, s1
	v_cndmask_b32_e64 v24, v15, v15, s1
                                        ; implicit-def: $vgpr5_vgpr6
	s_mov_b32 s1, exec_lo
	v_cmpx_ge_f64_e32 v[13:14], v[24:25]
	s_xor_b32 s2, exec_lo, s1
	s_cbranch_execz .LBB166_47
; %bb.42:
	v_cmp_neq_f64_e32 vcc_lo, 0, v[22:23]
	v_cmp_neq_f64_e64 s1, 0, v[15:16]
                                        ; implicit-def: $vgpr5_vgpr6
	s_delay_alu instid0(VALU_DEP_1) | instskip(NEXT) | instid1(SALU_CYCLE_1)
	s_or_b32 s1, vcc_lo, s1
	s_and_saveexec_b32 s7, s1
	s_delay_alu instid0(SALU_CYCLE_1)
	s_xor_b32 s1, exec_lo, s7
	s_cbranch_execz .LBB166_44
; %bb.43:
	v_div_scale_f64 v[5:6], null, v[22:23], v[22:23], v[15:16]
	v_div_scale_f64 v[24:25], vcc_lo, v[15:16], v[22:23], v[15:16]
	s_delay_alu instid0(VALU_DEP_2) | instskip(SKIP_2) | instid1(VALU_DEP_1)
	v_rcp_f64_e32 v[7:8], v[5:6]
	s_waitcnt_depctr 0xfff
	v_fma_f64 v[13:14], -v[5:6], v[7:8], 1.0
	v_fma_f64 v[7:8], v[7:8], v[13:14], v[7:8]
	s_delay_alu instid0(VALU_DEP_1) | instskip(NEXT) | instid1(VALU_DEP_1)
	v_fma_f64 v[13:14], -v[5:6], v[7:8], 1.0
	v_fma_f64 v[7:8], v[7:8], v[13:14], v[7:8]
	s_delay_alu instid0(VALU_DEP_1) | instskip(NEXT) | instid1(VALU_DEP_1)
	v_mul_f64 v[13:14], v[24:25], v[7:8]
	v_fma_f64 v[5:6], -v[5:6], v[13:14], v[24:25]
	s_delay_alu instid0(VALU_DEP_1) | instskip(NEXT) | instid1(VALU_DEP_1)
	v_div_fmas_f64 v[5:6], v[5:6], v[7:8], v[13:14]
	v_div_fixup_f64 v[5:6], v[5:6], v[22:23], v[15:16]
	s_delay_alu instid0(VALU_DEP_1) | instskip(NEXT) | instid1(VALU_DEP_1)
	v_fma_f64 v[7:8], v[15:16], v[5:6], v[22:23]
	v_div_scale_f64 v[13:14], null, v[7:8], v[7:8], 1.0
	v_div_scale_f64 v[24:25], vcc_lo, 1.0, v[7:8], 1.0
	s_delay_alu instid0(VALU_DEP_2) | instskip(SKIP_2) | instid1(VALU_DEP_1)
	v_rcp_f64_e32 v[15:16], v[13:14]
	s_waitcnt_depctr 0xfff
	v_fma_f64 v[22:23], -v[13:14], v[15:16], 1.0
	v_fma_f64 v[15:16], v[15:16], v[22:23], v[15:16]
	s_delay_alu instid0(VALU_DEP_1) | instskip(NEXT) | instid1(VALU_DEP_1)
	v_fma_f64 v[22:23], -v[13:14], v[15:16], 1.0
	v_fma_f64 v[15:16], v[15:16], v[22:23], v[15:16]
	s_delay_alu instid0(VALU_DEP_1) | instskip(NEXT) | instid1(VALU_DEP_1)
	v_mul_f64 v[22:23], v[24:25], v[15:16]
	v_fma_f64 v[13:14], -v[13:14], v[22:23], v[24:25]
                                        ; implicit-def: $vgpr24_vgpr25
	s_delay_alu instid0(VALU_DEP_1) | instskip(SKIP_1) | instid1(VALU_DEP_2)
	v_div_fmas_f64 v[13:14], v[13:14], v[15:16], v[22:23]
	v_fma_f64 v[15:16], v[5:6], 0, 1.0
	v_div_fixup_f64 v[7:8], v[13:14], v[7:8], 1.0
	v_add_f64 v[13:14], -v[5:6], 0
	s_delay_alu instid0(VALU_DEP_2) | instskip(NEXT) | instid1(VALU_DEP_2)
	v_mul_f64 v[5:6], v[15:16], v[7:8]
	v_mul_f64 v[7:8], v[13:14], v[7:8]
                                        ; implicit-def: $vgpr13_vgpr14
.LBB166_44:
	s_and_not1_saveexec_b32 s7, s1
	s_cbranch_execz .LBB166_46
; %bb.45:
	v_div_scale_f64 v[5:6], null, v[13:14], v[13:14], 1.0
	v_div_scale_f64 v[7:8], null, v[24:25], v[24:25], 0
	v_div_scale_f64 v[31:32], vcc_lo, 1.0, v[13:14], 1.0
	s_delay_alu instid0(VALU_DEP_3) | instskip(NEXT) | instid1(VALU_DEP_2)
	v_rcp_f64_e32 v[15:16], v[5:6]
	v_rcp_f64_e32 v[22:23], v[7:8]
	s_waitcnt_depctr 0xfff
	v_fma_f64 v[27:28], -v[5:6], v[15:16], 1.0
	v_fma_f64 v[29:30], -v[7:8], v[22:23], 1.0
	s_delay_alu instid0(VALU_DEP_2) | instskip(NEXT) | instid1(VALU_DEP_2)
	v_fma_f64 v[15:16], v[15:16], v[27:28], v[15:16]
	v_fma_f64 v[22:23], v[22:23], v[29:30], v[22:23]
	s_delay_alu instid0(VALU_DEP_2) | instskip(NEXT) | instid1(VALU_DEP_2)
	v_fma_f64 v[27:28], -v[5:6], v[15:16], 1.0
	v_fma_f64 v[29:30], -v[7:8], v[22:23], 1.0
	s_delay_alu instid0(VALU_DEP_2) | instskip(SKIP_1) | instid1(VALU_DEP_3)
	v_fma_f64 v[15:16], v[15:16], v[27:28], v[15:16]
	v_div_scale_f64 v[27:28], s1, 0, v[24:25], 0
	v_fma_f64 v[22:23], v[22:23], v[29:30], v[22:23]
	s_delay_alu instid0(VALU_DEP_3) | instskip(NEXT) | instid1(VALU_DEP_2)
	v_mul_f64 v[29:30], v[31:32], v[15:16]
	v_mul_f64 v[33:34], v[27:28], v[22:23]
	s_delay_alu instid0(VALU_DEP_2) | instskip(NEXT) | instid1(VALU_DEP_2)
	v_fma_f64 v[5:6], -v[5:6], v[29:30], v[31:32]
	v_fma_f64 v[7:8], -v[7:8], v[33:34], v[27:28]
	s_delay_alu instid0(VALU_DEP_2) | instskip(SKIP_1) | instid1(VALU_DEP_2)
	v_div_fmas_f64 v[5:6], v[5:6], v[15:16], v[29:30]
	s_mov_b32 vcc_lo, s1
	v_div_fmas_f64 v[7:8], v[7:8], v[22:23], v[33:34]
	s_delay_alu instid0(VALU_DEP_2) | instskip(NEXT) | instid1(VALU_DEP_2)
	v_div_fixup_f64 v[5:6], v[5:6], v[13:14], 1.0
	v_div_fixup_f64 v[7:8], v[7:8], v[24:25], 0
.LBB166_46:
	s_or_b32 exec_lo, exec_lo, s7
                                        ; implicit-def: $vgpr15_vgpr16
                                        ; implicit-def: $vgpr22_vgpr23
.LBB166_47:
	s_and_not1_saveexec_b32 s1, s2
	s_cbranch_execz .LBB166_49
; %bb.48:
	v_div_scale_f64 v[5:6], null, v[15:16], v[15:16], v[22:23]
	v_div_scale_f64 v[24:25], vcc_lo, v[22:23], v[15:16], v[22:23]
	s_delay_alu instid0(VALU_DEP_2) | instskip(SKIP_2) | instid1(VALU_DEP_1)
	v_rcp_f64_e32 v[7:8], v[5:6]
	s_waitcnt_depctr 0xfff
	v_fma_f64 v[13:14], -v[5:6], v[7:8], 1.0
	v_fma_f64 v[7:8], v[7:8], v[13:14], v[7:8]
	s_delay_alu instid0(VALU_DEP_1) | instskip(NEXT) | instid1(VALU_DEP_1)
	v_fma_f64 v[13:14], -v[5:6], v[7:8], 1.0
	v_fma_f64 v[7:8], v[7:8], v[13:14], v[7:8]
	s_delay_alu instid0(VALU_DEP_1) | instskip(NEXT) | instid1(VALU_DEP_1)
	v_mul_f64 v[13:14], v[24:25], v[7:8]
	v_fma_f64 v[5:6], -v[5:6], v[13:14], v[24:25]
	s_delay_alu instid0(VALU_DEP_1) | instskip(NEXT) | instid1(VALU_DEP_1)
	v_div_fmas_f64 v[5:6], v[5:6], v[7:8], v[13:14]
	v_div_fixup_f64 v[5:6], v[5:6], v[15:16], v[22:23]
	s_delay_alu instid0(VALU_DEP_1) | instskip(NEXT) | instid1(VALU_DEP_1)
	v_fma_f64 v[7:8], v[22:23], v[5:6], v[15:16]
	v_div_scale_f64 v[13:14], null, v[7:8], v[7:8], 1.0
	v_div_scale_f64 v[24:25], vcc_lo, 1.0, v[7:8], 1.0
	s_delay_alu instid0(VALU_DEP_2) | instskip(SKIP_2) | instid1(VALU_DEP_1)
	v_rcp_f64_e32 v[15:16], v[13:14]
	s_waitcnt_depctr 0xfff
	v_fma_f64 v[22:23], -v[13:14], v[15:16], 1.0
	v_fma_f64 v[15:16], v[15:16], v[22:23], v[15:16]
	s_delay_alu instid0(VALU_DEP_1) | instskip(NEXT) | instid1(VALU_DEP_1)
	v_fma_f64 v[22:23], -v[13:14], v[15:16], 1.0
	v_fma_f64 v[15:16], v[15:16], v[22:23], v[15:16]
	s_delay_alu instid0(VALU_DEP_1) | instskip(NEXT) | instid1(VALU_DEP_1)
	v_mul_f64 v[22:23], v[24:25], v[15:16]
	v_fma_f64 v[13:14], -v[13:14], v[22:23], v[24:25]
	s_delay_alu instid0(VALU_DEP_1) | instskip(SKIP_1) | instid1(VALU_DEP_2)
	v_div_fmas_f64 v[13:14], v[13:14], v[15:16], v[22:23]
	v_add_f64 v[15:16], v[5:6], 0
	v_div_fixup_f64 v[7:8], v[13:14], v[7:8], 1.0
	v_fma_f64 v[13:14], v[5:6], 0, -1.0
	s_delay_alu instid0(VALU_DEP_2) | instskip(NEXT) | instid1(VALU_DEP_2)
	v_mul_f64 v[5:6], v[15:16], v[7:8]
	v_mul_f64 v[7:8], v[13:14], v[7:8]
.LBB166_49:
	s_or_b32 exec_lo, exec_lo, s1
.LBB166_50:
	s_delay_alu instid0(SALU_CYCLE_1) | instskip(SKIP_4) | instid1(VALU_DEP_1)
	s_or_b32 exec_lo, exec_lo, s6
	s_waitcnt vmcnt(0)
	v_mov_b32_e32 v13, 0
	v_mov_b32_e32 v14, 0
	s_mov_b32 s6, exec_lo
	v_dual_mov_b32 v16, v14 :: v_dual_mov_b32 v15, v13
	v_cmpx_gt_i32_e64 s8, v26
	s_cbranch_execz .LBB166_92
; %bb.51:
	v_cmp_neq_f64_e32 vcc_lo, 0, v[17:18]
	v_cmp_neq_f64_e64 s1, 0, v[19:20]
	v_mov_b32_e32 v22, 0
	v_mov_b32_e32 v23, 0
	s_delay_alu instid0(VALU_DEP_3) | instskip(NEXT) | instid1(SALU_CYCLE_1)
	s_or_b32 s1, vcc_lo, s1
	s_and_saveexec_b32 s7, s1
	s_cbranch_execz .LBB166_83
; %bb.52:
	s_mov_b32 s10, 0
	s_mov_b32 s11, 0x7ff00000
	v_mov_b32_e32 v22, s10
	v_mov_b32_e32 v23, s11
	s_mov_b32 s9, exec_lo
	v_cmpx_neq_f64_e64 0x7ff00000, |v[19:20]|
	s_cbranch_execz .LBB166_82
; %bb.53:
	s_mov_b32 s1, exec_lo
	v_cmpx_o_f64_e32 v[17:18], v[17:18]
	s_xor_b32 s10, exec_lo, s1
	s_cbranch_execz .LBB166_79
; %bb.54:
	s_mov_b32 s2, exec_lo
	v_cmpx_neq_f64_e64 0x7ff00000, |v[17:18]|
	s_xor_b32 s11, exec_lo, s2
	s_cbranch_execz .LBB166_72
; %bb.55:
	v_max_f64 v[13:14], |v[19:20]|, |v[19:20]|
	v_max_f64 v[15:16], |v[17:18]|, |v[17:18]|
	s_mov_b32 s12, 0x99fcef32
	s_mov_b32 s13, 0x7fda8279
	s_delay_alu instid0(VALU_DEP_1) | instskip(NEXT) | instid1(VALU_DEP_1)
	v_max_f64 v[13:14], v[15:16], v[13:14]
	v_cmp_nle_f64_e64 s1, s[12:13], v[13:14]
                                        ; implicit-def: $sgpr12
	s_delay_alu instid0(VALU_DEP_1) | instskip(NEXT) | instid1(SALU_CYCLE_1)
	s_and_saveexec_b32 s2, s1
	s_xor_b32 s2, exec_lo, s2
	s_cbranch_execz .LBB166_59
; %bb.56:
	v_cmp_ge_f64_e64 s12, 0x200000, |v[17:18]|
	v_cmp_ge_f64_e64 s13, 0x200000, |v[19:20]|
	s_delay_alu instid0(VALU_DEP_1)
	s_and_b32 s14, s12, s13
	s_mov_b32 s12, 0
	s_and_saveexec_b32 s13, s14
; %bb.57:
	v_mul_f64 v[17:18], v[17:18], 4.0
	v_mul_f64 v[19:20], v[19:20], 4.0
	s_mov_b32 s12, exec_lo
; %bb.58:
	s_or_b32 exec_lo, exec_lo, s13
	s_delay_alu instid0(SALU_CYCLE_1)
	s_and_b32 s12, s12, exec_lo
.LBB166_59:
	s_and_not1_saveexec_b32 s2, s2
; %bb.60:
	s_delay_alu instid0(VALU_DEP_2) | instskip(NEXT) | instid1(VALU_DEP_2)
	v_ldexp_f64 v[17:18], v[17:18], -2
	v_ldexp_f64 v[19:20], v[19:20], -2
	s_and_not1_b32 s12, s12, exec_lo
; %bb.61:
	s_or_b32 exec_lo, exec_lo, s2
	s_delay_alu instid0(VALU_DEP_1) | instskip(NEXT) | instid1(VALU_DEP_3)
	v_max_f64 v[13:14], |v[19:20]|, |v[19:20]|
	v_max_f64 v[15:16], |v[17:18]|, |v[17:18]|
	v_cmp_class_f64_e64 s13, v[17:18], 0x204
	v_cmp_class_f64_e64 s14, v[19:20], 0x204
	v_cmp_le_f64_e64 s2, 0, v[17:18]
	s_delay_alu instid0(VALU_DEP_4) | instskip(NEXT) | instid1(VALU_DEP_3)
	v_max_f64 v[13:14], v[15:16], v[13:14]
	s_or_b32 s13, s14, s13
	s_delay_alu instid0(VALU_DEP_1) | instskip(NEXT) | instid1(VALU_DEP_1)
	v_frexp_exp_i32_f64_e32 v27, v[13:14]
	v_sub_nc_u32_e32 v15, 0, v27
	s_delay_alu instid0(VALU_DEP_1) | instskip(SKIP_1) | instid1(VALU_DEP_2)
	v_ldexp_f64 v[13:14], |v[19:20]|, v15
	v_ldexp_f64 v[15:16], |v[17:18]|, v15
	v_mul_f64 v[13:14], v[13:14], v[13:14]
	s_delay_alu instid0(VALU_DEP_1) | instskip(NEXT) | instid1(VALU_DEP_1)
	v_fma_f64 v[13:14], v[15:16], v[15:16], v[13:14]
	v_rsq_f64_e32 v[15:16], v[13:14]
	v_cmp_eq_f64_e32 vcc_lo, 0, v[13:14]
	s_waitcnt_depctr 0xfff
	v_mul_f64 v[22:23], v[13:14], v[15:16]
	v_mul_f64 v[15:16], v[15:16], 0.5
	s_delay_alu instid0(VALU_DEP_1) | instskip(NEXT) | instid1(VALU_DEP_1)
	v_fma_f64 v[24:25], -v[15:16], v[22:23], 0.5
	v_fma_f64 v[22:23], v[22:23], v[24:25], v[22:23]
	v_fma_f64 v[15:16], v[15:16], v[24:25], v[15:16]
	s_delay_alu instid0(VALU_DEP_2) | instskip(NEXT) | instid1(VALU_DEP_1)
	v_fma_f64 v[24:25], -v[22:23], v[22:23], v[13:14]
	v_fma_f64 v[15:16], v[24:25], v[15:16], v[22:23]
	s_delay_alu instid0(VALU_DEP_1) | instskip(SKIP_1) | instid1(VALU_DEP_2)
	v_dual_cndmask_b32 v14, v16, v14 :: v_dual_cndmask_b32 v13, v15, v13
	v_cmp_o_f64_e32 vcc_lo, v[19:20], v[19:20]
	v_ldexp_f64 v[13:14], v[13:14], v27
	s_delay_alu instid0(VALU_DEP_1) | instskip(NEXT) | instid1(VALU_DEP_2)
	v_cndmask_b32_e32 v13, 0, v13, vcc_lo
	v_cndmask_b32_e32 v14, 0x7ff80000, v14, vcc_lo
	s_delay_alu instid0(VALU_DEP_2) | instskip(NEXT) | instid1(VALU_DEP_2)
	v_cndmask_b32_e64 v13, v13, 0, s13
	v_cndmask_b32_e64 v14, v14, 0x7ff00000, s13
	s_and_saveexec_b32 s13, s2
	s_delay_alu instid0(SALU_CYCLE_1)
	s_xor_b32 s2, exec_lo, s13
	s_cbranch_execz .LBB166_67
; %bb.62:
	s_delay_alu instid0(VALU_DEP_1) | instskip(NEXT) | instid1(VALU_DEP_1)
	v_add_f64 v[13:14], v[17:18], v[13:14]
	v_mul_f64 v[13:14], v[13:14], 0.5
	s_delay_alu instid0(VALU_DEP_1) | instskip(SKIP_1) | instid1(VALU_DEP_1)
	v_cmp_gt_f64_e32 vcc_lo, 0x10000000, v[13:14]
	v_cndmask_b32_e64 v15, 0, 1, vcc_lo
	v_lshlrev_b32_e32 v15, 8, v15
	s_delay_alu instid0(VALU_DEP_1) | instskip(NEXT) | instid1(VALU_DEP_1)
	v_ldexp_f64 v[13:14], v[13:14], v15
	v_rsq_f64_e32 v[15:16], v[13:14]
	s_waitcnt_depctr 0xfff
	v_mul_f64 v[17:18], v[13:14], v[15:16]
	v_mul_f64 v[15:16], v[15:16], 0.5
	s_delay_alu instid0(VALU_DEP_1) | instskip(NEXT) | instid1(VALU_DEP_1)
	v_fma_f64 v[22:23], -v[15:16], v[17:18], 0.5
	v_fma_f64 v[17:18], v[17:18], v[22:23], v[17:18]
	v_fma_f64 v[15:16], v[15:16], v[22:23], v[15:16]
	s_delay_alu instid0(VALU_DEP_2) | instskip(NEXT) | instid1(VALU_DEP_1)
	v_fma_f64 v[22:23], -v[17:18], v[17:18], v[13:14]
	v_fma_f64 v[17:18], v[22:23], v[15:16], v[17:18]
	s_delay_alu instid0(VALU_DEP_1) | instskip(NEXT) | instid1(VALU_DEP_1)
	v_fma_f64 v[22:23], -v[17:18], v[17:18], v[13:14]
	v_fma_f64 v[15:16], v[22:23], v[15:16], v[17:18]
	v_cndmask_b32_e64 v17, 0, 0xffffff80, vcc_lo
	v_cmp_class_f64_e64 vcc_lo, v[13:14], 0x260
	s_delay_alu instid0(VALU_DEP_2) | instskip(NEXT) | instid1(VALU_DEP_1)
	v_ldexp_f64 v[15:16], v[15:16], v17
	v_dual_cndmask_b32 v18, v16, v14 :: v_dual_cndmask_b32 v17, v15, v13
	s_delay_alu instid0(VALU_DEP_1) | instskip(NEXT) | instid1(VALU_DEP_1)
	v_add_f64 v[13:14], v[17:18], v[17:18]
	v_div_scale_f64 v[15:16], null, v[13:14], v[13:14], v[19:20]
	s_delay_alu instid0(VALU_DEP_1) | instskip(SKIP_2) | instid1(VALU_DEP_1)
	v_rcp_f64_e32 v[22:23], v[15:16]
	s_waitcnt_depctr 0xfff
	v_fma_f64 v[24:25], -v[15:16], v[22:23], 1.0
	v_fma_f64 v[22:23], v[22:23], v[24:25], v[22:23]
	s_delay_alu instid0(VALU_DEP_1) | instskip(NEXT) | instid1(VALU_DEP_1)
	v_fma_f64 v[24:25], -v[15:16], v[22:23], 1.0
	v_fma_f64 v[22:23], v[22:23], v[24:25], v[22:23]
	v_div_scale_f64 v[24:25], vcc_lo, v[19:20], v[13:14], v[19:20]
	s_delay_alu instid0(VALU_DEP_1) | instskip(NEXT) | instid1(VALU_DEP_1)
	v_mul_f64 v[27:28], v[24:25], v[22:23]
	v_fma_f64 v[15:16], -v[15:16], v[27:28], v[24:25]
	s_delay_alu instid0(VALU_DEP_1) | instskip(NEXT) | instid1(VALU_DEP_1)
	v_div_fmas_f64 v[15:16], v[15:16], v[22:23], v[27:28]
	v_div_fixup_f64 v[19:20], v[15:16], v[13:14], v[19:20]
                                        ; implicit-def: $vgpr13_vgpr14
	s_and_not1_saveexec_b32 s2, s2
	s_cbranch_execnz .LBB166_68
.LBB166_63:
	s_or_b32 exec_lo, exec_lo, s2
	s_and_saveexec_b32 s2, s1
	s_delay_alu instid0(SALU_CYCLE_1)
	s_xor_b32 s1, exec_lo, s2
	s_cbranch_execz .LBB166_69
.LBB166_64:
	s_and_saveexec_b32 s2, s12
; %bb.65:
	s_delay_alu instid0(VALU_DEP_2) | instskip(NEXT) | instid1(VALU_DEP_2)
	v_mul_f64 v[17:18], v[17:18], 0.5
	v_mul_f64 v[19:20], v[19:20], 0.5
; %bb.66:
	s_or_b32 exec_lo, exec_lo, s2
	s_and_not1_saveexec_b32 s1, s1
	s_cbranch_execnz .LBB166_70
	s_branch .LBB166_71
.LBB166_67:
	s_and_not1_saveexec_b32 s2, s2
	s_cbranch_execz .LBB166_63
.LBB166_68:
	v_add_f64 v[13:14], v[13:14], -v[17:18]
	s_delay_alu instid0(VALU_DEP_1) | instskip(NEXT) | instid1(VALU_DEP_1)
	v_mul_f64 v[13:14], v[13:14], 0.5
	v_cmp_gt_f64_e32 vcc_lo, 0x10000000, v[13:14]
	v_cndmask_b32_e64 v15, 0, 1, vcc_lo
	s_delay_alu instid0(VALU_DEP_1) | instskip(NEXT) | instid1(VALU_DEP_1)
	v_lshlrev_b32_e32 v15, 8, v15
	v_ldexp_f64 v[13:14], v[13:14], v15
	s_delay_alu instid0(VALU_DEP_1) | instskip(SKIP_3) | instid1(VALU_DEP_1)
	v_rsq_f64_e32 v[15:16], v[13:14]
	s_waitcnt_depctr 0xfff
	v_mul_f64 v[17:18], v[13:14], v[15:16]
	v_mul_f64 v[15:16], v[15:16], 0.5
	v_fma_f64 v[22:23], -v[15:16], v[17:18], 0.5
	s_delay_alu instid0(VALU_DEP_1) | instskip(SKIP_1) | instid1(VALU_DEP_2)
	v_fma_f64 v[17:18], v[17:18], v[22:23], v[17:18]
	v_fma_f64 v[15:16], v[15:16], v[22:23], v[15:16]
	v_fma_f64 v[22:23], -v[17:18], v[17:18], v[13:14]
	s_delay_alu instid0(VALU_DEP_1) | instskip(NEXT) | instid1(VALU_DEP_1)
	v_fma_f64 v[17:18], v[22:23], v[15:16], v[17:18]
	v_fma_f64 v[22:23], -v[17:18], v[17:18], v[13:14]
	s_delay_alu instid0(VALU_DEP_1) | instskip(SKIP_3) | instid1(VALU_DEP_3)
	v_fma_f64 v[15:16], v[22:23], v[15:16], v[17:18]
	v_cndmask_b32_e64 v17, 0, 0xffffff80, vcc_lo
	v_cmp_class_f64_e64 vcc_lo, v[13:14], 0x260
	v_and_b32_e32 v18, 0x7fffffff, v20
	v_ldexp_f64 v[15:16], v[15:16], v17
	s_delay_alu instid0(VALU_DEP_1) | instskip(NEXT) | instid1(VALU_DEP_1)
	v_dual_cndmask_b32 v14, v16, v14 :: v_dual_cndmask_b32 v13, v15, v13
	v_add_f64 v[15:16], v[13:14], v[13:14]
	v_bfi_b32 v14, 0x7fffffff, v14, v20
	v_mov_b32_e32 v17, v19
	s_delay_alu instid0(VALU_DEP_1) | instskip(SKIP_1) | instid1(VALU_DEP_2)
	v_div_scale_f64 v[22:23], null, v[15:16], v[15:16], v[17:18]
	v_div_scale_f64 v[17:18], vcc_lo, v[17:18], v[15:16], v[17:18]
	v_rcp_f64_e32 v[24:25], v[22:23]
	s_waitcnt_depctr 0xfff
	v_fma_f64 v[27:28], -v[22:23], v[24:25], 1.0
	s_delay_alu instid0(VALU_DEP_1) | instskip(NEXT) | instid1(VALU_DEP_1)
	v_fma_f64 v[24:25], v[24:25], v[27:28], v[24:25]
	v_fma_f64 v[27:28], -v[22:23], v[24:25], 1.0
	s_delay_alu instid0(VALU_DEP_1) | instskip(NEXT) | instid1(VALU_DEP_1)
	v_fma_f64 v[24:25], v[24:25], v[27:28], v[24:25]
	v_mul_f64 v[27:28], v[17:18], v[24:25]
	s_delay_alu instid0(VALU_DEP_1) | instskip(NEXT) | instid1(VALU_DEP_1)
	v_fma_f64 v[17:18], -v[22:23], v[27:28], v[17:18]
	v_div_fmas_f64 v[17:18], v[17:18], v[24:25], v[27:28]
	s_delay_alu instid0(VALU_DEP_1) | instskip(SKIP_3) | instid1(SALU_CYCLE_1)
	v_div_fixup_f64 v[17:18], v[17:18], v[15:16], |v[19:20]|
	v_dual_mov_b32 v20, v14 :: v_dual_mov_b32 v19, v13
	s_or_b32 exec_lo, exec_lo, s2
	s_and_saveexec_b32 s2, s1
	s_xor_b32 s1, exec_lo, s2
	s_cbranch_execnz .LBB166_64
.LBB166_69:
	s_and_not1_saveexec_b32 s1, s1
.LBB166_70:
	s_delay_alu instid0(VALU_DEP_2) | instskip(NEXT) | instid1(VALU_DEP_2)
	v_add_f64 v[17:18], v[17:18], v[17:18]
	v_add_f64 v[19:20], v[19:20], v[19:20]
.LBB166_71:
	s_or_b32 exec_lo, exec_lo, s1
.LBB166_72:
	s_and_not1_saveexec_b32 s1, s11
	s_cbranch_execz .LBB166_78
; %bb.73:
	s_delay_alu instid0(VALU_DEP_1) | instskip(SKIP_1) | instid1(VALU_DEP_3)
	v_add_f64 v[13:14], v[19:20], -v[19:20]
	s_mov_b32 s2, exec_lo
	v_cmpx_lt_i64_e32 -1, v[17:18]
	s_xor_b32 s2, exec_lo, s2
; %bb.74:
	s_delay_alu instid0(VALU_DEP_2) | instskip(NEXT) | instid1(VALU_DEP_1)
	v_bfi_b32 v14, 0x7fffffff, v14, v20
	v_dual_mov_b32 v20, v14 :: v_dual_mov_b32 v19, v13
                                        ; implicit-def: $vgpr13_vgpr14
; %bb.75:
	s_and_not1_saveexec_b32 s2, s2
; %bb.76:
	s_delay_alu instid0(VALU_DEP_1) | instskip(SKIP_1) | instid1(VALU_DEP_2)
	v_bfi_b32 v18, 0x7fffffff, v18, v20
	v_and_b32_e32 v14, 0x7fffffff, v14
	v_dual_mov_b32 v20, v18 :: v_dual_mov_b32 v19, v17
	s_delay_alu instid0(VALU_DEP_2)
	v_dual_mov_b32 v18, v14 :: v_dual_mov_b32 v17, v13
; %bb.77:
	s_or_b32 exec_lo, exec_lo, s2
.LBB166_78:
	s_delay_alu instid0(SALU_CYCLE_1)
	s_or_b32 exec_lo, exec_lo, s1
.LBB166_79:
	s_and_not1_saveexec_b32 s1, s10
; %bb.80:
	s_delay_alu instid0(VALU_DEP_1) | instskip(NEXT) | instid1(VALU_DEP_1)
	v_add_f64 v[13:14], v[19:20], -v[19:20]
	v_div_scale_f64 v[15:16], vcc_lo, v[13:14], v[13:14], v[13:14]
	s_delay_alu instid0(VALU_DEP_1) | instskip(SKIP_2) | instid1(VALU_DEP_1)
	v_rcp_f64_e32 v[19:20], v[15:16]
	s_waitcnt_depctr 0xfff
	v_fma_f64 v[22:23], -v[15:16], v[19:20], 1.0
	v_fma_f64 v[19:20], v[19:20], v[22:23], v[19:20]
	s_delay_alu instid0(VALU_DEP_1) | instskip(NEXT) | instid1(VALU_DEP_1)
	v_fma_f64 v[22:23], -v[15:16], v[19:20], 1.0
	v_fma_f64 v[19:20], v[19:20], v[22:23], v[19:20]
	s_delay_alu instid0(VALU_DEP_1) | instskip(NEXT) | instid1(VALU_DEP_1)
	v_mul_f64 v[22:23], v[15:16], v[19:20]
	v_fma_f64 v[15:16], -v[15:16], v[22:23], v[15:16]
	s_delay_alu instid0(VALU_DEP_1) | instskip(NEXT) | instid1(VALU_DEP_1)
	v_div_fmas_f64 v[15:16], v[15:16], v[19:20], v[22:23]
	v_div_fixup_f64 v[19:20], v[15:16], v[13:14], v[13:14]
; %bb.81:
	s_or_b32 exec_lo, exec_lo, s1
	v_dual_mov_b32 v23, v18 :: v_dual_mov_b32 v22, v17
.LBB166_82:
	s_or_b32 exec_lo, exec_lo, s9
.LBB166_83:
	s_delay_alu instid0(SALU_CYCLE_1) | instskip(NEXT) | instid1(VALU_DEP_1)
	s_or_b32 exec_lo, exec_lo, s7
	v_cmp_gt_f64_e32 vcc_lo, 0, v[22:23]
	s_delay_alu instid0(VALU_DEP_3) | instskip(SKIP_2) | instid1(VALU_DEP_2)
	v_cmp_gt_f64_e64 s1, 0, v[19:20]
	v_xor_b32_e32 v13, 0x80000000, v23
	v_xor_b32_e32 v14, 0x80000000, v20
	v_dual_cndmask_b32 v18, v23, v13 :: v_dual_cndmask_b32 v17, v22, v22
	s_delay_alu instid0(VALU_DEP_2) | instskip(SKIP_2) | instid1(VALU_DEP_1)
	v_cndmask_b32_e64 v25, v20, v14, s1
	v_cndmask_b32_e64 v24, v19, v19, s1
                                        ; implicit-def: $vgpr13_vgpr14
	s_mov_b32 s1, exec_lo
	v_cmpx_ge_f64_e32 v[17:18], v[24:25]
	s_xor_b32 s2, exec_lo, s1
	s_cbranch_execz .LBB166_89
; %bb.84:
	v_cmp_neq_f64_e32 vcc_lo, 0, v[22:23]
	v_cmp_neq_f64_e64 s1, 0, v[19:20]
                                        ; implicit-def: $vgpr13_vgpr14
	s_delay_alu instid0(VALU_DEP_1) | instskip(NEXT) | instid1(SALU_CYCLE_1)
	s_or_b32 s1, vcc_lo, s1
	s_and_saveexec_b32 s7, s1
	s_delay_alu instid0(SALU_CYCLE_1)
	s_xor_b32 s1, exec_lo, s7
	s_cbranch_execz .LBB166_86
; %bb.85:
	v_div_scale_f64 v[13:14], null, v[22:23], v[22:23], v[19:20]
	v_div_scale_f64 v[24:25], vcc_lo, v[19:20], v[22:23], v[19:20]
	s_delay_alu instid0(VALU_DEP_2) | instskip(SKIP_2) | instid1(VALU_DEP_1)
	v_rcp_f64_e32 v[15:16], v[13:14]
	s_waitcnt_depctr 0xfff
	v_fma_f64 v[17:18], -v[13:14], v[15:16], 1.0
	v_fma_f64 v[15:16], v[15:16], v[17:18], v[15:16]
	s_delay_alu instid0(VALU_DEP_1) | instskip(NEXT) | instid1(VALU_DEP_1)
	v_fma_f64 v[17:18], -v[13:14], v[15:16], 1.0
	v_fma_f64 v[15:16], v[15:16], v[17:18], v[15:16]
	s_delay_alu instid0(VALU_DEP_1) | instskip(NEXT) | instid1(VALU_DEP_1)
	v_mul_f64 v[17:18], v[24:25], v[15:16]
	v_fma_f64 v[13:14], -v[13:14], v[17:18], v[24:25]
	s_delay_alu instid0(VALU_DEP_1) | instskip(NEXT) | instid1(VALU_DEP_1)
	v_div_fmas_f64 v[13:14], v[13:14], v[15:16], v[17:18]
	v_div_fixup_f64 v[13:14], v[13:14], v[22:23], v[19:20]
	s_delay_alu instid0(VALU_DEP_1) | instskip(NEXT) | instid1(VALU_DEP_1)
	v_fma_f64 v[15:16], v[19:20], v[13:14], v[22:23]
	v_div_scale_f64 v[17:18], null, v[15:16], v[15:16], 1.0
	v_div_scale_f64 v[24:25], vcc_lo, 1.0, v[15:16], 1.0
	s_delay_alu instid0(VALU_DEP_2) | instskip(SKIP_2) | instid1(VALU_DEP_1)
	v_rcp_f64_e32 v[19:20], v[17:18]
	s_waitcnt_depctr 0xfff
	v_fma_f64 v[22:23], -v[17:18], v[19:20], 1.0
	v_fma_f64 v[19:20], v[19:20], v[22:23], v[19:20]
	s_delay_alu instid0(VALU_DEP_1) | instskip(NEXT) | instid1(VALU_DEP_1)
	v_fma_f64 v[22:23], -v[17:18], v[19:20], 1.0
	v_fma_f64 v[19:20], v[19:20], v[22:23], v[19:20]
	s_delay_alu instid0(VALU_DEP_1) | instskip(NEXT) | instid1(VALU_DEP_1)
	v_mul_f64 v[22:23], v[24:25], v[19:20]
	v_fma_f64 v[17:18], -v[17:18], v[22:23], v[24:25]
                                        ; implicit-def: $vgpr24_vgpr25
	s_delay_alu instid0(VALU_DEP_1) | instskip(SKIP_1) | instid1(VALU_DEP_2)
	v_div_fmas_f64 v[17:18], v[17:18], v[19:20], v[22:23]
	v_fma_f64 v[19:20], v[13:14], 0, 1.0
	v_div_fixup_f64 v[15:16], v[17:18], v[15:16], 1.0
	v_add_f64 v[17:18], -v[13:14], 0
	s_delay_alu instid0(VALU_DEP_2) | instskip(NEXT) | instid1(VALU_DEP_2)
	v_mul_f64 v[13:14], v[19:20], v[15:16]
	v_mul_f64 v[15:16], v[17:18], v[15:16]
                                        ; implicit-def: $vgpr17_vgpr18
.LBB166_86:
	s_and_not1_saveexec_b32 s7, s1
	s_cbranch_execz .LBB166_88
; %bb.87:
	v_div_scale_f64 v[13:14], null, v[17:18], v[17:18], 1.0
	v_div_scale_f64 v[15:16], null, v[24:25], v[24:25], 0
	v_div_scale_f64 v[31:32], vcc_lo, 1.0, v[17:18], 1.0
	s_delay_alu instid0(VALU_DEP_3) | instskip(NEXT) | instid1(VALU_DEP_2)
	v_rcp_f64_e32 v[19:20], v[13:14]
	v_rcp_f64_e32 v[22:23], v[15:16]
	s_waitcnt_depctr 0xfff
	v_fma_f64 v[27:28], -v[13:14], v[19:20], 1.0
	v_fma_f64 v[29:30], -v[15:16], v[22:23], 1.0
	s_delay_alu instid0(VALU_DEP_2) | instskip(NEXT) | instid1(VALU_DEP_2)
	v_fma_f64 v[19:20], v[19:20], v[27:28], v[19:20]
	v_fma_f64 v[22:23], v[22:23], v[29:30], v[22:23]
	s_delay_alu instid0(VALU_DEP_2) | instskip(NEXT) | instid1(VALU_DEP_2)
	v_fma_f64 v[27:28], -v[13:14], v[19:20], 1.0
	v_fma_f64 v[29:30], -v[15:16], v[22:23], 1.0
	s_delay_alu instid0(VALU_DEP_2) | instskip(SKIP_1) | instid1(VALU_DEP_3)
	v_fma_f64 v[19:20], v[19:20], v[27:28], v[19:20]
	v_div_scale_f64 v[27:28], s1, 0, v[24:25], 0
	v_fma_f64 v[22:23], v[22:23], v[29:30], v[22:23]
	s_delay_alu instid0(VALU_DEP_3) | instskip(NEXT) | instid1(VALU_DEP_2)
	v_mul_f64 v[29:30], v[31:32], v[19:20]
	v_mul_f64 v[33:34], v[27:28], v[22:23]
	s_delay_alu instid0(VALU_DEP_2) | instskip(NEXT) | instid1(VALU_DEP_2)
	v_fma_f64 v[13:14], -v[13:14], v[29:30], v[31:32]
	v_fma_f64 v[15:16], -v[15:16], v[33:34], v[27:28]
	s_delay_alu instid0(VALU_DEP_2) | instskip(SKIP_1) | instid1(VALU_DEP_2)
	v_div_fmas_f64 v[13:14], v[13:14], v[19:20], v[29:30]
	s_mov_b32 vcc_lo, s1
	v_div_fmas_f64 v[15:16], v[15:16], v[22:23], v[33:34]
	s_delay_alu instid0(VALU_DEP_2) | instskip(NEXT) | instid1(VALU_DEP_2)
	v_div_fixup_f64 v[13:14], v[13:14], v[17:18], 1.0
	v_div_fixup_f64 v[15:16], v[15:16], v[24:25], 0
.LBB166_88:
	s_or_b32 exec_lo, exec_lo, s7
                                        ; implicit-def: $vgpr19_vgpr20
                                        ; implicit-def: $vgpr22_vgpr23
.LBB166_89:
	s_and_not1_saveexec_b32 s1, s2
	s_cbranch_execz .LBB166_91
; %bb.90:
	v_div_scale_f64 v[13:14], null, v[19:20], v[19:20], v[22:23]
	v_div_scale_f64 v[24:25], vcc_lo, v[22:23], v[19:20], v[22:23]
	s_delay_alu instid0(VALU_DEP_2) | instskip(SKIP_2) | instid1(VALU_DEP_1)
	v_rcp_f64_e32 v[15:16], v[13:14]
	s_waitcnt_depctr 0xfff
	v_fma_f64 v[17:18], -v[13:14], v[15:16], 1.0
	v_fma_f64 v[15:16], v[15:16], v[17:18], v[15:16]
	s_delay_alu instid0(VALU_DEP_1) | instskip(NEXT) | instid1(VALU_DEP_1)
	v_fma_f64 v[17:18], -v[13:14], v[15:16], 1.0
	v_fma_f64 v[15:16], v[15:16], v[17:18], v[15:16]
	s_delay_alu instid0(VALU_DEP_1) | instskip(NEXT) | instid1(VALU_DEP_1)
	v_mul_f64 v[17:18], v[24:25], v[15:16]
	v_fma_f64 v[13:14], -v[13:14], v[17:18], v[24:25]
	s_delay_alu instid0(VALU_DEP_1) | instskip(NEXT) | instid1(VALU_DEP_1)
	v_div_fmas_f64 v[13:14], v[13:14], v[15:16], v[17:18]
	v_div_fixup_f64 v[13:14], v[13:14], v[19:20], v[22:23]
	s_delay_alu instid0(VALU_DEP_1) | instskip(NEXT) | instid1(VALU_DEP_1)
	v_fma_f64 v[15:16], v[22:23], v[13:14], v[19:20]
	v_div_scale_f64 v[17:18], null, v[15:16], v[15:16], 1.0
	v_div_scale_f64 v[24:25], vcc_lo, 1.0, v[15:16], 1.0
	s_delay_alu instid0(VALU_DEP_2) | instskip(SKIP_2) | instid1(VALU_DEP_1)
	v_rcp_f64_e32 v[19:20], v[17:18]
	s_waitcnt_depctr 0xfff
	v_fma_f64 v[22:23], -v[17:18], v[19:20], 1.0
	v_fma_f64 v[19:20], v[19:20], v[22:23], v[19:20]
	s_delay_alu instid0(VALU_DEP_1) | instskip(NEXT) | instid1(VALU_DEP_1)
	v_fma_f64 v[22:23], -v[17:18], v[19:20], 1.0
	v_fma_f64 v[19:20], v[19:20], v[22:23], v[19:20]
	s_delay_alu instid0(VALU_DEP_1) | instskip(NEXT) | instid1(VALU_DEP_1)
	v_mul_f64 v[22:23], v[24:25], v[19:20]
	v_fma_f64 v[17:18], -v[17:18], v[22:23], v[24:25]
	s_delay_alu instid0(VALU_DEP_1) | instskip(SKIP_1) | instid1(VALU_DEP_2)
	v_div_fmas_f64 v[17:18], v[17:18], v[19:20], v[22:23]
	v_add_f64 v[19:20], v[13:14], 0
	v_div_fixup_f64 v[15:16], v[17:18], v[15:16], 1.0
	v_fma_f64 v[17:18], v[13:14], 0, -1.0
	s_delay_alu instid0(VALU_DEP_2) | instskip(NEXT) | instid1(VALU_DEP_2)
	v_mul_f64 v[13:14], v[19:20], v[15:16]
	v_mul_f64 v[15:16], v[17:18], v[15:16]
.LBB166_91:
	s_or_b32 exec_lo, exec_lo, s1
.LBB166_92:
	s_delay_alu instid0(SALU_CYCLE_1) | instskip(SKIP_3) | instid1(VALU_DEP_2)
	s_or_b32 exec_lo, exec_lo, s6
	v_mov_b32_e32 v17, 0
	v_or_b32_e32 v19, 0x200, v0
	v_mov_b32_e32 v18, 0
	v_cmp_gt_i32_e32 vcc_lo, s8, v19
	s_delay_alu instid0(VALU_DEP_2)
	v_dual_mov_b32 v20, v18 :: v_dual_mov_b32 v19, v17
	s_and_saveexec_b32 s6, vcc_lo
	s_cbranch_execz .LBB166_134
; %bb.93:
	v_cmp_neq_f64_e32 vcc_lo, 0, v[9:10]
	v_cmp_neq_f64_e64 s1, 0, v[11:12]
	v_mov_b32_e32 v22, 0
	v_mov_b32_e32 v23, 0
	s_delay_alu instid0(VALU_DEP_3) | instskip(NEXT) | instid1(SALU_CYCLE_1)
	s_or_b32 s1, vcc_lo, s1
	s_and_saveexec_b32 s7, s1
	s_cbranch_execz .LBB166_125
; %bb.94:
	s_mov_b32 s10, 0
	s_mov_b32 s11, 0x7ff00000
	v_mov_b32_e32 v22, s10
	v_mov_b32_e32 v23, s11
	s_mov_b32 s9, exec_lo
	v_cmpx_neq_f64_e64 0x7ff00000, |v[11:12]|
	s_cbranch_execz .LBB166_124
; %bb.95:
	s_mov_b32 s1, exec_lo
	v_cmpx_o_f64_e32 v[9:10], v[9:10]
	s_xor_b32 s10, exec_lo, s1
	s_cbranch_execz .LBB166_121
; %bb.96:
	s_mov_b32 s2, exec_lo
	v_cmpx_neq_f64_e64 0x7ff00000, |v[9:10]|
	s_xor_b32 s11, exec_lo, s2
	s_cbranch_execz .LBB166_114
; %bb.97:
	v_max_f64 v[17:18], |v[11:12]|, |v[11:12]|
	v_max_f64 v[19:20], |v[9:10]|, |v[9:10]|
	s_mov_b32 s12, 0x99fcef32
	s_mov_b32 s13, 0x7fda8279
	s_delay_alu instid0(VALU_DEP_1) | instskip(NEXT) | instid1(VALU_DEP_1)
	v_max_f64 v[17:18], v[19:20], v[17:18]
	v_cmp_nle_f64_e64 s1, s[12:13], v[17:18]
                                        ; implicit-def: $sgpr12
	s_delay_alu instid0(VALU_DEP_1) | instskip(NEXT) | instid1(SALU_CYCLE_1)
	s_and_saveexec_b32 s2, s1
	s_xor_b32 s2, exec_lo, s2
	s_cbranch_execz .LBB166_101
; %bb.98:
	v_cmp_ge_f64_e64 s12, 0x200000, |v[9:10]|
	v_cmp_ge_f64_e64 s13, 0x200000, |v[11:12]|
	s_delay_alu instid0(VALU_DEP_1)
	s_and_b32 s14, s12, s13
	s_mov_b32 s12, 0
	s_and_saveexec_b32 s13, s14
; %bb.99:
	v_mul_f64 v[9:10], v[9:10], 4.0
	v_mul_f64 v[11:12], v[11:12], 4.0
	s_mov_b32 s12, exec_lo
; %bb.100:
	s_or_b32 exec_lo, exec_lo, s13
	s_delay_alu instid0(SALU_CYCLE_1)
	s_and_b32 s12, s12, exec_lo
.LBB166_101:
	s_and_not1_saveexec_b32 s2, s2
; %bb.102:
	s_delay_alu instid0(VALU_DEP_2) | instskip(NEXT) | instid1(VALU_DEP_2)
	v_ldexp_f64 v[9:10], v[9:10], -2
	v_ldexp_f64 v[11:12], v[11:12], -2
	s_and_not1_b32 s12, s12, exec_lo
; %bb.103:
	s_or_b32 exec_lo, exec_lo, s2
	s_delay_alu instid0(VALU_DEP_1) | instskip(NEXT) | instid1(VALU_DEP_3)
	v_max_f64 v[17:18], |v[11:12]|, |v[11:12]|
	v_max_f64 v[19:20], |v[9:10]|, |v[9:10]|
	v_cmp_class_f64_e64 s13, v[9:10], 0x204
	v_cmp_class_f64_e64 s14, v[11:12], 0x204
	v_cmp_le_f64_e64 s2, 0, v[9:10]
	s_delay_alu instid0(VALU_DEP_4) | instskip(NEXT) | instid1(VALU_DEP_3)
	v_max_f64 v[17:18], v[19:20], v[17:18]
	s_or_b32 s13, s14, s13
	s_delay_alu instid0(VALU_DEP_1) | instskip(NEXT) | instid1(VALU_DEP_1)
	v_frexp_exp_i32_f64_e32 v27, v[17:18]
	v_sub_nc_u32_e32 v19, 0, v27
	s_delay_alu instid0(VALU_DEP_1) | instskip(SKIP_1) | instid1(VALU_DEP_2)
	v_ldexp_f64 v[17:18], |v[11:12]|, v19
	v_ldexp_f64 v[19:20], |v[9:10]|, v19
	v_mul_f64 v[17:18], v[17:18], v[17:18]
	s_delay_alu instid0(VALU_DEP_1) | instskip(NEXT) | instid1(VALU_DEP_1)
	v_fma_f64 v[17:18], v[19:20], v[19:20], v[17:18]
	v_rsq_f64_e32 v[19:20], v[17:18]
	v_cmp_eq_f64_e32 vcc_lo, 0, v[17:18]
	s_waitcnt_depctr 0xfff
	v_mul_f64 v[22:23], v[17:18], v[19:20]
	v_mul_f64 v[19:20], v[19:20], 0.5
	s_delay_alu instid0(VALU_DEP_1) | instskip(NEXT) | instid1(VALU_DEP_1)
	v_fma_f64 v[24:25], -v[19:20], v[22:23], 0.5
	v_fma_f64 v[22:23], v[22:23], v[24:25], v[22:23]
	v_fma_f64 v[19:20], v[19:20], v[24:25], v[19:20]
	s_delay_alu instid0(VALU_DEP_2) | instskip(NEXT) | instid1(VALU_DEP_1)
	v_fma_f64 v[24:25], -v[22:23], v[22:23], v[17:18]
	v_fma_f64 v[19:20], v[24:25], v[19:20], v[22:23]
	s_delay_alu instid0(VALU_DEP_1) | instskip(SKIP_1) | instid1(VALU_DEP_2)
	v_dual_cndmask_b32 v18, v20, v18 :: v_dual_cndmask_b32 v17, v19, v17
	v_cmp_o_f64_e32 vcc_lo, v[11:12], v[11:12]
	v_ldexp_f64 v[17:18], v[17:18], v27
	s_delay_alu instid0(VALU_DEP_1) | instskip(NEXT) | instid1(VALU_DEP_2)
	v_cndmask_b32_e32 v17, 0, v17, vcc_lo
	v_cndmask_b32_e32 v18, 0x7ff80000, v18, vcc_lo
	s_delay_alu instid0(VALU_DEP_2) | instskip(NEXT) | instid1(VALU_DEP_2)
	v_cndmask_b32_e64 v17, v17, 0, s13
	v_cndmask_b32_e64 v18, v18, 0x7ff00000, s13
	s_and_saveexec_b32 s13, s2
	s_delay_alu instid0(SALU_CYCLE_1)
	s_xor_b32 s2, exec_lo, s13
	s_cbranch_execz .LBB166_109
; %bb.104:
	s_delay_alu instid0(VALU_DEP_1) | instskip(NEXT) | instid1(VALU_DEP_1)
	v_add_f64 v[9:10], v[9:10], v[17:18]
	v_mul_f64 v[9:10], v[9:10], 0.5
	s_delay_alu instid0(VALU_DEP_1) | instskip(SKIP_1) | instid1(VALU_DEP_1)
	v_cmp_gt_f64_e32 vcc_lo, 0x10000000, v[9:10]
	v_cndmask_b32_e64 v17, 0, 1, vcc_lo
	v_lshlrev_b32_e32 v17, 8, v17
	s_delay_alu instid0(VALU_DEP_1) | instskip(NEXT) | instid1(VALU_DEP_1)
	v_ldexp_f64 v[9:10], v[9:10], v17
	v_rsq_f64_e32 v[17:18], v[9:10]
	s_waitcnt_depctr 0xfff
	v_mul_f64 v[19:20], v[9:10], v[17:18]
	v_mul_f64 v[17:18], v[17:18], 0.5
	s_delay_alu instid0(VALU_DEP_1) | instskip(NEXT) | instid1(VALU_DEP_1)
	v_fma_f64 v[22:23], -v[17:18], v[19:20], 0.5
	v_fma_f64 v[19:20], v[19:20], v[22:23], v[19:20]
	v_fma_f64 v[17:18], v[17:18], v[22:23], v[17:18]
	s_delay_alu instid0(VALU_DEP_2) | instskip(NEXT) | instid1(VALU_DEP_1)
	v_fma_f64 v[22:23], -v[19:20], v[19:20], v[9:10]
	v_fma_f64 v[19:20], v[22:23], v[17:18], v[19:20]
	s_delay_alu instid0(VALU_DEP_1) | instskip(NEXT) | instid1(VALU_DEP_1)
	v_fma_f64 v[22:23], -v[19:20], v[19:20], v[9:10]
	v_fma_f64 v[17:18], v[22:23], v[17:18], v[19:20]
	v_cndmask_b32_e64 v19, 0, 0xffffff80, vcc_lo
	v_cmp_class_f64_e64 vcc_lo, v[9:10], 0x260
	s_delay_alu instid0(VALU_DEP_2) | instskip(NEXT) | instid1(VALU_DEP_1)
	v_ldexp_f64 v[17:18], v[17:18], v19
	v_dual_cndmask_b32 v10, v18, v10 :: v_dual_cndmask_b32 v9, v17, v9
	s_delay_alu instid0(VALU_DEP_1) | instskip(NEXT) | instid1(VALU_DEP_1)
	v_add_f64 v[17:18], v[9:10], v[9:10]
	v_div_scale_f64 v[19:20], null, v[17:18], v[17:18], v[11:12]
	s_delay_alu instid0(VALU_DEP_1) | instskip(SKIP_2) | instid1(VALU_DEP_1)
	v_rcp_f64_e32 v[22:23], v[19:20]
	s_waitcnt_depctr 0xfff
	v_fma_f64 v[24:25], -v[19:20], v[22:23], 1.0
	v_fma_f64 v[22:23], v[22:23], v[24:25], v[22:23]
	s_delay_alu instid0(VALU_DEP_1) | instskip(NEXT) | instid1(VALU_DEP_1)
	v_fma_f64 v[24:25], -v[19:20], v[22:23], 1.0
	v_fma_f64 v[22:23], v[22:23], v[24:25], v[22:23]
	v_div_scale_f64 v[24:25], vcc_lo, v[11:12], v[17:18], v[11:12]
	s_delay_alu instid0(VALU_DEP_1) | instskip(NEXT) | instid1(VALU_DEP_1)
	v_mul_f64 v[27:28], v[24:25], v[22:23]
	v_fma_f64 v[19:20], -v[19:20], v[27:28], v[24:25]
	s_delay_alu instid0(VALU_DEP_1) | instskip(NEXT) | instid1(VALU_DEP_1)
	v_div_fmas_f64 v[19:20], v[19:20], v[22:23], v[27:28]
	v_div_fixup_f64 v[11:12], v[19:20], v[17:18], v[11:12]
                                        ; implicit-def: $vgpr17_vgpr18
	s_and_not1_saveexec_b32 s2, s2
	s_cbranch_execnz .LBB166_110
.LBB166_105:
	s_or_b32 exec_lo, exec_lo, s2
	s_and_saveexec_b32 s2, s1
	s_delay_alu instid0(SALU_CYCLE_1)
	s_xor_b32 s1, exec_lo, s2
	s_cbranch_execz .LBB166_111
.LBB166_106:
	s_and_saveexec_b32 s2, s12
; %bb.107:
	s_delay_alu instid0(VALU_DEP_2) | instskip(NEXT) | instid1(VALU_DEP_2)
	v_mul_f64 v[9:10], v[9:10], 0.5
	v_mul_f64 v[11:12], v[11:12], 0.5
; %bb.108:
	s_or_b32 exec_lo, exec_lo, s2
	s_and_not1_saveexec_b32 s1, s1
	s_cbranch_execnz .LBB166_112
	s_branch .LBB166_113
.LBB166_109:
	s_and_not1_saveexec_b32 s2, s2
	s_cbranch_execz .LBB166_105
.LBB166_110:
	v_add_f64 v[9:10], v[17:18], -v[9:10]
	s_delay_alu instid0(VALU_DEP_1) | instskip(NEXT) | instid1(VALU_DEP_1)
	v_mul_f64 v[9:10], v[9:10], 0.5
	v_cmp_gt_f64_e32 vcc_lo, 0x10000000, v[9:10]
	v_cndmask_b32_e64 v17, 0, 1, vcc_lo
	s_delay_alu instid0(VALU_DEP_1) | instskip(NEXT) | instid1(VALU_DEP_1)
	v_lshlrev_b32_e32 v17, 8, v17
	v_ldexp_f64 v[9:10], v[9:10], v17
	s_delay_alu instid0(VALU_DEP_1) | instskip(SKIP_3) | instid1(VALU_DEP_1)
	v_rsq_f64_e32 v[17:18], v[9:10]
	s_waitcnt_depctr 0xfff
	v_mul_f64 v[19:20], v[9:10], v[17:18]
	v_mul_f64 v[17:18], v[17:18], 0.5
	v_fma_f64 v[22:23], -v[17:18], v[19:20], 0.5
	s_delay_alu instid0(VALU_DEP_1) | instskip(SKIP_1) | instid1(VALU_DEP_2)
	v_fma_f64 v[19:20], v[19:20], v[22:23], v[19:20]
	v_fma_f64 v[17:18], v[17:18], v[22:23], v[17:18]
	v_fma_f64 v[22:23], -v[19:20], v[19:20], v[9:10]
	s_delay_alu instid0(VALU_DEP_1) | instskip(NEXT) | instid1(VALU_DEP_1)
	v_fma_f64 v[19:20], v[22:23], v[17:18], v[19:20]
	v_fma_f64 v[22:23], -v[19:20], v[19:20], v[9:10]
	s_delay_alu instid0(VALU_DEP_1) | instskip(SKIP_3) | instid1(VALU_DEP_3)
	v_fma_f64 v[17:18], v[22:23], v[17:18], v[19:20]
	v_cndmask_b32_e64 v19, 0, 0xffffff80, vcc_lo
	v_cmp_class_f64_e64 vcc_lo, v[9:10], 0x260
	v_and_b32_e32 v20, 0x7fffffff, v12
	v_ldexp_f64 v[17:18], v[17:18], v19
	s_delay_alu instid0(VALU_DEP_1) | instskip(NEXT) | instid1(VALU_DEP_1)
	v_dual_cndmask_b32 v18, v18, v10 :: v_dual_cndmask_b32 v17, v17, v9
	v_add_f64 v[9:10], v[17:18], v[17:18]
	v_bfi_b32 v18, 0x7fffffff, v18, v12
	v_mov_b32_e32 v19, v11
	s_delay_alu instid0(VALU_DEP_1) | instskip(SKIP_1) | instid1(VALU_DEP_2)
	v_div_scale_f64 v[22:23], null, v[9:10], v[9:10], v[19:20]
	v_div_scale_f64 v[19:20], vcc_lo, v[19:20], v[9:10], v[19:20]
	v_rcp_f64_e32 v[24:25], v[22:23]
	s_waitcnt_depctr 0xfff
	v_fma_f64 v[27:28], -v[22:23], v[24:25], 1.0
	s_delay_alu instid0(VALU_DEP_1) | instskip(NEXT) | instid1(VALU_DEP_1)
	v_fma_f64 v[24:25], v[24:25], v[27:28], v[24:25]
	v_fma_f64 v[27:28], -v[22:23], v[24:25], 1.0
	s_delay_alu instid0(VALU_DEP_1) | instskip(NEXT) | instid1(VALU_DEP_1)
	v_fma_f64 v[24:25], v[24:25], v[27:28], v[24:25]
	v_mul_f64 v[27:28], v[19:20], v[24:25]
	s_delay_alu instid0(VALU_DEP_1) | instskip(NEXT) | instid1(VALU_DEP_1)
	v_fma_f64 v[19:20], -v[22:23], v[27:28], v[19:20]
	v_div_fmas_f64 v[19:20], v[19:20], v[24:25], v[27:28]
	s_delay_alu instid0(VALU_DEP_1) | instskip(SKIP_3) | instid1(SALU_CYCLE_1)
	v_div_fixup_f64 v[9:10], v[19:20], v[9:10], |v[11:12]|
	v_dual_mov_b32 v11, v17 :: v_dual_mov_b32 v12, v18
	s_or_b32 exec_lo, exec_lo, s2
	s_and_saveexec_b32 s2, s1
	s_xor_b32 s1, exec_lo, s2
	s_cbranch_execnz .LBB166_106
.LBB166_111:
	s_and_not1_saveexec_b32 s1, s1
.LBB166_112:
	s_delay_alu instid0(VALU_DEP_2) | instskip(NEXT) | instid1(VALU_DEP_2)
	v_add_f64 v[9:10], v[9:10], v[9:10]
	v_add_f64 v[11:12], v[11:12], v[11:12]
.LBB166_113:
	s_or_b32 exec_lo, exec_lo, s1
.LBB166_114:
	s_and_not1_saveexec_b32 s1, s11
	s_cbranch_execz .LBB166_120
; %bb.115:
	s_delay_alu instid0(VALU_DEP_1) | instskip(SKIP_1) | instid1(VALU_DEP_3)
	v_add_f64 v[17:18], v[11:12], -v[11:12]
	s_mov_b32 s2, exec_lo
	v_cmpx_lt_i64_e32 -1, v[9:10]
	s_xor_b32 s2, exec_lo, s2
; %bb.116:
	s_delay_alu instid0(VALU_DEP_2) | instskip(NEXT) | instid1(VALU_DEP_1)
	v_bfi_b32 v18, 0x7fffffff, v18, v12
	v_dual_mov_b32 v11, v17 :: v_dual_mov_b32 v12, v18
                                        ; implicit-def: $vgpr17_vgpr18
; %bb.117:
	s_and_not1_saveexec_b32 s2, s2
; %bb.118:
	s_delay_alu instid0(VALU_DEP_1) | instskip(SKIP_1) | instid1(VALU_DEP_2)
	v_bfi_b32 v10, 0x7fffffff, v10, v12
	v_and_b32_e32 v18, 0x7fffffff, v18
	v_dual_mov_b32 v12, v10 :: v_dual_mov_b32 v11, v9
	s_delay_alu instid0(VALU_DEP_2)
	v_dual_mov_b32 v9, v17 :: v_dual_mov_b32 v10, v18
; %bb.119:
	s_or_b32 exec_lo, exec_lo, s2
.LBB166_120:
	s_delay_alu instid0(SALU_CYCLE_1)
	s_or_b32 exec_lo, exec_lo, s1
.LBB166_121:
	s_and_not1_saveexec_b32 s1, s10
; %bb.122:
	s_delay_alu instid0(VALU_DEP_1) | instskip(NEXT) | instid1(VALU_DEP_1)
	v_add_f64 v[11:12], v[11:12], -v[11:12]
	v_div_scale_f64 v[17:18], vcc_lo, v[11:12], v[11:12], v[11:12]
	s_delay_alu instid0(VALU_DEP_1) | instskip(SKIP_2) | instid1(VALU_DEP_1)
	v_rcp_f64_e32 v[19:20], v[17:18]
	s_waitcnt_depctr 0xfff
	v_fma_f64 v[22:23], -v[17:18], v[19:20], 1.0
	v_fma_f64 v[19:20], v[19:20], v[22:23], v[19:20]
	s_delay_alu instid0(VALU_DEP_1) | instskip(NEXT) | instid1(VALU_DEP_1)
	v_fma_f64 v[22:23], -v[17:18], v[19:20], 1.0
	v_fma_f64 v[19:20], v[19:20], v[22:23], v[19:20]
	s_delay_alu instid0(VALU_DEP_1) | instskip(NEXT) | instid1(VALU_DEP_1)
	v_mul_f64 v[22:23], v[17:18], v[19:20]
	v_fma_f64 v[17:18], -v[17:18], v[22:23], v[17:18]
	s_delay_alu instid0(VALU_DEP_1) | instskip(NEXT) | instid1(VALU_DEP_1)
	v_div_fmas_f64 v[17:18], v[17:18], v[19:20], v[22:23]
	v_div_fixup_f64 v[11:12], v[17:18], v[11:12], v[11:12]
; %bb.123:
	s_or_b32 exec_lo, exec_lo, s1
	v_dual_mov_b32 v23, v10 :: v_dual_mov_b32 v22, v9
.LBB166_124:
	s_or_b32 exec_lo, exec_lo, s9
.LBB166_125:
	s_delay_alu instid0(SALU_CYCLE_1) | instskip(NEXT) | instid1(VALU_DEP_1)
	s_or_b32 exec_lo, exec_lo, s7
	v_cmp_gt_f64_e32 vcc_lo, 0, v[22:23]
	s_delay_alu instid0(VALU_DEP_3) | instskip(SKIP_2) | instid1(VALU_DEP_2)
	v_cmp_gt_f64_e64 s1, 0, v[11:12]
	v_xor_b32_e32 v9, 0x80000000, v23
	v_xor_b32_e32 v17, 0x80000000, v12
	v_dual_cndmask_b32 v10, v23, v9 :: v_dual_cndmask_b32 v9, v22, v22
	s_delay_alu instid0(VALU_DEP_2) | instskip(SKIP_2) | instid1(VALU_DEP_1)
	v_cndmask_b32_e64 v25, v12, v17, s1
	v_cndmask_b32_e64 v24, v11, v11, s1
                                        ; implicit-def: $vgpr17_vgpr18
	s_mov_b32 s1, exec_lo
	v_cmpx_ge_f64_e32 v[9:10], v[24:25]
	s_xor_b32 s2, exec_lo, s1
	s_cbranch_execz .LBB166_131
; %bb.126:
	v_cmp_neq_f64_e32 vcc_lo, 0, v[22:23]
	v_cmp_neq_f64_e64 s1, 0, v[11:12]
                                        ; implicit-def: $vgpr17_vgpr18
	s_delay_alu instid0(VALU_DEP_1) | instskip(NEXT) | instid1(SALU_CYCLE_1)
	s_or_b32 s1, vcc_lo, s1
	s_and_saveexec_b32 s7, s1
	s_delay_alu instid0(SALU_CYCLE_1)
	s_xor_b32 s1, exec_lo, s7
	s_cbranch_execz .LBB166_128
; %bb.127:
	v_div_scale_f64 v[9:10], null, v[22:23], v[22:23], v[11:12]
	v_div_scale_f64 v[24:25], vcc_lo, v[11:12], v[22:23], v[11:12]
	s_delay_alu instid0(VALU_DEP_2) | instskip(SKIP_2) | instid1(VALU_DEP_1)
	v_rcp_f64_e32 v[17:18], v[9:10]
	s_waitcnt_depctr 0xfff
	v_fma_f64 v[19:20], -v[9:10], v[17:18], 1.0
	v_fma_f64 v[17:18], v[17:18], v[19:20], v[17:18]
	s_delay_alu instid0(VALU_DEP_1) | instskip(NEXT) | instid1(VALU_DEP_1)
	v_fma_f64 v[19:20], -v[9:10], v[17:18], 1.0
	v_fma_f64 v[17:18], v[17:18], v[19:20], v[17:18]
	s_delay_alu instid0(VALU_DEP_1) | instskip(NEXT) | instid1(VALU_DEP_1)
	v_mul_f64 v[19:20], v[24:25], v[17:18]
	v_fma_f64 v[9:10], -v[9:10], v[19:20], v[24:25]
	s_delay_alu instid0(VALU_DEP_1) | instskip(NEXT) | instid1(VALU_DEP_1)
	v_div_fmas_f64 v[9:10], v[9:10], v[17:18], v[19:20]
	v_div_fixup_f64 v[9:10], v[9:10], v[22:23], v[11:12]
	s_delay_alu instid0(VALU_DEP_1) | instskip(NEXT) | instid1(VALU_DEP_1)
	v_fma_f64 v[11:12], v[11:12], v[9:10], v[22:23]
	v_div_scale_f64 v[17:18], null, v[11:12], v[11:12], 1.0
	v_div_scale_f64 v[24:25], vcc_lo, 1.0, v[11:12], 1.0
	s_delay_alu instid0(VALU_DEP_2) | instskip(SKIP_2) | instid1(VALU_DEP_1)
	v_rcp_f64_e32 v[19:20], v[17:18]
	s_waitcnt_depctr 0xfff
	v_fma_f64 v[22:23], -v[17:18], v[19:20], 1.0
	v_fma_f64 v[19:20], v[19:20], v[22:23], v[19:20]
	s_delay_alu instid0(VALU_DEP_1) | instskip(NEXT) | instid1(VALU_DEP_1)
	v_fma_f64 v[22:23], -v[17:18], v[19:20], 1.0
	v_fma_f64 v[19:20], v[19:20], v[22:23], v[19:20]
	s_delay_alu instid0(VALU_DEP_1) | instskip(NEXT) | instid1(VALU_DEP_1)
	v_mul_f64 v[22:23], v[24:25], v[19:20]
	v_fma_f64 v[17:18], -v[17:18], v[22:23], v[24:25]
                                        ; implicit-def: $vgpr24_vgpr25
	s_delay_alu instid0(VALU_DEP_1) | instskip(SKIP_2) | instid1(VALU_DEP_3)
	v_div_fmas_f64 v[17:18], v[17:18], v[19:20], v[22:23]
	v_fma_f64 v[19:20], v[9:10], 0, 1.0
	v_add_f64 v[9:10], -v[9:10], 0
	v_div_fixup_f64 v[11:12], v[17:18], v[11:12], 1.0
	s_delay_alu instid0(VALU_DEP_1) | instskip(NEXT) | instid1(VALU_DEP_3)
	v_mul_f64 v[17:18], v[19:20], v[11:12]
	v_mul_f64 v[19:20], v[9:10], v[11:12]
                                        ; implicit-def: $vgpr9_vgpr10
.LBB166_128:
	s_and_not1_saveexec_b32 s7, s1
	s_cbranch_execz .LBB166_130
; %bb.129:
	v_div_scale_f64 v[11:12], null, v[9:10], v[9:10], 1.0
	v_div_scale_f64 v[17:18], null, v[24:25], v[24:25], 0
	v_div_scale_f64 v[31:32], vcc_lo, 1.0, v[9:10], 1.0
	s_delay_alu instid0(VALU_DEP_3) | instskip(NEXT) | instid1(VALU_DEP_2)
	v_rcp_f64_e32 v[19:20], v[11:12]
	v_rcp_f64_e32 v[22:23], v[17:18]
	s_waitcnt_depctr 0xfff
	v_fma_f64 v[27:28], -v[11:12], v[19:20], 1.0
	v_fma_f64 v[29:30], -v[17:18], v[22:23], 1.0
	s_delay_alu instid0(VALU_DEP_2) | instskip(NEXT) | instid1(VALU_DEP_2)
	v_fma_f64 v[19:20], v[19:20], v[27:28], v[19:20]
	v_fma_f64 v[22:23], v[22:23], v[29:30], v[22:23]
	s_delay_alu instid0(VALU_DEP_2) | instskip(NEXT) | instid1(VALU_DEP_2)
	v_fma_f64 v[27:28], -v[11:12], v[19:20], 1.0
	v_fma_f64 v[29:30], -v[17:18], v[22:23], 1.0
	s_delay_alu instid0(VALU_DEP_2) | instskip(SKIP_1) | instid1(VALU_DEP_3)
	v_fma_f64 v[19:20], v[19:20], v[27:28], v[19:20]
	v_div_scale_f64 v[27:28], s1, 0, v[24:25], 0
	v_fma_f64 v[22:23], v[22:23], v[29:30], v[22:23]
	s_delay_alu instid0(VALU_DEP_3) | instskip(NEXT) | instid1(VALU_DEP_2)
	v_mul_f64 v[29:30], v[31:32], v[19:20]
	v_mul_f64 v[33:34], v[27:28], v[22:23]
	s_delay_alu instid0(VALU_DEP_2) | instskip(NEXT) | instid1(VALU_DEP_2)
	v_fma_f64 v[11:12], -v[11:12], v[29:30], v[31:32]
	v_fma_f64 v[17:18], -v[17:18], v[33:34], v[27:28]
	s_delay_alu instid0(VALU_DEP_2) | instskip(SKIP_1) | instid1(VALU_DEP_2)
	v_div_fmas_f64 v[11:12], v[11:12], v[19:20], v[29:30]
	s_mov_b32 vcc_lo, s1
	v_div_fmas_f64 v[19:20], v[17:18], v[22:23], v[33:34]
	s_delay_alu instid0(VALU_DEP_2) | instskip(NEXT) | instid1(VALU_DEP_2)
	v_div_fixup_f64 v[17:18], v[11:12], v[9:10], 1.0
	v_div_fixup_f64 v[19:20], v[19:20], v[24:25], 0
.LBB166_130:
	s_or_b32 exec_lo, exec_lo, s7
                                        ; implicit-def: $vgpr11_vgpr12
                                        ; implicit-def: $vgpr22_vgpr23
.LBB166_131:
	s_and_not1_saveexec_b32 s1, s2
	s_cbranch_execz .LBB166_133
; %bb.132:
	v_div_scale_f64 v[9:10], null, v[11:12], v[11:12], v[22:23]
	v_div_scale_f64 v[24:25], vcc_lo, v[22:23], v[11:12], v[22:23]
	s_delay_alu instid0(VALU_DEP_2) | instskip(SKIP_2) | instid1(VALU_DEP_1)
	v_rcp_f64_e32 v[17:18], v[9:10]
	s_waitcnt_depctr 0xfff
	v_fma_f64 v[19:20], -v[9:10], v[17:18], 1.0
	v_fma_f64 v[17:18], v[17:18], v[19:20], v[17:18]
	s_delay_alu instid0(VALU_DEP_1) | instskip(NEXT) | instid1(VALU_DEP_1)
	v_fma_f64 v[19:20], -v[9:10], v[17:18], 1.0
	v_fma_f64 v[17:18], v[17:18], v[19:20], v[17:18]
	s_delay_alu instid0(VALU_DEP_1) | instskip(NEXT) | instid1(VALU_DEP_1)
	v_mul_f64 v[19:20], v[24:25], v[17:18]
	v_fma_f64 v[9:10], -v[9:10], v[19:20], v[24:25]
	s_delay_alu instid0(VALU_DEP_1) | instskip(NEXT) | instid1(VALU_DEP_1)
	v_div_fmas_f64 v[9:10], v[9:10], v[17:18], v[19:20]
	v_div_fixup_f64 v[9:10], v[9:10], v[11:12], v[22:23]
	s_delay_alu instid0(VALU_DEP_1) | instskip(NEXT) | instid1(VALU_DEP_1)
	v_fma_f64 v[11:12], v[22:23], v[9:10], v[11:12]
	v_div_scale_f64 v[17:18], null, v[11:12], v[11:12], 1.0
	v_div_scale_f64 v[24:25], vcc_lo, 1.0, v[11:12], 1.0
	s_delay_alu instid0(VALU_DEP_2) | instskip(SKIP_2) | instid1(VALU_DEP_1)
	v_rcp_f64_e32 v[19:20], v[17:18]
	s_waitcnt_depctr 0xfff
	v_fma_f64 v[22:23], -v[17:18], v[19:20], 1.0
	v_fma_f64 v[19:20], v[19:20], v[22:23], v[19:20]
	s_delay_alu instid0(VALU_DEP_1) | instskip(NEXT) | instid1(VALU_DEP_1)
	v_fma_f64 v[22:23], -v[17:18], v[19:20], 1.0
	v_fma_f64 v[19:20], v[19:20], v[22:23], v[19:20]
	s_delay_alu instid0(VALU_DEP_1) | instskip(NEXT) | instid1(VALU_DEP_1)
	v_mul_f64 v[22:23], v[24:25], v[19:20]
	v_fma_f64 v[17:18], -v[17:18], v[22:23], v[24:25]
	s_delay_alu instid0(VALU_DEP_1) | instskip(SKIP_2) | instid1(VALU_DEP_3)
	v_div_fmas_f64 v[17:18], v[17:18], v[19:20], v[22:23]
	v_add_f64 v[19:20], v[9:10], 0
	v_fma_f64 v[9:10], v[9:10], 0, -1.0
	v_div_fixup_f64 v[11:12], v[17:18], v[11:12], 1.0
	s_delay_alu instid0(VALU_DEP_1) | instskip(NEXT) | instid1(VALU_DEP_3)
	v_mul_f64 v[17:18], v[19:20], v[11:12]
	v_mul_f64 v[19:20], v[9:10], v[11:12]
.LBB166_133:
	s_or_b32 exec_lo, exec_lo, s1
.LBB166_134:
	s_delay_alu instid0(SALU_CYCLE_1) | instskip(SKIP_3) | instid1(VALU_DEP_2)
	s_or_b32 exec_lo, exec_lo, s6
	v_mov_b32_e32 v9, 0
	v_or_b32_e32 v11, 0x300, v0
	v_mov_b32_e32 v10, 0
	v_cmp_gt_i32_e32 vcc_lo, s8, v11
	s_delay_alu instid0(VALU_DEP_2)
	v_dual_mov_b32 v12, v10 :: v_dual_mov_b32 v11, v9
	s_and_saveexec_b32 s6, vcc_lo
	s_cbranch_execz .LBB166_151
; %bb.135:
	v_cmp_neq_f64_e32 vcc_lo, 0, v[1:2]
	v_cmp_neq_f64_e64 s1, 0, v[3:4]
	v_mov_b32_e32 v22, 0
	v_mov_b32_e32 v23, 0
	s_delay_alu instid0(VALU_DEP_3) | instskip(NEXT) | instid1(SALU_CYCLE_1)
	s_or_b32 s1, vcc_lo, s1
	s_and_saveexec_b32 s7, s1
	s_cbranch_execz .LBB166_172
; %bb.136:
	s_mov_b32 s10, 0
	s_mov_b32 s11, 0x7ff00000
	v_mov_b32_e32 v22, s10
	v_mov_b32_e32 v23, s11
	s_mov_b32 s9, exec_lo
	v_cmpx_neq_f64_e64 0x7ff00000, |v[3:4]|
	s_cbranch_execz .LBB166_171
; %bb.137:
	s_mov_b32 s1, exec_lo
	v_cmpx_o_f64_e32 v[1:2], v[1:2]
	s_xor_b32 s10, exec_lo, s1
	s_cbranch_execz .LBB166_168
; %bb.138:
	s_mov_b32 s2, exec_lo
	v_cmpx_neq_f64_e64 0x7ff00000, |v[1:2]|
	s_xor_b32 s11, exec_lo, s2
	s_cbranch_execz .LBB166_161
; %bb.139:
	v_max_f64 v[9:10], |v[3:4]|, |v[3:4]|
	v_max_f64 v[11:12], |v[1:2]|, |v[1:2]|
	s_mov_b32 s12, 0x99fcef32
	s_mov_b32 s13, 0x7fda8279
	s_delay_alu instid0(VALU_DEP_1) | instskip(NEXT) | instid1(VALU_DEP_1)
	v_max_f64 v[9:10], v[11:12], v[9:10]
	v_cmp_nle_f64_e64 s1, s[12:13], v[9:10]
                                        ; implicit-def: $sgpr12
	s_delay_alu instid0(VALU_DEP_1) | instskip(NEXT) | instid1(SALU_CYCLE_1)
	s_and_saveexec_b32 s2, s1
	s_xor_b32 s2, exec_lo, s2
	s_cbranch_execz .LBB166_143
; %bb.140:
	v_cmp_ge_f64_e64 s12, 0x200000, |v[1:2]|
	v_cmp_ge_f64_e64 s13, 0x200000, |v[3:4]|
	s_delay_alu instid0(VALU_DEP_1)
	s_and_b32 s14, s12, s13
	s_mov_b32 s12, 0
	s_and_saveexec_b32 s13, s14
; %bb.141:
	v_mul_f64 v[1:2], v[1:2], 4.0
	v_mul_f64 v[3:4], v[3:4], 4.0
	s_mov_b32 s12, exec_lo
; %bb.142:
	s_or_b32 exec_lo, exec_lo, s13
	s_delay_alu instid0(SALU_CYCLE_1)
	s_and_b32 s12, s12, exec_lo
.LBB166_143:
	s_and_not1_saveexec_b32 s2, s2
; %bb.144:
	s_delay_alu instid0(VALU_DEP_2) | instskip(NEXT) | instid1(VALU_DEP_2)
	v_ldexp_f64 v[1:2], v[1:2], -2
	v_ldexp_f64 v[3:4], v[3:4], -2
	s_and_not1_b32 s12, s12, exec_lo
; %bb.145:
	s_or_b32 exec_lo, exec_lo, s2
	s_delay_alu instid0(VALU_DEP_1) | instskip(NEXT) | instid1(VALU_DEP_3)
	v_max_f64 v[9:10], |v[3:4]|, |v[3:4]|
	v_max_f64 v[11:12], |v[1:2]|, |v[1:2]|
	v_cmp_class_f64_e64 s13, v[1:2], 0x204
	v_cmp_class_f64_e64 s14, v[3:4], 0x204
	v_cmp_le_f64_e64 s2, 0, v[1:2]
	s_delay_alu instid0(VALU_DEP_4) | instskip(NEXT) | instid1(VALU_DEP_3)
	v_max_f64 v[9:10], v[11:12], v[9:10]
	s_or_b32 s13, s14, s13
	s_delay_alu instid0(VALU_DEP_1) | instskip(NEXT) | instid1(VALU_DEP_1)
	v_frexp_exp_i32_f64_e32 v27, v[9:10]
	v_sub_nc_u32_e32 v11, 0, v27
	s_delay_alu instid0(VALU_DEP_1) | instskip(SKIP_1) | instid1(VALU_DEP_2)
	v_ldexp_f64 v[9:10], |v[3:4]|, v11
	v_ldexp_f64 v[11:12], |v[1:2]|, v11
	v_mul_f64 v[9:10], v[9:10], v[9:10]
	s_delay_alu instid0(VALU_DEP_1) | instskip(NEXT) | instid1(VALU_DEP_1)
	v_fma_f64 v[9:10], v[11:12], v[11:12], v[9:10]
	v_rsq_f64_e32 v[11:12], v[9:10]
	v_cmp_eq_f64_e32 vcc_lo, 0, v[9:10]
	s_waitcnt_depctr 0xfff
	v_mul_f64 v[22:23], v[9:10], v[11:12]
	v_mul_f64 v[11:12], v[11:12], 0.5
	s_delay_alu instid0(VALU_DEP_1) | instskip(NEXT) | instid1(VALU_DEP_1)
	v_fma_f64 v[24:25], -v[11:12], v[22:23], 0.5
	v_fma_f64 v[22:23], v[22:23], v[24:25], v[22:23]
	v_fma_f64 v[11:12], v[11:12], v[24:25], v[11:12]
	s_delay_alu instid0(VALU_DEP_2) | instskip(NEXT) | instid1(VALU_DEP_1)
	v_fma_f64 v[24:25], -v[22:23], v[22:23], v[9:10]
	v_fma_f64 v[11:12], v[24:25], v[11:12], v[22:23]
	s_delay_alu instid0(VALU_DEP_1) | instskip(SKIP_1) | instid1(VALU_DEP_2)
	v_dual_cndmask_b32 v10, v12, v10 :: v_dual_cndmask_b32 v9, v11, v9
	v_cmp_o_f64_e32 vcc_lo, v[3:4], v[3:4]
	v_ldexp_f64 v[9:10], v[9:10], v27
	s_delay_alu instid0(VALU_DEP_1) | instskip(NEXT) | instid1(VALU_DEP_2)
	v_cndmask_b32_e32 v9, 0, v9, vcc_lo
	v_cndmask_b32_e32 v10, 0x7ff80000, v10, vcc_lo
	s_delay_alu instid0(VALU_DEP_2) | instskip(NEXT) | instid1(VALU_DEP_2)
	v_cndmask_b32_e64 v9, v9, 0, s13
	v_cndmask_b32_e64 v10, v10, 0x7ff00000, s13
	s_and_saveexec_b32 s13, s2
	s_delay_alu instid0(SALU_CYCLE_1)
	s_xor_b32 s2, exec_lo, s13
	s_cbranch_execz .LBB166_156
; %bb.146:
	s_delay_alu instid0(VALU_DEP_1) | instskip(NEXT) | instid1(VALU_DEP_1)
	v_add_f64 v[1:2], v[1:2], v[9:10]
	v_mul_f64 v[1:2], v[1:2], 0.5
	s_delay_alu instid0(VALU_DEP_1) | instskip(SKIP_1) | instid1(VALU_DEP_1)
	v_cmp_gt_f64_e32 vcc_lo, 0x10000000, v[1:2]
	v_cndmask_b32_e64 v9, 0, 1, vcc_lo
	v_lshlrev_b32_e32 v9, 8, v9
	s_delay_alu instid0(VALU_DEP_1) | instskip(NEXT) | instid1(VALU_DEP_1)
	v_ldexp_f64 v[1:2], v[1:2], v9
	v_rsq_f64_e32 v[9:10], v[1:2]
	s_waitcnt_depctr 0xfff
	v_mul_f64 v[11:12], v[1:2], v[9:10]
	v_mul_f64 v[9:10], v[9:10], 0.5
	s_delay_alu instid0(VALU_DEP_1) | instskip(NEXT) | instid1(VALU_DEP_1)
	v_fma_f64 v[22:23], -v[9:10], v[11:12], 0.5
	v_fma_f64 v[11:12], v[11:12], v[22:23], v[11:12]
	v_fma_f64 v[9:10], v[9:10], v[22:23], v[9:10]
	s_delay_alu instid0(VALU_DEP_2) | instskip(NEXT) | instid1(VALU_DEP_1)
	v_fma_f64 v[22:23], -v[11:12], v[11:12], v[1:2]
	v_fma_f64 v[11:12], v[22:23], v[9:10], v[11:12]
	s_delay_alu instid0(VALU_DEP_1) | instskip(NEXT) | instid1(VALU_DEP_1)
	v_fma_f64 v[22:23], -v[11:12], v[11:12], v[1:2]
	v_fma_f64 v[9:10], v[22:23], v[9:10], v[11:12]
	v_cndmask_b32_e64 v11, 0, 0xffffff80, vcc_lo
	v_cmp_class_f64_e64 vcc_lo, v[1:2], 0x260
	s_delay_alu instid0(VALU_DEP_2) | instskip(NEXT) | instid1(VALU_DEP_1)
	v_ldexp_f64 v[9:10], v[9:10], v11
	v_dual_cndmask_b32 v2, v10, v2 :: v_dual_cndmask_b32 v1, v9, v1
	s_delay_alu instid0(VALU_DEP_1) | instskip(NEXT) | instid1(VALU_DEP_1)
	v_add_f64 v[9:10], v[1:2], v[1:2]
	v_div_scale_f64 v[11:12], null, v[9:10], v[9:10], v[3:4]
	s_delay_alu instid0(VALU_DEP_1) | instskip(SKIP_2) | instid1(VALU_DEP_1)
	v_rcp_f64_e32 v[22:23], v[11:12]
	s_waitcnt_depctr 0xfff
	v_fma_f64 v[24:25], -v[11:12], v[22:23], 1.0
	v_fma_f64 v[22:23], v[22:23], v[24:25], v[22:23]
	s_delay_alu instid0(VALU_DEP_1) | instskip(NEXT) | instid1(VALU_DEP_1)
	v_fma_f64 v[24:25], -v[11:12], v[22:23], 1.0
	v_fma_f64 v[22:23], v[22:23], v[24:25], v[22:23]
	v_div_scale_f64 v[24:25], vcc_lo, v[3:4], v[9:10], v[3:4]
	s_delay_alu instid0(VALU_DEP_1) | instskip(NEXT) | instid1(VALU_DEP_1)
	v_mul_f64 v[27:28], v[24:25], v[22:23]
	v_fma_f64 v[11:12], -v[11:12], v[27:28], v[24:25]
	s_delay_alu instid0(VALU_DEP_1) | instskip(NEXT) | instid1(VALU_DEP_1)
	v_div_fmas_f64 v[11:12], v[11:12], v[22:23], v[27:28]
	v_div_fixup_f64 v[3:4], v[11:12], v[9:10], v[3:4]
                                        ; implicit-def: $vgpr9_vgpr10
	s_and_not1_saveexec_b32 s2, s2
	s_cbranch_execnz .LBB166_157
.LBB166_147:
	s_or_b32 exec_lo, exec_lo, s2
	s_and_saveexec_b32 s2, s1
	s_delay_alu instid0(SALU_CYCLE_1)
	s_xor_b32 s1, exec_lo, s2
	s_cbranch_execz .LBB166_158
.LBB166_148:
	s_and_saveexec_b32 s2, s12
; %bb.149:
	s_delay_alu instid0(VALU_DEP_2) | instskip(NEXT) | instid1(VALU_DEP_2)
	v_mul_f64 v[1:2], v[1:2], 0.5
	v_mul_f64 v[3:4], v[3:4], 0.5
; %bb.150:
	s_or_b32 exec_lo, exec_lo, s2
	s_and_not1_saveexec_b32 s1, s1
	s_cbranch_execnz .LBB166_159
	s_branch .LBB166_160
.LBB166_151:
	s_or_b32 exec_lo, exec_lo, s6
	s_and_saveexec_b32 s1, s0
	s_delay_alu instid0(SALU_CYCLE_1)
	s_xor_b32 s0, exec_lo, s1
	s_cbranch_execz .LBB166_181
.LBB166_152:
	v_mov_b32_e32 v22, 0
	s_delay_alu instid0(VALU_DEP_1) | instskip(NEXT) | instid1(VALU_DEP_1)
	v_lshlrev_b64 v[0:1], 4, v[21:22]
	v_add_co_u32 v2, vcc_lo, s4, v0
	s_delay_alu instid0(VALU_DEP_2) | instskip(SKIP_3) | instid1(SALU_CYCLE_1)
	v_add_co_ci_u32_e32 v3, vcc_lo, s5, v1, vcc_lo
	v_mov_b32_e32 v0, v26
	global_store_b128 v[2:3], v[5:8], off
	s_or_b32 exec_lo, exec_lo, s0
	s_mov_b32 s0, exec_lo
	v_cmpx_gt_i32_e64 s8, v0
	s_cbranch_execnz .LBB166_182
.LBB166_153:
	s_or_b32 exec_lo, exec_lo, s0
	s_delay_alu instid0(SALU_CYCLE_1)
	s_mov_b32 s0, exec_lo
	v_cmpx_gt_i32_e64 s8, v0
	s_cbranch_execz .LBB166_183
.LBB166_154:
	v_dual_mov_b32 v2, 0 :: v_dual_add_nc_u32 v1, s3, v0
	v_add_nc_u32_e32 v0, 0x100, v0
	s_delay_alu instid0(VALU_DEP_2) | instskip(NEXT) | instid1(VALU_DEP_1)
	v_lshlrev_b64 v[1:2], 4, v[1:2]
	v_add_co_u32 v1, vcc_lo, s4, v1
	s_delay_alu instid0(VALU_DEP_2) | instskip(SKIP_2) | instid1(SALU_CYCLE_1)
	v_add_co_ci_u32_e32 v2, vcc_lo, s5, v2, vcc_lo
	global_store_b128 v[1:2], v[17:20], off
	s_or_b32 exec_lo, exec_lo, s0
	s_mov_b32 s0, exec_lo
	v_cmpx_gt_i32_e64 s8, v0
	s_cbranch_execnz .LBB166_184
.LBB166_155:
	s_nop 0
	s_sendmsg sendmsg(MSG_DEALLOC_VGPRS)
	s_endpgm
.LBB166_156:
	s_and_not1_saveexec_b32 s2, s2
	s_cbranch_execz .LBB166_147
.LBB166_157:
	v_add_f64 v[1:2], v[9:10], -v[1:2]
	s_delay_alu instid0(VALU_DEP_1) | instskip(NEXT) | instid1(VALU_DEP_1)
	v_mul_f64 v[1:2], v[1:2], 0.5
	v_cmp_gt_f64_e32 vcc_lo, 0x10000000, v[1:2]
	v_cndmask_b32_e64 v9, 0, 1, vcc_lo
	s_delay_alu instid0(VALU_DEP_1) | instskip(NEXT) | instid1(VALU_DEP_1)
	v_lshlrev_b32_e32 v9, 8, v9
	v_ldexp_f64 v[1:2], v[1:2], v9
	s_delay_alu instid0(VALU_DEP_1) | instskip(SKIP_3) | instid1(VALU_DEP_1)
	v_rsq_f64_e32 v[9:10], v[1:2]
	s_waitcnt_depctr 0xfff
	v_mul_f64 v[11:12], v[1:2], v[9:10]
	v_mul_f64 v[9:10], v[9:10], 0.5
	v_fma_f64 v[22:23], -v[9:10], v[11:12], 0.5
	s_delay_alu instid0(VALU_DEP_1) | instskip(SKIP_1) | instid1(VALU_DEP_2)
	v_fma_f64 v[11:12], v[11:12], v[22:23], v[11:12]
	v_fma_f64 v[9:10], v[9:10], v[22:23], v[9:10]
	v_fma_f64 v[22:23], -v[11:12], v[11:12], v[1:2]
	s_delay_alu instid0(VALU_DEP_1) | instskip(NEXT) | instid1(VALU_DEP_1)
	v_fma_f64 v[11:12], v[22:23], v[9:10], v[11:12]
	v_fma_f64 v[22:23], -v[11:12], v[11:12], v[1:2]
	s_delay_alu instid0(VALU_DEP_1) | instskip(SKIP_3) | instid1(VALU_DEP_3)
	v_fma_f64 v[9:10], v[22:23], v[9:10], v[11:12]
	v_cndmask_b32_e64 v11, 0, 0xffffff80, vcc_lo
	v_cmp_class_f64_e64 vcc_lo, v[1:2], 0x260
	v_and_b32_e32 v12, 0x7fffffff, v4
	v_ldexp_f64 v[9:10], v[9:10], v11
	s_delay_alu instid0(VALU_DEP_1) | instskip(NEXT) | instid1(VALU_DEP_1)
	v_dual_cndmask_b32 v10, v10, v2 :: v_dual_cndmask_b32 v9, v9, v1
	v_add_f64 v[1:2], v[9:10], v[9:10]
	v_bfi_b32 v10, 0x7fffffff, v10, v4
	v_mov_b32_e32 v11, v3
	s_delay_alu instid0(VALU_DEP_1) | instskip(SKIP_1) | instid1(VALU_DEP_2)
	v_div_scale_f64 v[22:23], null, v[1:2], v[1:2], v[11:12]
	v_div_scale_f64 v[11:12], vcc_lo, v[11:12], v[1:2], v[11:12]
	v_rcp_f64_e32 v[24:25], v[22:23]
	s_waitcnt_depctr 0xfff
	v_fma_f64 v[27:28], -v[22:23], v[24:25], 1.0
	s_delay_alu instid0(VALU_DEP_1) | instskip(NEXT) | instid1(VALU_DEP_1)
	v_fma_f64 v[24:25], v[24:25], v[27:28], v[24:25]
	v_fma_f64 v[27:28], -v[22:23], v[24:25], 1.0
	s_delay_alu instid0(VALU_DEP_1) | instskip(NEXT) | instid1(VALU_DEP_1)
	v_fma_f64 v[24:25], v[24:25], v[27:28], v[24:25]
	v_mul_f64 v[27:28], v[11:12], v[24:25]
	s_delay_alu instid0(VALU_DEP_1) | instskip(NEXT) | instid1(VALU_DEP_1)
	v_fma_f64 v[11:12], -v[22:23], v[27:28], v[11:12]
	v_div_fmas_f64 v[11:12], v[11:12], v[24:25], v[27:28]
	s_delay_alu instid0(VALU_DEP_1) | instskip(SKIP_3) | instid1(SALU_CYCLE_1)
	v_div_fixup_f64 v[1:2], v[11:12], v[1:2], |v[3:4]|
	v_dual_mov_b32 v3, v9 :: v_dual_mov_b32 v4, v10
	s_or_b32 exec_lo, exec_lo, s2
	s_and_saveexec_b32 s2, s1
	s_xor_b32 s1, exec_lo, s2
	s_cbranch_execnz .LBB166_148
.LBB166_158:
	s_and_not1_saveexec_b32 s1, s1
.LBB166_159:
	s_delay_alu instid0(VALU_DEP_2) | instskip(NEXT) | instid1(VALU_DEP_2)
	v_add_f64 v[1:2], v[1:2], v[1:2]
	v_add_f64 v[3:4], v[3:4], v[3:4]
.LBB166_160:
	s_or_b32 exec_lo, exec_lo, s1
.LBB166_161:
	s_and_not1_saveexec_b32 s1, s11
	s_cbranch_execz .LBB166_167
; %bb.162:
	s_delay_alu instid0(VALU_DEP_1) | instskip(SKIP_1) | instid1(VALU_DEP_3)
	v_add_f64 v[9:10], v[3:4], -v[3:4]
	s_mov_b32 s2, exec_lo
	v_cmpx_lt_i64_e32 -1, v[1:2]
	s_xor_b32 s2, exec_lo, s2
; %bb.163:
	s_delay_alu instid0(VALU_DEP_2) | instskip(NEXT) | instid1(VALU_DEP_1)
	v_bfi_b32 v10, 0x7fffffff, v10, v4
	v_dual_mov_b32 v3, v9 :: v_dual_mov_b32 v4, v10
                                        ; implicit-def: $vgpr9_vgpr10
; %bb.164:
	s_and_not1_saveexec_b32 s2, s2
; %bb.165:
	s_delay_alu instid0(VALU_DEP_1) | instskip(SKIP_1) | instid1(VALU_DEP_2)
	v_bfi_b32 v2, 0x7fffffff, v2, v4
	v_and_b32_e32 v10, 0x7fffffff, v10
	v_dual_mov_b32 v4, v2 :: v_dual_mov_b32 v3, v1
	s_delay_alu instid0(VALU_DEP_2)
	v_dual_mov_b32 v1, v9 :: v_dual_mov_b32 v2, v10
; %bb.166:
	s_or_b32 exec_lo, exec_lo, s2
.LBB166_167:
	s_delay_alu instid0(SALU_CYCLE_1)
	s_or_b32 exec_lo, exec_lo, s1
.LBB166_168:
	s_and_not1_saveexec_b32 s1, s10
; %bb.169:
	s_delay_alu instid0(VALU_DEP_1) | instskip(NEXT) | instid1(VALU_DEP_1)
	v_add_f64 v[3:4], v[3:4], -v[3:4]
	v_div_scale_f64 v[9:10], vcc_lo, v[3:4], v[3:4], v[3:4]
	s_delay_alu instid0(VALU_DEP_1) | instskip(SKIP_2) | instid1(VALU_DEP_1)
	v_rcp_f64_e32 v[11:12], v[9:10]
	s_waitcnt_depctr 0xfff
	v_fma_f64 v[22:23], -v[9:10], v[11:12], 1.0
	v_fma_f64 v[11:12], v[11:12], v[22:23], v[11:12]
	s_delay_alu instid0(VALU_DEP_1) | instskip(NEXT) | instid1(VALU_DEP_1)
	v_fma_f64 v[22:23], -v[9:10], v[11:12], 1.0
	v_fma_f64 v[11:12], v[11:12], v[22:23], v[11:12]
	s_delay_alu instid0(VALU_DEP_1) | instskip(NEXT) | instid1(VALU_DEP_1)
	v_mul_f64 v[22:23], v[9:10], v[11:12]
	v_fma_f64 v[9:10], -v[9:10], v[22:23], v[9:10]
	s_delay_alu instid0(VALU_DEP_1) | instskip(NEXT) | instid1(VALU_DEP_1)
	v_div_fmas_f64 v[9:10], v[9:10], v[11:12], v[22:23]
	v_div_fixup_f64 v[3:4], v[9:10], v[3:4], v[3:4]
; %bb.170:
	s_or_b32 exec_lo, exec_lo, s1
	v_dual_mov_b32 v23, v2 :: v_dual_mov_b32 v22, v1
.LBB166_171:
	s_or_b32 exec_lo, exec_lo, s9
.LBB166_172:
	s_delay_alu instid0(SALU_CYCLE_1) | instskip(NEXT) | instid1(VALU_DEP_1)
	s_or_b32 exec_lo, exec_lo, s7
	v_cmp_gt_f64_e32 vcc_lo, 0, v[22:23]
	s_delay_alu instid0(VALU_DEP_3) | instskip(SKIP_2) | instid1(VALU_DEP_2)
	v_cmp_gt_f64_e64 s1, 0, v[3:4]
	v_xor_b32_e32 v1, 0x80000000, v23
	v_xor_b32_e32 v9, 0x80000000, v4
	v_dual_cndmask_b32 v2, v23, v1 :: v_dual_cndmask_b32 v1, v22, v22
	s_delay_alu instid0(VALU_DEP_2) | instskip(SKIP_2) | instid1(VALU_DEP_1)
	v_cndmask_b32_e64 v25, v4, v9, s1
	v_cndmask_b32_e64 v24, v3, v3, s1
                                        ; implicit-def: $vgpr9_vgpr10
	s_mov_b32 s1, exec_lo
	v_cmpx_ge_f64_e32 v[1:2], v[24:25]
	s_xor_b32 s2, exec_lo, s1
	s_cbranch_execz .LBB166_178
; %bb.173:
	v_cmp_neq_f64_e32 vcc_lo, 0, v[22:23]
	v_cmp_neq_f64_e64 s1, 0, v[3:4]
                                        ; implicit-def: $vgpr9_vgpr10
	s_delay_alu instid0(VALU_DEP_1) | instskip(NEXT) | instid1(SALU_CYCLE_1)
	s_or_b32 s1, vcc_lo, s1
	s_and_saveexec_b32 s7, s1
	s_delay_alu instid0(SALU_CYCLE_1)
	s_xor_b32 s1, exec_lo, s7
	s_cbranch_execz .LBB166_175
; %bb.174:
	v_div_scale_f64 v[1:2], null, v[22:23], v[22:23], v[3:4]
	v_div_scale_f64 v[24:25], vcc_lo, v[3:4], v[22:23], v[3:4]
	s_delay_alu instid0(VALU_DEP_2) | instskip(SKIP_2) | instid1(VALU_DEP_1)
	v_rcp_f64_e32 v[9:10], v[1:2]
	s_waitcnt_depctr 0xfff
	v_fma_f64 v[11:12], -v[1:2], v[9:10], 1.0
	v_fma_f64 v[9:10], v[9:10], v[11:12], v[9:10]
	s_delay_alu instid0(VALU_DEP_1) | instskip(NEXT) | instid1(VALU_DEP_1)
	v_fma_f64 v[11:12], -v[1:2], v[9:10], 1.0
	v_fma_f64 v[9:10], v[9:10], v[11:12], v[9:10]
	s_delay_alu instid0(VALU_DEP_1) | instskip(NEXT) | instid1(VALU_DEP_1)
	v_mul_f64 v[11:12], v[24:25], v[9:10]
	v_fma_f64 v[1:2], -v[1:2], v[11:12], v[24:25]
	s_delay_alu instid0(VALU_DEP_1) | instskip(NEXT) | instid1(VALU_DEP_1)
	v_div_fmas_f64 v[1:2], v[1:2], v[9:10], v[11:12]
	v_div_fixup_f64 v[1:2], v[1:2], v[22:23], v[3:4]
	s_delay_alu instid0(VALU_DEP_1) | instskip(NEXT) | instid1(VALU_DEP_1)
	v_fma_f64 v[3:4], v[3:4], v[1:2], v[22:23]
	v_div_scale_f64 v[9:10], null, v[3:4], v[3:4], 1.0
	v_div_scale_f64 v[24:25], vcc_lo, 1.0, v[3:4], 1.0
	s_delay_alu instid0(VALU_DEP_2) | instskip(SKIP_2) | instid1(VALU_DEP_1)
	v_rcp_f64_e32 v[11:12], v[9:10]
	s_waitcnt_depctr 0xfff
	v_fma_f64 v[22:23], -v[9:10], v[11:12], 1.0
	v_fma_f64 v[11:12], v[11:12], v[22:23], v[11:12]
	s_delay_alu instid0(VALU_DEP_1) | instskip(NEXT) | instid1(VALU_DEP_1)
	v_fma_f64 v[22:23], -v[9:10], v[11:12], 1.0
	v_fma_f64 v[11:12], v[11:12], v[22:23], v[11:12]
	s_delay_alu instid0(VALU_DEP_1) | instskip(NEXT) | instid1(VALU_DEP_1)
	v_mul_f64 v[22:23], v[24:25], v[11:12]
	v_fma_f64 v[9:10], -v[9:10], v[22:23], v[24:25]
                                        ; implicit-def: $vgpr24_vgpr25
	s_delay_alu instid0(VALU_DEP_1) | instskip(SKIP_2) | instid1(VALU_DEP_3)
	v_div_fmas_f64 v[9:10], v[9:10], v[11:12], v[22:23]
	v_fma_f64 v[11:12], v[1:2], 0, 1.0
	v_add_f64 v[1:2], -v[1:2], 0
	v_div_fixup_f64 v[3:4], v[9:10], v[3:4], 1.0
	s_delay_alu instid0(VALU_DEP_1) | instskip(NEXT) | instid1(VALU_DEP_3)
	v_mul_f64 v[9:10], v[11:12], v[3:4]
	v_mul_f64 v[11:12], v[1:2], v[3:4]
                                        ; implicit-def: $vgpr1_vgpr2
.LBB166_175:
	s_and_not1_saveexec_b32 s7, s1
	s_cbranch_execz .LBB166_177
; %bb.176:
	v_div_scale_f64 v[3:4], null, v[1:2], v[1:2], 1.0
	v_div_scale_f64 v[9:10], null, v[24:25], v[24:25], 0
	v_div_scale_f64 v[31:32], vcc_lo, 1.0, v[1:2], 1.0
	s_delay_alu instid0(VALU_DEP_3) | instskip(NEXT) | instid1(VALU_DEP_2)
	v_rcp_f64_e32 v[11:12], v[3:4]
	v_rcp_f64_e32 v[22:23], v[9:10]
	s_waitcnt_depctr 0xfff
	v_fma_f64 v[27:28], -v[3:4], v[11:12], 1.0
	v_fma_f64 v[29:30], -v[9:10], v[22:23], 1.0
	s_delay_alu instid0(VALU_DEP_2) | instskip(NEXT) | instid1(VALU_DEP_2)
	v_fma_f64 v[11:12], v[11:12], v[27:28], v[11:12]
	v_fma_f64 v[22:23], v[22:23], v[29:30], v[22:23]
	s_delay_alu instid0(VALU_DEP_2) | instskip(NEXT) | instid1(VALU_DEP_2)
	v_fma_f64 v[27:28], -v[3:4], v[11:12], 1.0
	v_fma_f64 v[29:30], -v[9:10], v[22:23], 1.0
	s_delay_alu instid0(VALU_DEP_2) | instskip(SKIP_1) | instid1(VALU_DEP_3)
	v_fma_f64 v[11:12], v[11:12], v[27:28], v[11:12]
	v_div_scale_f64 v[27:28], s1, 0, v[24:25], 0
	v_fma_f64 v[22:23], v[22:23], v[29:30], v[22:23]
	s_delay_alu instid0(VALU_DEP_3) | instskip(NEXT) | instid1(VALU_DEP_2)
	v_mul_f64 v[29:30], v[31:32], v[11:12]
	v_mul_f64 v[33:34], v[27:28], v[22:23]
	s_delay_alu instid0(VALU_DEP_2) | instskip(NEXT) | instid1(VALU_DEP_2)
	v_fma_f64 v[3:4], -v[3:4], v[29:30], v[31:32]
	v_fma_f64 v[9:10], -v[9:10], v[33:34], v[27:28]
	s_delay_alu instid0(VALU_DEP_2) | instskip(SKIP_1) | instid1(VALU_DEP_2)
	v_div_fmas_f64 v[3:4], v[3:4], v[11:12], v[29:30]
	s_mov_b32 vcc_lo, s1
	v_div_fmas_f64 v[11:12], v[9:10], v[22:23], v[33:34]
	s_delay_alu instid0(VALU_DEP_2) | instskip(NEXT) | instid1(VALU_DEP_2)
	v_div_fixup_f64 v[9:10], v[3:4], v[1:2], 1.0
	v_div_fixup_f64 v[11:12], v[11:12], v[24:25], 0
.LBB166_177:
	s_or_b32 exec_lo, exec_lo, s7
                                        ; implicit-def: $vgpr3_vgpr4
                                        ; implicit-def: $vgpr22_vgpr23
.LBB166_178:
	s_and_not1_saveexec_b32 s1, s2
	s_cbranch_execz .LBB166_180
; %bb.179:
	v_div_scale_f64 v[1:2], null, v[3:4], v[3:4], v[22:23]
	v_div_scale_f64 v[24:25], vcc_lo, v[22:23], v[3:4], v[22:23]
	s_delay_alu instid0(VALU_DEP_2) | instskip(SKIP_2) | instid1(VALU_DEP_1)
	v_rcp_f64_e32 v[9:10], v[1:2]
	s_waitcnt_depctr 0xfff
	v_fma_f64 v[11:12], -v[1:2], v[9:10], 1.0
	v_fma_f64 v[9:10], v[9:10], v[11:12], v[9:10]
	s_delay_alu instid0(VALU_DEP_1) | instskip(NEXT) | instid1(VALU_DEP_1)
	v_fma_f64 v[11:12], -v[1:2], v[9:10], 1.0
	v_fma_f64 v[9:10], v[9:10], v[11:12], v[9:10]
	s_delay_alu instid0(VALU_DEP_1) | instskip(NEXT) | instid1(VALU_DEP_1)
	v_mul_f64 v[11:12], v[24:25], v[9:10]
	v_fma_f64 v[1:2], -v[1:2], v[11:12], v[24:25]
	s_delay_alu instid0(VALU_DEP_1) | instskip(NEXT) | instid1(VALU_DEP_1)
	v_div_fmas_f64 v[1:2], v[1:2], v[9:10], v[11:12]
	v_div_fixup_f64 v[1:2], v[1:2], v[3:4], v[22:23]
	s_delay_alu instid0(VALU_DEP_1) | instskip(NEXT) | instid1(VALU_DEP_1)
	v_fma_f64 v[3:4], v[22:23], v[1:2], v[3:4]
	v_div_scale_f64 v[9:10], null, v[3:4], v[3:4], 1.0
	v_div_scale_f64 v[24:25], vcc_lo, 1.0, v[3:4], 1.0
	s_delay_alu instid0(VALU_DEP_2) | instskip(SKIP_2) | instid1(VALU_DEP_1)
	v_rcp_f64_e32 v[11:12], v[9:10]
	s_waitcnt_depctr 0xfff
	v_fma_f64 v[22:23], -v[9:10], v[11:12], 1.0
	v_fma_f64 v[11:12], v[11:12], v[22:23], v[11:12]
	s_delay_alu instid0(VALU_DEP_1) | instskip(NEXT) | instid1(VALU_DEP_1)
	v_fma_f64 v[22:23], -v[9:10], v[11:12], 1.0
	v_fma_f64 v[11:12], v[11:12], v[22:23], v[11:12]
	s_delay_alu instid0(VALU_DEP_1) | instskip(NEXT) | instid1(VALU_DEP_1)
	v_mul_f64 v[22:23], v[24:25], v[11:12]
	v_fma_f64 v[9:10], -v[9:10], v[22:23], v[24:25]
	s_delay_alu instid0(VALU_DEP_1) | instskip(SKIP_2) | instid1(VALU_DEP_3)
	v_div_fmas_f64 v[9:10], v[9:10], v[11:12], v[22:23]
	v_add_f64 v[11:12], v[1:2], 0
	v_fma_f64 v[1:2], v[1:2], 0, -1.0
	v_div_fixup_f64 v[3:4], v[9:10], v[3:4], 1.0
	s_delay_alu instid0(VALU_DEP_1) | instskip(NEXT) | instid1(VALU_DEP_3)
	v_mul_f64 v[9:10], v[11:12], v[3:4]
	v_mul_f64 v[11:12], v[1:2], v[3:4]
.LBB166_180:
	s_or_b32 exec_lo, exec_lo, s1
	s_delay_alu instid0(SALU_CYCLE_1) | instskip(SKIP_1) | instid1(SALU_CYCLE_1)
	s_or_b32 exec_lo, exec_lo, s6
	s_and_saveexec_b32 s1, s0
	s_xor_b32 s0, exec_lo, s1
	s_cbranch_execnz .LBB166_152
.LBB166_181:
	s_or_b32 exec_lo, exec_lo, s0
	s_delay_alu instid0(SALU_CYCLE_1)
	s_mov_b32 s0, exec_lo
	v_cmpx_gt_i32_e64 s8, v0
	s_cbranch_execz .LBB166_153
.LBB166_182:
	v_dual_mov_b32 v2, 0 :: v_dual_add_nc_u32 v1, s3, v0
	v_add_nc_u32_e32 v0, 0x100, v0
	s_delay_alu instid0(VALU_DEP_2) | instskip(NEXT) | instid1(VALU_DEP_1)
	v_lshlrev_b64 v[1:2], 4, v[1:2]
	v_add_co_u32 v1, vcc_lo, s4, v1
	s_delay_alu instid0(VALU_DEP_2) | instskip(SKIP_2) | instid1(SALU_CYCLE_1)
	v_add_co_ci_u32_e32 v2, vcc_lo, s5, v2, vcc_lo
	global_store_b128 v[1:2], v[13:16], off
	s_or_b32 exec_lo, exec_lo, s0
	s_mov_b32 s0, exec_lo
	v_cmpx_gt_i32_e64 s8, v0
	s_cbranch_execnz .LBB166_154
.LBB166_183:
	s_or_b32 exec_lo, exec_lo, s0
	s_delay_alu instid0(SALU_CYCLE_1)
	s_mov_b32 s0, exec_lo
	v_cmpx_gt_i32_e64 s8, v0
	s_cbranch_execz .LBB166_155
.LBB166_184:
	v_dual_mov_b32 v1, 0 :: v_dual_add_nc_u32 v0, s3, v0
	s_delay_alu instid0(VALU_DEP_1) | instskip(NEXT) | instid1(VALU_DEP_1)
	v_lshlrev_b64 v[0:1], 4, v[0:1]
	v_add_co_u32 v0, vcc_lo, s4, v0
	s_delay_alu instid0(VALU_DEP_2)
	v_add_co_ci_u32_e32 v1, vcc_lo, s5, v1, vcc_lo
	global_store_b128 v[0:1], v[9:12], off
	s_nop 0
	s_sendmsg sendmsg(MSG_DEALLOC_VGPRS)
	s_endpgm
	.section	.rodata,"a",@progbits
	.p2align	6, 0x0
	.amdhsa_kernel _ZN2at6native27unrolled_elementwise_kernelIZZZNS0_17rsqrt_kernel_cudaERNS_18TensorIteratorBaseEENKUlvE_clEvENKUlvE_clEvEUlN3c107complexIdEEE_St5arrayIPcLm2EELi4E23TrivialOffsetCalculatorILi1EjESE_NS0_6memory15LoadWithoutCastENSF_16StoreWithoutCastEEEviT_T0_T2_T3_T4_T5_
		.amdhsa_group_segment_fixed_size 0
		.amdhsa_private_segment_fixed_size 0
		.amdhsa_kernarg_size 28
		.amdhsa_user_sgpr_count 15
		.amdhsa_user_sgpr_dispatch_ptr 0
		.amdhsa_user_sgpr_queue_ptr 0
		.amdhsa_user_sgpr_kernarg_segment_ptr 1
		.amdhsa_user_sgpr_dispatch_id 0
		.amdhsa_user_sgpr_private_segment_size 0
		.amdhsa_wavefront_size32 1
		.amdhsa_uses_dynamic_stack 0
		.amdhsa_enable_private_segment 0
		.amdhsa_system_sgpr_workgroup_id_x 1
		.amdhsa_system_sgpr_workgroup_id_y 0
		.amdhsa_system_sgpr_workgroup_id_z 0
		.amdhsa_system_sgpr_workgroup_info 0
		.amdhsa_system_vgpr_workitem_id 0
		.amdhsa_next_free_vgpr 35
		.amdhsa_next_free_sgpr 16
		.amdhsa_reserve_vcc 1
		.amdhsa_float_round_mode_32 0
		.amdhsa_float_round_mode_16_64 0
		.amdhsa_float_denorm_mode_32 3
		.amdhsa_float_denorm_mode_16_64 3
		.amdhsa_dx10_clamp 1
		.amdhsa_ieee_mode 1
		.amdhsa_fp16_overflow 0
		.amdhsa_workgroup_processor_mode 1
		.amdhsa_memory_ordered 1
		.amdhsa_forward_progress 0
		.amdhsa_shared_vgpr_count 0
		.amdhsa_exception_fp_ieee_invalid_op 0
		.amdhsa_exception_fp_denorm_src 0
		.amdhsa_exception_fp_ieee_div_zero 0
		.amdhsa_exception_fp_ieee_overflow 0
		.amdhsa_exception_fp_ieee_underflow 0
		.amdhsa_exception_fp_ieee_inexact 0
		.amdhsa_exception_int_div_zero 0
	.end_amdhsa_kernel
	.section	.text._ZN2at6native27unrolled_elementwise_kernelIZZZNS0_17rsqrt_kernel_cudaERNS_18TensorIteratorBaseEENKUlvE_clEvENKUlvE_clEvEUlN3c107complexIdEEE_St5arrayIPcLm2EELi4E23TrivialOffsetCalculatorILi1EjESE_NS0_6memory15LoadWithoutCastENSF_16StoreWithoutCastEEEviT_T0_T2_T3_T4_T5_,"axG",@progbits,_ZN2at6native27unrolled_elementwise_kernelIZZZNS0_17rsqrt_kernel_cudaERNS_18TensorIteratorBaseEENKUlvE_clEvENKUlvE_clEvEUlN3c107complexIdEEE_St5arrayIPcLm2EELi4E23TrivialOffsetCalculatorILi1EjESE_NS0_6memory15LoadWithoutCastENSF_16StoreWithoutCastEEEviT_T0_T2_T3_T4_T5_,comdat
.Lfunc_end166:
	.size	_ZN2at6native27unrolled_elementwise_kernelIZZZNS0_17rsqrt_kernel_cudaERNS_18TensorIteratorBaseEENKUlvE_clEvENKUlvE_clEvEUlN3c107complexIdEEE_St5arrayIPcLm2EELi4E23TrivialOffsetCalculatorILi1EjESE_NS0_6memory15LoadWithoutCastENSF_16StoreWithoutCastEEEviT_T0_T2_T3_T4_T5_, .Lfunc_end166-_ZN2at6native27unrolled_elementwise_kernelIZZZNS0_17rsqrt_kernel_cudaERNS_18TensorIteratorBaseEENKUlvE_clEvENKUlvE_clEvEUlN3c107complexIdEEE_St5arrayIPcLm2EELi4E23TrivialOffsetCalculatorILi1EjESE_NS0_6memory15LoadWithoutCastENSF_16StoreWithoutCastEEEviT_T0_T2_T3_T4_T5_
                                        ; -- End function
	.section	.AMDGPU.csdata,"",@progbits
; Kernel info:
; codeLenInByte = 10720
; NumSgprs: 18
; NumVgprs: 35
; ScratchSize: 0
; MemoryBound: 0
; FloatMode: 240
; IeeeMode: 1
; LDSByteSize: 0 bytes/workgroup (compile time only)
; SGPRBlocks: 2
; VGPRBlocks: 4
; NumSGPRsForWavesPerEU: 18
; NumVGPRsForWavesPerEU: 35
; Occupancy: 16
; WaveLimiterHint : 0
; COMPUTE_PGM_RSRC2:SCRATCH_EN: 0
; COMPUTE_PGM_RSRC2:USER_SGPR: 15
; COMPUTE_PGM_RSRC2:TRAP_HANDLER: 0
; COMPUTE_PGM_RSRC2:TGID_X_EN: 1
; COMPUTE_PGM_RSRC2:TGID_Y_EN: 0
; COMPUTE_PGM_RSRC2:TGID_Z_EN: 0
; COMPUTE_PGM_RSRC2:TIDIG_COMP_CNT: 0
	.section	.text._ZN2at6native32elementwise_kernel_manual_unrollILi128ELi4EZNS0_22gpu_kernel_impl_nocastIZZZNS0_17rsqrt_kernel_cudaERNS_18TensorIteratorBaseEENKUlvE_clEvENKUlvE_clEvEUlN3c107complexIdEEE_EEvS4_RKT_EUlibE_EEviT1_,"axG",@progbits,_ZN2at6native32elementwise_kernel_manual_unrollILi128ELi4EZNS0_22gpu_kernel_impl_nocastIZZZNS0_17rsqrt_kernel_cudaERNS_18TensorIteratorBaseEENKUlvE_clEvENKUlvE_clEvEUlN3c107complexIdEEE_EEvS4_RKT_EUlibE_EEviT1_,comdat
	.globl	_ZN2at6native32elementwise_kernel_manual_unrollILi128ELi4EZNS0_22gpu_kernel_impl_nocastIZZZNS0_17rsqrt_kernel_cudaERNS_18TensorIteratorBaseEENKUlvE_clEvENKUlvE_clEvEUlN3c107complexIdEEE_EEvS4_RKT_EUlibE_EEviT1_ ; -- Begin function _ZN2at6native32elementwise_kernel_manual_unrollILi128ELi4EZNS0_22gpu_kernel_impl_nocastIZZZNS0_17rsqrt_kernel_cudaERNS_18TensorIteratorBaseEENKUlvE_clEvENKUlvE_clEvEUlN3c107complexIdEEE_EEvS4_RKT_EUlibE_EEviT1_
	.p2align	8
	.type	_ZN2at6native32elementwise_kernel_manual_unrollILi128ELi4EZNS0_22gpu_kernel_impl_nocastIZZZNS0_17rsqrt_kernel_cudaERNS_18TensorIteratorBaseEENKUlvE_clEvENKUlvE_clEvEUlN3c107complexIdEEE_EEvS4_RKT_EUlibE_EEviT1_,@function
_ZN2at6native32elementwise_kernel_manual_unrollILi128ELi4EZNS0_22gpu_kernel_impl_nocastIZZZNS0_17rsqrt_kernel_cudaERNS_18TensorIteratorBaseEENKUlvE_clEvENKUlvE_clEvEUlN3c107complexIdEEE_EEvS4_RKT_EUlibE_EEviT1_: ; @_ZN2at6native32elementwise_kernel_manual_unrollILi128ELi4EZNS0_22gpu_kernel_impl_nocastIZZZNS0_17rsqrt_kernel_cudaERNS_18TensorIteratorBaseEENKUlvE_clEvENKUlvE_clEvEUlN3c107complexIdEEE_EEvS4_RKT_EUlibE_EEviT1_
; %bb.0:
	s_clause 0x1
	s_load_b32 s22, s[0:1], 0x8
	s_load_b32 s27, s[0:1], 0x0
	v_lshl_or_b32 v18, s15, 9, v0
	s_or_b32 s0, s0, 8
	s_mov_b32 s8, 0
                                        ; implicit-def: $vgpr12_vgpr13
                                        ; implicit-def: $vgpr14_vgpr15
	s_mov_b32 s2, exec_lo
	s_delay_alu instid0(VALU_DEP_1) | instskip(SKIP_2) | instid1(SALU_CYCLE_1)
	v_or_b32_e32 v1, 0x180, v18
	s_waitcnt lgkmcnt(0)
	s_add_i32 s23, s22, -1
	s_cmp_gt_u32 s23, 1
	s_cselect_b32 s24, -1, 0
	v_cmpx_le_i32_e64 s27, v1
	s_xor_b32 s25, exec_lo, s2
	s_cbranch_execz .LBB167_7
; %bb.1:
	s_clause 0x3
	s_load_b128 s[12:15], s[0:1], 0x4
	s_load_b64 s[16:17], s[0:1], 0x14
	s_load_b128 s[8:11], s[0:1], 0xc4
	s_load_b128 s[4:7], s[0:1], 0x148
	s_cmp_lg_u32 s22, 0
	s_mov_b32 s30, exec_lo
	s_cselect_b32 s29, -1, 0
	s_add_u32 s18, s0, 0xc4
	s_addc_u32 s19, s1, 0
	s_min_u32 s28, s23, 15
	s_cmp_gt_u32 s22, 1
	s_cselect_b32 s26, -1, 0
	v_cmpx_gt_i32_e64 s27, v18
	s_cbranch_execz .LBB167_14
; %bb.2:
	s_and_not1_b32 vcc_lo, exec_lo, s24
	s_cbranch_vccnz .LBB167_21
; %bb.3:
	v_mov_b32_e32 v8, 0
	v_mov_b32_e32 v0, 0
	s_and_not1_b32 vcc_lo, exec_lo, s29
	s_mov_b32 s31, 0
	s_cbranch_vccnz .LBB167_88
; %bb.4:
	v_mov_b32_e32 v8, 0
	s_add_i32 s34, s28, 1
	s_cmp_eq_u32 s23, 2
	s_mov_b32 s33, 0
	s_cbranch_scc1 .LBB167_84
; %bb.5:
	v_dual_mov_b32 v0, 0 :: v_dual_mov_b32 v1, v18
	v_mov_b32_e32 v8, 0
	s_and_b32 s33, s34, 28
	s_mov_b32 s35, 0
	s_mov_b64 s[2:3], s[18:19]
	s_mov_b64 s[20:21], s[0:1]
.LBB167_6:                              ; =>This Inner Loop Header: Depth=1
	s_clause 0x1
	s_load_b256 s[36:43], s[20:21], 0x4
	s_load_b128 s[52:55], s[20:21], 0x24
	s_load_b256 s[44:51], s[2:3], 0x0
	s_add_u32 s20, s20, 48
	s_addc_u32 s21, s21, 0
	s_add_i32 s35, s35, 4
	s_add_u32 s2, s2, 32
	s_addc_u32 s3, s3, 0
	s_cmp_lg_u32 s33, s35
	s_waitcnt lgkmcnt(0)
	v_mul_hi_u32 v2, s37, v1
	s_delay_alu instid0(VALU_DEP_1) | instskip(NEXT) | instid1(VALU_DEP_1)
	v_add_nc_u32_e32 v2, v1, v2
	v_lshrrev_b32_e32 v2, s38, v2
	s_delay_alu instid0(VALU_DEP_1) | instskip(SKIP_1) | instid1(VALU_DEP_2)
	v_mul_hi_u32 v3, s40, v2
	v_mul_lo_u32 v5, v2, s36
	v_add_nc_u32_e32 v3, v2, v3
	s_delay_alu instid0(VALU_DEP_2) | instskip(NEXT) | instid1(VALU_DEP_2)
	v_sub_nc_u32_e32 v1, v1, v5
	v_lshrrev_b32_e32 v3, s41, v3
	s_delay_alu instid0(VALU_DEP_2) | instskip(SKIP_1) | instid1(VALU_DEP_3)
	v_mul_lo_u32 v5, v1, s44
	v_mul_lo_u32 v7, v1, s45
	v_mul_hi_u32 v4, s43, v3
	s_delay_alu instid0(VALU_DEP_1) | instskip(NEXT) | instid1(VALU_DEP_1)
	v_add_nc_u32_e32 v4, v3, v4
	v_lshrrev_b32_e32 v4, s52, v4
	s_delay_alu instid0(VALU_DEP_1) | instskip(SKIP_1) | instid1(VALU_DEP_2)
	v_mul_hi_u32 v6, s54, v4
	v_mul_lo_u32 v9, v4, s42
	v_add_nc_u32_e32 v1, v4, v6
	v_mul_lo_u32 v6, v3, s39
	s_delay_alu instid0(VALU_DEP_3) | instskip(NEXT) | instid1(VALU_DEP_3)
	v_sub_nc_u32_e32 v3, v3, v9
	v_lshrrev_b32_e32 v1, s55, v1
	s_delay_alu instid0(VALU_DEP_2) | instskip(SKIP_2) | instid1(VALU_DEP_4)
	v_mul_lo_u32 v9, v3, s48
	v_mul_lo_u32 v3, v3, s49
	v_sub_nc_u32_e32 v2, v2, v6
	v_mul_lo_u32 v10, v1, s53
	s_delay_alu instid0(VALU_DEP_2) | instskip(SKIP_1) | instid1(VALU_DEP_3)
	v_mul_lo_u32 v6, v2, s46
	v_mul_lo_u32 v2, v2, s47
	v_sub_nc_u32_e32 v4, v4, v10
	s_delay_alu instid0(VALU_DEP_3) | instskip(NEXT) | instid1(VALU_DEP_2)
	v_add3_u32 v5, v5, v8, v6
	v_mul_lo_u32 v10, v4, s50
	v_mul_lo_u32 v4, v4, s51
	v_add3_u32 v0, v7, v0, v2
	s_delay_alu instid0(VALU_DEP_3) | instskip(NEXT) | instid1(VALU_DEP_2)
	v_add3_u32 v8, v9, v5, v10
	v_add3_u32 v0, v3, v0, v4
	s_cbranch_scc1 .LBB167_6
	s_branch .LBB167_85
.LBB167_7:
	s_and_not1_saveexec_b32 s9, s25
	s_cbranch_execz .LBB167_437
.LBB167_8:
	v_cndmask_b32_e64 v2, 0, 1, s24
	s_and_not1_b32 vcc_lo, exec_lo, s24
	s_cbranch_vccnz .LBB167_20
; %bb.9:
	v_mov_b32_e32 v16, 0
	v_mov_b32_e32 v0, 0
	s_cmp_lg_u32 s22, 0
	s_mov_b32 s6, 0
	s_cbranch_scc0 .LBB167_26
; %bb.10:
	s_min_u32 s7, s23, 15
	v_mov_b32_e32 v16, 0
	s_add_i32 s7, s7, 1
	s_cmp_eq_u32 s23, 2
	s_mov_b32 s10, 0
	s_cbranch_scc1 .LBB167_23
; %bb.11:
	v_dual_mov_b32 v0, 0 :: v_dual_mov_b32 v3, v18
	v_mov_b32_e32 v16, 0
	s_add_u32 s2, s0, 0xc4
	s_addc_u32 s3, s1, 0
	s_and_b32 s10, s7, 28
	s_mov_b32 s11, 0
	s_mov_b64 s[4:5], s[0:1]
.LBB167_12:                             ; =>This Inner Loop Header: Depth=1
	s_clause 0x1
	s_load_b256 s[12:19], s[4:5], 0x4
	s_load_b128 s[36:39], s[4:5], 0x24
	s_load_b256 s[24:31], s[2:3], 0x0
	s_add_u32 s4, s4, 48
	s_addc_u32 s5, s5, 0
	s_add_i32 s11, s11, 4
	s_add_u32 s2, s2, 32
	s_addc_u32 s3, s3, 0
	s_cmp_lg_u32 s10, s11
	s_waitcnt lgkmcnt(0)
	v_mul_hi_u32 v4, s13, v3
	s_delay_alu instid0(VALU_DEP_1) | instskip(NEXT) | instid1(VALU_DEP_1)
	v_add_nc_u32_e32 v4, v3, v4
	v_lshrrev_b32_e32 v4, s14, v4
	s_delay_alu instid0(VALU_DEP_1) | instskip(SKIP_1) | instid1(VALU_DEP_2)
	v_mul_hi_u32 v5, s16, v4
	v_mul_lo_u32 v7, v4, s12
	v_add_nc_u32_e32 v5, v4, v5
	s_delay_alu instid0(VALU_DEP_2) | instskip(NEXT) | instid1(VALU_DEP_2)
	v_sub_nc_u32_e32 v3, v3, v7
	v_lshrrev_b32_e32 v5, s17, v5
	s_delay_alu instid0(VALU_DEP_2) | instskip(SKIP_1) | instid1(VALU_DEP_3)
	v_mul_lo_u32 v7, v3, s24
	v_mul_lo_u32 v9, v3, s25
	v_mul_hi_u32 v6, s19, v5
	s_delay_alu instid0(VALU_DEP_1) | instskip(NEXT) | instid1(VALU_DEP_1)
	v_add_nc_u32_e32 v6, v5, v6
	v_lshrrev_b32_e32 v6, s36, v6
	s_delay_alu instid0(VALU_DEP_1) | instskip(SKIP_1) | instid1(VALU_DEP_2)
	v_mul_hi_u32 v8, s38, v6
	v_mul_lo_u32 v10, v6, s18
	v_add_nc_u32_e32 v3, v6, v8
	v_mul_lo_u32 v8, v5, s15
	s_delay_alu instid0(VALU_DEP_3) | instskip(NEXT) | instid1(VALU_DEP_3)
	v_sub_nc_u32_e32 v5, v5, v10
	v_lshrrev_b32_e32 v3, s39, v3
	s_delay_alu instid0(VALU_DEP_2) | instskip(SKIP_2) | instid1(VALU_DEP_4)
	v_mul_lo_u32 v10, v5, s28
	v_mul_lo_u32 v5, v5, s29
	v_sub_nc_u32_e32 v4, v4, v8
	v_mul_lo_u32 v11, v3, s37
	s_delay_alu instid0(VALU_DEP_2) | instskip(SKIP_1) | instid1(VALU_DEP_3)
	v_mul_lo_u32 v8, v4, s26
	v_mul_lo_u32 v4, v4, s27
	v_sub_nc_u32_e32 v6, v6, v11
	s_delay_alu instid0(VALU_DEP_3) | instskip(NEXT) | instid1(VALU_DEP_2)
	v_add3_u32 v7, v7, v16, v8
	v_mul_lo_u32 v11, v6, s30
	v_mul_lo_u32 v6, v6, s31
	v_add3_u32 v0, v9, v0, v4
	s_delay_alu instid0(VALU_DEP_3) | instskip(NEXT) | instid1(VALU_DEP_2)
	v_add3_u32 v16, v10, v7, v11
	v_add3_u32 v0, v5, v0, v6
	s_cbranch_scc1 .LBB167_12
; %bb.13:
	s_and_b32 s7, s7, 3
	s_delay_alu instid0(SALU_CYCLE_1)
	s_cmp_eq_u32 s7, 0
	s_cbranch_scc0 .LBB167_24
	s_branch .LBB167_26
.LBB167_14:
	s_or_b32 exec_lo, exec_lo, s30
	s_delay_alu instid0(SALU_CYCLE_1)
	s_mov_b32 s30, exec_lo
	v_cmpx_gt_i32_e64 s27, v18
	s_cbranch_execz .LBB167_301
.LBB167_15:
	s_and_not1_b32 vcc_lo, exec_lo, s24
	s_cbranch_vccnz .LBB167_22
; %bb.16:
	v_mov_b32_e32 v8, 0
	v_mov_b32_e32 v0, 0
	s_and_not1_b32 vcc_lo, exec_lo, s29
	s_mov_b32 s31, 0
	s_cbranch_vccnz .LBB167_111
; %bb.17:
	v_mov_b32_e32 v8, 0
	s_add_i32 s34, s28, 1
	s_cmp_eq_u32 s23, 2
	s_mov_b32 s33, 0
	s_cbranch_scc1 .LBB167_107
; %bb.18:
	v_dual_mov_b32 v0, 0 :: v_dual_mov_b32 v1, v18
	v_mov_b32_e32 v8, 0
	s_and_b32 s33, s34, 28
	s_mov_b32 s35, 0
	s_mov_b64 s[2:3], s[18:19]
	s_mov_b64 s[20:21], s[0:1]
.LBB167_19:                             ; =>This Inner Loop Header: Depth=1
	s_clause 0x1
	s_load_b256 s[36:43], s[20:21], 0x4
	s_load_b128 s[52:55], s[20:21], 0x24
	s_load_b256 s[44:51], s[2:3], 0x0
	s_add_u32 s20, s20, 48
	s_addc_u32 s21, s21, 0
	s_add_i32 s35, s35, 4
	s_add_u32 s2, s2, 32
	s_addc_u32 s3, s3, 0
	s_cmp_eq_u32 s33, s35
	s_waitcnt lgkmcnt(0)
	v_mul_hi_u32 v2, s37, v1
	s_delay_alu instid0(VALU_DEP_1) | instskip(NEXT) | instid1(VALU_DEP_1)
	v_add_nc_u32_e32 v2, v1, v2
	v_lshrrev_b32_e32 v2, s38, v2
	s_delay_alu instid0(VALU_DEP_1) | instskip(SKIP_1) | instid1(VALU_DEP_2)
	v_mul_hi_u32 v3, s40, v2
	v_mul_lo_u32 v5, v2, s36
	v_add_nc_u32_e32 v3, v2, v3
	s_delay_alu instid0(VALU_DEP_2) | instskip(NEXT) | instid1(VALU_DEP_2)
	v_sub_nc_u32_e32 v1, v1, v5
	v_lshrrev_b32_e32 v3, s41, v3
	s_delay_alu instid0(VALU_DEP_2) | instskip(SKIP_1) | instid1(VALU_DEP_3)
	v_mul_lo_u32 v5, v1, s44
	v_mul_lo_u32 v7, v1, s45
	v_mul_hi_u32 v4, s43, v3
	s_delay_alu instid0(VALU_DEP_1) | instskip(NEXT) | instid1(VALU_DEP_1)
	v_add_nc_u32_e32 v4, v3, v4
	v_lshrrev_b32_e32 v4, s52, v4
	s_delay_alu instid0(VALU_DEP_1) | instskip(SKIP_1) | instid1(VALU_DEP_2)
	v_mul_hi_u32 v6, s54, v4
	v_mul_lo_u32 v9, v4, s42
	v_add_nc_u32_e32 v1, v4, v6
	v_mul_lo_u32 v6, v3, s39
	s_delay_alu instid0(VALU_DEP_3) | instskip(NEXT) | instid1(VALU_DEP_3)
	v_sub_nc_u32_e32 v3, v3, v9
	v_lshrrev_b32_e32 v1, s55, v1
	s_delay_alu instid0(VALU_DEP_2) | instskip(SKIP_2) | instid1(VALU_DEP_4)
	v_mul_lo_u32 v9, v3, s48
	v_mul_lo_u32 v3, v3, s49
	v_sub_nc_u32_e32 v2, v2, v6
	v_mul_lo_u32 v10, v1, s53
	s_delay_alu instid0(VALU_DEP_2) | instskip(SKIP_1) | instid1(VALU_DEP_3)
	v_mul_lo_u32 v6, v2, s46
	v_mul_lo_u32 v2, v2, s47
	v_sub_nc_u32_e32 v4, v4, v10
	s_delay_alu instid0(VALU_DEP_3) | instskip(NEXT) | instid1(VALU_DEP_2)
	v_add3_u32 v5, v5, v8, v6
	v_mul_lo_u32 v10, v4, s50
	v_mul_lo_u32 v4, v4, s51
	v_add3_u32 v0, v7, v0, v2
	s_delay_alu instid0(VALU_DEP_3) | instskip(NEXT) | instid1(VALU_DEP_2)
	v_add3_u32 v8, v9, v5, v10
	v_add3_u32 v0, v3, v0, v4
	s_cbranch_scc0 .LBB167_19
	s_branch .LBB167_108
.LBB167_20:
	s_mov_b32 s6, -1
                                        ; implicit-def: $vgpr16
                                        ; implicit-def: $vgpr0
	s_branch .LBB167_26
.LBB167_21:
	s_mov_b32 s31, -1
                                        ; implicit-def: $vgpr8
                                        ; implicit-def: $vgpr0
	s_branch .LBB167_88
.LBB167_22:
	s_mov_b32 s31, -1
                                        ; implicit-def: $vgpr8
                                        ; implicit-def: $vgpr0
	s_branch .LBB167_111
.LBB167_23:
	v_dual_mov_b32 v3, v18 :: v_dual_mov_b32 v0, 0
	s_and_b32 s7, s7, 3
	s_delay_alu instid0(SALU_CYCLE_1)
	s_cmp_eq_u32 s7, 0
	s_cbranch_scc1 .LBB167_26
.LBB167_24:
	s_lshl_b32 s2, s10, 3
	s_mul_i32 s4, s10, 12
	s_add_u32 s2, s2, s0
	s_addc_u32 s3, 0, s1
	s_add_u32 s2, s2, 0xc4
	s_addc_u32 s3, s3, 0
	;; [unrolled: 2-line block ×3, first 2 shown]
	.p2align	6
.LBB167_25:                             ; =>This Inner Loop Header: Depth=1
	s_clause 0x1
	s_load_b64 s[10:11], s[4:5], 0x4
	s_load_b32 s14, s[4:5], 0xc
	s_load_b64 s[12:13], s[2:3], 0x0
	s_add_u32 s4, s4, 12
	s_addc_u32 s5, s5, 0
	s_add_u32 s2, s2, 8
	s_addc_u32 s3, s3, 0
	s_add_i32 s7, s7, -1
	s_delay_alu instid0(SALU_CYCLE_1) | instskip(SKIP_2) | instid1(VALU_DEP_1)
	s_cmp_lg_u32 s7, 0
	s_waitcnt lgkmcnt(0)
	v_mul_hi_u32 v4, s11, v3
	v_add_nc_u32_e32 v4, v3, v4
	s_delay_alu instid0(VALU_DEP_1) | instskip(NEXT) | instid1(VALU_DEP_1)
	v_lshrrev_b32_e32 v7, s14, v4
	v_mul_lo_u32 v4, v7, s10
	s_delay_alu instid0(VALU_DEP_1) | instskip(NEXT) | instid1(VALU_DEP_1)
	v_sub_nc_u32_e32 v3, v3, v4
	v_mad_u64_u32 v[4:5], null, v3, s12, v[16:17]
	v_mad_u64_u32 v[5:6], null, v3, s13, v[0:1]
	s_delay_alu instid0(VALU_DEP_2) | instskip(NEXT) | instid1(VALU_DEP_2)
	v_dual_mov_b32 v3, v7 :: v_dual_mov_b32 v16, v4
	v_mov_b32_e32 v0, v5
	s_cbranch_scc1 .LBB167_25
.LBB167_26:
	s_and_not1_b32 vcc_lo, exec_lo, s6
	s_cbranch_vccnz .LBB167_29
; %bb.27:
	s_clause 0x1
	s_load_b128 s[4:7], s[0:1], 0x4
	s_load_b64 s[2:3], s[0:1], 0xc4
	s_cmp_lt_u32 s22, 2
	s_waitcnt lgkmcnt(0)
	v_mul_hi_u32 v0, s5, v18
	s_delay_alu instid0(VALU_DEP_1) | instskip(NEXT) | instid1(VALU_DEP_1)
	v_add_nc_u32_e32 v0, v18, v0
	v_lshrrev_b32_e32 v3, s6, v0
	s_delay_alu instid0(VALU_DEP_1) | instskip(NEXT) | instid1(VALU_DEP_1)
	v_mul_lo_u32 v0, v3, s4
	v_sub_nc_u32_e32 v0, v18, v0
	s_delay_alu instid0(VALU_DEP_1)
	v_mul_lo_u32 v16, v0, s2
	v_mul_lo_u32 v0, v0, s3
	s_cbranch_scc1 .LBB167_29
; %bb.28:
	s_clause 0x1
	s_load_b128 s[4:7], s[0:1], 0x10
	s_load_b64 s[2:3], s[0:1], 0xcc
	s_waitcnt lgkmcnt(0)
	v_mul_hi_u32 v4, s5, v3
	s_delay_alu instid0(VALU_DEP_1) | instskip(NEXT) | instid1(VALU_DEP_1)
	v_add_nc_u32_e32 v4, v3, v4
	v_lshrrev_b32_e32 v4, s6, v4
	s_delay_alu instid0(VALU_DEP_1) | instskip(NEXT) | instid1(VALU_DEP_1)
	v_mul_lo_u32 v4, v4, s4
	v_sub_nc_u32_e32 v6, v3, v4
	s_delay_alu instid0(VALU_DEP_1) | instskip(SKIP_1) | instid1(VALU_DEP_2)
	v_mad_u64_u32 v[3:4], null, v6, s2, v[16:17]
	v_mad_u64_u32 v[4:5], null, v6, s3, v[0:1]
	v_mov_b32_e32 v16, v3
	s_delay_alu instid0(VALU_DEP_2)
	v_mov_b32_e32 v0, v4
.LBB167_29:
	v_cmp_ne_u32_e32 vcc_lo, 1, v2
	v_add_nc_u32_e32 v3, 0x80, v18
	s_cbranch_vccnz .LBB167_35
; %bb.30:
	v_dual_mov_b32 v17, 0 :: v_dual_mov_b32 v6, 0
	s_cmp_lg_u32 s22, 0
	s_mov_b32 s6, 0
	s_cbranch_scc0 .LBB167_39
; %bb.31:
	s_min_u32 s7, s23, 15
	v_mov_b32_e32 v17, 0
	s_add_i32 s7, s7, 1
	s_cmp_eq_u32 s23, 2
	s_mov_b32 s10, 0
	s_cbranch_scc1 .LBB167_36
; %bb.32:
	v_dual_mov_b32 v6, 0 :: v_dual_mov_b32 v17, 0
	v_mov_b32_e32 v4, v3
	s_add_u32 s2, s0, 0xc4
	s_addc_u32 s3, s1, 0
	s_and_b32 s10, s7, 28
	s_mov_b32 s11, 0
	s_mov_b64 s[4:5], s[0:1]
.LBB167_33:                             ; =>This Inner Loop Header: Depth=1
	s_clause 0x1
	s_load_b256 s[12:19], s[4:5], 0x4
	s_load_b128 s[36:39], s[4:5], 0x24
	s_load_b256 s[24:31], s[2:3], 0x0
	s_add_u32 s4, s4, 48
	s_addc_u32 s5, s5, 0
	s_add_i32 s11, s11, 4
	s_add_u32 s2, s2, 32
	s_addc_u32 s3, s3, 0
	s_cmp_lg_u32 s10, s11
	s_waitcnt lgkmcnt(0)
	v_mul_hi_u32 v5, s13, v4
	s_delay_alu instid0(VALU_DEP_1) | instskip(NEXT) | instid1(VALU_DEP_1)
	v_add_nc_u32_e32 v5, v4, v5
	v_lshrrev_b32_e32 v5, s14, v5
	s_delay_alu instid0(VALU_DEP_1) | instskip(SKIP_1) | instid1(VALU_DEP_2)
	v_mul_hi_u32 v7, s16, v5
	v_mul_lo_u32 v9, v5, s12
	v_add_nc_u32_e32 v7, v5, v7
	s_delay_alu instid0(VALU_DEP_2) | instskip(NEXT) | instid1(VALU_DEP_2)
	v_sub_nc_u32_e32 v4, v4, v9
	v_lshrrev_b32_e32 v7, s17, v7
	s_delay_alu instid0(VALU_DEP_2) | instskip(SKIP_1) | instid1(VALU_DEP_3)
	v_mul_lo_u32 v9, v4, s24
	v_mul_lo_u32 v11, v4, s25
	v_mul_hi_u32 v8, s19, v7
	s_delay_alu instid0(VALU_DEP_1) | instskip(NEXT) | instid1(VALU_DEP_1)
	v_add_nc_u32_e32 v8, v7, v8
	v_lshrrev_b32_e32 v8, s36, v8
	s_delay_alu instid0(VALU_DEP_1) | instskip(SKIP_1) | instid1(VALU_DEP_2)
	v_mul_hi_u32 v10, s38, v8
	v_mul_lo_u32 v12, v8, s18
	v_add_nc_u32_e32 v4, v8, v10
	v_mul_lo_u32 v10, v7, s15
	s_delay_alu instid0(VALU_DEP_3) | instskip(NEXT) | instid1(VALU_DEP_3)
	v_sub_nc_u32_e32 v7, v7, v12
	v_lshrrev_b32_e32 v4, s39, v4
	s_delay_alu instid0(VALU_DEP_2) | instskip(SKIP_2) | instid1(VALU_DEP_4)
	v_mul_lo_u32 v12, v7, s28
	v_mul_lo_u32 v7, v7, s29
	v_sub_nc_u32_e32 v5, v5, v10
	v_mul_lo_u32 v13, v4, s37
	s_delay_alu instid0(VALU_DEP_2) | instskip(SKIP_1) | instid1(VALU_DEP_3)
	v_mul_lo_u32 v10, v5, s26
	v_mul_lo_u32 v5, v5, s27
	v_sub_nc_u32_e32 v8, v8, v13
	s_delay_alu instid0(VALU_DEP_3) | instskip(NEXT) | instid1(VALU_DEP_2)
	v_add3_u32 v9, v9, v17, v10
	v_mul_lo_u32 v13, v8, s30
	v_mul_lo_u32 v8, v8, s31
	v_add3_u32 v5, v11, v6, v5
	s_delay_alu instid0(VALU_DEP_3) | instskip(NEXT) | instid1(VALU_DEP_2)
	v_add3_u32 v17, v12, v9, v13
	v_add3_u32 v6, v7, v5, v8
	s_cbranch_scc1 .LBB167_33
; %bb.34:
	s_and_b32 s7, s7, 3
	s_delay_alu instid0(SALU_CYCLE_1)
	s_cmp_eq_u32 s7, 0
	s_cbranch_scc0 .LBB167_37
	s_branch .LBB167_39
.LBB167_35:
	s_mov_b32 s6, -1
                                        ; implicit-def: $vgpr17
                                        ; implicit-def: $vgpr6
	s_branch .LBB167_39
.LBB167_36:
	v_mov_b32_e32 v4, v3
	v_mov_b32_e32 v6, 0
	s_and_b32 s7, s7, 3
	s_delay_alu instid0(SALU_CYCLE_1)
	s_cmp_eq_u32 s7, 0
	s_cbranch_scc1 .LBB167_39
.LBB167_37:
	s_lshl_b32 s2, s10, 3
	s_mul_i32 s4, s10, 12
	s_add_u32 s2, s2, s0
	s_addc_u32 s3, 0, s1
	s_add_u32 s2, s2, 0xc4
	s_addc_u32 s3, s3, 0
	;; [unrolled: 2-line block ×3, first 2 shown]
	.p2align	6
.LBB167_38:                             ; =>This Inner Loop Header: Depth=1
	s_clause 0x1
	s_load_b64 s[10:11], s[4:5], 0x4
	s_load_b32 s14, s[4:5], 0xc
	s_load_b64 s[12:13], s[2:3], 0x0
	s_add_u32 s4, s4, 12
	s_addc_u32 s5, s5, 0
	s_add_u32 s2, s2, 8
	s_addc_u32 s3, s3, 0
	s_add_i32 s7, s7, -1
	s_delay_alu instid0(SALU_CYCLE_1) | instskip(SKIP_2) | instid1(VALU_DEP_1)
	s_cmp_lg_u32 s7, 0
	s_waitcnt lgkmcnt(0)
	v_mul_hi_u32 v5, s11, v4
	v_add_nc_u32_e32 v5, v4, v5
	s_delay_alu instid0(VALU_DEP_1) | instskip(NEXT) | instid1(VALU_DEP_1)
	v_lshrrev_b32_e32 v5, s14, v5
	v_mul_lo_u32 v7, v5, s10
	s_delay_alu instid0(VALU_DEP_1) | instskip(NEXT) | instid1(VALU_DEP_1)
	v_sub_nc_u32_e32 v4, v4, v7
	v_mad_u64_u32 v[7:8], null, v4, s12, v[17:18]
	s_delay_alu instid0(VALU_DEP_1) | instskip(SKIP_1) | instid1(VALU_DEP_2)
	v_mad_u64_u32 v[8:9], null, v4, s13, v[6:7]
	v_dual_mov_b32 v4, v5 :: v_dual_mov_b32 v17, v7
	v_mov_b32_e32 v6, v8
	s_cbranch_scc1 .LBB167_38
.LBB167_39:
	s_and_not1_b32 vcc_lo, exec_lo, s6
	s_cbranch_vccnz .LBB167_42
; %bb.40:
	s_clause 0x1
	s_load_b128 s[4:7], s[0:1], 0x4
	s_load_b64 s[2:3], s[0:1], 0xc4
	s_cmp_lt_u32 s22, 2
	s_waitcnt lgkmcnt(0)
	v_mul_hi_u32 v4, s5, v3
	s_delay_alu instid0(VALU_DEP_1) | instskip(NEXT) | instid1(VALU_DEP_1)
	v_add_nc_u32_e32 v4, v3, v4
	v_lshrrev_b32_e32 v4, s6, v4
	s_delay_alu instid0(VALU_DEP_1) | instskip(NEXT) | instid1(VALU_DEP_1)
	v_mul_lo_u32 v5, v4, s4
	v_sub_nc_u32_e32 v3, v3, v5
	s_delay_alu instid0(VALU_DEP_1)
	v_mul_lo_u32 v17, v3, s2
	v_mul_lo_u32 v6, v3, s3
	s_cbranch_scc1 .LBB167_42
; %bb.41:
	s_clause 0x1
	s_load_b128 s[4:7], s[0:1], 0x10
	s_load_b64 s[2:3], s[0:1], 0xcc
	s_waitcnt lgkmcnt(0)
	v_mul_hi_u32 v3, s5, v4
	s_delay_alu instid0(VALU_DEP_1) | instskip(NEXT) | instid1(VALU_DEP_1)
	v_add_nc_u32_e32 v3, v4, v3
	v_lshrrev_b32_e32 v3, s6, v3
	s_delay_alu instid0(VALU_DEP_1) | instskip(NEXT) | instid1(VALU_DEP_1)
	v_mul_lo_u32 v3, v3, s4
	v_sub_nc_u32_e32 v7, v4, v3
	s_delay_alu instid0(VALU_DEP_1) | instskip(SKIP_1) | instid1(VALU_DEP_1)
	v_mad_u64_u32 v[3:4], null, v7, s2, v[17:18]
	v_mad_u64_u32 v[4:5], null, v7, s3, v[6:7]
	v_dual_mov_b32 v17, v3 :: v_dual_mov_b32 v6, v4
.LBB167_42:
	v_cmp_ne_u32_e32 vcc_lo, 1, v2
	v_add_nc_u32_e32 v3, 0x100, v18
	s_cbranch_vccnz .LBB167_48
; %bb.43:
	v_mov_b32_e32 v18, 0
	v_mov_b32_e32 v10, 0
	s_cmp_lg_u32 s22, 0
	s_mov_b32 s6, 0
	s_cbranch_scc0 .LBB167_52
; %bb.44:
	s_min_u32 s7, s23, 15
	v_mov_b32_e32 v18, 0
	s_add_i32 s7, s7, 1
	s_cmp_eq_u32 s23, 2
	s_mov_b32 s10, 0
	s_cbranch_scc1 .LBB167_49
; %bb.45:
	v_mov_b32_e32 v10, 0
	v_mov_b32_e32 v18, 0
	;; [unrolled: 1-line block ×3, first 2 shown]
	s_add_u32 s2, s0, 0xc4
	s_addc_u32 s3, s1, 0
	s_and_b32 s10, s7, 28
	s_mov_b32 s11, 0
	s_mov_b64 s[4:5], s[0:1]
.LBB167_46:                             ; =>This Inner Loop Header: Depth=1
	s_clause 0x1
	s_load_b256 s[12:19], s[4:5], 0x4
	s_load_b128 s[36:39], s[4:5], 0x24
	s_load_b256 s[24:31], s[2:3], 0x0
	s_add_u32 s4, s4, 48
	s_addc_u32 s5, s5, 0
	s_add_i32 s11, s11, 4
	s_add_u32 s2, s2, 32
	s_addc_u32 s3, s3, 0
	s_cmp_lg_u32 s10, s11
	s_waitcnt lgkmcnt(0)
	v_mul_hi_u32 v5, s13, v4
	s_delay_alu instid0(VALU_DEP_1) | instskip(NEXT) | instid1(VALU_DEP_1)
	v_add_nc_u32_e32 v5, v4, v5
	v_lshrrev_b32_e32 v5, s14, v5
	s_delay_alu instid0(VALU_DEP_1) | instskip(SKIP_1) | instid1(VALU_DEP_2)
	v_mul_hi_u32 v7, s16, v5
	v_mul_lo_u32 v9, v5, s12
	v_add_nc_u32_e32 v7, v5, v7
	s_delay_alu instid0(VALU_DEP_2) | instskip(NEXT) | instid1(VALU_DEP_2)
	v_sub_nc_u32_e32 v4, v4, v9
	v_lshrrev_b32_e32 v7, s17, v7
	s_delay_alu instid0(VALU_DEP_2) | instskip(SKIP_1) | instid1(VALU_DEP_3)
	v_mul_lo_u32 v9, v4, s24
	v_mul_lo_u32 v12, v4, s25
	v_mul_hi_u32 v8, s19, v7
	s_delay_alu instid0(VALU_DEP_1) | instskip(NEXT) | instid1(VALU_DEP_1)
	v_add_nc_u32_e32 v8, v7, v8
	v_lshrrev_b32_e32 v8, s36, v8
	s_delay_alu instid0(VALU_DEP_1) | instskip(SKIP_1) | instid1(VALU_DEP_2)
	v_mul_hi_u32 v11, s38, v8
	v_mul_lo_u32 v13, v8, s18
	v_add_nc_u32_e32 v4, v8, v11
	v_mul_lo_u32 v11, v7, s15
	s_delay_alu instid0(VALU_DEP_3) | instskip(NEXT) | instid1(VALU_DEP_3)
	v_sub_nc_u32_e32 v7, v7, v13
	v_lshrrev_b32_e32 v4, s39, v4
	s_delay_alu instid0(VALU_DEP_2) | instskip(SKIP_2) | instid1(VALU_DEP_4)
	v_mul_lo_u32 v13, v7, s28
	v_mul_lo_u32 v7, v7, s29
	v_sub_nc_u32_e32 v5, v5, v11
	v_mul_lo_u32 v14, v4, s37
	s_delay_alu instid0(VALU_DEP_2) | instskip(SKIP_1) | instid1(VALU_DEP_3)
	v_mul_lo_u32 v11, v5, s26
	v_mul_lo_u32 v5, v5, s27
	v_sub_nc_u32_e32 v8, v8, v14
	s_delay_alu instid0(VALU_DEP_3) | instskip(NEXT) | instid1(VALU_DEP_2)
	v_add3_u32 v9, v9, v18, v11
	v_mul_lo_u32 v14, v8, s30
	v_mul_lo_u32 v8, v8, s31
	v_add3_u32 v5, v12, v10, v5
	s_delay_alu instid0(VALU_DEP_3) | instskip(NEXT) | instid1(VALU_DEP_2)
	v_add3_u32 v18, v13, v9, v14
	v_add3_u32 v10, v7, v5, v8
	s_cbranch_scc1 .LBB167_46
; %bb.47:
	s_and_b32 s7, s7, 3
	s_delay_alu instid0(SALU_CYCLE_1)
	s_cmp_eq_u32 s7, 0
	s_cbranch_scc0 .LBB167_50
	s_branch .LBB167_52
.LBB167_48:
	s_mov_b32 s6, -1
                                        ; implicit-def: $vgpr18
                                        ; implicit-def: $vgpr10
	s_branch .LBB167_52
.LBB167_49:
	v_mov_b32_e32 v4, v3
	v_mov_b32_e32 v10, 0
	s_and_b32 s7, s7, 3
	s_delay_alu instid0(SALU_CYCLE_1)
	s_cmp_eq_u32 s7, 0
	s_cbranch_scc1 .LBB167_52
.LBB167_50:
	s_lshl_b32 s2, s10, 3
	s_mul_i32 s4, s10, 12
	s_add_u32 s2, s2, s0
	s_addc_u32 s3, 0, s1
	s_add_u32 s2, s2, 0xc4
	s_addc_u32 s3, s3, 0
	;; [unrolled: 2-line block ×3, first 2 shown]
	.p2align	6
.LBB167_51:                             ; =>This Inner Loop Header: Depth=1
	s_clause 0x1
	s_load_b64 s[10:11], s[4:5], 0x4
	s_load_b32 s14, s[4:5], 0xc
	s_load_b64 s[12:13], s[2:3], 0x0
	s_add_u32 s4, s4, 12
	s_addc_u32 s5, s5, 0
	s_add_u32 s2, s2, 8
	s_addc_u32 s3, s3, 0
	s_add_i32 s7, s7, -1
	s_delay_alu instid0(SALU_CYCLE_1) | instskip(SKIP_2) | instid1(VALU_DEP_1)
	s_cmp_lg_u32 s7, 0
	s_waitcnt lgkmcnt(0)
	v_mul_hi_u32 v5, s11, v4
	v_add_nc_u32_e32 v5, v4, v5
	s_delay_alu instid0(VALU_DEP_1) | instskip(NEXT) | instid1(VALU_DEP_1)
	v_lshrrev_b32_e32 v5, s14, v5
	v_mul_lo_u32 v7, v5, s10
	s_delay_alu instid0(VALU_DEP_1) | instskip(NEXT) | instid1(VALU_DEP_1)
	v_sub_nc_u32_e32 v4, v4, v7
	v_mad_u64_u32 v[7:8], null, v4, s12, v[18:19]
	v_mad_u64_u32 v[8:9], null, v4, s13, v[10:11]
	v_mov_b32_e32 v4, v5
	s_delay_alu instid0(VALU_DEP_3) | instskip(NEXT) | instid1(VALU_DEP_3)
	v_mov_b32_e32 v18, v7
	v_mov_b32_e32 v10, v8
	s_cbranch_scc1 .LBB167_51
.LBB167_52:
	s_and_not1_b32 vcc_lo, exec_lo, s6
	s_cbranch_vccnz .LBB167_55
; %bb.53:
	s_clause 0x1
	s_load_b128 s[4:7], s[0:1], 0x4
	s_load_b64 s[2:3], s[0:1], 0xc4
	s_cmp_lt_u32 s22, 2
	s_waitcnt lgkmcnt(0)
	v_mul_hi_u32 v4, s5, v3
	s_delay_alu instid0(VALU_DEP_1) | instskip(NEXT) | instid1(VALU_DEP_1)
	v_add_nc_u32_e32 v4, v3, v4
	v_lshrrev_b32_e32 v4, s6, v4
	s_delay_alu instid0(VALU_DEP_1) | instskip(NEXT) | instid1(VALU_DEP_1)
	v_mul_lo_u32 v5, v4, s4
	v_sub_nc_u32_e32 v3, v3, v5
	s_delay_alu instid0(VALU_DEP_1)
	v_mul_lo_u32 v18, v3, s2
	v_mul_lo_u32 v10, v3, s3
	s_cbranch_scc1 .LBB167_55
; %bb.54:
	s_clause 0x1
	s_load_b128 s[4:7], s[0:1], 0x10
	s_load_b64 s[2:3], s[0:1], 0xcc
	s_waitcnt lgkmcnt(0)
	v_mul_hi_u32 v3, s5, v4
	s_delay_alu instid0(VALU_DEP_1) | instskip(NEXT) | instid1(VALU_DEP_1)
	v_add_nc_u32_e32 v3, v4, v3
	v_lshrrev_b32_e32 v3, s6, v3
	s_delay_alu instid0(VALU_DEP_1) | instskip(NEXT) | instid1(VALU_DEP_1)
	v_mul_lo_u32 v3, v3, s4
	v_sub_nc_u32_e32 v7, v4, v3
	s_delay_alu instid0(VALU_DEP_1) | instskip(SKIP_1) | instid1(VALU_DEP_2)
	v_mad_u64_u32 v[3:4], null, v7, s2, v[18:19]
	v_mad_u64_u32 v[4:5], null, v7, s3, v[10:11]
	v_mov_b32_e32 v18, v3
	s_delay_alu instid0(VALU_DEP_2)
	v_mov_b32_e32 v10, v4
.LBB167_55:
	v_cmp_ne_u32_e32 vcc_lo, 1, v2
	s_cbranch_vccnz .LBB167_61
; %bb.56:
	v_dual_mov_b32 v19, 0 :: v_dual_mov_b32 v14, 0
	s_cmp_lg_u32 s22, 0
	s_mov_b32 s6, 0
	s_cbranch_scc0 .LBB167_65
; %bb.57:
	s_min_u32 s7, s23, 15
	v_mov_b32_e32 v19, 0
	s_add_i32 s7, s7, 1
	s_cmp_eq_u32 s23, 2
	s_mov_b32 s10, 0
	s_cbranch_scc1 .LBB167_62
; %bb.58:
	v_dual_mov_b32 v14, 0 :: v_dual_mov_b32 v19, 0
	v_mov_b32_e32 v2, v1
	s_add_u32 s2, s0, 0xc4
	s_addc_u32 s3, s1, 0
	s_and_b32 s10, s7, 28
	s_mov_b32 s11, 0
	s_mov_b64 s[4:5], s[0:1]
.LBB167_59:                             ; =>This Inner Loop Header: Depth=1
	s_clause 0x1
	s_load_b256 s[12:19], s[4:5], 0x4
	s_load_b128 s[36:39], s[4:5], 0x24
	s_load_b256 s[24:31], s[2:3], 0x0
	s_add_u32 s4, s4, 48
	s_addc_u32 s5, s5, 0
	s_add_i32 s11, s11, 4
	s_add_u32 s2, s2, 32
	s_addc_u32 s3, s3, 0
	s_cmp_lg_u32 s10, s11
	s_waitcnt lgkmcnt(0)
	v_mul_hi_u32 v3, s13, v2
	s_delay_alu instid0(VALU_DEP_1) | instskip(NEXT) | instid1(VALU_DEP_1)
	v_add_nc_u32_e32 v3, v2, v3
	v_lshrrev_b32_e32 v3, s14, v3
	s_delay_alu instid0(VALU_DEP_1) | instskip(SKIP_1) | instid1(VALU_DEP_2)
	v_mul_hi_u32 v4, s16, v3
	v_mul_lo_u32 v7, v3, s12
	v_add_nc_u32_e32 v4, v3, v4
	s_delay_alu instid0(VALU_DEP_2) | instskip(NEXT) | instid1(VALU_DEP_2)
	v_sub_nc_u32_e32 v2, v2, v7
	v_lshrrev_b32_e32 v4, s17, v4
	s_delay_alu instid0(VALU_DEP_2) | instskip(SKIP_1) | instid1(VALU_DEP_3)
	v_mul_lo_u32 v7, v2, s24
	v_mul_lo_u32 v9, v2, s25
	v_mul_hi_u32 v5, s19, v4
	s_delay_alu instid0(VALU_DEP_1) | instskip(NEXT) | instid1(VALU_DEP_1)
	v_add_nc_u32_e32 v5, v4, v5
	v_lshrrev_b32_e32 v5, s36, v5
	s_delay_alu instid0(VALU_DEP_1) | instskip(SKIP_1) | instid1(VALU_DEP_2)
	v_mul_hi_u32 v8, s38, v5
	v_mul_lo_u32 v11, v5, s18
	v_add_nc_u32_e32 v2, v5, v8
	v_mul_lo_u32 v8, v4, s15
	s_delay_alu instid0(VALU_DEP_3) | instskip(NEXT) | instid1(VALU_DEP_3)
	v_sub_nc_u32_e32 v4, v4, v11
	v_lshrrev_b32_e32 v2, s39, v2
	s_delay_alu instid0(VALU_DEP_2) | instskip(SKIP_2) | instid1(VALU_DEP_4)
	v_mul_lo_u32 v11, v4, s28
	v_mul_lo_u32 v4, v4, s29
	v_sub_nc_u32_e32 v3, v3, v8
	v_mul_lo_u32 v12, v2, s37
	s_delay_alu instid0(VALU_DEP_2) | instskip(SKIP_1) | instid1(VALU_DEP_3)
	v_mul_lo_u32 v8, v3, s26
	v_mul_lo_u32 v3, v3, s27
	v_sub_nc_u32_e32 v5, v5, v12
	s_delay_alu instid0(VALU_DEP_3) | instskip(NEXT) | instid1(VALU_DEP_2)
	v_add3_u32 v7, v7, v19, v8
	v_mul_lo_u32 v12, v5, s30
	v_mul_lo_u32 v5, v5, s31
	v_add3_u32 v3, v9, v14, v3
	s_delay_alu instid0(VALU_DEP_3) | instskip(NEXT) | instid1(VALU_DEP_2)
	v_add3_u32 v19, v11, v7, v12
	v_add3_u32 v14, v4, v3, v5
	s_cbranch_scc1 .LBB167_59
; %bb.60:
	s_and_b32 s7, s7, 3
	s_delay_alu instid0(SALU_CYCLE_1)
	s_cmp_eq_u32 s7, 0
	s_cbranch_scc0 .LBB167_63
	s_branch .LBB167_65
.LBB167_61:
	s_mov_b32 s6, -1
                                        ; implicit-def: $vgpr19
                                        ; implicit-def: $vgpr14
	s_branch .LBB167_65
.LBB167_62:
	v_mov_b32_e32 v2, v1
	v_mov_b32_e32 v14, 0
	s_and_b32 s7, s7, 3
	s_delay_alu instid0(SALU_CYCLE_1)
	s_cmp_eq_u32 s7, 0
	s_cbranch_scc1 .LBB167_65
.LBB167_63:
	s_lshl_b32 s2, s10, 3
	s_mul_i32 s4, s10, 12
	s_add_u32 s2, s2, s0
	s_addc_u32 s3, 0, s1
	s_add_u32 s2, s2, 0xc4
	s_addc_u32 s3, s3, 0
	;; [unrolled: 2-line block ×3, first 2 shown]
	.p2align	6
.LBB167_64:                             ; =>This Inner Loop Header: Depth=1
	s_clause 0x1
	s_load_b64 s[10:11], s[4:5], 0x4
	s_load_b32 s14, s[4:5], 0xc
	s_load_b64 s[12:13], s[2:3], 0x0
	s_add_u32 s4, s4, 12
	s_addc_u32 s5, s5, 0
	s_add_u32 s2, s2, 8
	s_addc_u32 s3, s3, 0
	s_add_i32 s7, s7, -1
	s_delay_alu instid0(SALU_CYCLE_1) | instskip(SKIP_2) | instid1(VALU_DEP_1)
	s_cmp_lg_u32 s7, 0
	s_waitcnt lgkmcnt(0)
	v_mul_hi_u32 v3, s11, v2
	v_add_nc_u32_e32 v3, v2, v3
	s_delay_alu instid0(VALU_DEP_1) | instskip(NEXT) | instid1(VALU_DEP_1)
	v_lshrrev_b32_e32 v7, s14, v3
	v_mul_lo_u32 v3, v7, s10
	s_delay_alu instid0(VALU_DEP_1) | instskip(NEXT) | instid1(VALU_DEP_1)
	v_sub_nc_u32_e32 v2, v2, v3
	v_mad_u64_u32 v[3:4], null, v2, s12, v[19:20]
	v_mad_u64_u32 v[4:5], null, v2, s13, v[14:15]
	v_mov_b32_e32 v2, v7
	s_delay_alu instid0(VALU_DEP_2)
	v_dual_mov_b32 v19, v3 :: v_dual_mov_b32 v14, v4
	s_cbranch_scc1 .LBB167_64
.LBB167_65:
	s_and_not1_b32 vcc_lo, exec_lo, s6
	s_cbranch_vccnz .LBB167_68
; %bb.66:
	s_clause 0x1
	s_load_b128 s[4:7], s[0:1], 0x4
	s_load_b64 s[2:3], s[0:1], 0xc4
	s_cmp_lt_u32 s22, 2
	s_waitcnt lgkmcnt(0)
	v_mul_hi_u32 v2, s5, v1
	s_delay_alu instid0(VALU_DEP_1) | instskip(NEXT) | instid1(VALU_DEP_1)
	v_add_nc_u32_e32 v2, v1, v2
	v_lshrrev_b32_e32 v2, s6, v2
	s_delay_alu instid0(VALU_DEP_1) | instskip(NEXT) | instid1(VALU_DEP_1)
	v_mul_lo_u32 v3, v2, s4
	v_sub_nc_u32_e32 v1, v1, v3
	s_delay_alu instid0(VALU_DEP_1)
	v_mul_lo_u32 v19, v1, s2
	v_mul_lo_u32 v14, v1, s3
	s_cbranch_scc1 .LBB167_68
; %bb.67:
	s_clause 0x1
	s_load_b128 s[4:7], s[0:1], 0x10
	s_load_b64 s[2:3], s[0:1], 0xcc
	s_waitcnt lgkmcnt(0)
	v_mul_hi_u32 v1, s5, v2
	s_delay_alu instid0(VALU_DEP_1) | instskip(NEXT) | instid1(VALU_DEP_1)
	v_add_nc_u32_e32 v1, v2, v1
	v_lshrrev_b32_e32 v1, s6, v1
	s_delay_alu instid0(VALU_DEP_1) | instskip(NEXT) | instid1(VALU_DEP_1)
	v_mul_lo_u32 v1, v1, s4
	v_sub_nc_u32_e32 v4, v2, v1
	s_delay_alu instid0(VALU_DEP_1) | instskip(SKIP_1) | instid1(VALU_DEP_1)
	v_mad_u64_u32 v[1:2], null, v4, s2, v[19:20]
	v_mad_u64_u32 v[2:3], null, v4, s3, v[14:15]
	v_dual_mov_b32 v19, v1 :: v_dual_mov_b32 v14, v2
.LBB167_68:
	s_load_b128 s[4:7], s[0:1], 0x148
	v_mov_b32_e32 v7, 0
	v_mov_b32_e32 v8, 0
	s_waitcnt lgkmcnt(0)
	global_load_b128 v[2:5], v0, s[6:7]
	s_waitcnt vmcnt(0)
	v_cmp_neq_f64_e32 vcc_lo, 0, v[2:3]
	v_cmp_neq_f64_e64 s0, 0, v[4:5]
	s_delay_alu instid0(VALU_DEP_1) | instskip(NEXT) | instid1(SALU_CYCLE_1)
	s_or_b32 s0, vcc_lo, s0
	s_and_saveexec_b32 s2, s0
	s_cbranch_execz .LBB167_146
; %bb.69:
	s_mov_b32 s0, 0
	s_mov_b32 s1, 0x7ff00000
	v_mov_b32_e32 v7, s0
	v_mov_b32_e32 v8, s1
	s_mov_b32 s3, exec_lo
	v_cmpx_neq_f64_e64 0x7ff00000, |v[4:5]|
	s_cbranch_execz .LBB167_145
; %bb.70:
	s_mov_b32 s0, exec_lo
	v_cmpx_o_f64_e32 v[2:3], v[2:3]
	s_xor_b32 s10, exec_lo, s0
	s_cbranch_execz .LBB167_142
; %bb.71:
	s_mov_b32 s1, exec_lo
	v_cmpx_neq_f64_e64 0x7ff00000, |v[2:3]|
	s_xor_b32 s11, exec_lo, s1
	s_cbranch_execz .LBB167_135
; %bb.72:
	v_max_f64 v[0:1], |v[4:5]|, |v[4:5]|
	v_max_f64 v[7:8], |v[2:3]|, |v[2:3]|
	s_mov_b32 s0, 0x99fcef32
	s_mov_b32 s1, 0x7fda8279
                                        ; implicit-def: $sgpr12
	s_delay_alu instid0(VALU_DEP_1) | instskip(NEXT) | instid1(VALU_DEP_1)
	v_max_f64 v[0:1], v[7:8], v[0:1]
	v_cmp_nle_f64_e64 s0, s[0:1], v[0:1]
	s_delay_alu instid0(VALU_DEP_1) | instskip(NEXT) | instid1(SALU_CYCLE_1)
	s_and_saveexec_b32 s1, s0
	s_xor_b32 s1, exec_lo, s1
	s_cbranch_execz .LBB167_76
; %bb.73:
	v_cmp_ge_f64_e64 s12, 0x200000, |v[2:3]|
	v_cmp_ge_f64_e64 s13, 0x200000, |v[4:5]|
	s_delay_alu instid0(VALU_DEP_1)
	s_and_b32 s14, s12, s13
	s_mov_b32 s12, 0
	s_and_saveexec_b32 s13, s14
; %bb.74:
	v_mul_f64 v[2:3], v[2:3], 4.0
	v_mul_f64 v[4:5], v[4:5], 4.0
	s_mov_b32 s12, exec_lo
; %bb.75:
	s_or_b32 exec_lo, exec_lo, s13
	s_delay_alu instid0(SALU_CYCLE_1)
	s_and_b32 s12, s12, exec_lo
.LBB167_76:
	s_and_not1_saveexec_b32 s1, s1
; %bb.77:
	s_delay_alu instid0(VALU_DEP_2) | instskip(NEXT) | instid1(VALU_DEP_2)
	v_ldexp_f64 v[2:3], v[2:3], -2
	v_ldexp_f64 v[4:5], v[4:5], -2
	s_and_not1_b32 s12, s12, exec_lo
; %bb.78:
	s_or_b32 exec_lo, exec_lo, s1
	s_delay_alu instid0(VALU_DEP_1) | instskip(NEXT) | instid1(VALU_DEP_3)
	v_max_f64 v[0:1], |v[4:5]|, |v[4:5]|
	v_max_f64 v[7:8], |v[2:3]|, |v[2:3]|
	v_cmp_class_f64_e64 s13, v[2:3], 0x204
	v_cmp_class_f64_e64 s14, v[4:5], 0x204
	v_cmp_le_f64_e64 s1, 0, v[2:3]
	s_delay_alu instid0(VALU_DEP_4) | instskip(NEXT) | instid1(VALU_DEP_3)
	v_max_f64 v[0:1], v[7:8], v[0:1]
	s_or_b32 s13, s14, s13
	s_delay_alu instid0(VALU_DEP_1) | instskip(NEXT) | instid1(VALU_DEP_1)
	v_frexp_exp_i32_f64_e32 v9, v[0:1]
	v_sub_nc_u32_e32 v7, 0, v9
	s_delay_alu instid0(VALU_DEP_1) | instskip(SKIP_1) | instid1(VALU_DEP_2)
	v_ldexp_f64 v[0:1], |v[4:5]|, v7
	v_ldexp_f64 v[7:8], |v[2:3]|, v7
	v_mul_f64 v[0:1], v[0:1], v[0:1]
	s_delay_alu instid0(VALU_DEP_1) | instskip(NEXT) | instid1(VALU_DEP_1)
	v_fma_f64 v[0:1], v[7:8], v[7:8], v[0:1]
	v_rsq_f64_e32 v[7:8], v[0:1]
	v_cmp_eq_f64_e32 vcc_lo, 0, v[0:1]
	s_waitcnt_depctr 0xfff
	v_mul_f64 v[11:12], v[0:1], v[7:8]
	v_mul_f64 v[7:8], v[7:8], 0.5
	s_delay_alu instid0(VALU_DEP_1) | instskip(NEXT) | instid1(VALU_DEP_1)
	v_fma_f64 v[20:21], -v[7:8], v[11:12], 0.5
	v_fma_f64 v[11:12], v[11:12], v[20:21], v[11:12]
	v_fma_f64 v[7:8], v[7:8], v[20:21], v[7:8]
	s_delay_alu instid0(VALU_DEP_2) | instskip(NEXT) | instid1(VALU_DEP_1)
	v_fma_f64 v[20:21], -v[11:12], v[11:12], v[0:1]
	v_fma_f64 v[7:8], v[20:21], v[7:8], v[11:12]
	s_delay_alu instid0(VALU_DEP_1) | instskip(SKIP_1) | instid1(VALU_DEP_2)
	v_dual_cndmask_b32 v1, v8, v1 :: v_dual_cndmask_b32 v0, v7, v0
	v_cmp_o_f64_e32 vcc_lo, v[4:5], v[4:5]
	v_ldexp_f64 v[0:1], v[0:1], v9
	s_delay_alu instid0(VALU_DEP_1) | instskip(NEXT) | instid1(VALU_DEP_2)
	v_cndmask_b32_e32 v0, 0, v0, vcc_lo
	v_cndmask_b32_e32 v1, 0x7ff80000, v1, vcc_lo
	s_delay_alu instid0(VALU_DEP_2) | instskip(NEXT) | instid1(VALU_DEP_2)
	v_cndmask_b32_e64 v0, v0, 0, s13
	v_cndmask_b32_e64 v1, v1, 0x7ff00000, s13
	s_and_saveexec_b32 s13, s1
	s_delay_alu instid0(SALU_CYCLE_1)
	s_xor_b32 s1, exec_lo, s13
	s_cbranch_execz .LBB167_130
; %bb.79:
	s_delay_alu instid0(VALU_DEP_1) | instskip(NEXT) | instid1(VALU_DEP_1)
	v_add_f64 v[0:1], v[2:3], v[0:1]
	v_mul_f64 v[0:1], v[0:1], 0.5
	s_delay_alu instid0(VALU_DEP_1) | instskip(SKIP_1) | instid1(VALU_DEP_1)
	v_cmp_gt_f64_e32 vcc_lo, 0x10000000, v[0:1]
	v_cndmask_b32_e64 v2, 0, 1, vcc_lo
	v_lshlrev_b32_e32 v2, 8, v2
	s_delay_alu instid0(VALU_DEP_1) | instskip(NEXT) | instid1(VALU_DEP_1)
	v_ldexp_f64 v[0:1], v[0:1], v2
	v_rsq_f64_e32 v[2:3], v[0:1]
	s_waitcnt_depctr 0xfff
	v_mul_f64 v[7:8], v[0:1], v[2:3]
	v_mul_f64 v[2:3], v[2:3], 0.5
	s_delay_alu instid0(VALU_DEP_1) | instskip(NEXT) | instid1(VALU_DEP_1)
	v_fma_f64 v[11:12], -v[2:3], v[7:8], 0.5
	v_fma_f64 v[7:8], v[7:8], v[11:12], v[7:8]
	v_fma_f64 v[2:3], v[2:3], v[11:12], v[2:3]
	s_delay_alu instid0(VALU_DEP_2) | instskip(NEXT) | instid1(VALU_DEP_1)
	v_fma_f64 v[11:12], -v[7:8], v[7:8], v[0:1]
	v_fma_f64 v[7:8], v[11:12], v[2:3], v[7:8]
	s_delay_alu instid0(VALU_DEP_1) | instskip(NEXT) | instid1(VALU_DEP_1)
	v_fma_f64 v[11:12], -v[7:8], v[7:8], v[0:1]
	v_fma_f64 v[2:3], v[11:12], v[2:3], v[7:8]
	v_cndmask_b32_e64 v7, 0, 0xffffff80, vcc_lo
	v_cmp_class_f64_e64 vcc_lo, v[0:1], 0x260
	s_delay_alu instid0(VALU_DEP_2) | instskip(NEXT) | instid1(VALU_DEP_1)
	v_ldexp_f64 v[2:3], v[2:3], v7
	v_dual_cndmask_b32 v3, v3, v1 :: v_dual_cndmask_b32 v2, v2, v0
	s_delay_alu instid0(VALU_DEP_1) | instskip(NEXT) | instid1(VALU_DEP_1)
	v_add_f64 v[0:1], v[2:3], v[2:3]
	v_div_scale_f64 v[7:8], null, v[0:1], v[0:1], v[4:5]
	s_delay_alu instid0(VALU_DEP_1) | instskip(SKIP_2) | instid1(VALU_DEP_1)
	v_rcp_f64_e32 v[11:12], v[7:8]
	s_waitcnt_depctr 0xfff
	v_fma_f64 v[20:21], -v[7:8], v[11:12], 1.0
	v_fma_f64 v[11:12], v[11:12], v[20:21], v[11:12]
	s_delay_alu instid0(VALU_DEP_1) | instskip(NEXT) | instid1(VALU_DEP_1)
	v_fma_f64 v[20:21], -v[7:8], v[11:12], 1.0
	v_fma_f64 v[11:12], v[11:12], v[20:21], v[11:12]
	v_div_scale_f64 v[20:21], vcc_lo, v[4:5], v[0:1], v[4:5]
	s_delay_alu instid0(VALU_DEP_1) | instskip(NEXT) | instid1(VALU_DEP_1)
	v_mul_f64 v[22:23], v[20:21], v[11:12]
	v_fma_f64 v[7:8], -v[7:8], v[22:23], v[20:21]
	s_delay_alu instid0(VALU_DEP_1) | instskip(NEXT) | instid1(VALU_DEP_1)
	v_div_fmas_f64 v[7:8], v[7:8], v[11:12], v[22:23]
	v_div_fixup_f64 v[4:5], v[7:8], v[0:1], v[4:5]
                                        ; implicit-def: $vgpr0_vgpr1
	s_and_not1_saveexec_b32 s1, s1
	s_cbranch_execnz .LBB167_131
.LBB167_80:
	s_or_b32 exec_lo, exec_lo, s1
	s_and_saveexec_b32 s1, s0
	s_delay_alu instid0(SALU_CYCLE_1)
	s_xor_b32 s0, exec_lo, s1
	s_cbranch_execz .LBB167_132
.LBB167_81:
	s_and_saveexec_b32 s1, s12
; %bb.82:
	s_delay_alu instid0(VALU_DEP_2) | instskip(NEXT) | instid1(VALU_DEP_2)
	v_mul_f64 v[2:3], v[2:3], 0.5
	v_mul_f64 v[4:5], v[4:5], 0.5
; %bb.83:
	s_or_b32 exec_lo, exec_lo, s1
	s_and_not1_saveexec_b32 s0, s0
	s_cbranch_execnz .LBB167_133
	s_branch .LBB167_134
.LBB167_84:
	v_dual_mov_b32 v1, v18 :: v_dual_mov_b32 v0, 0
.LBB167_85:
	s_and_b32 s34, s34, 3
	s_delay_alu instid0(SALU_CYCLE_1)
	s_cmp_eq_u32 s34, 0
	s_cbranch_scc1 .LBB167_88
; %bb.86:
	s_lshl_b32 s2, s33, 3
	s_mul_i32 s20, s33, 12
	s_add_u32 s2, s2, s0
	s_addc_u32 s3, s1, 0
	s_add_u32 s2, s2, 0xc4
	s_addc_u32 s3, s3, 0
	;; [unrolled: 2-line block ×3, first 2 shown]
	.p2align	6
.LBB167_87:                             ; =>This Inner Loop Header: Depth=1
	s_clause 0x1
	s_load_b64 s[36:37], s[20:21], 0x4
	s_load_b32 s33, s[20:21], 0xc
	s_load_b64 s[38:39], s[2:3], 0x0
	s_add_u32 s20, s20, 12
	s_addc_u32 s21, s21, 0
	s_add_u32 s2, s2, 8
	s_addc_u32 s3, s3, 0
	s_add_i32 s34, s34, -1
	s_delay_alu instid0(SALU_CYCLE_1) | instskip(SKIP_2) | instid1(VALU_DEP_1)
	s_cmp_lg_u32 s34, 0
	s_waitcnt lgkmcnt(0)
	v_mul_hi_u32 v2, s37, v1
	v_add_nc_u32_e32 v2, v1, v2
	s_delay_alu instid0(VALU_DEP_1) | instskip(NEXT) | instid1(VALU_DEP_1)
	v_lshrrev_b32_e32 v5, s33, v2
	v_mul_lo_u32 v2, v5, s36
	s_delay_alu instid0(VALU_DEP_1) | instskip(NEXT) | instid1(VALU_DEP_1)
	v_sub_nc_u32_e32 v1, v1, v2
	v_mad_u64_u32 v[2:3], null, v1, s38, v[8:9]
	v_mad_u64_u32 v[3:4], null, v1, s39, v[0:1]
	s_delay_alu instid0(VALU_DEP_2) | instskip(NEXT) | instid1(VALU_DEP_2)
	v_dual_mov_b32 v1, v5 :: v_dual_mov_b32 v8, v2
	v_mov_b32_e32 v0, v3
	s_cbranch_scc1 .LBB167_87
.LBB167_88:
	s_and_not1_b32 vcc_lo, exec_lo, s31
	s_cbranch_vccnz .LBB167_91
; %bb.89:
	s_waitcnt lgkmcnt(0)
	v_mul_hi_u32 v0, s13, v18
	s_and_not1_b32 vcc_lo, exec_lo, s26
	s_delay_alu instid0(VALU_DEP_1) | instskip(NEXT) | instid1(VALU_DEP_1)
	v_add_nc_u32_e32 v0, v18, v0
	v_lshrrev_b32_e32 v1, s14, v0
	s_delay_alu instid0(VALU_DEP_1) | instskip(NEXT) | instid1(VALU_DEP_1)
	v_mul_lo_u32 v0, v1, s12
	v_sub_nc_u32_e32 v0, v18, v0
	s_delay_alu instid0(VALU_DEP_1)
	v_mul_lo_u32 v8, v0, s8
	v_mul_lo_u32 v0, v0, s9
	s_cbranch_vccnz .LBB167_91
; %bb.90:
	v_mul_hi_u32 v2, s16, v1
	s_delay_alu instid0(VALU_DEP_1) | instskip(NEXT) | instid1(VALU_DEP_1)
	v_add_nc_u32_e32 v2, v1, v2
	v_lshrrev_b32_e32 v2, s17, v2
	s_delay_alu instid0(VALU_DEP_1) | instskip(NEXT) | instid1(VALU_DEP_1)
	v_mul_lo_u32 v2, v2, s15
	v_sub_nc_u32_e32 v4, v1, v2
	s_delay_alu instid0(VALU_DEP_1) | instskip(NEXT) | instid1(VALU_DEP_1)
	v_mad_u64_u32 v[1:2], null, v4, s10, v[8:9]
	v_mad_u64_u32 v[2:3], null, v4, s11, v[0:1]
	v_mov_b32_e32 v8, v1
	s_delay_alu instid0(VALU_DEP_2)
	v_mov_b32_e32 v0, v2
.LBB167_91:
	s_waitcnt lgkmcnt(0)
	global_load_b128 v[0:3], v0, s[6:7]
	v_mov_b32_e32 v9, 0
	v_mov_b32_e32 v10, 0
	s_waitcnt vmcnt(0)
	v_cmp_neq_f64_e32 vcc_lo, 0, v[0:1]
	v_cmp_neq_f64_e64 s2, 0, v[2:3]
	s_delay_alu instid0(VALU_DEP_1) | instskip(NEXT) | instid1(SALU_CYCLE_1)
	s_or_b32 s2, vcc_lo, s2
	s_and_saveexec_b32 s20, s2
	s_cbranch_execz .LBB167_292
; %bb.92:
	s_mov_b32 s2, 0
	s_mov_b32 s3, 0x7ff00000
	v_mov_b32_e32 v9, s2
	v_mov_b32_e32 v10, s3
	s_mov_b32 s21, exec_lo
	v_cmpx_neq_f64_e64 0x7ff00000, |v[2:3]|
	s_cbranch_execz .LBB167_291
; %bb.93:
	s_mov_b32 s2, exec_lo
	v_cmpx_o_f64_e32 v[0:1], v[0:1]
	s_xor_b32 s31, exec_lo, s2
	s_cbranch_execz .LBB167_288
; %bb.94:
	s_mov_b32 s3, exec_lo
	v_cmpx_neq_f64_e64 0x7ff00000, |v[0:1]|
	s_xor_b32 s33, exec_lo, s3
	s_cbranch_execz .LBB167_281
; %bb.95:
	v_max_f64 v[4:5], |v[2:3]|, |v[2:3]|
	v_max_f64 v[6:7], |v[0:1]|, |v[0:1]|
	s_mov_b32 s2, 0x99fcef32
	s_mov_b32 s3, 0x7fda8279
                                        ; implicit-def: $sgpr34
	s_delay_alu instid0(VALU_DEP_1) | instskip(NEXT) | instid1(VALU_DEP_1)
	v_max_f64 v[4:5], v[6:7], v[4:5]
	v_cmp_nle_f64_e64 s2, s[2:3], v[4:5]
	s_delay_alu instid0(VALU_DEP_1) | instskip(NEXT) | instid1(SALU_CYCLE_1)
	s_and_saveexec_b32 s3, s2
	s_xor_b32 s3, exec_lo, s3
	s_cbranch_execz .LBB167_99
; %bb.96:
	v_cmp_ge_f64_e64 s34, 0x200000, |v[0:1]|
	v_cmp_ge_f64_e64 s35, 0x200000, |v[2:3]|
	s_delay_alu instid0(VALU_DEP_1)
	s_and_b32 s36, s34, s35
	s_mov_b32 s34, 0
	s_and_saveexec_b32 s35, s36
; %bb.97:
	v_mul_f64 v[0:1], v[0:1], 4.0
	v_mul_f64 v[2:3], v[2:3], 4.0
	s_mov_b32 s34, exec_lo
; %bb.98:
	s_or_b32 exec_lo, exec_lo, s35
	s_delay_alu instid0(SALU_CYCLE_1)
	s_and_b32 s34, s34, exec_lo
.LBB167_99:
	s_and_not1_saveexec_b32 s3, s3
; %bb.100:
	s_delay_alu instid0(VALU_DEP_2) | instskip(NEXT) | instid1(VALU_DEP_2)
	v_ldexp_f64 v[0:1], v[0:1], -2
	v_ldexp_f64 v[2:3], v[2:3], -2
	s_and_not1_b32 s34, s34, exec_lo
; %bb.101:
	s_or_b32 exec_lo, exec_lo, s3
	s_delay_alu instid0(VALU_DEP_1) | instskip(NEXT) | instid1(VALU_DEP_3)
	v_max_f64 v[4:5], |v[2:3]|, |v[2:3]|
	v_max_f64 v[6:7], |v[0:1]|, |v[0:1]|
	v_cmp_class_f64_e64 s35, v[0:1], 0x204
	v_cmp_class_f64_e64 s36, v[2:3], 0x204
	v_cmp_le_f64_e64 s3, 0, v[0:1]
	s_delay_alu instid0(VALU_DEP_4) | instskip(NEXT) | instid1(VALU_DEP_3)
	v_max_f64 v[4:5], v[6:7], v[4:5]
	s_or_b32 s35, s36, s35
	s_delay_alu instid0(VALU_DEP_1) | instskip(NEXT) | instid1(VALU_DEP_1)
	v_frexp_exp_i32_f64_e32 v13, v[4:5]
	v_sub_nc_u32_e32 v6, 0, v13
	s_delay_alu instid0(VALU_DEP_1) | instskip(SKIP_1) | instid1(VALU_DEP_2)
	v_ldexp_f64 v[4:5], |v[2:3]|, v6
	v_ldexp_f64 v[6:7], |v[0:1]|, v6
	v_mul_f64 v[4:5], v[4:5], v[4:5]
	s_delay_alu instid0(VALU_DEP_1) | instskip(NEXT) | instid1(VALU_DEP_1)
	v_fma_f64 v[4:5], v[6:7], v[6:7], v[4:5]
	v_rsq_f64_e32 v[6:7], v[4:5]
	v_cmp_eq_f64_e32 vcc_lo, 0, v[4:5]
	s_waitcnt_depctr 0xfff
	v_mul_f64 v[9:10], v[4:5], v[6:7]
	v_mul_f64 v[6:7], v[6:7], 0.5
	s_delay_alu instid0(VALU_DEP_1) | instskip(NEXT) | instid1(VALU_DEP_1)
	v_fma_f64 v[11:12], -v[6:7], v[9:10], 0.5
	v_fma_f64 v[9:10], v[9:10], v[11:12], v[9:10]
	v_fma_f64 v[6:7], v[6:7], v[11:12], v[6:7]
	s_delay_alu instid0(VALU_DEP_2) | instskip(NEXT) | instid1(VALU_DEP_1)
	v_fma_f64 v[11:12], -v[9:10], v[9:10], v[4:5]
	v_fma_f64 v[6:7], v[11:12], v[6:7], v[9:10]
	s_delay_alu instid0(VALU_DEP_1) | instskip(SKIP_1) | instid1(VALU_DEP_2)
	v_dual_cndmask_b32 v5, v7, v5 :: v_dual_cndmask_b32 v4, v6, v4
	v_cmp_o_f64_e32 vcc_lo, v[2:3], v[2:3]
	v_ldexp_f64 v[4:5], v[4:5], v13
	s_delay_alu instid0(VALU_DEP_1) | instskip(NEXT) | instid1(VALU_DEP_2)
	v_cndmask_b32_e32 v4, 0, v4, vcc_lo
	v_cndmask_b32_e32 v5, 0x7ff80000, v5, vcc_lo
	s_delay_alu instid0(VALU_DEP_2) | instskip(NEXT) | instid1(VALU_DEP_2)
	v_cndmask_b32_e64 v4, v4, 0, s35
	v_cndmask_b32_e64 v5, v5, 0x7ff00000, s35
	s_and_saveexec_b32 s35, s3
	s_delay_alu instid0(SALU_CYCLE_1)
	s_xor_b32 s3, exec_lo, s35
	s_cbranch_execz .LBB167_276
; %bb.102:
	s_delay_alu instid0(VALU_DEP_1) | instskip(NEXT) | instid1(VALU_DEP_1)
	v_add_f64 v[0:1], v[0:1], v[4:5]
	v_mul_f64 v[0:1], v[0:1], 0.5
	s_delay_alu instid0(VALU_DEP_1) | instskip(SKIP_1) | instid1(VALU_DEP_1)
	v_cmp_gt_f64_e32 vcc_lo, 0x10000000, v[0:1]
	v_cndmask_b32_e64 v4, 0, 1, vcc_lo
	v_lshlrev_b32_e32 v4, 8, v4
	s_delay_alu instid0(VALU_DEP_1) | instskip(NEXT) | instid1(VALU_DEP_1)
	v_ldexp_f64 v[0:1], v[0:1], v4
	v_rsq_f64_e32 v[4:5], v[0:1]
	s_waitcnt_depctr 0xfff
	v_mul_f64 v[6:7], v[0:1], v[4:5]
	v_mul_f64 v[4:5], v[4:5], 0.5
	s_delay_alu instid0(VALU_DEP_1) | instskip(NEXT) | instid1(VALU_DEP_1)
	v_fma_f64 v[9:10], -v[4:5], v[6:7], 0.5
	v_fma_f64 v[6:7], v[6:7], v[9:10], v[6:7]
	v_fma_f64 v[4:5], v[4:5], v[9:10], v[4:5]
	s_delay_alu instid0(VALU_DEP_2) | instskip(NEXT) | instid1(VALU_DEP_1)
	v_fma_f64 v[9:10], -v[6:7], v[6:7], v[0:1]
	v_fma_f64 v[6:7], v[9:10], v[4:5], v[6:7]
	s_delay_alu instid0(VALU_DEP_1) | instskip(NEXT) | instid1(VALU_DEP_1)
	v_fma_f64 v[9:10], -v[6:7], v[6:7], v[0:1]
	v_fma_f64 v[4:5], v[9:10], v[4:5], v[6:7]
	v_cndmask_b32_e64 v6, 0, 0xffffff80, vcc_lo
	v_cmp_class_f64_e64 vcc_lo, v[0:1], 0x260
	s_delay_alu instid0(VALU_DEP_2) | instskip(NEXT) | instid1(VALU_DEP_1)
	v_ldexp_f64 v[4:5], v[4:5], v6
	v_dual_cndmask_b32 v1, v5, v1 :: v_dual_cndmask_b32 v0, v4, v0
	s_delay_alu instid0(VALU_DEP_1) | instskip(NEXT) | instid1(VALU_DEP_1)
	v_add_f64 v[4:5], v[0:1], v[0:1]
	v_div_scale_f64 v[6:7], null, v[4:5], v[4:5], v[2:3]
	s_delay_alu instid0(VALU_DEP_1) | instskip(SKIP_2) | instid1(VALU_DEP_1)
	v_rcp_f64_e32 v[9:10], v[6:7]
	s_waitcnt_depctr 0xfff
	v_fma_f64 v[11:12], -v[6:7], v[9:10], 1.0
	v_fma_f64 v[9:10], v[9:10], v[11:12], v[9:10]
	s_delay_alu instid0(VALU_DEP_1) | instskip(NEXT) | instid1(VALU_DEP_1)
	v_fma_f64 v[11:12], -v[6:7], v[9:10], 1.0
	v_fma_f64 v[9:10], v[9:10], v[11:12], v[9:10]
	v_div_scale_f64 v[11:12], vcc_lo, v[2:3], v[4:5], v[2:3]
	s_delay_alu instid0(VALU_DEP_1) | instskip(NEXT) | instid1(VALU_DEP_1)
	v_mul_f64 v[13:14], v[11:12], v[9:10]
	v_fma_f64 v[6:7], -v[6:7], v[13:14], v[11:12]
	s_delay_alu instid0(VALU_DEP_1) | instskip(NEXT) | instid1(VALU_DEP_1)
	v_div_fmas_f64 v[6:7], v[6:7], v[9:10], v[13:14]
	v_div_fixup_f64 v[2:3], v[6:7], v[4:5], v[2:3]
                                        ; implicit-def: $vgpr4_vgpr5
	s_and_not1_saveexec_b32 s3, s3
	s_cbranch_execnz .LBB167_277
.LBB167_103:
	s_or_b32 exec_lo, exec_lo, s3
	s_and_saveexec_b32 s3, s2
	s_delay_alu instid0(SALU_CYCLE_1)
	s_xor_b32 s2, exec_lo, s3
	s_cbranch_execz .LBB167_278
.LBB167_104:
	s_and_saveexec_b32 s3, s34
; %bb.105:
	s_delay_alu instid0(VALU_DEP_2) | instskip(NEXT) | instid1(VALU_DEP_2)
	v_mul_f64 v[0:1], v[0:1], 0.5
	v_mul_f64 v[2:3], v[2:3], 0.5
; %bb.106:
	s_or_b32 exec_lo, exec_lo, s3
	s_and_not1_saveexec_b32 s2, s2
	s_cbranch_execnz .LBB167_279
	s_branch .LBB167_280
.LBB167_107:
	v_dual_mov_b32 v1, v18 :: v_dual_mov_b32 v0, 0
.LBB167_108:
	s_and_b32 s34, s34, 3
	s_delay_alu instid0(SALU_CYCLE_1)
	s_cmp_eq_u32 s34, 0
	s_cbranch_scc1 .LBB167_111
; %bb.109:
	s_lshl_b32 s2, s33, 3
	s_mul_i32 s20, s33, 12
	s_add_u32 s2, s2, s0
	s_addc_u32 s3, s1, 0
	s_add_u32 s2, s2, 0xc4
	s_addc_u32 s3, s3, 0
	;; [unrolled: 2-line block ×3, first 2 shown]
	.p2align	6
.LBB167_110:                            ; =>This Inner Loop Header: Depth=1
	s_clause 0x1
	s_load_b64 s[36:37], s[20:21], 0x4
	s_load_b32 s33, s[20:21], 0xc
	s_load_b64 s[38:39], s[2:3], 0x0
	s_add_u32 s20, s20, 12
	s_addc_u32 s21, s21, 0
	s_add_u32 s2, s2, 8
	s_addc_u32 s3, s3, 0
	s_add_i32 s34, s34, -1
	s_delay_alu instid0(SALU_CYCLE_1) | instskip(SKIP_2) | instid1(VALU_DEP_1)
	s_cmp_lg_u32 s34, 0
	s_waitcnt lgkmcnt(0)
	v_mul_hi_u32 v2, s37, v1
	v_add_nc_u32_e32 v2, v1, v2
	s_delay_alu instid0(VALU_DEP_1) | instskip(NEXT) | instid1(VALU_DEP_1)
	v_lshrrev_b32_e32 v5, s33, v2
	v_mul_lo_u32 v2, v5, s36
	s_delay_alu instid0(VALU_DEP_1) | instskip(NEXT) | instid1(VALU_DEP_1)
	v_sub_nc_u32_e32 v1, v1, v2
	v_mad_u64_u32 v[2:3], null, v1, s38, v[8:9]
	v_mad_u64_u32 v[3:4], null, v1, s39, v[0:1]
	s_delay_alu instid0(VALU_DEP_2) | instskip(NEXT) | instid1(VALU_DEP_2)
	v_dual_mov_b32 v1, v5 :: v_dual_mov_b32 v8, v2
	v_mov_b32_e32 v0, v3
	s_cbranch_scc1 .LBB167_110
.LBB167_111:
	s_and_not1_b32 vcc_lo, exec_lo, s31
	s_cbranch_vccnz .LBB167_114
; %bb.112:
	s_waitcnt lgkmcnt(0)
	v_mul_hi_u32 v0, s13, v18
	s_and_not1_b32 vcc_lo, exec_lo, s26
	s_delay_alu instid0(VALU_DEP_1) | instskip(NEXT) | instid1(VALU_DEP_1)
	v_add_nc_u32_e32 v0, v18, v0
	v_lshrrev_b32_e32 v1, s14, v0
	s_delay_alu instid0(VALU_DEP_1) | instskip(NEXT) | instid1(VALU_DEP_1)
	v_mul_lo_u32 v0, v1, s12
	v_sub_nc_u32_e32 v0, v18, v0
	s_delay_alu instid0(VALU_DEP_1)
	v_mul_lo_u32 v8, v0, s8
	v_mul_lo_u32 v0, v0, s9
	s_cbranch_vccnz .LBB167_114
; %bb.113:
	v_mul_hi_u32 v2, s16, v1
	s_delay_alu instid0(VALU_DEP_1) | instskip(NEXT) | instid1(VALU_DEP_1)
	v_add_nc_u32_e32 v2, v1, v2
	v_lshrrev_b32_e32 v2, s17, v2
	s_delay_alu instid0(VALU_DEP_1) | instskip(NEXT) | instid1(VALU_DEP_1)
	v_mul_lo_u32 v2, v2, s15
	v_sub_nc_u32_e32 v4, v1, v2
	s_delay_alu instid0(VALU_DEP_1) | instskip(NEXT) | instid1(VALU_DEP_1)
	v_mad_u64_u32 v[1:2], null, v4, s10, v[8:9]
	v_mad_u64_u32 v[2:3], null, v4, s11, v[0:1]
	v_mov_b32_e32 v8, v1
	s_delay_alu instid0(VALU_DEP_2)
	v_mov_b32_e32 v0, v2
.LBB167_114:
	s_waitcnt lgkmcnt(0)
	global_load_b128 v[0:3], v0, s[6:7]
	v_mov_b32_e32 v9, 0
	v_mov_b32_e32 v10, 0
	s_waitcnt vmcnt(0)
	v_cmp_neq_f64_e32 vcc_lo, 0, v[0:1]
	v_cmp_neq_f64_e64 s2, 0, v[2:3]
	s_delay_alu instid0(VALU_DEP_1) | instskip(NEXT) | instid1(SALU_CYCLE_1)
	s_or_b32 s2, vcc_lo, s2
	s_and_saveexec_b32 s20, s2
	s_cbranch_execz .LBB167_318
; %bb.115:
	s_mov_b32 s2, 0
	s_mov_b32 s3, 0x7ff00000
	v_mov_b32_e32 v9, s2
	v_mov_b32_e32 v10, s3
	s_mov_b32 s21, exec_lo
	v_cmpx_neq_f64_e64 0x7ff00000, |v[2:3]|
	s_cbranch_execz .LBB167_317
; %bb.116:
	s_mov_b32 s2, exec_lo
	v_cmpx_o_f64_e32 v[0:1], v[0:1]
	s_xor_b32 s31, exec_lo, s2
	s_cbranch_execz .LBB167_314
; %bb.117:
	s_mov_b32 s3, exec_lo
	v_cmpx_neq_f64_e64 0x7ff00000, |v[0:1]|
	s_xor_b32 s33, exec_lo, s3
	s_cbranch_execz .LBB167_307
; %bb.118:
	v_max_f64 v[4:5], |v[2:3]|, |v[2:3]|
	v_max_f64 v[6:7], |v[0:1]|, |v[0:1]|
	s_mov_b32 s2, 0x99fcef32
	s_mov_b32 s3, 0x7fda8279
                                        ; implicit-def: $sgpr34
	s_delay_alu instid0(VALU_DEP_1) | instskip(NEXT) | instid1(VALU_DEP_1)
	v_max_f64 v[4:5], v[6:7], v[4:5]
	v_cmp_nle_f64_e64 s2, s[2:3], v[4:5]
	s_delay_alu instid0(VALU_DEP_1) | instskip(NEXT) | instid1(SALU_CYCLE_1)
	s_and_saveexec_b32 s3, s2
	s_xor_b32 s3, exec_lo, s3
	s_cbranch_execz .LBB167_122
; %bb.119:
	v_cmp_ge_f64_e64 s34, 0x200000, |v[0:1]|
	v_cmp_ge_f64_e64 s35, 0x200000, |v[2:3]|
	s_delay_alu instid0(VALU_DEP_1)
	s_and_b32 s36, s34, s35
	s_mov_b32 s34, 0
	s_and_saveexec_b32 s35, s36
; %bb.120:
	v_mul_f64 v[0:1], v[0:1], 4.0
	v_mul_f64 v[2:3], v[2:3], 4.0
	s_mov_b32 s34, exec_lo
; %bb.121:
	s_or_b32 exec_lo, exec_lo, s35
	s_delay_alu instid0(SALU_CYCLE_1)
	s_and_b32 s34, s34, exec_lo
.LBB167_122:
	s_and_not1_saveexec_b32 s3, s3
; %bb.123:
	s_delay_alu instid0(VALU_DEP_2) | instskip(NEXT) | instid1(VALU_DEP_2)
	v_ldexp_f64 v[0:1], v[0:1], -2
	v_ldexp_f64 v[2:3], v[2:3], -2
	s_and_not1_b32 s34, s34, exec_lo
; %bb.124:
	s_or_b32 exec_lo, exec_lo, s3
	s_delay_alu instid0(VALU_DEP_1) | instskip(NEXT) | instid1(VALU_DEP_3)
	v_max_f64 v[4:5], |v[2:3]|, |v[2:3]|
	v_max_f64 v[6:7], |v[0:1]|, |v[0:1]|
	v_cmp_class_f64_e64 s35, v[0:1], 0x204
	v_cmp_class_f64_e64 s36, v[2:3], 0x204
	v_cmp_le_f64_e64 s3, 0, v[0:1]
	s_delay_alu instid0(VALU_DEP_4) | instskip(NEXT) | instid1(VALU_DEP_3)
	v_max_f64 v[4:5], v[6:7], v[4:5]
	s_or_b32 s35, s36, s35
	s_delay_alu instid0(VALU_DEP_1) | instskip(NEXT) | instid1(VALU_DEP_1)
	v_frexp_exp_i32_f64_e32 v13, v[4:5]
	v_sub_nc_u32_e32 v6, 0, v13
	s_delay_alu instid0(VALU_DEP_1) | instskip(SKIP_1) | instid1(VALU_DEP_2)
	v_ldexp_f64 v[4:5], |v[2:3]|, v6
	v_ldexp_f64 v[6:7], |v[0:1]|, v6
	v_mul_f64 v[4:5], v[4:5], v[4:5]
	s_delay_alu instid0(VALU_DEP_1) | instskip(NEXT) | instid1(VALU_DEP_1)
	v_fma_f64 v[4:5], v[6:7], v[6:7], v[4:5]
	v_rsq_f64_e32 v[6:7], v[4:5]
	v_cmp_eq_f64_e32 vcc_lo, 0, v[4:5]
	s_waitcnt_depctr 0xfff
	v_mul_f64 v[9:10], v[4:5], v[6:7]
	v_mul_f64 v[6:7], v[6:7], 0.5
	s_delay_alu instid0(VALU_DEP_1) | instskip(NEXT) | instid1(VALU_DEP_1)
	v_fma_f64 v[11:12], -v[6:7], v[9:10], 0.5
	v_fma_f64 v[9:10], v[9:10], v[11:12], v[9:10]
	v_fma_f64 v[6:7], v[6:7], v[11:12], v[6:7]
	s_delay_alu instid0(VALU_DEP_2) | instskip(NEXT) | instid1(VALU_DEP_1)
	v_fma_f64 v[11:12], -v[9:10], v[9:10], v[4:5]
	v_fma_f64 v[6:7], v[11:12], v[6:7], v[9:10]
	s_delay_alu instid0(VALU_DEP_1) | instskip(SKIP_1) | instid1(VALU_DEP_2)
	v_dual_cndmask_b32 v5, v7, v5 :: v_dual_cndmask_b32 v4, v6, v4
	v_cmp_o_f64_e32 vcc_lo, v[2:3], v[2:3]
	v_ldexp_f64 v[4:5], v[4:5], v13
	s_delay_alu instid0(VALU_DEP_1) | instskip(NEXT) | instid1(VALU_DEP_2)
	v_cndmask_b32_e32 v4, 0, v4, vcc_lo
	v_cndmask_b32_e32 v5, 0x7ff80000, v5, vcc_lo
	s_delay_alu instid0(VALU_DEP_2) | instskip(NEXT) | instid1(VALU_DEP_2)
	v_cndmask_b32_e64 v4, v4, 0, s35
	v_cndmask_b32_e64 v5, v5, 0x7ff00000, s35
	s_and_saveexec_b32 s35, s3
	s_delay_alu instid0(SALU_CYCLE_1)
	s_xor_b32 s3, exec_lo, s35
	s_cbranch_execz .LBB167_302
; %bb.125:
	s_delay_alu instid0(VALU_DEP_1) | instskip(NEXT) | instid1(VALU_DEP_1)
	v_add_f64 v[0:1], v[0:1], v[4:5]
	v_mul_f64 v[0:1], v[0:1], 0.5
	s_delay_alu instid0(VALU_DEP_1) | instskip(SKIP_1) | instid1(VALU_DEP_1)
	v_cmp_gt_f64_e32 vcc_lo, 0x10000000, v[0:1]
	v_cndmask_b32_e64 v4, 0, 1, vcc_lo
	v_lshlrev_b32_e32 v4, 8, v4
	s_delay_alu instid0(VALU_DEP_1) | instskip(NEXT) | instid1(VALU_DEP_1)
	v_ldexp_f64 v[0:1], v[0:1], v4
	v_rsq_f64_e32 v[4:5], v[0:1]
	s_waitcnt_depctr 0xfff
	v_mul_f64 v[6:7], v[0:1], v[4:5]
	v_mul_f64 v[4:5], v[4:5], 0.5
	s_delay_alu instid0(VALU_DEP_1) | instskip(NEXT) | instid1(VALU_DEP_1)
	v_fma_f64 v[9:10], -v[4:5], v[6:7], 0.5
	v_fma_f64 v[6:7], v[6:7], v[9:10], v[6:7]
	v_fma_f64 v[4:5], v[4:5], v[9:10], v[4:5]
	s_delay_alu instid0(VALU_DEP_2) | instskip(NEXT) | instid1(VALU_DEP_1)
	v_fma_f64 v[9:10], -v[6:7], v[6:7], v[0:1]
	v_fma_f64 v[6:7], v[9:10], v[4:5], v[6:7]
	s_delay_alu instid0(VALU_DEP_1) | instskip(NEXT) | instid1(VALU_DEP_1)
	v_fma_f64 v[9:10], -v[6:7], v[6:7], v[0:1]
	v_fma_f64 v[4:5], v[9:10], v[4:5], v[6:7]
	v_cndmask_b32_e64 v6, 0, 0xffffff80, vcc_lo
	v_cmp_class_f64_e64 vcc_lo, v[0:1], 0x260
	s_delay_alu instid0(VALU_DEP_2) | instskip(NEXT) | instid1(VALU_DEP_1)
	v_ldexp_f64 v[4:5], v[4:5], v6
	v_dual_cndmask_b32 v1, v5, v1 :: v_dual_cndmask_b32 v0, v4, v0
	s_delay_alu instid0(VALU_DEP_1) | instskip(NEXT) | instid1(VALU_DEP_1)
	v_add_f64 v[4:5], v[0:1], v[0:1]
	v_div_scale_f64 v[6:7], null, v[4:5], v[4:5], v[2:3]
	s_delay_alu instid0(VALU_DEP_1) | instskip(SKIP_2) | instid1(VALU_DEP_1)
	v_rcp_f64_e32 v[9:10], v[6:7]
	s_waitcnt_depctr 0xfff
	v_fma_f64 v[11:12], -v[6:7], v[9:10], 1.0
	v_fma_f64 v[9:10], v[9:10], v[11:12], v[9:10]
	s_delay_alu instid0(VALU_DEP_1) | instskip(NEXT) | instid1(VALU_DEP_1)
	v_fma_f64 v[11:12], -v[6:7], v[9:10], 1.0
	v_fma_f64 v[9:10], v[9:10], v[11:12], v[9:10]
	v_div_scale_f64 v[11:12], vcc_lo, v[2:3], v[4:5], v[2:3]
	s_delay_alu instid0(VALU_DEP_1) | instskip(NEXT) | instid1(VALU_DEP_1)
	v_mul_f64 v[13:14], v[11:12], v[9:10]
	v_fma_f64 v[6:7], -v[6:7], v[13:14], v[11:12]
	s_delay_alu instid0(VALU_DEP_1) | instskip(NEXT) | instid1(VALU_DEP_1)
	v_div_fmas_f64 v[6:7], v[6:7], v[9:10], v[13:14]
	v_div_fixup_f64 v[2:3], v[6:7], v[4:5], v[2:3]
                                        ; implicit-def: $vgpr4_vgpr5
	s_and_not1_saveexec_b32 s3, s3
	s_cbranch_execnz .LBB167_303
.LBB167_126:
	s_or_b32 exec_lo, exec_lo, s3
	s_and_saveexec_b32 s3, s2
	s_delay_alu instid0(SALU_CYCLE_1)
	s_xor_b32 s2, exec_lo, s3
	s_cbranch_execz .LBB167_304
.LBB167_127:
	s_and_saveexec_b32 s3, s34
; %bb.128:
	s_delay_alu instid0(VALU_DEP_2) | instskip(NEXT) | instid1(VALU_DEP_2)
	v_mul_f64 v[0:1], v[0:1], 0.5
	v_mul_f64 v[2:3], v[2:3], 0.5
; %bb.129:
	s_or_b32 exec_lo, exec_lo, s3
	s_and_not1_saveexec_b32 s2, s2
	s_cbranch_execnz .LBB167_305
	s_branch .LBB167_306
.LBB167_130:
	s_and_not1_saveexec_b32 s1, s1
	s_cbranch_execz .LBB167_80
.LBB167_131:
	v_add_f64 v[0:1], v[0:1], -v[2:3]
	s_delay_alu instid0(VALU_DEP_1) | instskip(NEXT) | instid1(VALU_DEP_1)
	v_mul_f64 v[0:1], v[0:1], 0.5
	v_cmp_gt_f64_e32 vcc_lo, 0x10000000, v[0:1]
	v_cndmask_b32_e64 v2, 0, 1, vcc_lo
	s_delay_alu instid0(VALU_DEP_1) | instskip(NEXT) | instid1(VALU_DEP_1)
	v_lshlrev_b32_e32 v2, 8, v2
	v_ldexp_f64 v[0:1], v[0:1], v2
	s_delay_alu instid0(VALU_DEP_1) | instskip(SKIP_3) | instid1(VALU_DEP_1)
	v_rsq_f64_e32 v[2:3], v[0:1]
	s_waitcnt_depctr 0xfff
	v_mul_f64 v[7:8], v[0:1], v[2:3]
	v_mul_f64 v[2:3], v[2:3], 0.5
	v_fma_f64 v[11:12], -v[2:3], v[7:8], 0.5
	s_delay_alu instid0(VALU_DEP_1) | instskip(SKIP_1) | instid1(VALU_DEP_2)
	v_fma_f64 v[7:8], v[7:8], v[11:12], v[7:8]
	v_fma_f64 v[2:3], v[2:3], v[11:12], v[2:3]
	v_fma_f64 v[11:12], -v[7:8], v[7:8], v[0:1]
	s_delay_alu instid0(VALU_DEP_1) | instskip(NEXT) | instid1(VALU_DEP_1)
	v_fma_f64 v[7:8], v[11:12], v[2:3], v[7:8]
	v_fma_f64 v[11:12], -v[7:8], v[7:8], v[0:1]
	s_delay_alu instid0(VALU_DEP_1) | instskip(SKIP_2) | instid1(VALU_DEP_2)
	v_fma_f64 v[2:3], v[11:12], v[2:3], v[7:8]
	v_cndmask_b32_e64 v7, 0, 0xffffff80, vcc_lo
	v_cmp_class_f64_e64 vcc_lo, v[0:1], 0x260
	v_ldexp_f64 v[2:3], v[2:3], v7
	v_mov_b32_e32 v7, v4
	s_delay_alu instid0(VALU_DEP_2) | instskip(NEXT) | instid1(VALU_DEP_1)
	v_dual_cndmask_b32 v1, v3, v1 :: v_dual_cndmask_b32 v0, v2, v0
	v_add_f64 v[2:3], v[0:1], v[0:1]
	v_bfi_b32 v1, 0x7fffffff, v1, v5
	v_and_b32_e32 v8, 0x7fffffff, v5
	s_delay_alu instid0(VALU_DEP_1) | instskip(SKIP_1) | instid1(VALU_DEP_2)
	v_div_scale_f64 v[11:12], null, v[2:3], v[2:3], v[7:8]
	v_div_scale_f64 v[7:8], vcc_lo, v[7:8], v[2:3], v[7:8]
	v_rcp_f64_e32 v[20:21], v[11:12]
	s_waitcnt_depctr 0xfff
	v_fma_f64 v[22:23], -v[11:12], v[20:21], 1.0
	s_delay_alu instid0(VALU_DEP_1) | instskip(NEXT) | instid1(VALU_DEP_1)
	v_fma_f64 v[20:21], v[20:21], v[22:23], v[20:21]
	v_fma_f64 v[22:23], -v[11:12], v[20:21], 1.0
	s_delay_alu instid0(VALU_DEP_1) | instskip(NEXT) | instid1(VALU_DEP_1)
	v_fma_f64 v[20:21], v[20:21], v[22:23], v[20:21]
	v_mul_f64 v[22:23], v[7:8], v[20:21]
	s_delay_alu instid0(VALU_DEP_1) | instskip(NEXT) | instid1(VALU_DEP_1)
	v_fma_f64 v[7:8], -v[11:12], v[22:23], v[7:8]
	v_div_fmas_f64 v[7:8], v[7:8], v[20:21], v[22:23]
	s_delay_alu instid0(VALU_DEP_1) | instskip(SKIP_3) | instid1(SALU_CYCLE_1)
	v_div_fixup_f64 v[2:3], v[7:8], v[2:3], |v[4:5]|
	v_dual_mov_b32 v5, v1 :: v_dual_mov_b32 v4, v0
	s_or_b32 exec_lo, exec_lo, s1
	s_and_saveexec_b32 s1, s0
	s_xor_b32 s0, exec_lo, s1
	s_cbranch_execnz .LBB167_81
.LBB167_132:
	s_and_not1_saveexec_b32 s0, s0
.LBB167_133:
	s_delay_alu instid0(VALU_DEP_2) | instskip(NEXT) | instid1(VALU_DEP_2)
	v_add_f64 v[2:3], v[2:3], v[2:3]
	v_add_f64 v[4:5], v[4:5], v[4:5]
.LBB167_134:
	s_or_b32 exec_lo, exec_lo, s0
.LBB167_135:
	s_and_not1_saveexec_b32 s0, s11
	s_cbranch_execz .LBB167_141
; %bb.136:
	s_delay_alu instid0(VALU_DEP_1) | instskip(SKIP_1) | instid1(VALU_DEP_3)
	v_add_f64 v[0:1], v[4:5], -v[4:5]
	s_mov_b32 s1, exec_lo
	v_cmpx_lt_i64_e32 -1, v[2:3]
	s_xor_b32 s1, exec_lo, s1
; %bb.137:
	s_delay_alu instid0(VALU_DEP_2) | instskip(NEXT) | instid1(VALU_DEP_1)
	v_bfi_b32 v1, 0x7fffffff, v1, v5
	v_dual_mov_b32 v5, v1 :: v_dual_mov_b32 v4, v0
                                        ; implicit-def: $vgpr0_vgpr1
; %bb.138:
	s_and_not1_saveexec_b32 s1, s1
; %bb.139:
	s_delay_alu instid0(VALU_DEP_1) | instskip(SKIP_1) | instid1(VALU_DEP_2)
	v_bfi_b32 v3, 0x7fffffff, v3, v5
	v_and_b32_e32 v1, 0x7fffffff, v1
	v_dual_mov_b32 v5, v3 :: v_dual_mov_b32 v4, v2
	s_delay_alu instid0(VALU_DEP_2)
	v_dual_mov_b32 v3, v1 :: v_dual_mov_b32 v2, v0
; %bb.140:
	s_or_b32 exec_lo, exec_lo, s1
.LBB167_141:
	s_delay_alu instid0(SALU_CYCLE_1)
	s_or_b32 exec_lo, exec_lo, s0
.LBB167_142:
	s_and_not1_saveexec_b32 s0, s10
; %bb.143:
	s_delay_alu instid0(VALU_DEP_1) | instskip(NEXT) | instid1(VALU_DEP_1)
	v_add_f64 v[0:1], v[4:5], -v[4:5]
	v_div_scale_f64 v[4:5], vcc_lo, v[0:1], v[0:1], v[0:1]
	s_delay_alu instid0(VALU_DEP_1) | instskip(SKIP_2) | instid1(VALU_DEP_1)
	v_rcp_f64_e32 v[7:8], v[4:5]
	s_waitcnt_depctr 0xfff
	v_fma_f64 v[11:12], -v[4:5], v[7:8], 1.0
	v_fma_f64 v[7:8], v[7:8], v[11:12], v[7:8]
	s_delay_alu instid0(VALU_DEP_1) | instskip(NEXT) | instid1(VALU_DEP_1)
	v_fma_f64 v[11:12], -v[4:5], v[7:8], 1.0
	v_fma_f64 v[7:8], v[7:8], v[11:12], v[7:8]
	s_delay_alu instid0(VALU_DEP_1) | instskip(NEXT) | instid1(VALU_DEP_1)
	v_mul_f64 v[11:12], v[4:5], v[7:8]
	v_fma_f64 v[4:5], -v[4:5], v[11:12], v[4:5]
	s_delay_alu instid0(VALU_DEP_1) | instskip(NEXT) | instid1(VALU_DEP_1)
	v_div_fmas_f64 v[4:5], v[4:5], v[7:8], v[11:12]
	v_div_fixup_f64 v[4:5], v[4:5], v[0:1], v[0:1]
; %bb.144:
	s_or_b32 exec_lo, exec_lo, s0
	v_dual_mov_b32 v8, v3 :: v_dual_mov_b32 v7, v2
.LBB167_145:
	s_or_b32 exec_lo, exec_lo, s3
.LBB167_146:
	s_delay_alu instid0(SALU_CYCLE_1) | instskip(NEXT) | instid1(VALU_DEP_1)
	s_or_b32 exec_lo, exec_lo, s2
	v_cmp_gt_f64_e32 vcc_lo, 0, v[7:8]
	s_delay_alu instid0(VALU_DEP_3) | instskip(SKIP_2) | instid1(VALU_DEP_2)
	v_cmp_gt_f64_e64 s0, 0, v[4:5]
	v_xor_b32_e32 v0, 0x80000000, v8
	v_xor_b32_e32 v1, 0x80000000, v5
                                        ; implicit-def: $vgpr2_vgpr3
	v_dual_cndmask_b32 v12, v8, v0 :: v_dual_cndmask_b32 v11, v7, v7
	s_delay_alu instid0(VALU_DEP_2) | instskip(SKIP_2) | instid1(VALU_DEP_1)
	v_cndmask_b32_e64 v21, v5, v1, s0
	v_cndmask_b32_e64 v20, v4, v4, s0
	s_mov_b32 s0, exec_lo
	v_cmpx_ge_f64_e32 v[11:12], v[20:21]
	s_xor_b32 s1, exec_lo, s0
	s_cbranch_execz .LBB167_152
; %bb.147:
	v_cmp_neq_f64_e32 vcc_lo, 0, v[7:8]
	v_cmp_neq_f64_e64 s0, 0, v[4:5]
                                        ; implicit-def: $vgpr2_vgpr3
	s_delay_alu instid0(VALU_DEP_1) | instskip(NEXT) | instid1(SALU_CYCLE_1)
	s_or_b32 s0, vcc_lo, s0
	s_and_saveexec_b32 s2, s0
	s_delay_alu instid0(SALU_CYCLE_1)
	s_xor_b32 s0, exec_lo, s2
	s_cbranch_execz .LBB167_149
; %bb.148:
	v_div_scale_f64 v[0:1], null, v[7:8], v[7:8], v[4:5]
	v_div_scale_f64 v[20:21], vcc_lo, v[4:5], v[7:8], v[4:5]
	s_delay_alu instid0(VALU_DEP_2) | instskip(SKIP_2) | instid1(VALU_DEP_1)
	v_rcp_f64_e32 v[2:3], v[0:1]
	s_waitcnt_depctr 0xfff
	v_fma_f64 v[11:12], -v[0:1], v[2:3], 1.0
	v_fma_f64 v[2:3], v[2:3], v[11:12], v[2:3]
	s_delay_alu instid0(VALU_DEP_1) | instskip(NEXT) | instid1(VALU_DEP_1)
	v_fma_f64 v[11:12], -v[0:1], v[2:3], 1.0
	v_fma_f64 v[2:3], v[2:3], v[11:12], v[2:3]
	s_delay_alu instid0(VALU_DEP_1) | instskip(NEXT) | instid1(VALU_DEP_1)
	v_mul_f64 v[11:12], v[20:21], v[2:3]
	v_fma_f64 v[0:1], -v[0:1], v[11:12], v[20:21]
	s_delay_alu instid0(VALU_DEP_1) | instskip(NEXT) | instid1(VALU_DEP_1)
	v_div_fmas_f64 v[0:1], v[0:1], v[2:3], v[11:12]
	v_div_fixup_f64 v[0:1], v[0:1], v[7:8], v[4:5]
	s_delay_alu instid0(VALU_DEP_1) | instskip(NEXT) | instid1(VALU_DEP_1)
	v_fma_f64 v[2:3], v[4:5], v[0:1], v[7:8]
	v_div_scale_f64 v[4:5], null, v[2:3], v[2:3], 1.0
	v_div_scale_f64 v[20:21], vcc_lo, 1.0, v[2:3], 1.0
	s_delay_alu instid0(VALU_DEP_2) | instskip(SKIP_2) | instid1(VALU_DEP_1)
	v_rcp_f64_e32 v[7:8], v[4:5]
	s_waitcnt_depctr 0xfff
	v_fma_f64 v[11:12], -v[4:5], v[7:8], 1.0
	v_fma_f64 v[7:8], v[7:8], v[11:12], v[7:8]
	s_delay_alu instid0(VALU_DEP_1) | instskip(NEXT) | instid1(VALU_DEP_1)
	v_fma_f64 v[11:12], -v[4:5], v[7:8], 1.0
	v_fma_f64 v[7:8], v[7:8], v[11:12], v[7:8]
	s_delay_alu instid0(VALU_DEP_1) | instskip(NEXT) | instid1(VALU_DEP_1)
	v_mul_f64 v[11:12], v[20:21], v[7:8]
	v_fma_f64 v[4:5], -v[4:5], v[11:12], v[20:21]
                                        ; implicit-def: $vgpr20_vgpr21
	s_delay_alu instid0(VALU_DEP_1) | instskip(SKIP_1) | instid1(VALU_DEP_2)
	v_div_fmas_f64 v[4:5], v[4:5], v[7:8], v[11:12]
	v_fma_f64 v[7:8], v[0:1], 0, 1.0
                                        ; implicit-def: $vgpr11_vgpr12
	v_div_fixup_f64 v[2:3], v[4:5], v[2:3], 1.0
	v_add_f64 v[4:5], -v[0:1], 0
	s_delay_alu instid0(VALU_DEP_2) | instskip(NEXT) | instid1(VALU_DEP_2)
	v_mul_f64 v[0:1], v[7:8], v[2:3]
	v_mul_f64 v[2:3], v[4:5], v[2:3]
.LBB167_149:
	s_and_not1_saveexec_b32 s2, s0
	s_cbranch_execz .LBB167_151
; %bb.150:
	v_div_scale_f64 v[0:1], null, v[11:12], v[11:12], 1.0
	v_div_scale_f64 v[2:3], null, v[20:21], v[20:21], 0
	v_div_scale_f64 v[26:27], vcc_lo, 1.0, v[11:12], 1.0
	s_delay_alu instid0(VALU_DEP_3) | instskip(NEXT) | instid1(VALU_DEP_2)
	v_rcp_f64_e32 v[4:5], v[0:1]
	v_rcp_f64_e32 v[7:8], v[2:3]
	s_waitcnt_depctr 0xfff
	v_fma_f64 v[22:23], -v[0:1], v[4:5], 1.0
	v_fma_f64 v[24:25], -v[2:3], v[7:8], 1.0
	s_delay_alu instid0(VALU_DEP_2) | instskip(NEXT) | instid1(VALU_DEP_2)
	v_fma_f64 v[4:5], v[4:5], v[22:23], v[4:5]
	v_fma_f64 v[7:8], v[7:8], v[24:25], v[7:8]
	s_delay_alu instid0(VALU_DEP_2) | instskip(NEXT) | instid1(VALU_DEP_2)
	v_fma_f64 v[22:23], -v[0:1], v[4:5], 1.0
	v_fma_f64 v[24:25], -v[2:3], v[7:8], 1.0
	s_delay_alu instid0(VALU_DEP_2) | instskip(SKIP_1) | instid1(VALU_DEP_3)
	v_fma_f64 v[4:5], v[4:5], v[22:23], v[4:5]
	v_div_scale_f64 v[22:23], s0, 0, v[20:21], 0
	v_fma_f64 v[7:8], v[7:8], v[24:25], v[7:8]
	s_delay_alu instid0(VALU_DEP_3) | instskip(NEXT) | instid1(VALU_DEP_2)
	v_mul_f64 v[24:25], v[26:27], v[4:5]
	v_mul_f64 v[28:29], v[22:23], v[7:8]
	s_delay_alu instid0(VALU_DEP_2) | instskip(NEXT) | instid1(VALU_DEP_2)
	v_fma_f64 v[0:1], -v[0:1], v[24:25], v[26:27]
	v_fma_f64 v[2:3], -v[2:3], v[28:29], v[22:23]
	s_delay_alu instid0(VALU_DEP_2) | instskip(SKIP_1) | instid1(VALU_DEP_2)
	v_div_fmas_f64 v[0:1], v[0:1], v[4:5], v[24:25]
	s_mov_b32 vcc_lo, s0
	v_div_fmas_f64 v[2:3], v[2:3], v[7:8], v[28:29]
	s_delay_alu instid0(VALU_DEP_2) | instskip(NEXT) | instid1(VALU_DEP_2)
	v_div_fixup_f64 v[0:1], v[0:1], v[11:12], 1.0
	v_div_fixup_f64 v[2:3], v[2:3], v[20:21], 0
.LBB167_151:
	s_or_b32 exec_lo, exec_lo, s2
                                        ; implicit-def: $vgpr4_vgpr5
                                        ; implicit-def: $vgpr7_vgpr8
.LBB167_152:
	s_and_not1_saveexec_b32 s0, s1
	s_cbranch_execz .LBB167_154
; %bb.153:
	v_div_scale_f64 v[0:1], null, v[4:5], v[4:5], v[7:8]
	v_div_scale_f64 v[20:21], vcc_lo, v[7:8], v[4:5], v[7:8]
	s_delay_alu instid0(VALU_DEP_2) | instskip(SKIP_2) | instid1(VALU_DEP_1)
	v_rcp_f64_e32 v[2:3], v[0:1]
	s_waitcnt_depctr 0xfff
	v_fma_f64 v[11:12], -v[0:1], v[2:3], 1.0
	v_fma_f64 v[2:3], v[2:3], v[11:12], v[2:3]
	s_delay_alu instid0(VALU_DEP_1) | instskip(NEXT) | instid1(VALU_DEP_1)
	v_fma_f64 v[11:12], -v[0:1], v[2:3], 1.0
	v_fma_f64 v[2:3], v[2:3], v[11:12], v[2:3]
	s_delay_alu instid0(VALU_DEP_1) | instskip(NEXT) | instid1(VALU_DEP_1)
	v_mul_f64 v[11:12], v[20:21], v[2:3]
	v_fma_f64 v[0:1], -v[0:1], v[11:12], v[20:21]
	s_delay_alu instid0(VALU_DEP_1) | instskip(NEXT) | instid1(VALU_DEP_1)
	v_div_fmas_f64 v[0:1], v[0:1], v[2:3], v[11:12]
	v_div_fixup_f64 v[0:1], v[0:1], v[4:5], v[7:8]
	s_delay_alu instid0(VALU_DEP_1) | instskip(NEXT) | instid1(VALU_DEP_1)
	v_fma_f64 v[2:3], v[7:8], v[0:1], v[4:5]
	v_div_scale_f64 v[4:5], null, v[2:3], v[2:3], 1.0
	v_div_scale_f64 v[20:21], vcc_lo, 1.0, v[2:3], 1.0
	s_delay_alu instid0(VALU_DEP_2) | instskip(SKIP_2) | instid1(VALU_DEP_1)
	v_rcp_f64_e32 v[7:8], v[4:5]
	s_waitcnt_depctr 0xfff
	v_fma_f64 v[11:12], -v[4:5], v[7:8], 1.0
	v_fma_f64 v[7:8], v[7:8], v[11:12], v[7:8]
	s_delay_alu instid0(VALU_DEP_1) | instskip(NEXT) | instid1(VALU_DEP_1)
	v_fma_f64 v[11:12], -v[4:5], v[7:8], 1.0
	v_fma_f64 v[7:8], v[7:8], v[11:12], v[7:8]
	s_delay_alu instid0(VALU_DEP_1) | instskip(NEXT) | instid1(VALU_DEP_1)
	v_mul_f64 v[11:12], v[20:21], v[7:8]
	v_fma_f64 v[4:5], -v[4:5], v[11:12], v[20:21]
	s_delay_alu instid0(VALU_DEP_1) | instskip(SKIP_1) | instid1(VALU_DEP_2)
	v_div_fmas_f64 v[4:5], v[4:5], v[7:8], v[11:12]
	v_add_f64 v[7:8], v[0:1], 0
	v_div_fixup_f64 v[2:3], v[4:5], v[2:3], 1.0
	v_fma_f64 v[4:5], v[0:1], 0, -1.0
	s_delay_alu instid0(VALU_DEP_2) | instskip(NEXT) | instid1(VALU_DEP_2)
	v_mul_f64 v[0:1], v[7:8], v[2:3]
	v_mul_f64 v[2:3], v[4:5], v[2:3]
.LBB167_154:
	s_or_b32 exec_lo, exec_lo, s0
	global_load_b128 v[6:9], v6, s[6:7]
	v_mov_b32_e32 v11, 0
	v_mov_b32_e32 v12, 0
	s_waitcnt vmcnt(0)
	v_cmp_neq_f64_e32 vcc_lo, 0, v[6:7]
	v_cmp_neq_f64_e64 s0, 0, v[8:9]
	s_delay_alu instid0(VALU_DEP_1) | instskip(NEXT) | instid1(SALU_CYCLE_1)
	s_or_b32 s0, vcc_lo, s0
	s_and_saveexec_b32 s2, s0
	s_cbranch_execz .LBB167_186
; %bb.155:
	s_mov_b32 s0, 0
	s_mov_b32 s1, 0x7ff00000
	v_mov_b32_e32 v11, s0
	v_mov_b32_e32 v12, s1
	s_mov_b32 s3, exec_lo
	v_cmpx_neq_f64_e64 0x7ff00000, |v[8:9]|
	s_cbranch_execz .LBB167_185
; %bb.156:
	s_mov_b32 s0, exec_lo
	v_cmpx_o_f64_e32 v[6:7], v[6:7]
	s_xor_b32 s10, exec_lo, s0
	s_cbranch_execz .LBB167_182
; %bb.157:
	s_mov_b32 s1, exec_lo
	v_cmpx_neq_f64_e64 0x7ff00000, |v[6:7]|
	s_xor_b32 s11, exec_lo, s1
	s_cbranch_execz .LBB167_175
; %bb.158:
	v_max_f64 v[4:5], |v[8:9]|, |v[8:9]|
	v_max_f64 v[11:12], |v[6:7]|, |v[6:7]|
	s_mov_b32 s0, 0x99fcef32
	s_mov_b32 s1, 0x7fda8279
                                        ; implicit-def: $sgpr12
	s_delay_alu instid0(VALU_DEP_1) | instskip(NEXT) | instid1(VALU_DEP_1)
	v_max_f64 v[4:5], v[11:12], v[4:5]
	v_cmp_nle_f64_e64 s0, s[0:1], v[4:5]
	s_delay_alu instid0(VALU_DEP_1) | instskip(NEXT) | instid1(SALU_CYCLE_1)
	s_and_saveexec_b32 s1, s0
	s_xor_b32 s1, exec_lo, s1
	s_cbranch_execz .LBB167_162
; %bb.159:
	v_cmp_ge_f64_e64 s12, 0x200000, |v[6:7]|
	v_cmp_ge_f64_e64 s13, 0x200000, |v[8:9]|
	s_delay_alu instid0(VALU_DEP_1)
	s_and_b32 s14, s12, s13
	s_mov_b32 s12, 0
	s_and_saveexec_b32 s13, s14
; %bb.160:
	v_mul_f64 v[6:7], v[6:7], 4.0
	v_mul_f64 v[8:9], v[8:9], 4.0
	s_mov_b32 s12, exec_lo
; %bb.161:
	s_or_b32 exec_lo, exec_lo, s13
	s_delay_alu instid0(SALU_CYCLE_1)
	s_and_b32 s12, s12, exec_lo
.LBB167_162:
	s_and_not1_saveexec_b32 s1, s1
; %bb.163:
	s_delay_alu instid0(VALU_DEP_2) | instskip(NEXT) | instid1(VALU_DEP_2)
	v_ldexp_f64 v[6:7], v[6:7], -2
	v_ldexp_f64 v[8:9], v[8:9], -2
	s_and_not1_b32 s12, s12, exec_lo
; %bb.164:
	s_or_b32 exec_lo, exec_lo, s1
	s_delay_alu instid0(VALU_DEP_1) | instskip(NEXT) | instid1(VALU_DEP_3)
	v_max_f64 v[4:5], |v[8:9]|, |v[8:9]|
	v_max_f64 v[11:12], |v[6:7]|, |v[6:7]|
	v_cmp_class_f64_e64 s13, v[6:7], 0x204
	v_cmp_class_f64_e64 s14, v[8:9], 0x204
	v_cmp_le_f64_e64 s1, 0, v[6:7]
	s_delay_alu instid0(VALU_DEP_4) | instskip(NEXT) | instid1(VALU_DEP_3)
	v_max_f64 v[4:5], v[11:12], v[4:5]
	s_or_b32 s13, s14, s13
	s_delay_alu instid0(VALU_DEP_1) | instskip(NEXT) | instid1(VALU_DEP_1)
	v_frexp_exp_i32_f64_e32 v13, v[4:5]
	v_sub_nc_u32_e32 v11, 0, v13
	s_delay_alu instid0(VALU_DEP_1) | instskip(SKIP_1) | instid1(VALU_DEP_2)
	v_ldexp_f64 v[4:5], |v[8:9]|, v11
	v_ldexp_f64 v[11:12], |v[6:7]|, v11
	v_mul_f64 v[4:5], v[4:5], v[4:5]
	s_delay_alu instid0(VALU_DEP_1) | instskip(NEXT) | instid1(VALU_DEP_1)
	v_fma_f64 v[4:5], v[11:12], v[11:12], v[4:5]
	v_rsq_f64_e32 v[11:12], v[4:5]
	v_cmp_eq_f64_e32 vcc_lo, 0, v[4:5]
	s_waitcnt_depctr 0xfff
	v_mul_f64 v[20:21], v[4:5], v[11:12]
	v_mul_f64 v[11:12], v[11:12], 0.5
	s_delay_alu instid0(VALU_DEP_1) | instskip(NEXT) | instid1(VALU_DEP_1)
	v_fma_f64 v[22:23], -v[11:12], v[20:21], 0.5
	v_fma_f64 v[20:21], v[20:21], v[22:23], v[20:21]
	v_fma_f64 v[11:12], v[11:12], v[22:23], v[11:12]
	s_delay_alu instid0(VALU_DEP_2) | instskip(NEXT) | instid1(VALU_DEP_1)
	v_fma_f64 v[22:23], -v[20:21], v[20:21], v[4:5]
	v_fma_f64 v[11:12], v[22:23], v[11:12], v[20:21]
	s_delay_alu instid0(VALU_DEP_1) | instskip(SKIP_1) | instid1(VALU_DEP_2)
	v_dual_cndmask_b32 v5, v12, v5 :: v_dual_cndmask_b32 v4, v11, v4
	v_cmp_o_f64_e32 vcc_lo, v[8:9], v[8:9]
	v_ldexp_f64 v[4:5], v[4:5], v13
	s_delay_alu instid0(VALU_DEP_1) | instskip(NEXT) | instid1(VALU_DEP_2)
	v_cndmask_b32_e32 v4, 0, v4, vcc_lo
	v_cndmask_b32_e32 v5, 0x7ff80000, v5, vcc_lo
	s_delay_alu instid0(VALU_DEP_2) | instskip(NEXT) | instid1(VALU_DEP_2)
	v_cndmask_b32_e64 v4, v4, 0, s13
	v_cndmask_b32_e64 v5, v5, 0x7ff00000, s13
	s_and_saveexec_b32 s13, s1
	s_delay_alu instid0(SALU_CYCLE_1)
	s_xor_b32 s1, exec_lo, s13
	s_cbranch_execz .LBB167_170
; %bb.165:
	s_delay_alu instid0(VALU_DEP_1) | instskip(NEXT) | instid1(VALU_DEP_1)
	v_add_f64 v[4:5], v[6:7], v[4:5]
	v_mul_f64 v[4:5], v[4:5], 0.5
	s_delay_alu instid0(VALU_DEP_1) | instskip(SKIP_1) | instid1(VALU_DEP_1)
	v_cmp_gt_f64_e32 vcc_lo, 0x10000000, v[4:5]
	v_cndmask_b32_e64 v6, 0, 1, vcc_lo
	v_lshlrev_b32_e32 v6, 8, v6
	s_delay_alu instid0(VALU_DEP_1) | instskip(NEXT) | instid1(VALU_DEP_1)
	v_ldexp_f64 v[4:5], v[4:5], v6
	v_rsq_f64_e32 v[6:7], v[4:5]
	s_waitcnt_depctr 0xfff
	v_mul_f64 v[11:12], v[4:5], v[6:7]
	v_mul_f64 v[6:7], v[6:7], 0.5
	s_delay_alu instid0(VALU_DEP_1) | instskip(NEXT) | instid1(VALU_DEP_1)
	v_fma_f64 v[20:21], -v[6:7], v[11:12], 0.5
	v_fma_f64 v[11:12], v[11:12], v[20:21], v[11:12]
	v_fma_f64 v[6:7], v[6:7], v[20:21], v[6:7]
	s_delay_alu instid0(VALU_DEP_2) | instskip(NEXT) | instid1(VALU_DEP_1)
	v_fma_f64 v[20:21], -v[11:12], v[11:12], v[4:5]
	v_fma_f64 v[11:12], v[20:21], v[6:7], v[11:12]
	s_delay_alu instid0(VALU_DEP_1) | instskip(NEXT) | instid1(VALU_DEP_1)
	v_fma_f64 v[20:21], -v[11:12], v[11:12], v[4:5]
	v_fma_f64 v[6:7], v[20:21], v[6:7], v[11:12]
	v_cndmask_b32_e64 v11, 0, 0xffffff80, vcc_lo
	v_cmp_class_f64_e64 vcc_lo, v[4:5], 0x260
	s_delay_alu instid0(VALU_DEP_2) | instskip(NEXT) | instid1(VALU_DEP_1)
	v_ldexp_f64 v[6:7], v[6:7], v11
	v_dual_cndmask_b32 v7, v7, v5 :: v_dual_cndmask_b32 v6, v6, v4
	s_delay_alu instid0(VALU_DEP_1) | instskip(NEXT) | instid1(VALU_DEP_1)
	v_add_f64 v[4:5], v[6:7], v[6:7]
	v_div_scale_f64 v[11:12], null, v[4:5], v[4:5], v[8:9]
	s_delay_alu instid0(VALU_DEP_1) | instskip(SKIP_2) | instid1(VALU_DEP_1)
	v_rcp_f64_e32 v[20:21], v[11:12]
	s_waitcnt_depctr 0xfff
	v_fma_f64 v[22:23], -v[11:12], v[20:21], 1.0
	v_fma_f64 v[20:21], v[20:21], v[22:23], v[20:21]
	s_delay_alu instid0(VALU_DEP_1) | instskip(NEXT) | instid1(VALU_DEP_1)
	v_fma_f64 v[22:23], -v[11:12], v[20:21], 1.0
	v_fma_f64 v[20:21], v[20:21], v[22:23], v[20:21]
	v_div_scale_f64 v[22:23], vcc_lo, v[8:9], v[4:5], v[8:9]
	s_delay_alu instid0(VALU_DEP_1) | instskip(NEXT) | instid1(VALU_DEP_1)
	v_mul_f64 v[24:25], v[22:23], v[20:21]
	v_fma_f64 v[11:12], -v[11:12], v[24:25], v[22:23]
	s_delay_alu instid0(VALU_DEP_1) | instskip(NEXT) | instid1(VALU_DEP_1)
	v_div_fmas_f64 v[11:12], v[11:12], v[20:21], v[24:25]
	v_div_fixup_f64 v[8:9], v[11:12], v[4:5], v[8:9]
                                        ; implicit-def: $vgpr4_vgpr5
	s_and_not1_saveexec_b32 s1, s1
	s_cbranch_execnz .LBB167_171
.LBB167_166:
	s_or_b32 exec_lo, exec_lo, s1
	s_and_saveexec_b32 s1, s0
	s_delay_alu instid0(SALU_CYCLE_1)
	s_xor_b32 s0, exec_lo, s1
	s_cbranch_execz .LBB167_172
.LBB167_167:
	s_and_saveexec_b32 s1, s12
; %bb.168:
	s_delay_alu instid0(VALU_DEP_2) | instskip(NEXT) | instid1(VALU_DEP_2)
	v_mul_f64 v[6:7], v[6:7], 0.5
	v_mul_f64 v[8:9], v[8:9], 0.5
; %bb.169:
	s_or_b32 exec_lo, exec_lo, s1
	s_and_not1_saveexec_b32 s0, s0
	s_cbranch_execnz .LBB167_173
	s_branch .LBB167_174
.LBB167_170:
	s_and_not1_saveexec_b32 s1, s1
	s_cbranch_execz .LBB167_166
.LBB167_171:
	v_add_f64 v[4:5], v[4:5], -v[6:7]
	s_delay_alu instid0(VALU_DEP_1) | instskip(NEXT) | instid1(VALU_DEP_1)
	v_mul_f64 v[4:5], v[4:5], 0.5
	v_cmp_gt_f64_e32 vcc_lo, 0x10000000, v[4:5]
	v_cndmask_b32_e64 v6, 0, 1, vcc_lo
	s_delay_alu instid0(VALU_DEP_1) | instskip(NEXT) | instid1(VALU_DEP_1)
	v_lshlrev_b32_e32 v6, 8, v6
	v_ldexp_f64 v[4:5], v[4:5], v6
	s_delay_alu instid0(VALU_DEP_1) | instskip(SKIP_3) | instid1(VALU_DEP_1)
	v_rsq_f64_e32 v[6:7], v[4:5]
	s_waitcnt_depctr 0xfff
	v_mul_f64 v[11:12], v[4:5], v[6:7]
	v_mul_f64 v[6:7], v[6:7], 0.5
	v_fma_f64 v[20:21], -v[6:7], v[11:12], 0.5
	s_delay_alu instid0(VALU_DEP_1) | instskip(SKIP_1) | instid1(VALU_DEP_2)
	v_fma_f64 v[11:12], v[11:12], v[20:21], v[11:12]
	v_fma_f64 v[6:7], v[6:7], v[20:21], v[6:7]
	v_fma_f64 v[20:21], -v[11:12], v[11:12], v[4:5]
	s_delay_alu instid0(VALU_DEP_1) | instskip(NEXT) | instid1(VALU_DEP_1)
	v_fma_f64 v[11:12], v[20:21], v[6:7], v[11:12]
	v_fma_f64 v[20:21], -v[11:12], v[11:12], v[4:5]
	s_delay_alu instid0(VALU_DEP_1) | instskip(SKIP_2) | instid1(VALU_DEP_2)
	v_fma_f64 v[6:7], v[20:21], v[6:7], v[11:12]
	v_cndmask_b32_e64 v11, 0, 0xffffff80, vcc_lo
	v_cmp_class_f64_e64 vcc_lo, v[4:5], 0x260
	v_ldexp_f64 v[6:7], v[6:7], v11
	v_mov_b32_e32 v11, v8
	s_delay_alu instid0(VALU_DEP_2) | instskip(NEXT) | instid1(VALU_DEP_1)
	v_dual_cndmask_b32 v5, v7, v5 :: v_dual_cndmask_b32 v4, v6, v4
	v_add_f64 v[6:7], v[4:5], v[4:5]
	v_bfi_b32 v5, 0x7fffffff, v5, v9
	v_and_b32_e32 v12, 0x7fffffff, v9
	s_delay_alu instid0(VALU_DEP_1) | instskip(SKIP_1) | instid1(VALU_DEP_2)
	v_div_scale_f64 v[20:21], null, v[6:7], v[6:7], v[11:12]
	v_div_scale_f64 v[11:12], vcc_lo, v[11:12], v[6:7], v[11:12]
	v_rcp_f64_e32 v[22:23], v[20:21]
	s_waitcnt_depctr 0xfff
	v_fma_f64 v[24:25], -v[20:21], v[22:23], 1.0
	s_delay_alu instid0(VALU_DEP_1) | instskip(NEXT) | instid1(VALU_DEP_1)
	v_fma_f64 v[22:23], v[22:23], v[24:25], v[22:23]
	v_fma_f64 v[24:25], -v[20:21], v[22:23], 1.0
	s_delay_alu instid0(VALU_DEP_1) | instskip(NEXT) | instid1(VALU_DEP_1)
	v_fma_f64 v[22:23], v[22:23], v[24:25], v[22:23]
	v_mul_f64 v[24:25], v[11:12], v[22:23]
	s_delay_alu instid0(VALU_DEP_1) | instskip(NEXT) | instid1(VALU_DEP_1)
	v_fma_f64 v[11:12], -v[20:21], v[24:25], v[11:12]
	v_div_fmas_f64 v[11:12], v[11:12], v[22:23], v[24:25]
	s_delay_alu instid0(VALU_DEP_1) | instskip(SKIP_3) | instid1(SALU_CYCLE_1)
	v_div_fixup_f64 v[6:7], v[11:12], v[6:7], |v[8:9]|
	v_dual_mov_b32 v9, v5 :: v_dual_mov_b32 v8, v4
	s_or_b32 exec_lo, exec_lo, s1
	s_and_saveexec_b32 s1, s0
	s_xor_b32 s0, exec_lo, s1
	s_cbranch_execnz .LBB167_167
.LBB167_172:
	s_and_not1_saveexec_b32 s0, s0
.LBB167_173:
	s_delay_alu instid0(VALU_DEP_2) | instskip(NEXT) | instid1(VALU_DEP_2)
	v_add_f64 v[6:7], v[6:7], v[6:7]
	v_add_f64 v[8:9], v[8:9], v[8:9]
.LBB167_174:
	s_or_b32 exec_lo, exec_lo, s0
.LBB167_175:
	s_and_not1_saveexec_b32 s0, s11
	s_cbranch_execz .LBB167_181
; %bb.176:
	s_delay_alu instid0(VALU_DEP_1) | instskip(SKIP_1) | instid1(VALU_DEP_3)
	v_add_f64 v[4:5], v[8:9], -v[8:9]
	s_mov_b32 s1, exec_lo
	v_cmpx_lt_i64_e32 -1, v[6:7]
	s_xor_b32 s1, exec_lo, s1
; %bb.177:
	s_delay_alu instid0(VALU_DEP_2) | instskip(NEXT) | instid1(VALU_DEP_1)
	v_bfi_b32 v5, 0x7fffffff, v5, v9
	v_dual_mov_b32 v9, v5 :: v_dual_mov_b32 v8, v4
                                        ; implicit-def: $vgpr4_vgpr5
; %bb.178:
	s_and_not1_saveexec_b32 s1, s1
; %bb.179:
	s_delay_alu instid0(VALU_DEP_1) | instskip(SKIP_1) | instid1(VALU_DEP_2)
	v_bfi_b32 v7, 0x7fffffff, v7, v9
	v_and_b32_e32 v5, 0x7fffffff, v5
	v_dual_mov_b32 v9, v7 :: v_dual_mov_b32 v8, v6
	s_delay_alu instid0(VALU_DEP_2)
	v_dual_mov_b32 v7, v5 :: v_dual_mov_b32 v6, v4
; %bb.180:
	s_or_b32 exec_lo, exec_lo, s1
.LBB167_181:
	s_delay_alu instid0(SALU_CYCLE_1)
	s_or_b32 exec_lo, exec_lo, s0
.LBB167_182:
	s_and_not1_saveexec_b32 s0, s10
; %bb.183:
	s_delay_alu instid0(VALU_DEP_1) | instskip(NEXT) | instid1(VALU_DEP_1)
	v_add_f64 v[4:5], v[8:9], -v[8:9]
	v_div_scale_f64 v[8:9], vcc_lo, v[4:5], v[4:5], v[4:5]
	s_delay_alu instid0(VALU_DEP_1) | instskip(SKIP_2) | instid1(VALU_DEP_1)
	v_rcp_f64_e32 v[11:12], v[8:9]
	s_waitcnt_depctr 0xfff
	v_fma_f64 v[20:21], -v[8:9], v[11:12], 1.0
	v_fma_f64 v[11:12], v[11:12], v[20:21], v[11:12]
	s_delay_alu instid0(VALU_DEP_1) | instskip(NEXT) | instid1(VALU_DEP_1)
	v_fma_f64 v[20:21], -v[8:9], v[11:12], 1.0
	v_fma_f64 v[11:12], v[11:12], v[20:21], v[11:12]
	s_delay_alu instid0(VALU_DEP_1) | instskip(NEXT) | instid1(VALU_DEP_1)
	v_mul_f64 v[20:21], v[8:9], v[11:12]
	v_fma_f64 v[8:9], -v[8:9], v[20:21], v[8:9]
	s_delay_alu instid0(VALU_DEP_1) | instskip(NEXT) | instid1(VALU_DEP_1)
	v_div_fmas_f64 v[8:9], v[8:9], v[11:12], v[20:21]
	v_div_fixup_f64 v[8:9], v[8:9], v[4:5], v[4:5]
; %bb.184:
	s_or_b32 exec_lo, exec_lo, s0
	v_dual_mov_b32 v12, v7 :: v_dual_mov_b32 v11, v6
.LBB167_185:
	s_or_b32 exec_lo, exec_lo, s3
.LBB167_186:
	s_delay_alu instid0(SALU_CYCLE_1) | instskip(NEXT) | instid1(VALU_DEP_1)
	s_or_b32 exec_lo, exec_lo, s2
	v_cmp_gt_f64_e32 vcc_lo, 0, v[11:12]
	s_delay_alu instid0(VALU_DEP_3) | instskip(SKIP_2) | instid1(VALU_DEP_2)
	v_cmp_gt_f64_e64 s0, 0, v[8:9]
	v_xor_b32_e32 v4, 0x80000000, v12
	v_xor_b32_e32 v5, 0x80000000, v9
                                        ; implicit-def: $vgpr6_vgpr7
	v_dual_cndmask_b32 v21, v12, v4 :: v_dual_cndmask_b32 v20, v11, v11
	s_delay_alu instid0(VALU_DEP_2) | instskip(SKIP_2) | instid1(VALU_DEP_1)
	v_cndmask_b32_e64 v23, v9, v5, s0
	v_cndmask_b32_e64 v22, v8, v8, s0
	s_mov_b32 s0, exec_lo
	v_cmpx_ge_f64_e32 v[20:21], v[22:23]
	s_xor_b32 s1, exec_lo, s0
	s_cbranch_execz .LBB167_192
; %bb.187:
	v_cmp_neq_f64_e32 vcc_lo, 0, v[11:12]
	v_cmp_neq_f64_e64 s0, 0, v[8:9]
                                        ; implicit-def: $vgpr6_vgpr7
	s_delay_alu instid0(VALU_DEP_1) | instskip(NEXT) | instid1(SALU_CYCLE_1)
	s_or_b32 s0, vcc_lo, s0
	s_and_saveexec_b32 s2, s0
	s_delay_alu instid0(SALU_CYCLE_1)
	s_xor_b32 s0, exec_lo, s2
	s_cbranch_execz .LBB167_189
; %bb.188:
	v_div_scale_f64 v[4:5], null, v[11:12], v[11:12], v[8:9]
	v_div_scale_f64 v[22:23], vcc_lo, v[8:9], v[11:12], v[8:9]
	s_delay_alu instid0(VALU_DEP_2) | instskip(SKIP_2) | instid1(VALU_DEP_1)
	v_rcp_f64_e32 v[6:7], v[4:5]
	s_waitcnt_depctr 0xfff
	v_fma_f64 v[20:21], -v[4:5], v[6:7], 1.0
	v_fma_f64 v[6:7], v[6:7], v[20:21], v[6:7]
	s_delay_alu instid0(VALU_DEP_1) | instskip(NEXT) | instid1(VALU_DEP_1)
	v_fma_f64 v[20:21], -v[4:5], v[6:7], 1.0
	v_fma_f64 v[6:7], v[6:7], v[20:21], v[6:7]
	s_delay_alu instid0(VALU_DEP_1) | instskip(NEXT) | instid1(VALU_DEP_1)
	v_mul_f64 v[20:21], v[22:23], v[6:7]
	v_fma_f64 v[4:5], -v[4:5], v[20:21], v[22:23]
	s_delay_alu instid0(VALU_DEP_1) | instskip(NEXT) | instid1(VALU_DEP_1)
	v_div_fmas_f64 v[4:5], v[4:5], v[6:7], v[20:21]
	v_div_fixup_f64 v[4:5], v[4:5], v[11:12], v[8:9]
	s_delay_alu instid0(VALU_DEP_1) | instskip(NEXT) | instid1(VALU_DEP_1)
	v_fma_f64 v[6:7], v[8:9], v[4:5], v[11:12]
	v_div_scale_f64 v[8:9], null, v[6:7], v[6:7], 1.0
	v_div_scale_f64 v[22:23], vcc_lo, 1.0, v[6:7], 1.0
	s_delay_alu instid0(VALU_DEP_2) | instskip(SKIP_2) | instid1(VALU_DEP_1)
	v_rcp_f64_e32 v[11:12], v[8:9]
	s_waitcnt_depctr 0xfff
	v_fma_f64 v[20:21], -v[8:9], v[11:12], 1.0
	v_fma_f64 v[11:12], v[11:12], v[20:21], v[11:12]
	s_delay_alu instid0(VALU_DEP_1) | instskip(NEXT) | instid1(VALU_DEP_1)
	v_fma_f64 v[20:21], -v[8:9], v[11:12], 1.0
	v_fma_f64 v[11:12], v[11:12], v[20:21], v[11:12]
	s_delay_alu instid0(VALU_DEP_1) | instskip(NEXT) | instid1(VALU_DEP_1)
	v_mul_f64 v[20:21], v[22:23], v[11:12]
	v_fma_f64 v[8:9], -v[8:9], v[20:21], v[22:23]
                                        ; implicit-def: $vgpr22_vgpr23
	s_delay_alu instid0(VALU_DEP_1) | instskip(SKIP_1) | instid1(VALU_DEP_2)
	v_div_fmas_f64 v[8:9], v[8:9], v[11:12], v[20:21]
	v_fma_f64 v[11:12], v[4:5], 0, 1.0
                                        ; implicit-def: $vgpr20_vgpr21
	v_div_fixup_f64 v[6:7], v[8:9], v[6:7], 1.0
	v_add_f64 v[8:9], -v[4:5], 0
	s_delay_alu instid0(VALU_DEP_2) | instskip(NEXT) | instid1(VALU_DEP_2)
	v_mul_f64 v[4:5], v[11:12], v[6:7]
	v_mul_f64 v[6:7], v[8:9], v[6:7]
.LBB167_189:
	s_and_not1_saveexec_b32 s2, s0
	s_cbranch_execz .LBB167_191
; %bb.190:
	v_div_scale_f64 v[4:5], null, v[20:21], v[20:21], 1.0
	v_div_scale_f64 v[6:7], null, v[22:23], v[22:23], 0
	v_div_scale_f64 v[28:29], vcc_lo, 1.0, v[20:21], 1.0
	s_delay_alu instid0(VALU_DEP_3) | instskip(NEXT) | instid1(VALU_DEP_2)
	v_rcp_f64_e32 v[8:9], v[4:5]
	v_rcp_f64_e32 v[11:12], v[6:7]
	s_waitcnt_depctr 0xfff
	v_fma_f64 v[24:25], -v[4:5], v[8:9], 1.0
	v_fma_f64 v[26:27], -v[6:7], v[11:12], 1.0
	s_delay_alu instid0(VALU_DEP_2) | instskip(NEXT) | instid1(VALU_DEP_2)
	v_fma_f64 v[8:9], v[8:9], v[24:25], v[8:9]
	v_fma_f64 v[11:12], v[11:12], v[26:27], v[11:12]
	s_delay_alu instid0(VALU_DEP_2) | instskip(NEXT) | instid1(VALU_DEP_2)
	v_fma_f64 v[24:25], -v[4:5], v[8:9], 1.0
	v_fma_f64 v[26:27], -v[6:7], v[11:12], 1.0
	s_delay_alu instid0(VALU_DEP_2) | instskip(SKIP_1) | instid1(VALU_DEP_3)
	v_fma_f64 v[8:9], v[8:9], v[24:25], v[8:9]
	v_div_scale_f64 v[24:25], s0, 0, v[22:23], 0
	v_fma_f64 v[11:12], v[11:12], v[26:27], v[11:12]
	s_delay_alu instid0(VALU_DEP_3) | instskip(NEXT) | instid1(VALU_DEP_2)
	v_mul_f64 v[26:27], v[28:29], v[8:9]
	v_mul_f64 v[30:31], v[24:25], v[11:12]
	s_delay_alu instid0(VALU_DEP_2) | instskip(NEXT) | instid1(VALU_DEP_2)
	v_fma_f64 v[4:5], -v[4:5], v[26:27], v[28:29]
	v_fma_f64 v[6:7], -v[6:7], v[30:31], v[24:25]
	s_delay_alu instid0(VALU_DEP_2) | instskip(SKIP_1) | instid1(VALU_DEP_2)
	v_div_fmas_f64 v[4:5], v[4:5], v[8:9], v[26:27]
	s_mov_b32 vcc_lo, s0
	v_div_fmas_f64 v[6:7], v[6:7], v[11:12], v[30:31]
	s_delay_alu instid0(VALU_DEP_2) | instskip(NEXT) | instid1(VALU_DEP_2)
	v_div_fixup_f64 v[4:5], v[4:5], v[20:21], 1.0
	v_div_fixup_f64 v[6:7], v[6:7], v[22:23], 0
.LBB167_191:
	s_or_b32 exec_lo, exec_lo, s2
                                        ; implicit-def: $vgpr8_vgpr9
                                        ; implicit-def: $vgpr11_vgpr12
.LBB167_192:
	s_and_not1_saveexec_b32 s0, s1
	s_cbranch_execz .LBB167_194
; %bb.193:
	v_div_scale_f64 v[4:5], null, v[8:9], v[8:9], v[11:12]
	v_div_scale_f64 v[22:23], vcc_lo, v[11:12], v[8:9], v[11:12]
	s_delay_alu instid0(VALU_DEP_2) | instskip(SKIP_2) | instid1(VALU_DEP_1)
	v_rcp_f64_e32 v[6:7], v[4:5]
	s_waitcnt_depctr 0xfff
	v_fma_f64 v[20:21], -v[4:5], v[6:7], 1.0
	v_fma_f64 v[6:7], v[6:7], v[20:21], v[6:7]
	s_delay_alu instid0(VALU_DEP_1) | instskip(NEXT) | instid1(VALU_DEP_1)
	v_fma_f64 v[20:21], -v[4:5], v[6:7], 1.0
	v_fma_f64 v[6:7], v[6:7], v[20:21], v[6:7]
	s_delay_alu instid0(VALU_DEP_1) | instskip(NEXT) | instid1(VALU_DEP_1)
	v_mul_f64 v[20:21], v[22:23], v[6:7]
	v_fma_f64 v[4:5], -v[4:5], v[20:21], v[22:23]
	s_delay_alu instid0(VALU_DEP_1) | instskip(NEXT) | instid1(VALU_DEP_1)
	v_div_fmas_f64 v[4:5], v[4:5], v[6:7], v[20:21]
	v_div_fixup_f64 v[4:5], v[4:5], v[8:9], v[11:12]
	s_delay_alu instid0(VALU_DEP_1) | instskip(NEXT) | instid1(VALU_DEP_1)
	v_fma_f64 v[6:7], v[11:12], v[4:5], v[8:9]
	v_div_scale_f64 v[8:9], null, v[6:7], v[6:7], 1.0
	v_div_scale_f64 v[22:23], vcc_lo, 1.0, v[6:7], 1.0
	s_delay_alu instid0(VALU_DEP_2) | instskip(SKIP_2) | instid1(VALU_DEP_1)
	v_rcp_f64_e32 v[11:12], v[8:9]
	s_waitcnt_depctr 0xfff
	v_fma_f64 v[20:21], -v[8:9], v[11:12], 1.0
	v_fma_f64 v[11:12], v[11:12], v[20:21], v[11:12]
	s_delay_alu instid0(VALU_DEP_1) | instskip(NEXT) | instid1(VALU_DEP_1)
	v_fma_f64 v[20:21], -v[8:9], v[11:12], 1.0
	v_fma_f64 v[11:12], v[11:12], v[20:21], v[11:12]
	s_delay_alu instid0(VALU_DEP_1) | instskip(NEXT) | instid1(VALU_DEP_1)
	v_mul_f64 v[20:21], v[22:23], v[11:12]
	v_fma_f64 v[8:9], -v[8:9], v[20:21], v[22:23]
	s_delay_alu instid0(VALU_DEP_1) | instskip(SKIP_1) | instid1(VALU_DEP_2)
	v_div_fmas_f64 v[8:9], v[8:9], v[11:12], v[20:21]
	v_add_f64 v[11:12], v[4:5], 0
	v_div_fixup_f64 v[6:7], v[8:9], v[6:7], 1.0
	v_fma_f64 v[8:9], v[4:5], 0, -1.0
	s_delay_alu instid0(VALU_DEP_2) | instskip(NEXT) | instid1(VALU_DEP_2)
	v_mul_f64 v[4:5], v[11:12], v[6:7]
	v_mul_f64 v[6:7], v[8:9], v[6:7]
.LBB167_194:
	s_or_b32 exec_lo, exec_lo, s0
	global_load_b128 v[10:13], v10, s[6:7]
	v_mov_b32_e32 v20, 0
	v_mov_b32_e32 v21, 0
	s_waitcnt vmcnt(0)
	v_cmp_neq_f64_e32 vcc_lo, 0, v[10:11]
	v_cmp_neq_f64_e64 s0, 0, v[12:13]
	s_delay_alu instid0(VALU_DEP_1) | instskip(NEXT) | instid1(SALU_CYCLE_1)
	s_or_b32 s0, vcc_lo, s0
	s_and_saveexec_b32 s2, s0
	s_cbranch_execz .LBB167_226
; %bb.195:
	s_mov_b32 s0, 0
	s_mov_b32 s1, 0x7ff00000
	v_mov_b32_e32 v20, s0
	v_mov_b32_e32 v21, s1
	s_mov_b32 s3, exec_lo
	v_cmpx_neq_f64_e64 0x7ff00000, |v[12:13]|
	s_cbranch_execz .LBB167_225
; %bb.196:
	s_mov_b32 s0, exec_lo
	v_cmpx_o_f64_e32 v[10:11], v[10:11]
	s_xor_b32 s10, exec_lo, s0
	s_cbranch_execz .LBB167_222
; %bb.197:
	s_mov_b32 s1, exec_lo
	v_cmpx_neq_f64_e64 0x7ff00000, |v[10:11]|
	s_xor_b32 s11, exec_lo, s1
	s_cbranch_execz .LBB167_215
; %bb.198:
	v_max_f64 v[8:9], |v[12:13]|, |v[12:13]|
	v_max_f64 v[20:21], |v[10:11]|, |v[10:11]|
	s_mov_b32 s0, 0x99fcef32
	s_mov_b32 s1, 0x7fda8279
                                        ; implicit-def: $sgpr12
	s_delay_alu instid0(VALU_DEP_1) | instskip(NEXT) | instid1(VALU_DEP_1)
	v_max_f64 v[8:9], v[20:21], v[8:9]
	v_cmp_nle_f64_e64 s0, s[0:1], v[8:9]
	s_delay_alu instid0(VALU_DEP_1) | instskip(NEXT) | instid1(SALU_CYCLE_1)
	s_and_saveexec_b32 s1, s0
	s_xor_b32 s1, exec_lo, s1
	s_cbranch_execz .LBB167_202
; %bb.199:
	v_cmp_ge_f64_e64 s12, 0x200000, |v[10:11]|
	v_cmp_ge_f64_e64 s13, 0x200000, |v[12:13]|
	s_delay_alu instid0(VALU_DEP_1)
	s_and_b32 s14, s12, s13
	s_mov_b32 s12, 0
	s_and_saveexec_b32 s13, s14
; %bb.200:
	v_mul_f64 v[10:11], v[10:11], 4.0
	v_mul_f64 v[12:13], v[12:13], 4.0
	s_mov_b32 s12, exec_lo
; %bb.201:
	s_or_b32 exec_lo, exec_lo, s13
	s_delay_alu instid0(SALU_CYCLE_1)
	s_and_b32 s12, s12, exec_lo
.LBB167_202:
	s_and_not1_saveexec_b32 s1, s1
; %bb.203:
	s_delay_alu instid0(VALU_DEP_2) | instskip(NEXT) | instid1(VALU_DEP_2)
	v_ldexp_f64 v[10:11], v[10:11], -2
	v_ldexp_f64 v[12:13], v[12:13], -2
	s_and_not1_b32 s12, s12, exec_lo
; %bb.204:
	s_or_b32 exec_lo, exec_lo, s1
	s_delay_alu instid0(VALU_DEP_1) | instskip(NEXT) | instid1(VALU_DEP_3)
	v_max_f64 v[8:9], |v[12:13]|, |v[12:13]|
	v_max_f64 v[20:21], |v[10:11]|, |v[10:11]|
	v_cmp_class_f64_e64 s13, v[10:11], 0x204
	v_cmp_class_f64_e64 s14, v[12:13], 0x204
	v_cmp_le_f64_e64 s1, 0, v[10:11]
	s_delay_alu instid0(VALU_DEP_4) | instskip(NEXT) | instid1(VALU_DEP_3)
	v_max_f64 v[8:9], v[20:21], v[8:9]
	s_or_b32 s13, s14, s13
	s_delay_alu instid0(VALU_DEP_1) | instskip(NEXT) | instid1(VALU_DEP_1)
	v_frexp_exp_i32_f64_e32 v15, v[8:9]
	v_sub_nc_u32_e32 v20, 0, v15
	s_delay_alu instid0(VALU_DEP_1) | instskip(SKIP_1) | instid1(VALU_DEP_2)
	v_ldexp_f64 v[8:9], |v[12:13]|, v20
	v_ldexp_f64 v[20:21], |v[10:11]|, v20
	v_mul_f64 v[8:9], v[8:9], v[8:9]
	s_delay_alu instid0(VALU_DEP_1) | instskip(NEXT) | instid1(VALU_DEP_1)
	v_fma_f64 v[8:9], v[20:21], v[20:21], v[8:9]
	v_rsq_f64_e32 v[20:21], v[8:9]
	v_cmp_eq_f64_e32 vcc_lo, 0, v[8:9]
	s_waitcnt_depctr 0xfff
	v_mul_f64 v[22:23], v[8:9], v[20:21]
	v_mul_f64 v[20:21], v[20:21], 0.5
	s_delay_alu instid0(VALU_DEP_1) | instskip(NEXT) | instid1(VALU_DEP_1)
	v_fma_f64 v[24:25], -v[20:21], v[22:23], 0.5
	v_fma_f64 v[22:23], v[22:23], v[24:25], v[22:23]
	v_fma_f64 v[20:21], v[20:21], v[24:25], v[20:21]
	s_delay_alu instid0(VALU_DEP_2) | instskip(NEXT) | instid1(VALU_DEP_1)
	v_fma_f64 v[24:25], -v[22:23], v[22:23], v[8:9]
	v_fma_f64 v[20:21], v[24:25], v[20:21], v[22:23]
	s_delay_alu instid0(VALU_DEP_1) | instskip(SKIP_1) | instid1(VALU_DEP_2)
	v_dual_cndmask_b32 v9, v21, v9 :: v_dual_cndmask_b32 v8, v20, v8
	v_cmp_o_f64_e32 vcc_lo, v[12:13], v[12:13]
	v_ldexp_f64 v[8:9], v[8:9], v15
	s_delay_alu instid0(VALU_DEP_1) | instskip(NEXT) | instid1(VALU_DEP_2)
	v_cndmask_b32_e32 v8, 0, v8, vcc_lo
	v_cndmask_b32_e32 v9, 0x7ff80000, v9, vcc_lo
	s_delay_alu instid0(VALU_DEP_2) | instskip(NEXT) | instid1(VALU_DEP_2)
	v_cndmask_b32_e64 v8, v8, 0, s13
	v_cndmask_b32_e64 v9, v9, 0x7ff00000, s13
	s_and_saveexec_b32 s13, s1
	s_delay_alu instid0(SALU_CYCLE_1)
	s_xor_b32 s1, exec_lo, s13
	s_cbranch_execz .LBB167_210
; %bb.205:
	s_delay_alu instid0(VALU_DEP_1) | instskip(NEXT) | instid1(VALU_DEP_1)
	v_add_f64 v[8:9], v[10:11], v[8:9]
	v_mul_f64 v[8:9], v[8:9], 0.5
	s_delay_alu instid0(VALU_DEP_1) | instskip(SKIP_2) | instid1(VALU_DEP_2)
	v_cmp_gt_f64_e32 vcc_lo, 0x10000000, v[8:9]
	v_cndmask_b32_e64 v10, 0, 1, vcc_lo
	v_cndmask_b32_e64 v15, 0, 0xffffff80, vcc_lo
	v_lshlrev_b32_e32 v10, 8, v10
	s_delay_alu instid0(VALU_DEP_1) | instskip(NEXT) | instid1(VALU_DEP_1)
	v_ldexp_f64 v[8:9], v[8:9], v10
	v_rsq_f64_e32 v[10:11], v[8:9]
	v_cmp_class_f64_e64 vcc_lo, v[8:9], 0x260
	s_waitcnt_depctr 0xfff
	v_mul_f64 v[20:21], v[8:9], v[10:11]
	v_mul_f64 v[10:11], v[10:11], 0.5
	s_delay_alu instid0(VALU_DEP_1) | instskip(NEXT) | instid1(VALU_DEP_1)
	v_fma_f64 v[22:23], -v[10:11], v[20:21], 0.5
	v_fma_f64 v[20:21], v[20:21], v[22:23], v[20:21]
	v_fma_f64 v[10:11], v[10:11], v[22:23], v[10:11]
	s_delay_alu instid0(VALU_DEP_2) | instskip(NEXT) | instid1(VALU_DEP_1)
	v_fma_f64 v[22:23], -v[20:21], v[20:21], v[8:9]
	v_fma_f64 v[20:21], v[22:23], v[10:11], v[20:21]
	s_delay_alu instid0(VALU_DEP_1) | instskip(NEXT) | instid1(VALU_DEP_1)
	v_fma_f64 v[22:23], -v[20:21], v[20:21], v[8:9]
	v_fma_f64 v[10:11], v[22:23], v[10:11], v[20:21]
	s_delay_alu instid0(VALU_DEP_1) | instskip(NEXT) | instid1(VALU_DEP_1)
	v_ldexp_f64 v[10:11], v[10:11], v15
	v_dual_cndmask_b32 v11, v11, v9 :: v_dual_cndmask_b32 v10, v10, v8
	s_delay_alu instid0(VALU_DEP_1) | instskip(NEXT) | instid1(VALU_DEP_1)
	v_add_f64 v[8:9], v[10:11], v[10:11]
	v_div_scale_f64 v[20:21], null, v[8:9], v[8:9], v[12:13]
	s_delay_alu instid0(VALU_DEP_1) | instskip(SKIP_2) | instid1(VALU_DEP_1)
	v_rcp_f64_e32 v[22:23], v[20:21]
	s_waitcnt_depctr 0xfff
	v_fma_f64 v[24:25], -v[20:21], v[22:23], 1.0
	v_fma_f64 v[22:23], v[22:23], v[24:25], v[22:23]
	s_delay_alu instid0(VALU_DEP_1) | instskip(NEXT) | instid1(VALU_DEP_1)
	v_fma_f64 v[24:25], -v[20:21], v[22:23], 1.0
	v_fma_f64 v[22:23], v[22:23], v[24:25], v[22:23]
	v_div_scale_f64 v[24:25], vcc_lo, v[12:13], v[8:9], v[12:13]
	s_delay_alu instid0(VALU_DEP_1) | instskip(NEXT) | instid1(VALU_DEP_1)
	v_mul_f64 v[26:27], v[24:25], v[22:23]
	v_fma_f64 v[20:21], -v[20:21], v[26:27], v[24:25]
	s_delay_alu instid0(VALU_DEP_1) | instskip(NEXT) | instid1(VALU_DEP_1)
	v_div_fmas_f64 v[20:21], v[20:21], v[22:23], v[26:27]
	v_div_fixup_f64 v[12:13], v[20:21], v[8:9], v[12:13]
                                        ; implicit-def: $vgpr8_vgpr9
	s_and_not1_saveexec_b32 s1, s1
	s_cbranch_execnz .LBB167_211
.LBB167_206:
	s_or_b32 exec_lo, exec_lo, s1
	s_and_saveexec_b32 s1, s0
	s_delay_alu instid0(SALU_CYCLE_1)
	s_xor_b32 s0, exec_lo, s1
	s_cbranch_execz .LBB167_212
.LBB167_207:
	s_and_saveexec_b32 s1, s12
; %bb.208:
	s_delay_alu instid0(VALU_DEP_2) | instskip(NEXT) | instid1(VALU_DEP_2)
	v_mul_f64 v[10:11], v[10:11], 0.5
	v_mul_f64 v[12:13], v[12:13], 0.5
; %bb.209:
	s_or_b32 exec_lo, exec_lo, s1
	s_and_not1_saveexec_b32 s0, s0
	s_cbranch_execnz .LBB167_213
	s_branch .LBB167_214
.LBB167_210:
	s_and_not1_saveexec_b32 s1, s1
	s_cbranch_execz .LBB167_206
.LBB167_211:
	v_add_f64 v[8:9], v[8:9], -v[10:11]
	s_delay_alu instid0(VALU_DEP_1) | instskip(NEXT) | instid1(VALU_DEP_1)
	v_mul_f64 v[8:9], v[8:9], 0.5
	v_cmp_gt_f64_e32 vcc_lo, 0x10000000, v[8:9]
	v_cndmask_b32_e64 v10, 0, 1, vcc_lo
	v_cndmask_b32_e64 v15, 0, 0xffffff80, vcc_lo
	s_delay_alu instid0(VALU_DEP_2) | instskip(NEXT) | instid1(VALU_DEP_1)
	v_lshlrev_b32_e32 v10, 8, v10
	v_ldexp_f64 v[8:9], v[8:9], v10
	s_delay_alu instid0(VALU_DEP_1) | instskip(SKIP_4) | instid1(VALU_DEP_1)
	v_rsq_f64_e32 v[10:11], v[8:9]
	v_cmp_class_f64_e64 vcc_lo, v[8:9], 0x260
	s_waitcnt_depctr 0xfff
	v_mul_f64 v[20:21], v[8:9], v[10:11]
	v_mul_f64 v[10:11], v[10:11], 0.5
	v_fma_f64 v[22:23], -v[10:11], v[20:21], 0.5
	s_delay_alu instid0(VALU_DEP_1) | instskip(SKIP_1) | instid1(VALU_DEP_2)
	v_fma_f64 v[20:21], v[20:21], v[22:23], v[20:21]
	v_fma_f64 v[10:11], v[10:11], v[22:23], v[10:11]
	v_fma_f64 v[22:23], -v[20:21], v[20:21], v[8:9]
	s_delay_alu instid0(VALU_DEP_1) | instskip(NEXT) | instid1(VALU_DEP_1)
	v_fma_f64 v[20:21], v[22:23], v[10:11], v[20:21]
	v_fma_f64 v[22:23], -v[20:21], v[20:21], v[8:9]
	s_delay_alu instid0(VALU_DEP_1) | instskip(SKIP_1) | instid1(VALU_DEP_2)
	v_fma_f64 v[10:11], v[22:23], v[10:11], v[20:21]
	v_and_b32_e32 v21, 0x7fffffff, v13
	v_ldexp_f64 v[10:11], v[10:11], v15
	s_delay_alu instid0(VALU_DEP_1) | instskip(NEXT) | instid1(VALU_DEP_1)
	v_dual_cndmask_b32 v9, v11, v9 :: v_dual_cndmask_b32 v8, v10, v8
	v_add_f64 v[10:11], v[8:9], v[8:9]
	v_bfi_b32 v9, 0x7fffffff, v9, v13
	v_mov_b32_e32 v20, v12
	s_delay_alu instid0(VALU_DEP_1) | instskip(SKIP_1) | instid1(VALU_DEP_2)
	v_div_scale_f64 v[22:23], null, v[10:11], v[10:11], v[20:21]
	v_div_scale_f64 v[20:21], vcc_lo, v[20:21], v[10:11], v[20:21]
	v_rcp_f64_e32 v[24:25], v[22:23]
	s_waitcnt_depctr 0xfff
	v_fma_f64 v[26:27], -v[22:23], v[24:25], 1.0
	s_delay_alu instid0(VALU_DEP_1) | instskip(NEXT) | instid1(VALU_DEP_1)
	v_fma_f64 v[24:25], v[24:25], v[26:27], v[24:25]
	v_fma_f64 v[26:27], -v[22:23], v[24:25], 1.0
	s_delay_alu instid0(VALU_DEP_1) | instskip(NEXT) | instid1(VALU_DEP_1)
	v_fma_f64 v[24:25], v[24:25], v[26:27], v[24:25]
	v_mul_f64 v[26:27], v[20:21], v[24:25]
	s_delay_alu instid0(VALU_DEP_1) | instskip(NEXT) | instid1(VALU_DEP_1)
	v_fma_f64 v[20:21], -v[22:23], v[26:27], v[20:21]
	v_div_fmas_f64 v[20:21], v[20:21], v[24:25], v[26:27]
	s_delay_alu instid0(VALU_DEP_1) | instskip(SKIP_3) | instid1(SALU_CYCLE_1)
	v_div_fixup_f64 v[10:11], v[20:21], v[10:11], |v[12:13]|
	v_dual_mov_b32 v13, v9 :: v_dual_mov_b32 v12, v8
	s_or_b32 exec_lo, exec_lo, s1
	s_and_saveexec_b32 s1, s0
	s_xor_b32 s0, exec_lo, s1
	s_cbranch_execnz .LBB167_207
.LBB167_212:
	s_and_not1_saveexec_b32 s0, s0
.LBB167_213:
	s_delay_alu instid0(VALU_DEP_2) | instskip(NEXT) | instid1(VALU_DEP_2)
	v_add_f64 v[10:11], v[10:11], v[10:11]
	v_add_f64 v[12:13], v[12:13], v[12:13]
.LBB167_214:
	s_or_b32 exec_lo, exec_lo, s0
.LBB167_215:
	s_and_not1_saveexec_b32 s0, s11
	s_cbranch_execz .LBB167_221
; %bb.216:
	s_delay_alu instid0(VALU_DEP_1) | instskip(SKIP_1) | instid1(VALU_DEP_3)
	v_add_f64 v[8:9], v[12:13], -v[12:13]
	s_mov_b32 s1, exec_lo
	v_cmpx_lt_i64_e32 -1, v[10:11]
	s_xor_b32 s1, exec_lo, s1
; %bb.217:
	s_delay_alu instid0(VALU_DEP_2) | instskip(NEXT) | instid1(VALU_DEP_1)
	v_bfi_b32 v9, 0x7fffffff, v9, v13
	v_dual_mov_b32 v13, v9 :: v_dual_mov_b32 v12, v8
                                        ; implicit-def: $vgpr8_vgpr9
; %bb.218:
	s_and_not1_saveexec_b32 s1, s1
; %bb.219:
	s_delay_alu instid0(VALU_DEP_1) | instskip(SKIP_1) | instid1(VALU_DEP_2)
	v_bfi_b32 v11, 0x7fffffff, v11, v13
	v_and_b32_e32 v9, 0x7fffffff, v9
	v_dual_mov_b32 v13, v11 :: v_dual_mov_b32 v12, v10
	s_delay_alu instid0(VALU_DEP_2)
	v_dual_mov_b32 v11, v9 :: v_dual_mov_b32 v10, v8
; %bb.220:
	s_or_b32 exec_lo, exec_lo, s1
.LBB167_221:
	s_delay_alu instid0(SALU_CYCLE_1)
	s_or_b32 exec_lo, exec_lo, s0
.LBB167_222:
	s_and_not1_saveexec_b32 s0, s10
; %bb.223:
	s_delay_alu instid0(VALU_DEP_1) | instskip(NEXT) | instid1(VALU_DEP_1)
	v_add_f64 v[8:9], v[12:13], -v[12:13]
	v_div_scale_f64 v[12:13], vcc_lo, v[8:9], v[8:9], v[8:9]
	s_delay_alu instid0(VALU_DEP_1) | instskip(SKIP_2) | instid1(VALU_DEP_1)
	v_rcp_f64_e32 v[20:21], v[12:13]
	s_waitcnt_depctr 0xfff
	v_fma_f64 v[22:23], -v[12:13], v[20:21], 1.0
	v_fma_f64 v[20:21], v[20:21], v[22:23], v[20:21]
	s_delay_alu instid0(VALU_DEP_1) | instskip(NEXT) | instid1(VALU_DEP_1)
	v_fma_f64 v[22:23], -v[12:13], v[20:21], 1.0
	v_fma_f64 v[20:21], v[20:21], v[22:23], v[20:21]
	s_delay_alu instid0(VALU_DEP_1) | instskip(NEXT) | instid1(VALU_DEP_1)
	v_mul_f64 v[22:23], v[12:13], v[20:21]
	v_fma_f64 v[12:13], -v[12:13], v[22:23], v[12:13]
	s_delay_alu instid0(VALU_DEP_1) | instskip(NEXT) | instid1(VALU_DEP_1)
	v_div_fmas_f64 v[12:13], v[12:13], v[20:21], v[22:23]
	v_div_fixup_f64 v[12:13], v[12:13], v[8:9], v[8:9]
; %bb.224:
	s_or_b32 exec_lo, exec_lo, s0
	v_dual_mov_b32 v21, v11 :: v_dual_mov_b32 v20, v10
.LBB167_225:
	s_or_b32 exec_lo, exec_lo, s3
.LBB167_226:
	s_delay_alu instid0(SALU_CYCLE_1) | instskip(NEXT) | instid1(VALU_DEP_1)
	s_or_b32 exec_lo, exec_lo, s2
	v_cmp_gt_f64_e32 vcc_lo, 0, v[20:21]
	s_delay_alu instid0(VALU_DEP_3) | instskip(SKIP_2) | instid1(VALU_DEP_2)
	v_cmp_gt_f64_e64 s0, 0, v[12:13]
	v_xor_b32_e32 v8, 0x80000000, v21
	v_xor_b32_e32 v9, 0x80000000, v13
                                        ; implicit-def: $vgpr10_vgpr11
	v_cndmask_b32_e32 v23, v21, v8, vcc_lo
	s_delay_alu instid0(VALU_DEP_2) | instskip(SKIP_3) | instid1(VALU_DEP_1)
	v_cndmask_b32_e64 v25, v13, v9, s0
	v_cndmask_b32_e32 v22, v20, v20, vcc_lo
	v_cndmask_b32_e64 v24, v12, v12, s0
	s_mov_b32 s0, exec_lo
	v_cmpx_ge_f64_e32 v[22:23], v[24:25]
	s_xor_b32 s1, exec_lo, s0
	s_cbranch_execz .LBB167_232
; %bb.227:
	v_cmp_neq_f64_e32 vcc_lo, 0, v[20:21]
	v_cmp_neq_f64_e64 s0, 0, v[12:13]
                                        ; implicit-def: $vgpr10_vgpr11
	s_delay_alu instid0(VALU_DEP_1) | instskip(NEXT) | instid1(SALU_CYCLE_1)
	s_or_b32 s0, vcc_lo, s0
	s_and_saveexec_b32 s2, s0
	s_delay_alu instid0(SALU_CYCLE_1)
	s_xor_b32 s0, exec_lo, s2
	s_cbranch_execz .LBB167_229
; %bb.228:
	v_div_scale_f64 v[8:9], null, v[20:21], v[20:21], v[12:13]
	v_div_scale_f64 v[24:25], vcc_lo, v[12:13], v[20:21], v[12:13]
	s_delay_alu instid0(VALU_DEP_2) | instskip(SKIP_2) | instid1(VALU_DEP_1)
	v_rcp_f64_e32 v[10:11], v[8:9]
	s_waitcnt_depctr 0xfff
	v_fma_f64 v[22:23], -v[8:9], v[10:11], 1.0
	v_fma_f64 v[10:11], v[10:11], v[22:23], v[10:11]
	s_delay_alu instid0(VALU_DEP_1) | instskip(NEXT) | instid1(VALU_DEP_1)
	v_fma_f64 v[22:23], -v[8:9], v[10:11], 1.0
	v_fma_f64 v[10:11], v[10:11], v[22:23], v[10:11]
	s_delay_alu instid0(VALU_DEP_1) | instskip(NEXT) | instid1(VALU_DEP_1)
	v_mul_f64 v[22:23], v[24:25], v[10:11]
	v_fma_f64 v[8:9], -v[8:9], v[22:23], v[24:25]
	s_delay_alu instid0(VALU_DEP_1) | instskip(NEXT) | instid1(VALU_DEP_1)
	v_div_fmas_f64 v[8:9], v[8:9], v[10:11], v[22:23]
	v_div_fixup_f64 v[8:9], v[8:9], v[20:21], v[12:13]
	s_delay_alu instid0(VALU_DEP_1) | instskip(NEXT) | instid1(VALU_DEP_1)
	v_fma_f64 v[10:11], v[12:13], v[8:9], v[20:21]
	v_div_scale_f64 v[12:13], null, v[10:11], v[10:11], 1.0
	v_div_scale_f64 v[24:25], vcc_lo, 1.0, v[10:11], 1.0
	s_delay_alu instid0(VALU_DEP_2) | instskip(SKIP_2) | instid1(VALU_DEP_1)
	v_rcp_f64_e32 v[20:21], v[12:13]
	s_waitcnt_depctr 0xfff
	v_fma_f64 v[22:23], -v[12:13], v[20:21], 1.0
	v_fma_f64 v[20:21], v[20:21], v[22:23], v[20:21]
	s_delay_alu instid0(VALU_DEP_1) | instskip(NEXT) | instid1(VALU_DEP_1)
	v_fma_f64 v[22:23], -v[12:13], v[20:21], 1.0
	v_fma_f64 v[20:21], v[20:21], v[22:23], v[20:21]
	s_delay_alu instid0(VALU_DEP_1) | instskip(NEXT) | instid1(VALU_DEP_1)
	v_mul_f64 v[22:23], v[24:25], v[20:21]
	v_fma_f64 v[12:13], -v[12:13], v[22:23], v[24:25]
                                        ; implicit-def: $vgpr24_vgpr25
	s_delay_alu instid0(VALU_DEP_1) | instskip(SKIP_1) | instid1(VALU_DEP_2)
	v_div_fmas_f64 v[12:13], v[12:13], v[20:21], v[22:23]
	v_fma_f64 v[20:21], v[8:9], 0, 1.0
                                        ; implicit-def: $vgpr22_vgpr23
	v_div_fixup_f64 v[10:11], v[12:13], v[10:11], 1.0
	v_add_f64 v[12:13], -v[8:9], 0
	s_delay_alu instid0(VALU_DEP_2) | instskip(NEXT) | instid1(VALU_DEP_2)
	v_mul_f64 v[8:9], v[20:21], v[10:11]
	v_mul_f64 v[10:11], v[12:13], v[10:11]
.LBB167_229:
	s_and_not1_saveexec_b32 s2, s0
	s_cbranch_execz .LBB167_231
; %bb.230:
	v_div_scale_f64 v[8:9], null, v[22:23], v[22:23], 1.0
	v_div_scale_f64 v[10:11], null, v[24:25], v[24:25], 0
	v_div_scale_f64 v[30:31], vcc_lo, 1.0, v[22:23], 1.0
	s_delay_alu instid0(VALU_DEP_3) | instskip(NEXT) | instid1(VALU_DEP_2)
	v_rcp_f64_e32 v[12:13], v[8:9]
	v_rcp_f64_e32 v[20:21], v[10:11]
	s_waitcnt_depctr 0xfff
	v_fma_f64 v[26:27], -v[8:9], v[12:13], 1.0
	v_fma_f64 v[28:29], -v[10:11], v[20:21], 1.0
	s_delay_alu instid0(VALU_DEP_2) | instskip(NEXT) | instid1(VALU_DEP_2)
	v_fma_f64 v[12:13], v[12:13], v[26:27], v[12:13]
	v_fma_f64 v[20:21], v[20:21], v[28:29], v[20:21]
	s_delay_alu instid0(VALU_DEP_2) | instskip(NEXT) | instid1(VALU_DEP_2)
	v_fma_f64 v[26:27], -v[8:9], v[12:13], 1.0
	v_fma_f64 v[28:29], -v[10:11], v[20:21], 1.0
	s_delay_alu instid0(VALU_DEP_2) | instskip(SKIP_1) | instid1(VALU_DEP_3)
	v_fma_f64 v[12:13], v[12:13], v[26:27], v[12:13]
	v_div_scale_f64 v[26:27], s0, 0, v[24:25], 0
	v_fma_f64 v[20:21], v[20:21], v[28:29], v[20:21]
	s_delay_alu instid0(VALU_DEP_3) | instskip(NEXT) | instid1(VALU_DEP_2)
	v_mul_f64 v[28:29], v[30:31], v[12:13]
	v_mul_f64 v[32:33], v[26:27], v[20:21]
	s_delay_alu instid0(VALU_DEP_2) | instskip(NEXT) | instid1(VALU_DEP_2)
	v_fma_f64 v[8:9], -v[8:9], v[28:29], v[30:31]
	v_fma_f64 v[10:11], -v[10:11], v[32:33], v[26:27]
	s_delay_alu instid0(VALU_DEP_2) | instskip(SKIP_1) | instid1(VALU_DEP_2)
	v_div_fmas_f64 v[8:9], v[8:9], v[12:13], v[28:29]
	s_mov_b32 vcc_lo, s0
	v_div_fmas_f64 v[10:11], v[10:11], v[20:21], v[32:33]
	s_delay_alu instid0(VALU_DEP_2) | instskip(NEXT) | instid1(VALU_DEP_2)
	v_div_fixup_f64 v[8:9], v[8:9], v[22:23], 1.0
	v_div_fixup_f64 v[10:11], v[10:11], v[24:25], 0
.LBB167_231:
	s_or_b32 exec_lo, exec_lo, s2
                                        ; implicit-def: $vgpr12_vgpr13
                                        ; implicit-def: $vgpr20_vgpr21
.LBB167_232:
	s_and_not1_saveexec_b32 s0, s1
	s_cbranch_execz .LBB167_234
; %bb.233:
	v_div_scale_f64 v[8:9], null, v[12:13], v[12:13], v[20:21]
	v_div_scale_f64 v[24:25], vcc_lo, v[20:21], v[12:13], v[20:21]
	s_delay_alu instid0(VALU_DEP_2) | instskip(SKIP_2) | instid1(VALU_DEP_1)
	v_rcp_f64_e32 v[10:11], v[8:9]
	s_waitcnt_depctr 0xfff
	v_fma_f64 v[22:23], -v[8:9], v[10:11], 1.0
	v_fma_f64 v[10:11], v[10:11], v[22:23], v[10:11]
	s_delay_alu instid0(VALU_DEP_1) | instskip(NEXT) | instid1(VALU_DEP_1)
	v_fma_f64 v[22:23], -v[8:9], v[10:11], 1.0
	v_fma_f64 v[10:11], v[10:11], v[22:23], v[10:11]
	s_delay_alu instid0(VALU_DEP_1) | instskip(NEXT) | instid1(VALU_DEP_1)
	v_mul_f64 v[22:23], v[24:25], v[10:11]
	v_fma_f64 v[8:9], -v[8:9], v[22:23], v[24:25]
	s_delay_alu instid0(VALU_DEP_1) | instskip(NEXT) | instid1(VALU_DEP_1)
	v_div_fmas_f64 v[8:9], v[8:9], v[10:11], v[22:23]
	v_div_fixup_f64 v[8:9], v[8:9], v[12:13], v[20:21]
	s_delay_alu instid0(VALU_DEP_1) | instskip(NEXT) | instid1(VALU_DEP_1)
	v_fma_f64 v[10:11], v[20:21], v[8:9], v[12:13]
	v_div_scale_f64 v[12:13], null, v[10:11], v[10:11], 1.0
	v_div_scale_f64 v[24:25], vcc_lo, 1.0, v[10:11], 1.0
	s_delay_alu instid0(VALU_DEP_2) | instskip(SKIP_2) | instid1(VALU_DEP_1)
	v_rcp_f64_e32 v[20:21], v[12:13]
	s_waitcnt_depctr 0xfff
	v_fma_f64 v[22:23], -v[12:13], v[20:21], 1.0
	v_fma_f64 v[20:21], v[20:21], v[22:23], v[20:21]
	s_delay_alu instid0(VALU_DEP_1) | instskip(NEXT) | instid1(VALU_DEP_1)
	v_fma_f64 v[22:23], -v[12:13], v[20:21], 1.0
	v_fma_f64 v[20:21], v[20:21], v[22:23], v[20:21]
	s_delay_alu instid0(VALU_DEP_1) | instskip(NEXT) | instid1(VALU_DEP_1)
	v_mul_f64 v[22:23], v[24:25], v[20:21]
	v_fma_f64 v[12:13], -v[12:13], v[22:23], v[24:25]
	s_delay_alu instid0(VALU_DEP_1) | instskip(SKIP_1) | instid1(VALU_DEP_2)
	v_div_fmas_f64 v[12:13], v[12:13], v[20:21], v[22:23]
	v_add_f64 v[20:21], v[8:9], 0
	v_div_fixup_f64 v[10:11], v[12:13], v[10:11], 1.0
	v_fma_f64 v[12:13], v[8:9], 0, -1.0
	s_delay_alu instid0(VALU_DEP_2) | instskip(NEXT) | instid1(VALU_DEP_2)
	v_mul_f64 v[8:9], v[20:21], v[10:11]
	v_mul_f64 v[10:11], v[12:13], v[10:11]
.LBB167_234:
	s_or_b32 exec_lo, exec_lo, s0
	global_load_b128 v[12:15], v14, s[6:7]
	v_mov_b32_e32 v20, 0
	v_mov_b32_e32 v21, 0
	s_waitcnt vmcnt(0)
	v_cmp_neq_f64_e32 vcc_lo, 0, v[12:13]
	v_cmp_neq_f64_e64 s0, 0, v[14:15]
	s_delay_alu instid0(VALU_DEP_1) | instskip(NEXT) | instid1(SALU_CYCLE_1)
	s_or_b32 s0, vcc_lo, s0
	s_and_saveexec_b32 s2, s0
	s_cbranch_execz .LBB167_266
; %bb.235:
	s_mov_b32 s0, 0
	s_mov_b32 s1, 0x7ff00000
	v_mov_b32_e32 v20, s0
	v_mov_b32_e32 v21, s1
	s_mov_b32 s3, exec_lo
	v_cmpx_neq_f64_e64 0x7ff00000, |v[14:15]|
	s_cbranch_execz .LBB167_265
; %bb.236:
	s_mov_b32 s0, exec_lo
	v_cmpx_o_f64_e32 v[12:13], v[12:13]
	s_xor_b32 s6, exec_lo, s0
	s_cbranch_execz .LBB167_262
; %bb.237:
	s_mov_b32 s1, exec_lo
	v_cmpx_neq_f64_e64 0x7ff00000, |v[12:13]|
	s_xor_b32 s7, exec_lo, s1
	s_cbranch_execz .LBB167_255
; %bb.238:
	v_max_f64 v[20:21], |v[14:15]|, |v[14:15]|
	v_max_f64 v[22:23], |v[12:13]|, |v[12:13]|
	s_mov_b32 s0, 0x99fcef32
	s_mov_b32 s1, 0x7fda8279
                                        ; implicit-def: $sgpr10
	s_delay_alu instid0(VALU_DEP_1) | instskip(NEXT) | instid1(VALU_DEP_1)
	v_max_f64 v[20:21], v[22:23], v[20:21]
	v_cmp_nle_f64_e64 s0, s[0:1], v[20:21]
	s_delay_alu instid0(VALU_DEP_1) | instskip(NEXT) | instid1(SALU_CYCLE_1)
	s_and_saveexec_b32 s1, s0
	s_xor_b32 s1, exec_lo, s1
	s_cbranch_execz .LBB167_242
; %bb.239:
	v_cmp_ge_f64_e64 s10, 0x200000, |v[12:13]|
	v_cmp_ge_f64_e64 s11, 0x200000, |v[14:15]|
	s_delay_alu instid0(VALU_DEP_1)
	s_and_b32 s12, s10, s11
	s_mov_b32 s10, 0
	s_and_saveexec_b32 s11, s12
; %bb.240:
	v_mul_f64 v[12:13], v[12:13], 4.0
	v_mul_f64 v[14:15], v[14:15], 4.0
	s_mov_b32 s10, exec_lo
; %bb.241:
	s_or_b32 exec_lo, exec_lo, s11
	s_delay_alu instid0(SALU_CYCLE_1)
	s_and_b32 s10, s10, exec_lo
.LBB167_242:
	s_and_not1_saveexec_b32 s1, s1
; %bb.243:
	s_delay_alu instid0(VALU_DEP_2) | instskip(NEXT) | instid1(VALU_DEP_2)
	v_ldexp_f64 v[12:13], v[12:13], -2
	v_ldexp_f64 v[14:15], v[14:15], -2
	s_and_not1_b32 s10, s10, exec_lo
; %bb.244:
	s_or_b32 exec_lo, exec_lo, s1
	s_delay_alu instid0(VALU_DEP_1) | instskip(NEXT) | instid1(VALU_DEP_3)
	v_max_f64 v[20:21], |v[14:15]|, |v[14:15]|
	v_max_f64 v[22:23], |v[12:13]|, |v[12:13]|
	v_cmp_class_f64_e64 s11, v[12:13], 0x204
	v_cmp_class_f64_e64 s12, v[14:15], 0x204
	v_cmp_le_f64_e64 s1, 0, v[12:13]
	s_delay_alu instid0(VALU_DEP_4) | instskip(NEXT) | instid1(VALU_DEP_3)
	v_max_f64 v[20:21], v[22:23], v[20:21]
	s_or_b32 s11, s12, s11
	s_delay_alu instid0(VALU_DEP_1) | instskip(NEXT) | instid1(VALU_DEP_1)
	v_frexp_exp_i32_f64_e32 v28, v[20:21]
	v_sub_nc_u32_e32 v22, 0, v28
	s_delay_alu instid0(VALU_DEP_1) | instskip(SKIP_1) | instid1(VALU_DEP_2)
	v_ldexp_f64 v[20:21], |v[14:15]|, v22
	v_ldexp_f64 v[22:23], |v[12:13]|, v22
	v_mul_f64 v[20:21], v[20:21], v[20:21]
	s_delay_alu instid0(VALU_DEP_1) | instskip(NEXT) | instid1(VALU_DEP_1)
	v_fma_f64 v[20:21], v[22:23], v[22:23], v[20:21]
	v_rsq_f64_e32 v[22:23], v[20:21]
	v_cmp_eq_f64_e32 vcc_lo, 0, v[20:21]
	s_waitcnt_depctr 0xfff
	v_mul_f64 v[24:25], v[20:21], v[22:23]
	v_mul_f64 v[22:23], v[22:23], 0.5
	s_delay_alu instid0(VALU_DEP_1) | instskip(NEXT) | instid1(VALU_DEP_1)
	v_fma_f64 v[26:27], -v[22:23], v[24:25], 0.5
	v_fma_f64 v[24:25], v[24:25], v[26:27], v[24:25]
	v_fma_f64 v[22:23], v[22:23], v[26:27], v[22:23]
	s_delay_alu instid0(VALU_DEP_2) | instskip(NEXT) | instid1(VALU_DEP_1)
	v_fma_f64 v[26:27], -v[24:25], v[24:25], v[20:21]
	v_fma_f64 v[22:23], v[26:27], v[22:23], v[24:25]
	s_delay_alu instid0(VALU_DEP_1) | instskip(SKIP_1) | instid1(VALU_DEP_2)
	v_dual_cndmask_b32 v21, v23, v21 :: v_dual_cndmask_b32 v20, v22, v20
	v_cmp_o_f64_e32 vcc_lo, v[14:15], v[14:15]
	v_ldexp_f64 v[20:21], v[20:21], v28
	s_delay_alu instid0(VALU_DEP_1) | instskip(NEXT) | instid1(VALU_DEP_2)
	v_cndmask_b32_e32 v20, 0, v20, vcc_lo
	v_cndmask_b32_e32 v21, 0x7ff80000, v21, vcc_lo
	s_delay_alu instid0(VALU_DEP_2) | instskip(NEXT) | instid1(VALU_DEP_2)
	v_cndmask_b32_e64 v20, v20, 0, s11
	v_cndmask_b32_e64 v21, v21, 0x7ff00000, s11
	s_and_saveexec_b32 s11, s1
	s_delay_alu instid0(SALU_CYCLE_1)
	s_xor_b32 s1, exec_lo, s11
	s_cbranch_execz .LBB167_250
; %bb.245:
	s_delay_alu instid0(VALU_DEP_1) | instskip(NEXT) | instid1(VALU_DEP_1)
	v_add_f64 v[12:13], v[12:13], v[20:21]
	v_mul_f64 v[12:13], v[12:13], 0.5
	s_delay_alu instid0(VALU_DEP_1) | instskip(SKIP_1) | instid1(VALU_DEP_1)
	v_cmp_gt_f64_e32 vcc_lo, 0x10000000, v[12:13]
	v_cndmask_b32_e64 v20, 0, 1, vcc_lo
	v_lshlrev_b32_e32 v20, 8, v20
	s_delay_alu instid0(VALU_DEP_1) | instskip(NEXT) | instid1(VALU_DEP_1)
	v_ldexp_f64 v[12:13], v[12:13], v20
	v_rsq_f64_e32 v[20:21], v[12:13]
	s_waitcnt_depctr 0xfff
	v_mul_f64 v[22:23], v[12:13], v[20:21]
	v_mul_f64 v[20:21], v[20:21], 0.5
	s_delay_alu instid0(VALU_DEP_1) | instskip(NEXT) | instid1(VALU_DEP_1)
	v_fma_f64 v[24:25], -v[20:21], v[22:23], 0.5
	v_fma_f64 v[22:23], v[22:23], v[24:25], v[22:23]
	v_fma_f64 v[20:21], v[20:21], v[24:25], v[20:21]
	s_delay_alu instid0(VALU_DEP_2) | instskip(NEXT) | instid1(VALU_DEP_1)
	v_fma_f64 v[24:25], -v[22:23], v[22:23], v[12:13]
	v_fma_f64 v[22:23], v[24:25], v[20:21], v[22:23]
	s_delay_alu instid0(VALU_DEP_1) | instskip(NEXT) | instid1(VALU_DEP_1)
	v_fma_f64 v[24:25], -v[22:23], v[22:23], v[12:13]
	v_fma_f64 v[20:21], v[24:25], v[20:21], v[22:23]
	v_cndmask_b32_e64 v22, 0, 0xffffff80, vcc_lo
	v_cmp_class_f64_e64 vcc_lo, v[12:13], 0x260
	s_delay_alu instid0(VALU_DEP_2) | instskip(NEXT) | instid1(VALU_DEP_1)
	v_ldexp_f64 v[20:21], v[20:21], v22
	v_dual_cndmask_b32 v13, v21, v13 :: v_dual_cndmask_b32 v12, v20, v12
	s_delay_alu instid0(VALU_DEP_1) | instskip(NEXT) | instid1(VALU_DEP_1)
	v_add_f64 v[20:21], v[12:13], v[12:13]
	v_div_scale_f64 v[22:23], null, v[20:21], v[20:21], v[14:15]
	s_delay_alu instid0(VALU_DEP_1) | instskip(SKIP_2) | instid1(VALU_DEP_1)
	v_rcp_f64_e32 v[24:25], v[22:23]
	s_waitcnt_depctr 0xfff
	v_fma_f64 v[26:27], -v[22:23], v[24:25], 1.0
	v_fma_f64 v[24:25], v[24:25], v[26:27], v[24:25]
	s_delay_alu instid0(VALU_DEP_1) | instskip(NEXT) | instid1(VALU_DEP_1)
	v_fma_f64 v[26:27], -v[22:23], v[24:25], 1.0
	v_fma_f64 v[24:25], v[24:25], v[26:27], v[24:25]
	v_div_scale_f64 v[26:27], vcc_lo, v[14:15], v[20:21], v[14:15]
	s_delay_alu instid0(VALU_DEP_1) | instskip(NEXT) | instid1(VALU_DEP_1)
	v_mul_f64 v[28:29], v[26:27], v[24:25]
	v_fma_f64 v[22:23], -v[22:23], v[28:29], v[26:27]
	s_delay_alu instid0(VALU_DEP_1) | instskip(NEXT) | instid1(VALU_DEP_1)
	v_div_fmas_f64 v[22:23], v[22:23], v[24:25], v[28:29]
	v_div_fixup_f64 v[14:15], v[22:23], v[20:21], v[14:15]
                                        ; implicit-def: $vgpr20_vgpr21
	s_and_not1_saveexec_b32 s1, s1
	s_cbranch_execnz .LBB167_251
.LBB167_246:
	s_or_b32 exec_lo, exec_lo, s1
	s_and_saveexec_b32 s1, s0
	s_delay_alu instid0(SALU_CYCLE_1)
	s_xor_b32 s0, exec_lo, s1
	s_cbranch_execz .LBB167_252
.LBB167_247:
	s_and_saveexec_b32 s1, s10
; %bb.248:
	s_delay_alu instid0(VALU_DEP_2) | instskip(NEXT) | instid1(VALU_DEP_2)
	v_mul_f64 v[12:13], v[12:13], 0.5
	v_mul_f64 v[14:15], v[14:15], 0.5
; %bb.249:
	s_or_b32 exec_lo, exec_lo, s1
	s_and_not1_saveexec_b32 s0, s0
	s_cbranch_execnz .LBB167_253
	s_branch .LBB167_254
.LBB167_250:
	s_and_not1_saveexec_b32 s1, s1
	s_cbranch_execz .LBB167_246
.LBB167_251:
	v_add_f64 v[12:13], v[20:21], -v[12:13]
	s_delay_alu instid0(VALU_DEP_1) | instskip(NEXT) | instid1(VALU_DEP_1)
	v_mul_f64 v[12:13], v[12:13], 0.5
	v_cmp_gt_f64_e32 vcc_lo, 0x10000000, v[12:13]
	v_cndmask_b32_e64 v20, 0, 1, vcc_lo
	s_delay_alu instid0(VALU_DEP_1) | instskip(NEXT) | instid1(VALU_DEP_1)
	v_lshlrev_b32_e32 v20, 8, v20
	v_ldexp_f64 v[12:13], v[12:13], v20
	s_delay_alu instid0(VALU_DEP_1) | instskip(SKIP_3) | instid1(VALU_DEP_1)
	v_rsq_f64_e32 v[20:21], v[12:13]
	s_waitcnt_depctr 0xfff
	v_mul_f64 v[22:23], v[12:13], v[20:21]
	v_mul_f64 v[20:21], v[20:21], 0.5
	v_fma_f64 v[24:25], -v[20:21], v[22:23], 0.5
	s_delay_alu instid0(VALU_DEP_1) | instskip(SKIP_1) | instid1(VALU_DEP_2)
	v_fma_f64 v[22:23], v[22:23], v[24:25], v[22:23]
	v_fma_f64 v[20:21], v[20:21], v[24:25], v[20:21]
	v_fma_f64 v[24:25], -v[22:23], v[22:23], v[12:13]
	s_delay_alu instid0(VALU_DEP_1) | instskip(NEXT) | instid1(VALU_DEP_1)
	v_fma_f64 v[22:23], v[24:25], v[20:21], v[22:23]
	v_fma_f64 v[24:25], -v[22:23], v[22:23], v[12:13]
	s_delay_alu instid0(VALU_DEP_1) | instskip(SKIP_3) | instid1(VALU_DEP_3)
	v_fma_f64 v[20:21], v[24:25], v[20:21], v[22:23]
	v_cndmask_b32_e64 v22, 0, 0xffffff80, vcc_lo
	v_cmp_class_f64_e64 vcc_lo, v[12:13], 0x260
	v_and_b32_e32 v23, 0x7fffffff, v15
	v_ldexp_f64 v[20:21], v[20:21], v22
	s_delay_alu instid0(VALU_DEP_1) | instskip(NEXT) | instid1(VALU_DEP_1)
	v_dual_cndmask_b32 v21, v21, v13 :: v_dual_cndmask_b32 v20, v20, v12
	v_add_f64 v[12:13], v[20:21], v[20:21]
	v_bfi_b32 v21, 0x7fffffff, v21, v15
	v_mov_b32_e32 v22, v14
	s_delay_alu instid0(VALU_DEP_1) | instskip(SKIP_1) | instid1(VALU_DEP_2)
	v_div_scale_f64 v[24:25], null, v[12:13], v[12:13], v[22:23]
	v_div_scale_f64 v[22:23], vcc_lo, v[22:23], v[12:13], v[22:23]
	v_rcp_f64_e32 v[26:27], v[24:25]
	s_waitcnt_depctr 0xfff
	v_fma_f64 v[28:29], -v[24:25], v[26:27], 1.0
	s_delay_alu instid0(VALU_DEP_1) | instskip(NEXT) | instid1(VALU_DEP_1)
	v_fma_f64 v[26:27], v[26:27], v[28:29], v[26:27]
	v_fma_f64 v[28:29], -v[24:25], v[26:27], 1.0
	s_delay_alu instid0(VALU_DEP_1) | instskip(NEXT) | instid1(VALU_DEP_1)
	v_fma_f64 v[26:27], v[26:27], v[28:29], v[26:27]
	v_mul_f64 v[28:29], v[22:23], v[26:27]
	s_delay_alu instid0(VALU_DEP_1) | instskip(NEXT) | instid1(VALU_DEP_1)
	v_fma_f64 v[22:23], -v[24:25], v[28:29], v[22:23]
	v_div_fmas_f64 v[22:23], v[22:23], v[26:27], v[28:29]
	s_delay_alu instid0(VALU_DEP_1) | instskip(SKIP_3) | instid1(SALU_CYCLE_1)
	v_div_fixup_f64 v[12:13], v[22:23], v[12:13], |v[14:15]|
	v_dual_mov_b32 v14, v20 :: v_dual_mov_b32 v15, v21
	s_or_b32 exec_lo, exec_lo, s1
	s_and_saveexec_b32 s1, s0
	s_xor_b32 s0, exec_lo, s1
	s_cbranch_execnz .LBB167_247
.LBB167_252:
	s_and_not1_saveexec_b32 s0, s0
.LBB167_253:
	s_delay_alu instid0(VALU_DEP_2) | instskip(NEXT) | instid1(VALU_DEP_2)
	v_add_f64 v[12:13], v[12:13], v[12:13]
	v_add_f64 v[14:15], v[14:15], v[14:15]
.LBB167_254:
	s_or_b32 exec_lo, exec_lo, s0
.LBB167_255:
	s_and_not1_saveexec_b32 s0, s7
	s_cbranch_execz .LBB167_261
; %bb.256:
	s_delay_alu instid0(VALU_DEP_1) | instskip(SKIP_1) | instid1(VALU_DEP_3)
	v_add_f64 v[20:21], v[14:15], -v[14:15]
	s_mov_b32 s1, exec_lo
	v_cmpx_lt_i64_e32 -1, v[12:13]
	s_xor_b32 s1, exec_lo, s1
; %bb.257:
	s_delay_alu instid0(VALU_DEP_2) | instskip(NEXT) | instid1(VALU_DEP_1)
	v_bfi_b32 v21, 0x7fffffff, v21, v15
	v_dual_mov_b32 v14, v20 :: v_dual_mov_b32 v15, v21
                                        ; implicit-def: $vgpr20_vgpr21
; %bb.258:
	s_and_not1_saveexec_b32 s1, s1
; %bb.259:
	s_delay_alu instid0(VALU_DEP_1) | instskip(SKIP_1) | instid1(VALU_DEP_2)
	v_bfi_b32 v13, 0x7fffffff, v13, v15
	v_and_b32_e32 v21, 0x7fffffff, v21
	v_dual_mov_b32 v15, v13 :: v_dual_mov_b32 v14, v12
	s_delay_alu instid0(VALU_DEP_2)
	v_dual_mov_b32 v12, v20 :: v_dual_mov_b32 v13, v21
; %bb.260:
	s_or_b32 exec_lo, exec_lo, s1
.LBB167_261:
	s_delay_alu instid0(SALU_CYCLE_1)
	s_or_b32 exec_lo, exec_lo, s0
.LBB167_262:
	s_and_not1_saveexec_b32 s0, s6
; %bb.263:
	s_delay_alu instid0(VALU_DEP_1) | instskip(NEXT) | instid1(VALU_DEP_1)
	v_add_f64 v[14:15], v[14:15], -v[14:15]
	v_div_scale_f64 v[20:21], vcc_lo, v[14:15], v[14:15], v[14:15]
	s_delay_alu instid0(VALU_DEP_1) | instskip(SKIP_2) | instid1(VALU_DEP_1)
	v_rcp_f64_e32 v[22:23], v[20:21]
	s_waitcnt_depctr 0xfff
	v_fma_f64 v[24:25], -v[20:21], v[22:23], 1.0
	v_fma_f64 v[22:23], v[22:23], v[24:25], v[22:23]
	s_delay_alu instid0(VALU_DEP_1) | instskip(NEXT) | instid1(VALU_DEP_1)
	v_fma_f64 v[24:25], -v[20:21], v[22:23], 1.0
	v_fma_f64 v[22:23], v[22:23], v[24:25], v[22:23]
	s_delay_alu instid0(VALU_DEP_1) | instskip(NEXT) | instid1(VALU_DEP_1)
	v_mul_f64 v[24:25], v[20:21], v[22:23]
	v_fma_f64 v[20:21], -v[20:21], v[24:25], v[20:21]
	s_delay_alu instid0(VALU_DEP_1) | instskip(NEXT) | instid1(VALU_DEP_1)
	v_div_fmas_f64 v[20:21], v[20:21], v[22:23], v[24:25]
	v_div_fixup_f64 v[14:15], v[20:21], v[14:15], v[14:15]
; %bb.264:
	s_or_b32 exec_lo, exec_lo, s0
	v_dual_mov_b32 v21, v13 :: v_dual_mov_b32 v20, v12
.LBB167_265:
	s_or_b32 exec_lo, exec_lo, s3
.LBB167_266:
	s_delay_alu instid0(SALU_CYCLE_1) | instskip(NEXT) | instid1(VALU_DEP_1)
	s_or_b32 exec_lo, exec_lo, s2
	v_cmp_gt_f64_e32 vcc_lo, 0, v[20:21]
	s_delay_alu instid0(VALU_DEP_3) | instskip(SKIP_2) | instid1(VALU_DEP_2)
	v_cmp_gt_f64_e64 s0, 0, v[14:15]
	v_xor_b32_e32 v12, 0x80000000, v21
	v_xor_b32_e32 v13, 0x80000000, v15
                                        ; implicit-def: $vgpr22_vgpr23
	v_cndmask_b32_e32 v25, v21, v12, vcc_lo
	s_delay_alu instid0(VALU_DEP_2) | instskip(SKIP_3) | instid1(VALU_DEP_1)
	v_cndmask_b32_e64 v27, v15, v13, s0
	v_cndmask_b32_e32 v24, v20, v20, vcc_lo
	v_cndmask_b32_e64 v26, v14, v14, s0
                                        ; implicit-def: $vgpr12_vgpr13
	s_mov_b32 s0, exec_lo
	v_cmpx_ge_f64_e32 v[24:25], v[26:27]
	s_xor_b32 s1, exec_lo, s0
	s_cbranch_execz .LBB167_272
; %bb.267:
	v_cmp_neq_f64_e32 vcc_lo, 0, v[20:21]
	v_cmp_neq_f64_e64 s0, 0, v[14:15]
                                        ; implicit-def: $vgpr12_vgpr13
                                        ; implicit-def: $vgpr22_vgpr23
	s_delay_alu instid0(VALU_DEP_1) | instskip(NEXT) | instid1(SALU_CYCLE_1)
	s_or_b32 s0, vcc_lo, s0
	s_and_saveexec_b32 s2, s0
	s_delay_alu instid0(SALU_CYCLE_1)
	s_xor_b32 s0, exec_lo, s2
	s_cbranch_execz .LBB167_269
; %bb.268:
	v_div_scale_f64 v[12:13], null, v[20:21], v[20:21], v[14:15]
	v_div_scale_f64 v[26:27], vcc_lo, v[14:15], v[20:21], v[14:15]
	s_delay_alu instid0(VALU_DEP_2) | instskip(SKIP_2) | instid1(VALU_DEP_1)
	v_rcp_f64_e32 v[22:23], v[12:13]
	s_waitcnt_depctr 0xfff
	v_fma_f64 v[24:25], -v[12:13], v[22:23], 1.0
	v_fma_f64 v[22:23], v[22:23], v[24:25], v[22:23]
	s_delay_alu instid0(VALU_DEP_1) | instskip(NEXT) | instid1(VALU_DEP_1)
	v_fma_f64 v[24:25], -v[12:13], v[22:23], 1.0
	v_fma_f64 v[22:23], v[22:23], v[24:25], v[22:23]
	s_delay_alu instid0(VALU_DEP_1) | instskip(NEXT) | instid1(VALU_DEP_1)
	v_mul_f64 v[24:25], v[26:27], v[22:23]
	v_fma_f64 v[12:13], -v[12:13], v[24:25], v[26:27]
	s_delay_alu instid0(VALU_DEP_1) | instskip(NEXT) | instid1(VALU_DEP_1)
	v_div_fmas_f64 v[12:13], v[12:13], v[22:23], v[24:25]
	v_div_fixup_f64 v[12:13], v[12:13], v[20:21], v[14:15]
	s_delay_alu instid0(VALU_DEP_1) | instskip(NEXT) | instid1(VALU_DEP_1)
	v_fma_f64 v[14:15], v[14:15], v[12:13], v[20:21]
	v_div_scale_f64 v[20:21], null, v[14:15], v[14:15], 1.0
	v_div_scale_f64 v[26:27], vcc_lo, 1.0, v[14:15], 1.0
	s_delay_alu instid0(VALU_DEP_2) | instskip(SKIP_2) | instid1(VALU_DEP_1)
	v_rcp_f64_e32 v[22:23], v[20:21]
	s_waitcnt_depctr 0xfff
	v_fma_f64 v[24:25], -v[20:21], v[22:23], 1.0
	v_fma_f64 v[22:23], v[22:23], v[24:25], v[22:23]
	s_delay_alu instid0(VALU_DEP_1) | instskip(NEXT) | instid1(VALU_DEP_1)
	v_fma_f64 v[24:25], -v[20:21], v[22:23], 1.0
	v_fma_f64 v[22:23], v[22:23], v[24:25], v[22:23]
	s_delay_alu instid0(VALU_DEP_1) | instskip(NEXT) | instid1(VALU_DEP_1)
	v_mul_f64 v[24:25], v[26:27], v[22:23]
	v_fma_f64 v[20:21], -v[20:21], v[24:25], v[26:27]
                                        ; implicit-def: $vgpr26_vgpr27
	s_delay_alu instid0(VALU_DEP_1) | instskip(SKIP_2) | instid1(VALU_DEP_3)
	v_div_fmas_f64 v[20:21], v[20:21], v[22:23], v[24:25]
	v_fma_f64 v[22:23], v[12:13], 0, 1.0
	v_add_f64 v[12:13], -v[12:13], 0
                                        ; implicit-def: $vgpr24_vgpr25
	v_div_fixup_f64 v[14:15], v[20:21], v[14:15], 1.0
	s_delay_alu instid0(VALU_DEP_1) | instskip(NEXT) | instid1(VALU_DEP_3)
	v_mul_f64 v[22:23], v[22:23], v[14:15]
	v_mul_f64 v[12:13], v[12:13], v[14:15]
.LBB167_269:
	s_and_not1_saveexec_b32 s2, s0
	s_cbranch_execz .LBB167_271
; %bb.270:
	v_div_scale_f64 v[12:13], null, v[24:25], v[24:25], 1.0
	v_div_scale_f64 v[14:15], null, v[26:27], v[26:27], 0
	v_div_scale_f64 v[32:33], vcc_lo, 1.0, v[24:25], 1.0
	s_delay_alu instid0(VALU_DEP_3) | instskip(NEXT) | instid1(VALU_DEP_2)
	v_rcp_f64_e32 v[20:21], v[12:13]
	v_rcp_f64_e32 v[22:23], v[14:15]
	s_waitcnt_depctr 0xfff
	v_fma_f64 v[28:29], -v[12:13], v[20:21], 1.0
	v_fma_f64 v[30:31], -v[14:15], v[22:23], 1.0
	s_delay_alu instid0(VALU_DEP_2) | instskip(NEXT) | instid1(VALU_DEP_2)
	v_fma_f64 v[20:21], v[20:21], v[28:29], v[20:21]
	v_fma_f64 v[22:23], v[22:23], v[30:31], v[22:23]
	s_delay_alu instid0(VALU_DEP_2) | instskip(NEXT) | instid1(VALU_DEP_2)
	v_fma_f64 v[28:29], -v[12:13], v[20:21], 1.0
	v_fma_f64 v[30:31], -v[14:15], v[22:23], 1.0
	s_delay_alu instid0(VALU_DEP_2) | instskip(SKIP_1) | instid1(VALU_DEP_3)
	v_fma_f64 v[20:21], v[20:21], v[28:29], v[20:21]
	v_div_scale_f64 v[28:29], s0, 0, v[26:27], 0
	v_fma_f64 v[22:23], v[22:23], v[30:31], v[22:23]
	s_delay_alu instid0(VALU_DEP_3) | instskip(NEXT) | instid1(VALU_DEP_2)
	v_mul_f64 v[30:31], v[32:33], v[20:21]
	v_mul_f64 v[34:35], v[28:29], v[22:23]
	s_delay_alu instid0(VALU_DEP_2) | instskip(NEXT) | instid1(VALU_DEP_2)
	v_fma_f64 v[12:13], -v[12:13], v[30:31], v[32:33]
	v_fma_f64 v[14:15], -v[14:15], v[34:35], v[28:29]
	s_delay_alu instid0(VALU_DEP_2) | instskip(SKIP_1) | instid1(VALU_DEP_2)
	v_div_fmas_f64 v[12:13], v[12:13], v[20:21], v[30:31]
	s_mov_b32 vcc_lo, s0
	v_div_fmas_f64 v[14:15], v[14:15], v[22:23], v[34:35]
	s_delay_alu instid0(VALU_DEP_2) | instskip(NEXT) | instid1(VALU_DEP_2)
	v_div_fixup_f64 v[22:23], v[12:13], v[24:25], 1.0
	v_div_fixup_f64 v[12:13], v[14:15], v[26:27], 0
.LBB167_271:
	s_or_b32 exec_lo, exec_lo, s2
                                        ; implicit-def: $vgpr14_vgpr15
                                        ; implicit-def: $vgpr20_vgpr21
.LBB167_272:
	s_and_not1_saveexec_b32 s0, s1
	s_cbranch_execz .LBB167_274
; %bb.273:
	v_div_scale_f64 v[12:13], null, v[14:15], v[14:15], v[20:21]
	v_div_scale_f64 v[26:27], vcc_lo, v[20:21], v[14:15], v[20:21]
	s_delay_alu instid0(VALU_DEP_2) | instskip(SKIP_2) | instid1(VALU_DEP_1)
	v_rcp_f64_e32 v[22:23], v[12:13]
	s_waitcnt_depctr 0xfff
	v_fma_f64 v[24:25], -v[12:13], v[22:23], 1.0
	v_fma_f64 v[22:23], v[22:23], v[24:25], v[22:23]
	s_delay_alu instid0(VALU_DEP_1) | instskip(NEXT) | instid1(VALU_DEP_1)
	v_fma_f64 v[24:25], -v[12:13], v[22:23], 1.0
	v_fma_f64 v[22:23], v[22:23], v[24:25], v[22:23]
	s_delay_alu instid0(VALU_DEP_1) | instskip(NEXT) | instid1(VALU_DEP_1)
	v_mul_f64 v[24:25], v[26:27], v[22:23]
	v_fma_f64 v[12:13], -v[12:13], v[24:25], v[26:27]
	s_delay_alu instid0(VALU_DEP_1) | instskip(NEXT) | instid1(VALU_DEP_1)
	v_div_fmas_f64 v[12:13], v[12:13], v[22:23], v[24:25]
	v_div_fixup_f64 v[12:13], v[12:13], v[14:15], v[20:21]
	s_delay_alu instid0(VALU_DEP_1) | instskip(NEXT) | instid1(VALU_DEP_1)
	v_fma_f64 v[14:15], v[20:21], v[12:13], v[14:15]
	v_div_scale_f64 v[20:21], null, v[14:15], v[14:15], 1.0
	v_div_scale_f64 v[26:27], vcc_lo, 1.0, v[14:15], 1.0
	s_delay_alu instid0(VALU_DEP_2) | instskip(SKIP_2) | instid1(VALU_DEP_1)
	v_rcp_f64_e32 v[22:23], v[20:21]
	s_waitcnt_depctr 0xfff
	v_fma_f64 v[24:25], -v[20:21], v[22:23], 1.0
	v_fma_f64 v[22:23], v[22:23], v[24:25], v[22:23]
	s_delay_alu instid0(VALU_DEP_1) | instskip(NEXT) | instid1(VALU_DEP_1)
	v_fma_f64 v[24:25], -v[20:21], v[22:23], 1.0
	v_fma_f64 v[22:23], v[22:23], v[24:25], v[22:23]
	s_delay_alu instid0(VALU_DEP_1) | instskip(NEXT) | instid1(VALU_DEP_1)
	v_mul_f64 v[24:25], v[26:27], v[22:23]
	v_fma_f64 v[20:21], -v[20:21], v[24:25], v[26:27]
	s_delay_alu instid0(VALU_DEP_1) | instskip(SKIP_2) | instid1(VALU_DEP_3)
	v_div_fmas_f64 v[20:21], v[20:21], v[22:23], v[24:25]
	v_add_f64 v[22:23], v[12:13], 0
	v_fma_f64 v[12:13], v[12:13], 0, -1.0
	v_div_fixup_f64 v[14:15], v[20:21], v[14:15], 1.0
	s_delay_alu instid0(VALU_DEP_1) | instskip(NEXT) | instid1(VALU_DEP_3)
	v_mul_f64 v[22:23], v[22:23], v[14:15]
	v_mul_f64 v[12:13], v[12:13], v[14:15]
.LBB167_274:
	s_or_b32 exec_lo, exec_lo, s0
	v_add_co_u32 v14, s0, s4, v19
	s_delay_alu instid0(VALU_DEP_1)
	v_add_co_ci_u32_e64 v15, null, s5, 0, s0
	s_or_b32 s8, s8, exec_lo
	s_clause 0x3
	global_store_b128 v16, v[0:3], s[4:5]
	global_store_b128 v17, v[4:7], s[4:5]
	;; [unrolled: 1-line block ×3, first 2 shown]
	global_store_b64 v19, v[22:23], s[4:5]
	s_or_b32 exec_lo, exec_lo, s9
	s_and_saveexec_b32 s0, s8
	s_cbranch_execnz .LBB167_438
.LBB167_275:
	s_nop 0
	s_sendmsg sendmsg(MSG_DEALLOC_VGPRS)
	s_endpgm
.LBB167_276:
	s_and_not1_saveexec_b32 s3, s3
	s_cbranch_execz .LBB167_103
.LBB167_277:
	v_add_f64 v[0:1], v[4:5], -v[0:1]
	s_delay_alu instid0(VALU_DEP_1) | instskip(NEXT) | instid1(VALU_DEP_1)
	v_mul_f64 v[0:1], v[0:1], 0.5
	v_cmp_gt_f64_e32 vcc_lo, 0x10000000, v[0:1]
	v_cndmask_b32_e64 v4, 0, 1, vcc_lo
	s_delay_alu instid0(VALU_DEP_1) | instskip(NEXT) | instid1(VALU_DEP_1)
	v_lshlrev_b32_e32 v4, 8, v4
	v_ldexp_f64 v[0:1], v[0:1], v4
	s_delay_alu instid0(VALU_DEP_1) | instskip(SKIP_3) | instid1(VALU_DEP_1)
	v_rsq_f64_e32 v[4:5], v[0:1]
	s_waitcnt_depctr 0xfff
	v_mul_f64 v[6:7], v[0:1], v[4:5]
	v_mul_f64 v[4:5], v[4:5], 0.5
	v_fma_f64 v[9:10], -v[4:5], v[6:7], 0.5
	s_delay_alu instid0(VALU_DEP_1) | instskip(SKIP_1) | instid1(VALU_DEP_2)
	v_fma_f64 v[6:7], v[6:7], v[9:10], v[6:7]
	v_fma_f64 v[4:5], v[4:5], v[9:10], v[4:5]
	v_fma_f64 v[9:10], -v[6:7], v[6:7], v[0:1]
	s_delay_alu instid0(VALU_DEP_1) | instskip(NEXT) | instid1(VALU_DEP_1)
	v_fma_f64 v[6:7], v[9:10], v[4:5], v[6:7]
	v_fma_f64 v[9:10], -v[6:7], v[6:7], v[0:1]
	s_delay_alu instid0(VALU_DEP_1) | instskip(SKIP_3) | instid1(VALU_DEP_3)
	v_fma_f64 v[4:5], v[9:10], v[4:5], v[6:7]
	v_cndmask_b32_e64 v6, 0, 0xffffff80, vcc_lo
	v_cmp_class_f64_e64 vcc_lo, v[0:1], 0x260
	v_and_b32_e32 v7, 0x7fffffff, v3
	v_ldexp_f64 v[4:5], v[4:5], v6
	s_delay_alu instid0(VALU_DEP_1) | instskip(NEXT) | instid1(VALU_DEP_1)
	v_dual_cndmask_b32 v5, v5, v1 :: v_dual_cndmask_b32 v4, v4, v0
	v_add_f64 v[0:1], v[4:5], v[4:5]
	v_bfi_b32 v5, 0x7fffffff, v5, v3
	v_mov_b32_e32 v6, v2
	s_delay_alu instid0(VALU_DEP_1) | instskip(SKIP_1) | instid1(VALU_DEP_2)
	v_div_scale_f64 v[9:10], null, v[0:1], v[0:1], v[6:7]
	v_div_scale_f64 v[6:7], vcc_lo, v[6:7], v[0:1], v[6:7]
	v_rcp_f64_e32 v[11:12], v[9:10]
	s_waitcnt_depctr 0xfff
	v_fma_f64 v[13:14], -v[9:10], v[11:12], 1.0
	s_delay_alu instid0(VALU_DEP_1) | instskip(NEXT) | instid1(VALU_DEP_1)
	v_fma_f64 v[11:12], v[11:12], v[13:14], v[11:12]
	v_fma_f64 v[13:14], -v[9:10], v[11:12], 1.0
	s_delay_alu instid0(VALU_DEP_1) | instskip(NEXT) | instid1(VALU_DEP_1)
	v_fma_f64 v[11:12], v[11:12], v[13:14], v[11:12]
	v_mul_f64 v[13:14], v[6:7], v[11:12]
	s_delay_alu instid0(VALU_DEP_1) | instskip(NEXT) | instid1(VALU_DEP_1)
	v_fma_f64 v[6:7], -v[9:10], v[13:14], v[6:7]
	v_div_fmas_f64 v[6:7], v[6:7], v[11:12], v[13:14]
	s_delay_alu instid0(VALU_DEP_1) | instskip(SKIP_3) | instid1(SALU_CYCLE_1)
	v_div_fixup_f64 v[0:1], v[6:7], v[0:1], |v[2:3]|
	v_dual_mov_b32 v2, v4 :: v_dual_mov_b32 v3, v5
	s_or_b32 exec_lo, exec_lo, s3
	s_and_saveexec_b32 s3, s2
	s_xor_b32 s2, exec_lo, s3
	s_cbranch_execnz .LBB167_104
.LBB167_278:
	s_and_not1_saveexec_b32 s2, s2
.LBB167_279:
	s_delay_alu instid0(VALU_DEP_2) | instskip(NEXT) | instid1(VALU_DEP_2)
	v_add_f64 v[0:1], v[0:1], v[0:1]
	v_add_f64 v[2:3], v[2:3], v[2:3]
.LBB167_280:
	s_or_b32 exec_lo, exec_lo, s2
.LBB167_281:
	s_and_not1_saveexec_b32 s2, s33
	s_cbranch_execz .LBB167_287
; %bb.282:
	s_delay_alu instid0(VALU_DEP_1) | instskip(SKIP_1) | instid1(VALU_DEP_3)
	v_add_f64 v[4:5], v[2:3], -v[2:3]
	s_mov_b32 s3, exec_lo
	v_cmpx_lt_i64_e32 -1, v[0:1]
	s_xor_b32 s3, exec_lo, s3
; %bb.283:
	s_delay_alu instid0(VALU_DEP_2) | instskip(NEXT) | instid1(VALU_DEP_1)
	v_bfi_b32 v5, 0x7fffffff, v5, v3
	v_dual_mov_b32 v2, v4 :: v_dual_mov_b32 v3, v5
                                        ; implicit-def: $vgpr4_vgpr5
; %bb.284:
	s_and_not1_saveexec_b32 s3, s3
; %bb.285:
	s_delay_alu instid0(VALU_DEP_1) | instskip(SKIP_1) | instid1(VALU_DEP_2)
	v_bfi_b32 v1, 0x7fffffff, v1, v3
	v_and_b32_e32 v5, 0x7fffffff, v5
	v_dual_mov_b32 v3, v1 :: v_dual_mov_b32 v2, v0
	s_delay_alu instid0(VALU_DEP_2)
	v_dual_mov_b32 v0, v4 :: v_dual_mov_b32 v1, v5
; %bb.286:
	s_or_b32 exec_lo, exec_lo, s3
.LBB167_287:
	s_delay_alu instid0(SALU_CYCLE_1)
	s_or_b32 exec_lo, exec_lo, s2
.LBB167_288:
	s_and_not1_saveexec_b32 s2, s31
; %bb.289:
	s_delay_alu instid0(VALU_DEP_1) | instskip(NEXT) | instid1(VALU_DEP_1)
	v_add_f64 v[2:3], v[2:3], -v[2:3]
	v_div_scale_f64 v[4:5], vcc_lo, v[2:3], v[2:3], v[2:3]
	s_delay_alu instid0(VALU_DEP_1) | instskip(SKIP_2) | instid1(VALU_DEP_1)
	v_rcp_f64_e32 v[6:7], v[4:5]
	s_waitcnt_depctr 0xfff
	v_fma_f64 v[9:10], -v[4:5], v[6:7], 1.0
	v_fma_f64 v[6:7], v[6:7], v[9:10], v[6:7]
	s_delay_alu instid0(VALU_DEP_1) | instskip(NEXT) | instid1(VALU_DEP_1)
	v_fma_f64 v[9:10], -v[4:5], v[6:7], 1.0
	v_fma_f64 v[6:7], v[6:7], v[9:10], v[6:7]
	s_delay_alu instid0(VALU_DEP_1) | instskip(NEXT) | instid1(VALU_DEP_1)
	v_mul_f64 v[9:10], v[4:5], v[6:7]
	v_fma_f64 v[4:5], -v[4:5], v[9:10], v[4:5]
	s_delay_alu instid0(VALU_DEP_1) | instskip(NEXT) | instid1(VALU_DEP_1)
	v_div_fmas_f64 v[4:5], v[4:5], v[6:7], v[9:10]
	v_div_fixup_f64 v[2:3], v[4:5], v[2:3], v[2:3]
; %bb.290:
	s_or_b32 exec_lo, exec_lo, s2
	v_dual_mov_b32 v10, v1 :: v_dual_mov_b32 v9, v0
.LBB167_291:
	s_or_b32 exec_lo, exec_lo, s21
.LBB167_292:
	s_delay_alu instid0(SALU_CYCLE_1) | instskip(NEXT) | instid1(VALU_DEP_1)
	s_or_b32 exec_lo, exec_lo, s20
	v_cmp_gt_f64_e32 vcc_lo, 0, v[9:10]
	s_delay_alu instid0(VALU_DEP_3) | instskip(SKIP_2) | instid1(VALU_DEP_2)
	v_cmp_gt_f64_e64 s2, 0, v[2:3]
	v_xor_b32_e32 v0, 0x80000000, v10
	v_xor_b32_e32 v4, 0x80000000, v3
                                        ; implicit-def: $vgpr6_vgpr7
	v_dual_cndmask_b32 v1, v10, v0 :: v_dual_cndmask_b32 v0, v9, v9
	s_delay_alu instid0(VALU_DEP_2) | instskip(SKIP_2) | instid1(VALU_DEP_1)
	v_cndmask_b32_e64 v12, v3, v4, s2
	v_cndmask_b32_e64 v11, v2, v2, s2
	s_mov_b32 s2, exec_lo
	v_cmpx_ge_f64_e32 v[0:1], v[11:12]
	s_xor_b32 s3, exec_lo, s2
	s_cbranch_execz .LBB167_298
; %bb.293:
	v_cmp_neq_f64_e32 vcc_lo, 0, v[9:10]
	v_cmp_neq_f64_e64 s2, 0, v[2:3]
                                        ; implicit-def: $vgpr6_vgpr7
	s_delay_alu instid0(VALU_DEP_1) | instskip(NEXT) | instid1(SALU_CYCLE_1)
	s_or_b32 s2, vcc_lo, s2
	s_and_saveexec_b32 s20, s2
	s_delay_alu instid0(SALU_CYCLE_1)
	s_xor_b32 s2, exec_lo, s20
	s_cbranch_execz .LBB167_295
; %bb.294:
	v_div_scale_f64 v[0:1], null, v[9:10], v[9:10], v[2:3]
	v_div_scale_f64 v[11:12], vcc_lo, v[2:3], v[9:10], v[2:3]
	s_delay_alu instid0(VALU_DEP_2) | instskip(SKIP_2) | instid1(VALU_DEP_1)
	v_rcp_f64_e32 v[4:5], v[0:1]
	s_waitcnt_depctr 0xfff
	v_fma_f64 v[6:7], -v[0:1], v[4:5], 1.0
	v_fma_f64 v[4:5], v[4:5], v[6:7], v[4:5]
	s_delay_alu instid0(VALU_DEP_1) | instskip(NEXT) | instid1(VALU_DEP_1)
	v_fma_f64 v[6:7], -v[0:1], v[4:5], 1.0
	v_fma_f64 v[4:5], v[4:5], v[6:7], v[4:5]
	s_delay_alu instid0(VALU_DEP_1) | instskip(NEXT) | instid1(VALU_DEP_1)
	v_mul_f64 v[6:7], v[11:12], v[4:5]
	v_fma_f64 v[0:1], -v[0:1], v[6:7], v[11:12]
	s_delay_alu instid0(VALU_DEP_1) | instskip(NEXT) | instid1(VALU_DEP_1)
	v_div_fmas_f64 v[0:1], v[0:1], v[4:5], v[6:7]
	v_div_fixup_f64 v[0:1], v[0:1], v[9:10], v[2:3]
	s_delay_alu instid0(VALU_DEP_1) | instskip(NEXT) | instid1(VALU_DEP_1)
	v_fma_f64 v[2:3], v[2:3], v[0:1], v[9:10]
	v_div_scale_f64 v[4:5], null, v[2:3], v[2:3], 1.0
	v_div_scale_f64 v[11:12], vcc_lo, 1.0, v[2:3], 1.0
	s_delay_alu instid0(VALU_DEP_2) | instskip(SKIP_2) | instid1(VALU_DEP_1)
	v_rcp_f64_e32 v[6:7], v[4:5]
	s_waitcnt_depctr 0xfff
	v_fma_f64 v[9:10], -v[4:5], v[6:7], 1.0
	v_fma_f64 v[6:7], v[6:7], v[9:10], v[6:7]
	s_delay_alu instid0(VALU_DEP_1) | instskip(NEXT) | instid1(VALU_DEP_1)
	v_fma_f64 v[9:10], -v[4:5], v[6:7], 1.0
	v_fma_f64 v[6:7], v[6:7], v[9:10], v[6:7]
	s_delay_alu instid0(VALU_DEP_1) | instskip(NEXT) | instid1(VALU_DEP_1)
	v_mul_f64 v[9:10], v[11:12], v[6:7]
	v_fma_f64 v[4:5], -v[4:5], v[9:10], v[11:12]
                                        ; implicit-def: $vgpr11_vgpr12
	s_delay_alu instid0(VALU_DEP_1) | instskip(SKIP_2) | instid1(VALU_DEP_3)
	v_div_fmas_f64 v[4:5], v[4:5], v[6:7], v[9:10]
	v_fma_f64 v[6:7], v[0:1], 0, 1.0
	v_add_f64 v[0:1], -v[0:1], 0
	v_div_fixup_f64 v[2:3], v[4:5], v[2:3], 1.0
	s_delay_alu instid0(VALU_DEP_1) | instskip(NEXT) | instid1(VALU_DEP_3)
	v_mul_f64 v[4:5], v[6:7], v[2:3]
	v_mul_f64 v[6:7], v[0:1], v[2:3]
                                        ; implicit-def: $vgpr0_vgpr1
.LBB167_295:
	s_and_not1_saveexec_b32 s20, s2
	s_cbranch_execz .LBB167_297
; %bb.296:
	v_div_scale_f64 v[2:3], null, v[0:1], v[0:1], 1.0
	v_div_scale_f64 v[4:5], null, v[11:12], v[11:12], 0
	v_div_scale_f64 v[19:20], vcc_lo, 1.0, v[0:1], 1.0
	s_delay_alu instid0(VALU_DEP_3) | instskip(NEXT) | instid1(VALU_DEP_2)
	v_rcp_f64_e32 v[6:7], v[2:3]
	v_rcp_f64_e32 v[9:10], v[4:5]
	s_waitcnt_depctr 0xfff
	v_fma_f64 v[13:14], -v[2:3], v[6:7], 1.0
	v_fma_f64 v[15:16], -v[4:5], v[9:10], 1.0
	s_delay_alu instid0(VALU_DEP_2) | instskip(NEXT) | instid1(VALU_DEP_2)
	v_fma_f64 v[6:7], v[6:7], v[13:14], v[6:7]
	v_fma_f64 v[9:10], v[9:10], v[15:16], v[9:10]
	s_delay_alu instid0(VALU_DEP_2) | instskip(NEXT) | instid1(VALU_DEP_2)
	v_fma_f64 v[13:14], -v[2:3], v[6:7], 1.0
	v_fma_f64 v[15:16], -v[4:5], v[9:10], 1.0
	s_delay_alu instid0(VALU_DEP_2) | instskip(SKIP_1) | instid1(VALU_DEP_3)
	v_fma_f64 v[6:7], v[6:7], v[13:14], v[6:7]
	v_div_scale_f64 v[13:14], s2, 0, v[11:12], 0
	v_fma_f64 v[9:10], v[9:10], v[15:16], v[9:10]
	s_delay_alu instid0(VALU_DEP_3) | instskip(NEXT) | instid1(VALU_DEP_2)
	v_mul_f64 v[15:16], v[19:20], v[6:7]
	v_mul_f64 v[21:22], v[13:14], v[9:10]
	s_delay_alu instid0(VALU_DEP_2) | instskip(NEXT) | instid1(VALU_DEP_2)
	v_fma_f64 v[2:3], -v[2:3], v[15:16], v[19:20]
	v_fma_f64 v[4:5], -v[4:5], v[21:22], v[13:14]
	s_delay_alu instid0(VALU_DEP_2) | instskip(SKIP_1) | instid1(VALU_DEP_2)
	v_div_fmas_f64 v[2:3], v[2:3], v[6:7], v[15:16]
	s_mov_b32 vcc_lo, s2
	v_div_fmas_f64 v[6:7], v[4:5], v[9:10], v[21:22]
	s_delay_alu instid0(VALU_DEP_2) | instskip(NEXT) | instid1(VALU_DEP_2)
	v_div_fixup_f64 v[4:5], v[2:3], v[0:1], 1.0
	v_div_fixup_f64 v[6:7], v[6:7], v[11:12], 0
.LBB167_297:
	s_or_b32 exec_lo, exec_lo, s20
                                        ; implicit-def: $vgpr2_vgpr3
                                        ; implicit-def: $vgpr9_vgpr10
.LBB167_298:
	s_and_not1_saveexec_b32 s2, s3
	s_cbranch_execz .LBB167_300
; %bb.299:
	v_div_scale_f64 v[0:1], null, v[2:3], v[2:3], v[9:10]
	v_div_scale_f64 v[11:12], vcc_lo, v[9:10], v[2:3], v[9:10]
	s_delay_alu instid0(VALU_DEP_2) | instskip(SKIP_2) | instid1(VALU_DEP_1)
	v_rcp_f64_e32 v[4:5], v[0:1]
	s_waitcnt_depctr 0xfff
	v_fma_f64 v[6:7], -v[0:1], v[4:5], 1.0
	v_fma_f64 v[4:5], v[4:5], v[6:7], v[4:5]
	s_delay_alu instid0(VALU_DEP_1) | instskip(NEXT) | instid1(VALU_DEP_1)
	v_fma_f64 v[6:7], -v[0:1], v[4:5], 1.0
	v_fma_f64 v[4:5], v[4:5], v[6:7], v[4:5]
	s_delay_alu instid0(VALU_DEP_1) | instskip(NEXT) | instid1(VALU_DEP_1)
	v_mul_f64 v[6:7], v[11:12], v[4:5]
	v_fma_f64 v[0:1], -v[0:1], v[6:7], v[11:12]
	s_delay_alu instid0(VALU_DEP_1) | instskip(NEXT) | instid1(VALU_DEP_1)
	v_div_fmas_f64 v[0:1], v[0:1], v[4:5], v[6:7]
	v_div_fixup_f64 v[0:1], v[0:1], v[2:3], v[9:10]
	s_delay_alu instid0(VALU_DEP_1) | instskip(NEXT) | instid1(VALU_DEP_1)
	v_fma_f64 v[2:3], v[9:10], v[0:1], v[2:3]
	v_div_scale_f64 v[4:5], null, v[2:3], v[2:3], 1.0
	v_div_scale_f64 v[11:12], vcc_lo, 1.0, v[2:3], 1.0
	s_delay_alu instid0(VALU_DEP_2) | instskip(SKIP_2) | instid1(VALU_DEP_1)
	v_rcp_f64_e32 v[6:7], v[4:5]
	s_waitcnt_depctr 0xfff
	v_fma_f64 v[9:10], -v[4:5], v[6:7], 1.0
	v_fma_f64 v[6:7], v[6:7], v[9:10], v[6:7]
	s_delay_alu instid0(VALU_DEP_1) | instskip(NEXT) | instid1(VALU_DEP_1)
	v_fma_f64 v[9:10], -v[4:5], v[6:7], 1.0
	v_fma_f64 v[6:7], v[6:7], v[9:10], v[6:7]
	s_delay_alu instid0(VALU_DEP_1) | instskip(NEXT) | instid1(VALU_DEP_1)
	v_mul_f64 v[9:10], v[11:12], v[6:7]
	v_fma_f64 v[4:5], -v[4:5], v[9:10], v[11:12]
	s_delay_alu instid0(VALU_DEP_1) | instskip(SKIP_2) | instid1(VALU_DEP_3)
	v_div_fmas_f64 v[4:5], v[4:5], v[6:7], v[9:10]
	v_add_f64 v[6:7], v[0:1], 0
	v_fma_f64 v[0:1], v[0:1], 0, -1.0
	v_div_fixup_f64 v[2:3], v[4:5], v[2:3], 1.0
	s_delay_alu instid0(VALU_DEP_1) | instskip(NEXT) | instid1(VALU_DEP_3)
	v_mul_f64 v[4:5], v[6:7], v[2:3]
	v_mul_f64 v[6:7], v[0:1], v[2:3]
.LBB167_300:
	s_or_b32 exec_lo, exec_lo, s2
	v_add_nc_u32_e32 v18, 0x80, v18
	global_store_b128 v8, v[4:7], s[4:5]
	s_or_b32 exec_lo, exec_lo, s30
	s_delay_alu instid0(SALU_CYCLE_1)
	s_mov_b32 s30, exec_lo
	v_cmpx_gt_i32_e64 s27, v18
	s_cbranch_execnz .LBB167_15
.LBB167_301:
	s_or_b32 exec_lo, exec_lo, s30
	s_delay_alu instid0(SALU_CYCLE_1)
	s_mov_b32 s30, exec_lo
	v_cmpx_gt_i32_e64 s27, v18
	s_cbranch_execnz .LBB167_327
	s_branch .LBB167_381
.LBB167_302:
	s_and_not1_saveexec_b32 s3, s3
	s_cbranch_execz .LBB167_126
.LBB167_303:
	v_add_f64 v[0:1], v[4:5], -v[0:1]
	s_delay_alu instid0(VALU_DEP_1) | instskip(NEXT) | instid1(VALU_DEP_1)
	v_mul_f64 v[0:1], v[0:1], 0.5
	v_cmp_gt_f64_e32 vcc_lo, 0x10000000, v[0:1]
	v_cndmask_b32_e64 v4, 0, 1, vcc_lo
	s_delay_alu instid0(VALU_DEP_1) | instskip(NEXT) | instid1(VALU_DEP_1)
	v_lshlrev_b32_e32 v4, 8, v4
	v_ldexp_f64 v[0:1], v[0:1], v4
	s_delay_alu instid0(VALU_DEP_1) | instskip(SKIP_3) | instid1(VALU_DEP_1)
	v_rsq_f64_e32 v[4:5], v[0:1]
	s_waitcnt_depctr 0xfff
	v_mul_f64 v[6:7], v[0:1], v[4:5]
	v_mul_f64 v[4:5], v[4:5], 0.5
	v_fma_f64 v[9:10], -v[4:5], v[6:7], 0.5
	s_delay_alu instid0(VALU_DEP_1) | instskip(SKIP_1) | instid1(VALU_DEP_2)
	v_fma_f64 v[6:7], v[6:7], v[9:10], v[6:7]
	v_fma_f64 v[4:5], v[4:5], v[9:10], v[4:5]
	v_fma_f64 v[9:10], -v[6:7], v[6:7], v[0:1]
	s_delay_alu instid0(VALU_DEP_1) | instskip(NEXT) | instid1(VALU_DEP_1)
	v_fma_f64 v[6:7], v[9:10], v[4:5], v[6:7]
	v_fma_f64 v[9:10], -v[6:7], v[6:7], v[0:1]
	s_delay_alu instid0(VALU_DEP_1) | instskip(SKIP_3) | instid1(VALU_DEP_3)
	v_fma_f64 v[4:5], v[9:10], v[4:5], v[6:7]
	v_cndmask_b32_e64 v6, 0, 0xffffff80, vcc_lo
	v_cmp_class_f64_e64 vcc_lo, v[0:1], 0x260
	v_and_b32_e32 v7, 0x7fffffff, v3
	v_ldexp_f64 v[4:5], v[4:5], v6
	s_delay_alu instid0(VALU_DEP_1) | instskip(NEXT) | instid1(VALU_DEP_1)
	v_dual_cndmask_b32 v5, v5, v1 :: v_dual_cndmask_b32 v4, v4, v0
	v_add_f64 v[0:1], v[4:5], v[4:5]
	v_bfi_b32 v5, 0x7fffffff, v5, v3
	v_mov_b32_e32 v6, v2
	s_delay_alu instid0(VALU_DEP_1) | instskip(SKIP_1) | instid1(VALU_DEP_2)
	v_div_scale_f64 v[9:10], null, v[0:1], v[0:1], v[6:7]
	v_div_scale_f64 v[6:7], vcc_lo, v[6:7], v[0:1], v[6:7]
	v_rcp_f64_e32 v[11:12], v[9:10]
	s_waitcnt_depctr 0xfff
	v_fma_f64 v[13:14], -v[9:10], v[11:12], 1.0
	s_delay_alu instid0(VALU_DEP_1) | instskip(NEXT) | instid1(VALU_DEP_1)
	v_fma_f64 v[11:12], v[11:12], v[13:14], v[11:12]
	v_fma_f64 v[13:14], -v[9:10], v[11:12], 1.0
	s_delay_alu instid0(VALU_DEP_1) | instskip(NEXT) | instid1(VALU_DEP_1)
	v_fma_f64 v[11:12], v[11:12], v[13:14], v[11:12]
	v_mul_f64 v[13:14], v[6:7], v[11:12]
	s_delay_alu instid0(VALU_DEP_1) | instskip(NEXT) | instid1(VALU_DEP_1)
	v_fma_f64 v[6:7], -v[9:10], v[13:14], v[6:7]
	v_div_fmas_f64 v[6:7], v[6:7], v[11:12], v[13:14]
	s_delay_alu instid0(VALU_DEP_1) | instskip(SKIP_3) | instid1(SALU_CYCLE_1)
	v_div_fixup_f64 v[0:1], v[6:7], v[0:1], |v[2:3]|
	v_dual_mov_b32 v2, v4 :: v_dual_mov_b32 v3, v5
	s_or_b32 exec_lo, exec_lo, s3
	s_and_saveexec_b32 s3, s2
	s_xor_b32 s2, exec_lo, s3
	s_cbranch_execnz .LBB167_127
.LBB167_304:
	s_and_not1_saveexec_b32 s2, s2
.LBB167_305:
	s_delay_alu instid0(VALU_DEP_2) | instskip(NEXT) | instid1(VALU_DEP_2)
	v_add_f64 v[0:1], v[0:1], v[0:1]
	v_add_f64 v[2:3], v[2:3], v[2:3]
.LBB167_306:
	s_or_b32 exec_lo, exec_lo, s2
.LBB167_307:
	s_and_not1_saveexec_b32 s2, s33
	s_cbranch_execz .LBB167_313
; %bb.308:
	s_delay_alu instid0(VALU_DEP_1) | instskip(SKIP_1) | instid1(VALU_DEP_3)
	v_add_f64 v[4:5], v[2:3], -v[2:3]
	s_mov_b32 s3, exec_lo
	v_cmpx_lt_i64_e32 -1, v[0:1]
	s_xor_b32 s3, exec_lo, s3
; %bb.309:
	s_delay_alu instid0(VALU_DEP_2) | instskip(NEXT) | instid1(VALU_DEP_1)
	v_bfi_b32 v5, 0x7fffffff, v5, v3
	v_dual_mov_b32 v2, v4 :: v_dual_mov_b32 v3, v5
                                        ; implicit-def: $vgpr4_vgpr5
; %bb.310:
	s_and_not1_saveexec_b32 s3, s3
; %bb.311:
	s_delay_alu instid0(VALU_DEP_1) | instskip(SKIP_1) | instid1(VALU_DEP_2)
	v_bfi_b32 v1, 0x7fffffff, v1, v3
	v_and_b32_e32 v5, 0x7fffffff, v5
	v_dual_mov_b32 v3, v1 :: v_dual_mov_b32 v2, v0
	s_delay_alu instid0(VALU_DEP_2)
	v_dual_mov_b32 v0, v4 :: v_dual_mov_b32 v1, v5
; %bb.312:
	s_or_b32 exec_lo, exec_lo, s3
.LBB167_313:
	s_delay_alu instid0(SALU_CYCLE_1)
	s_or_b32 exec_lo, exec_lo, s2
.LBB167_314:
	s_and_not1_saveexec_b32 s2, s31
; %bb.315:
	s_delay_alu instid0(VALU_DEP_1) | instskip(NEXT) | instid1(VALU_DEP_1)
	v_add_f64 v[2:3], v[2:3], -v[2:3]
	v_div_scale_f64 v[4:5], vcc_lo, v[2:3], v[2:3], v[2:3]
	s_delay_alu instid0(VALU_DEP_1) | instskip(SKIP_2) | instid1(VALU_DEP_1)
	v_rcp_f64_e32 v[6:7], v[4:5]
	s_waitcnt_depctr 0xfff
	v_fma_f64 v[9:10], -v[4:5], v[6:7], 1.0
	v_fma_f64 v[6:7], v[6:7], v[9:10], v[6:7]
	s_delay_alu instid0(VALU_DEP_1) | instskip(NEXT) | instid1(VALU_DEP_1)
	v_fma_f64 v[9:10], -v[4:5], v[6:7], 1.0
	v_fma_f64 v[6:7], v[6:7], v[9:10], v[6:7]
	s_delay_alu instid0(VALU_DEP_1) | instskip(NEXT) | instid1(VALU_DEP_1)
	v_mul_f64 v[9:10], v[4:5], v[6:7]
	v_fma_f64 v[4:5], -v[4:5], v[9:10], v[4:5]
	s_delay_alu instid0(VALU_DEP_1) | instskip(NEXT) | instid1(VALU_DEP_1)
	v_div_fmas_f64 v[4:5], v[4:5], v[6:7], v[9:10]
	v_div_fixup_f64 v[2:3], v[4:5], v[2:3], v[2:3]
; %bb.316:
	s_or_b32 exec_lo, exec_lo, s2
	v_dual_mov_b32 v10, v1 :: v_dual_mov_b32 v9, v0
.LBB167_317:
	s_or_b32 exec_lo, exec_lo, s21
.LBB167_318:
	s_delay_alu instid0(SALU_CYCLE_1) | instskip(NEXT) | instid1(VALU_DEP_1)
	s_or_b32 exec_lo, exec_lo, s20
	v_cmp_gt_f64_e32 vcc_lo, 0, v[9:10]
	s_delay_alu instid0(VALU_DEP_3) | instskip(SKIP_2) | instid1(VALU_DEP_2)
	v_cmp_gt_f64_e64 s2, 0, v[2:3]
	v_xor_b32_e32 v0, 0x80000000, v10
	v_xor_b32_e32 v4, 0x80000000, v3
                                        ; implicit-def: $vgpr6_vgpr7
	v_dual_cndmask_b32 v1, v10, v0 :: v_dual_cndmask_b32 v0, v9, v9
	s_delay_alu instid0(VALU_DEP_2) | instskip(SKIP_2) | instid1(VALU_DEP_1)
	v_cndmask_b32_e64 v12, v3, v4, s2
	v_cndmask_b32_e64 v11, v2, v2, s2
	s_mov_b32 s2, exec_lo
	v_cmpx_ge_f64_e32 v[0:1], v[11:12]
	s_xor_b32 s3, exec_lo, s2
	s_cbranch_execz .LBB167_324
; %bb.319:
	v_cmp_neq_f64_e32 vcc_lo, 0, v[9:10]
	v_cmp_neq_f64_e64 s2, 0, v[2:3]
                                        ; implicit-def: $vgpr6_vgpr7
	s_delay_alu instid0(VALU_DEP_1) | instskip(NEXT) | instid1(SALU_CYCLE_1)
	s_or_b32 s2, vcc_lo, s2
	s_and_saveexec_b32 s20, s2
	s_delay_alu instid0(SALU_CYCLE_1)
	s_xor_b32 s2, exec_lo, s20
	s_cbranch_execz .LBB167_321
; %bb.320:
	v_div_scale_f64 v[0:1], null, v[9:10], v[9:10], v[2:3]
	v_div_scale_f64 v[11:12], vcc_lo, v[2:3], v[9:10], v[2:3]
	s_delay_alu instid0(VALU_DEP_2) | instskip(SKIP_2) | instid1(VALU_DEP_1)
	v_rcp_f64_e32 v[4:5], v[0:1]
	s_waitcnt_depctr 0xfff
	v_fma_f64 v[6:7], -v[0:1], v[4:5], 1.0
	v_fma_f64 v[4:5], v[4:5], v[6:7], v[4:5]
	s_delay_alu instid0(VALU_DEP_1) | instskip(NEXT) | instid1(VALU_DEP_1)
	v_fma_f64 v[6:7], -v[0:1], v[4:5], 1.0
	v_fma_f64 v[4:5], v[4:5], v[6:7], v[4:5]
	s_delay_alu instid0(VALU_DEP_1) | instskip(NEXT) | instid1(VALU_DEP_1)
	v_mul_f64 v[6:7], v[11:12], v[4:5]
	v_fma_f64 v[0:1], -v[0:1], v[6:7], v[11:12]
	s_delay_alu instid0(VALU_DEP_1) | instskip(NEXT) | instid1(VALU_DEP_1)
	v_div_fmas_f64 v[0:1], v[0:1], v[4:5], v[6:7]
	v_div_fixup_f64 v[0:1], v[0:1], v[9:10], v[2:3]
	s_delay_alu instid0(VALU_DEP_1) | instskip(NEXT) | instid1(VALU_DEP_1)
	v_fma_f64 v[2:3], v[2:3], v[0:1], v[9:10]
	v_div_scale_f64 v[4:5], null, v[2:3], v[2:3], 1.0
	v_div_scale_f64 v[11:12], vcc_lo, 1.0, v[2:3], 1.0
	s_delay_alu instid0(VALU_DEP_2) | instskip(SKIP_2) | instid1(VALU_DEP_1)
	v_rcp_f64_e32 v[6:7], v[4:5]
	s_waitcnt_depctr 0xfff
	v_fma_f64 v[9:10], -v[4:5], v[6:7], 1.0
	v_fma_f64 v[6:7], v[6:7], v[9:10], v[6:7]
	s_delay_alu instid0(VALU_DEP_1) | instskip(NEXT) | instid1(VALU_DEP_1)
	v_fma_f64 v[9:10], -v[4:5], v[6:7], 1.0
	v_fma_f64 v[6:7], v[6:7], v[9:10], v[6:7]
	s_delay_alu instid0(VALU_DEP_1) | instskip(NEXT) | instid1(VALU_DEP_1)
	v_mul_f64 v[9:10], v[11:12], v[6:7]
	v_fma_f64 v[4:5], -v[4:5], v[9:10], v[11:12]
                                        ; implicit-def: $vgpr11_vgpr12
	s_delay_alu instid0(VALU_DEP_1) | instskip(SKIP_2) | instid1(VALU_DEP_3)
	v_div_fmas_f64 v[4:5], v[4:5], v[6:7], v[9:10]
	v_fma_f64 v[6:7], v[0:1], 0, 1.0
	v_add_f64 v[0:1], -v[0:1], 0
	v_div_fixup_f64 v[2:3], v[4:5], v[2:3], 1.0
	s_delay_alu instid0(VALU_DEP_1) | instskip(NEXT) | instid1(VALU_DEP_3)
	v_mul_f64 v[4:5], v[6:7], v[2:3]
	v_mul_f64 v[6:7], v[0:1], v[2:3]
                                        ; implicit-def: $vgpr0_vgpr1
.LBB167_321:
	s_and_not1_saveexec_b32 s20, s2
	s_cbranch_execz .LBB167_323
; %bb.322:
	v_div_scale_f64 v[2:3], null, v[0:1], v[0:1], 1.0
	v_div_scale_f64 v[4:5], null, v[11:12], v[11:12], 0
	v_div_scale_f64 v[19:20], vcc_lo, 1.0, v[0:1], 1.0
	s_delay_alu instid0(VALU_DEP_3) | instskip(NEXT) | instid1(VALU_DEP_2)
	v_rcp_f64_e32 v[6:7], v[2:3]
	v_rcp_f64_e32 v[9:10], v[4:5]
	s_waitcnt_depctr 0xfff
	v_fma_f64 v[13:14], -v[2:3], v[6:7], 1.0
	v_fma_f64 v[15:16], -v[4:5], v[9:10], 1.0
	s_delay_alu instid0(VALU_DEP_2) | instskip(NEXT) | instid1(VALU_DEP_2)
	v_fma_f64 v[6:7], v[6:7], v[13:14], v[6:7]
	v_fma_f64 v[9:10], v[9:10], v[15:16], v[9:10]
	s_delay_alu instid0(VALU_DEP_2) | instskip(NEXT) | instid1(VALU_DEP_2)
	v_fma_f64 v[13:14], -v[2:3], v[6:7], 1.0
	v_fma_f64 v[15:16], -v[4:5], v[9:10], 1.0
	s_delay_alu instid0(VALU_DEP_2) | instskip(SKIP_1) | instid1(VALU_DEP_3)
	v_fma_f64 v[6:7], v[6:7], v[13:14], v[6:7]
	v_div_scale_f64 v[13:14], s2, 0, v[11:12], 0
	v_fma_f64 v[9:10], v[9:10], v[15:16], v[9:10]
	s_delay_alu instid0(VALU_DEP_3) | instskip(NEXT) | instid1(VALU_DEP_2)
	v_mul_f64 v[15:16], v[19:20], v[6:7]
	v_mul_f64 v[21:22], v[13:14], v[9:10]
	s_delay_alu instid0(VALU_DEP_2) | instskip(NEXT) | instid1(VALU_DEP_2)
	v_fma_f64 v[2:3], -v[2:3], v[15:16], v[19:20]
	v_fma_f64 v[4:5], -v[4:5], v[21:22], v[13:14]
	s_delay_alu instid0(VALU_DEP_2) | instskip(SKIP_1) | instid1(VALU_DEP_2)
	v_div_fmas_f64 v[2:3], v[2:3], v[6:7], v[15:16]
	s_mov_b32 vcc_lo, s2
	v_div_fmas_f64 v[6:7], v[4:5], v[9:10], v[21:22]
	s_delay_alu instid0(VALU_DEP_2) | instskip(NEXT) | instid1(VALU_DEP_2)
	v_div_fixup_f64 v[4:5], v[2:3], v[0:1], 1.0
	v_div_fixup_f64 v[6:7], v[6:7], v[11:12], 0
.LBB167_323:
	s_or_b32 exec_lo, exec_lo, s20
                                        ; implicit-def: $vgpr2_vgpr3
                                        ; implicit-def: $vgpr9_vgpr10
.LBB167_324:
	s_and_not1_saveexec_b32 s2, s3
	s_cbranch_execz .LBB167_326
; %bb.325:
	v_div_scale_f64 v[0:1], null, v[2:3], v[2:3], v[9:10]
	v_div_scale_f64 v[11:12], vcc_lo, v[9:10], v[2:3], v[9:10]
	s_delay_alu instid0(VALU_DEP_2) | instskip(SKIP_2) | instid1(VALU_DEP_1)
	v_rcp_f64_e32 v[4:5], v[0:1]
	s_waitcnt_depctr 0xfff
	v_fma_f64 v[6:7], -v[0:1], v[4:5], 1.0
	v_fma_f64 v[4:5], v[4:5], v[6:7], v[4:5]
	s_delay_alu instid0(VALU_DEP_1) | instskip(NEXT) | instid1(VALU_DEP_1)
	v_fma_f64 v[6:7], -v[0:1], v[4:5], 1.0
	v_fma_f64 v[4:5], v[4:5], v[6:7], v[4:5]
	s_delay_alu instid0(VALU_DEP_1) | instskip(NEXT) | instid1(VALU_DEP_1)
	v_mul_f64 v[6:7], v[11:12], v[4:5]
	v_fma_f64 v[0:1], -v[0:1], v[6:7], v[11:12]
	s_delay_alu instid0(VALU_DEP_1) | instskip(NEXT) | instid1(VALU_DEP_1)
	v_div_fmas_f64 v[0:1], v[0:1], v[4:5], v[6:7]
	v_div_fixup_f64 v[0:1], v[0:1], v[2:3], v[9:10]
	s_delay_alu instid0(VALU_DEP_1) | instskip(NEXT) | instid1(VALU_DEP_1)
	v_fma_f64 v[2:3], v[9:10], v[0:1], v[2:3]
	v_div_scale_f64 v[4:5], null, v[2:3], v[2:3], 1.0
	v_div_scale_f64 v[11:12], vcc_lo, 1.0, v[2:3], 1.0
	s_delay_alu instid0(VALU_DEP_2) | instskip(SKIP_2) | instid1(VALU_DEP_1)
	v_rcp_f64_e32 v[6:7], v[4:5]
	s_waitcnt_depctr 0xfff
	v_fma_f64 v[9:10], -v[4:5], v[6:7], 1.0
	v_fma_f64 v[6:7], v[6:7], v[9:10], v[6:7]
	s_delay_alu instid0(VALU_DEP_1) | instskip(NEXT) | instid1(VALU_DEP_1)
	v_fma_f64 v[9:10], -v[4:5], v[6:7], 1.0
	v_fma_f64 v[6:7], v[6:7], v[9:10], v[6:7]
	s_delay_alu instid0(VALU_DEP_1) | instskip(NEXT) | instid1(VALU_DEP_1)
	v_mul_f64 v[9:10], v[11:12], v[6:7]
	v_fma_f64 v[4:5], -v[4:5], v[9:10], v[11:12]
	s_delay_alu instid0(VALU_DEP_1) | instskip(SKIP_2) | instid1(VALU_DEP_3)
	v_div_fmas_f64 v[4:5], v[4:5], v[6:7], v[9:10]
	v_add_f64 v[6:7], v[0:1], 0
	v_fma_f64 v[0:1], v[0:1], 0, -1.0
	v_div_fixup_f64 v[2:3], v[4:5], v[2:3], 1.0
	s_delay_alu instid0(VALU_DEP_1) | instskip(NEXT) | instid1(VALU_DEP_3)
	v_mul_f64 v[4:5], v[6:7], v[2:3]
	v_mul_f64 v[6:7], v[0:1], v[2:3]
.LBB167_326:
	s_or_b32 exec_lo, exec_lo, s2
	v_add_nc_u32_e32 v18, 0x80, v18
	global_store_b128 v8, v[4:7], s[4:5]
	s_or_b32 exec_lo, exec_lo, s30
	s_delay_alu instid0(SALU_CYCLE_1)
	s_mov_b32 s30, exec_lo
	v_cmpx_gt_i32_e64 s27, v18
	s_cbranch_execz .LBB167_381
.LBB167_327:
	s_and_not1_b32 vcc_lo, exec_lo, s24
	s_cbranch_vccnz .LBB167_332
; %bb.328:
	v_mov_b32_e32 v8, 0
	v_mov_b32_e32 v0, 0
	s_and_not1_b32 vcc_lo, exec_lo, s29
	s_mov_b32 s31, 0
	s_cbranch_vccnz .LBB167_337
; %bb.329:
	v_mov_b32_e32 v8, 0
	s_add_i32 s34, s28, 1
	s_cmp_eq_u32 s23, 2
	s_mov_b32 s33, 0
	s_cbranch_scc1 .LBB167_333
; %bb.330:
	v_dual_mov_b32 v0, 0 :: v_dual_mov_b32 v1, v18
	v_mov_b32_e32 v8, 0
	s_and_b32 s33, s34, 28
	s_mov_b32 s35, 0
	s_mov_b64 s[2:3], s[18:19]
	s_mov_b64 s[20:21], s[0:1]
.LBB167_331:                            ; =>This Inner Loop Header: Depth=1
	s_clause 0x1
	s_load_b256 s[36:43], s[20:21], 0x4
	s_load_b128 s[52:55], s[20:21], 0x24
	s_load_b256 s[44:51], s[2:3], 0x0
	s_add_u32 s20, s20, 48
	s_addc_u32 s21, s21, 0
	s_add_i32 s35, s35, 4
	s_add_u32 s2, s2, 32
	s_addc_u32 s3, s3, 0
	s_cmp_eq_u32 s33, s35
	s_waitcnt lgkmcnt(0)
	v_mul_hi_u32 v2, s37, v1
	s_delay_alu instid0(VALU_DEP_1) | instskip(NEXT) | instid1(VALU_DEP_1)
	v_add_nc_u32_e32 v2, v1, v2
	v_lshrrev_b32_e32 v2, s38, v2
	s_delay_alu instid0(VALU_DEP_1) | instskip(SKIP_1) | instid1(VALU_DEP_2)
	v_mul_hi_u32 v3, s40, v2
	v_mul_lo_u32 v5, v2, s36
	v_add_nc_u32_e32 v3, v2, v3
	s_delay_alu instid0(VALU_DEP_2) | instskip(NEXT) | instid1(VALU_DEP_2)
	v_sub_nc_u32_e32 v1, v1, v5
	v_lshrrev_b32_e32 v3, s41, v3
	s_delay_alu instid0(VALU_DEP_2) | instskip(SKIP_1) | instid1(VALU_DEP_3)
	v_mul_lo_u32 v5, v1, s44
	v_mul_lo_u32 v7, v1, s45
	v_mul_hi_u32 v4, s43, v3
	s_delay_alu instid0(VALU_DEP_1) | instskip(NEXT) | instid1(VALU_DEP_1)
	v_add_nc_u32_e32 v4, v3, v4
	v_lshrrev_b32_e32 v4, s52, v4
	s_delay_alu instid0(VALU_DEP_1) | instskip(SKIP_1) | instid1(VALU_DEP_2)
	v_mul_hi_u32 v6, s54, v4
	v_mul_lo_u32 v9, v4, s42
	v_add_nc_u32_e32 v1, v4, v6
	v_mul_lo_u32 v6, v3, s39
	s_delay_alu instid0(VALU_DEP_3) | instskip(NEXT) | instid1(VALU_DEP_3)
	v_sub_nc_u32_e32 v3, v3, v9
	v_lshrrev_b32_e32 v1, s55, v1
	s_delay_alu instid0(VALU_DEP_2) | instskip(SKIP_2) | instid1(VALU_DEP_4)
	v_mul_lo_u32 v9, v3, s48
	v_mul_lo_u32 v3, v3, s49
	v_sub_nc_u32_e32 v2, v2, v6
	v_mul_lo_u32 v10, v1, s53
	s_delay_alu instid0(VALU_DEP_2) | instskip(SKIP_1) | instid1(VALU_DEP_3)
	v_mul_lo_u32 v6, v2, s46
	v_mul_lo_u32 v2, v2, s47
	v_sub_nc_u32_e32 v4, v4, v10
	s_delay_alu instid0(VALU_DEP_3) | instskip(NEXT) | instid1(VALU_DEP_2)
	v_add3_u32 v5, v5, v8, v6
	v_mul_lo_u32 v10, v4, s50
	v_mul_lo_u32 v4, v4, s51
	v_add3_u32 v0, v7, v0, v2
	s_delay_alu instid0(VALU_DEP_3) | instskip(NEXT) | instid1(VALU_DEP_2)
	v_add3_u32 v8, v9, v5, v10
	v_add3_u32 v0, v3, v0, v4
	s_cbranch_scc0 .LBB167_331
	s_branch .LBB167_334
.LBB167_332:
	s_mov_b32 s31, -1
                                        ; implicit-def: $vgpr8
                                        ; implicit-def: $vgpr0
	s_branch .LBB167_337
.LBB167_333:
	v_dual_mov_b32 v1, v18 :: v_dual_mov_b32 v0, 0
.LBB167_334:
	s_and_b32 s34, s34, 3
	s_delay_alu instid0(SALU_CYCLE_1)
	s_cmp_eq_u32 s34, 0
	s_cbranch_scc1 .LBB167_337
; %bb.335:
	s_lshl_b32 s2, s33, 3
	s_mul_i32 s20, s33, 12
	s_add_u32 s2, s2, s0
	s_addc_u32 s3, s1, 0
	s_add_u32 s2, s2, 0xc4
	s_addc_u32 s3, s3, 0
	;; [unrolled: 2-line block ×3, first 2 shown]
	.p2align	6
.LBB167_336:                            ; =>This Inner Loop Header: Depth=1
	s_clause 0x1
	s_load_b64 s[36:37], s[20:21], 0x4
	s_load_b32 s33, s[20:21], 0xc
	s_load_b64 s[38:39], s[2:3], 0x0
	s_add_u32 s20, s20, 12
	s_addc_u32 s21, s21, 0
	s_add_u32 s2, s2, 8
	s_addc_u32 s3, s3, 0
	s_add_i32 s34, s34, -1
	s_delay_alu instid0(SALU_CYCLE_1) | instskip(SKIP_2) | instid1(VALU_DEP_1)
	s_cmp_lg_u32 s34, 0
	s_waitcnt lgkmcnt(0)
	v_mul_hi_u32 v2, s37, v1
	v_add_nc_u32_e32 v2, v1, v2
	s_delay_alu instid0(VALU_DEP_1) | instskip(NEXT) | instid1(VALU_DEP_1)
	v_lshrrev_b32_e32 v5, s33, v2
	v_mul_lo_u32 v2, v5, s36
	s_delay_alu instid0(VALU_DEP_1) | instskip(NEXT) | instid1(VALU_DEP_1)
	v_sub_nc_u32_e32 v1, v1, v2
	v_mad_u64_u32 v[2:3], null, v1, s38, v[8:9]
	v_mad_u64_u32 v[3:4], null, v1, s39, v[0:1]
	s_delay_alu instid0(VALU_DEP_2) | instskip(NEXT) | instid1(VALU_DEP_2)
	v_dual_mov_b32 v1, v5 :: v_dual_mov_b32 v8, v2
	v_mov_b32_e32 v0, v3
	s_cbranch_scc1 .LBB167_336
.LBB167_337:
	s_and_not1_b32 vcc_lo, exec_lo, s31
	s_cbranch_vccnz .LBB167_340
; %bb.338:
	s_waitcnt lgkmcnt(0)
	v_mul_hi_u32 v0, s13, v18
	s_and_not1_b32 vcc_lo, exec_lo, s26
	s_delay_alu instid0(VALU_DEP_1) | instskip(NEXT) | instid1(VALU_DEP_1)
	v_add_nc_u32_e32 v0, v18, v0
	v_lshrrev_b32_e32 v1, s14, v0
	s_delay_alu instid0(VALU_DEP_1) | instskip(NEXT) | instid1(VALU_DEP_1)
	v_mul_lo_u32 v0, v1, s12
	v_sub_nc_u32_e32 v0, v18, v0
	s_delay_alu instid0(VALU_DEP_1)
	v_mul_lo_u32 v8, v0, s8
	v_mul_lo_u32 v0, v0, s9
	s_cbranch_vccnz .LBB167_340
; %bb.339:
	v_mul_hi_u32 v2, s16, v1
	s_delay_alu instid0(VALU_DEP_1) | instskip(NEXT) | instid1(VALU_DEP_1)
	v_add_nc_u32_e32 v2, v1, v2
	v_lshrrev_b32_e32 v2, s17, v2
	s_delay_alu instid0(VALU_DEP_1) | instskip(NEXT) | instid1(VALU_DEP_1)
	v_mul_lo_u32 v2, v2, s15
	v_sub_nc_u32_e32 v4, v1, v2
	s_delay_alu instid0(VALU_DEP_1) | instskip(NEXT) | instid1(VALU_DEP_1)
	v_mad_u64_u32 v[1:2], null, v4, s10, v[8:9]
	v_mad_u64_u32 v[2:3], null, v4, s11, v[0:1]
	v_mov_b32_e32 v8, v1
	s_delay_alu instid0(VALU_DEP_2)
	v_mov_b32_e32 v0, v2
.LBB167_340:
	s_waitcnt lgkmcnt(0)
	global_load_b128 v[0:3], v0, s[6:7]
	v_mov_b32_e32 v9, 0
	v_mov_b32_e32 v10, 0
	s_waitcnt vmcnt(0)
	v_cmp_neq_f64_e32 vcc_lo, 0, v[0:1]
	v_cmp_neq_f64_e64 s2, 0, v[2:3]
	s_delay_alu instid0(VALU_DEP_1) | instskip(NEXT) | instid1(SALU_CYCLE_1)
	s_or_b32 s2, vcc_lo, s2
	s_and_saveexec_b32 s20, s2
	s_cbranch_execz .LBB167_372
; %bb.341:
	s_mov_b32 s2, 0
	s_mov_b32 s3, 0x7ff00000
	v_mov_b32_e32 v9, s2
	v_mov_b32_e32 v10, s3
	s_mov_b32 s21, exec_lo
	v_cmpx_neq_f64_e64 0x7ff00000, |v[2:3]|
	s_cbranch_execz .LBB167_371
; %bb.342:
	s_mov_b32 s2, exec_lo
	v_cmpx_o_f64_e32 v[0:1], v[0:1]
	s_xor_b32 s31, exec_lo, s2
	s_cbranch_execz .LBB167_368
; %bb.343:
	s_mov_b32 s3, exec_lo
	v_cmpx_neq_f64_e64 0x7ff00000, |v[0:1]|
	s_xor_b32 s33, exec_lo, s3
	s_cbranch_execz .LBB167_361
; %bb.344:
	v_max_f64 v[4:5], |v[2:3]|, |v[2:3]|
	v_max_f64 v[6:7], |v[0:1]|, |v[0:1]|
	s_mov_b32 s2, 0x99fcef32
	s_mov_b32 s3, 0x7fda8279
                                        ; implicit-def: $sgpr34
	s_delay_alu instid0(VALU_DEP_1) | instskip(NEXT) | instid1(VALU_DEP_1)
	v_max_f64 v[4:5], v[6:7], v[4:5]
	v_cmp_nle_f64_e64 s2, s[2:3], v[4:5]
	s_delay_alu instid0(VALU_DEP_1) | instskip(NEXT) | instid1(SALU_CYCLE_1)
	s_and_saveexec_b32 s3, s2
	s_xor_b32 s3, exec_lo, s3
	s_cbranch_execz .LBB167_348
; %bb.345:
	v_cmp_ge_f64_e64 s34, 0x200000, |v[0:1]|
	v_cmp_ge_f64_e64 s35, 0x200000, |v[2:3]|
	s_delay_alu instid0(VALU_DEP_1)
	s_and_b32 s36, s34, s35
	s_mov_b32 s34, 0
	s_and_saveexec_b32 s35, s36
; %bb.346:
	v_mul_f64 v[0:1], v[0:1], 4.0
	v_mul_f64 v[2:3], v[2:3], 4.0
	s_mov_b32 s34, exec_lo
; %bb.347:
	s_or_b32 exec_lo, exec_lo, s35
	s_delay_alu instid0(SALU_CYCLE_1)
	s_and_b32 s34, s34, exec_lo
.LBB167_348:
	s_and_not1_saveexec_b32 s3, s3
; %bb.349:
	s_delay_alu instid0(VALU_DEP_2) | instskip(NEXT) | instid1(VALU_DEP_2)
	v_ldexp_f64 v[0:1], v[0:1], -2
	v_ldexp_f64 v[2:3], v[2:3], -2
	s_and_not1_b32 s34, s34, exec_lo
; %bb.350:
	s_or_b32 exec_lo, exec_lo, s3
	s_delay_alu instid0(VALU_DEP_1) | instskip(NEXT) | instid1(VALU_DEP_3)
	v_max_f64 v[4:5], |v[2:3]|, |v[2:3]|
	v_max_f64 v[6:7], |v[0:1]|, |v[0:1]|
	v_cmp_class_f64_e64 s35, v[0:1], 0x204
	v_cmp_class_f64_e64 s36, v[2:3], 0x204
	v_cmp_le_f64_e64 s3, 0, v[0:1]
	s_delay_alu instid0(VALU_DEP_4) | instskip(NEXT) | instid1(VALU_DEP_3)
	v_max_f64 v[4:5], v[6:7], v[4:5]
	s_or_b32 s35, s36, s35
	s_delay_alu instid0(VALU_DEP_1) | instskip(NEXT) | instid1(VALU_DEP_1)
	v_frexp_exp_i32_f64_e32 v13, v[4:5]
	v_sub_nc_u32_e32 v6, 0, v13
	s_delay_alu instid0(VALU_DEP_1) | instskip(SKIP_1) | instid1(VALU_DEP_2)
	v_ldexp_f64 v[4:5], |v[2:3]|, v6
	v_ldexp_f64 v[6:7], |v[0:1]|, v6
	v_mul_f64 v[4:5], v[4:5], v[4:5]
	s_delay_alu instid0(VALU_DEP_1) | instskip(NEXT) | instid1(VALU_DEP_1)
	v_fma_f64 v[4:5], v[6:7], v[6:7], v[4:5]
	v_rsq_f64_e32 v[6:7], v[4:5]
	v_cmp_eq_f64_e32 vcc_lo, 0, v[4:5]
	s_waitcnt_depctr 0xfff
	v_mul_f64 v[9:10], v[4:5], v[6:7]
	v_mul_f64 v[6:7], v[6:7], 0.5
	s_delay_alu instid0(VALU_DEP_1) | instskip(NEXT) | instid1(VALU_DEP_1)
	v_fma_f64 v[11:12], -v[6:7], v[9:10], 0.5
	v_fma_f64 v[9:10], v[9:10], v[11:12], v[9:10]
	v_fma_f64 v[6:7], v[6:7], v[11:12], v[6:7]
	s_delay_alu instid0(VALU_DEP_2) | instskip(NEXT) | instid1(VALU_DEP_1)
	v_fma_f64 v[11:12], -v[9:10], v[9:10], v[4:5]
	v_fma_f64 v[6:7], v[11:12], v[6:7], v[9:10]
	s_delay_alu instid0(VALU_DEP_1) | instskip(SKIP_1) | instid1(VALU_DEP_2)
	v_dual_cndmask_b32 v5, v7, v5 :: v_dual_cndmask_b32 v4, v6, v4
	v_cmp_o_f64_e32 vcc_lo, v[2:3], v[2:3]
	v_ldexp_f64 v[4:5], v[4:5], v13
	s_delay_alu instid0(VALU_DEP_1) | instskip(NEXT) | instid1(VALU_DEP_2)
	v_cndmask_b32_e32 v4, 0, v4, vcc_lo
	v_cndmask_b32_e32 v5, 0x7ff80000, v5, vcc_lo
	s_delay_alu instid0(VALU_DEP_2) | instskip(NEXT) | instid1(VALU_DEP_2)
	v_cndmask_b32_e64 v4, v4, 0, s35
	v_cndmask_b32_e64 v5, v5, 0x7ff00000, s35
	s_and_saveexec_b32 s35, s3
	s_delay_alu instid0(SALU_CYCLE_1)
	s_xor_b32 s3, exec_lo, s35
	s_cbranch_execz .LBB167_356
; %bb.351:
	s_delay_alu instid0(VALU_DEP_1) | instskip(NEXT) | instid1(VALU_DEP_1)
	v_add_f64 v[0:1], v[0:1], v[4:5]
	v_mul_f64 v[0:1], v[0:1], 0.5
	s_delay_alu instid0(VALU_DEP_1) | instskip(SKIP_1) | instid1(VALU_DEP_1)
	v_cmp_gt_f64_e32 vcc_lo, 0x10000000, v[0:1]
	v_cndmask_b32_e64 v4, 0, 1, vcc_lo
	v_lshlrev_b32_e32 v4, 8, v4
	s_delay_alu instid0(VALU_DEP_1) | instskip(NEXT) | instid1(VALU_DEP_1)
	v_ldexp_f64 v[0:1], v[0:1], v4
	v_rsq_f64_e32 v[4:5], v[0:1]
	s_waitcnt_depctr 0xfff
	v_mul_f64 v[6:7], v[0:1], v[4:5]
	v_mul_f64 v[4:5], v[4:5], 0.5
	s_delay_alu instid0(VALU_DEP_1) | instskip(NEXT) | instid1(VALU_DEP_1)
	v_fma_f64 v[9:10], -v[4:5], v[6:7], 0.5
	v_fma_f64 v[6:7], v[6:7], v[9:10], v[6:7]
	v_fma_f64 v[4:5], v[4:5], v[9:10], v[4:5]
	s_delay_alu instid0(VALU_DEP_2) | instskip(NEXT) | instid1(VALU_DEP_1)
	v_fma_f64 v[9:10], -v[6:7], v[6:7], v[0:1]
	v_fma_f64 v[6:7], v[9:10], v[4:5], v[6:7]
	s_delay_alu instid0(VALU_DEP_1) | instskip(NEXT) | instid1(VALU_DEP_1)
	v_fma_f64 v[9:10], -v[6:7], v[6:7], v[0:1]
	v_fma_f64 v[4:5], v[9:10], v[4:5], v[6:7]
	v_cndmask_b32_e64 v6, 0, 0xffffff80, vcc_lo
	v_cmp_class_f64_e64 vcc_lo, v[0:1], 0x260
	s_delay_alu instid0(VALU_DEP_2) | instskip(NEXT) | instid1(VALU_DEP_1)
	v_ldexp_f64 v[4:5], v[4:5], v6
	v_dual_cndmask_b32 v1, v5, v1 :: v_dual_cndmask_b32 v0, v4, v0
	s_delay_alu instid0(VALU_DEP_1) | instskip(NEXT) | instid1(VALU_DEP_1)
	v_add_f64 v[4:5], v[0:1], v[0:1]
	v_div_scale_f64 v[6:7], null, v[4:5], v[4:5], v[2:3]
	s_delay_alu instid0(VALU_DEP_1) | instskip(SKIP_2) | instid1(VALU_DEP_1)
	v_rcp_f64_e32 v[9:10], v[6:7]
	s_waitcnt_depctr 0xfff
	v_fma_f64 v[11:12], -v[6:7], v[9:10], 1.0
	v_fma_f64 v[9:10], v[9:10], v[11:12], v[9:10]
	s_delay_alu instid0(VALU_DEP_1) | instskip(NEXT) | instid1(VALU_DEP_1)
	v_fma_f64 v[11:12], -v[6:7], v[9:10], 1.0
	v_fma_f64 v[9:10], v[9:10], v[11:12], v[9:10]
	v_div_scale_f64 v[11:12], vcc_lo, v[2:3], v[4:5], v[2:3]
	s_delay_alu instid0(VALU_DEP_1) | instskip(NEXT) | instid1(VALU_DEP_1)
	v_mul_f64 v[13:14], v[11:12], v[9:10]
	v_fma_f64 v[6:7], -v[6:7], v[13:14], v[11:12]
	s_delay_alu instid0(VALU_DEP_1) | instskip(NEXT) | instid1(VALU_DEP_1)
	v_div_fmas_f64 v[6:7], v[6:7], v[9:10], v[13:14]
	v_div_fixup_f64 v[2:3], v[6:7], v[4:5], v[2:3]
                                        ; implicit-def: $vgpr4_vgpr5
	s_and_not1_saveexec_b32 s3, s3
	s_cbranch_execnz .LBB167_357
.LBB167_352:
	s_or_b32 exec_lo, exec_lo, s3
	s_and_saveexec_b32 s3, s2
	s_delay_alu instid0(SALU_CYCLE_1)
	s_xor_b32 s2, exec_lo, s3
	s_cbranch_execz .LBB167_358
.LBB167_353:
	s_and_saveexec_b32 s3, s34
; %bb.354:
	s_delay_alu instid0(VALU_DEP_2) | instskip(NEXT) | instid1(VALU_DEP_2)
	v_mul_f64 v[0:1], v[0:1], 0.5
	v_mul_f64 v[2:3], v[2:3], 0.5
; %bb.355:
	s_or_b32 exec_lo, exec_lo, s3
	s_and_not1_saveexec_b32 s2, s2
	s_cbranch_execnz .LBB167_359
	s_branch .LBB167_360
.LBB167_356:
	s_and_not1_saveexec_b32 s3, s3
	s_cbranch_execz .LBB167_352
.LBB167_357:
	v_add_f64 v[0:1], v[4:5], -v[0:1]
	s_delay_alu instid0(VALU_DEP_1) | instskip(NEXT) | instid1(VALU_DEP_1)
	v_mul_f64 v[0:1], v[0:1], 0.5
	v_cmp_gt_f64_e32 vcc_lo, 0x10000000, v[0:1]
	v_cndmask_b32_e64 v4, 0, 1, vcc_lo
	s_delay_alu instid0(VALU_DEP_1) | instskip(NEXT) | instid1(VALU_DEP_1)
	v_lshlrev_b32_e32 v4, 8, v4
	v_ldexp_f64 v[0:1], v[0:1], v4
	s_delay_alu instid0(VALU_DEP_1) | instskip(SKIP_3) | instid1(VALU_DEP_1)
	v_rsq_f64_e32 v[4:5], v[0:1]
	s_waitcnt_depctr 0xfff
	v_mul_f64 v[6:7], v[0:1], v[4:5]
	v_mul_f64 v[4:5], v[4:5], 0.5
	v_fma_f64 v[9:10], -v[4:5], v[6:7], 0.5
	s_delay_alu instid0(VALU_DEP_1) | instskip(SKIP_1) | instid1(VALU_DEP_2)
	v_fma_f64 v[6:7], v[6:7], v[9:10], v[6:7]
	v_fma_f64 v[4:5], v[4:5], v[9:10], v[4:5]
	v_fma_f64 v[9:10], -v[6:7], v[6:7], v[0:1]
	s_delay_alu instid0(VALU_DEP_1) | instskip(NEXT) | instid1(VALU_DEP_1)
	v_fma_f64 v[6:7], v[9:10], v[4:5], v[6:7]
	v_fma_f64 v[9:10], -v[6:7], v[6:7], v[0:1]
	s_delay_alu instid0(VALU_DEP_1) | instskip(SKIP_3) | instid1(VALU_DEP_3)
	v_fma_f64 v[4:5], v[9:10], v[4:5], v[6:7]
	v_cndmask_b32_e64 v6, 0, 0xffffff80, vcc_lo
	v_cmp_class_f64_e64 vcc_lo, v[0:1], 0x260
	v_and_b32_e32 v7, 0x7fffffff, v3
	v_ldexp_f64 v[4:5], v[4:5], v6
	s_delay_alu instid0(VALU_DEP_1) | instskip(NEXT) | instid1(VALU_DEP_1)
	v_dual_cndmask_b32 v5, v5, v1 :: v_dual_cndmask_b32 v4, v4, v0
	v_add_f64 v[0:1], v[4:5], v[4:5]
	v_bfi_b32 v5, 0x7fffffff, v5, v3
	v_mov_b32_e32 v6, v2
	s_delay_alu instid0(VALU_DEP_1) | instskip(SKIP_1) | instid1(VALU_DEP_2)
	v_div_scale_f64 v[9:10], null, v[0:1], v[0:1], v[6:7]
	v_div_scale_f64 v[6:7], vcc_lo, v[6:7], v[0:1], v[6:7]
	v_rcp_f64_e32 v[11:12], v[9:10]
	s_waitcnt_depctr 0xfff
	v_fma_f64 v[13:14], -v[9:10], v[11:12], 1.0
	s_delay_alu instid0(VALU_DEP_1) | instskip(NEXT) | instid1(VALU_DEP_1)
	v_fma_f64 v[11:12], v[11:12], v[13:14], v[11:12]
	v_fma_f64 v[13:14], -v[9:10], v[11:12], 1.0
	s_delay_alu instid0(VALU_DEP_1) | instskip(NEXT) | instid1(VALU_DEP_1)
	v_fma_f64 v[11:12], v[11:12], v[13:14], v[11:12]
	v_mul_f64 v[13:14], v[6:7], v[11:12]
	s_delay_alu instid0(VALU_DEP_1) | instskip(NEXT) | instid1(VALU_DEP_1)
	v_fma_f64 v[6:7], -v[9:10], v[13:14], v[6:7]
	v_div_fmas_f64 v[6:7], v[6:7], v[11:12], v[13:14]
	s_delay_alu instid0(VALU_DEP_1) | instskip(SKIP_3) | instid1(SALU_CYCLE_1)
	v_div_fixup_f64 v[0:1], v[6:7], v[0:1], |v[2:3]|
	v_dual_mov_b32 v2, v4 :: v_dual_mov_b32 v3, v5
	s_or_b32 exec_lo, exec_lo, s3
	s_and_saveexec_b32 s3, s2
	s_xor_b32 s2, exec_lo, s3
	s_cbranch_execnz .LBB167_353
.LBB167_358:
	s_and_not1_saveexec_b32 s2, s2
.LBB167_359:
	s_delay_alu instid0(VALU_DEP_2) | instskip(NEXT) | instid1(VALU_DEP_2)
	v_add_f64 v[0:1], v[0:1], v[0:1]
	v_add_f64 v[2:3], v[2:3], v[2:3]
.LBB167_360:
	s_or_b32 exec_lo, exec_lo, s2
.LBB167_361:
	s_and_not1_saveexec_b32 s2, s33
	s_cbranch_execz .LBB167_367
; %bb.362:
	s_delay_alu instid0(VALU_DEP_1) | instskip(SKIP_1) | instid1(VALU_DEP_3)
	v_add_f64 v[4:5], v[2:3], -v[2:3]
	s_mov_b32 s3, exec_lo
	v_cmpx_lt_i64_e32 -1, v[0:1]
	s_xor_b32 s3, exec_lo, s3
; %bb.363:
	s_delay_alu instid0(VALU_DEP_2) | instskip(NEXT) | instid1(VALU_DEP_1)
	v_bfi_b32 v5, 0x7fffffff, v5, v3
	v_dual_mov_b32 v2, v4 :: v_dual_mov_b32 v3, v5
                                        ; implicit-def: $vgpr4_vgpr5
; %bb.364:
	s_and_not1_saveexec_b32 s3, s3
; %bb.365:
	s_delay_alu instid0(VALU_DEP_1) | instskip(SKIP_1) | instid1(VALU_DEP_2)
	v_bfi_b32 v1, 0x7fffffff, v1, v3
	v_and_b32_e32 v5, 0x7fffffff, v5
	v_dual_mov_b32 v3, v1 :: v_dual_mov_b32 v2, v0
	s_delay_alu instid0(VALU_DEP_2)
	v_dual_mov_b32 v0, v4 :: v_dual_mov_b32 v1, v5
; %bb.366:
	s_or_b32 exec_lo, exec_lo, s3
.LBB167_367:
	s_delay_alu instid0(SALU_CYCLE_1)
	s_or_b32 exec_lo, exec_lo, s2
.LBB167_368:
	s_and_not1_saveexec_b32 s2, s31
; %bb.369:
	s_delay_alu instid0(VALU_DEP_1) | instskip(NEXT) | instid1(VALU_DEP_1)
	v_add_f64 v[2:3], v[2:3], -v[2:3]
	v_div_scale_f64 v[4:5], vcc_lo, v[2:3], v[2:3], v[2:3]
	s_delay_alu instid0(VALU_DEP_1) | instskip(SKIP_2) | instid1(VALU_DEP_1)
	v_rcp_f64_e32 v[6:7], v[4:5]
	s_waitcnt_depctr 0xfff
	v_fma_f64 v[9:10], -v[4:5], v[6:7], 1.0
	v_fma_f64 v[6:7], v[6:7], v[9:10], v[6:7]
	s_delay_alu instid0(VALU_DEP_1) | instskip(NEXT) | instid1(VALU_DEP_1)
	v_fma_f64 v[9:10], -v[4:5], v[6:7], 1.0
	v_fma_f64 v[6:7], v[6:7], v[9:10], v[6:7]
	s_delay_alu instid0(VALU_DEP_1) | instskip(NEXT) | instid1(VALU_DEP_1)
	v_mul_f64 v[9:10], v[4:5], v[6:7]
	v_fma_f64 v[4:5], -v[4:5], v[9:10], v[4:5]
	s_delay_alu instid0(VALU_DEP_1) | instskip(NEXT) | instid1(VALU_DEP_1)
	v_div_fmas_f64 v[4:5], v[4:5], v[6:7], v[9:10]
	v_div_fixup_f64 v[2:3], v[4:5], v[2:3], v[2:3]
; %bb.370:
	s_or_b32 exec_lo, exec_lo, s2
	v_dual_mov_b32 v10, v1 :: v_dual_mov_b32 v9, v0
.LBB167_371:
	s_or_b32 exec_lo, exec_lo, s21
.LBB167_372:
	s_delay_alu instid0(SALU_CYCLE_1) | instskip(NEXT) | instid1(VALU_DEP_1)
	s_or_b32 exec_lo, exec_lo, s20
	v_cmp_gt_f64_e32 vcc_lo, 0, v[9:10]
	s_delay_alu instid0(VALU_DEP_3) | instskip(SKIP_2) | instid1(VALU_DEP_2)
	v_cmp_gt_f64_e64 s2, 0, v[2:3]
	v_xor_b32_e32 v0, 0x80000000, v10
	v_xor_b32_e32 v4, 0x80000000, v3
                                        ; implicit-def: $vgpr6_vgpr7
	v_dual_cndmask_b32 v1, v10, v0 :: v_dual_cndmask_b32 v0, v9, v9
	s_delay_alu instid0(VALU_DEP_2) | instskip(SKIP_2) | instid1(VALU_DEP_1)
	v_cndmask_b32_e64 v12, v3, v4, s2
	v_cndmask_b32_e64 v11, v2, v2, s2
	s_mov_b32 s2, exec_lo
	v_cmpx_ge_f64_e32 v[0:1], v[11:12]
	s_xor_b32 s3, exec_lo, s2
	s_cbranch_execz .LBB167_378
; %bb.373:
	v_cmp_neq_f64_e32 vcc_lo, 0, v[9:10]
	v_cmp_neq_f64_e64 s2, 0, v[2:3]
                                        ; implicit-def: $vgpr6_vgpr7
	s_delay_alu instid0(VALU_DEP_1) | instskip(NEXT) | instid1(SALU_CYCLE_1)
	s_or_b32 s2, vcc_lo, s2
	s_and_saveexec_b32 s20, s2
	s_delay_alu instid0(SALU_CYCLE_1)
	s_xor_b32 s2, exec_lo, s20
	s_cbranch_execz .LBB167_375
; %bb.374:
	v_div_scale_f64 v[0:1], null, v[9:10], v[9:10], v[2:3]
	v_div_scale_f64 v[11:12], vcc_lo, v[2:3], v[9:10], v[2:3]
	s_delay_alu instid0(VALU_DEP_2) | instskip(SKIP_2) | instid1(VALU_DEP_1)
	v_rcp_f64_e32 v[4:5], v[0:1]
	s_waitcnt_depctr 0xfff
	v_fma_f64 v[6:7], -v[0:1], v[4:5], 1.0
	v_fma_f64 v[4:5], v[4:5], v[6:7], v[4:5]
	s_delay_alu instid0(VALU_DEP_1) | instskip(NEXT) | instid1(VALU_DEP_1)
	v_fma_f64 v[6:7], -v[0:1], v[4:5], 1.0
	v_fma_f64 v[4:5], v[4:5], v[6:7], v[4:5]
	s_delay_alu instid0(VALU_DEP_1) | instskip(NEXT) | instid1(VALU_DEP_1)
	v_mul_f64 v[6:7], v[11:12], v[4:5]
	v_fma_f64 v[0:1], -v[0:1], v[6:7], v[11:12]
	s_delay_alu instid0(VALU_DEP_1) | instskip(NEXT) | instid1(VALU_DEP_1)
	v_div_fmas_f64 v[0:1], v[0:1], v[4:5], v[6:7]
	v_div_fixup_f64 v[0:1], v[0:1], v[9:10], v[2:3]
	s_delay_alu instid0(VALU_DEP_1) | instskip(NEXT) | instid1(VALU_DEP_1)
	v_fma_f64 v[2:3], v[2:3], v[0:1], v[9:10]
	v_div_scale_f64 v[4:5], null, v[2:3], v[2:3], 1.0
	v_div_scale_f64 v[11:12], vcc_lo, 1.0, v[2:3], 1.0
	s_delay_alu instid0(VALU_DEP_2) | instskip(SKIP_2) | instid1(VALU_DEP_1)
	v_rcp_f64_e32 v[6:7], v[4:5]
	s_waitcnt_depctr 0xfff
	v_fma_f64 v[9:10], -v[4:5], v[6:7], 1.0
	v_fma_f64 v[6:7], v[6:7], v[9:10], v[6:7]
	s_delay_alu instid0(VALU_DEP_1) | instskip(NEXT) | instid1(VALU_DEP_1)
	v_fma_f64 v[9:10], -v[4:5], v[6:7], 1.0
	v_fma_f64 v[6:7], v[6:7], v[9:10], v[6:7]
	s_delay_alu instid0(VALU_DEP_1) | instskip(NEXT) | instid1(VALU_DEP_1)
	v_mul_f64 v[9:10], v[11:12], v[6:7]
	v_fma_f64 v[4:5], -v[4:5], v[9:10], v[11:12]
                                        ; implicit-def: $vgpr11_vgpr12
	s_delay_alu instid0(VALU_DEP_1) | instskip(SKIP_2) | instid1(VALU_DEP_3)
	v_div_fmas_f64 v[4:5], v[4:5], v[6:7], v[9:10]
	v_fma_f64 v[6:7], v[0:1], 0, 1.0
	v_add_f64 v[0:1], -v[0:1], 0
	v_div_fixup_f64 v[2:3], v[4:5], v[2:3], 1.0
	s_delay_alu instid0(VALU_DEP_1) | instskip(NEXT) | instid1(VALU_DEP_3)
	v_mul_f64 v[4:5], v[6:7], v[2:3]
	v_mul_f64 v[6:7], v[0:1], v[2:3]
                                        ; implicit-def: $vgpr0_vgpr1
.LBB167_375:
	s_and_not1_saveexec_b32 s20, s2
	s_cbranch_execz .LBB167_377
; %bb.376:
	v_div_scale_f64 v[2:3], null, v[0:1], v[0:1], 1.0
	v_div_scale_f64 v[4:5], null, v[11:12], v[11:12], 0
	v_div_scale_f64 v[19:20], vcc_lo, 1.0, v[0:1], 1.0
	s_delay_alu instid0(VALU_DEP_3) | instskip(NEXT) | instid1(VALU_DEP_2)
	v_rcp_f64_e32 v[6:7], v[2:3]
	v_rcp_f64_e32 v[9:10], v[4:5]
	s_waitcnt_depctr 0xfff
	v_fma_f64 v[13:14], -v[2:3], v[6:7], 1.0
	v_fma_f64 v[15:16], -v[4:5], v[9:10], 1.0
	s_delay_alu instid0(VALU_DEP_2) | instskip(NEXT) | instid1(VALU_DEP_2)
	v_fma_f64 v[6:7], v[6:7], v[13:14], v[6:7]
	v_fma_f64 v[9:10], v[9:10], v[15:16], v[9:10]
	s_delay_alu instid0(VALU_DEP_2) | instskip(NEXT) | instid1(VALU_DEP_2)
	v_fma_f64 v[13:14], -v[2:3], v[6:7], 1.0
	v_fma_f64 v[15:16], -v[4:5], v[9:10], 1.0
	s_delay_alu instid0(VALU_DEP_2) | instskip(SKIP_1) | instid1(VALU_DEP_3)
	v_fma_f64 v[6:7], v[6:7], v[13:14], v[6:7]
	v_div_scale_f64 v[13:14], s2, 0, v[11:12], 0
	v_fma_f64 v[9:10], v[9:10], v[15:16], v[9:10]
	s_delay_alu instid0(VALU_DEP_3) | instskip(NEXT) | instid1(VALU_DEP_2)
	v_mul_f64 v[15:16], v[19:20], v[6:7]
	v_mul_f64 v[21:22], v[13:14], v[9:10]
	s_delay_alu instid0(VALU_DEP_2) | instskip(NEXT) | instid1(VALU_DEP_2)
	v_fma_f64 v[2:3], -v[2:3], v[15:16], v[19:20]
	v_fma_f64 v[4:5], -v[4:5], v[21:22], v[13:14]
	s_delay_alu instid0(VALU_DEP_2) | instskip(SKIP_1) | instid1(VALU_DEP_2)
	v_div_fmas_f64 v[2:3], v[2:3], v[6:7], v[15:16]
	s_mov_b32 vcc_lo, s2
	v_div_fmas_f64 v[6:7], v[4:5], v[9:10], v[21:22]
	s_delay_alu instid0(VALU_DEP_2) | instskip(NEXT) | instid1(VALU_DEP_2)
	v_div_fixup_f64 v[4:5], v[2:3], v[0:1], 1.0
	v_div_fixup_f64 v[6:7], v[6:7], v[11:12], 0
.LBB167_377:
	s_or_b32 exec_lo, exec_lo, s20
                                        ; implicit-def: $vgpr2_vgpr3
                                        ; implicit-def: $vgpr9_vgpr10
.LBB167_378:
	s_and_not1_saveexec_b32 s2, s3
	s_cbranch_execz .LBB167_380
; %bb.379:
	v_div_scale_f64 v[0:1], null, v[2:3], v[2:3], v[9:10]
	v_div_scale_f64 v[11:12], vcc_lo, v[9:10], v[2:3], v[9:10]
	s_delay_alu instid0(VALU_DEP_2) | instskip(SKIP_2) | instid1(VALU_DEP_1)
	v_rcp_f64_e32 v[4:5], v[0:1]
	s_waitcnt_depctr 0xfff
	v_fma_f64 v[6:7], -v[0:1], v[4:5], 1.0
	v_fma_f64 v[4:5], v[4:5], v[6:7], v[4:5]
	s_delay_alu instid0(VALU_DEP_1) | instskip(NEXT) | instid1(VALU_DEP_1)
	v_fma_f64 v[6:7], -v[0:1], v[4:5], 1.0
	v_fma_f64 v[4:5], v[4:5], v[6:7], v[4:5]
	s_delay_alu instid0(VALU_DEP_1) | instskip(NEXT) | instid1(VALU_DEP_1)
	v_mul_f64 v[6:7], v[11:12], v[4:5]
	v_fma_f64 v[0:1], -v[0:1], v[6:7], v[11:12]
	s_delay_alu instid0(VALU_DEP_1) | instskip(NEXT) | instid1(VALU_DEP_1)
	v_div_fmas_f64 v[0:1], v[0:1], v[4:5], v[6:7]
	v_div_fixup_f64 v[0:1], v[0:1], v[2:3], v[9:10]
	s_delay_alu instid0(VALU_DEP_1) | instskip(NEXT) | instid1(VALU_DEP_1)
	v_fma_f64 v[2:3], v[9:10], v[0:1], v[2:3]
	v_div_scale_f64 v[4:5], null, v[2:3], v[2:3], 1.0
	v_div_scale_f64 v[11:12], vcc_lo, 1.0, v[2:3], 1.0
	s_delay_alu instid0(VALU_DEP_2) | instskip(SKIP_2) | instid1(VALU_DEP_1)
	v_rcp_f64_e32 v[6:7], v[4:5]
	s_waitcnt_depctr 0xfff
	v_fma_f64 v[9:10], -v[4:5], v[6:7], 1.0
	v_fma_f64 v[6:7], v[6:7], v[9:10], v[6:7]
	s_delay_alu instid0(VALU_DEP_1) | instskip(NEXT) | instid1(VALU_DEP_1)
	v_fma_f64 v[9:10], -v[4:5], v[6:7], 1.0
	v_fma_f64 v[6:7], v[6:7], v[9:10], v[6:7]
	s_delay_alu instid0(VALU_DEP_1) | instskip(NEXT) | instid1(VALU_DEP_1)
	v_mul_f64 v[9:10], v[11:12], v[6:7]
	v_fma_f64 v[4:5], -v[4:5], v[9:10], v[11:12]
	s_delay_alu instid0(VALU_DEP_1) | instskip(SKIP_2) | instid1(VALU_DEP_3)
	v_div_fmas_f64 v[4:5], v[4:5], v[6:7], v[9:10]
	v_add_f64 v[6:7], v[0:1], 0
	v_fma_f64 v[0:1], v[0:1], 0, -1.0
	v_div_fixup_f64 v[2:3], v[4:5], v[2:3], 1.0
	s_delay_alu instid0(VALU_DEP_1) | instskip(NEXT) | instid1(VALU_DEP_3)
	v_mul_f64 v[4:5], v[6:7], v[2:3]
	v_mul_f64 v[6:7], v[0:1], v[2:3]
.LBB167_380:
	s_or_b32 exec_lo, exec_lo, s2
	v_add_nc_u32_e32 v18, 0x80, v18
	global_store_b128 v8, v[4:7], s[4:5]
.LBB167_381:
	s_or_b32 exec_lo, exec_lo, s30
	s_mov_b32 s2, 0
	s_mov_b32 s20, exec_lo
                                        ; implicit-def: $vgpr12_vgpr13
                                        ; implicit-def: $vgpr14_vgpr15
	v_cmpx_gt_i32_e64 s27, v18
	s_cbranch_execz .LBB167_436
; %bb.382:
	s_and_not1_b32 vcc_lo, exec_lo, s24
	s_cbranch_vccnz .LBB167_387
; %bb.383:
	v_mov_b32_e32 v4, 0
	v_mov_b32_e32 v0, 0
	s_and_not1_b32 vcc_lo, exec_lo, s29
	s_mov_b32 s21, 0
	s_cbranch_vccnz .LBB167_392
; %bb.384:
	v_mov_b32_e32 v4, 0
	s_add_i32 s28, s28, 1
	s_cmp_eq_u32 s23, 2
	s_mov_b32 s27, 0
	s_cbranch_scc1 .LBB167_388
; %bb.385:
	v_dual_mov_b32 v0, 0 :: v_dual_mov_b32 v1, v18
	v_mov_b32_e32 v4, 0
	s_and_b32 s27, s28, 28
	s_mov_b32 s29, 0
	s_mov_b64 s[2:3], s[0:1]
.LBB167_386:                            ; =>This Inner Loop Header: Depth=1
	s_clause 0x1
	s_load_b256 s[36:43], s[2:3], 0x4
	s_load_b128 s[52:55], s[2:3], 0x24
	s_load_b256 s[44:51], s[18:19], 0x0
	s_add_u32 s2, s2, 48
	s_addc_u32 s3, s3, 0
	s_add_i32 s29, s29, 4
	s_add_u32 s18, s18, 32
	s_addc_u32 s19, s19, 0
	s_cmp_eq_u32 s27, s29
	s_waitcnt lgkmcnt(0)
	v_mul_hi_u32 v2, s37, v1
	s_delay_alu instid0(VALU_DEP_1) | instskip(NEXT) | instid1(VALU_DEP_1)
	v_add_nc_u32_e32 v2, v1, v2
	v_lshrrev_b32_e32 v2, s38, v2
	s_delay_alu instid0(VALU_DEP_1) | instskip(SKIP_1) | instid1(VALU_DEP_2)
	v_mul_hi_u32 v3, s40, v2
	v_mul_lo_u32 v6, v2, s36
	v_add_nc_u32_e32 v3, v2, v3
	s_delay_alu instid0(VALU_DEP_2) | instskip(NEXT) | instid1(VALU_DEP_2)
	v_sub_nc_u32_e32 v1, v1, v6
	v_lshrrev_b32_e32 v3, s41, v3
	s_delay_alu instid0(VALU_DEP_2) | instskip(SKIP_1) | instid1(VALU_DEP_3)
	v_mul_lo_u32 v6, v1, s44
	v_mul_lo_u32 v8, v1, s45
	v_mul_hi_u32 v5, s43, v3
	s_delay_alu instid0(VALU_DEP_1) | instskip(NEXT) | instid1(VALU_DEP_1)
	v_add_nc_u32_e32 v5, v3, v5
	v_lshrrev_b32_e32 v5, s52, v5
	s_delay_alu instid0(VALU_DEP_1) | instskip(SKIP_1) | instid1(VALU_DEP_2)
	v_mul_hi_u32 v7, s54, v5
	v_mul_lo_u32 v9, v5, s42
	v_add_nc_u32_e32 v1, v5, v7
	v_mul_lo_u32 v7, v3, s39
	s_delay_alu instid0(VALU_DEP_3) | instskip(NEXT) | instid1(VALU_DEP_3)
	v_sub_nc_u32_e32 v3, v3, v9
	v_lshrrev_b32_e32 v1, s55, v1
	s_delay_alu instid0(VALU_DEP_2) | instskip(SKIP_2) | instid1(VALU_DEP_4)
	v_mul_lo_u32 v9, v3, s48
	v_mul_lo_u32 v3, v3, s49
	v_sub_nc_u32_e32 v2, v2, v7
	v_mul_lo_u32 v10, v1, s53
	s_delay_alu instid0(VALU_DEP_2) | instskip(SKIP_1) | instid1(VALU_DEP_3)
	v_mul_lo_u32 v7, v2, s46
	v_mul_lo_u32 v2, v2, s47
	v_sub_nc_u32_e32 v5, v5, v10
	s_delay_alu instid0(VALU_DEP_3) | instskip(NEXT) | instid1(VALU_DEP_2)
	v_add3_u32 v4, v6, v4, v7
	v_mul_lo_u32 v10, v5, s50
	v_mul_lo_u32 v5, v5, s51
	v_add3_u32 v0, v8, v0, v2
	s_delay_alu instid0(VALU_DEP_3) | instskip(NEXT) | instid1(VALU_DEP_2)
	v_add3_u32 v4, v9, v4, v10
	v_add3_u32 v0, v3, v0, v5
	s_cbranch_scc0 .LBB167_386
	s_branch .LBB167_389
.LBB167_387:
	s_mov_b32 s21, -1
                                        ; implicit-def: $vgpr4
                                        ; implicit-def: $vgpr0
	s_branch .LBB167_392
.LBB167_388:
	v_dual_mov_b32 v1, v18 :: v_dual_mov_b32 v0, 0
.LBB167_389:
	s_and_b32 s28, s28, 3
	s_delay_alu instid0(SALU_CYCLE_1)
	s_cmp_eq_u32 s28, 0
	s_cbranch_scc1 .LBB167_392
; %bb.390:
	s_lshl_b32 s2, s27, 3
	s_mul_i32 s18, s27, 12
	s_add_u32 s2, s2, s0
	s_addc_u32 s3, s1, 0
	s_add_u32 s2, s2, 0xc4
	s_addc_u32 s3, s3, 0
	;; [unrolled: 2-line block ×3, first 2 shown]
	.p2align	6
.LBB167_391:                            ; =>This Inner Loop Header: Depth=1
	s_clause 0x1
	s_load_b64 s[30:31], s[18:19], 0x4
	s_load_b32 s27, s[18:19], 0xc
	s_load_b64 s[34:35], s[2:3], 0x0
	s_add_u32 s18, s18, 12
	s_addc_u32 s19, s19, 0
	s_add_u32 s2, s2, 8
	s_addc_u32 s3, s3, 0
	s_add_i32 s28, s28, -1
	s_delay_alu instid0(SALU_CYCLE_1) | instskip(SKIP_2) | instid1(VALU_DEP_1)
	s_cmp_lg_u32 s28, 0
	s_waitcnt lgkmcnt(0)
	v_mul_hi_u32 v2, s31, v1
	v_add_nc_u32_e32 v2, v1, v2
	s_delay_alu instid0(VALU_DEP_1) | instskip(NEXT) | instid1(VALU_DEP_1)
	v_lshrrev_b32_e32 v5, s27, v2
	v_mul_lo_u32 v2, v5, s30
	s_delay_alu instid0(VALU_DEP_1) | instskip(NEXT) | instid1(VALU_DEP_1)
	v_sub_nc_u32_e32 v1, v1, v2
	v_mad_u64_u32 v[2:3], null, v1, s34, v[4:5]
	v_mad_u64_u32 v[3:4], null, v1, s35, v[0:1]
	s_delay_alu instid0(VALU_DEP_2) | instskip(NEXT) | instid1(VALU_DEP_2)
	v_dual_mov_b32 v1, v5 :: v_dual_mov_b32 v4, v2
	v_mov_b32_e32 v0, v3
	s_cbranch_scc1 .LBB167_391
.LBB167_392:
	s_and_not1_b32 vcc_lo, exec_lo, s21
	s_cbranch_vccnz .LBB167_395
; %bb.393:
	s_waitcnt lgkmcnt(0)
	v_mul_hi_u32 v0, s13, v18
	s_and_not1_b32 vcc_lo, exec_lo, s26
	s_delay_alu instid0(VALU_DEP_1) | instskip(NEXT) | instid1(VALU_DEP_1)
	v_add_nc_u32_e32 v0, v18, v0
	v_lshrrev_b32_e32 v1, s14, v0
	s_delay_alu instid0(VALU_DEP_1) | instskip(NEXT) | instid1(VALU_DEP_1)
	v_mul_lo_u32 v0, v1, s12
	v_sub_nc_u32_e32 v0, v18, v0
	s_delay_alu instid0(VALU_DEP_1)
	v_mul_lo_u32 v4, v0, s8
	v_mul_lo_u32 v0, v0, s9
	s_cbranch_vccnz .LBB167_395
; %bb.394:
	v_mul_hi_u32 v2, s16, v1
	s_delay_alu instid0(VALU_DEP_1) | instskip(NEXT) | instid1(VALU_DEP_1)
	v_add_nc_u32_e32 v2, v1, v2
	v_lshrrev_b32_e32 v2, s17, v2
	s_delay_alu instid0(VALU_DEP_1) | instskip(NEXT) | instid1(VALU_DEP_1)
	v_mul_lo_u32 v2, v2, s15
	v_sub_nc_u32_e32 v5, v1, v2
	s_delay_alu instid0(VALU_DEP_1) | instskip(NEXT) | instid1(VALU_DEP_1)
	v_mad_u64_u32 v[1:2], null, v5, s10, v[4:5]
	v_mad_u64_u32 v[2:3], null, v5, s11, v[0:1]
	v_mov_b32_e32 v4, v1
	s_delay_alu instid0(VALU_DEP_2)
	v_mov_b32_e32 v0, v2
.LBB167_395:
	s_waitcnt lgkmcnt(0)
	global_load_b128 v[0:3], v0, s[6:7]
	v_mov_b32_e32 v5, 0
	v_mov_b32_e32 v6, 0
	s_waitcnt vmcnt(0)
	v_cmp_neq_f64_e32 vcc_lo, 0, v[0:1]
	v_cmp_neq_f64_e64 s2, 0, v[2:3]
	s_delay_alu instid0(VALU_DEP_1) | instskip(NEXT) | instid1(SALU_CYCLE_1)
	s_or_b32 s2, vcc_lo, s2
	s_and_saveexec_b32 s6, s2
	s_cbranch_execz .LBB167_427
; %bb.396:
	s_mov_b32 s2, 0
	s_mov_b32 s3, 0x7ff00000
	v_mov_b32_e32 v5, s2
	v_mov_b32_e32 v6, s3
	s_mov_b32 s7, exec_lo
	v_cmpx_neq_f64_e64 0x7ff00000, |v[2:3]|
	s_cbranch_execz .LBB167_426
; %bb.397:
	s_mov_b32 s2, exec_lo
	v_cmpx_o_f64_e32 v[0:1], v[0:1]
	s_xor_b32 s8, exec_lo, s2
	s_cbranch_execz .LBB167_423
; %bb.398:
	s_mov_b32 s3, exec_lo
	v_cmpx_neq_f64_e64 0x7ff00000, |v[0:1]|
	s_xor_b32 s9, exec_lo, s3
	s_cbranch_execz .LBB167_416
; %bb.399:
	v_max_f64 v[5:6], |v[2:3]|, |v[2:3]|
	v_max_f64 v[7:8], |v[0:1]|, |v[0:1]|
	s_mov_b32 s2, 0x99fcef32
	s_mov_b32 s3, 0x7fda8279
                                        ; implicit-def: $sgpr10
	s_delay_alu instid0(VALU_DEP_1) | instskip(NEXT) | instid1(VALU_DEP_1)
	v_max_f64 v[5:6], v[7:8], v[5:6]
	v_cmp_nle_f64_e64 s2, s[2:3], v[5:6]
	s_delay_alu instid0(VALU_DEP_1) | instskip(NEXT) | instid1(SALU_CYCLE_1)
	s_and_saveexec_b32 s3, s2
	s_xor_b32 s3, exec_lo, s3
	s_cbranch_execz .LBB167_403
; %bb.400:
	v_cmp_ge_f64_e64 s10, 0x200000, |v[0:1]|
	v_cmp_ge_f64_e64 s11, 0x200000, |v[2:3]|
	s_delay_alu instid0(VALU_DEP_1)
	s_and_b32 s12, s10, s11
	s_mov_b32 s10, 0
	s_and_saveexec_b32 s11, s12
; %bb.401:
	v_mul_f64 v[0:1], v[0:1], 4.0
	v_mul_f64 v[2:3], v[2:3], 4.0
	s_mov_b32 s10, exec_lo
; %bb.402:
	s_or_b32 exec_lo, exec_lo, s11
	s_delay_alu instid0(SALU_CYCLE_1)
	s_and_b32 s10, s10, exec_lo
.LBB167_403:
	s_and_not1_saveexec_b32 s3, s3
; %bb.404:
	s_delay_alu instid0(VALU_DEP_2) | instskip(NEXT) | instid1(VALU_DEP_2)
	v_ldexp_f64 v[0:1], v[0:1], -2
	v_ldexp_f64 v[2:3], v[2:3], -2
	s_and_not1_b32 s10, s10, exec_lo
; %bb.405:
	s_or_b32 exec_lo, exec_lo, s3
	s_delay_alu instid0(VALU_DEP_1) | instskip(NEXT) | instid1(VALU_DEP_3)
	v_max_f64 v[5:6], |v[2:3]|, |v[2:3]|
	v_max_f64 v[7:8], |v[0:1]|, |v[0:1]|
	v_cmp_class_f64_e64 s11, v[0:1], 0x204
	v_cmp_class_f64_e64 s12, v[2:3], 0x204
	v_cmp_le_f64_e64 s3, 0, v[0:1]
	s_delay_alu instid0(VALU_DEP_4) | instskip(NEXT) | instid1(VALU_DEP_3)
	v_max_f64 v[5:6], v[7:8], v[5:6]
	s_or_b32 s11, s12, s11
	s_delay_alu instid0(VALU_DEP_1) | instskip(NEXT) | instid1(VALU_DEP_1)
	v_frexp_exp_i32_f64_e32 v13, v[5:6]
	v_sub_nc_u32_e32 v7, 0, v13
	s_delay_alu instid0(VALU_DEP_1) | instskip(SKIP_1) | instid1(VALU_DEP_2)
	v_ldexp_f64 v[5:6], |v[2:3]|, v7
	v_ldexp_f64 v[7:8], |v[0:1]|, v7
	v_mul_f64 v[5:6], v[5:6], v[5:6]
	s_delay_alu instid0(VALU_DEP_1) | instskip(NEXT) | instid1(VALU_DEP_1)
	v_fma_f64 v[5:6], v[7:8], v[7:8], v[5:6]
	v_rsq_f64_e32 v[7:8], v[5:6]
	v_cmp_eq_f64_e32 vcc_lo, 0, v[5:6]
	s_waitcnt_depctr 0xfff
	v_mul_f64 v[9:10], v[5:6], v[7:8]
	v_mul_f64 v[7:8], v[7:8], 0.5
	s_delay_alu instid0(VALU_DEP_1) | instskip(NEXT) | instid1(VALU_DEP_1)
	v_fma_f64 v[11:12], -v[7:8], v[9:10], 0.5
	v_fma_f64 v[9:10], v[9:10], v[11:12], v[9:10]
	v_fma_f64 v[7:8], v[7:8], v[11:12], v[7:8]
	s_delay_alu instid0(VALU_DEP_2) | instskip(NEXT) | instid1(VALU_DEP_1)
	v_fma_f64 v[11:12], -v[9:10], v[9:10], v[5:6]
	v_fma_f64 v[7:8], v[11:12], v[7:8], v[9:10]
	s_delay_alu instid0(VALU_DEP_1) | instskip(SKIP_1) | instid1(VALU_DEP_2)
	v_dual_cndmask_b32 v6, v8, v6 :: v_dual_cndmask_b32 v5, v7, v5
	v_cmp_o_f64_e32 vcc_lo, v[2:3], v[2:3]
	v_ldexp_f64 v[5:6], v[5:6], v13
	s_delay_alu instid0(VALU_DEP_1) | instskip(NEXT) | instid1(VALU_DEP_2)
	v_cndmask_b32_e32 v5, 0, v5, vcc_lo
	v_cndmask_b32_e32 v6, 0x7ff80000, v6, vcc_lo
	s_delay_alu instid0(VALU_DEP_2) | instskip(NEXT) | instid1(VALU_DEP_2)
	v_cndmask_b32_e64 v5, v5, 0, s11
	v_cndmask_b32_e64 v6, v6, 0x7ff00000, s11
	s_and_saveexec_b32 s11, s3
	s_delay_alu instid0(SALU_CYCLE_1)
	s_xor_b32 s3, exec_lo, s11
	s_cbranch_execz .LBB167_411
; %bb.406:
	s_delay_alu instid0(VALU_DEP_1) | instskip(NEXT) | instid1(VALU_DEP_1)
	v_add_f64 v[0:1], v[0:1], v[5:6]
	v_mul_f64 v[0:1], v[0:1], 0.5
	s_delay_alu instid0(VALU_DEP_1) | instskip(SKIP_1) | instid1(VALU_DEP_1)
	v_cmp_gt_f64_e32 vcc_lo, 0x10000000, v[0:1]
	v_cndmask_b32_e64 v5, 0, 1, vcc_lo
	v_lshlrev_b32_e32 v5, 8, v5
	s_delay_alu instid0(VALU_DEP_1) | instskip(NEXT) | instid1(VALU_DEP_1)
	v_ldexp_f64 v[0:1], v[0:1], v5
	v_rsq_f64_e32 v[5:6], v[0:1]
	s_waitcnt_depctr 0xfff
	v_mul_f64 v[7:8], v[0:1], v[5:6]
	v_mul_f64 v[5:6], v[5:6], 0.5
	s_delay_alu instid0(VALU_DEP_1) | instskip(NEXT) | instid1(VALU_DEP_1)
	v_fma_f64 v[9:10], -v[5:6], v[7:8], 0.5
	v_fma_f64 v[7:8], v[7:8], v[9:10], v[7:8]
	v_fma_f64 v[5:6], v[5:6], v[9:10], v[5:6]
	s_delay_alu instid0(VALU_DEP_2) | instskip(NEXT) | instid1(VALU_DEP_1)
	v_fma_f64 v[9:10], -v[7:8], v[7:8], v[0:1]
	v_fma_f64 v[7:8], v[9:10], v[5:6], v[7:8]
	s_delay_alu instid0(VALU_DEP_1) | instskip(NEXT) | instid1(VALU_DEP_1)
	v_fma_f64 v[9:10], -v[7:8], v[7:8], v[0:1]
	v_fma_f64 v[5:6], v[9:10], v[5:6], v[7:8]
	v_cndmask_b32_e64 v7, 0, 0xffffff80, vcc_lo
	v_cmp_class_f64_e64 vcc_lo, v[0:1], 0x260
	s_delay_alu instid0(VALU_DEP_2) | instskip(NEXT) | instid1(VALU_DEP_1)
	v_ldexp_f64 v[5:6], v[5:6], v7
	v_dual_cndmask_b32 v1, v6, v1 :: v_dual_cndmask_b32 v0, v5, v0
	s_delay_alu instid0(VALU_DEP_1) | instskip(NEXT) | instid1(VALU_DEP_1)
	v_add_f64 v[5:6], v[0:1], v[0:1]
	v_div_scale_f64 v[7:8], null, v[5:6], v[5:6], v[2:3]
	s_delay_alu instid0(VALU_DEP_1) | instskip(SKIP_2) | instid1(VALU_DEP_1)
	v_rcp_f64_e32 v[9:10], v[7:8]
	s_waitcnt_depctr 0xfff
	v_fma_f64 v[11:12], -v[7:8], v[9:10], 1.0
	v_fma_f64 v[9:10], v[9:10], v[11:12], v[9:10]
	s_delay_alu instid0(VALU_DEP_1) | instskip(NEXT) | instid1(VALU_DEP_1)
	v_fma_f64 v[11:12], -v[7:8], v[9:10], 1.0
	v_fma_f64 v[9:10], v[9:10], v[11:12], v[9:10]
	v_div_scale_f64 v[11:12], vcc_lo, v[2:3], v[5:6], v[2:3]
	s_delay_alu instid0(VALU_DEP_1) | instskip(NEXT) | instid1(VALU_DEP_1)
	v_mul_f64 v[13:14], v[11:12], v[9:10]
	v_fma_f64 v[7:8], -v[7:8], v[13:14], v[11:12]
	s_delay_alu instid0(VALU_DEP_1) | instskip(NEXT) | instid1(VALU_DEP_1)
	v_div_fmas_f64 v[7:8], v[7:8], v[9:10], v[13:14]
	v_div_fixup_f64 v[2:3], v[7:8], v[5:6], v[2:3]
                                        ; implicit-def: $vgpr5_vgpr6
	s_and_not1_saveexec_b32 s3, s3
	s_cbranch_execnz .LBB167_412
.LBB167_407:
	s_or_b32 exec_lo, exec_lo, s3
	s_and_saveexec_b32 s3, s2
	s_delay_alu instid0(SALU_CYCLE_1)
	s_xor_b32 s2, exec_lo, s3
	s_cbranch_execz .LBB167_413
.LBB167_408:
	s_and_saveexec_b32 s3, s10
; %bb.409:
	s_delay_alu instid0(VALU_DEP_2) | instskip(NEXT) | instid1(VALU_DEP_2)
	v_mul_f64 v[0:1], v[0:1], 0.5
	v_mul_f64 v[2:3], v[2:3], 0.5
; %bb.410:
	s_or_b32 exec_lo, exec_lo, s3
	s_and_not1_saveexec_b32 s2, s2
	s_cbranch_execnz .LBB167_414
	s_branch .LBB167_415
.LBB167_411:
	s_and_not1_saveexec_b32 s3, s3
	s_cbranch_execz .LBB167_407
.LBB167_412:
	v_add_f64 v[0:1], v[5:6], -v[0:1]
	s_delay_alu instid0(VALU_DEP_1) | instskip(NEXT) | instid1(VALU_DEP_1)
	v_mul_f64 v[0:1], v[0:1], 0.5
	v_cmp_gt_f64_e32 vcc_lo, 0x10000000, v[0:1]
	v_cndmask_b32_e64 v5, 0, 1, vcc_lo
	s_delay_alu instid0(VALU_DEP_1) | instskip(NEXT) | instid1(VALU_DEP_1)
	v_lshlrev_b32_e32 v5, 8, v5
	v_ldexp_f64 v[0:1], v[0:1], v5
	s_delay_alu instid0(VALU_DEP_1) | instskip(SKIP_3) | instid1(VALU_DEP_1)
	v_rsq_f64_e32 v[5:6], v[0:1]
	s_waitcnt_depctr 0xfff
	v_mul_f64 v[7:8], v[0:1], v[5:6]
	v_mul_f64 v[5:6], v[5:6], 0.5
	v_fma_f64 v[9:10], -v[5:6], v[7:8], 0.5
	s_delay_alu instid0(VALU_DEP_1) | instskip(SKIP_1) | instid1(VALU_DEP_2)
	v_fma_f64 v[7:8], v[7:8], v[9:10], v[7:8]
	v_fma_f64 v[5:6], v[5:6], v[9:10], v[5:6]
	v_fma_f64 v[9:10], -v[7:8], v[7:8], v[0:1]
	s_delay_alu instid0(VALU_DEP_1) | instskip(NEXT) | instid1(VALU_DEP_1)
	v_fma_f64 v[7:8], v[9:10], v[5:6], v[7:8]
	v_fma_f64 v[9:10], -v[7:8], v[7:8], v[0:1]
	s_delay_alu instid0(VALU_DEP_1) | instskip(SKIP_3) | instid1(VALU_DEP_3)
	v_fma_f64 v[5:6], v[9:10], v[5:6], v[7:8]
	v_cndmask_b32_e64 v7, 0, 0xffffff80, vcc_lo
	v_cmp_class_f64_e64 vcc_lo, v[0:1], 0x260
	v_and_b32_e32 v8, 0x7fffffff, v3
	v_ldexp_f64 v[5:6], v[5:6], v7
	v_mov_b32_e32 v7, v2
	s_delay_alu instid0(VALU_DEP_2) | instskip(NEXT) | instid1(VALU_DEP_1)
	v_dual_cndmask_b32 v6, v6, v1 :: v_dual_cndmask_b32 v5, v5, v0
	v_add_f64 v[0:1], v[5:6], v[5:6]
	v_bfi_b32 v6, 0x7fffffff, v6, v3
	s_delay_alu instid0(VALU_DEP_2) | instskip(SKIP_1) | instid1(VALU_DEP_2)
	v_div_scale_f64 v[9:10], null, v[0:1], v[0:1], v[7:8]
	v_div_scale_f64 v[7:8], vcc_lo, v[7:8], v[0:1], v[7:8]
	v_rcp_f64_e32 v[11:12], v[9:10]
	s_waitcnt_depctr 0xfff
	v_fma_f64 v[13:14], -v[9:10], v[11:12], 1.0
	s_delay_alu instid0(VALU_DEP_1) | instskip(NEXT) | instid1(VALU_DEP_1)
	v_fma_f64 v[11:12], v[11:12], v[13:14], v[11:12]
	v_fma_f64 v[13:14], -v[9:10], v[11:12], 1.0
	s_delay_alu instid0(VALU_DEP_1) | instskip(NEXT) | instid1(VALU_DEP_1)
	v_fma_f64 v[11:12], v[11:12], v[13:14], v[11:12]
	v_mul_f64 v[13:14], v[7:8], v[11:12]
	s_delay_alu instid0(VALU_DEP_1) | instskip(NEXT) | instid1(VALU_DEP_1)
	v_fma_f64 v[7:8], -v[9:10], v[13:14], v[7:8]
	v_div_fmas_f64 v[7:8], v[7:8], v[11:12], v[13:14]
	s_delay_alu instid0(VALU_DEP_1) | instskip(SKIP_3) | instid1(SALU_CYCLE_1)
	v_div_fixup_f64 v[0:1], v[7:8], v[0:1], |v[2:3]|
	v_dual_mov_b32 v2, v5 :: v_dual_mov_b32 v3, v6
	s_or_b32 exec_lo, exec_lo, s3
	s_and_saveexec_b32 s3, s2
	s_xor_b32 s2, exec_lo, s3
	s_cbranch_execnz .LBB167_408
.LBB167_413:
	s_and_not1_saveexec_b32 s2, s2
.LBB167_414:
	s_delay_alu instid0(VALU_DEP_2) | instskip(NEXT) | instid1(VALU_DEP_2)
	v_add_f64 v[0:1], v[0:1], v[0:1]
	v_add_f64 v[2:3], v[2:3], v[2:3]
.LBB167_415:
	s_or_b32 exec_lo, exec_lo, s2
.LBB167_416:
	s_and_not1_saveexec_b32 s2, s9
	s_cbranch_execz .LBB167_422
; %bb.417:
	s_delay_alu instid0(VALU_DEP_1) | instskip(SKIP_1) | instid1(VALU_DEP_3)
	v_add_f64 v[5:6], v[2:3], -v[2:3]
	s_mov_b32 s3, exec_lo
	v_cmpx_lt_i64_e32 -1, v[0:1]
	s_xor_b32 s3, exec_lo, s3
; %bb.418:
	s_delay_alu instid0(VALU_DEP_2) | instskip(NEXT) | instid1(VALU_DEP_1)
	v_bfi_b32 v6, 0x7fffffff, v6, v3
	v_dual_mov_b32 v2, v5 :: v_dual_mov_b32 v3, v6
                                        ; implicit-def: $vgpr5_vgpr6
; %bb.419:
	s_and_not1_saveexec_b32 s3, s3
; %bb.420:
	s_delay_alu instid0(VALU_DEP_1) | instskip(NEXT) | instid1(VALU_DEP_1)
	v_bfi_b32 v1, 0x7fffffff, v1, v3
	v_dual_mov_b32 v3, v1 :: v_dual_and_b32 v6, 0x7fffffff, v6
	v_mov_b32_e32 v2, v0
	s_delay_alu instid0(VALU_DEP_2)
	v_dual_mov_b32 v0, v5 :: v_dual_mov_b32 v1, v6
; %bb.421:
	s_or_b32 exec_lo, exec_lo, s3
.LBB167_422:
	s_delay_alu instid0(SALU_CYCLE_1)
	s_or_b32 exec_lo, exec_lo, s2
.LBB167_423:
	s_and_not1_saveexec_b32 s2, s8
; %bb.424:
	s_delay_alu instid0(VALU_DEP_1) | instskip(NEXT) | instid1(VALU_DEP_1)
	v_add_f64 v[2:3], v[2:3], -v[2:3]
	v_div_scale_f64 v[5:6], vcc_lo, v[2:3], v[2:3], v[2:3]
	s_delay_alu instid0(VALU_DEP_1) | instskip(SKIP_2) | instid1(VALU_DEP_1)
	v_rcp_f64_e32 v[7:8], v[5:6]
	s_waitcnt_depctr 0xfff
	v_fma_f64 v[9:10], -v[5:6], v[7:8], 1.0
	v_fma_f64 v[7:8], v[7:8], v[9:10], v[7:8]
	s_delay_alu instid0(VALU_DEP_1) | instskip(NEXT) | instid1(VALU_DEP_1)
	v_fma_f64 v[9:10], -v[5:6], v[7:8], 1.0
	v_fma_f64 v[7:8], v[7:8], v[9:10], v[7:8]
	s_delay_alu instid0(VALU_DEP_1) | instskip(NEXT) | instid1(VALU_DEP_1)
	v_mul_f64 v[9:10], v[5:6], v[7:8]
	v_fma_f64 v[5:6], -v[5:6], v[9:10], v[5:6]
	s_delay_alu instid0(VALU_DEP_1) | instskip(NEXT) | instid1(VALU_DEP_1)
	v_div_fmas_f64 v[5:6], v[5:6], v[7:8], v[9:10]
	v_div_fixup_f64 v[2:3], v[5:6], v[2:3], v[2:3]
; %bb.425:
	s_or_b32 exec_lo, exec_lo, s2
	v_dual_mov_b32 v6, v1 :: v_dual_mov_b32 v5, v0
.LBB167_426:
	s_or_b32 exec_lo, exec_lo, s7
.LBB167_427:
	s_delay_alu instid0(SALU_CYCLE_1) | instskip(NEXT) | instid1(VALU_DEP_1)
	s_or_b32 exec_lo, exec_lo, s6
	v_cmp_gt_f64_e32 vcc_lo, 0, v[5:6]
	s_delay_alu instid0(VALU_DEP_3) | instskip(SKIP_2) | instid1(VALU_DEP_2)
	v_cmp_gt_f64_e64 s2, 0, v[2:3]
	v_xor_b32_e32 v0, 0x80000000, v6
	v_xor_b32_e32 v7, 0x80000000, v3
                                        ; implicit-def: $vgpr12_vgpr13
                                        ; implicit-def: $vgpr9_vgpr10
	v_dual_cndmask_b32 v1, v6, v0 :: v_dual_cndmask_b32 v0, v5, v5
	s_delay_alu instid0(VALU_DEP_2) | instskip(SKIP_2) | instid1(VALU_DEP_1)
	v_cndmask_b32_e64 v8, v3, v7, s2
	v_cndmask_b32_e64 v7, v2, v2, s2
	s_mov_b32 s2, exec_lo
	v_cmpx_ge_f64_e32 v[0:1], v[7:8]
	s_xor_b32 s3, exec_lo, s2
	s_cbranch_execz .LBB167_433
; %bb.428:
	v_cmp_neq_f64_e32 vcc_lo, 0, v[5:6]
	v_cmp_neq_f64_e64 s2, 0, v[2:3]
                                        ; implicit-def: $vgpr12_vgpr13
                                        ; implicit-def: $vgpr9_vgpr10
	s_delay_alu instid0(VALU_DEP_1) | instskip(NEXT) | instid1(SALU_CYCLE_1)
	s_or_b32 s2, vcc_lo, s2
	s_and_saveexec_b32 s6, s2
	s_delay_alu instid0(SALU_CYCLE_1)
	s_xor_b32 s2, exec_lo, s6
	s_cbranch_execz .LBB167_430
; %bb.429:
	v_div_scale_f64 v[0:1], null, v[5:6], v[5:6], v[2:3]
	v_div_scale_f64 v[11:12], vcc_lo, v[2:3], v[5:6], v[2:3]
	s_delay_alu instid0(VALU_DEP_2) | instskip(SKIP_2) | instid1(VALU_DEP_1)
	v_rcp_f64_e32 v[7:8], v[0:1]
	s_waitcnt_depctr 0xfff
	v_fma_f64 v[9:10], -v[0:1], v[7:8], 1.0
	v_fma_f64 v[7:8], v[7:8], v[9:10], v[7:8]
	s_delay_alu instid0(VALU_DEP_1) | instskip(NEXT) | instid1(VALU_DEP_1)
	v_fma_f64 v[9:10], -v[0:1], v[7:8], 1.0
	v_fma_f64 v[7:8], v[7:8], v[9:10], v[7:8]
	s_delay_alu instid0(VALU_DEP_1) | instskip(NEXT) | instid1(VALU_DEP_1)
	v_mul_f64 v[9:10], v[11:12], v[7:8]
	v_fma_f64 v[0:1], -v[0:1], v[9:10], v[11:12]
	s_delay_alu instid0(VALU_DEP_1) | instskip(NEXT) | instid1(VALU_DEP_1)
	v_div_fmas_f64 v[0:1], v[0:1], v[7:8], v[9:10]
	v_div_fixup_f64 v[0:1], v[0:1], v[5:6], v[2:3]
	s_delay_alu instid0(VALU_DEP_1) | instskip(NEXT) | instid1(VALU_DEP_1)
	v_fma_f64 v[2:3], v[2:3], v[0:1], v[5:6]
	v_div_scale_f64 v[5:6], null, v[2:3], v[2:3], 1.0
	v_div_scale_f64 v[11:12], vcc_lo, 1.0, v[2:3], 1.0
	s_delay_alu instid0(VALU_DEP_2) | instskip(SKIP_2) | instid1(VALU_DEP_1)
	v_rcp_f64_e32 v[7:8], v[5:6]
	s_waitcnt_depctr 0xfff
	v_fma_f64 v[9:10], -v[5:6], v[7:8], 1.0
	v_fma_f64 v[7:8], v[7:8], v[9:10], v[7:8]
	s_delay_alu instid0(VALU_DEP_1) | instskip(NEXT) | instid1(VALU_DEP_1)
	v_fma_f64 v[9:10], -v[5:6], v[7:8], 1.0
	v_fma_f64 v[7:8], v[7:8], v[9:10], v[7:8]
	s_delay_alu instid0(VALU_DEP_1) | instskip(NEXT) | instid1(VALU_DEP_1)
	v_mul_f64 v[9:10], v[11:12], v[7:8]
	v_fma_f64 v[5:6], -v[5:6], v[9:10], v[11:12]
	s_delay_alu instid0(VALU_DEP_1) | instskip(SKIP_2) | instid1(VALU_DEP_3)
	v_div_fmas_f64 v[5:6], v[5:6], v[7:8], v[9:10]
	v_fma_f64 v[7:8], v[0:1], 0, 1.0
	v_add_f64 v[0:1], -v[0:1], 0
	v_div_fixup_f64 v[2:3], v[5:6], v[2:3], 1.0
	s_delay_alu instid0(VALU_DEP_1) | instskip(NEXT) | instid1(VALU_DEP_3)
	v_mul_f64 v[9:10], v[7:8], v[2:3]
	v_mul_f64 v[12:13], v[0:1], v[2:3]
                                        ; implicit-def: $vgpr0_vgpr1
                                        ; implicit-def: $vgpr7_vgpr8
.LBB167_430:
	s_and_not1_saveexec_b32 s6, s2
	s_cbranch_execz .LBB167_432
; %bb.431:
	v_div_scale_f64 v[2:3], null, v[0:1], v[0:1], 1.0
	v_div_scale_f64 v[5:6], null, v[7:8], v[7:8], 0
	v_div_scale_f64 v[17:18], vcc_lo, 1.0, v[0:1], 1.0
	s_delay_alu instid0(VALU_DEP_3) | instskip(NEXT) | instid1(VALU_DEP_2)
	v_rcp_f64_e32 v[9:10], v[2:3]
	v_rcp_f64_e32 v[11:12], v[5:6]
	s_waitcnt_depctr 0xfff
	v_fma_f64 v[13:14], -v[2:3], v[9:10], 1.0
	v_fma_f64 v[15:16], -v[5:6], v[11:12], 1.0
	s_delay_alu instid0(VALU_DEP_2) | instskip(NEXT) | instid1(VALU_DEP_2)
	v_fma_f64 v[9:10], v[9:10], v[13:14], v[9:10]
	v_fma_f64 v[11:12], v[11:12], v[15:16], v[11:12]
	s_delay_alu instid0(VALU_DEP_2) | instskip(NEXT) | instid1(VALU_DEP_2)
	v_fma_f64 v[13:14], -v[2:3], v[9:10], 1.0
	v_fma_f64 v[15:16], -v[5:6], v[11:12], 1.0
	s_delay_alu instid0(VALU_DEP_2) | instskip(SKIP_1) | instid1(VALU_DEP_3)
	v_fma_f64 v[9:10], v[9:10], v[13:14], v[9:10]
	v_div_scale_f64 v[13:14], s2, 0, v[7:8], 0
	v_fma_f64 v[11:12], v[11:12], v[15:16], v[11:12]
	s_delay_alu instid0(VALU_DEP_3) | instskip(NEXT) | instid1(VALU_DEP_2)
	v_mul_f64 v[15:16], v[17:18], v[9:10]
	v_mul_f64 v[19:20], v[13:14], v[11:12]
	s_delay_alu instid0(VALU_DEP_2) | instskip(NEXT) | instid1(VALU_DEP_2)
	v_fma_f64 v[2:3], -v[2:3], v[15:16], v[17:18]
	v_fma_f64 v[5:6], -v[5:6], v[19:20], v[13:14]
	s_delay_alu instid0(VALU_DEP_2) | instskip(SKIP_1) | instid1(VALU_DEP_2)
	v_div_fmas_f64 v[2:3], v[2:3], v[9:10], v[15:16]
	s_mov_b32 vcc_lo, s2
	v_div_fmas_f64 v[5:6], v[5:6], v[11:12], v[19:20]
	s_delay_alu instid0(VALU_DEP_2) | instskip(NEXT) | instid1(VALU_DEP_2)
	v_div_fixup_f64 v[9:10], v[2:3], v[0:1], 1.0
	v_div_fixup_f64 v[12:13], v[5:6], v[7:8], 0
.LBB167_432:
	s_or_b32 exec_lo, exec_lo, s6
                                        ; implicit-def: $vgpr2_vgpr3
                                        ; implicit-def: $vgpr5_vgpr6
.LBB167_433:
	s_and_not1_saveexec_b32 s2, s3
	s_cbranch_execz .LBB167_435
; %bb.434:
	v_div_scale_f64 v[0:1], null, v[2:3], v[2:3], v[5:6]
	v_div_scale_f64 v[11:12], vcc_lo, v[5:6], v[2:3], v[5:6]
	s_delay_alu instid0(VALU_DEP_2) | instskip(SKIP_2) | instid1(VALU_DEP_1)
	v_rcp_f64_e32 v[7:8], v[0:1]
	s_waitcnt_depctr 0xfff
	v_fma_f64 v[9:10], -v[0:1], v[7:8], 1.0
	v_fma_f64 v[7:8], v[7:8], v[9:10], v[7:8]
	s_delay_alu instid0(VALU_DEP_1) | instskip(NEXT) | instid1(VALU_DEP_1)
	v_fma_f64 v[9:10], -v[0:1], v[7:8], 1.0
	v_fma_f64 v[7:8], v[7:8], v[9:10], v[7:8]
	s_delay_alu instid0(VALU_DEP_1) | instskip(NEXT) | instid1(VALU_DEP_1)
	v_mul_f64 v[9:10], v[11:12], v[7:8]
	v_fma_f64 v[0:1], -v[0:1], v[9:10], v[11:12]
	s_delay_alu instid0(VALU_DEP_1) | instskip(NEXT) | instid1(VALU_DEP_1)
	v_div_fmas_f64 v[0:1], v[0:1], v[7:8], v[9:10]
	v_div_fixup_f64 v[0:1], v[0:1], v[2:3], v[5:6]
	s_delay_alu instid0(VALU_DEP_1) | instskip(NEXT) | instid1(VALU_DEP_1)
	v_fma_f64 v[2:3], v[5:6], v[0:1], v[2:3]
	v_div_scale_f64 v[5:6], null, v[2:3], v[2:3], 1.0
	v_div_scale_f64 v[11:12], vcc_lo, 1.0, v[2:3], 1.0
	s_delay_alu instid0(VALU_DEP_2) | instskip(SKIP_2) | instid1(VALU_DEP_1)
	v_rcp_f64_e32 v[7:8], v[5:6]
	s_waitcnt_depctr 0xfff
	v_fma_f64 v[9:10], -v[5:6], v[7:8], 1.0
	v_fma_f64 v[7:8], v[7:8], v[9:10], v[7:8]
	s_delay_alu instid0(VALU_DEP_1) | instskip(NEXT) | instid1(VALU_DEP_1)
	v_fma_f64 v[9:10], -v[5:6], v[7:8], 1.0
	v_fma_f64 v[7:8], v[7:8], v[9:10], v[7:8]
	s_delay_alu instid0(VALU_DEP_1) | instskip(NEXT) | instid1(VALU_DEP_1)
	v_mul_f64 v[9:10], v[11:12], v[7:8]
	v_fma_f64 v[5:6], -v[5:6], v[9:10], v[11:12]
	s_delay_alu instid0(VALU_DEP_1) | instskip(SKIP_2) | instid1(VALU_DEP_3)
	v_div_fmas_f64 v[5:6], v[5:6], v[7:8], v[9:10]
	v_add_f64 v[7:8], v[0:1], 0
	v_fma_f64 v[0:1], v[0:1], 0, -1.0
	v_div_fixup_f64 v[2:3], v[5:6], v[2:3], 1.0
	s_delay_alu instid0(VALU_DEP_1) | instskip(NEXT) | instid1(VALU_DEP_3)
	v_mul_f64 v[9:10], v[7:8], v[2:3]
	v_mul_f64 v[12:13], v[0:1], v[2:3]
.LBB167_435:
	s_or_b32 exec_lo, exec_lo, s2
	v_add_co_u32 v14, s3, s4, v4
	s_delay_alu instid0(VALU_DEP_1)
	v_add_co_ci_u32_e64 v15, null, s5, 0, s3
	s_mov_b32 s2, exec_lo
	global_store_b64 v4, v[9:10], s[4:5]
.LBB167_436:
	s_or_b32 exec_lo, exec_lo, s20
	s_waitcnt lgkmcnt(0)
	s_and_b32 s8, s2, exec_lo
                                        ; implicit-def: $vgpr1
                                        ; implicit-def: $vgpr18
	s_and_not1_saveexec_b32 s9, s25
	s_cbranch_execnz .LBB167_8
.LBB167_437:
	s_or_b32 exec_lo, exec_lo, s9
	s_and_saveexec_b32 s0, s8
	s_cbranch_execz .LBB167_275
.LBB167_438:
	global_store_b64 v[14:15], v[12:13], off offset:8
	s_nop 0
	s_sendmsg sendmsg(MSG_DEALLOC_VGPRS)
	s_endpgm
	.section	.rodata,"a",@progbits
	.p2align	6, 0x0
	.amdhsa_kernel _ZN2at6native32elementwise_kernel_manual_unrollILi128ELi4EZNS0_22gpu_kernel_impl_nocastIZZZNS0_17rsqrt_kernel_cudaERNS_18TensorIteratorBaseEENKUlvE_clEvENKUlvE_clEvEUlN3c107complexIdEEE_EEvS4_RKT_EUlibE_EEviT1_
		.amdhsa_group_segment_fixed_size 0
		.amdhsa_private_segment_fixed_size 0
		.amdhsa_kernarg_size 360
		.amdhsa_user_sgpr_count 15
		.amdhsa_user_sgpr_dispatch_ptr 0
		.amdhsa_user_sgpr_queue_ptr 0
		.amdhsa_user_sgpr_kernarg_segment_ptr 1
		.amdhsa_user_sgpr_dispatch_id 0
		.amdhsa_user_sgpr_private_segment_size 0
		.amdhsa_wavefront_size32 1
		.amdhsa_uses_dynamic_stack 0
		.amdhsa_enable_private_segment 0
		.amdhsa_system_sgpr_workgroup_id_x 1
		.amdhsa_system_sgpr_workgroup_id_y 0
		.amdhsa_system_sgpr_workgroup_id_z 0
		.amdhsa_system_sgpr_workgroup_info 0
		.amdhsa_system_vgpr_workitem_id 0
		.amdhsa_next_free_vgpr 36
		.amdhsa_next_free_sgpr 56
		.amdhsa_reserve_vcc 1
		.amdhsa_float_round_mode_32 0
		.amdhsa_float_round_mode_16_64 0
		.amdhsa_float_denorm_mode_32 3
		.amdhsa_float_denorm_mode_16_64 3
		.amdhsa_dx10_clamp 1
		.amdhsa_ieee_mode 1
		.amdhsa_fp16_overflow 0
		.amdhsa_workgroup_processor_mode 1
		.amdhsa_memory_ordered 1
		.amdhsa_forward_progress 0
		.amdhsa_shared_vgpr_count 0
		.amdhsa_exception_fp_ieee_invalid_op 0
		.amdhsa_exception_fp_denorm_src 0
		.amdhsa_exception_fp_ieee_div_zero 0
		.amdhsa_exception_fp_ieee_overflow 0
		.amdhsa_exception_fp_ieee_underflow 0
		.amdhsa_exception_fp_ieee_inexact 0
		.amdhsa_exception_int_div_zero 0
	.end_amdhsa_kernel
	.section	.text._ZN2at6native32elementwise_kernel_manual_unrollILi128ELi4EZNS0_22gpu_kernel_impl_nocastIZZZNS0_17rsqrt_kernel_cudaERNS_18TensorIteratorBaseEENKUlvE_clEvENKUlvE_clEvEUlN3c107complexIdEEE_EEvS4_RKT_EUlibE_EEviT1_,"axG",@progbits,_ZN2at6native32elementwise_kernel_manual_unrollILi128ELi4EZNS0_22gpu_kernel_impl_nocastIZZZNS0_17rsqrt_kernel_cudaERNS_18TensorIteratorBaseEENKUlvE_clEvENKUlvE_clEvEUlN3c107complexIdEEE_EEvS4_RKT_EUlibE_EEviT1_,comdat
.Lfunc_end167:
	.size	_ZN2at6native32elementwise_kernel_manual_unrollILi128ELi4EZNS0_22gpu_kernel_impl_nocastIZZZNS0_17rsqrt_kernel_cudaERNS_18TensorIteratorBaseEENKUlvE_clEvENKUlvE_clEvEUlN3c107complexIdEEE_EEvS4_RKT_EUlibE_EEviT1_, .Lfunc_end167-_ZN2at6native32elementwise_kernel_manual_unrollILi128ELi4EZNS0_22gpu_kernel_impl_nocastIZZZNS0_17rsqrt_kernel_cudaERNS_18TensorIteratorBaseEENKUlvE_clEvENKUlvE_clEvEUlN3c107complexIdEEE_EEvS4_RKT_EUlibE_EEviT1_
                                        ; -- End function
	.section	.AMDGPU.csdata,"",@progbits
; Kernel info:
; codeLenInByte = 26348
; NumSgprs: 58
; NumVgprs: 36
; ScratchSize: 0
; MemoryBound: 0
; FloatMode: 240
; IeeeMode: 1
; LDSByteSize: 0 bytes/workgroup (compile time only)
; SGPRBlocks: 7
; VGPRBlocks: 4
; NumSGPRsForWavesPerEU: 58
; NumVGPRsForWavesPerEU: 36
; Occupancy: 16
; WaveLimiterHint : 1
; COMPUTE_PGM_RSRC2:SCRATCH_EN: 0
; COMPUTE_PGM_RSRC2:USER_SGPR: 15
; COMPUTE_PGM_RSRC2:TRAP_HANDLER: 0
; COMPUTE_PGM_RSRC2:TGID_X_EN: 1
; COMPUTE_PGM_RSRC2:TGID_Y_EN: 0
; COMPUTE_PGM_RSRC2:TGID_Z_EN: 0
; COMPUTE_PGM_RSRC2:TIDIG_COMP_CNT: 0
	.section	.text._ZN2at6native32elementwise_kernel_manual_unrollILi128ELi4EZNS0_15gpu_kernel_implIZZZNS0_17rsqrt_kernel_cudaERNS_18TensorIteratorBaseEENKUlvE_clEvENKUlvE_clEvEUlN3c107complexIdEEE_EEvS4_RKT_EUlibE_EEviT1_,"axG",@progbits,_ZN2at6native32elementwise_kernel_manual_unrollILi128ELi4EZNS0_15gpu_kernel_implIZZZNS0_17rsqrt_kernel_cudaERNS_18TensorIteratorBaseEENKUlvE_clEvENKUlvE_clEvEUlN3c107complexIdEEE_EEvS4_RKT_EUlibE_EEviT1_,comdat
	.globl	_ZN2at6native32elementwise_kernel_manual_unrollILi128ELi4EZNS0_15gpu_kernel_implIZZZNS0_17rsqrt_kernel_cudaERNS_18TensorIteratorBaseEENKUlvE_clEvENKUlvE_clEvEUlN3c107complexIdEEE_EEvS4_RKT_EUlibE_EEviT1_ ; -- Begin function _ZN2at6native32elementwise_kernel_manual_unrollILi128ELi4EZNS0_15gpu_kernel_implIZZZNS0_17rsqrt_kernel_cudaERNS_18TensorIteratorBaseEENKUlvE_clEvENKUlvE_clEvEUlN3c107complexIdEEE_EEvS4_RKT_EUlibE_EEviT1_
	.p2align	8
	.type	_ZN2at6native32elementwise_kernel_manual_unrollILi128ELi4EZNS0_15gpu_kernel_implIZZZNS0_17rsqrt_kernel_cudaERNS_18TensorIteratorBaseEENKUlvE_clEvENKUlvE_clEvEUlN3c107complexIdEEE_EEvS4_RKT_EUlibE_EEviT1_,@function
_ZN2at6native32elementwise_kernel_manual_unrollILi128ELi4EZNS0_15gpu_kernel_implIZZZNS0_17rsqrt_kernel_cudaERNS_18TensorIteratorBaseEENKUlvE_clEvENKUlvE_clEvEUlN3c107complexIdEEE_EEvS4_RKT_EUlibE_EEviT1_: ; @_ZN2at6native32elementwise_kernel_manual_unrollILi128ELi4EZNS0_15gpu_kernel_implIZZZNS0_17rsqrt_kernel_cudaERNS_18TensorIteratorBaseEENKUlvE_clEvENKUlvE_clEvEUlN3c107complexIdEEE_EEvS4_RKT_EUlibE_EEviT1_
; %bb.0:
	v_mov_b32_e32 v1, 0
	s_clause 0x2
	s_load_b32 s13, s[0:1], 0x0
	s_load_b64 s[2:3], s[0:1], 0x18
	s_load_b128 s[4:7], s[0:1], 0x8
	v_lshl_or_b32 v25, s15, 9, v0
	s_mov_b32 s10, 0
	s_mov_b32 s12, 0
	global_load_u16 v24, v1, s[0:1] offset:33
	s_mov_b32 s0, exec_lo
	v_or_b32_e32 v0, 0x180, v25
	s_waitcnt vmcnt(0)
	v_lshrrev_b16 v20, 8, v24
	s_waitcnt lgkmcnt(0)
	s_delay_alu instid0(VALU_DEP_2)
	v_cmpx_le_i32_e64 s13, v0
	s_xor_b32 s11, exec_lo, s0
	s_cbranch_execz .LBB168_1213
; %bb.1:
	s_mov_b32 s1, -1
	s_mov_b32 s16, 0
	s_mov_b32 s14, 0
	s_mov_b32 s15, exec_lo
	v_cmpx_gt_i32_e64 s13, v25
	s_cbranch_execz .LBB168_297
; %bb.2:
	v_mul_lo_u32 v0, v25, s3
	v_cmp_gt_i16_e32 vcc_lo, 11, v20
	s_delay_alu instid0(VALU_DEP_2) | instskip(SKIP_1) | instid1(VALU_DEP_1)
	v_ashrrev_i32_e32 v1, 31, v0
	v_add_co_u32 v4, s0, s6, v0
	v_add_co_ci_u32_e64 v5, s0, s7, v1, s0
	s_cbranch_vccnz .LBB168_9
; %bb.3:
	v_cmp_lt_i16_e32 vcc_lo, 25, v20
	s_cbranch_vccz .LBB168_27
; %bb.4:
	v_cmp_lt_i16_e32 vcc_lo, 28, v20
	s_cbranch_vccz .LBB168_28
; %bb.5:
	v_cmp_lt_i16_e32 vcc_lo, 43, v20
	s_cbranch_vccz .LBB168_29
; %bb.6:
	v_cmp_lt_i16_e32 vcc_lo, 45, v20
	s_cbranch_vccz .LBB168_30
; %bb.7:
	v_cmp_eq_u16_e32 vcc_lo, 46, v20
	s_mov_b32 s0, 0
	s_cbranch_vccz .LBB168_67
; %bb.8:
	global_load_b32 v0, v[4:5], off
	s_mov_b32 s8, -1
	s_waitcnt vmcnt(0)
	v_lshlrev_b32_e32 v1, 16, v0
	v_and_b32_e32 v2, 0xffff0000, v0
	s_delay_alu instid0(VALU_DEP_2) | instskip(NEXT) | instid1(VALU_DEP_2)
	v_cvt_f64_f32_e32 v[0:1], v1
	v_cvt_f64_f32_e32 v[2:3], v2
	s_branch .LBB168_69
.LBB168_9:
	s_mov_b32 s8, 0
                                        ; implicit-def: $vgpr2_vgpr3
	s_cbranch_execnz .LBB168_245
.LBB168_10:
	s_and_not1_b32 vcc_lo, exec_lo, s8
	s_cbranch_vccnz .LBB168_294
.LBB168_11:
	s_waitcnt vmcnt(0)
	s_delay_alu instid0(VALU_DEP_1) | instskip(NEXT) | instid1(VALU_DEP_2)
	v_cmp_neq_f64_e32 vcc_lo, 0, v[0:1]
	v_cmp_neq_f64_e64 s0, 0, v[2:3]
	v_mov_b32_e32 v8, 0
	v_mov_b32_e32 v9, 0
	s_delay_alu instid0(VALU_DEP_3) | instskip(NEXT) | instid1(SALU_CYCLE_1)
	s_or_b32 s0, vcc_lo, s0
	s_and_saveexec_b32 s8, s0
	s_cbranch_execz .LBB168_47
; %bb.12:
	s_mov_b32 s0, 0
	s_mov_b32 s1, 0x7ff00000
	v_mov_b32_e32 v8, s0
	v_mov_b32_e32 v9, s1
	s_mov_b32 s9, exec_lo
	v_cmpx_neq_f64_e64 0x7ff00000, |v[2:3]|
	s_cbranch_execz .LBB168_46
; %bb.13:
	s_mov_b32 s0, exec_lo
	v_cmpx_o_f64_e32 v[0:1], v[0:1]
	s_xor_b32 s12, exec_lo, s0
	s_cbranch_execz .LBB168_43
; %bb.14:
	s_mov_b32 s1, exec_lo
	v_cmpx_neq_f64_e64 0x7ff00000, |v[0:1]|
	s_xor_b32 s17, exec_lo, s1
	s_cbranch_execz .LBB168_36
; %bb.15:
	v_max_f64 v[4:5], |v[2:3]|, |v[2:3]|
	v_max_f64 v[6:7], |v[0:1]|, |v[0:1]|
	s_mov_b32 s0, 0x99fcef32
	s_mov_b32 s1, 0x7fda8279
                                        ; implicit-def: $sgpr18
	s_delay_alu instid0(VALU_DEP_1) | instskip(NEXT) | instid1(VALU_DEP_1)
	v_max_f64 v[4:5], v[6:7], v[4:5]
	v_cmp_nle_f64_e64 s0, s[0:1], v[4:5]
	s_delay_alu instid0(VALU_DEP_1) | instskip(NEXT) | instid1(SALU_CYCLE_1)
	s_and_saveexec_b32 s1, s0
	s_xor_b32 s1, exec_lo, s1
	s_cbranch_execz .LBB168_19
; %bb.16:
	v_cmp_ge_f64_e64 s18, 0x200000, |v[0:1]|
	v_cmp_ge_f64_e64 s19, 0x200000, |v[2:3]|
	s_delay_alu instid0(VALU_DEP_1)
	s_and_b32 s20, s18, s19
	s_mov_b32 s18, 0
	s_and_saveexec_b32 s19, s20
; %bb.17:
	v_mul_f64 v[0:1], v[0:1], 4.0
	v_mul_f64 v[2:3], v[2:3], 4.0
	s_mov_b32 s18, exec_lo
; %bb.18:
	s_or_b32 exec_lo, exec_lo, s19
	s_delay_alu instid0(SALU_CYCLE_1)
	s_and_b32 s18, s18, exec_lo
.LBB168_19:
	s_and_not1_saveexec_b32 s1, s1
; %bb.20:
	s_delay_alu instid0(VALU_DEP_2) | instskip(NEXT) | instid1(VALU_DEP_2)
	v_ldexp_f64 v[0:1], v[0:1], -2
	v_ldexp_f64 v[2:3], v[2:3], -2
	s_and_not1_b32 s18, s18, exec_lo
; %bb.21:
	s_or_b32 exec_lo, exec_lo, s1
	s_delay_alu instid0(VALU_DEP_1) | instskip(NEXT) | instid1(VALU_DEP_3)
	v_max_f64 v[4:5], |v[2:3]|, |v[2:3]|
	v_max_f64 v[6:7], |v[0:1]|, |v[0:1]|
	v_cmp_class_f64_e64 s19, v[0:1], 0x204
	v_cmp_class_f64_e64 s20, v[2:3], 0x204
	v_cmp_le_f64_e64 s1, 0, v[0:1]
	s_delay_alu instid0(VALU_DEP_4) | instskip(NEXT) | instid1(VALU_DEP_3)
	v_max_f64 v[4:5], v[6:7], v[4:5]
	s_or_b32 s19, s20, s19
	s_delay_alu instid0(VALU_DEP_1) | instskip(NEXT) | instid1(VALU_DEP_1)
	v_frexp_exp_i32_f64_e32 v12, v[4:5]
	v_sub_nc_u32_e32 v6, 0, v12
	s_delay_alu instid0(VALU_DEP_1) | instskip(SKIP_1) | instid1(VALU_DEP_2)
	v_ldexp_f64 v[4:5], |v[2:3]|, v6
	v_ldexp_f64 v[6:7], |v[0:1]|, v6
	v_mul_f64 v[4:5], v[4:5], v[4:5]
	s_delay_alu instid0(VALU_DEP_1) | instskip(NEXT) | instid1(VALU_DEP_1)
	v_fma_f64 v[4:5], v[6:7], v[6:7], v[4:5]
	v_rsq_f64_e32 v[6:7], v[4:5]
	v_cmp_eq_f64_e32 vcc_lo, 0, v[4:5]
	s_waitcnt_depctr 0xfff
	v_mul_f64 v[8:9], v[4:5], v[6:7]
	v_mul_f64 v[6:7], v[6:7], 0.5
	s_delay_alu instid0(VALU_DEP_1) | instskip(NEXT) | instid1(VALU_DEP_1)
	v_fma_f64 v[10:11], -v[6:7], v[8:9], 0.5
	v_fma_f64 v[8:9], v[8:9], v[10:11], v[8:9]
	v_fma_f64 v[6:7], v[6:7], v[10:11], v[6:7]
	s_delay_alu instid0(VALU_DEP_2) | instskip(NEXT) | instid1(VALU_DEP_1)
	v_fma_f64 v[10:11], -v[8:9], v[8:9], v[4:5]
	v_fma_f64 v[6:7], v[10:11], v[6:7], v[8:9]
	s_delay_alu instid0(VALU_DEP_1) | instskip(SKIP_1) | instid1(VALU_DEP_2)
	v_dual_cndmask_b32 v5, v7, v5 :: v_dual_cndmask_b32 v4, v6, v4
	v_cmp_o_f64_e32 vcc_lo, v[2:3], v[2:3]
	v_ldexp_f64 v[4:5], v[4:5], v12
	s_delay_alu instid0(VALU_DEP_1) | instskip(NEXT) | instid1(VALU_DEP_2)
	v_cndmask_b32_e32 v4, 0, v4, vcc_lo
	v_cndmask_b32_e32 v5, 0x7ff80000, v5, vcc_lo
	s_delay_alu instid0(VALU_DEP_2) | instskip(NEXT) | instid1(VALU_DEP_2)
	v_cndmask_b32_e64 v4, v4, 0, s19
	v_cndmask_b32_e64 v5, v5, 0x7ff00000, s19
	s_and_saveexec_b32 s19, s1
	s_delay_alu instid0(SALU_CYCLE_1)
	s_xor_b32 s1, exec_lo, s19
	s_cbranch_execz .LBB168_31
; %bb.22:
	s_delay_alu instid0(VALU_DEP_1) | instskip(NEXT) | instid1(VALU_DEP_1)
	v_add_f64 v[0:1], v[0:1], v[4:5]
	v_mul_f64 v[0:1], v[0:1], 0.5
	s_delay_alu instid0(VALU_DEP_1) | instskip(SKIP_1) | instid1(VALU_DEP_1)
	v_cmp_gt_f64_e32 vcc_lo, 0x10000000, v[0:1]
	v_cndmask_b32_e64 v4, 0, 1, vcc_lo
	v_lshlrev_b32_e32 v4, 8, v4
	s_delay_alu instid0(VALU_DEP_1) | instskip(NEXT) | instid1(VALU_DEP_1)
	v_ldexp_f64 v[0:1], v[0:1], v4
	v_rsq_f64_e32 v[4:5], v[0:1]
	s_waitcnt_depctr 0xfff
	v_mul_f64 v[6:7], v[0:1], v[4:5]
	v_mul_f64 v[4:5], v[4:5], 0.5
	s_delay_alu instid0(VALU_DEP_1) | instskip(NEXT) | instid1(VALU_DEP_1)
	v_fma_f64 v[8:9], -v[4:5], v[6:7], 0.5
	v_fma_f64 v[6:7], v[6:7], v[8:9], v[6:7]
	v_fma_f64 v[4:5], v[4:5], v[8:9], v[4:5]
	s_delay_alu instid0(VALU_DEP_2) | instskip(NEXT) | instid1(VALU_DEP_1)
	v_fma_f64 v[8:9], -v[6:7], v[6:7], v[0:1]
	v_fma_f64 v[6:7], v[8:9], v[4:5], v[6:7]
	s_delay_alu instid0(VALU_DEP_1) | instskip(NEXT) | instid1(VALU_DEP_1)
	v_fma_f64 v[8:9], -v[6:7], v[6:7], v[0:1]
	v_fma_f64 v[4:5], v[8:9], v[4:5], v[6:7]
	v_cndmask_b32_e64 v6, 0, 0xffffff80, vcc_lo
	v_cmp_class_f64_e64 vcc_lo, v[0:1], 0x260
	s_delay_alu instid0(VALU_DEP_2) | instskip(NEXT) | instid1(VALU_DEP_1)
	v_ldexp_f64 v[4:5], v[4:5], v6
	v_dual_cndmask_b32 v1, v5, v1 :: v_dual_cndmask_b32 v0, v4, v0
	s_delay_alu instid0(VALU_DEP_1) | instskip(NEXT) | instid1(VALU_DEP_1)
	v_add_f64 v[4:5], v[0:1], v[0:1]
	v_div_scale_f64 v[6:7], null, v[4:5], v[4:5], v[2:3]
	s_delay_alu instid0(VALU_DEP_1) | instskip(SKIP_2) | instid1(VALU_DEP_1)
	v_rcp_f64_e32 v[8:9], v[6:7]
	s_waitcnt_depctr 0xfff
	v_fma_f64 v[10:11], -v[6:7], v[8:9], 1.0
	v_fma_f64 v[8:9], v[8:9], v[10:11], v[8:9]
	s_delay_alu instid0(VALU_DEP_1) | instskip(NEXT) | instid1(VALU_DEP_1)
	v_fma_f64 v[10:11], -v[6:7], v[8:9], 1.0
	v_fma_f64 v[8:9], v[8:9], v[10:11], v[8:9]
	v_div_scale_f64 v[10:11], vcc_lo, v[2:3], v[4:5], v[2:3]
	s_delay_alu instid0(VALU_DEP_1) | instskip(NEXT) | instid1(VALU_DEP_1)
	v_mul_f64 v[12:13], v[10:11], v[8:9]
	v_fma_f64 v[6:7], -v[6:7], v[12:13], v[10:11]
	s_delay_alu instid0(VALU_DEP_1) | instskip(NEXT) | instid1(VALU_DEP_1)
	v_div_fmas_f64 v[6:7], v[6:7], v[8:9], v[12:13]
	v_div_fixup_f64 v[2:3], v[6:7], v[4:5], v[2:3]
                                        ; implicit-def: $vgpr4_vgpr5
	s_and_not1_saveexec_b32 s1, s1
	s_cbranch_execnz .LBB168_32
.LBB168_23:
	s_or_b32 exec_lo, exec_lo, s1
	s_and_saveexec_b32 s1, s0
	s_delay_alu instid0(SALU_CYCLE_1)
	s_xor_b32 s0, exec_lo, s1
	s_cbranch_execz .LBB168_33
.LBB168_24:
	s_and_saveexec_b32 s1, s18
; %bb.25:
	s_delay_alu instid0(VALU_DEP_2) | instskip(NEXT) | instid1(VALU_DEP_2)
	v_mul_f64 v[0:1], v[0:1], 0.5
	v_mul_f64 v[2:3], v[2:3], 0.5
; %bb.26:
	s_or_b32 exec_lo, exec_lo, s1
	s_and_not1_saveexec_b32 s0, s0
	s_cbranch_execnz .LBB168_34
	s_branch .LBB168_35
.LBB168_27:
	s_mov_b32 s8, 0
                                        ; implicit-def: $vgpr2_vgpr3
	s_cbranch_execnz .LBB168_211
	s_branch .LBB168_244
.LBB168_28:
	s_mov_b32 s0, -1
	s_mov_b32 s8, 0
                                        ; implicit-def: $vgpr2_vgpr3
	s_branch .LBB168_190
.LBB168_29:
	s_mov_b32 s0, -1
	s_mov_b32 s8, 0
                                        ; implicit-def: $vgpr2_vgpr3
	s_branch .LBB168_184
.LBB168_30:
	s_mov_b32 s0, -1
	s_branch .LBB168_68
.LBB168_31:
	s_and_not1_saveexec_b32 s1, s1
	s_cbranch_execz .LBB168_23
.LBB168_32:
	v_add_f64 v[0:1], v[4:5], -v[0:1]
	s_delay_alu instid0(VALU_DEP_1) | instskip(NEXT) | instid1(VALU_DEP_1)
	v_mul_f64 v[0:1], v[0:1], 0.5
	v_cmp_gt_f64_e32 vcc_lo, 0x10000000, v[0:1]
	v_cndmask_b32_e64 v4, 0, 1, vcc_lo
	s_delay_alu instid0(VALU_DEP_1) | instskip(NEXT) | instid1(VALU_DEP_1)
	v_lshlrev_b32_e32 v4, 8, v4
	v_ldexp_f64 v[0:1], v[0:1], v4
	s_delay_alu instid0(VALU_DEP_1) | instskip(SKIP_3) | instid1(VALU_DEP_1)
	v_rsq_f64_e32 v[4:5], v[0:1]
	s_waitcnt_depctr 0xfff
	v_mul_f64 v[6:7], v[0:1], v[4:5]
	v_mul_f64 v[4:5], v[4:5], 0.5
	v_fma_f64 v[8:9], -v[4:5], v[6:7], 0.5
	s_delay_alu instid0(VALU_DEP_1) | instskip(SKIP_1) | instid1(VALU_DEP_2)
	v_fma_f64 v[6:7], v[6:7], v[8:9], v[6:7]
	v_fma_f64 v[4:5], v[4:5], v[8:9], v[4:5]
	v_fma_f64 v[8:9], -v[6:7], v[6:7], v[0:1]
	s_delay_alu instid0(VALU_DEP_1) | instskip(NEXT) | instid1(VALU_DEP_1)
	v_fma_f64 v[6:7], v[8:9], v[4:5], v[6:7]
	v_fma_f64 v[8:9], -v[6:7], v[6:7], v[0:1]
	s_delay_alu instid0(VALU_DEP_1) | instskip(SKIP_3) | instid1(VALU_DEP_3)
	v_fma_f64 v[4:5], v[8:9], v[4:5], v[6:7]
	v_cndmask_b32_e64 v6, 0, 0xffffff80, vcc_lo
	v_cmp_class_f64_e64 vcc_lo, v[0:1], 0x260
	v_and_b32_e32 v7, 0x7fffffff, v3
	v_ldexp_f64 v[4:5], v[4:5], v6
	s_delay_alu instid0(VALU_DEP_1) | instskip(NEXT) | instid1(VALU_DEP_1)
	v_dual_cndmask_b32 v5, v5, v1 :: v_dual_cndmask_b32 v4, v4, v0
	v_add_f64 v[0:1], v[4:5], v[4:5]
	v_bfi_b32 v5, 0x7fffffff, v5, v3
	v_mov_b32_e32 v6, v2
	s_delay_alu instid0(VALU_DEP_1) | instskip(SKIP_1) | instid1(VALU_DEP_2)
	v_div_scale_f64 v[8:9], null, v[0:1], v[0:1], v[6:7]
	v_div_scale_f64 v[6:7], vcc_lo, v[6:7], v[0:1], v[6:7]
	v_rcp_f64_e32 v[10:11], v[8:9]
	s_waitcnt_depctr 0xfff
	v_fma_f64 v[12:13], -v[8:9], v[10:11], 1.0
	s_delay_alu instid0(VALU_DEP_1) | instskip(NEXT) | instid1(VALU_DEP_1)
	v_fma_f64 v[10:11], v[10:11], v[12:13], v[10:11]
	v_fma_f64 v[12:13], -v[8:9], v[10:11], 1.0
	s_delay_alu instid0(VALU_DEP_1) | instskip(NEXT) | instid1(VALU_DEP_1)
	v_fma_f64 v[10:11], v[10:11], v[12:13], v[10:11]
	v_mul_f64 v[12:13], v[6:7], v[10:11]
	s_delay_alu instid0(VALU_DEP_1) | instskip(NEXT) | instid1(VALU_DEP_1)
	v_fma_f64 v[6:7], -v[8:9], v[12:13], v[6:7]
	v_div_fmas_f64 v[6:7], v[6:7], v[10:11], v[12:13]
	s_delay_alu instid0(VALU_DEP_1) | instskip(SKIP_3) | instid1(SALU_CYCLE_1)
	v_div_fixup_f64 v[0:1], v[6:7], v[0:1], |v[2:3]|
	v_dual_mov_b32 v2, v4 :: v_dual_mov_b32 v3, v5
	s_or_b32 exec_lo, exec_lo, s1
	s_and_saveexec_b32 s1, s0
	s_xor_b32 s0, exec_lo, s1
	s_cbranch_execnz .LBB168_24
.LBB168_33:
	s_and_not1_saveexec_b32 s0, s0
.LBB168_34:
	s_delay_alu instid0(VALU_DEP_2) | instskip(NEXT) | instid1(VALU_DEP_2)
	v_add_f64 v[0:1], v[0:1], v[0:1]
	v_add_f64 v[2:3], v[2:3], v[2:3]
.LBB168_35:
	s_or_b32 exec_lo, exec_lo, s0
.LBB168_36:
	s_and_not1_saveexec_b32 s0, s17
	s_cbranch_execz .LBB168_42
; %bb.37:
	s_delay_alu instid0(VALU_DEP_1) | instskip(SKIP_1) | instid1(VALU_DEP_3)
	v_add_f64 v[4:5], v[2:3], -v[2:3]
	s_mov_b32 s1, exec_lo
	v_cmpx_lt_i64_e32 -1, v[0:1]
	s_xor_b32 s1, exec_lo, s1
; %bb.38:
	s_delay_alu instid0(VALU_DEP_2) | instskip(NEXT) | instid1(VALU_DEP_1)
	v_bfi_b32 v5, 0x7fffffff, v5, v3
	v_dual_mov_b32 v2, v4 :: v_dual_mov_b32 v3, v5
                                        ; implicit-def: $vgpr4_vgpr5
; %bb.39:
	s_and_not1_saveexec_b32 s1, s1
; %bb.40:
	s_delay_alu instid0(VALU_DEP_1) | instskip(SKIP_1) | instid1(VALU_DEP_2)
	v_bfi_b32 v1, 0x7fffffff, v1, v3
	v_and_b32_e32 v5, 0x7fffffff, v5
	v_dual_mov_b32 v3, v1 :: v_dual_mov_b32 v2, v0
	s_delay_alu instid0(VALU_DEP_2)
	v_dual_mov_b32 v0, v4 :: v_dual_mov_b32 v1, v5
; %bb.41:
	s_or_b32 exec_lo, exec_lo, s1
.LBB168_42:
	s_delay_alu instid0(SALU_CYCLE_1)
	s_or_b32 exec_lo, exec_lo, s0
.LBB168_43:
	s_and_not1_saveexec_b32 s0, s12
; %bb.44:
	s_delay_alu instid0(VALU_DEP_1) | instskip(NEXT) | instid1(VALU_DEP_1)
	v_add_f64 v[2:3], v[2:3], -v[2:3]
	v_div_scale_f64 v[4:5], vcc_lo, v[2:3], v[2:3], v[2:3]
	s_delay_alu instid0(VALU_DEP_1) | instskip(SKIP_2) | instid1(VALU_DEP_1)
	v_rcp_f64_e32 v[6:7], v[4:5]
	s_waitcnt_depctr 0xfff
	v_fma_f64 v[8:9], -v[4:5], v[6:7], 1.0
	v_fma_f64 v[6:7], v[6:7], v[8:9], v[6:7]
	s_delay_alu instid0(VALU_DEP_1) | instskip(NEXT) | instid1(VALU_DEP_1)
	v_fma_f64 v[8:9], -v[4:5], v[6:7], 1.0
	v_fma_f64 v[6:7], v[6:7], v[8:9], v[6:7]
	s_delay_alu instid0(VALU_DEP_1) | instskip(NEXT) | instid1(VALU_DEP_1)
	v_mul_f64 v[8:9], v[4:5], v[6:7]
	v_fma_f64 v[4:5], -v[4:5], v[8:9], v[4:5]
	s_delay_alu instid0(VALU_DEP_1) | instskip(NEXT) | instid1(VALU_DEP_1)
	v_div_fmas_f64 v[4:5], v[4:5], v[6:7], v[8:9]
	v_div_fixup_f64 v[2:3], v[4:5], v[2:3], v[2:3]
; %bb.45:
	s_or_b32 exec_lo, exec_lo, s0
	v_dual_mov_b32 v9, v1 :: v_dual_mov_b32 v8, v0
.LBB168_46:
	s_or_b32 exec_lo, exec_lo, s9
.LBB168_47:
	s_delay_alu instid0(SALU_CYCLE_1) | instskip(NEXT) | instid1(VALU_DEP_1)
	s_or_b32 exec_lo, exec_lo, s8
	v_cmp_gt_f64_e32 vcc_lo, 0, v[8:9]
	s_delay_alu instid0(VALU_DEP_3) | instskip(SKIP_2) | instid1(VALU_DEP_2)
	v_cmp_gt_f64_e64 s0, 0, v[2:3]
	v_xor_b32_e32 v0, 0x80000000, v9
	v_xor_b32_e32 v4, 0x80000000, v3
                                        ; implicit-def: $vgpr6_vgpr7
	v_cndmask_b32_e32 v1, v9, v0, vcc_lo
	s_delay_alu instid0(VALU_DEP_2) | instskip(SKIP_3) | instid1(VALU_DEP_1)
	v_cndmask_b32_e64 v11, v3, v4, s0
	v_cndmask_b32_e32 v0, v8, v8, vcc_lo
	v_cndmask_b32_e64 v10, v2, v2, s0
	s_mov_b32 s0, exec_lo
	v_cmpx_ge_f64_e32 v[0:1], v[10:11]
	s_xor_b32 s1, exec_lo, s0
	s_cbranch_execz .LBB168_53
; %bb.48:
	v_cmp_neq_f64_e32 vcc_lo, 0, v[8:9]
	v_cmp_neq_f64_e64 s0, 0, v[2:3]
                                        ; implicit-def: $vgpr6_vgpr7
	s_delay_alu instid0(VALU_DEP_1) | instskip(NEXT) | instid1(SALU_CYCLE_1)
	s_or_b32 s0, vcc_lo, s0
	s_and_saveexec_b32 s8, s0
	s_delay_alu instid0(SALU_CYCLE_1)
	s_xor_b32 s0, exec_lo, s8
	s_cbranch_execz .LBB168_50
; %bb.49:
	v_div_scale_f64 v[0:1], null, v[8:9], v[8:9], v[2:3]
	v_div_scale_f64 v[10:11], vcc_lo, v[2:3], v[8:9], v[2:3]
	s_delay_alu instid0(VALU_DEP_2) | instskip(SKIP_2) | instid1(VALU_DEP_1)
	v_rcp_f64_e32 v[4:5], v[0:1]
	s_waitcnt_depctr 0xfff
	v_fma_f64 v[6:7], -v[0:1], v[4:5], 1.0
	v_fma_f64 v[4:5], v[4:5], v[6:7], v[4:5]
	s_delay_alu instid0(VALU_DEP_1) | instskip(NEXT) | instid1(VALU_DEP_1)
	v_fma_f64 v[6:7], -v[0:1], v[4:5], 1.0
	v_fma_f64 v[4:5], v[4:5], v[6:7], v[4:5]
	s_delay_alu instid0(VALU_DEP_1) | instskip(NEXT) | instid1(VALU_DEP_1)
	v_mul_f64 v[6:7], v[10:11], v[4:5]
	v_fma_f64 v[0:1], -v[0:1], v[6:7], v[10:11]
	s_delay_alu instid0(VALU_DEP_1) | instskip(NEXT) | instid1(VALU_DEP_1)
	v_div_fmas_f64 v[0:1], v[0:1], v[4:5], v[6:7]
	v_div_fixup_f64 v[0:1], v[0:1], v[8:9], v[2:3]
	s_delay_alu instid0(VALU_DEP_1) | instskip(NEXT) | instid1(VALU_DEP_1)
	v_fma_f64 v[2:3], v[2:3], v[0:1], v[8:9]
	v_div_scale_f64 v[4:5], null, v[2:3], v[2:3], 1.0
	v_div_scale_f64 v[10:11], vcc_lo, 1.0, v[2:3], 1.0
	s_delay_alu instid0(VALU_DEP_2) | instskip(SKIP_2) | instid1(VALU_DEP_1)
	v_rcp_f64_e32 v[6:7], v[4:5]
	s_waitcnt_depctr 0xfff
	v_fma_f64 v[8:9], -v[4:5], v[6:7], 1.0
	v_fma_f64 v[6:7], v[6:7], v[8:9], v[6:7]
	s_delay_alu instid0(VALU_DEP_1) | instskip(NEXT) | instid1(VALU_DEP_1)
	v_fma_f64 v[8:9], -v[4:5], v[6:7], 1.0
	v_fma_f64 v[6:7], v[6:7], v[8:9], v[6:7]
	s_delay_alu instid0(VALU_DEP_1) | instskip(NEXT) | instid1(VALU_DEP_1)
	v_mul_f64 v[8:9], v[10:11], v[6:7]
	v_fma_f64 v[4:5], -v[4:5], v[8:9], v[10:11]
                                        ; implicit-def: $vgpr10_vgpr11
	s_delay_alu instid0(VALU_DEP_1) | instskip(SKIP_2) | instid1(VALU_DEP_3)
	v_div_fmas_f64 v[4:5], v[4:5], v[6:7], v[8:9]
	v_fma_f64 v[6:7], v[0:1], 0, 1.0
	v_add_f64 v[0:1], -v[0:1], 0
	v_div_fixup_f64 v[2:3], v[4:5], v[2:3], 1.0
	s_delay_alu instid0(VALU_DEP_1) | instskip(NEXT) | instid1(VALU_DEP_3)
	v_mul_f64 v[4:5], v[6:7], v[2:3]
	v_mul_f64 v[6:7], v[0:1], v[2:3]
                                        ; implicit-def: $vgpr0_vgpr1
.LBB168_50:
	s_and_not1_saveexec_b32 s8, s0
	s_cbranch_execz .LBB168_52
; %bb.51:
	v_div_scale_f64 v[2:3], null, v[0:1], v[0:1], 1.0
	v_div_scale_f64 v[4:5], null, v[10:11], v[10:11], 0
	v_div_scale_f64 v[16:17], vcc_lo, 1.0, v[0:1], 1.0
	s_delay_alu instid0(VALU_DEP_3) | instskip(NEXT) | instid1(VALU_DEP_2)
	v_rcp_f64_e32 v[6:7], v[2:3]
	v_rcp_f64_e32 v[8:9], v[4:5]
	s_waitcnt_depctr 0xfff
	v_fma_f64 v[12:13], -v[2:3], v[6:7], 1.0
	v_fma_f64 v[14:15], -v[4:5], v[8:9], 1.0
	s_delay_alu instid0(VALU_DEP_2) | instskip(NEXT) | instid1(VALU_DEP_2)
	v_fma_f64 v[6:7], v[6:7], v[12:13], v[6:7]
	v_fma_f64 v[8:9], v[8:9], v[14:15], v[8:9]
	s_delay_alu instid0(VALU_DEP_2) | instskip(NEXT) | instid1(VALU_DEP_2)
	v_fma_f64 v[12:13], -v[2:3], v[6:7], 1.0
	v_fma_f64 v[14:15], -v[4:5], v[8:9], 1.0
	s_delay_alu instid0(VALU_DEP_2) | instskip(SKIP_1) | instid1(VALU_DEP_3)
	v_fma_f64 v[6:7], v[6:7], v[12:13], v[6:7]
	v_div_scale_f64 v[12:13], s0, 0, v[10:11], 0
	v_fma_f64 v[8:9], v[8:9], v[14:15], v[8:9]
	s_delay_alu instid0(VALU_DEP_3) | instskip(NEXT) | instid1(VALU_DEP_2)
	v_mul_f64 v[14:15], v[16:17], v[6:7]
	v_mul_f64 v[18:19], v[12:13], v[8:9]
	s_delay_alu instid0(VALU_DEP_2) | instskip(NEXT) | instid1(VALU_DEP_2)
	v_fma_f64 v[2:3], -v[2:3], v[14:15], v[16:17]
	v_fma_f64 v[4:5], -v[4:5], v[18:19], v[12:13]
	s_delay_alu instid0(VALU_DEP_2) | instskip(SKIP_1) | instid1(VALU_DEP_2)
	v_div_fmas_f64 v[2:3], v[2:3], v[6:7], v[14:15]
	s_mov_b32 vcc_lo, s0
	v_div_fmas_f64 v[6:7], v[4:5], v[8:9], v[18:19]
	s_delay_alu instid0(VALU_DEP_2) | instskip(NEXT) | instid1(VALU_DEP_2)
	v_div_fixup_f64 v[4:5], v[2:3], v[0:1], 1.0
	v_div_fixup_f64 v[6:7], v[6:7], v[10:11], 0
.LBB168_52:
	s_or_b32 exec_lo, exec_lo, s8
                                        ; implicit-def: $vgpr2_vgpr3
                                        ; implicit-def: $vgpr8_vgpr9
.LBB168_53:
	s_and_not1_saveexec_b32 s0, s1
	s_cbranch_execz .LBB168_55
; %bb.54:
	v_div_scale_f64 v[0:1], null, v[2:3], v[2:3], v[8:9]
	v_div_scale_f64 v[10:11], vcc_lo, v[8:9], v[2:3], v[8:9]
	s_delay_alu instid0(VALU_DEP_2) | instskip(SKIP_2) | instid1(VALU_DEP_1)
	v_rcp_f64_e32 v[4:5], v[0:1]
	s_waitcnt_depctr 0xfff
	v_fma_f64 v[6:7], -v[0:1], v[4:5], 1.0
	v_fma_f64 v[4:5], v[4:5], v[6:7], v[4:5]
	s_delay_alu instid0(VALU_DEP_1) | instskip(NEXT) | instid1(VALU_DEP_1)
	v_fma_f64 v[6:7], -v[0:1], v[4:5], 1.0
	v_fma_f64 v[4:5], v[4:5], v[6:7], v[4:5]
	s_delay_alu instid0(VALU_DEP_1) | instskip(NEXT) | instid1(VALU_DEP_1)
	v_mul_f64 v[6:7], v[10:11], v[4:5]
	v_fma_f64 v[0:1], -v[0:1], v[6:7], v[10:11]
	s_delay_alu instid0(VALU_DEP_1) | instskip(NEXT) | instid1(VALU_DEP_1)
	v_div_fmas_f64 v[0:1], v[0:1], v[4:5], v[6:7]
	v_div_fixup_f64 v[0:1], v[0:1], v[2:3], v[8:9]
	s_delay_alu instid0(VALU_DEP_1) | instskip(NEXT) | instid1(VALU_DEP_1)
	v_fma_f64 v[2:3], v[8:9], v[0:1], v[2:3]
	v_div_scale_f64 v[4:5], null, v[2:3], v[2:3], 1.0
	v_div_scale_f64 v[10:11], vcc_lo, 1.0, v[2:3], 1.0
	s_delay_alu instid0(VALU_DEP_2) | instskip(SKIP_2) | instid1(VALU_DEP_1)
	v_rcp_f64_e32 v[6:7], v[4:5]
	s_waitcnt_depctr 0xfff
	v_fma_f64 v[8:9], -v[4:5], v[6:7], 1.0
	v_fma_f64 v[6:7], v[6:7], v[8:9], v[6:7]
	s_delay_alu instid0(VALU_DEP_1) | instskip(NEXT) | instid1(VALU_DEP_1)
	v_fma_f64 v[8:9], -v[4:5], v[6:7], 1.0
	v_fma_f64 v[6:7], v[6:7], v[8:9], v[6:7]
	s_delay_alu instid0(VALU_DEP_1) | instskip(NEXT) | instid1(VALU_DEP_1)
	v_mul_f64 v[8:9], v[10:11], v[6:7]
	v_fma_f64 v[4:5], -v[4:5], v[8:9], v[10:11]
	s_delay_alu instid0(VALU_DEP_1) | instskip(SKIP_2) | instid1(VALU_DEP_3)
	v_div_fmas_f64 v[4:5], v[4:5], v[6:7], v[8:9]
	v_add_f64 v[6:7], v[0:1], 0
	v_fma_f64 v[0:1], v[0:1], 0, -1.0
	v_div_fixup_f64 v[2:3], v[4:5], v[2:3], 1.0
	s_delay_alu instid0(VALU_DEP_1) | instskip(NEXT) | instid1(VALU_DEP_3)
	v_mul_f64 v[4:5], v[6:7], v[2:3]
	v_mul_f64 v[6:7], v[0:1], v[2:3]
.LBB168_55:
	s_or_b32 exec_lo, exec_lo, s0
	v_mul_lo_u32 v0, v25, s2
	v_and_b32_e32 v2, 0xff, v24
	s_delay_alu instid0(VALU_DEP_1) | instskip(NEXT) | instid1(VALU_DEP_3)
	v_cmp_gt_i16_e32 vcc_lo, 11, v2
	v_ashrrev_i32_e32 v1, 31, v0
	v_add_co_u32 v0, s0, s4, v0
	s_delay_alu instid0(VALU_DEP_1)
	v_add_co_ci_u32_e64 v1, s0, s5, v1, s0
	s_cbranch_vccnz .LBB168_62
; %bb.56:
	v_cmp_lt_i16_e32 vcc_lo, 25, v2
	s_cbranch_vccz .LBB168_64
; %bb.57:
	v_cmp_lt_i16_e32 vcc_lo, 28, v2
	s_cbranch_vccz .LBB168_65
	;; [unrolled: 3-line block ×4, first 2 shown]
; %bb.60:
	v_cmp_eq_u16_e32 vcc_lo, 46, v2
	s_mov_b32 s8, 0
	s_mov_b32 s0, -1
	s_mov_b32 s1, 0
	s_cbranch_vccz .LBB168_73
; %bb.61:
	v_cvt_f32_f64_e32 v3, v[6:7]
	v_cvt_f32_f64_e32 v8, v[4:5]
	s_mov_b32 s1, -1
	s_mov_b32 s0, 0
	s_delay_alu instid0(VALU_DEP_2) | instskip(NEXT) | instid1(VALU_DEP_2)
	v_bfe_u32 v9, v3, 16, 1
	v_bfe_u32 v10, v8, 16, 1
	v_cmp_o_f32_e32 vcc_lo, v3, v3
	s_delay_alu instid0(VALU_DEP_3) | instskip(NEXT) | instid1(VALU_DEP_3)
	v_add3_u32 v9, v3, v9, 0x7fff
	v_add3_u32 v10, v8, v10, 0x7fff
	s_delay_alu instid0(VALU_DEP_2) | instskip(NEXT) | instid1(VALU_DEP_2)
	v_and_b32_e32 v9, 0xffff0000, v9
	v_lshrrev_b32_e32 v10, 16, v10
	s_delay_alu instid0(VALU_DEP_2) | instskip(SKIP_1) | instid1(VALU_DEP_3)
	v_cndmask_b32_e32 v3, 0x7fc00000, v9, vcc_lo
	v_cmp_o_f32_e32 vcc_lo, v8, v8
	v_cndmask_b32_e32 v8, 0x7fc0, v10, vcc_lo
	s_delay_alu instid0(VALU_DEP_1)
	v_or_b32_e32 v3, v3, v8
	global_store_b32 v[0:1], v3, off
	s_branch .LBB168_73
.LBB168_62:
	s_mov_b32 s0, 0
	s_mov_b32 s1, 0
	s_cbranch_execnz .LBB168_142
.LBB168_63:
	s_and_not1_b32 vcc_lo, exec_lo, s1
	s_cbranch_vccnz .LBB168_295
	s_branch .LBB168_180
.LBB168_64:
	s_mov_b32 s8, -1
	s_mov_b32 s0, 0
	s_mov_b32 s1, 0
	s_branch .LBB168_100
.LBB168_65:
	s_mov_b32 s8, -1
	s_mov_b32 s0, 0
	s_mov_b32 s1, 0
	s_branch .LBB168_83
.LBB168_66:
	s_mov_b32 s8, -1
	s_mov_b32 s0, 0
	s_mov_b32 s1, 0
	s_branch .LBB168_79
.LBB168_67:
	s_mov_b32 s14, -1
.LBB168_68:
	s_mov_b32 s8, 0
                                        ; implicit-def: $vgpr2_vgpr3
.LBB168_69:
	s_and_b32 vcc_lo, exec_lo, s0
	s_cbranch_vccz .LBB168_183
; %bb.70:
	v_cmp_eq_u16_e32 vcc_lo, 44, v20
	s_cbranch_vccz .LBB168_181
; %bb.71:
	global_load_u8 v2, v[4:5], off
	s_mov_b32 s14, 0
	s_mov_b32 s8, -1
	s_mov_b64 s[0:1], 0
	s_waitcnt vmcnt(0)
	v_cmp_ne_u32_e32 vcc_lo, 0xff, v2
	v_lshlrev_b32_e32 v0, 23, v2
	s_delay_alu instid0(VALU_DEP_1) | instskip(NEXT) | instid1(VALU_DEP_1)
	v_cvt_f64_f32_e32 v[0:1], v0
	v_cndmask_b32_e32 v1, 0x7ff80000, v1, vcc_lo
	s_delay_alu instid0(VALU_DEP_2) | instskip(SKIP_1) | instid1(VALU_DEP_3)
	v_cndmask_b32_e32 v0, 0x20000000, v0, vcc_lo
	v_cmp_ne_u32_e32 vcc_lo, 0, v2
	v_cndmask_b32_e32 v1, 0x38000000, v1, vcc_lo
	s_delay_alu instid0(VALU_DEP_3)
	v_cndmask_b32_e32 v0, 0, v0, vcc_lo
	s_branch .LBB168_182
.LBB168_72:
	s_mov_b32 s8, -1
	s_mov_b32 s0, 0
	s_mov_b32 s1, 0
.LBB168_73:
	s_and_b32 vcc_lo, exec_lo, s8
	s_cbranch_vccz .LBB168_78
; %bb.74:
	v_cmp_eq_u16_e32 vcc_lo, 44, v2
	s_mov_b32 s0, -1
	s_cbranch_vccz .LBB168_78
; %bb.75:
	v_cvt_f32_f64_e32 v3, v[4:5]
	v_mov_b32_e32 v8, 0xff
	s_mov_b32 s1, exec_lo
	s_delay_alu instid0(VALU_DEP_2) | instskip(NEXT) | instid1(VALU_DEP_1)
	v_bfe_u32 v9, v3, 23, 8
	v_cmpx_ne_u32_e32 0xff, v9
; %bb.76:
	v_and_b32_e32 v8, 0x400000, v3
	v_and_or_b32 v9, 0x3fffff, v3, v9
	v_lshrrev_b32_e32 v3, 23, v3
	s_delay_alu instid0(VALU_DEP_3) | instskip(NEXT) | instid1(VALU_DEP_3)
	v_cmp_ne_u32_e32 vcc_lo, 0, v8
	v_cmp_ne_u32_e64 s0, 0, v9
	s_delay_alu instid0(VALU_DEP_1) | instskip(NEXT) | instid1(SALU_CYCLE_1)
	s_and_b32 s0, vcc_lo, s0
	v_cndmask_b32_e64 v8, 0, 1, s0
	s_delay_alu instid0(VALU_DEP_1)
	v_add_nc_u32_e32 v8, v3, v8
; %bb.77:
	s_or_b32 exec_lo, exec_lo, s1
	s_mov_b32 s1, -1
	s_mov_b32 s0, 0
	global_store_b8 v[0:1], v8, off
.LBB168_78:
	s_mov_b32 s8, 0
.LBB168_79:
	s_delay_alu instid0(SALU_CYCLE_1)
	s_and_b32 vcc_lo, exec_lo, s8
	s_cbranch_vccz .LBB168_82
; %bb.80:
	v_cmp_eq_u16_e32 vcc_lo, 29, v2
	s_mov_b32 s0, -1
	s_cbranch_vccz .LBB168_82
; %bb.81:
	v_trunc_f64_e32 v[8:9], v[4:5]
	s_mov_b32 s1, -1
	s_mov_b32 s0, 0
	s_mov_b32 s8, 0
	s_delay_alu instid0(VALU_DEP_1) | instskip(NEXT) | instid1(VALU_DEP_1)
	v_ldexp_f64 v[10:11], v[8:9], 0xffffffe0
	v_floor_f64_e32 v[10:11], v[10:11]
	s_delay_alu instid0(VALU_DEP_1) | instskip(SKIP_1) | instid1(VALU_DEP_2)
	v_fma_f64 v[8:9], 0xc1f00000, v[10:11], v[8:9]
	v_cvt_u32_f64_e32 v10, v[10:11]
	v_cvt_u32_f64_e32 v9, v[8:9]
	global_store_b64 v[0:1], v[9:10], off
	s_branch .LBB168_83
.LBB168_82:
	s_mov_b32 s8, 0
.LBB168_83:
	s_delay_alu instid0(SALU_CYCLE_1)
	s_and_b32 vcc_lo, exec_lo, s8
	s_cbranch_vccz .LBB168_99
; %bb.84:
	v_cmp_gt_i16_e32 vcc_lo, 27, v2
	s_mov_b32 s1, -1
	s_cbranch_vccnz .LBB168_90
; %bb.85:
	v_cmp_lt_i16_e32 vcc_lo, 27, v2
	s_cbranch_vccz .LBB168_87
; %bb.86:
	v_cvt_u32_f64_e32 v3, v[4:5]
	s_mov_b32 s1, 0
	global_store_b32 v[0:1], v3, off
.LBB168_87:
	s_and_not1_b32 vcc_lo, exec_lo, s1
	s_cbranch_vccnz .LBB168_89
; %bb.88:
	v_cvt_u32_f64_e32 v3, v[4:5]
	global_store_b16 v[0:1], v3, off
.LBB168_89:
	s_mov_b32 s1, 0
.LBB168_90:
	s_delay_alu instid0(SALU_CYCLE_1)
	s_and_not1_b32 vcc_lo, exec_lo, s1
	s_cbranch_vccnz .LBB168_98
; %bb.91:
	v_cvt_f32_f64_e32 v3, v[4:5]
	v_mov_b32_e32 v9, 0x80
	s_mov_b32 s1, exec_lo
	s_delay_alu instid0(VALU_DEP_2) | instskip(NEXT) | instid1(VALU_DEP_1)
	v_and_b32_e32 v8, 0x7fffffff, v3
	v_cmpx_gt_u32_e32 0x43800000, v8
	s_cbranch_execz .LBB168_97
; %bb.92:
	v_cmp_lt_u32_e32 vcc_lo, 0x3bffffff, v8
	s_mov_b32 s8, 0
                                        ; implicit-def: $vgpr8
	s_and_saveexec_b32 s9, vcc_lo
	s_delay_alu instid0(SALU_CYCLE_1)
	s_xor_b32 s9, exec_lo, s9
	s_cbranch_execz .LBB168_327
; %bb.93:
	v_bfe_u32 v8, v3, 20, 1
	s_mov_b32 s8, exec_lo
	s_delay_alu instid0(VALU_DEP_1) | instskip(NEXT) | instid1(VALU_DEP_1)
	v_add3_u32 v8, v3, v8, 0x487ffff
	v_lshrrev_b32_e32 v8, 20, v8
	s_or_saveexec_b32 s9, s9
                                        ; implicit-def: $sgpr12
	s_delay_alu instid0(SALU_CYCLE_1)
	s_xor_b32 exec_lo, exec_lo, s9
	s_cbranch_execnz .LBB168_328
.LBB168_94:
	s_or_b32 exec_lo, exec_lo, s9
	v_mov_b32_e32 v9, s12
	s_and_saveexec_b32 s9, s8
.LBB168_95:
	v_lshrrev_b32_e32 v3, 24, v3
	s_delay_alu instid0(VALU_DEP_1)
	v_and_or_b32 v9, 0x80, v3, v8
.LBB168_96:
	s_or_b32 exec_lo, exec_lo, s9
.LBB168_97:
	s_delay_alu instid0(SALU_CYCLE_1)
	s_or_b32 exec_lo, exec_lo, s1
	global_store_b8 v[0:1], v9, off
.LBB168_98:
	s_mov_b32 s1, -1
.LBB168_99:
	s_mov_b32 s8, 0
.LBB168_100:
	s_delay_alu instid0(SALU_CYCLE_1)
	s_and_b32 vcc_lo, exec_lo, s8
	s_cbranch_vccz .LBB168_141
; %bb.101:
	v_cmp_lt_i16_e32 vcc_lo, 22, v2
	s_mov_b32 s8, -1
	s_cbranch_vccz .LBB168_133
; %bb.102:
	v_cmp_gt_i16_e32 vcc_lo, 24, v2
	s_mov_b32 s1, -1
	s_cbranch_vccnz .LBB168_122
; %bb.103:
	v_cmp_lt_i16_e32 vcc_lo, 24, v2
	s_cbranch_vccz .LBB168_111
; %bb.104:
	v_cvt_f32_f64_e32 v3, v[4:5]
	v_mov_b32_e32 v9, 0x80
	s_mov_b32 s1, exec_lo
	s_delay_alu instid0(VALU_DEP_2) | instskip(NEXT) | instid1(VALU_DEP_1)
	v_and_b32_e32 v8, 0x7fffffff, v3
	v_cmpx_gt_u32_e32 0x47800000, v8
	s_cbranch_execz .LBB168_110
; %bb.105:
	v_cmp_lt_u32_e32 vcc_lo, 0x37ffffff, v8
	s_mov_b32 s8, 0
                                        ; implicit-def: $vgpr8
	s_and_saveexec_b32 s9, vcc_lo
	s_delay_alu instid0(SALU_CYCLE_1)
	s_xor_b32 s9, exec_lo, s9
	s_cbranch_execz .LBB168_365
; %bb.106:
	v_bfe_u32 v8, v3, 21, 1
	s_mov_b32 s8, exec_lo
	s_delay_alu instid0(VALU_DEP_1) | instskip(NEXT) | instid1(VALU_DEP_1)
	v_add3_u32 v8, v3, v8, 0x88fffff
	v_lshrrev_b32_e32 v8, 21, v8
	s_or_saveexec_b32 s9, s9
                                        ; implicit-def: $sgpr12
	s_delay_alu instid0(SALU_CYCLE_1)
	s_xor_b32 exec_lo, exec_lo, s9
	s_cbranch_execnz .LBB168_366
.LBB168_107:
	s_or_b32 exec_lo, exec_lo, s9
	v_mov_b32_e32 v9, s12
	s_and_saveexec_b32 s9, s8
.LBB168_108:
	v_lshrrev_b32_e32 v3, 24, v3
	s_delay_alu instid0(VALU_DEP_1)
	v_and_or_b32 v9, 0x80, v3, v8
.LBB168_109:
	s_or_b32 exec_lo, exec_lo, s9
.LBB168_110:
	s_delay_alu instid0(SALU_CYCLE_1)
	s_or_b32 exec_lo, exec_lo, s1
	s_mov_b32 s1, 0
	global_store_b8 v[0:1], v9, off
.LBB168_111:
	s_and_b32 vcc_lo, exec_lo, s1
	s_cbranch_vccz .LBB168_121
; %bb.112:
	v_cvt_f32_f64_e32 v3, v[4:5]
	s_mov_b32 s1, exec_lo
                                        ; implicit-def: $vgpr8
	s_delay_alu instid0(VALU_DEP_1) | instskip(NEXT) | instid1(VALU_DEP_1)
	v_and_b32_e32 v9, 0x7fffffff, v3
	v_cmpx_gt_u32_e32 0x43f00000, v9
	s_xor_b32 s1, exec_lo, s1
	s_cbranch_execz .LBB168_118
; %bb.113:
	s_mov_b32 s8, exec_lo
                                        ; implicit-def: $vgpr8
	v_cmpx_lt_u32_e32 0x3c7fffff, v9
	s_xor_b32 s8, exec_lo, s8
; %bb.114:
	v_bfe_u32 v8, v3, 20, 1
	s_delay_alu instid0(VALU_DEP_1) | instskip(NEXT) | instid1(VALU_DEP_1)
	v_add3_u32 v8, v3, v8, 0x407ffff
	v_and_b32_e32 v9, 0xff00000, v8
	v_lshrrev_b32_e32 v8, 20, v8
	s_delay_alu instid0(VALU_DEP_2) | instskip(NEXT) | instid1(VALU_DEP_2)
	v_cmp_ne_u32_e32 vcc_lo, 0x7f00000, v9
	v_cndmask_b32_e32 v8, 0x7e, v8, vcc_lo
; %bb.115:
	s_and_not1_saveexec_b32 s8, s8
; %bb.116:
	v_add_f32_e64 v8, 0x46800000, |v3|
; %bb.117:
	s_or_b32 exec_lo, exec_lo, s8
                                        ; implicit-def: $vgpr9
.LBB168_118:
	s_and_not1_saveexec_b32 s1, s1
; %bb.119:
	v_mov_b32_e32 v8, 0x7f
	v_cmp_lt_u32_e32 vcc_lo, 0x7f800000, v9
	s_delay_alu instid0(VALU_DEP_2)
	v_cndmask_b32_e32 v8, 0x7e, v8, vcc_lo
; %bb.120:
	s_or_b32 exec_lo, exec_lo, s1
	v_lshrrev_b32_e32 v3, 24, v3
	s_delay_alu instid0(VALU_DEP_1)
	v_and_or_b32 v3, 0x80, v3, v8
	global_store_b8 v[0:1], v3, off
.LBB168_121:
	s_mov_b32 s1, 0
.LBB168_122:
	s_delay_alu instid0(SALU_CYCLE_1)
	s_and_not1_b32 vcc_lo, exec_lo, s1
	s_cbranch_vccnz .LBB168_132
; %bb.123:
	v_cvt_f32_f64_e32 v3, v[4:5]
	s_mov_b32 s1, exec_lo
                                        ; implicit-def: $vgpr8
	s_delay_alu instid0(VALU_DEP_1) | instskip(NEXT) | instid1(VALU_DEP_1)
	v_and_b32_e32 v9, 0x7fffffff, v3
	v_cmpx_gt_u32_e32 0x47800000, v9
	s_xor_b32 s1, exec_lo, s1
	s_cbranch_execz .LBB168_129
; %bb.124:
	s_mov_b32 s8, exec_lo
                                        ; implicit-def: $vgpr8
	v_cmpx_lt_u32_e32 0x387fffff, v9
	s_xor_b32 s8, exec_lo, s8
; %bb.125:
	v_bfe_u32 v8, v3, 21, 1
	s_delay_alu instid0(VALU_DEP_1) | instskip(NEXT) | instid1(VALU_DEP_1)
	v_add3_u32 v8, v3, v8, 0x80fffff
	v_lshrrev_b32_e32 v8, 21, v8
; %bb.126:
	s_and_not1_saveexec_b32 s8, s8
; %bb.127:
	v_add_f32_e64 v8, 0x43000000, |v3|
; %bb.128:
	s_or_b32 exec_lo, exec_lo, s8
                                        ; implicit-def: $vgpr9
.LBB168_129:
	s_and_not1_saveexec_b32 s1, s1
; %bb.130:
	v_mov_b32_e32 v8, 0x7f
	v_cmp_lt_u32_e32 vcc_lo, 0x7f800000, v9
	s_delay_alu instid0(VALU_DEP_2)
	v_cndmask_b32_e32 v8, 0x7c, v8, vcc_lo
; %bb.131:
	s_or_b32 exec_lo, exec_lo, s1
	v_lshrrev_b32_e32 v3, 24, v3
	s_delay_alu instid0(VALU_DEP_1)
	v_and_or_b32 v3, 0x80, v3, v8
	global_store_b8 v[0:1], v3, off
.LBB168_132:
	s_mov_b32 s8, 0
	s_mov_b32 s1, -1
.LBB168_133:
	s_and_not1_b32 vcc_lo, exec_lo, s8
	s_cbranch_vccnz .LBB168_141
; %bb.134:
	v_cmp_lt_i16_e32 vcc_lo, 14, v2
	s_mov_b32 s8, -1
	s_cbranch_vccz .LBB168_138
; %bb.135:
	v_cmp_eq_u16_e32 vcc_lo, 15, v2
	s_mov_b32 s0, -1
	s_cbranch_vccz .LBB168_137
; %bb.136:
	v_cvt_f32_f64_e32 v3, v[4:5]
	s_mov_b32 s1, -1
	s_mov_b32 s0, 0
	s_delay_alu instid0(VALU_DEP_1) | instskip(SKIP_1) | instid1(VALU_DEP_2)
	v_bfe_u32 v8, v3, 16, 1
	v_cmp_o_f32_e32 vcc_lo, v3, v3
	v_add3_u32 v8, v3, v8, 0x7fff
	s_delay_alu instid0(VALU_DEP_1) | instskip(NEXT) | instid1(VALU_DEP_1)
	v_lshrrev_b32_e32 v8, 16, v8
	v_cndmask_b32_e32 v3, 0x7fc0, v8, vcc_lo
	global_store_b16 v[0:1], v3, off
.LBB168_137:
	s_mov_b32 s8, 0
.LBB168_138:
	s_delay_alu instid0(SALU_CYCLE_1)
	s_and_b32 vcc_lo, exec_lo, s8
	s_cbranch_vccz .LBB168_141
; %bb.139:
	v_cmp_eq_u16_e32 vcc_lo, 11, v2
	s_mov_b32 s0, -1
	s_cbranch_vccz .LBB168_141
; %bb.140:
	v_cmp_neq_f64_e32 vcc_lo, 0, v[4:5]
	v_cmp_neq_f64_e64 s0, 0, v[6:7]
	s_mov_b32 s1, -1
	s_delay_alu instid0(VALU_DEP_1) | instskip(NEXT) | instid1(SALU_CYCLE_1)
	s_or_b32 s0, vcc_lo, s0
	v_cndmask_b32_e64 v3, 0, 1, s0
	s_mov_b32 s0, 0
	global_store_b8 v[0:1], v3, off
.LBB168_141:
	s_branch .LBB168_63
.LBB168_142:
	v_cmp_gt_i16_e32 vcc_lo, 5, v2
	s_mov_b32 s1, -1
	s_cbranch_vccnz .LBB168_163
; %bb.143:
	v_cmp_gt_i16_e32 vcc_lo, 8, v2
	s_cbranch_vccnz .LBB168_153
; %bb.144:
	v_cmp_gt_i16_e32 vcc_lo, 9, v2
	s_cbranch_vccnz .LBB168_150
; %bb.145:
	v_cmp_lt_i16_e32 vcc_lo, 9, v2
	s_cbranch_vccz .LBB168_147
; %bb.146:
	s_mov_b32 s1, 0
	global_store_b128 v[0:1], v[4:7], off
.LBB168_147:
	s_and_not1_b32 vcc_lo, exec_lo, s1
	s_cbranch_vccnz .LBB168_149
; %bb.148:
	v_cvt_f32_f64_e32 v8, v[4:5]
	v_cvt_f32_f64_e32 v9, v[6:7]
	global_store_b64 v[0:1], v[8:9], off
.LBB168_149:
	s_mov_b32 s1, 0
.LBB168_150:
	s_delay_alu instid0(SALU_CYCLE_1)
	s_and_not1_b32 vcc_lo, exec_lo, s1
	s_cbranch_vccnz .LBB168_152
; %bb.151:
	v_cvt_f32_f64_e32 v3, v[6:7]
	v_cvt_f32_f64_e32 v6, v[4:5]
	s_delay_alu instid0(VALU_DEP_2) | instskip(NEXT) | instid1(VALU_DEP_2)
	v_cvt_f16_f32_e32 v3, v3
	v_cvt_f16_f32_e32 v6, v6
	s_delay_alu instid0(VALU_DEP_2) | instskip(NEXT) | instid1(VALU_DEP_2)
	v_lshlrev_b32_e32 v3, 16, v3
	v_and_b32_e32 v6, 0xffff, v6
	s_delay_alu instid0(VALU_DEP_1)
	v_or_b32_e32 v3, v3, v6
	global_store_b32 v[0:1], v3, off
.LBB168_152:
	s_mov_b32 s1, 0
.LBB168_153:
	s_delay_alu instid0(SALU_CYCLE_1)
	s_and_not1_b32 vcc_lo, exec_lo, s1
	s_cbranch_vccnz .LBB168_162
; %bb.154:
	v_cmp_gt_i16_e32 vcc_lo, 6, v2
	s_mov_b32 s1, -1
	s_cbranch_vccnz .LBB168_160
; %bb.155:
	v_cmp_lt_i16_e32 vcc_lo, 6, v2
	s_cbranch_vccz .LBB168_157
; %bb.156:
	s_mov_b32 s1, 0
	global_store_b64 v[0:1], v[4:5], off
.LBB168_157:
	s_and_not1_b32 vcc_lo, exec_lo, s1
	s_cbranch_vccnz .LBB168_159
; %bb.158:
	v_cvt_f32_f64_e32 v3, v[4:5]
	global_store_b32 v[0:1], v3, off
.LBB168_159:
	s_mov_b32 s1, 0
.LBB168_160:
	s_delay_alu instid0(SALU_CYCLE_1)
	s_and_not1_b32 vcc_lo, exec_lo, s1
	s_cbranch_vccnz .LBB168_162
; %bb.161:
	v_cvt_f32_f64_e32 v3, v[4:5]
	s_delay_alu instid0(VALU_DEP_1)
	v_cvt_f16_f32_e32 v3, v3
	global_store_b16 v[0:1], v3, off
.LBB168_162:
	s_mov_b32 s1, 0
.LBB168_163:
	s_delay_alu instid0(SALU_CYCLE_1)
	s_and_not1_b32 vcc_lo, exec_lo, s1
	s_cbranch_vccnz .LBB168_179
; %bb.164:
	v_cmp_gt_i16_e32 vcc_lo, 2, v2
	s_mov_b32 s1, -1
	s_cbranch_vccnz .LBB168_174
; %bb.165:
	v_cmp_gt_i16_e32 vcc_lo, 3, v2
	s_cbranch_vccnz .LBB168_171
; %bb.166:
	v_cmp_lt_i16_e32 vcc_lo, 3, v2
	s_cbranch_vccz .LBB168_168
; %bb.167:
	v_trunc_f64_e32 v[6:7], v[4:5]
	s_mov_b32 s1, 0
	s_delay_alu instid0(VALU_DEP_1) | instskip(NEXT) | instid1(VALU_DEP_1)
	v_ldexp_f64 v[8:9], v[6:7], 0xffffffe0
	v_floor_f64_e32 v[8:9], v[8:9]
	s_delay_alu instid0(VALU_DEP_1) | instskip(SKIP_1) | instid1(VALU_DEP_2)
	v_fma_f64 v[6:7], 0xc1f00000, v[8:9], v[6:7]
	v_cvt_i32_f64_e32 v8, v[8:9]
	v_cvt_u32_f64_e32 v7, v[6:7]
	global_store_b64 v[0:1], v[7:8], off
.LBB168_168:
	s_and_not1_b32 vcc_lo, exec_lo, s1
	s_cbranch_vccnz .LBB168_170
; %bb.169:
	v_cvt_i32_f64_e32 v3, v[4:5]
	global_store_b32 v[0:1], v3, off
.LBB168_170:
	s_mov_b32 s1, 0
.LBB168_171:
	s_delay_alu instid0(SALU_CYCLE_1)
	s_and_not1_b32 vcc_lo, exec_lo, s1
	s_cbranch_vccnz .LBB168_173
; %bb.172:
	v_cvt_i32_f64_e32 v3, v[4:5]
	global_store_b16 v[0:1], v3, off
.LBB168_173:
	s_mov_b32 s1, 0
.LBB168_174:
	s_delay_alu instid0(SALU_CYCLE_1)
	s_and_not1_b32 vcc_lo, exec_lo, s1
	s_cbranch_vccnz .LBB168_179
; %bb.175:
	v_cmp_lt_i16_e32 vcc_lo, 0, v2
	s_mov_b32 s1, -1
	s_cbranch_vccz .LBB168_177
; %bb.176:
	v_cvt_i32_f64_e32 v2, v[4:5]
	s_mov_b32 s1, 0
	global_store_b8 v[0:1], v2, off
.LBB168_177:
	s_and_not1_b32 vcc_lo, exec_lo, s1
	s_cbranch_vccnz .LBB168_179
; %bb.178:
	v_trunc_f64_e32 v[2:3], v[4:5]
	s_delay_alu instid0(VALU_DEP_1) | instskip(NEXT) | instid1(VALU_DEP_1)
	v_ldexp_f64 v[4:5], v[2:3], 0xffffffe0
	v_floor_f64_e32 v[4:5], v[4:5]
	s_delay_alu instid0(VALU_DEP_1) | instskip(NEXT) | instid1(VALU_DEP_1)
	v_fma_f64 v[2:3], 0xc1f00000, v[4:5], v[2:3]
	v_cvt_u32_f64_e32 v2, v[2:3]
	global_store_b8 v[0:1], v2, off
.LBB168_179:
.LBB168_180:
	v_add_nc_u32_e32 v25, 0x80, v25
	s_mov_b32 s1, -1
	s_branch .LBB168_296
.LBB168_181:
	s_mov_b32 s14, -1
                                        ; implicit-def: $sgpr0_sgpr1
                                        ; implicit-def: $vgpr0_vgpr1
.LBB168_182:
	v_dual_mov_b32 v3, s1 :: v_dual_mov_b32 v2, s0
.LBB168_183:
	s_mov_b32 s0, 0
.LBB168_184:
	s_delay_alu instid0(SALU_CYCLE_1)
	s_and_b32 vcc_lo, exec_lo, s0
	s_cbranch_vccz .LBB168_189
; %bb.185:
	v_cmp_eq_u16_e32 vcc_lo, 29, v20
	s_cbranch_vccz .LBB168_187
; %bb.186:
	global_load_b64 v[0:1], v[4:5], off
	s_mov_b32 s8, -1
	s_mov_b32 s14, 0
	s_mov_b64 s[0:1], 0
	s_waitcnt vmcnt(0)
	v_cvt_f64_u32_e32 v[1:2], v1
	v_cvt_f64_u32_e32 v[6:7], v0
	s_delay_alu instid0(VALU_DEP_2) | instskip(NEXT) | instid1(VALU_DEP_1)
	v_ldexp_f64 v[1:2], v[1:2], 32
	v_add_f64 v[0:1], v[1:2], v[6:7]
	s_branch .LBB168_188
.LBB168_187:
	s_mov_b32 s14, -1
                                        ; implicit-def: $sgpr0_sgpr1
                                        ; implicit-def: $vgpr0_vgpr1
.LBB168_188:
	v_dual_mov_b32 v3, s1 :: v_dual_mov_b32 v2, s0
.LBB168_189:
	s_mov_b32 s0, 0
.LBB168_190:
	s_delay_alu instid0(SALU_CYCLE_1)
	s_and_b32 vcc_lo, exec_lo, s0
	s_cbranch_vccz .LBB168_210
; %bb.191:
	v_cmp_gt_i16_e32 vcc_lo, 27, v20
	s_cbranch_vccnz .LBB168_194
; %bb.192:
	v_cmp_lt_i16_e32 vcc_lo, 27, v20
	s_cbranch_vccz .LBB168_195
; %bb.193:
	global_load_b32 v0, v[4:5], off
	s_mov_b32 s8, 0
	s_mov_b64 s[0:1], 0
	s_waitcnt vmcnt(0)
	v_cvt_f64_u32_e32 v[0:1], v0
	s_branch .LBB168_196
.LBB168_194:
	s_mov_b32 s8, -1
                                        ; implicit-def: $sgpr0_sgpr1
                                        ; implicit-def: $vgpr0_vgpr1
	s_branch .LBB168_199
.LBB168_195:
	s_mov_b32 s8, -1
                                        ; implicit-def: $sgpr0_sgpr1
                                        ; implicit-def: $vgpr0_vgpr1
.LBB168_196:
	s_delay_alu instid0(SALU_CYCLE_1)
	s_and_not1_b32 vcc_lo, exec_lo, s8
	s_cbranch_vccnz .LBB168_198
; %bb.197:
	global_load_u16 v0, v[4:5], off
	s_mov_b64 s[0:1], 0
	s_waitcnt vmcnt(0)
	v_cvt_f64_u32_e32 v[0:1], v0
.LBB168_198:
	s_mov_b32 s8, 0
.LBB168_199:
	v_dual_mov_b32 v3, s1 :: v_dual_mov_b32 v2, s0
	s_and_not1_b32 vcc_lo, exec_lo, s8
	s_cbranch_vccnz .LBB168_209
; %bb.200:
	global_load_u8 v6, v[4:5], off
	s_mov_b32 s17, exec_lo
                                        ; implicit-def: $sgpr0_sgpr1
                                        ; implicit-def: $sgpr8_sgpr9
	s_waitcnt vmcnt(0)
	v_cmpx_lt_i16_e32 0x7f, v6
	s_xor_b32 s17, exec_lo, s17
	s_cbranch_execz .LBB168_204
; %bb.201:
	s_mov_b32 s12, -1
	s_mov_b32 s18, exec_lo
                                        ; implicit-def: $sgpr0_sgpr1
                                        ; implicit-def: $sgpr8_sgpr9
	v_cmpx_eq_u16_e32 0x80, v6
; %bb.202:
	s_mov_b64 s[0:1], 0
	s_mov_b32 s9, 0x7ff80000
	s_brev_b32 s8, 4
	s_xor_b32 s12, exec_lo, -1
; %bb.203:
	s_or_b32 exec_lo, exec_lo, s18
	s_delay_alu instid0(SALU_CYCLE_1)
	s_and_b32 s12, s12, exec_lo
.LBB168_204:
	s_or_saveexec_b32 s17, s17
	v_dual_mov_b32 v3, s1 :: v_dual_mov_b32 v2, s0
	v_dual_mov_b32 v0, s8 :: v_dual_mov_b32 v1, s9
	s_xor_b32 exec_lo, exec_lo, s17
; %bb.205:
	v_mov_b32_e32 v2, 0
	v_mov_b32_e32 v3, 0
	v_cmp_ne_u16_e32 vcc_lo, 0, v6
	s_delay_alu instid0(VALU_DEP_3) | instskip(SKIP_1) | instid1(VALU_DEP_3)
	v_mov_b32_e32 v0, v2
	s_and_not1_b32 s0, s12, exec_lo
	v_mov_b32_e32 v1, v3
	s_and_b32 s1, vcc_lo, exec_lo
	s_delay_alu instid0(SALU_CYCLE_1)
	s_or_b32 s12, s0, s1
; %bb.206:
	s_or_b32 exec_lo, exec_lo, s17
	s_and_saveexec_b32 s0, s12
	s_cbranch_execz .LBB168_208
; %bb.207:
	v_and_b32_e32 v0, 0xffff, v6
	v_lshlrev_b32_e32 v6, 24, v6
	s_delay_alu instid0(VALU_DEP_2) | instskip(NEXT) | instid1(VALU_DEP_1)
	v_and_b32_e32 v1, 7, v0
	v_clz_i32_u32_e32 v2, v1
	s_delay_alu instid0(VALU_DEP_1) | instskip(NEXT) | instid1(VALU_DEP_1)
	v_min_u32_e32 v2, 32, v2
	v_subrev_nc_u32_e32 v3, 28, v2
	v_sub_nc_u32_e32 v2, 29, v2
	s_delay_alu instid0(VALU_DEP_2) | instskip(SKIP_1) | instid1(VALU_DEP_2)
	v_lshlrev_b32_e32 v3, v3, v0
	v_bfe_u32 v0, v0, 3, 4
	v_and_b32_e32 v3, 7, v3
	s_delay_alu instid0(VALU_DEP_2) | instskip(NEXT) | instid1(VALU_DEP_2)
	v_cmp_eq_u32_e32 vcc_lo, 0, v0
	v_dual_cndmask_b32 v0, v0, v2 :: v_dual_cndmask_b32 v1, v1, v3
	v_and_b32_e32 v2, 0x80000000, v6
	s_delay_alu instid0(VALU_DEP_2) | instskip(NEXT) | instid1(VALU_DEP_3)
	v_lshl_add_u32 v0, v0, 23, 0x3b800000
	v_lshlrev_b32_e32 v1, 20, v1
	s_delay_alu instid0(VALU_DEP_1) | instskip(SKIP_2) | instid1(VALU_DEP_3)
	v_or3_b32 v0, v2, v0, v1
	v_mov_b32_e32 v2, 0
	v_mov_b32_e32 v3, 0
	v_cvt_f64_f32_e32 v[0:1], v0
.LBB168_208:
	s_or_b32 exec_lo, exec_lo, s0
.LBB168_209:
	s_mov_b32 s8, -1
.LBB168_210:
	s_branch .LBB168_244
.LBB168_211:
	v_cmp_lt_i16_e32 vcc_lo, 22, v20
	s_cbranch_vccz .LBB168_223
; %bb.212:
	v_cmp_gt_i16_e32 vcc_lo, 24, v20
	s_cbranch_vccnz .LBB168_224
; %bb.213:
	v_cmp_lt_i16_e32 vcc_lo, 24, v20
	s_cbranch_vccz .LBB168_225
; %bb.214:
	global_load_u8 v6, v[4:5], off
	s_mov_b32 s12, 0
	s_mov_b32 s17, exec_lo
                                        ; implicit-def: $sgpr0_sgpr1
                                        ; implicit-def: $sgpr8_sgpr9
	s_waitcnt vmcnt(0)
	v_cmpx_lt_i16_e32 0x7f, v6
	s_xor_b32 s17, exec_lo, s17
	s_cbranch_execz .LBB168_218
; %bb.215:
	s_mov_b32 s12, -1
	s_mov_b32 s18, exec_lo
                                        ; implicit-def: $sgpr0_sgpr1
                                        ; implicit-def: $sgpr8_sgpr9
	v_cmpx_eq_u16_e32 0x80, v6
; %bb.216:
	s_mov_b64 s[0:1], 0
	s_mov_b32 s9, 0x7ff80000
	s_brev_b32 s8, 4
	s_xor_b32 s12, exec_lo, -1
; %bb.217:
	s_or_b32 exec_lo, exec_lo, s18
	s_delay_alu instid0(SALU_CYCLE_1)
	s_and_b32 s12, s12, exec_lo
.LBB168_218:
	s_or_saveexec_b32 s17, s17
	v_dual_mov_b32 v3, s1 :: v_dual_mov_b32 v2, s0
	v_dual_mov_b32 v0, s8 :: v_dual_mov_b32 v1, s9
	s_xor_b32 exec_lo, exec_lo, s17
; %bb.219:
	v_mov_b32_e32 v2, 0
	v_mov_b32_e32 v3, 0
	v_cmp_ne_u16_e32 vcc_lo, 0, v6
	s_delay_alu instid0(VALU_DEP_3) | instskip(SKIP_1) | instid1(VALU_DEP_3)
	v_mov_b32_e32 v0, v2
	s_and_not1_b32 s0, s12, exec_lo
	v_mov_b32_e32 v1, v3
	s_and_b32 s1, vcc_lo, exec_lo
	s_delay_alu instid0(SALU_CYCLE_1)
	s_or_b32 s12, s0, s1
; %bb.220:
	s_or_b32 exec_lo, exec_lo, s17
	s_and_saveexec_b32 s0, s12
	s_cbranch_execz .LBB168_222
; %bb.221:
	v_and_b32_e32 v0, 0xffff, v6
	v_lshlrev_b32_e32 v6, 24, v6
	s_delay_alu instid0(VALU_DEP_2) | instskip(NEXT) | instid1(VALU_DEP_1)
	v_and_b32_e32 v1, 3, v0
	v_clz_i32_u32_e32 v2, v1
	s_delay_alu instid0(VALU_DEP_1) | instskip(NEXT) | instid1(VALU_DEP_1)
	v_min_u32_e32 v2, 32, v2
	v_subrev_nc_u32_e32 v3, 29, v2
	v_sub_nc_u32_e32 v2, 30, v2
	s_delay_alu instid0(VALU_DEP_2) | instskip(SKIP_1) | instid1(VALU_DEP_2)
	v_lshlrev_b32_e32 v3, v3, v0
	v_bfe_u32 v0, v0, 2, 5
	v_and_b32_e32 v3, 3, v3
	s_delay_alu instid0(VALU_DEP_2) | instskip(NEXT) | instid1(VALU_DEP_2)
	v_cmp_eq_u32_e32 vcc_lo, 0, v0
	v_dual_cndmask_b32 v0, v0, v2 :: v_dual_cndmask_b32 v1, v1, v3
	v_and_b32_e32 v2, 0x80000000, v6
	s_delay_alu instid0(VALU_DEP_2) | instskip(NEXT) | instid1(VALU_DEP_3)
	v_lshl_add_u32 v0, v0, 23, 0x37800000
	v_lshlrev_b32_e32 v1, 21, v1
	s_delay_alu instid0(VALU_DEP_1) | instskip(SKIP_2) | instid1(VALU_DEP_3)
	v_or3_b32 v0, v2, v0, v1
	v_mov_b32_e32 v2, 0
	v_mov_b32_e32 v3, 0
	v_cvt_f64_f32_e32 v[0:1], v0
.LBB168_222:
	s_or_b32 exec_lo, exec_lo, s0
	s_mov_b32 s0, 0
	s_branch .LBB168_226
.LBB168_223:
	s_mov_b32 s0, -1
                                        ; implicit-def: $vgpr2_vgpr3
	s_branch .LBB168_232
.LBB168_224:
	s_mov_b32 s0, -1
                                        ; implicit-def: $vgpr2_vgpr3
	s_branch .LBB168_229
.LBB168_225:
	s_mov_b32 s0, -1
                                        ; implicit-def: $vgpr2_vgpr3
.LBB168_226:
	s_delay_alu instid0(SALU_CYCLE_1)
	s_and_b32 vcc_lo, exec_lo, s0
	s_cbranch_vccz .LBB168_228
; %bb.227:
	global_load_u8 v0, v[4:5], off
	s_waitcnt vmcnt(0)
	v_lshlrev_b32_e32 v0, 24, v0
	s_delay_alu instid0(VALU_DEP_1) | instskip(NEXT) | instid1(VALU_DEP_1)
	v_and_b32_e32 v1, 0x7f000000, v0
	v_clz_i32_u32_e32 v2, v1
	v_add_nc_u32_e32 v6, 0x1000000, v1
	v_cmp_ne_u32_e32 vcc_lo, 0, v1
	s_delay_alu instid0(VALU_DEP_3) | instskip(NEXT) | instid1(VALU_DEP_1)
	v_min_u32_e32 v2, 32, v2
	v_sub_nc_u32_e64 v2, v2, 4 clamp
	s_delay_alu instid0(VALU_DEP_1) | instskip(SKIP_1) | instid1(VALU_DEP_2)
	v_lshlrev_b32_e32 v3, v2, v1
	v_lshlrev_b32_e32 v2, 23, v2
	v_lshrrev_b32_e32 v3, 4, v3
	s_delay_alu instid0(VALU_DEP_1) | instskip(SKIP_1) | instid1(VALU_DEP_2)
	v_sub_nc_u32_e32 v2, v3, v2
	v_ashrrev_i32_e32 v3, 8, v6
	v_add_nc_u32_e32 v2, 0x3c000000, v2
	s_delay_alu instid0(VALU_DEP_1) | instskip(NEXT) | instid1(VALU_DEP_1)
	v_and_or_b32 v2, 0x7f800000, v3, v2
	v_dual_cndmask_b32 v1, 0, v2 :: v_dual_mov_b32 v2, 0
	v_mov_b32_e32 v3, 0
	s_delay_alu instid0(VALU_DEP_2) | instskip(NEXT) | instid1(VALU_DEP_1)
	v_and_or_b32 v0, 0x80000000, v0, v1
	v_cvt_f64_f32_e32 v[0:1], v0
.LBB168_228:
	s_mov_b32 s0, 0
.LBB168_229:
	s_delay_alu instid0(SALU_CYCLE_1)
	s_and_not1_b32 vcc_lo, exec_lo, s0
	s_cbranch_vccnz .LBB168_231
; %bb.230:
	global_load_u8 v0, v[4:5], off
	s_waitcnt vmcnt(0)
	v_lshlrev_b32_e32 v1, 25, v0
	v_lshlrev_b16 v0, 8, v0
	s_delay_alu instid0(VALU_DEP_2) | instskip(NEXT) | instid1(VALU_DEP_2)
	v_lshrrev_b32_e32 v2, 4, v1
	v_and_or_b32 v3, 0x7f00, v0, 0.5
	v_bfe_i32 v0, v0, 0, 16
	s_delay_alu instid0(VALU_DEP_3) | instskip(NEXT) | instid1(VALU_DEP_1)
	v_or_b32_e32 v2, 0x70000000, v2
	v_dual_add_f32 v3, -0.5, v3 :: v_dual_mul_f32 v2, 0x7800000, v2
	v_cmp_gt_u32_e32 vcc_lo, 0x8000000, v1
	s_delay_alu instid0(VALU_DEP_2) | instskip(SKIP_1) | instid1(VALU_DEP_2)
	v_dual_cndmask_b32 v1, v2, v3 :: v_dual_mov_b32 v2, 0
	v_mov_b32_e32 v3, 0
	v_and_or_b32 v0, 0x80000000, v0, v1
	s_delay_alu instid0(VALU_DEP_1)
	v_cvt_f64_f32_e32 v[0:1], v0
.LBB168_231:
	s_mov_b32 s0, 0
	s_mov_b32 s8, -1
.LBB168_232:
	s_and_not1_b32 vcc_lo, exec_lo, s0
	s_cbranch_vccnz .LBB168_244
; %bb.233:
	v_cmp_lt_i16_e32 vcc_lo, 14, v20
	s_cbranch_vccz .LBB168_236
; %bb.234:
	v_cmp_eq_u16_e32 vcc_lo, 15, v20
	s_cbranch_vccz .LBB168_237
; %bb.235:
	global_load_u16 v0, v[4:5], off
	s_mov_b32 s8, -1
	s_mov_b32 s14, 0
	s_mov_b64 s[0:1], 0
	s_waitcnt vmcnt(0)
	v_lshlrev_b32_e32 v0, 16, v0
	s_delay_alu instid0(VALU_DEP_1)
	v_cvt_f64_f32_e32 v[0:1], v0
	s_branch .LBB168_238
.LBB168_236:
	s_mov_b32 s9, -1
                                        ; implicit-def: $sgpr0_sgpr1
                                        ; implicit-def: $vgpr0_vgpr1
	s_branch .LBB168_239
.LBB168_237:
	s_mov_b32 s14, -1
                                        ; implicit-def: $sgpr0_sgpr1
                                        ; implicit-def: $vgpr0_vgpr1
.LBB168_238:
	s_mov_b32 s9, 0
.LBB168_239:
	s_delay_alu instid0(SALU_CYCLE_1)
	s_and_b32 vcc_lo, exec_lo, s9
	s_cbranch_vccz .LBB168_243
; %bb.240:
	v_cmp_eq_u16_e32 vcc_lo, 11, v20
	s_cbranch_vccz .LBB168_242
; %bb.241:
	global_load_u8 v0, v[4:5], off
	s_mov_b32 s14, 0
	s_mov_b32 s8, -1
	s_mov_b64 s[0:1], 0
	s_waitcnt vmcnt(0)
	v_cmp_ne_u16_e32 vcc_lo, 0, v0
	v_mov_b32_e32 v0, 0
	v_cndmask_b32_e64 v1, 0, 0x3ff00000, vcc_lo
	s_branch .LBB168_243
.LBB168_242:
	s_mov_b32 s14, -1
                                        ; implicit-def: $sgpr0_sgpr1
                                        ; implicit-def: $vgpr0_vgpr1
.LBB168_243:
	v_dual_mov_b32 v3, s1 :: v_dual_mov_b32 v2, s0
.LBB168_244:
	s_branch .LBB168_10
.LBB168_245:
	v_cmp_gt_i16_e32 vcc_lo, 5, v20
	s_cbranch_vccnz .LBB168_250
; %bb.246:
	v_cmp_gt_i16_e32 vcc_lo, 8, v20
	s_cbranch_vccnz .LBB168_251
; %bb.247:
	;; [unrolled: 3-line block ×3, first 2 shown]
	v_cmp_lt_i16_e32 vcc_lo, 9, v20
	s_cbranch_vccz .LBB168_253
; %bb.249:
	global_load_b128 v[0:3], v[4:5], off
	s_mov_b32 s0, 0
	s_branch .LBB168_254
.LBB168_250:
                                        ; implicit-def: $vgpr2_vgpr3
	s_branch .LBB168_273
.LBB168_251:
	s_mov_b32 s0, -1
                                        ; implicit-def: $vgpr2_vgpr3
	s_branch .LBB168_260
.LBB168_252:
	s_mov_b32 s0, -1
                                        ; implicit-def: $vgpr2_vgpr3
	s_branch .LBB168_257
.LBB168_253:
	s_mov_b32 s0, -1
                                        ; implicit-def: $vgpr2_vgpr3
.LBB168_254:
	s_delay_alu instid0(SALU_CYCLE_1)
	s_and_not1_b32 vcc_lo, exec_lo, s0
	s_cbranch_vccnz .LBB168_256
; %bb.255:
	global_load_b64 v[1:2], v[4:5], off
	s_waitcnt vmcnt(0)
	v_cvt_f64_f32_e32 v[0:1], v1
	v_cvt_f64_f32_e32 v[2:3], v2
.LBB168_256:
	s_mov_b32 s0, 0
.LBB168_257:
	s_delay_alu instid0(SALU_CYCLE_1)
	s_and_not1_b32 vcc_lo, exec_lo, s0
	s_cbranch_vccnz .LBB168_259
; %bb.258:
	global_load_b32 v0, v[4:5], off
	s_waitcnt vmcnt(0)
	v_lshrrev_b32_e32 v1, 16, v0
	v_cvt_f32_f16_e32 v0, v0
	s_delay_alu instid0(VALU_DEP_2) | instskip(NEXT) | instid1(VALU_DEP_2)
	v_cvt_f32_f16_e32 v2, v1
	v_cvt_f64_f32_e32 v[0:1], v0
	s_delay_alu instid0(VALU_DEP_2)
	v_cvt_f64_f32_e32 v[2:3], v2
.LBB168_259:
	s_mov_b32 s0, 0
.LBB168_260:
	s_delay_alu instid0(SALU_CYCLE_1)
	s_and_not1_b32 vcc_lo, exec_lo, s0
	s_cbranch_vccnz .LBB168_272
; %bb.261:
	v_cmp_gt_i16_e32 vcc_lo, 6, v20
	s_cbranch_vccnz .LBB168_264
; %bb.262:
	v_cmp_lt_i16_e32 vcc_lo, 6, v20
	s_cbranch_vccz .LBB168_265
; %bb.263:
	global_load_b64 v[0:1], v[4:5], off
	s_mov_b32 s8, 0
	s_mov_b64 s[0:1], 0
	s_branch .LBB168_266
.LBB168_264:
	s_mov_b32 s8, -1
                                        ; implicit-def: $sgpr0_sgpr1
                                        ; implicit-def: $vgpr0_vgpr1
	s_branch .LBB168_269
.LBB168_265:
	s_mov_b32 s8, -1
                                        ; implicit-def: $sgpr0_sgpr1
                                        ; implicit-def: $vgpr0_vgpr1
.LBB168_266:
	s_delay_alu instid0(SALU_CYCLE_1)
	s_and_not1_b32 vcc_lo, exec_lo, s8
	s_cbranch_vccnz .LBB168_268
; %bb.267:
	global_load_b32 v0, v[4:5], off
	s_mov_b64 s[0:1], 0
	s_waitcnt vmcnt(0)
	v_cvt_f64_f32_e32 v[0:1], v0
.LBB168_268:
	s_mov_b32 s8, 0
.LBB168_269:
	s_delay_alu instid0(SALU_CYCLE_1)
	s_and_not1_b32 vcc_lo, exec_lo, s8
	s_cbranch_vccnz .LBB168_271
; %bb.270:
	global_load_u16 v0, v[4:5], off
	s_mov_b64 s[0:1], 0
	s_waitcnt vmcnt(0)
	v_cvt_f32_f16_e32 v0, v0
	s_delay_alu instid0(VALU_DEP_1)
	v_cvt_f64_f32_e32 v[0:1], v0
.LBB168_271:
	s_waitcnt vmcnt(0)
	v_dual_mov_b32 v3, s1 :: v_dual_mov_b32 v2, s0
.LBB168_272:
	s_cbranch_execnz .LBB168_293
.LBB168_273:
	v_cmp_gt_i16_e32 vcc_lo, 2, v20
	s_cbranch_vccnz .LBB168_277
; %bb.274:
	v_cmp_gt_i16_e32 vcc_lo, 3, v20
	s_cbranch_vccnz .LBB168_278
; %bb.275:
	v_cmp_lt_i16_e32 vcc_lo, 3, v20
	s_cbranch_vccz .LBB168_279
; %bb.276:
	global_load_b64 v[0:1], v[4:5], off
	s_mov_b32 s8, 0
	s_mov_b64 s[0:1], 0
	s_waitcnt vmcnt(0)
	v_cvt_f64_i32_e32 v[1:2], v1
	v_cvt_f64_u32_e32 v[6:7], v0
	s_delay_alu instid0(VALU_DEP_2) | instskip(NEXT) | instid1(VALU_DEP_1)
	v_ldexp_f64 v[1:2], v[1:2], 32
	v_add_f64 v[0:1], v[1:2], v[6:7]
	s_branch .LBB168_280
.LBB168_277:
	s_mov_b32 s8, -1
                                        ; implicit-def: $sgpr0_sgpr1
                                        ; implicit-def: $vgpr0_vgpr1
	s_branch .LBB168_286
.LBB168_278:
	s_mov_b32 s8, -1
                                        ; implicit-def: $sgpr0_sgpr1
                                        ; implicit-def: $vgpr0_vgpr1
	s_branch .LBB168_283
.LBB168_279:
	s_mov_b32 s8, -1
                                        ; implicit-def: $sgpr0_sgpr1
                                        ; implicit-def: $vgpr0_vgpr1
.LBB168_280:
	s_delay_alu instid0(SALU_CYCLE_1)
	s_and_not1_b32 vcc_lo, exec_lo, s8
	s_cbranch_vccnz .LBB168_282
; %bb.281:
	global_load_b32 v0, v[4:5], off
	s_mov_b64 s[0:1], 0
	s_waitcnt vmcnt(0)
	v_cvt_f64_i32_e32 v[0:1], v0
.LBB168_282:
	s_mov_b32 s8, 0
.LBB168_283:
	s_delay_alu instid0(SALU_CYCLE_1)
	s_and_not1_b32 vcc_lo, exec_lo, s8
	s_cbranch_vccnz .LBB168_285
; %bb.284:
	global_load_i16 v0, v[4:5], off
	s_mov_b64 s[0:1], 0
	s_waitcnt vmcnt(0)
	v_cvt_f64_i32_e32 v[0:1], v0
.LBB168_285:
	s_mov_b32 s8, 0
.LBB168_286:
	s_delay_alu instid0(SALU_CYCLE_1)
	s_and_not1_b32 vcc_lo, exec_lo, s8
	s_cbranch_vccnz .LBB168_292
; %bb.287:
	v_cmp_lt_i16_e32 vcc_lo, 0, v20
	s_mov_b32 s8, 0
	s_cbranch_vccz .LBB168_289
; %bb.288:
	global_load_i8 v0, v[4:5], off
	s_mov_b64 s[0:1], 0
	s_waitcnt vmcnt(0)
	v_cvt_f64_i32_e32 v[0:1], v0
	s_branch .LBB168_290
.LBB168_289:
	s_mov_b32 s8, -1
                                        ; implicit-def: $sgpr0_sgpr1
                                        ; implicit-def: $vgpr0_vgpr1
.LBB168_290:
	s_delay_alu instid0(SALU_CYCLE_1)
	s_and_not1_b32 vcc_lo, exec_lo, s8
	s_cbranch_vccnz .LBB168_292
; %bb.291:
	global_load_u8 v0, v[4:5], off
	s_mov_b64 s[0:1], 0
	s_waitcnt vmcnt(0)
	v_cvt_f64_u32_e32 v[0:1], v0
.LBB168_292:
	s_waitcnt vmcnt(0)
	v_dual_mov_b32 v3, s1 :: v_dual_mov_b32 v2, s0
.LBB168_293:
	s_branch .LBB168_11
.LBB168_294:
	s_mov_b32 s0, 0
.LBB168_295:
	s_mov_b32 s1, 0
                                        ; implicit-def: $vgpr25
.LBB168_296:
	s_and_b32 s12, s0, exec_lo
	s_and_b32 s14, s14, exec_lo
	s_or_not1_b32 s1, s1, exec_lo
.LBB168_297:
	s_or_b32 exec_lo, exec_lo, s15
	s_mov_b32 s0, 0
	s_mov_b32 s17, 0
                                        ; implicit-def: $vgpr4_vgpr5
                                        ; implicit-def: $vgpr2_vgpr3
	s_and_saveexec_b32 s15, s1
	s_cbranch_execz .LBB168_998
; %bb.298:
	s_mov_b32 s9, -1
	s_mov_b32 s16, s14
	s_mov_b32 s17, s12
	s_mov_b32 s18, exec_lo
	v_cmpx_gt_i32_e64 s13, v25
	s_cbranch_execz .LBB168_602
; %bb.299:
	s_waitcnt vmcnt(0)
	v_mul_lo_u32 v0, v25, s3
	v_cmp_gt_i16_e32 vcc_lo, 11, v20
	s_delay_alu instid0(VALU_DEP_2) | instskip(SKIP_1) | instid1(VALU_DEP_1)
	v_ashrrev_i32_e32 v1, 31, v0
	v_add_co_u32 v4, s0, s6, v0
	v_add_co_ci_u32_e64 v5, s0, s7, v1, s0
	s_cbranch_vccnz .LBB168_306
; %bb.300:
	v_cmp_lt_i16_e32 vcc_lo, 25, v20
	s_cbranch_vccz .LBB168_324
; %bb.301:
	v_cmp_lt_i16_e32 vcc_lo, 28, v20
	s_cbranch_vccz .LBB168_325
	;; [unrolled: 3-line block ×4, first 2 shown]
; %bb.304:
	v_cmp_eq_u16_e32 vcc_lo, 46, v20
	s_mov_b32 s0, 0
	s_cbranch_vccz .LBB168_367
; %bb.305:
	global_load_b32 v0, v[4:5], off
	s_mov_b32 s8, -1
	s_mov_b32 s16, 0
	s_waitcnt vmcnt(0)
	v_lshlrev_b32_e32 v1, 16, v0
	v_and_b32_e32 v2, 0xffff0000, v0
	s_delay_alu instid0(VALU_DEP_2) | instskip(NEXT) | instid1(VALU_DEP_2)
	v_cvt_f64_f32_e32 v[0:1], v1
	v_cvt_f64_f32_e32 v[2:3], v2
	s_branch .LBB168_369
.LBB168_306:
	s_mov_b32 s8, 0
	s_mov_b32 s16, s14
                                        ; implicit-def: $vgpr2_vgpr3
	s_cbranch_execnz .LBB168_549
.LBB168_307:
	s_and_not1_b32 vcc_lo, exec_lo, s8
	s_cbranch_vccnz .LBB168_599
.LBB168_308:
	s_waitcnt vmcnt(0)
	s_delay_alu instid0(VALU_DEP_1) | instskip(NEXT) | instid1(VALU_DEP_2)
	v_cmp_neq_f64_e32 vcc_lo, 0, v[0:1]
	v_cmp_neq_f64_e64 s0, 0, v[2:3]
	v_mov_b32_e32 v8, 0
	v_mov_b32_e32 v9, 0
	s_delay_alu instid0(VALU_DEP_3) | instskip(NEXT) | instid1(SALU_CYCLE_1)
	s_or_b32 s0, vcc_lo, s0
	s_and_saveexec_b32 s8, s0
	s_cbranch_execz .LBB168_346
; %bb.309:
	s_mov_b32 s0, 0
	s_mov_b32 s1, 0x7ff00000
	v_mov_b32_e32 v8, s0
	v_mov_b32_e32 v9, s1
	s_mov_b32 s9, exec_lo
	v_cmpx_neq_f64_e64 0x7ff00000, |v[2:3]|
	s_cbranch_execz .LBB168_345
; %bb.310:
	s_mov_b32 s0, exec_lo
	v_cmpx_o_f64_e32 v[0:1], v[0:1]
	s_xor_b32 s17, exec_lo, s0
	s_cbranch_execz .LBB168_342
; %bb.311:
	s_mov_b32 s1, exec_lo
	v_cmpx_neq_f64_e64 0x7ff00000, |v[0:1]|
	s_xor_b32 s19, exec_lo, s1
	s_cbranch_execz .LBB168_335
; %bb.312:
	v_max_f64 v[4:5], |v[2:3]|, |v[2:3]|
	v_max_f64 v[6:7], |v[0:1]|, |v[0:1]|
	s_mov_b32 s0, 0x99fcef32
	s_mov_b32 s1, 0x7fda8279
                                        ; implicit-def: $sgpr20
	s_delay_alu instid0(VALU_DEP_1) | instskip(NEXT) | instid1(VALU_DEP_1)
	v_max_f64 v[4:5], v[6:7], v[4:5]
	v_cmp_nle_f64_e64 s0, s[0:1], v[4:5]
	s_delay_alu instid0(VALU_DEP_1) | instskip(NEXT) | instid1(SALU_CYCLE_1)
	s_and_saveexec_b32 s1, s0
	s_xor_b32 s1, exec_lo, s1
	s_cbranch_execz .LBB168_316
; %bb.313:
	v_cmp_ge_f64_e64 s20, 0x200000, |v[0:1]|
	v_cmp_ge_f64_e64 s21, 0x200000, |v[2:3]|
	s_delay_alu instid0(VALU_DEP_1)
	s_and_b32 s22, s20, s21
	s_mov_b32 s20, 0
	s_and_saveexec_b32 s21, s22
; %bb.314:
	v_mul_f64 v[0:1], v[0:1], 4.0
	v_mul_f64 v[2:3], v[2:3], 4.0
	s_mov_b32 s20, exec_lo
; %bb.315:
	s_or_b32 exec_lo, exec_lo, s21
	s_delay_alu instid0(SALU_CYCLE_1)
	s_and_b32 s20, s20, exec_lo
.LBB168_316:
	s_and_not1_saveexec_b32 s1, s1
; %bb.317:
	s_delay_alu instid0(VALU_DEP_2) | instskip(NEXT) | instid1(VALU_DEP_2)
	v_ldexp_f64 v[0:1], v[0:1], -2
	v_ldexp_f64 v[2:3], v[2:3], -2
	s_and_not1_b32 s20, s20, exec_lo
; %bb.318:
	s_or_b32 exec_lo, exec_lo, s1
	s_delay_alu instid0(VALU_DEP_1) | instskip(NEXT) | instid1(VALU_DEP_3)
	v_max_f64 v[4:5], |v[2:3]|, |v[2:3]|
	v_max_f64 v[6:7], |v[0:1]|, |v[0:1]|
	v_cmp_class_f64_e64 s21, v[0:1], 0x204
	v_cmp_class_f64_e64 s22, v[2:3], 0x204
	v_cmp_le_f64_e64 s1, 0, v[0:1]
	s_delay_alu instid0(VALU_DEP_4) | instskip(NEXT) | instid1(VALU_DEP_3)
	v_max_f64 v[4:5], v[6:7], v[4:5]
	s_or_b32 s21, s22, s21
	s_delay_alu instid0(VALU_DEP_1) | instskip(NEXT) | instid1(VALU_DEP_1)
	v_frexp_exp_i32_f64_e32 v12, v[4:5]
	v_sub_nc_u32_e32 v6, 0, v12
	s_delay_alu instid0(VALU_DEP_1) | instskip(SKIP_1) | instid1(VALU_DEP_2)
	v_ldexp_f64 v[4:5], |v[2:3]|, v6
	v_ldexp_f64 v[6:7], |v[0:1]|, v6
	v_mul_f64 v[4:5], v[4:5], v[4:5]
	s_delay_alu instid0(VALU_DEP_1) | instskip(NEXT) | instid1(VALU_DEP_1)
	v_fma_f64 v[4:5], v[6:7], v[6:7], v[4:5]
	v_rsq_f64_e32 v[6:7], v[4:5]
	v_cmp_eq_f64_e32 vcc_lo, 0, v[4:5]
	s_waitcnt_depctr 0xfff
	v_mul_f64 v[8:9], v[4:5], v[6:7]
	v_mul_f64 v[6:7], v[6:7], 0.5
	s_delay_alu instid0(VALU_DEP_1) | instskip(NEXT) | instid1(VALU_DEP_1)
	v_fma_f64 v[10:11], -v[6:7], v[8:9], 0.5
	v_fma_f64 v[8:9], v[8:9], v[10:11], v[8:9]
	v_fma_f64 v[6:7], v[6:7], v[10:11], v[6:7]
	s_delay_alu instid0(VALU_DEP_2) | instskip(NEXT) | instid1(VALU_DEP_1)
	v_fma_f64 v[10:11], -v[8:9], v[8:9], v[4:5]
	v_fma_f64 v[6:7], v[10:11], v[6:7], v[8:9]
	s_delay_alu instid0(VALU_DEP_1) | instskip(SKIP_1) | instid1(VALU_DEP_2)
	v_dual_cndmask_b32 v5, v7, v5 :: v_dual_cndmask_b32 v4, v6, v4
	v_cmp_o_f64_e32 vcc_lo, v[2:3], v[2:3]
	v_ldexp_f64 v[4:5], v[4:5], v12
	s_delay_alu instid0(VALU_DEP_1) | instskip(NEXT) | instid1(VALU_DEP_2)
	v_cndmask_b32_e32 v4, 0, v4, vcc_lo
	v_cndmask_b32_e32 v5, 0x7ff80000, v5, vcc_lo
	s_delay_alu instid0(VALU_DEP_2) | instskip(NEXT) | instid1(VALU_DEP_2)
	v_cndmask_b32_e64 v4, v4, 0, s21
	v_cndmask_b32_e64 v5, v5, 0x7ff00000, s21
	s_and_saveexec_b32 s21, s1
	s_delay_alu instid0(SALU_CYCLE_1)
	s_xor_b32 s1, exec_lo, s21
	s_cbranch_execz .LBB168_330
; %bb.319:
	s_delay_alu instid0(VALU_DEP_1) | instskip(NEXT) | instid1(VALU_DEP_1)
	v_add_f64 v[0:1], v[0:1], v[4:5]
	v_mul_f64 v[0:1], v[0:1], 0.5
	s_delay_alu instid0(VALU_DEP_1) | instskip(SKIP_1) | instid1(VALU_DEP_1)
	v_cmp_gt_f64_e32 vcc_lo, 0x10000000, v[0:1]
	v_cndmask_b32_e64 v4, 0, 1, vcc_lo
	v_lshlrev_b32_e32 v4, 8, v4
	s_delay_alu instid0(VALU_DEP_1) | instskip(NEXT) | instid1(VALU_DEP_1)
	v_ldexp_f64 v[0:1], v[0:1], v4
	v_rsq_f64_e32 v[4:5], v[0:1]
	s_waitcnt_depctr 0xfff
	v_mul_f64 v[6:7], v[0:1], v[4:5]
	v_mul_f64 v[4:5], v[4:5], 0.5
	s_delay_alu instid0(VALU_DEP_1) | instskip(NEXT) | instid1(VALU_DEP_1)
	v_fma_f64 v[8:9], -v[4:5], v[6:7], 0.5
	v_fma_f64 v[6:7], v[6:7], v[8:9], v[6:7]
	v_fma_f64 v[4:5], v[4:5], v[8:9], v[4:5]
	s_delay_alu instid0(VALU_DEP_2) | instskip(NEXT) | instid1(VALU_DEP_1)
	v_fma_f64 v[8:9], -v[6:7], v[6:7], v[0:1]
	v_fma_f64 v[6:7], v[8:9], v[4:5], v[6:7]
	s_delay_alu instid0(VALU_DEP_1) | instskip(NEXT) | instid1(VALU_DEP_1)
	v_fma_f64 v[8:9], -v[6:7], v[6:7], v[0:1]
	v_fma_f64 v[4:5], v[8:9], v[4:5], v[6:7]
	v_cndmask_b32_e64 v6, 0, 0xffffff80, vcc_lo
	v_cmp_class_f64_e64 vcc_lo, v[0:1], 0x260
	s_delay_alu instid0(VALU_DEP_2) | instskip(NEXT) | instid1(VALU_DEP_1)
	v_ldexp_f64 v[4:5], v[4:5], v6
	v_dual_cndmask_b32 v1, v5, v1 :: v_dual_cndmask_b32 v0, v4, v0
	s_delay_alu instid0(VALU_DEP_1) | instskip(NEXT) | instid1(VALU_DEP_1)
	v_add_f64 v[4:5], v[0:1], v[0:1]
	v_div_scale_f64 v[6:7], null, v[4:5], v[4:5], v[2:3]
	s_delay_alu instid0(VALU_DEP_1) | instskip(SKIP_2) | instid1(VALU_DEP_1)
	v_rcp_f64_e32 v[8:9], v[6:7]
	s_waitcnt_depctr 0xfff
	v_fma_f64 v[10:11], -v[6:7], v[8:9], 1.0
	v_fma_f64 v[8:9], v[8:9], v[10:11], v[8:9]
	s_delay_alu instid0(VALU_DEP_1) | instskip(NEXT) | instid1(VALU_DEP_1)
	v_fma_f64 v[10:11], -v[6:7], v[8:9], 1.0
	v_fma_f64 v[8:9], v[8:9], v[10:11], v[8:9]
	v_div_scale_f64 v[10:11], vcc_lo, v[2:3], v[4:5], v[2:3]
	s_delay_alu instid0(VALU_DEP_1) | instskip(NEXT) | instid1(VALU_DEP_1)
	v_mul_f64 v[12:13], v[10:11], v[8:9]
	v_fma_f64 v[6:7], -v[6:7], v[12:13], v[10:11]
	s_delay_alu instid0(VALU_DEP_1) | instskip(NEXT) | instid1(VALU_DEP_1)
	v_div_fmas_f64 v[6:7], v[6:7], v[8:9], v[12:13]
	v_div_fixup_f64 v[2:3], v[6:7], v[4:5], v[2:3]
                                        ; implicit-def: $vgpr4_vgpr5
	s_and_not1_saveexec_b32 s1, s1
	s_cbranch_execnz .LBB168_331
.LBB168_320:
	s_or_b32 exec_lo, exec_lo, s1
	s_and_saveexec_b32 s1, s0
	s_delay_alu instid0(SALU_CYCLE_1)
	s_xor_b32 s0, exec_lo, s1
	s_cbranch_execz .LBB168_332
.LBB168_321:
	s_and_saveexec_b32 s1, s20
; %bb.322:
	s_delay_alu instid0(VALU_DEP_2) | instskip(NEXT) | instid1(VALU_DEP_2)
	v_mul_f64 v[0:1], v[0:1], 0.5
	v_mul_f64 v[2:3], v[2:3], 0.5
; %bb.323:
	s_or_b32 exec_lo, exec_lo, s1
	s_and_not1_saveexec_b32 s0, s0
	s_cbranch_execnz .LBB168_333
	s_branch .LBB168_334
.LBB168_324:
	s_mov_b32 s0, -1
	s_mov_b32 s8, 0
	s_mov_b32 s16, s14
                                        ; implicit-def: $vgpr2_vgpr3
	s_branch .LBB168_514
.LBB168_325:
	s_mov_b32 s0, -1
	s_mov_b32 s8, 0
	s_mov_b32 s16, s14
                                        ; implicit-def: $vgpr2_vgpr3
	s_branch .LBB168_493
.LBB168_326:
	s_mov_b32 s0, -1
	s_mov_b32 s8, 0
	s_mov_b32 s16, s14
                                        ; implicit-def: $vgpr2_vgpr3
	s_branch .LBB168_487
.LBB168_327:
	s_or_saveexec_b32 s9, s9
                                        ; implicit-def: $sgpr12
	s_delay_alu instid0(SALU_CYCLE_1)
	s_xor_b32 exec_lo, exec_lo, s9
	s_cbranch_execz .LBB168_94
.LBB168_328:
	v_add_f32_e64 v8, 0x46000000, |v3|
	s_and_not1_b32 s8, s8, exec_lo
	s_mov_b32 s12, 0
	s_delay_alu instid0(VALU_DEP_1) | instskip(NEXT) | instid1(VALU_DEP_1)
	v_and_b32_e32 v8, 0xff, v8
	v_cmp_ne_u32_e32 vcc_lo, 0, v8
	s_and_b32 s17, vcc_lo, exec_lo
	s_delay_alu instid0(SALU_CYCLE_1)
	s_or_b32 s8, s8, s17
	s_or_b32 exec_lo, exec_lo, s9
	v_mov_b32_e32 v9, s12
	s_and_saveexec_b32 s9, s8
	s_cbranch_execnz .LBB168_95
	s_branch .LBB168_96
.LBB168_329:
	s_mov_b32 s0, -1
	s_mov_b32 s8, 0
	s_mov_b32 s16, s14
	s_branch .LBB168_368
.LBB168_330:
	s_and_not1_saveexec_b32 s1, s1
	s_cbranch_execz .LBB168_320
.LBB168_331:
	v_add_f64 v[0:1], v[4:5], -v[0:1]
	s_delay_alu instid0(VALU_DEP_1) | instskip(NEXT) | instid1(VALU_DEP_1)
	v_mul_f64 v[0:1], v[0:1], 0.5
	v_cmp_gt_f64_e32 vcc_lo, 0x10000000, v[0:1]
	v_cndmask_b32_e64 v4, 0, 1, vcc_lo
	s_delay_alu instid0(VALU_DEP_1) | instskip(NEXT) | instid1(VALU_DEP_1)
	v_lshlrev_b32_e32 v4, 8, v4
	v_ldexp_f64 v[0:1], v[0:1], v4
	s_delay_alu instid0(VALU_DEP_1) | instskip(SKIP_3) | instid1(VALU_DEP_1)
	v_rsq_f64_e32 v[4:5], v[0:1]
	s_waitcnt_depctr 0xfff
	v_mul_f64 v[6:7], v[0:1], v[4:5]
	v_mul_f64 v[4:5], v[4:5], 0.5
	v_fma_f64 v[8:9], -v[4:5], v[6:7], 0.5
	s_delay_alu instid0(VALU_DEP_1) | instskip(SKIP_1) | instid1(VALU_DEP_2)
	v_fma_f64 v[6:7], v[6:7], v[8:9], v[6:7]
	v_fma_f64 v[4:5], v[4:5], v[8:9], v[4:5]
	v_fma_f64 v[8:9], -v[6:7], v[6:7], v[0:1]
	s_delay_alu instid0(VALU_DEP_1) | instskip(NEXT) | instid1(VALU_DEP_1)
	v_fma_f64 v[6:7], v[8:9], v[4:5], v[6:7]
	v_fma_f64 v[8:9], -v[6:7], v[6:7], v[0:1]
	s_delay_alu instid0(VALU_DEP_1) | instskip(SKIP_3) | instid1(VALU_DEP_3)
	v_fma_f64 v[4:5], v[8:9], v[4:5], v[6:7]
	v_cndmask_b32_e64 v6, 0, 0xffffff80, vcc_lo
	v_cmp_class_f64_e64 vcc_lo, v[0:1], 0x260
	v_and_b32_e32 v7, 0x7fffffff, v3
	v_ldexp_f64 v[4:5], v[4:5], v6
	s_delay_alu instid0(VALU_DEP_1) | instskip(NEXT) | instid1(VALU_DEP_1)
	v_dual_cndmask_b32 v5, v5, v1 :: v_dual_cndmask_b32 v4, v4, v0
	v_add_f64 v[0:1], v[4:5], v[4:5]
	v_bfi_b32 v5, 0x7fffffff, v5, v3
	v_mov_b32_e32 v6, v2
	s_delay_alu instid0(VALU_DEP_1) | instskip(SKIP_1) | instid1(VALU_DEP_2)
	v_div_scale_f64 v[8:9], null, v[0:1], v[0:1], v[6:7]
	v_div_scale_f64 v[6:7], vcc_lo, v[6:7], v[0:1], v[6:7]
	v_rcp_f64_e32 v[10:11], v[8:9]
	s_waitcnt_depctr 0xfff
	v_fma_f64 v[12:13], -v[8:9], v[10:11], 1.0
	s_delay_alu instid0(VALU_DEP_1) | instskip(NEXT) | instid1(VALU_DEP_1)
	v_fma_f64 v[10:11], v[10:11], v[12:13], v[10:11]
	v_fma_f64 v[12:13], -v[8:9], v[10:11], 1.0
	s_delay_alu instid0(VALU_DEP_1) | instskip(NEXT) | instid1(VALU_DEP_1)
	v_fma_f64 v[10:11], v[10:11], v[12:13], v[10:11]
	v_mul_f64 v[12:13], v[6:7], v[10:11]
	s_delay_alu instid0(VALU_DEP_1) | instskip(NEXT) | instid1(VALU_DEP_1)
	v_fma_f64 v[6:7], -v[8:9], v[12:13], v[6:7]
	v_div_fmas_f64 v[6:7], v[6:7], v[10:11], v[12:13]
	s_delay_alu instid0(VALU_DEP_1) | instskip(SKIP_3) | instid1(SALU_CYCLE_1)
	v_div_fixup_f64 v[0:1], v[6:7], v[0:1], |v[2:3]|
	v_dual_mov_b32 v2, v4 :: v_dual_mov_b32 v3, v5
	s_or_b32 exec_lo, exec_lo, s1
	s_and_saveexec_b32 s1, s0
	s_xor_b32 s0, exec_lo, s1
	s_cbranch_execnz .LBB168_321
.LBB168_332:
	s_and_not1_saveexec_b32 s0, s0
.LBB168_333:
	s_delay_alu instid0(VALU_DEP_2) | instskip(NEXT) | instid1(VALU_DEP_2)
	v_add_f64 v[0:1], v[0:1], v[0:1]
	v_add_f64 v[2:3], v[2:3], v[2:3]
.LBB168_334:
	s_or_b32 exec_lo, exec_lo, s0
.LBB168_335:
	s_and_not1_saveexec_b32 s0, s19
	s_cbranch_execz .LBB168_341
; %bb.336:
	s_delay_alu instid0(VALU_DEP_1) | instskip(SKIP_1) | instid1(VALU_DEP_3)
	v_add_f64 v[4:5], v[2:3], -v[2:3]
	s_mov_b32 s1, exec_lo
	v_cmpx_lt_i64_e32 -1, v[0:1]
	s_xor_b32 s1, exec_lo, s1
; %bb.337:
	s_delay_alu instid0(VALU_DEP_2) | instskip(NEXT) | instid1(VALU_DEP_1)
	v_bfi_b32 v5, 0x7fffffff, v5, v3
	v_dual_mov_b32 v2, v4 :: v_dual_mov_b32 v3, v5
                                        ; implicit-def: $vgpr4_vgpr5
; %bb.338:
	s_and_not1_saveexec_b32 s1, s1
; %bb.339:
	s_delay_alu instid0(VALU_DEP_1) | instskip(SKIP_1) | instid1(VALU_DEP_2)
	v_bfi_b32 v1, 0x7fffffff, v1, v3
	v_and_b32_e32 v5, 0x7fffffff, v5
	v_dual_mov_b32 v3, v1 :: v_dual_mov_b32 v2, v0
	s_delay_alu instid0(VALU_DEP_2)
	v_dual_mov_b32 v0, v4 :: v_dual_mov_b32 v1, v5
; %bb.340:
	s_or_b32 exec_lo, exec_lo, s1
.LBB168_341:
	s_delay_alu instid0(SALU_CYCLE_1)
	s_or_b32 exec_lo, exec_lo, s0
.LBB168_342:
	s_and_not1_saveexec_b32 s0, s17
; %bb.343:
	s_delay_alu instid0(VALU_DEP_1) | instskip(NEXT) | instid1(VALU_DEP_1)
	v_add_f64 v[2:3], v[2:3], -v[2:3]
	v_div_scale_f64 v[4:5], vcc_lo, v[2:3], v[2:3], v[2:3]
	s_delay_alu instid0(VALU_DEP_1) | instskip(SKIP_2) | instid1(VALU_DEP_1)
	v_rcp_f64_e32 v[6:7], v[4:5]
	s_waitcnt_depctr 0xfff
	v_fma_f64 v[8:9], -v[4:5], v[6:7], 1.0
	v_fma_f64 v[6:7], v[6:7], v[8:9], v[6:7]
	s_delay_alu instid0(VALU_DEP_1) | instskip(NEXT) | instid1(VALU_DEP_1)
	v_fma_f64 v[8:9], -v[4:5], v[6:7], 1.0
	v_fma_f64 v[6:7], v[6:7], v[8:9], v[6:7]
	s_delay_alu instid0(VALU_DEP_1) | instskip(NEXT) | instid1(VALU_DEP_1)
	v_mul_f64 v[8:9], v[4:5], v[6:7]
	v_fma_f64 v[4:5], -v[4:5], v[8:9], v[4:5]
	s_delay_alu instid0(VALU_DEP_1) | instskip(NEXT) | instid1(VALU_DEP_1)
	v_div_fmas_f64 v[4:5], v[4:5], v[6:7], v[8:9]
	v_div_fixup_f64 v[2:3], v[4:5], v[2:3], v[2:3]
; %bb.344:
	s_or_b32 exec_lo, exec_lo, s0
	v_dual_mov_b32 v9, v1 :: v_dual_mov_b32 v8, v0
.LBB168_345:
	s_or_b32 exec_lo, exec_lo, s9
.LBB168_346:
	s_delay_alu instid0(SALU_CYCLE_1) | instskip(NEXT) | instid1(VALU_DEP_1)
	s_or_b32 exec_lo, exec_lo, s8
	v_cmp_gt_f64_e32 vcc_lo, 0, v[8:9]
	s_delay_alu instid0(VALU_DEP_3) | instskip(SKIP_2) | instid1(VALU_DEP_2)
	v_cmp_gt_f64_e64 s0, 0, v[2:3]
	v_xor_b32_e32 v0, 0x80000000, v9
	v_xor_b32_e32 v4, 0x80000000, v3
                                        ; implicit-def: $vgpr6_vgpr7
	v_cndmask_b32_e32 v1, v9, v0, vcc_lo
	s_delay_alu instid0(VALU_DEP_2) | instskip(SKIP_3) | instid1(VALU_DEP_1)
	v_cndmask_b32_e64 v11, v3, v4, s0
	v_cndmask_b32_e32 v0, v8, v8, vcc_lo
	v_cndmask_b32_e64 v10, v2, v2, s0
	s_mov_b32 s0, exec_lo
	v_cmpx_ge_f64_e32 v[0:1], v[10:11]
	s_xor_b32 s1, exec_lo, s0
	s_cbranch_execz .LBB168_352
; %bb.347:
	v_cmp_neq_f64_e32 vcc_lo, 0, v[8:9]
	v_cmp_neq_f64_e64 s0, 0, v[2:3]
                                        ; implicit-def: $vgpr6_vgpr7
	s_delay_alu instid0(VALU_DEP_1) | instskip(NEXT) | instid1(SALU_CYCLE_1)
	s_or_b32 s0, vcc_lo, s0
	s_and_saveexec_b32 s8, s0
	s_delay_alu instid0(SALU_CYCLE_1)
	s_xor_b32 s0, exec_lo, s8
	s_cbranch_execz .LBB168_349
; %bb.348:
	v_div_scale_f64 v[0:1], null, v[8:9], v[8:9], v[2:3]
	v_div_scale_f64 v[10:11], vcc_lo, v[2:3], v[8:9], v[2:3]
	s_delay_alu instid0(VALU_DEP_2) | instskip(SKIP_2) | instid1(VALU_DEP_1)
	v_rcp_f64_e32 v[4:5], v[0:1]
	s_waitcnt_depctr 0xfff
	v_fma_f64 v[6:7], -v[0:1], v[4:5], 1.0
	v_fma_f64 v[4:5], v[4:5], v[6:7], v[4:5]
	s_delay_alu instid0(VALU_DEP_1) | instskip(NEXT) | instid1(VALU_DEP_1)
	v_fma_f64 v[6:7], -v[0:1], v[4:5], 1.0
	v_fma_f64 v[4:5], v[4:5], v[6:7], v[4:5]
	s_delay_alu instid0(VALU_DEP_1) | instskip(NEXT) | instid1(VALU_DEP_1)
	v_mul_f64 v[6:7], v[10:11], v[4:5]
	v_fma_f64 v[0:1], -v[0:1], v[6:7], v[10:11]
	s_delay_alu instid0(VALU_DEP_1) | instskip(NEXT) | instid1(VALU_DEP_1)
	v_div_fmas_f64 v[0:1], v[0:1], v[4:5], v[6:7]
	v_div_fixup_f64 v[0:1], v[0:1], v[8:9], v[2:3]
	s_delay_alu instid0(VALU_DEP_1) | instskip(NEXT) | instid1(VALU_DEP_1)
	v_fma_f64 v[2:3], v[2:3], v[0:1], v[8:9]
	v_div_scale_f64 v[4:5], null, v[2:3], v[2:3], 1.0
	v_div_scale_f64 v[10:11], vcc_lo, 1.0, v[2:3], 1.0
	s_delay_alu instid0(VALU_DEP_2) | instskip(SKIP_2) | instid1(VALU_DEP_1)
	v_rcp_f64_e32 v[6:7], v[4:5]
	s_waitcnt_depctr 0xfff
	v_fma_f64 v[8:9], -v[4:5], v[6:7], 1.0
	v_fma_f64 v[6:7], v[6:7], v[8:9], v[6:7]
	s_delay_alu instid0(VALU_DEP_1) | instskip(NEXT) | instid1(VALU_DEP_1)
	v_fma_f64 v[8:9], -v[4:5], v[6:7], 1.0
	v_fma_f64 v[6:7], v[6:7], v[8:9], v[6:7]
	s_delay_alu instid0(VALU_DEP_1) | instskip(NEXT) | instid1(VALU_DEP_1)
	v_mul_f64 v[8:9], v[10:11], v[6:7]
	v_fma_f64 v[4:5], -v[4:5], v[8:9], v[10:11]
                                        ; implicit-def: $vgpr10_vgpr11
	s_delay_alu instid0(VALU_DEP_1) | instskip(SKIP_2) | instid1(VALU_DEP_3)
	v_div_fmas_f64 v[4:5], v[4:5], v[6:7], v[8:9]
	v_fma_f64 v[6:7], v[0:1], 0, 1.0
	v_add_f64 v[0:1], -v[0:1], 0
	v_div_fixup_f64 v[2:3], v[4:5], v[2:3], 1.0
	s_delay_alu instid0(VALU_DEP_1) | instskip(NEXT) | instid1(VALU_DEP_3)
	v_mul_f64 v[4:5], v[6:7], v[2:3]
	v_mul_f64 v[6:7], v[0:1], v[2:3]
                                        ; implicit-def: $vgpr0_vgpr1
.LBB168_349:
	s_and_not1_saveexec_b32 s8, s0
	s_cbranch_execz .LBB168_351
; %bb.350:
	v_div_scale_f64 v[2:3], null, v[0:1], v[0:1], 1.0
	v_div_scale_f64 v[4:5], null, v[10:11], v[10:11], 0
	v_div_scale_f64 v[16:17], vcc_lo, 1.0, v[0:1], 1.0
	s_delay_alu instid0(VALU_DEP_3) | instskip(NEXT) | instid1(VALU_DEP_2)
	v_rcp_f64_e32 v[6:7], v[2:3]
	v_rcp_f64_e32 v[8:9], v[4:5]
	s_waitcnt_depctr 0xfff
	v_fma_f64 v[12:13], -v[2:3], v[6:7], 1.0
	v_fma_f64 v[14:15], -v[4:5], v[8:9], 1.0
	s_delay_alu instid0(VALU_DEP_2) | instskip(NEXT) | instid1(VALU_DEP_2)
	v_fma_f64 v[6:7], v[6:7], v[12:13], v[6:7]
	v_fma_f64 v[8:9], v[8:9], v[14:15], v[8:9]
	s_delay_alu instid0(VALU_DEP_2) | instskip(NEXT) | instid1(VALU_DEP_2)
	v_fma_f64 v[12:13], -v[2:3], v[6:7], 1.0
	v_fma_f64 v[14:15], -v[4:5], v[8:9], 1.0
	s_delay_alu instid0(VALU_DEP_2) | instskip(SKIP_1) | instid1(VALU_DEP_3)
	v_fma_f64 v[6:7], v[6:7], v[12:13], v[6:7]
	v_div_scale_f64 v[12:13], s0, 0, v[10:11], 0
	v_fma_f64 v[8:9], v[8:9], v[14:15], v[8:9]
	s_delay_alu instid0(VALU_DEP_3) | instskip(NEXT) | instid1(VALU_DEP_2)
	v_mul_f64 v[14:15], v[16:17], v[6:7]
	v_mul_f64 v[18:19], v[12:13], v[8:9]
	s_delay_alu instid0(VALU_DEP_2) | instskip(NEXT) | instid1(VALU_DEP_2)
	v_fma_f64 v[2:3], -v[2:3], v[14:15], v[16:17]
	v_fma_f64 v[4:5], -v[4:5], v[18:19], v[12:13]
	s_delay_alu instid0(VALU_DEP_2) | instskip(SKIP_1) | instid1(VALU_DEP_2)
	v_div_fmas_f64 v[2:3], v[2:3], v[6:7], v[14:15]
	s_mov_b32 vcc_lo, s0
	v_div_fmas_f64 v[6:7], v[4:5], v[8:9], v[18:19]
	s_delay_alu instid0(VALU_DEP_2) | instskip(NEXT) | instid1(VALU_DEP_2)
	v_div_fixup_f64 v[4:5], v[2:3], v[0:1], 1.0
	v_div_fixup_f64 v[6:7], v[6:7], v[10:11], 0
.LBB168_351:
	s_or_b32 exec_lo, exec_lo, s8
                                        ; implicit-def: $vgpr2_vgpr3
                                        ; implicit-def: $vgpr8_vgpr9
.LBB168_352:
	s_and_not1_saveexec_b32 s0, s1
	s_cbranch_execz .LBB168_354
; %bb.353:
	v_div_scale_f64 v[0:1], null, v[2:3], v[2:3], v[8:9]
	v_div_scale_f64 v[10:11], vcc_lo, v[8:9], v[2:3], v[8:9]
	s_delay_alu instid0(VALU_DEP_2) | instskip(SKIP_2) | instid1(VALU_DEP_1)
	v_rcp_f64_e32 v[4:5], v[0:1]
	s_waitcnt_depctr 0xfff
	v_fma_f64 v[6:7], -v[0:1], v[4:5], 1.0
	v_fma_f64 v[4:5], v[4:5], v[6:7], v[4:5]
	s_delay_alu instid0(VALU_DEP_1) | instskip(NEXT) | instid1(VALU_DEP_1)
	v_fma_f64 v[6:7], -v[0:1], v[4:5], 1.0
	v_fma_f64 v[4:5], v[4:5], v[6:7], v[4:5]
	s_delay_alu instid0(VALU_DEP_1) | instskip(NEXT) | instid1(VALU_DEP_1)
	v_mul_f64 v[6:7], v[10:11], v[4:5]
	v_fma_f64 v[0:1], -v[0:1], v[6:7], v[10:11]
	s_delay_alu instid0(VALU_DEP_1) | instskip(NEXT) | instid1(VALU_DEP_1)
	v_div_fmas_f64 v[0:1], v[0:1], v[4:5], v[6:7]
	v_div_fixup_f64 v[0:1], v[0:1], v[2:3], v[8:9]
	s_delay_alu instid0(VALU_DEP_1) | instskip(NEXT) | instid1(VALU_DEP_1)
	v_fma_f64 v[2:3], v[8:9], v[0:1], v[2:3]
	v_div_scale_f64 v[4:5], null, v[2:3], v[2:3], 1.0
	v_div_scale_f64 v[10:11], vcc_lo, 1.0, v[2:3], 1.0
	s_delay_alu instid0(VALU_DEP_2) | instskip(SKIP_2) | instid1(VALU_DEP_1)
	v_rcp_f64_e32 v[6:7], v[4:5]
	s_waitcnt_depctr 0xfff
	v_fma_f64 v[8:9], -v[4:5], v[6:7], 1.0
	v_fma_f64 v[6:7], v[6:7], v[8:9], v[6:7]
	s_delay_alu instid0(VALU_DEP_1) | instskip(NEXT) | instid1(VALU_DEP_1)
	v_fma_f64 v[8:9], -v[4:5], v[6:7], 1.0
	v_fma_f64 v[6:7], v[6:7], v[8:9], v[6:7]
	s_delay_alu instid0(VALU_DEP_1) | instskip(NEXT) | instid1(VALU_DEP_1)
	v_mul_f64 v[8:9], v[10:11], v[6:7]
	v_fma_f64 v[4:5], -v[4:5], v[8:9], v[10:11]
	s_delay_alu instid0(VALU_DEP_1) | instskip(SKIP_2) | instid1(VALU_DEP_3)
	v_div_fmas_f64 v[4:5], v[4:5], v[6:7], v[8:9]
	v_add_f64 v[6:7], v[0:1], 0
	v_fma_f64 v[0:1], v[0:1], 0, -1.0
	v_div_fixup_f64 v[2:3], v[4:5], v[2:3], 1.0
	s_delay_alu instid0(VALU_DEP_1) | instskip(NEXT) | instid1(VALU_DEP_3)
	v_mul_f64 v[4:5], v[6:7], v[2:3]
	v_mul_f64 v[6:7], v[0:1], v[2:3]
.LBB168_354:
	s_or_b32 exec_lo, exec_lo, s0
	v_mul_lo_u32 v0, v25, s2
	v_and_b32_e32 v2, 0xff, v24
	s_delay_alu instid0(VALU_DEP_1) | instskip(NEXT) | instid1(VALU_DEP_3)
	v_cmp_gt_i16_e32 vcc_lo, 11, v2
	v_ashrrev_i32_e32 v1, 31, v0
	v_add_co_u32 v0, s0, s4, v0
	s_delay_alu instid0(VALU_DEP_1)
	v_add_co_ci_u32_e64 v1, s0, s5, v1, s0
	s_cbranch_vccnz .LBB168_361
; %bb.355:
	v_cmp_lt_i16_e32 vcc_lo, 25, v2
	s_cbranch_vccz .LBB168_362
; %bb.356:
	v_cmp_lt_i16_e32 vcc_lo, 28, v2
	s_cbranch_vccz .LBB168_363
	;; [unrolled: 3-line block ×4, first 2 shown]
; %bb.359:
	v_cmp_eq_u16_e32 vcc_lo, 46, v2
	s_mov_b32 s8, 0
	s_mov_b32 s0, -1
	s_mov_b32 s1, 0
	s_cbranch_vccz .LBB168_373
; %bb.360:
	v_cvt_f32_f64_e32 v3, v[6:7]
	v_cvt_f32_f64_e32 v8, v[4:5]
	s_mov_b32 s1, -1
	s_mov_b32 s0, 0
	s_delay_alu instid0(VALU_DEP_2) | instskip(NEXT) | instid1(VALU_DEP_2)
	v_bfe_u32 v9, v3, 16, 1
	v_bfe_u32 v10, v8, 16, 1
	v_cmp_o_f32_e32 vcc_lo, v3, v3
	s_delay_alu instid0(VALU_DEP_3) | instskip(NEXT) | instid1(VALU_DEP_3)
	v_add3_u32 v9, v3, v9, 0x7fff
	v_add3_u32 v10, v8, v10, 0x7fff
	s_delay_alu instid0(VALU_DEP_2) | instskip(NEXT) | instid1(VALU_DEP_2)
	v_and_b32_e32 v9, 0xffff0000, v9
	v_lshrrev_b32_e32 v10, 16, v10
	s_delay_alu instid0(VALU_DEP_2) | instskip(SKIP_1) | instid1(VALU_DEP_3)
	v_cndmask_b32_e32 v3, 0x7fc00000, v9, vcc_lo
	v_cmp_o_f32_e32 vcc_lo, v8, v8
	v_cndmask_b32_e32 v8, 0x7fc0, v10, vcc_lo
	s_delay_alu instid0(VALU_DEP_1)
	v_or_b32_e32 v3, v3, v8
	global_store_b32 v[0:1], v3, off
	s_branch .LBB168_373
.LBB168_361:
	s_mov_b32 s8, -1
	s_mov_b32 s1, 0
	s_mov_b32 s0, s12
	s_branch .LBB168_442
.LBB168_362:
	s_mov_b32 s8, -1
	s_mov_b32 s1, 0
	s_mov_b32 s0, s12
	s_branch .LBB168_400
.LBB168_363:
	s_mov_b32 s8, -1
	s_mov_b32 s1, 0
	s_mov_b32 s0, s12
	s_branch .LBB168_383
.LBB168_364:
	s_mov_b32 s8, -1
	s_mov_b32 s1, 0
	s_mov_b32 s0, s12
	s_branch .LBB168_379
.LBB168_365:
	s_or_saveexec_b32 s9, s9
                                        ; implicit-def: $sgpr12
	s_delay_alu instid0(SALU_CYCLE_1)
	s_xor_b32 exec_lo, exec_lo, s9
	s_cbranch_execz .LBB168_107
.LBB168_366:
	v_add_f32_e64 v8, 0x42800000, |v3|
	s_and_not1_b32 s8, s8, exec_lo
	s_mov_b32 s12, 0
	s_delay_alu instid0(VALU_DEP_1) | instskip(NEXT) | instid1(VALU_DEP_1)
	v_and_b32_e32 v8, 0xff, v8
	v_cmp_ne_u32_e32 vcc_lo, 0, v8
	s_and_b32 s17, vcc_lo, exec_lo
	s_delay_alu instid0(SALU_CYCLE_1)
	s_or_b32 s8, s8, s17
	s_or_b32 exec_lo, exec_lo, s9
	v_mov_b32_e32 v9, s12
	s_and_saveexec_b32 s9, s8
	s_cbranch_execnz .LBB168_108
	s_branch .LBB168_109
.LBB168_367:
	s_mov_b32 s16, -1
	s_mov_b32 s8, 0
.LBB168_368:
                                        ; implicit-def: $vgpr2_vgpr3
.LBB168_369:
	s_and_b32 vcc_lo, exec_lo, s0
	s_cbranch_vccz .LBB168_486
; %bb.370:
	v_cmp_eq_u16_e32 vcc_lo, 44, v20
	s_cbranch_vccz .LBB168_484
; %bb.371:
	global_load_u8 v2, v[4:5], off
	s_mov_b32 s16, 0
	s_mov_b32 s8, -1
	s_mov_b64 s[0:1], 0
	s_waitcnt vmcnt(0)
	v_cmp_ne_u32_e32 vcc_lo, 0xff, v2
	v_lshlrev_b32_e32 v0, 23, v2
	s_delay_alu instid0(VALU_DEP_1) | instskip(NEXT) | instid1(VALU_DEP_1)
	v_cvt_f64_f32_e32 v[0:1], v0
	v_cndmask_b32_e32 v1, 0x7ff80000, v1, vcc_lo
	s_delay_alu instid0(VALU_DEP_2) | instskip(SKIP_1) | instid1(VALU_DEP_3)
	v_cndmask_b32_e32 v0, 0x20000000, v0, vcc_lo
	v_cmp_ne_u32_e32 vcc_lo, 0, v2
	v_cndmask_b32_e32 v1, 0x38000000, v1, vcc_lo
	s_delay_alu instid0(VALU_DEP_3)
	v_cndmask_b32_e32 v0, 0, v0, vcc_lo
	s_branch .LBB168_485
.LBB168_372:
	s_mov_b32 s8, -1
	s_mov_b32 s1, 0
	s_mov_b32 s0, s12
.LBB168_373:
	s_and_b32 vcc_lo, exec_lo, s8
	s_cbranch_vccz .LBB168_378
; %bb.374:
	v_cmp_eq_u16_e32 vcc_lo, 44, v2
	s_mov_b32 s0, -1
	s_cbranch_vccz .LBB168_378
; %bb.375:
	v_cvt_f32_f64_e32 v3, v[4:5]
	v_mov_b32_e32 v8, 0xff
	s_mov_b32 s1, exec_lo
	s_delay_alu instid0(VALU_DEP_2) | instskip(NEXT) | instid1(VALU_DEP_1)
	v_bfe_u32 v9, v3, 23, 8
	v_cmpx_ne_u32_e32 0xff, v9
; %bb.376:
	v_and_b32_e32 v8, 0x400000, v3
	v_and_or_b32 v9, 0x3fffff, v3, v9
	v_lshrrev_b32_e32 v3, 23, v3
	s_delay_alu instid0(VALU_DEP_3) | instskip(NEXT) | instid1(VALU_DEP_3)
	v_cmp_ne_u32_e32 vcc_lo, 0, v8
	v_cmp_ne_u32_e64 s0, 0, v9
	s_delay_alu instid0(VALU_DEP_1) | instskip(NEXT) | instid1(SALU_CYCLE_1)
	s_and_b32 s0, vcc_lo, s0
	v_cndmask_b32_e64 v8, 0, 1, s0
	s_delay_alu instid0(VALU_DEP_1)
	v_add_nc_u32_e32 v8, v3, v8
; %bb.377:
	s_or_b32 exec_lo, exec_lo, s1
	s_mov_b32 s1, -1
	s_mov_b32 s0, 0
	global_store_b8 v[0:1], v8, off
.LBB168_378:
	s_mov_b32 s8, 0
.LBB168_379:
	s_delay_alu instid0(SALU_CYCLE_1)
	s_and_b32 vcc_lo, exec_lo, s8
	s_cbranch_vccz .LBB168_382
; %bb.380:
	v_cmp_eq_u16_e32 vcc_lo, 29, v2
	s_mov_b32 s0, -1
	s_cbranch_vccz .LBB168_382
; %bb.381:
	v_trunc_f64_e32 v[8:9], v[4:5]
	s_mov_b32 s1, -1
	s_mov_b32 s0, 0
	s_mov_b32 s8, 0
	s_delay_alu instid0(VALU_DEP_1) | instskip(NEXT) | instid1(VALU_DEP_1)
	v_ldexp_f64 v[10:11], v[8:9], 0xffffffe0
	v_floor_f64_e32 v[10:11], v[10:11]
	s_delay_alu instid0(VALU_DEP_1) | instskip(SKIP_1) | instid1(VALU_DEP_2)
	v_fma_f64 v[8:9], 0xc1f00000, v[10:11], v[8:9]
	v_cvt_u32_f64_e32 v10, v[10:11]
	v_cvt_u32_f64_e32 v9, v[8:9]
	global_store_b64 v[0:1], v[9:10], off
	s_branch .LBB168_383
.LBB168_382:
	s_mov_b32 s8, 0
.LBB168_383:
	s_delay_alu instid0(SALU_CYCLE_1)
	s_and_b32 vcc_lo, exec_lo, s8
	s_cbranch_vccz .LBB168_399
; %bb.384:
	v_cmp_gt_i16_e32 vcc_lo, 27, v2
	s_mov_b32 s1, -1
	s_cbranch_vccnz .LBB168_390
; %bb.385:
	v_cmp_lt_i16_e32 vcc_lo, 27, v2
	s_cbranch_vccz .LBB168_387
; %bb.386:
	v_cvt_u32_f64_e32 v3, v[4:5]
	s_mov_b32 s1, 0
	global_store_b32 v[0:1], v3, off
.LBB168_387:
	s_and_not1_b32 vcc_lo, exec_lo, s1
	s_cbranch_vccnz .LBB168_389
; %bb.388:
	v_cvt_u32_f64_e32 v3, v[4:5]
	global_store_b16 v[0:1], v3, off
.LBB168_389:
	s_mov_b32 s1, 0
.LBB168_390:
	s_delay_alu instid0(SALU_CYCLE_1)
	s_and_not1_b32 vcc_lo, exec_lo, s1
	s_cbranch_vccnz .LBB168_398
; %bb.391:
	v_cvt_f32_f64_e32 v3, v[4:5]
	v_mov_b32_e32 v9, 0x80
	s_mov_b32 s1, exec_lo
	s_delay_alu instid0(VALU_DEP_2) | instskip(NEXT) | instid1(VALU_DEP_1)
	v_and_b32_e32 v8, 0x7fffffff, v3
	v_cmpx_gt_u32_e32 0x43800000, v8
	s_cbranch_execz .LBB168_397
; %bb.392:
	v_cmp_lt_u32_e32 vcc_lo, 0x3bffffff, v8
	s_mov_b32 s8, 0
                                        ; implicit-def: $vgpr8
	s_and_saveexec_b32 s9, vcc_lo
	s_delay_alu instid0(SALU_CYCLE_1)
	s_xor_b32 s9, exec_lo, s9
	s_cbranch_execz .LBB168_615
; %bb.393:
	v_bfe_u32 v8, v3, 20, 1
	s_mov_b32 s8, exec_lo
	s_delay_alu instid0(VALU_DEP_1) | instskip(NEXT) | instid1(VALU_DEP_1)
	v_add3_u32 v8, v3, v8, 0x487ffff
	v_lshrrev_b32_e32 v8, 20, v8
	s_or_saveexec_b32 s9, s9
                                        ; implicit-def: $sgpr17
	s_delay_alu instid0(SALU_CYCLE_1)
	s_xor_b32 exec_lo, exec_lo, s9
	s_cbranch_execnz .LBB168_616
.LBB168_394:
	s_or_b32 exec_lo, exec_lo, s9
	v_mov_b32_e32 v9, s17
	s_and_saveexec_b32 s9, s8
.LBB168_395:
	v_lshrrev_b32_e32 v3, 24, v3
	s_delay_alu instid0(VALU_DEP_1)
	v_and_or_b32 v9, 0x80, v3, v8
.LBB168_396:
	s_or_b32 exec_lo, exec_lo, s9
.LBB168_397:
	s_delay_alu instid0(SALU_CYCLE_1)
	s_or_b32 exec_lo, exec_lo, s1
	global_store_b8 v[0:1], v9, off
.LBB168_398:
	s_mov_b32 s1, -1
.LBB168_399:
	s_mov_b32 s8, 0
.LBB168_400:
	s_delay_alu instid0(SALU_CYCLE_1)
	s_and_b32 vcc_lo, exec_lo, s8
	s_cbranch_vccz .LBB168_441
; %bb.401:
	v_cmp_lt_i16_e32 vcc_lo, 22, v2
	s_mov_b32 s8, -1
	s_cbranch_vccz .LBB168_433
; %bb.402:
	v_cmp_gt_i16_e32 vcc_lo, 24, v2
	s_mov_b32 s1, -1
	s_cbranch_vccnz .LBB168_422
; %bb.403:
	v_cmp_lt_i16_e32 vcc_lo, 24, v2
	s_cbranch_vccz .LBB168_411
; %bb.404:
	v_cvt_f32_f64_e32 v3, v[4:5]
	v_mov_b32_e32 v9, 0x80
	s_mov_b32 s1, exec_lo
	s_delay_alu instid0(VALU_DEP_2) | instskip(NEXT) | instid1(VALU_DEP_1)
	v_and_b32_e32 v8, 0x7fffffff, v3
	v_cmpx_gt_u32_e32 0x47800000, v8
	s_cbranch_execz .LBB168_410
; %bb.405:
	v_cmp_lt_u32_e32 vcc_lo, 0x37ffffff, v8
	s_mov_b32 s8, 0
                                        ; implicit-def: $vgpr8
	s_and_saveexec_b32 s9, vcc_lo
	s_delay_alu instid0(SALU_CYCLE_1)
	s_xor_b32 s9, exec_lo, s9
	s_cbranch_execz .LBB168_618
; %bb.406:
	v_bfe_u32 v8, v3, 21, 1
	s_mov_b32 s8, exec_lo
	s_delay_alu instid0(VALU_DEP_1) | instskip(NEXT) | instid1(VALU_DEP_1)
	v_add3_u32 v8, v3, v8, 0x88fffff
	v_lshrrev_b32_e32 v8, 21, v8
	s_or_saveexec_b32 s9, s9
                                        ; implicit-def: $sgpr17
	s_delay_alu instid0(SALU_CYCLE_1)
	s_xor_b32 exec_lo, exec_lo, s9
	s_cbranch_execnz .LBB168_619
.LBB168_407:
	s_or_b32 exec_lo, exec_lo, s9
	v_mov_b32_e32 v9, s17
	s_and_saveexec_b32 s9, s8
.LBB168_408:
	v_lshrrev_b32_e32 v3, 24, v3
	s_delay_alu instid0(VALU_DEP_1)
	v_and_or_b32 v9, 0x80, v3, v8
.LBB168_409:
	s_or_b32 exec_lo, exec_lo, s9
.LBB168_410:
	s_delay_alu instid0(SALU_CYCLE_1)
	s_or_b32 exec_lo, exec_lo, s1
	s_mov_b32 s1, 0
	global_store_b8 v[0:1], v9, off
.LBB168_411:
	s_and_b32 vcc_lo, exec_lo, s1
	s_cbranch_vccz .LBB168_421
; %bb.412:
	v_cvt_f32_f64_e32 v3, v[4:5]
	s_mov_b32 s1, exec_lo
                                        ; implicit-def: $vgpr8
	s_delay_alu instid0(VALU_DEP_1) | instskip(NEXT) | instid1(VALU_DEP_1)
	v_and_b32_e32 v9, 0x7fffffff, v3
	v_cmpx_gt_u32_e32 0x43f00000, v9
	s_xor_b32 s1, exec_lo, s1
	s_cbranch_execz .LBB168_418
; %bb.413:
	s_mov_b32 s8, exec_lo
                                        ; implicit-def: $vgpr8
	v_cmpx_lt_u32_e32 0x3c7fffff, v9
	s_xor_b32 s8, exec_lo, s8
; %bb.414:
	v_bfe_u32 v8, v3, 20, 1
	s_delay_alu instid0(VALU_DEP_1) | instskip(NEXT) | instid1(VALU_DEP_1)
	v_add3_u32 v8, v3, v8, 0x407ffff
	v_and_b32_e32 v9, 0xff00000, v8
	v_lshrrev_b32_e32 v8, 20, v8
	s_delay_alu instid0(VALU_DEP_2) | instskip(NEXT) | instid1(VALU_DEP_2)
	v_cmp_ne_u32_e32 vcc_lo, 0x7f00000, v9
	v_cndmask_b32_e32 v8, 0x7e, v8, vcc_lo
; %bb.415:
	s_and_not1_saveexec_b32 s8, s8
; %bb.416:
	v_add_f32_e64 v8, 0x46800000, |v3|
; %bb.417:
	s_or_b32 exec_lo, exec_lo, s8
                                        ; implicit-def: $vgpr9
.LBB168_418:
	s_and_not1_saveexec_b32 s1, s1
; %bb.419:
	v_mov_b32_e32 v8, 0x7f
	v_cmp_lt_u32_e32 vcc_lo, 0x7f800000, v9
	s_delay_alu instid0(VALU_DEP_2)
	v_cndmask_b32_e32 v8, 0x7e, v8, vcc_lo
; %bb.420:
	s_or_b32 exec_lo, exec_lo, s1
	v_lshrrev_b32_e32 v3, 24, v3
	s_delay_alu instid0(VALU_DEP_1)
	v_and_or_b32 v3, 0x80, v3, v8
	global_store_b8 v[0:1], v3, off
.LBB168_421:
	s_mov_b32 s1, 0
.LBB168_422:
	s_delay_alu instid0(SALU_CYCLE_1)
	s_and_not1_b32 vcc_lo, exec_lo, s1
	s_cbranch_vccnz .LBB168_432
; %bb.423:
	v_cvt_f32_f64_e32 v3, v[4:5]
	s_mov_b32 s1, exec_lo
                                        ; implicit-def: $vgpr8
	s_delay_alu instid0(VALU_DEP_1) | instskip(NEXT) | instid1(VALU_DEP_1)
	v_and_b32_e32 v9, 0x7fffffff, v3
	v_cmpx_gt_u32_e32 0x47800000, v9
	s_xor_b32 s1, exec_lo, s1
	s_cbranch_execz .LBB168_429
; %bb.424:
	s_mov_b32 s8, exec_lo
                                        ; implicit-def: $vgpr8
	v_cmpx_lt_u32_e32 0x387fffff, v9
	s_xor_b32 s8, exec_lo, s8
; %bb.425:
	v_bfe_u32 v8, v3, 21, 1
	s_delay_alu instid0(VALU_DEP_1) | instskip(NEXT) | instid1(VALU_DEP_1)
	v_add3_u32 v8, v3, v8, 0x80fffff
	v_lshrrev_b32_e32 v8, 21, v8
; %bb.426:
	s_and_not1_saveexec_b32 s8, s8
; %bb.427:
	v_add_f32_e64 v8, 0x43000000, |v3|
; %bb.428:
	s_or_b32 exec_lo, exec_lo, s8
                                        ; implicit-def: $vgpr9
.LBB168_429:
	s_and_not1_saveexec_b32 s1, s1
; %bb.430:
	v_mov_b32_e32 v8, 0x7f
	v_cmp_lt_u32_e32 vcc_lo, 0x7f800000, v9
	s_delay_alu instid0(VALU_DEP_2)
	v_cndmask_b32_e32 v8, 0x7c, v8, vcc_lo
; %bb.431:
	s_or_b32 exec_lo, exec_lo, s1
	v_lshrrev_b32_e32 v3, 24, v3
	s_delay_alu instid0(VALU_DEP_1)
	v_and_or_b32 v3, 0x80, v3, v8
	global_store_b8 v[0:1], v3, off
.LBB168_432:
	s_mov_b32 s8, 0
	s_mov_b32 s1, -1
.LBB168_433:
	s_and_not1_b32 vcc_lo, exec_lo, s8
	s_cbranch_vccnz .LBB168_441
; %bb.434:
	v_cmp_lt_i16_e32 vcc_lo, 14, v2
	s_mov_b32 s8, -1
	s_cbranch_vccz .LBB168_438
; %bb.435:
	v_cmp_eq_u16_e32 vcc_lo, 15, v2
	s_mov_b32 s0, -1
	s_cbranch_vccz .LBB168_437
; %bb.436:
	v_cvt_f32_f64_e32 v3, v[4:5]
	s_mov_b32 s1, -1
	s_mov_b32 s0, 0
	s_delay_alu instid0(VALU_DEP_1) | instskip(SKIP_1) | instid1(VALU_DEP_2)
	v_bfe_u32 v8, v3, 16, 1
	v_cmp_o_f32_e32 vcc_lo, v3, v3
	v_add3_u32 v8, v3, v8, 0x7fff
	s_delay_alu instid0(VALU_DEP_1) | instskip(NEXT) | instid1(VALU_DEP_1)
	v_lshrrev_b32_e32 v8, 16, v8
	v_cndmask_b32_e32 v3, 0x7fc0, v8, vcc_lo
	global_store_b16 v[0:1], v3, off
.LBB168_437:
	s_mov_b32 s8, 0
.LBB168_438:
	s_delay_alu instid0(SALU_CYCLE_1)
	s_and_b32 vcc_lo, exec_lo, s8
	s_cbranch_vccz .LBB168_441
; %bb.439:
	v_cmp_eq_u16_e32 vcc_lo, 11, v2
	s_mov_b32 s0, -1
	s_cbranch_vccz .LBB168_441
; %bb.440:
	v_cmp_neq_f64_e32 vcc_lo, 0, v[4:5]
	v_cmp_neq_f64_e64 s0, 0, v[6:7]
	s_mov_b32 s1, -1
	s_delay_alu instid0(VALU_DEP_1) | instskip(NEXT) | instid1(SALU_CYCLE_1)
	s_or_b32 s0, vcc_lo, s0
	v_cndmask_b32_e64 v3, 0, 1, s0
	s_mov_b32 s0, 0
	global_store_b8 v[0:1], v3, off
.LBB168_441:
	s_mov_b32 s8, 0
.LBB168_442:
	s_delay_alu instid0(SALU_CYCLE_1)
	s_and_b32 vcc_lo, exec_lo, s8
	s_cbranch_vccz .LBB168_481
; %bb.443:
	v_cmp_gt_i16_e32 vcc_lo, 5, v2
	s_mov_b32 s1, -1
	s_cbranch_vccnz .LBB168_464
; %bb.444:
	v_cmp_gt_i16_e32 vcc_lo, 8, v2
	s_cbranch_vccnz .LBB168_454
; %bb.445:
	v_cmp_gt_i16_e32 vcc_lo, 9, v2
	s_cbranch_vccnz .LBB168_451
; %bb.446:
	v_cmp_lt_i16_e32 vcc_lo, 9, v2
	s_cbranch_vccz .LBB168_448
; %bb.447:
	s_mov_b32 s1, 0
	global_store_b128 v[0:1], v[4:7], off
.LBB168_448:
	s_and_not1_b32 vcc_lo, exec_lo, s1
	s_cbranch_vccnz .LBB168_450
; %bb.449:
	v_cvt_f32_f64_e32 v8, v[4:5]
	v_cvt_f32_f64_e32 v9, v[6:7]
	global_store_b64 v[0:1], v[8:9], off
.LBB168_450:
	s_mov_b32 s1, 0
.LBB168_451:
	s_delay_alu instid0(SALU_CYCLE_1)
	s_and_not1_b32 vcc_lo, exec_lo, s1
	s_cbranch_vccnz .LBB168_453
; %bb.452:
	v_cvt_f32_f64_e32 v3, v[6:7]
	v_cvt_f32_f64_e32 v6, v[4:5]
	s_delay_alu instid0(VALU_DEP_2) | instskip(NEXT) | instid1(VALU_DEP_2)
	v_cvt_f16_f32_e32 v3, v3
	v_cvt_f16_f32_e32 v6, v6
	s_delay_alu instid0(VALU_DEP_2) | instskip(NEXT) | instid1(VALU_DEP_2)
	v_lshlrev_b32_e32 v3, 16, v3
	v_and_b32_e32 v6, 0xffff, v6
	s_delay_alu instid0(VALU_DEP_1)
	v_or_b32_e32 v3, v3, v6
	global_store_b32 v[0:1], v3, off
.LBB168_453:
	s_mov_b32 s1, 0
.LBB168_454:
	s_delay_alu instid0(SALU_CYCLE_1)
	s_and_not1_b32 vcc_lo, exec_lo, s1
	s_cbranch_vccnz .LBB168_463
; %bb.455:
	v_cmp_gt_i16_e32 vcc_lo, 6, v2
	s_mov_b32 s1, -1
	s_cbranch_vccnz .LBB168_461
; %bb.456:
	v_cmp_lt_i16_e32 vcc_lo, 6, v2
	s_cbranch_vccz .LBB168_458
; %bb.457:
	s_mov_b32 s1, 0
	global_store_b64 v[0:1], v[4:5], off
.LBB168_458:
	s_and_not1_b32 vcc_lo, exec_lo, s1
	s_cbranch_vccnz .LBB168_460
; %bb.459:
	v_cvt_f32_f64_e32 v3, v[4:5]
	global_store_b32 v[0:1], v3, off
.LBB168_460:
	s_mov_b32 s1, 0
.LBB168_461:
	s_delay_alu instid0(SALU_CYCLE_1)
	s_and_not1_b32 vcc_lo, exec_lo, s1
	s_cbranch_vccnz .LBB168_463
; %bb.462:
	v_cvt_f32_f64_e32 v3, v[4:5]
	s_delay_alu instid0(VALU_DEP_1)
	v_cvt_f16_f32_e32 v3, v3
	global_store_b16 v[0:1], v3, off
.LBB168_463:
	s_mov_b32 s1, 0
.LBB168_464:
	s_delay_alu instid0(SALU_CYCLE_1)
	s_and_not1_b32 vcc_lo, exec_lo, s1
	s_cbranch_vccnz .LBB168_480
; %bb.465:
	v_cmp_gt_i16_e32 vcc_lo, 2, v2
	s_mov_b32 s1, -1
	s_cbranch_vccnz .LBB168_475
; %bb.466:
	v_cmp_gt_i16_e32 vcc_lo, 3, v2
	s_cbranch_vccnz .LBB168_472
; %bb.467:
	v_cmp_lt_i16_e32 vcc_lo, 3, v2
	s_cbranch_vccz .LBB168_469
; %bb.468:
	v_trunc_f64_e32 v[6:7], v[4:5]
	s_mov_b32 s1, 0
	s_delay_alu instid0(VALU_DEP_1) | instskip(NEXT) | instid1(VALU_DEP_1)
	v_ldexp_f64 v[8:9], v[6:7], 0xffffffe0
	v_floor_f64_e32 v[8:9], v[8:9]
	s_delay_alu instid0(VALU_DEP_1) | instskip(SKIP_1) | instid1(VALU_DEP_2)
	v_fma_f64 v[6:7], 0xc1f00000, v[8:9], v[6:7]
	v_cvt_i32_f64_e32 v8, v[8:9]
	v_cvt_u32_f64_e32 v7, v[6:7]
	global_store_b64 v[0:1], v[7:8], off
.LBB168_469:
	s_and_not1_b32 vcc_lo, exec_lo, s1
	s_cbranch_vccnz .LBB168_471
; %bb.470:
	v_cvt_i32_f64_e32 v3, v[4:5]
	global_store_b32 v[0:1], v3, off
.LBB168_471:
	s_mov_b32 s1, 0
.LBB168_472:
	s_delay_alu instid0(SALU_CYCLE_1)
	s_and_not1_b32 vcc_lo, exec_lo, s1
	s_cbranch_vccnz .LBB168_474
; %bb.473:
	v_cvt_i32_f64_e32 v3, v[4:5]
	global_store_b16 v[0:1], v3, off
.LBB168_474:
	s_mov_b32 s1, 0
.LBB168_475:
	s_delay_alu instid0(SALU_CYCLE_1)
	s_and_not1_b32 vcc_lo, exec_lo, s1
	s_cbranch_vccnz .LBB168_480
; %bb.476:
	v_cmp_lt_i16_e32 vcc_lo, 0, v2
	s_mov_b32 s1, -1
	s_cbranch_vccz .LBB168_478
; %bb.477:
	v_cvt_i32_f64_e32 v2, v[4:5]
	s_mov_b32 s1, 0
	global_store_b8 v[0:1], v2, off
.LBB168_478:
	s_and_not1_b32 vcc_lo, exec_lo, s1
	s_cbranch_vccnz .LBB168_480
; %bb.479:
	v_trunc_f64_e32 v[2:3], v[4:5]
	s_delay_alu instid0(VALU_DEP_1) | instskip(NEXT) | instid1(VALU_DEP_1)
	v_ldexp_f64 v[4:5], v[2:3], 0xffffffe0
	v_floor_f64_e32 v[4:5], v[4:5]
	s_delay_alu instid0(VALU_DEP_1) | instskip(NEXT) | instid1(VALU_DEP_1)
	v_fma_f64 v[2:3], 0xc1f00000, v[4:5], v[2:3]
	v_cvt_u32_f64_e32 v2, v[2:3]
	global_store_b8 v[0:1], v2, off
.LBB168_480:
	s_mov_b32 s1, -1
.LBB168_481:
	s_delay_alu instid0(SALU_CYCLE_1)
	s_and_not1_b32 vcc_lo, exec_lo, s1
	s_cbranch_vccnz .LBB168_483
; %bb.482:
	v_add_nc_u32_e32 v25, 0x80, v25
	s_mov_b32 s1, -1
	s_branch .LBB168_601
.LBB168_483:
	s_mov_b32 s1, 0
	s_branch .LBB168_600
.LBB168_484:
	s_mov_b32 s16, -1
                                        ; implicit-def: $sgpr0_sgpr1
                                        ; implicit-def: $vgpr0_vgpr1
.LBB168_485:
	v_dual_mov_b32 v3, s1 :: v_dual_mov_b32 v2, s0
.LBB168_486:
	s_mov_b32 s0, 0
.LBB168_487:
	s_delay_alu instid0(SALU_CYCLE_1)
	s_and_b32 vcc_lo, exec_lo, s0
	s_cbranch_vccz .LBB168_492
; %bb.488:
	v_cmp_eq_u16_e32 vcc_lo, 29, v20
	s_cbranch_vccz .LBB168_490
; %bb.489:
	global_load_b64 v[0:1], v[4:5], off
	s_mov_b32 s8, -1
	s_mov_b32 s16, 0
	s_mov_b64 s[0:1], 0
	s_waitcnt vmcnt(0)
	v_cvt_f64_u32_e32 v[1:2], v1
	v_cvt_f64_u32_e32 v[6:7], v0
	s_delay_alu instid0(VALU_DEP_2) | instskip(NEXT) | instid1(VALU_DEP_1)
	v_ldexp_f64 v[1:2], v[1:2], 32
	v_add_f64 v[0:1], v[1:2], v[6:7]
	s_branch .LBB168_491
.LBB168_490:
	s_mov_b32 s16, -1
                                        ; implicit-def: $sgpr0_sgpr1
                                        ; implicit-def: $vgpr0_vgpr1
.LBB168_491:
	v_dual_mov_b32 v3, s1 :: v_dual_mov_b32 v2, s0
.LBB168_492:
	s_mov_b32 s0, 0
.LBB168_493:
	s_delay_alu instid0(SALU_CYCLE_1)
	s_and_b32 vcc_lo, exec_lo, s0
	s_cbranch_vccz .LBB168_513
; %bb.494:
	v_cmp_gt_i16_e32 vcc_lo, 27, v20
	s_cbranch_vccnz .LBB168_497
; %bb.495:
	v_cmp_lt_i16_e32 vcc_lo, 27, v20
	s_cbranch_vccz .LBB168_498
; %bb.496:
	global_load_b32 v0, v[4:5], off
	s_mov_b32 s8, 0
	s_mov_b64 s[0:1], 0
	s_waitcnt vmcnt(0)
	v_cvt_f64_u32_e32 v[0:1], v0
	s_branch .LBB168_499
.LBB168_497:
	s_mov_b32 s8, -1
                                        ; implicit-def: $sgpr0_sgpr1
                                        ; implicit-def: $vgpr0_vgpr1
	s_branch .LBB168_502
.LBB168_498:
	s_mov_b32 s8, -1
                                        ; implicit-def: $sgpr0_sgpr1
                                        ; implicit-def: $vgpr0_vgpr1
.LBB168_499:
	s_delay_alu instid0(SALU_CYCLE_1)
	s_and_not1_b32 vcc_lo, exec_lo, s8
	s_cbranch_vccnz .LBB168_501
; %bb.500:
	global_load_u16 v0, v[4:5], off
	s_mov_b64 s[0:1], 0
	s_waitcnt vmcnt(0)
	v_cvt_f64_u32_e32 v[0:1], v0
.LBB168_501:
	s_mov_b32 s8, 0
.LBB168_502:
	v_dual_mov_b32 v3, s1 :: v_dual_mov_b32 v2, s0
	s_and_not1_b32 vcc_lo, exec_lo, s8
	s_cbranch_vccnz .LBB168_512
; %bb.503:
	global_load_u8 v6, v[4:5], off
	s_mov_b32 s17, 0
	s_mov_b32 s19, exec_lo
                                        ; implicit-def: $sgpr0_sgpr1
                                        ; implicit-def: $sgpr8_sgpr9
	s_waitcnt vmcnt(0)
	v_cmpx_lt_i16_e32 0x7f, v6
	s_xor_b32 s19, exec_lo, s19
	s_cbranch_execz .LBB168_507
; %bb.504:
	s_mov_b32 s17, -1
	s_mov_b32 s20, exec_lo
                                        ; implicit-def: $sgpr0_sgpr1
                                        ; implicit-def: $sgpr8_sgpr9
	v_cmpx_eq_u16_e32 0x80, v6
; %bb.505:
	s_mov_b64 s[0:1], 0
	s_mov_b32 s9, 0x7ff80000
	s_brev_b32 s8, 4
	s_xor_b32 s17, exec_lo, -1
; %bb.506:
	s_or_b32 exec_lo, exec_lo, s20
	s_delay_alu instid0(SALU_CYCLE_1)
	s_and_b32 s17, s17, exec_lo
.LBB168_507:
	s_or_saveexec_b32 s19, s19
	v_dual_mov_b32 v3, s1 :: v_dual_mov_b32 v2, s0
	v_dual_mov_b32 v0, s8 :: v_dual_mov_b32 v1, s9
	s_xor_b32 exec_lo, exec_lo, s19
; %bb.508:
	v_mov_b32_e32 v2, 0
	v_mov_b32_e32 v3, 0
	v_cmp_ne_u16_e32 vcc_lo, 0, v6
	s_delay_alu instid0(VALU_DEP_3) | instskip(SKIP_1) | instid1(VALU_DEP_3)
	v_mov_b32_e32 v0, v2
	s_and_not1_b32 s0, s17, exec_lo
	v_mov_b32_e32 v1, v3
	s_and_b32 s1, vcc_lo, exec_lo
	s_delay_alu instid0(SALU_CYCLE_1)
	s_or_b32 s17, s0, s1
; %bb.509:
	s_or_b32 exec_lo, exec_lo, s19
	s_and_saveexec_b32 s0, s17
	s_cbranch_execz .LBB168_511
; %bb.510:
	v_and_b32_e32 v0, 0xffff, v6
	v_lshlrev_b32_e32 v6, 24, v6
	s_delay_alu instid0(VALU_DEP_2) | instskip(NEXT) | instid1(VALU_DEP_1)
	v_and_b32_e32 v1, 7, v0
	v_clz_i32_u32_e32 v2, v1
	s_delay_alu instid0(VALU_DEP_1) | instskip(NEXT) | instid1(VALU_DEP_1)
	v_min_u32_e32 v2, 32, v2
	v_subrev_nc_u32_e32 v3, 28, v2
	v_sub_nc_u32_e32 v2, 29, v2
	s_delay_alu instid0(VALU_DEP_2) | instskip(SKIP_1) | instid1(VALU_DEP_2)
	v_lshlrev_b32_e32 v3, v3, v0
	v_bfe_u32 v0, v0, 3, 4
	v_and_b32_e32 v3, 7, v3
	s_delay_alu instid0(VALU_DEP_2) | instskip(NEXT) | instid1(VALU_DEP_2)
	v_cmp_eq_u32_e32 vcc_lo, 0, v0
	v_dual_cndmask_b32 v0, v0, v2 :: v_dual_cndmask_b32 v1, v1, v3
	v_and_b32_e32 v2, 0x80000000, v6
	s_delay_alu instid0(VALU_DEP_2) | instskip(NEXT) | instid1(VALU_DEP_3)
	v_lshl_add_u32 v0, v0, 23, 0x3b800000
	v_lshlrev_b32_e32 v1, 20, v1
	s_delay_alu instid0(VALU_DEP_1) | instskip(SKIP_2) | instid1(VALU_DEP_3)
	v_or3_b32 v0, v2, v0, v1
	v_mov_b32_e32 v2, 0
	v_mov_b32_e32 v3, 0
	v_cvt_f64_f32_e32 v[0:1], v0
.LBB168_511:
	s_or_b32 exec_lo, exec_lo, s0
.LBB168_512:
	s_mov_b32 s8, -1
.LBB168_513:
	s_mov_b32 s0, 0
.LBB168_514:
	s_delay_alu instid0(SALU_CYCLE_1)
	s_and_b32 vcc_lo, exec_lo, s0
	s_cbranch_vccz .LBB168_548
; %bb.515:
	v_cmp_lt_i16_e32 vcc_lo, 22, v20
	s_cbranch_vccz .LBB168_527
; %bb.516:
	v_cmp_gt_i16_e32 vcc_lo, 24, v20
	s_cbranch_vccnz .LBB168_528
; %bb.517:
	v_cmp_lt_i16_e32 vcc_lo, 24, v20
	s_cbranch_vccz .LBB168_529
; %bb.518:
	global_load_u8 v6, v[4:5], off
	s_mov_b32 s17, 0
	s_mov_b32 s19, exec_lo
                                        ; implicit-def: $sgpr0_sgpr1
                                        ; implicit-def: $sgpr8_sgpr9
	s_waitcnt vmcnt(0)
	v_cmpx_lt_i16_e32 0x7f, v6
	s_xor_b32 s19, exec_lo, s19
	s_cbranch_execz .LBB168_522
; %bb.519:
	s_mov_b32 s17, -1
	s_mov_b32 s20, exec_lo
                                        ; implicit-def: $sgpr0_sgpr1
                                        ; implicit-def: $sgpr8_sgpr9
	v_cmpx_eq_u16_e32 0x80, v6
; %bb.520:
	s_mov_b64 s[0:1], 0
	s_mov_b32 s9, 0x7ff80000
	s_brev_b32 s8, 4
	s_xor_b32 s17, exec_lo, -1
; %bb.521:
	s_or_b32 exec_lo, exec_lo, s20
	s_delay_alu instid0(SALU_CYCLE_1)
	s_and_b32 s17, s17, exec_lo
.LBB168_522:
	s_or_saveexec_b32 s19, s19
	v_dual_mov_b32 v3, s1 :: v_dual_mov_b32 v2, s0
	v_dual_mov_b32 v0, s8 :: v_dual_mov_b32 v1, s9
	s_xor_b32 exec_lo, exec_lo, s19
; %bb.523:
	v_mov_b32_e32 v2, 0
	v_mov_b32_e32 v3, 0
	v_cmp_ne_u16_e32 vcc_lo, 0, v6
	s_delay_alu instid0(VALU_DEP_3) | instskip(SKIP_1) | instid1(VALU_DEP_3)
	v_mov_b32_e32 v0, v2
	s_and_not1_b32 s0, s17, exec_lo
	v_mov_b32_e32 v1, v3
	s_and_b32 s1, vcc_lo, exec_lo
	s_delay_alu instid0(SALU_CYCLE_1)
	s_or_b32 s17, s0, s1
; %bb.524:
	s_or_b32 exec_lo, exec_lo, s19
	s_and_saveexec_b32 s0, s17
	s_cbranch_execz .LBB168_526
; %bb.525:
	v_and_b32_e32 v0, 0xffff, v6
	v_lshlrev_b32_e32 v6, 24, v6
	s_delay_alu instid0(VALU_DEP_2) | instskip(NEXT) | instid1(VALU_DEP_1)
	v_and_b32_e32 v1, 3, v0
	v_clz_i32_u32_e32 v2, v1
	s_delay_alu instid0(VALU_DEP_1) | instskip(NEXT) | instid1(VALU_DEP_1)
	v_min_u32_e32 v2, 32, v2
	v_subrev_nc_u32_e32 v3, 29, v2
	v_sub_nc_u32_e32 v2, 30, v2
	s_delay_alu instid0(VALU_DEP_2) | instskip(SKIP_1) | instid1(VALU_DEP_2)
	v_lshlrev_b32_e32 v3, v3, v0
	v_bfe_u32 v0, v0, 2, 5
	v_and_b32_e32 v3, 3, v3
	s_delay_alu instid0(VALU_DEP_2) | instskip(NEXT) | instid1(VALU_DEP_2)
	v_cmp_eq_u32_e32 vcc_lo, 0, v0
	v_dual_cndmask_b32 v0, v0, v2 :: v_dual_cndmask_b32 v1, v1, v3
	v_and_b32_e32 v2, 0x80000000, v6
	s_delay_alu instid0(VALU_DEP_2) | instskip(NEXT) | instid1(VALU_DEP_3)
	v_lshl_add_u32 v0, v0, 23, 0x37800000
	v_lshlrev_b32_e32 v1, 21, v1
	s_delay_alu instid0(VALU_DEP_1) | instskip(SKIP_2) | instid1(VALU_DEP_3)
	v_or3_b32 v0, v2, v0, v1
	v_mov_b32_e32 v2, 0
	v_mov_b32_e32 v3, 0
	v_cvt_f64_f32_e32 v[0:1], v0
.LBB168_526:
	s_or_b32 exec_lo, exec_lo, s0
	s_mov_b32 s0, 0
	s_branch .LBB168_530
.LBB168_527:
	s_mov_b32 s0, -1
                                        ; implicit-def: $vgpr2_vgpr3
	s_branch .LBB168_536
.LBB168_528:
	s_mov_b32 s0, -1
                                        ; implicit-def: $vgpr2_vgpr3
	s_branch .LBB168_533
.LBB168_529:
	s_mov_b32 s0, -1
                                        ; implicit-def: $vgpr2_vgpr3
.LBB168_530:
	s_delay_alu instid0(SALU_CYCLE_1)
	s_and_b32 vcc_lo, exec_lo, s0
	s_cbranch_vccz .LBB168_532
; %bb.531:
	global_load_u8 v0, v[4:5], off
	s_waitcnt vmcnt(0)
	v_lshlrev_b32_e32 v0, 24, v0
	s_delay_alu instid0(VALU_DEP_1) | instskip(NEXT) | instid1(VALU_DEP_1)
	v_and_b32_e32 v1, 0x7f000000, v0
	v_clz_i32_u32_e32 v2, v1
	v_add_nc_u32_e32 v6, 0x1000000, v1
	v_cmp_ne_u32_e32 vcc_lo, 0, v1
	s_delay_alu instid0(VALU_DEP_3) | instskip(NEXT) | instid1(VALU_DEP_1)
	v_min_u32_e32 v2, 32, v2
	v_sub_nc_u32_e64 v2, v2, 4 clamp
	s_delay_alu instid0(VALU_DEP_1) | instskip(SKIP_1) | instid1(VALU_DEP_2)
	v_lshlrev_b32_e32 v3, v2, v1
	v_lshlrev_b32_e32 v2, 23, v2
	v_lshrrev_b32_e32 v3, 4, v3
	s_delay_alu instid0(VALU_DEP_1) | instskip(SKIP_1) | instid1(VALU_DEP_2)
	v_sub_nc_u32_e32 v2, v3, v2
	v_ashrrev_i32_e32 v3, 8, v6
	v_add_nc_u32_e32 v2, 0x3c000000, v2
	s_delay_alu instid0(VALU_DEP_1) | instskip(NEXT) | instid1(VALU_DEP_1)
	v_and_or_b32 v2, 0x7f800000, v3, v2
	v_dual_cndmask_b32 v1, 0, v2 :: v_dual_mov_b32 v2, 0
	v_mov_b32_e32 v3, 0
	s_delay_alu instid0(VALU_DEP_2) | instskip(NEXT) | instid1(VALU_DEP_1)
	v_and_or_b32 v0, 0x80000000, v0, v1
	v_cvt_f64_f32_e32 v[0:1], v0
.LBB168_532:
	s_mov_b32 s0, 0
.LBB168_533:
	s_delay_alu instid0(SALU_CYCLE_1)
	s_and_not1_b32 vcc_lo, exec_lo, s0
	s_cbranch_vccnz .LBB168_535
; %bb.534:
	global_load_u8 v0, v[4:5], off
	s_waitcnt vmcnt(0)
	v_lshlrev_b32_e32 v1, 25, v0
	v_lshlrev_b16 v0, 8, v0
	s_delay_alu instid0(VALU_DEP_2) | instskip(NEXT) | instid1(VALU_DEP_2)
	v_lshrrev_b32_e32 v2, 4, v1
	v_and_or_b32 v3, 0x7f00, v0, 0.5
	v_bfe_i32 v0, v0, 0, 16
	s_delay_alu instid0(VALU_DEP_3) | instskip(NEXT) | instid1(VALU_DEP_1)
	v_or_b32_e32 v2, 0x70000000, v2
	v_dual_add_f32 v3, -0.5, v3 :: v_dual_mul_f32 v2, 0x7800000, v2
	v_cmp_gt_u32_e32 vcc_lo, 0x8000000, v1
	s_delay_alu instid0(VALU_DEP_2) | instskip(SKIP_1) | instid1(VALU_DEP_2)
	v_dual_cndmask_b32 v1, v2, v3 :: v_dual_mov_b32 v2, 0
	v_mov_b32_e32 v3, 0
	v_and_or_b32 v0, 0x80000000, v0, v1
	s_delay_alu instid0(VALU_DEP_1)
	v_cvt_f64_f32_e32 v[0:1], v0
.LBB168_535:
	s_mov_b32 s0, 0
	s_mov_b32 s8, -1
.LBB168_536:
	s_and_not1_b32 vcc_lo, exec_lo, s0
	s_cbranch_vccnz .LBB168_548
; %bb.537:
	v_cmp_lt_i16_e32 vcc_lo, 14, v20
	s_cbranch_vccz .LBB168_540
; %bb.538:
	v_cmp_eq_u16_e32 vcc_lo, 15, v20
	s_cbranch_vccz .LBB168_541
; %bb.539:
	global_load_u16 v0, v[4:5], off
	s_mov_b32 s8, -1
	s_mov_b32 s16, 0
	s_mov_b64 s[0:1], 0
	s_waitcnt vmcnt(0)
	v_lshlrev_b32_e32 v0, 16, v0
	s_delay_alu instid0(VALU_DEP_1)
	v_cvt_f64_f32_e32 v[0:1], v0
	s_branch .LBB168_542
.LBB168_540:
	s_mov_b32 s9, -1
                                        ; implicit-def: $sgpr0_sgpr1
                                        ; implicit-def: $vgpr0_vgpr1
	s_branch .LBB168_543
.LBB168_541:
	s_mov_b32 s16, -1
                                        ; implicit-def: $sgpr0_sgpr1
                                        ; implicit-def: $vgpr0_vgpr1
.LBB168_542:
	s_mov_b32 s9, 0
.LBB168_543:
	s_delay_alu instid0(SALU_CYCLE_1)
	s_and_b32 vcc_lo, exec_lo, s9
	s_cbranch_vccz .LBB168_547
; %bb.544:
	v_cmp_eq_u16_e32 vcc_lo, 11, v20
	s_cbranch_vccz .LBB168_546
; %bb.545:
	global_load_u8 v0, v[4:5], off
	s_mov_b32 s16, 0
	s_mov_b32 s8, -1
	s_mov_b64 s[0:1], 0
	s_waitcnt vmcnt(0)
	v_cmp_ne_u16_e32 vcc_lo, 0, v0
	v_mov_b32_e32 v0, 0
	v_cndmask_b32_e64 v1, 0, 0x3ff00000, vcc_lo
	s_branch .LBB168_547
.LBB168_546:
	s_mov_b32 s16, -1
                                        ; implicit-def: $sgpr0_sgpr1
                                        ; implicit-def: $vgpr0_vgpr1
.LBB168_547:
	v_dual_mov_b32 v3, s1 :: v_dual_mov_b32 v2, s0
.LBB168_548:
	s_branch .LBB168_307
.LBB168_549:
	v_cmp_gt_i16_e32 vcc_lo, 5, v20
	s_cbranch_vccnz .LBB168_554
; %bb.550:
	v_cmp_gt_i16_e32 vcc_lo, 8, v20
	s_cbranch_vccnz .LBB168_555
; %bb.551:
	;; [unrolled: 3-line block ×3, first 2 shown]
	v_cmp_lt_i16_e32 vcc_lo, 9, v20
	s_cbranch_vccz .LBB168_557
; %bb.553:
	global_load_b128 v[0:3], v[4:5], off
	s_mov_b32 s0, 0
	s_branch .LBB168_558
.LBB168_554:
	s_mov_b32 s0, -1
                                        ; implicit-def: $vgpr2_vgpr3
	s_branch .LBB168_577
.LBB168_555:
	s_mov_b32 s0, -1
                                        ; implicit-def: $vgpr2_vgpr3
	s_branch .LBB168_564
.LBB168_556:
	s_mov_b32 s0, -1
                                        ; implicit-def: $vgpr2_vgpr3
	s_branch .LBB168_561
.LBB168_557:
	s_mov_b32 s0, -1
                                        ; implicit-def: $vgpr2_vgpr3
.LBB168_558:
	s_delay_alu instid0(SALU_CYCLE_1)
	s_and_not1_b32 vcc_lo, exec_lo, s0
	s_cbranch_vccnz .LBB168_560
; %bb.559:
	global_load_b64 v[1:2], v[4:5], off
	s_waitcnt vmcnt(0)
	v_cvt_f64_f32_e32 v[0:1], v1
	v_cvt_f64_f32_e32 v[2:3], v2
.LBB168_560:
	s_mov_b32 s0, 0
.LBB168_561:
	s_delay_alu instid0(SALU_CYCLE_1)
	s_and_not1_b32 vcc_lo, exec_lo, s0
	s_cbranch_vccnz .LBB168_563
; %bb.562:
	global_load_b32 v0, v[4:5], off
	s_waitcnt vmcnt(0)
	v_lshrrev_b32_e32 v1, 16, v0
	v_cvt_f32_f16_e32 v0, v0
	s_delay_alu instid0(VALU_DEP_2) | instskip(NEXT) | instid1(VALU_DEP_2)
	v_cvt_f32_f16_e32 v2, v1
	v_cvt_f64_f32_e32 v[0:1], v0
	s_delay_alu instid0(VALU_DEP_2)
	v_cvt_f64_f32_e32 v[2:3], v2
.LBB168_563:
	s_mov_b32 s0, 0
.LBB168_564:
	s_delay_alu instid0(SALU_CYCLE_1)
	s_and_not1_b32 vcc_lo, exec_lo, s0
	s_cbranch_vccnz .LBB168_576
; %bb.565:
	v_cmp_gt_i16_e32 vcc_lo, 6, v20
	s_cbranch_vccnz .LBB168_568
; %bb.566:
	v_cmp_lt_i16_e32 vcc_lo, 6, v20
	s_cbranch_vccz .LBB168_569
; %bb.567:
	global_load_b64 v[0:1], v[4:5], off
	s_mov_b32 s8, 0
	s_mov_b64 s[0:1], 0
	s_branch .LBB168_570
.LBB168_568:
	s_mov_b32 s8, -1
                                        ; implicit-def: $sgpr0_sgpr1
                                        ; implicit-def: $vgpr0_vgpr1
	s_branch .LBB168_573
.LBB168_569:
	s_mov_b32 s8, -1
                                        ; implicit-def: $sgpr0_sgpr1
                                        ; implicit-def: $vgpr0_vgpr1
.LBB168_570:
	s_delay_alu instid0(SALU_CYCLE_1)
	s_and_not1_b32 vcc_lo, exec_lo, s8
	s_cbranch_vccnz .LBB168_572
; %bb.571:
	global_load_b32 v0, v[4:5], off
	s_mov_b64 s[0:1], 0
	s_waitcnt vmcnt(0)
	v_cvt_f64_f32_e32 v[0:1], v0
.LBB168_572:
	s_mov_b32 s8, 0
.LBB168_573:
	s_delay_alu instid0(SALU_CYCLE_1)
	s_and_not1_b32 vcc_lo, exec_lo, s8
	s_cbranch_vccnz .LBB168_575
; %bb.574:
	global_load_u16 v0, v[4:5], off
	s_mov_b64 s[0:1], 0
	s_waitcnt vmcnt(0)
	v_cvt_f32_f16_e32 v0, v0
	s_delay_alu instid0(VALU_DEP_1)
	v_cvt_f64_f32_e32 v[0:1], v0
.LBB168_575:
	s_waitcnt vmcnt(0)
	v_dual_mov_b32 v3, s1 :: v_dual_mov_b32 v2, s0
.LBB168_576:
	s_mov_b32 s0, 0
.LBB168_577:
	s_delay_alu instid0(SALU_CYCLE_1)
	s_and_not1_b32 vcc_lo, exec_lo, s0
	s_cbranch_vccnz .LBB168_598
; %bb.578:
	v_cmp_gt_i16_e32 vcc_lo, 2, v20
	s_cbranch_vccnz .LBB168_582
; %bb.579:
	v_cmp_gt_i16_e32 vcc_lo, 3, v20
	s_cbranch_vccnz .LBB168_583
; %bb.580:
	v_cmp_lt_i16_e32 vcc_lo, 3, v20
	s_cbranch_vccz .LBB168_584
; %bb.581:
	global_load_b64 v[0:1], v[4:5], off
	s_mov_b32 s8, 0
	s_mov_b64 s[0:1], 0
	s_waitcnt vmcnt(0)
	v_cvt_f64_i32_e32 v[1:2], v1
	v_cvt_f64_u32_e32 v[6:7], v0
	s_delay_alu instid0(VALU_DEP_2) | instskip(NEXT) | instid1(VALU_DEP_1)
	v_ldexp_f64 v[1:2], v[1:2], 32
	v_add_f64 v[0:1], v[1:2], v[6:7]
	s_branch .LBB168_585
.LBB168_582:
	s_mov_b32 s8, -1
                                        ; implicit-def: $sgpr0_sgpr1
                                        ; implicit-def: $vgpr0_vgpr1
	s_branch .LBB168_591
.LBB168_583:
	s_mov_b32 s8, -1
                                        ; implicit-def: $sgpr0_sgpr1
                                        ; implicit-def: $vgpr0_vgpr1
	s_branch .LBB168_588
.LBB168_584:
	s_mov_b32 s8, -1
                                        ; implicit-def: $sgpr0_sgpr1
                                        ; implicit-def: $vgpr0_vgpr1
.LBB168_585:
	s_delay_alu instid0(SALU_CYCLE_1)
	s_and_not1_b32 vcc_lo, exec_lo, s8
	s_cbranch_vccnz .LBB168_587
; %bb.586:
	global_load_b32 v0, v[4:5], off
	s_mov_b64 s[0:1], 0
	s_waitcnt vmcnt(0)
	v_cvt_f64_i32_e32 v[0:1], v0
.LBB168_587:
	s_mov_b32 s8, 0
.LBB168_588:
	s_delay_alu instid0(SALU_CYCLE_1)
	s_and_not1_b32 vcc_lo, exec_lo, s8
	s_cbranch_vccnz .LBB168_590
; %bb.589:
	global_load_i16 v0, v[4:5], off
	s_mov_b64 s[0:1], 0
	s_waitcnt vmcnt(0)
	v_cvt_f64_i32_e32 v[0:1], v0
.LBB168_590:
	s_mov_b32 s8, 0
.LBB168_591:
	s_delay_alu instid0(SALU_CYCLE_1)
	s_and_not1_b32 vcc_lo, exec_lo, s8
	s_cbranch_vccnz .LBB168_597
; %bb.592:
	v_cmp_lt_i16_e32 vcc_lo, 0, v20
	s_mov_b32 s8, 0
	s_cbranch_vccz .LBB168_594
; %bb.593:
	global_load_i8 v0, v[4:5], off
	s_mov_b64 s[0:1], 0
	s_waitcnt vmcnt(0)
	v_cvt_f64_i32_e32 v[0:1], v0
	s_branch .LBB168_595
.LBB168_594:
	s_mov_b32 s8, -1
                                        ; implicit-def: $sgpr0_sgpr1
                                        ; implicit-def: $vgpr0_vgpr1
.LBB168_595:
	s_delay_alu instid0(SALU_CYCLE_1)
	s_and_not1_b32 vcc_lo, exec_lo, s8
	s_cbranch_vccnz .LBB168_597
; %bb.596:
	global_load_u8 v0, v[4:5], off
	s_mov_b64 s[0:1], 0
	s_waitcnt vmcnt(0)
	v_cvt_f64_u32_e32 v[0:1], v0
.LBB168_597:
	s_waitcnt vmcnt(0)
	v_dual_mov_b32 v3, s1 :: v_dual_mov_b32 v2, s0
.LBB168_598:
	s_branch .LBB168_308
.LBB168_599:
	s_mov_b32 s1, 0
	s_mov_b32 s0, s12
.LBB168_600:
                                        ; implicit-def: $vgpr25
.LBB168_601:
	s_and_not1_b32 s8, s12, exec_lo
	s_and_b32 s0, s0, exec_lo
	s_and_not1_b32 s9, s14, exec_lo
	s_and_b32 s16, s16, exec_lo
	s_or_b32 s17, s8, s0
	s_or_b32 s16, s9, s16
	s_or_not1_b32 s9, s1, exec_lo
.LBB168_602:
	s_or_b32 exec_lo, exec_lo, s18
	s_mov_b32 s1, 0
	s_mov_b32 s0, 0
	;; [unrolled: 1-line block ×3, first 2 shown]
                                        ; implicit-def: $vgpr4_vgpr5
                                        ; implicit-def: $vgpr2_vgpr3
	s_and_saveexec_b32 s18, s9
	s_cbranch_execz .LBB168_997
; %bb.603:
	s_mov_b32 s9, -1
	s_mov_b32 s20, s16
	s_mov_b32 s21, s17
	s_mov_b32 s19, exec_lo
	v_cmpx_gt_i32_e64 s13, v25
	s_cbranch_execz .LBB168_908
; %bb.604:
	s_waitcnt vmcnt(0)
	v_mul_lo_u32 v0, v25, s3
	v_cmp_gt_i16_e32 vcc_lo, 11, v20
	s_delay_alu instid0(VALU_DEP_2) | instskip(SKIP_1) | instid1(VALU_DEP_1)
	v_ashrrev_i32_e32 v1, 31, v0
	v_add_co_u32 v4, s0, s6, v0
	v_add_co_ci_u32_e64 v5, s0, s7, v1, s0
	s_cbranch_vccnz .LBB168_611
; %bb.605:
	v_cmp_lt_i16_e32 vcc_lo, 25, v20
	s_cbranch_vccz .LBB168_612
; %bb.606:
	v_cmp_lt_i16_e32 vcc_lo, 28, v20
	s_cbranch_vccz .LBB168_613
	;; [unrolled: 3-line block ×4, first 2 shown]
; %bb.609:
	v_cmp_eq_u16_e32 vcc_lo, 46, v20
	s_mov_b32 s0, 0
	s_cbranch_vccz .LBB168_620
; %bb.610:
	global_load_b32 v0, v[4:5], off
	s_mov_b32 s8, -1
	s_mov_b32 s20, 0
	s_waitcnt vmcnt(0)
	v_lshlrev_b32_e32 v1, 16, v0
	v_and_b32_e32 v2, 0xffff0000, v0
	s_delay_alu instid0(VALU_DEP_2) | instskip(NEXT) | instid1(VALU_DEP_2)
	v_cvt_f64_f32_e32 v[0:1], v1
	v_cvt_f64_f32_e32 v[2:3], v2
	s_branch .LBB168_622
.LBB168_611:
	s_mov_b32 s0, -1
	s_mov_b32 s20, s16
                                        ; implicit-def: $vgpr2_vgpr3
	s_branch .LBB168_690
.LBB168_612:
	s_mov_b32 s0, -1
	s_mov_b32 s20, s16
                                        ; implicit-def: $vgpr2_vgpr3
	s_branch .LBB168_655
.LBB168_613:
	s_mov_b32 s0, -1
	s_mov_b32 s20, s16
                                        ; implicit-def: $vgpr2_vgpr3
	s_branch .LBB168_634
.LBB168_614:
	s_mov_b32 s0, -1
	s_mov_b32 s20, s16
                                        ; implicit-def: $vgpr2_vgpr3
	s_branch .LBB168_628
.LBB168_615:
	s_or_saveexec_b32 s9, s9
                                        ; implicit-def: $sgpr17
	s_delay_alu instid0(SALU_CYCLE_1)
	s_xor_b32 exec_lo, exec_lo, s9
	s_cbranch_execz .LBB168_394
.LBB168_616:
	v_add_f32_e64 v8, 0x46000000, |v3|
	s_and_not1_b32 s8, s8, exec_lo
	s_mov_b32 s17, 0
	s_delay_alu instid0(VALU_DEP_1) | instskip(NEXT) | instid1(VALU_DEP_1)
	v_and_b32_e32 v8, 0xff, v8
	v_cmp_ne_u32_e32 vcc_lo, 0, v8
	s_and_b32 s19, vcc_lo, exec_lo
	s_delay_alu instid0(SALU_CYCLE_1)
	s_or_b32 s8, s8, s19
	s_or_b32 exec_lo, exec_lo, s9
	v_mov_b32_e32 v9, s17
	s_and_saveexec_b32 s9, s8
	s_cbranch_execnz .LBB168_395
	s_branch .LBB168_396
.LBB168_617:
	s_mov_b32 s0, -1
	s_mov_b32 s20, s16
	s_branch .LBB168_621
.LBB168_618:
	s_or_saveexec_b32 s9, s9
                                        ; implicit-def: $sgpr17
	s_delay_alu instid0(SALU_CYCLE_1)
	s_xor_b32 exec_lo, exec_lo, s9
	s_cbranch_execz .LBB168_407
.LBB168_619:
	v_add_f32_e64 v8, 0x42800000, |v3|
	s_and_not1_b32 s8, s8, exec_lo
	s_mov_b32 s17, 0
	s_delay_alu instid0(VALU_DEP_1) | instskip(NEXT) | instid1(VALU_DEP_1)
	v_and_b32_e32 v8, 0xff, v8
	v_cmp_ne_u32_e32 vcc_lo, 0, v8
	s_and_b32 s19, vcc_lo, exec_lo
	s_delay_alu instid0(SALU_CYCLE_1)
	s_or_b32 s8, s8, s19
	s_or_b32 exec_lo, exec_lo, s9
	v_mov_b32_e32 v9, s17
	s_and_saveexec_b32 s9, s8
	s_cbranch_execnz .LBB168_408
	s_branch .LBB168_409
.LBB168_620:
	s_mov_b32 s20, -1
.LBB168_621:
                                        ; implicit-def: $vgpr2_vgpr3
.LBB168_622:
	s_and_b32 vcc_lo, exec_lo, s0
	s_cbranch_vccz .LBB168_627
; %bb.623:
	v_cmp_eq_u16_e32 vcc_lo, 44, v20
	s_cbranch_vccz .LBB168_625
; %bb.624:
	global_load_u8 v2, v[4:5], off
	s_mov_b32 s20, 0
	s_mov_b32 s8, -1
	s_mov_b64 s[0:1], 0
	s_waitcnt vmcnt(0)
	v_cmp_ne_u32_e32 vcc_lo, 0xff, v2
	v_lshlrev_b32_e32 v0, 23, v2
	s_delay_alu instid0(VALU_DEP_1) | instskip(NEXT) | instid1(VALU_DEP_1)
	v_cvt_f64_f32_e32 v[0:1], v0
	v_cndmask_b32_e32 v1, 0x7ff80000, v1, vcc_lo
	s_delay_alu instid0(VALU_DEP_2) | instskip(SKIP_1) | instid1(VALU_DEP_3)
	v_cndmask_b32_e32 v0, 0x20000000, v0, vcc_lo
	v_cmp_ne_u32_e32 vcc_lo, 0, v2
	v_cndmask_b32_e32 v1, 0x38000000, v1, vcc_lo
	s_delay_alu instid0(VALU_DEP_3)
	v_cndmask_b32_e32 v0, 0, v0, vcc_lo
	s_branch .LBB168_626
.LBB168_625:
	s_mov_b32 s20, -1
                                        ; implicit-def: $sgpr0_sgpr1
                                        ; implicit-def: $vgpr0_vgpr1
.LBB168_626:
	v_dual_mov_b32 v3, s1 :: v_dual_mov_b32 v2, s0
.LBB168_627:
	s_mov_b32 s0, 0
.LBB168_628:
	s_delay_alu instid0(SALU_CYCLE_1)
	s_and_b32 vcc_lo, exec_lo, s0
	s_cbranch_vccz .LBB168_633
; %bb.629:
	v_cmp_eq_u16_e32 vcc_lo, 29, v20
	s_cbranch_vccz .LBB168_631
; %bb.630:
	global_load_b64 v[0:1], v[4:5], off
	s_mov_b32 s8, -1
	s_mov_b32 s20, 0
	s_mov_b64 s[0:1], 0
	s_waitcnt vmcnt(0)
	v_cvt_f64_u32_e32 v[1:2], v1
	v_cvt_f64_u32_e32 v[6:7], v0
	s_delay_alu instid0(VALU_DEP_2) | instskip(NEXT) | instid1(VALU_DEP_1)
	v_ldexp_f64 v[1:2], v[1:2], 32
	v_add_f64 v[0:1], v[1:2], v[6:7]
	s_branch .LBB168_632
.LBB168_631:
	s_mov_b32 s20, -1
                                        ; implicit-def: $sgpr0_sgpr1
                                        ; implicit-def: $vgpr0_vgpr1
.LBB168_632:
	v_dual_mov_b32 v3, s1 :: v_dual_mov_b32 v2, s0
.LBB168_633:
	s_mov_b32 s0, 0
.LBB168_634:
	s_delay_alu instid0(SALU_CYCLE_1)
	s_and_b32 vcc_lo, exec_lo, s0
	s_cbranch_vccz .LBB168_654
; %bb.635:
	v_cmp_gt_i16_e32 vcc_lo, 27, v20
	s_cbranch_vccnz .LBB168_638
; %bb.636:
	v_cmp_lt_i16_e32 vcc_lo, 27, v20
	s_cbranch_vccz .LBB168_639
; %bb.637:
	global_load_b32 v0, v[4:5], off
	s_mov_b32 s8, 0
	s_mov_b64 s[0:1], 0
	s_waitcnt vmcnt(0)
	v_cvt_f64_u32_e32 v[0:1], v0
	s_branch .LBB168_640
.LBB168_638:
	s_mov_b32 s8, -1
                                        ; implicit-def: $sgpr0_sgpr1
                                        ; implicit-def: $vgpr0_vgpr1
	s_branch .LBB168_643
.LBB168_639:
	s_mov_b32 s8, -1
                                        ; implicit-def: $sgpr0_sgpr1
                                        ; implicit-def: $vgpr0_vgpr1
.LBB168_640:
	s_delay_alu instid0(SALU_CYCLE_1)
	s_and_not1_b32 vcc_lo, exec_lo, s8
	s_cbranch_vccnz .LBB168_642
; %bb.641:
	global_load_u16 v0, v[4:5], off
	s_mov_b64 s[0:1], 0
	s_waitcnt vmcnt(0)
	v_cvt_f64_u32_e32 v[0:1], v0
.LBB168_642:
	s_mov_b32 s8, 0
.LBB168_643:
	v_dual_mov_b32 v3, s1 :: v_dual_mov_b32 v2, s0
	s_and_not1_b32 vcc_lo, exec_lo, s8
	s_cbranch_vccnz .LBB168_653
; %bb.644:
	global_load_u8 v6, v[4:5], off
	s_mov_b32 s21, 0
	s_mov_b32 s22, exec_lo
                                        ; implicit-def: $sgpr0_sgpr1
                                        ; implicit-def: $sgpr8_sgpr9
	s_waitcnt vmcnt(0)
	v_cmpx_lt_i16_e32 0x7f, v6
	s_xor_b32 s22, exec_lo, s22
	s_cbranch_execz .LBB168_648
; %bb.645:
	s_mov_b32 s21, -1
	s_mov_b32 s23, exec_lo
                                        ; implicit-def: $sgpr0_sgpr1
                                        ; implicit-def: $sgpr8_sgpr9
	v_cmpx_eq_u16_e32 0x80, v6
; %bb.646:
	s_mov_b64 s[0:1], 0
	s_mov_b32 s9, 0x7ff80000
	s_brev_b32 s8, 4
	s_xor_b32 s21, exec_lo, -1
; %bb.647:
	s_or_b32 exec_lo, exec_lo, s23
	s_delay_alu instid0(SALU_CYCLE_1)
	s_and_b32 s21, s21, exec_lo
.LBB168_648:
	s_or_saveexec_b32 s22, s22
	v_dual_mov_b32 v3, s1 :: v_dual_mov_b32 v2, s0
	v_dual_mov_b32 v0, s8 :: v_dual_mov_b32 v1, s9
	s_xor_b32 exec_lo, exec_lo, s22
; %bb.649:
	v_mov_b32_e32 v2, 0
	v_mov_b32_e32 v3, 0
	v_cmp_ne_u16_e32 vcc_lo, 0, v6
	s_delay_alu instid0(VALU_DEP_3) | instskip(SKIP_1) | instid1(VALU_DEP_3)
	v_mov_b32_e32 v0, v2
	s_and_not1_b32 s0, s21, exec_lo
	v_mov_b32_e32 v1, v3
	s_and_b32 s1, vcc_lo, exec_lo
	s_delay_alu instid0(SALU_CYCLE_1)
	s_or_b32 s21, s0, s1
; %bb.650:
	s_or_b32 exec_lo, exec_lo, s22
	s_and_saveexec_b32 s0, s21
	s_cbranch_execz .LBB168_652
; %bb.651:
	v_and_b32_e32 v0, 0xffff, v6
	v_lshlrev_b32_e32 v6, 24, v6
	s_delay_alu instid0(VALU_DEP_2) | instskip(NEXT) | instid1(VALU_DEP_1)
	v_and_b32_e32 v1, 7, v0
	v_clz_i32_u32_e32 v2, v1
	s_delay_alu instid0(VALU_DEP_1) | instskip(NEXT) | instid1(VALU_DEP_1)
	v_min_u32_e32 v2, 32, v2
	v_subrev_nc_u32_e32 v3, 28, v2
	v_sub_nc_u32_e32 v2, 29, v2
	s_delay_alu instid0(VALU_DEP_2) | instskip(SKIP_1) | instid1(VALU_DEP_2)
	v_lshlrev_b32_e32 v3, v3, v0
	v_bfe_u32 v0, v0, 3, 4
	v_and_b32_e32 v3, 7, v3
	s_delay_alu instid0(VALU_DEP_2) | instskip(NEXT) | instid1(VALU_DEP_2)
	v_cmp_eq_u32_e32 vcc_lo, 0, v0
	v_dual_cndmask_b32 v0, v0, v2 :: v_dual_cndmask_b32 v1, v1, v3
	v_and_b32_e32 v2, 0x80000000, v6
	s_delay_alu instid0(VALU_DEP_2) | instskip(NEXT) | instid1(VALU_DEP_3)
	v_lshl_add_u32 v0, v0, 23, 0x3b800000
	v_lshlrev_b32_e32 v1, 20, v1
	s_delay_alu instid0(VALU_DEP_1) | instskip(SKIP_2) | instid1(VALU_DEP_3)
	v_or3_b32 v0, v2, v0, v1
	v_mov_b32_e32 v2, 0
	v_mov_b32_e32 v3, 0
	v_cvt_f64_f32_e32 v[0:1], v0
.LBB168_652:
	s_or_b32 exec_lo, exec_lo, s0
.LBB168_653:
	s_mov_b32 s8, -1
.LBB168_654:
	s_mov_b32 s0, 0
.LBB168_655:
	s_delay_alu instid0(SALU_CYCLE_1)
	s_and_b32 vcc_lo, exec_lo, s0
	s_cbranch_vccz .LBB168_689
; %bb.656:
	v_cmp_lt_i16_e32 vcc_lo, 22, v20
	s_cbranch_vccz .LBB168_668
; %bb.657:
	v_cmp_gt_i16_e32 vcc_lo, 24, v20
	s_cbranch_vccnz .LBB168_669
; %bb.658:
	v_cmp_lt_i16_e32 vcc_lo, 24, v20
	s_cbranch_vccz .LBB168_670
; %bb.659:
	global_load_u8 v6, v[4:5], off
	s_mov_b32 s21, 0
	s_mov_b32 s22, exec_lo
                                        ; implicit-def: $sgpr0_sgpr1
                                        ; implicit-def: $sgpr8_sgpr9
	s_waitcnt vmcnt(0)
	v_cmpx_lt_i16_e32 0x7f, v6
	s_xor_b32 s22, exec_lo, s22
	s_cbranch_execz .LBB168_663
; %bb.660:
	s_mov_b32 s21, -1
	s_mov_b32 s23, exec_lo
                                        ; implicit-def: $sgpr0_sgpr1
                                        ; implicit-def: $sgpr8_sgpr9
	v_cmpx_eq_u16_e32 0x80, v6
; %bb.661:
	s_mov_b64 s[0:1], 0
	s_mov_b32 s9, 0x7ff80000
	s_brev_b32 s8, 4
	s_xor_b32 s21, exec_lo, -1
; %bb.662:
	s_or_b32 exec_lo, exec_lo, s23
	s_delay_alu instid0(SALU_CYCLE_1)
	s_and_b32 s21, s21, exec_lo
.LBB168_663:
	s_or_saveexec_b32 s22, s22
	v_dual_mov_b32 v3, s1 :: v_dual_mov_b32 v2, s0
	v_dual_mov_b32 v0, s8 :: v_dual_mov_b32 v1, s9
	s_xor_b32 exec_lo, exec_lo, s22
; %bb.664:
	v_mov_b32_e32 v2, 0
	v_mov_b32_e32 v3, 0
	v_cmp_ne_u16_e32 vcc_lo, 0, v6
	s_delay_alu instid0(VALU_DEP_3) | instskip(SKIP_1) | instid1(VALU_DEP_3)
	v_mov_b32_e32 v0, v2
	s_and_not1_b32 s0, s21, exec_lo
	v_mov_b32_e32 v1, v3
	s_and_b32 s1, vcc_lo, exec_lo
	s_delay_alu instid0(SALU_CYCLE_1)
	s_or_b32 s21, s0, s1
; %bb.665:
	s_or_b32 exec_lo, exec_lo, s22
	s_and_saveexec_b32 s0, s21
	s_cbranch_execz .LBB168_667
; %bb.666:
	v_and_b32_e32 v0, 0xffff, v6
	v_lshlrev_b32_e32 v6, 24, v6
	s_delay_alu instid0(VALU_DEP_2) | instskip(NEXT) | instid1(VALU_DEP_1)
	v_and_b32_e32 v1, 3, v0
	v_clz_i32_u32_e32 v2, v1
	s_delay_alu instid0(VALU_DEP_1) | instskip(NEXT) | instid1(VALU_DEP_1)
	v_min_u32_e32 v2, 32, v2
	v_subrev_nc_u32_e32 v3, 29, v2
	v_sub_nc_u32_e32 v2, 30, v2
	s_delay_alu instid0(VALU_DEP_2) | instskip(SKIP_1) | instid1(VALU_DEP_2)
	v_lshlrev_b32_e32 v3, v3, v0
	v_bfe_u32 v0, v0, 2, 5
	v_and_b32_e32 v3, 3, v3
	s_delay_alu instid0(VALU_DEP_2) | instskip(NEXT) | instid1(VALU_DEP_2)
	v_cmp_eq_u32_e32 vcc_lo, 0, v0
	v_dual_cndmask_b32 v0, v0, v2 :: v_dual_cndmask_b32 v1, v1, v3
	v_and_b32_e32 v2, 0x80000000, v6
	s_delay_alu instid0(VALU_DEP_2) | instskip(NEXT) | instid1(VALU_DEP_3)
	v_lshl_add_u32 v0, v0, 23, 0x37800000
	v_lshlrev_b32_e32 v1, 21, v1
	s_delay_alu instid0(VALU_DEP_1) | instskip(SKIP_2) | instid1(VALU_DEP_3)
	v_or3_b32 v0, v2, v0, v1
	v_mov_b32_e32 v2, 0
	v_mov_b32_e32 v3, 0
	v_cvt_f64_f32_e32 v[0:1], v0
.LBB168_667:
	s_or_b32 exec_lo, exec_lo, s0
	s_mov_b32 s0, 0
	s_branch .LBB168_671
.LBB168_668:
	s_mov_b32 s0, -1
                                        ; implicit-def: $vgpr2_vgpr3
	s_branch .LBB168_677
.LBB168_669:
	s_mov_b32 s0, -1
                                        ; implicit-def: $vgpr2_vgpr3
	s_branch .LBB168_674
.LBB168_670:
	s_mov_b32 s0, -1
                                        ; implicit-def: $vgpr2_vgpr3
.LBB168_671:
	s_delay_alu instid0(SALU_CYCLE_1)
	s_and_b32 vcc_lo, exec_lo, s0
	s_cbranch_vccz .LBB168_673
; %bb.672:
	global_load_u8 v0, v[4:5], off
	s_waitcnt vmcnt(0)
	v_lshlrev_b32_e32 v0, 24, v0
	s_delay_alu instid0(VALU_DEP_1) | instskip(NEXT) | instid1(VALU_DEP_1)
	v_and_b32_e32 v1, 0x7f000000, v0
	v_clz_i32_u32_e32 v2, v1
	v_add_nc_u32_e32 v6, 0x1000000, v1
	v_cmp_ne_u32_e32 vcc_lo, 0, v1
	s_delay_alu instid0(VALU_DEP_3) | instskip(NEXT) | instid1(VALU_DEP_1)
	v_min_u32_e32 v2, 32, v2
	v_sub_nc_u32_e64 v2, v2, 4 clamp
	s_delay_alu instid0(VALU_DEP_1) | instskip(SKIP_1) | instid1(VALU_DEP_2)
	v_lshlrev_b32_e32 v3, v2, v1
	v_lshlrev_b32_e32 v2, 23, v2
	v_lshrrev_b32_e32 v3, 4, v3
	s_delay_alu instid0(VALU_DEP_1) | instskip(SKIP_1) | instid1(VALU_DEP_2)
	v_sub_nc_u32_e32 v2, v3, v2
	v_ashrrev_i32_e32 v3, 8, v6
	v_add_nc_u32_e32 v2, 0x3c000000, v2
	s_delay_alu instid0(VALU_DEP_1) | instskip(NEXT) | instid1(VALU_DEP_1)
	v_and_or_b32 v2, 0x7f800000, v3, v2
	v_dual_cndmask_b32 v1, 0, v2 :: v_dual_mov_b32 v2, 0
	v_mov_b32_e32 v3, 0
	s_delay_alu instid0(VALU_DEP_2) | instskip(NEXT) | instid1(VALU_DEP_1)
	v_and_or_b32 v0, 0x80000000, v0, v1
	v_cvt_f64_f32_e32 v[0:1], v0
.LBB168_673:
	s_mov_b32 s0, 0
.LBB168_674:
	s_delay_alu instid0(SALU_CYCLE_1)
	s_and_not1_b32 vcc_lo, exec_lo, s0
	s_cbranch_vccnz .LBB168_676
; %bb.675:
	global_load_u8 v0, v[4:5], off
	s_waitcnt vmcnt(0)
	v_lshlrev_b32_e32 v1, 25, v0
	v_lshlrev_b16 v0, 8, v0
	s_delay_alu instid0(VALU_DEP_2) | instskip(NEXT) | instid1(VALU_DEP_2)
	v_lshrrev_b32_e32 v2, 4, v1
	v_and_or_b32 v3, 0x7f00, v0, 0.5
	v_bfe_i32 v0, v0, 0, 16
	s_delay_alu instid0(VALU_DEP_3) | instskip(NEXT) | instid1(VALU_DEP_1)
	v_or_b32_e32 v2, 0x70000000, v2
	v_dual_add_f32 v3, -0.5, v3 :: v_dual_mul_f32 v2, 0x7800000, v2
	v_cmp_gt_u32_e32 vcc_lo, 0x8000000, v1
	s_delay_alu instid0(VALU_DEP_2) | instskip(SKIP_1) | instid1(VALU_DEP_2)
	v_dual_cndmask_b32 v1, v2, v3 :: v_dual_mov_b32 v2, 0
	v_mov_b32_e32 v3, 0
	v_and_or_b32 v0, 0x80000000, v0, v1
	s_delay_alu instid0(VALU_DEP_1)
	v_cvt_f64_f32_e32 v[0:1], v0
.LBB168_676:
	s_mov_b32 s0, 0
	s_mov_b32 s8, -1
.LBB168_677:
	s_and_not1_b32 vcc_lo, exec_lo, s0
	s_cbranch_vccnz .LBB168_689
; %bb.678:
	v_cmp_lt_i16_e32 vcc_lo, 14, v20
	s_cbranch_vccz .LBB168_681
; %bb.679:
	v_cmp_eq_u16_e32 vcc_lo, 15, v20
	s_cbranch_vccz .LBB168_682
; %bb.680:
	global_load_u16 v0, v[4:5], off
	s_mov_b32 s8, -1
	s_mov_b32 s20, 0
	s_mov_b64 s[0:1], 0
	s_waitcnt vmcnt(0)
	v_lshlrev_b32_e32 v0, 16, v0
	s_delay_alu instid0(VALU_DEP_1)
	v_cvt_f64_f32_e32 v[0:1], v0
	s_branch .LBB168_683
.LBB168_681:
	s_mov_b32 s9, -1
                                        ; implicit-def: $sgpr0_sgpr1
                                        ; implicit-def: $vgpr0_vgpr1
	s_branch .LBB168_684
.LBB168_682:
	s_mov_b32 s20, -1
                                        ; implicit-def: $sgpr0_sgpr1
                                        ; implicit-def: $vgpr0_vgpr1
.LBB168_683:
	s_mov_b32 s9, 0
.LBB168_684:
	s_delay_alu instid0(SALU_CYCLE_1)
	s_and_b32 vcc_lo, exec_lo, s9
	s_cbranch_vccz .LBB168_688
; %bb.685:
	v_cmp_eq_u16_e32 vcc_lo, 11, v20
	s_cbranch_vccz .LBB168_687
; %bb.686:
	global_load_u8 v0, v[4:5], off
	s_mov_b32 s20, 0
	s_mov_b32 s8, -1
	s_mov_b64 s[0:1], 0
	s_waitcnt vmcnt(0)
	v_cmp_ne_u16_e32 vcc_lo, 0, v0
	v_mov_b32_e32 v0, 0
	v_cndmask_b32_e64 v1, 0, 0x3ff00000, vcc_lo
	s_branch .LBB168_688
.LBB168_687:
	s_mov_b32 s20, -1
                                        ; implicit-def: $sgpr0_sgpr1
                                        ; implicit-def: $vgpr0_vgpr1
.LBB168_688:
	v_dual_mov_b32 v3, s1 :: v_dual_mov_b32 v2, s0
.LBB168_689:
	s_mov_b32 s0, 0
.LBB168_690:
	s_delay_alu instid0(SALU_CYCLE_1)
	s_and_b32 vcc_lo, exec_lo, s0
	s_cbranch_vccz .LBB168_741
; %bb.691:
	v_cmp_gt_i16_e32 vcc_lo, 5, v20
	s_cbranch_vccnz .LBB168_696
; %bb.692:
	v_cmp_gt_i16_e32 vcc_lo, 8, v20
	s_cbranch_vccnz .LBB168_697
; %bb.693:
	v_cmp_gt_i16_e32 vcc_lo, 9, v20
	s_cbranch_vccnz .LBB168_698
; %bb.694:
	v_cmp_lt_i16_e32 vcc_lo, 9, v20
	s_cbranch_vccz .LBB168_699
; %bb.695:
	global_load_b128 v[0:3], v[4:5], off
	s_mov_b32 s0, 0
	s_branch .LBB168_700
.LBB168_696:
	s_mov_b32 s0, -1
                                        ; implicit-def: $vgpr2_vgpr3
	s_branch .LBB168_719
.LBB168_697:
	s_mov_b32 s0, -1
                                        ; implicit-def: $vgpr2_vgpr3
	s_branch .LBB168_706
.LBB168_698:
	s_mov_b32 s0, -1
                                        ; implicit-def: $vgpr2_vgpr3
	s_branch .LBB168_703
.LBB168_699:
	s_mov_b32 s0, -1
                                        ; implicit-def: $vgpr2_vgpr3
.LBB168_700:
	s_delay_alu instid0(SALU_CYCLE_1)
	s_and_not1_b32 vcc_lo, exec_lo, s0
	s_cbranch_vccnz .LBB168_702
; %bb.701:
	global_load_b64 v[1:2], v[4:5], off
	s_waitcnt vmcnt(0)
	v_cvt_f64_f32_e32 v[0:1], v1
	v_cvt_f64_f32_e32 v[2:3], v2
.LBB168_702:
	s_mov_b32 s0, 0
.LBB168_703:
	s_delay_alu instid0(SALU_CYCLE_1)
	s_and_not1_b32 vcc_lo, exec_lo, s0
	s_cbranch_vccnz .LBB168_705
; %bb.704:
	global_load_b32 v0, v[4:5], off
	s_waitcnt vmcnt(0)
	v_lshrrev_b32_e32 v1, 16, v0
	v_cvt_f32_f16_e32 v0, v0
	s_delay_alu instid0(VALU_DEP_2) | instskip(NEXT) | instid1(VALU_DEP_2)
	v_cvt_f32_f16_e32 v2, v1
	v_cvt_f64_f32_e32 v[0:1], v0
	s_delay_alu instid0(VALU_DEP_2)
	v_cvt_f64_f32_e32 v[2:3], v2
.LBB168_705:
	s_mov_b32 s0, 0
.LBB168_706:
	s_delay_alu instid0(SALU_CYCLE_1)
	s_and_not1_b32 vcc_lo, exec_lo, s0
	s_cbranch_vccnz .LBB168_718
; %bb.707:
	v_cmp_gt_i16_e32 vcc_lo, 6, v20
	s_cbranch_vccnz .LBB168_710
; %bb.708:
	v_cmp_lt_i16_e32 vcc_lo, 6, v20
	s_cbranch_vccz .LBB168_711
; %bb.709:
	global_load_b64 v[0:1], v[4:5], off
	s_mov_b32 s8, 0
	s_mov_b64 s[0:1], 0
	s_branch .LBB168_712
.LBB168_710:
	s_mov_b32 s8, -1
                                        ; implicit-def: $sgpr0_sgpr1
                                        ; implicit-def: $vgpr0_vgpr1
	s_branch .LBB168_715
.LBB168_711:
	s_mov_b32 s8, -1
                                        ; implicit-def: $sgpr0_sgpr1
                                        ; implicit-def: $vgpr0_vgpr1
.LBB168_712:
	s_delay_alu instid0(SALU_CYCLE_1)
	s_and_not1_b32 vcc_lo, exec_lo, s8
	s_cbranch_vccnz .LBB168_714
; %bb.713:
	global_load_b32 v0, v[4:5], off
	s_mov_b64 s[0:1], 0
	s_waitcnt vmcnt(0)
	v_cvt_f64_f32_e32 v[0:1], v0
.LBB168_714:
	s_mov_b32 s8, 0
.LBB168_715:
	s_delay_alu instid0(SALU_CYCLE_1)
	s_and_not1_b32 vcc_lo, exec_lo, s8
	s_cbranch_vccnz .LBB168_717
; %bb.716:
	global_load_u16 v0, v[4:5], off
	s_mov_b64 s[0:1], 0
	s_waitcnt vmcnt(0)
	v_cvt_f32_f16_e32 v0, v0
	s_delay_alu instid0(VALU_DEP_1)
	v_cvt_f64_f32_e32 v[0:1], v0
.LBB168_717:
	s_waitcnt vmcnt(0)
	v_dual_mov_b32 v3, s1 :: v_dual_mov_b32 v2, s0
.LBB168_718:
	s_mov_b32 s0, 0
.LBB168_719:
	s_delay_alu instid0(SALU_CYCLE_1)
	s_and_not1_b32 vcc_lo, exec_lo, s0
	s_cbranch_vccnz .LBB168_740
; %bb.720:
	v_cmp_gt_i16_e32 vcc_lo, 2, v20
	s_cbranch_vccnz .LBB168_724
; %bb.721:
	v_cmp_gt_i16_e32 vcc_lo, 3, v20
	s_cbranch_vccnz .LBB168_725
; %bb.722:
	v_cmp_lt_i16_e32 vcc_lo, 3, v20
	s_cbranch_vccz .LBB168_726
; %bb.723:
	global_load_b64 v[0:1], v[4:5], off
	s_mov_b32 s8, 0
	s_mov_b64 s[0:1], 0
	s_waitcnt vmcnt(0)
	v_cvt_f64_i32_e32 v[1:2], v1
	v_cvt_f64_u32_e32 v[6:7], v0
	s_delay_alu instid0(VALU_DEP_2) | instskip(NEXT) | instid1(VALU_DEP_1)
	v_ldexp_f64 v[1:2], v[1:2], 32
	v_add_f64 v[0:1], v[1:2], v[6:7]
	s_branch .LBB168_727
.LBB168_724:
	s_mov_b32 s8, -1
                                        ; implicit-def: $sgpr0_sgpr1
                                        ; implicit-def: $vgpr0_vgpr1
	s_branch .LBB168_733
.LBB168_725:
	s_mov_b32 s8, -1
                                        ; implicit-def: $sgpr0_sgpr1
                                        ; implicit-def: $vgpr0_vgpr1
	s_branch .LBB168_730
.LBB168_726:
	s_mov_b32 s8, -1
                                        ; implicit-def: $sgpr0_sgpr1
                                        ; implicit-def: $vgpr0_vgpr1
.LBB168_727:
	s_delay_alu instid0(SALU_CYCLE_1)
	s_and_not1_b32 vcc_lo, exec_lo, s8
	s_cbranch_vccnz .LBB168_729
; %bb.728:
	global_load_b32 v0, v[4:5], off
	s_mov_b64 s[0:1], 0
	s_waitcnt vmcnt(0)
	v_cvt_f64_i32_e32 v[0:1], v0
.LBB168_729:
	s_mov_b32 s8, 0
.LBB168_730:
	s_delay_alu instid0(SALU_CYCLE_1)
	s_and_not1_b32 vcc_lo, exec_lo, s8
	s_cbranch_vccnz .LBB168_732
; %bb.731:
	global_load_i16 v0, v[4:5], off
	s_mov_b64 s[0:1], 0
	s_waitcnt vmcnt(0)
	v_cvt_f64_i32_e32 v[0:1], v0
.LBB168_732:
	s_mov_b32 s8, 0
.LBB168_733:
	s_delay_alu instid0(SALU_CYCLE_1)
	s_and_not1_b32 vcc_lo, exec_lo, s8
	s_cbranch_vccnz .LBB168_739
; %bb.734:
	v_cmp_lt_i16_e32 vcc_lo, 0, v20
	s_mov_b32 s8, 0
	s_cbranch_vccz .LBB168_736
; %bb.735:
	global_load_i8 v0, v[4:5], off
	s_mov_b64 s[0:1], 0
	s_waitcnt vmcnt(0)
	v_cvt_f64_i32_e32 v[0:1], v0
	s_branch .LBB168_737
.LBB168_736:
	s_mov_b32 s8, -1
                                        ; implicit-def: $sgpr0_sgpr1
                                        ; implicit-def: $vgpr0_vgpr1
.LBB168_737:
	s_delay_alu instid0(SALU_CYCLE_1)
	s_and_not1_b32 vcc_lo, exec_lo, s8
	s_cbranch_vccnz .LBB168_739
; %bb.738:
	global_load_u8 v0, v[4:5], off
	s_mov_b64 s[0:1], 0
	s_waitcnt vmcnt(0)
	v_cvt_f64_u32_e32 v[0:1], v0
.LBB168_739:
	s_waitcnt vmcnt(0)
	v_dual_mov_b32 v3, s1 :: v_dual_mov_b32 v2, s0
.LBB168_740:
	s_mov_b32 s8, -1
.LBB168_741:
	s_delay_alu instid0(SALU_CYCLE_1)
	s_and_not1_b32 vcc_lo, exec_lo, s8
	s_cbranch_vccnz .LBB168_758
; %bb.742:
	s_waitcnt vmcnt(0)
	s_delay_alu instid0(VALU_DEP_1) | instskip(NEXT) | instid1(VALU_DEP_2)
	v_cmp_neq_f64_e32 vcc_lo, 0, v[0:1]
	v_cmp_neq_f64_e64 s0, 0, v[2:3]
	v_mov_b32_e32 v8, 0
	v_mov_b32_e32 v9, 0
	s_delay_alu instid0(VALU_DEP_3) | instskip(NEXT) | instid1(SALU_CYCLE_1)
	s_or_b32 s0, vcc_lo, s0
	s_and_saveexec_b32 s8, s0
	s_cbranch_execz .LBB168_775
; %bb.743:
	s_mov_b32 s0, 0
	s_mov_b32 s1, 0x7ff00000
	v_mov_b32_e32 v8, s0
	v_mov_b32_e32 v9, s1
	s_mov_b32 s9, exec_lo
	v_cmpx_neq_f64_e64 0x7ff00000, |v[2:3]|
	s_cbranch_execz .LBB168_774
; %bb.744:
	s_mov_b32 s0, exec_lo
	v_cmpx_o_f64_e32 v[0:1], v[0:1]
	s_xor_b32 s21, exec_lo, s0
	s_cbranch_execz .LBB168_771
; %bb.745:
	s_mov_b32 s1, exec_lo
	v_cmpx_neq_f64_e64 0x7ff00000, |v[0:1]|
	s_xor_b32 s22, exec_lo, s1
	s_cbranch_execz .LBB168_764
; %bb.746:
	v_max_f64 v[4:5], |v[2:3]|, |v[2:3]|
	v_max_f64 v[6:7], |v[0:1]|, |v[0:1]|
	s_mov_b32 s0, 0x99fcef32
	s_mov_b32 s1, 0x7fda8279
                                        ; implicit-def: $sgpr23
	s_delay_alu instid0(VALU_DEP_1) | instskip(NEXT) | instid1(VALU_DEP_1)
	v_max_f64 v[4:5], v[6:7], v[4:5]
	v_cmp_nle_f64_e64 s0, s[0:1], v[4:5]
	s_delay_alu instid0(VALU_DEP_1) | instskip(NEXT) | instid1(SALU_CYCLE_1)
	s_and_saveexec_b32 s1, s0
	s_xor_b32 s1, exec_lo, s1
	s_cbranch_execz .LBB168_750
; %bb.747:
	v_cmp_ge_f64_e64 s23, 0x200000, |v[0:1]|
	v_cmp_ge_f64_e64 s24, 0x200000, |v[2:3]|
	s_delay_alu instid0(VALU_DEP_1)
	s_and_b32 s25, s23, s24
	s_mov_b32 s23, 0
	s_and_saveexec_b32 s24, s25
; %bb.748:
	v_mul_f64 v[0:1], v[0:1], 4.0
	v_mul_f64 v[2:3], v[2:3], 4.0
	s_mov_b32 s23, exec_lo
; %bb.749:
	s_or_b32 exec_lo, exec_lo, s24
	s_delay_alu instid0(SALU_CYCLE_1)
	s_and_b32 s23, s23, exec_lo
.LBB168_750:
	s_and_not1_saveexec_b32 s1, s1
; %bb.751:
	s_delay_alu instid0(VALU_DEP_2) | instskip(NEXT) | instid1(VALU_DEP_2)
	v_ldexp_f64 v[0:1], v[0:1], -2
	v_ldexp_f64 v[2:3], v[2:3], -2
	s_and_not1_b32 s23, s23, exec_lo
; %bb.752:
	s_or_b32 exec_lo, exec_lo, s1
	s_delay_alu instid0(VALU_DEP_1) | instskip(NEXT) | instid1(VALU_DEP_3)
	v_max_f64 v[4:5], |v[2:3]|, |v[2:3]|
	v_max_f64 v[6:7], |v[0:1]|, |v[0:1]|
	v_cmp_class_f64_e64 s24, v[0:1], 0x204
	v_cmp_class_f64_e64 s25, v[2:3], 0x204
	v_cmp_le_f64_e64 s1, 0, v[0:1]
	s_delay_alu instid0(VALU_DEP_4) | instskip(NEXT) | instid1(VALU_DEP_3)
	v_max_f64 v[4:5], v[6:7], v[4:5]
	s_or_b32 s24, s25, s24
	s_delay_alu instid0(VALU_DEP_1) | instskip(NEXT) | instid1(VALU_DEP_1)
	v_frexp_exp_i32_f64_e32 v12, v[4:5]
	v_sub_nc_u32_e32 v6, 0, v12
	s_delay_alu instid0(VALU_DEP_1) | instskip(SKIP_1) | instid1(VALU_DEP_2)
	v_ldexp_f64 v[4:5], |v[2:3]|, v6
	v_ldexp_f64 v[6:7], |v[0:1]|, v6
	v_mul_f64 v[4:5], v[4:5], v[4:5]
	s_delay_alu instid0(VALU_DEP_1) | instskip(NEXT) | instid1(VALU_DEP_1)
	v_fma_f64 v[4:5], v[6:7], v[6:7], v[4:5]
	v_rsq_f64_e32 v[6:7], v[4:5]
	v_cmp_eq_f64_e32 vcc_lo, 0, v[4:5]
	s_waitcnt_depctr 0xfff
	v_mul_f64 v[8:9], v[4:5], v[6:7]
	v_mul_f64 v[6:7], v[6:7], 0.5
	s_delay_alu instid0(VALU_DEP_1) | instskip(NEXT) | instid1(VALU_DEP_1)
	v_fma_f64 v[10:11], -v[6:7], v[8:9], 0.5
	v_fma_f64 v[8:9], v[8:9], v[10:11], v[8:9]
	v_fma_f64 v[6:7], v[6:7], v[10:11], v[6:7]
	s_delay_alu instid0(VALU_DEP_2) | instskip(NEXT) | instid1(VALU_DEP_1)
	v_fma_f64 v[10:11], -v[8:9], v[8:9], v[4:5]
	v_fma_f64 v[6:7], v[10:11], v[6:7], v[8:9]
	s_delay_alu instid0(VALU_DEP_1) | instskip(SKIP_1) | instid1(VALU_DEP_2)
	v_dual_cndmask_b32 v5, v7, v5 :: v_dual_cndmask_b32 v4, v6, v4
	v_cmp_o_f64_e32 vcc_lo, v[2:3], v[2:3]
	v_ldexp_f64 v[4:5], v[4:5], v12
	s_delay_alu instid0(VALU_DEP_1) | instskip(NEXT) | instid1(VALU_DEP_2)
	v_cndmask_b32_e32 v4, 0, v4, vcc_lo
	v_cndmask_b32_e32 v5, 0x7ff80000, v5, vcc_lo
	s_delay_alu instid0(VALU_DEP_2) | instskip(NEXT) | instid1(VALU_DEP_2)
	v_cndmask_b32_e64 v4, v4, 0, s24
	v_cndmask_b32_e64 v5, v5, 0x7ff00000, s24
	s_and_saveexec_b32 s24, s1
	s_delay_alu instid0(SALU_CYCLE_1)
	s_xor_b32 s1, exec_lo, s24
	s_cbranch_execz .LBB168_759
; %bb.753:
	s_delay_alu instid0(VALU_DEP_1) | instskip(NEXT) | instid1(VALU_DEP_1)
	v_add_f64 v[0:1], v[0:1], v[4:5]
	v_mul_f64 v[0:1], v[0:1], 0.5
	s_delay_alu instid0(VALU_DEP_1) | instskip(SKIP_1) | instid1(VALU_DEP_1)
	v_cmp_gt_f64_e32 vcc_lo, 0x10000000, v[0:1]
	v_cndmask_b32_e64 v4, 0, 1, vcc_lo
	v_lshlrev_b32_e32 v4, 8, v4
	s_delay_alu instid0(VALU_DEP_1) | instskip(NEXT) | instid1(VALU_DEP_1)
	v_ldexp_f64 v[0:1], v[0:1], v4
	v_rsq_f64_e32 v[4:5], v[0:1]
	s_waitcnt_depctr 0xfff
	v_mul_f64 v[6:7], v[0:1], v[4:5]
	v_mul_f64 v[4:5], v[4:5], 0.5
	s_delay_alu instid0(VALU_DEP_1) | instskip(NEXT) | instid1(VALU_DEP_1)
	v_fma_f64 v[8:9], -v[4:5], v[6:7], 0.5
	v_fma_f64 v[6:7], v[6:7], v[8:9], v[6:7]
	v_fma_f64 v[4:5], v[4:5], v[8:9], v[4:5]
	s_delay_alu instid0(VALU_DEP_2) | instskip(NEXT) | instid1(VALU_DEP_1)
	v_fma_f64 v[8:9], -v[6:7], v[6:7], v[0:1]
	v_fma_f64 v[6:7], v[8:9], v[4:5], v[6:7]
	s_delay_alu instid0(VALU_DEP_1) | instskip(NEXT) | instid1(VALU_DEP_1)
	v_fma_f64 v[8:9], -v[6:7], v[6:7], v[0:1]
	v_fma_f64 v[4:5], v[8:9], v[4:5], v[6:7]
	v_cndmask_b32_e64 v6, 0, 0xffffff80, vcc_lo
	v_cmp_class_f64_e64 vcc_lo, v[0:1], 0x260
	s_delay_alu instid0(VALU_DEP_2) | instskip(NEXT) | instid1(VALU_DEP_1)
	v_ldexp_f64 v[4:5], v[4:5], v6
	v_dual_cndmask_b32 v1, v5, v1 :: v_dual_cndmask_b32 v0, v4, v0
	s_delay_alu instid0(VALU_DEP_1) | instskip(NEXT) | instid1(VALU_DEP_1)
	v_add_f64 v[4:5], v[0:1], v[0:1]
	v_div_scale_f64 v[6:7], null, v[4:5], v[4:5], v[2:3]
	s_delay_alu instid0(VALU_DEP_1) | instskip(SKIP_2) | instid1(VALU_DEP_1)
	v_rcp_f64_e32 v[8:9], v[6:7]
	s_waitcnt_depctr 0xfff
	v_fma_f64 v[10:11], -v[6:7], v[8:9], 1.0
	v_fma_f64 v[8:9], v[8:9], v[10:11], v[8:9]
	s_delay_alu instid0(VALU_DEP_1) | instskip(NEXT) | instid1(VALU_DEP_1)
	v_fma_f64 v[10:11], -v[6:7], v[8:9], 1.0
	v_fma_f64 v[8:9], v[8:9], v[10:11], v[8:9]
	v_div_scale_f64 v[10:11], vcc_lo, v[2:3], v[4:5], v[2:3]
	s_delay_alu instid0(VALU_DEP_1) | instskip(NEXT) | instid1(VALU_DEP_1)
	v_mul_f64 v[12:13], v[10:11], v[8:9]
	v_fma_f64 v[6:7], -v[6:7], v[12:13], v[10:11]
	s_delay_alu instid0(VALU_DEP_1) | instskip(NEXT) | instid1(VALU_DEP_1)
	v_div_fmas_f64 v[6:7], v[6:7], v[8:9], v[12:13]
	v_div_fixup_f64 v[2:3], v[6:7], v[4:5], v[2:3]
                                        ; implicit-def: $vgpr4_vgpr5
	s_and_not1_saveexec_b32 s1, s1
	s_cbranch_execnz .LBB168_760
.LBB168_754:
	s_or_b32 exec_lo, exec_lo, s1
	s_and_saveexec_b32 s1, s0
	s_delay_alu instid0(SALU_CYCLE_1)
	s_xor_b32 s0, exec_lo, s1
	s_cbranch_execz .LBB168_761
.LBB168_755:
	s_and_saveexec_b32 s1, s23
; %bb.756:
	s_delay_alu instid0(VALU_DEP_2) | instskip(NEXT) | instid1(VALU_DEP_2)
	v_mul_f64 v[0:1], v[0:1], 0.5
	v_mul_f64 v[2:3], v[2:3], 0.5
; %bb.757:
	s_or_b32 exec_lo, exec_lo, s1
	s_and_not1_saveexec_b32 s0, s0
	s_cbranch_execnz .LBB168_762
	s_branch .LBB168_763
.LBB168_758:
	s_mov_b32 s1, 0
	s_mov_b32 s0, s17
	s_branch .LBB168_906
.LBB168_759:
	s_and_not1_saveexec_b32 s1, s1
	s_cbranch_execz .LBB168_754
.LBB168_760:
	v_add_f64 v[0:1], v[4:5], -v[0:1]
	s_delay_alu instid0(VALU_DEP_1) | instskip(NEXT) | instid1(VALU_DEP_1)
	v_mul_f64 v[0:1], v[0:1], 0.5
	v_cmp_gt_f64_e32 vcc_lo, 0x10000000, v[0:1]
	v_cndmask_b32_e64 v4, 0, 1, vcc_lo
	s_delay_alu instid0(VALU_DEP_1) | instskip(NEXT) | instid1(VALU_DEP_1)
	v_lshlrev_b32_e32 v4, 8, v4
	v_ldexp_f64 v[0:1], v[0:1], v4
	s_delay_alu instid0(VALU_DEP_1) | instskip(SKIP_3) | instid1(VALU_DEP_1)
	v_rsq_f64_e32 v[4:5], v[0:1]
	s_waitcnt_depctr 0xfff
	v_mul_f64 v[6:7], v[0:1], v[4:5]
	v_mul_f64 v[4:5], v[4:5], 0.5
	v_fma_f64 v[8:9], -v[4:5], v[6:7], 0.5
	s_delay_alu instid0(VALU_DEP_1) | instskip(SKIP_1) | instid1(VALU_DEP_2)
	v_fma_f64 v[6:7], v[6:7], v[8:9], v[6:7]
	v_fma_f64 v[4:5], v[4:5], v[8:9], v[4:5]
	v_fma_f64 v[8:9], -v[6:7], v[6:7], v[0:1]
	s_delay_alu instid0(VALU_DEP_1) | instskip(NEXT) | instid1(VALU_DEP_1)
	v_fma_f64 v[6:7], v[8:9], v[4:5], v[6:7]
	v_fma_f64 v[8:9], -v[6:7], v[6:7], v[0:1]
	s_delay_alu instid0(VALU_DEP_1) | instskip(SKIP_3) | instid1(VALU_DEP_3)
	v_fma_f64 v[4:5], v[8:9], v[4:5], v[6:7]
	v_cndmask_b32_e64 v6, 0, 0xffffff80, vcc_lo
	v_cmp_class_f64_e64 vcc_lo, v[0:1], 0x260
	v_and_b32_e32 v7, 0x7fffffff, v3
	v_ldexp_f64 v[4:5], v[4:5], v6
	s_delay_alu instid0(VALU_DEP_1) | instskip(NEXT) | instid1(VALU_DEP_1)
	v_dual_cndmask_b32 v5, v5, v1 :: v_dual_cndmask_b32 v4, v4, v0
	v_add_f64 v[0:1], v[4:5], v[4:5]
	v_bfi_b32 v5, 0x7fffffff, v5, v3
	v_mov_b32_e32 v6, v2
	s_delay_alu instid0(VALU_DEP_1) | instskip(SKIP_1) | instid1(VALU_DEP_2)
	v_div_scale_f64 v[8:9], null, v[0:1], v[0:1], v[6:7]
	v_div_scale_f64 v[6:7], vcc_lo, v[6:7], v[0:1], v[6:7]
	v_rcp_f64_e32 v[10:11], v[8:9]
	s_waitcnt_depctr 0xfff
	v_fma_f64 v[12:13], -v[8:9], v[10:11], 1.0
	s_delay_alu instid0(VALU_DEP_1) | instskip(NEXT) | instid1(VALU_DEP_1)
	v_fma_f64 v[10:11], v[10:11], v[12:13], v[10:11]
	v_fma_f64 v[12:13], -v[8:9], v[10:11], 1.0
	s_delay_alu instid0(VALU_DEP_1) | instskip(NEXT) | instid1(VALU_DEP_1)
	v_fma_f64 v[10:11], v[10:11], v[12:13], v[10:11]
	v_mul_f64 v[12:13], v[6:7], v[10:11]
	s_delay_alu instid0(VALU_DEP_1) | instskip(NEXT) | instid1(VALU_DEP_1)
	v_fma_f64 v[6:7], -v[8:9], v[12:13], v[6:7]
	v_div_fmas_f64 v[6:7], v[6:7], v[10:11], v[12:13]
	s_delay_alu instid0(VALU_DEP_1) | instskip(SKIP_3) | instid1(SALU_CYCLE_1)
	v_div_fixup_f64 v[0:1], v[6:7], v[0:1], |v[2:3]|
	v_dual_mov_b32 v2, v4 :: v_dual_mov_b32 v3, v5
	s_or_b32 exec_lo, exec_lo, s1
	s_and_saveexec_b32 s1, s0
	s_xor_b32 s0, exec_lo, s1
	s_cbranch_execnz .LBB168_755
.LBB168_761:
	s_and_not1_saveexec_b32 s0, s0
.LBB168_762:
	s_delay_alu instid0(VALU_DEP_2) | instskip(NEXT) | instid1(VALU_DEP_2)
	v_add_f64 v[0:1], v[0:1], v[0:1]
	v_add_f64 v[2:3], v[2:3], v[2:3]
.LBB168_763:
	s_or_b32 exec_lo, exec_lo, s0
.LBB168_764:
	s_and_not1_saveexec_b32 s0, s22
	s_cbranch_execz .LBB168_770
; %bb.765:
	s_delay_alu instid0(VALU_DEP_1) | instskip(SKIP_1) | instid1(VALU_DEP_3)
	v_add_f64 v[4:5], v[2:3], -v[2:3]
	s_mov_b32 s1, exec_lo
	v_cmpx_lt_i64_e32 -1, v[0:1]
	s_xor_b32 s1, exec_lo, s1
; %bb.766:
	s_delay_alu instid0(VALU_DEP_2) | instskip(NEXT) | instid1(VALU_DEP_1)
	v_bfi_b32 v5, 0x7fffffff, v5, v3
	v_dual_mov_b32 v2, v4 :: v_dual_mov_b32 v3, v5
                                        ; implicit-def: $vgpr4_vgpr5
; %bb.767:
	s_and_not1_saveexec_b32 s1, s1
; %bb.768:
	s_delay_alu instid0(VALU_DEP_1) | instskip(SKIP_1) | instid1(VALU_DEP_2)
	v_bfi_b32 v1, 0x7fffffff, v1, v3
	v_and_b32_e32 v5, 0x7fffffff, v5
	v_dual_mov_b32 v3, v1 :: v_dual_mov_b32 v2, v0
	s_delay_alu instid0(VALU_DEP_2)
	v_dual_mov_b32 v0, v4 :: v_dual_mov_b32 v1, v5
; %bb.769:
	s_or_b32 exec_lo, exec_lo, s1
.LBB168_770:
	s_delay_alu instid0(SALU_CYCLE_1)
	s_or_b32 exec_lo, exec_lo, s0
.LBB168_771:
	s_and_not1_saveexec_b32 s0, s21
; %bb.772:
	s_delay_alu instid0(VALU_DEP_1) | instskip(NEXT) | instid1(VALU_DEP_1)
	v_add_f64 v[2:3], v[2:3], -v[2:3]
	v_div_scale_f64 v[4:5], vcc_lo, v[2:3], v[2:3], v[2:3]
	s_delay_alu instid0(VALU_DEP_1) | instskip(SKIP_2) | instid1(VALU_DEP_1)
	v_rcp_f64_e32 v[6:7], v[4:5]
	s_waitcnt_depctr 0xfff
	v_fma_f64 v[8:9], -v[4:5], v[6:7], 1.0
	v_fma_f64 v[6:7], v[6:7], v[8:9], v[6:7]
	s_delay_alu instid0(VALU_DEP_1) | instskip(NEXT) | instid1(VALU_DEP_1)
	v_fma_f64 v[8:9], -v[4:5], v[6:7], 1.0
	v_fma_f64 v[6:7], v[6:7], v[8:9], v[6:7]
	s_delay_alu instid0(VALU_DEP_1) | instskip(NEXT) | instid1(VALU_DEP_1)
	v_mul_f64 v[8:9], v[4:5], v[6:7]
	v_fma_f64 v[4:5], -v[4:5], v[8:9], v[4:5]
	s_delay_alu instid0(VALU_DEP_1) | instskip(NEXT) | instid1(VALU_DEP_1)
	v_div_fmas_f64 v[4:5], v[4:5], v[6:7], v[8:9]
	v_div_fixup_f64 v[2:3], v[4:5], v[2:3], v[2:3]
; %bb.773:
	s_or_b32 exec_lo, exec_lo, s0
	v_dual_mov_b32 v9, v1 :: v_dual_mov_b32 v8, v0
.LBB168_774:
	s_or_b32 exec_lo, exec_lo, s9
.LBB168_775:
	s_delay_alu instid0(SALU_CYCLE_1) | instskip(NEXT) | instid1(VALU_DEP_1)
	s_or_b32 exec_lo, exec_lo, s8
	v_cmp_gt_f64_e32 vcc_lo, 0, v[8:9]
	s_delay_alu instid0(VALU_DEP_3) | instskip(SKIP_2) | instid1(VALU_DEP_2)
	v_cmp_gt_f64_e64 s0, 0, v[2:3]
	v_xor_b32_e32 v0, 0x80000000, v9
	v_xor_b32_e32 v4, 0x80000000, v3
                                        ; implicit-def: $vgpr6_vgpr7
	v_cndmask_b32_e32 v1, v9, v0, vcc_lo
	s_delay_alu instid0(VALU_DEP_2) | instskip(SKIP_3) | instid1(VALU_DEP_1)
	v_cndmask_b32_e64 v11, v3, v4, s0
	v_cndmask_b32_e32 v0, v8, v8, vcc_lo
	v_cndmask_b32_e64 v10, v2, v2, s0
	s_mov_b32 s0, exec_lo
	v_cmpx_ge_f64_e32 v[0:1], v[10:11]
	s_xor_b32 s1, exec_lo, s0
	s_cbranch_execz .LBB168_781
; %bb.776:
	v_cmp_neq_f64_e32 vcc_lo, 0, v[8:9]
	v_cmp_neq_f64_e64 s0, 0, v[2:3]
                                        ; implicit-def: $vgpr6_vgpr7
	s_delay_alu instid0(VALU_DEP_1) | instskip(NEXT) | instid1(SALU_CYCLE_1)
	s_or_b32 s0, vcc_lo, s0
	s_and_saveexec_b32 s8, s0
	s_delay_alu instid0(SALU_CYCLE_1)
	s_xor_b32 s0, exec_lo, s8
	s_cbranch_execz .LBB168_778
; %bb.777:
	v_div_scale_f64 v[0:1], null, v[8:9], v[8:9], v[2:3]
	v_div_scale_f64 v[10:11], vcc_lo, v[2:3], v[8:9], v[2:3]
	s_delay_alu instid0(VALU_DEP_2) | instskip(SKIP_2) | instid1(VALU_DEP_1)
	v_rcp_f64_e32 v[4:5], v[0:1]
	s_waitcnt_depctr 0xfff
	v_fma_f64 v[6:7], -v[0:1], v[4:5], 1.0
	v_fma_f64 v[4:5], v[4:5], v[6:7], v[4:5]
	s_delay_alu instid0(VALU_DEP_1) | instskip(NEXT) | instid1(VALU_DEP_1)
	v_fma_f64 v[6:7], -v[0:1], v[4:5], 1.0
	v_fma_f64 v[4:5], v[4:5], v[6:7], v[4:5]
	s_delay_alu instid0(VALU_DEP_1) | instskip(NEXT) | instid1(VALU_DEP_1)
	v_mul_f64 v[6:7], v[10:11], v[4:5]
	v_fma_f64 v[0:1], -v[0:1], v[6:7], v[10:11]
	s_delay_alu instid0(VALU_DEP_1) | instskip(NEXT) | instid1(VALU_DEP_1)
	v_div_fmas_f64 v[0:1], v[0:1], v[4:5], v[6:7]
	v_div_fixup_f64 v[0:1], v[0:1], v[8:9], v[2:3]
	s_delay_alu instid0(VALU_DEP_1) | instskip(NEXT) | instid1(VALU_DEP_1)
	v_fma_f64 v[2:3], v[2:3], v[0:1], v[8:9]
	v_div_scale_f64 v[4:5], null, v[2:3], v[2:3], 1.0
	v_div_scale_f64 v[10:11], vcc_lo, 1.0, v[2:3], 1.0
	s_delay_alu instid0(VALU_DEP_2) | instskip(SKIP_2) | instid1(VALU_DEP_1)
	v_rcp_f64_e32 v[6:7], v[4:5]
	s_waitcnt_depctr 0xfff
	v_fma_f64 v[8:9], -v[4:5], v[6:7], 1.0
	v_fma_f64 v[6:7], v[6:7], v[8:9], v[6:7]
	s_delay_alu instid0(VALU_DEP_1) | instskip(NEXT) | instid1(VALU_DEP_1)
	v_fma_f64 v[8:9], -v[4:5], v[6:7], 1.0
	v_fma_f64 v[6:7], v[6:7], v[8:9], v[6:7]
	s_delay_alu instid0(VALU_DEP_1) | instskip(NEXT) | instid1(VALU_DEP_1)
	v_mul_f64 v[8:9], v[10:11], v[6:7]
	v_fma_f64 v[4:5], -v[4:5], v[8:9], v[10:11]
                                        ; implicit-def: $vgpr10_vgpr11
	s_delay_alu instid0(VALU_DEP_1) | instskip(SKIP_2) | instid1(VALU_DEP_3)
	v_div_fmas_f64 v[4:5], v[4:5], v[6:7], v[8:9]
	v_fma_f64 v[6:7], v[0:1], 0, 1.0
	v_add_f64 v[0:1], -v[0:1], 0
	v_div_fixup_f64 v[2:3], v[4:5], v[2:3], 1.0
	s_delay_alu instid0(VALU_DEP_1) | instskip(NEXT) | instid1(VALU_DEP_3)
	v_mul_f64 v[4:5], v[6:7], v[2:3]
	v_mul_f64 v[6:7], v[0:1], v[2:3]
                                        ; implicit-def: $vgpr0_vgpr1
.LBB168_778:
	s_and_not1_saveexec_b32 s8, s0
	s_cbranch_execz .LBB168_780
; %bb.779:
	v_div_scale_f64 v[2:3], null, v[0:1], v[0:1], 1.0
	v_div_scale_f64 v[4:5], null, v[10:11], v[10:11], 0
	v_div_scale_f64 v[16:17], vcc_lo, 1.0, v[0:1], 1.0
	s_delay_alu instid0(VALU_DEP_3) | instskip(NEXT) | instid1(VALU_DEP_2)
	v_rcp_f64_e32 v[6:7], v[2:3]
	v_rcp_f64_e32 v[8:9], v[4:5]
	s_waitcnt_depctr 0xfff
	v_fma_f64 v[12:13], -v[2:3], v[6:7], 1.0
	v_fma_f64 v[14:15], -v[4:5], v[8:9], 1.0
	s_delay_alu instid0(VALU_DEP_2) | instskip(NEXT) | instid1(VALU_DEP_2)
	v_fma_f64 v[6:7], v[6:7], v[12:13], v[6:7]
	v_fma_f64 v[8:9], v[8:9], v[14:15], v[8:9]
	s_delay_alu instid0(VALU_DEP_2) | instskip(NEXT) | instid1(VALU_DEP_2)
	v_fma_f64 v[12:13], -v[2:3], v[6:7], 1.0
	v_fma_f64 v[14:15], -v[4:5], v[8:9], 1.0
	s_delay_alu instid0(VALU_DEP_2) | instskip(SKIP_1) | instid1(VALU_DEP_3)
	v_fma_f64 v[6:7], v[6:7], v[12:13], v[6:7]
	v_div_scale_f64 v[12:13], s0, 0, v[10:11], 0
	v_fma_f64 v[8:9], v[8:9], v[14:15], v[8:9]
	s_delay_alu instid0(VALU_DEP_3) | instskip(NEXT) | instid1(VALU_DEP_2)
	v_mul_f64 v[14:15], v[16:17], v[6:7]
	v_mul_f64 v[18:19], v[12:13], v[8:9]
	s_delay_alu instid0(VALU_DEP_2) | instskip(NEXT) | instid1(VALU_DEP_2)
	v_fma_f64 v[2:3], -v[2:3], v[14:15], v[16:17]
	v_fma_f64 v[4:5], -v[4:5], v[18:19], v[12:13]
	s_delay_alu instid0(VALU_DEP_2) | instskip(SKIP_1) | instid1(VALU_DEP_2)
	v_div_fmas_f64 v[2:3], v[2:3], v[6:7], v[14:15]
	s_mov_b32 vcc_lo, s0
	v_div_fmas_f64 v[6:7], v[4:5], v[8:9], v[18:19]
	s_delay_alu instid0(VALU_DEP_2) | instskip(NEXT) | instid1(VALU_DEP_2)
	v_div_fixup_f64 v[4:5], v[2:3], v[0:1], 1.0
	v_div_fixup_f64 v[6:7], v[6:7], v[10:11], 0
.LBB168_780:
	s_or_b32 exec_lo, exec_lo, s8
                                        ; implicit-def: $vgpr2_vgpr3
                                        ; implicit-def: $vgpr8_vgpr9
.LBB168_781:
	s_and_not1_saveexec_b32 s0, s1
	s_cbranch_execz .LBB168_783
; %bb.782:
	v_div_scale_f64 v[0:1], null, v[2:3], v[2:3], v[8:9]
	v_div_scale_f64 v[10:11], vcc_lo, v[8:9], v[2:3], v[8:9]
	s_delay_alu instid0(VALU_DEP_2) | instskip(SKIP_2) | instid1(VALU_DEP_1)
	v_rcp_f64_e32 v[4:5], v[0:1]
	s_waitcnt_depctr 0xfff
	v_fma_f64 v[6:7], -v[0:1], v[4:5], 1.0
	v_fma_f64 v[4:5], v[4:5], v[6:7], v[4:5]
	s_delay_alu instid0(VALU_DEP_1) | instskip(NEXT) | instid1(VALU_DEP_1)
	v_fma_f64 v[6:7], -v[0:1], v[4:5], 1.0
	v_fma_f64 v[4:5], v[4:5], v[6:7], v[4:5]
	s_delay_alu instid0(VALU_DEP_1) | instskip(NEXT) | instid1(VALU_DEP_1)
	v_mul_f64 v[6:7], v[10:11], v[4:5]
	v_fma_f64 v[0:1], -v[0:1], v[6:7], v[10:11]
	s_delay_alu instid0(VALU_DEP_1) | instskip(NEXT) | instid1(VALU_DEP_1)
	v_div_fmas_f64 v[0:1], v[0:1], v[4:5], v[6:7]
	v_div_fixup_f64 v[0:1], v[0:1], v[2:3], v[8:9]
	s_delay_alu instid0(VALU_DEP_1) | instskip(NEXT) | instid1(VALU_DEP_1)
	v_fma_f64 v[2:3], v[8:9], v[0:1], v[2:3]
	v_div_scale_f64 v[4:5], null, v[2:3], v[2:3], 1.0
	v_div_scale_f64 v[10:11], vcc_lo, 1.0, v[2:3], 1.0
	s_delay_alu instid0(VALU_DEP_2) | instskip(SKIP_2) | instid1(VALU_DEP_1)
	v_rcp_f64_e32 v[6:7], v[4:5]
	s_waitcnt_depctr 0xfff
	v_fma_f64 v[8:9], -v[4:5], v[6:7], 1.0
	v_fma_f64 v[6:7], v[6:7], v[8:9], v[6:7]
	s_delay_alu instid0(VALU_DEP_1) | instskip(NEXT) | instid1(VALU_DEP_1)
	v_fma_f64 v[8:9], -v[4:5], v[6:7], 1.0
	v_fma_f64 v[6:7], v[6:7], v[8:9], v[6:7]
	s_delay_alu instid0(VALU_DEP_1) | instskip(NEXT) | instid1(VALU_DEP_1)
	v_mul_f64 v[8:9], v[10:11], v[6:7]
	v_fma_f64 v[4:5], -v[4:5], v[8:9], v[10:11]
	s_delay_alu instid0(VALU_DEP_1) | instskip(SKIP_2) | instid1(VALU_DEP_3)
	v_div_fmas_f64 v[4:5], v[4:5], v[6:7], v[8:9]
	v_add_f64 v[6:7], v[0:1], 0
	v_fma_f64 v[0:1], v[0:1], 0, -1.0
	v_div_fixup_f64 v[2:3], v[4:5], v[2:3], 1.0
	s_delay_alu instid0(VALU_DEP_1) | instskip(NEXT) | instid1(VALU_DEP_3)
	v_mul_f64 v[4:5], v[6:7], v[2:3]
	v_mul_f64 v[6:7], v[0:1], v[2:3]
.LBB168_783:
	s_or_b32 exec_lo, exec_lo, s0
	v_mul_lo_u32 v0, v25, s2
	v_and_b32_e32 v2, 0xff, v24
	s_delay_alu instid0(VALU_DEP_1) | instskip(NEXT) | instid1(VALU_DEP_3)
	v_cmp_gt_i16_e32 vcc_lo, 11, v2
	v_ashrrev_i32_e32 v1, 31, v0
	v_add_co_u32 v0, s0, s4, v0
	s_delay_alu instid0(VALU_DEP_1)
	v_add_co_ci_u32_e64 v1, s0, s5, v1, s0
	s_cbranch_vccnz .LBB168_790
; %bb.784:
	v_cmp_lt_i16_e32 vcc_lo, 25, v2
	s_cbranch_vccz .LBB168_791
; %bb.785:
	v_cmp_lt_i16_e32 vcc_lo, 28, v2
	s_cbranch_vccz .LBB168_792
	;; [unrolled: 3-line block ×4, first 2 shown]
; %bb.788:
	v_cmp_eq_u16_e32 vcc_lo, 46, v2
	s_mov_b32 s8, 0
	s_mov_b32 s0, -1
	s_mov_b32 s1, 0
	s_cbranch_vccz .LBB168_795
; %bb.789:
	v_cvt_f32_f64_e32 v3, v[6:7]
	v_cvt_f32_f64_e32 v8, v[4:5]
	s_mov_b32 s1, -1
	s_mov_b32 s0, 0
	s_delay_alu instid0(VALU_DEP_2) | instskip(NEXT) | instid1(VALU_DEP_2)
	v_bfe_u32 v9, v3, 16, 1
	v_bfe_u32 v10, v8, 16, 1
	v_cmp_o_f32_e32 vcc_lo, v3, v3
	s_delay_alu instid0(VALU_DEP_3) | instskip(NEXT) | instid1(VALU_DEP_3)
	v_add3_u32 v9, v3, v9, 0x7fff
	v_add3_u32 v10, v8, v10, 0x7fff
	s_delay_alu instid0(VALU_DEP_2) | instskip(NEXT) | instid1(VALU_DEP_2)
	v_and_b32_e32 v9, 0xffff0000, v9
	v_lshrrev_b32_e32 v10, 16, v10
	s_delay_alu instid0(VALU_DEP_2) | instskip(SKIP_1) | instid1(VALU_DEP_3)
	v_cndmask_b32_e32 v3, 0x7fc00000, v9, vcc_lo
	v_cmp_o_f32_e32 vcc_lo, v8, v8
	v_cndmask_b32_e32 v8, 0x7fc0, v10, vcc_lo
	s_delay_alu instid0(VALU_DEP_1)
	v_or_b32_e32 v3, v3, v8
	global_store_b32 v[0:1], v3, off
	s_branch .LBB168_795
.LBB168_790:
	s_mov_b32 s8, -1
	s_mov_b32 s1, 0
	s_mov_b32 s0, s17
	s_branch .LBB168_864
.LBB168_791:
	s_mov_b32 s8, -1
	s_mov_b32 s1, 0
	s_mov_b32 s0, s17
	s_branch .LBB168_822
.LBB168_792:
	s_mov_b32 s8, -1
	s_mov_b32 s1, 0
	s_mov_b32 s0, s17
	s_branch .LBB168_805
.LBB168_793:
	s_mov_b32 s8, -1
	s_mov_b32 s1, 0
	s_mov_b32 s0, s17
	s_branch .LBB168_801
.LBB168_794:
	s_mov_b32 s8, -1
	s_mov_b32 s1, 0
	s_mov_b32 s0, s17
.LBB168_795:
	s_and_b32 vcc_lo, exec_lo, s8
	s_cbranch_vccz .LBB168_800
; %bb.796:
	v_cmp_eq_u16_e32 vcc_lo, 44, v2
	s_mov_b32 s0, -1
	s_cbranch_vccz .LBB168_800
; %bb.797:
	v_cvt_f32_f64_e32 v3, v[4:5]
	v_mov_b32_e32 v8, 0xff
	s_mov_b32 s1, exec_lo
	s_delay_alu instid0(VALU_DEP_2) | instskip(NEXT) | instid1(VALU_DEP_1)
	v_bfe_u32 v9, v3, 23, 8
	v_cmpx_ne_u32_e32 0xff, v9
; %bb.798:
	v_and_b32_e32 v8, 0x400000, v3
	v_and_or_b32 v9, 0x3fffff, v3, v9
	v_lshrrev_b32_e32 v3, 23, v3
	s_delay_alu instid0(VALU_DEP_3) | instskip(NEXT) | instid1(VALU_DEP_3)
	v_cmp_ne_u32_e32 vcc_lo, 0, v8
	v_cmp_ne_u32_e64 s0, 0, v9
	s_delay_alu instid0(VALU_DEP_1) | instskip(NEXT) | instid1(SALU_CYCLE_1)
	s_and_b32 s0, vcc_lo, s0
	v_cndmask_b32_e64 v8, 0, 1, s0
	s_delay_alu instid0(VALU_DEP_1)
	v_add_nc_u32_e32 v8, v3, v8
; %bb.799:
	s_or_b32 exec_lo, exec_lo, s1
	s_mov_b32 s1, -1
	s_mov_b32 s0, 0
	global_store_b8 v[0:1], v8, off
.LBB168_800:
	s_mov_b32 s8, 0
.LBB168_801:
	s_delay_alu instid0(SALU_CYCLE_1)
	s_and_b32 vcc_lo, exec_lo, s8
	s_cbranch_vccz .LBB168_804
; %bb.802:
	v_cmp_eq_u16_e32 vcc_lo, 29, v2
	s_mov_b32 s0, -1
	s_cbranch_vccz .LBB168_804
; %bb.803:
	v_trunc_f64_e32 v[8:9], v[4:5]
	s_mov_b32 s1, -1
	s_mov_b32 s0, 0
	s_mov_b32 s8, 0
	s_delay_alu instid0(VALU_DEP_1) | instskip(NEXT) | instid1(VALU_DEP_1)
	v_ldexp_f64 v[10:11], v[8:9], 0xffffffe0
	v_floor_f64_e32 v[10:11], v[10:11]
	s_delay_alu instid0(VALU_DEP_1) | instskip(SKIP_1) | instid1(VALU_DEP_2)
	v_fma_f64 v[8:9], 0xc1f00000, v[10:11], v[8:9]
	v_cvt_u32_f64_e32 v10, v[10:11]
	v_cvt_u32_f64_e32 v9, v[8:9]
	global_store_b64 v[0:1], v[9:10], off
	s_branch .LBB168_805
.LBB168_804:
	s_mov_b32 s8, 0
.LBB168_805:
	s_delay_alu instid0(SALU_CYCLE_1)
	s_and_b32 vcc_lo, exec_lo, s8
	s_cbranch_vccz .LBB168_821
; %bb.806:
	v_cmp_gt_i16_e32 vcc_lo, 27, v2
	s_mov_b32 s1, -1
	s_cbranch_vccnz .LBB168_812
; %bb.807:
	v_cmp_lt_i16_e32 vcc_lo, 27, v2
	s_cbranch_vccz .LBB168_809
; %bb.808:
	v_cvt_u32_f64_e32 v3, v[4:5]
	s_mov_b32 s1, 0
	global_store_b32 v[0:1], v3, off
.LBB168_809:
	s_and_not1_b32 vcc_lo, exec_lo, s1
	s_cbranch_vccnz .LBB168_811
; %bb.810:
	v_cvt_u32_f64_e32 v3, v[4:5]
	global_store_b16 v[0:1], v3, off
.LBB168_811:
	s_mov_b32 s1, 0
.LBB168_812:
	s_delay_alu instid0(SALU_CYCLE_1)
	s_and_not1_b32 vcc_lo, exec_lo, s1
	s_cbranch_vccnz .LBB168_820
; %bb.813:
	v_cvt_f32_f64_e32 v3, v[4:5]
	v_mov_b32_e32 v9, 0x80
	s_mov_b32 s1, exec_lo
	s_delay_alu instid0(VALU_DEP_2) | instskip(NEXT) | instid1(VALU_DEP_1)
	v_and_b32_e32 v8, 0x7fffffff, v3
	v_cmpx_gt_u32_e32 0x43800000, v8
	s_cbranch_execz .LBB168_819
; %bb.814:
	v_cmp_lt_u32_e32 vcc_lo, 0x3bffffff, v8
	s_mov_b32 s8, 0
                                        ; implicit-def: $vgpr8
	s_and_saveexec_b32 s9, vcc_lo
	s_delay_alu instid0(SALU_CYCLE_1)
	s_xor_b32 s9, exec_lo, s9
	s_cbranch_execz .LBB168_921
; %bb.815:
	v_bfe_u32 v8, v3, 20, 1
	s_mov_b32 s8, exec_lo
	s_delay_alu instid0(VALU_DEP_1) | instskip(NEXT) | instid1(VALU_DEP_1)
	v_add3_u32 v8, v3, v8, 0x487ffff
	v_lshrrev_b32_e32 v8, 20, v8
	s_or_saveexec_b32 s9, s9
                                        ; implicit-def: $sgpr21
	s_delay_alu instid0(SALU_CYCLE_1)
	s_xor_b32 exec_lo, exec_lo, s9
	s_cbranch_execnz .LBB168_922
.LBB168_816:
	s_or_b32 exec_lo, exec_lo, s9
	v_mov_b32_e32 v9, s21
	s_and_saveexec_b32 s9, s8
.LBB168_817:
	v_lshrrev_b32_e32 v3, 24, v3
	s_delay_alu instid0(VALU_DEP_1)
	v_and_or_b32 v9, 0x80, v3, v8
.LBB168_818:
	s_or_b32 exec_lo, exec_lo, s9
.LBB168_819:
	s_delay_alu instid0(SALU_CYCLE_1)
	s_or_b32 exec_lo, exec_lo, s1
	global_store_b8 v[0:1], v9, off
.LBB168_820:
	s_mov_b32 s1, -1
.LBB168_821:
	s_mov_b32 s8, 0
.LBB168_822:
	s_delay_alu instid0(SALU_CYCLE_1)
	s_and_b32 vcc_lo, exec_lo, s8
	s_cbranch_vccz .LBB168_863
; %bb.823:
	v_cmp_lt_i16_e32 vcc_lo, 22, v2
	s_mov_b32 s8, -1
	s_cbranch_vccz .LBB168_855
; %bb.824:
	v_cmp_gt_i16_e32 vcc_lo, 24, v2
	s_mov_b32 s1, -1
	s_cbranch_vccnz .LBB168_844
; %bb.825:
	v_cmp_lt_i16_e32 vcc_lo, 24, v2
	s_cbranch_vccz .LBB168_833
; %bb.826:
	v_cvt_f32_f64_e32 v3, v[4:5]
	v_mov_b32_e32 v9, 0x80
	s_mov_b32 s1, exec_lo
	s_delay_alu instid0(VALU_DEP_2) | instskip(NEXT) | instid1(VALU_DEP_1)
	v_and_b32_e32 v8, 0x7fffffff, v3
	v_cmpx_gt_u32_e32 0x47800000, v8
	s_cbranch_execz .LBB168_832
; %bb.827:
	v_cmp_lt_u32_e32 vcc_lo, 0x37ffffff, v8
	s_mov_b32 s8, 0
                                        ; implicit-def: $vgpr8
	s_and_saveexec_b32 s9, vcc_lo
	s_delay_alu instid0(SALU_CYCLE_1)
	s_xor_b32 s9, exec_lo, s9
	s_cbranch_execz .LBB168_924
; %bb.828:
	v_bfe_u32 v8, v3, 21, 1
	s_mov_b32 s8, exec_lo
	s_delay_alu instid0(VALU_DEP_1) | instskip(NEXT) | instid1(VALU_DEP_1)
	v_add3_u32 v8, v3, v8, 0x88fffff
	v_lshrrev_b32_e32 v8, 21, v8
	s_or_saveexec_b32 s9, s9
                                        ; implicit-def: $sgpr21
	s_delay_alu instid0(SALU_CYCLE_1)
	s_xor_b32 exec_lo, exec_lo, s9
	s_cbranch_execnz .LBB168_925
.LBB168_829:
	s_or_b32 exec_lo, exec_lo, s9
	v_mov_b32_e32 v9, s21
	s_and_saveexec_b32 s9, s8
.LBB168_830:
	v_lshrrev_b32_e32 v3, 24, v3
	s_delay_alu instid0(VALU_DEP_1)
	v_and_or_b32 v9, 0x80, v3, v8
.LBB168_831:
	s_or_b32 exec_lo, exec_lo, s9
.LBB168_832:
	s_delay_alu instid0(SALU_CYCLE_1)
	s_or_b32 exec_lo, exec_lo, s1
	s_mov_b32 s1, 0
	global_store_b8 v[0:1], v9, off
.LBB168_833:
	s_and_b32 vcc_lo, exec_lo, s1
	s_cbranch_vccz .LBB168_843
; %bb.834:
	v_cvt_f32_f64_e32 v3, v[4:5]
	s_mov_b32 s1, exec_lo
                                        ; implicit-def: $vgpr8
	s_delay_alu instid0(VALU_DEP_1) | instskip(NEXT) | instid1(VALU_DEP_1)
	v_and_b32_e32 v9, 0x7fffffff, v3
	v_cmpx_gt_u32_e32 0x43f00000, v9
	s_xor_b32 s1, exec_lo, s1
	s_cbranch_execz .LBB168_840
; %bb.835:
	s_mov_b32 s8, exec_lo
                                        ; implicit-def: $vgpr8
	v_cmpx_lt_u32_e32 0x3c7fffff, v9
	s_xor_b32 s8, exec_lo, s8
; %bb.836:
	v_bfe_u32 v8, v3, 20, 1
	s_delay_alu instid0(VALU_DEP_1) | instskip(NEXT) | instid1(VALU_DEP_1)
	v_add3_u32 v8, v3, v8, 0x407ffff
	v_and_b32_e32 v9, 0xff00000, v8
	v_lshrrev_b32_e32 v8, 20, v8
	s_delay_alu instid0(VALU_DEP_2) | instskip(NEXT) | instid1(VALU_DEP_2)
	v_cmp_ne_u32_e32 vcc_lo, 0x7f00000, v9
	v_cndmask_b32_e32 v8, 0x7e, v8, vcc_lo
; %bb.837:
	s_and_not1_saveexec_b32 s8, s8
; %bb.838:
	v_add_f32_e64 v8, 0x46800000, |v3|
; %bb.839:
	s_or_b32 exec_lo, exec_lo, s8
                                        ; implicit-def: $vgpr9
.LBB168_840:
	s_and_not1_saveexec_b32 s1, s1
; %bb.841:
	v_mov_b32_e32 v8, 0x7f
	v_cmp_lt_u32_e32 vcc_lo, 0x7f800000, v9
	s_delay_alu instid0(VALU_DEP_2)
	v_cndmask_b32_e32 v8, 0x7e, v8, vcc_lo
; %bb.842:
	s_or_b32 exec_lo, exec_lo, s1
	v_lshrrev_b32_e32 v3, 24, v3
	s_delay_alu instid0(VALU_DEP_1)
	v_and_or_b32 v3, 0x80, v3, v8
	global_store_b8 v[0:1], v3, off
.LBB168_843:
	s_mov_b32 s1, 0
.LBB168_844:
	s_delay_alu instid0(SALU_CYCLE_1)
	s_and_not1_b32 vcc_lo, exec_lo, s1
	s_cbranch_vccnz .LBB168_854
; %bb.845:
	v_cvt_f32_f64_e32 v3, v[4:5]
	s_mov_b32 s1, exec_lo
                                        ; implicit-def: $vgpr8
	s_delay_alu instid0(VALU_DEP_1) | instskip(NEXT) | instid1(VALU_DEP_1)
	v_and_b32_e32 v9, 0x7fffffff, v3
	v_cmpx_gt_u32_e32 0x47800000, v9
	s_xor_b32 s1, exec_lo, s1
	s_cbranch_execz .LBB168_851
; %bb.846:
	s_mov_b32 s8, exec_lo
                                        ; implicit-def: $vgpr8
	v_cmpx_lt_u32_e32 0x387fffff, v9
	s_xor_b32 s8, exec_lo, s8
; %bb.847:
	v_bfe_u32 v8, v3, 21, 1
	s_delay_alu instid0(VALU_DEP_1) | instskip(NEXT) | instid1(VALU_DEP_1)
	v_add3_u32 v8, v3, v8, 0x80fffff
	v_lshrrev_b32_e32 v8, 21, v8
; %bb.848:
	s_and_not1_saveexec_b32 s8, s8
; %bb.849:
	v_add_f32_e64 v8, 0x43000000, |v3|
; %bb.850:
	s_or_b32 exec_lo, exec_lo, s8
                                        ; implicit-def: $vgpr9
.LBB168_851:
	s_and_not1_saveexec_b32 s1, s1
; %bb.852:
	v_mov_b32_e32 v8, 0x7f
	v_cmp_lt_u32_e32 vcc_lo, 0x7f800000, v9
	s_delay_alu instid0(VALU_DEP_2)
	v_cndmask_b32_e32 v8, 0x7c, v8, vcc_lo
; %bb.853:
	s_or_b32 exec_lo, exec_lo, s1
	v_lshrrev_b32_e32 v3, 24, v3
	s_delay_alu instid0(VALU_DEP_1)
	v_and_or_b32 v3, 0x80, v3, v8
	global_store_b8 v[0:1], v3, off
.LBB168_854:
	s_mov_b32 s8, 0
	s_mov_b32 s1, -1
.LBB168_855:
	s_and_not1_b32 vcc_lo, exec_lo, s8
	s_cbranch_vccnz .LBB168_863
; %bb.856:
	v_cmp_lt_i16_e32 vcc_lo, 14, v2
	s_mov_b32 s8, -1
	s_cbranch_vccz .LBB168_860
; %bb.857:
	v_cmp_eq_u16_e32 vcc_lo, 15, v2
	s_mov_b32 s0, -1
	s_cbranch_vccz .LBB168_859
; %bb.858:
	v_cvt_f32_f64_e32 v3, v[4:5]
	s_mov_b32 s1, -1
	s_mov_b32 s0, 0
	s_delay_alu instid0(VALU_DEP_1) | instskip(SKIP_1) | instid1(VALU_DEP_2)
	v_bfe_u32 v8, v3, 16, 1
	v_cmp_o_f32_e32 vcc_lo, v3, v3
	v_add3_u32 v8, v3, v8, 0x7fff
	s_delay_alu instid0(VALU_DEP_1) | instskip(NEXT) | instid1(VALU_DEP_1)
	v_lshrrev_b32_e32 v8, 16, v8
	v_cndmask_b32_e32 v3, 0x7fc0, v8, vcc_lo
	global_store_b16 v[0:1], v3, off
.LBB168_859:
	s_mov_b32 s8, 0
.LBB168_860:
	s_delay_alu instid0(SALU_CYCLE_1)
	s_and_b32 vcc_lo, exec_lo, s8
	s_cbranch_vccz .LBB168_863
; %bb.861:
	v_cmp_eq_u16_e32 vcc_lo, 11, v2
	s_mov_b32 s0, -1
	s_cbranch_vccz .LBB168_863
; %bb.862:
	v_cmp_neq_f64_e32 vcc_lo, 0, v[4:5]
	v_cmp_neq_f64_e64 s0, 0, v[6:7]
	s_mov_b32 s1, -1
	s_delay_alu instid0(VALU_DEP_1) | instskip(NEXT) | instid1(SALU_CYCLE_1)
	s_or_b32 s0, vcc_lo, s0
	v_cndmask_b32_e64 v3, 0, 1, s0
	s_mov_b32 s0, 0
	global_store_b8 v[0:1], v3, off
.LBB168_863:
	s_mov_b32 s8, 0
.LBB168_864:
	s_delay_alu instid0(SALU_CYCLE_1)
	s_and_b32 vcc_lo, exec_lo, s8
	s_cbranch_vccz .LBB168_903
; %bb.865:
	v_cmp_gt_i16_e32 vcc_lo, 5, v2
	s_mov_b32 s1, -1
	s_cbranch_vccnz .LBB168_886
; %bb.866:
	v_cmp_gt_i16_e32 vcc_lo, 8, v2
	s_cbranch_vccnz .LBB168_876
; %bb.867:
	v_cmp_gt_i16_e32 vcc_lo, 9, v2
	s_cbranch_vccnz .LBB168_873
; %bb.868:
	v_cmp_lt_i16_e32 vcc_lo, 9, v2
	s_cbranch_vccz .LBB168_870
; %bb.869:
	s_mov_b32 s1, 0
	global_store_b128 v[0:1], v[4:7], off
.LBB168_870:
	s_and_not1_b32 vcc_lo, exec_lo, s1
	s_cbranch_vccnz .LBB168_872
; %bb.871:
	v_cvt_f32_f64_e32 v8, v[4:5]
	v_cvt_f32_f64_e32 v9, v[6:7]
	global_store_b64 v[0:1], v[8:9], off
.LBB168_872:
	s_mov_b32 s1, 0
.LBB168_873:
	s_delay_alu instid0(SALU_CYCLE_1)
	s_and_not1_b32 vcc_lo, exec_lo, s1
	s_cbranch_vccnz .LBB168_875
; %bb.874:
	v_cvt_f32_f64_e32 v3, v[6:7]
	v_cvt_f32_f64_e32 v6, v[4:5]
	s_delay_alu instid0(VALU_DEP_2) | instskip(NEXT) | instid1(VALU_DEP_2)
	v_cvt_f16_f32_e32 v3, v3
	v_cvt_f16_f32_e32 v6, v6
	s_delay_alu instid0(VALU_DEP_2) | instskip(NEXT) | instid1(VALU_DEP_2)
	v_lshlrev_b32_e32 v3, 16, v3
	v_and_b32_e32 v6, 0xffff, v6
	s_delay_alu instid0(VALU_DEP_1)
	v_or_b32_e32 v3, v3, v6
	global_store_b32 v[0:1], v3, off
.LBB168_875:
	s_mov_b32 s1, 0
.LBB168_876:
	s_delay_alu instid0(SALU_CYCLE_1)
	s_and_not1_b32 vcc_lo, exec_lo, s1
	s_cbranch_vccnz .LBB168_885
; %bb.877:
	v_cmp_gt_i16_e32 vcc_lo, 6, v2
	s_mov_b32 s1, -1
	s_cbranch_vccnz .LBB168_883
; %bb.878:
	v_cmp_lt_i16_e32 vcc_lo, 6, v2
	s_cbranch_vccz .LBB168_880
; %bb.879:
	s_mov_b32 s1, 0
	global_store_b64 v[0:1], v[4:5], off
.LBB168_880:
	s_and_not1_b32 vcc_lo, exec_lo, s1
	s_cbranch_vccnz .LBB168_882
; %bb.881:
	v_cvt_f32_f64_e32 v3, v[4:5]
	global_store_b32 v[0:1], v3, off
.LBB168_882:
	s_mov_b32 s1, 0
.LBB168_883:
	s_delay_alu instid0(SALU_CYCLE_1)
	s_and_not1_b32 vcc_lo, exec_lo, s1
	s_cbranch_vccnz .LBB168_885
; %bb.884:
	v_cvt_f32_f64_e32 v3, v[4:5]
	s_delay_alu instid0(VALU_DEP_1)
	v_cvt_f16_f32_e32 v3, v3
	global_store_b16 v[0:1], v3, off
.LBB168_885:
	s_mov_b32 s1, 0
.LBB168_886:
	s_delay_alu instid0(SALU_CYCLE_1)
	s_and_not1_b32 vcc_lo, exec_lo, s1
	s_cbranch_vccnz .LBB168_902
; %bb.887:
	v_cmp_gt_i16_e32 vcc_lo, 2, v2
	s_mov_b32 s1, -1
	s_cbranch_vccnz .LBB168_897
; %bb.888:
	v_cmp_gt_i16_e32 vcc_lo, 3, v2
	s_cbranch_vccnz .LBB168_894
; %bb.889:
	v_cmp_lt_i16_e32 vcc_lo, 3, v2
	s_cbranch_vccz .LBB168_891
; %bb.890:
	v_trunc_f64_e32 v[6:7], v[4:5]
	s_mov_b32 s1, 0
	s_delay_alu instid0(VALU_DEP_1) | instskip(NEXT) | instid1(VALU_DEP_1)
	v_ldexp_f64 v[8:9], v[6:7], 0xffffffe0
	v_floor_f64_e32 v[8:9], v[8:9]
	s_delay_alu instid0(VALU_DEP_1) | instskip(SKIP_1) | instid1(VALU_DEP_2)
	v_fma_f64 v[6:7], 0xc1f00000, v[8:9], v[6:7]
	v_cvt_i32_f64_e32 v8, v[8:9]
	v_cvt_u32_f64_e32 v7, v[6:7]
	global_store_b64 v[0:1], v[7:8], off
.LBB168_891:
	s_and_not1_b32 vcc_lo, exec_lo, s1
	s_cbranch_vccnz .LBB168_893
; %bb.892:
	v_cvt_i32_f64_e32 v3, v[4:5]
	global_store_b32 v[0:1], v3, off
.LBB168_893:
	s_mov_b32 s1, 0
.LBB168_894:
	s_delay_alu instid0(SALU_CYCLE_1)
	s_and_not1_b32 vcc_lo, exec_lo, s1
	s_cbranch_vccnz .LBB168_896
; %bb.895:
	v_cvt_i32_f64_e32 v3, v[4:5]
	global_store_b16 v[0:1], v3, off
.LBB168_896:
	s_mov_b32 s1, 0
.LBB168_897:
	s_delay_alu instid0(SALU_CYCLE_1)
	s_and_not1_b32 vcc_lo, exec_lo, s1
	s_cbranch_vccnz .LBB168_902
; %bb.898:
	v_cmp_lt_i16_e32 vcc_lo, 0, v2
	s_mov_b32 s1, -1
	s_cbranch_vccz .LBB168_900
; %bb.899:
	v_cvt_i32_f64_e32 v2, v[4:5]
	s_mov_b32 s1, 0
	global_store_b8 v[0:1], v2, off
.LBB168_900:
	s_and_not1_b32 vcc_lo, exec_lo, s1
	s_cbranch_vccnz .LBB168_902
; %bb.901:
	v_trunc_f64_e32 v[2:3], v[4:5]
	s_delay_alu instid0(VALU_DEP_1) | instskip(NEXT) | instid1(VALU_DEP_1)
	v_ldexp_f64 v[4:5], v[2:3], 0xffffffe0
	v_floor_f64_e32 v[4:5], v[4:5]
	s_delay_alu instid0(VALU_DEP_1) | instskip(NEXT) | instid1(VALU_DEP_1)
	v_fma_f64 v[2:3], 0xc1f00000, v[4:5], v[2:3]
	v_cvt_u32_f64_e32 v2, v[2:3]
	global_store_b8 v[0:1], v2, off
.LBB168_902:
	s_mov_b32 s1, -1
.LBB168_903:
	s_delay_alu instid0(SALU_CYCLE_1)
	s_and_not1_b32 vcc_lo, exec_lo, s1
	s_cbranch_vccnz .LBB168_905
; %bb.904:
	v_add_nc_u32_e32 v25, 0x80, v25
	s_mov_b32 s1, -1
	s_branch .LBB168_907
.LBB168_905:
	s_mov_b32 s1, 0
.LBB168_906:
                                        ; implicit-def: $vgpr25
.LBB168_907:
	s_and_not1_b32 s8, s17, exec_lo
	s_and_b32 s0, s0, exec_lo
	s_and_not1_b32 s9, s16, exec_lo
	s_and_b32 s20, s20, exec_lo
	s_or_b32 s21, s8, s0
	s_or_b32 s20, s9, s20
	s_or_not1_b32 s9, s1, exec_lo
.LBB168_908:
	s_or_b32 exec_lo, exec_lo, s19
	s_mov_b32 s1, 0
	s_mov_b32 s0, 0
	;; [unrolled: 1-line block ×3, first 2 shown]
                                        ; implicit-def: $vgpr4_vgpr5
                                        ; implicit-def: $vgpr2_vgpr3
	s_and_saveexec_b32 s19, s9
	s_cbranch_execz .LBB168_996
; %bb.909:
	v_cmp_gt_i32_e32 vcc_lo, s13, v25
	s_mov_b32 s9, s20
                                        ; implicit-def: $vgpr4_vgpr5
                                        ; implicit-def: $vgpr2_vgpr3
	s_and_saveexec_b32 s13, vcc_lo
	s_cbranch_execz .LBB168_995
; %bb.910:
	s_waitcnt vmcnt(0)
	v_mul_lo_u32 v0, v25, s3
	v_cmp_gt_i16_e32 vcc_lo, 11, v20
	s_delay_alu instid0(VALU_DEP_2) | instskip(SKIP_1) | instid1(VALU_DEP_1)
	v_ashrrev_i32_e32 v1, 31, v0
	v_add_co_u32 v4, s0, s6, v0
	v_add_co_ci_u32_e64 v5, s0, s7, v1, s0
	s_cbranch_vccnz .LBB168_917
; %bb.911:
	v_cmp_lt_i16_e32 vcc_lo, 25, v20
	s_mov_b32 s23, 0
	s_cbranch_vccz .LBB168_918
; %bb.912:
	v_cmp_lt_i16_e32 vcc_lo, 28, v20
	s_cbranch_vccz .LBB168_919
; %bb.913:
	v_cmp_lt_i16_e32 vcc_lo, 43, v20
	;; [unrolled: 3-line block ×3, first 2 shown]
	s_cbranch_vccz .LBB168_923
; %bb.915:
	v_cmp_eq_u16_e32 vcc_lo, 46, v20
	s_mov_b32 s0, 0
	s_cbranch_vccz .LBB168_926
; %bb.916:
	global_load_b32 v0, v[4:5], off
	s_mov_b32 s22, 0
	s_mov_b32 s8, -1
	s_waitcnt vmcnt(0)
	v_lshlrev_b32_e32 v1, 16, v0
	v_and_b32_e32 v2, 0xffff0000, v0
	s_delay_alu instid0(VALU_DEP_2) | instskip(NEXT) | instid1(VALU_DEP_2)
	v_cvt_f64_f32_e32 v[0:1], v1
	v_cvt_f64_f32_e32 v[2:3], v2
	s_branch .LBB168_928
.LBB168_917:
	s_mov_b32 s0, -1
	s_mov_b32 s23, 0
	s_mov_b32 s22, s20
                                        ; implicit-def: $vgpr2_vgpr3
	s_branch .LBB168_994
.LBB168_918:
	s_mov_b32 s0, -1
	s_mov_b32 s22, s20
                                        ; implicit-def: $vgpr2_vgpr3
	s_branch .LBB168_961
.LBB168_919:
	s_mov_b32 s0, -1
	s_mov_b32 s22, s20
                                        ; implicit-def: $vgpr2_vgpr3
	s_branch .LBB168_940
.LBB168_920:
	s_mov_b32 s0, -1
	s_mov_b32 s22, s20
                                        ; implicit-def: $vgpr2_vgpr3
	s_branch .LBB168_934
.LBB168_921:
	s_or_saveexec_b32 s9, s9
                                        ; implicit-def: $sgpr21
	s_delay_alu instid0(SALU_CYCLE_1)
	s_xor_b32 exec_lo, exec_lo, s9
	s_cbranch_execz .LBB168_816
.LBB168_922:
	v_add_f32_e64 v8, 0x46000000, |v3|
	s_and_not1_b32 s8, s8, exec_lo
	s_mov_b32 s21, 0
	s_delay_alu instid0(VALU_DEP_1) | instskip(NEXT) | instid1(VALU_DEP_1)
	v_and_b32_e32 v8, 0xff, v8
	v_cmp_ne_u32_e32 vcc_lo, 0, v8
	s_and_b32 s22, vcc_lo, exec_lo
	s_delay_alu instid0(SALU_CYCLE_1)
	s_or_b32 s8, s8, s22
	s_or_b32 exec_lo, exec_lo, s9
	v_mov_b32_e32 v9, s21
	s_and_saveexec_b32 s9, s8
	s_cbranch_execnz .LBB168_817
	s_branch .LBB168_818
.LBB168_923:
	s_mov_b32 s0, -1
	s_mov_b32 s22, s20
	s_branch .LBB168_927
.LBB168_924:
	s_or_saveexec_b32 s9, s9
                                        ; implicit-def: $sgpr21
	s_delay_alu instid0(SALU_CYCLE_1)
	s_xor_b32 exec_lo, exec_lo, s9
	s_cbranch_execz .LBB168_829
.LBB168_925:
	v_add_f32_e64 v8, 0x42800000, |v3|
	s_and_not1_b32 s8, s8, exec_lo
	s_mov_b32 s21, 0
	s_delay_alu instid0(VALU_DEP_1) | instskip(NEXT) | instid1(VALU_DEP_1)
	v_and_b32_e32 v8, 0xff, v8
	v_cmp_ne_u32_e32 vcc_lo, 0, v8
	s_and_b32 s22, vcc_lo, exec_lo
	s_delay_alu instid0(SALU_CYCLE_1)
	s_or_b32 s8, s8, s22
	s_or_b32 exec_lo, exec_lo, s9
	v_mov_b32_e32 v9, s21
	s_and_saveexec_b32 s9, s8
	s_cbranch_execnz .LBB168_830
	s_branch .LBB168_831
.LBB168_926:
	s_mov_b32 s22, -1
.LBB168_927:
                                        ; implicit-def: $vgpr2_vgpr3
.LBB168_928:
	s_and_b32 vcc_lo, exec_lo, s0
	s_cbranch_vccz .LBB168_933
; %bb.929:
	v_cmp_eq_u16_e32 vcc_lo, 44, v20
	s_cbranch_vccz .LBB168_931
; %bb.930:
	global_load_u8 v2, v[4:5], off
	s_mov_b32 s22, 0
	s_mov_b32 s8, -1
	s_mov_b64 s[0:1], 0
	s_waitcnt vmcnt(0)
	v_cmp_ne_u32_e32 vcc_lo, 0xff, v2
	v_lshlrev_b32_e32 v0, 23, v2
	s_delay_alu instid0(VALU_DEP_1) | instskip(NEXT) | instid1(VALU_DEP_1)
	v_cvt_f64_f32_e32 v[0:1], v0
	v_cndmask_b32_e32 v1, 0x7ff80000, v1, vcc_lo
	s_delay_alu instid0(VALU_DEP_2) | instskip(SKIP_1) | instid1(VALU_DEP_3)
	v_cndmask_b32_e32 v0, 0x20000000, v0, vcc_lo
	v_cmp_ne_u32_e32 vcc_lo, 0, v2
	v_cndmask_b32_e32 v1, 0x38000000, v1, vcc_lo
	s_delay_alu instid0(VALU_DEP_3)
	v_cndmask_b32_e32 v0, 0, v0, vcc_lo
	s_branch .LBB168_932
.LBB168_931:
	s_mov_b32 s22, -1
                                        ; implicit-def: $sgpr0_sgpr1
                                        ; implicit-def: $vgpr0_vgpr1
.LBB168_932:
	v_dual_mov_b32 v3, s1 :: v_dual_mov_b32 v2, s0
.LBB168_933:
	s_mov_b32 s0, 0
.LBB168_934:
	s_delay_alu instid0(SALU_CYCLE_1)
	s_and_b32 vcc_lo, exec_lo, s0
	s_cbranch_vccz .LBB168_939
; %bb.935:
	v_cmp_eq_u16_e32 vcc_lo, 29, v20
	s_cbranch_vccz .LBB168_937
; %bb.936:
	global_load_b64 v[0:1], v[4:5], off
	s_mov_b32 s22, 0
	s_mov_b32 s8, -1
	s_mov_b64 s[0:1], 0
	s_waitcnt vmcnt(0)
	v_cvt_f64_u32_e32 v[1:2], v1
	v_cvt_f64_u32_e32 v[6:7], v0
	s_delay_alu instid0(VALU_DEP_2) | instskip(NEXT) | instid1(VALU_DEP_1)
	v_ldexp_f64 v[1:2], v[1:2], 32
	v_add_f64 v[0:1], v[1:2], v[6:7]
	s_branch .LBB168_938
.LBB168_937:
	s_mov_b32 s22, -1
                                        ; implicit-def: $sgpr0_sgpr1
                                        ; implicit-def: $vgpr0_vgpr1
.LBB168_938:
	v_dual_mov_b32 v3, s1 :: v_dual_mov_b32 v2, s0
.LBB168_939:
	s_mov_b32 s0, 0
.LBB168_940:
	s_delay_alu instid0(SALU_CYCLE_1)
	s_and_b32 vcc_lo, exec_lo, s0
	s_cbranch_vccz .LBB168_960
; %bb.941:
	v_cmp_gt_i16_e32 vcc_lo, 27, v20
	s_cbranch_vccnz .LBB168_944
; %bb.942:
	v_cmp_lt_i16_e32 vcc_lo, 27, v20
	s_cbranch_vccz .LBB168_945
; %bb.943:
	global_load_b32 v0, v[4:5], off
	s_mov_b32 s8, 0
	s_mov_b64 s[0:1], 0
	s_waitcnt vmcnt(0)
	v_cvt_f64_u32_e32 v[0:1], v0
	s_branch .LBB168_946
.LBB168_944:
	s_mov_b32 s8, -1
                                        ; implicit-def: $sgpr0_sgpr1
                                        ; implicit-def: $vgpr0_vgpr1
	s_branch .LBB168_949
.LBB168_945:
	s_mov_b32 s8, -1
                                        ; implicit-def: $sgpr0_sgpr1
                                        ; implicit-def: $vgpr0_vgpr1
.LBB168_946:
	s_delay_alu instid0(SALU_CYCLE_1)
	s_and_not1_b32 vcc_lo, exec_lo, s8
	s_cbranch_vccnz .LBB168_948
; %bb.947:
	global_load_u16 v0, v[4:5], off
	s_mov_b64 s[0:1], 0
	s_waitcnt vmcnt(0)
	v_cvt_f64_u32_e32 v[0:1], v0
.LBB168_948:
	s_mov_b32 s8, 0
.LBB168_949:
	v_dual_mov_b32 v3, s1 :: v_dual_mov_b32 v2, s0
	s_and_not1_b32 vcc_lo, exec_lo, s8
	s_cbranch_vccnz .LBB168_959
; %bb.950:
	global_load_u8 v6, v[4:5], off
	s_mov_b32 s24, 0
	s_mov_b32 s25, exec_lo
                                        ; implicit-def: $sgpr0_sgpr1
                                        ; implicit-def: $sgpr8_sgpr9
	s_waitcnt vmcnt(0)
	v_cmpx_lt_i16_e32 0x7f, v6
	s_xor_b32 s25, exec_lo, s25
	s_cbranch_execz .LBB168_954
; %bb.951:
	s_mov_b32 s24, -1
	s_mov_b32 s26, exec_lo
                                        ; implicit-def: $sgpr0_sgpr1
                                        ; implicit-def: $sgpr8_sgpr9
	v_cmpx_eq_u16_e32 0x80, v6
; %bb.952:
	s_mov_b64 s[0:1], 0
	s_mov_b32 s9, 0x7ff80000
	s_brev_b32 s8, 4
	s_xor_b32 s24, exec_lo, -1
; %bb.953:
	s_or_b32 exec_lo, exec_lo, s26
	s_delay_alu instid0(SALU_CYCLE_1)
	s_and_b32 s24, s24, exec_lo
.LBB168_954:
	s_or_saveexec_b32 s25, s25
	v_dual_mov_b32 v3, s1 :: v_dual_mov_b32 v2, s0
	v_dual_mov_b32 v0, s8 :: v_dual_mov_b32 v1, s9
	s_xor_b32 exec_lo, exec_lo, s25
; %bb.955:
	v_mov_b32_e32 v2, 0
	v_mov_b32_e32 v3, 0
	v_cmp_ne_u16_e32 vcc_lo, 0, v6
	s_delay_alu instid0(VALU_DEP_3) | instskip(SKIP_1) | instid1(VALU_DEP_3)
	v_mov_b32_e32 v0, v2
	s_and_not1_b32 s0, s24, exec_lo
	v_mov_b32_e32 v1, v3
	s_and_b32 s1, vcc_lo, exec_lo
	s_delay_alu instid0(SALU_CYCLE_1)
	s_or_b32 s24, s0, s1
; %bb.956:
	s_or_b32 exec_lo, exec_lo, s25
	s_and_saveexec_b32 s0, s24
	s_cbranch_execz .LBB168_958
; %bb.957:
	v_and_b32_e32 v0, 0xffff, v6
	v_lshlrev_b32_e32 v6, 24, v6
	s_delay_alu instid0(VALU_DEP_2) | instskip(NEXT) | instid1(VALU_DEP_1)
	v_and_b32_e32 v1, 7, v0
	v_clz_i32_u32_e32 v2, v1
	s_delay_alu instid0(VALU_DEP_1) | instskip(NEXT) | instid1(VALU_DEP_1)
	v_min_u32_e32 v2, 32, v2
	v_subrev_nc_u32_e32 v3, 28, v2
	v_sub_nc_u32_e32 v2, 29, v2
	s_delay_alu instid0(VALU_DEP_2) | instskip(SKIP_1) | instid1(VALU_DEP_2)
	v_lshlrev_b32_e32 v3, v3, v0
	v_bfe_u32 v0, v0, 3, 4
	v_and_b32_e32 v3, 7, v3
	s_delay_alu instid0(VALU_DEP_2) | instskip(NEXT) | instid1(VALU_DEP_2)
	v_cmp_eq_u32_e32 vcc_lo, 0, v0
	v_dual_cndmask_b32 v0, v0, v2 :: v_dual_cndmask_b32 v1, v1, v3
	v_and_b32_e32 v2, 0x80000000, v6
	s_delay_alu instid0(VALU_DEP_2) | instskip(NEXT) | instid1(VALU_DEP_3)
	v_lshl_add_u32 v0, v0, 23, 0x3b800000
	v_lshlrev_b32_e32 v1, 20, v1
	s_delay_alu instid0(VALU_DEP_1) | instskip(SKIP_2) | instid1(VALU_DEP_3)
	v_or3_b32 v0, v2, v0, v1
	v_mov_b32_e32 v2, 0
	v_mov_b32_e32 v3, 0
	v_cvt_f64_f32_e32 v[0:1], v0
.LBB168_958:
	s_or_b32 exec_lo, exec_lo, s0
.LBB168_959:
	s_mov_b32 s8, -1
.LBB168_960:
	s_mov_b32 s0, 0
.LBB168_961:
	s_delay_alu instid0(SALU_CYCLE_1)
	s_and_b32 vcc_lo, exec_lo, s0
	s_cbranch_vccz .LBB168_993
; %bb.962:
	v_cmp_lt_i16_e32 vcc_lo, 22, v20
	s_cbranch_vccz .LBB168_974
; %bb.963:
	v_cmp_gt_i16_e32 vcc_lo, 24, v20
	s_cbranch_vccnz .LBB168_975
; %bb.964:
	v_cmp_lt_i16_e32 vcc_lo, 24, v20
	s_cbranch_vccz .LBB168_976
; %bb.965:
	global_load_u8 v6, v[4:5], off
	s_mov_b32 s24, exec_lo
                                        ; implicit-def: $sgpr0_sgpr1
                                        ; implicit-def: $sgpr8_sgpr9
	s_waitcnt vmcnt(0)
	v_cmpx_lt_i16_e32 0x7f, v6
	s_xor_b32 s24, exec_lo, s24
	s_cbranch_execz .LBB168_969
; %bb.966:
	s_mov_b32 s23, -1
	s_mov_b32 s25, exec_lo
                                        ; implicit-def: $sgpr0_sgpr1
                                        ; implicit-def: $sgpr8_sgpr9
	v_cmpx_eq_u16_e32 0x80, v6
; %bb.967:
	s_mov_b64 s[0:1], 0
	s_mov_b32 s9, 0x7ff80000
	s_brev_b32 s8, 4
	s_xor_b32 s23, exec_lo, -1
; %bb.968:
	s_or_b32 exec_lo, exec_lo, s25
	s_delay_alu instid0(SALU_CYCLE_1)
	s_and_b32 s23, s23, exec_lo
.LBB168_969:
	s_or_saveexec_b32 s24, s24
	v_dual_mov_b32 v3, s1 :: v_dual_mov_b32 v2, s0
	v_dual_mov_b32 v0, s8 :: v_dual_mov_b32 v1, s9
	s_xor_b32 exec_lo, exec_lo, s24
; %bb.970:
	v_mov_b32_e32 v2, 0
	v_mov_b32_e32 v3, 0
	v_cmp_ne_u16_e32 vcc_lo, 0, v6
	s_delay_alu instid0(VALU_DEP_3) | instskip(SKIP_1) | instid1(VALU_DEP_3)
	v_mov_b32_e32 v0, v2
	s_and_not1_b32 s0, s23, exec_lo
	v_mov_b32_e32 v1, v3
	s_and_b32 s1, vcc_lo, exec_lo
	s_delay_alu instid0(SALU_CYCLE_1)
	s_or_b32 s23, s0, s1
; %bb.971:
	s_or_b32 exec_lo, exec_lo, s24
	s_and_saveexec_b32 s0, s23
	s_cbranch_execz .LBB168_973
; %bb.972:
	v_and_b32_e32 v0, 0xffff, v6
	v_lshlrev_b32_e32 v6, 24, v6
	s_delay_alu instid0(VALU_DEP_2) | instskip(NEXT) | instid1(VALU_DEP_1)
	v_and_b32_e32 v1, 3, v0
	v_clz_i32_u32_e32 v2, v1
	s_delay_alu instid0(VALU_DEP_1) | instskip(NEXT) | instid1(VALU_DEP_1)
	v_min_u32_e32 v2, 32, v2
	v_subrev_nc_u32_e32 v3, 29, v2
	v_sub_nc_u32_e32 v2, 30, v2
	s_delay_alu instid0(VALU_DEP_2) | instskip(SKIP_1) | instid1(VALU_DEP_2)
	v_lshlrev_b32_e32 v3, v3, v0
	v_bfe_u32 v0, v0, 2, 5
	v_and_b32_e32 v3, 3, v3
	s_delay_alu instid0(VALU_DEP_2) | instskip(NEXT) | instid1(VALU_DEP_2)
	v_cmp_eq_u32_e32 vcc_lo, 0, v0
	v_dual_cndmask_b32 v0, v0, v2 :: v_dual_cndmask_b32 v1, v1, v3
	v_and_b32_e32 v2, 0x80000000, v6
	s_delay_alu instid0(VALU_DEP_2) | instskip(NEXT) | instid1(VALU_DEP_3)
	v_lshl_add_u32 v0, v0, 23, 0x37800000
	v_lshlrev_b32_e32 v1, 21, v1
	s_delay_alu instid0(VALU_DEP_1) | instskip(SKIP_2) | instid1(VALU_DEP_3)
	v_or3_b32 v0, v2, v0, v1
	v_mov_b32_e32 v2, 0
	v_mov_b32_e32 v3, 0
	v_cvt_f64_f32_e32 v[0:1], v0
.LBB168_973:
	s_or_b32 exec_lo, exec_lo, s0
	s_mov_b32 s0, 0
	s_branch .LBB168_977
.LBB168_974:
	s_mov_b32 s0, -1
                                        ; implicit-def: $vgpr2_vgpr3
	s_branch .LBB168_983
.LBB168_975:
	s_mov_b32 s0, -1
                                        ; implicit-def: $vgpr2_vgpr3
	s_branch .LBB168_980
.LBB168_976:
	s_mov_b32 s0, -1
                                        ; implicit-def: $vgpr2_vgpr3
.LBB168_977:
	s_delay_alu instid0(SALU_CYCLE_1)
	s_and_b32 vcc_lo, exec_lo, s0
	s_cbranch_vccz .LBB168_979
; %bb.978:
	global_load_u8 v0, v[4:5], off
	s_waitcnt vmcnt(0)
	v_lshlrev_b32_e32 v0, 24, v0
	s_delay_alu instid0(VALU_DEP_1) | instskip(NEXT) | instid1(VALU_DEP_1)
	v_and_b32_e32 v1, 0x7f000000, v0
	v_clz_i32_u32_e32 v2, v1
	v_add_nc_u32_e32 v6, 0x1000000, v1
	v_cmp_ne_u32_e32 vcc_lo, 0, v1
	s_delay_alu instid0(VALU_DEP_3) | instskip(NEXT) | instid1(VALU_DEP_1)
	v_min_u32_e32 v2, 32, v2
	v_sub_nc_u32_e64 v2, v2, 4 clamp
	s_delay_alu instid0(VALU_DEP_1) | instskip(SKIP_1) | instid1(VALU_DEP_2)
	v_lshlrev_b32_e32 v3, v2, v1
	v_lshlrev_b32_e32 v2, 23, v2
	v_lshrrev_b32_e32 v3, 4, v3
	s_delay_alu instid0(VALU_DEP_1) | instskip(SKIP_1) | instid1(VALU_DEP_2)
	v_sub_nc_u32_e32 v2, v3, v2
	v_ashrrev_i32_e32 v3, 8, v6
	v_add_nc_u32_e32 v2, 0x3c000000, v2
	s_delay_alu instid0(VALU_DEP_1) | instskip(NEXT) | instid1(VALU_DEP_1)
	v_and_or_b32 v2, 0x7f800000, v3, v2
	v_dual_cndmask_b32 v1, 0, v2 :: v_dual_mov_b32 v2, 0
	v_mov_b32_e32 v3, 0
	s_delay_alu instid0(VALU_DEP_2) | instskip(NEXT) | instid1(VALU_DEP_1)
	v_and_or_b32 v0, 0x80000000, v0, v1
	v_cvt_f64_f32_e32 v[0:1], v0
.LBB168_979:
	s_mov_b32 s0, 0
.LBB168_980:
	s_delay_alu instid0(SALU_CYCLE_1)
	s_and_not1_b32 vcc_lo, exec_lo, s0
	s_cbranch_vccnz .LBB168_982
; %bb.981:
	global_load_u8 v0, v[4:5], off
	s_waitcnt vmcnt(0)
	v_lshlrev_b32_e32 v1, 25, v0
	v_lshlrev_b16 v0, 8, v0
	s_delay_alu instid0(VALU_DEP_2) | instskip(NEXT) | instid1(VALU_DEP_2)
	v_lshrrev_b32_e32 v2, 4, v1
	v_and_or_b32 v3, 0x7f00, v0, 0.5
	v_bfe_i32 v0, v0, 0, 16
	s_delay_alu instid0(VALU_DEP_3) | instskip(NEXT) | instid1(VALU_DEP_1)
	v_or_b32_e32 v2, 0x70000000, v2
	v_dual_add_f32 v3, -0.5, v3 :: v_dual_mul_f32 v2, 0x7800000, v2
	v_cmp_gt_u32_e32 vcc_lo, 0x8000000, v1
	s_delay_alu instid0(VALU_DEP_2) | instskip(SKIP_1) | instid1(VALU_DEP_2)
	v_dual_cndmask_b32 v1, v2, v3 :: v_dual_mov_b32 v2, 0
	v_mov_b32_e32 v3, 0
	v_and_or_b32 v0, 0x80000000, v0, v1
	s_delay_alu instid0(VALU_DEP_1)
	v_cvt_f64_f32_e32 v[0:1], v0
.LBB168_982:
	s_mov_b32 s0, 0
	s_mov_b32 s8, -1
.LBB168_983:
	s_and_not1_b32 vcc_lo, exec_lo, s0
	s_mov_b32 s23, 0
	s_cbranch_vccnz .LBB168_993
; %bb.984:
	v_cmp_lt_i16_e32 vcc_lo, 14, v20
	s_cbranch_vccz .LBB168_987
; %bb.985:
	v_cmp_eq_u16_e32 vcc_lo, 15, v20
	s_cbranch_vccz .LBB168_988
; %bb.986:
	global_load_u16 v0, v[4:5], off
	s_mov_b32 s22, 0
	s_mov_b32 s8, -1
	s_mov_b64 s[0:1], 0
	s_waitcnt vmcnt(0)
	v_lshlrev_b32_e32 v0, 16, v0
	s_delay_alu instid0(VALU_DEP_1)
	v_cvt_f64_f32_e32 v[0:1], v0
	s_branch .LBB168_989
.LBB168_987:
	s_mov_b32 s9, -1
                                        ; implicit-def: $sgpr0_sgpr1
                                        ; implicit-def: $vgpr0_vgpr1
	s_branch .LBB168_990
.LBB168_988:
	s_mov_b32 s22, -1
                                        ; implicit-def: $sgpr0_sgpr1
                                        ; implicit-def: $vgpr0_vgpr1
.LBB168_989:
	s_mov_b32 s9, 0
.LBB168_990:
	s_delay_alu instid0(SALU_CYCLE_1)
	s_and_b32 vcc_lo, exec_lo, s9
	s_cbranch_vccz .LBB168_992
; %bb.991:
	v_cmp_ne_u16_e32 vcc_lo, 11, v20
	s_and_not1_b32 s0, s22, exec_lo
	s_mov_b32 s23, -1
                                        ; implicit-def: $vgpr0_vgpr1
	s_and_b32 s1, vcc_lo, exec_lo
	s_delay_alu instid0(SALU_CYCLE_1)
	s_or_b32 s22, s0, s1
                                        ; implicit-def: $sgpr0_sgpr1
.LBB168_992:
	v_dual_mov_b32 v3, s1 :: v_dual_mov_b32 v2, s0
.LBB168_993:
	s_mov_b32 s0, 0
.LBB168_994:
	s_and_not1_b32 s9, s20, exec_lo
	s_and_b32 s22, s22, exec_lo
	s_and_b32 s8, s8, exec_lo
	;; [unrolled: 1-line block ×4, first 2 shown]
	s_or_b32 s9, s9, s22
.LBB168_995:
	s_or_b32 exec_lo, exec_lo, s13
	s_delay_alu instid0(SALU_CYCLE_1)
	s_and_not1_b32 s13, s20, exec_lo
	s_and_b32 s9, s9, exec_lo
	s_and_b32 s8, s8, exec_lo
	;; [unrolled: 1-line block ×4, first 2 shown]
	s_or_b32 s20, s13, s9
.LBB168_996:
	s_or_b32 exec_lo, exec_lo, s19
	s_delay_alu instid0(SALU_CYCLE_1)
	s_and_not1_b32 s9, s17, exec_lo
	s_and_b32 s13, s21, exec_lo
	s_and_b32 s8, s8, exec_lo
	s_or_b32 s17, s9, s13
	s_and_not1_b32 s9, s16, exec_lo
	s_and_b32 s13, s20, exec_lo
	s_and_b32 s0, s0, exec_lo
	s_and_b32 s1, s1, exec_lo
	s_or_b32 s16, s9, s13
.LBB168_997:
	s_or_b32 exec_lo, exec_lo, s18
	s_delay_alu instid0(SALU_CYCLE_1)
	s_and_not1_b32 s9, s12, exec_lo
	s_and_b32 s12, s17, exec_lo
	s_and_b32 s17, s8, exec_lo
	s_or_b32 s12, s9, s12
	s_and_not1_b32 s8, s14, exec_lo
	s_and_b32 s9, s16, exec_lo
	s_and_b32 s0, s0, exec_lo
	;; [unrolled: 1-line block ×3, first 2 shown]
	s_or_b32 s14, s8, s9
.LBB168_998:
	s_or_b32 exec_lo, exec_lo, s15
	s_mov_b32 s8, 0
	s_and_saveexec_b32 s1, s14
	s_cbranch_execnz .LBB168_1010
; %bb.999:
	s_or_b32 exec_lo, exec_lo, s1
	s_and_saveexec_b32 s1, s16
	s_delay_alu instid0(SALU_CYCLE_1)
	s_xor_b32 s1, exec_lo, s1
	s_cbranch_execz .LBB168_1001
.LBB168_1000:
	global_load_u8 v0, v[4:5], off
	s_waitcnt vmcnt(1)
	v_mov_b32_e32 v2, 0
	v_mov_b32_e32 v3, 0
	s_or_b32 s17, s17, exec_lo
	s_waitcnt vmcnt(0)
	v_cmp_ne_u16_e32 vcc_lo, 0, v0
	v_mov_b32_e32 v0, 0
	v_cndmask_b32_e64 v1, 0, 0x3ff00000, vcc_lo
.LBB168_1001:
	s_or_b32 exec_lo, exec_lo, s1
	s_and_saveexec_b32 s9, s0
	s_cbranch_execz .LBB168_1051
; %bb.1002:
	v_cmp_gt_i16_e32 vcc_lo, 5, v20
	s_cbranch_vccnz .LBB168_1007
; %bb.1003:
	v_cmp_gt_i16_e32 vcc_lo, 8, v20
	s_cbranch_vccnz .LBB168_1008
	;; [unrolled: 3-line block ×3, first 2 shown]
; %bb.1005:
	v_cmp_lt_i16_e32 vcc_lo, 9, v20
	s_cbranch_vccz .LBB168_1012
; %bb.1006:
	global_load_b128 v[0:3], v[4:5], off
	s_mov_b32 s0, 0
	s_branch .LBB168_1013
.LBB168_1007:
                                        ; implicit-def: $vgpr2_vgpr3
	s_branch .LBB168_1031
.LBB168_1008:
                                        ; implicit-def: $vgpr2_vgpr3
	s_branch .LBB168_1019
.LBB168_1009:
	s_mov_b32 s0, -1
                                        ; implicit-def: $vgpr2_vgpr3
	s_branch .LBB168_1016
.LBB168_1010:
	s_cbranch_execnz .LBB168_1100
; %bb.1011:
	s_mov_b32 s8, exec_lo
	s_and_not1_b32 s16, s16, exec_lo
                                        ; implicit-def: $vgpr2_vgpr3
	s_or_b32 exec_lo, exec_lo, s1
	s_and_saveexec_b32 s1, s16
	s_delay_alu instid0(SALU_CYCLE_1)
	s_xor_b32 s1, exec_lo, s1
	s_cbranch_execnz .LBB168_1000
	s_branch .LBB168_1001
.LBB168_1012:
	s_mov_b32 s0, -1
                                        ; implicit-def: $vgpr2_vgpr3
.LBB168_1013:
	s_delay_alu instid0(SALU_CYCLE_1)
	s_and_not1_b32 vcc_lo, exec_lo, s0
	s_cbranch_vccnz .LBB168_1015
; %bb.1014:
	global_load_b64 v[1:2], v[4:5], off
	s_waitcnt vmcnt(0)
	v_cvt_f64_f32_e32 v[0:1], v1
	v_cvt_f64_f32_e32 v[2:3], v2
.LBB168_1015:
	s_mov_b32 s0, 0
.LBB168_1016:
	s_delay_alu instid0(SALU_CYCLE_1)
	s_and_not1_b32 vcc_lo, exec_lo, s0
	s_cbranch_vccnz .LBB168_1018
; %bb.1017:
	global_load_b32 v0, v[4:5], off
	s_waitcnt vmcnt(0)
	v_lshrrev_b32_e32 v1, 16, v0
	v_cvt_f32_f16_e32 v0, v0
	s_delay_alu instid0(VALU_DEP_2) | instskip(NEXT) | instid1(VALU_DEP_2)
	v_cvt_f32_f16_e32 v2, v1
	v_cvt_f64_f32_e32 v[0:1], v0
	s_delay_alu instid0(VALU_DEP_2)
	v_cvt_f64_f32_e32 v[2:3], v2
.LBB168_1018:
	s_cbranch_execnz .LBB168_1030
.LBB168_1019:
	v_cmp_gt_i16_e32 vcc_lo, 6, v20
	s_cbranch_vccnz .LBB168_1022
; %bb.1020:
	v_cmp_lt_i16_e32 vcc_lo, 6, v20
	s_cbranch_vccz .LBB168_1023
; %bb.1021:
	global_load_b64 v[0:1], v[4:5], off
	s_mov_b32 s13, 0
	s_mov_b64 s[0:1], 0
	s_branch .LBB168_1024
.LBB168_1022:
	s_mov_b32 s13, -1
                                        ; implicit-def: $sgpr0_sgpr1
                                        ; implicit-def: $vgpr0_vgpr1
	s_branch .LBB168_1027
.LBB168_1023:
	s_mov_b32 s13, -1
                                        ; implicit-def: $sgpr0_sgpr1
                                        ; implicit-def: $vgpr0_vgpr1
.LBB168_1024:
	s_delay_alu instid0(SALU_CYCLE_1)
	s_and_not1_b32 vcc_lo, exec_lo, s13
	s_cbranch_vccnz .LBB168_1026
; %bb.1025:
	global_load_b32 v0, v[4:5], off
	s_mov_b64 s[0:1], 0
	s_waitcnt vmcnt(0)
	v_cvt_f64_f32_e32 v[0:1], v0
.LBB168_1026:
	s_mov_b32 s13, 0
.LBB168_1027:
	s_delay_alu instid0(SALU_CYCLE_1)
	s_and_not1_b32 vcc_lo, exec_lo, s13
	s_cbranch_vccnz .LBB168_1029
; %bb.1028:
	global_load_u16 v0, v[4:5], off
	s_mov_b64 s[0:1], 0
	s_waitcnt vmcnt(0)
	v_cvt_f32_f16_e32 v0, v0
	s_delay_alu instid0(VALU_DEP_1)
	v_cvt_f64_f32_e32 v[0:1], v0
.LBB168_1029:
	s_waitcnt vmcnt(0)
	v_dual_mov_b32 v3, s1 :: v_dual_mov_b32 v2, s0
.LBB168_1030:
	s_cbranch_execnz .LBB168_1050
.LBB168_1031:
	v_cmp_gt_i16_e32 vcc_lo, 2, v20
	s_cbranch_vccnz .LBB168_1035
; %bb.1032:
	v_cmp_gt_i16_e32 vcc_lo, 3, v20
	s_cbranch_vccnz .LBB168_1036
; %bb.1033:
	v_cmp_lt_i16_e32 vcc_lo, 3, v20
	s_cbranch_vccz .LBB168_1037
; %bb.1034:
	global_load_b64 v[0:1], v[4:5], off
	s_mov_b32 s13, 0
	s_mov_b64 s[0:1], 0
	s_waitcnt vmcnt(0)
	v_cvt_f64_i32_e32 v[1:2], v1
	v_cvt_f64_u32_e32 v[6:7], v0
	s_delay_alu instid0(VALU_DEP_2) | instskip(NEXT) | instid1(VALU_DEP_1)
	v_ldexp_f64 v[1:2], v[1:2], 32
	v_add_f64 v[0:1], v[1:2], v[6:7]
	s_branch .LBB168_1038
.LBB168_1035:
                                        ; implicit-def: $sgpr0_sgpr1
                                        ; implicit-def: $vgpr0_vgpr1
	s_branch .LBB168_1044
.LBB168_1036:
	s_mov_b32 s13, -1
                                        ; implicit-def: $sgpr0_sgpr1
                                        ; implicit-def: $vgpr0_vgpr1
	s_branch .LBB168_1041
.LBB168_1037:
	s_mov_b32 s13, -1
                                        ; implicit-def: $sgpr0_sgpr1
                                        ; implicit-def: $vgpr0_vgpr1
.LBB168_1038:
	s_delay_alu instid0(SALU_CYCLE_1)
	s_and_not1_b32 vcc_lo, exec_lo, s13
	s_cbranch_vccnz .LBB168_1040
; %bb.1039:
	global_load_b32 v0, v[4:5], off
	s_mov_b64 s[0:1], 0
	s_waitcnt vmcnt(0)
	v_cvt_f64_i32_e32 v[0:1], v0
.LBB168_1040:
	s_mov_b32 s13, 0
.LBB168_1041:
	s_delay_alu instid0(SALU_CYCLE_1)
	s_and_not1_b32 vcc_lo, exec_lo, s13
	s_cbranch_vccnz .LBB168_1043
; %bb.1042:
	global_load_i16 v0, v[4:5], off
	s_mov_b64 s[0:1], 0
	s_waitcnt vmcnt(0)
	v_cvt_f64_i32_e32 v[0:1], v0
.LBB168_1043:
	s_cbranch_execnz .LBB168_1049
.LBB168_1044:
	v_cmp_lt_i16_e32 vcc_lo, 0, v20
	s_mov_b32 s13, 0
	s_cbranch_vccz .LBB168_1046
; %bb.1045:
	global_load_i8 v0, v[4:5], off
	s_mov_b64 s[0:1], 0
	s_waitcnt vmcnt(0)
	v_cvt_f64_i32_e32 v[0:1], v0
	s_branch .LBB168_1047
.LBB168_1046:
	s_mov_b32 s13, -1
                                        ; implicit-def: $sgpr0_sgpr1
                                        ; implicit-def: $vgpr0_vgpr1
.LBB168_1047:
	s_delay_alu instid0(SALU_CYCLE_1)
	s_and_not1_b32 vcc_lo, exec_lo, s13
	s_cbranch_vccnz .LBB168_1049
; %bb.1048:
	global_load_u8 v0, v[4:5], off
	s_mov_b64 s[0:1], 0
	s_waitcnt vmcnt(0)
	v_cvt_f64_u32_e32 v[0:1], v0
.LBB168_1049:
	s_waitcnt vmcnt(0)
	v_dual_mov_b32 v3, s1 :: v_dual_mov_b32 v2, s0
.LBB168_1050:
	s_or_b32 s17, s17, exec_lo
.LBB168_1051:
	s_or_b32 exec_lo, exec_lo, s9
	s_mov_b32 s0, 0
	s_mov_b32 s1, 0
                                        ; implicit-def: $vgpr10
                                        ; implicit-def: $vgpr8_vgpr9
                                        ; implicit-def: $vgpr6_vgpr7
	s_and_saveexec_b32 s9, s17
	s_cbranch_execz .LBB168_1171
; %bb.1052:
	s_waitcnt vmcnt(0)
	s_delay_alu instid0(VALU_DEP_1) | instskip(NEXT) | instid1(VALU_DEP_2)
	v_cmp_neq_f64_e32 vcc_lo, 0, v[0:1]
	v_cmp_neq_f64_e64 s0, 0, v[2:3]
	v_mov_b32_e32 v8, 0
	v_mov_b32_e32 v9, 0
	s_delay_alu instid0(VALU_DEP_3) | instskip(NEXT) | instid1(SALU_CYCLE_1)
	s_or_b32 s0, vcc_lo, s0
	s_and_saveexec_b32 s13, s0
	s_cbranch_execz .LBB168_1084
; %bb.1053:
	s_mov_b32 s0, 0
	s_mov_b32 s1, 0x7ff00000
	v_mov_b32_e32 v8, s0
	v_mov_b32_e32 v9, s1
	s_mov_b32 s14, exec_lo
	v_cmpx_neq_f64_e64 0x7ff00000, |v[2:3]|
	s_cbranch_execz .LBB168_1083
; %bb.1054:
	s_mov_b32 s0, exec_lo
	v_cmpx_o_f64_e32 v[0:1], v[0:1]
	s_xor_b32 s15, exec_lo, s0
	s_cbranch_execz .LBB168_1080
; %bb.1055:
	s_mov_b32 s1, exec_lo
	v_cmpx_neq_f64_e64 0x7ff00000, |v[0:1]|
	s_xor_b32 s16, exec_lo, s1
	s_cbranch_execz .LBB168_1073
; %bb.1056:
	v_max_f64 v[4:5], |v[2:3]|, |v[2:3]|
	v_max_f64 v[6:7], |v[0:1]|, |v[0:1]|
	s_mov_b32 s0, 0x99fcef32
	s_mov_b32 s1, 0x7fda8279
                                        ; implicit-def: $sgpr17
	s_delay_alu instid0(VALU_DEP_1) | instskip(NEXT) | instid1(VALU_DEP_1)
	v_max_f64 v[4:5], v[6:7], v[4:5]
	v_cmp_nle_f64_e64 s0, s[0:1], v[4:5]
	s_delay_alu instid0(VALU_DEP_1) | instskip(NEXT) | instid1(SALU_CYCLE_1)
	s_and_saveexec_b32 s1, s0
	s_xor_b32 s1, exec_lo, s1
	s_cbranch_execz .LBB168_1060
; %bb.1057:
	v_cmp_ge_f64_e64 s17, 0x200000, |v[0:1]|
	v_cmp_ge_f64_e64 s18, 0x200000, |v[2:3]|
	s_delay_alu instid0(VALU_DEP_1)
	s_and_b32 s19, s17, s18
	s_mov_b32 s17, 0
	s_and_saveexec_b32 s18, s19
; %bb.1058:
	v_mul_f64 v[0:1], v[0:1], 4.0
	v_mul_f64 v[2:3], v[2:3], 4.0
	s_mov_b32 s17, exec_lo
; %bb.1059:
	s_or_b32 exec_lo, exec_lo, s18
	s_delay_alu instid0(SALU_CYCLE_1)
	s_and_b32 s17, s17, exec_lo
.LBB168_1060:
	s_and_not1_saveexec_b32 s1, s1
; %bb.1061:
	s_delay_alu instid0(VALU_DEP_2) | instskip(NEXT) | instid1(VALU_DEP_2)
	v_ldexp_f64 v[0:1], v[0:1], -2
	v_ldexp_f64 v[2:3], v[2:3], -2
	s_and_not1_b32 s17, s17, exec_lo
; %bb.1062:
	s_or_b32 exec_lo, exec_lo, s1
	s_delay_alu instid0(VALU_DEP_1) | instskip(NEXT) | instid1(VALU_DEP_3)
	v_max_f64 v[4:5], |v[2:3]|, |v[2:3]|
	v_max_f64 v[6:7], |v[0:1]|, |v[0:1]|
	v_cmp_class_f64_e64 s18, v[0:1], 0x204
	v_cmp_class_f64_e64 s19, v[2:3], 0x204
	v_cmp_le_f64_e64 s1, 0, v[0:1]
	s_delay_alu instid0(VALU_DEP_4) | instskip(NEXT) | instid1(VALU_DEP_3)
	v_max_f64 v[4:5], v[6:7], v[4:5]
	s_or_b32 s18, s19, s18
	s_delay_alu instid0(VALU_DEP_1) | instskip(NEXT) | instid1(VALU_DEP_1)
	v_frexp_exp_i32_f64_e32 v12, v[4:5]
	v_sub_nc_u32_e32 v6, 0, v12
	s_delay_alu instid0(VALU_DEP_1) | instskip(SKIP_1) | instid1(VALU_DEP_2)
	v_ldexp_f64 v[4:5], |v[2:3]|, v6
	v_ldexp_f64 v[6:7], |v[0:1]|, v6
	v_mul_f64 v[4:5], v[4:5], v[4:5]
	s_delay_alu instid0(VALU_DEP_1) | instskip(NEXT) | instid1(VALU_DEP_1)
	v_fma_f64 v[4:5], v[6:7], v[6:7], v[4:5]
	v_rsq_f64_e32 v[6:7], v[4:5]
	v_cmp_eq_f64_e32 vcc_lo, 0, v[4:5]
	s_waitcnt_depctr 0xfff
	v_mul_f64 v[8:9], v[4:5], v[6:7]
	v_mul_f64 v[6:7], v[6:7], 0.5
	s_delay_alu instid0(VALU_DEP_1) | instskip(NEXT) | instid1(VALU_DEP_1)
	v_fma_f64 v[10:11], -v[6:7], v[8:9], 0.5
	v_fma_f64 v[8:9], v[8:9], v[10:11], v[8:9]
	v_fma_f64 v[6:7], v[6:7], v[10:11], v[6:7]
	s_delay_alu instid0(VALU_DEP_2) | instskip(NEXT) | instid1(VALU_DEP_1)
	v_fma_f64 v[10:11], -v[8:9], v[8:9], v[4:5]
	v_fma_f64 v[6:7], v[10:11], v[6:7], v[8:9]
	s_delay_alu instid0(VALU_DEP_1) | instskip(SKIP_1) | instid1(VALU_DEP_2)
	v_dual_cndmask_b32 v5, v7, v5 :: v_dual_cndmask_b32 v4, v6, v4
	v_cmp_o_f64_e32 vcc_lo, v[2:3], v[2:3]
	v_ldexp_f64 v[4:5], v[4:5], v12
	s_delay_alu instid0(VALU_DEP_1) | instskip(NEXT) | instid1(VALU_DEP_2)
	v_cndmask_b32_e32 v4, 0, v4, vcc_lo
	v_cndmask_b32_e32 v5, 0x7ff80000, v5, vcc_lo
	s_delay_alu instid0(VALU_DEP_2) | instskip(NEXT) | instid1(VALU_DEP_2)
	v_cndmask_b32_e64 v4, v4, 0, s18
	v_cndmask_b32_e64 v5, v5, 0x7ff00000, s18
	s_and_saveexec_b32 s18, s1
	s_delay_alu instid0(SALU_CYCLE_1)
	s_xor_b32 s1, exec_lo, s18
	s_cbranch_execz .LBB168_1068
; %bb.1063:
	s_delay_alu instid0(VALU_DEP_1) | instskip(NEXT) | instid1(VALU_DEP_1)
	v_add_f64 v[0:1], v[0:1], v[4:5]
	v_mul_f64 v[0:1], v[0:1], 0.5
	s_delay_alu instid0(VALU_DEP_1) | instskip(SKIP_1) | instid1(VALU_DEP_1)
	v_cmp_gt_f64_e32 vcc_lo, 0x10000000, v[0:1]
	v_cndmask_b32_e64 v4, 0, 1, vcc_lo
	v_lshlrev_b32_e32 v4, 8, v4
	s_delay_alu instid0(VALU_DEP_1) | instskip(NEXT) | instid1(VALU_DEP_1)
	v_ldexp_f64 v[0:1], v[0:1], v4
	v_rsq_f64_e32 v[4:5], v[0:1]
	s_waitcnt_depctr 0xfff
	v_mul_f64 v[6:7], v[0:1], v[4:5]
	v_mul_f64 v[4:5], v[4:5], 0.5
	s_delay_alu instid0(VALU_DEP_1) | instskip(NEXT) | instid1(VALU_DEP_1)
	v_fma_f64 v[8:9], -v[4:5], v[6:7], 0.5
	v_fma_f64 v[6:7], v[6:7], v[8:9], v[6:7]
	v_fma_f64 v[4:5], v[4:5], v[8:9], v[4:5]
	s_delay_alu instid0(VALU_DEP_2) | instskip(NEXT) | instid1(VALU_DEP_1)
	v_fma_f64 v[8:9], -v[6:7], v[6:7], v[0:1]
	v_fma_f64 v[6:7], v[8:9], v[4:5], v[6:7]
	s_delay_alu instid0(VALU_DEP_1) | instskip(NEXT) | instid1(VALU_DEP_1)
	v_fma_f64 v[8:9], -v[6:7], v[6:7], v[0:1]
	v_fma_f64 v[4:5], v[8:9], v[4:5], v[6:7]
	v_cndmask_b32_e64 v6, 0, 0xffffff80, vcc_lo
	v_cmp_class_f64_e64 vcc_lo, v[0:1], 0x260
	s_delay_alu instid0(VALU_DEP_2) | instskip(NEXT) | instid1(VALU_DEP_1)
	v_ldexp_f64 v[4:5], v[4:5], v6
	v_dual_cndmask_b32 v1, v5, v1 :: v_dual_cndmask_b32 v0, v4, v0
	s_delay_alu instid0(VALU_DEP_1) | instskip(NEXT) | instid1(VALU_DEP_1)
	v_add_f64 v[4:5], v[0:1], v[0:1]
	v_div_scale_f64 v[6:7], null, v[4:5], v[4:5], v[2:3]
	s_delay_alu instid0(VALU_DEP_1) | instskip(SKIP_2) | instid1(VALU_DEP_1)
	v_rcp_f64_e32 v[8:9], v[6:7]
	s_waitcnt_depctr 0xfff
	v_fma_f64 v[10:11], -v[6:7], v[8:9], 1.0
	v_fma_f64 v[8:9], v[8:9], v[10:11], v[8:9]
	s_delay_alu instid0(VALU_DEP_1) | instskip(NEXT) | instid1(VALU_DEP_1)
	v_fma_f64 v[10:11], -v[6:7], v[8:9], 1.0
	v_fma_f64 v[8:9], v[8:9], v[10:11], v[8:9]
	v_div_scale_f64 v[10:11], vcc_lo, v[2:3], v[4:5], v[2:3]
	s_delay_alu instid0(VALU_DEP_1) | instskip(NEXT) | instid1(VALU_DEP_1)
	v_mul_f64 v[12:13], v[10:11], v[8:9]
	v_fma_f64 v[6:7], -v[6:7], v[12:13], v[10:11]
	s_delay_alu instid0(VALU_DEP_1) | instskip(NEXT) | instid1(VALU_DEP_1)
	v_div_fmas_f64 v[6:7], v[6:7], v[8:9], v[12:13]
	v_div_fixup_f64 v[2:3], v[6:7], v[4:5], v[2:3]
                                        ; implicit-def: $vgpr4_vgpr5
	s_and_not1_saveexec_b32 s1, s1
	s_cbranch_execnz .LBB168_1069
.LBB168_1064:
	s_or_b32 exec_lo, exec_lo, s1
	s_and_saveexec_b32 s1, s0
	s_delay_alu instid0(SALU_CYCLE_1)
	s_xor_b32 s0, exec_lo, s1
	s_cbranch_execz .LBB168_1070
.LBB168_1065:
	s_and_saveexec_b32 s1, s17
; %bb.1066:
	s_delay_alu instid0(VALU_DEP_2) | instskip(NEXT) | instid1(VALU_DEP_2)
	v_mul_f64 v[0:1], v[0:1], 0.5
	v_mul_f64 v[2:3], v[2:3], 0.5
; %bb.1067:
	s_or_b32 exec_lo, exec_lo, s1
	s_and_not1_saveexec_b32 s0, s0
	s_cbranch_execnz .LBB168_1071
	s_branch .LBB168_1072
.LBB168_1068:
	s_and_not1_saveexec_b32 s1, s1
	s_cbranch_execz .LBB168_1064
.LBB168_1069:
	v_add_f64 v[0:1], v[4:5], -v[0:1]
	s_delay_alu instid0(VALU_DEP_1) | instskip(NEXT) | instid1(VALU_DEP_1)
	v_mul_f64 v[0:1], v[0:1], 0.5
	v_cmp_gt_f64_e32 vcc_lo, 0x10000000, v[0:1]
	v_cndmask_b32_e64 v4, 0, 1, vcc_lo
	s_delay_alu instid0(VALU_DEP_1) | instskip(NEXT) | instid1(VALU_DEP_1)
	v_lshlrev_b32_e32 v4, 8, v4
	v_ldexp_f64 v[0:1], v[0:1], v4
	s_delay_alu instid0(VALU_DEP_1) | instskip(SKIP_3) | instid1(VALU_DEP_1)
	v_rsq_f64_e32 v[4:5], v[0:1]
	s_waitcnt_depctr 0xfff
	v_mul_f64 v[6:7], v[0:1], v[4:5]
	v_mul_f64 v[4:5], v[4:5], 0.5
	v_fma_f64 v[8:9], -v[4:5], v[6:7], 0.5
	s_delay_alu instid0(VALU_DEP_1) | instskip(SKIP_1) | instid1(VALU_DEP_2)
	v_fma_f64 v[6:7], v[6:7], v[8:9], v[6:7]
	v_fma_f64 v[4:5], v[4:5], v[8:9], v[4:5]
	v_fma_f64 v[8:9], -v[6:7], v[6:7], v[0:1]
	s_delay_alu instid0(VALU_DEP_1) | instskip(NEXT) | instid1(VALU_DEP_1)
	v_fma_f64 v[6:7], v[8:9], v[4:5], v[6:7]
	v_fma_f64 v[8:9], -v[6:7], v[6:7], v[0:1]
	s_delay_alu instid0(VALU_DEP_1) | instskip(SKIP_3) | instid1(VALU_DEP_3)
	v_fma_f64 v[4:5], v[8:9], v[4:5], v[6:7]
	v_cndmask_b32_e64 v6, 0, 0xffffff80, vcc_lo
	v_cmp_class_f64_e64 vcc_lo, v[0:1], 0x260
	v_and_b32_e32 v7, 0x7fffffff, v3
	v_ldexp_f64 v[4:5], v[4:5], v6
	s_delay_alu instid0(VALU_DEP_1) | instskip(NEXT) | instid1(VALU_DEP_1)
	v_dual_cndmask_b32 v5, v5, v1 :: v_dual_cndmask_b32 v4, v4, v0
	v_add_f64 v[0:1], v[4:5], v[4:5]
	v_bfi_b32 v5, 0x7fffffff, v5, v3
	v_mov_b32_e32 v6, v2
	s_delay_alu instid0(VALU_DEP_1) | instskip(SKIP_1) | instid1(VALU_DEP_2)
	v_div_scale_f64 v[8:9], null, v[0:1], v[0:1], v[6:7]
	v_div_scale_f64 v[6:7], vcc_lo, v[6:7], v[0:1], v[6:7]
	v_rcp_f64_e32 v[10:11], v[8:9]
	s_waitcnt_depctr 0xfff
	v_fma_f64 v[12:13], -v[8:9], v[10:11], 1.0
	s_delay_alu instid0(VALU_DEP_1) | instskip(NEXT) | instid1(VALU_DEP_1)
	v_fma_f64 v[10:11], v[10:11], v[12:13], v[10:11]
	v_fma_f64 v[12:13], -v[8:9], v[10:11], 1.0
	s_delay_alu instid0(VALU_DEP_1) | instskip(NEXT) | instid1(VALU_DEP_1)
	v_fma_f64 v[10:11], v[10:11], v[12:13], v[10:11]
	v_mul_f64 v[12:13], v[6:7], v[10:11]
	s_delay_alu instid0(VALU_DEP_1) | instskip(NEXT) | instid1(VALU_DEP_1)
	v_fma_f64 v[6:7], -v[8:9], v[12:13], v[6:7]
	v_div_fmas_f64 v[6:7], v[6:7], v[10:11], v[12:13]
	s_delay_alu instid0(VALU_DEP_1) | instskip(SKIP_3) | instid1(SALU_CYCLE_1)
	v_div_fixup_f64 v[0:1], v[6:7], v[0:1], |v[2:3]|
	v_dual_mov_b32 v2, v4 :: v_dual_mov_b32 v3, v5
	s_or_b32 exec_lo, exec_lo, s1
	s_and_saveexec_b32 s1, s0
	s_xor_b32 s0, exec_lo, s1
	s_cbranch_execnz .LBB168_1065
.LBB168_1070:
	s_and_not1_saveexec_b32 s0, s0
.LBB168_1071:
	s_delay_alu instid0(VALU_DEP_2) | instskip(NEXT) | instid1(VALU_DEP_2)
	v_add_f64 v[0:1], v[0:1], v[0:1]
	v_add_f64 v[2:3], v[2:3], v[2:3]
.LBB168_1072:
	s_or_b32 exec_lo, exec_lo, s0
.LBB168_1073:
	s_and_not1_saveexec_b32 s0, s16
	s_cbranch_execz .LBB168_1079
; %bb.1074:
	s_delay_alu instid0(VALU_DEP_1) | instskip(SKIP_1) | instid1(VALU_DEP_3)
	v_add_f64 v[4:5], v[2:3], -v[2:3]
	s_mov_b32 s1, exec_lo
	v_cmpx_lt_i64_e32 -1, v[0:1]
	s_xor_b32 s1, exec_lo, s1
; %bb.1075:
	s_delay_alu instid0(VALU_DEP_2) | instskip(NEXT) | instid1(VALU_DEP_1)
	v_bfi_b32 v5, 0x7fffffff, v5, v3
	v_dual_mov_b32 v2, v4 :: v_dual_mov_b32 v3, v5
                                        ; implicit-def: $vgpr4_vgpr5
; %bb.1076:
	s_and_not1_saveexec_b32 s1, s1
; %bb.1077:
	s_delay_alu instid0(VALU_DEP_1) | instskip(SKIP_1) | instid1(VALU_DEP_2)
	v_bfi_b32 v1, 0x7fffffff, v1, v3
	v_and_b32_e32 v5, 0x7fffffff, v5
	v_dual_mov_b32 v3, v1 :: v_dual_mov_b32 v2, v0
	s_delay_alu instid0(VALU_DEP_2)
	v_dual_mov_b32 v0, v4 :: v_dual_mov_b32 v1, v5
; %bb.1078:
	s_or_b32 exec_lo, exec_lo, s1
.LBB168_1079:
	s_delay_alu instid0(SALU_CYCLE_1)
	s_or_b32 exec_lo, exec_lo, s0
.LBB168_1080:
	s_and_not1_saveexec_b32 s0, s15
; %bb.1081:
	s_delay_alu instid0(VALU_DEP_1) | instskip(NEXT) | instid1(VALU_DEP_1)
	v_add_f64 v[2:3], v[2:3], -v[2:3]
	v_div_scale_f64 v[4:5], vcc_lo, v[2:3], v[2:3], v[2:3]
	s_delay_alu instid0(VALU_DEP_1) | instskip(SKIP_2) | instid1(VALU_DEP_1)
	v_rcp_f64_e32 v[6:7], v[4:5]
	s_waitcnt_depctr 0xfff
	v_fma_f64 v[8:9], -v[4:5], v[6:7], 1.0
	v_fma_f64 v[6:7], v[6:7], v[8:9], v[6:7]
	s_delay_alu instid0(VALU_DEP_1) | instskip(NEXT) | instid1(VALU_DEP_1)
	v_fma_f64 v[8:9], -v[4:5], v[6:7], 1.0
	v_fma_f64 v[6:7], v[6:7], v[8:9], v[6:7]
	s_delay_alu instid0(VALU_DEP_1) | instskip(NEXT) | instid1(VALU_DEP_1)
	v_mul_f64 v[8:9], v[4:5], v[6:7]
	v_fma_f64 v[4:5], -v[4:5], v[8:9], v[4:5]
	s_delay_alu instid0(VALU_DEP_1) | instskip(NEXT) | instid1(VALU_DEP_1)
	v_div_fmas_f64 v[4:5], v[4:5], v[6:7], v[8:9]
	v_div_fixup_f64 v[2:3], v[4:5], v[2:3], v[2:3]
; %bb.1082:
	s_or_b32 exec_lo, exec_lo, s0
	v_dual_mov_b32 v9, v1 :: v_dual_mov_b32 v8, v0
.LBB168_1083:
	s_or_b32 exec_lo, exec_lo, s14
.LBB168_1084:
	s_delay_alu instid0(SALU_CYCLE_1) | instskip(NEXT) | instid1(VALU_DEP_1)
	s_or_b32 exec_lo, exec_lo, s13
	v_cmp_gt_f64_e32 vcc_lo, 0, v[8:9]
	s_delay_alu instid0(VALU_DEP_3) | instskip(SKIP_2) | instid1(VALU_DEP_2)
	v_cmp_gt_f64_e64 s0, 0, v[2:3]
	v_xor_b32_e32 v0, 0x80000000, v9
	v_xor_b32_e32 v4, 0x80000000, v3
                                        ; implicit-def: $vgpr6_vgpr7
	v_cndmask_b32_e32 v1, v9, v0, vcc_lo
	s_delay_alu instid0(VALU_DEP_2) | instskip(SKIP_3) | instid1(VALU_DEP_1)
	v_cndmask_b32_e64 v11, v3, v4, s0
	v_cndmask_b32_e32 v0, v8, v8, vcc_lo
	v_cndmask_b32_e64 v10, v2, v2, s0
	s_mov_b32 s0, exec_lo
	v_cmpx_ge_f64_e32 v[0:1], v[10:11]
	s_xor_b32 s1, exec_lo, s0
	s_cbranch_execz .LBB168_1090
; %bb.1085:
	v_cmp_neq_f64_e32 vcc_lo, 0, v[8:9]
	v_cmp_neq_f64_e64 s0, 0, v[2:3]
                                        ; implicit-def: $vgpr6_vgpr7
	s_delay_alu instid0(VALU_DEP_1) | instskip(NEXT) | instid1(SALU_CYCLE_1)
	s_or_b32 s0, vcc_lo, s0
	s_and_saveexec_b32 s13, s0
	s_delay_alu instid0(SALU_CYCLE_1)
	s_xor_b32 s0, exec_lo, s13
	s_cbranch_execz .LBB168_1087
; %bb.1086:
	v_div_scale_f64 v[0:1], null, v[8:9], v[8:9], v[2:3]
	v_div_scale_f64 v[10:11], vcc_lo, v[2:3], v[8:9], v[2:3]
	s_delay_alu instid0(VALU_DEP_2) | instskip(SKIP_2) | instid1(VALU_DEP_1)
	v_rcp_f64_e32 v[4:5], v[0:1]
	s_waitcnt_depctr 0xfff
	v_fma_f64 v[6:7], -v[0:1], v[4:5], 1.0
	v_fma_f64 v[4:5], v[4:5], v[6:7], v[4:5]
	s_delay_alu instid0(VALU_DEP_1) | instskip(NEXT) | instid1(VALU_DEP_1)
	v_fma_f64 v[6:7], -v[0:1], v[4:5], 1.0
	v_fma_f64 v[4:5], v[4:5], v[6:7], v[4:5]
	s_delay_alu instid0(VALU_DEP_1) | instskip(NEXT) | instid1(VALU_DEP_1)
	v_mul_f64 v[6:7], v[10:11], v[4:5]
	v_fma_f64 v[0:1], -v[0:1], v[6:7], v[10:11]
	s_delay_alu instid0(VALU_DEP_1) | instskip(NEXT) | instid1(VALU_DEP_1)
	v_div_fmas_f64 v[0:1], v[0:1], v[4:5], v[6:7]
	v_div_fixup_f64 v[0:1], v[0:1], v[8:9], v[2:3]
	s_delay_alu instid0(VALU_DEP_1) | instskip(NEXT) | instid1(VALU_DEP_1)
	v_fma_f64 v[2:3], v[2:3], v[0:1], v[8:9]
	v_div_scale_f64 v[4:5], null, v[2:3], v[2:3], 1.0
	v_div_scale_f64 v[10:11], vcc_lo, 1.0, v[2:3], 1.0
	s_delay_alu instid0(VALU_DEP_2) | instskip(SKIP_2) | instid1(VALU_DEP_1)
	v_rcp_f64_e32 v[6:7], v[4:5]
	s_waitcnt_depctr 0xfff
	v_fma_f64 v[8:9], -v[4:5], v[6:7], 1.0
	v_fma_f64 v[6:7], v[6:7], v[8:9], v[6:7]
	s_delay_alu instid0(VALU_DEP_1) | instskip(NEXT) | instid1(VALU_DEP_1)
	v_fma_f64 v[8:9], -v[4:5], v[6:7], 1.0
	v_fma_f64 v[6:7], v[6:7], v[8:9], v[6:7]
	s_delay_alu instid0(VALU_DEP_1) | instskip(NEXT) | instid1(VALU_DEP_1)
	v_mul_f64 v[8:9], v[10:11], v[6:7]
	v_fma_f64 v[4:5], -v[4:5], v[8:9], v[10:11]
                                        ; implicit-def: $vgpr10_vgpr11
	s_delay_alu instid0(VALU_DEP_1) | instskip(SKIP_2) | instid1(VALU_DEP_3)
	v_div_fmas_f64 v[4:5], v[4:5], v[6:7], v[8:9]
	v_fma_f64 v[6:7], v[0:1], 0, 1.0
	v_add_f64 v[0:1], -v[0:1], 0
	v_div_fixup_f64 v[2:3], v[4:5], v[2:3], 1.0
	s_delay_alu instid0(VALU_DEP_1) | instskip(NEXT) | instid1(VALU_DEP_3)
	v_mul_f64 v[4:5], v[6:7], v[2:3]
	v_mul_f64 v[6:7], v[0:1], v[2:3]
                                        ; implicit-def: $vgpr0_vgpr1
.LBB168_1087:
	s_and_not1_saveexec_b32 s13, s0
	s_cbranch_execz .LBB168_1089
; %bb.1088:
	v_div_scale_f64 v[2:3], null, v[0:1], v[0:1], 1.0
	v_div_scale_f64 v[4:5], null, v[10:11], v[10:11], 0
	v_div_scale_f64 v[16:17], vcc_lo, 1.0, v[0:1], 1.0
	s_delay_alu instid0(VALU_DEP_3) | instskip(NEXT) | instid1(VALU_DEP_2)
	v_rcp_f64_e32 v[6:7], v[2:3]
	v_rcp_f64_e32 v[8:9], v[4:5]
	s_waitcnt_depctr 0xfff
	v_fma_f64 v[12:13], -v[2:3], v[6:7], 1.0
	v_fma_f64 v[14:15], -v[4:5], v[8:9], 1.0
	s_delay_alu instid0(VALU_DEP_2) | instskip(NEXT) | instid1(VALU_DEP_2)
	v_fma_f64 v[6:7], v[6:7], v[12:13], v[6:7]
	v_fma_f64 v[8:9], v[8:9], v[14:15], v[8:9]
	s_delay_alu instid0(VALU_DEP_2) | instskip(NEXT) | instid1(VALU_DEP_2)
	v_fma_f64 v[12:13], -v[2:3], v[6:7], 1.0
	v_fma_f64 v[14:15], -v[4:5], v[8:9], 1.0
	s_delay_alu instid0(VALU_DEP_2) | instskip(SKIP_1) | instid1(VALU_DEP_3)
	v_fma_f64 v[6:7], v[6:7], v[12:13], v[6:7]
	v_div_scale_f64 v[12:13], s0, 0, v[10:11], 0
	v_fma_f64 v[8:9], v[8:9], v[14:15], v[8:9]
	s_delay_alu instid0(VALU_DEP_3) | instskip(NEXT) | instid1(VALU_DEP_2)
	v_mul_f64 v[14:15], v[16:17], v[6:7]
	v_mul_f64 v[18:19], v[12:13], v[8:9]
	s_delay_alu instid0(VALU_DEP_2) | instskip(NEXT) | instid1(VALU_DEP_2)
	v_fma_f64 v[2:3], -v[2:3], v[14:15], v[16:17]
	v_fma_f64 v[4:5], -v[4:5], v[18:19], v[12:13]
	s_delay_alu instid0(VALU_DEP_2) | instskip(SKIP_1) | instid1(VALU_DEP_2)
	v_div_fmas_f64 v[2:3], v[2:3], v[6:7], v[14:15]
	s_mov_b32 vcc_lo, s0
	v_div_fmas_f64 v[6:7], v[4:5], v[8:9], v[18:19]
	s_delay_alu instid0(VALU_DEP_2) | instskip(NEXT) | instid1(VALU_DEP_2)
	v_div_fixup_f64 v[4:5], v[2:3], v[0:1], 1.0
	v_div_fixup_f64 v[6:7], v[6:7], v[10:11], 0
.LBB168_1089:
	s_or_b32 exec_lo, exec_lo, s13
                                        ; implicit-def: $vgpr2_vgpr3
                                        ; implicit-def: $vgpr8_vgpr9
.LBB168_1090:
	s_and_not1_saveexec_b32 s0, s1
	s_cbranch_execz .LBB168_1092
; %bb.1091:
	v_div_scale_f64 v[0:1], null, v[2:3], v[2:3], v[8:9]
	v_div_scale_f64 v[10:11], vcc_lo, v[8:9], v[2:3], v[8:9]
	s_delay_alu instid0(VALU_DEP_2) | instskip(SKIP_2) | instid1(VALU_DEP_1)
	v_rcp_f64_e32 v[4:5], v[0:1]
	s_waitcnt_depctr 0xfff
	v_fma_f64 v[6:7], -v[0:1], v[4:5], 1.0
	v_fma_f64 v[4:5], v[4:5], v[6:7], v[4:5]
	s_delay_alu instid0(VALU_DEP_1) | instskip(NEXT) | instid1(VALU_DEP_1)
	v_fma_f64 v[6:7], -v[0:1], v[4:5], 1.0
	v_fma_f64 v[4:5], v[4:5], v[6:7], v[4:5]
	s_delay_alu instid0(VALU_DEP_1) | instskip(NEXT) | instid1(VALU_DEP_1)
	v_mul_f64 v[6:7], v[10:11], v[4:5]
	v_fma_f64 v[0:1], -v[0:1], v[6:7], v[10:11]
	s_delay_alu instid0(VALU_DEP_1) | instskip(NEXT) | instid1(VALU_DEP_1)
	v_div_fmas_f64 v[0:1], v[0:1], v[4:5], v[6:7]
	v_div_fixup_f64 v[0:1], v[0:1], v[2:3], v[8:9]
	s_delay_alu instid0(VALU_DEP_1) | instskip(NEXT) | instid1(VALU_DEP_1)
	v_fma_f64 v[2:3], v[8:9], v[0:1], v[2:3]
	v_div_scale_f64 v[4:5], null, v[2:3], v[2:3], 1.0
	v_div_scale_f64 v[10:11], vcc_lo, 1.0, v[2:3], 1.0
	s_delay_alu instid0(VALU_DEP_2) | instskip(SKIP_2) | instid1(VALU_DEP_1)
	v_rcp_f64_e32 v[6:7], v[4:5]
	s_waitcnt_depctr 0xfff
	v_fma_f64 v[8:9], -v[4:5], v[6:7], 1.0
	v_fma_f64 v[6:7], v[6:7], v[8:9], v[6:7]
	s_delay_alu instid0(VALU_DEP_1) | instskip(NEXT) | instid1(VALU_DEP_1)
	v_fma_f64 v[8:9], -v[4:5], v[6:7], 1.0
	v_fma_f64 v[6:7], v[6:7], v[8:9], v[6:7]
	s_delay_alu instid0(VALU_DEP_1) | instskip(NEXT) | instid1(VALU_DEP_1)
	v_mul_f64 v[8:9], v[10:11], v[6:7]
	v_fma_f64 v[4:5], -v[4:5], v[8:9], v[10:11]
	s_delay_alu instid0(VALU_DEP_1) | instskip(SKIP_2) | instid1(VALU_DEP_3)
	v_div_fmas_f64 v[4:5], v[4:5], v[6:7], v[8:9]
	v_add_f64 v[6:7], v[0:1], 0
	v_fma_f64 v[0:1], v[0:1], 0, -1.0
	v_div_fixup_f64 v[2:3], v[4:5], v[2:3], 1.0
	s_delay_alu instid0(VALU_DEP_1) | instskip(NEXT) | instid1(VALU_DEP_3)
	v_mul_f64 v[4:5], v[6:7], v[2:3]
	v_mul_f64 v[6:7], v[0:1], v[2:3]
.LBB168_1092:
	s_or_b32 exec_lo, exec_lo, s0
	v_mul_lo_u32 v0, v25, s2
	v_and_b32_e32 v10, 0xff, v24
	s_delay_alu instid0(VALU_DEP_1) | instskip(NEXT) | instid1(VALU_DEP_3)
	v_cmp_gt_i16_e32 vcc_lo, 11, v10
	v_ashrrev_i32_e32 v1, 31, v0
	v_add_co_u32 v8, s0, s4, v0
	s_delay_alu instid0(VALU_DEP_1)
	v_add_co_ci_u32_e64 v9, s0, s5, v1, s0
	s_cbranch_vccnz .LBB168_1099
; %bb.1093:
	v_cmp_lt_i16_e32 vcc_lo, 25, v10
	s_mov_b32 s1, -1
	s_mov_b32 s0, s12
	s_cbranch_vccz .LBB168_1129
; %bb.1094:
	v_cmp_lt_i16_e32 vcc_lo, 28, v10
	s_mov_b32 s0, s12
	s_cbranch_vccz .LBB168_1113
; %bb.1095:
	v_cmp_lt_i16_e32 vcc_lo, 43, v10
	;; [unrolled: 4-line block ×3, first 2 shown]
	s_mov_b32 s0, s12
	s_cbranch_vccz .LBB168_1103
; %bb.1097:
	v_cmp_eq_u16_e32 vcc_lo, 46, v10
	s_mov_b32 s0, -1
	s_cbranch_vccz .LBB168_1102
; %bb.1098:
	v_cvt_f32_f64_e32 v0, v[6:7]
	v_cvt_f32_f64_e32 v1, v[4:5]
	s_mov_b32 s0, 0
	s_mov_b32 s1, 0
	s_delay_alu instid0(VALU_DEP_2) | instskip(NEXT) | instid1(VALU_DEP_2)
	v_bfe_u32 v2, v0, 16, 1
	v_bfe_u32 v3, v1, 16, 1
	v_cmp_o_f32_e32 vcc_lo, v0, v0
	s_delay_alu instid0(VALU_DEP_3) | instskip(NEXT) | instid1(VALU_DEP_3)
	v_add3_u32 v2, v0, v2, 0x7fff
	v_add3_u32 v3, v1, v3, 0x7fff
	s_delay_alu instid0(VALU_DEP_2) | instskip(NEXT) | instid1(VALU_DEP_2)
	v_and_b32_e32 v2, 0xffff0000, v2
	v_lshrrev_b32_e32 v3, 16, v3
	s_delay_alu instid0(VALU_DEP_2) | instskip(SKIP_1) | instid1(VALU_DEP_3)
	v_cndmask_b32_e32 v0, 0x7fc00000, v2, vcc_lo
	v_cmp_o_f32_e32 vcc_lo, v1, v1
	v_cndmask_b32_e32 v1, 0x7fc0, v3, vcc_lo
	s_delay_alu instid0(VALU_DEP_1)
	v_or_b32_e32 v0, v0, v1
	global_store_b32 v[8:9], v0, off
	s_branch .LBB168_1103
.LBB168_1099:
	s_mov_b32 s13, 0
	s_mov_b32 s1, -1
	s_mov_b32 s0, s12
	s_branch .LBB168_1170
.LBB168_1100:
	s_trap 2
	s_sendmsg_rtn_b32 s0, sendmsg(MSG_RTN_GET_DOORBELL)
	s_mov_b32 ttmp2, m0
	s_waitcnt lgkmcnt(0)
	s_and_b32 s0, s0, 0x3ff
	s_delay_alu instid0(SALU_CYCLE_1) | instskip(NEXT) | instid1(SALU_CYCLE_1)
	s_bitset1_b32 s0, 10
	s_mov_b32 m0, s0
	s_sendmsg sendmsg(MSG_INTERRUPT)
	s_mov_b32 m0, ttmp2
.LBB168_1101:                           ; =>This Inner Loop Header: Depth=1
	s_sethalt 5
	s_branch .LBB168_1101
.LBB168_1102:
	s_mov_b32 s1, 0
.LBB168_1103:
	s_delay_alu instid0(SALU_CYCLE_1)
	s_and_b32 vcc_lo, exec_lo, s1
	s_cbranch_vccz .LBB168_1108
; %bb.1104:
	v_cmp_eq_u16_e32 vcc_lo, 44, v10
	s_mov_b32 s0, -1
	s_cbranch_vccz .LBB168_1108
; %bb.1105:
	v_cvt_f32_f64_e32 v0, v[4:5]
	v_mov_b32_e32 v1, 0xff
	s_mov_b32 s1, exec_lo
	s_delay_alu instid0(VALU_DEP_2) | instskip(NEXT) | instid1(VALU_DEP_1)
	v_bfe_u32 v2, v0, 23, 8
	v_cmpx_ne_u32_e32 0xff, v2
; %bb.1106:
	v_and_b32_e32 v1, 0x400000, v0
	v_and_or_b32 v2, 0x3fffff, v0, v2
	v_lshrrev_b32_e32 v0, 23, v0
	s_delay_alu instid0(VALU_DEP_3) | instskip(NEXT) | instid1(VALU_DEP_3)
	v_cmp_ne_u32_e32 vcc_lo, 0, v1
	v_cmp_ne_u32_e64 s0, 0, v2
	s_delay_alu instid0(VALU_DEP_1) | instskip(NEXT) | instid1(SALU_CYCLE_1)
	s_and_b32 s0, vcc_lo, s0
	v_cndmask_b32_e64 v1, 0, 1, s0
	s_delay_alu instid0(VALU_DEP_1)
	v_add_nc_u32_e32 v1, v0, v1
; %bb.1107:
	s_or_b32 exec_lo, exec_lo, s1
	s_mov_b32 s0, 0
	global_store_b8 v[8:9], v1, off
.LBB168_1108:
	s_mov_b32 s1, 0
.LBB168_1109:
	s_delay_alu instid0(SALU_CYCLE_1)
	s_and_b32 vcc_lo, exec_lo, s1
	s_cbranch_vccz .LBB168_1112
; %bb.1110:
	v_cmp_eq_u16_e32 vcc_lo, 29, v10
	s_mov_b32 s0, -1
	s_cbranch_vccz .LBB168_1112
; %bb.1111:
	v_trunc_f64_e32 v[0:1], v[4:5]
	s_mov_b32 s0, 0
	s_mov_b32 s1, 0
	s_delay_alu instid0(VALU_DEP_1) | instskip(NEXT) | instid1(VALU_DEP_1)
	v_ldexp_f64 v[2:3], v[0:1], 0xffffffe0
	v_floor_f64_e32 v[2:3], v[2:3]
	s_delay_alu instid0(VALU_DEP_1) | instskip(SKIP_1) | instid1(VALU_DEP_2)
	v_fma_f64 v[0:1], 0xc1f00000, v[2:3], v[0:1]
	v_cvt_u32_f64_e32 v2, v[2:3]
	v_cvt_u32_f64_e32 v1, v[0:1]
	global_store_b64 v[8:9], v[1:2], off
	s_branch .LBB168_1113
.LBB168_1112:
	s_mov_b32 s1, 0
.LBB168_1113:
	s_delay_alu instid0(SALU_CYCLE_1)
	s_and_b32 vcc_lo, exec_lo, s1
	s_cbranch_vccz .LBB168_1128
; %bb.1114:
	v_cmp_gt_i16_e32 vcc_lo, 27, v10
	s_mov_b32 s1, -1
	s_cbranch_vccnz .LBB168_1120
; %bb.1115:
	v_cvt_u32_f64_e32 v0, v[4:5]
	v_cmp_lt_i16_e32 vcc_lo, 27, v10
	s_cbranch_vccz .LBB168_1117
; %bb.1116:
	s_mov_b32 s1, 0
	global_store_b32 v[8:9], v0, off
.LBB168_1117:
	s_and_not1_b32 vcc_lo, exec_lo, s1
	s_cbranch_vccnz .LBB168_1119
; %bb.1118:
	global_store_b16 v[8:9], v0, off
.LBB168_1119:
	s_mov_b32 s1, 0
.LBB168_1120:
	s_delay_alu instid0(SALU_CYCLE_1)
	s_and_not1_b32 vcc_lo, exec_lo, s1
	s_cbranch_vccnz .LBB168_1128
; %bb.1121:
	v_cvt_f32_f64_e32 v0, v[4:5]
	v_mov_b32_e32 v2, 0x80
	s_mov_b32 s1, exec_lo
	s_delay_alu instid0(VALU_DEP_2) | instskip(NEXT) | instid1(VALU_DEP_1)
	v_and_b32_e32 v1, 0x7fffffff, v0
	v_cmpx_gt_u32_e32 0x43800000, v1
	s_cbranch_execz .LBB168_1127
; %bb.1122:
	v_cmp_lt_u32_e32 vcc_lo, 0x3bffffff, v1
	s_mov_b32 s13, 0
                                        ; implicit-def: $vgpr1
	s_and_saveexec_b32 s14, vcc_lo
	s_delay_alu instid0(SALU_CYCLE_1)
	s_xor_b32 s14, exec_lo, s14
	s_cbranch_execz .LBB168_1408
; %bb.1123:
	v_bfe_u32 v1, v0, 20, 1
	s_mov_b32 s13, exec_lo
	s_delay_alu instid0(VALU_DEP_1) | instskip(NEXT) | instid1(VALU_DEP_1)
	v_add3_u32 v1, v0, v1, 0x487ffff
	v_lshrrev_b32_e32 v1, 20, v1
	s_or_saveexec_b32 s14, s14
                                        ; implicit-def: $sgpr15
	s_delay_alu instid0(SALU_CYCLE_1)
	s_xor_b32 exec_lo, exec_lo, s14
	s_cbranch_execnz .LBB168_1409
.LBB168_1124:
	s_or_b32 exec_lo, exec_lo, s14
	v_mov_b32_e32 v2, s15
	s_and_saveexec_b32 s14, s13
.LBB168_1125:
	v_lshrrev_b32_e32 v0, 24, v0
	s_delay_alu instid0(VALU_DEP_1)
	v_and_or_b32 v2, 0x80, v0, v1
.LBB168_1126:
	s_or_b32 exec_lo, exec_lo, s14
.LBB168_1127:
	s_delay_alu instid0(SALU_CYCLE_1)
	s_or_b32 exec_lo, exec_lo, s1
	global_store_b8 v[8:9], v2, off
.LBB168_1128:
	s_mov_b32 s1, 0
.LBB168_1129:
	s_delay_alu instid0(SALU_CYCLE_1)
	s_and_b32 vcc_lo, exec_lo, s1
	s_mov_b32 s1, 0
	s_cbranch_vccz .LBB168_1169
; %bb.1130:
	v_cmp_lt_i16_e32 vcc_lo, 22, v10
	s_mov_b32 s13, -1
	s_cbranch_vccz .LBB168_1162
; %bb.1131:
	v_cmp_gt_i16_e32 vcc_lo, 24, v10
	s_cbranch_vccnz .LBB168_1151
; %bb.1132:
	v_cmp_lt_i16_e32 vcc_lo, 24, v10
	s_cbranch_vccz .LBB168_1140
; %bb.1133:
	v_cvt_f32_f64_e32 v0, v[4:5]
	v_mov_b32_e32 v2, 0x80
	s_mov_b32 s13, exec_lo
	s_delay_alu instid0(VALU_DEP_2) | instskip(NEXT) | instid1(VALU_DEP_1)
	v_and_b32_e32 v1, 0x7fffffff, v0
	v_cmpx_gt_u32_e32 0x47800000, v1
	s_cbranch_execz .LBB168_1139
; %bb.1134:
	v_cmp_lt_u32_e32 vcc_lo, 0x37ffffff, v1
	s_mov_b32 s14, 0
                                        ; implicit-def: $vgpr1
	s_and_saveexec_b32 s15, vcc_lo
	s_delay_alu instid0(SALU_CYCLE_1)
	s_xor_b32 s15, exec_lo, s15
	s_cbranch_execz .LBB168_1453
; %bb.1135:
	v_bfe_u32 v1, v0, 21, 1
	s_mov_b32 s14, exec_lo
	s_delay_alu instid0(VALU_DEP_1) | instskip(NEXT) | instid1(VALU_DEP_1)
	v_add3_u32 v1, v0, v1, 0x88fffff
	v_lshrrev_b32_e32 v1, 21, v1
	s_or_saveexec_b32 s15, s15
                                        ; implicit-def: $sgpr16
	s_delay_alu instid0(SALU_CYCLE_1)
	s_xor_b32 exec_lo, exec_lo, s15
	s_cbranch_execnz .LBB168_1454
.LBB168_1136:
	s_or_b32 exec_lo, exec_lo, s15
	v_mov_b32_e32 v2, s16
	s_and_saveexec_b32 s15, s14
.LBB168_1137:
	v_lshrrev_b32_e32 v0, 24, v0
	s_delay_alu instid0(VALU_DEP_1)
	v_and_or_b32 v2, 0x80, v0, v1
.LBB168_1138:
	s_or_b32 exec_lo, exec_lo, s15
.LBB168_1139:
	s_delay_alu instid0(SALU_CYCLE_1)
	s_or_b32 exec_lo, exec_lo, s13
	s_mov_b32 s13, 0
	global_store_b8 v[8:9], v2, off
.LBB168_1140:
	s_and_b32 vcc_lo, exec_lo, s13
	s_cbranch_vccz .LBB168_1150
; %bb.1141:
	v_cvt_f32_f64_e32 v0, v[4:5]
	s_mov_b32 s13, exec_lo
                                        ; implicit-def: $vgpr1
	s_delay_alu instid0(VALU_DEP_1) | instskip(NEXT) | instid1(VALU_DEP_1)
	v_and_b32_e32 v2, 0x7fffffff, v0
	v_cmpx_gt_u32_e32 0x43f00000, v2
	s_xor_b32 s13, exec_lo, s13
	s_cbranch_execz .LBB168_1147
; %bb.1142:
	s_mov_b32 s14, exec_lo
                                        ; implicit-def: $vgpr1
	v_cmpx_lt_u32_e32 0x3c7fffff, v2
	s_xor_b32 s14, exec_lo, s14
; %bb.1143:
	v_bfe_u32 v1, v0, 20, 1
	s_delay_alu instid0(VALU_DEP_1) | instskip(NEXT) | instid1(VALU_DEP_1)
	v_add3_u32 v1, v0, v1, 0x407ffff
	v_and_b32_e32 v2, 0xff00000, v1
	v_lshrrev_b32_e32 v1, 20, v1
	s_delay_alu instid0(VALU_DEP_2) | instskip(NEXT) | instid1(VALU_DEP_2)
	v_cmp_ne_u32_e32 vcc_lo, 0x7f00000, v2
	v_cndmask_b32_e32 v1, 0x7e, v1, vcc_lo
; %bb.1144:
	s_and_not1_saveexec_b32 s14, s14
; %bb.1145:
	v_add_f32_e64 v1, 0x46800000, |v0|
; %bb.1146:
	s_or_b32 exec_lo, exec_lo, s14
                                        ; implicit-def: $vgpr2
.LBB168_1147:
	s_and_not1_saveexec_b32 s13, s13
; %bb.1148:
	v_mov_b32_e32 v1, 0x7f
	v_cmp_lt_u32_e32 vcc_lo, 0x7f800000, v2
	s_delay_alu instid0(VALU_DEP_2)
	v_cndmask_b32_e32 v1, 0x7e, v1, vcc_lo
; %bb.1149:
	s_or_b32 exec_lo, exec_lo, s13
	v_lshrrev_b32_e32 v0, 24, v0
	s_delay_alu instid0(VALU_DEP_1)
	v_and_or_b32 v0, 0x80, v0, v1
	global_store_b8 v[8:9], v0, off
.LBB168_1150:
	s_mov_b32 s13, 0
.LBB168_1151:
	s_delay_alu instid0(SALU_CYCLE_1)
	s_and_not1_b32 vcc_lo, exec_lo, s13
	s_cbranch_vccnz .LBB168_1161
; %bb.1152:
	v_cvt_f32_f64_e32 v0, v[4:5]
	s_mov_b32 s13, exec_lo
                                        ; implicit-def: $vgpr1
	s_delay_alu instid0(VALU_DEP_1) | instskip(NEXT) | instid1(VALU_DEP_1)
	v_and_b32_e32 v2, 0x7fffffff, v0
	v_cmpx_gt_u32_e32 0x47800000, v2
	s_xor_b32 s13, exec_lo, s13
	s_cbranch_execz .LBB168_1158
; %bb.1153:
	s_mov_b32 s14, exec_lo
                                        ; implicit-def: $vgpr1
	v_cmpx_lt_u32_e32 0x387fffff, v2
	s_xor_b32 s14, exec_lo, s14
; %bb.1154:
	v_bfe_u32 v1, v0, 21, 1
	s_delay_alu instid0(VALU_DEP_1) | instskip(NEXT) | instid1(VALU_DEP_1)
	v_add3_u32 v1, v0, v1, 0x80fffff
	v_lshrrev_b32_e32 v1, 21, v1
; %bb.1155:
	s_and_not1_saveexec_b32 s14, s14
; %bb.1156:
	v_add_f32_e64 v1, 0x43000000, |v0|
; %bb.1157:
	s_or_b32 exec_lo, exec_lo, s14
                                        ; implicit-def: $vgpr2
.LBB168_1158:
	s_and_not1_saveexec_b32 s13, s13
; %bb.1159:
	v_mov_b32_e32 v1, 0x7f
	v_cmp_lt_u32_e32 vcc_lo, 0x7f800000, v2
	s_delay_alu instid0(VALU_DEP_2)
	v_cndmask_b32_e32 v1, 0x7c, v1, vcc_lo
; %bb.1160:
	s_or_b32 exec_lo, exec_lo, s13
	v_lshrrev_b32_e32 v0, 24, v0
	s_delay_alu instid0(VALU_DEP_1)
	v_and_or_b32 v0, 0x80, v0, v1
	global_store_b8 v[8:9], v0, off
.LBB168_1161:
	s_mov_b32 s13, 0
.LBB168_1162:
	s_delay_alu instid0(SALU_CYCLE_1)
	s_and_not1_b32 vcc_lo, exec_lo, s13
	s_mov_b32 s13, 0
	s_cbranch_vccnz .LBB168_1170
; %bb.1163:
	v_cmp_lt_i16_e32 vcc_lo, 14, v10
	s_mov_b32 s13, -1
	s_cbranch_vccz .LBB168_1167
; %bb.1164:
	v_cmp_eq_u16_e32 vcc_lo, 15, v10
	s_mov_b32 s0, -1
	s_cbranch_vccz .LBB168_1166
; %bb.1165:
	v_cvt_f32_f64_e32 v0, v[4:5]
	s_mov_b32 s0, 0
	s_delay_alu instid0(VALU_DEP_1) | instskip(SKIP_1) | instid1(VALU_DEP_2)
	v_bfe_u32 v1, v0, 16, 1
	v_cmp_o_f32_e32 vcc_lo, v0, v0
	v_add3_u32 v1, v0, v1, 0x7fff
	s_delay_alu instid0(VALU_DEP_1) | instskip(NEXT) | instid1(VALU_DEP_1)
	v_lshrrev_b32_e32 v1, 16, v1
	v_cndmask_b32_e32 v0, 0x7fc0, v1, vcc_lo
	global_store_b16 v[8:9], v0, off
.LBB168_1166:
	s_mov_b32 s13, 0
.LBB168_1167:
	s_delay_alu instid0(SALU_CYCLE_1)
	s_and_b32 vcc_lo, exec_lo, s13
	s_mov_b32 s13, 0
	s_cbranch_vccz .LBB168_1170
; %bb.1168:
	v_cmp_ne_u16_e32 vcc_lo, 11, v10
	s_and_not1_b32 s0, s0, exec_lo
	s_mov_b32 s13, -1
	s_and_b32 s14, vcc_lo, exec_lo
	s_delay_alu instid0(SALU_CYCLE_1)
	s_or_b32 s0, s0, s14
	s_branch .LBB168_1170
.LBB168_1169:
	s_mov_b32 s13, 0
.LBB168_1170:
	s_and_not1_b32 s12, s12, exec_lo
	s_and_b32 s14, s0, exec_lo
	s_and_b32 s1, s1, exec_lo
	;; [unrolled: 1-line block ×3, first 2 shown]
	s_or_b32 s12, s12, s14
.LBB168_1171:
	s_or_b32 exec_lo, exec_lo, s9
	s_and_saveexec_b32 s9, s12
	s_cbranch_execnz .LBB168_1234
; %bb.1172:
	s_or_b32 exec_lo, exec_lo, s9
	s_and_saveexec_b32 s9, s0
	s_delay_alu instid0(SALU_CYCLE_1)
	s_xor_b32 s9, exec_lo, s9
	s_cbranch_execz .LBB168_1174
.LBB168_1173:
	v_cmp_neq_f64_e32 vcc_lo, 0, v[4:5]
	v_cmp_neq_f64_e64 s0, 0, v[6:7]
	s_delay_alu instid0(VALU_DEP_1)
	s_or_b32 s0, vcc_lo, s0
	s_waitcnt vmcnt(0)
	v_cndmask_b32_e64 v0, 0, 1, s0
	global_store_b8 v[8:9], v0, off
.LBB168_1174:
	s_or_b32 exec_lo, exec_lo, s9
	s_and_saveexec_b32 s0, s1
	s_delay_alu instid0(SALU_CYCLE_1)
	s_xor_b32 s0, exec_lo, s0
	s_cbranch_execz .LBB168_1212
; %bb.1175:
	v_cmp_gt_i16_e32 vcc_lo, 5, v10
	s_mov_b32 s1, -1
	s_cbranch_vccnz .LBB168_1196
; %bb.1176:
	v_cmp_gt_i16_e32 vcc_lo, 8, v10
	s_cbranch_vccnz .LBB168_1186
; %bb.1177:
	v_cmp_gt_i16_e32 vcc_lo, 9, v10
	s_cbranch_vccnz .LBB168_1183
; %bb.1178:
	v_cmp_lt_i16_e32 vcc_lo, 9, v10
	s_cbranch_vccz .LBB168_1180
; %bb.1179:
	s_mov_b32 s1, 0
	global_store_b128 v[8:9], v[4:7], off
.LBB168_1180:
	s_and_not1_b32 vcc_lo, exec_lo, s1
	s_cbranch_vccnz .LBB168_1182
; %bb.1181:
	s_waitcnt vmcnt(0)
	v_cvt_f32_f64_e32 v0, v[4:5]
	v_cvt_f32_f64_e32 v1, v[6:7]
	global_store_b64 v[8:9], v[0:1], off
.LBB168_1182:
	s_mov_b32 s1, 0
.LBB168_1183:
	s_delay_alu instid0(SALU_CYCLE_1)
	s_and_not1_b32 vcc_lo, exec_lo, s1
	s_cbranch_vccnz .LBB168_1185
; %bb.1184:
	s_waitcnt vmcnt(0)
	v_cvt_f32_f64_e32 v0, v[6:7]
	v_cvt_f32_f64_e32 v1, v[4:5]
	s_delay_alu instid0(VALU_DEP_2) | instskip(NEXT) | instid1(VALU_DEP_2)
	v_cvt_f16_f32_e32 v0, v0
	v_cvt_f16_f32_e32 v1, v1
	s_delay_alu instid0(VALU_DEP_2) | instskip(NEXT) | instid1(VALU_DEP_2)
	v_lshlrev_b32_e32 v0, 16, v0
	v_and_b32_e32 v1, 0xffff, v1
	s_delay_alu instid0(VALU_DEP_1)
	v_or_b32_e32 v0, v0, v1
	global_store_b32 v[8:9], v0, off
.LBB168_1185:
	s_mov_b32 s1, 0
.LBB168_1186:
	s_delay_alu instid0(SALU_CYCLE_1)
	s_and_not1_b32 vcc_lo, exec_lo, s1
	s_cbranch_vccnz .LBB168_1195
; %bb.1187:
	v_cmp_gt_i16_e32 vcc_lo, 6, v10
	s_mov_b32 s1, -1
	s_cbranch_vccnz .LBB168_1193
; %bb.1188:
	v_cmp_lt_i16_e32 vcc_lo, 6, v10
	s_cbranch_vccz .LBB168_1190
; %bb.1189:
	s_mov_b32 s1, 0
	global_store_b64 v[8:9], v[4:5], off
.LBB168_1190:
	s_and_not1_b32 vcc_lo, exec_lo, s1
	s_cbranch_vccnz .LBB168_1192
; %bb.1191:
	s_waitcnt vmcnt(0)
	v_cvt_f32_f64_e32 v0, v[4:5]
	global_store_b32 v[8:9], v0, off
.LBB168_1192:
	s_mov_b32 s1, 0
.LBB168_1193:
	s_delay_alu instid0(SALU_CYCLE_1)
	s_and_not1_b32 vcc_lo, exec_lo, s1
	s_cbranch_vccnz .LBB168_1195
; %bb.1194:
	s_waitcnt vmcnt(0)
	v_cvt_f32_f64_e32 v0, v[4:5]
	s_delay_alu instid0(VALU_DEP_1)
	v_cvt_f16_f32_e32 v0, v0
	global_store_b16 v[8:9], v0, off
.LBB168_1195:
	s_mov_b32 s1, 0
.LBB168_1196:
	s_delay_alu instid0(SALU_CYCLE_1)
	s_and_not1_b32 vcc_lo, exec_lo, s1
	s_cbranch_vccnz .LBB168_1212
; %bb.1197:
	v_cmp_gt_i16_e32 vcc_lo, 2, v10
	s_mov_b32 s1, -1
	s_cbranch_vccnz .LBB168_1207
; %bb.1198:
	v_cmp_gt_i16_e32 vcc_lo, 3, v10
	s_cbranch_vccnz .LBB168_1204
; %bb.1199:
	v_cmp_lt_i16_e32 vcc_lo, 3, v10
	s_cbranch_vccz .LBB168_1201
; %bb.1200:
	s_waitcnt vmcnt(0)
	v_trunc_f64_e32 v[0:1], v[4:5]
	s_mov_b32 s1, 0
	s_delay_alu instid0(VALU_DEP_1) | instskip(NEXT) | instid1(VALU_DEP_1)
	v_ldexp_f64 v[2:3], v[0:1], 0xffffffe0
	v_floor_f64_e32 v[2:3], v[2:3]
	s_delay_alu instid0(VALU_DEP_1) | instskip(SKIP_1) | instid1(VALU_DEP_2)
	v_fma_f64 v[0:1], 0xc1f00000, v[2:3], v[0:1]
	v_cvt_i32_f64_e32 v2, v[2:3]
	v_cvt_u32_f64_e32 v1, v[0:1]
	global_store_b64 v[8:9], v[1:2], off
.LBB168_1201:
	s_and_not1_b32 vcc_lo, exec_lo, s1
	s_cbranch_vccnz .LBB168_1203
; %bb.1202:
	s_waitcnt vmcnt(0)
	v_cvt_i32_f64_e32 v0, v[4:5]
	global_store_b32 v[8:9], v0, off
.LBB168_1203:
	s_mov_b32 s1, 0
.LBB168_1204:
	s_delay_alu instid0(SALU_CYCLE_1)
	s_and_not1_b32 vcc_lo, exec_lo, s1
	s_cbranch_vccnz .LBB168_1206
; %bb.1205:
	s_waitcnt vmcnt(0)
	v_cvt_i32_f64_e32 v0, v[4:5]
	global_store_b16 v[8:9], v0, off
.LBB168_1206:
	s_mov_b32 s1, 0
.LBB168_1207:
	s_delay_alu instid0(SALU_CYCLE_1)
	s_and_not1_b32 vcc_lo, exec_lo, s1
	s_cbranch_vccnz .LBB168_1212
; %bb.1208:
	v_cmp_lt_i16_e32 vcc_lo, 0, v10
	s_mov_b32 s1, -1
	s_cbranch_vccz .LBB168_1210
; %bb.1209:
	s_waitcnt vmcnt(0)
	v_cvt_i32_f64_e32 v0, v[4:5]
	s_mov_b32 s1, 0
	global_store_b8 v[8:9], v0, off
.LBB168_1210:
	s_and_not1_b32 vcc_lo, exec_lo, s1
	s_cbranch_vccnz .LBB168_1212
; %bb.1211:
	s_waitcnt vmcnt(0)
	v_trunc_f64_e32 v[0:1], v[4:5]
	s_delay_alu instid0(VALU_DEP_1) | instskip(NEXT) | instid1(VALU_DEP_1)
	v_ldexp_f64 v[2:3], v[0:1], 0xffffffe0
	v_floor_f64_e32 v[2:3], v[2:3]
	s_delay_alu instid0(VALU_DEP_1) | instskip(NEXT) | instid1(VALU_DEP_1)
	v_fma_f64 v[0:1], 0xc1f00000, v[2:3], v[0:1]
	v_cvt_u32_f64_e32 v0, v[0:1]
	global_store_b8 v[8:9], v0, off
.LBB168_1212:
	s_or_b32 exec_lo, exec_lo, s0
	s_delay_alu instid0(SALU_CYCLE_1)
	s_and_b32 s12, s8, exec_lo
                                        ; implicit-def: $vgpr25
                                        ; implicit-def: $vgpr20
                                        ; implicit-def: $vgpr24
.LBB168_1213:
	s_or_saveexec_b32 s11, s11
	s_mov_b32 s8, 0
                                        ; implicit-def: $vgpr18
                                        ; implicit-def: $vgpr0_vgpr1
                                        ; implicit-def: $vgpr14_vgpr15
	s_xor_b32 exec_lo, exec_lo, s11
	s_cbranch_execz .LBB168_1901
; %bb.1214:
	v_mul_lo_u32 v12, s3, v25
	v_cmp_gt_i16_e32 vcc_lo, 11, v20
	s_and_b32 vcc_lo, exec_lo, vcc_lo
	s_waitcnt vmcnt(0)
	s_delay_alu instid0(VALU_DEP_2) | instskip(SKIP_1) | instid1(VALU_DEP_1)
	v_ashrrev_i32_e32 v1, 31, v12
	v_add_co_u32 v0, s0, s6, v12
	v_add_co_ci_u32_e64 v1, s0, s7, v1, s0
	s_cbranch_vccnz .LBB168_1221
; %bb.1215:
	v_cmp_lt_i16_e32 vcc_lo, 25, v20
	s_mov_b32 s13, 0
	s_cbranch_vccz .LBB168_1227
; %bb.1216:
	v_cmp_lt_i16_e32 vcc_lo, 28, v20
	s_cbranch_vccz .LBB168_1230
; %bb.1217:
	v_cmp_lt_i16_e32 vcc_lo, 43, v20
	;; [unrolled: 3-line block ×3, first 2 shown]
	s_cbranch_vccz .LBB168_1236
; %bb.1219:
	v_cmp_eq_u16_e32 vcc_lo, 46, v20
	s_mov_b32 s0, 0
	s_cbranch_vccz .LBB168_1277
; %bb.1220:
	global_load_b32 v2, v[0:1], off
	s_mov_b32 s8, -1
	s_waitcnt vmcnt(0)
	v_lshlrev_b32_e32 v3, 16, v2
	v_and_b32_e32 v4, 0xffff0000, v2
	s_delay_alu instid0(VALU_DEP_2) | instskip(NEXT) | instid1(VALU_DEP_2)
	v_cvt_f64_f32_e32 v[2:3], v3
	v_cvt_f64_f32_e32 v[4:5], v4
	s_branch .LBB168_1279
.LBB168_1221:
	s_mov_b32 s10, s12
                                        ; implicit-def: $vgpr4_vgpr5
	s_cbranch_execz .LBB168_1345
; %bb.1222:
	v_cmp_gt_i16_e32 vcc_lo, 5, v20
	s_cbranch_vccnz .LBB168_1228
; %bb.1223:
	v_cmp_gt_i16_e32 vcc_lo, 8, v20
	s_cbranch_vccnz .LBB168_1231
	;; [unrolled: 3-line block ×3, first 2 shown]
; %bb.1225:
	v_cmp_lt_i16_e32 vcc_lo, 9, v20
	s_cbranch_vccz .LBB168_1237
; %bb.1226:
	global_load_b128 v[2:5], v[0:1], off
	s_mov_b32 s0, 0
	s_branch .LBB168_1238
.LBB168_1227:
                                        ; implicit-def: $vgpr4_vgpr5
	s_cbranch_execnz .LBB168_1311
	s_branch .LBB168_1341
.LBB168_1228:
                                        ; implicit-def: $vgpr4_vgpr5
	s_branch .LBB168_1256
.LBB168_1229:
	s_branch .LBB168_1346
.LBB168_1230:
                                        ; implicit-def: $vgpr4_vgpr5
	s_cbranch_execnz .LBB168_1291
	s_branch .LBB168_1310
.LBB168_1231:
                                        ; implicit-def: $vgpr4_vgpr5
	s_branch .LBB168_1244
.LBB168_1232:
	s_mov_b32 s0, -1
                                        ; implicit-def: $vgpr4_vgpr5
	s_branch .LBB168_1285
.LBB168_1233:
	s_mov_b32 s0, -1
                                        ; implicit-def: $vgpr4_vgpr5
	s_branch .LBB168_1241
.LBB168_1234:
	s_cbranch_execnz .LBB168_1275
; %bb.1235:
	s_or_b32 s8, s8, exec_lo
	s_and_not1_b32 s0, s0, exec_lo
	s_or_b32 exec_lo, exec_lo, s9
	s_and_saveexec_b32 s9, s0
	s_delay_alu instid0(SALU_CYCLE_1)
	s_xor_b32 s9, exec_lo, s9
	s_cbranch_execnz .LBB168_1173
	s_branch .LBB168_1174
.LBB168_1236:
	s_mov_b32 s0, -1
	s_branch .LBB168_1278
.LBB168_1237:
	s_mov_b32 s0, -1
                                        ; implicit-def: $vgpr4_vgpr5
.LBB168_1238:
	s_delay_alu instid0(SALU_CYCLE_1)
	s_and_not1_b32 vcc_lo, exec_lo, s0
	s_cbranch_vccnz .LBB168_1240
; %bb.1239:
	global_load_b64 v[3:4], v[0:1], off
	s_waitcnt vmcnt(0)
	v_cvt_f64_f32_e32 v[2:3], v3
	v_cvt_f64_f32_e32 v[4:5], v4
.LBB168_1240:
	s_mov_b32 s0, 0
.LBB168_1241:
	s_delay_alu instid0(SALU_CYCLE_1)
	s_and_not1_b32 vcc_lo, exec_lo, s0
	s_cbranch_vccnz .LBB168_1243
; %bb.1242:
	global_load_b32 v2, v[0:1], off
	s_waitcnt vmcnt(0)
	v_lshrrev_b32_e32 v3, 16, v2
	v_cvt_f32_f16_e32 v2, v2
	s_delay_alu instid0(VALU_DEP_2) | instskip(NEXT) | instid1(VALU_DEP_2)
	v_cvt_f32_f16_e32 v4, v3
	v_cvt_f64_f32_e32 v[2:3], v2
	s_delay_alu instid0(VALU_DEP_2)
	v_cvt_f64_f32_e32 v[4:5], v4
.LBB168_1243:
	s_cbranch_execnz .LBB168_1255
.LBB168_1244:
	v_cmp_gt_i16_e32 vcc_lo, 6, v20
	s_cbranch_vccnz .LBB168_1247
; %bb.1245:
	v_cmp_lt_i16_e32 vcc_lo, 6, v20
	s_cbranch_vccz .LBB168_1248
; %bb.1246:
	global_load_b64 v[2:3], v[0:1], off
	s_mov_b32 s8, 0
	s_mov_b64 s[0:1], 0
	s_branch .LBB168_1249
.LBB168_1247:
	s_mov_b32 s8, -1
                                        ; implicit-def: $sgpr0_sgpr1
                                        ; implicit-def: $vgpr2_vgpr3
	s_branch .LBB168_1252
.LBB168_1248:
	s_mov_b32 s8, -1
                                        ; implicit-def: $sgpr0_sgpr1
                                        ; implicit-def: $vgpr2_vgpr3
.LBB168_1249:
	s_delay_alu instid0(SALU_CYCLE_1)
	s_and_not1_b32 vcc_lo, exec_lo, s8
	s_cbranch_vccnz .LBB168_1251
; %bb.1250:
	global_load_b32 v2, v[0:1], off
	s_mov_b64 s[0:1], 0
	s_waitcnt vmcnt(0)
	v_cvt_f64_f32_e32 v[2:3], v2
.LBB168_1251:
	s_mov_b32 s8, 0
.LBB168_1252:
	s_delay_alu instid0(SALU_CYCLE_1)
	s_and_not1_b32 vcc_lo, exec_lo, s8
	s_cbranch_vccnz .LBB168_1254
; %bb.1253:
	global_load_u16 v2, v[0:1], off
	s_mov_b64 s[0:1], 0
	s_waitcnt vmcnt(0)
	v_cvt_f32_f16_e32 v2, v2
	s_delay_alu instid0(VALU_DEP_1)
	v_cvt_f64_f32_e32 v[2:3], v2
.LBB168_1254:
	s_waitcnt vmcnt(0)
	v_dual_mov_b32 v5, s1 :: v_dual_mov_b32 v4, s0
.LBB168_1255:
	s_cbranch_execnz .LBB168_1229
.LBB168_1256:
	v_cmp_gt_i16_e32 vcc_lo, 2, v20
	s_cbranch_vccnz .LBB168_1260
; %bb.1257:
	v_cmp_gt_i16_e32 vcc_lo, 3, v20
	s_cbranch_vccnz .LBB168_1261
; %bb.1258:
	v_cmp_lt_i16_e32 vcc_lo, 3, v20
	s_cbranch_vccz .LBB168_1262
; %bb.1259:
	global_load_b64 v[2:3], v[0:1], off
	s_mov_b32 s8, 0
	s_mov_b64 s[0:1], 0
	s_waitcnt vmcnt(0)
	v_cvt_f64_i32_e32 v[3:4], v3
	v_cvt_f64_u32_e32 v[5:6], v2
	s_delay_alu instid0(VALU_DEP_2) | instskip(NEXT) | instid1(VALU_DEP_1)
	v_ldexp_f64 v[3:4], v[3:4], 32
	v_add_f64 v[2:3], v[3:4], v[5:6]
	s_branch .LBB168_1263
.LBB168_1260:
                                        ; implicit-def: $sgpr0_sgpr1
                                        ; implicit-def: $vgpr2_vgpr3
	s_branch .LBB168_1269
.LBB168_1261:
	s_mov_b32 s8, -1
                                        ; implicit-def: $sgpr0_sgpr1
                                        ; implicit-def: $vgpr2_vgpr3
	s_branch .LBB168_1266
.LBB168_1262:
	s_mov_b32 s8, -1
                                        ; implicit-def: $sgpr0_sgpr1
                                        ; implicit-def: $vgpr2_vgpr3
.LBB168_1263:
	s_delay_alu instid0(SALU_CYCLE_1)
	s_and_not1_b32 vcc_lo, exec_lo, s8
	s_cbranch_vccnz .LBB168_1265
; %bb.1264:
	global_load_b32 v2, v[0:1], off
	s_mov_b64 s[0:1], 0
	s_waitcnt vmcnt(0)
	v_cvt_f64_i32_e32 v[2:3], v2
.LBB168_1265:
	s_mov_b32 s8, 0
.LBB168_1266:
	s_delay_alu instid0(SALU_CYCLE_1)
	s_and_not1_b32 vcc_lo, exec_lo, s8
	s_cbranch_vccnz .LBB168_1268
; %bb.1267:
	global_load_i16 v2, v[0:1], off
	s_mov_b64 s[0:1], 0
	s_waitcnt vmcnt(0)
	v_cvt_f64_i32_e32 v[2:3], v2
.LBB168_1268:
	s_cbranch_execnz .LBB168_1274
.LBB168_1269:
	v_cmp_lt_i16_e32 vcc_lo, 0, v20
	s_mov_b32 s8, 0
	s_cbranch_vccz .LBB168_1271
; %bb.1270:
	global_load_i8 v2, v[0:1], off
	s_mov_b64 s[0:1], 0
	s_waitcnt vmcnt(0)
	v_cvt_f64_i32_e32 v[2:3], v2
	s_branch .LBB168_1272
.LBB168_1271:
	s_mov_b32 s8, -1
                                        ; implicit-def: $sgpr0_sgpr1
                                        ; implicit-def: $vgpr2_vgpr3
.LBB168_1272:
	s_delay_alu instid0(SALU_CYCLE_1)
	s_and_not1_b32 vcc_lo, exec_lo, s8
	s_cbranch_vccnz .LBB168_1274
; %bb.1273:
	global_load_u8 v0, v[0:1], off
	s_mov_b64 s[0:1], 0
	s_waitcnt vmcnt(0)
	v_cvt_f64_u32_e32 v[2:3], v0
.LBB168_1274:
	s_waitcnt vmcnt(0)
	v_dual_mov_b32 v5, s1 :: v_dual_mov_b32 v4, s0
	s_branch .LBB168_1346
.LBB168_1275:
	s_trap 2
	s_sendmsg_rtn_b32 s0, sendmsg(MSG_RTN_GET_DOORBELL)
	s_mov_b32 ttmp2, m0
	s_waitcnt lgkmcnt(0)
	s_and_b32 s0, s0, 0x3ff
	s_delay_alu instid0(SALU_CYCLE_1) | instskip(NEXT) | instid1(SALU_CYCLE_1)
	s_bitset1_b32 s0, 10
	s_mov_b32 m0, s0
	s_sendmsg sendmsg(MSG_INTERRUPT)
	s_mov_b32 m0, ttmp2
.LBB168_1276:                           ; =>This Inner Loop Header: Depth=1
	s_sethalt 5
	s_branch .LBB168_1276
.LBB168_1277:
	s_mov_b32 s10, -1
.LBB168_1278:
                                        ; implicit-def: $vgpr4_vgpr5
.LBB168_1279:
	s_and_b32 vcc_lo, exec_lo, s0
	s_cbranch_vccz .LBB168_1284
; %bb.1280:
	v_cmp_eq_u16_e32 vcc_lo, 44, v20
	s_cbranch_vccz .LBB168_1282
; %bb.1281:
	global_load_u8 v4, v[0:1], off
	s_mov_b32 s10, 0
	s_mov_b32 s8, -1
	s_mov_b64 s[0:1], 0
	s_waitcnt vmcnt(0)
	v_cmp_ne_u32_e32 vcc_lo, 0xff, v4
	v_lshlrev_b32_e32 v2, 23, v4
	s_delay_alu instid0(VALU_DEP_1) | instskip(NEXT) | instid1(VALU_DEP_1)
	v_cvt_f64_f32_e32 v[2:3], v2
	v_cndmask_b32_e32 v3, 0x7ff80000, v3, vcc_lo
	s_delay_alu instid0(VALU_DEP_2) | instskip(SKIP_1) | instid1(VALU_DEP_3)
	v_cndmask_b32_e32 v2, 0x20000000, v2, vcc_lo
	v_cmp_ne_u32_e32 vcc_lo, 0, v4
	v_cndmask_b32_e32 v3, 0x38000000, v3, vcc_lo
	s_delay_alu instid0(VALU_DEP_3)
	v_cndmask_b32_e32 v2, 0, v2, vcc_lo
	s_branch .LBB168_1283
.LBB168_1282:
	s_mov_b32 s10, -1
                                        ; implicit-def: $sgpr0_sgpr1
                                        ; implicit-def: $vgpr2_vgpr3
.LBB168_1283:
	v_dual_mov_b32 v5, s1 :: v_dual_mov_b32 v4, s0
.LBB168_1284:
	s_mov_b32 s0, 0
.LBB168_1285:
	s_delay_alu instid0(SALU_CYCLE_1)
	s_and_b32 vcc_lo, exec_lo, s0
	s_cbranch_vccz .LBB168_1290
; %bb.1286:
	v_cmp_eq_u16_e32 vcc_lo, 29, v20
	s_cbranch_vccz .LBB168_1288
; %bb.1287:
	global_load_b64 v[2:3], v[0:1], off
	s_mov_b32 s10, 0
	s_mov_b32 s8, -1
	s_mov_b64 s[0:1], 0
	s_waitcnt vmcnt(0)
	v_cvt_f64_u32_e32 v[3:4], v3
	v_cvt_f64_u32_e32 v[5:6], v2
	s_delay_alu instid0(VALU_DEP_2) | instskip(NEXT) | instid1(VALU_DEP_1)
	v_ldexp_f64 v[3:4], v[3:4], 32
	v_add_f64 v[2:3], v[3:4], v[5:6]
	s_branch .LBB168_1289
.LBB168_1288:
	s_mov_b32 s10, -1
                                        ; implicit-def: $sgpr0_sgpr1
                                        ; implicit-def: $vgpr2_vgpr3
.LBB168_1289:
	v_dual_mov_b32 v5, s1 :: v_dual_mov_b32 v4, s0
.LBB168_1290:
	s_branch .LBB168_1310
.LBB168_1291:
	v_cmp_gt_i16_e32 vcc_lo, 27, v20
	s_cbranch_vccnz .LBB168_1294
; %bb.1292:
	v_cmp_lt_i16_e32 vcc_lo, 27, v20
	s_cbranch_vccz .LBB168_1295
; %bb.1293:
	global_load_b32 v2, v[0:1], off
	s_mov_b32 s8, 0
	s_mov_b64 s[0:1], 0
	s_waitcnt vmcnt(0)
	v_cvt_f64_u32_e32 v[2:3], v2
	s_branch .LBB168_1296
.LBB168_1294:
	s_mov_b32 s8, -1
                                        ; implicit-def: $sgpr0_sgpr1
                                        ; implicit-def: $vgpr2_vgpr3
	s_branch .LBB168_1299
.LBB168_1295:
	s_mov_b32 s8, -1
                                        ; implicit-def: $sgpr0_sgpr1
                                        ; implicit-def: $vgpr2_vgpr3
.LBB168_1296:
	s_delay_alu instid0(SALU_CYCLE_1)
	s_and_not1_b32 vcc_lo, exec_lo, s8
	s_cbranch_vccnz .LBB168_1298
; %bb.1297:
	global_load_u16 v2, v[0:1], off
	s_mov_b64 s[0:1], 0
	s_waitcnt vmcnt(0)
	v_cvt_f64_u32_e32 v[2:3], v2
.LBB168_1298:
	s_mov_b32 s8, 0
.LBB168_1299:
	v_dual_mov_b32 v5, s1 :: v_dual_mov_b32 v4, s0
	s_and_not1_b32 vcc_lo, exec_lo, s8
	s_cbranch_vccnz .LBB168_1309
; %bb.1300:
	global_load_u8 v6, v[0:1], off
	s_mov_b32 s14, 0
	s_mov_b32 s15, exec_lo
                                        ; implicit-def: $sgpr0_sgpr1
                                        ; implicit-def: $sgpr8_sgpr9
	s_waitcnt vmcnt(0)
	v_cmpx_lt_i16_e32 0x7f, v6
	s_xor_b32 s15, exec_lo, s15
	s_cbranch_execz .LBB168_1304
; %bb.1301:
	s_mov_b32 s14, -1
	s_mov_b32 s16, exec_lo
                                        ; implicit-def: $sgpr0_sgpr1
                                        ; implicit-def: $sgpr8_sgpr9
	v_cmpx_eq_u16_e32 0x80, v6
; %bb.1302:
	s_mov_b64 s[0:1], 0
	s_mov_b32 s9, 0x7ff80000
	s_brev_b32 s8, 4
	s_xor_b32 s14, exec_lo, -1
; %bb.1303:
	s_or_b32 exec_lo, exec_lo, s16
	s_delay_alu instid0(SALU_CYCLE_1)
	s_and_b32 s14, s14, exec_lo
.LBB168_1304:
	s_or_saveexec_b32 s15, s15
	v_dual_mov_b32 v5, s1 :: v_dual_mov_b32 v4, s0
	v_dual_mov_b32 v2, s8 :: v_dual_mov_b32 v3, s9
	s_xor_b32 exec_lo, exec_lo, s15
; %bb.1305:
	v_mov_b32_e32 v4, 0
	v_mov_b32_e32 v5, 0
	v_cmp_ne_u16_e32 vcc_lo, 0, v6
	s_delay_alu instid0(VALU_DEP_3) | instskip(SKIP_1) | instid1(VALU_DEP_3)
	v_mov_b32_e32 v2, v4
	s_and_not1_b32 s0, s14, exec_lo
	v_mov_b32_e32 v3, v5
	s_and_b32 s1, vcc_lo, exec_lo
	s_delay_alu instid0(SALU_CYCLE_1)
	s_or_b32 s14, s0, s1
; %bb.1306:
	s_or_b32 exec_lo, exec_lo, s15
	s_and_saveexec_b32 s0, s14
	s_cbranch_execz .LBB168_1308
; %bb.1307:
	v_and_b32_e32 v2, 0xffff, v6
	v_lshlrev_b32_e32 v6, 24, v6
	s_delay_alu instid0(VALU_DEP_2) | instskip(NEXT) | instid1(VALU_DEP_1)
	v_and_b32_e32 v3, 7, v2
	v_clz_i32_u32_e32 v4, v3
	s_delay_alu instid0(VALU_DEP_1) | instskip(NEXT) | instid1(VALU_DEP_1)
	v_min_u32_e32 v4, 32, v4
	v_subrev_nc_u32_e32 v5, 28, v4
	v_sub_nc_u32_e32 v4, 29, v4
	s_delay_alu instid0(VALU_DEP_2) | instskip(SKIP_1) | instid1(VALU_DEP_2)
	v_lshlrev_b32_e32 v5, v5, v2
	v_bfe_u32 v2, v2, 3, 4
	v_and_b32_e32 v5, 7, v5
	s_delay_alu instid0(VALU_DEP_2) | instskip(NEXT) | instid1(VALU_DEP_2)
	v_cmp_eq_u32_e32 vcc_lo, 0, v2
	v_dual_cndmask_b32 v2, v2, v4 :: v_dual_cndmask_b32 v3, v3, v5
	v_and_b32_e32 v4, 0x80000000, v6
	s_delay_alu instid0(VALU_DEP_2) | instskip(NEXT) | instid1(VALU_DEP_3)
	v_lshl_add_u32 v2, v2, 23, 0x3b800000
	v_lshlrev_b32_e32 v3, 20, v3
	s_delay_alu instid0(VALU_DEP_1) | instskip(SKIP_2) | instid1(VALU_DEP_3)
	v_or3_b32 v2, v4, v2, v3
	v_mov_b32_e32 v4, 0
	v_mov_b32_e32 v5, 0
	v_cvt_f64_f32_e32 v[2:3], v2
.LBB168_1308:
	s_or_b32 exec_lo, exec_lo, s0
.LBB168_1309:
	s_mov_b32 s8, -1
.LBB168_1310:
	s_branch .LBB168_1341
.LBB168_1311:
	v_cmp_lt_i16_e32 vcc_lo, 22, v20
	s_cbranch_vccz .LBB168_1323
; %bb.1312:
	v_cmp_gt_i16_e32 vcc_lo, 24, v20
	s_cbranch_vccnz .LBB168_1324
; %bb.1313:
	v_cmp_lt_i16_e32 vcc_lo, 24, v20
	s_cbranch_vccz .LBB168_1325
; %bb.1314:
	global_load_u8 v6, v[0:1], off
	s_mov_b32 s14, exec_lo
                                        ; implicit-def: $sgpr0_sgpr1
                                        ; implicit-def: $sgpr8_sgpr9
	s_waitcnt vmcnt(0)
	v_cmpx_lt_i16_e32 0x7f, v6
	s_xor_b32 s14, exec_lo, s14
	s_cbranch_execz .LBB168_1318
; %bb.1315:
	s_mov_b32 s13, -1
	s_mov_b32 s15, exec_lo
                                        ; implicit-def: $sgpr0_sgpr1
                                        ; implicit-def: $sgpr8_sgpr9
	v_cmpx_eq_u16_e32 0x80, v6
; %bb.1316:
	s_mov_b64 s[0:1], 0
	s_mov_b32 s9, 0x7ff80000
	s_brev_b32 s8, 4
	s_xor_b32 s13, exec_lo, -1
; %bb.1317:
	s_or_b32 exec_lo, exec_lo, s15
	s_delay_alu instid0(SALU_CYCLE_1)
	s_and_b32 s13, s13, exec_lo
.LBB168_1318:
	s_or_saveexec_b32 s14, s14
	v_dual_mov_b32 v5, s1 :: v_dual_mov_b32 v4, s0
	v_dual_mov_b32 v2, s8 :: v_dual_mov_b32 v3, s9
	s_xor_b32 exec_lo, exec_lo, s14
; %bb.1319:
	v_mov_b32_e32 v4, 0
	v_mov_b32_e32 v5, 0
	v_cmp_ne_u16_e32 vcc_lo, 0, v6
	s_delay_alu instid0(VALU_DEP_3) | instskip(SKIP_1) | instid1(VALU_DEP_3)
	v_mov_b32_e32 v2, v4
	s_and_not1_b32 s0, s13, exec_lo
	v_mov_b32_e32 v3, v5
	s_and_b32 s1, vcc_lo, exec_lo
	s_delay_alu instid0(SALU_CYCLE_1)
	s_or_b32 s13, s0, s1
; %bb.1320:
	s_or_b32 exec_lo, exec_lo, s14
	s_and_saveexec_b32 s0, s13
	s_cbranch_execz .LBB168_1322
; %bb.1321:
	v_and_b32_e32 v2, 0xffff, v6
	v_lshlrev_b32_e32 v6, 24, v6
	s_delay_alu instid0(VALU_DEP_2) | instskip(NEXT) | instid1(VALU_DEP_1)
	v_and_b32_e32 v3, 3, v2
	v_clz_i32_u32_e32 v4, v3
	s_delay_alu instid0(VALU_DEP_1) | instskip(NEXT) | instid1(VALU_DEP_1)
	v_min_u32_e32 v4, 32, v4
	v_subrev_nc_u32_e32 v5, 29, v4
	v_sub_nc_u32_e32 v4, 30, v4
	s_delay_alu instid0(VALU_DEP_2) | instskip(SKIP_1) | instid1(VALU_DEP_2)
	v_lshlrev_b32_e32 v5, v5, v2
	v_bfe_u32 v2, v2, 2, 5
	v_and_b32_e32 v5, 3, v5
	s_delay_alu instid0(VALU_DEP_2) | instskip(NEXT) | instid1(VALU_DEP_2)
	v_cmp_eq_u32_e32 vcc_lo, 0, v2
	v_dual_cndmask_b32 v2, v2, v4 :: v_dual_cndmask_b32 v3, v3, v5
	v_and_b32_e32 v4, 0x80000000, v6
	s_delay_alu instid0(VALU_DEP_2) | instskip(NEXT) | instid1(VALU_DEP_3)
	v_lshl_add_u32 v2, v2, 23, 0x37800000
	v_lshlrev_b32_e32 v3, 21, v3
	s_delay_alu instid0(VALU_DEP_1) | instskip(SKIP_2) | instid1(VALU_DEP_3)
	v_or3_b32 v2, v4, v2, v3
	v_mov_b32_e32 v4, 0
	v_mov_b32_e32 v5, 0
	v_cvt_f64_f32_e32 v[2:3], v2
.LBB168_1322:
	s_or_b32 exec_lo, exec_lo, s0
	s_mov_b32 s0, 0
	s_branch .LBB168_1326
.LBB168_1323:
                                        ; implicit-def: $vgpr4_vgpr5
	s_mov_b32 s13, 0
	s_branch .LBB168_1332
.LBB168_1324:
	s_mov_b32 s0, -1
                                        ; implicit-def: $vgpr4_vgpr5
	s_branch .LBB168_1329
.LBB168_1325:
	s_mov_b32 s0, -1
                                        ; implicit-def: $vgpr4_vgpr5
.LBB168_1326:
	s_delay_alu instid0(SALU_CYCLE_1)
	s_and_b32 vcc_lo, exec_lo, s0
	s_cbranch_vccz .LBB168_1328
; %bb.1327:
	global_load_u8 v2, v[0:1], off
	s_waitcnt vmcnt(0)
	v_lshlrev_b32_e32 v2, 24, v2
	s_delay_alu instid0(VALU_DEP_1) | instskip(NEXT) | instid1(VALU_DEP_1)
	v_and_b32_e32 v3, 0x7f000000, v2
	v_clz_i32_u32_e32 v4, v3
	v_add_nc_u32_e32 v6, 0x1000000, v3
	v_cmp_ne_u32_e32 vcc_lo, 0, v3
	s_delay_alu instid0(VALU_DEP_3) | instskip(NEXT) | instid1(VALU_DEP_1)
	v_min_u32_e32 v4, 32, v4
	v_sub_nc_u32_e64 v4, v4, 4 clamp
	s_delay_alu instid0(VALU_DEP_1) | instskip(SKIP_1) | instid1(VALU_DEP_2)
	v_lshlrev_b32_e32 v5, v4, v3
	v_lshlrev_b32_e32 v4, 23, v4
	v_lshrrev_b32_e32 v5, 4, v5
	s_delay_alu instid0(VALU_DEP_1) | instskip(SKIP_1) | instid1(VALU_DEP_2)
	v_sub_nc_u32_e32 v4, v5, v4
	v_ashrrev_i32_e32 v5, 8, v6
	v_add_nc_u32_e32 v4, 0x3c000000, v4
	s_delay_alu instid0(VALU_DEP_1) | instskip(NEXT) | instid1(VALU_DEP_1)
	v_and_or_b32 v4, 0x7f800000, v5, v4
	v_dual_cndmask_b32 v3, 0, v4 :: v_dual_mov_b32 v4, 0
	v_mov_b32_e32 v5, 0
	s_delay_alu instid0(VALU_DEP_2) | instskip(NEXT) | instid1(VALU_DEP_1)
	v_and_or_b32 v2, 0x80000000, v2, v3
	v_cvt_f64_f32_e32 v[2:3], v2
.LBB168_1328:
	s_mov_b32 s0, 0
.LBB168_1329:
	s_delay_alu instid0(SALU_CYCLE_1)
	s_and_not1_b32 vcc_lo, exec_lo, s0
	s_cbranch_vccnz .LBB168_1331
; %bb.1330:
	global_load_u8 v2, v[0:1], off
	s_waitcnt vmcnt(0)
	v_lshlrev_b32_e32 v3, 25, v2
	v_lshlrev_b16 v2, 8, v2
	s_delay_alu instid0(VALU_DEP_2) | instskip(NEXT) | instid1(VALU_DEP_2)
	v_lshrrev_b32_e32 v4, 4, v3
	v_and_or_b32 v5, 0x7f00, v2, 0.5
	v_bfe_i32 v2, v2, 0, 16
	s_delay_alu instid0(VALU_DEP_3) | instskip(NEXT) | instid1(VALU_DEP_1)
	v_or_b32_e32 v4, 0x70000000, v4
	v_dual_add_f32 v5, -0.5, v5 :: v_dual_mul_f32 v4, 0x7800000, v4
	v_cmp_gt_u32_e32 vcc_lo, 0x8000000, v3
	s_delay_alu instid0(VALU_DEP_2) | instskip(SKIP_1) | instid1(VALU_DEP_2)
	v_dual_cndmask_b32 v3, v4, v5 :: v_dual_mov_b32 v4, 0
	v_mov_b32_e32 v5, 0
	v_and_or_b32 v2, 0x80000000, v2, v3
	s_delay_alu instid0(VALU_DEP_1)
	v_cvt_f64_f32_e32 v[2:3], v2
.LBB168_1331:
	s_mov_b32 s8, -1
	s_mov_b32 s13, 0
	s_cbranch_execnz .LBB168_1341
.LBB168_1332:
	v_cmp_lt_i16_e32 vcc_lo, 14, v20
	s_cbranch_vccz .LBB168_1335
; %bb.1333:
	v_cmp_eq_u16_e32 vcc_lo, 15, v20
	s_cbranch_vccz .LBB168_1336
; %bb.1334:
	global_load_u16 v2, v[0:1], off
	s_mov_b32 s10, 0
	s_mov_b32 s8, -1
	s_mov_b64 s[0:1], 0
	s_waitcnt vmcnt(0)
	v_lshlrev_b32_e32 v2, 16, v2
	s_delay_alu instid0(VALU_DEP_1)
	v_cvt_f64_f32_e32 v[2:3], v2
	s_branch .LBB168_1337
.LBB168_1335:
	s_mov_b32 s9, -1
                                        ; implicit-def: $sgpr0_sgpr1
                                        ; implicit-def: $vgpr2_vgpr3
	s_branch .LBB168_1338
.LBB168_1336:
	s_mov_b32 s10, -1
                                        ; implicit-def: $sgpr0_sgpr1
                                        ; implicit-def: $vgpr2_vgpr3
.LBB168_1337:
	s_mov_b32 s9, 0
.LBB168_1338:
	s_delay_alu instid0(SALU_CYCLE_1)
	s_and_b32 vcc_lo, exec_lo, s9
	s_cbranch_vccz .LBB168_1340
; %bb.1339:
	v_cmp_ne_u16_e64 s10, 11, v20
	s_mov_b32 s13, -1
                                        ; implicit-def: $sgpr0_sgpr1
                                        ; implicit-def: $vgpr2_vgpr3
.LBB168_1340:
	v_dual_mov_b32 v5, s1 :: v_dual_mov_b32 v4, s0
.LBB168_1341:
	s_delay_alu instid0(VALU_DEP_2)
	s_and_b32 vcc_lo, exec_lo, s10
	s_mov_b32 s10, s12
	s_cbranch_vccnz .LBB168_1406
; %bb.1342:
	s_and_not1_b32 vcc_lo, exec_lo, s13
	s_cbranch_vccnz .LBB168_1344
.LBB168_1343:
	global_load_u8 v2, v[0:1], off
	v_mov_b32_e32 v4, 0
	v_mov_b32_e32 v5, 0
	s_mov_b32 s8, -1
	s_waitcnt vmcnt(0)
	v_cmp_ne_u16_e32 vcc_lo, 0, v2
	v_mov_b32_e32 v2, 0
	v_cndmask_b32_e64 v3, 0, 0x3ff00000, vcc_lo
.LBB168_1344:
.LBB168_1345:
	s_and_not1_b32 vcc_lo, exec_lo, s8
	s_cbranch_vccnz .LBB168_1899
.LBB168_1346:
	s_waitcnt vmcnt(0)
	s_delay_alu instid0(VALU_DEP_1) | instskip(NEXT) | instid1(VALU_DEP_2)
	v_cmp_neq_f64_e32 vcc_lo, 0, v[2:3]
	v_cmp_neq_f64_e64 s0, 0, v[4:5]
	v_mov_b32_e32 v6, 0
	v_mov_b32_e32 v7, 0
	s_delay_alu instid0(VALU_DEP_3) | instskip(NEXT) | instid1(SALU_CYCLE_1)
	s_or_b32 s0, vcc_lo, s0
	s_and_saveexec_b32 s8, s0
	s_cbranch_execz .LBB168_1378
; %bb.1347:
	s_mov_b32 s0, 0
	s_mov_b32 s1, 0x7ff00000
	v_mov_b32_e32 v6, s0
	v_mov_b32_e32 v7, s1
	s_mov_b32 s9, exec_lo
	v_cmpx_neq_f64_e64 0x7ff00000, |v[4:5]|
	s_cbranch_execz .LBB168_1377
; %bb.1348:
	s_mov_b32 s0, exec_lo
	v_cmpx_o_f64_e32 v[2:3], v[2:3]
	s_xor_b32 s13, exec_lo, s0
	s_cbranch_execz .LBB168_1374
; %bb.1349:
	s_mov_b32 s1, exec_lo
	v_cmpx_neq_f64_e64 0x7ff00000, |v[2:3]|
	s_xor_b32 s14, exec_lo, s1
	s_cbranch_execz .LBB168_1367
; %bb.1350:
	v_max_f64 v[0:1], |v[4:5]|, |v[4:5]|
	v_max_f64 v[6:7], |v[2:3]|, |v[2:3]|
	s_mov_b32 s0, 0x99fcef32
	s_mov_b32 s1, 0x7fda8279
                                        ; implicit-def: $sgpr15
	s_delay_alu instid0(VALU_DEP_1) | instskip(NEXT) | instid1(VALU_DEP_1)
	v_max_f64 v[0:1], v[6:7], v[0:1]
	v_cmp_nle_f64_e64 s0, s[0:1], v[0:1]
	s_delay_alu instid0(VALU_DEP_1) | instskip(NEXT) | instid1(SALU_CYCLE_1)
	s_and_saveexec_b32 s1, s0
	s_xor_b32 s1, exec_lo, s1
	s_cbranch_execz .LBB168_1354
; %bb.1351:
	v_cmp_ge_f64_e64 s15, 0x200000, |v[2:3]|
	v_cmp_ge_f64_e64 s16, 0x200000, |v[4:5]|
	s_delay_alu instid0(VALU_DEP_1)
	s_and_b32 s17, s15, s16
	s_mov_b32 s15, 0
	s_and_saveexec_b32 s16, s17
; %bb.1352:
	v_mul_f64 v[2:3], v[2:3], 4.0
	v_mul_f64 v[4:5], v[4:5], 4.0
	s_mov_b32 s15, exec_lo
; %bb.1353:
	s_or_b32 exec_lo, exec_lo, s16
	s_delay_alu instid0(SALU_CYCLE_1)
	s_and_b32 s15, s15, exec_lo
.LBB168_1354:
	s_and_not1_saveexec_b32 s1, s1
; %bb.1355:
	s_delay_alu instid0(VALU_DEP_2) | instskip(NEXT) | instid1(VALU_DEP_2)
	v_ldexp_f64 v[2:3], v[2:3], -2
	v_ldexp_f64 v[4:5], v[4:5], -2
	s_and_not1_b32 s15, s15, exec_lo
; %bb.1356:
	s_or_b32 exec_lo, exec_lo, s1
	s_delay_alu instid0(VALU_DEP_1) | instskip(NEXT) | instid1(VALU_DEP_3)
	v_max_f64 v[0:1], |v[4:5]|, |v[4:5]|
	v_max_f64 v[6:7], |v[2:3]|, |v[2:3]|
	v_cmp_class_f64_e64 s16, v[2:3], 0x204
	v_cmp_class_f64_e64 s17, v[4:5], 0x204
	v_cmp_le_f64_e64 s1, 0, v[2:3]
	s_delay_alu instid0(VALU_DEP_4) | instskip(NEXT) | instid1(VALU_DEP_3)
	v_max_f64 v[0:1], v[6:7], v[0:1]
	s_or_b32 s16, s17, s16
	s_delay_alu instid0(VALU_DEP_1) | instskip(NEXT) | instid1(VALU_DEP_1)
	v_frexp_exp_i32_f64_e32 v13, v[0:1]
	v_sub_nc_u32_e32 v6, 0, v13
	s_delay_alu instid0(VALU_DEP_1) | instskip(SKIP_1) | instid1(VALU_DEP_2)
	v_ldexp_f64 v[0:1], |v[4:5]|, v6
	v_ldexp_f64 v[6:7], |v[2:3]|, v6
	v_mul_f64 v[0:1], v[0:1], v[0:1]
	s_delay_alu instid0(VALU_DEP_1) | instskip(NEXT) | instid1(VALU_DEP_1)
	v_fma_f64 v[0:1], v[6:7], v[6:7], v[0:1]
	v_rsq_f64_e32 v[6:7], v[0:1]
	v_cmp_eq_f64_e32 vcc_lo, 0, v[0:1]
	s_waitcnt_depctr 0xfff
	v_mul_f64 v[8:9], v[0:1], v[6:7]
	v_mul_f64 v[6:7], v[6:7], 0.5
	s_delay_alu instid0(VALU_DEP_1) | instskip(NEXT) | instid1(VALU_DEP_1)
	v_fma_f64 v[10:11], -v[6:7], v[8:9], 0.5
	v_fma_f64 v[8:9], v[8:9], v[10:11], v[8:9]
	v_fma_f64 v[6:7], v[6:7], v[10:11], v[6:7]
	s_delay_alu instid0(VALU_DEP_2) | instskip(NEXT) | instid1(VALU_DEP_1)
	v_fma_f64 v[10:11], -v[8:9], v[8:9], v[0:1]
	v_fma_f64 v[6:7], v[10:11], v[6:7], v[8:9]
	s_delay_alu instid0(VALU_DEP_1) | instskip(SKIP_1) | instid1(VALU_DEP_2)
	v_dual_cndmask_b32 v1, v7, v1 :: v_dual_cndmask_b32 v0, v6, v0
	v_cmp_o_f64_e32 vcc_lo, v[4:5], v[4:5]
	v_ldexp_f64 v[0:1], v[0:1], v13
	s_delay_alu instid0(VALU_DEP_1) | instskip(NEXT) | instid1(VALU_DEP_2)
	v_cndmask_b32_e32 v0, 0, v0, vcc_lo
	v_cndmask_b32_e32 v1, 0x7ff80000, v1, vcc_lo
	s_delay_alu instid0(VALU_DEP_2) | instskip(NEXT) | instid1(VALU_DEP_2)
	v_cndmask_b32_e64 v0, v0, 0, s16
	v_cndmask_b32_e64 v1, v1, 0x7ff00000, s16
	s_and_saveexec_b32 s16, s1
	s_delay_alu instid0(SALU_CYCLE_1)
	s_xor_b32 s1, exec_lo, s16
	s_cbranch_execz .LBB168_1362
; %bb.1357:
	s_delay_alu instid0(VALU_DEP_1) | instskip(NEXT) | instid1(VALU_DEP_1)
	v_add_f64 v[0:1], v[2:3], v[0:1]
	v_mul_f64 v[0:1], v[0:1], 0.5
	s_delay_alu instid0(VALU_DEP_1) | instskip(SKIP_1) | instid1(VALU_DEP_1)
	v_cmp_gt_f64_e32 vcc_lo, 0x10000000, v[0:1]
	v_cndmask_b32_e64 v2, 0, 1, vcc_lo
	v_lshlrev_b32_e32 v2, 8, v2
	s_delay_alu instid0(VALU_DEP_1) | instskip(NEXT) | instid1(VALU_DEP_1)
	v_ldexp_f64 v[0:1], v[0:1], v2
	v_rsq_f64_e32 v[2:3], v[0:1]
	s_waitcnt_depctr 0xfff
	v_mul_f64 v[6:7], v[0:1], v[2:3]
	v_mul_f64 v[2:3], v[2:3], 0.5
	s_delay_alu instid0(VALU_DEP_1) | instskip(NEXT) | instid1(VALU_DEP_1)
	v_fma_f64 v[8:9], -v[2:3], v[6:7], 0.5
	v_fma_f64 v[6:7], v[6:7], v[8:9], v[6:7]
	v_fma_f64 v[2:3], v[2:3], v[8:9], v[2:3]
	s_delay_alu instid0(VALU_DEP_2) | instskip(NEXT) | instid1(VALU_DEP_1)
	v_fma_f64 v[8:9], -v[6:7], v[6:7], v[0:1]
	v_fma_f64 v[6:7], v[8:9], v[2:3], v[6:7]
	s_delay_alu instid0(VALU_DEP_1) | instskip(NEXT) | instid1(VALU_DEP_1)
	v_fma_f64 v[8:9], -v[6:7], v[6:7], v[0:1]
	v_fma_f64 v[2:3], v[8:9], v[2:3], v[6:7]
	v_cndmask_b32_e64 v6, 0, 0xffffff80, vcc_lo
	v_cmp_class_f64_e64 vcc_lo, v[0:1], 0x260
	s_delay_alu instid0(VALU_DEP_2) | instskip(NEXT) | instid1(VALU_DEP_1)
	v_ldexp_f64 v[2:3], v[2:3], v6
	v_dual_cndmask_b32 v3, v3, v1 :: v_dual_cndmask_b32 v2, v2, v0
	s_delay_alu instid0(VALU_DEP_1) | instskip(NEXT) | instid1(VALU_DEP_1)
	v_add_f64 v[0:1], v[2:3], v[2:3]
	v_div_scale_f64 v[6:7], null, v[0:1], v[0:1], v[4:5]
	s_delay_alu instid0(VALU_DEP_1) | instskip(SKIP_2) | instid1(VALU_DEP_1)
	v_rcp_f64_e32 v[8:9], v[6:7]
	s_waitcnt_depctr 0xfff
	v_fma_f64 v[10:11], -v[6:7], v[8:9], 1.0
	v_fma_f64 v[8:9], v[8:9], v[10:11], v[8:9]
	s_delay_alu instid0(VALU_DEP_1) | instskip(NEXT) | instid1(VALU_DEP_1)
	v_fma_f64 v[10:11], -v[6:7], v[8:9], 1.0
	v_fma_f64 v[8:9], v[8:9], v[10:11], v[8:9]
	v_div_scale_f64 v[10:11], vcc_lo, v[4:5], v[0:1], v[4:5]
	s_delay_alu instid0(VALU_DEP_1) | instskip(NEXT) | instid1(VALU_DEP_1)
	v_mul_f64 v[13:14], v[10:11], v[8:9]
	v_fma_f64 v[6:7], -v[6:7], v[13:14], v[10:11]
	s_delay_alu instid0(VALU_DEP_1) | instskip(NEXT) | instid1(VALU_DEP_1)
	v_div_fmas_f64 v[6:7], v[6:7], v[8:9], v[13:14]
	v_div_fixup_f64 v[4:5], v[6:7], v[0:1], v[4:5]
                                        ; implicit-def: $vgpr0_vgpr1
	s_and_not1_saveexec_b32 s1, s1
	s_cbranch_execnz .LBB168_1363
.LBB168_1358:
	s_or_b32 exec_lo, exec_lo, s1
	s_and_saveexec_b32 s1, s0
	s_delay_alu instid0(SALU_CYCLE_1)
	s_xor_b32 s0, exec_lo, s1
	s_cbranch_execz .LBB168_1364
.LBB168_1359:
	s_and_saveexec_b32 s1, s15
; %bb.1360:
	s_delay_alu instid0(VALU_DEP_2) | instskip(NEXT) | instid1(VALU_DEP_2)
	v_mul_f64 v[2:3], v[2:3], 0.5
	v_mul_f64 v[4:5], v[4:5], 0.5
; %bb.1361:
	s_or_b32 exec_lo, exec_lo, s1
	s_and_not1_saveexec_b32 s0, s0
	s_cbranch_execnz .LBB168_1365
	s_branch .LBB168_1366
.LBB168_1362:
	s_and_not1_saveexec_b32 s1, s1
	s_cbranch_execz .LBB168_1358
.LBB168_1363:
	v_add_f64 v[0:1], v[0:1], -v[2:3]
	s_delay_alu instid0(VALU_DEP_1) | instskip(NEXT) | instid1(VALU_DEP_1)
	v_mul_f64 v[0:1], v[0:1], 0.5
	v_cmp_gt_f64_e32 vcc_lo, 0x10000000, v[0:1]
	v_cndmask_b32_e64 v2, 0, 1, vcc_lo
	s_delay_alu instid0(VALU_DEP_1) | instskip(NEXT) | instid1(VALU_DEP_1)
	v_lshlrev_b32_e32 v2, 8, v2
	v_ldexp_f64 v[0:1], v[0:1], v2
	s_delay_alu instid0(VALU_DEP_1) | instskip(SKIP_3) | instid1(VALU_DEP_1)
	v_rsq_f64_e32 v[2:3], v[0:1]
	s_waitcnt_depctr 0xfff
	v_mul_f64 v[6:7], v[0:1], v[2:3]
	v_mul_f64 v[2:3], v[2:3], 0.5
	v_fma_f64 v[8:9], -v[2:3], v[6:7], 0.5
	s_delay_alu instid0(VALU_DEP_1) | instskip(SKIP_1) | instid1(VALU_DEP_2)
	v_fma_f64 v[6:7], v[6:7], v[8:9], v[6:7]
	v_fma_f64 v[2:3], v[2:3], v[8:9], v[2:3]
	v_fma_f64 v[8:9], -v[6:7], v[6:7], v[0:1]
	s_delay_alu instid0(VALU_DEP_1) | instskip(NEXT) | instid1(VALU_DEP_1)
	v_fma_f64 v[6:7], v[8:9], v[2:3], v[6:7]
	v_fma_f64 v[8:9], -v[6:7], v[6:7], v[0:1]
	s_delay_alu instid0(VALU_DEP_1) | instskip(SKIP_3) | instid1(VALU_DEP_3)
	v_fma_f64 v[2:3], v[8:9], v[2:3], v[6:7]
	v_cndmask_b32_e64 v6, 0, 0xffffff80, vcc_lo
	v_cmp_class_f64_e64 vcc_lo, v[0:1], 0x260
	v_and_b32_e32 v7, 0x7fffffff, v5
	v_ldexp_f64 v[2:3], v[2:3], v6
	s_delay_alu instid0(VALU_DEP_1) | instskip(NEXT) | instid1(VALU_DEP_1)
	v_dual_cndmask_b32 v1, v3, v1 :: v_dual_cndmask_b32 v0, v2, v0
	v_add_f64 v[2:3], v[0:1], v[0:1]
	v_bfi_b32 v1, 0x7fffffff, v1, v5
	v_mov_b32_e32 v6, v4
	s_delay_alu instid0(VALU_DEP_1) | instskip(SKIP_1) | instid1(VALU_DEP_2)
	v_div_scale_f64 v[8:9], null, v[2:3], v[2:3], v[6:7]
	v_div_scale_f64 v[6:7], vcc_lo, v[6:7], v[2:3], v[6:7]
	v_rcp_f64_e32 v[10:11], v[8:9]
	s_waitcnt_depctr 0xfff
	v_fma_f64 v[13:14], -v[8:9], v[10:11], 1.0
	s_delay_alu instid0(VALU_DEP_1) | instskip(NEXT) | instid1(VALU_DEP_1)
	v_fma_f64 v[10:11], v[10:11], v[13:14], v[10:11]
	v_fma_f64 v[13:14], -v[8:9], v[10:11], 1.0
	s_delay_alu instid0(VALU_DEP_1) | instskip(NEXT) | instid1(VALU_DEP_1)
	v_fma_f64 v[10:11], v[10:11], v[13:14], v[10:11]
	v_mul_f64 v[13:14], v[6:7], v[10:11]
	s_delay_alu instid0(VALU_DEP_1) | instskip(NEXT) | instid1(VALU_DEP_1)
	v_fma_f64 v[6:7], -v[8:9], v[13:14], v[6:7]
	v_div_fmas_f64 v[6:7], v[6:7], v[10:11], v[13:14]
	s_delay_alu instid0(VALU_DEP_1) | instskip(SKIP_3) | instid1(SALU_CYCLE_1)
	v_div_fixup_f64 v[2:3], v[6:7], v[2:3], |v[4:5]|
	v_dual_mov_b32 v5, v1 :: v_dual_mov_b32 v4, v0
	s_or_b32 exec_lo, exec_lo, s1
	s_and_saveexec_b32 s1, s0
	s_xor_b32 s0, exec_lo, s1
	s_cbranch_execnz .LBB168_1359
.LBB168_1364:
	s_and_not1_saveexec_b32 s0, s0
.LBB168_1365:
	s_delay_alu instid0(VALU_DEP_2) | instskip(NEXT) | instid1(VALU_DEP_2)
	v_add_f64 v[2:3], v[2:3], v[2:3]
	v_add_f64 v[4:5], v[4:5], v[4:5]
.LBB168_1366:
	s_or_b32 exec_lo, exec_lo, s0
.LBB168_1367:
	s_and_not1_saveexec_b32 s0, s14
	s_cbranch_execz .LBB168_1373
; %bb.1368:
	s_delay_alu instid0(VALU_DEP_1) | instskip(SKIP_1) | instid1(VALU_DEP_3)
	v_add_f64 v[0:1], v[4:5], -v[4:5]
	s_mov_b32 s1, exec_lo
	v_cmpx_lt_i64_e32 -1, v[2:3]
	s_xor_b32 s1, exec_lo, s1
; %bb.1369:
	s_delay_alu instid0(VALU_DEP_2) | instskip(NEXT) | instid1(VALU_DEP_1)
	v_bfi_b32 v1, 0x7fffffff, v1, v5
	v_dual_mov_b32 v5, v1 :: v_dual_mov_b32 v4, v0
                                        ; implicit-def: $vgpr0_vgpr1
; %bb.1370:
	s_and_not1_saveexec_b32 s1, s1
; %bb.1371:
	s_delay_alu instid0(VALU_DEP_1) | instskip(SKIP_1) | instid1(VALU_DEP_2)
	v_bfi_b32 v3, 0x7fffffff, v3, v5
	v_and_b32_e32 v1, 0x7fffffff, v1
	v_dual_mov_b32 v5, v3 :: v_dual_mov_b32 v4, v2
	s_delay_alu instid0(VALU_DEP_2)
	v_dual_mov_b32 v3, v1 :: v_dual_mov_b32 v2, v0
; %bb.1372:
	s_or_b32 exec_lo, exec_lo, s1
.LBB168_1373:
	s_delay_alu instid0(SALU_CYCLE_1)
	s_or_b32 exec_lo, exec_lo, s0
.LBB168_1374:
	s_and_not1_saveexec_b32 s0, s13
; %bb.1375:
	s_delay_alu instid0(VALU_DEP_1) | instskip(NEXT) | instid1(VALU_DEP_1)
	v_add_f64 v[0:1], v[4:5], -v[4:5]
	v_div_scale_f64 v[4:5], vcc_lo, v[0:1], v[0:1], v[0:1]
	s_delay_alu instid0(VALU_DEP_1) | instskip(SKIP_2) | instid1(VALU_DEP_1)
	v_rcp_f64_e32 v[6:7], v[4:5]
	s_waitcnt_depctr 0xfff
	v_fma_f64 v[8:9], -v[4:5], v[6:7], 1.0
	v_fma_f64 v[6:7], v[6:7], v[8:9], v[6:7]
	s_delay_alu instid0(VALU_DEP_1) | instskip(NEXT) | instid1(VALU_DEP_1)
	v_fma_f64 v[8:9], -v[4:5], v[6:7], 1.0
	v_fma_f64 v[6:7], v[6:7], v[8:9], v[6:7]
	s_delay_alu instid0(VALU_DEP_1) | instskip(NEXT) | instid1(VALU_DEP_1)
	v_mul_f64 v[8:9], v[4:5], v[6:7]
	v_fma_f64 v[4:5], -v[4:5], v[8:9], v[4:5]
	s_delay_alu instid0(VALU_DEP_1) | instskip(NEXT) | instid1(VALU_DEP_1)
	v_div_fmas_f64 v[4:5], v[4:5], v[6:7], v[8:9]
	v_div_fixup_f64 v[4:5], v[4:5], v[0:1], v[0:1]
; %bb.1376:
	s_or_b32 exec_lo, exec_lo, s0
	v_dual_mov_b32 v7, v3 :: v_dual_mov_b32 v6, v2
.LBB168_1377:
	s_or_b32 exec_lo, exec_lo, s9
.LBB168_1378:
	s_delay_alu instid0(SALU_CYCLE_1) | instskip(NEXT) | instid1(VALU_DEP_1)
	s_or_b32 exec_lo, exec_lo, s8
	v_cmp_gt_f64_e32 vcc_lo, 0, v[6:7]
	s_delay_alu instid0(VALU_DEP_3) | instskip(SKIP_2) | instid1(VALU_DEP_2)
	v_cmp_gt_f64_e64 s0, 0, v[4:5]
	v_xor_b32_e32 v0, 0x80000000, v7
	v_xor_b32_e32 v1, 0x80000000, v5
                                        ; implicit-def: $vgpr2_vgpr3
	v_dual_cndmask_b32 v9, v7, v0 :: v_dual_cndmask_b32 v8, v6, v6
	s_delay_alu instid0(VALU_DEP_2) | instskip(SKIP_2) | instid1(VALU_DEP_1)
	v_cndmask_b32_e64 v11, v5, v1, s0
	v_cndmask_b32_e64 v10, v4, v4, s0
	s_mov_b32 s0, exec_lo
	v_cmpx_ge_f64_e32 v[8:9], v[10:11]
	s_xor_b32 s1, exec_lo, s0
	s_cbranch_execz .LBB168_1384
; %bb.1379:
	v_cmp_neq_f64_e32 vcc_lo, 0, v[6:7]
	v_cmp_neq_f64_e64 s0, 0, v[4:5]
                                        ; implicit-def: $vgpr2_vgpr3
	s_delay_alu instid0(VALU_DEP_1) | instskip(NEXT) | instid1(SALU_CYCLE_1)
	s_or_b32 s0, vcc_lo, s0
	s_and_saveexec_b32 s8, s0
	s_delay_alu instid0(SALU_CYCLE_1)
	s_xor_b32 s0, exec_lo, s8
	s_cbranch_execz .LBB168_1381
; %bb.1380:
	v_div_scale_f64 v[0:1], null, v[6:7], v[6:7], v[4:5]
	v_div_scale_f64 v[10:11], vcc_lo, v[4:5], v[6:7], v[4:5]
	s_delay_alu instid0(VALU_DEP_2) | instskip(SKIP_2) | instid1(VALU_DEP_1)
	v_rcp_f64_e32 v[2:3], v[0:1]
	s_waitcnt_depctr 0xfff
	v_fma_f64 v[8:9], -v[0:1], v[2:3], 1.0
	v_fma_f64 v[2:3], v[2:3], v[8:9], v[2:3]
	s_delay_alu instid0(VALU_DEP_1) | instskip(NEXT) | instid1(VALU_DEP_1)
	v_fma_f64 v[8:9], -v[0:1], v[2:3], 1.0
	v_fma_f64 v[2:3], v[2:3], v[8:9], v[2:3]
	s_delay_alu instid0(VALU_DEP_1) | instskip(NEXT) | instid1(VALU_DEP_1)
	v_mul_f64 v[8:9], v[10:11], v[2:3]
	v_fma_f64 v[0:1], -v[0:1], v[8:9], v[10:11]
	s_delay_alu instid0(VALU_DEP_1) | instskip(NEXT) | instid1(VALU_DEP_1)
	v_div_fmas_f64 v[0:1], v[0:1], v[2:3], v[8:9]
	v_div_fixup_f64 v[0:1], v[0:1], v[6:7], v[4:5]
	s_delay_alu instid0(VALU_DEP_1) | instskip(NEXT) | instid1(VALU_DEP_1)
	v_fma_f64 v[2:3], v[4:5], v[0:1], v[6:7]
	v_div_scale_f64 v[4:5], null, v[2:3], v[2:3], 1.0
	v_div_scale_f64 v[10:11], vcc_lo, 1.0, v[2:3], 1.0
	s_delay_alu instid0(VALU_DEP_2) | instskip(SKIP_2) | instid1(VALU_DEP_1)
	v_rcp_f64_e32 v[6:7], v[4:5]
	s_waitcnt_depctr 0xfff
	v_fma_f64 v[8:9], -v[4:5], v[6:7], 1.0
	v_fma_f64 v[6:7], v[6:7], v[8:9], v[6:7]
	s_delay_alu instid0(VALU_DEP_1) | instskip(NEXT) | instid1(VALU_DEP_1)
	v_fma_f64 v[8:9], -v[4:5], v[6:7], 1.0
	v_fma_f64 v[6:7], v[6:7], v[8:9], v[6:7]
	s_delay_alu instid0(VALU_DEP_1) | instskip(NEXT) | instid1(VALU_DEP_1)
	v_mul_f64 v[8:9], v[10:11], v[6:7]
	v_fma_f64 v[4:5], -v[4:5], v[8:9], v[10:11]
                                        ; implicit-def: $vgpr10_vgpr11
	s_delay_alu instid0(VALU_DEP_1) | instskip(SKIP_1) | instid1(VALU_DEP_2)
	v_div_fmas_f64 v[4:5], v[4:5], v[6:7], v[8:9]
	v_fma_f64 v[6:7], v[0:1], 0, 1.0
                                        ; implicit-def: $vgpr8_vgpr9
	v_div_fixup_f64 v[2:3], v[4:5], v[2:3], 1.0
	v_add_f64 v[4:5], -v[0:1], 0
	s_delay_alu instid0(VALU_DEP_2) | instskip(NEXT) | instid1(VALU_DEP_2)
	v_mul_f64 v[0:1], v[6:7], v[2:3]
	v_mul_f64 v[2:3], v[4:5], v[2:3]
.LBB168_1381:
	s_and_not1_saveexec_b32 s8, s0
	s_cbranch_execz .LBB168_1383
; %bb.1382:
	v_div_scale_f64 v[0:1], null, v[8:9], v[8:9], 1.0
	v_div_scale_f64 v[2:3], null, v[10:11], v[10:11], 0
	v_div_scale_f64 v[17:18], vcc_lo, 1.0, v[8:9], 1.0
	s_delay_alu instid0(VALU_DEP_3) | instskip(NEXT) | instid1(VALU_DEP_2)
	v_rcp_f64_e32 v[4:5], v[0:1]
	v_rcp_f64_e32 v[6:7], v[2:3]
	s_waitcnt_depctr 0xfff
	v_fma_f64 v[13:14], -v[0:1], v[4:5], 1.0
	v_fma_f64 v[15:16], -v[2:3], v[6:7], 1.0
	s_delay_alu instid0(VALU_DEP_2) | instskip(NEXT) | instid1(VALU_DEP_2)
	v_fma_f64 v[4:5], v[4:5], v[13:14], v[4:5]
	v_fma_f64 v[6:7], v[6:7], v[15:16], v[6:7]
	s_delay_alu instid0(VALU_DEP_2) | instskip(NEXT) | instid1(VALU_DEP_2)
	v_fma_f64 v[13:14], -v[0:1], v[4:5], 1.0
	v_fma_f64 v[15:16], -v[2:3], v[6:7], 1.0
	s_delay_alu instid0(VALU_DEP_2) | instskip(SKIP_1) | instid1(VALU_DEP_3)
	v_fma_f64 v[4:5], v[4:5], v[13:14], v[4:5]
	v_div_scale_f64 v[13:14], s0, 0, v[10:11], 0
	v_fma_f64 v[6:7], v[6:7], v[15:16], v[6:7]
	s_delay_alu instid0(VALU_DEP_3) | instskip(NEXT) | instid1(VALU_DEP_2)
	v_mul_f64 v[15:16], v[17:18], v[4:5]
	v_mul_f64 v[21:22], v[13:14], v[6:7]
	s_delay_alu instid0(VALU_DEP_2) | instskip(NEXT) | instid1(VALU_DEP_2)
	v_fma_f64 v[0:1], -v[0:1], v[15:16], v[17:18]
	v_fma_f64 v[2:3], -v[2:3], v[21:22], v[13:14]
	s_delay_alu instid0(VALU_DEP_2) | instskip(SKIP_1) | instid1(VALU_DEP_2)
	v_div_fmas_f64 v[0:1], v[0:1], v[4:5], v[15:16]
	s_mov_b32 vcc_lo, s0
	v_div_fmas_f64 v[2:3], v[2:3], v[6:7], v[21:22]
	s_delay_alu instid0(VALU_DEP_2) | instskip(NEXT) | instid1(VALU_DEP_2)
	v_div_fixup_f64 v[0:1], v[0:1], v[8:9], 1.0
	v_div_fixup_f64 v[2:3], v[2:3], v[10:11], 0
.LBB168_1383:
	s_or_b32 exec_lo, exec_lo, s8
                                        ; implicit-def: $vgpr4_vgpr5
                                        ; implicit-def: $vgpr6_vgpr7
.LBB168_1384:
	s_and_not1_saveexec_b32 s0, s1
	s_cbranch_execz .LBB168_1386
; %bb.1385:
	v_div_scale_f64 v[0:1], null, v[4:5], v[4:5], v[6:7]
	v_div_scale_f64 v[10:11], vcc_lo, v[6:7], v[4:5], v[6:7]
	s_delay_alu instid0(VALU_DEP_2) | instskip(SKIP_2) | instid1(VALU_DEP_1)
	v_rcp_f64_e32 v[2:3], v[0:1]
	s_waitcnt_depctr 0xfff
	v_fma_f64 v[8:9], -v[0:1], v[2:3], 1.0
	v_fma_f64 v[2:3], v[2:3], v[8:9], v[2:3]
	s_delay_alu instid0(VALU_DEP_1) | instskip(NEXT) | instid1(VALU_DEP_1)
	v_fma_f64 v[8:9], -v[0:1], v[2:3], 1.0
	v_fma_f64 v[2:3], v[2:3], v[8:9], v[2:3]
	s_delay_alu instid0(VALU_DEP_1) | instskip(NEXT) | instid1(VALU_DEP_1)
	v_mul_f64 v[8:9], v[10:11], v[2:3]
	v_fma_f64 v[0:1], -v[0:1], v[8:9], v[10:11]
	s_delay_alu instid0(VALU_DEP_1) | instskip(NEXT) | instid1(VALU_DEP_1)
	v_div_fmas_f64 v[0:1], v[0:1], v[2:3], v[8:9]
	v_div_fixup_f64 v[0:1], v[0:1], v[4:5], v[6:7]
	s_delay_alu instid0(VALU_DEP_1) | instskip(NEXT) | instid1(VALU_DEP_1)
	v_fma_f64 v[2:3], v[6:7], v[0:1], v[4:5]
	v_div_scale_f64 v[4:5], null, v[2:3], v[2:3], 1.0
	v_div_scale_f64 v[10:11], vcc_lo, 1.0, v[2:3], 1.0
	s_delay_alu instid0(VALU_DEP_2) | instskip(SKIP_2) | instid1(VALU_DEP_1)
	v_rcp_f64_e32 v[6:7], v[4:5]
	s_waitcnt_depctr 0xfff
	v_fma_f64 v[8:9], -v[4:5], v[6:7], 1.0
	v_fma_f64 v[6:7], v[6:7], v[8:9], v[6:7]
	s_delay_alu instid0(VALU_DEP_1) | instskip(NEXT) | instid1(VALU_DEP_1)
	v_fma_f64 v[8:9], -v[4:5], v[6:7], 1.0
	v_fma_f64 v[6:7], v[6:7], v[8:9], v[6:7]
	s_delay_alu instid0(VALU_DEP_1) | instskip(NEXT) | instid1(VALU_DEP_1)
	v_mul_f64 v[8:9], v[10:11], v[6:7]
	v_fma_f64 v[4:5], -v[4:5], v[8:9], v[10:11]
	s_delay_alu instid0(VALU_DEP_1) | instskip(SKIP_1) | instid1(VALU_DEP_2)
	v_div_fmas_f64 v[4:5], v[4:5], v[6:7], v[8:9]
	v_add_f64 v[6:7], v[0:1], 0
	v_div_fixup_f64 v[2:3], v[4:5], v[2:3], 1.0
	v_fma_f64 v[4:5], v[0:1], 0, -1.0
	s_delay_alu instid0(VALU_DEP_2) | instskip(NEXT) | instid1(VALU_DEP_2)
	v_mul_f64 v[0:1], v[6:7], v[2:3]
	v_mul_f64 v[2:3], v[4:5], v[2:3]
.LBB168_1386:
	s_or_b32 exec_lo, exec_lo, s0
	s_lshl_b32 s3, s3, 7
	v_cmp_gt_i16_e32 vcc_lo, 11, v20
	v_add_nc_u32_e32 v16, s3, v12
	s_delay_alu instid0(VALU_DEP_1) | instskip(SKIP_1) | instid1(VALU_DEP_1)
	v_ashrrev_i32_e32 v5, 31, v16
	v_add_co_u32 v4, s0, s6, v16
	v_add_co_ci_u32_e64 v5, s0, s7, v5, s0
	s_cbranch_vccnz .LBB168_1393
; %bb.1387:
	v_cmp_lt_i16_e32 vcc_lo, 25, v20
	s_mov_b32 s14, 0
	s_cbranch_vccz .LBB168_1399
; %bb.1388:
	v_cmp_lt_i16_e32 vcc_lo, 28, v20
	s_cbranch_vccz .LBB168_1402
; %bb.1389:
	v_cmp_lt_i16_e32 vcc_lo, 43, v20
	;; [unrolled: 3-line block ×3, first 2 shown]
	s_cbranch_vccz .LBB168_1410
; %bb.1391:
	v_cmp_eq_u16_e32 vcc_lo, 46, v20
	s_mov_b32 s0, 0
	s_cbranch_vccz .LBB168_1455
; %bb.1392:
	global_load_b32 v6, v[4:5], off
	s_mov_b32 s13, 0
	s_mov_b32 s8, -1
	s_waitcnt vmcnt(0)
	v_lshlrev_b32_e32 v7, 16, v6
	v_and_b32_e32 v8, 0xffff0000, v6
	s_delay_alu instid0(VALU_DEP_2) | instskip(NEXT) | instid1(VALU_DEP_2)
	v_cvt_f64_f32_e32 v[6:7], v7
	v_cvt_f64_f32_e32 v[8:9], v8
	s_branch .LBB168_1457
.LBB168_1393:
	s_mov_b32 s8, 0
                                        ; implicit-def: $vgpr8_vgpr9
	s_cbranch_execz .LBB168_1525
; %bb.1394:
	v_cmp_gt_i16_e32 vcc_lo, 5, v20
	s_cbranch_vccnz .LBB168_1400
; %bb.1395:
	v_cmp_gt_i16_e32 vcc_lo, 8, v20
	s_cbranch_vccnz .LBB168_1403
	;; [unrolled: 3-line block ×3, first 2 shown]
; %bb.1397:
	v_cmp_lt_i16_e32 vcc_lo, 9, v20
	s_cbranch_vccz .LBB168_1411
; %bb.1398:
	global_load_b128 v[6:9], v[4:5], off
	s_mov_b32 s0, 0
	s_branch .LBB168_1412
.LBB168_1399:
	s_mov_b32 s8, 0
	s_mov_b32 s13, 0
                                        ; implicit-def: $vgpr8_vgpr9
	s_cbranch_execnz .LBB168_1490
	s_branch .LBB168_1521
.LBB168_1400:
                                        ; implicit-def: $vgpr8_vgpr9
	s_branch .LBB168_1431
.LBB168_1401:
	s_branch .LBB168_1526
.LBB168_1402:
	s_mov_b32 s0, -1
	s_mov_b32 s8, 0
	s_mov_b32 s13, 0
                                        ; implicit-def: $vgpr8_vgpr9
	s_branch .LBB168_1469
.LBB168_1403:
	s_mov_b32 s0, -1
                                        ; implicit-def: $vgpr8_vgpr9
	s_branch .LBB168_1418
.LBB168_1404:
	s_mov_b32 s0, -1
	s_mov_b32 s8, 0
	s_mov_b32 s13, 0
                                        ; implicit-def: $vgpr8_vgpr9
	s_branch .LBB168_1463
.LBB168_1405:
	s_mov_b32 s0, -1
                                        ; implicit-def: $vgpr8_vgpr9
	s_branch .LBB168_1415
.LBB168_1406:
	s_cbranch_execnz .LBB168_1451
; %bb.1407:
	s_or_b32 s10, s12, exec_lo
                                        ; implicit-def: $vgpr4_vgpr5
	s_cbranch_execz .LBB168_1343
	s_branch .LBB168_1344
.LBB168_1408:
	s_or_saveexec_b32 s14, s14
                                        ; implicit-def: $sgpr15
	s_delay_alu instid0(SALU_CYCLE_1)
	s_xor_b32 exec_lo, exec_lo, s14
	s_cbranch_execz .LBB168_1124
.LBB168_1409:
	v_add_f32_e64 v1, 0x46000000, |v0|
	s_and_not1_b32 s13, s13, exec_lo
	s_mov_b32 s15, 0
	s_delay_alu instid0(VALU_DEP_1) | instskip(NEXT) | instid1(VALU_DEP_1)
	v_and_b32_e32 v1, 0xff, v1
	v_cmp_ne_u32_e32 vcc_lo, 0, v1
	s_and_b32 s16, vcc_lo, exec_lo
	s_delay_alu instid0(SALU_CYCLE_1)
	s_or_b32 s13, s13, s16
	s_or_b32 exec_lo, exec_lo, s14
	v_mov_b32_e32 v2, s15
	s_and_saveexec_b32 s14, s13
	s_cbranch_execnz .LBB168_1125
	s_branch .LBB168_1126
.LBB168_1410:
	s_mov_b32 s0, -1
	s_mov_b32 s8, 0
	s_mov_b32 s13, 0
	s_branch .LBB168_1456
.LBB168_1411:
	s_mov_b32 s0, -1
                                        ; implicit-def: $vgpr8_vgpr9
.LBB168_1412:
	s_delay_alu instid0(SALU_CYCLE_1)
	s_and_not1_b32 vcc_lo, exec_lo, s0
	s_cbranch_vccnz .LBB168_1414
; %bb.1413:
	global_load_b64 v[7:8], v[4:5], off
	s_waitcnt vmcnt(0)
	v_cvt_f64_f32_e32 v[6:7], v7
	v_cvt_f64_f32_e32 v[8:9], v8
.LBB168_1414:
	s_mov_b32 s0, 0
.LBB168_1415:
	s_delay_alu instid0(SALU_CYCLE_1)
	s_and_not1_b32 vcc_lo, exec_lo, s0
	s_cbranch_vccnz .LBB168_1417
; %bb.1416:
	global_load_b32 v6, v[4:5], off
	s_waitcnt vmcnt(0)
	v_lshrrev_b32_e32 v7, 16, v6
	v_cvt_f32_f16_e32 v6, v6
	s_delay_alu instid0(VALU_DEP_2) | instskip(NEXT) | instid1(VALU_DEP_2)
	v_cvt_f32_f16_e32 v8, v7
	v_cvt_f64_f32_e32 v[6:7], v6
	s_delay_alu instid0(VALU_DEP_2)
	v_cvt_f64_f32_e32 v[8:9], v8
.LBB168_1417:
	s_mov_b32 s0, 0
.LBB168_1418:
	s_delay_alu instid0(SALU_CYCLE_1)
	s_and_not1_b32 vcc_lo, exec_lo, s0
	s_cbranch_vccnz .LBB168_1430
; %bb.1419:
	v_cmp_gt_i16_e32 vcc_lo, 6, v20
	s_cbranch_vccnz .LBB168_1422
; %bb.1420:
	v_cmp_lt_i16_e32 vcc_lo, 6, v20
	s_cbranch_vccz .LBB168_1423
; %bb.1421:
	global_load_b64 v[6:7], v[4:5], off
	s_mov_b32 s8, 0
	s_mov_b64 s[0:1], 0
	s_branch .LBB168_1424
.LBB168_1422:
	s_mov_b32 s8, -1
                                        ; implicit-def: $sgpr0_sgpr1
                                        ; implicit-def: $vgpr6_vgpr7
	s_branch .LBB168_1427
.LBB168_1423:
	s_mov_b32 s8, -1
                                        ; implicit-def: $sgpr0_sgpr1
                                        ; implicit-def: $vgpr6_vgpr7
.LBB168_1424:
	s_delay_alu instid0(SALU_CYCLE_1)
	s_and_not1_b32 vcc_lo, exec_lo, s8
	s_cbranch_vccnz .LBB168_1426
; %bb.1425:
	global_load_b32 v6, v[4:5], off
	s_mov_b64 s[0:1], 0
	s_waitcnt vmcnt(0)
	v_cvt_f64_f32_e32 v[6:7], v6
.LBB168_1426:
	s_mov_b32 s8, 0
.LBB168_1427:
	s_delay_alu instid0(SALU_CYCLE_1)
	s_and_not1_b32 vcc_lo, exec_lo, s8
	s_cbranch_vccnz .LBB168_1429
; %bb.1428:
	global_load_u16 v6, v[4:5], off
	s_mov_b64 s[0:1], 0
	s_waitcnt vmcnt(0)
	v_cvt_f32_f16_e32 v6, v6
	s_delay_alu instid0(VALU_DEP_1)
	v_cvt_f64_f32_e32 v[6:7], v6
.LBB168_1429:
	s_waitcnt vmcnt(0)
	v_dual_mov_b32 v9, s1 :: v_dual_mov_b32 v8, s0
.LBB168_1430:
	s_cbranch_execnz .LBB168_1401
.LBB168_1431:
	v_cmp_gt_i16_e32 vcc_lo, 2, v20
	s_cbranch_vccnz .LBB168_1435
; %bb.1432:
	v_cmp_gt_i16_e32 vcc_lo, 3, v20
	s_cbranch_vccnz .LBB168_1436
; %bb.1433:
	v_cmp_lt_i16_e32 vcc_lo, 3, v20
	s_cbranch_vccz .LBB168_1437
; %bb.1434:
	global_load_b64 v[6:7], v[4:5], off
	s_mov_b32 s8, 0
	s_mov_b64 s[0:1], 0
	s_waitcnt vmcnt(0)
	v_cvt_f64_i32_e32 v[7:8], v7
	v_cvt_f64_u32_e32 v[9:10], v6
	s_delay_alu instid0(VALU_DEP_2) | instskip(NEXT) | instid1(VALU_DEP_1)
	v_ldexp_f64 v[7:8], v[7:8], 32
	v_add_f64 v[6:7], v[7:8], v[9:10]
	s_branch .LBB168_1438
.LBB168_1435:
	s_mov_b32 s8, -1
                                        ; implicit-def: $sgpr0_sgpr1
                                        ; implicit-def: $vgpr6_vgpr7
	s_branch .LBB168_1444
.LBB168_1436:
	s_mov_b32 s8, -1
                                        ; implicit-def: $sgpr0_sgpr1
                                        ; implicit-def: $vgpr6_vgpr7
	s_branch .LBB168_1441
.LBB168_1437:
	s_mov_b32 s8, -1
                                        ; implicit-def: $sgpr0_sgpr1
                                        ; implicit-def: $vgpr6_vgpr7
.LBB168_1438:
	s_delay_alu instid0(SALU_CYCLE_1)
	s_and_not1_b32 vcc_lo, exec_lo, s8
	s_cbranch_vccnz .LBB168_1440
; %bb.1439:
	global_load_b32 v6, v[4:5], off
	s_mov_b64 s[0:1], 0
	s_waitcnt vmcnt(0)
	v_cvt_f64_i32_e32 v[6:7], v6
.LBB168_1440:
	s_mov_b32 s8, 0
.LBB168_1441:
	s_delay_alu instid0(SALU_CYCLE_1)
	s_and_not1_b32 vcc_lo, exec_lo, s8
	s_cbranch_vccnz .LBB168_1443
; %bb.1442:
	global_load_i16 v6, v[4:5], off
	s_mov_b64 s[0:1], 0
	s_waitcnt vmcnt(0)
	v_cvt_f64_i32_e32 v[6:7], v6
.LBB168_1443:
	s_mov_b32 s8, 0
.LBB168_1444:
	s_delay_alu instid0(SALU_CYCLE_1)
	s_and_not1_b32 vcc_lo, exec_lo, s8
	s_cbranch_vccnz .LBB168_1450
; %bb.1445:
	v_cmp_lt_i16_e32 vcc_lo, 0, v20
	s_mov_b32 s8, 0
	s_cbranch_vccz .LBB168_1447
; %bb.1446:
	global_load_i8 v6, v[4:5], off
	s_mov_b64 s[0:1], 0
	s_waitcnt vmcnt(0)
	v_cvt_f64_i32_e32 v[6:7], v6
	s_branch .LBB168_1448
.LBB168_1447:
	s_mov_b32 s8, -1
                                        ; implicit-def: $sgpr0_sgpr1
                                        ; implicit-def: $vgpr6_vgpr7
.LBB168_1448:
	s_delay_alu instid0(SALU_CYCLE_1)
	s_and_not1_b32 vcc_lo, exec_lo, s8
	s_cbranch_vccnz .LBB168_1450
; %bb.1449:
	global_load_u8 v4, v[4:5], off
	s_mov_b64 s[0:1], 0
	s_waitcnt vmcnt(0)
	v_cvt_f64_u32_e32 v[6:7], v4
.LBB168_1450:
	s_waitcnt vmcnt(0)
	v_dual_mov_b32 v9, s1 :: v_dual_mov_b32 v8, s0
	s_branch .LBB168_1526
.LBB168_1451:
	s_trap 2
	s_sendmsg_rtn_b32 s0, sendmsg(MSG_RTN_GET_DOORBELL)
	s_mov_b32 ttmp2, m0
	s_waitcnt lgkmcnt(0)
	s_and_b32 s0, s0, 0x3ff
	s_delay_alu instid0(SALU_CYCLE_1) | instskip(NEXT) | instid1(SALU_CYCLE_1)
	s_bitset1_b32 s0, 10
	s_mov_b32 m0, s0
	s_sendmsg sendmsg(MSG_INTERRUPT)
	s_mov_b32 m0, ttmp2
.LBB168_1452:                           ; =>This Inner Loop Header: Depth=1
	s_sethalt 5
	s_branch .LBB168_1452
.LBB168_1453:
	s_or_saveexec_b32 s15, s15
                                        ; implicit-def: $sgpr16
	s_delay_alu instid0(SALU_CYCLE_1)
	s_xor_b32 exec_lo, exec_lo, s15
	s_cbranch_execz .LBB168_1136
.LBB168_1454:
	v_add_f32_e64 v1, 0x42800000, |v0|
	s_and_not1_b32 s14, s14, exec_lo
	s_mov_b32 s16, 0
	s_delay_alu instid0(VALU_DEP_1) | instskip(NEXT) | instid1(VALU_DEP_1)
	v_and_b32_e32 v1, 0xff, v1
	v_cmp_ne_u32_e32 vcc_lo, 0, v1
	s_and_b32 s17, vcc_lo, exec_lo
	s_delay_alu instid0(SALU_CYCLE_1)
	s_or_b32 s14, s14, s17
	s_or_b32 exec_lo, exec_lo, s15
	v_mov_b32_e32 v2, s16
	s_and_saveexec_b32 s15, s14
	s_cbranch_execnz .LBB168_1137
	s_branch .LBB168_1138
.LBB168_1455:
	s_mov_b32 s13, -1
	s_mov_b32 s8, 0
.LBB168_1456:
                                        ; implicit-def: $vgpr8_vgpr9
.LBB168_1457:
	s_and_b32 vcc_lo, exec_lo, s0
	s_cbranch_vccz .LBB168_1462
; %bb.1458:
	v_cmp_eq_u16_e32 vcc_lo, 44, v20
	s_cbranch_vccz .LBB168_1460
; %bb.1459:
	global_load_u8 v8, v[4:5], off
	s_mov_b32 s13, 0
	s_mov_b32 s8, -1
	s_mov_b64 s[0:1], 0
	s_waitcnt vmcnt(0)
	v_cmp_ne_u32_e32 vcc_lo, 0xff, v8
	v_lshlrev_b32_e32 v6, 23, v8
	s_delay_alu instid0(VALU_DEP_1) | instskip(NEXT) | instid1(VALU_DEP_1)
	v_cvt_f64_f32_e32 v[6:7], v6
	v_cndmask_b32_e32 v7, 0x7ff80000, v7, vcc_lo
	s_delay_alu instid0(VALU_DEP_2) | instskip(SKIP_1) | instid1(VALU_DEP_3)
	v_cndmask_b32_e32 v6, 0x20000000, v6, vcc_lo
	v_cmp_ne_u32_e32 vcc_lo, 0, v8
	v_cndmask_b32_e32 v7, 0x38000000, v7, vcc_lo
	s_delay_alu instid0(VALU_DEP_3)
	v_cndmask_b32_e32 v6, 0, v6, vcc_lo
	s_branch .LBB168_1461
.LBB168_1460:
	s_mov_b32 s13, -1
                                        ; implicit-def: $sgpr0_sgpr1
                                        ; implicit-def: $vgpr6_vgpr7
.LBB168_1461:
	v_dual_mov_b32 v9, s1 :: v_dual_mov_b32 v8, s0
.LBB168_1462:
	s_mov_b32 s0, 0
.LBB168_1463:
	s_delay_alu instid0(SALU_CYCLE_1)
	s_and_b32 vcc_lo, exec_lo, s0
	s_cbranch_vccz .LBB168_1468
; %bb.1464:
	v_cmp_eq_u16_e32 vcc_lo, 29, v20
	s_cbranch_vccz .LBB168_1466
; %bb.1465:
	global_load_b64 v[6:7], v[4:5], off
	s_mov_b32 s13, 0
	s_mov_b32 s8, -1
	s_mov_b64 s[0:1], 0
	s_waitcnt vmcnt(0)
	v_cvt_f64_u32_e32 v[7:8], v7
	v_cvt_f64_u32_e32 v[9:10], v6
	s_delay_alu instid0(VALU_DEP_2) | instskip(NEXT) | instid1(VALU_DEP_1)
	v_ldexp_f64 v[7:8], v[7:8], 32
	v_add_f64 v[6:7], v[7:8], v[9:10]
	s_branch .LBB168_1467
.LBB168_1466:
	s_mov_b32 s13, -1
                                        ; implicit-def: $sgpr0_sgpr1
                                        ; implicit-def: $vgpr6_vgpr7
.LBB168_1467:
	v_dual_mov_b32 v9, s1 :: v_dual_mov_b32 v8, s0
.LBB168_1468:
	s_mov_b32 s0, 0
.LBB168_1469:
	s_delay_alu instid0(SALU_CYCLE_1)
	s_and_b32 vcc_lo, exec_lo, s0
	s_cbranch_vccz .LBB168_1489
; %bb.1470:
	v_cmp_gt_i16_e32 vcc_lo, 27, v20
	s_cbranch_vccnz .LBB168_1473
; %bb.1471:
	v_cmp_lt_i16_e32 vcc_lo, 27, v20
	s_cbranch_vccz .LBB168_1474
; %bb.1472:
	global_load_b32 v6, v[4:5], off
	s_mov_b32 s8, 0
	s_mov_b64 s[0:1], 0
	s_waitcnt vmcnt(0)
	v_cvt_f64_u32_e32 v[6:7], v6
	s_branch .LBB168_1475
.LBB168_1473:
	s_mov_b32 s8, -1
                                        ; implicit-def: $sgpr0_sgpr1
                                        ; implicit-def: $vgpr6_vgpr7
	s_branch .LBB168_1478
.LBB168_1474:
	s_mov_b32 s8, -1
                                        ; implicit-def: $sgpr0_sgpr1
                                        ; implicit-def: $vgpr6_vgpr7
.LBB168_1475:
	s_delay_alu instid0(SALU_CYCLE_1)
	s_and_not1_b32 vcc_lo, exec_lo, s8
	s_cbranch_vccnz .LBB168_1477
; %bb.1476:
	global_load_u16 v6, v[4:5], off
	s_mov_b64 s[0:1], 0
	s_waitcnt vmcnt(0)
	v_cvt_f64_u32_e32 v[6:7], v6
.LBB168_1477:
	s_mov_b32 s8, 0
.LBB168_1478:
	v_dual_mov_b32 v9, s1 :: v_dual_mov_b32 v8, s0
	s_and_not1_b32 vcc_lo, exec_lo, s8
	s_cbranch_vccnz .LBB168_1488
; %bb.1479:
	global_load_u8 v10, v[4:5], off
	s_mov_b32 s15, 0
	s_mov_b32 s16, exec_lo
                                        ; implicit-def: $sgpr0_sgpr1
                                        ; implicit-def: $sgpr8_sgpr9
	s_waitcnt vmcnt(0)
	v_cmpx_lt_i16_e32 0x7f, v10
	s_xor_b32 s16, exec_lo, s16
	s_cbranch_execz .LBB168_1483
; %bb.1480:
	s_mov_b32 s15, -1
	s_mov_b32 s17, exec_lo
                                        ; implicit-def: $sgpr0_sgpr1
                                        ; implicit-def: $sgpr8_sgpr9
	v_cmpx_eq_u16_e32 0x80, v10
; %bb.1481:
	s_mov_b64 s[0:1], 0
	s_mov_b32 s9, 0x7ff80000
	s_brev_b32 s8, 4
	s_xor_b32 s15, exec_lo, -1
; %bb.1482:
	s_or_b32 exec_lo, exec_lo, s17
	s_delay_alu instid0(SALU_CYCLE_1)
	s_and_b32 s15, s15, exec_lo
.LBB168_1483:
	s_or_saveexec_b32 s16, s16
	v_dual_mov_b32 v9, s1 :: v_dual_mov_b32 v8, s0
	v_dual_mov_b32 v6, s8 :: v_dual_mov_b32 v7, s9
	s_xor_b32 exec_lo, exec_lo, s16
; %bb.1484:
	v_mov_b32_e32 v8, 0
	v_mov_b32_e32 v9, 0
	v_cmp_ne_u16_e32 vcc_lo, 0, v10
	s_delay_alu instid0(VALU_DEP_3) | instskip(SKIP_1) | instid1(VALU_DEP_3)
	v_mov_b32_e32 v6, v8
	s_and_not1_b32 s0, s15, exec_lo
	v_mov_b32_e32 v7, v9
	s_and_b32 s1, vcc_lo, exec_lo
	s_delay_alu instid0(SALU_CYCLE_1)
	s_or_b32 s15, s0, s1
; %bb.1485:
	s_or_b32 exec_lo, exec_lo, s16
	s_and_saveexec_b32 s0, s15
	s_cbranch_execz .LBB168_1487
; %bb.1486:
	v_and_b32_e32 v6, 0xffff, v10
	v_lshlrev_b32_e32 v10, 24, v10
	s_delay_alu instid0(VALU_DEP_2) | instskip(NEXT) | instid1(VALU_DEP_1)
	v_and_b32_e32 v7, 7, v6
	v_clz_i32_u32_e32 v8, v7
	s_delay_alu instid0(VALU_DEP_1) | instskip(NEXT) | instid1(VALU_DEP_1)
	v_min_u32_e32 v8, 32, v8
	v_subrev_nc_u32_e32 v9, 28, v8
	v_sub_nc_u32_e32 v8, 29, v8
	s_delay_alu instid0(VALU_DEP_2) | instskip(SKIP_1) | instid1(VALU_DEP_2)
	v_lshlrev_b32_e32 v9, v9, v6
	v_bfe_u32 v6, v6, 3, 4
	v_and_b32_e32 v9, 7, v9
	s_delay_alu instid0(VALU_DEP_2) | instskip(NEXT) | instid1(VALU_DEP_2)
	v_cmp_eq_u32_e32 vcc_lo, 0, v6
	v_dual_cndmask_b32 v6, v6, v8 :: v_dual_cndmask_b32 v7, v7, v9
	v_and_b32_e32 v8, 0x80000000, v10
	s_delay_alu instid0(VALU_DEP_2) | instskip(NEXT) | instid1(VALU_DEP_3)
	v_lshl_add_u32 v6, v6, 23, 0x3b800000
	v_lshlrev_b32_e32 v7, 20, v7
	s_delay_alu instid0(VALU_DEP_1) | instskip(SKIP_2) | instid1(VALU_DEP_3)
	v_or3_b32 v6, v8, v6, v7
	v_mov_b32_e32 v8, 0
	v_mov_b32_e32 v9, 0
	v_cvt_f64_f32_e32 v[6:7], v6
.LBB168_1487:
	s_or_b32 exec_lo, exec_lo, s0
.LBB168_1488:
	s_mov_b32 s8, -1
.LBB168_1489:
	s_branch .LBB168_1521
.LBB168_1490:
	v_cmp_lt_i16_e32 vcc_lo, 22, v20
	s_cbranch_vccz .LBB168_1502
; %bb.1491:
	v_cmp_gt_i16_e32 vcc_lo, 24, v20
	s_cbranch_vccnz .LBB168_1503
; %bb.1492:
	v_cmp_lt_i16_e32 vcc_lo, 24, v20
	s_cbranch_vccz .LBB168_1504
; %bb.1493:
	global_load_u8 v10, v[4:5], off
	s_mov_b32 s15, exec_lo
                                        ; implicit-def: $sgpr0_sgpr1
                                        ; implicit-def: $sgpr8_sgpr9
	s_waitcnt vmcnt(0)
	v_cmpx_lt_i16_e32 0x7f, v10
	s_xor_b32 s15, exec_lo, s15
	s_cbranch_execz .LBB168_1497
; %bb.1494:
	s_mov_b32 s14, -1
	s_mov_b32 s16, exec_lo
                                        ; implicit-def: $sgpr0_sgpr1
                                        ; implicit-def: $sgpr8_sgpr9
	v_cmpx_eq_u16_e32 0x80, v10
; %bb.1495:
	s_mov_b64 s[0:1], 0
	s_mov_b32 s9, 0x7ff80000
	s_brev_b32 s8, 4
	s_xor_b32 s14, exec_lo, -1
; %bb.1496:
	s_or_b32 exec_lo, exec_lo, s16
	s_delay_alu instid0(SALU_CYCLE_1)
	s_and_b32 s14, s14, exec_lo
.LBB168_1497:
	s_or_saveexec_b32 s15, s15
	v_dual_mov_b32 v9, s1 :: v_dual_mov_b32 v8, s0
	v_dual_mov_b32 v6, s8 :: v_dual_mov_b32 v7, s9
	s_xor_b32 exec_lo, exec_lo, s15
; %bb.1498:
	v_mov_b32_e32 v8, 0
	v_mov_b32_e32 v9, 0
	v_cmp_ne_u16_e32 vcc_lo, 0, v10
	s_delay_alu instid0(VALU_DEP_3) | instskip(SKIP_1) | instid1(VALU_DEP_3)
	v_mov_b32_e32 v6, v8
	s_and_not1_b32 s0, s14, exec_lo
	v_mov_b32_e32 v7, v9
	s_and_b32 s1, vcc_lo, exec_lo
	s_delay_alu instid0(SALU_CYCLE_1)
	s_or_b32 s14, s0, s1
; %bb.1499:
	s_or_b32 exec_lo, exec_lo, s15
	s_and_saveexec_b32 s0, s14
	s_cbranch_execz .LBB168_1501
; %bb.1500:
	v_and_b32_e32 v6, 0xffff, v10
	v_lshlrev_b32_e32 v10, 24, v10
	s_delay_alu instid0(VALU_DEP_2) | instskip(NEXT) | instid1(VALU_DEP_1)
	v_and_b32_e32 v7, 3, v6
	v_clz_i32_u32_e32 v8, v7
	s_delay_alu instid0(VALU_DEP_1) | instskip(NEXT) | instid1(VALU_DEP_1)
	v_min_u32_e32 v8, 32, v8
	v_subrev_nc_u32_e32 v9, 29, v8
	v_sub_nc_u32_e32 v8, 30, v8
	s_delay_alu instid0(VALU_DEP_2) | instskip(SKIP_1) | instid1(VALU_DEP_2)
	v_lshlrev_b32_e32 v9, v9, v6
	v_bfe_u32 v6, v6, 2, 5
	v_and_b32_e32 v9, 3, v9
	s_delay_alu instid0(VALU_DEP_2) | instskip(NEXT) | instid1(VALU_DEP_2)
	v_cmp_eq_u32_e32 vcc_lo, 0, v6
	v_dual_cndmask_b32 v6, v6, v8 :: v_dual_cndmask_b32 v7, v7, v9
	v_and_b32_e32 v8, 0x80000000, v10
	s_delay_alu instid0(VALU_DEP_2) | instskip(NEXT) | instid1(VALU_DEP_3)
	v_lshl_add_u32 v6, v6, 23, 0x37800000
	v_lshlrev_b32_e32 v7, 21, v7
	s_delay_alu instid0(VALU_DEP_1) | instskip(SKIP_2) | instid1(VALU_DEP_3)
	v_or3_b32 v6, v8, v6, v7
	v_mov_b32_e32 v8, 0
	v_mov_b32_e32 v9, 0
	v_cvt_f64_f32_e32 v[6:7], v6
.LBB168_1501:
	s_or_b32 exec_lo, exec_lo, s0
	s_mov_b32 s0, 0
	s_branch .LBB168_1505
.LBB168_1502:
	s_mov_b32 s0, -1
                                        ; implicit-def: $vgpr8_vgpr9
	s_branch .LBB168_1511
.LBB168_1503:
	s_mov_b32 s0, -1
                                        ; implicit-def: $vgpr8_vgpr9
	s_branch .LBB168_1508
.LBB168_1504:
	s_mov_b32 s0, -1
                                        ; implicit-def: $vgpr8_vgpr9
.LBB168_1505:
	s_delay_alu instid0(SALU_CYCLE_1)
	s_and_b32 vcc_lo, exec_lo, s0
	s_cbranch_vccz .LBB168_1507
; %bb.1506:
	global_load_u8 v6, v[4:5], off
	s_waitcnt vmcnt(0)
	v_lshlrev_b32_e32 v6, 24, v6
	s_delay_alu instid0(VALU_DEP_1) | instskip(NEXT) | instid1(VALU_DEP_1)
	v_and_b32_e32 v7, 0x7f000000, v6
	v_clz_i32_u32_e32 v8, v7
	v_add_nc_u32_e32 v10, 0x1000000, v7
	v_cmp_ne_u32_e32 vcc_lo, 0, v7
	s_delay_alu instid0(VALU_DEP_3) | instskip(NEXT) | instid1(VALU_DEP_1)
	v_min_u32_e32 v8, 32, v8
	v_sub_nc_u32_e64 v8, v8, 4 clamp
	s_delay_alu instid0(VALU_DEP_1) | instskip(SKIP_1) | instid1(VALU_DEP_2)
	v_lshlrev_b32_e32 v9, v8, v7
	v_lshlrev_b32_e32 v8, 23, v8
	v_lshrrev_b32_e32 v9, 4, v9
	s_delay_alu instid0(VALU_DEP_1) | instskip(SKIP_1) | instid1(VALU_DEP_2)
	v_sub_nc_u32_e32 v8, v9, v8
	v_ashrrev_i32_e32 v9, 8, v10
	v_add_nc_u32_e32 v8, 0x3c000000, v8
	s_delay_alu instid0(VALU_DEP_1) | instskip(NEXT) | instid1(VALU_DEP_1)
	v_and_or_b32 v8, 0x7f800000, v9, v8
	v_dual_cndmask_b32 v7, 0, v8 :: v_dual_mov_b32 v8, 0
	v_mov_b32_e32 v9, 0
	s_delay_alu instid0(VALU_DEP_2) | instskip(NEXT) | instid1(VALU_DEP_1)
	v_and_or_b32 v6, 0x80000000, v6, v7
	v_cvt_f64_f32_e32 v[6:7], v6
.LBB168_1507:
	s_mov_b32 s0, 0
.LBB168_1508:
	s_delay_alu instid0(SALU_CYCLE_1)
	s_and_not1_b32 vcc_lo, exec_lo, s0
	s_cbranch_vccnz .LBB168_1510
; %bb.1509:
	global_load_u8 v6, v[4:5], off
	s_waitcnt vmcnt(0)
	v_lshlrev_b32_e32 v7, 25, v6
	v_lshlrev_b16 v6, 8, v6
	s_delay_alu instid0(VALU_DEP_2) | instskip(NEXT) | instid1(VALU_DEP_2)
	v_lshrrev_b32_e32 v8, 4, v7
	v_and_or_b32 v9, 0x7f00, v6, 0.5
	v_bfe_i32 v6, v6, 0, 16
	s_delay_alu instid0(VALU_DEP_3) | instskip(NEXT) | instid1(VALU_DEP_1)
	v_or_b32_e32 v8, 0x70000000, v8
	v_dual_add_f32 v9, -0.5, v9 :: v_dual_mul_f32 v8, 0x7800000, v8
	v_cmp_gt_u32_e32 vcc_lo, 0x8000000, v7
	s_delay_alu instid0(VALU_DEP_2) | instskip(SKIP_1) | instid1(VALU_DEP_2)
	v_dual_cndmask_b32 v7, v8, v9 :: v_dual_mov_b32 v8, 0
	v_mov_b32_e32 v9, 0
	v_and_or_b32 v6, 0x80000000, v6, v7
	s_delay_alu instid0(VALU_DEP_1)
	v_cvt_f64_f32_e32 v[6:7], v6
.LBB168_1510:
	s_mov_b32 s0, 0
	s_mov_b32 s8, -1
.LBB168_1511:
	s_and_not1_b32 vcc_lo, exec_lo, s0
	s_mov_b32 s14, 0
	s_cbranch_vccnz .LBB168_1521
; %bb.1512:
	v_cmp_lt_i16_e32 vcc_lo, 14, v20
	s_cbranch_vccz .LBB168_1515
; %bb.1513:
	v_cmp_eq_u16_e32 vcc_lo, 15, v20
	s_cbranch_vccz .LBB168_1516
; %bb.1514:
	global_load_u16 v6, v[4:5], off
	s_mov_b32 s13, 0
	s_mov_b32 s8, -1
	s_mov_b64 s[0:1], 0
	s_waitcnt vmcnt(0)
	v_lshlrev_b32_e32 v6, 16, v6
	s_delay_alu instid0(VALU_DEP_1)
	v_cvt_f64_f32_e32 v[6:7], v6
	s_branch .LBB168_1517
.LBB168_1515:
	s_mov_b32 s9, -1
                                        ; implicit-def: $sgpr0_sgpr1
                                        ; implicit-def: $vgpr6_vgpr7
	s_branch .LBB168_1518
.LBB168_1516:
	s_mov_b32 s13, -1
                                        ; implicit-def: $sgpr0_sgpr1
                                        ; implicit-def: $vgpr6_vgpr7
.LBB168_1517:
	s_mov_b32 s9, 0
.LBB168_1518:
	s_delay_alu instid0(SALU_CYCLE_1)
	s_and_b32 vcc_lo, exec_lo, s9
	s_cbranch_vccz .LBB168_1520
; %bb.1519:
	v_cmp_ne_u16_e64 s13, 11, v20
	s_mov_b32 s14, -1
                                        ; implicit-def: $sgpr0_sgpr1
                                        ; implicit-def: $vgpr6_vgpr7
.LBB168_1520:
	v_dual_mov_b32 v9, s1 :: v_dual_mov_b32 v8, s0
.LBB168_1521:
	s_delay_alu instid0(VALU_DEP_2)
	s_and_b32 vcc_lo, exec_lo, s13
	s_cbranch_vccnz .LBB168_1585
; %bb.1522:
	s_and_not1_b32 vcc_lo, exec_lo, s14
	s_cbranch_vccnz .LBB168_1524
.LBB168_1523:
	global_load_u8 v6, v[4:5], off
	v_mov_b32_e32 v8, 0
	v_mov_b32_e32 v9, 0
	s_mov_b32 s8, -1
	s_waitcnt vmcnt(0)
	v_cmp_ne_u16_e32 vcc_lo, 0, v6
	v_mov_b32_e32 v6, 0
	v_cndmask_b32_e64 v7, 0, 0x3ff00000, vcc_lo
.LBB168_1524:
.LBB168_1525:
	s_and_not1_b32 vcc_lo, exec_lo, s8
	s_cbranch_vccnz .LBB168_1899
.LBB168_1526:
	s_waitcnt vmcnt(0)
	s_delay_alu instid0(VALU_DEP_1) | instskip(NEXT) | instid1(VALU_DEP_2)
	v_cmp_neq_f64_e32 vcc_lo, 0, v[6:7]
	v_cmp_neq_f64_e64 s0, 0, v[8:9]
	v_mov_b32_e32 v10, 0
	v_mov_b32_e32 v11, 0
	s_delay_alu instid0(VALU_DEP_3) | instskip(NEXT) | instid1(SALU_CYCLE_1)
	s_or_b32 s0, vcc_lo, s0
	s_and_saveexec_b32 s8, s0
	s_cbranch_execz .LBB168_1558
; %bb.1527:
	s_mov_b32 s0, 0
	s_mov_b32 s1, 0x7ff00000
	v_mov_b32_e32 v10, s0
	v_mov_b32_e32 v11, s1
	s_mov_b32 s9, exec_lo
	v_cmpx_neq_f64_e64 0x7ff00000, |v[8:9]|
	s_cbranch_execz .LBB168_1557
; %bb.1528:
	s_mov_b32 s0, exec_lo
	v_cmpx_o_f64_e32 v[6:7], v[6:7]
	s_xor_b32 s13, exec_lo, s0
	s_cbranch_execz .LBB168_1554
; %bb.1529:
	s_mov_b32 s1, exec_lo
	v_cmpx_neq_f64_e64 0x7ff00000, |v[6:7]|
	s_xor_b32 s14, exec_lo, s1
	s_cbranch_execz .LBB168_1547
; %bb.1530:
	v_max_f64 v[4:5], |v[8:9]|, |v[8:9]|
	v_max_f64 v[10:11], |v[6:7]|, |v[6:7]|
	s_mov_b32 s0, 0x99fcef32
	s_mov_b32 s1, 0x7fda8279
                                        ; implicit-def: $sgpr15
	s_delay_alu instid0(VALU_DEP_1) | instskip(NEXT) | instid1(VALU_DEP_1)
	v_max_f64 v[4:5], v[10:11], v[4:5]
	v_cmp_nle_f64_e64 s0, s[0:1], v[4:5]
	s_delay_alu instid0(VALU_DEP_1) | instskip(NEXT) | instid1(SALU_CYCLE_1)
	s_and_saveexec_b32 s1, s0
	s_xor_b32 s1, exec_lo, s1
	s_cbranch_execz .LBB168_1534
; %bb.1531:
	v_cmp_ge_f64_e64 s15, 0x200000, |v[6:7]|
	v_cmp_ge_f64_e64 s16, 0x200000, |v[8:9]|
	s_delay_alu instid0(VALU_DEP_1)
	s_and_b32 s17, s15, s16
	s_mov_b32 s15, 0
	s_and_saveexec_b32 s16, s17
; %bb.1532:
	v_mul_f64 v[6:7], v[6:7], 4.0
	v_mul_f64 v[8:9], v[8:9], 4.0
	s_mov_b32 s15, exec_lo
; %bb.1533:
	s_or_b32 exec_lo, exec_lo, s16
	s_delay_alu instid0(SALU_CYCLE_1)
	s_and_b32 s15, s15, exec_lo
.LBB168_1534:
	s_and_not1_saveexec_b32 s1, s1
; %bb.1535:
	s_delay_alu instid0(VALU_DEP_2) | instskip(NEXT) | instid1(VALU_DEP_2)
	v_ldexp_f64 v[6:7], v[6:7], -2
	v_ldexp_f64 v[8:9], v[8:9], -2
	s_and_not1_b32 s15, s15, exec_lo
; %bb.1536:
	s_or_b32 exec_lo, exec_lo, s1
	s_delay_alu instid0(VALU_DEP_1) | instskip(NEXT) | instid1(VALU_DEP_3)
	v_max_f64 v[4:5], |v[8:9]|, |v[8:9]|
	v_max_f64 v[10:11], |v[6:7]|, |v[6:7]|
	v_cmp_class_f64_e64 s16, v[6:7], 0x204
	v_cmp_class_f64_e64 s17, v[8:9], 0x204
	v_cmp_le_f64_e64 s1, 0, v[6:7]
	s_delay_alu instid0(VALU_DEP_4) | instskip(NEXT) | instid1(VALU_DEP_3)
	v_max_f64 v[4:5], v[10:11], v[4:5]
	s_or_b32 s16, s17, s16
	s_delay_alu instid0(VALU_DEP_1) | instskip(NEXT) | instid1(VALU_DEP_1)
	v_frexp_exp_i32_f64_e32 v17, v[4:5]
	v_sub_nc_u32_e32 v10, 0, v17
	s_delay_alu instid0(VALU_DEP_1) | instskip(SKIP_1) | instid1(VALU_DEP_2)
	v_ldexp_f64 v[4:5], |v[8:9]|, v10
	v_ldexp_f64 v[10:11], |v[6:7]|, v10
	v_mul_f64 v[4:5], v[4:5], v[4:5]
	s_delay_alu instid0(VALU_DEP_1) | instskip(NEXT) | instid1(VALU_DEP_1)
	v_fma_f64 v[4:5], v[10:11], v[10:11], v[4:5]
	v_rsq_f64_e32 v[10:11], v[4:5]
	v_cmp_eq_f64_e32 vcc_lo, 0, v[4:5]
	s_waitcnt_depctr 0xfff
	v_mul_f64 v[12:13], v[4:5], v[10:11]
	v_mul_f64 v[10:11], v[10:11], 0.5
	s_delay_alu instid0(VALU_DEP_1) | instskip(NEXT) | instid1(VALU_DEP_1)
	v_fma_f64 v[14:15], -v[10:11], v[12:13], 0.5
	v_fma_f64 v[12:13], v[12:13], v[14:15], v[12:13]
	v_fma_f64 v[10:11], v[10:11], v[14:15], v[10:11]
	s_delay_alu instid0(VALU_DEP_2) | instskip(NEXT) | instid1(VALU_DEP_1)
	v_fma_f64 v[14:15], -v[12:13], v[12:13], v[4:5]
	v_fma_f64 v[10:11], v[14:15], v[10:11], v[12:13]
	s_delay_alu instid0(VALU_DEP_1) | instskip(SKIP_1) | instid1(VALU_DEP_2)
	v_dual_cndmask_b32 v5, v11, v5 :: v_dual_cndmask_b32 v4, v10, v4
	v_cmp_o_f64_e32 vcc_lo, v[8:9], v[8:9]
	v_ldexp_f64 v[4:5], v[4:5], v17
	s_delay_alu instid0(VALU_DEP_1) | instskip(NEXT) | instid1(VALU_DEP_2)
	v_cndmask_b32_e32 v4, 0, v4, vcc_lo
	v_cndmask_b32_e32 v5, 0x7ff80000, v5, vcc_lo
	s_delay_alu instid0(VALU_DEP_2) | instskip(NEXT) | instid1(VALU_DEP_2)
	v_cndmask_b32_e64 v4, v4, 0, s16
	v_cndmask_b32_e64 v5, v5, 0x7ff00000, s16
	s_and_saveexec_b32 s16, s1
	s_delay_alu instid0(SALU_CYCLE_1)
	s_xor_b32 s1, exec_lo, s16
	s_cbranch_execz .LBB168_1542
; %bb.1537:
	s_delay_alu instid0(VALU_DEP_1) | instskip(NEXT) | instid1(VALU_DEP_1)
	v_add_f64 v[4:5], v[6:7], v[4:5]
	v_mul_f64 v[4:5], v[4:5], 0.5
	s_delay_alu instid0(VALU_DEP_1) | instskip(SKIP_1) | instid1(VALU_DEP_1)
	v_cmp_gt_f64_e32 vcc_lo, 0x10000000, v[4:5]
	v_cndmask_b32_e64 v6, 0, 1, vcc_lo
	v_lshlrev_b32_e32 v6, 8, v6
	s_delay_alu instid0(VALU_DEP_1) | instskip(NEXT) | instid1(VALU_DEP_1)
	v_ldexp_f64 v[4:5], v[4:5], v6
	v_rsq_f64_e32 v[6:7], v[4:5]
	s_waitcnt_depctr 0xfff
	v_mul_f64 v[10:11], v[4:5], v[6:7]
	v_mul_f64 v[6:7], v[6:7], 0.5
	s_delay_alu instid0(VALU_DEP_1) | instskip(NEXT) | instid1(VALU_DEP_1)
	v_fma_f64 v[12:13], -v[6:7], v[10:11], 0.5
	v_fma_f64 v[10:11], v[10:11], v[12:13], v[10:11]
	v_fma_f64 v[6:7], v[6:7], v[12:13], v[6:7]
	s_delay_alu instid0(VALU_DEP_2) | instskip(NEXT) | instid1(VALU_DEP_1)
	v_fma_f64 v[12:13], -v[10:11], v[10:11], v[4:5]
	v_fma_f64 v[10:11], v[12:13], v[6:7], v[10:11]
	s_delay_alu instid0(VALU_DEP_1) | instskip(NEXT) | instid1(VALU_DEP_1)
	v_fma_f64 v[12:13], -v[10:11], v[10:11], v[4:5]
	v_fma_f64 v[6:7], v[12:13], v[6:7], v[10:11]
	v_cndmask_b32_e64 v10, 0, 0xffffff80, vcc_lo
	v_cmp_class_f64_e64 vcc_lo, v[4:5], 0x260
	s_delay_alu instid0(VALU_DEP_2) | instskip(NEXT) | instid1(VALU_DEP_1)
	v_ldexp_f64 v[6:7], v[6:7], v10
	v_dual_cndmask_b32 v7, v7, v5 :: v_dual_cndmask_b32 v6, v6, v4
	s_delay_alu instid0(VALU_DEP_1) | instskip(NEXT) | instid1(VALU_DEP_1)
	v_add_f64 v[4:5], v[6:7], v[6:7]
	v_div_scale_f64 v[10:11], null, v[4:5], v[4:5], v[8:9]
	s_delay_alu instid0(VALU_DEP_1) | instskip(SKIP_2) | instid1(VALU_DEP_1)
	v_rcp_f64_e32 v[12:13], v[10:11]
	s_waitcnt_depctr 0xfff
	v_fma_f64 v[14:15], -v[10:11], v[12:13], 1.0
	v_fma_f64 v[12:13], v[12:13], v[14:15], v[12:13]
	s_delay_alu instid0(VALU_DEP_1) | instskip(NEXT) | instid1(VALU_DEP_1)
	v_fma_f64 v[14:15], -v[10:11], v[12:13], 1.0
	v_fma_f64 v[12:13], v[12:13], v[14:15], v[12:13]
	v_div_scale_f64 v[14:15], vcc_lo, v[8:9], v[4:5], v[8:9]
	s_delay_alu instid0(VALU_DEP_1) | instskip(NEXT) | instid1(VALU_DEP_1)
	v_mul_f64 v[17:18], v[14:15], v[12:13]
	v_fma_f64 v[10:11], -v[10:11], v[17:18], v[14:15]
	s_delay_alu instid0(VALU_DEP_1) | instskip(NEXT) | instid1(VALU_DEP_1)
	v_div_fmas_f64 v[10:11], v[10:11], v[12:13], v[17:18]
	v_div_fixup_f64 v[8:9], v[10:11], v[4:5], v[8:9]
                                        ; implicit-def: $vgpr4_vgpr5
	s_and_not1_saveexec_b32 s1, s1
	s_cbranch_execnz .LBB168_1543
.LBB168_1538:
	s_or_b32 exec_lo, exec_lo, s1
	s_and_saveexec_b32 s1, s0
	s_delay_alu instid0(SALU_CYCLE_1)
	s_xor_b32 s0, exec_lo, s1
	s_cbranch_execz .LBB168_1544
.LBB168_1539:
	s_and_saveexec_b32 s1, s15
; %bb.1540:
	s_delay_alu instid0(VALU_DEP_2) | instskip(NEXT) | instid1(VALU_DEP_2)
	v_mul_f64 v[6:7], v[6:7], 0.5
	v_mul_f64 v[8:9], v[8:9], 0.5
; %bb.1541:
	s_or_b32 exec_lo, exec_lo, s1
	s_and_not1_saveexec_b32 s0, s0
	s_cbranch_execnz .LBB168_1545
	s_branch .LBB168_1546
.LBB168_1542:
	s_and_not1_saveexec_b32 s1, s1
	s_cbranch_execz .LBB168_1538
.LBB168_1543:
	v_add_f64 v[4:5], v[4:5], -v[6:7]
	s_delay_alu instid0(VALU_DEP_1) | instskip(NEXT) | instid1(VALU_DEP_1)
	v_mul_f64 v[4:5], v[4:5], 0.5
	v_cmp_gt_f64_e32 vcc_lo, 0x10000000, v[4:5]
	v_cndmask_b32_e64 v6, 0, 1, vcc_lo
	s_delay_alu instid0(VALU_DEP_1) | instskip(NEXT) | instid1(VALU_DEP_1)
	v_lshlrev_b32_e32 v6, 8, v6
	v_ldexp_f64 v[4:5], v[4:5], v6
	s_delay_alu instid0(VALU_DEP_1) | instskip(SKIP_3) | instid1(VALU_DEP_1)
	v_rsq_f64_e32 v[6:7], v[4:5]
	s_waitcnt_depctr 0xfff
	v_mul_f64 v[10:11], v[4:5], v[6:7]
	v_mul_f64 v[6:7], v[6:7], 0.5
	v_fma_f64 v[12:13], -v[6:7], v[10:11], 0.5
	s_delay_alu instid0(VALU_DEP_1) | instskip(SKIP_1) | instid1(VALU_DEP_2)
	v_fma_f64 v[10:11], v[10:11], v[12:13], v[10:11]
	v_fma_f64 v[6:7], v[6:7], v[12:13], v[6:7]
	v_fma_f64 v[12:13], -v[10:11], v[10:11], v[4:5]
	s_delay_alu instid0(VALU_DEP_1) | instskip(NEXT) | instid1(VALU_DEP_1)
	v_fma_f64 v[10:11], v[12:13], v[6:7], v[10:11]
	v_fma_f64 v[12:13], -v[10:11], v[10:11], v[4:5]
	s_delay_alu instid0(VALU_DEP_1) | instskip(SKIP_3) | instid1(VALU_DEP_3)
	v_fma_f64 v[6:7], v[12:13], v[6:7], v[10:11]
	v_cndmask_b32_e64 v10, 0, 0xffffff80, vcc_lo
	v_cmp_class_f64_e64 vcc_lo, v[4:5], 0x260
	v_and_b32_e32 v11, 0x7fffffff, v9
	v_ldexp_f64 v[6:7], v[6:7], v10
	s_delay_alu instid0(VALU_DEP_1) | instskip(NEXT) | instid1(VALU_DEP_1)
	v_dual_cndmask_b32 v5, v7, v5 :: v_dual_cndmask_b32 v4, v6, v4
	v_add_f64 v[6:7], v[4:5], v[4:5]
	v_bfi_b32 v5, 0x7fffffff, v5, v9
	v_mov_b32_e32 v10, v8
	s_delay_alu instid0(VALU_DEP_1) | instskip(SKIP_1) | instid1(VALU_DEP_2)
	v_div_scale_f64 v[12:13], null, v[6:7], v[6:7], v[10:11]
	v_div_scale_f64 v[10:11], vcc_lo, v[10:11], v[6:7], v[10:11]
	v_rcp_f64_e32 v[14:15], v[12:13]
	s_waitcnt_depctr 0xfff
	v_fma_f64 v[17:18], -v[12:13], v[14:15], 1.0
	s_delay_alu instid0(VALU_DEP_1) | instskip(NEXT) | instid1(VALU_DEP_1)
	v_fma_f64 v[14:15], v[14:15], v[17:18], v[14:15]
	v_fma_f64 v[17:18], -v[12:13], v[14:15], 1.0
	s_delay_alu instid0(VALU_DEP_1) | instskip(NEXT) | instid1(VALU_DEP_1)
	v_fma_f64 v[14:15], v[14:15], v[17:18], v[14:15]
	v_mul_f64 v[17:18], v[10:11], v[14:15]
	s_delay_alu instid0(VALU_DEP_1) | instskip(NEXT) | instid1(VALU_DEP_1)
	v_fma_f64 v[10:11], -v[12:13], v[17:18], v[10:11]
	v_div_fmas_f64 v[10:11], v[10:11], v[14:15], v[17:18]
	s_delay_alu instid0(VALU_DEP_1) | instskip(SKIP_3) | instid1(SALU_CYCLE_1)
	v_div_fixup_f64 v[6:7], v[10:11], v[6:7], |v[8:9]|
	v_dual_mov_b32 v9, v5 :: v_dual_mov_b32 v8, v4
	s_or_b32 exec_lo, exec_lo, s1
	s_and_saveexec_b32 s1, s0
	s_xor_b32 s0, exec_lo, s1
	s_cbranch_execnz .LBB168_1539
.LBB168_1544:
	s_and_not1_saveexec_b32 s0, s0
.LBB168_1545:
	s_delay_alu instid0(VALU_DEP_2) | instskip(NEXT) | instid1(VALU_DEP_2)
	v_add_f64 v[6:7], v[6:7], v[6:7]
	v_add_f64 v[8:9], v[8:9], v[8:9]
.LBB168_1546:
	s_or_b32 exec_lo, exec_lo, s0
.LBB168_1547:
	s_and_not1_saveexec_b32 s0, s14
	s_cbranch_execz .LBB168_1553
; %bb.1548:
	s_delay_alu instid0(VALU_DEP_1) | instskip(SKIP_1) | instid1(VALU_DEP_3)
	v_add_f64 v[4:5], v[8:9], -v[8:9]
	s_mov_b32 s1, exec_lo
	v_cmpx_lt_i64_e32 -1, v[6:7]
	s_xor_b32 s1, exec_lo, s1
; %bb.1549:
	s_delay_alu instid0(VALU_DEP_2) | instskip(NEXT) | instid1(VALU_DEP_1)
	v_bfi_b32 v5, 0x7fffffff, v5, v9
	v_dual_mov_b32 v9, v5 :: v_dual_mov_b32 v8, v4
                                        ; implicit-def: $vgpr4_vgpr5
; %bb.1550:
	s_and_not1_saveexec_b32 s1, s1
; %bb.1551:
	s_delay_alu instid0(VALU_DEP_1) | instskip(SKIP_1) | instid1(VALU_DEP_2)
	v_bfi_b32 v7, 0x7fffffff, v7, v9
	v_and_b32_e32 v5, 0x7fffffff, v5
	v_dual_mov_b32 v9, v7 :: v_dual_mov_b32 v8, v6
	s_delay_alu instid0(VALU_DEP_2)
	v_dual_mov_b32 v7, v5 :: v_dual_mov_b32 v6, v4
; %bb.1552:
	s_or_b32 exec_lo, exec_lo, s1
.LBB168_1553:
	s_delay_alu instid0(SALU_CYCLE_1)
	s_or_b32 exec_lo, exec_lo, s0
.LBB168_1554:
	s_and_not1_saveexec_b32 s0, s13
; %bb.1555:
	s_delay_alu instid0(VALU_DEP_1) | instskip(NEXT) | instid1(VALU_DEP_1)
	v_add_f64 v[4:5], v[8:9], -v[8:9]
	v_div_scale_f64 v[8:9], vcc_lo, v[4:5], v[4:5], v[4:5]
	s_delay_alu instid0(VALU_DEP_1) | instskip(SKIP_2) | instid1(VALU_DEP_1)
	v_rcp_f64_e32 v[10:11], v[8:9]
	s_waitcnt_depctr 0xfff
	v_fma_f64 v[12:13], -v[8:9], v[10:11], 1.0
	v_fma_f64 v[10:11], v[10:11], v[12:13], v[10:11]
	s_delay_alu instid0(VALU_DEP_1) | instskip(NEXT) | instid1(VALU_DEP_1)
	v_fma_f64 v[12:13], -v[8:9], v[10:11], 1.0
	v_fma_f64 v[10:11], v[10:11], v[12:13], v[10:11]
	s_delay_alu instid0(VALU_DEP_1) | instskip(NEXT) | instid1(VALU_DEP_1)
	v_mul_f64 v[12:13], v[8:9], v[10:11]
	v_fma_f64 v[8:9], -v[8:9], v[12:13], v[8:9]
	s_delay_alu instid0(VALU_DEP_1) | instskip(NEXT) | instid1(VALU_DEP_1)
	v_div_fmas_f64 v[8:9], v[8:9], v[10:11], v[12:13]
	v_div_fixup_f64 v[8:9], v[8:9], v[4:5], v[4:5]
; %bb.1556:
	s_or_b32 exec_lo, exec_lo, s0
	v_dual_mov_b32 v11, v7 :: v_dual_mov_b32 v10, v6
.LBB168_1557:
	s_or_b32 exec_lo, exec_lo, s9
.LBB168_1558:
	s_delay_alu instid0(SALU_CYCLE_1) | instskip(NEXT) | instid1(VALU_DEP_1)
	s_or_b32 exec_lo, exec_lo, s8
	v_cmp_gt_f64_e32 vcc_lo, 0, v[10:11]
	s_delay_alu instid0(VALU_DEP_3) | instskip(SKIP_2) | instid1(VALU_DEP_2)
	v_cmp_gt_f64_e64 s0, 0, v[8:9]
	v_xor_b32_e32 v4, 0x80000000, v11
	v_xor_b32_e32 v5, 0x80000000, v9
                                        ; implicit-def: $vgpr6_vgpr7
	v_dual_cndmask_b32 v13, v11, v4 :: v_dual_cndmask_b32 v12, v10, v10
	s_delay_alu instid0(VALU_DEP_2) | instskip(SKIP_2) | instid1(VALU_DEP_1)
	v_cndmask_b32_e64 v15, v9, v5, s0
	v_cndmask_b32_e64 v14, v8, v8, s0
	s_mov_b32 s0, exec_lo
	v_cmpx_ge_f64_e32 v[12:13], v[14:15]
	s_xor_b32 s1, exec_lo, s0
	s_cbranch_execz .LBB168_1564
; %bb.1559:
	v_cmp_neq_f64_e32 vcc_lo, 0, v[10:11]
	v_cmp_neq_f64_e64 s0, 0, v[8:9]
                                        ; implicit-def: $vgpr6_vgpr7
	s_delay_alu instid0(VALU_DEP_1) | instskip(NEXT) | instid1(SALU_CYCLE_1)
	s_or_b32 s0, vcc_lo, s0
	s_and_saveexec_b32 s8, s0
	s_delay_alu instid0(SALU_CYCLE_1)
	s_xor_b32 s0, exec_lo, s8
	s_cbranch_execz .LBB168_1561
; %bb.1560:
	v_div_scale_f64 v[4:5], null, v[10:11], v[10:11], v[8:9]
	v_div_scale_f64 v[14:15], vcc_lo, v[8:9], v[10:11], v[8:9]
	s_delay_alu instid0(VALU_DEP_2) | instskip(SKIP_2) | instid1(VALU_DEP_1)
	v_rcp_f64_e32 v[6:7], v[4:5]
	s_waitcnt_depctr 0xfff
	v_fma_f64 v[12:13], -v[4:5], v[6:7], 1.0
	v_fma_f64 v[6:7], v[6:7], v[12:13], v[6:7]
	s_delay_alu instid0(VALU_DEP_1) | instskip(NEXT) | instid1(VALU_DEP_1)
	v_fma_f64 v[12:13], -v[4:5], v[6:7], 1.0
	v_fma_f64 v[6:7], v[6:7], v[12:13], v[6:7]
	s_delay_alu instid0(VALU_DEP_1) | instskip(NEXT) | instid1(VALU_DEP_1)
	v_mul_f64 v[12:13], v[14:15], v[6:7]
	v_fma_f64 v[4:5], -v[4:5], v[12:13], v[14:15]
	s_delay_alu instid0(VALU_DEP_1) | instskip(NEXT) | instid1(VALU_DEP_1)
	v_div_fmas_f64 v[4:5], v[4:5], v[6:7], v[12:13]
	v_div_fixup_f64 v[4:5], v[4:5], v[10:11], v[8:9]
	s_delay_alu instid0(VALU_DEP_1) | instskip(NEXT) | instid1(VALU_DEP_1)
	v_fma_f64 v[6:7], v[8:9], v[4:5], v[10:11]
	v_div_scale_f64 v[8:9], null, v[6:7], v[6:7], 1.0
	v_div_scale_f64 v[14:15], vcc_lo, 1.0, v[6:7], 1.0
	s_delay_alu instid0(VALU_DEP_2) | instskip(SKIP_2) | instid1(VALU_DEP_1)
	v_rcp_f64_e32 v[10:11], v[8:9]
	s_waitcnt_depctr 0xfff
	v_fma_f64 v[12:13], -v[8:9], v[10:11], 1.0
	v_fma_f64 v[10:11], v[10:11], v[12:13], v[10:11]
	s_delay_alu instid0(VALU_DEP_1) | instskip(NEXT) | instid1(VALU_DEP_1)
	v_fma_f64 v[12:13], -v[8:9], v[10:11], 1.0
	v_fma_f64 v[10:11], v[10:11], v[12:13], v[10:11]
	s_delay_alu instid0(VALU_DEP_1) | instskip(NEXT) | instid1(VALU_DEP_1)
	v_mul_f64 v[12:13], v[14:15], v[10:11]
	v_fma_f64 v[8:9], -v[8:9], v[12:13], v[14:15]
                                        ; implicit-def: $vgpr14_vgpr15
	s_delay_alu instid0(VALU_DEP_1) | instskip(SKIP_1) | instid1(VALU_DEP_2)
	v_div_fmas_f64 v[8:9], v[8:9], v[10:11], v[12:13]
	v_fma_f64 v[10:11], v[4:5], 0, 1.0
                                        ; implicit-def: $vgpr12_vgpr13
	v_div_fixup_f64 v[6:7], v[8:9], v[6:7], 1.0
	v_add_f64 v[8:9], -v[4:5], 0
	s_delay_alu instid0(VALU_DEP_2) | instskip(NEXT) | instid1(VALU_DEP_2)
	v_mul_f64 v[4:5], v[10:11], v[6:7]
	v_mul_f64 v[6:7], v[8:9], v[6:7]
.LBB168_1561:
	s_and_not1_saveexec_b32 s8, s0
	s_cbranch_execz .LBB168_1563
; %bb.1562:
	v_div_scale_f64 v[4:5], null, v[12:13], v[12:13], 1.0
	v_div_scale_f64 v[6:7], null, v[14:15], v[14:15], 0
	v_div_scale_f64 v[26:27], vcc_lo, 1.0, v[12:13], 1.0
	s_delay_alu instid0(VALU_DEP_3) | instskip(NEXT) | instid1(VALU_DEP_2)
	v_rcp_f64_e32 v[8:9], v[4:5]
	v_rcp_f64_e32 v[10:11], v[6:7]
	s_waitcnt_depctr 0xfff
	v_fma_f64 v[17:18], -v[4:5], v[8:9], 1.0
	v_fma_f64 v[21:22], -v[6:7], v[10:11], 1.0
	s_delay_alu instid0(VALU_DEP_2) | instskip(NEXT) | instid1(VALU_DEP_2)
	v_fma_f64 v[8:9], v[8:9], v[17:18], v[8:9]
	v_fma_f64 v[10:11], v[10:11], v[21:22], v[10:11]
	s_delay_alu instid0(VALU_DEP_2) | instskip(NEXT) | instid1(VALU_DEP_2)
	v_fma_f64 v[17:18], -v[4:5], v[8:9], 1.0
	v_fma_f64 v[21:22], -v[6:7], v[10:11], 1.0
	s_delay_alu instid0(VALU_DEP_2) | instskip(SKIP_1) | instid1(VALU_DEP_3)
	v_fma_f64 v[8:9], v[8:9], v[17:18], v[8:9]
	v_div_scale_f64 v[17:18], s0, 0, v[14:15], 0
	v_fma_f64 v[10:11], v[10:11], v[21:22], v[10:11]
	s_delay_alu instid0(VALU_DEP_3) | instskip(NEXT) | instid1(VALU_DEP_2)
	v_mul_f64 v[21:22], v[26:27], v[8:9]
	v_mul_f64 v[28:29], v[17:18], v[10:11]
	s_delay_alu instid0(VALU_DEP_2) | instskip(NEXT) | instid1(VALU_DEP_2)
	v_fma_f64 v[4:5], -v[4:5], v[21:22], v[26:27]
	v_fma_f64 v[6:7], -v[6:7], v[28:29], v[17:18]
	s_delay_alu instid0(VALU_DEP_2) | instskip(SKIP_1) | instid1(VALU_DEP_2)
	v_div_fmas_f64 v[4:5], v[4:5], v[8:9], v[21:22]
	s_mov_b32 vcc_lo, s0
	v_div_fmas_f64 v[6:7], v[6:7], v[10:11], v[28:29]
	s_delay_alu instid0(VALU_DEP_2) | instskip(NEXT) | instid1(VALU_DEP_2)
	v_div_fixup_f64 v[4:5], v[4:5], v[12:13], 1.0
	v_div_fixup_f64 v[6:7], v[6:7], v[14:15], 0
.LBB168_1563:
	s_or_b32 exec_lo, exec_lo, s8
                                        ; implicit-def: $vgpr8_vgpr9
                                        ; implicit-def: $vgpr10_vgpr11
.LBB168_1564:
	s_and_not1_saveexec_b32 s0, s1
	s_cbranch_execz .LBB168_1566
; %bb.1565:
	v_div_scale_f64 v[4:5], null, v[8:9], v[8:9], v[10:11]
	v_div_scale_f64 v[14:15], vcc_lo, v[10:11], v[8:9], v[10:11]
	s_delay_alu instid0(VALU_DEP_2) | instskip(SKIP_2) | instid1(VALU_DEP_1)
	v_rcp_f64_e32 v[6:7], v[4:5]
	s_waitcnt_depctr 0xfff
	v_fma_f64 v[12:13], -v[4:5], v[6:7], 1.0
	v_fma_f64 v[6:7], v[6:7], v[12:13], v[6:7]
	s_delay_alu instid0(VALU_DEP_1) | instskip(NEXT) | instid1(VALU_DEP_1)
	v_fma_f64 v[12:13], -v[4:5], v[6:7], 1.0
	v_fma_f64 v[6:7], v[6:7], v[12:13], v[6:7]
	s_delay_alu instid0(VALU_DEP_1) | instskip(NEXT) | instid1(VALU_DEP_1)
	v_mul_f64 v[12:13], v[14:15], v[6:7]
	v_fma_f64 v[4:5], -v[4:5], v[12:13], v[14:15]
	s_delay_alu instid0(VALU_DEP_1) | instskip(NEXT) | instid1(VALU_DEP_1)
	v_div_fmas_f64 v[4:5], v[4:5], v[6:7], v[12:13]
	v_div_fixup_f64 v[4:5], v[4:5], v[8:9], v[10:11]
	s_delay_alu instid0(VALU_DEP_1) | instskip(NEXT) | instid1(VALU_DEP_1)
	v_fma_f64 v[6:7], v[10:11], v[4:5], v[8:9]
	v_div_scale_f64 v[8:9], null, v[6:7], v[6:7], 1.0
	v_div_scale_f64 v[14:15], vcc_lo, 1.0, v[6:7], 1.0
	s_delay_alu instid0(VALU_DEP_2) | instskip(SKIP_2) | instid1(VALU_DEP_1)
	v_rcp_f64_e32 v[10:11], v[8:9]
	s_waitcnt_depctr 0xfff
	v_fma_f64 v[12:13], -v[8:9], v[10:11], 1.0
	v_fma_f64 v[10:11], v[10:11], v[12:13], v[10:11]
	s_delay_alu instid0(VALU_DEP_1) | instskip(NEXT) | instid1(VALU_DEP_1)
	v_fma_f64 v[12:13], -v[8:9], v[10:11], 1.0
	v_fma_f64 v[10:11], v[10:11], v[12:13], v[10:11]
	s_delay_alu instid0(VALU_DEP_1) | instskip(NEXT) | instid1(VALU_DEP_1)
	v_mul_f64 v[12:13], v[14:15], v[10:11]
	v_fma_f64 v[8:9], -v[8:9], v[12:13], v[14:15]
	s_delay_alu instid0(VALU_DEP_1) | instskip(SKIP_1) | instid1(VALU_DEP_2)
	v_div_fmas_f64 v[8:9], v[8:9], v[10:11], v[12:13]
	v_add_f64 v[10:11], v[4:5], 0
	v_div_fixup_f64 v[6:7], v[8:9], v[6:7], 1.0
	v_fma_f64 v[8:9], v[4:5], 0, -1.0
	s_delay_alu instid0(VALU_DEP_2) | instskip(NEXT) | instid1(VALU_DEP_2)
	v_mul_f64 v[4:5], v[10:11], v[6:7]
	v_mul_f64 v[6:7], v[8:9], v[6:7]
.LBB168_1566:
	s_or_b32 exec_lo, exec_lo, s0
	v_add_nc_u32_e32 v21, s3, v16
	v_cmp_gt_i16_e32 vcc_lo, 11, v20
	s_delay_alu instid0(VALU_DEP_2) | instskip(SKIP_1) | instid1(VALU_DEP_1)
	v_ashrrev_i32_e32 v9, 31, v21
	v_add_co_u32 v8, s0, s6, v21
	v_add_co_ci_u32_e64 v9, s0, s7, v9, s0
	s_cbranch_vccnz .LBB168_1573
; %bb.1567:
	v_cmp_lt_i16_e32 vcc_lo, 25, v20
	s_mov_b32 s14, 0
	s_cbranch_vccz .LBB168_1579
; %bb.1568:
	v_cmp_lt_i16_e32 vcc_lo, 28, v20
	s_cbranch_vccz .LBB168_1581
; %bb.1569:
	v_cmp_lt_i16_e32 vcc_lo, 43, v20
	;; [unrolled: 3-line block ×3, first 2 shown]
	s_cbranch_vccz .LBB168_1587
; %bb.1571:
	v_cmp_eq_u16_e32 vcc_lo, 46, v20
	s_mov_b32 s0, 0
	s_cbranch_vccz .LBB168_1632
; %bb.1572:
	global_load_b32 v10, v[8:9], off
	s_mov_b32 s13, 0
	s_mov_b32 s8, -1
	s_waitcnt vmcnt(0)
	v_lshlrev_b32_e32 v11, 16, v10
	v_and_b32_e32 v12, 0xffff0000, v10
	s_delay_alu instid0(VALU_DEP_2) | instskip(NEXT) | instid1(VALU_DEP_2)
	v_cvt_f64_f32_e32 v[10:11], v11
	v_cvt_f64_f32_e32 v[12:13], v12
	s_branch .LBB168_1634
.LBB168_1573:
	s_mov_b32 s8, 0
                                        ; implicit-def: $vgpr12_vgpr13
	s_cbranch_execz .LBB168_1703
; %bb.1574:
	v_cmp_gt_i16_e32 vcc_lo, 5, v20
	s_cbranch_vccnz .LBB168_1580
; %bb.1575:
	v_cmp_gt_i16_e32 vcc_lo, 8, v20
	s_cbranch_vccnz .LBB168_1582
	;; [unrolled: 3-line block ×3, first 2 shown]
; %bb.1577:
	v_cmp_lt_i16_e32 vcc_lo, 9, v20
	s_cbranch_vccz .LBB168_1588
; %bb.1578:
	global_load_b128 v[10:13], v[8:9], off
	s_mov_b32 s0, 0
	s_branch .LBB168_1589
.LBB168_1579:
	s_mov_b32 s0, -1
	s_mov_b32 s8, 0
	s_mov_b32 s13, 0
                                        ; implicit-def: $vgpr12_vgpr13
	s_branch .LBB168_1667
.LBB168_1580:
	s_mov_b32 s0, -1
                                        ; implicit-def: $vgpr12_vgpr13
	s_branch .LBB168_1608
.LBB168_1581:
	s_mov_b32 s0, -1
	s_mov_b32 s8, 0
	s_mov_b32 s13, 0
                                        ; implicit-def: $vgpr12_vgpr13
	s_branch .LBB168_1646
.LBB168_1582:
	s_mov_b32 s0, -1
                                        ; implicit-def: $vgpr12_vgpr13
	s_branch .LBB168_1595
.LBB168_1583:
	s_mov_b32 s0, -1
	s_mov_b32 s8, 0
	s_mov_b32 s13, 0
                                        ; implicit-def: $vgpr12_vgpr13
	s_branch .LBB168_1640
.LBB168_1584:
	s_mov_b32 s0, -1
                                        ; implicit-def: $vgpr12_vgpr13
	s_branch .LBB168_1592
.LBB168_1585:
	s_cbranch_execnz .LBB168_1630
; %bb.1586:
	s_or_b32 s10, s10, exec_lo
                                        ; implicit-def: $vgpr8_vgpr9
	s_cbranch_execz .LBB168_1523
	s_branch .LBB168_1524
.LBB168_1587:
	s_mov_b32 s0, -1
	s_mov_b32 s8, 0
	s_mov_b32 s13, 0
	s_branch .LBB168_1633
.LBB168_1588:
	s_mov_b32 s0, -1
                                        ; implicit-def: $vgpr12_vgpr13
.LBB168_1589:
	s_delay_alu instid0(SALU_CYCLE_1)
	s_and_not1_b32 vcc_lo, exec_lo, s0
	s_cbranch_vccnz .LBB168_1591
; %bb.1590:
	global_load_b64 v[11:12], v[8:9], off
	s_waitcnt vmcnt(0)
	v_cvt_f64_f32_e32 v[10:11], v11
	v_cvt_f64_f32_e32 v[12:13], v12
.LBB168_1591:
	s_mov_b32 s0, 0
.LBB168_1592:
	s_delay_alu instid0(SALU_CYCLE_1)
	s_and_not1_b32 vcc_lo, exec_lo, s0
	s_cbranch_vccnz .LBB168_1594
; %bb.1593:
	global_load_b32 v10, v[8:9], off
	s_waitcnt vmcnt(0)
	v_lshrrev_b32_e32 v11, 16, v10
	v_cvt_f32_f16_e32 v10, v10
	s_delay_alu instid0(VALU_DEP_2) | instskip(NEXT) | instid1(VALU_DEP_2)
	v_cvt_f32_f16_e32 v12, v11
	v_cvt_f64_f32_e32 v[10:11], v10
	s_delay_alu instid0(VALU_DEP_2)
	v_cvt_f64_f32_e32 v[12:13], v12
.LBB168_1594:
	s_mov_b32 s0, 0
.LBB168_1595:
	s_delay_alu instid0(SALU_CYCLE_1)
	s_and_not1_b32 vcc_lo, exec_lo, s0
	s_cbranch_vccnz .LBB168_1607
; %bb.1596:
	v_cmp_gt_i16_e32 vcc_lo, 6, v20
	s_cbranch_vccnz .LBB168_1599
; %bb.1597:
	v_cmp_lt_i16_e32 vcc_lo, 6, v20
	s_cbranch_vccz .LBB168_1600
; %bb.1598:
	global_load_b64 v[10:11], v[8:9], off
	s_mov_b32 s8, 0
	s_mov_b64 s[0:1], 0
	s_branch .LBB168_1601
.LBB168_1599:
	s_mov_b32 s8, -1
                                        ; implicit-def: $sgpr0_sgpr1
                                        ; implicit-def: $vgpr10_vgpr11
	s_branch .LBB168_1604
.LBB168_1600:
	s_mov_b32 s8, -1
                                        ; implicit-def: $sgpr0_sgpr1
                                        ; implicit-def: $vgpr10_vgpr11
.LBB168_1601:
	s_delay_alu instid0(SALU_CYCLE_1)
	s_and_not1_b32 vcc_lo, exec_lo, s8
	s_cbranch_vccnz .LBB168_1603
; %bb.1602:
	global_load_b32 v10, v[8:9], off
	s_mov_b64 s[0:1], 0
	s_waitcnt vmcnt(0)
	v_cvt_f64_f32_e32 v[10:11], v10
.LBB168_1603:
	s_mov_b32 s8, 0
.LBB168_1604:
	s_delay_alu instid0(SALU_CYCLE_1)
	s_and_not1_b32 vcc_lo, exec_lo, s8
	s_cbranch_vccnz .LBB168_1606
; %bb.1605:
	global_load_u16 v10, v[8:9], off
	s_mov_b64 s[0:1], 0
	s_waitcnt vmcnt(0)
	v_cvt_f32_f16_e32 v10, v10
	s_delay_alu instid0(VALU_DEP_1)
	v_cvt_f64_f32_e32 v[10:11], v10
.LBB168_1606:
	s_waitcnt vmcnt(0)
	v_dual_mov_b32 v13, s1 :: v_dual_mov_b32 v12, s0
.LBB168_1607:
	s_mov_b32 s0, 0
.LBB168_1608:
	s_delay_alu instid0(SALU_CYCLE_1)
	s_and_not1_b32 vcc_lo, exec_lo, s0
	s_cbranch_vccnz .LBB168_1629
; %bb.1609:
	v_cmp_gt_i16_e32 vcc_lo, 2, v20
	s_cbranch_vccnz .LBB168_1613
; %bb.1610:
	v_cmp_gt_i16_e32 vcc_lo, 3, v20
	s_cbranch_vccnz .LBB168_1614
; %bb.1611:
	v_cmp_lt_i16_e32 vcc_lo, 3, v20
	s_cbranch_vccz .LBB168_1615
; %bb.1612:
	global_load_b64 v[10:11], v[8:9], off
	s_mov_b32 s8, 0
	s_mov_b64 s[0:1], 0
	s_waitcnt vmcnt(0)
	v_cvt_f64_i32_e32 v[11:12], v11
	v_cvt_f64_u32_e32 v[13:14], v10
	s_delay_alu instid0(VALU_DEP_2) | instskip(NEXT) | instid1(VALU_DEP_1)
	v_ldexp_f64 v[11:12], v[11:12], 32
	v_add_f64 v[10:11], v[11:12], v[13:14]
	s_branch .LBB168_1616
.LBB168_1613:
	s_mov_b32 s8, -1
                                        ; implicit-def: $sgpr0_sgpr1
                                        ; implicit-def: $vgpr10_vgpr11
	s_branch .LBB168_1622
.LBB168_1614:
	s_mov_b32 s8, -1
                                        ; implicit-def: $sgpr0_sgpr1
                                        ; implicit-def: $vgpr10_vgpr11
	s_branch .LBB168_1619
.LBB168_1615:
	s_mov_b32 s8, -1
                                        ; implicit-def: $sgpr0_sgpr1
                                        ; implicit-def: $vgpr10_vgpr11
.LBB168_1616:
	s_delay_alu instid0(SALU_CYCLE_1)
	s_and_not1_b32 vcc_lo, exec_lo, s8
	s_cbranch_vccnz .LBB168_1618
; %bb.1617:
	global_load_b32 v10, v[8:9], off
	s_mov_b64 s[0:1], 0
	s_waitcnt vmcnt(0)
	v_cvt_f64_i32_e32 v[10:11], v10
.LBB168_1618:
	s_mov_b32 s8, 0
.LBB168_1619:
	s_delay_alu instid0(SALU_CYCLE_1)
	s_and_not1_b32 vcc_lo, exec_lo, s8
	s_cbranch_vccnz .LBB168_1621
; %bb.1620:
	global_load_i16 v10, v[8:9], off
	s_mov_b64 s[0:1], 0
	s_waitcnt vmcnt(0)
	v_cvt_f64_i32_e32 v[10:11], v10
.LBB168_1621:
	s_mov_b32 s8, 0
.LBB168_1622:
	s_delay_alu instid0(SALU_CYCLE_1)
	s_and_not1_b32 vcc_lo, exec_lo, s8
	s_cbranch_vccnz .LBB168_1628
; %bb.1623:
	v_cmp_lt_i16_e32 vcc_lo, 0, v20
	s_mov_b32 s8, 0
	s_cbranch_vccz .LBB168_1625
; %bb.1624:
	global_load_i8 v10, v[8:9], off
	s_mov_b64 s[0:1], 0
	s_waitcnt vmcnt(0)
	v_cvt_f64_i32_e32 v[10:11], v10
	s_branch .LBB168_1626
.LBB168_1625:
	s_mov_b32 s8, -1
                                        ; implicit-def: $sgpr0_sgpr1
                                        ; implicit-def: $vgpr10_vgpr11
.LBB168_1626:
	s_delay_alu instid0(SALU_CYCLE_1)
	s_and_not1_b32 vcc_lo, exec_lo, s8
	s_cbranch_vccnz .LBB168_1628
; %bb.1627:
	global_load_u8 v8, v[8:9], off
	s_mov_b64 s[0:1], 0
	s_waitcnt vmcnt(0)
	v_cvt_f64_u32_e32 v[10:11], v8
.LBB168_1628:
	s_waitcnt vmcnt(0)
	v_dual_mov_b32 v13, s1 :: v_dual_mov_b32 v12, s0
.LBB168_1629:
	s_branch .LBB168_1704
.LBB168_1630:
	s_trap 2
	s_sendmsg_rtn_b32 s0, sendmsg(MSG_RTN_GET_DOORBELL)
	s_mov_b32 ttmp2, m0
	s_waitcnt lgkmcnt(0)
	s_and_b32 s0, s0, 0x3ff
	s_delay_alu instid0(SALU_CYCLE_1) | instskip(NEXT) | instid1(SALU_CYCLE_1)
	s_bitset1_b32 s0, 10
	s_mov_b32 m0, s0
	s_sendmsg sendmsg(MSG_INTERRUPT)
	s_mov_b32 m0, ttmp2
.LBB168_1631:                           ; =>This Inner Loop Header: Depth=1
	s_sethalt 5
	s_branch .LBB168_1631
.LBB168_1632:
	s_mov_b32 s13, -1
	s_mov_b32 s8, 0
.LBB168_1633:
                                        ; implicit-def: $vgpr12_vgpr13
.LBB168_1634:
	s_and_b32 vcc_lo, exec_lo, s0
	s_cbranch_vccz .LBB168_1639
; %bb.1635:
	v_cmp_eq_u16_e32 vcc_lo, 44, v20
	s_cbranch_vccz .LBB168_1637
; %bb.1636:
	global_load_u8 v12, v[8:9], off
	s_mov_b32 s13, 0
	s_mov_b32 s8, -1
	s_mov_b64 s[0:1], 0
	s_waitcnt vmcnt(0)
	v_cmp_ne_u32_e32 vcc_lo, 0xff, v12
	v_lshlrev_b32_e32 v10, 23, v12
	s_delay_alu instid0(VALU_DEP_1) | instskip(NEXT) | instid1(VALU_DEP_1)
	v_cvt_f64_f32_e32 v[10:11], v10
	v_cndmask_b32_e32 v11, 0x7ff80000, v11, vcc_lo
	s_delay_alu instid0(VALU_DEP_2) | instskip(SKIP_1) | instid1(VALU_DEP_3)
	v_cndmask_b32_e32 v10, 0x20000000, v10, vcc_lo
	v_cmp_ne_u32_e32 vcc_lo, 0, v12
	v_cndmask_b32_e32 v11, 0x38000000, v11, vcc_lo
	s_delay_alu instid0(VALU_DEP_3)
	v_cndmask_b32_e32 v10, 0, v10, vcc_lo
	s_branch .LBB168_1638
.LBB168_1637:
	s_mov_b32 s13, -1
                                        ; implicit-def: $sgpr0_sgpr1
                                        ; implicit-def: $vgpr10_vgpr11
.LBB168_1638:
	v_dual_mov_b32 v13, s1 :: v_dual_mov_b32 v12, s0
.LBB168_1639:
	s_mov_b32 s0, 0
.LBB168_1640:
	s_delay_alu instid0(SALU_CYCLE_1)
	s_and_b32 vcc_lo, exec_lo, s0
	s_cbranch_vccz .LBB168_1645
; %bb.1641:
	v_cmp_eq_u16_e32 vcc_lo, 29, v20
	s_cbranch_vccz .LBB168_1643
; %bb.1642:
	global_load_b64 v[10:11], v[8:9], off
	s_mov_b32 s13, 0
	s_mov_b32 s8, -1
	s_mov_b64 s[0:1], 0
	s_waitcnt vmcnt(0)
	v_cvt_f64_u32_e32 v[11:12], v11
	v_cvt_f64_u32_e32 v[13:14], v10
	s_delay_alu instid0(VALU_DEP_2) | instskip(NEXT) | instid1(VALU_DEP_1)
	v_ldexp_f64 v[11:12], v[11:12], 32
	v_add_f64 v[10:11], v[11:12], v[13:14]
	s_branch .LBB168_1644
.LBB168_1643:
	s_mov_b32 s13, -1
                                        ; implicit-def: $sgpr0_sgpr1
                                        ; implicit-def: $vgpr10_vgpr11
.LBB168_1644:
	v_dual_mov_b32 v13, s1 :: v_dual_mov_b32 v12, s0
.LBB168_1645:
	s_mov_b32 s0, 0
.LBB168_1646:
	s_delay_alu instid0(SALU_CYCLE_1)
	s_and_b32 vcc_lo, exec_lo, s0
	s_cbranch_vccz .LBB168_1666
; %bb.1647:
	v_cmp_gt_i16_e32 vcc_lo, 27, v20
	s_cbranch_vccnz .LBB168_1650
; %bb.1648:
	v_cmp_lt_i16_e32 vcc_lo, 27, v20
	s_cbranch_vccz .LBB168_1651
; %bb.1649:
	global_load_b32 v10, v[8:9], off
	s_mov_b32 s8, 0
	s_mov_b64 s[0:1], 0
	s_waitcnt vmcnt(0)
	v_cvt_f64_u32_e32 v[10:11], v10
	s_branch .LBB168_1652
.LBB168_1650:
	s_mov_b32 s8, -1
                                        ; implicit-def: $sgpr0_sgpr1
                                        ; implicit-def: $vgpr10_vgpr11
	s_branch .LBB168_1655
.LBB168_1651:
	s_mov_b32 s8, -1
                                        ; implicit-def: $sgpr0_sgpr1
                                        ; implicit-def: $vgpr10_vgpr11
.LBB168_1652:
	s_delay_alu instid0(SALU_CYCLE_1)
	s_and_not1_b32 vcc_lo, exec_lo, s8
	s_cbranch_vccnz .LBB168_1654
; %bb.1653:
	global_load_u16 v10, v[8:9], off
	s_mov_b64 s[0:1], 0
	s_waitcnt vmcnt(0)
	v_cvt_f64_u32_e32 v[10:11], v10
.LBB168_1654:
	s_mov_b32 s8, 0
.LBB168_1655:
	v_dual_mov_b32 v13, s1 :: v_dual_mov_b32 v12, s0
	s_and_not1_b32 vcc_lo, exec_lo, s8
	s_cbranch_vccnz .LBB168_1665
; %bb.1656:
	global_load_u8 v14, v[8:9], off
	s_mov_b32 s15, 0
	s_mov_b32 s16, exec_lo
                                        ; implicit-def: $sgpr0_sgpr1
                                        ; implicit-def: $sgpr8_sgpr9
	s_waitcnt vmcnt(0)
	v_cmpx_lt_i16_e32 0x7f, v14
	s_xor_b32 s16, exec_lo, s16
	s_cbranch_execz .LBB168_1660
; %bb.1657:
	s_mov_b32 s15, -1
	s_mov_b32 s17, exec_lo
                                        ; implicit-def: $sgpr0_sgpr1
                                        ; implicit-def: $sgpr8_sgpr9
	v_cmpx_eq_u16_e32 0x80, v14
; %bb.1658:
	s_mov_b64 s[0:1], 0
	s_mov_b32 s9, 0x7ff80000
	s_brev_b32 s8, 4
	s_xor_b32 s15, exec_lo, -1
; %bb.1659:
	s_or_b32 exec_lo, exec_lo, s17
	s_delay_alu instid0(SALU_CYCLE_1)
	s_and_b32 s15, s15, exec_lo
.LBB168_1660:
	s_or_saveexec_b32 s16, s16
	v_dual_mov_b32 v13, s1 :: v_dual_mov_b32 v12, s0
	v_dual_mov_b32 v11, s9 :: v_dual_mov_b32 v10, s8
	s_xor_b32 exec_lo, exec_lo, s16
; %bb.1661:
	v_mov_b32_e32 v12, 0
	v_mov_b32_e32 v13, 0
	v_cmp_ne_u16_e32 vcc_lo, 0, v14
	s_delay_alu instid0(VALU_DEP_3) | instskip(SKIP_1) | instid1(VALU_DEP_3)
	v_mov_b32_e32 v10, v12
	s_and_not1_b32 s0, s15, exec_lo
	v_mov_b32_e32 v11, v13
	s_and_b32 s1, vcc_lo, exec_lo
	s_delay_alu instid0(SALU_CYCLE_1)
	s_or_b32 s15, s0, s1
; %bb.1662:
	s_or_b32 exec_lo, exec_lo, s16
	s_and_saveexec_b32 s0, s15
	s_cbranch_execz .LBB168_1664
; %bb.1663:
	v_and_b32_e32 v10, 0xffff, v14
	v_lshlrev_b32_e32 v14, 24, v14
	s_delay_alu instid0(VALU_DEP_2) | instskip(NEXT) | instid1(VALU_DEP_1)
	v_and_b32_e32 v11, 7, v10
	v_clz_i32_u32_e32 v12, v11
	s_delay_alu instid0(VALU_DEP_1) | instskip(NEXT) | instid1(VALU_DEP_1)
	v_min_u32_e32 v12, 32, v12
	v_subrev_nc_u32_e32 v13, 28, v12
	v_sub_nc_u32_e32 v12, 29, v12
	s_delay_alu instid0(VALU_DEP_2) | instskip(SKIP_1) | instid1(VALU_DEP_2)
	v_lshlrev_b32_e32 v13, v13, v10
	v_bfe_u32 v10, v10, 3, 4
	v_and_b32_e32 v13, 7, v13
	s_delay_alu instid0(VALU_DEP_2) | instskip(NEXT) | instid1(VALU_DEP_2)
	v_cmp_eq_u32_e32 vcc_lo, 0, v10
	v_dual_cndmask_b32 v10, v10, v12 :: v_dual_cndmask_b32 v11, v11, v13
	v_and_b32_e32 v12, 0x80000000, v14
	s_delay_alu instid0(VALU_DEP_2) | instskip(NEXT) | instid1(VALU_DEP_3)
	v_lshl_add_u32 v10, v10, 23, 0x3b800000
	v_lshlrev_b32_e32 v11, 20, v11
	s_delay_alu instid0(VALU_DEP_1) | instskip(SKIP_2) | instid1(VALU_DEP_3)
	v_or3_b32 v10, v12, v10, v11
	v_mov_b32_e32 v12, 0
	v_mov_b32_e32 v13, 0
	v_cvt_f64_f32_e32 v[10:11], v10
.LBB168_1664:
	s_or_b32 exec_lo, exec_lo, s0
.LBB168_1665:
	s_mov_b32 s8, -1
.LBB168_1666:
	s_mov_b32 s0, 0
.LBB168_1667:
	s_delay_alu instid0(SALU_CYCLE_1)
	s_and_b32 vcc_lo, exec_lo, s0
	s_cbranch_vccz .LBB168_1699
; %bb.1668:
	v_cmp_lt_i16_e32 vcc_lo, 22, v20
	s_cbranch_vccz .LBB168_1680
; %bb.1669:
	v_cmp_gt_i16_e32 vcc_lo, 24, v20
	s_cbranch_vccnz .LBB168_1681
; %bb.1670:
	v_cmp_lt_i16_e32 vcc_lo, 24, v20
	s_cbranch_vccz .LBB168_1682
; %bb.1671:
	global_load_u8 v14, v[8:9], off
	s_mov_b32 s15, exec_lo
                                        ; implicit-def: $sgpr0_sgpr1
                                        ; implicit-def: $sgpr8_sgpr9
	s_waitcnt vmcnt(0)
	v_cmpx_lt_i16_e32 0x7f, v14
	s_xor_b32 s15, exec_lo, s15
	s_cbranch_execz .LBB168_1675
; %bb.1672:
	s_mov_b32 s14, -1
	s_mov_b32 s16, exec_lo
                                        ; implicit-def: $sgpr0_sgpr1
                                        ; implicit-def: $sgpr8_sgpr9
	v_cmpx_eq_u16_e32 0x80, v14
; %bb.1673:
	s_mov_b64 s[0:1], 0
	s_mov_b32 s9, 0x7ff80000
	s_brev_b32 s8, 4
	s_xor_b32 s14, exec_lo, -1
; %bb.1674:
	s_or_b32 exec_lo, exec_lo, s16
	s_delay_alu instid0(SALU_CYCLE_1)
	s_and_b32 s14, s14, exec_lo
.LBB168_1675:
	s_or_saveexec_b32 s15, s15
	v_dual_mov_b32 v13, s1 :: v_dual_mov_b32 v12, s0
	v_dual_mov_b32 v11, s9 :: v_dual_mov_b32 v10, s8
	s_xor_b32 exec_lo, exec_lo, s15
; %bb.1676:
	v_mov_b32_e32 v12, 0
	v_mov_b32_e32 v13, 0
	v_cmp_ne_u16_e32 vcc_lo, 0, v14
	s_delay_alu instid0(VALU_DEP_3) | instskip(SKIP_1) | instid1(VALU_DEP_3)
	v_mov_b32_e32 v10, v12
	s_and_not1_b32 s0, s14, exec_lo
	v_mov_b32_e32 v11, v13
	s_and_b32 s1, vcc_lo, exec_lo
	s_delay_alu instid0(SALU_CYCLE_1)
	s_or_b32 s14, s0, s1
; %bb.1677:
	s_or_b32 exec_lo, exec_lo, s15
	s_and_saveexec_b32 s0, s14
	s_cbranch_execz .LBB168_1679
; %bb.1678:
	v_and_b32_e32 v10, 0xffff, v14
	v_lshlrev_b32_e32 v14, 24, v14
	s_delay_alu instid0(VALU_DEP_2) | instskip(NEXT) | instid1(VALU_DEP_1)
	v_and_b32_e32 v11, 3, v10
	v_clz_i32_u32_e32 v12, v11
	s_delay_alu instid0(VALU_DEP_1) | instskip(NEXT) | instid1(VALU_DEP_1)
	v_min_u32_e32 v12, 32, v12
	v_subrev_nc_u32_e32 v13, 29, v12
	v_sub_nc_u32_e32 v12, 30, v12
	s_delay_alu instid0(VALU_DEP_2) | instskip(SKIP_1) | instid1(VALU_DEP_2)
	v_lshlrev_b32_e32 v13, v13, v10
	v_bfe_u32 v10, v10, 2, 5
	v_and_b32_e32 v13, 3, v13
	s_delay_alu instid0(VALU_DEP_2) | instskip(NEXT) | instid1(VALU_DEP_2)
	v_cmp_eq_u32_e32 vcc_lo, 0, v10
	v_dual_cndmask_b32 v10, v10, v12 :: v_dual_cndmask_b32 v11, v11, v13
	v_and_b32_e32 v12, 0x80000000, v14
	s_delay_alu instid0(VALU_DEP_2) | instskip(NEXT) | instid1(VALU_DEP_3)
	v_lshl_add_u32 v10, v10, 23, 0x37800000
	v_lshlrev_b32_e32 v11, 21, v11
	s_delay_alu instid0(VALU_DEP_1) | instskip(SKIP_2) | instid1(VALU_DEP_3)
	v_or3_b32 v10, v12, v10, v11
	v_mov_b32_e32 v12, 0
	v_mov_b32_e32 v13, 0
	v_cvt_f64_f32_e32 v[10:11], v10
.LBB168_1679:
	s_or_b32 exec_lo, exec_lo, s0
	s_mov_b32 s0, 0
	s_branch .LBB168_1683
.LBB168_1680:
	s_mov_b32 s0, -1
                                        ; implicit-def: $vgpr12_vgpr13
	s_branch .LBB168_1689
.LBB168_1681:
	s_mov_b32 s0, -1
                                        ; implicit-def: $vgpr12_vgpr13
	s_branch .LBB168_1686
.LBB168_1682:
	s_mov_b32 s0, -1
                                        ; implicit-def: $vgpr12_vgpr13
.LBB168_1683:
	s_delay_alu instid0(SALU_CYCLE_1)
	s_and_b32 vcc_lo, exec_lo, s0
	s_cbranch_vccz .LBB168_1685
; %bb.1684:
	global_load_u8 v10, v[8:9], off
	s_waitcnt vmcnt(0)
	v_lshlrev_b32_e32 v10, 24, v10
	s_delay_alu instid0(VALU_DEP_1) | instskip(NEXT) | instid1(VALU_DEP_1)
	v_and_b32_e32 v11, 0x7f000000, v10
	v_clz_i32_u32_e32 v12, v11
	v_add_nc_u32_e32 v14, 0x1000000, v11
	v_cmp_ne_u32_e32 vcc_lo, 0, v11
	s_delay_alu instid0(VALU_DEP_3) | instskip(NEXT) | instid1(VALU_DEP_1)
	v_min_u32_e32 v12, 32, v12
	v_sub_nc_u32_e64 v12, v12, 4 clamp
	s_delay_alu instid0(VALU_DEP_1) | instskip(SKIP_1) | instid1(VALU_DEP_2)
	v_lshlrev_b32_e32 v13, v12, v11
	v_lshlrev_b32_e32 v12, 23, v12
	v_lshrrev_b32_e32 v13, 4, v13
	s_delay_alu instid0(VALU_DEP_1) | instskip(SKIP_1) | instid1(VALU_DEP_2)
	v_sub_nc_u32_e32 v12, v13, v12
	v_ashrrev_i32_e32 v13, 8, v14
	v_add_nc_u32_e32 v12, 0x3c000000, v12
	s_delay_alu instid0(VALU_DEP_1) | instskip(NEXT) | instid1(VALU_DEP_1)
	v_and_or_b32 v12, 0x7f800000, v13, v12
	v_dual_cndmask_b32 v11, 0, v12 :: v_dual_mov_b32 v12, 0
	v_mov_b32_e32 v13, 0
	s_delay_alu instid0(VALU_DEP_2) | instskip(NEXT) | instid1(VALU_DEP_1)
	v_and_or_b32 v10, 0x80000000, v10, v11
	v_cvt_f64_f32_e32 v[10:11], v10
.LBB168_1685:
	s_mov_b32 s0, 0
.LBB168_1686:
	s_delay_alu instid0(SALU_CYCLE_1)
	s_and_not1_b32 vcc_lo, exec_lo, s0
	s_cbranch_vccnz .LBB168_1688
; %bb.1687:
	global_load_u8 v10, v[8:9], off
	s_waitcnt vmcnt(0)
	v_lshlrev_b32_e32 v11, 25, v10
	v_lshlrev_b16 v10, 8, v10
	s_delay_alu instid0(VALU_DEP_2) | instskip(NEXT) | instid1(VALU_DEP_2)
	v_lshrrev_b32_e32 v12, 4, v11
	v_and_or_b32 v13, 0x7f00, v10, 0.5
	v_bfe_i32 v10, v10, 0, 16
	s_delay_alu instid0(VALU_DEP_3) | instskip(NEXT) | instid1(VALU_DEP_1)
	v_or_b32_e32 v12, 0x70000000, v12
	v_dual_add_f32 v13, -0.5, v13 :: v_dual_mul_f32 v12, 0x7800000, v12
	v_cmp_gt_u32_e32 vcc_lo, 0x8000000, v11
	s_delay_alu instid0(VALU_DEP_2) | instskip(SKIP_1) | instid1(VALU_DEP_2)
	v_dual_cndmask_b32 v11, v12, v13 :: v_dual_mov_b32 v12, 0
	v_mov_b32_e32 v13, 0
	v_and_or_b32 v10, 0x80000000, v10, v11
	s_delay_alu instid0(VALU_DEP_1)
	v_cvt_f64_f32_e32 v[10:11], v10
.LBB168_1688:
	s_mov_b32 s0, 0
	s_mov_b32 s8, -1
.LBB168_1689:
	s_and_not1_b32 vcc_lo, exec_lo, s0
	s_mov_b32 s14, 0
	s_cbranch_vccnz .LBB168_1699
; %bb.1690:
	v_cmp_lt_i16_e32 vcc_lo, 14, v20
	s_cbranch_vccz .LBB168_1693
; %bb.1691:
	v_cmp_eq_u16_e32 vcc_lo, 15, v20
	s_cbranch_vccz .LBB168_1694
; %bb.1692:
	global_load_u16 v10, v[8:9], off
	s_mov_b32 s13, 0
	s_mov_b32 s8, -1
	s_mov_b64 s[0:1], 0
	s_waitcnt vmcnt(0)
	v_lshlrev_b32_e32 v10, 16, v10
	s_delay_alu instid0(VALU_DEP_1)
	v_cvt_f64_f32_e32 v[10:11], v10
	s_branch .LBB168_1695
.LBB168_1693:
	s_mov_b32 s9, -1
                                        ; implicit-def: $sgpr0_sgpr1
                                        ; implicit-def: $vgpr10_vgpr11
	s_branch .LBB168_1696
.LBB168_1694:
	s_mov_b32 s13, -1
                                        ; implicit-def: $sgpr0_sgpr1
                                        ; implicit-def: $vgpr10_vgpr11
.LBB168_1695:
	s_mov_b32 s9, 0
.LBB168_1696:
	s_delay_alu instid0(SALU_CYCLE_1)
	s_and_b32 vcc_lo, exec_lo, s9
	s_cbranch_vccz .LBB168_1698
; %bb.1697:
	v_cmp_ne_u16_e64 s13, 11, v20
	s_mov_b32 s14, -1
                                        ; implicit-def: $sgpr0_sgpr1
                                        ; implicit-def: $vgpr10_vgpr11
.LBB168_1698:
	v_dual_mov_b32 v13, s1 :: v_dual_mov_b32 v12, s0
.LBB168_1699:
	s_delay_alu instid0(VALU_DEP_2)
	s_and_b32 vcc_lo, exec_lo, s13
	s_cbranch_vccnz .LBB168_1755
; %bb.1700:
	s_and_not1_b32 vcc_lo, exec_lo, s14
	s_cbranch_vccnz .LBB168_1702
.LBB168_1701:
	global_load_u8 v10, v[8:9], off
	v_mov_b32_e32 v12, 0
	v_mov_b32_e32 v13, 0
	s_mov_b32 s8, -1
	s_waitcnt vmcnt(0)
	v_cmp_ne_u16_e32 vcc_lo, 0, v10
	v_mov_b32_e32 v10, 0
	v_cndmask_b32_e64 v11, 0, 0x3ff00000, vcc_lo
.LBB168_1702:
.LBB168_1703:
	s_and_not1_b32 vcc_lo, exec_lo, s8
	s_cbranch_vccnz .LBB168_1899
.LBB168_1704:
	s_waitcnt vmcnt(0)
	s_delay_alu instid0(VALU_DEP_1) | instskip(NEXT) | instid1(VALU_DEP_2)
	v_cmp_neq_f64_e32 vcc_lo, 0, v[10:11]
	v_cmp_neq_f64_e64 s0, 0, v[12:13]
	v_mov_b32_e32 v14, 0
	v_mov_b32_e32 v15, 0
	s_delay_alu instid0(VALU_DEP_3) | instskip(NEXT) | instid1(SALU_CYCLE_1)
	s_or_b32 s0, vcc_lo, s0
	s_and_saveexec_b32 s8, s0
	s_cbranch_execz .LBB168_1736
; %bb.1705:
	s_mov_b32 s0, 0
	s_mov_b32 s1, 0x7ff00000
	v_mov_b32_e32 v14, s0
	v_mov_b32_e32 v15, s1
	s_mov_b32 s9, exec_lo
	v_cmpx_neq_f64_e64 0x7ff00000, |v[12:13]|
	s_cbranch_execz .LBB168_1735
; %bb.1706:
	s_mov_b32 s0, exec_lo
	v_cmpx_o_f64_e32 v[10:11], v[10:11]
	s_xor_b32 s13, exec_lo, s0
	s_cbranch_execz .LBB168_1732
; %bb.1707:
	s_mov_b32 s1, exec_lo
	v_cmpx_neq_f64_e64 0x7ff00000, |v[10:11]|
	s_xor_b32 s14, exec_lo, s1
	s_cbranch_execz .LBB168_1725
; %bb.1708:
	v_max_f64 v[8:9], |v[12:13]|, |v[12:13]|
	v_max_f64 v[14:15], |v[10:11]|, |v[10:11]|
	s_mov_b32 s0, 0x99fcef32
	s_mov_b32 s1, 0x7fda8279
                                        ; implicit-def: $sgpr15
	s_delay_alu instid0(VALU_DEP_1) | instskip(NEXT) | instid1(VALU_DEP_1)
	v_max_f64 v[8:9], v[14:15], v[8:9]
	v_cmp_nle_f64_e64 s0, s[0:1], v[8:9]
	s_delay_alu instid0(VALU_DEP_1) | instskip(NEXT) | instid1(SALU_CYCLE_1)
	s_and_saveexec_b32 s1, s0
	s_xor_b32 s1, exec_lo, s1
	s_cbranch_execz .LBB168_1712
; %bb.1709:
	v_cmp_ge_f64_e64 s15, 0x200000, |v[10:11]|
	v_cmp_ge_f64_e64 s16, 0x200000, |v[12:13]|
	s_delay_alu instid0(VALU_DEP_1)
	s_and_b32 s17, s15, s16
	s_mov_b32 s15, 0
	s_and_saveexec_b32 s16, s17
; %bb.1710:
	v_mul_f64 v[10:11], v[10:11], 4.0
	v_mul_f64 v[12:13], v[12:13], 4.0
	s_mov_b32 s15, exec_lo
; %bb.1711:
	s_or_b32 exec_lo, exec_lo, s16
	s_delay_alu instid0(SALU_CYCLE_1)
	s_and_b32 s15, s15, exec_lo
.LBB168_1712:
	s_and_not1_saveexec_b32 s1, s1
; %bb.1713:
	s_delay_alu instid0(VALU_DEP_2) | instskip(NEXT) | instid1(VALU_DEP_2)
	v_ldexp_f64 v[10:11], v[10:11], -2
	v_ldexp_f64 v[12:13], v[12:13], -2
	s_and_not1_b32 s15, s15, exec_lo
; %bb.1714:
	s_or_b32 exec_lo, exec_lo, s1
	s_delay_alu instid0(VALU_DEP_1) | instskip(NEXT) | instid1(VALU_DEP_3)
	v_max_f64 v[8:9], |v[12:13]|, |v[12:13]|
	v_max_f64 v[14:15], |v[10:11]|, |v[10:11]|
	v_cmp_class_f64_e64 s16, v[10:11], 0x204
	v_cmp_class_f64_e64 s17, v[12:13], 0x204
	v_cmp_le_f64_e64 s1, 0, v[10:11]
	s_delay_alu instid0(VALU_DEP_4) | instskip(NEXT) | instid1(VALU_DEP_3)
	v_max_f64 v[8:9], v[14:15], v[8:9]
	s_or_b32 s16, s17, s16
	s_delay_alu instid0(VALU_DEP_1) | instskip(NEXT) | instid1(VALU_DEP_1)
	v_frexp_exp_i32_f64_e32 v22, v[8:9]
	v_sub_nc_u32_e32 v14, 0, v22
	s_delay_alu instid0(VALU_DEP_1) | instskip(SKIP_1) | instid1(VALU_DEP_2)
	v_ldexp_f64 v[8:9], |v[12:13]|, v14
	v_ldexp_f64 v[14:15], |v[10:11]|, v14
	v_mul_f64 v[8:9], v[8:9], v[8:9]
	s_delay_alu instid0(VALU_DEP_1) | instskip(NEXT) | instid1(VALU_DEP_1)
	v_fma_f64 v[8:9], v[14:15], v[14:15], v[8:9]
	v_rsq_f64_e32 v[14:15], v[8:9]
	v_cmp_eq_f64_e32 vcc_lo, 0, v[8:9]
	s_waitcnt_depctr 0xfff
	v_mul_f64 v[16:17], v[8:9], v[14:15]
	v_mul_f64 v[14:15], v[14:15], 0.5
	s_delay_alu instid0(VALU_DEP_1) | instskip(NEXT) | instid1(VALU_DEP_1)
	v_fma_f64 v[18:19], -v[14:15], v[16:17], 0.5
	v_fma_f64 v[16:17], v[16:17], v[18:19], v[16:17]
	v_fma_f64 v[14:15], v[14:15], v[18:19], v[14:15]
	s_delay_alu instid0(VALU_DEP_2) | instskip(NEXT) | instid1(VALU_DEP_1)
	v_fma_f64 v[18:19], -v[16:17], v[16:17], v[8:9]
	v_fma_f64 v[14:15], v[18:19], v[14:15], v[16:17]
	s_delay_alu instid0(VALU_DEP_1) | instskip(SKIP_1) | instid1(VALU_DEP_2)
	v_dual_cndmask_b32 v9, v15, v9 :: v_dual_cndmask_b32 v8, v14, v8
	v_cmp_o_f64_e32 vcc_lo, v[12:13], v[12:13]
	v_ldexp_f64 v[8:9], v[8:9], v22
	s_delay_alu instid0(VALU_DEP_1) | instskip(NEXT) | instid1(VALU_DEP_2)
	v_cndmask_b32_e32 v8, 0, v8, vcc_lo
	v_cndmask_b32_e32 v9, 0x7ff80000, v9, vcc_lo
	s_delay_alu instid0(VALU_DEP_2) | instskip(NEXT) | instid1(VALU_DEP_2)
	v_cndmask_b32_e64 v8, v8, 0, s16
	v_cndmask_b32_e64 v9, v9, 0x7ff00000, s16
	s_and_saveexec_b32 s16, s1
	s_delay_alu instid0(SALU_CYCLE_1)
	s_xor_b32 s1, exec_lo, s16
	s_cbranch_execz .LBB168_1720
; %bb.1715:
	s_delay_alu instid0(VALU_DEP_1) | instskip(NEXT) | instid1(VALU_DEP_1)
	v_add_f64 v[8:9], v[10:11], v[8:9]
	v_mul_f64 v[8:9], v[8:9], 0.5
	s_delay_alu instid0(VALU_DEP_1) | instskip(SKIP_1) | instid1(VALU_DEP_1)
	v_cmp_gt_f64_e32 vcc_lo, 0x10000000, v[8:9]
	v_cndmask_b32_e64 v10, 0, 1, vcc_lo
	v_lshlrev_b32_e32 v10, 8, v10
	s_delay_alu instid0(VALU_DEP_1) | instskip(NEXT) | instid1(VALU_DEP_1)
	v_ldexp_f64 v[8:9], v[8:9], v10
	v_rsq_f64_e32 v[10:11], v[8:9]
	s_waitcnt_depctr 0xfff
	v_mul_f64 v[14:15], v[8:9], v[10:11]
	v_mul_f64 v[10:11], v[10:11], 0.5
	s_delay_alu instid0(VALU_DEP_1) | instskip(NEXT) | instid1(VALU_DEP_1)
	v_fma_f64 v[16:17], -v[10:11], v[14:15], 0.5
	v_fma_f64 v[14:15], v[14:15], v[16:17], v[14:15]
	v_fma_f64 v[10:11], v[10:11], v[16:17], v[10:11]
	s_delay_alu instid0(VALU_DEP_2) | instskip(NEXT) | instid1(VALU_DEP_1)
	v_fma_f64 v[16:17], -v[14:15], v[14:15], v[8:9]
	v_fma_f64 v[14:15], v[16:17], v[10:11], v[14:15]
	s_delay_alu instid0(VALU_DEP_1) | instskip(NEXT) | instid1(VALU_DEP_1)
	v_fma_f64 v[16:17], -v[14:15], v[14:15], v[8:9]
	v_fma_f64 v[10:11], v[16:17], v[10:11], v[14:15]
	v_cndmask_b32_e64 v14, 0, 0xffffff80, vcc_lo
	v_cmp_class_f64_e64 vcc_lo, v[8:9], 0x260
	s_delay_alu instid0(VALU_DEP_2) | instskip(NEXT) | instid1(VALU_DEP_1)
	v_ldexp_f64 v[10:11], v[10:11], v14
	v_dual_cndmask_b32 v11, v11, v9 :: v_dual_cndmask_b32 v10, v10, v8
	s_delay_alu instid0(VALU_DEP_1) | instskip(NEXT) | instid1(VALU_DEP_1)
	v_add_f64 v[8:9], v[10:11], v[10:11]
	v_div_scale_f64 v[14:15], null, v[8:9], v[8:9], v[12:13]
	s_delay_alu instid0(VALU_DEP_1) | instskip(SKIP_2) | instid1(VALU_DEP_1)
	v_rcp_f64_e32 v[16:17], v[14:15]
	s_waitcnt_depctr 0xfff
	v_fma_f64 v[18:19], -v[14:15], v[16:17], 1.0
	v_fma_f64 v[16:17], v[16:17], v[18:19], v[16:17]
	s_delay_alu instid0(VALU_DEP_1) | instskip(NEXT) | instid1(VALU_DEP_1)
	v_fma_f64 v[18:19], -v[14:15], v[16:17], 1.0
	v_fma_f64 v[16:17], v[16:17], v[18:19], v[16:17]
	v_div_scale_f64 v[18:19], vcc_lo, v[12:13], v[8:9], v[12:13]
	s_delay_alu instid0(VALU_DEP_1) | instskip(NEXT) | instid1(VALU_DEP_1)
	v_mul_f64 v[22:23], v[18:19], v[16:17]
	v_fma_f64 v[14:15], -v[14:15], v[22:23], v[18:19]
	s_delay_alu instid0(VALU_DEP_1) | instskip(NEXT) | instid1(VALU_DEP_1)
	v_div_fmas_f64 v[14:15], v[14:15], v[16:17], v[22:23]
	v_div_fixup_f64 v[12:13], v[14:15], v[8:9], v[12:13]
                                        ; implicit-def: $vgpr8_vgpr9
	s_and_not1_saveexec_b32 s1, s1
	s_cbranch_execnz .LBB168_1721
.LBB168_1716:
	s_or_b32 exec_lo, exec_lo, s1
	s_and_saveexec_b32 s1, s0
	s_delay_alu instid0(SALU_CYCLE_1)
	s_xor_b32 s0, exec_lo, s1
	s_cbranch_execz .LBB168_1722
.LBB168_1717:
	s_and_saveexec_b32 s1, s15
; %bb.1718:
	s_delay_alu instid0(VALU_DEP_2) | instskip(NEXT) | instid1(VALU_DEP_2)
	v_mul_f64 v[10:11], v[10:11], 0.5
	v_mul_f64 v[12:13], v[12:13], 0.5
; %bb.1719:
	s_or_b32 exec_lo, exec_lo, s1
	s_and_not1_saveexec_b32 s0, s0
	s_cbranch_execnz .LBB168_1723
	s_branch .LBB168_1724
.LBB168_1720:
	s_and_not1_saveexec_b32 s1, s1
	s_cbranch_execz .LBB168_1716
.LBB168_1721:
	v_add_f64 v[8:9], v[8:9], -v[10:11]
	s_delay_alu instid0(VALU_DEP_1) | instskip(NEXT) | instid1(VALU_DEP_1)
	v_mul_f64 v[8:9], v[8:9], 0.5
	v_cmp_gt_f64_e32 vcc_lo, 0x10000000, v[8:9]
	v_cndmask_b32_e64 v10, 0, 1, vcc_lo
	s_delay_alu instid0(VALU_DEP_1) | instskip(NEXT) | instid1(VALU_DEP_1)
	v_lshlrev_b32_e32 v10, 8, v10
	v_ldexp_f64 v[8:9], v[8:9], v10
	s_delay_alu instid0(VALU_DEP_1) | instskip(SKIP_3) | instid1(VALU_DEP_1)
	v_rsq_f64_e32 v[10:11], v[8:9]
	s_waitcnt_depctr 0xfff
	v_mul_f64 v[14:15], v[8:9], v[10:11]
	v_mul_f64 v[10:11], v[10:11], 0.5
	v_fma_f64 v[16:17], -v[10:11], v[14:15], 0.5
	s_delay_alu instid0(VALU_DEP_1) | instskip(SKIP_1) | instid1(VALU_DEP_2)
	v_fma_f64 v[14:15], v[14:15], v[16:17], v[14:15]
	v_fma_f64 v[10:11], v[10:11], v[16:17], v[10:11]
	v_fma_f64 v[16:17], -v[14:15], v[14:15], v[8:9]
	s_delay_alu instid0(VALU_DEP_1) | instskip(NEXT) | instid1(VALU_DEP_1)
	v_fma_f64 v[14:15], v[16:17], v[10:11], v[14:15]
	v_fma_f64 v[16:17], -v[14:15], v[14:15], v[8:9]
	s_delay_alu instid0(VALU_DEP_1) | instskip(SKIP_3) | instid1(VALU_DEP_3)
	v_fma_f64 v[10:11], v[16:17], v[10:11], v[14:15]
	v_cndmask_b32_e64 v14, 0, 0xffffff80, vcc_lo
	v_cmp_class_f64_e64 vcc_lo, v[8:9], 0x260
	v_and_b32_e32 v15, 0x7fffffff, v13
	v_ldexp_f64 v[10:11], v[10:11], v14
	s_delay_alu instid0(VALU_DEP_1) | instskip(NEXT) | instid1(VALU_DEP_1)
	v_dual_cndmask_b32 v9, v11, v9 :: v_dual_cndmask_b32 v8, v10, v8
	v_add_f64 v[10:11], v[8:9], v[8:9]
	v_bfi_b32 v9, 0x7fffffff, v9, v13
	v_mov_b32_e32 v14, v12
	s_delay_alu instid0(VALU_DEP_1) | instskip(SKIP_1) | instid1(VALU_DEP_2)
	v_div_scale_f64 v[16:17], null, v[10:11], v[10:11], v[14:15]
	v_div_scale_f64 v[14:15], vcc_lo, v[14:15], v[10:11], v[14:15]
	v_rcp_f64_e32 v[18:19], v[16:17]
	s_waitcnt_depctr 0xfff
	v_fma_f64 v[22:23], -v[16:17], v[18:19], 1.0
	s_delay_alu instid0(VALU_DEP_1) | instskip(NEXT) | instid1(VALU_DEP_1)
	v_fma_f64 v[18:19], v[18:19], v[22:23], v[18:19]
	v_fma_f64 v[22:23], -v[16:17], v[18:19], 1.0
	s_delay_alu instid0(VALU_DEP_1) | instskip(NEXT) | instid1(VALU_DEP_1)
	v_fma_f64 v[18:19], v[18:19], v[22:23], v[18:19]
	v_mul_f64 v[22:23], v[14:15], v[18:19]
	s_delay_alu instid0(VALU_DEP_1) | instskip(NEXT) | instid1(VALU_DEP_1)
	v_fma_f64 v[14:15], -v[16:17], v[22:23], v[14:15]
	v_div_fmas_f64 v[14:15], v[14:15], v[18:19], v[22:23]
	s_delay_alu instid0(VALU_DEP_1) | instskip(SKIP_3) | instid1(SALU_CYCLE_1)
	v_div_fixup_f64 v[10:11], v[14:15], v[10:11], |v[12:13]|
	v_dual_mov_b32 v13, v9 :: v_dual_mov_b32 v12, v8
	s_or_b32 exec_lo, exec_lo, s1
	s_and_saveexec_b32 s1, s0
	s_xor_b32 s0, exec_lo, s1
	s_cbranch_execnz .LBB168_1717
.LBB168_1722:
	s_and_not1_saveexec_b32 s0, s0
.LBB168_1723:
	s_delay_alu instid0(VALU_DEP_2) | instskip(NEXT) | instid1(VALU_DEP_2)
	v_add_f64 v[10:11], v[10:11], v[10:11]
	v_add_f64 v[12:13], v[12:13], v[12:13]
.LBB168_1724:
	s_or_b32 exec_lo, exec_lo, s0
.LBB168_1725:
	s_and_not1_saveexec_b32 s0, s14
	s_cbranch_execz .LBB168_1731
; %bb.1726:
	s_delay_alu instid0(VALU_DEP_1) | instskip(SKIP_1) | instid1(VALU_DEP_3)
	v_add_f64 v[8:9], v[12:13], -v[12:13]
	s_mov_b32 s1, exec_lo
	v_cmpx_lt_i64_e32 -1, v[10:11]
	s_xor_b32 s1, exec_lo, s1
; %bb.1727:
	s_delay_alu instid0(VALU_DEP_2) | instskip(NEXT) | instid1(VALU_DEP_1)
	v_bfi_b32 v9, 0x7fffffff, v9, v13
	v_dual_mov_b32 v13, v9 :: v_dual_mov_b32 v12, v8
                                        ; implicit-def: $vgpr8_vgpr9
; %bb.1728:
	s_and_not1_saveexec_b32 s1, s1
; %bb.1729:
	s_delay_alu instid0(VALU_DEP_1) | instskip(SKIP_1) | instid1(VALU_DEP_2)
	v_bfi_b32 v11, 0x7fffffff, v11, v13
	v_and_b32_e32 v9, 0x7fffffff, v9
	v_dual_mov_b32 v13, v11 :: v_dual_mov_b32 v12, v10
	s_delay_alu instid0(VALU_DEP_2)
	v_dual_mov_b32 v11, v9 :: v_dual_mov_b32 v10, v8
; %bb.1730:
	s_or_b32 exec_lo, exec_lo, s1
.LBB168_1731:
	s_delay_alu instid0(SALU_CYCLE_1)
	s_or_b32 exec_lo, exec_lo, s0
.LBB168_1732:
	s_and_not1_saveexec_b32 s0, s13
; %bb.1733:
	s_delay_alu instid0(VALU_DEP_1) | instskip(NEXT) | instid1(VALU_DEP_1)
	v_add_f64 v[8:9], v[12:13], -v[12:13]
	v_div_scale_f64 v[12:13], vcc_lo, v[8:9], v[8:9], v[8:9]
	s_delay_alu instid0(VALU_DEP_1) | instskip(SKIP_2) | instid1(VALU_DEP_1)
	v_rcp_f64_e32 v[14:15], v[12:13]
	s_waitcnt_depctr 0xfff
	v_fma_f64 v[16:17], -v[12:13], v[14:15], 1.0
	v_fma_f64 v[14:15], v[14:15], v[16:17], v[14:15]
	s_delay_alu instid0(VALU_DEP_1) | instskip(NEXT) | instid1(VALU_DEP_1)
	v_fma_f64 v[16:17], -v[12:13], v[14:15], 1.0
	v_fma_f64 v[14:15], v[14:15], v[16:17], v[14:15]
	s_delay_alu instid0(VALU_DEP_1) | instskip(NEXT) | instid1(VALU_DEP_1)
	v_mul_f64 v[16:17], v[12:13], v[14:15]
	v_fma_f64 v[12:13], -v[12:13], v[16:17], v[12:13]
	s_delay_alu instid0(VALU_DEP_1) | instskip(NEXT) | instid1(VALU_DEP_1)
	v_div_fmas_f64 v[12:13], v[12:13], v[14:15], v[16:17]
	v_div_fixup_f64 v[12:13], v[12:13], v[8:9], v[8:9]
; %bb.1734:
	s_or_b32 exec_lo, exec_lo, s0
	v_dual_mov_b32 v15, v11 :: v_dual_mov_b32 v14, v10
.LBB168_1735:
	s_or_b32 exec_lo, exec_lo, s9
.LBB168_1736:
	s_delay_alu instid0(SALU_CYCLE_1) | instskip(NEXT) | instid1(VALU_DEP_1)
	s_or_b32 exec_lo, exec_lo, s8
	v_cmp_gt_f64_e32 vcc_lo, 0, v[14:15]
	s_delay_alu instid0(VALU_DEP_3) | instskip(SKIP_2) | instid1(VALU_DEP_2)
	v_cmp_gt_f64_e64 s0, 0, v[12:13]
	v_xor_b32_e32 v8, 0x80000000, v15
	v_xor_b32_e32 v9, 0x80000000, v13
                                        ; implicit-def: $vgpr10_vgpr11
	v_dual_cndmask_b32 v17, v15, v8 :: v_dual_cndmask_b32 v16, v14, v14
	s_delay_alu instid0(VALU_DEP_2) | instskip(SKIP_2) | instid1(VALU_DEP_1)
	v_cndmask_b32_e64 v19, v13, v9, s0
	v_cndmask_b32_e64 v18, v12, v12, s0
	s_mov_b32 s0, exec_lo
	v_cmpx_ge_f64_e32 v[16:17], v[18:19]
	s_xor_b32 s1, exec_lo, s0
	s_cbranch_execz .LBB168_1742
; %bb.1737:
	v_cmp_neq_f64_e32 vcc_lo, 0, v[14:15]
	v_cmp_neq_f64_e64 s0, 0, v[12:13]
                                        ; implicit-def: $vgpr10_vgpr11
	s_delay_alu instid0(VALU_DEP_1) | instskip(NEXT) | instid1(SALU_CYCLE_1)
	s_or_b32 s0, vcc_lo, s0
	s_and_saveexec_b32 s8, s0
	s_delay_alu instid0(SALU_CYCLE_1)
	s_xor_b32 s0, exec_lo, s8
	s_cbranch_execz .LBB168_1739
; %bb.1738:
	v_div_scale_f64 v[8:9], null, v[14:15], v[14:15], v[12:13]
	v_div_scale_f64 v[18:19], vcc_lo, v[12:13], v[14:15], v[12:13]
	s_delay_alu instid0(VALU_DEP_2) | instskip(SKIP_2) | instid1(VALU_DEP_1)
	v_rcp_f64_e32 v[10:11], v[8:9]
	s_waitcnt_depctr 0xfff
	v_fma_f64 v[16:17], -v[8:9], v[10:11], 1.0
	v_fma_f64 v[10:11], v[10:11], v[16:17], v[10:11]
	s_delay_alu instid0(VALU_DEP_1) | instskip(NEXT) | instid1(VALU_DEP_1)
	v_fma_f64 v[16:17], -v[8:9], v[10:11], 1.0
	v_fma_f64 v[10:11], v[10:11], v[16:17], v[10:11]
	s_delay_alu instid0(VALU_DEP_1) | instskip(NEXT) | instid1(VALU_DEP_1)
	v_mul_f64 v[16:17], v[18:19], v[10:11]
	v_fma_f64 v[8:9], -v[8:9], v[16:17], v[18:19]
	s_delay_alu instid0(VALU_DEP_1) | instskip(NEXT) | instid1(VALU_DEP_1)
	v_div_fmas_f64 v[8:9], v[8:9], v[10:11], v[16:17]
	v_div_fixup_f64 v[8:9], v[8:9], v[14:15], v[12:13]
	s_delay_alu instid0(VALU_DEP_1) | instskip(NEXT) | instid1(VALU_DEP_1)
	v_fma_f64 v[10:11], v[12:13], v[8:9], v[14:15]
	v_div_scale_f64 v[12:13], null, v[10:11], v[10:11], 1.0
	v_div_scale_f64 v[18:19], vcc_lo, 1.0, v[10:11], 1.0
	s_delay_alu instid0(VALU_DEP_2) | instskip(SKIP_2) | instid1(VALU_DEP_1)
	v_rcp_f64_e32 v[14:15], v[12:13]
	s_waitcnt_depctr 0xfff
	v_fma_f64 v[16:17], -v[12:13], v[14:15], 1.0
	v_fma_f64 v[14:15], v[14:15], v[16:17], v[14:15]
	s_delay_alu instid0(VALU_DEP_1) | instskip(NEXT) | instid1(VALU_DEP_1)
	v_fma_f64 v[16:17], -v[12:13], v[14:15], 1.0
	v_fma_f64 v[14:15], v[14:15], v[16:17], v[14:15]
	s_delay_alu instid0(VALU_DEP_1) | instskip(NEXT) | instid1(VALU_DEP_1)
	v_mul_f64 v[16:17], v[18:19], v[14:15]
	v_fma_f64 v[12:13], -v[12:13], v[16:17], v[18:19]
                                        ; implicit-def: $vgpr18_vgpr19
	s_delay_alu instid0(VALU_DEP_1) | instskip(SKIP_1) | instid1(VALU_DEP_2)
	v_div_fmas_f64 v[12:13], v[12:13], v[14:15], v[16:17]
	v_fma_f64 v[14:15], v[8:9], 0, 1.0
                                        ; implicit-def: $vgpr16_vgpr17
	v_div_fixup_f64 v[10:11], v[12:13], v[10:11], 1.0
	v_add_f64 v[12:13], -v[8:9], 0
	s_delay_alu instid0(VALU_DEP_2) | instskip(NEXT) | instid1(VALU_DEP_2)
	v_mul_f64 v[8:9], v[14:15], v[10:11]
	v_mul_f64 v[10:11], v[12:13], v[10:11]
.LBB168_1739:
	s_and_not1_saveexec_b32 s8, s0
	s_cbranch_execz .LBB168_1741
; %bb.1740:
	v_div_scale_f64 v[8:9], null, v[16:17], v[16:17], 1.0
	v_div_scale_f64 v[10:11], null, v[18:19], v[18:19], 0
	v_div_scale_f64 v[28:29], vcc_lo, 1.0, v[16:17], 1.0
	s_delay_alu instid0(VALU_DEP_3) | instskip(NEXT) | instid1(VALU_DEP_2)
	v_rcp_f64_e32 v[12:13], v[8:9]
	v_rcp_f64_e32 v[14:15], v[10:11]
	s_waitcnt_depctr 0xfff
	v_fma_f64 v[22:23], -v[8:9], v[12:13], 1.0
	v_fma_f64 v[26:27], -v[10:11], v[14:15], 1.0
	s_delay_alu instid0(VALU_DEP_2) | instskip(NEXT) | instid1(VALU_DEP_2)
	v_fma_f64 v[12:13], v[12:13], v[22:23], v[12:13]
	v_fma_f64 v[14:15], v[14:15], v[26:27], v[14:15]
	s_delay_alu instid0(VALU_DEP_2) | instskip(NEXT) | instid1(VALU_DEP_2)
	v_fma_f64 v[22:23], -v[8:9], v[12:13], 1.0
	v_fma_f64 v[26:27], -v[10:11], v[14:15], 1.0
	s_delay_alu instid0(VALU_DEP_2) | instskip(SKIP_1) | instid1(VALU_DEP_3)
	v_fma_f64 v[12:13], v[12:13], v[22:23], v[12:13]
	v_div_scale_f64 v[22:23], s0, 0, v[18:19], 0
	v_fma_f64 v[14:15], v[14:15], v[26:27], v[14:15]
	s_delay_alu instid0(VALU_DEP_3) | instskip(NEXT) | instid1(VALU_DEP_2)
	v_mul_f64 v[26:27], v[28:29], v[12:13]
	v_mul_f64 v[30:31], v[22:23], v[14:15]
	s_delay_alu instid0(VALU_DEP_2) | instskip(NEXT) | instid1(VALU_DEP_2)
	v_fma_f64 v[8:9], -v[8:9], v[26:27], v[28:29]
	v_fma_f64 v[10:11], -v[10:11], v[30:31], v[22:23]
	s_delay_alu instid0(VALU_DEP_2) | instskip(SKIP_1) | instid1(VALU_DEP_2)
	v_div_fmas_f64 v[8:9], v[8:9], v[12:13], v[26:27]
	s_mov_b32 vcc_lo, s0
	v_div_fmas_f64 v[10:11], v[10:11], v[14:15], v[30:31]
	s_delay_alu instid0(VALU_DEP_2) | instskip(NEXT) | instid1(VALU_DEP_2)
	v_div_fixup_f64 v[8:9], v[8:9], v[16:17], 1.0
	v_div_fixup_f64 v[10:11], v[10:11], v[18:19], 0
.LBB168_1741:
	s_or_b32 exec_lo, exec_lo, s8
                                        ; implicit-def: $vgpr12_vgpr13
                                        ; implicit-def: $vgpr14_vgpr15
.LBB168_1742:
	s_and_not1_saveexec_b32 s0, s1
	s_cbranch_execz .LBB168_1744
; %bb.1743:
	v_div_scale_f64 v[8:9], null, v[12:13], v[12:13], v[14:15]
	v_div_scale_f64 v[18:19], vcc_lo, v[14:15], v[12:13], v[14:15]
	s_delay_alu instid0(VALU_DEP_2) | instskip(SKIP_2) | instid1(VALU_DEP_1)
	v_rcp_f64_e32 v[10:11], v[8:9]
	s_waitcnt_depctr 0xfff
	v_fma_f64 v[16:17], -v[8:9], v[10:11], 1.0
	v_fma_f64 v[10:11], v[10:11], v[16:17], v[10:11]
	s_delay_alu instid0(VALU_DEP_1) | instskip(NEXT) | instid1(VALU_DEP_1)
	v_fma_f64 v[16:17], -v[8:9], v[10:11], 1.0
	v_fma_f64 v[10:11], v[10:11], v[16:17], v[10:11]
	s_delay_alu instid0(VALU_DEP_1) | instskip(NEXT) | instid1(VALU_DEP_1)
	v_mul_f64 v[16:17], v[18:19], v[10:11]
	v_fma_f64 v[8:9], -v[8:9], v[16:17], v[18:19]
	s_delay_alu instid0(VALU_DEP_1) | instskip(NEXT) | instid1(VALU_DEP_1)
	v_div_fmas_f64 v[8:9], v[8:9], v[10:11], v[16:17]
	v_div_fixup_f64 v[8:9], v[8:9], v[12:13], v[14:15]
	s_delay_alu instid0(VALU_DEP_1) | instskip(NEXT) | instid1(VALU_DEP_1)
	v_fma_f64 v[10:11], v[14:15], v[8:9], v[12:13]
	v_div_scale_f64 v[12:13], null, v[10:11], v[10:11], 1.0
	v_div_scale_f64 v[18:19], vcc_lo, 1.0, v[10:11], 1.0
	s_delay_alu instid0(VALU_DEP_2) | instskip(SKIP_2) | instid1(VALU_DEP_1)
	v_rcp_f64_e32 v[14:15], v[12:13]
	s_waitcnt_depctr 0xfff
	v_fma_f64 v[16:17], -v[12:13], v[14:15], 1.0
	v_fma_f64 v[14:15], v[14:15], v[16:17], v[14:15]
	s_delay_alu instid0(VALU_DEP_1) | instskip(NEXT) | instid1(VALU_DEP_1)
	v_fma_f64 v[16:17], -v[12:13], v[14:15], 1.0
	v_fma_f64 v[14:15], v[14:15], v[16:17], v[14:15]
	s_delay_alu instid0(VALU_DEP_1) | instskip(NEXT) | instid1(VALU_DEP_1)
	v_mul_f64 v[16:17], v[18:19], v[14:15]
	v_fma_f64 v[12:13], -v[12:13], v[16:17], v[18:19]
	s_delay_alu instid0(VALU_DEP_1) | instskip(SKIP_1) | instid1(VALU_DEP_2)
	v_div_fmas_f64 v[12:13], v[12:13], v[14:15], v[16:17]
	v_add_f64 v[14:15], v[8:9], 0
	v_div_fixup_f64 v[10:11], v[12:13], v[10:11], 1.0
	v_fma_f64 v[12:13], v[8:9], 0, -1.0
	s_delay_alu instid0(VALU_DEP_2) | instskip(NEXT) | instid1(VALU_DEP_2)
	v_mul_f64 v[8:9], v[14:15], v[10:11]
	v_mul_f64 v[10:11], v[12:13], v[10:11]
.LBB168_1744:
	s_or_b32 exec_lo, exec_lo, s0
	v_add_nc_u32_e32 v12, s3, v21
	v_cmp_gt_i16_e32 vcc_lo, 11, v20
	s_delay_alu instid0(VALU_DEP_2) | instskip(SKIP_1) | instid1(VALU_DEP_1)
	v_ashrrev_i32_e32 v13, 31, v12
	v_add_co_u32 v12, s0, s6, v12
	v_add_co_ci_u32_e64 v13, s0, s7, v13, s0
	s_cbranch_vccnz .LBB168_1751
; %bb.1745:
	v_cmp_lt_i16_e32 vcc_lo, 25, v20
	s_mov_b32 s8, 0
	s_cbranch_vccz .LBB168_1752
; %bb.1746:
	v_cmp_lt_i16_e32 vcc_lo, 28, v20
	s_cbranch_vccz .LBB168_1753
; %bb.1747:
	v_cmp_lt_i16_e32 vcc_lo, 43, v20
	;; [unrolled: 3-line block ×3, first 2 shown]
	s_cbranch_vccz .LBB168_1757
; %bb.1749:
	v_cmp_eq_u16_e32 vcc_lo, 46, v20
	s_mov_b32 s0, 0
	s_cbranch_vccz .LBB168_1760
; %bb.1750:
	global_load_b32 v14, v[12:13], off
	s_mov_b32 s3, 0
	s_mov_b32 s6, -1
	s_waitcnt vmcnt(0)
	v_lshlrev_b32_e32 v15, 16, v14
	v_and_b32_e32 v16, 0xffff0000, v14
	s_delay_alu instid0(VALU_DEP_2) | instskip(NEXT) | instid1(VALU_DEP_2)
	v_cvt_f64_f32_e32 v[14:15], v15
	v_cvt_f64_f32_e32 v[16:17], v16
	s_branch .LBB168_1762
.LBB168_1751:
	s_mov_b32 s0, -1
	s_mov_b32 s6, 0
                                        ; implicit-def: $vgpr16_vgpr17
	s_branch .LBB168_1831
.LBB168_1752:
	s_mov_b32 s0, -1
	s_mov_b32 s6, 0
	s_mov_b32 s3, 0
                                        ; implicit-def: $vgpr16_vgpr17
	s_branch .LBB168_1795
.LBB168_1753:
	s_mov_b32 s0, -1
	s_mov_b32 s6, 0
	s_mov_b32 s3, 0
                                        ; implicit-def: $vgpr16_vgpr17
	s_branch .LBB168_1774
.LBB168_1754:
	s_mov_b32 s0, -1
	s_mov_b32 s6, 0
	s_mov_b32 s3, 0
                                        ; implicit-def: $vgpr16_vgpr17
	s_branch .LBB168_1768
.LBB168_1755:
	s_cbranch_execnz .LBB168_1758
; %bb.1756:
	s_or_b32 s10, s10, exec_lo
                                        ; implicit-def: $vgpr12_vgpr13
	s_cbranch_execz .LBB168_1701
	s_branch .LBB168_1702
.LBB168_1757:
	s_mov_b32 s0, -1
	s_mov_b32 s6, 0
	s_mov_b32 s3, 0
	s_branch .LBB168_1761
.LBB168_1758:
	s_trap 2
	s_sendmsg_rtn_b32 s0, sendmsg(MSG_RTN_GET_DOORBELL)
	s_mov_b32 ttmp2, m0
	s_waitcnt lgkmcnt(0)
	s_and_b32 s0, s0, 0x3ff
	s_delay_alu instid0(SALU_CYCLE_1) | instskip(NEXT) | instid1(SALU_CYCLE_1)
	s_bitset1_b32 s0, 10
	s_mov_b32 m0, s0
	s_sendmsg sendmsg(MSG_INTERRUPT)
	s_mov_b32 m0, ttmp2
.LBB168_1759:                           ; =>This Inner Loop Header: Depth=1
	s_sethalt 5
	s_branch .LBB168_1759
.LBB168_1760:
	s_mov_b32 s3, -1
	s_mov_b32 s6, 0
.LBB168_1761:
                                        ; implicit-def: $vgpr16_vgpr17
.LBB168_1762:
	s_and_b32 vcc_lo, exec_lo, s0
	s_cbranch_vccz .LBB168_1767
; %bb.1763:
	v_cmp_eq_u16_e32 vcc_lo, 44, v20
	s_cbranch_vccz .LBB168_1765
; %bb.1764:
	global_load_u8 v16, v[12:13], off
	s_mov_b32 s3, 0
	s_mov_b32 s6, -1
	s_mov_b64 s[0:1], 0
	s_waitcnt vmcnt(0)
	v_cmp_ne_u32_e32 vcc_lo, 0xff, v16
	v_lshlrev_b32_e32 v14, 23, v16
	s_delay_alu instid0(VALU_DEP_1) | instskip(NEXT) | instid1(VALU_DEP_1)
	v_cvt_f64_f32_e32 v[14:15], v14
	v_cndmask_b32_e32 v15, 0x7ff80000, v15, vcc_lo
	s_delay_alu instid0(VALU_DEP_2) | instskip(SKIP_1) | instid1(VALU_DEP_3)
	v_cndmask_b32_e32 v14, 0x20000000, v14, vcc_lo
	v_cmp_ne_u32_e32 vcc_lo, 0, v16
	v_cndmask_b32_e32 v15, 0x38000000, v15, vcc_lo
	s_delay_alu instid0(VALU_DEP_3)
	v_cndmask_b32_e32 v14, 0, v14, vcc_lo
	s_branch .LBB168_1766
.LBB168_1765:
	s_mov_b32 s3, -1
                                        ; implicit-def: $sgpr0_sgpr1
                                        ; implicit-def: $vgpr14_vgpr15
.LBB168_1766:
	v_dual_mov_b32 v17, s1 :: v_dual_mov_b32 v16, s0
.LBB168_1767:
	s_mov_b32 s0, 0
.LBB168_1768:
	s_delay_alu instid0(SALU_CYCLE_1)
	s_and_b32 vcc_lo, exec_lo, s0
	s_cbranch_vccz .LBB168_1773
; %bb.1769:
	v_cmp_eq_u16_e32 vcc_lo, 29, v20
	s_cbranch_vccz .LBB168_1771
; %bb.1770:
	global_load_b64 v[14:15], v[12:13], off
	s_mov_b32 s3, 0
	s_mov_b32 s6, -1
	s_mov_b64 s[0:1], 0
	s_waitcnt vmcnt(0)
	v_cvt_f64_u32_e32 v[15:16], v15
	v_cvt_f64_u32_e32 v[17:18], v14
	s_delay_alu instid0(VALU_DEP_2) | instskip(NEXT) | instid1(VALU_DEP_1)
	v_ldexp_f64 v[15:16], v[15:16], 32
	v_add_f64 v[14:15], v[15:16], v[17:18]
	s_branch .LBB168_1772
.LBB168_1771:
	s_mov_b32 s3, -1
                                        ; implicit-def: $sgpr0_sgpr1
                                        ; implicit-def: $vgpr14_vgpr15
.LBB168_1772:
	v_dual_mov_b32 v17, s1 :: v_dual_mov_b32 v16, s0
.LBB168_1773:
	s_mov_b32 s0, 0
.LBB168_1774:
	s_delay_alu instid0(SALU_CYCLE_1)
	s_and_b32 vcc_lo, exec_lo, s0
	s_cbranch_vccz .LBB168_1794
; %bb.1775:
	v_cmp_gt_i16_e32 vcc_lo, 27, v20
	s_cbranch_vccnz .LBB168_1778
; %bb.1776:
	v_cmp_lt_i16_e32 vcc_lo, 27, v20
	s_cbranch_vccz .LBB168_1779
; %bb.1777:
	global_load_b32 v14, v[12:13], off
	s_mov_b32 s6, 0
	s_mov_b64 s[0:1], 0
	s_waitcnt vmcnt(0)
	v_cvt_f64_u32_e32 v[14:15], v14
	s_branch .LBB168_1780
.LBB168_1778:
	s_mov_b32 s6, -1
                                        ; implicit-def: $sgpr0_sgpr1
                                        ; implicit-def: $vgpr14_vgpr15
	s_branch .LBB168_1783
.LBB168_1779:
	s_mov_b32 s6, -1
                                        ; implicit-def: $sgpr0_sgpr1
                                        ; implicit-def: $vgpr14_vgpr15
.LBB168_1780:
	s_delay_alu instid0(SALU_CYCLE_1)
	s_and_not1_b32 vcc_lo, exec_lo, s6
	s_cbranch_vccnz .LBB168_1782
; %bb.1781:
	global_load_u16 v14, v[12:13], off
	s_mov_b64 s[0:1], 0
	s_waitcnt vmcnt(0)
	v_cvt_f64_u32_e32 v[14:15], v14
.LBB168_1782:
	s_mov_b32 s6, 0
.LBB168_1783:
	v_dual_mov_b32 v17, s1 :: v_dual_mov_b32 v16, s0
	s_and_not1_b32 vcc_lo, exec_lo, s6
	s_cbranch_vccnz .LBB168_1793
; %bb.1784:
	global_load_u8 v18, v[12:13], off
	s_mov_b32 s9, 0
	s_mov_b32 s13, exec_lo
                                        ; implicit-def: $sgpr0_sgpr1
                                        ; implicit-def: $sgpr6_sgpr7
	s_waitcnt vmcnt(0)
	v_cmpx_lt_i16_e32 0x7f, v18
	s_xor_b32 s13, exec_lo, s13
	s_cbranch_execz .LBB168_1788
; %bb.1785:
	s_mov_b32 s9, -1
	s_mov_b32 s14, exec_lo
                                        ; implicit-def: $sgpr0_sgpr1
                                        ; implicit-def: $sgpr6_sgpr7
	v_cmpx_eq_u16_e32 0x80, v18
; %bb.1786:
	s_mov_b64 s[0:1], 0
	s_mov_b32 s7, 0x7ff80000
	s_brev_b32 s6, 4
	s_xor_b32 s9, exec_lo, -1
; %bb.1787:
	s_or_b32 exec_lo, exec_lo, s14
	s_delay_alu instid0(SALU_CYCLE_1)
	s_and_b32 s9, s9, exec_lo
.LBB168_1788:
	s_or_saveexec_b32 s13, s13
	v_dual_mov_b32 v17, s1 :: v_dual_mov_b32 v16, s0
	v_dual_mov_b32 v15, s7 :: v_dual_mov_b32 v14, s6
	s_xor_b32 exec_lo, exec_lo, s13
; %bb.1789:
	v_mov_b32_e32 v16, 0
	v_mov_b32_e32 v17, 0
	v_cmp_ne_u16_e32 vcc_lo, 0, v18
	s_delay_alu instid0(VALU_DEP_3) | instskip(SKIP_1) | instid1(VALU_DEP_3)
	v_mov_b32_e32 v14, v16
	s_and_not1_b32 s0, s9, exec_lo
	v_mov_b32_e32 v15, v17
	s_and_b32 s1, vcc_lo, exec_lo
	s_delay_alu instid0(SALU_CYCLE_1)
	s_or_b32 s9, s0, s1
; %bb.1790:
	s_or_b32 exec_lo, exec_lo, s13
	s_and_saveexec_b32 s0, s9
	s_cbranch_execz .LBB168_1792
; %bb.1791:
	v_and_b32_e32 v14, 0xffff, v18
	v_lshlrev_b32_e32 v18, 24, v18
	s_delay_alu instid0(VALU_DEP_2) | instskip(NEXT) | instid1(VALU_DEP_1)
	v_and_b32_e32 v15, 7, v14
	v_clz_i32_u32_e32 v16, v15
	s_delay_alu instid0(VALU_DEP_1) | instskip(NEXT) | instid1(VALU_DEP_1)
	v_min_u32_e32 v16, 32, v16
	v_subrev_nc_u32_e32 v17, 28, v16
	v_sub_nc_u32_e32 v16, 29, v16
	s_delay_alu instid0(VALU_DEP_2) | instskip(SKIP_1) | instid1(VALU_DEP_2)
	v_lshlrev_b32_e32 v17, v17, v14
	v_bfe_u32 v14, v14, 3, 4
	v_and_b32_e32 v17, 7, v17
	s_delay_alu instid0(VALU_DEP_2) | instskip(NEXT) | instid1(VALU_DEP_2)
	v_cmp_eq_u32_e32 vcc_lo, 0, v14
	v_dual_cndmask_b32 v14, v14, v16 :: v_dual_cndmask_b32 v15, v15, v17
	v_and_b32_e32 v16, 0x80000000, v18
	s_delay_alu instid0(VALU_DEP_2) | instskip(NEXT) | instid1(VALU_DEP_3)
	v_lshl_add_u32 v14, v14, 23, 0x3b800000
	v_lshlrev_b32_e32 v15, 20, v15
	s_delay_alu instid0(VALU_DEP_1) | instskip(SKIP_2) | instid1(VALU_DEP_3)
	v_or3_b32 v14, v16, v14, v15
	v_mov_b32_e32 v16, 0
	v_mov_b32_e32 v17, 0
	v_cvt_f64_f32_e32 v[14:15], v14
.LBB168_1792:
	s_or_b32 exec_lo, exec_lo, s0
.LBB168_1793:
	s_mov_b32 s6, -1
.LBB168_1794:
	s_mov_b32 s0, 0
.LBB168_1795:
	s_delay_alu instid0(SALU_CYCLE_1)
	s_and_b32 vcc_lo, exec_lo, s0
	s_cbranch_vccz .LBB168_1827
; %bb.1796:
	v_cmp_lt_i16_e32 vcc_lo, 22, v20
	s_cbranch_vccz .LBB168_1808
; %bb.1797:
	v_cmp_gt_i16_e32 vcc_lo, 24, v20
	s_cbranch_vccnz .LBB168_1809
; %bb.1798:
	v_cmp_lt_i16_e32 vcc_lo, 24, v20
	s_cbranch_vccz .LBB168_1810
; %bb.1799:
	global_load_u8 v18, v[12:13], off
	s_mov_b32 s9, exec_lo
                                        ; implicit-def: $sgpr0_sgpr1
                                        ; implicit-def: $sgpr6_sgpr7
	s_waitcnt vmcnt(0)
	v_cmpx_lt_i16_e32 0x7f, v18
	s_xor_b32 s9, exec_lo, s9
	s_cbranch_execz .LBB168_1803
; %bb.1800:
	s_mov_b32 s8, -1
	s_mov_b32 s13, exec_lo
                                        ; implicit-def: $sgpr0_sgpr1
                                        ; implicit-def: $sgpr6_sgpr7
	v_cmpx_eq_u16_e32 0x80, v18
; %bb.1801:
	s_mov_b64 s[0:1], 0
	s_mov_b32 s7, 0x7ff80000
	s_brev_b32 s6, 4
	s_xor_b32 s8, exec_lo, -1
; %bb.1802:
	s_or_b32 exec_lo, exec_lo, s13
	s_delay_alu instid0(SALU_CYCLE_1)
	s_and_b32 s8, s8, exec_lo
.LBB168_1803:
	s_or_saveexec_b32 s9, s9
	v_dual_mov_b32 v17, s1 :: v_dual_mov_b32 v16, s0
	v_dual_mov_b32 v15, s7 :: v_dual_mov_b32 v14, s6
	s_xor_b32 exec_lo, exec_lo, s9
; %bb.1804:
	v_mov_b32_e32 v16, 0
	v_mov_b32_e32 v17, 0
	v_cmp_ne_u16_e32 vcc_lo, 0, v18
	s_delay_alu instid0(VALU_DEP_3) | instskip(SKIP_1) | instid1(VALU_DEP_3)
	v_mov_b32_e32 v14, v16
	s_and_not1_b32 s0, s8, exec_lo
	v_mov_b32_e32 v15, v17
	s_and_b32 s1, vcc_lo, exec_lo
	s_delay_alu instid0(SALU_CYCLE_1)
	s_or_b32 s8, s0, s1
; %bb.1805:
	s_or_b32 exec_lo, exec_lo, s9
	s_and_saveexec_b32 s0, s8
	s_cbranch_execz .LBB168_1807
; %bb.1806:
	v_and_b32_e32 v14, 0xffff, v18
	v_lshlrev_b32_e32 v18, 24, v18
	s_delay_alu instid0(VALU_DEP_2) | instskip(NEXT) | instid1(VALU_DEP_1)
	v_and_b32_e32 v15, 3, v14
	v_clz_i32_u32_e32 v16, v15
	s_delay_alu instid0(VALU_DEP_1) | instskip(NEXT) | instid1(VALU_DEP_1)
	v_min_u32_e32 v16, 32, v16
	v_subrev_nc_u32_e32 v17, 29, v16
	v_sub_nc_u32_e32 v16, 30, v16
	s_delay_alu instid0(VALU_DEP_2) | instskip(SKIP_1) | instid1(VALU_DEP_2)
	v_lshlrev_b32_e32 v17, v17, v14
	v_bfe_u32 v14, v14, 2, 5
	v_and_b32_e32 v17, 3, v17
	s_delay_alu instid0(VALU_DEP_2) | instskip(NEXT) | instid1(VALU_DEP_2)
	v_cmp_eq_u32_e32 vcc_lo, 0, v14
	v_dual_cndmask_b32 v14, v14, v16 :: v_dual_cndmask_b32 v15, v15, v17
	v_and_b32_e32 v16, 0x80000000, v18
	s_delay_alu instid0(VALU_DEP_2) | instskip(NEXT) | instid1(VALU_DEP_3)
	v_lshl_add_u32 v14, v14, 23, 0x37800000
	v_lshlrev_b32_e32 v15, 21, v15
	s_delay_alu instid0(VALU_DEP_1) | instskip(SKIP_2) | instid1(VALU_DEP_3)
	v_or3_b32 v14, v16, v14, v15
	v_mov_b32_e32 v16, 0
	v_mov_b32_e32 v17, 0
	v_cvt_f64_f32_e32 v[14:15], v14
.LBB168_1807:
	s_or_b32 exec_lo, exec_lo, s0
	s_mov_b32 s0, 0
	s_branch .LBB168_1811
.LBB168_1808:
	s_mov_b32 s0, -1
                                        ; implicit-def: $vgpr16_vgpr17
	s_branch .LBB168_1817
.LBB168_1809:
	s_mov_b32 s0, -1
                                        ; implicit-def: $vgpr16_vgpr17
	s_branch .LBB168_1814
.LBB168_1810:
	s_mov_b32 s0, -1
                                        ; implicit-def: $vgpr16_vgpr17
.LBB168_1811:
	s_delay_alu instid0(SALU_CYCLE_1)
	s_and_b32 vcc_lo, exec_lo, s0
	s_cbranch_vccz .LBB168_1813
; %bb.1812:
	global_load_u8 v14, v[12:13], off
	s_waitcnt vmcnt(0)
	v_lshlrev_b32_e32 v14, 24, v14
	s_delay_alu instid0(VALU_DEP_1) | instskip(NEXT) | instid1(VALU_DEP_1)
	v_and_b32_e32 v15, 0x7f000000, v14
	v_clz_i32_u32_e32 v16, v15
	v_add_nc_u32_e32 v18, 0x1000000, v15
	v_cmp_ne_u32_e32 vcc_lo, 0, v15
	s_delay_alu instid0(VALU_DEP_3) | instskip(NEXT) | instid1(VALU_DEP_1)
	v_min_u32_e32 v16, 32, v16
	v_sub_nc_u32_e64 v16, v16, 4 clamp
	s_delay_alu instid0(VALU_DEP_1) | instskip(SKIP_1) | instid1(VALU_DEP_2)
	v_lshlrev_b32_e32 v17, v16, v15
	v_lshlrev_b32_e32 v16, 23, v16
	v_lshrrev_b32_e32 v17, 4, v17
	s_delay_alu instid0(VALU_DEP_1) | instskip(SKIP_1) | instid1(VALU_DEP_2)
	v_sub_nc_u32_e32 v16, v17, v16
	v_ashrrev_i32_e32 v17, 8, v18
	v_add_nc_u32_e32 v16, 0x3c000000, v16
	s_delay_alu instid0(VALU_DEP_1) | instskip(NEXT) | instid1(VALU_DEP_1)
	v_and_or_b32 v16, 0x7f800000, v17, v16
	v_dual_cndmask_b32 v15, 0, v16 :: v_dual_mov_b32 v16, 0
	v_mov_b32_e32 v17, 0
	s_delay_alu instid0(VALU_DEP_2) | instskip(NEXT) | instid1(VALU_DEP_1)
	v_and_or_b32 v14, 0x80000000, v14, v15
	v_cvt_f64_f32_e32 v[14:15], v14
.LBB168_1813:
	s_mov_b32 s0, 0
.LBB168_1814:
	s_delay_alu instid0(SALU_CYCLE_1)
	s_and_not1_b32 vcc_lo, exec_lo, s0
	s_cbranch_vccnz .LBB168_1816
; %bb.1815:
	global_load_u8 v14, v[12:13], off
	s_waitcnt vmcnt(0)
	v_lshlrev_b32_e32 v15, 25, v14
	v_lshlrev_b16 v14, 8, v14
	s_delay_alu instid0(VALU_DEP_2) | instskip(NEXT) | instid1(VALU_DEP_2)
	v_lshrrev_b32_e32 v16, 4, v15
	v_and_or_b32 v17, 0x7f00, v14, 0.5
	v_bfe_i32 v14, v14, 0, 16
	s_delay_alu instid0(VALU_DEP_3) | instskip(NEXT) | instid1(VALU_DEP_1)
	v_or_b32_e32 v16, 0x70000000, v16
	v_dual_add_f32 v17, -0.5, v17 :: v_dual_mul_f32 v16, 0x7800000, v16
	v_cmp_gt_u32_e32 vcc_lo, 0x8000000, v15
	s_delay_alu instid0(VALU_DEP_2) | instskip(SKIP_1) | instid1(VALU_DEP_2)
	v_dual_cndmask_b32 v15, v16, v17 :: v_dual_mov_b32 v16, 0
	v_mov_b32_e32 v17, 0
	v_and_or_b32 v14, 0x80000000, v14, v15
	s_delay_alu instid0(VALU_DEP_1)
	v_cvt_f64_f32_e32 v[14:15], v14
.LBB168_1816:
	s_mov_b32 s0, 0
	s_mov_b32 s6, -1
.LBB168_1817:
	s_and_not1_b32 vcc_lo, exec_lo, s0
	s_mov_b32 s8, 0
	s_cbranch_vccnz .LBB168_1827
; %bb.1818:
	v_cmp_lt_i16_e32 vcc_lo, 14, v20
	s_cbranch_vccz .LBB168_1821
; %bb.1819:
	v_cmp_eq_u16_e32 vcc_lo, 15, v20
	s_cbranch_vccz .LBB168_1822
; %bb.1820:
	global_load_u16 v14, v[12:13], off
	s_mov_b32 s3, 0
	s_mov_b32 s6, -1
	s_mov_b64 s[0:1], 0
	s_waitcnt vmcnt(0)
	v_lshlrev_b32_e32 v14, 16, v14
	s_delay_alu instid0(VALU_DEP_1)
	v_cvt_f64_f32_e32 v[14:15], v14
	s_branch .LBB168_1823
.LBB168_1821:
	s_mov_b32 s7, -1
                                        ; implicit-def: $sgpr0_sgpr1
                                        ; implicit-def: $vgpr14_vgpr15
	s_branch .LBB168_1824
.LBB168_1822:
	s_mov_b32 s3, -1
                                        ; implicit-def: $sgpr0_sgpr1
                                        ; implicit-def: $vgpr14_vgpr15
.LBB168_1823:
	s_mov_b32 s7, 0
.LBB168_1824:
	s_delay_alu instid0(SALU_CYCLE_1)
	s_and_b32 vcc_lo, exec_lo, s7
	s_cbranch_vccz .LBB168_1826
; %bb.1825:
	v_cmp_ne_u16_e64 s3, 11, v20
	s_mov_b32 s8, -1
                                        ; implicit-def: $sgpr0_sgpr1
                                        ; implicit-def: $vgpr14_vgpr15
.LBB168_1826:
	v_dual_mov_b32 v17, s1 :: v_dual_mov_b32 v16, s0
.LBB168_1827:
	s_delay_alu instid0(VALU_DEP_2)
	s_and_b32 vcc_lo, exec_lo, s3
	s_cbranch_vccnz .LBB168_2403
; %bb.1828:
	s_and_not1_b32 vcc_lo, exec_lo, s8
	s_cbranch_vccnz .LBB168_1830
.LBB168_1829:
	global_load_u8 v14, v[12:13], off
	v_mov_b32_e32 v16, 0
	v_mov_b32_e32 v17, 0
	s_mov_b32 s6, -1
	s_waitcnt vmcnt(0)
	v_cmp_ne_u16_e32 vcc_lo, 0, v14
	v_mov_b32_e32 v14, 0
	v_cndmask_b32_e64 v15, 0, 0x3ff00000, vcc_lo
.LBB168_1830:
	s_mov_b32 s0, 0
.LBB168_1831:
	s_delay_alu instid0(SALU_CYCLE_1)
	s_and_b32 vcc_lo, exec_lo, s0
	s_cbranch_vccz .LBB168_1882
; %bb.1832:
	v_cmp_gt_i16_e32 vcc_lo, 5, v20
	s_cbranch_vccnz .LBB168_1837
; %bb.1833:
	v_cmp_gt_i16_e32 vcc_lo, 8, v20
	s_cbranch_vccnz .LBB168_1838
	;; [unrolled: 3-line block ×3, first 2 shown]
; %bb.1835:
	v_cmp_lt_i16_e32 vcc_lo, 9, v20
	s_cbranch_vccz .LBB168_1840
; %bb.1836:
	global_load_b128 v[14:17], v[12:13], off
	s_mov_b32 s0, 0
	s_branch .LBB168_1841
.LBB168_1837:
	s_mov_b32 s0, -1
                                        ; implicit-def: $vgpr16_vgpr17
	s_branch .LBB168_1860
.LBB168_1838:
	s_mov_b32 s0, -1
                                        ; implicit-def: $vgpr16_vgpr17
	s_branch .LBB168_1847
.LBB168_1839:
	s_mov_b32 s0, -1
                                        ; implicit-def: $vgpr16_vgpr17
	s_branch .LBB168_1844
.LBB168_1840:
	s_mov_b32 s0, -1
                                        ; implicit-def: $vgpr16_vgpr17
.LBB168_1841:
	s_delay_alu instid0(SALU_CYCLE_1)
	s_and_not1_b32 vcc_lo, exec_lo, s0
	s_cbranch_vccnz .LBB168_1843
; %bb.1842:
	global_load_b64 v[15:16], v[12:13], off
	s_waitcnt vmcnt(0)
	v_cvt_f64_f32_e32 v[14:15], v15
	v_cvt_f64_f32_e32 v[16:17], v16
.LBB168_1843:
	s_mov_b32 s0, 0
.LBB168_1844:
	s_delay_alu instid0(SALU_CYCLE_1)
	s_and_not1_b32 vcc_lo, exec_lo, s0
	s_cbranch_vccnz .LBB168_1846
; %bb.1845:
	global_load_b32 v14, v[12:13], off
	s_waitcnt vmcnt(0)
	v_lshrrev_b32_e32 v15, 16, v14
	v_cvt_f32_f16_e32 v14, v14
	s_delay_alu instid0(VALU_DEP_2) | instskip(NEXT) | instid1(VALU_DEP_2)
	v_cvt_f32_f16_e32 v16, v15
	v_cvt_f64_f32_e32 v[14:15], v14
	s_delay_alu instid0(VALU_DEP_2)
	v_cvt_f64_f32_e32 v[16:17], v16
.LBB168_1846:
	s_mov_b32 s0, 0
.LBB168_1847:
	s_delay_alu instid0(SALU_CYCLE_1)
	s_and_not1_b32 vcc_lo, exec_lo, s0
	s_cbranch_vccnz .LBB168_1859
; %bb.1848:
	v_cmp_gt_i16_e32 vcc_lo, 6, v20
	s_cbranch_vccnz .LBB168_1851
; %bb.1849:
	v_cmp_lt_i16_e32 vcc_lo, 6, v20
	s_cbranch_vccz .LBB168_1852
; %bb.1850:
	global_load_b64 v[14:15], v[12:13], off
	s_mov_b32 s3, 0
	s_mov_b64 s[0:1], 0
	s_branch .LBB168_1853
.LBB168_1851:
	s_mov_b32 s3, -1
                                        ; implicit-def: $sgpr0_sgpr1
                                        ; implicit-def: $vgpr14_vgpr15
	s_branch .LBB168_1856
.LBB168_1852:
	s_mov_b32 s3, -1
                                        ; implicit-def: $sgpr0_sgpr1
                                        ; implicit-def: $vgpr14_vgpr15
.LBB168_1853:
	s_delay_alu instid0(SALU_CYCLE_1)
	s_and_not1_b32 vcc_lo, exec_lo, s3
	s_cbranch_vccnz .LBB168_1855
; %bb.1854:
	global_load_b32 v14, v[12:13], off
	s_mov_b64 s[0:1], 0
	s_waitcnt vmcnt(0)
	v_cvt_f64_f32_e32 v[14:15], v14
.LBB168_1855:
	s_mov_b32 s3, 0
.LBB168_1856:
	s_delay_alu instid0(SALU_CYCLE_1)
	s_and_not1_b32 vcc_lo, exec_lo, s3
	s_cbranch_vccnz .LBB168_1858
; %bb.1857:
	global_load_u16 v14, v[12:13], off
	s_mov_b64 s[0:1], 0
	s_waitcnt vmcnt(0)
	v_cvt_f32_f16_e32 v14, v14
	s_delay_alu instid0(VALU_DEP_1)
	v_cvt_f64_f32_e32 v[14:15], v14
.LBB168_1858:
	s_waitcnt vmcnt(0)
	v_dual_mov_b32 v17, s1 :: v_dual_mov_b32 v16, s0
.LBB168_1859:
	s_mov_b32 s0, 0
.LBB168_1860:
	s_delay_alu instid0(SALU_CYCLE_1)
	s_and_not1_b32 vcc_lo, exec_lo, s0
	s_cbranch_vccnz .LBB168_1881
; %bb.1861:
	v_cmp_gt_i16_e32 vcc_lo, 2, v20
	s_cbranch_vccnz .LBB168_1865
; %bb.1862:
	v_cmp_gt_i16_e32 vcc_lo, 3, v20
	s_cbranch_vccnz .LBB168_1866
; %bb.1863:
	v_cmp_lt_i16_e32 vcc_lo, 3, v20
	s_cbranch_vccz .LBB168_1867
; %bb.1864:
	global_load_b64 v[14:15], v[12:13], off
	s_mov_b32 s3, 0
	s_mov_b64 s[0:1], 0
	s_waitcnt vmcnt(0)
	v_cvt_f64_i32_e32 v[15:16], v15
	v_cvt_f64_u32_e32 v[17:18], v14
	s_delay_alu instid0(VALU_DEP_2) | instskip(NEXT) | instid1(VALU_DEP_1)
	v_ldexp_f64 v[15:16], v[15:16], 32
	v_add_f64 v[14:15], v[15:16], v[17:18]
	s_branch .LBB168_1868
.LBB168_1865:
	s_mov_b32 s3, -1
                                        ; implicit-def: $sgpr0_sgpr1
                                        ; implicit-def: $vgpr14_vgpr15
	s_branch .LBB168_1874
.LBB168_1866:
	s_mov_b32 s3, -1
                                        ; implicit-def: $sgpr0_sgpr1
                                        ; implicit-def: $vgpr14_vgpr15
	s_branch .LBB168_1871
.LBB168_1867:
	s_mov_b32 s3, -1
                                        ; implicit-def: $sgpr0_sgpr1
                                        ; implicit-def: $vgpr14_vgpr15
.LBB168_1868:
	s_delay_alu instid0(SALU_CYCLE_1)
	s_and_not1_b32 vcc_lo, exec_lo, s3
	s_cbranch_vccnz .LBB168_1870
; %bb.1869:
	global_load_b32 v14, v[12:13], off
	s_mov_b64 s[0:1], 0
	s_waitcnt vmcnt(0)
	v_cvt_f64_i32_e32 v[14:15], v14
.LBB168_1870:
	s_mov_b32 s3, 0
.LBB168_1871:
	s_delay_alu instid0(SALU_CYCLE_1)
	s_and_not1_b32 vcc_lo, exec_lo, s3
	s_cbranch_vccnz .LBB168_1873
; %bb.1872:
	global_load_i16 v14, v[12:13], off
	s_mov_b64 s[0:1], 0
	s_waitcnt vmcnt(0)
	v_cvt_f64_i32_e32 v[14:15], v14
.LBB168_1873:
	s_mov_b32 s3, 0
.LBB168_1874:
	s_delay_alu instid0(SALU_CYCLE_1)
	s_and_not1_b32 vcc_lo, exec_lo, s3
	s_cbranch_vccnz .LBB168_1880
; %bb.1875:
	v_cmp_lt_i16_e32 vcc_lo, 0, v20
	s_mov_b32 s3, 0
	s_cbranch_vccz .LBB168_1877
; %bb.1876:
	global_load_i8 v14, v[12:13], off
	s_mov_b64 s[0:1], 0
	s_waitcnt vmcnt(0)
	v_cvt_f64_i32_e32 v[14:15], v14
	s_branch .LBB168_1878
.LBB168_1877:
	s_mov_b32 s3, -1
                                        ; implicit-def: $sgpr0_sgpr1
                                        ; implicit-def: $vgpr14_vgpr15
.LBB168_1878:
	s_delay_alu instid0(SALU_CYCLE_1)
	s_and_not1_b32 vcc_lo, exec_lo, s3
	s_cbranch_vccnz .LBB168_1880
; %bb.1879:
	global_load_u8 v12, v[12:13], off
	s_mov_b64 s[0:1], 0
	s_waitcnt vmcnt(0)
	v_cvt_f64_u32_e32 v[14:15], v12
.LBB168_1880:
	s_waitcnt vmcnt(0)
	v_dual_mov_b32 v17, s1 :: v_dual_mov_b32 v16, s0
.LBB168_1881:
	s_mov_b32 s6, -1
.LBB168_1882:
	s_delay_alu instid0(SALU_CYCLE_1)
	s_and_not1_b32 vcc_lo, exec_lo, s6
	s_cbranch_vccnz .LBB168_1899
; %bb.1883:
	s_waitcnt vmcnt(0)
	s_delay_alu instid0(VALU_DEP_1) | instskip(NEXT) | instid1(VALU_DEP_2)
	v_cmp_neq_f64_e32 vcc_lo, 0, v[14:15]
	v_cmp_neq_f64_e64 s0, 0, v[16:17]
	v_mov_b32_e32 v18, 0
	v_mov_b32_e32 v19, 0
	s_delay_alu instid0(VALU_DEP_3) | instskip(NEXT) | instid1(SALU_CYCLE_1)
	s_or_b32 s0, vcc_lo, s0
	s_and_saveexec_b32 s3, s0
	s_cbranch_execz .LBB168_1960
; %bb.1884:
	s_mov_b32 s0, 0
	s_mov_b32 s1, 0x7ff00000
	v_mov_b32_e32 v18, s0
	v_mov_b32_e32 v19, s1
	s_mov_b32 s6, exec_lo
	v_cmpx_neq_f64_e64 0x7ff00000, |v[16:17]|
	s_cbranch_execz .LBB168_1959
; %bb.1885:
	s_mov_b32 s0, exec_lo
	v_cmpx_o_f64_e32 v[14:15], v[14:15]
	s_xor_b32 s7, exec_lo, s0
	s_cbranch_execz .LBB168_1956
; %bb.1886:
	s_mov_b32 s1, exec_lo
	v_cmpx_neq_f64_e64 0x7ff00000, |v[14:15]|
	s_xor_b32 s8, exec_lo, s1
	s_cbranch_execz .LBB168_1949
; %bb.1887:
	v_max_f64 v[12:13], |v[16:17]|, |v[16:17]|
	v_max_f64 v[18:19], |v[14:15]|, |v[14:15]|
	s_mov_b32 s0, 0x99fcef32
	s_mov_b32 s1, 0x7fda8279
                                        ; implicit-def: $sgpr9
	s_delay_alu instid0(VALU_DEP_1) | instskip(NEXT) | instid1(VALU_DEP_1)
	v_max_f64 v[12:13], v[18:19], v[12:13]
	v_cmp_nle_f64_e64 s0, s[0:1], v[12:13]
	s_delay_alu instid0(VALU_DEP_1) | instskip(NEXT) | instid1(SALU_CYCLE_1)
	s_and_saveexec_b32 s1, s0
	s_xor_b32 s1, exec_lo, s1
	s_cbranch_execz .LBB168_1891
; %bb.1888:
	v_cmp_ge_f64_e64 s9, 0x200000, |v[14:15]|
	v_cmp_ge_f64_e64 s13, 0x200000, |v[16:17]|
	s_delay_alu instid0(VALU_DEP_1)
	s_and_b32 s14, s9, s13
	s_mov_b32 s9, 0
	s_and_saveexec_b32 s13, s14
; %bb.1889:
	v_mul_f64 v[14:15], v[14:15], 4.0
	v_mul_f64 v[16:17], v[16:17], 4.0
	s_mov_b32 s9, exec_lo
; %bb.1890:
	s_or_b32 exec_lo, exec_lo, s13
	s_delay_alu instid0(SALU_CYCLE_1)
	s_and_b32 s9, s9, exec_lo
.LBB168_1891:
	s_and_not1_saveexec_b32 s1, s1
; %bb.1892:
	s_delay_alu instid0(VALU_DEP_2) | instskip(NEXT) | instid1(VALU_DEP_2)
	v_ldexp_f64 v[14:15], v[14:15], -2
	v_ldexp_f64 v[16:17], v[16:17], -2
	s_and_not1_b32 s9, s9, exec_lo
; %bb.1893:
	s_or_b32 exec_lo, exec_lo, s1
	s_delay_alu instid0(VALU_DEP_1) | instskip(NEXT) | instid1(VALU_DEP_3)
	v_max_f64 v[12:13], |v[16:17]|, |v[16:17]|
	v_max_f64 v[18:19], |v[14:15]|, |v[14:15]|
	v_cmp_class_f64_e64 s13, v[14:15], 0x204
	v_cmp_class_f64_e64 s14, v[16:17], 0x204
	v_cmp_le_f64_e64 s1, 0, v[14:15]
	s_delay_alu instid0(VALU_DEP_4) | instskip(NEXT) | instid1(VALU_DEP_3)
	v_max_f64 v[12:13], v[18:19], v[12:13]
	s_or_b32 s13, s14, s13
	s_delay_alu instid0(VALU_DEP_1) | instskip(NEXT) | instid1(VALU_DEP_1)
	v_frexp_exp_i32_f64_e32 v26, v[12:13]
	v_sub_nc_u32_e32 v18, 0, v26
	s_delay_alu instid0(VALU_DEP_1) | instskip(SKIP_1) | instid1(VALU_DEP_2)
	v_ldexp_f64 v[12:13], |v[16:17]|, v18
	v_ldexp_f64 v[18:19], |v[14:15]|, v18
	v_mul_f64 v[12:13], v[12:13], v[12:13]
	s_delay_alu instid0(VALU_DEP_1) | instskip(NEXT) | instid1(VALU_DEP_1)
	v_fma_f64 v[12:13], v[18:19], v[18:19], v[12:13]
	v_rsq_f64_e32 v[18:19], v[12:13]
	v_cmp_eq_f64_e32 vcc_lo, 0, v[12:13]
	s_waitcnt_depctr 0xfff
	v_mul_f64 v[20:21], v[12:13], v[18:19]
	v_mul_f64 v[18:19], v[18:19], 0.5
	s_delay_alu instid0(VALU_DEP_1) | instskip(NEXT) | instid1(VALU_DEP_1)
	v_fma_f64 v[22:23], -v[18:19], v[20:21], 0.5
	v_fma_f64 v[20:21], v[20:21], v[22:23], v[20:21]
	v_fma_f64 v[18:19], v[18:19], v[22:23], v[18:19]
	s_delay_alu instid0(VALU_DEP_2) | instskip(NEXT) | instid1(VALU_DEP_1)
	v_fma_f64 v[22:23], -v[20:21], v[20:21], v[12:13]
	v_fma_f64 v[18:19], v[22:23], v[18:19], v[20:21]
	s_delay_alu instid0(VALU_DEP_1) | instskip(SKIP_1) | instid1(VALU_DEP_2)
	v_dual_cndmask_b32 v13, v19, v13 :: v_dual_cndmask_b32 v12, v18, v12
	v_cmp_o_f64_e32 vcc_lo, v[16:17], v[16:17]
	v_ldexp_f64 v[12:13], v[12:13], v26
	s_delay_alu instid0(VALU_DEP_1) | instskip(NEXT) | instid1(VALU_DEP_2)
	v_cndmask_b32_e32 v12, 0, v12, vcc_lo
	v_cndmask_b32_e32 v13, 0x7ff80000, v13, vcc_lo
	s_delay_alu instid0(VALU_DEP_2) | instskip(NEXT) | instid1(VALU_DEP_2)
	v_cndmask_b32_e64 v12, v12, 0, s13
	v_cndmask_b32_e64 v13, v13, 0x7ff00000, s13
	s_and_saveexec_b32 s13, s1
	s_delay_alu instid0(SALU_CYCLE_1)
	s_xor_b32 s1, exec_lo, s13
	s_cbranch_execz .LBB168_1944
; %bb.1894:
	s_delay_alu instid0(VALU_DEP_1) | instskip(NEXT) | instid1(VALU_DEP_1)
	v_add_f64 v[12:13], v[14:15], v[12:13]
	v_mul_f64 v[12:13], v[12:13], 0.5
	s_delay_alu instid0(VALU_DEP_1) | instskip(SKIP_1) | instid1(VALU_DEP_1)
	v_cmp_gt_f64_e32 vcc_lo, 0x10000000, v[12:13]
	v_cndmask_b32_e64 v14, 0, 1, vcc_lo
	v_lshlrev_b32_e32 v14, 8, v14
	s_delay_alu instid0(VALU_DEP_1) | instskip(NEXT) | instid1(VALU_DEP_1)
	v_ldexp_f64 v[12:13], v[12:13], v14
	v_rsq_f64_e32 v[14:15], v[12:13]
	s_waitcnt_depctr 0xfff
	v_mul_f64 v[18:19], v[12:13], v[14:15]
	v_mul_f64 v[14:15], v[14:15], 0.5
	s_delay_alu instid0(VALU_DEP_1) | instskip(NEXT) | instid1(VALU_DEP_1)
	v_fma_f64 v[20:21], -v[14:15], v[18:19], 0.5
	v_fma_f64 v[18:19], v[18:19], v[20:21], v[18:19]
	v_fma_f64 v[14:15], v[14:15], v[20:21], v[14:15]
	s_delay_alu instid0(VALU_DEP_2) | instskip(NEXT) | instid1(VALU_DEP_1)
	v_fma_f64 v[20:21], -v[18:19], v[18:19], v[12:13]
	v_fma_f64 v[18:19], v[20:21], v[14:15], v[18:19]
	s_delay_alu instid0(VALU_DEP_1) | instskip(NEXT) | instid1(VALU_DEP_1)
	v_fma_f64 v[20:21], -v[18:19], v[18:19], v[12:13]
	v_fma_f64 v[14:15], v[20:21], v[14:15], v[18:19]
	v_cndmask_b32_e64 v18, 0, 0xffffff80, vcc_lo
	v_cmp_class_f64_e64 vcc_lo, v[12:13], 0x260
	s_delay_alu instid0(VALU_DEP_2) | instskip(NEXT) | instid1(VALU_DEP_1)
	v_ldexp_f64 v[14:15], v[14:15], v18
	v_dual_cndmask_b32 v15, v15, v13 :: v_dual_cndmask_b32 v14, v14, v12
	s_delay_alu instid0(VALU_DEP_1) | instskip(NEXT) | instid1(VALU_DEP_1)
	v_add_f64 v[12:13], v[14:15], v[14:15]
	v_div_scale_f64 v[18:19], null, v[12:13], v[12:13], v[16:17]
	s_delay_alu instid0(VALU_DEP_1) | instskip(SKIP_2) | instid1(VALU_DEP_1)
	v_rcp_f64_e32 v[20:21], v[18:19]
	s_waitcnt_depctr 0xfff
	v_fma_f64 v[22:23], -v[18:19], v[20:21], 1.0
	v_fma_f64 v[20:21], v[20:21], v[22:23], v[20:21]
	s_delay_alu instid0(VALU_DEP_1) | instskip(NEXT) | instid1(VALU_DEP_1)
	v_fma_f64 v[22:23], -v[18:19], v[20:21], 1.0
	v_fma_f64 v[20:21], v[20:21], v[22:23], v[20:21]
	v_div_scale_f64 v[22:23], vcc_lo, v[16:17], v[12:13], v[16:17]
	s_delay_alu instid0(VALU_DEP_1) | instskip(NEXT) | instid1(VALU_DEP_1)
	v_mul_f64 v[26:27], v[22:23], v[20:21]
	v_fma_f64 v[18:19], -v[18:19], v[26:27], v[22:23]
	s_delay_alu instid0(VALU_DEP_1) | instskip(NEXT) | instid1(VALU_DEP_1)
	v_div_fmas_f64 v[18:19], v[18:19], v[20:21], v[26:27]
	v_div_fixup_f64 v[16:17], v[18:19], v[12:13], v[16:17]
                                        ; implicit-def: $vgpr12_vgpr13
	s_and_not1_saveexec_b32 s1, s1
	s_cbranch_execnz .LBB168_1945
.LBB168_1895:
	s_or_b32 exec_lo, exec_lo, s1
	s_and_saveexec_b32 s1, s0
	s_delay_alu instid0(SALU_CYCLE_1)
	s_xor_b32 s0, exec_lo, s1
	s_cbranch_execz .LBB168_1946
.LBB168_1896:
	s_and_saveexec_b32 s1, s9
; %bb.1897:
	s_delay_alu instid0(VALU_DEP_2) | instskip(NEXT) | instid1(VALU_DEP_2)
	v_mul_f64 v[14:15], v[14:15], 0.5
	v_mul_f64 v[16:17], v[16:17], 0.5
; %bb.1898:
	s_or_b32 exec_lo, exec_lo, s1
	s_and_not1_saveexec_b32 s0, s0
	s_cbranch_execnz .LBB168_1947
	s_branch .LBB168_1948
.LBB168_1899:
	s_mov_b32 s0, 0
	s_mov_b32 s1, 0
                                        ; implicit-def: $vgpr18
                                        ; implicit-def: $vgpr0_vgpr1
                                        ; implicit-def: $vgpr14_vgpr15
.LBB168_1900:
	s_and_b32 s8, s0, exec_lo
	s_and_not1_b32 s0, s12, exec_lo
	s_and_b32 s2, s10, exec_lo
	s_and_b32 s10, s1, exec_lo
	s_or_b32 s12, s0, s2
.LBB168_1901:
	s_or_b32 exec_lo, exec_lo, s11
	s_and_saveexec_b32 s0, s12
	s_cbranch_execz .LBB168_1904
; %bb.1902:
	; divergent unreachable
	s_or_b32 exec_lo, exec_lo, s0
	s_and_saveexec_b32 s0, s10
	s_delay_alu instid0(SALU_CYCLE_1)
	s_xor_b32 s1, exec_lo, s0
	s_cbranch_execnz .LBB168_1905
.LBB168_1903:
	s_or_b32 exec_lo, exec_lo, s1
	s_and_saveexec_b32 s0, s8
	s_cbranch_execnz .LBB168_1906
	s_branch .LBB168_1943
.LBB168_1904:
	s_or_b32 exec_lo, exec_lo, s0
	s_and_saveexec_b32 s0, s10
	s_delay_alu instid0(SALU_CYCLE_1)
	s_xor_b32 s1, exec_lo, s0
	s_cbranch_execz .LBB168_1903
.LBB168_1905:
	s_waitcnt vmcnt(0)
	s_delay_alu instid0(VALU_DEP_1) | instskip(NEXT) | instid1(VALU_DEP_2)
	v_cmp_neq_f64_e32 vcc_lo, 0, v[12:13]
	v_cmp_neq_f64_e64 s0, 0, v[14:15]
	s_delay_alu instid0(VALU_DEP_1) | instskip(NEXT) | instid1(SALU_CYCLE_1)
	s_or_b32 s0, vcc_lo, s0
	v_cndmask_b32_e64 v2, 0, 1, s0
	global_store_b8 v[0:1], v2, off
	s_or_b32 exec_lo, exec_lo, s1
	s_and_saveexec_b32 s0, s8
	s_cbranch_execz .LBB168_1943
.LBB168_1906:
	v_cmp_gt_i16_e32 vcc_lo, 5, v18
	s_mov_b32 s0, -1
	s_cbranch_vccnz .LBB168_1927
; %bb.1907:
	v_cmp_gt_i16_e32 vcc_lo, 8, v18
	s_cbranch_vccnz .LBB168_1917
; %bb.1908:
	v_cmp_gt_i16_e32 vcc_lo, 9, v18
	s_cbranch_vccnz .LBB168_1914
; %bb.1909:
	v_cmp_lt_i16_e32 vcc_lo, 9, v18
	s_cbranch_vccz .LBB168_1911
; %bb.1910:
	s_mov_b32 s0, 0
	s_waitcnt vmcnt(0)
	global_store_b128 v[0:1], v[12:15], off
.LBB168_1911:
	s_and_not1_b32 vcc_lo, exec_lo, s0
	s_cbranch_vccnz .LBB168_1913
; %bb.1912:
	s_waitcnt vmcnt(0)
	v_cvt_f32_f64_e32 v2, v[12:13]
	v_cvt_f32_f64_e32 v3, v[14:15]
	global_store_b64 v[0:1], v[2:3], off
.LBB168_1913:
	s_mov_b32 s0, 0
.LBB168_1914:
	s_delay_alu instid0(SALU_CYCLE_1)
	s_and_not1_b32 vcc_lo, exec_lo, s0
	s_cbranch_vccnz .LBB168_1916
; %bb.1915:
	s_waitcnt vmcnt(0)
	s_delay_alu instid0(VALU_DEP_4) | instskip(SKIP_1) | instid1(VALU_DEP_2)
	v_cvt_f32_f64_e32 v2, v[14:15]
	v_cvt_f32_f64_e32 v3, v[12:13]
	v_cvt_f16_f32_e32 v2, v2
	s_delay_alu instid0(VALU_DEP_2) | instskip(NEXT) | instid1(VALU_DEP_2)
	v_cvt_f16_f32_e32 v3, v3
	v_lshlrev_b32_e32 v2, 16, v2
	s_delay_alu instid0(VALU_DEP_2) | instskip(NEXT) | instid1(VALU_DEP_1)
	v_and_b32_e32 v3, 0xffff, v3
	v_or_b32_e32 v2, v2, v3
	global_store_b32 v[0:1], v2, off
.LBB168_1916:
	s_mov_b32 s0, 0
.LBB168_1917:
	s_delay_alu instid0(SALU_CYCLE_1)
	s_and_not1_b32 vcc_lo, exec_lo, s0
	s_cbranch_vccnz .LBB168_1926
; %bb.1918:
	v_cmp_gt_i16_e32 vcc_lo, 6, v18
	s_mov_b32 s0, -1
	s_cbranch_vccnz .LBB168_1924
; %bb.1919:
	v_cmp_lt_i16_e32 vcc_lo, 6, v18
	s_cbranch_vccz .LBB168_1921
; %bb.1920:
	s_mov_b32 s0, 0
	s_waitcnt vmcnt(0)
	global_store_b64 v[0:1], v[12:13], off
.LBB168_1921:
	s_and_not1_b32 vcc_lo, exec_lo, s0
	s_cbranch_vccnz .LBB168_1923
; %bb.1922:
	s_waitcnt vmcnt(0)
	v_cvt_f32_f64_e32 v2, v[12:13]
	global_store_b32 v[0:1], v2, off
.LBB168_1923:
	s_mov_b32 s0, 0
.LBB168_1924:
	s_delay_alu instid0(SALU_CYCLE_1)
	s_and_not1_b32 vcc_lo, exec_lo, s0
	s_cbranch_vccnz .LBB168_1926
; %bb.1925:
	s_waitcnt vmcnt(0)
	v_cvt_f32_f64_e32 v2, v[12:13]
	s_delay_alu instid0(VALU_DEP_1)
	v_cvt_f16_f32_e32 v2, v2
	global_store_b16 v[0:1], v2, off
.LBB168_1926:
	s_mov_b32 s0, 0
.LBB168_1927:
	s_delay_alu instid0(SALU_CYCLE_1)
	s_and_not1_b32 vcc_lo, exec_lo, s0
	s_cbranch_vccnz .LBB168_1943
; %bb.1928:
	v_cmp_gt_i16_e32 vcc_lo, 2, v18
	s_mov_b32 s0, -1
	s_cbranch_vccnz .LBB168_1938
; %bb.1929:
	v_cmp_gt_i16_e32 vcc_lo, 3, v18
	s_cbranch_vccnz .LBB168_1935
; %bb.1930:
	v_cmp_lt_i16_e32 vcc_lo, 3, v18
	s_cbranch_vccz .LBB168_1932
; %bb.1931:
	s_waitcnt vmcnt(0)
	v_trunc_f64_e32 v[2:3], v[12:13]
	s_mov_b32 s0, 0
	s_delay_alu instid0(VALU_DEP_1) | instskip(NEXT) | instid1(VALU_DEP_1)
	v_ldexp_f64 v[4:5], v[2:3], 0xffffffe0
	v_floor_f64_e32 v[4:5], v[4:5]
	s_delay_alu instid0(VALU_DEP_1) | instskip(SKIP_1) | instid1(VALU_DEP_2)
	v_fma_f64 v[2:3], 0xc1f00000, v[4:5], v[2:3]
	v_cvt_i32_f64_e32 v4, v[4:5]
	v_cvt_u32_f64_e32 v3, v[2:3]
	global_store_b64 v[0:1], v[3:4], off
.LBB168_1932:
	s_and_not1_b32 vcc_lo, exec_lo, s0
	s_cbranch_vccnz .LBB168_1934
; %bb.1933:
	s_waitcnt vmcnt(0)
	v_cvt_i32_f64_e32 v2, v[12:13]
	global_store_b32 v[0:1], v2, off
.LBB168_1934:
	s_mov_b32 s0, 0
.LBB168_1935:
	s_delay_alu instid0(SALU_CYCLE_1)
	s_and_not1_b32 vcc_lo, exec_lo, s0
	s_cbranch_vccnz .LBB168_1937
; %bb.1936:
	s_waitcnt vmcnt(0)
	v_cvt_i32_f64_e32 v2, v[12:13]
	global_store_b16 v[0:1], v2, off
.LBB168_1937:
	s_mov_b32 s0, 0
.LBB168_1938:
	s_delay_alu instid0(SALU_CYCLE_1)
	s_and_not1_b32 vcc_lo, exec_lo, s0
	s_cbranch_vccnz .LBB168_1943
; %bb.1939:
	v_cmp_lt_i16_e32 vcc_lo, 0, v18
	s_mov_b32 s0, -1
	s_cbranch_vccz .LBB168_1941
; %bb.1940:
	s_waitcnt vmcnt(0)
	v_cvt_i32_f64_e32 v2, v[12:13]
	s_mov_b32 s0, 0
	global_store_b8 v[0:1], v2, off
.LBB168_1941:
	s_and_not1_b32 vcc_lo, exec_lo, s0
	s_cbranch_vccnz .LBB168_1943
; %bb.1942:
	s_waitcnt vmcnt(0)
	v_trunc_f64_e32 v[2:3], v[12:13]
	s_delay_alu instid0(VALU_DEP_1) | instskip(NEXT) | instid1(VALU_DEP_1)
	v_ldexp_f64 v[4:5], v[2:3], 0xffffffe0
	v_floor_f64_e32 v[4:5], v[4:5]
	s_delay_alu instid0(VALU_DEP_1) | instskip(NEXT) | instid1(VALU_DEP_1)
	v_fma_f64 v[2:3], 0xc1f00000, v[4:5], v[2:3]
	v_cvt_u32_f64_e32 v2, v[2:3]
	global_store_b8 v[0:1], v2, off
	s_nop 0
	s_sendmsg sendmsg(MSG_DEALLOC_VGPRS)
	s_endpgm
.LBB168_1943:
	s_nop 0
	s_sendmsg sendmsg(MSG_DEALLOC_VGPRS)
	s_endpgm
.LBB168_1944:
	s_and_not1_saveexec_b32 s1, s1
	s_cbranch_execz .LBB168_1895
.LBB168_1945:
	v_add_f64 v[12:13], v[12:13], -v[14:15]
	s_delay_alu instid0(VALU_DEP_1) | instskip(NEXT) | instid1(VALU_DEP_1)
	v_mul_f64 v[12:13], v[12:13], 0.5
	v_cmp_gt_f64_e32 vcc_lo, 0x10000000, v[12:13]
	v_cndmask_b32_e64 v14, 0, 1, vcc_lo
	s_delay_alu instid0(VALU_DEP_1) | instskip(NEXT) | instid1(VALU_DEP_1)
	v_lshlrev_b32_e32 v14, 8, v14
	v_ldexp_f64 v[12:13], v[12:13], v14
	s_delay_alu instid0(VALU_DEP_1) | instskip(SKIP_3) | instid1(VALU_DEP_1)
	v_rsq_f64_e32 v[14:15], v[12:13]
	s_waitcnt_depctr 0xfff
	v_mul_f64 v[18:19], v[12:13], v[14:15]
	v_mul_f64 v[14:15], v[14:15], 0.5
	v_fma_f64 v[20:21], -v[14:15], v[18:19], 0.5
	s_delay_alu instid0(VALU_DEP_1) | instskip(SKIP_1) | instid1(VALU_DEP_2)
	v_fma_f64 v[18:19], v[18:19], v[20:21], v[18:19]
	v_fma_f64 v[14:15], v[14:15], v[20:21], v[14:15]
	v_fma_f64 v[20:21], -v[18:19], v[18:19], v[12:13]
	s_delay_alu instid0(VALU_DEP_1) | instskip(NEXT) | instid1(VALU_DEP_1)
	v_fma_f64 v[18:19], v[20:21], v[14:15], v[18:19]
	v_fma_f64 v[20:21], -v[18:19], v[18:19], v[12:13]
	s_delay_alu instid0(VALU_DEP_1) | instskip(SKIP_3) | instid1(VALU_DEP_3)
	v_fma_f64 v[14:15], v[20:21], v[14:15], v[18:19]
	v_cndmask_b32_e64 v18, 0, 0xffffff80, vcc_lo
	v_cmp_class_f64_e64 vcc_lo, v[12:13], 0x260
	v_and_b32_e32 v19, 0x7fffffff, v17
	v_ldexp_f64 v[14:15], v[14:15], v18
	s_delay_alu instid0(VALU_DEP_1) | instskip(NEXT) | instid1(VALU_DEP_1)
	v_dual_cndmask_b32 v13, v15, v13 :: v_dual_cndmask_b32 v12, v14, v12
	v_add_f64 v[14:15], v[12:13], v[12:13]
	v_bfi_b32 v13, 0x7fffffff, v13, v17
	v_mov_b32_e32 v18, v16
	s_delay_alu instid0(VALU_DEP_1) | instskip(SKIP_1) | instid1(VALU_DEP_2)
	v_div_scale_f64 v[20:21], null, v[14:15], v[14:15], v[18:19]
	v_div_scale_f64 v[18:19], vcc_lo, v[18:19], v[14:15], v[18:19]
	v_rcp_f64_e32 v[22:23], v[20:21]
	s_waitcnt_depctr 0xfff
	v_fma_f64 v[26:27], -v[20:21], v[22:23], 1.0
	s_delay_alu instid0(VALU_DEP_1) | instskip(NEXT) | instid1(VALU_DEP_1)
	v_fma_f64 v[22:23], v[22:23], v[26:27], v[22:23]
	v_fma_f64 v[26:27], -v[20:21], v[22:23], 1.0
	s_delay_alu instid0(VALU_DEP_1) | instskip(NEXT) | instid1(VALU_DEP_1)
	v_fma_f64 v[22:23], v[22:23], v[26:27], v[22:23]
	v_mul_f64 v[26:27], v[18:19], v[22:23]
	s_delay_alu instid0(VALU_DEP_1) | instskip(NEXT) | instid1(VALU_DEP_1)
	v_fma_f64 v[18:19], -v[20:21], v[26:27], v[18:19]
	v_div_fmas_f64 v[18:19], v[18:19], v[22:23], v[26:27]
	s_delay_alu instid0(VALU_DEP_1) | instskip(SKIP_3) | instid1(SALU_CYCLE_1)
	v_div_fixup_f64 v[14:15], v[18:19], v[14:15], |v[16:17]|
	v_dual_mov_b32 v17, v13 :: v_dual_mov_b32 v16, v12
	s_or_b32 exec_lo, exec_lo, s1
	s_and_saveexec_b32 s1, s0
	s_xor_b32 s0, exec_lo, s1
	s_cbranch_execnz .LBB168_1896
.LBB168_1946:
	s_and_not1_saveexec_b32 s0, s0
.LBB168_1947:
	s_delay_alu instid0(VALU_DEP_2) | instskip(NEXT) | instid1(VALU_DEP_2)
	v_add_f64 v[14:15], v[14:15], v[14:15]
	v_add_f64 v[16:17], v[16:17], v[16:17]
.LBB168_1948:
	s_or_b32 exec_lo, exec_lo, s0
.LBB168_1949:
	s_and_not1_saveexec_b32 s0, s8
	s_cbranch_execz .LBB168_1955
; %bb.1950:
	s_delay_alu instid0(VALU_DEP_1) | instskip(SKIP_1) | instid1(VALU_DEP_3)
	v_add_f64 v[12:13], v[16:17], -v[16:17]
	s_mov_b32 s1, exec_lo
	v_cmpx_lt_i64_e32 -1, v[14:15]
	s_xor_b32 s1, exec_lo, s1
; %bb.1951:
	s_delay_alu instid0(VALU_DEP_2) | instskip(NEXT) | instid1(VALU_DEP_1)
	v_bfi_b32 v13, 0x7fffffff, v13, v17
	v_dual_mov_b32 v17, v13 :: v_dual_mov_b32 v16, v12
                                        ; implicit-def: $vgpr12_vgpr13
; %bb.1952:
	s_and_not1_saveexec_b32 s1, s1
; %bb.1953:
	s_delay_alu instid0(VALU_DEP_1) | instskip(SKIP_1) | instid1(VALU_DEP_2)
	v_bfi_b32 v15, 0x7fffffff, v15, v17
	v_and_b32_e32 v13, 0x7fffffff, v13
	v_dual_mov_b32 v17, v15 :: v_dual_mov_b32 v16, v14
	s_delay_alu instid0(VALU_DEP_2)
	v_dual_mov_b32 v15, v13 :: v_dual_mov_b32 v14, v12
; %bb.1954:
	s_or_b32 exec_lo, exec_lo, s1
.LBB168_1955:
	s_delay_alu instid0(SALU_CYCLE_1)
	s_or_b32 exec_lo, exec_lo, s0
.LBB168_1956:
	s_and_not1_saveexec_b32 s0, s7
; %bb.1957:
	s_delay_alu instid0(VALU_DEP_1) | instskip(NEXT) | instid1(VALU_DEP_1)
	v_add_f64 v[12:13], v[16:17], -v[16:17]
	v_div_scale_f64 v[16:17], vcc_lo, v[12:13], v[12:13], v[12:13]
	s_delay_alu instid0(VALU_DEP_1) | instskip(SKIP_2) | instid1(VALU_DEP_1)
	v_rcp_f64_e32 v[18:19], v[16:17]
	s_waitcnt_depctr 0xfff
	v_fma_f64 v[20:21], -v[16:17], v[18:19], 1.0
	v_fma_f64 v[18:19], v[18:19], v[20:21], v[18:19]
	s_delay_alu instid0(VALU_DEP_1) | instskip(NEXT) | instid1(VALU_DEP_1)
	v_fma_f64 v[20:21], -v[16:17], v[18:19], 1.0
	v_fma_f64 v[18:19], v[18:19], v[20:21], v[18:19]
	s_delay_alu instid0(VALU_DEP_1) | instskip(NEXT) | instid1(VALU_DEP_1)
	v_mul_f64 v[20:21], v[16:17], v[18:19]
	v_fma_f64 v[16:17], -v[16:17], v[20:21], v[16:17]
	s_delay_alu instid0(VALU_DEP_1) | instskip(NEXT) | instid1(VALU_DEP_1)
	v_div_fmas_f64 v[16:17], v[16:17], v[18:19], v[20:21]
	v_div_fixup_f64 v[16:17], v[16:17], v[12:13], v[12:13]
; %bb.1958:
	s_or_b32 exec_lo, exec_lo, s0
	v_dual_mov_b32 v19, v15 :: v_dual_mov_b32 v18, v14
.LBB168_1959:
	s_or_b32 exec_lo, exec_lo, s6
.LBB168_1960:
	s_delay_alu instid0(SALU_CYCLE_1) | instskip(NEXT) | instid1(VALU_DEP_1)
	s_or_b32 exec_lo, exec_lo, s3
	v_cmp_gt_f64_e32 vcc_lo, 0, v[18:19]
	s_delay_alu instid0(VALU_DEP_3) | instskip(SKIP_2) | instid1(VALU_DEP_2)
	v_cmp_gt_f64_e64 s0, 0, v[16:17]
	v_xor_b32_e32 v12, 0x80000000, v19
	v_xor_b32_e32 v13, 0x80000000, v17
                                        ; implicit-def: $vgpr14_vgpr15
	v_dual_cndmask_b32 v21, v19, v12 :: v_dual_cndmask_b32 v20, v18, v18
	s_delay_alu instid0(VALU_DEP_2) | instskip(SKIP_2) | instid1(VALU_DEP_1)
	v_cndmask_b32_e64 v23, v17, v13, s0
	v_cndmask_b32_e64 v22, v16, v16, s0
	s_mov_b32 s0, exec_lo
	v_cmpx_ge_f64_e32 v[20:21], v[22:23]
	s_xor_b32 s1, exec_lo, s0
	s_cbranch_execz .LBB168_1966
; %bb.1961:
	v_cmp_neq_f64_e32 vcc_lo, 0, v[18:19]
	v_cmp_neq_f64_e64 s0, 0, v[16:17]
                                        ; implicit-def: $vgpr14_vgpr15
	s_delay_alu instid0(VALU_DEP_1) | instskip(NEXT) | instid1(SALU_CYCLE_1)
	s_or_b32 s0, vcc_lo, s0
	s_and_saveexec_b32 s3, s0
	s_delay_alu instid0(SALU_CYCLE_1)
	s_xor_b32 s0, exec_lo, s3
	s_cbranch_execz .LBB168_1963
; %bb.1962:
	v_div_scale_f64 v[12:13], null, v[18:19], v[18:19], v[16:17]
	v_div_scale_f64 v[22:23], vcc_lo, v[16:17], v[18:19], v[16:17]
	s_delay_alu instid0(VALU_DEP_2) | instskip(SKIP_2) | instid1(VALU_DEP_1)
	v_rcp_f64_e32 v[14:15], v[12:13]
	s_waitcnt_depctr 0xfff
	v_fma_f64 v[20:21], -v[12:13], v[14:15], 1.0
	v_fma_f64 v[14:15], v[14:15], v[20:21], v[14:15]
	s_delay_alu instid0(VALU_DEP_1) | instskip(NEXT) | instid1(VALU_DEP_1)
	v_fma_f64 v[20:21], -v[12:13], v[14:15], 1.0
	v_fma_f64 v[14:15], v[14:15], v[20:21], v[14:15]
	s_delay_alu instid0(VALU_DEP_1) | instskip(NEXT) | instid1(VALU_DEP_1)
	v_mul_f64 v[20:21], v[22:23], v[14:15]
	v_fma_f64 v[12:13], -v[12:13], v[20:21], v[22:23]
	s_delay_alu instid0(VALU_DEP_1) | instskip(NEXT) | instid1(VALU_DEP_1)
	v_div_fmas_f64 v[12:13], v[12:13], v[14:15], v[20:21]
	v_div_fixup_f64 v[12:13], v[12:13], v[18:19], v[16:17]
	s_delay_alu instid0(VALU_DEP_1) | instskip(NEXT) | instid1(VALU_DEP_1)
	v_fma_f64 v[14:15], v[16:17], v[12:13], v[18:19]
	v_div_scale_f64 v[16:17], null, v[14:15], v[14:15], 1.0
	v_div_scale_f64 v[22:23], vcc_lo, 1.0, v[14:15], 1.0
	s_delay_alu instid0(VALU_DEP_2) | instskip(SKIP_2) | instid1(VALU_DEP_1)
	v_rcp_f64_e32 v[18:19], v[16:17]
	s_waitcnt_depctr 0xfff
	v_fma_f64 v[20:21], -v[16:17], v[18:19], 1.0
	v_fma_f64 v[18:19], v[18:19], v[20:21], v[18:19]
	s_delay_alu instid0(VALU_DEP_1) | instskip(NEXT) | instid1(VALU_DEP_1)
	v_fma_f64 v[20:21], -v[16:17], v[18:19], 1.0
	v_fma_f64 v[18:19], v[18:19], v[20:21], v[18:19]
	s_delay_alu instid0(VALU_DEP_1) | instskip(NEXT) | instid1(VALU_DEP_1)
	v_mul_f64 v[20:21], v[22:23], v[18:19]
	v_fma_f64 v[16:17], -v[16:17], v[20:21], v[22:23]
                                        ; implicit-def: $vgpr22_vgpr23
	s_delay_alu instid0(VALU_DEP_1) | instskip(SKIP_1) | instid1(VALU_DEP_2)
	v_div_fmas_f64 v[16:17], v[16:17], v[18:19], v[20:21]
	v_fma_f64 v[18:19], v[12:13], 0, 1.0
                                        ; implicit-def: $vgpr20_vgpr21
	v_div_fixup_f64 v[14:15], v[16:17], v[14:15], 1.0
	v_add_f64 v[16:17], -v[12:13], 0
	s_delay_alu instid0(VALU_DEP_2) | instskip(NEXT) | instid1(VALU_DEP_2)
	v_mul_f64 v[12:13], v[18:19], v[14:15]
	v_mul_f64 v[14:15], v[16:17], v[14:15]
.LBB168_1963:
	s_and_not1_saveexec_b32 s3, s0
	s_cbranch_execz .LBB168_1965
; %bb.1964:
	v_div_scale_f64 v[12:13], null, v[20:21], v[20:21], 1.0
	v_div_scale_f64 v[14:15], null, v[22:23], v[22:23], 0
	v_div_scale_f64 v[30:31], vcc_lo, 1.0, v[20:21], 1.0
	s_delay_alu instid0(VALU_DEP_3) | instskip(NEXT) | instid1(VALU_DEP_2)
	v_rcp_f64_e32 v[16:17], v[12:13]
	v_rcp_f64_e32 v[18:19], v[14:15]
	s_waitcnt_depctr 0xfff
	v_fma_f64 v[26:27], -v[12:13], v[16:17], 1.0
	v_fma_f64 v[28:29], -v[14:15], v[18:19], 1.0
	s_delay_alu instid0(VALU_DEP_2) | instskip(NEXT) | instid1(VALU_DEP_2)
	v_fma_f64 v[16:17], v[16:17], v[26:27], v[16:17]
	v_fma_f64 v[18:19], v[18:19], v[28:29], v[18:19]
	s_delay_alu instid0(VALU_DEP_2) | instskip(NEXT) | instid1(VALU_DEP_2)
	v_fma_f64 v[26:27], -v[12:13], v[16:17], 1.0
	v_fma_f64 v[28:29], -v[14:15], v[18:19], 1.0
	s_delay_alu instid0(VALU_DEP_2) | instskip(SKIP_1) | instid1(VALU_DEP_3)
	v_fma_f64 v[16:17], v[16:17], v[26:27], v[16:17]
	v_div_scale_f64 v[26:27], s0, 0, v[22:23], 0
	v_fma_f64 v[18:19], v[18:19], v[28:29], v[18:19]
	s_delay_alu instid0(VALU_DEP_3) | instskip(NEXT) | instid1(VALU_DEP_2)
	v_mul_f64 v[28:29], v[30:31], v[16:17]
	v_mul_f64 v[32:33], v[26:27], v[18:19]
	s_delay_alu instid0(VALU_DEP_2) | instskip(NEXT) | instid1(VALU_DEP_2)
	v_fma_f64 v[12:13], -v[12:13], v[28:29], v[30:31]
	v_fma_f64 v[14:15], -v[14:15], v[32:33], v[26:27]
	s_delay_alu instid0(VALU_DEP_2) | instskip(SKIP_1) | instid1(VALU_DEP_2)
	v_div_fmas_f64 v[12:13], v[12:13], v[16:17], v[28:29]
	s_mov_b32 vcc_lo, s0
	v_div_fmas_f64 v[14:15], v[14:15], v[18:19], v[32:33]
	s_delay_alu instid0(VALU_DEP_2) | instskip(NEXT) | instid1(VALU_DEP_2)
	v_div_fixup_f64 v[12:13], v[12:13], v[20:21], 1.0
	v_div_fixup_f64 v[14:15], v[14:15], v[22:23], 0
.LBB168_1965:
	s_or_b32 exec_lo, exec_lo, s3
                                        ; implicit-def: $vgpr16_vgpr17
                                        ; implicit-def: $vgpr18_vgpr19
.LBB168_1966:
	s_and_not1_saveexec_b32 s0, s1
	s_cbranch_execz .LBB168_1968
; %bb.1967:
	v_div_scale_f64 v[12:13], null, v[16:17], v[16:17], v[18:19]
	v_div_scale_f64 v[22:23], vcc_lo, v[18:19], v[16:17], v[18:19]
	s_delay_alu instid0(VALU_DEP_2) | instskip(SKIP_2) | instid1(VALU_DEP_1)
	v_rcp_f64_e32 v[14:15], v[12:13]
	s_waitcnt_depctr 0xfff
	v_fma_f64 v[20:21], -v[12:13], v[14:15], 1.0
	v_fma_f64 v[14:15], v[14:15], v[20:21], v[14:15]
	s_delay_alu instid0(VALU_DEP_1) | instskip(NEXT) | instid1(VALU_DEP_1)
	v_fma_f64 v[20:21], -v[12:13], v[14:15], 1.0
	v_fma_f64 v[14:15], v[14:15], v[20:21], v[14:15]
	s_delay_alu instid0(VALU_DEP_1) | instskip(NEXT) | instid1(VALU_DEP_1)
	v_mul_f64 v[20:21], v[22:23], v[14:15]
	v_fma_f64 v[12:13], -v[12:13], v[20:21], v[22:23]
	s_delay_alu instid0(VALU_DEP_1) | instskip(NEXT) | instid1(VALU_DEP_1)
	v_div_fmas_f64 v[12:13], v[12:13], v[14:15], v[20:21]
	v_div_fixup_f64 v[12:13], v[12:13], v[16:17], v[18:19]
	s_delay_alu instid0(VALU_DEP_1) | instskip(NEXT) | instid1(VALU_DEP_1)
	v_fma_f64 v[14:15], v[18:19], v[12:13], v[16:17]
	v_div_scale_f64 v[16:17], null, v[14:15], v[14:15], 1.0
	v_div_scale_f64 v[22:23], vcc_lo, 1.0, v[14:15], 1.0
	s_delay_alu instid0(VALU_DEP_2) | instskip(SKIP_2) | instid1(VALU_DEP_1)
	v_rcp_f64_e32 v[18:19], v[16:17]
	s_waitcnt_depctr 0xfff
	v_fma_f64 v[20:21], -v[16:17], v[18:19], 1.0
	v_fma_f64 v[18:19], v[18:19], v[20:21], v[18:19]
	s_delay_alu instid0(VALU_DEP_1) | instskip(NEXT) | instid1(VALU_DEP_1)
	v_fma_f64 v[20:21], -v[16:17], v[18:19], 1.0
	v_fma_f64 v[18:19], v[18:19], v[20:21], v[18:19]
	s_delay_alu instid0(VALU_DEP_1) | instskip(NEXT) | instid1(VALU_DEP_1)
	v_mul_f64 v[20:21], v[22:23], v[18:19]
	v_fma_f64 v[16:17], -v[16:17], v[20:21], v[22:23]
	s_delay_alu instid0(VALU_DEP_1) | instskip(SKIP_1) | instid1(VALU_DEP_2)
	v_div_fmas_f64 v[16:17], v[16:17], v[18:19], v[20:21]
	v_add_f64 v[18:19], v[12:13], 0
	v_div_fixup_f64 v[14:15], v[16:17], v[14:15], 1.0
	v_fma_f64 v[16:17], v[12:13], 0, -1.0
	s_delay_alu instid0(VALU_DEP_2) | instskip(NEXT) | instid1(VALU_DEP_2)
	v_mul_f64 v[12:13], v[18:19], v[14:15]
	v_mul_f64 v[14:15], v[16:17], v[14:15]
.LBB168_1968:
	s_or_b32 exec_lo, exec_lo, s0
	v_mul_lo_u32 v19, s2, v25
	v_and_b32_e32 v18, 0xff, v24
	s_delay_alu instid0(VALU_DEP_1) | instskip(NEXT) | instid1(VALU_DEP_3)
	v_cmp_gt_i16_e32 vcc_lo, 11, v18
	v_ashrrev_i32_e32 v17, 31, v19
	v_add_co_u32 v16, s0, s4, v19
	s_delay_alu instid0(VALU_DEP_1)
	v_add_co_ci_u32_e64 v17, s0, s5, v17, s0
	s_cbranch_vccnz .LBB168_2046
; %bb.1969:
	v_cmp_lt_i16_e32 vcc_lo, 25, v18
	s_mov_b32 s6, -1
	s_mov_b32 s1, 0
	s_mov_b32 s3, 0
	;; [unrolled: 1-line block ×3, first 2 shown]
	s_cbranch_vccz .LBB168_2002
; %bb.1970:
	v_cmp_lt_i16_e32 vcc_lo, 28, v18
	s_cbranch_vccz .LBB168_1985
; %bb.1971:
	v_cmp_lt_i16_e32 vcc_lo, 43, v18
	;; [unrolled: 3-line block ×3, first 2 shown]
	s_cbranch_vccz .LBB168_1975
; %bb.1973:
	v_cmp_eq_u16_e32 vcc_lo, 46, v18
	s_mov_b32 s0, -1
	s_mov_b32 s6, 0
	s_cbranch_vccz .LBB168_1975
; %bb.1974:
	v_cvt_f32_f64_e32 v20, v[2:3]
	v_cvt_f32_f64_e32 v21, v[0:1]
	s_mov_b32 s0, 0
	s_mov_b32 s3, -1
	s_delay_alu instid0(VALU_DEP_2) | instskip(NEXT) | instid1(VALU_DEP_2)
	v_bfe_u32 v22, v20, 16, 1
	v_bfe_u32 v23, v21, 16, 1
	v_cmp_o_f32_e32 vcc_lo, v20, v20
	s_delay_alu instid0(VALU_DEP_3) | instskip(NEXT) | instid1(VALU_DEP_3)
	v_add3_u32 v22, v20, v22, 0x7fff
	v_add3_u32 v23, v21, v23, 0x7fff
	s_delay_alu instid0(VALU_DEP_2) | instskip(NEXT) | instid1(VALU_DEP_2)
	v_and_b32_e32 v22, 0xffff0000, v22
	v_lshrrev_b32_e32 v23, 16, v23
	s_delay_alu instid0(VALU_DEP_2) | instskip(SKIP_1) | instid1(VALU_DEP_3)
	v_cndmask_b32_e32 v20, 0x7fc00000, v22, vcc_lo
	v_cmp_o_f32_e32 vcc_lo, v21, v21
	v_cndmask_b32_e32 v21, 0x7fc0, v23, vcc_lo
	s_delay_alu instid0(VALU_DEP_1)
	v_or_b32_e32 v20, v20, v21
	global_store_b32 v[16:17], v20, off
.LBB168_1975:
	s_and_b32 vcc_lo, exec_lo, s6
	s_cbranch_vccz .LBB168_1980
; %bb.1976:
	v_cmp_eq_u16_e32 vcc_lo, 44, v18
	s_mov_b32 s0, -1
	s_cbranch_vccz .LBB168_1980
; %bb.1977:
	v_cvt_f32_f64_e32 v20, v[0:1]
	v_mov_b32_e32 v21, 0xff
	s_mov_b32 s3, exec_lo
	s_delay_alu instid0(VALU_DEP_2) | instskip(NEXT) | instid1(VALU_DEP_1)
	v_bfe_u32 v22, v20, 23, 8
	v_cmpx_ne_u32_e32 0xff, v22
; %bb.1978:
	v_and_b32_e32 v21, 0x400000, v20
	v_and_or_b32 v22, 0x3fffff, v20, v22
	v_lshrrev_b32_e32 v20, 23, v20
	s_delay_alu instid0(VALU_DEP_3) | instskip(NEXT) | instid1(VALU_DEP_3)
	v_cmp_ne_u32_e32 vcc_lo, 0, v21
	v_cmp_ne_u32_e64 s0, 0, v22
	s_delay_alu instid0(VALU_DEP_1) | instskip(NEXT) | instid1(SALU_CYCLE_1)
	s_and_b32 s0, vcc_lo, s0
	v_cndmask_b32_e64 v21, 0, 1, s0
	s_delay_alu instid0(VALU_DEP_1)
	v_add_nc_u32_e32 v21, v20, v21
; %bb.1979:
	s_or_b32 exec_lo, exec_lo, s3
	s_mov_b32 s0, 0
	s_mov_b32 s3, -1
	global_store_b8 v[16:17], v21, off
.LBB168_1980:
	s_mov_b32 s6, 0
.LBB168_1981:
	s_delay_alu instid0(SALU_CYCLE_1)
	s_and_b32 vcc_lo, exec_lo, s6
	s_cbranch_vccz .LBB168_1984
; %bb.1982:
	v_cmp_eq_u16_e32 vcc_lo, 29, v18
	s_mov_b32 s0, -1
	s_cbranch_vccz .LBB168_1984
; %bb.1983:
	v_trunc_f64_e32 v[20:21], v[0:1]
	s_mov_b32 s0, 0
	s_mov_b32 s3, -1
	s_delay_alu instid0(VALU_DEP_1) | instskip(NEXT) | instid1(VALU_DEP_1)
	v_ldexp_f64 v[22:23], v[20:21], 0xffffffe0
	v_floor_f64_e32 v[22:23], v[22:23]
	s_delay_alu instid0(VALU_DEP_1) | instskip(SKIP_1) | instid1(VALU_DEP_2)
	v_fma_f64 v[20:21], 0xc1f00000, v[22:23], v[20:21]
	v_cvt_u32_f64_e32 v22, v[22:23]
	v_cvt_u32_f64_e32 v21, v[20:21]
	global_store_b64 v[16:17], v[21:22], off
.LBB168_1984:
	s_mov_b32 s6, 0
.LBB168_1985:
	s_delay_alu instid0(SALU_CYCLE_1)
	s_and_b32 vcc_lo, exec_lo, s6
	s_cbranch_vccz .LBB168_2001
; %bb.1986:
	v_cmp_gt_i16_e32 vcc_lo, 27, v18
	s_mov_b32 s3, -1
	s_cbranch_vccnz .LBB168_1992
; %bb.1987:
	v_cvt_u32_f64_e32 v20, v[0:1]
	v_cmp_lt_i16_e32 vcc_lo, 27, v18
	s_cbranch_vccz .LBB168_1989
; %bb.1988:
	s_mov_b32 s3, 0
	global_store_b32 v[16:17], v20, off
.LBB168_1989:
	s_and_not1_b32 vcc_lo, exec_lo, s3
	s_cbranch_vccnz .LBB168_1991
; %bb.1990:
	global_store_b16 v[16:17], v20, off
.LBB168_1991:
	s_mov_b32 s3, 0
.LBB168_1992:
	s_delay_alu instid0(SALU_CYCLE_1)
	s_and_not1_b32 vcc_lo, exec_lo, s3
	s_cbranch_vccnz .LBB168_2000
; %bb.1993:
	v_cvt_f32_f64_e32 v20, v[0:1]
	v_mov_b32_e32 v22, 0x80
	s_mov_b32 s3, exec_lo
	s_delay_alu instid0(VALU_DEP_2) | instskip(NEXT) | instid1(VALU_DEP_1)
	v_and_b32_e32 v21, 0x7fffffff, v20
	v_cmpx_gt_u32_e32 0x43800000, v21
	s_cbranch_execz .LBB168_1999
; %bb.1994:
	v_cmp_lt_u32_e32 vcc_lo, 0x3bffffff, v21
	s_mov_b32 s6, 0
                                        ; implicit-def: $vgpr21
	s_and_saveexec_b32 s7, vcc_lo
	s_delay_alu instid0(SALU_CYCLE_1)
	s_xor_b32 s7, exec_lo, s7
	s_cbranch_execz .LBB168_2405
; %bb.1995:
	v_bfe_u32 v21, v20, 20, 1
	s_mov_b32 s6, exec_lo
	s_delay_alu instid0(VALU_DEP_1) | instskip(NEXT) | instid1(VALU_DEP_1)
	v_add3_u32 v21, v20, v21, 0x487ffff
	v_lshrrev_b32_e32 v21, 20, v21
	s_or_saveexec_b32 s7, s7
                                        ; implicit-def: $sgpr8
	s_delay_alu instid0(SALU_CYCLE_1)
	s_xor_b32 exec_lo, exec_lo, s7
	s_cbranch_execnz .LBB168_2406
.LBB168_1996:
	s_or_b32 exec_lo, exec_lo, s7
	v_mov_b32_e32 v22, s8
	s_and_saveexec_b32 s7, s6
.LBB168_1997:
	v_lshrrev_b32_e32 v20, 24, v20
	s_delay_alu instid0(VALU_DEP_1)
	v_and_or_b32 v22, 0x80, v20, v21
.LBB168_1998:
	s_or_b32 exec_lo, exec_lo, s7
.LBB168_1999:
	s_delay_alu instid0(SALU_CYCLE_1)
	s_or_b32 exec_lo, exec_lo, s3
	global_store_b8 v[16:17], v22, off
.LBB168_2000:
	s_mov_b32 s3, -1
.LBB168_2001:
	s_mov_b32 s6, 0
.LBB168_2002:
	s_delay_alu instid0(SALU_CYCLE_1)
	s_and_b32 vcc_lo, exec_lo, s6
	s_cbranch_vccz .LBB168_2042
; %bb.2003:
	v_cmp_lt_i16_e32 vcc_lo, 22, v18
	s_mov_b32 s1, -1
	s_cbranch_vccz .LBB168_2035
; %bb.2004:
	v_cmp_gt_i16_e32 vcc_lo, 24, v18
	s_cbranch_vccnz .LBB168_2024
; %bb.2005:
	v_cmp_lt_i16_e32 vcc_lo, 24, v18
	s_cbranch_vccz .LBB168_2013
; %bb.2006:
	v_cvt_f32_f64_e32 v20, v[0:1]
	v_mov_b32_e32 v22, 0x80
	s_mov_b32 s1, exec_lo
	s_delay_alu instid0(VALU_DEP_2) | instskip(NEXT) | instid1(VALU_DEP_1)
	v_and_b32_e32 v21, 0x7fffffff, v20
	v_cmpx_gt_u32_e32 0x47800000, v21
	s_cbranch_execz .LBB168_2012
; %bb.2007:
	v_cmp_lt_u32_e32 vcc_lo, 0x37ffffff, v21
	s_mov_b32 s3, 0
                                        ; implicit-def: $vgpr21
	s_and_saveexec_b32 s6, vcc_lo
	s_delay_alu instid0(SALU_CYCLE_1)
	s_xor_b32 s6, exec_lo, s6
	s_cbranch_execz .LBB168_2411
; %bb.2008:
	v_bfe_u32 v21, v20, 21, 1
	s_mov_b32 s3, exec_lo
	s_delay_alu instid0(VALU_DEP_1) | instskip(NEXT) | instid1(VALU_DEP_1)
	v_add3_u32 v21, v20, v21, 0x88fffff
	v_lshrrev_b32_e32 v21, 21, v21
	s_or_saveexec_b32 s6, s6
                                        ; implicit-def: $sgpr7
	s_delay_alu instid0(SALU_CYCLE_1)
	s_xor_b32 exec_lo, exec_lo, s6
	s_cbranch_execnz .LBB168_2412
.LBB168_2009:
	s_or_b32 exec_lo, exec_lo, s6
	v_mov_b32_e32 v22, s7
	s_and_saveexec_b32 s6, s3
.LBB168_2010:
	v_lshrrev_b32_e32 v20, 24, v20
	s_delay_alu instid0(VALU_DEP_1)
	v_and_or_b32 v22, 0x80, v20, v21
.LBB168_2011:
	s_or_b32 exec_lo, exec_lo, s6
.LBB168_2012:
	s_delay_alu instid0(SALU_CYCLE_1)
	s_or_b32 exec_lo, exec_lo, s1
	s_mov_b32 s1, 0
	global_store_b8 v[16:17], v22, off
.LBB168_2013:
	s_and_b32 vcc_lo, exec_lo, s1
	s_cbranch_vccz .LBB168_2023
; %bb.2014:
	v_cvt_f32_f64_e32 v20, v[0:1]
	s_mov_b32 s1, exec_lo
                                        ; implicit-def: $vgpr21
	s_delay_alu instid0(VALU_DEP_1) | instskip(NEXT) | instid1(VALU_DEP_1)
	v_and_b32_e32 v22, 0x7fffffff, v20
	v_cmpx_gt_u32_e32 0x43f00000, v22
	s_xor_b32 s1, exec_lo, s1
	s_cbranch_execz .LBB168_2020
; %bb.2015:
	s_mov_b32 s3, exec_lo
                                        ; implicit-def: $vgpr21
	v_cmpx_lt_u32_e32 0x3c7fffff, v22
	s_xor_b32 s3, exec_lo, s3
; %bb.2016:
	v_bfe_u32 v21, v20, 20, 1
	s_delay_alu instid0(VALU_DEP_1) | instskip(NEXT) | instid1(VALU_DEP_1)
	v_add3_u32 v21, v20, v21, 0x407ffff
	v_and_b32_e32 v22, 0xff00000, v21
	v_lshrrev_b32_e32 v21, 20, v21
	s_delay_alu instid0(VALU_DEP_2) | instskip(NEXT) | instid1(VALU_DEP_2)
	v_cmp_ne_u32_e32 vcc_lo, 0x7f00000, v22
	v_cndmask_b32_e32 v21, 0x7e, v21, vcc_lo
; %bb.2017:
	s_and_not1_saveexec_b32 s3, s3
; %bb.2018:
	v_add_f32_e64 v21, 0x46800000, |v20|
; %bb.2019:
	s_or_b32 exec_lo, exec_lo, s3
                                        ; implicit-def: $vgpr22
.LBB168_2020:
	s_and_not1_saveexec_b32 s1, s1
; %bb.2021:
	v_mov_b32_e32 v21, 0x7f
	v_cmp_lt_u32_e32 vcc_lo, 0x7f800000, v22
	s_delay_alu instid0(VALU_DEP_2)
	v_cndmask_b32_e32 v21, 0x7e, v21, vcc_lo
; %bb.2022:
	s_or_b32 exec_lo, exec_lo, s1
	v_lshrrev_b32_e32 v20, 24, v20
	s_delay_alu instid0(VALU_DEP_1)
	v_and_or_b32 v20, 0x80, v20, v21
	global_store_b8 v[16:17], v20, off
.LBB168_2023:
	s_mov_b32 s1, 0
.LBB168_2024:
	s_delay_alu instid0(SALU_CYCLE_1)
	s_and_not1_b32 vcc_lo, exec_lo, s1
	s_cbranch_vccnz .LBB168_2034
; %bb.2025:
	v_cvt_f32_f64_e32 v20, v[0:1]
	s_mov_b32 s1, exec_lo
                                        ; implicit-def: $vgpr21
	s_delay_alu instid0(VALU_DEP_1) | instskip(NEXT) | instid1(VALU_DEP_1)
	v_and_b32_e32 v22, 0x7fffffff, v20
	v_cmpx_gt_u32_e32 0x47800000, v22
	s_xor_b32 s1, exec_lo, s1
	s_cbranch_execz .LBB168_2031
; %bb.2026:
	s_mov_b32 s3, exec_lo
                                        ; implicit-def: $vgpr21
	v_cmpx_lt_u32_e32 0x387fffff, v22
	s_xor_b32 s3, exec_lo, s3
; %bb.2027:
	v_bfe_u32 v21, v20, 21, 1
	s_delay_alu instid0(VALU_DEP_1) | instskip(NEXT) | instid1(VALU_DEP_1)
	v_add3_u32 v21, v20, v21, 0x80fffff
	v_lshrrev_b32_e32 v21, 21, v21
; %bb.2028:
	s_and_not1_saveexec_b32 s3, s3
; %bb.2029:
	v_add_f32_e64 v21, 0x43000000, |v20|
; %bb.2030:
	s_or_b32 exec_lo, exec_lo, s3
                                        ; implicit-def: $vgpr22
.LBB168_2031:
	s_and_not1_saveexec_b32 s1, s1
; %bb.2032:
	v_mov_b32_e32 v21, 0x7f
	v_cmp_lt_u32_e32 vcc_lo, 0x7f800000, v22
	s_delay_alu instid0(VALU_DEP_2)
	v_cndmask_b32_e32 v21, 0x7c, v21, vcc_lo
; %bb.2033:
	s_or_b32 exec_lo, exec_lo, s1
	v_lshrrev_b32_e32 v20, 24, v20
	s_delay_alu instid0(VALU_DEP_1)
	v_and_or_b32 v20, 0x80, v20, v21
	global_store_b8 v[16:17], v20, off
.LBB168_2034:
	s_mov_b32 s1, 0
	s_mov_b32 s3, -1
.LBB168_2035:
	s_and_not1_b32 vcc_lo, exec_lo, s1
	s_mov_b32 s1, 0
	s_cbranch_vccnz .LBB168_2042
; %bb.2036:
	v_cmp_lt_i16_e32 vcc_lo, 14, v18
	s_mov_b32 s1, -1
	s_cbranch_vccz .LBB168_2040
; %bb.2037:
	v_cmp_eq_u16_e32 vcc_lo, 15, v18
	s_mov_b32 s0, -1
	s_cbranch_vccz .LBB168_2039
; %bb.2038:
	v_cvt_f32_f64_e32 v20, v[0:1]
	s_mov_b32 s0, 0
	s_mov_b32 s3, -1
	s_delay_alu instid0(VALU_DEP_1) | instskip(SKIP_1) | instid1(VALU_DEP_2)
	v_bfe_u32 v21, v20, 16, 1
	v_cmp_o_f32_e32 vcc_lo, v20, v20
	v_add3_u32 v21, v20, v21, 0x7fff
	s_delay_alu instid0(VALU_DEP_1) | instskip(NEXT) | instid1(VALU_DEP_1)
	v_lshrrev_b32_e32 v21, 16, v21
	v_cndmask_b32_e32 v20, 0x7fc0, v21, vcc_lo
	global_store_b16 v[16:17], v20, off
.LBB168_2039:
	s_mov_b32 s1, 0
.LBB168_2040:
	s_delay_alu instid0(SALU_CYCLE_1)
	s_and_b32 vcc_lo, exec_lo, s1
	s_mov_b32 s1, 0
	s_cbranch_vccz .LBB168_2042
; %bb.2041:
	v_cmp_ne_u16_e64 s0, 11, v18
	s_mov_b32 s1, -1
.LBB168_2042:
	s_delay_alu instid0(VALU_DEP_1)
	s_and_b32 vcc_lo, exec_lo, s0
	s_cbranch_vccnz .LBB168_2409
; %bb.2043:
	s_and_not1_b32 vcc_lo, exec_lo, s1
	s_cbranch_vccnz .LBB168_2045
.LBB168_2044:
	v_cmp_neq_f64_e32 vcc_lo, 0, v[0:1]
	v_cmp_neq_f64_e64 s0, 0, v[2:3]
	s_mov_b32 s3, -1
	s_delay_alu instid0(VALU_DEP_1) | instskip(NEXT) | instid1(SALU_CYCLE_1)
	s_or_b32 s0, vcc_lo, s0
	v_cndmask_b32_e64 v20, 0, 1, s0
	global_store_b8 v[16:17], v20, off
.LBB168_2045:
	s_mov_b32 s0, 0
	s_branch .LBB168_2047
.LBB168_2046:
	s_mov_b32 s0, -1
	s_mov_b32 s3, 0
.LBB168_2047:
	s_and_b32 vcc_lo, exec_lo, s0
	s_cbranch_vccz .LBB168_2086
; %bb.2048:
	v_cmp_gt_i16_e32 vcc_lo, 5, v18
	s_mov_b32 s0, -1
	s_cbranch_vccnz .LBB168_2069
; %bb.2049:
	v_cmp_gt_i16_e32 vcc_lo, 8, v18
	s_cbranch_vccnz .LBB168_2059
; %bb.2050:
	v_cmp_gt_i16_e32 vcc_lo, 9, v18
	s_cbranch_vccnz .LBB168_2056
; %bb.2051:
	v_cmp_lt_i16_e32 vcc_lo, 9, v18
	s_cbranch_vccz .LBB168_2053
; %bb.2052:
	s_mov_b32 s0, 0
	global_store_b128 v[16:17], v[0:3], off
.LBB168_2053:
	s_and_not1_b32 vcc_lo, exec_lo, s0
	s_cbranch_vccnz .LBB168_2055
; %bb.2054:
	v_cvt_f32_f64_e32 v20, v[0:1]
	v_cvt_f32_f64_e32 v21, v[2:3]
	global_store_b64 v[16:17], v[20:21], off
.LBB168_2055:
	s_mov_b32 s0, 0
.LBB168_2056:
	s_delay_alu instid0(SALU_CYCLE_1)
	s_and_not1_b32 vcc_lo, exec_lo, s0
	s_cbranch_vccnz .LBB168_2058
; %bb.2057:
	v_cvt_f32_f64_e32 v2, v[2:3]
	v_cvt_f32_f64_e32 v3, v[0:1]
	s_delay_alu instid0(VALU_DEP_2) | instskip(NEXT) | instid1(VALU_DEP_2)
	v_cvt_f16_f32_e32 v2, v2
	v_cvt_f16_f32_e32 v3, v3
	s_delay_alu instid0(VALU_DEP_2) | instskip(NEXT) | instid1(VALU_DEP_2)
	v_lshlrev_b32_e32 v2, 16, v2
	v_and_b32_e32 v3, 0xffff, v3
	s_delay_alu instid0(VALU_DEP_1)
	v_or_b32_e32 v2, v2, v3
	global_store_b32 v[16:17], v2, off
.LBB168_2058:
	s_mov_b32 s0, 0
.LBB168_2059:
	s_delay_alu instid0(SALU_CYCLE_1)
	s_and_not1_b32 vcc_lo, exec_lo, s0
	s_cbranch_vccnz .LBB168_2068
; %bb.2060:
	v_cmp_gt_i16_e32 vcc_lo, 6, v18
	s_mov_b32 s0, -1
	s_cbranch_vccnz .LBB168_2066
; %bb.2061:
	v_cmp_lt_i16_e32 vcc_lo, 6, v18
	s_cbranch_vccz .LBB168_2063
; %bb.2062:
	s_mov_b32 s0, 0
	global_store_b64 v[16:17], v[0:1], off
.LBB168_2063:
	s_and_not1_b32 vcc_lo, exec_lo, s0
	s_cbranch_vccnz .LBB168_2065
; %bb.2064:
	v_cvt_f32_f64_e32 v2, v[0:1]
	global_store_b32 v[16:17], v2, off
.LBB168_2065:
	s_mov_b32 s0, 0
.LBB168_2066:
	s_delay_alu instid0(SALU_CYCLE_1)
	s_and_not1_b32 vcc_lo, exec_lo, s0
	s_cbranch_vccnz .LBB168_2068
; %bb.2067:
	v_cvt_f32_f64_e32 v2, v[0:1]
	s_delay_alu instid0(VALU_DEP_1)
	v_cvt_f16_f32_e32 v2, v2
	global_store_b16 v[16:17], v2, off
.LBB168_2068:
	s_mov_b32 s0, 0
.LBB168_2069:
	s_delay_alu instid0(SALU_CYCLE_1)
	s_and_not1_b32 vcc_lo, exec_lo, s0
	s_cbranch_vccnz .LBB168_2085
; %bb.2070:
	v_cmp_gt_i16_e32 vcc_lo, 2, v18
	s_mov_b32 s0, -1
	s_cbranch_vccnz .LBB168_2080
; %bb.2071:
	v_cmp_gt_i16_e32 vcc_lo, 3, v18
	s_cbranch_vccnz .LBB168_2077
; %bb.2072:
	v_cmp_lt_i16_e32 vcc_lo, 3, v18
	s_cbranch_vccz .LBB168_2074
; %bb.2073:
	v_trunc_f64_e32 v[2:3], v[0:1]
	s_mov_b32 s0, 0
	s_delay_alu instid0(VALU_DEP_1) | instskip(NEXT) | instid1(VALU_DEP_1)
	v_ldexp_f64 v[20:21], v[2:3], 0xffffffe0
	v_floor_f64_e32 v[20:21], v[20:21]
	s_delay_alu instid0(VALU_DEP_1) | instskip(SKIP_1) | instid1(VALU_DEP_2)
	v_fma_f64 v[2:3], 0xc1f00000, v[20:21], v[2:3]
	v_cvt_i32_f64_e32 v21, v[20:21]
	v_cvt_u32_f64_e32 v20, v[2:3]
	global_store_b64 v[16:17], v[20:21], off
.LBB168_2074:
	s_and_not1_b32 vcc_lo, exec_lo, s0
	s_cbranch_vccnz .LBB168_2076
; %bb.2075:
	v_cvt_i32_f64_e32 v2, v[0:1]
	global_store_b32 v[16:17], v2, off
.LBB168_2076:
	s_mov_b32 s0, 0
.LBB168_2077:
	s_delay_alu instid0(SALU_CYCLE_1)
	s_and_not1_b32 vcc_lo, exec_lo, s0
	s_cbranch_vccnz .LBB168_2079
; %bb.2078:
	v_cvt_i32_f64_e32 v2, v[0:1]
	global_store_b16 v[16:17], v2, off
.LBB168_2079:
	s_mov_b32 s0, 0
.LBB168_2080:
	s_delay_alu instid0(SALU_CYCLE_1)
	s_and_not1_b32 vcc_lo, exec_lo, s0
	s_cbranch_vccnz .LBB168_2085
; %bb.2081:
	v_cmp_lt_i16_e32 vcc_lo, 0, v18
	s_mov_b32 s0, -1
	s_cbranch_vccz .LBB168_2083
; %bb.2082:
	v_cvt_i32_f64_e32 v2, v[0:1]
	s_mov_b32 s0, 0
	global_store_b8 v[16:17], v2, off
.LBB168_2083:
	s_and_not1_b32 vcc_lo, exec_lo, s0
	s_cbranch_vccnz .LBB168_2085
; %bb.2084:
	v_trunc_f64_e32 v[0:1], v[0:1]
	s_delay_alu instid0(VALU_DEP_1) | instskip(NEXT) | instid1(VALU_DEP_1)
	v_ldexp_f64 v[2:3], v[0:1], 0xffffffe0
	v_floor_f64_e32 v[2:3], v[2:3]
	s_delay_alu instid0(VALU_DEP_1) | instskip(NEXT) | instid1(VALU_DEP_1)
	v_fma_f64 v[0:1], 0xc1f00000, v[2:3], v[0:1]
	v_cvt_u32_f64_e32 v0, v[0:1]
	global_store_b8 v[16:17], v0, off
.LBB168_2085:
	s_mov_b32 s3, -1
.LBB168_2086:
	s_delay_alu instid0(SALU_CYCLE_1)
	s_and_not1_b32 vcc_lo, exec_lo, s3
	s_cbranch_vccnz .LBB168_2401
; %bb.2087:
	s_lshl_b32 s1, s2, 7
	v_cmp_gt_i16_e32 vcc_lo, 11, v18
	v_add_nc_u32_e32 v2, s1, v19
	s_delay_alu instid0(VALU_DEP_1) | instskip(SKIP_1) | instid1(VALU_DEP_1)
	v_ashrrev_i32_e32 v1, 31, v2
	v_add_co_u32 v0, s0, s4, v2
	v_add_co_ci_u32_e64 v1, s0, s5, v1, s0
	s_cbranch_vccnz .LBB168_2165
; %bb.2088:
	v_cmp_lt_i16_e32 vcc_lo, 25, v18
	s_mov_b32 s6, -1
	s_mov_b32 s2, 0
	s_mov_b32 s3, 0
	;; [unrolled: 1-line block ×3, first 2 shown]
	s_cbranch_vccz .LBB168_2121
; %bb.2089:
	v_cmp_lt_i16_e32 vcc_lo, 28, v18
	s_cbranch_vccz .LBB168_2104
; %bb.2090:
	v_cmp_lt_i16_e32 vcc_lo, 43, v18
	;; [unrolled: 3-line block ×3, first 2 shown]
	s_cbranch_vccz .LBB168_2094
; %bb.2092:
	v_cmp_eq_u16_e32 vcc_lo, 46, v18
	s_mov_b32 s0, -1
	s_mov_b32 s6, 0
	s_cbranch_vccz .LBB168_2094
; %bb.2093:
	v_cvt_f32_f64_e32 v3, v[6:7]
	v_cvt_f32_f64_e32 v16, v[4:5]
	s_mov_b32 s0, 0
	s_mov_b32 s3, -1
	s_delay_alu instid0(VALU_DEP_2) | instskip(NEXT) | instid1(VALU_DEP_2)
	v_bfe_u32 v17, v3, 16, 1
	v_bfe_u32 v19, v16, 16, 1
	v_cmp_o_f32_e32 vcc_lo, v3, v3
	s_delay_alu instid0(VALU_DEP_3) | instskip(NEXT) | instid1(VALU_DEP_3)
	v_add3_u32 v17, v3, v17, 0x7fff
	v_add3_u32 v19, v16, v19, 0x7fff
	s_delay_alu instid0(VALU_DEP_2) | instskip(NEXT) | instid1(VALU_DEP_2)
	v_and_b32_e32 v17, 0xffff0000, v17
	v_lshrrev_b32_e32 v19, 16, v19
	s_delay_alu instid0(VALU_DEP_2) | instskip(SKIP_1) | instid1(VALU_DEP_3)
	v_cndmask_b32_e32 v3, 0x7fc00000, v17, vcc_lo
	v_cmp_o_f32_e32 vcc_lo, v16, v16
	v_cndmask_b32_e32 v16, 0x7fc0, v19, vcc_lo
	s_delay_alu instid0(VALU_DEP_1)
	v_or_b32_e32 v3, v3, v16
	global_store_b32 v[0:1], v3, off
.LBB168_2094:
	s_and_b32 vcc_lo, exec_lo, s6
	s_cbranch_vccz .LBB168_2099
; %bb.2095:
	v_cmp_eq_u16_e32 vcc_lo, 44, v18
	s_mov_b32 s0, -1
	s_cbranch_vccz .LBB168_2099
; %bb.2096:
	v_cvt_f32_f64_e32 v3, v[4:5]
	v_mov_b32_e32 v16, 0xff
	s_mov_b32 s3, exec_lo
	s_delay_alu instid0(VALU_DEP_2) | instskip(NEXT) | instid1(VALU_DEP_1)
	v_bfe_u32 v17, v3, 23, 8
	v_cmpx_ne_u32_e32 0xff, v17
; %bb.2097:
	v_and_b32_e32 v16, 0x400000, v3
	v_and_or_b32 v17, 0x3fffff, v3, v17
	v_lshrrev_b32_e32 v3, 23, v3
	s_delay_alu instid0(VALU_DEP_3) | instskip(NEXT) | instid1(VALU_DEP_3)
	v_cmp_ne_u32_e32 vcc_lo, 0, v16
	v_cmp_ne_u32_e64 s0, 0, v17
	s_delay_alu instid0(VALU_DEP_1) | instskip(NEXT) | instid1(SALU_CYCLE_1)
	s_and_b32 s0, vcc_lo, s0
	v_cndmask_b32_e64 v16, 0, 1, s0
	s_delay_alu instid0(VALU_DEP_1)
	v_add_nc_u32_e32 v16, v3, v16
; %bb.2098:
	s_or_b32 exec_lo, exec_lo, s3
	s_mov_b32 s0, 0
	s_mov_b32 s3, -1
	global_store_b8 v[0:1], v16, off
.LBB168_2099:
	s_mov_b32 s6, 0
.LBB168_2100:
	s_delay_alu instid0(SALU_CYCLE_1)
	s_and_b32 vcc_lo, exec_lo, s6
	s_cbranch_vccz .LBB168_2103
; %bb.2101:
	v_cmp_eq_u16_e32 vcc_lo, 29, v18
	s_mov_b32 s0, -1
	s_cbranch_vccz .LBB168_2103
; %bb.2102:
	v_trunc_f64_e32 v[16:17], v[4:5]
	s_mov_b32 s0, 0
	s_mov_b32 s3, -1
	s_delay_alu instid0(VALU_DEP_1) | instskip(NEXT) | instid1(VALU_DEP_1)
	v_ldexp_f64 v[19:20], v[16:17], 0xffffffe0
	v_floor_f64_e32 v[19:20], v[19:20]
	s_delay_alu instid0(VALU_DEP_1) | instskip(SKIP_1) | instid1(VALU_DEP_2)
	v_fma_f64 v[16:17], 0xc1f00000, v[19:20], v[16:17]
	v_cvt_u32_f64_e32 v20, v[19:20]
	v_cvt_u32_f64_e32 v19, v[16:17]
	global_store_b64 v[0:1], v[19:20], off
.LBB168_2103:
	s_mov_b32 s6, 0
.LBB168_2104:
	s_delay_alu instid0(SALU_CYCLE_1)
	s_and_b32 vcc_lo, exec_lo, s6
	s_cbranch_vccz .LBB168_2120
; %bb.2105:
	v_cmp_gt_i16_e32 vcc_lo, 27, v18
	s_mov_b32 s3, -1
	s_cbranch_vccnz .LBB168_2111
; %bb.2106:
	v_cvt_u32_f64_e32 v3, v[4:5]
	v_cmp_lt_i16_e32 vcc_lo, 27, v18
	s_cbranch_vccz .LBB168_2108
; %bb.2107:
	s_mov_b32 s3, 0
	global_store_b32 v[0:1], v3, off
.LBB168_2108:
	s_and_not1_b32 vcc_lo, exec_lo, s3
	s_cbranch_vccnz .LBB168_2110
; %bb.2109:
	global_store_b16 v[0:1], v3, off
.LBB168_2110:
	s_mov_b32 s3, 0
.LBB168_2111:
	s_delay_alu instid0(SALU_CYCLE_1)
	s_and_not1_b32 vcc_lo, exec_lo, s3
	s_cbranch_vccnz .LBB168_2119
; %bb.2112:
	v_cvt_f32_f64_e32 v3, v[4:5]
	v_mov_b32_e32 v17, 0x80
	s_mov_b32 s3, exec_lo
	s_delay_alu instid0(VALU_DEP_2) | instskip(NEXT) | instid1(VALU_DEP_1)
	v_and_b32_e32 v16, 0x7fffffff, v3
	v_cmpx_gt_u32_e32 0x43800000, v16
	s_cbranch_execz .LBB168_2118
; %bb.2113:
	v_cmp_lt_u32_e32 vcc_lo, 0x3bffffff, v16
	s_mov_b32 s6, 0
                                        ; implicit-def: $vgpr16
	s_and_saveexec_b32 s7, vcc_lo
	s_delay_alu instid0(SALU_CYCLE_1)
	s_xor_b32 s7, exec_lo, s7
	s_cbranch_execz .LBB168_2413
; %bb.2114:
	v_bfe_u32 v16, v3, 20, 1
	s_mov_b32 s6, exec_lo
	s_delay_alu instid0(VALU_DEP_1) | instskip(NEXT) | instid1(VALU_DEP_1)
	v_add3_u32 v16, v3, v16, 0x487ffff
	v_lshrrev_b32_e32 v16, 20, v16
	s_or_saveexec_b32 s7, s7
                                        ; implicit-def: $sgpr8
	s_delay_alu instid0(SALU_CYCLE_1)
	s_xor_b32 exec_lo, exec_lo, s7
	s_cbranch_execnz .LBB168_2414
.LBB168_2115:
	s_or_b32 exec_lo, exec_lo, s7
	v_mov_b32_e32 v17, s8
	s_and_saveexec_b32 s7, s6
.LBB168_2116:
	v_lshrrev_b32_e32 v3, 24, v3
	s_delay_alu instid0(VALU_DEP_1)
	v_and_or_b32 v17, 0x80, v3, v16
.LBB168_2117:
	s_or_b32 exec_lo, exec_lo, s7
.LBB168_2118:
	s_delay_alu instid0(SALU_CYCLE_1)
	s_or_b32 exec_lo, exec_lo, s3
	global_store_b8 v[0:1], v17, off
.LBB168_2119:
	s_mov_b32 s3, -1
.LBB168_2120:
	s_mov_b32 s6, 0
.LBB168_2121:
	s_delay_alu instid0(SALU_CYCLE_1)
	s_and_b32 vcc_lo, exec_lo, s6
	s_cbranch_vccz .LBB168_2161
; %bb.2122:
	v_cmp_lt_i16_e32 vcc_lo, 22, v18
	s_mov_b32 s2, -1
	s_cbranch_vccz .LBB168_2154
; %bb.2123:
	v_cmp_gt_i16_e32 vcc_lo, 24, v18
	s_cbranch_vccnz .LBB168_2143
; %bb.2124:
	v_cmp_lt_i16_e32 vcc_lo, 24, v18
	s_cbranch_vccz .LBB168_2132
; %bb.2125:
	v_cvt_f32_f64_e32 v3, v[4:5]
	v_mov_b32_e32 v17, 0x80
	s_mov_b32 s2, exec_lo
	s_delay_alu instid0(VALU_DEP_2) | instskip(NEXT) | instid1(VALU_DEP_1)
	v_and_b32_e32 v16, 0x7fffffff, v3
	v_cmpx_gt_u32_e32 0x47800000, v16
	s_cbranch_execz .LBB168_2131
; %bb.2126:
	v_cmp_lt_u32_e32 vcc_lo, 0x37ffffff, v16
	s_mov_b32 s3, 0
                                        ; implicit-def: $vgpr16
	s_and_saveexec_b32 s6, vcc_lo
	s_delay_alu instid0(SALU_CYCLE_1)
	s_xor_b32 s6, exec_lo, s6
	s_cbranch_execz .LBB168_2419
; %bb.2127:
	v_bfe_u32 v16, v3, 21, 1
	s_mov_b32 s3, exec_lo
	s_delay_alu instid0(VALU_DEP_1) | instskip(NEXT) | instid1(VALU_DEP_1)
	v_add3_u32 v16, v3, v16, 0x88fffff
	v_lshrrev_b32_e32 v16, 21, v16
	s_or_saveexec_b32 s6, s6
                                        ; implicit-def: $sgpr7
	s_delay_alu instid0(SALU_CYCLE_1)
	s_xor_b32 exec_lo, exec_lo, s6
	s_cbranch_execnz .LBB168_2420
.LBB168_2128:
	s_or_b32 exec_lo, exec_lo, s6
	v_mov_b32_e32 v17, s7
	s_and_saveexec_b32 s6, s3
.LBB168_2129:
	v_lshrrev_b32_e32 v3, 24, v3
	s_delay_alu instid0(VALU_DEP_1)
	v_and_or_b32 v17, 0x80, v3, v16
.LBB168_2130:
	s_or_b32 exec_lo, exec_lo, s6
.LBB168_2131:
	s_delay_alu instid0(SALU_CYCLE_1)
	s_or_b32 exec_lo, exec_lo, s2
	s_mov_b32 s2, 0
	global_store_b8 v[0:1], v17, off
.LBB168_2132:
	s_and_b32 vcc_lo, exec_lo, s2
	s_cbranch_vccz .LBB168_2142
; %bb.2133:
	v_cvt_f32_f64_e32 v3, v[4:5]
	s_mov_b32 s2, exec_lo
                                        ; implicit-def: $vgpr16
	s_delay_alu instid0(VALU_DEP_1) | instskip(NEXT) | instid1(VALU_DEP_1)
	v_and_b32_e32 v17, 0x7fffffff, v3
	v_cmpx_gt_u32_e32 0x43f00000, v17
	s_xor_b32 s2, exec_lo, s2
	s_cbranch_execz .LBB168_2139
; %bb.2134:
	s_mov_b32 s3, exec_lo
                                        ; implicit-def: $vgpr16
	v_cmpx_lt_u32_e32 0x3c7fffff, v17
	s_xor_b32 s3, exec_lo, s3
; %bb.2135:
	v_bfe_u32 v16, v3, 20, 1
	s_delay_alu instid0(VALU_DEP_1) | instskip(NEXT) | instid1(VALU_DEP_1)
	v_add3_u32 v16, v3, v16, 0x407ffff
	v_and_b32_e32 v17, 0xff00000, v16
	v_lshrrev_b32_e32 v16, 20, v16
	s_delay_alu instid0(VALU_DEP_2) | instskip(NEXT) | instid1(VALU_DEP_2)
	v_cmp_ne_u32_e32 vcc_lo, 0x7f00000, v17
	v_cndmask_b32_e32 v16, 0x7e, v16, vcc_lo
; %bb.2136:
	s_and_not1_saveexec_b32 s3, s3
; %bb.2137:
	v_add_f32_e64 v16, 0x46800000, |v3|
; %bb.2138:
	s_or_b32 exec_lo, exec_lo, s3
                                        ; implicit-def: $vgpr17
.LBB168_2139:
	s_and_not1_saveexec_b32 s2, s2
; %bb.2140:
	v_mov_b32_e32 v16, 0x7f
	v_cmp_lt_u32_e32 vcc_lo, 0x7f800000, v17
	s_delay_alu instid0(VALU_DEP_2)
	v_cndmask_b32_e32 v16, 0x7e, v16, vcc_lo
; %bb.2141:
	s_or_b32 exec_lo, exec_lo, s2
	v_lshrrev_b32_e32 v3, 24, v3
	s_delay_alu instid0(VALU_DEP_1)
	v_and_or_b32 v3, 0x80, v3, v16
	global_store_b8 v[0:1], v3, off
.LBB168_2142:
	s_mov_b32 s2, 0
.LBB168_2143:
	s_delay_alu instid0(SALU_CYCLE_1)
	s_and_not1_b32 vcc_lo, exec_lo, s2
	s_cbranch_vccnz .LBB168_2153
; %bb.2144:
	v_cvt_f32_f64_e32 v3, v[4:5]
	s_mov_b32 s2, exec_lo
                                        ; implicit-def: $vgpr16
	s_delay_alu instid0(VALU_DEP_1) | instskip(NEXT) | instid1(VALU_DEP_1)
	v_and_b32_e32 v17, 0x7fffffff, v3
	v_cmpx_gt_u32_e32 0x47800000, v17
	s_xor_b32 s2, exec_lo, s2
	s_cbranch_execz .LBB168_2150
; %bb.2145:
	s_mov_b32 s3, exec_lo
                                        ; implicit-def: $vgpr16
	v_cmpx_lt_u32_e32 0x387fffff, v17
	s_xor_b32 s3, exec_lo, s3
; %bb.2146:
	v_bfe_u32 v16, v3, 21, 1
	s_delay_alu instid0(VALU_DEP_1) | instskip(NEXT) | instid1(VALU_DEP_1)
	v_add3_u32 v16, v3, v16, 0x80fffff
	v_lshrrev_b32_e32 v16, 21, v16
; %bb.2147:
	s_and_not1_saveexec_b32 s3, s3
; %bb.2148:
	v_add_f32_e64 v16, 0x43000000, |v3|
; %bb.2149:
	s_or_b32 exec_lo, exec_lo, s3
                                        ; implicit-def: $vgpr17
.LBB168_2150:
	s_and_not1_saveexec_b32 s2, s2
; %bb.2151:
	v_mov_b32_e32 v16, 0x7f
	v_cmp_lt_u32_e32 vcc_lo, 0x7f800000, v17
	s_delay_alu instid0(VALU_DEP_2)
	v_cndmask_b32_e32 v16, 0x7c, v16, vcc_lo
; %bb.2152:
	s_or_b32 exec_lo, exec_lo, s2
	v_lshrrev_b32_e32 v3, 24, v3
	s_delay_alu instid0(VALU_DEP_1)
	v_and_or_b32 v3, 0x80, v3, v16
	global_store_b8 v[0:1], v3, off
.LBB168_2153:
	s_mov_b32 s2, 0
	s_mov_b32 s3, -1
.LBB168_2154:
	s_and_not1_b32 vcc_lo, exec_lo, s2
	s_mov_b32 s2, 0
	s_cbranch_vccnz .LBB168_2161
; %bb.2155:
	v_cmp_lt_i16_e32 vcc_lo, 14, v18
	s_mov_b32 s2, -1
	s_cbranch_vccz .LBB168_2159
; %bb.2156:
	v_cmp_eq_u16_e32 vcc_lo, 15, v18
	s_mov_b32 s0, -1
	s_cbranch_vccz .LBB168_2158
; %bb.2157:
	v_cvt_f32_f64_e32 v3, v[4:5]
	s_mov_b32 s0, 0
	s_mov_b32 s3, -1
	s_delay_alu instid0(VALU_DEP_1) | instskip(SKIP_1) | instid1(VALU_DEP_2)
	v_bfe_u32 v16, v3, 16, 1
	v_cmp_o_f32_e32 vcc_lo, v3, v3
	v_add3_u32 v16, v3, v16, 0x7fff
	s_delay_alu instid0(VALU_DEP_1) | instskip(NEXT) | instid1(VALU_DEP_1)
	v_lshrrev_b32_e32 v16, 16, v16
	v_cndmask_b32_e32 v3, 0x7fc0, v16, vcc_lo
	global_store_b16 v[0:1], v3, off
.LBB168_2158:
	s_mov_b32 s2, 0
.LBB168_2159:
	s_delay_alu instid0(SALU_CYCLE_1)
	s_and_b32 vcc_lo, exec_lo, s2
	s_mov_b32 s2, 0
	s_cbranch_vccz .LBB168_2161
; %bb.2160:
	v_cmp_ne_u16_e64 s0, 11, v18
	s_mov_b32 s2, -1
.LBB168_2161:
	s_delay_alu instid0(VALU_DEP_1)
	s_and_b32 vcc_lo, exec_lo, s0
	s_cbranch_vccnz .LBB168_2417
; %bb.2162:
	s_and_not1_b32 vcc_lo, exec_lo, s2
	s_cbranch_vccnz .LBB168_2164
.LBB168_2163:
	v_cmp_neq_f64_e32 vcc_lo, 0, v[4:5]
	v_cmp_neq_f64_e64 s0, 0, v[6:7]
	s_mov_b32 s3, -1
	s_delay_alu instid0(VALU_DEP_1) | instskip(NEXT) | instid1(SALU_CYCLE_1)
	s_or_b32 s0, vcc_lo, s0
	v_cndmask_b32_e64 v3, 0, 1, s0
	global_store_b8 v[0:1], v3, off
.LBB168_2164:
	s_mov_b32 s0, 0
	s_branch .LBB168_2166
.LBB168_2165:
	s_mov_b32 s0, -1
	s_mov_b32 s3, 0
.LBB168_2166:
	s_and_b32 vcc_lo, exec_lo, s0
	s_cbranch_vccz .LBB168_2205
; %bb.2167:
	v_cmp_gt_i16_e32 vcc_lo, 5, v18
	s_mov_b32 s0, -1
	s_cbranch_vccnz .LBB168_2188
; %bb.2168:
	v_cmp_gt_i16_e32 vcc_lo, 8, v18
	s_cbranch_vccnz .LBB168_2178
; %bb.2169:
	v_cmp_gt_i16_e32 vcc_lo, 9, v18
	s_cbranch_vccnz .LBB168_2175
; %bb.2170:
	v_cmp_lt_i16_e32 vcc_lo, 9, v18
	s_cbranch_vccz .LBB168_2172
; %bb.2171:
	s_mov_b32 s0, 0
	global_store_b128 v[0:1], v[4:7], off
.LBB168_2172:
	s_and_not1_b32 vcc_lo, exec_lo, s0
	s_cbranch_vccnz .LBB168_2174
; %bb.2173:
	v_cvt_f32_f64_e32 v16, v[4:5]
	v_cvt_f32_f64_e32 v17, v[6:7]
	global_store_b64 v[0:1], v[16:17], off
.LBB168_2174:
	s_mov_b32 s0, 0
.LBB168_2175:
	s_delay_alu instid0(SALU_CYCLE_1)
	s_and_not1_b32 vcc_lo, exec_lo, s0
	s_cbranch_vccnz .LBB168_2177
; %bb.2176:
	v_cvt_f32_f64_e32 v3, v[6:7]
	v_cvt_f32_f64_e32 v6, v[4:5]
	s_delay_alu instid0(VALU_DEP_2) | instskip(NEXT) | instid1(VALU_DEP_2)
	v_cvt_f16_f32_e32 v3, v3
	v_cvt_f16_f32_e32 v6, v6
	s_delay_alu instid0(VALU_DEP_2) | instskip(NEXT) | instid1(VALU_DEP_2)
	v_lshlrev_b32_e32 v3, 16, v3
	v_and_b32_e32 v6, 0xffff, v6
	s_delay_alu instid0(VALU_DEP_1)
	v_or_b32_e32 v3, v3, v6
	global_store_b32 v[0:1], v3, off
.LBB168_2177:
	s_mov_b32 s0, 0
.LBB168_2178:
	s_delay_alu instid0(SALU_CYCLE_1)
	s_and_not1_b32 vcc_lo, exec_lo, s0
	s_cbranch_vccnz .LBB168_2187
; %bb.2179:
	v_cmp_gt_i16_e32 vcc_lo, 6, v18
	s_mov_b32 s0, -1
	s_cbranch_vccnz .LBB168_2185
; %bb.2180:
	v_cmp_lt_i16_e32 vcc_lo, 6, v18
	s_cbranch_vccz .LBB168_2182
; %bb.2181:
	s_mov_b32 s0, 0
	global_store_b64 v[0:1], v[4:5], off
.LBB168_2182:
	s_and_not1_b32 vcc_lo, exec_lo, s0
	s_cbranch_vccnz .LBB168_2184
; %bb.2183:
	v_cvt_f32_f64_e32 v3, v[4:5]
	global_store_b32 v[0:1], v3, off
.LBB168_2184:
	s_mov_b32 s0, 0
.LBB168_2185:
	s_delay_alu instid0(SALU_CYCLE_1)
	s_and_not1_b32 vcc_lo, exec_lo, s0
	s_cbranch_vccnz .LBB168_2187
; %bb.2186:
	v_cvt_f32_f64_e32 v3, v[4:5]
	s_delay_alu instid0(VALU_DEP_1)
	v_cvt_f16_f32_e32 v3, v3
	global_store_b16 v[0:1], v3, off
.LBB168_2187:
	s_mov_b32 s0, 0
.LBB168_2188:
	s_delay_alu instid0(SALU_CYCLE_1)
	s_and_not1_b32 vcc_lo, exec_lo, s0
	s_cbranch_vccnz .LBB168_2204
; %bb.2189:
	v_cmp_gt_i16_e32 vcc_lo, 2, v18
	s_mov_b32 s0, -1
	s_cbranch_vccnz .LBB168_2199
; %bb.2190:
	v_cmp_gt_i16_e32 vcc_lo, 3, v18
	s_cbranch_vccnz .LBB168_2196
; %bb.2191:
	v_cmp_lt_i16_e32 vcc_lo, 3, v18
	s_cbranch_vccz .LBB168_2193
; %bb.2192:
	v_trunc_f64_e32 v[6:7], v[4:5]
	s_mov_b32 s0, 0
	s_delay_alu instid0(VALU_DEP_1) | instskip(NEXT) | instid1(VALU_DEP_1)
	v_ldexp_f64 v[16:17], v[6:7], 0xffffffe0
	v_floor_f64_e32 v[16:17], v[16:17]
	s_delay_alu instid0(VALU_DEP_1) | instskip(SKIP_1) | instid1(VALU_DEP_2)
	v_fma_f64 v[6:7], 0xc1f00000, v[16:17], v[6:7]
	v_cvt_i32_f64_e32 v17, v[16:17]
	v_cvt_u32_f64_e32 v16, v[6:7]
	global_store_b64 v[0:1], v[16:17], off
.LBB168_2193:
	s_and_not1_b32 vcc_lo, exec_lo, s0
	s_cbranch_vccnz .LBB168_2195
; %bb.2194:
	v_cvt_i32_f64_e32 v3, v[4:5]
	global_store_b32 v[0:1], v3, off
.LBB168_2195:
	s_mov_b32 s0, 0
.LBB168_2196:
	s_delay_alu instid0(SALU_CYCLE_1)
	s_and_not1_b32 vcc_lo, exec_lo, s0
	s_cbranch_vccnz .LBB168_2198
; %bb.2197:
	v_cvt_i32_f64_e32 v3, v[4:5]
	global_store_b16 v[0:1], v3, off
.LBB168_2198:
	s_mov_b32 s0, 0
.LBB168_2199:
	s_delay_alu instid0(SALU_CYCLE_1)
	s_and_not1_b32 vcc_lo, exec_lo, s0
	s_cbranch_vccnz .LBB168_2204
; %bb.2200:
	v_cmp_lt_i16_e32 vcc_lo, 0, v18
	s_mov_b32 s0, -1
	s_cbranch_vccz .LBB168_2202
; %bb.2201:
	v_cvt_i32_f64_e32 v3, v[4:5]
	s_mov_b32 s0, 0
	global_store_b8 v[0:1], v3, off
.LBB168_2202:
	s_and_not1_b32 vcc_lo, exec_lo, s0
	s_cbranch_vccnz .LBB168_2204
; %bb.2203:
	v_trunc_f64_e32 v[3:4], v[4:5]
	s_delay_alu instid0(VALU_DEP_1) | instskip(NEXT) | instid1(VALU_DEP_1)
	v_ldexp_f64 v[5:6], v[3:4], 0xffffffe0
	v_floor_f64_e32 v[5:6], v[5:6]
	s_delay_alu instid0(VALU_DEP_1) | instskip(NEXT) | instid1(VALU_DEP_1)
	v_fma_f64 v[3:4], 0xc1f00000, v[5:6], v[3:4]
	v_cvt_u32_f64_e32 v3, v[3:4]
	global_store_b8 v[0:1], v3, off
.LBB168_2204:
	s_mov_b32 s3, -1
.LBB168_2205:
	s_delay_alu instid0(SALU_CYCLE_1)
	s_and_not1_b32 vcc_lo, exec_lo, s3
	s_cbranch_vccnz .LBB168_2401
; %bb.2206:
	v_add_nc_u32_e32 v2, s1, v2
	v_cmp_gt_i16_e32 vcc_lo, 11, v18
	s_delay_alu instid0(VALU_DEP_2) | instskip(SKIP_1) | instid1(VALU_DEP_1)
	v_ashrrev_i32_e32 v1, 31, v2
	v_add_co_u32 v0, s0, s4, v2
	v_add_co_ci_u32_e64 v1, s0, s5, v1, s0
	s_cbranch_vccnz .LBB168_2284
; %bb.2207:
	v_cmp_lt_i16_e32 vcc_lo, 25, v18
	s_mov_b32 s6, -1
	s_mov_b32 s2, 0
	s_mov_b32 s3, 0
	;; [unrolled: 1-line block ×3, first 2 shown]
	s_cbranch_vccz .LBB168_2240
; %bb.2208:
	v_cmp_lt_i16_e32 vcc_lo, 28, v18
	s_cbranch_vccz .LBB168_2223
; %bb.2209:
	v_cmp_lt_i16_e32 vcc_lo, 43, v18
	;; [unrolled: 3-line block ×3, first 2 shown]
	s_cbranch_vccz .LBB168_2213
; %bb.2211:
	v_cmp_eq_u16_e32 vcc_lo, 46, v18
	s_mov_b32 s0, -1
	s_mov_b32 s6, 0
	s_cbranch_vccz .LBB168_2213
; %bb.2212:
	v_cvt_f32_f64_e32 v3, v[10:11]
	v_cvt_f32_f64_e32 v4, v[8:9]
	s_mov_b32 s0, 0
	s_mov_b32 s3, -1
	s_delay_alu instid0(VALU_DEP_2) | instskip(NEXT) | instid1(VALU_DEP_2)
	v_bfe_u32 v5, v3, 16, 1
	v_bfe_u32 v6, v4, 16, 1
	v_cmp_o_f32_e32 vcc_lo, v3, v3
	s_delay_alu instid0(VALU_DEP_3) | instskip(NEXT) | instid1(VALU_DEP_3)
	v_add3_u32 v5, v3, v5, 0x7fff
	v_add3_u32 v6, v4, v6, 0x7fff
	s_delay_alu instid0(VALU_DEP_2) | instskip(NEXT) | instid1(VALU_DEP_2)
	v_and_b32_e32 v5, 0xffff0000, v5
	v_lshrrev_b32_e32 v6, 16, v6
	s_delay_alu instid0(VALU_DEP_2) | instskip(SKIP_1) | instid1(VALU_DEP_3)
	v_cndmask_b32_e32 v3, 0x7fc00000, v5, vcc_lo
	v_cmp_o_f32_e32 vcc_lo, v4, v4
	v_cndmask_b32_e32 v4, 0x7fc0, v6, vcc_lo
	s_delay_alu instid0(VALU_DEP_1)
	v_or_b32_e32 v3, v3, v4
	global_store_b32 v[0:1], v3, off
.LBB168_2213:
	s_and_b32 vcc_lo, exec_lo, s6
	s_cbranch_vccz .LBB168_2218
; %bb.2214:
	v_cmp_eq_u16_e32 vcc_lo, 44, v18
	s_mov_b32 s0, -1
	s_cbranch_vccz .LBB168_2218
; %bb.2215:
	v_cvt_f32_f64_e32 v3, v[8:9]
	v_mov_b32_e32 v4, 0xff
	s_mov_b32 s3, exec_lo
	s_delay_alu instid0(VALU_DEP_2) | instskip(NEXT) | instid1(VALU_DEP_1)
	v_bfe_u32 v5, v3, 23, 8
	v_cmpx_ne_u32_e32 0xff, v5
; %bb.2216:
	v_and_b32_e32 v4, 0x400000, v3
	v_and_or_b32 v5, 0x3fffff, v3, v5
	v_lshrrev_b32_e32 v3, 23, v3
	s_delay_alu instid0(VALU_DEP_3) | instskip(NEXT) | instid1(VALU_DEP_3)
	v_cmp_ne_u32_e32 vcc_lo, 0, v4
	v_cmp_ne_u32_e64 s0, 0, v5
	s_delay_alu instid0(VALU_DEP_1) | instskip(NEXT) | instid1(SALU_CYCLE_1)
	s_and_b32 s0, vcc_lo, s0
	v_cndmask_b32_e64 v4, 0, 1, s0
	s_delay_alu instid0(VALU_DEP_1)
	v_add_nc_u32_e32 v4, v3, v4
; %bb.2217:
	s_or_b32 exec_lo, exec_lo, s3
	s_mov_b32 s0, 0
	s_mov_b32 s3, -1
	global_store_b8 v[0:1], v4, off
.LBB168_2218:
	s_mov_b32 s6, 0
.LBB168_2219:
	s_delay_alu instid0(SALU_CYCLE_1)
	s_and_b32 vcc_lo, exec_lo, s6
	s_cbranch_vccz .LBB168_2222
; %bb.2220:
	v_cmp_eq_u16_e32 vcc_lo, 29, v18
	s_mov_b32 s0, -1
	s_cbranch_vccz .LBB168_2222
; %bb.2221:
	v_trunc_f64_e32 v[3:4], v[8:9]
	s_mov_b32 s0, 0
	s_mov_b32 s3, -1
	s_delay_alu instid0(VALU_DEP_1) | instskip(NEXT) | instid1(VALU_DEP_1)
	v_ldexp_f64 v[5:6], v[3:4], 0xffffffe0
	v_floor_f64_e32 v[5:6], v[5:6]
	s_delay_alu instid0(VALU_DEP_1) | instskip(SKIP_1) | instid1(VALU_DEP_2)
	v_fma_f64 v[3:4], 0xc1f00000, v[5:6], v[3:4]
	v_cvt_u32_f64_e32 v5, v[5:6]
	v_cvt_u32_f64_e32 v4, v[3:4]
	global_store_b64 v[0:1], v[4:5], off
.LBB168_2222:
	s_mov_b32 s6, 0
.LBB168_2223:
	s_delay_alu instid0(SALU_CYCLE_1)
	s_and_b32 vcc_lo, exec_lo, s6
	s_cbranch_vccz .LBB168_2239
; %bb.2224:
	v_cmp_gt_i16_e32 vcc_lo, 27, v18
	s_mov_b32 s3, -1
	s_cbranch_vccnz .LBB168_2230
; %bb.2225:
	v_cvt_u32_f64_e32 v3, v[8:9]
	v_cmp_lt_i16_e32 vcc_lo, 27, v18
	s_cbranch_vccz .LBB168_2227
; %bb.2226:
	s_mov_b32 s3, 0
	global_store_b32 v[0:1], v3, off
.LBB168_2227:
	s_and_not1_b32 vcc_lo, exec_lo, s3
	s_cbranch_vccnz .LBB168_2229
; %bb.2228:
	global_store_b16 v[0:1], v3, off
.LBB168_2229:
	s_mov_b32 s3, 0
.LBB168_2230:
	s_delay_alu instid0(SALU_CYCLE_1)
	s_and_not1_b32 vcc_lo, exec_lo, s3
	s_cbranch_vccnz .LBB168_2238
; %bb.2231:
	v_cvt_f32_f64_e32 v3, v[8:9]
	v_mov_b32_e32 v5, 0x80
	s_mov_b32 s3, exec_lo
	s_delay_alu instid0(VALU_DEP_2) | instskip(NEXT) | instid1(VALU_DEP_1)
	v_and_b32_e32 v4, 0x7fffffff, v3
	v_cmpx_gt_u32_e32 0x43800000, v4
	s_cbranch_execz .LBB168_2237
; %bb.2232:
	v_cmp_lt_u32_e32 vcc_lo, 0x3bffffff, v4
	s_mov_b32 s6, 0
                                        ; implicit-def: $vgpr4
	s_and_saveexec_b32 s7, vcc_lo
	s_delay_alu instid0(SALU_CYCLE_1)
	s_xor_b32 s7, exec_lo, s7
	s_cbranch_execz .LBB168_2421
; %bb.2233:
	v_bfe_u32 v4, v3, 20, 1
	s_mov_b32 s6, exec_lo
	s_delay_alu instid0(VALU_DEP_1) | instskip(NEXT) | instid1(VALU_DEP_1)
	v_add3_u32 v4, v3, v4, 0x487ffff
	v_lshrrev_b32_e32 v4, 20, v4
	s_or_saveexec_b32 s7, s7
                                        ; implicit-def: $sgpr8
	s_delay_alu instid0(SALU_CYCLE_1)
	s_xor_b32 exec_lo, exec_lo, s7
	s_cbranch_execnz .LBB168_2422
.LBB168_2234:
	s_or_b32 exec_lo, exec_lo, s7
	v_mov_b32_e32 v5, s8
	s_and_saveexec_b32 s7, s6
.LBB168_2235:
	v_lshrrev_b32_e32 v3, 24, v3
	s_delay_alu instid0(VALU_DEP_1)
	v_and_or_b32 v5, 0x80, v3, v4
.LBB168_2236:
	s_or_b32 exec_lo, exec_lo, s7
.LBB168_2237:
	s_delay_alu instid0(SALU_CYCLE_1)
	s_or_b32 exec_lo, exec_lo, s3
	global_store_b8 v[0:1], v5, off
.LBB168_2238:
	s_mov_b32 s3, -1
.LBB168_2239:
	s_mov_b32 s6, 0
.LBB168_2240:
	s_delay_alu instid0(SALU_CYCLE_1)
	s_and_b32 vcc_lo, exec_lo, s6
	s_cbranch_vccz .LBB168_2280
; %bb.2241:
	v_cmp_lt_i16_e32 vcc_lo, 22, v18
	s_mov_b32 s2, -1
	s_cbranch_vccz .LBB168_2273
; %bb.2242:
	v_cmp_gt_i16_e32 vcc_lo, 24, v18
	s_cbranch_vccnz .LBB168_2262
; %bb.2243:
	v_cmp_lt_i16_e32 vcc_lo, 24, v18
	s_cbranch_vccz .LBB168_2251
; %bb.2244:
	v_cvt_f32_f64_e32 v3, v[8:9]
	v_mov_b32_e32 v5, 0x80
	s_mov_b32 s2, exec_lo
	s_delay_alu instid0(VALU_DEP_2) | instskip(NEXT) | instid1(VALU_DEP_1)
	v_and_b32_e32 v4, 0x7fffffff, v3
	v_cmpx_gt_u32_e32 0x47800000, v4
	s_cbranch_execz .LBB168_2250
; %bb.2245:
	v_cmp_lt_u32_e32 vcc_lo, 0x37ffffff, v4
	s_mov_b32 s3, 0
                                        ; implicit-def: $vgpr4
	s_and_saveexec_b32 s6, vcc_lo
	s_delay_alu instid0(SALU_CYCLE_1)
	s_xor_b32 s6, exec_lo, s6
	s_cbranch_execz .LBB168_2427
; %bb.2246:
	v_bfe_u32 v4, v3, 21, 1
	s_mov_b32 s3, exec_lo
	s_delay_alu instid0(VALU_DEP_1) | instskip(NEXT) | instid1(VALU_DEP_1)
	v_add3_u32 v4, v3, v4, 0x88fffff
	v_lshrrev_b32_e32 v4, 21, v4
	s_or_saveexec_b32 s6, s6
                                        ; implicit-def: $sgpr7
	s_delay_alu instid0(SALU_CYCLE_1)
	s_xor_b32 exec_lo, exec_lo, s6
	s_cbranch_execnz .LBB168_2428
.LBB168_2247:
	s_or_b32 exec_lo, exec_lo, s6
	v_mov_b32_e32 v5, s7
	s_and_saveexec_b32 s6, s3
.LBB168_2248:
	v_lshrrev_b32_e32 v3, 24, v3
	s_delay_alu instid0(VALU_DEP_1)
	v_and_or_b32 v5, 0x80, v3, v4
.LBB168_2249:
	s_or_b32 exec_lo, exec_lo, s6
.LBB168_2250:
	s_delay_alu instid0(SALU_CYCLE_1)
	s_or_b32 exec_lo, exec_lo, s2
	s_mov_b32 s2, 0
	global_store_b8 v[0:1], v5, off
.LBB168_2251:
	s_and_b32 vcc_lo, exec_lo, s2
	s_cbranch_vccz .LBB168_2261
; %bb.2252:
	v_cvt_f32_f64_e32 v3, v[8:9]
	s_mov_b32 s2, exec_lo
                                        ; implicit-def: $vgpr4
	s_delay_alu instid0(VALU_DEP_1) | instskip(NEXT) | instid1(VALU_DEP_1)
	v_and_b32_e32 v5, 0x7fffffff, v3
	v_cmpx_gt_u32_e32 0x43f00000, v5
	s_xor_b32 s2, exec_lo, s2
	s_cbranch_execz .LBB168_2258
; %bb.2253:
	s_mov_b32 s3, exec_lo
                                        ; implicit-def: $vgpr4
	v_cmpx_lt_u32_e32 0x3c7fffff, v5
	s_xor_b32 s3, exec_lo, s3
; %bb.2254:
	v_bfe_u32 v4, v3, 20, 1
	s_delay_alu instid0(VALU_DEP_1) | instskip(NEXT) | instid1(VALU_DEP_1)
	v_add3_u32 v4, v3, v4, 0x407ffff
	v_and_b32_e32 v5, 0xff00000, v4
	v_lshrrev_b32_e32 v4, 20, v4
	s_delay_alu instid0(VALU_DEP_2) | instskip(NEXT) | instid1(VALU_DEP_2)
	v_cmp_ne_u32_e32 vcc_lo, 0x7f00000, v5
	v_cndmask_b32_e32 v4, 0x7e, v4, vcc_lo
; %bb.2255:
	s_and_not1_saveexec_b32 s3, s3
; %bb.2256:
	v_add_f32_e64 v4, 0x46800000, |v3|
; %bb.2257:
	s_or_b32 exec_lo, exec_lo, s3
                                        ; implicit-def: $vgpr5
.LBB168_2258:
	s_and_not1_saveexec_b32 s2, s2
; %bb.2259:
	v_mov_b32_e32 v4, 0x7f
	v_cmp_lt_u32_e32 vcc_lo, 0x7f800000, v5
	s_delay_alu instid0(VALU_DEP_2)
	v_cndmask_b32_e32 v4, 0x7e, v4, vcc_lo
; %bb.2260:
	s_or_b32 exec_lo, exec_lo, s2
	v_lshrrev_b32_e32 v3, 24, v3
	s_delay_alu instid0(VALU_DEP_1)
	v_and_or_b32 v3, 0x80, v3, v4
	global_store_b8 v[0:1], v3, off
.LBB168_2261:
	s_mov_b32 s2, 0
.LBB168_2262:
	s_delay_alu instid0(SALU_CYCLE_1)
	s_and_not1_b32 vcc_lo, exec_lo, s2
	s_cbranch_vccnz .LBB168_2272
; %bb.2263:
	v_cvt_f32_f64_e32 v3, v[8:9]
	s_mov_b32 s2, exec_lo
                                        ; implicit-def: $vgpr4
	s_delay_alu instid0(VALU_DEP_1) | instskip(NEXT) | instid1(VALU_DEP_1)
	v_and_b32_e32 v5, 0x7fffffff, v3
	v_cmpx_gt_u32_e32 0x47800000, v5
	s_xor_b32 s2, exec_lo, s2
	s_cbranch_execz .LBB168_2269
; %bb.2264:
	s_mov_b32 s3, exec_lo
                                        ; implicit-def: $vgpr4
	v_cmpx_lt_u32_e32 0x387fffff, v5
	s_xor_b32 s3, exec_lo, s3
; %bb.2265:
	v_bfe_u32 v4, v3, 21, 1
	s_delay_alu instid0(VALU_DEP_1) | instskip(NEXT) | instid1(VALU_DEP_1)
	v_add3_u32 v4, v3, v4, 0x80fffff
	v_lshrrev_b32_e32 v4, 21, v4
; %bb.2266:
	s_and_not1_saveexec_b32 s3, s3
; %bb.2267:
	v_add_f32_e64 v4, 0x43000000, |v3|
; %bb.2268:
	s_or_b32 exec_lo, exec_lo, s3
                                        ; implicit-def: $vgpr5
.LBB168_2269:
	s_and_not1_saveexec_b32 s2, s2
; %bb.2270:
	v_mov_b32_e32 v4, 0x7f
	v_cmp_lt_u32_e32 vcc_lo, 0x7f800000, v5
	s_delay_alu instid0(VALU_DEP_2)
	v_cndmask_b32_e32 v4, 0x7c, v4, vcc_lo
; %bb.2271:
	s_or_b32 exec_lo, exec_lo, s2
	v_lshrrev_b32_e32 v3, 24, v3
	s_delay_alu instid0(VALU_DEP_1)
	v_and_or_b32 v3, 0x80, v3, v4
	global_store_b8 v[0:1], v3, off
.LBB168_2272:
	s_mov_b32 s2, 0
	s_mov_b32 s3, -1
.LBB168_2273:
	s_and_not1_b32 vcc_lo, exec_lo, s2
	s_mov_b32 s2, 0
	s_cbranch_vccnz .LBB168_2280
; %bb.2274:
	v_cmp_lt_i16_e32 vcc_lo, 14, v18
	s_mov_b32 s2, -1
	s_cbranch_vccz .LBB168_2278
; %bb.2275:
	v_cmp_eq_u16_e32 vcc_lo, 15, v18
	s_mov_b32 s0, -1
	s_cbranch_vccz .LBB168_2277
; %bb.2276:
	v_cvt_f32_f64_e32 v3, v[8:9]
	s_mov_b32 s0, 0
	s_mov_b32 s3, -1
	s_delay_alu instid0(VALU_DEP_1) | instskip(SKIP_1) | instid1(VALU_DEP_2)
	v_bfe_u32 v4, v3, 16, 1
	v_cmp_o_f32_e32 vcc_lo, v3, v3
	v_add3_u32 v4, v3, v4, 0x7fff
	s_delay_alu instid0(VALU_DEP_1) | instskip(NEXT) | instid1(VALU_DEP_1)
	v_lshrrev_b32_e32 v4, 16, v4
	v_cndmask_b32_e32 v3, 0x7fc0, v4, vcc_lo
	global_store_b16 v[0:1], v3, off
.LBB168_2277:
	s_mov_b32 s2, 0
.LBB168_2278:
	s_delay_alu instid0(SALU_CYCLE_1)
	s_and_b32 vcc_lo, exec_lo, s2
	s_mov_b32 s2, 0
	s_cbranch_vccz .LBB168_2280
; %bb.2279:
	v_cmp_ne_u16_e64 s0, 11, v18
	s_mov_b32 s2, -1
.LBB168_2280:
	s_delay_alu instid0(VALU_DEP_1)
	s_and_b32 vcc_lo, exec_lo, s0
	s_cbranch_vccnz .LBB168_2425
; %bb.2281:
	s_and_not1_b32 vcc_lo, exec_lo, s2
	s_cbranch_vccnz .LBB168_2283
.LBB168_2282:
	v_cmp_neq_f64_e32 vcc_lo, 0, v[8:9]
	v_cmp_neq_f64_e64 s0, 0, v[10:11]
	s_mov_b32 s3, -1
	s_delay_alu instid0(VALU_DEP_1) | instskip(NEXT) | instid1(SALU_CYCLE_1)
	s_or_b32 s0, vcc_lo, s0
	v_cndmask_b32_e64 v3, 0, 1, s0
	global_store_b8 v[0:1], v3, off
.LBB168_2283:
	s_mov_b32 s0, 0
	s_branch .LBB168_2285
.LBB168_2284:
	s_mov_b32 s0, -1
	s_mov_b32 s3, 0
.LBB168_2285:
	s_and_b32 vcc_lo, exec_lo, s0
	s_cbranch_vccz .LBB168_2324
; %bb.2286:
	v_cmp_gt_i16_e32 vcc_lo, 5, v18
	s_mov_b32 s0, -1
	s_cbranch_vccnz .LBB168_2307
; %bb.2287:
	v_cmp_gt_i16_e32 vcc_lo, 8, v18
	s_cbranch_vccnz .LBB168_2297
; %bb.2288:
	v_cmp_gt_i16_e32 vcc_lo, 9, v18
	s_cbranch_vccnz .LBB168_2294
; %bb.2289:
	v_cmp_lt_i16_e32 vcc_lo, 9, v18
	s_cbranch_vccz .LBB168_2291
; %bb.2290:
	s_mov_b32 s0, 0
	global_store_b128 v[0:1], v[8:11], off
.LBB168_2291:
	s_and_not1_b32 vcc_lo, exec_lo, s0
	s_cbranch_vccnz .LBB168_2293
; %bb.2292:
	v_cvt_f32_f64_e32 v3, v[8:9]
	v_cvt_f32_f64_e32 v4, v[10:11]
	global_store_b64 v[0:1], v[3:4], off
.LBB168_2293:
	s_mov_b32 s0, 0
.LBB168_2294:
	s_delay_alu instid0(SALU_CYCLE_1)
	s_and_not1_b32 vcc_lo, exec_lo, s0
	s_cbranch_vccnz .LBB168_2296
; %bb.2295:
	v_cvt_f32_f64_e32 v3, v[10:11]
	v_cvt_f32_f64_e32 v4, v[8:9]
	s_delay_alu instid0(VALU_DEP_2) | instskip(NEXT) | instid1(VALU_DEP_2)
	v_cvt_f16_f32_e32 v3, v3
	v_cvt_f16_f32_e32 v4, v4
	s_delay_alu instid0(VALU_DEP_2) | instskip(NEXT) | instid1(VALU_DEP_2)
	v_lshlrev_b32_e32 v3, 16, v3
	v_and_b32_e32 v4, 0xffff, v4
	s_delay_alu instid0(VALU_DEP_1)
	v_or_b32_e32 v3, v3, v4
	global_store_b32 v[0:1], v3, off
.LBB168_2296:
	s_mov_b32 s0, 0
.LBB168_2297:
	s_delay_alu instid0(SALU_CYCLE_1)
	s_and_not1_b32 vcc_lo, exec_lo, s0
	s_cbranch_vccnz .LBB168_2306
; %bb.2298:
	v_cmp_gt_i16_e32 vcc_lo, 6, v18
	s_mov_b32 s0, -1
	s_cbranch_vccnz .LBB168_2304
; %bb.2299:
	v_cmp_lt_i16_e32 vcc_lo, 6, v18
	s_cbranch_vccz .LBB168_2301
; %bb.2300:
	s_mov_b32 s0, 0
	global_store_b64 v[0:1], v[8:9], off
.LBB168_2301:
	s_and_not1_b32 vcc_lo, exec_lo, s0
	s_cbranch_vccnz .LBB168_2303
; %bb.2302:
	v_cvt_f32_f64_e32 v3, v[8:9]
	global_store_b32 v[0:1], v3, off
.LBB168_2303:
	s_mov_b32 s0, 0
.LBB168_2304:
	s_delay_alu instid0(SALU_CYCLE_1)
	s_and_not1_b32 vcc_lo, exec_lo, s0
	s_cbranch_vccnz .LBB168_2306
; %bb.2305:
	v_cvt_f32_f64_e32 v3, v[8:9]
	s_delay_alu instid0(VALU_DEP_1)
	v_cvt_f16_f32_e32 v3, v3
	global_store_b16 v[0:1], v3, off
.LBB168_2306:
	s_mov_b32 s0, 0
.LBB168_2307:
	s_delay_alu instid0(SALU_CYCLE_1)
	s_and_not1_b32 vcc_lo, exec_lo, s0
	s_cbranch_vccnz .LBB168_2323
; %bb.2308:
	v_cmp_gt_i16_e32 vcc_lo, 2, v18
	s_mov_b32 s0, -1
	s_cbranch_vccnz .LBB168_2318
; %bb.2309:
	v_cmp_gt_i16_e32 vcc_lo, 3, v18
	s_cbranch_vccnz .LBB168_2315
; %bb.2310:
	v_cmp_lt_i16_e32 vcc_lo, 3, v18
	s_cbranch_vccz .LBB168_2312
; %bb.2311:
	v_trunc_f64_e32 v[3:4], v[8:9]
	s_mov_b32 s0, 0
	s_delay_alu instid0(VALU_DEP_1) | instskip(NEXT) | instid1(VALU_DEP_1)
	v_ldexp_f64 v[5:6], v[3:4], 0xffffffe0
	v_floor_f64_e32 v[5:6], v[5:6]
	s_delay_alu instid0(VALU_DEP_1) | instskip(SKIP_1) | instid1(VALU_DEP_2)
	v_fma_f64 v[3:4], 0xc1f00000, v[5:6], v[3:4]
	v_cvt_i32_f64_e32 v5, v[5:6]
	v_cvt_u32_f64_e32 v4, v[3:4]
	global_store_b64 v[0:1], v[4:5], off
.LBB168_2312:
	s_and_not1_b32 vcc_lo, exec_lo, s0
	s_cbranch_vccnz .LBB168_2314
; %bb.2313:
	v_cvt_i32_f64_e32 v3, v[8:9]
	global_store_b32 v[0:1], v3, off
.LBB168_2314:
	s_mov_b32 s0, 0
.LBB168_2315:
	s_delay_alu instid0(SALU_CYCLE_1)
	s_and_not1_b32 vcc_lo, exec_lo, s0
	s_cbranch_vccnz .LBB168_2317
; %bb.2316:
	v_cvt_i32_f64_e32 v3, v[8:9]
	global_store_b16 v[0:1], v3, off
.LBB168_2317:
	s_mov_b32 s0, 0
.LBB168_2318:
	s_delay_alu instid0(SALU_CYCLE_1)
	s_and_not1_b32 vcc_lo, exec_lo, s0
	s_cbranch_vccnz .LBB168_2323
; %bb.2319:
	v_cmp_lt_i16_e32 vcc_lo, 0, v18
	s_mov_b32 s0, -1
	s_cbranch_vccz .LBB168_2321
; %bb.2320:
	v_cvt_i32_f64_e32 v3, v[8:9]
	s_mov_b32 s0, 0
	global_store_b8 v[0:1], v3, off
.LBB168_2321:
	s_and_not1_b32 vcc_lo, exec_lo, s0
	s_cbranch_vccnz .LBB168_2323
; %bb.2322:
	v_trunc_f64_e32 v[3:4], v[8:9]
	s_delay_alu instid0(VALU_DEP_1) | instskip(NEXT) | instid1(VALU_DEP_1)
	v_ldexp_f64 v[5:6], v[3:4], 0xffffffe0
	v_floor_f64_e32 v[5:6], v[5:6]
	s_delay_alu instid0(VALU_DEP_1) | instskip(NEXT) | instid1(VALU_DEP_1)
	v_fma_f64 v[3:4], 0xc1f00000, v[5:6], v[3:4]
	v_cvt_u32_f64_e32 v3, v[3:4]
	global_store_b8 v[0:1], v3, off
.LBB168_2323:
	s_mov_b32 s3, -1
.LBB168_2324:
	s_delay_alu instid0(SALU_CYCLE_1)
	s_and_not1_b32 vcc_lo, exec_lo, s3
	s_cbranch_vccnz .LBB168_2401
; %bb.2325:
	v_add_nc_u32_e32 v0, s1, v2
	v_cmp_gt_i16_e32 vcc_lo, 11, v18
	s_delay_alu instid0(VALU_DEP_2) | instskip(SKIP_1) | instid1(VALU_DEP_1)
	v_ashrrev_i32_e32 v1, 31, v0
	v_add_co_u32 v0, s0, s4, v0
	v_add_co_ci_u32_e64 v1, s0, s5, v1, s0
	s_cbranch_vccnz .LBB168_2402
; %bb.2326:
	v_cmp_lt_i16_e32 vcc_lo, 25, v18
	s_mov_b32 s2, -1
	s_mov_b32 s1, 0
	s_mov_b32 s0, 0
	s_cbranch_vccz .LBB168_2359
; %bb.2327:
	v_cmp_lt_i16_e32 vcc_lo, 28, v18
	s_cbranch_vccz .LBB168_2343
; %bb.2328:
	v_cmp_lt_i16_e32 vcc_lo, 43, v18
	s_cbranch_vccz .LBB168_2339
; %bb.2329:
	v_cmp_lt_i16_e32 vcc_lo, 45, v18
	s_cbranch_vccz .LBB168_2333
; %bb.2330:
	v_cmp_eq_u16_e32 vcc_lo, 46, v18
	s_mov_b32 s0, -1
	s_cbranch_vccz .LBB168_2332
; %bb.2331:
	v_cvt_f32_f64_e32 v2, v[14:15]
	v_cvt_f32_f64_e32 v3, v[12:13]
	s_mov_b32 s0, 0
	s_delay_alu instid0(VALU_DEP_2) | instskip(NEXT) | instid1(VALU_DEP_2)
	v_bfe_u32 v4, v2, 16, 1
	v_bfe_u32 v5, v3, 16, 1
	v_cmp_o_f32_e32 vcc_lo, v2, v2
	s_delay_alu instid0(VALU_DEP_3) | instskip(NEXT) | instid1(VALU_DEP_3)
	v_add3_u32 v4, v2, v4, 0x7fff
	v_add3_u32 v5, v3, v5, 0x7fff
	s_delay_alu instid0(VALU_DEP_2) | instskip(NEXT) | instid1(VALU_DEP_2)
	v_and_b32_e32 v4, 0xffff0000, v4
	v_lshrrev_b32_e32 v5, 16, v5
	s_delay_alu instid0(VALU_DEP_2) | instskip(SKIP_1) | instid1(VALU_DEP_3)
	v_cndmask_b32_e32 v2, 0x7fc00000, v4, vcc_lo
	v_cmp_o_f32_e32 vcc_lo, v3, v3
	v_cndmask_b32_e32 v3, 0x7fc0, v5, vcc_lo
	s_delay_alu instid0(VALU_DEP_1)
	v_or_b32_e32 v2, v2, v3
	global_store_b32 v[0:1], v2, off
.LBB168_2332:
	s_mov_b32 s2, 0
.LBB168_2333:
	s_delay_alu instid0(SALU_CYCLE_1)
	s_and_b32 vcc_lo, exec_lo, s2
	s_cbranch_vccz .LBB168_2338
; %bb.2334:
	v_cmp_eq_u16_e32 vcc_lo, 44, v18
	s_mov_b32 s0, -1
	s_cbranch_vccz .LBB168_2338
; %bb.2335:
	v_cvt_f32_f64_e32 v2, v[12:13]
	v_mov_b32_e32 v3, 0xff
	s_mov_b32 s2, exec_lo
	s_delay_alu instid0(VALU_DEP_2) | instskip(NEXT) | instid1(VALU_DEP_1)
	v_bfe_u32 v4, v2, 23, 8
	v_cmpx_ne_u32_e32 0xff, v4
; %bb.2336:
	v_and_b32_e32 v3, 0x400000, v2
	v_and_or_b32 v4, 0x3fffff, v2, v4
	v_lshrrev_b32_e32 v2, 23, v2
	s_delay_alu instid0(VALU_DEP_3) | instskip(NEXT) | instid1(VALU_DEP_3)
	v_cmp_ne_u32_e32 vcc_lo, 0, v3
	v_cmp_ne_u32_e64 s0, 0, v4
	s_delay_alu instid0(VALU_DEP_1) | instskip(NEXT) | instid1(SALU_CYCLE_1)
	s_and_b32 s0, vcc_lo, s0
	v_cndmask_b32_e64 v3, 0, 1, s0
	s_delay_alu instid0(VALU_DEP_1)
	v_add_nc_u32_e32 v3, v2, v3
; %bb.2337:
	s_or_b32 exec_lo, exec_lo, s2
	s_mov_b32 s0, 0
	global_store_b8 v[0:1], v3, off
.LBB168_2338:
	s_mov_b32 s2, 0
.LBB168_2339:
	s_delay_alu instid0(SALU_CYCLE_1)
	s_and_b32 vcc_lo, exec_lo, s2
	s_cbranch_vccz .LBB168_2342
; %bb.2340:
	v_cmp_eq_u16_e32 vcc_lo, 29, v18
	s_mov_b32 s0, -1
	s_cbranch_vccz .LBB168_2342
; %bb.2341:
	v_trunc_f64_e32 v[2:3], v[12:13]
	s_mov_b32 s0, 0
	s_delay_alu instid0(VALU_DEP_1) | instskip(NEXT) | instid1(VALU_DEP_1)
	v_ldexp_f64 v[4:5], v[2:3], 0xffffffe0
	v_floor_f64_e32 v[4:5], v[4:5]
	s_delay_alu instid0(VALU_DEP_1) | instskip(SKIP_1) | instid1(VALU_DEP_2)
	v_fma_f64 v[2:3], 0xc1f00000, v[4:5], v[2:3]
	v_cvt_u32_f64_e32 v4, v[4:5]
	v_cvt_u32_f64_e32 v3, v[2:3]
	global_store_b64 v[0:1], v[3:4], off
.LBB168_2342:
	s_mov_b32 s2, 0
.LBB168_2343:
	s_delay_alu instid0(SALU_CYCLE_1)
	s_and_b32 vcc_lo, exec_lo, s2
	s_cbranch_vccz .LBB168_2358
; %bb.2344:
	v_cmp_gt_i16_e32 vcc_lo, 27, v18
	s_mov_b32 s2, -1
	s_cbranch_vccnz .LBB168_2350
; %bb.2345:
	v_cvt_u32_f64_e32 v2, v[12:13]
	v_cmp_lt_i16_e32 vcc_lo, 27, v18
	s_cbranch_vccz .LBB168_2347
; %bb.2346:
	s_mov_b32 s2, 0
	global_store_b32 v[0:1], v2, off
.LBB168_2347:
	s_and_not1_b32 vcc_lo, exec_lo, s2
	s_cbranch_vccnz .LBB168_2349
; %bb.2348:
	global_store_b16 v[0:1], v2, off
.LBB168_2349:
	s_mov_b32 s2, 0
.LBB168_2350:
	s_delay_alu instid0(SALU_CYCLE_1)
	s_and_not1_b32 vcc_lo, exec_lo, s2
	s_cbranch_vccnz .LBB168_2358
; %bb.2351:
	v_cvt_f32_f64_e32 v2, v[12:13]
	v_mov_b32_e32 v4, 0x80
	s_mov_b32 s2, exec_lo
	s_delay_alu instid0(VALU_DEP_2) | instskip(NEXT) | instid1(VALU_DEP_1)
	v_and_b32_e32 v3, 0x7fffffff, v2
	v_cmpx_gt_u32_e32 0x43800000, v3
	s_cbranch_execz .LBB168_2357
; %bb.2352:
	v_cmp_lt_u32_e32 vcc_lo, 0x3bffffff, v3
	s_mov_b32 s3, 0
                                        ; implicit-def: $vgpr3
	s_and_saveexec_b32 s4, vcc_lo
	s_delay_alu instid0(SALU_CYCLE_1)
	s_xor_b32 s4, exec_lo, s4
	s_cbranch_execz .LBB168_2429
; %bb.2353:
	v_bfe_u32 v3, v2, 20, 1
	s_mov_b32 s3, exec_lo
	s_delay_alu instid0(VALU_DEP_1) | instskip(NEXT) | instid1(VALU_DEP_1)
	v_add3_u32 v3, v2, v3, 0x487ffff
	v_lshrrev_b32_e32 v3, 20, v3
	s_or_saveexec_b32 s4, s4
                                        ; implicit-def: $sgpr5
	s_delay_alu instid0(SALU_CYCLE_1)
	s_xor_b32 exec_lo, exec_lo, s4
	s_cbranch_execnz .LBB168_2430
.LBB168_2354:
	s_or_b32 exec_lo, exec_lo, s4
	v_mov_b32_e32 v4, s5
	s_and_saveexec_b32 s4, s3
.LBB168_2355:
	v_lshrrev_b32_e32 v2, 24, v2
	s_delay_alu instid0(VALU_DEP_1)
	v_and_or_b32 v4, 0x80, v2, v3
.LBB168_2356:
	s_or_b32 exec_lo, exec_lo, s4
.LBB168_2357:
	s_delay_alu instid0(SALU_CYCLE_1)
	s_or_b32 exec_lo, exec_lo, s2
	global_store_b8 v[0:1], v4, off
.LBB168_2358:
	s_mov_b32 s2, 0
.LBB168_2359:
	s_delay_alu instid0(SALU_CYCLE_1)
	s_and_b32 vcc_lo, exec_lo, s2
	s_cbranch_vccz .LBB168_2399
; %bb.2360:
	v_cmp_lt_i16_e32 vcc_lo, 22, v18
	s_mov_b32 s1, -1
	s_cbranch_vccz .LBB168_2392
; %bb.2361:
	v_cmp_gt_i16_e32 vcc_lo, 24, v18
	s_cbranch_vccnz .LBB168_2381
; %bb.2362:
	v_cmp_lt_i16_e32 vcc_lo, 24, v18
	s_cbranch_vccz .LBB168_2370
; %bb.2363:
	v_cvt_f32_f64_e32 v2, v[12:13]
	v_mov_b32_e32 v4, 0x80
	s_mov_b32 s1, exec_lo
	s_delay_alu instid0(VALU_DEP_2) | instskip(NEXT) | instid1(VALU_DEP_1)
	v_and_b32_e32 v3, 0x7fffffff, v2
	v_cmpx_gt_u32_e32 0x47800000, v3
	s_cbranch_execz .LBB168_2369
; %bb.2364:
	v_cmp_lt_u32_e32 vcc_lo, 0x37ffffff, v3
	s_mov_b32 s2, 0
                                        ; implicit-def: $vgpr3
	s_and_saveexec_b32 s3, vcc_lo
	s_delay_alu instid0(SALU_CYCLE_1)
	s_xor_b32 s3, exec_lo, s3
	s_cbranch_execz .LBB168_2435
; %bb.2365:
	v_bfe_u32 v3, v2, 21, 1
	s_mov_b32 s2, exec_lo
	s_delay_alu instid0(VALU_DEP_1) | instskip(NEXT) | instid1(VALU_DEP_1)
	v_add3_u32 v3, v2, v3, 0x88fffff
	v_lshrrev_b32_e32 v3, 21, v3
	s_or_saveexec_b32 s3, s3
                                        ; implicit-def: $sgpr4
	s_delay_alu instid0(SALU_CYCLE_1)
	s_xor_b32 exec_lo, exec_lo, s3
	s_cbranch_execnz .LBB168_2436
.LBB168_2366:
	s_or_b32 exec_lo, exec_lo, s3
	v_mov_b32_e32 v4, s4
	s_and_saveexec_b32 s3, s2
.LBB168_2367:
	v_lshrrev_b32_e32 v2, 24, v2
	s_delay_alu instid0(VALU_DEP_1)
	v_and_or_b32 v4, 0x80, v2, v3
.LBB168_2368:
	s_or_b32 exec_lo, exec_lo, s3
.LBB168_2369:
	s_delay_alu instid0(SALU_CYCLE_1)
	s_or_b32 exec_lo, exec_lo, s1
	s_mov_b32 s1, 0
	global_store_b8 v[0:1], v4, off
.LBB168_2370:
	s_and_b32 vcc_lo, exec_lo, s1
	s_cbranch_vccz .LBB168_2380
; %bb.2371:
	v_cvt_f32_f64_e32 v2, v[12:13]
	s_mov_b32 s1, exec_lo
                                        ; implicit-def: $vgpr3
	s_delay_alu instid0(VALU_DEP_1) | instskip(NEXT) | instid1(VALU_DEP_1)
	v_and_b32_e32 v4, 0x7fffffff, v2
	v_cmpx_gt_u32_e32 0x43f00000, v4
	s_xor_b32 s1, exec_lo, s1
	s_cbranch_execz .LBB168_2377
; %bb.2372:
	s_mov_b32 s2, exec_lo
                                        ; implicit-def: $vgpr3
	v_cmpx_lt_u32_e32 0x3c7fffff, v4
	s_xor_b32 s2, exec_lo, s2
; %bb.2373:
	v_bfe_u32 v3, v2, 20, 1
	s_delay_alu instid0(VALU_DEP_1) | instskip(NEXT) | instid1(VALU_DEP_1)
	v_add3_u32 v3, v2, v3, 0x407ffff
	v_and_b32_e32 v4, 0xff00000, v3
	v_lshrrev_b32_e32 v3, 20, v3
	s_delay_alu instid0(VALU_DEP_2) | instskip(NEXT) | instid1(VALU_DEP_2)
	v_cmp_ne_u32_e32 vcc_lo, 0x7f00000, v4
	v_cndmask_b32_e32 v3, 0x7e, v3, vcc_lo
; %bb.2374:
	s_and_not1_saveexec_b32 s2, s2
; %bb.2375:
	v_add_f32_e64 v3, 0x46800000, |v2|
; %bb.2376:
	s_or_b32 exec_lo, exec_lo, s2
                                        ; implicit-def: $vgpr4
.LBB168_2377:
	s_and_not1_saveexec_b32 s1, s1
; %bb.2378:
	v_mov_b32_e32 v3, 0x7f
	v_cmp_lt_u32_e32 vcc_lo, 0x7f800000, v4
	s_delay_alu instid0(VALU_DEP_2)
	v_cndmask_b32_e32 v3, 0x7e, v3, vcc_lo
; %bb.2379:
	s_or_b32 exec_lo, exec_lo, s1
	v_lshrrev_b32_e32 v2, 24, v2
	s_delay_alu instid0(VALU_DEP_1)
	v_and_or_b32 v2, 0x80, v2, v3
	global_store_b8 v[0:1], v2, off
.LBB168_2380:
	s_mov_b32 s1, 0
.LBB168_2381:
	s_delay_alu instid0(SALU_CYCLE_1)
	s_and_not1_b32 vcc_lo, exec_lo, s1
	s_cbranch_vccnz .LBB168_2391
; %bb.2382:
	v_cvt_f32_f64_e32 v2, v[12:13]
	s_mov_b32 s1, exec_lo
                                        ; implicit-def: $vgpr3
	s_delay_alu instid0(VALU_DEP_1) | instskip(NEXT) | instid1(VALU_DEP_1)
	v_and_b32_e32 v4, 0x7fffffff, v2
	v_cmpx_gt_u32_e32 0x47800000, v4
	s_xor_b32 s1, exec_lo, s1
	s_cbranch_execz .LBB168_2388
; %bb.2383:
	s_mov_b32 s2, exec_lo
                                        ; implicit-def: $vgpr3
	v_cmpx_lt_u32_e32 0x387fffff, v4
	s_xor_b32 s2, exec_lo, s2
; %bb.2384:
	v_bfe_u32 v3, v2, 21, 1
	s_delay_alu instid0(VALU_DEP_1) | instskip(NEXT) | instid1(VALU_DEP_1)
	v_add3_u32 v3, v2, v3, 0x80fffff
	v_lshrrev_b32_e32 v3, 21, v3
; %bb.2385:
	s_and_not1_saveexec_b32 s2, s2
; %bb.2386:
	v_add_f32_e64 v3, 0x43000000, |v2|
; %bb.2387:
	s_or_b32 exec_lo, exec_lo, s2
                                        ; implicit-def: $vgpr4
.LBB168_2388:
	s_and_not1_saveexec_b32 s1, s1
; %bb.2389:
	v_mov_b32_e32 v3, 0x7f
	v_cmp_lt_u32_e32 vcc_lo, 0x7f800000, v4
	s_delay_alu instid0(VALU_DEP_2)
	v_cndmask_b32_e32 v3, 0x7c, v3, vcc_lo
; %bb.2390:
	s_or_b32 exec_lo, exec_lo, s1
	v_lshrrev_b32_e32 v2, 24, v2
	s_delay_alu instid0(VALU_DEP_1)
	v_and_or_b32 v2, 0x80, v2, v3
	global_store_b8 v[0:1], v2, off
.LBB168_2391:
	s_mov_b32 s1, 0
.LBB168_2392:
	s_delay_alu instid0(SALU_CYCLE_1)
	s_and_not1_b32 vcc_lo, exec_lo, s1
	s_mov_b32 s1, 0
	s_cbranch_vccnz .LBB168_2399
; %bb.2393:
	v_cmp_lt_i16_e32 vcc_lo, 14, v18
	s_mov_b32 s1, -1
	s_cbranch_vccz .LBB168_2397
; %bb.2394:
	v_cmp_eq_u16_e32 vcc_lo, 15, v18
	s_mov_b32 s0, -1
	s_cbranch_vccz .LBB168_2396
; %bb.2395:
	v_cvt_f32_f64_e32 v2, v[12:13]
	s_mov_b32 s0, 0
	s_delay_alu instid0(VALU_DEP_1) | instskip(SKIP_1) | instid1(VALU_DEP_2)
	v_bfe_u32 v3, v2, 16, 1
	v_cmp_o_f32_e32 vcc_lo, v2, v2
	v_add3_u32 v3, v2, v3, 0x7fff
	s_delay_alu instid0(VALU_DEP_1) | instskip(NEXT) | instid1(VALU_DEP_1)
	v_lshrrev_b32_e32 v3, 16, v3
	v_cndmask_b32_e32 v2, 0x7fc0, v3, vcc_lo
	global_store_b16 v[0:1], v2, off
.LBB168_2396:
	s_mov_b32 s1, 0
.LBB168_2397:
	s_delay_alu instid0(SALU_CYCLE_1)
	s_and_b32 vcc_lo, exec_lo, s1
	s_mov_b32 s1, 0
	s_cbranch_vccz .LBB168_2399
; %bb.2398:
	v_cmp_ne_u16_e64 s0, 11, v18
	s_mov_b32 s1, -1
.LBB168_2399:
	s_delay_alu instid0(VALU_DEP_1)
	s_and_b32 vcc_lo, exec_lo, s0
	s_cbranch_vccnz .LBB168_2433
.LBB168_2400:
	s_mov_b32 s0, 0
	s_branch .LBB168_1900
.LBB168_2401:
	s_mov_b32 s0, 0
	s_mov_b32 s1, 0
                                        ; implicit-def: $vgpr18
                                        ; implicit-def: $vgpr0_vgpr1
	s_branch .LBB168_1900
.LBB168_2402:
	s_mov_b32 s1, 0
	s_mov_b32 s0, -1
	s_branch .LBB168_1900
.LBB168_2403:
	s_cbranch_execnz .LBB168_2407
; %bb.2404:
	s_or_b32 s10, s10, exec_lo
                                        ; implicit-def: $vgpr16_vgpr17
	s_cbranch_execz .LBB168_1829
	s_branch .LBB168_1830
.LBB168_2405:
	s_or_saveexec_b32 s7, s7
                                        ; implicit-def: $sgpr8
	s_delay_alu instid0(SALU_CYCLE_1)
	s_xor_b32 exec_lo, exec_lo, s7
	s_cbranch_execz .LBB168_1996
.LBB168_2406:
	v_add_f32_e64 v21, 0x46000000, |v20|
	s_and_not1_b32 s6, s6, exec_lo
	s_mov_b32 s8, 0
	s_delay_alu instid0(VALU_DEP_1) | instskip(NEXT) | instid1(VALU_DEP_1)
	v_and_b32_e32 v21, 0xff, v21
	v_cmp_ne_u32_e32 vcc_lo, 0, v21
	s_and_b32 s9, vcc_lo, exec_lo
	s_delay_alu instid0(SALU_CYCLE_1)
	s_or_b32 s6, s6, s9
	s_or_b32 exec_lo, exec_lo, s7
	v_mov_b32_e32 v22, s8
	s_and_saveexec_b32 s7, s6
	s_cbranch_execnz .LBB168_1997
	s_branch .LBB168_1998
.LBB168_2407:
	s_trap 2
	s_sendmsg_rtn_b32 s0, sendmsg(MSG_RTN_GET_DOORBELL)
	s_mov_b32 ttmp2, m0
	s_waitcnt lgkmcnt(0)
	s_and_b32 s0, s0, 0x3ff
	s_delay_alu instid0(SALU_CYCLE_1) | instskip(NEXT) | instid1(SALU_CYCLE_1)
	s_bitset1_b32 s0, 10
	s_mov_b32 m0, s0
	s_sendmsg sendmsg(MSG_INTERRUPT)
	s_mov_b32 m0, ttmp2
.LBB168_2408:                           ; =>This Inner Loop Header: Depth=1
	s_sethalt 5
	s_branch .LBB168_2408
.LBB168_2409:
	s_cbranch_execnz .LBB168_2415
; %bb.2410:
	s_or_b32 s10, s10, exec_lo
	s_cbranch_execz .LBB168_2044
	s_branch .LBB168_2045
.LBB168_2411:
	s_or_saveexec_b32 s6, s6
                                        ; implicit-def: $sgpr7
	s_delay_alu instid0(SALU_CYCLE_1)
	s_xor_b32 exec_lo, exec_lo, s6
	s_cbranch_execz .LBB168_2009
.LBB168_2412:
	v_add_f32_e64 v21, 0x42800000, |v20|
	s_and_not1_b32 s3, s3, exec_lo
	s_mov_b32 s7, 0
	s_delay_alu instid0(VALU_DEP_1) | instskip(NEXT) | instid1(VALU_DEP_1)
	v_and_b32_e32 v21, 0xff, v21
	v_cmp_ne_u32_e32 vcc_lo, 0, v21
	s_and_b32 s8, vcc_lo, exec_lo
	s_delay_alu instid0(SALU_CYCLE_1)
	s_or_b32 s3, s3, s8
	s_or_b32 exec_lo, exec_lo, s6
	v_mov_b32_e32 v22, s7
	s_and_saveexec_b32 s6, s3
	s_cbranch_execnz .LBB168_2010
	s_branch .LBB168_2011
.LBB168_2413:
	s_or_saveexec_b32 s7, s7
                                        ; implicit-def: $sgpr8
	s_delay_alu instid0(SALU_CYCLE_1)
	s_xor_b32 exec_lo, exec_lo, s7
	s_cbranch_execz .LBB168_2115
.LBB168_2414:
	v_add_f32_e64 v16, 0x46000000, |v3|
	s_and_not1_b32 s6, s6, exec_lo
	s_mov_b32 s8, 0
	s_delay_alu instid0(VALU_DEP_1) | instskip(NEXT) | instid1(VALU_DEP_1)
	v_and_b32_e32 v16, 0xff, v16
	v_cmp_ne_u32_e32 vcc_lo, 0, v16
	s_and_b32 s9, vcc_lo, exec_lo
	s_delay_alu instid0(SALU_CYCLE_1)
	s_or_b32 s6, s6, s9
	s_or_b32 exec_lo, exec_lo, s7
	v_mov_b32_e32 v17, s8
	s_and_saveexec_b32 s7, s6
	s_cbranch_execnz .LBB168_2116
	s_branch .LBB168_2117
.LBB168_2415:
	s_trap 2
	s_sendmsg_rtn_b32 s0, sendmsg(MSG_RTN_GET_DOORBELL)
	s_mov_b32 ttmp2, m0
	s_waitcnt lgkmcnt(0)
	s_and_b32 s0, s0, 0x3ff
	s_delay_alu instid0(SALU_CYCLE_1) | instskip(NEXT) | instid1(SALU_CYCLE_1)
	s_bitset1_b32 s0, 10
	s_mov_b32 m0, s0
	s_sendmsg sendmsg(MSG_INTERRUPT)
	s_mov_b32 m0, ttmp2
.LBB168_2416:                           ; =>This Inner Loop Header: Depth=1
	s_sethalt 5
	s_branch .LBB168_2416
.LBB168_2417:
	s_cbranch_execnz .LBB168_2423
; %bb.2418:
	s_or_b32 s10, s10, exec_lo
	s_cbranch_execz .LBB168_2163
	s_branch .LBB168_2164
.LBB168_2419:
	s_or_saveexec_b32 s6, s6
                                        ; implicit-def: $sgpr7
	s_delay_alu instid0(SALU_CYCLE_1)
	s_xor_b32 exec_lo, exec_lo, s6
	s_cbranch_execz .LBB168_2128
.LBB168_2420:
	v_add_f32_e64 v16, 0x42800000, |v3|
	s_and_not1_b32 s3, s3, exec_lo
	s_mov_b32 s7, 0
	s_delay_alu instid0(VALU_DEP_1) | instskip(NEXT) | instid1(VALU_DEP_1)
	v_and_b32_e32 v16, 0xff, v16
	v_cmp_ne_u32_e32 vcc_lo, 0, v16
	s_and_b32 s8, vcc_lo, exec_lo
	s_delay_alu instid0(SALU_CYCLE_1)
	s_or_b32 s3, s3, s8
	s_or_b32 exec_lo, exec_lo, s6
	v_mov_b32_e32 v17, s7
	s_and_saveexec_b32 s6, s3
	s_cbranch_execnz .LBB168_2129
	s_branch .LBB168_2130
.LBB168_2421:
	s_or_saveexec_b32 s7, s7
                                        ; implicit-def: $sgpr8
	s_delay_alu instid0(SALU_CYCLE_1)
	s_xor_b32 exec_lo, exec_lo, s7
	s_cbranch_execz .LBB168_2234
.LBB168_2422:
	v_add_f32_e64 v4, 0x46000000, |v3|
	s_and_not1_b32 s6, s6, exec_lo
	s_mov_b32 s8, 0
	s_delay_alu instid0(VALU_DEP_1) | instskip(NEXT) | instid1(VALU_DEP_1)
	v_and_b32_e32 v4, 0xff, v4
	v_cmp_ne_u32_e32 vcc_lo, 0, v4
	s_and_b32 s9, vcc_lo, exec_lo
	s_delay_alu instid0(SALU_CYCLE_1)
	s_or_b32 s6, s6, s9
	s_or_b32 exec_lo, exec_lo, s7
	v_mov_b32_e32 v5, s8
	s_and_saveexec_b32 s7, s6
	s_cbranch_execnz .LBB168_2235
	s_branch .LBB168_2236
.LBB168_2423:
	s_trap 2
	s_sendmsg_rtn_b32 s0, sendmsg(MSG_RTN_GET_DOORBELL)
	s_mov_b32 ttmp2, m0
	s_waitcnt lgkmcnt(0)
	s_and_b32 s0, s0, 0x3ff
	s_delay_alu instid0(SALU_CYCLE_1) | instskip(NEXT) | instid1(SALU_CYCLE_1)
	s_bitset1_b32 s0, 10
	s_mov_b32 m0, s0
	s_sendmsg sendmsg(MSG_INTERRUPT)
	s_mov_b32 m0, ttmp2
.LBB168_2424:                           ; =>This Inner Loop Header: Depth=1
	s_sethalt 5
	s_branch .LBB168_2424
.LBB168_2425:
	s_cbranch_execnz .LBB168_2431
; %bb.2426:
	s_or_b32 s10, s10, exec_lo
	s_cbranch_execz .LBB168_2282
	s_branch .LBB168_2283
.LBB168_2427:
	s_or_saveexec_b32 s6, s6
                                        ; implicit-def: $sgpr7
	s_delay_alu instid0(SALU_CYCLE_1)
	s_xor_b32 exec_lo, exec_lo, s6
	s_cbranch_execz .LBB168_2247
.LBB168_2428:
	v_add_f32_e64 v4, 0x42800000, |v3|
	s_and_not1_b32 s3, s3, exec_lo
	s_mov_b32 s7, 0
	s_delay_alu instid0(VALU_DEP_1) | instskip(NEXT) | instid1(VALU_DEP_1)
	v_and_b32_e32 v4, 0xff, v4
	v_cmp_ne_u32_e32 vcc_lo, 0, v4
	s_and_b32 s8, vcc_lo, exec_lo
	s_delay_alu instid0(SALU_CYCLE_1)
	s_or_b32 s3, s3, s8
	s_or_b32 exec_lo, exec_lo, s6
	v_mov_b32_e32 v5, s7
	s_and_saveexec_b32 s6, s3
	s_cbranch_execnz .LBB168_2248
	s_branch .LBB168_2249
.LBB168_2429:
	s_or_saveexec_b32 s4, s4
                                        ; implicit-def: $sgpr5
	s_delay_alu instid0(SALU_CYCLE_1)
	s_xor_b32 exec_lo, exec_lo, s4
	s_cbranch_execz .LBB168_2354
.LBB168_2430:
	v_add_f32_e64 v3, 0x46000000, |v2|
	s_and_not1_b32 s3, s3, exec_lo
	s_mov_b32 s5, 0
	s_delay_alu instid0(VALU_DEP_1) | instskip(NEXT) | instid1(VALU_DEP_1)
	v_and_b32_e32 v3, 0xff, v3
	v_cmp_ne_u32_e32 vcc_lo, 0, v3
	s_and_b32 s6, vcc_lo, exec_lo
	s_delay_alu instid0(SALU_CYCLE_1)
	s_or_b32 s3, s3, s6
	s_or_b32 exec_lo, exec_lo, s4
	v_mov_b32_e32 v4, s5
	s_and_saveexec_b32 s4, s3
	s_cbranch_execnz .LBB168_2355
	s_branch .LBB168_2356
.LBB168_2431:
	s_trap 2
	s_sendmsg_rtn_b32 s0, sendmsg(MSG_RTN_GET_DOORBELL)
	s_mov_b32 ttmp2, m0
	s_waitcnt lgkmcnt(0)
	s_and_b32 s0, s0, 0x3ff
	s_delay_alu instid0(SALU_CYCLE_1) | instskip(NEXT) | instid1(SALU_CYCLE_1)
	s_bitset1_b32 s0, 10
	s_mov_b32 m0, s0
	s_sendmsg sendmsg(MSG_INTERRUPT)
	s_mov_b32 m0, ttmp2
.LBB168_2432:                           ; =>This Inner Loop Header: Depth=1
	s_sethalt 5
	s_branch .LBB168_2432
.LBB168_2433:
	s_cbranch_execnz .LBB168_2437
; %bb.2434:
	s_mov_b32 s1, 0
	s_or_b32 s10, s10, exec_lo
	s_branch .LBB168_2400
.LBB168_2435:
	s_or_saveexec_b32 s3, s3
                                        ; implicit-def: $sgpr4
	s_delay_alu instid0(SALU_CYCLE_1)
	s_xor_b32 exec_lo, exec_lo, s3
	s_cbranch_execz .LBB168_2366
.LBB168_2436:
	v_add_f32_e64 v3, 0x42800000, |v2|
	s_and_not1_b32 s2, s2, exec_lo
	s_mov_b32 s4, 0
	s_delay_alu instid0(VALU_DEP_1) | instskip(NEXT) | instid1(VALU_DEP_1)
	v_and_b32_e32 v3, 0xff, v3
	v_cmp_ne_u32_e32 vcc_lo, 0, v3
	s_and_b32 s5, vcc_lo, exec_lo
	s_delay_alu instid0(SALU_CYCLE_1)
	s_or_b32 s2, s2, s5
	s_or_b32 exec_lo, exec_lo, s3
	v_mov_b32_e32 v4, s4
	s_and_saveexec_b32 s3, s2
	s_cbranch_execnz .LBB168_2367
	s_branch .LBB168_2368
.LBB168_2437:
	s_trap 2
	s_sendmsg_rtn_b32 s0, sendmsg(MSG_RTN_GET_DOORBELL)
	s_mov_b32 ttmp2, m0
	s_waitcnt lgkmcnt(0)
	s_and_b32 s0, s0, 0x3ff
	s_delay_alu instid0(SALU_CYCLE_1) | instskip(NEXT) | instid1(SALU_CYCLE_1)
	s_bitset1_b32 s0, 10
	s_mov_b32 m0, s0
	s_sendmsg sendmsg(MSG_INTERRUPT)
	s_mov_b32 m0, ttmp2
.LBB168_2438:                           ; =>This Inner Loop Header: Depth=1
	s_sethalt 5
	s_branch .LBB168_2438
	.section	.rodata,"a",@progbits
	.p2align	6, 0x0
	.amdhsa_kernel _ZN2at6native32elementwise_kernel_manual_unrollILi128ELi4EZNS0_15gpu_kernel_implIZZZNS0_17rsqrt_kernel_cudaERNS_18TensorIteratorBaseEENKUlvE_clEvENKUlvE_clEvEUlN3c107complexIdEEE_EEvS4_RKT_EUlibE_EEviT1_
		.amdhsa_group_segment_fixed_size 0
		.amdhsa_private_segment_fixed_size 0
		.amdhsa_kernarg_size 40
		.amdhsa_user_sgpr_count 15
		.amdhsa_user_sgpr_dispatch_ptr 0
		.amdhsa_user_sgpr_queue_ptr 0
		.amdhsa_user_sgpr_kernarg_segment_ptr 1
		.amdhsa_user_sgpr_dispatch_id 0
		.amdhsa_user_sgpr_private_segment_size 0
		.amdhsa_wavefront_size32 1
		.amdhsa_uses_dynamic_stack 0
		.amdhsa_enable_private_segment 0
		.amdhsa_system_sgpr_workgroup_id_x 1
		.amdhsa_system_sgpr_workgroup_id_y 0
		.amdhsa_system_sgpr_workgroup_id_z 0
		.amdhsa_system_sgpr_workgroup_info 0
		.amdhsa_system_vgpr_workitem_id 0
		.amdhsa_next_free_vgpr 34
		.amdhsa_next_free_sgpr 27
		.amdhsa_reserve_vcc 1
		.amdhsa_float_round_mode_32 0
		.amdhsa_float_round_mode_16_64 0
		.amdhsa_float_denorm_mode_32 3
		.amdhsa_float_denorm_mode_16_64 3
		.amdhsa_dx10_clamp 1
		.amdhsa_ieee_mode 1
		.amdhsa_fp16_overflow 0
		.amdhsa_workgroup_processor_mode 1
		.amdhsa_memory_ordered 1
		.amdhsa_forward_progress 0
		.amdhsa_shared_vgpr_count 0
		.amdhsa_exception_fp_ieee_invalid_op 0
		.amdhsa_exception_fp_denorm_src 0
		.amdhsa_exception_fp_ieee_div_zero 0
		.amdhsa_exception_fp_ieee_overflow 0
		.amdhsa_exception_fp_ieee_underflow 0
		.amdhsa_exception_fp_ieee_inexact 0
		.amdhsa_exception_int_div_zero 0
	.end_amdhsa_kernel
	.section	.text._ZN2at6native32elementwise_kernel_manual_unrollILi128ELi4EZNS0_15gpu_kernel_implIZZZNS0_17rsqrt_kernel_cudaERNS_18TensorIteratorBaseEENKUlvE_clEvENKUlvE_clEvEUlN3c107complexIdEEE_EEvS4_RKT_EUlibE_EEviT1_,"axG",@progbits,_ZN2at6native32elementwise_kernel_manual_unrollILi128ELi4EZNS0_15gpu_kernel_implIZZZNS0_17rsqrt_kernel_cudaERNS_18TensorIteratorBaseEENKUlvE_clEvENKUlvE_clEvEUlN3c107complexIdEEE_EEvS4_RKT_EUlibE_EEviT1_,comdat
.Lfunc_end168:
	.size	_ZN2at6native32elementwise_kernel_manual_unrollILi128ELi4EZNS0_15gpu_kernel_implIZZZNS0_17rsqrt_kernel_cudaERNS_18TensorIteratorBaseEENKUlvE_clEvENKUlvE_clEvEUlN3c107complexIdEEE_EEvS4_RKT_EUlibE_EEviT1_, .Lfunc_end168-_ZN2at6native32elementwise_kernel_manual_unrollILi128ELi4EZNS0_15gpu_kernel_implIZZZNS0_17rsqrt_kernel_cudaERNS_18TensorIteratorBaseEENKUlvE_clEvENKUlvE_clEvEUlN3c107complexIdEEE_EEvS4_RKT_EUlibE_EEviT1_
                                        ; -- End function
	.section	.AMDGPU.csdata,"",@progbits
; Kernel info:
; codeLenInByte = 57192
; NumSgprs: 29
; NumVgprs: 34
; ScratchSize: 0
; MemoryBound: 1
; FloatMode: 240
; IeeeMode: 1
; LDSByteSize: 0 bytes/workgroup (compile time only)
; SGPRBlocks: 3
; VGPRBlocks: 4
; NumSGPRsForWavesPerEU: 29
; NumVGPRsForWavesPerEU: 34
; Occupancy: 16
; WaveLimiterHint : 0
; COMPUTE_PGM_RSRC2:SCRATCH_EN: 0
; COMPUTE_PGM_RSRC2:USER_SGPR: 15
; COMPUTE_PGM_RSRC2:TRAP_HANDLER: 0
; COMPUTE_PGM_RSRC2:TGID_X_EN: 1
; COMPUTE_PGM_RSRC2:TGID_Y_EN: 0
; COMPUTE_PGM_RSRC2:TGID_Z_EN: 0
; COMPUTE_PGM_RSRC2:TIDIG_COMP_CNT: 0
	.section	.text._ZN2at6native32elementwise_kernel_manual_unrollILi128ELi4EZNS0_15gpu_kernel_implIZZZNS0_17rsqrt_kernel_cudaERNS_18TensorIteratorBaseEENKUlvE_clEvENKUlvE_clEvEUlN3c107complexIdEEE_EEvS4_RKT_EUlibE0_EEviT1_,"axG",@progbits,_ZN2at6native32elementwise_kernel_manual_unrollILi128ELi4EZNS0_15gpu_kernel_implIZZZNS0_17rsqrt_kernel_cudaERNS_18TensorIteratorBaseEENKUlvE_clEvENKUlvE_clEvEUlN3c107complexIdEEE_EEvS4_RKT_EUlibE0_EEviT1_,comdat
	.globl	_ZN2at6native32elementwise_kernel_manual_unrollILi128ELi4EZNS0_15gpu_kernel_implIZZZNS0_17rsqrt_kernel_cudaERNS_18TensorIteratorBaseEENKUlvE_clEvENKUlvE_clEvEUlN3c107complexIdEEE_EEvS4_RKT_EUlibE0_EEviT1_ ; -- Begin function _ZN2at6native32elementwise_kernel_manual_unrollILi128ELi4EZNS0_15gpu_kernel_implIZZZNS0_17rsqrt_kernel_cudaERNS_18TensorIteratorBaseEENKUlvE_clEvENKUlvE_clEvEUlN3c107complexIdEEE_EEvS4_RKT_EUlibE0_EEviT1_
	.p2align	8
	.type	_ZN2at6native32elementwise_kernel_manual_unrollILi128ELi4EZNS0_15gpu_kernel_implIZZZNS0_17rsqrt_kernel_cudaERNS_18TensorIteratorBaseEENKUlvE_clEvENKUlvE_clEvEUlN3c107complexIdEEE_EEvS4_RKT_EUlibE0_EEviT1_,@function
_ZN2at6native32elementwise_kernel_manual_unrollILi128ELi4EZNS0_15gpu_kernel_implIZZZNS0_17rsqrt_kernel_cudaERNS_18TensorIteratorBaseEENKUlvE_clEvENKUlvE_clEvEUlN3c107complexIdEEE_EEvS4_RKT_EUlibE0_EEviT1_: ; @_ZN2at6native32elementwise_kernel_manual_unrollILi128ELi4EZNS0_15gpu_kernel_implIZZZNS0_17rsqrt_kernel_cudaERNS_18TensorIteratorBaseEENKUlvE_clEvENKUlvE_clEvEUlN3c107complexIdEEE_EEvS4_RKT_EUlibE0_EEviT1_
; %bb.0:
	s_clause 0x1
	s_load_b32 s24, s[0:1], 0x8
	s_load_b32 s30, s[0:1], 0x0
	v_lshl_or_b32 v16, s15, 9, v0
	s_or_b32 s16, s0, 8
	s_mov_b32 s3, -1
	s_mov_b32 s26, 0
	s_mov_b32 s17, s1
	v_or_b32_e32 v2, 0x180, v16
	s_mov_b32 s8, 0
	s_mov_b32 s2, exec_lo
	s_waitcnt lgkmcnt(0)
	s_add_i32 s25, s24, -1
	s_delay_alu instid0(SALU_CYCLE_1)
	s_cmp_gt_u32 s25, 1
	s_cselect_b32 s27, -1, 0
	v_cmpx_le_i32_e64 s30, v2
	s_xor_b32 s28, exec_lo, s2
	s_cbranch_execz .LBB169_1256
; %bb.1:
	v_mov_b32_e32 v0, 0
	s_clause 0x3
	s_load_b128 s[12:15], s[16:17], 0x4
	s_load_b64 s[18:19], s[16:17], 0x14
	s_load_b128 s[8:11], s[16:17], 0xc4
	s_load_b128 s[4:7], s[16:17], 0x148
	s_cmp_lg_u32 s24, 0
	s_mov_b32 s37, 0
	s_cselect_b32 s33, -1, 0
	global_load_u16 v13, v0, s[16:17] offset:345
	s_add_u32 s20, s16, 0xc4
	s_addc_u32 s21, s17, 0
	s_min_u32 s31, s25, 15
	s_cmp_gt_u32 s24, 1
	s_mov_b32 s35, 0
	s_cselect_b32 s29, -1, 0
	s_mov_b32 s34, 0
	s_mov_b32 s36, exec_lo
	s_waitcnt vmcnt(0)
	v_lshrrev_b16 v14, 8, v13
	v_cmpx_gt_i32_e64 s30, v16
	s_cbranch_execz .LBB169_308
; %bb.2:
	s_and_not1_b32 vcc_lo, exec_lo, s27
	s_cbranch_vccnz .LBB169_7
; %bb.3:
	v_mov_b32_e32 v8, 0
	v_mov_b32_e32 v0, 0
	s_and_not1_b32 vcc_lo, exec_lo, s33
	s_cbranch_vccnz .LBB169_12
; %bb.4:
	v_mov_b32_e32 v8, 0
	s_add_i32 s38, s31, 1
	s_cmp_eq_u32 s25, 2
	s_cbranch_scc1 .LBB169_8
; %bb.5:
	v_dual_mov_b32 v0, 0 :: v_dual_mov_b32 v1, v16
	v_mov_b32_e32 v8, 0
	s_and_b32 s35, s38, 28
	s_mov_b32 s39, 0
	s_mov_b64 s[2:3], s[20:21]
	s_mov_b64 s[22:23], s[16:17]
.LBB169_6:                              ; =>This Inner Loop Header: Depth=1
	s_clause 0x1
	s_load_b256 s[40:47], s[22:23], 0x4
	s_load_b128 s[56:59], s[22:23], 0x24
	s_load_b256 s[48:55], s[2:3], 0x0
	s_add_u32 s22, s22, 48
	s_addc_u32 s23, s23, 0
	s_add_i32 s39, s39, 4
	s_add_u32 s2, s2, 32
	s_addc_u32 s3, s3, 0
	s_cmp_lg_u32 s35, s39
	s_waitcnt lgkmcnt(0)
	v_mul_hi_u32 v2, s41, v1
	s_delay_alu instid0(VALU_DEP_1) | instskip(NEXT) | instid1(VALU_DEP_1)
	v_add_nc_u32_e32 v2, v1, v2
	v_lshrrev_b32_e32 v2, s42, v2
	s_delay_alu instid0(VALU_DEP_1) | instskip(SKIP_1) | instid1(VALU_DEP_2)
	v_mul_hi_u32 v3, s44, v2
	v_mul_lo_u32 v5, v2, s40
	v_add_nc_u32_e32 v3, v2, v3
	s_delay_alu instid0(VALU_DEP_2) | instskip(NEXT) | instid1(VALU_DEP_2)
	v_sub_nc_u32_e32 v1, v1, v5
	v_lshrrev_b32_e32 v3, s45, v3
	s_delay_alu instid0(VALU_DEP_2) | instskip(SKIP_1) | instid1(VALU_DEP_3)
	v_mul_lo_u32 v5, v1, s48
	v_mul_lo_u32 v7, v1, s49
	v_mul_hi_u32 v4, s47, v3
	s_delay_alu instid0(VALU_DEP_1) | instskip(NEXT) | instid1(VALU_DEP_1)
	v_add_nc_u32_e32 v4, v3, v4
	v_lshrrev_b32_e32 v4, s56, v4
	s_delay_alu instid0(VALU_DEP_1) | instskip(SKIP_1) | instid1(VALU_DEP_2)
	v_mul_hi_u32 v6, s58, v4
	v_mul_lo_u32 v9, v4, s46
	v_add_nc_u32_e32 v1, v4, v6
	v_mul_lo_u32 v6, v3, s43
	s_delay_alu instid0(VALU_DEP_3) | instskip(NEXT) | instid1(VALU_DEP_3)
	v_sub_nc_u32_e32 v3, v3, v9
	v_lshrrev_b32_e32 v1, s59, v1
	s_delay_alu instid0(VALU_DEP_2) | instskip(SKIP_2) | instid1(VALU_DEP_4)
	v_mul_lo_u32 v9, v3, s52
	v_mul_lo_u32 v3, v3, s53
	v_sub_nc_u32_e32 v2, v2, v6
	v_mul_lo_u32 v10, v1, s57
	s_delay_alu instid0(VALU_DEP_2) | instskip(SKIP_1) | instid1(VALU_DEP_3)
	v_mul_lo_u32 v6, v2, s50
	v_mul_lo_u32 v2, v2, s51
	v_sub_nc_u32_e32 v4, v4, v10
	s_delay_alu instid0(VALU_DEP_3) | instskip(NEXT) | instid1(VALU_DEP_2)
	v_add3_u32 v5, v5, v8, v6
	v_mul_lo_u32 v10, v4, s54
	v_mul_lo_u32 v4, v4, s55
	v_add3_u32 v0, v7, v0, v2
	s_delay_alu instid0(VALU_DEP_3) | instskip(NEXT) | instid1(VALU_DEP_2)
	v_add3_u32 v8, v9, v5, v10
	v_add3_u32 v0, v3, v0, v4
	s_cbranch_scc1 .LBB169_6
	s_branch .LBB169_9
.LBB169_7:
	s_mov_b32 s34, -1
                                        ; implicit-def: $vgpr8
                                        ; implicit-def: $vgpr0
	s_branch .LBB169_12
.LBB169_8:
	v_dual_mov_b32 v1, v16 :: v_dual_mov_b32 v0, 0
.LBB169_9:
	s_and_b32 s38, s38, 3
	s_delay_alu instid0(SALU_CYCLE_1)
	s_cmp_eq_u32 s38, 0
	s_cbranch_scc1 .LBB169_12
; %bb.10:
	s_lshl_b32 s2, s35, 3
	s_mul_i32 s22, s35, 12
	s_add_u32 s2, s2, s16
	s_addc_u32 s3, s17, 0
	s_add_u32 s2, s2, 0xc4
	s_addc_u32 s3, s3, 0
	;; [unrolled: 2-line block ×3, first 2 shown]
	.p2align	6
.LBB169_11:                             ; =>This Inner Loop Header: Depth=1
	s_clause 0x1
	s_load_b64 s[40:41], s[22:23], 0x4
	s_load_b32 s35, s[22:23], 0xc
	s_load_b64 s[42:43], s[2:3], 0x0
	s_add_u32 s22, s22, 12
	s_addc_u32 s23, s23, 0
	s_add_u32 s2, s2, 8
	s_addc_u32 s3, s3, 0
	s_add_i32 s38, s38, -1
	s_delay_alu instid0(SALU_CYCLE_1) | instskip(SKIP_2) | instid1(VALU_DEP_1)
	s_cmp_lg_u32 s38, 0
	s_waitcnt lgkmcnt(0)
	v_mul_hi_u32 v2, s41, v1
	v_add_nc_u32_e32 v2, v1, v2
	s_delay_alu instid0(VALU_DEP_1) | instskip(NEXT) | instid1(VALU_DEP_1)
	v_lshrrev_b32_e32 v5, s35, v2
	v_mul_lo_u32 v2, v5, s40
	s_delay_alu instid0(VALU_DEP_1) | instskip(NEXT) | instid1(VALU_DEP_1)
	v_sub_nc_u32_e32 v1, v1, v2
	v_mad_u64_u32 v[2:3], null, v1, s42, v[8:9]
	v_mad_u64_u32 v[3:4], null, v1, s43, v[0:1]
	s_delay_alu instid0(VALU_DEP_2) | instskip(NEXT) | instid1(VALU_DEP_2)
	v_dual_mov_b32 v1, v5 :: v_dual_mov_b32 v8, v2
	v_mov_b32_e32 v0, v3
	s_cbranch_scc1 .LBB169_11
.LBB169_12:
	s_and_not1_b32 vcc_lo, exec_lo, s34
	s_cbranch_vccnz .LBB169_15
; %bb.13:
	s_waitcnt lgkmcnt(0)
	v_mul_hi_u32 v0, s13, v16
	s_and_not1_b32 vcc_lo, exec_lo, s29
	s_delay_alu instid0(VALU_DEP_1) | instskip(NEXT) | instid1(VALU_DEP_1)
	v_add_nc_u32_e32 v0, v16, v0
	v_lshrrev_b32_e32 v1, s14, v0
	s_delay_alu instid0(VALU_DEP_1) | instskip(NEXT) | instid1(VALU_DEP_1)
	v_mul_lo_u32 v0, v1, s12
	v_sub_nc_u32_e32 v0, v16, v0
	s_delay_alu instid0(VALU_DEP_1)
	v_mul_lo_u32 v8, v0, s8
	v_mul_lo_u32 v0, v0, s9
	s_cbranch_vccnz .LBB169_15
; %bb.14:
	v_mul_hi_u32 v2, s18, v1
	s_delay_alu instid0(VALU_DEP_1) | instskip(NEXT) | instid1(VALU_DEP_1)
	v_add_nc_u32_e32 v2, v1, v2
	v_lshrrev_b32_e32 v2, s19, v2
	s_delay_alu instid0(VALU_DEP_1) | instskip(NEXT) | instid1(VALU_DEP_1)
	v_mul_lo_u32 v2, v2, s15
	v_sub_nc_u32_e32 v4, v1, v2
	s_delay_alu instid0(VALU_DEP_1) | instskip(NEXT) | instid1(VALU_DEP_1)
	v_mad_u64_u32 v[1:2], null, v4, s10, v[8:9]
	v_mad_u64_u32 v[2:3], null, v4, s11, v[0:1]
	v_mov_b32_e32 v8, v1
	s_delay_alu instid0(VALU_DEP_2)
	v_mov_b32_e32 v0, v2
.LBB169_15:
	v_cmp_gt_i16_e32 vcc_lo, 11, v14
	s_waitcnt lgkmcnt(0)
	s_delay_alu instid0(VALU_DEP_2) | instskip(NEXT) | instid1(VALU_DEP_1)
	v_add_co_u32 v4, s2, s6, v0
	v_add_co_ci_u32_e64 v5, null, s7, 0, s2
	s_mov_b32 s35, 0
	s_cbranch_vccnz .LBB169_22
; %bb.16:
	v_cmp_lt_i16_e32 vcc_lo, 25, v14
	s_cbranch_vccz .LBB169_40
; %bb.17:
	v_cmp_lt_i16_e32 vcc_lo, 28, v14
	s_cbranch_vccz .LBB169_41
; %bb.18:
	v_cmp_lt_i16_e32 vcc_lo, 43, v14
	s_cbranch_vccz .LBB169_42
; %bb.19:
	v_cmp_lt_i16_e32 vcc_lo, 45, v14
	s_cbranch_vccz .LBB169_43
; %bb.20:
	v_cmp_eq_u16_e32 vcc_lo, 46, v14
	s_mov_b32 s2, 0
	s_cbranch_vccz .LBB169_185
; %bb.21:
	global_load_b32 v0, v[4:5], off
	s_mov_b32 s22, -1
	s_waitcnt vmcnt(0)
	v_lshlrev_b32_e32 v1, 16, v0
	v_and_b32_e32 v2, 0xffff0000, v0
	s_delay_alu instid0(VALU_DEP_2) | instskip(NEXT) | instid1(VALU_DEP_2)
	v_cvt_f64_f32_e32 v[0:1], v1
	v_cvt_f64_f32_e32 v[2:3], v2
	s_branch .LBB169_187
.LBB169_22:
	s_mov_b32 s22, 0
                                        ; implicit-def: $vgpr2_vgpr3
	s_cbranch_execnz .LBB169_256
.LBB169_23:
	s_and_not1_b32 vcc_lo, exec_lo, s22
	s_cbranch_vccnz .LBB169_305
.LBB169_24:
	s_waitcnt vmcnt(0)
	s_delay_alu instid0(VALU_DEP_1) | instskip(NEXT) | instid1(VALU_DEP_2)
	v_cmp_neq_f64_e32 vcc_lo, 0, v[0:1]
	v_cmp_neq_f64_e64 s2, 0, v[2:3]
	v_mov_b32_e32 v9, 0
	v_mov_b32_e32 v10, 0
	s_delay_alu instid0(VALU_DEP_3) | instskip(NEXT) | instid1(SALU_CYCLE_1)
	s_or_b32 s2, vcc_lo, s2
	s_and_saveexec_b32 s22, s2
	s_cbranch_execz .LBB169_60
; %bb.25:
	s_mov_b32 s2, 0
	s_mov_b32 s3, 0x7ff00000
	v_mov_b32_e32 v9, s2
	v_mov_b32_e32 v10, s3
	s_mov_b32 s23, exec_lo
	v_cmpx_neq_f64_e64 0x7ff00000, |v[2:3]|
	s_cbranch_execz .LBB169_59
; %bb.26:
	s_mov_b32 s2, exec_lo
	v_cmpx_o_f64_e32 v[0:1], v[0:1]
	s_xor_b32 s34, exec_lo, s2
	s_cbranch_execz .LBB169_56
; %bb.27:
	s_mov_b32 s3, exec_lo
	v_cmpx_neq_f64_e64 0x7ff00000, |v[0:1]|
	s_xor_b32 s38, exec_lo, s3
	s_cbranch_execz .LBB169_49
; %bb.28:
	v_max_f64 v[4:5], |v[2:3]|, |v[2:3]|
	v_max_f64 v[6:7], |v[0:1]|, |v[0:1]|
	s_mov_b32 s2, 0x99fcef32
	s_mov_b32 s3, 0x7fda8279
                                        ; implicit-def: $sgpr39
	s_delay_alu instid0(VALU_DEP_1) | instskip(NEXT) | instid1(VALU_DEP_1)
	v_max_f64 v[4:5], v[6:7], v[4:5]
	v_cmp_nle_f64_e64 s2, s[2:3], v[4:5]
	s_delay_alu instid0(VALU_DEP_1) | instskip(NEXT) | instid1(SALU_CYCLE_1)
	s_and_saveexec_b32 s3, s2
	s_xor_b32 s3, exec_lo, s3
	s_cbranch_execz .LBB169_32
; %bb.29:
	v_cmp_ge_f64_e64 s39, 0x200000, |v[0:1]|
	v_cmp_ge_f64_e64 s40, 0x200000, |v[2:3]|
	s_delay_alu instid0(VALU_DEP_1)
	s_and_b32 s41, s39, s40
	s_mov_b32 s39, 0
	s_and_saveexec_b32 s40, s41
; %bb.30:
	v_mul_f64 v[0:1], v[0:1], 4.0
	v_mul_f64 v[2:3], v[2:3], 4.0
	s_mov_b32 s39, exec_lo
; %bb.31:
	s_or_b32 exec_lo, exec_lo, s40
	s_delay_alu instid0(SALU_CYCLE_1)
	s_and_b32 s39, s39, exec_lo
.LBB169_32:
	s_and_not1_saveexec_b32 s3, s3
; %bb.33:
	s_delay_alu instid0(VALU_DEP_2) | instskip(NEXT) | instid1(VALU_DEP_2)
	v_ldexp_f64 v[0:1], v[0:1], -2
	v_ldexp_f64 v[2:3], v[2:3], -2
	s_and_not1_b32 s39, s39, exec_lo
; %bb.34:
	s_or_b32 exec_lo, exec_lo, s3
	s_delay_alu instid0(VALU_DEP_1) | instskip(NEXT) | instid1(VALU_DEP_3)
	v_max_f64 v[4:5], |v[2:3]|, |v[2:3]|
	v_max_f64 v[6:7], |v[0:1]|, |v[0:1]|
	v_cmp_class_f64_e64 s40, v[0:1], 0x204
	v_cmp_class_f64_e64 s41, v[2:3], 0x204
	v_cmp_le_f64_e64 s3, 0, v[0:1]
	s_delay_alu instid0(VALU_DEP_4) | instskip(NEXT) | instid1(VALU_DEP_3)
	v_max_f64 v[4:5], v[6:7], v[4:5]
	s_or_b32 s40, s41, s40
	s_delay_alu instid0(VALU_DEP_1) | instskip(NEXT) | instid1(VALU_DEP_1)
	v_frexp_exp_i32_f64_e32 v15, v[4:5]
	v_sub_nc_u32_e32 v6, 0, v15
	s_delay_alu instid0(VALU_DEP_1) | instskip(SKIP_1) | instid1(VALU_DEP_2)
	v_ldexp_f64 v[4:5], |v[2:3]|, v6
	v_ldexp_f64 v[6:7], |v[0:1]|, v6
	v_mul_f64 v[4:5], v[4:5], v[4:5]
	s_delay_alu instid0(VALU_DEP_1) | instskip(NEXT) | instid1(VALU_DEP_1)
	v_fma_f64 v[4:5], v[6:7], v[6:7], v[4:5]
	v_rsq_f64_e32 v[6:7], v[4:5]
	v_cmp_eq_f64_e32 vcc_lo, 0, v[4:5]
	s_waitcnt_depctr 0xfff
	v_mul_f64 v[9:10], v[4:5], v[6:7]
	v_mul_f64 v[6:7], v[6:7], 0.5
	s_delay_alu instid0(VALU_DEP_1) | instskip(NEXT) | instid1(VALU_DEP_1)
	v_fma_f64 v[11:12], -v[6:7], v[9:10], 0.5
	v_fma_f64 v[9:10], v[9:10], v[11:12], v[9:10]
	v_fma_f64 v[6:7], v[6:7], v[11:12], v[6:7]
	s_delay_alu instid0(VALU_DEP_2) | instskip(NEXT) | instid1(VALU_DEP_1)
	v_fma_f64 v[11:12], -v[9:10], v[9:10], v[4:5]
	v_fma_f64 v[6:7], v[11:12], v[6:7], v[9:10]
	s_delay_alu instid0(VALU_DEP_1) | instskip(SKIP_1) | instid1(VALU_DEP_2)
	v_dual_cndmask_b32 v5, v7, v5 :: v_dual_cndmask_b32 v4, v6, v4
	v_cmp_o_f64_e32 vcc_lo, v[2:3], v[2:3]
	v_ldexp_f64 v[4:5], v[4:5], v15
	s_delay_alu instid0(VALU_DEP_1) | instskip(NEXT) | instid1(VALU_DEP_2)
	v_cndmask_b32_e32 v4, 0, v4, vcc_lo
	v_cndmask_b32_e32 v5, 0x7ff80000, v5, vcc_lo
	s_delay_alu instid0(VALU_DEP_2) | instskip(NEXT) | instid1(VALU_DEP_2)
	v_cndmask_b32_e64 v4, v4, 0, s40
	v_cndmask_b32_e64 v5, v5, 0x7ff00000, s40
	s_and_saveexec_b32 s40, s3
	s_delay_alu instid0(SALU_CYCLE_1)
	s_xor_b32 s3, exec_lo, s40
	s_cbranch_execz .LBB169_44
; %bb.35:
	s_delay_alu instid0(VALU_DEP_1) | instskip(NEXT) | instid1(VALU_DEP_1)
	v_add_f64 v[0:1], v[0:1], v[4:5]
	v_mul_f64 v[0:1], v[0:1], 0.5
	s_delay_alu instid0(VALU_DEP_1) | instskip(SKIP_1) | instid1(VALU_DEP_1)
	v_cmp_gt_f64_e32 vcc_lo, 0x10000000, v[0:1]
	v_cndmask_b32_e64 v4, 0, 1, vcc_lo
	v_lshlrev_b32_e32 v4, 8, v4
	s_delay_alu instid0(VALU_DEP_1) | instskip(NEXT) | instid1(VALU_DEP_1)
	v_ldexp_f64 v[0:1], v[0:1], v4
	v_rsq_f64_e32 v[4:5], v[0:1]
	s_waitcnt_depctr 0xfff
	v_mul_f64 v[6:7], v[0:1], v[4:5]
	v_mul_f64 v[4:5], v[4:5], 0.5
	s_delay_alu instid0(VALU_DEP_1) | instskip(NEXT) | instid1(VALU_DEP_1)
	v_fma_f64 v[9:10], -v[4:5], v[6:7], 0.5
	v_fma_f64 v[6:7], v[6:7], v[9:10], v[6:7]
	v_fma_f64 v[4:5], v[4:5], v[9:10], v[4:5]
	s_delay_alu instid0(VALU_DEP_2) | instskip(NEXT) | instid1(VALU_DEP_1)
	v_fma_f64 v[9:10], -v[6:7], v[6:7], v[0:1]
	v_fma_f64 v[6:7], v[9:10], v[4:5], v[6:7]
	s_delay_alu instid0(VALU_DEP_1) | instskip(NEXT) | instid1(VALU_DEP_1)
	v_fma_f64 v[9:10], -v[6:7], v[6:7], v[0:1]
	v_fma_f64 v[4:5], v[9:10], v[4:5], v[6:7]
	v_cndmask_b32_e64 v6, 0, 0xffffff80, vcc_lo
	v_cmp_class_f64_e64 vcc_lo, v[0:1], 0x260
	s_delay_alu instid0(VALU_DEP_2) | instskip(NEXT) | instid1(VALU_DEP_1)
	v_ldexp_f64 v[4:5], v[4:5], v6
	v_dual_cndmask_b32 v1, v5, v1 :: v_dual_cndmask_b32 v0, v4, v0
	s_delay_alu instid0(VALU_DEP_1) | instskip(NEXT) | instid1(VALU_DEP_1)
	v_add_f64 v[4:5], v[0:1], v[0:1]
	v_div_scale_f64 v[6:7], null, v[4:5], v[4:5], v[2:3]
	s_delay_alu instid0(VALU_DEP_1) | instskip(SKIP_2) | instid1(VALU_DEP_1)
	v_rcp_f64_e32 v[9:10], v[6:7]
	s_waitcnt_depctr 0xfff
	v_fma_f64 v[11:12], -v[6:7], v[9:10], 1.0
	v_fma_f64 v[9:10], v[9:10], v[11:12], v[9:10]
	s_delay_alu instid0(VALU_DEP_1) | instskip(NEXT) | instid1(VALU_DEP_1)
	v_fma_f64 v[11:12], -v[6:7], v[9:10], 1.0
	v_fma_f64 v[9:10], v[9:10], v[11:12], v[9:10]
	v_div_scale_f64 v[11:12], vcc_lo, v[2:3], v[4:5], v[2:3]
	s_delay_alu instid0(VALU_DEP_1) | instskip(NEXT) | instid1(VALU_DEP_1)
	v_mul_f64 v[17:18], v[11:12], v[9:10]
	v_fma_f64 v[6:7], -v[6:7], v[17:18], v[11:12]
	s_delay_alu instid0(VALU_DEP_1) | instskip(NEXT) | instid1(VALU_DEP_1)
	v_div_fmas_f64 v[6:7], v[6:7], v[9:10], v[17:18]
	v_div_fixup_f64 v[2:3], v[6:7], v[4:5], v[2:3]
                                        ; implicit-def: $vgpr4_vgpr5
	s_and_not1_saveexec_b32 s3, s3
	s_cbranch_execnz .LBB169_45
.LBB169_36:
	s_or_b32 exec_lo, exec_lo, s3
	s_and_saveexec_b32 s3, s2
	s_delay_alu instid0(SALU_CYCLE_1)
	s_xor_b32 s2, exec_lo, s3
	s_cbranch_execz .LBB169_46
.LBB169_37:
	s_and_saveexec_b32 s3, s39
; %bb.38:
	s_delay_alu instid0(VALU_DEP_2) | instskip(NEXT) | instid1(VALU_DEP_2)
	v_mul_f64 v[0:1], v[0:1], 0.5
	v_mul_f64 v[2:3], v[2:3], 0.5
; %bb.39:
	s_or_b32 exec_lo, exec_lo, s3
	s_and_not1_saveexec_b32 s2, s2
	s_cbranch_execnz .LBB169_47
	s_branch .LBB169_48
.LBB169_40:
	s_mov_b32 s22, 0
                                        ; implicit-def: $vgpr2_vgpr3
	s_cbranch_execnz .LBB169_222
	s_branch .LBB169_255
.LBB169_41:
	s_mov_b32 s2, -1
	s_mov_b32 s22, 0
                                        ; implicit-def: $vgpr2_vgpr3
	s_branch .LBB169_201
.LBB169_42:
	s_mov_b32 s2, -1
	s_mov_b32 s22, 0
                                        ; implicit-def: $vgpr2_vgpr3
	s_branch .LBB169_195
.LBB169_43:
	s_mov_b32 s2, -1
	s_branch .LBB169_186
.LBB169_44:
	s_and_not1_saveexec_b32 s3, s3
	s_cbranch_execz .LBB169_36
.LBB169_45:
	v_add_f64 v[0:1], v[4:5], -v[0:1]
	s_delay_alu instid0(VALU_DEP_1) | instskip(NEXT) | instid1(VALU_DEP_1)
	v_mul_f64 v[0:1], v[0:1], 0.5
	v_cmp_gt_f64_e32 vcc_lo, 0x10000000, v[0:1]
	v_cndmask_b32_e64 v4, 0, 1, vcc_lo
	s_delay_alu instid0(VALU_DEP_1) | instskip(NEXT) | instid1(VALU_DEP_1)
	v_lshlrev_b32_e32 v4, 8, v4
	v_ldexp_f64 v[0:1], v[0:1], v4
	s_delay_alu instid0(VALU_DEP_1) | instskip(SKIP_3) | instid1(VALU_DEP_1)
	v_rsq_f64_e32 v[4:5], v[0:1]
	s_waitcnt_depctr 0xfff
	v_mul_f64 v[6:7], v[0:1], v[4:5]
	v_mul_f64 v[4:5], v[4:5], 0.5
	v_fma_f64 v[9:10], -v[4:5], v[6:7], 0.5
	s_delay_alu instid0(VALU_DEP_1) | instskip(SKIP_1) | instid1(VALU_DEP_2)
	v_fma_f64 v[6:7], v[6:7], v[9:10], v[6:7]
	v_fma_f64 v[4:5], v[4:5], v[9:10], v[4:5]
	v_fma_f64 v[9:10], -v[6:7], v[6:7], v[0:1]
	s_delay_alu instid0(VALU_DEP_1) | instskip(NEXT) | instid1(VALU_DEP_1)
	v_fma_f64 v[6:7], v[9:10], v[4:5], v[6:7]
	v_fma_f64 v[9:10], -v[6:7], v[6:7], v[0:1]
	s_delay_alu instid0(VALU_DEP_1) | instskip(SKIP_3) | instid1(VALU_DEP_3)
	v_fma_f64 v[4:5], v[9:10], v[4:5], v[6:7]
	v_cndmask_b32_e64 v6, 0, 0xffffff80, vcc_lo
	v_cmp_class_f64_e64 vcc_lo, v[0:1], 0x260
	v_and_b32_e32 v7, 0x7fffffff, v3
	v_ldexp_f64 v[4:5], v[4:5], v6
	s_delay_alu instid0(VALU_DEP_1) | instskip(NEXT) | instid1(VALU_DEP_1)
	v_dual_cndmask_b32 v5, v5, v1 :: v_dual_cndmask_b32 v4, v4, v0
	v_add_f64 v[0:1], v[4:5], v[4:5]
	v_bfi_b32 v5, 0x7fffffff, v5, v3
	v_mov_b32_e32 v6, v2
	s_delay_alu instid0(VALU_DEP_1) | instskip(SKIP_1) | instid1(VALU_DEP_2)
	v_div_scale_f64 v[9:10], null, v[0:1], v[0:1], v[6:7]
	v_div_scale_f64 v[6:7], vcc_lo, v[6:7], v[0:1], v[6:7]
	v_rcp_f64_e32 v[11:12], v[9:10]
	s_waitcnt_depctr 0xfff
	v_fma_f64 v[17:18], -v[9:10], v[11:12], 1.0
	s_delay_alu instid0(VALU_DEP_1) | instskip(NEXT) | instid1(VALU_DEP_1)
	v_fma_f64 v[11:12], v[11:12], v[17:18], v[11:12]
	v_fma_f64 v[17:18], -v[9:10], v[11:12], 1.0
	s_delay_alu instid0(VALU_DEP_1) | instskip(NEXT) | instid1(VALU_DEP_1)
	v_fma_f64 v[11:12], v[11:12], v[17:18], v[11:12]
	v_mul_f64 v[17:18], v[6:7], v[11:12]
	s_delay_alu instid0(VALU_DEP_1) | instskip(NEXT) | instid1(VALU_DEP_1)
	v_fma_f64 v[6:7], -v[9:10], v[17:18], v[6:7]
	v_div_fmas_f64 v[6:7], v[6:7], v[11:12], v[17:18]
	s_delay_alu instid0(VALU_DEP_1) | instskip(SKIP_3) | instid1(SALU_CYCLE_1)
	v_div_fixup_f64 v[0:1], v[6:7], v[0:1], |v[2:3]|
	v_dual_mov_b32 v2, v4 :: v_dual_mov_b32 v3, v5
	s_or_b32 exec_lo, exec_lo, s3
	s_and_saveexec_b32 s3, s2
	s_xor_b32 s2, exec_lo, s3
	s_cbranch_execnz .LBB169_37
.LBB169_46:
	s_and_not1_saveexec_b32 s2, s2
.LBB169_47:
	s_delay_alu instid0(VALU_DEP_2) | instskip(NEXT) | instid1(VALU_DEP_2)
	v_add_f64 v[0:1], v[0:1], v[0:1]
	v_add_f64 v[2:3], v[2:3], v[2:3]
.LBB169_48:
	s_or_b32 exec_lo, exec_lo, s2
.LBB169_49:
	s_and_not1_saveexec_b32 s2, s38
	s_cbranch_execz .LBB169_55
; %bb.50:
	s_delay_alu instid0(VALU_DEP_1) | instskip(SKIP_1) | instid1(VALU_DEP_3)
	v_add_f64 v[4:5], v[2:3], -v[2:3]
	s_mov_b32 s3, exec_lo
	v_cmpx_lt_i64_e32 -1, v[0:1]
	s_xor_b32 s3, exec_lo, s3
; %bb.51:
	s_delay_alu instid0(VALU_DEP_2) | instskip(NEXT) | instid1(VALU_DEP_1)
	v_bfi_b32 v5, 0x7fffffff, v5, v3
	v_dual_mov_b32 v2, v4 :: v_dual_mov_b32 v3, v5
                                        ; implicit-def: $vgpr4_vgpr5
; %bb.52:
	s_and_not1_saveexec_b32 s3, s3
; %bb.53:
	s_delay_alu instid0(VALU_DEP_1) | instskip(SKIP_1) | instid1(VALU_DEP_2)
	v_bfi_b32 v1, 0x7fffffff, v1, v3
	v_and_b32_e32 v5, 0x7fffffff, v5
	v_dual_mov_b32 v3, v1 :: v_dual_mov_b32 v2, v0
	s_delay_alu instid0(VALU_DEP_2)
	v_dual_mov_b32 v0, v4 :: v_dual_mov_b32 v1, v5
; %bb.54:
	s_or_b32 exec_lo, exec_lo, s3
.LBB169_55:
	s_delay_alu instid0(SALU_CYCLE_1)
	s_or_b32 exec_lo, exec_lo, s2
.LBB169_56:
	s_and_not1_saveexec_b32 s2, s34
; %bb.57:
	s_delay_alu instid0(VALU_DEP_1) | instskip(NEXT) | instid1(VALU_DEP_1)
	v_add_f64 v[2:3], v[2:3], -v[2:3]
	v_div_scale_f64 v[4:5], vcc_lo, v[2:3], v[2:3], v[2:3]
	s_delay_alu instid0(VALU_DEP_1) | instskip(SKIP_2) | instid1(VALU_DEP_1)
	v_rcp_f64_e32 v[6:7], v[4:5]
	s_waitcnt_depctr 0xfff
	v_fma_f64 v[9:10], -v[4:5], v[6:7], 1.0
	v_fma_f64 v[6:7], v[6:7], v[9:10], v[6:7]
	s_delay_alu instid0(VALU_DEP_1) | instskip(NEXT) | instid1(VALU_DEP_1)
	v_fma_f64 v[9:10], -v[4:5], v[6:7], 1.0
	v_fma_f64 v[6:7], v[6:7], v[9:10], v[6:7]
	s_delay_alu instid0(VALU_DEP_1) | instskip(NEXT) | instid1(VALU_DEP_1)
	v_mul_f64 v[9:10], v[4:5], v[6:7]
	v_fma_f64 v[4:5], -v[4:5], v[9:10], v[4:5]
	s_delay_alu instid0(VALU_DEP_1) | instskip(NEXT) | instid1(VALU_DEP_1)
	v_div_fmas_f64 v[4:5], v[4:5], v[6:7], v[9:10]
	v_div_fixup_f64 v[2:3], v[4:5], v[2:3], v[2:3]
; %bb.58:
	s_or_b32 exec_lo, exec_lo, s2
	v_dual_mov_b32 v10, v1 :: v_dual_mov_b32 v9, v0
.LBB169_59:
	s_or_b32 exec_lo, exec_lo, s23
.LBB169_60:
	s_delay_alu instid0(SALU_CYCLE_1) | instskip(NEXT) | instid1(VALU_DEP_1)
	s_or_b32 exec_lo, exec_lo, s22
	v_cmp_gt_f64_e32 vcc_lo, 0, v[9:10]
	s_delay_alu instid0(VALU_DEP_3) | instskip(SKIP_2) | instid1(VALU_DEP_2)
	v_cmp_gt_f64_e64 s2, 0, v[2:3]
	v_xor_b32_e32 v0, 0x80000000, v10
	v_xor_b32_e32 v4, 0x80000000, v3
                                        ; implicit-def: $vgpr6_vgpr7
	v_dual_cndmask_b32 v1, v10, v0 :: v_dual_cndmask_b32 v0, v9, v9
	s_delay_alu instid0(VALU_DEP_2) | instskip(SKIP_2) | instid1(VALU_DEP_1)
	v_cndmask_b32_e64 v12, v3, v4, s2
	v_cndmask_b32_e64 v11, v2, v2, s2
	s_mov_b32 s2, exec_lo
	v_cmpx_ge_f64_e32 v[0:1], v[11:12]
	s_xor_b32 s3, exec_lo, s2
	s_cbranch_execz .LBB169_66
; %bb.61:
	v_cmp_neq_f64_e32 vcc_lo, 0, v[9:10]
	v_cmp_neq_f64_e64 s2, 0, v[2:3]
                                        ; implicit-def: $vgpr6_vgpr7
	s_delay_alu instid0(VALU_DEP_1) | instskip(NEXT) | instid1(SALU_CYCLE_1)
	s_or_b32 s2, vcc_lo, s2
	s_and_saveexec_b32 s22, s2
	s_delay_alu instid0(SALU_CYCLE_1)
	s_xor_b32 s2, exec_lo, s22
	s_cbranch_execz .LBB169_63
; %bb.62:
	v_div_scale_f64 v[0:1], null, v[9:10], v[9:10], v[2:3]
	v_div_scale_f64 v[11:12], vcc_lo, v[2:3], v[9:10], v[2:3]
	s_delay_alu instid0(VALU_DEP_2) | instskip(SKIP_2) | instid1(VALU_DEP_1)
	v_rcp_f64_e32 v[4:5], v[0:1]
	s_waitcnt_depctr 0xfff
	v_fma_f64 v[6:7], -v[0:1], v[4:5], 1.0
	v_fma_f64 v[4:5], v[4:5], v[6:7], v[4:5]
	s_delay_alu instid0(VALU_DEP_1) | instskip(NEXT) | instid1(VALU_DEP_1)
	v_fma_f64 v[6:7], -v[0:1], v[4:5], 1.0
	v_fma_f64 v[4:5], v[4:5], v[6:7], v[4:5]
	s_delay_alu instid0(VALU_DEP_1) | instskip(NEXT) | instid1(VALU_DEP_1)
	v_mul_f64 v[6:7], v[11:12], v[4:5]
	v_fma_f64 v[0:1], -v[0:1], v[6:7], v[11:12]
	s_delay_alu instid0(VALU_DEP_1) | instskip(NEXT) | instid1(VALU_DEP_1)
	v_div_fmas_f64 v[0:1], v[0:1], v[4:5], v[6:7]
	v_div_fixup_f64 v[0:1], v[0:1], v[9:10], v[2:3]
	s_delay_alu instid0(VALU_DEP_1) | instskip(NEXT) | instid1(VALU_DEP_1)
	v_fma_f64 v[2:3], v[2:3], v[0:1], v[9:10]
	v_div_scale_f64 v[4:5], null, v[2:3], v[2:3], 1.0
	v_div_scale_f64 v[11:12], vcc_lo, 1.0, v[2:3], 1.0
	s_delay_alu instid0(VALU_DEP_2) | instskip(SKIP_2) | instid1(VALU_DEP_1)
	v_rcp_f64_e32 v[6:7], v[4:5]
	s_waitcnt_depctr 0xfff
	v_fma_f64 v[9:10], -v[4:5], v[6:7], 1.0
	v_fma_f64 v[6:7], v[6:7], v[9:10], v[6:7]
	s_delay_alu instid0(VALU_DEP_1) | instskip(NEXT) | instid1(VALU_DEP_1)
	v_fma_f64 v[9:10], -v[4:5], v[6:7], 1.0
	v_fma_f64 v[6:7], v[6:7], v[9:10], v[6:7]
	s_delay_alu instid0(VALU_DEP_1) | instskip(NEXT) | instid1(VALU_DEP_1)
	v_mul_f64 v[9:10], v[11:12], v[6:7]
	v_fma_f64 v[4:5], -v[4:5], v[9:10], v[11:12]
                                        ; implicit-def: $vgpr11_vgpr12
	s_delay_alu instid0(VALU_DEP_1) | instskip(SKIP_2) | instid1(VALU_DEP_3)
	v_div_fmas_f64 v[4:5], v[4:5], v[6:7], v[9:10]
	v_fma_f64 v[6:7], v[0:1], 0, 1.0
	v_add_f64 v[0:1], -v[0:1], 0
	v_div_fixup_f64 v[2:3], v[4:5], v[2:3], 1.0
	s_delay_alu instid0(VALU_DEP_1) | instskip(NEXT) | instid1(VALU_DEP_3)
	v_mul_f64 v[4:5], v[6:7], v[2:3]
	v_mul_f64 v[6:7], v[0:1], v[2:3]
                                        ; implicit-def: $vgpr0_vgpr1
.LBB169_63:
	s_and_not1_saveexec_b32 s22, s2
	s_cbranch_execz .LBB169_65
; %bb.64:
	v_div_scale_f64 v[2:3], null, v[0:1], v[0:1], 1.0
	v_div_scale_f64 v[4:5], null, v[11:12], v[11:12], 0
	v_div_scale_f64 v[21:22], vcc_lo, 1.0, v[0:1], 1.0
	s_delay_alu instid0(VALU_DEP_3) | instskip(NEXT) | instid1(VALU_DEP_2)
	v_rcp_f64_e32 v[6:7], v[2:3]
	v_rcp_f64_e32 v[9:10], v[4:5]
	s_waitcnt_depctr 0xfff
	v_fma_f64 v[17:18], -v[2:3], v[6:7], 1.0
	v_fma_f64 v[19:20], -v[4:5], v[9:10], 1.0
	s_delay_alu instid0(VALU_DEP_2) | instskip(NEXT) | instid1(VALU_DEP_2)
	v_fma_f64 v[6:7], v[6:7], v[17:18], v[6:7]
	v_fma_f64 v[9:10], v[9:10], v[19:20], v[9:10]
	s_delay_alu instid0(VALU_DEP_2) | instskip(NEXT) | instid1(VALU_DEP_2)
	v_fma_f64 v[17:18], -v[2:3], v[6:7], 1.0
	v_fma_f64 v[19:20], -v[4:5], v[9:10], 1.0
	s_delay_alu instid0(VALU_DEP_2) | instskip(SKIP_1) | instid1(VALU_DEP_3)
	v_fma_f64 v[6:7], v[6:7], v[17:18], v[6:7]
	v_div_scale_f64 v[17:18], s2, 0, v[11:12], 0
	v_fma_f64 v[9:10], v[9:10], v[19:20], v[9:10]
	s_delay_alu instid0(VALU_DEP_3) | instskip(NEXT) | instid1(VALU_DEP_2)
	v_mul_f64 v[19:20], v[21:22], v[6:7]
	v_mul_f64 v[23:24], v[17:18], v[9:10]
	s_delay_alu instid0(VALU_DEP_2) | instskip(NEXT) | instid1(VALU_DEP_2)
	v_fma_f64 v[2:3], -v[2:3], v[19:20], v[21:22]
	v_fma_f64 v[4:5], -v[4:5], v[23:24], v[17:18]
	s_delay_alu instid0(VALU_DEP_2) | instskip(SKIP_1) | instid1(VALU_DEP_2)
	v_div_fmas_f64 v[2:3], v[2:3], v[6:7], v[19:20]
	s_mov_b32 vcc_lo, s2
	v_div_fmas_f64 v[6:7], v[4:5], v[9:10], v[23:24]
	s_delay_alu instid0(VALU_DEP_2) | instskip(NEXT) | instid1(VALU_DEP_2)
	v_div_fixup_f64 v[4:5], v[2:3], v[0:1], 1.0
	v_div_fixup_f64 v[6:7], v[6:7], v[11:12], 0
.LBB169_65:
	s_or_b32 exec_lo, exec_lo, s22
                                        ; implicit-def: $vgpr2_vgpr3
                                        ; implicit-def: $vgpr9_vgpr10
.LBB169_66:
	s_and_not1_saveexec_b32 s2, s3
	s_cbranch_execz .LBB169_68
; %bb.67:
	v_div_scale_f64 v[0:1], null, v[2:3], v[2:3], v[9:10]
	v_div_scale_f64 v[11:12], vcc_lo, v[9:10], v[2:3], v[9:10]
	s_delay_alu instid0(VALU_DEP_2) | instskip(SKIP_2) | instid1(VALU_DEP_1)
	v_rcp_f64_e32 v[4:5], v[0:1]
	s_waitcnt_depctr 0xfff
	v_fma_f64 v[6:7], -v[0:1], v[4:5], 1.0
	v_fma_f64 v[4:5], v[4:5], v[6:7], v[4:5]
	s_delay_alu instid0(VALU_DEP_1) | instskip(NEXT) | instid1(VALU_DEP_1)
	v_fma_f64 v[6:7], -v[0:1], v[4:5], 1.0
	v_fma_f64 v[4:5], v[4:5], v[6:7], v[4:5]
	s_delay_alu instid0(VALU_DEP_1) | instskip(NEXT) | instid1(VALU_DEP_1)
	v_mul_f64 v[6:7], v[11:12], v[4:5]
	v_fma_f64 v[0:1], -v[0:1], v[6:7], v[11:12]
	s_delay_alu instid0(VALU_DEP_1) | instskip(NEXT) | instid1(VALU_DEP_1)
	v_div_fmas_f64 v[0:1], v[0:1], v[4:5], v[6:7]
	v_div_fixup_f64 v[0:1], v[0:1], v[2:3], v[9:10]
	s_delay_alu instid0(VALU_DEP_1) | instskip(NEXT) | instid1(VALU_DEP_1)
	v_fma_f64 v[2:3], v[9:10], v[0:1], v[2:3]
	v_div_scale_f64 v[4:5], null, v[2:3], v[2:3], 1.0
	v_div_scale_f64 v[11:12], vcc_lo, 1.0, v[2:3], 1.0
	s_delay_alu instid0(VALU_DEP_2) | instskip(SKIP_2) | instid1(VALU_DEP_1)
	v_rcp_f64_e32 v[6:7], v[4:5]
	s_waitcnt_depctr 0xfff
	v_fma_f64 v[9:10], -v[4:5], v[6:7], 1.0
	v_fma_f64 v[6:7], v[6:7], v[9:10], v[6:7]
	s_delay_alu instid0(VALU_DEP_1) | instskip(NEXT) | instid1(VALU_DEP_1)
	v_fma_f64 v[9:10], -v[4:5], v[6:7], 1.0
	v_fma_f64 v[6:7], v[6:7], v[9:10], v[6:7]
	s_delay_alu instid0(VALU_DEP_1) | instskip(NEXT) | instid1(VALU_DEP_1)
	v_mul_f64 v[9:10], v[11:12], v[6:7]
	v_fma_f64 v[4:5], -v[4:5], v[9:10], v[11:12]
	s_delay_alu instid0(VALU_DEP_1) | instskip(SKIP_2) | instid1(VALU_DEP_3)
	v_div_fmas_f64 v[4:5], v[4:5], v[6:7], v[9:10]
	v_add_f64 v[6:7], v[0:1], 0
	v_fma_f64 v[0:1], v[0:1], 0, -1.0
	v_div_fixup_f64 v[2:3], v[4:5], v[2:3], 1.0
	s_delay_alu instid0(VALU_DEP_1) | instskip(NEXT) | instid1(VALU_DEP_3)
	v_mul_f64 v[4:5], v[6:7], v[2:3]
	v_mul_f64 v[6:7], v[0:1], v[2:3]
.LBB169_68:
	s_or_b32 exec_lo, exec_lo, s2
	v_and_b32_e32 v2, 0xff, v13
	v_add_co_u32 v0, s3, s4, v8
	s_delay_alu instid0(VALU_DEP_1) | instskip(NEXT) | instid1(VALU_DEP_3)
	v_add_co_ci_u32_e64 v1, null, s5, 0, s3
	v_cmp_gt_i16_e32 vcc_lo, 11, v2
	s_mov_b32 s2, 0
	s_mov_b32 s22, -1
	s_mov_b32 s3, 0
	s_cbranch_vccnz .LBB169_145
; %bb.69:
	v_cmp_lt_i16_e32 vcc_lo, 25, v2
	s_cbranch_vccz .LBB169_102
; %bb.70:
	v_cmp_lt_i16_e32 vcc_lo, 28, v2
	s_cbranch_vccz .LBB169_85
	;; [unrolled: 3-line block ×4, first 2 shown]
; %bb.73:
	v_cmp_eq_u16_e32 vcc_lo, 46, v2
	s_mov_b32 s22, 0
	s_mov_b32 s2, -1
	s_cbranch_vccz .LBB169_75
; %bb.74:
	v_cvt_f32_f64_e32 v3, v[6:7]
	v_cvt_f32_f64_e32 v8, v[4:5]
	s_mov_b32 s3, -1
	s_mov_b32 s2, 0
	s_delay_alu instid0(VALU_DEP_2) | instskip(NEXT) | instid1(VALU_DEP_2)
	v_bfe_u32 v9, v3, 16, 1
	v_bfe_u32 v10, v8, 16, 1
	v_cmp_o_f32_e32 vcc_lo, v3, v3
	s_delay_alu instid0(VALU_DEP_3) | instskip(NEXT) | instid1(VALU_DEP_3)
	v_add3_u32 v9, v3, v9, 0x7fff
	v_add3_u32 v10, v8, v10, 0x7fff
	s_delay_alu instid0(VALU_DEP_2) | instskip(NEXT) | instid1(VALU_DEP_2)
	v_and_b32_e32 v9, 0xffff0000, v9
	v_lshrrev_b32_e32 v10, 16, v10
	s_delay_alu instid0(VALU_DEP_2) | instskip(SKIP_1) | instid1(VALU_DEP_3)
	v_cndmask_b32_e32 v3, 0x7fc00000, v9, vcc_lo
	v_cmp_o_f32_e32 vcc_lo, v8, v8
	v_cndmask_b32_e32 v8, 0x7fc0, v10, vcc_lo
	s_delay_alu instid0(VALU_DEP_1)
	v_or_b32_e32 v3, v3, v8
	global_store_b32 v[0:1], v3, off
.LBB169_75:
	s_and_b32 vcc_lo, exec_lo, s22
	s_cbranch_vccz .LBB169_80
; %bb.76:
	v_cmp_eq_u16_e32 vcc_lo, 44, v2
	s_mov_b32 s2, -1
	s_cbranch_vccz .LBB169_80
; %bb.77:
	v_cvt_f32_f64_e32 v3, v[4:5]
	v_mov_b32_e32 v8, 0xff
	s_mov_b32 s3, exec_lo
	s_delay_alu instid0(VALU_DEP_2) | instskip(NEXT) | instid1(VALU_DEP_1)
	v_bfe_u32 v9, v3, 23, 8
	v_cmpx_ne_u32_e32 0xff, v9
; %bb.78:
	v_and_b32_e32 v8, 0x400000, v3
	v_and_or_b32 v9, 0x3fffff, v3, v9
	v_lshrrev_b32_e32 v3, 23, v3
	s_delay_alu instid0(VALU_DEP_3) | instskip(NEXT) | instid1(VALU_DEP_3)
	v_cmp_ne_u32_e32 vcc_lo, 0, v8
	v_cmp_ne_u32_e64 s2, 0, v9
	s_delay_alu instid0(VALU_DEP_1) | instskip(NEXT) | instid1(SALU_CYCLE_1)
	s_and_b32 s2, vcc_lo, s2
	v_cndmask_b32_e64 v8, 0, 1, s2
	s_delay_alu instid0(VALU_DEP_1)
	v_add_nc_u32_e32 v8, v3, v8
; %bb.79:
	s_or_b32 exec_lo, exec_lo, s3
	s_mov_b32 s3, -1
	s_mov_b32 s2, 0
	global_store_b8 v[0:1], v8, off
.LBB169_80:
	s_mov_b32 s22, 0
.LBB169_81:
	s_delay_alu instid0(SALU_CYCLE_1)
	s_and_b32 vcc_lo, exec_lo, s22
	s_cbranch_vccz .LBB169_84
; %bb.82:
	v_cmp_eq_u16_e32 vcc_lo, 29, v2
	s_mov_b32 s2, -1
	s_cbranch_vccz .LBB169_84
; %bb.83:
	v_trunc_f64_e32 v[8:9], v[4:5]
	s_mov_b32 s3, -1
	s_mov_b32 s2, 0
	s_delay_alu instid0(VALU_DEP_1) | instskip(NEXT) | instid1(VALU_DEP_1)
	v_ldexp_f64 v[10:11], v[8:9], 0xffffffe0
	v_floor_f64_e32 v[10:11], v[10:11]
	s_delay_alu instid0(VALU_DEP_1) | instskip(SKIP_1) | instid1(VALU_DEP_2)
	v_fma_f64 v[8:9], 0xc1f00000, v[10:11], v[8:9]
	v_cvt_u32_f64_e32 v10, v[10:11]
	v_cvt_u32_f64_e32 v9, v[8:9]
	global_store_b64 v[0:1], v[9:10], off
.LBB169_84:
	s_mov_b32 s22, 0
.LBB169_85:
	s_delay_alu instid0(SALU_CYCLE_1)
	s_and_b32 vcc_lo, exec_lo, s22
	s_cbranch_vccz .LBB169_101
; %bb.86:
	v_cmp_gt_i16_e32 vcc_lo, 27, v2
	s_mov_b32 s3, -1
	s_cbranch_vccnz .LBB169_92
; %bb.87:
	v_cmp_lt_i16_e32 vcc_lo, 27, v2
	s_cbranch_vccz .LBB169_89
; %bb.88:
	v_cvt_u32_f64_e32 v3, v[4:5]
	s_mov_b32 s3, 0
	global_store_b32 v[0:1], v3, off
.LBB169_89:
	s_and_not1_b32 vcc_lo, exec_lo, s3
	s_cbranch_vccnz .LBB169_91
; %bb.90:
	v_cvt_u32_f64_e32 v3, v[4:5]
	global_store_b16 v[0:1], v3, off
.LBB169_91:
	s_mov_b32 s3, 0
.LBB169_92:
	s_delay_alu instid0(SALU_CYCLE_1)
	s_and_not1_b32 vcc_lo, exec_lo, s3
	s_cbranch_vccnz .LBB169_100
; %bb.93:
	v_cvt_f32_f64_e32 v3, v[4:5]
	v_mov_b32_e32 v9, 0x80
	s_mov_b32 s3, exec_lo
	s_delay_alu instid0(VALU_DEP_2) | instskip(NEXT) | instid1(VALU_DEP_1)
	v_and_b32_e32 v8, 0x7fffffff, v3
	v_cmpx_gt_u32_e32 0x43800000, v8
	s_cbranch_execz .LBB169_99
; %bb.94:
	v_cmp_lt_u32_e32 vcc_lo, 0x3bffffff, v8
	s_mov_b32 s22, 0
                                        ; implicit-def: $vgpr8
	s_and_saveexec_b32 s23, vcc_lo
	s_delay_alu instid0(SALU_CYCLE_1)
	s_xor_b32 s23, exec_lo, s23
	s_cbranch_execz .LBB169_190
; %bb.95:
	v_bfe_u32 v8, v3, 20, 1
	s_mov_b32 s22, exec_lo
	s_delay_alu instid0(VALU_DEP_1) | instskip(NEXT) | instid1(VALU_DEP_1)
	v_add3_u32 v8, v3, v8, 0x487ffff
	v_lshrrev_b32_e32 v8, 20, v8
	s_or_saveexec_b32 s23, s23
                                        ; implicit-def: $sgpr34
	s_delay_alu instid0(SALU_CYCLE_1)
	s_xor_b32 exec_lo, exec_lo, s23
	s_cbranch_execnz .LBB169_191
.LBB169_96:
	s_or_b32 exec_lo, exec_lo, s23
	v_mov_b32_e32 v9, s34
	s_and_saveexec_b32 s23, s22
.LBB169_97:
	v_lshrrev_b32_e32 v3, 24, v3
	s_delay_alu instid0(VALU_DEP_1)
	v_and_or_b32 v9, 0x80, v3, v8
.LBB169_98:
	s_or_b32 exec_lo, exec_lo, s23
.LBB169_99:
	s_delay_alu instid0(SALU_CYCLE_1)
	s_or_b32 exec_lo, exec_lo, s3
	global_store_b8 v[0:1], v9, off
.LBB169_100:
	s_mov_b32 s3, -1
.LBB169_101:
	s_mov_b32 s22, 0
.LBB169_102:
	s_delay_alu instid0(SALU_CYCLE_1)
	s_and_b32 vcc_lo, exec_lo, s22
	s_cbranch_vccz .LBB169_143
; %bb.103:
	v_cmp_lt_i16_e32 vcc_lo, 22, v2
	s_mov_b32 s22, -1
	s_cbranch_vccz .LBB169_135
; %bb.104:
	v_cmp_gt_i16_e32 vcc_lo, 24, v2
	s_mov_b32 s3, -1
	s_cbranch_vccnz .LBB169_124
; %bb.105:
	v_cmp_lt_i16_e32 vcc_lo, 24, v2
	s_cbranch_vccz .LBB169_113
; %bb.106:
	v_cvt_f32_f64_e32 v3, v[4:5]
	v_mov_b32_e32 v9, 0x80
	s_mov_b32 s3, exec_lo
	s_delay_alu instid0(VALU_DEP_2) | instskip(NEXT) | instid1(VALU_DEP_1)
	v_and_b32_e32 v8, 0x7fffffff, v3
	v_cmpx_gt_u32_e32 0x47800000, v8
	s_cbranch_execz .LBB169_112
; %bb.107:
	v_cmp_lt_u32_e32 vcc_lo, 0x37ffffff, v8
	s_mov_b32 s22, 0
                                        ; implicit-def: $vgpr8
	s_and_saveexec_b32 s23, vcc_lo
	s_delay_alu instid0(SALU_CYCLE_1)
	s_xor_b32 s23, exec_lo, s23
	s_cbranch_execz .LBB169_426
; %bb.108:
	v_bfe_u32 v8, v3, 21, 1
	s_mov_b32 s22, exec_lo
	s_delay_alu instid0(VALU_DEP_1) | instskip(NEXT) | instid1(VALU_DEP_1)
	v_add3_u32 v8, v3, v8, 0x88fffff
	v_lshrrev_b32_e32 v8, 21, v8
	s_or_saveexec_b32 s23, s23
                                        ; implicit-def: $sgpr34
	s_delay_alu instid0(SALU_CYCLE_1)
	s_xor_b32 exec_lo, exec_lo, s23
	s_cbranch_execnz .LBB169_427
.LBB169_109:
	s_or_b32 exec_lo, exec_lo, s23
	v_mov_b32_e32 v9, s34
	s_and_saveexec_b32 s23, s22
.LBB169_110:
	v_lshrrev_b32_e32 v3, 24, v3
	s_delay_alu instid0(VALU_DEP_1)
	v_and_or_b32 v9, 0x80, v3, v8
.LBB169_111:
	s_or_b32 exec_lo, exec_lo, s23
.LBB169_112:
	s_delay_alu instid0(SALU_CYCLE_1)
	s_or_b32 exec_lo, exec_lo, s3
	s_mov_b32 s3, 0
	global_store_b8 v[0:1], v9, off
.LBB169_113:
	s_and_b32 vcc_lo, exec_lo, s3
	s_cbranch_vccz .LBB169_123
; %bb.114:
	v_cvt_f32_f64_e32 v3, v[4:5]
	s_mov_b32 s3, exec_lo
                                        ; implicit-def: $vgpr8
	s_delay_alu instid0(VALU_DEP_1) | instskip(NEXT) | instid1(VALU_DEP_1)
	v_and_b32_e32 v9, 0x7fffffff, v3
	v_cmpx_gt_u32_e32 0x43f00000, v9
	s_xor_b32 s3, exec_lo, s3
	s_cbranch_execz .LBB169_120
; %bb.115:
	s_mov_b32 s22, exec_lo
                                        ; implicit-def: $vgpr8
	v_cmpx_lt_u32_e32 0x3c7fffff, v9
	s_xor_b32 s22, exec_lo, s22
; %bb.116:
	v_bfe_u32 v8, v3, 20, 1
	s_delay_alu instid0(VALU_DEP_1) | instskip(NEXT) | instid1(VALU_DEP_1)
	v_add3_u32 v8, v3, v8, 0x407ffff
	v_and_b32_e32 v9, 0xff00000, v8
	v_lshrrev_b32_e32 v8, 20, v8
	s_delay_alu instid0(VALU_DEP_2) | instskip(NEXT) | instid1(VALU_DEP_2)
	v_cmp_ne_u32_e32 vcc_lo, 0x7f00000, v9
	v_cndmask_b32_e32 v8, 0x7e, v8, vcc_lo
; %bb.117:
	s_and_not1_saveexec_b32 s22, s22
; %bb.118:
	v_add_f32_e64 v8, 0x46800000, |v3|
; %bb.119:
	s_or_b32 exec_lo, exec_lo, s22
                                        ; implicit-def: $vgpr9
.LBB169_120:
	s_and_not1_saveexec_b32 s3, s3
; %bb.121:
	v_mov_b32_e32 v8, 0x7f
	v_cmp_lt_u32_e32 vcc_lo, 0x7f800000, v9
	s_delay_alu instid0(VALU_DEP_2)
	v_cndmask_b32_e32 v8, 0x7e, v8, vcc_lo
; %bb.122:
	s_or_b32 exec_lo, exec_lo, s3
	v_lshrrev_b32_e32 v3, 24, v3
	s_delay_alu instid0(VALU_DEP_1)
	v_and_or_b32 v3, 0x80, v3, v8
	global_store_b8 v[0:1], v3, off
.LBB169_123:
	s_mov_b32 s3, 0
.LBB169_124:
	s_delay_alu instid0(SALU_CYCLE_1)
	s_and_not1_b32 vcc_lo, exec_lo, s3
	s_cbranch_vccnz .LBB169_134
; %bb.125:
	v_cvt_f32_f64_e32 v3, v[4:5]
	s_mov_b32 s3, exec_lo
                                        ; implicit-def: $vgpr8
	s_delay_alu instid0(VALU_DEP_1) | instskip(NEXT) | instid1(VALU_DEP_1)
	v_and_b32_e32 v9, 0x7fffffff, v3
	v_cmpx_gt_u32_e32 0x47800000, v9
	s_xor_b32 s3, exec_lo, s3
	s_cbranch_execz .LBB169_131
; %bb.126:
	s_mov_b32 s22, exec_lo
                                        ; implicit-def: $vgpr8
	v_cmpx_lt_u32_e32 0x387fffff, v9
	s_xor_b32 s22, exec_lo, s22
; %bb.127:
	v_bfe_u32 v8, v3, 21, 1
	s_delay_alu instid0(VALU_DEP_1) | instskip(NEXT) | instid1(VALU_DEP_1)
	v_add3_u32 v8, v3, v8, 0x80fffff
	v_lshrrev_b32_e32 v8, 21, v8
; %bb.128:
	s_and_not1_saveexec_b32 s22, s22
; %bb.129:
	v_add_f32_e64 v8, 0x43000000, |v3|
; %bb.130:
	s_or_b32 exec_lo, exec_lo, s22
                                        ; implicit-def: $vgpr9
.LBB169_131:
	s_and_not1_saveexec_b32 s3, s3
; %bb.132:
	v_mov_b32_e32 v8, 0x7f
	v_cmp_lt_u32_e32 vcc_lo, 0x7f800000, v9
	s_delay_alu instid0(VALU_DEP_2)
	v_cndmask_b32_e32 v8, 0x7c, v8, vcc_lo
; %bb.133:
	s_or_b32 exec_lo, exec_lo, s3
	v_lshrrev_b32_e32 v3, 24, v3
	s_delay_alu instid0(VALU_DEP_1)
	v_and_or_b32 v3, 0x80, v3, v8
	global_store_b8 v[0:1], v3, off
.LBB169_134:
	s_mov_b32 s22, 0
	s_mov_b32 s3, -1
.LBB169_135:
	s_and_not1_b32 vcc_lo, exec_lo, s22
	s_cbranch_vccnz .LBB169_143
; %bb.136:
	v_cmp_lt_i16_e32 vcc_lo, 14, v2
	s_mov_b32 s22, -1
	s_cbranch_vccz .LBB169_140
; %bb.137:
	v_cmp_eq_u16_e32 vcc_lo, 15, v2
	s_mov_b32 s2, -1
	s_cbranch_vccz .LBB169_139
; %bb.138:
	v_cvt_f32_f64_e32 v3, v[4:5]
	s_mov_b32 s3, -1
	s_mov_b32 s2, 0
	s_delay_alu instid0(VALU_DEP_1) | instskip(SKIP_1) | instid1(VALU_DEP_2)
	v_bfe_u32 v8, v3, 16, 1
	v_cmp_o_f32_e32 vcc_lo, v3, v3
	v_add3_u32 v8, v3, v8, 0x7fff
	s_delay_alu instid0(VALU_DEP_1) | instskip(NEXT) | instid1(VALU_DEP_1)
	v_lshrrev_b32_e32 v8, 16, v8
	v_cndmask_b32_e32 v3, 0x7fc0, v8, vcc_lo
	global_store_b16 v[0:1], v3, off
.LBB169_139:
	s_mov_b32 s22, 0
.LBB169_140:
	s_delay_alu instid0(SALU_CYCLE_1)
	s_and_b32 vcc_lo, exec_lo, s22
	s_cbranch_vccz .LBB169_143
; %bb.141:
	v_cmp_eq_u16_e32 vcc_lo, 11, v2
	s_mov_b32 s2, -1
	s_cbranch_vccz .LBB169_143
; %bb.142:
	v_cmp_neq_f64_e32 vcc_lo, 0, v[4:5]
	v_cmp_neq_f64_e64 s2, 0, v[6:7]
	s_mov_b32 s3, -1
	s_delay_alu instid0(VALU_DEP_1) | instskip(NEXT) | instid1(SALU_CYCLE_1)
	s_or_b32 s2, vcc_lo, s2
	v_cndmask_b32_e64 v3, 0, 1, s2
	s_mov_b32 s2, 0
	global_store_b8 v[0:1], v3, off
.LBB169_143:
.LBB169_144:
	s_and_not1_b32 vcc_lo, exec_lo, s3
	s_cbranch_vccz .LBB169_184
	s_branch .LBB169_306
.LBB169_145:
	s_and_b32 vcc_lo, exec_lo, s22
	s_cbranch_vccz .LBB169_144
; %bb.146:
	v_cmp_gt_i16_e32 vcc_lo, 5, v2
	s_mov_b32 s3, -1
	s_cbranch_vccnz .LBB169_167
; %bb.147:
	v_cmp_gt_i16_e32 vcc_lo, 8, v2
	s_cbranch_vccnz .LBB169_157
; %bb.148:
	v_cmp_gt_i16_e32 vcc_lo, 9, v2
	s_cbranch_vccnz .LBB169_154
; %bb.149:
	v_cmp_lt_i16_e32 vcc_lo, 9, v2
	s_cbranch_vccz .LBB169_151
; %bb.150:
	s_mov_b32 s3, 0
	global_store_b128 v[0:1], v[4:7], off
.LBB169_151:
	s_and_not1_b32 vcc_lo, exec_lo, s3
	s_cbranch_vccnz .LBB169_153
; %bb.152:
	v_cvt_f32_f64_e32 v8, v[4:5]
	v_cvt_f32_f64_e32 v9, v[6:7]
	global_store_b64 v[0:1], v[8:9], off
.LBB169_153:
	s_mov_b32 s3, 0
.LBB169_154:
	s_delay_alu instid0(SALU_CYCLE_1)
	s_and_not1_b32 vcc_lo, exec_lo, s3
	s_cbranch_vccnz .LBB169_156
; %bb.155:
	v_cvt_f32_f64_e32 v3, v[6:7]
	v_cvt_f32_f64_e32 v6, v[4:5]
	s_delay_alu instid0(VALU_DEP_2) | instskip(NEXT) | instid1(VALU_DEP_2)
	v_cvt_f16_f32_e32 v3, v3
	v_cvt_f16_f32_e32 v6, v6
	s_delay_alu instid0(VALU_DEP_2) | instskip(NEXT) | instid1(VALU_DEP_2)
	v_lshlrev_b32_e32 v3, 16, v3
	v_and_b32_e32 v6, 0xffff, v6
	s_delay_alu instid0(VALU_DEP_1)
	v_or_b32_e32 v3, v3, v6
	global_store_b32 v[0:1], v3, off
.LBB169_156:
	s_mov_b32 s3, 0
.LBB169_157:
	s_delay_alu instid0(SALU_CYCLE_1)
	s_and_not1_b32 vcc_lo, exec_lo, s3
	s_cbranch_vccnz .LBB169_166
; %bb.158:
	v_cmp_gt_i16_e32 vcc_lo, 6, v2
	s_mov_b32 s3, -1
	s_cbranch_vccnz .LBB169_164
; %bb.159:
	v_cmp_lt_i16_e32 vcc_lo, 6, v2
	s_cbranch_vccz .LBB169_161
; %bb.160:
	s_mov_b32 s3, 0
	global_store_b64 v[0:1], v[4:5], off
.LBB169_161:
	s_and_not1_b32 vcc_lo, exec_lo, s3
	s_cbranch_vccnz .LBB169_163
; %bb.162:
	v_cvt_f32_f64_e32 v3, v[4:5]
	global_store_b32 v[0:1], v3, off
.LBB169_163:
	s_mov_b32 s3, 0
.LBB169_164:
	s_delay_alu instid0(SALU_CYCLE_1)
	s_and_not1_b32 vcc_lo, exec_lo, s3
	s_cbranch_vccnz .LBB169_166
; %bb.165:
	v_cvt_f32_f64_e32 v3, v[4:5]
	s_delay_alu instid0(VALU_DEP_1)
	v_cvt_f16_f32_e32 v3, v3
	global_store_b16 v[0:1], v3, off
.LBB169_166:
	s_mov_b32 s3, 0
.LBB169_167:
	s_delay_alu instid0(SALU_CYCLE_1)
	s_and_not1_b32 vcc_lo, exec_lo, s3
	s_cbranch_vccnz .LBB169_183
; %bb.168:
	v_cmp_gt_i16_e32 vcc_lo, 2, v2
	s_mov_b32 s3, -1
	s_cbranch_vccnz .LBB169_178
; %bb.169:
	v_cmp_gt_i16_e32 vcc_lo, 3, v2
	s_cbranch_vccnz .LBB169_175
; %bb.170:
	v_cmp_lt_i16_e32 vcc_lo, 3, v2
	s_cbranch_vccz .LBB169_172
; %bb.171:
	v_trunc_f64_e32 v[6:7], v[4:5]
	s_mov_b32 s3, 0
	s_delay_alu instid0(VALU_DEP_1) | instskip(NEXT) | instid1(VALU_DEP_1)
	v_ldexp_f64 v[8:9], v[6:7], 0xffffffe0
	v_floor_f64_e32 v[8:9], v[8:9]
	s_delay_alu instid0(VALU_DEP_1) | instskip(SKIP_1) | instid1(VALU_DEP_2)
	v_fma_f64 v[6:7], 0xc1f00000, v[8:9], v[6:7]
	v_cvt_i32_f64_e32 v8, v[8:9]
	v_cvt_u32_f64_e32 v7, v[6:7]
	global_store_b64 v[0:1], v[7:8], off
.LBB169_172:
	s_and_not1_b32 vcc_lo, exec_lo, s3
	s_cbranch_vccnz .LBB169_174
; %bb.173:
	v_cvt_i32_f64_e32 v3, v[4:5]
	global_store_b32 v[0:1], v3, off
.LBB169_174:
	s_mov_b32 s3, 0
.LBB169_175:
	s_delay_alu instid0(SALU_CYCLE_1)
	s_and_not1_b32 vcc_lo, exec_lo, s3
	s_cbranch_vccnz .LBB169_177
; %bb.176:
	v_cvt_i32_f64_e32 v3, v[4:5]
	global_store_b16 v[0:1], v3, off
.LBB169_177:
	s_mov_b32 s3, 0
.LBB169_178:
	s_delay_alu instid0(SALU_CYCLE_1)
	s_and_not1_b32 vcc_lo, exec_lo, s3
	s_cbranch_vccnz .LBB169_183
; %bb.179:
	v_cmp_lt_i16_e32 vcc_lo, 0, v2
	s_mov_b32 s3, -1
	s_cbranch_vccz .LBB169_181
; %bb.180:
	v_cvt_i32_f64_e32 v2, v[4:5]
	s_mov_b32 s3, 0
	global_store_b8 v[0:1], v2, off
.LBB169_181:
	s_and_not1_b32 vcc_lo, exec_lo, s3
	s_cbranch_vccnz .LBB169_183
; %bb.182:
	v_trunc_f64_e32 v[2:3], v[4:5]
	s_delay_alu instid0(VALU_DEP_1) | instskip(NEXT) | instid1(VALU_DEP_1)
	v_ldexp_f64 v[4:5], v[2:3], 0xffffffe0
	v_floor_f64_e32 v[4:5], v[4:5]
	s_delay_alu instid0(VALU_DEP_1) | instskip(NEXT) | instid1(VALU_DEP_1)
	v_fma_f64 v[2:3], 0xc1f00000, v[4:5], v[2:3]
	v_cvt_u32_f64_e32 v2, v[2:3]
	global_store_b8 v[0:1], v2, off
.LBB169_183:
.LBB169_184:
	v_add_nc_u32_e32 v16, 0x80, v16
	s_mov_b32 s3, -1
	s_branch .LBB169_307
.LBB169_185:
	s_mov_b32 s35, -1
.LBB169_186:
	s_mov_b32 s22, 0
                                        ; implicit-def: $vgpr2_vgpr3
.LBB169_187:
	s_and_b32 vcc_lo, exec_lo, s2
	s_cbranch_vccz .LBB169_194
; %bb.188:
	v_cmp_eq_u16_e32 vcc_lo, 44, v14
	s_cbranch_vccz .LBB169_192
; %bb.189:
	global_load_u8 v2, v[4:5], off
	s_mov_b32 s35, 0
	s_mov_b32 s22, -1
	s_mov_b64 s[2:3], 0
	s_waitcnt vmcnt(0)
	v_cmp_ne_u32_e32 vcc_lo, 0xff, v2
	v_lshlrev_b32_e32 v0, 23, v2
	s_delay_alu instid0(VALU_DEP_1) | instskip(NEXT) | instid1(VALU_DEP_1)
	v_cvt_f64_f32_e32 v[0:1], v0
	v_cndmask_b32_e32 v1, 0x7ff80000, v1, vcc_lo
	s_delay_alu instid0(VALU_DEP_2) | instskip(SKIP_1) | instid1(VALU_DEP_3)
	v_cndmask_b32_e32 v0, 0x20000000, v0, vcc_lo
	v_cmp_ne_u32_e32 vcc_lo, 0, v2
	v_cndmask_b32_e32 v1, 0x38000000, v1, vcc_lo
	s_delay_alu instid0(VALU_DEP_3)
	v_cndmask_b32_e32 v0, 0, v0, vcc_lo
	s_branch .LBB169_193
.LBB169_190:
	s_or_saveexec_b32 s23, s23
                                        ; implicit-def: $sgpr34
	s_delay_alu instid0(SALU_CYCLE_1)
	s_xor_b32 exec_lo, exec_lo, s23
	s_cbranch_execz .LBB169_96
.LBB169_191:
	v_add_f32_e64 v8, 0x46000000, |v3|
	s_and_not1_b32 s22, s22, exec_lo
	s_mov_b32 s34, 0
	s_delay_alu instid0(VALU_DEP_1) | instskip(NEXT) | instid1(VALU_DEP_1)
	v_and_b32_e32 v8, 0xff, v8
	v_cmp_ne_u32_e32 vcc_lo, 0, v8
	s_and_b32 s38, vcc_lo, exec_lo
	s_delay_alu instid0(SALU_CYCLE_1)
	s_or_b32 s22, s22, s38
	s_or_b32 exec_lo, exec_lo, s23
	v_mov_b32_e32 v9, s34
	s_and_saveexec_b32 s23, s22
	s_cbranch_execnz .LBB169_97
	s_branch .LBB169_98
.LBB169_192:
	s_mov_b32 s35, -1
                                        ; implicit-def: $sgpr2_sgpr3
                                        ; implicit-def: $vgpr0_vgpr1
.LBB169_193:
	v_dual_mov_b32 v2, s2 :: v_dual_mov_b32 v3, s3
.LBB169_194:
	s_mov_b32 s2, 0
.LBB169_195:
	s_delay_alu instid0(SALU_CYCLE_1)
	s_and_b32 vcc_lo, exec_lo, s2
	s_cbranch_vccz .LBB169_200
; %bb.196:
	v_cmp_eq_u16_e32 vcc_lo, 29, v14
	s_cbranch_vccz .LBB169_198
; %bb.197:
	global_load_b64 v[0:1], v[4:5], off
	s_mov_b32 s22, -1
	s_mov_b32 s35, 0
	s_mov_b64 s[2:3], 0
	s_waitcnt vmcnt(0)
	v_cvt_f64_u32_e32 v[1:2], v1
	v_cvt_f64_u32_e32 v[6:7], v0
	s_delay_alu instid0(VALU_DEP_2) | instskip(NEXT) | instid1(VALU_DEP_1)
	v_ldexp_f64 v[1:2], v[1:2], 32
	v_add_f64 v[0:1], v[1:2], v[6:7]
	s_branch .LBB169_199
.LBB169_198:
	s_mov_b32 s35, -1
                                        ; implicit-def: $sgpr2_sgpr3
                                        ; implicit-def: $vgpr0_vgpr1
.LBB169_199:
	v_dual_mov_b32 v2, s2 :: v_dual_mov_b32 v3, s3
.LBB169_200:
	s_mov_b32 s2, 0
.LBB169_201:
	s_delay_alu instid0(SALU_CYCLE_1)
	s_and_b32 vcc_lo, exec_lo, s2
	s_cbranch_vccz .LBB169_221
; %bb.202:
	v_cmp_gt_i16_e32 vcc_lo, 27, v14
	s_cbranch_vccnz .LBB169_205
; %bb.203:
	v_cmp_lt_i16_e32 vcc_lo, 27, v14
	s_cbranch_vccz .LBB169_206
; %bb.204:
	global_load_b32 v0, v[4:5], off
	s_mov_b32 s22, 0
	s_mov_b64 s[2:3], 0
	s_waitcnt vmcnt(0)
	v_cvt_f64_u32_e32 v[0:1], v0
	s_branch .LBB169_207
.LBB169_205:
	s_mov_b32 s22, -1
                                        ; implicit-def: $sgpr2_sgpr3
                                        ; implicit-def: $vgpr0_vgpr1
	s_branch .LBB169_210
.LBB169_206:
	s_mov_b32 s22, -1
                                        ; implicit-def: $sgpr2_sgpr3
                                        ; implicit-def: $vgpr0_vgpr1
.LBB169_207:
	s_delay_alu instid0(SALU_CYCLE_1)
	s_and_not1_b32 vcc_lo, exec_lo, s22
	s_cbranch_vccnz .LBB169_209
; %bb.208:
	global_load_u16 v0, v[4:5], off
	s_mov_b64 s[2:3], 0
	s_waitcnt vmcnt(0)
	v_cvt_f64_u32_e32 v[0:1], v0
.LBB169_209:
	s_mov_b32 s22, 0
.LBB169_210:
	v_dual_mov_b32 v2, s2 :: v_dual_mov_b32 v3, s3
	s_and_not1_b32 vcc_lo, exec_lo, s22
	s_cbranch_vccnz .LBB169_220
; %bb.211:
	global_load_u8 v6, v[4:5], off
	s_mov_b32 s34, 0
	s_mov_b32 s38, exec_lo
                                        ; implicit-def: $sgpr2_sgpr3
                                        ; implicit-def: $sgpr22_sgpr23
	s_waitcnt vmcnt(0)
	v_cmpx_lt_i16_e32 0x7f, v6
	s_xor_b32 s38, exec_lo, s38
	s_cbranch_execz .LBB169_215
; %bb.212:
	s_mov_b32 s34, -1
	s_mov_b32 s39, exec_lo
                                        ; implicit-def: $sgpr2_sgpr3
                                        ; implicit-def: $sgpr22_sgpr23
	v_cmpx_eq_u16_e32 0x80, v6
; %bb.213:
	s_mov_b64 s[2:3], 0
	s_mov_b32 s23, 0x7ff80000
	s_brev_b32 s22, 4
	s_xor_b32 s34, exec_lo, -1
; %bb.214:
	s_or_b32 exec_lo, exec_lo, s39
	s_delay_alu instid0(SALU_CYCLE_1)
	s_and_b32 s34, s34, exec_lo
.LBB169_215:
	s_or_saveexec_b32 s38, s38
	v_dual_mov_b32 v2, s2 :: v_dual_mov_b32 v3, s3
	v_dual_mov_b32 v0, s22 :: v_dual_mov_b32 v1, s23
	s_xor_b32 exec_lo, exec_lo, s38
; %bb.216:
	v_mov_b32_e32 v2, 0
	v_mov_b32_e32 v3, 0
	v_cmp_ne_u16_e32 vcc_lo, 0, v6
	s_delay_alu instid0(VALU_DEP_3) | instskip(SKIP_1) | instid1(VALU_DEP_3)
	v_mov_b32_e32 v0, v2
	s_and_not1_b32 s2, s34, exec_lo
	v_mov_b32_e32 v1, v3
	s_and_b32 s3, vcc_lo, exec_lo
	s_delay_alu instid0(SALU_CYCLE_1)
	s_or_b32 s34, s2, s3
; %bb.217:
	s_or_b32 exec_lo, exec_lo, s38
	s_and_saveexec_b32 s2, s34
	s_cbranch_execz .LBB169_219
; %bb.218:
	v_and_b32_e32 v0, 0xffff, v6
	v_lshlrev_b32_e32 v6, 24, v6
	s_delay_alu instid0(VALU_DEP_2) | instskip(NEXT) | instid1(VALU_DEP_1)
	v_and_b32_e32 v1, 7, v0
	v_clz_i32_u32_e32 v2, v1
	s_delay_alu instid0(VALU_DEP_1) | instskip(NEXT) | instid1(VALU_DEP_1)
	v_min_u32_e32 v2, 32, v2
	v_subrev_nc_u32_e32 v3, 28, v2
	v_sub_nc_u32_e32 v2, 29, v2
	s_delay_alu instid0(VALU_DEP_2) | instskip(SKIP_1) | instid1(VALU_DEP_2)
	v_lshlrev_b32_e32 v3, v3, v0
	v_bfe_u32 v0, v0, 3, 4
	v_and_b32_e32 v3, 7, v3
	s_delay_alu instid0(VALU_DEP_2) | instskip(NEXT) | instid1(VALU_DEP_2)
	v_cmp_eq_u32_e32 vcc_lo, 0, v0
	v_dual_cndmask_b32 v0, v0, v2 :: v_dual_cndmask_b32 v1, v1, v3
	v_and_b32_e32 v2, 0x80000000, v6
	s_delay_alu instid0(VALU_DEP_2) | instskip(NEXT) | instid1(VALU_DEP_3)
	v_lshl_add_u32 v0, v0, 23, 0x3b800000
	v_lshlrev_b32_e32 v1, 20, v1
	s_delay_alu instid0(VALU_DEP_1) | instskip(SKIP_2) | instid1(VALU_DEP_3)
	v_or3_b32 v0, v2, v0, v1
	v_mov_b32_e32 v2, 0
	v_mov_b32_e32 v3, 0
	v_cvt_f64_f32_e32 v[0:1], v0
.LBB169_219:
	s_or_b32 exec_lo, exec_lo, s2
.LBB169_220:
	s_mov_b32 s22, -1
.LBB169_221:
	s_branch .LBB169_255
.LBB169_222:
	v_cmp_lt_i16_e32 vcc_lo, 22, v14
	s_cbranch_vccz .LBB169_234
; %bb.223:
	v_cmp_gt_i16_e32 vcc_lo, 24, v14
	s_cbranch_vccnz .LBB169_235
; %bb.224:
	v_cmp_lt_i16_e32 vcc_lo, 24, v14
	s_cbranch_vccz .LBB169_236
; %bb.225:
	global_load_u8 v6, v[4:5], off
	s_mov_b32 s34, 0
	s_mov_b32 s38, exec_lo
                                        ; implicit-def: $sgpr2_sgpr3
                                        ; implicit-def: $sgpr22_sgpr23
	s_waitcnt vmcnt(0)
	v_cmpx_lt_i16_e32 0x7f, v6
	s_xor_b32 s38, exec_lo, s38
	s_cbranch_execz .LBB169_229
; %bb.226:
	s_mov_b32 s34, -1
	s_mov_b32 s39, exec_lo
                                        ; implicit-def: $sgpr2_sgpr3
                                        ; implicit-def: $sgpr22_sgpr23
	v_cmpx_eq_u16_e32 0x80, v6
; %bb.227:
	s_mov_b64 s[2:3], 0
	s_mov_b32 s23, 0x7ff80000
	s_brev_b32 s22, 4
	s_xor_b32 s34, exec_lo, -1
; %bb.228:
	s_or_b32 exec_lo, exec_lo, s39
	s_delay_alu instid0(SALU_CYCLE_1)
	s_and_b32 s34, s34, exec_lo
.LBB169_229:
	s_or_saveexec_b32 s38, s38
	v_dual_mov_b32 v2, s2 :: v_dual_mov_b32 v3, s3
	v_dual_mov_b32 v0, s22 :: v_dual_mov_b32 v1, s23
	s_xor_b32 exec_lo, exec_lo, s38
; %bb.230:
	v_mov_b32_e32 v2, 0
	v_mov_b32_e32 v3, 0
	v_cmp_ne_u16_e32 vcc_lo, 0, v6
	s_delay_alu instid0(VALU_DEP_3) | instskip(SKIP_1) | instid1(VALU_DEP_3)
	v_mov_b32_e32 v0, v2
	s_and_not1_b32 s2, s34, exec_lo
	v_mov_b32_e32 v1, v3
	s_and_b32 s3, vcc_lo, exec_lo
	s_delay_alu instid0(SALU_CYCLE_1)
	s_or_b32 s34, s2, s3
; %bb.231:
	s_or_b32 exec_lo, exec_lo, s38
	s_and_saveexec_b32 s2, s34
	s_cbranch_execz .LBB169_233
; %bb.232:
	v_and_b32_e32 v0, 0xffff, v6
	v_lshlrev_b32_e32 v6, 24, v6
	s_delay_alu instid0(VALU_DEP_2) | instskip(NEXT) | instid1(VALU_DEP_1)
	v_and_b32_e32 v1, 3, v0
	v_clz_i32_u32_e32 v2, v1
	s_delay_alu instid0(VALU_DEP_1) | instskip(NEXT) | instid1(VALU_DEP_1)
	v_min_u32_e32 v2, 32, v2
	v_subrev_nc_u32_e32 v3, 29, v2
	v_sub_nc_u32_e32 v2, 30, v2
	s_delay_alu instid0(VALU_DEP_2) | instskip(SKIP_1) | instid1(VALU_DEP_2)
	v_lshlrev_b32_e32 v3, v3, v0
	v_bfe_u32 v0, v0, 2, 5
	v_and_b32_e32 v3, 3, v3
	s_delay_alu instid0(VALU_DEP_2) | instskip(NEXT) | instid1(VALU_DEP_2)
	v_cmp_eq_u32_e32 vcc_lo, 0, v0
	v_dual_cndmask_b32 v0, v0, v2 :: v_dual_cndmask_b32 v1, v1, v3
	v_and_b32_e32 v2, 0x80000000, v6
	s_delay_alu instid0(VALU_DEP_2) | instskip(NEXT) | instid1(VALU_DEP_3)
	v_lshl_add_u32 v0, v0, 23, 0x37800000
	v_lshlrev_b32_e32 v1, 21, v1
	s_delay_alu instid0(VALU_DEP_1) | instskip(SKIP_2) | instid1(VALU_DEP_3)
	v_or3_b32 v0, v2, v0, v1
	v_mov_b32_e32 v2, 0
	v_mov_b32_e32 v3, 0
	v_cvt_f64_f32_e32 v[0:1], v0
.LBB169_233:
	s_or_b32 exec_lo, exec_lo, s2
	s_mov_b32 s2, 0
	s_branch .LBB169_237
.LBB169_234:
	s_mov_b32 s2, -1
                                        ; implicit-def: $vgpr2_vgpr3
	s_branch .LBB169_243
.LBB169_235:
	s_mov_b32 s2, -1
                                        ; implicit-def: $vgpr2_vgpr3
	s_branch .LBB169_240
.LBB169_236:
	s_mov_b32 s2, -1
                                        ; implicit-def: $vgpr2_vgpr3
.LBB169_237:
	s_delay_alu instid0(SALU_CYCLE_1)
	s_and_b32 vcc_lo, exec_lo, s2
	s_cbranch_vccz .LBB169_239
; %bb.238:
	global_load_u8 v0, v[4:5], off
	s_waitcnt vmcnt(0)
	v_lshlrev_b32_e32 v0, 24, v0
	s_delay_alu instid0(VALU_DEP_1) | instskip(NEXT) | instid1(VALU_DEP_1)
	v_and_b32_e32 v1, 0x7f000000, v0
	v_clz_i32_u32_e32 v2, v1
	v_add_nc_u32_e32 v6, 0x1000000, v1
	v_cmp_ne_u32_e32 vcc_lo, 0, v1
	s_delay_alu instid0(VALU_DEP_3) | instskip(NEXT) | instid1(VALU_DEP_1)
	v_min_u32_e32 v2, 32, v2
	v_sub_nc_u32_e64 v2, v2, 4 clamp
	s_delay_alu instid0(VALU_DEP_1) | instskip(SKIP_1) | instid1(VALU_DEP_2)
	v_lshlrev_b32_e32 v3, v2, v1
	v_lshlrev_b32_e32 v2, 23, v2
	v_lshrrev_b32_e32 v3, 4, v3
	s_delay_alu instid0(VALU_DEP_1) | instskip(SKIP_1) | instid1(VALU_DEP_2)
	v_sub_nc_u32_e32 v2, v3, v2
	v_ashrrev_i32_e32 v3, 8, v6
	v_add_nc_u32_e32 v2, 0x3c000000, v2
	s_delay_alu instid0(VALU_DEP_1) | instskip(NEXT) | instid1(VALU_DEP_1)
	v_and_or_b32 v2, 0x7f800000, v3, v2
	v_dual_cndmask_b32 v1, 0, v2 :: v_dual_mov_b32 v2, 0
	v_mov_b32_e32 v3, 0
	s_delay_alu instid0(VALU_DEP_2) | instskip(NEXT) | instid1(VALU_DEP_1)
	v_and_or_b32 v0, 0x80000000, v0, v1
	v_cvt_f64_f32_e32 v[0:1], v0
.LBB169_239:
	s_mov_b32 s2, 0
.LBB169_240:
	s_delay_alu instid0(SALU_CYCLE_1)
	s_and_not1_b32 vcc_lo, exec_lo, s2
	s_cbranch_vccnz .LBB169_242
; %bb.241:
	global_load_u8 v0, v[4:5], off
	s_waitcnt vmcnt(0)
	v_lshlrev_b32_e32 v1, 25, v0
	v_lshlrev_b16 v0, 8, v0
	s_delay_alu instid0(VALU_DEP_2) | instskip(NEXT) | instid1(VALU_DEP_2)
	v_lshrrev_b32_e32 v2, 4, v1
	v_and_or_b32 v3, 0x7f00, v0, 0.5
	v_bfe_i32 v0, v0, 0, 16
	s_delay_alu instid0(VALU_DEP_3) | instskip(NEXT) | instid1(VALU_DEP_1)
	v_or_b32_e32 v2, 0x70000000, v2
	v_dual_add_f32 v3, -0.5, v3 :: v_dual_mul_f32 v2, 0x7800000, v2
	v_cmp_gt_u32_e32 vcc_lo, 0x8000000, v1
	s_delay_alu instid0(VALU_DEP_2) | instskip(SKIP_1) | instid1(VALU_DEP_2)
	v_dual_cndmask_b32 v1, v2, v3 :: v_dual_mov_b32 v2, 0
	v_mov_b32_e32 v3, 0
	v_and_or_b32 v0, 0x80000000, v0, v1
	s_delay_alu instid0(VALU_DEP_1)
	v_cvt_f64_f32_e32 v[0:1], v0
.LBB169_242:
	s_mov_b32 s2, 0
	s_mov_b32 s22, -1
.LBB169_243:
	s_and_not1_b32 vcc_lo, exec_lo, s2
	s_cbranch_vccnz .LBB169_255
; %bb.244:
	v_cmp_lt_i16_e32 vcc_lo, 14, v14
	s_cbranch_vccz .LBB169_247
; %bb.245:
	v_cmp_eq_u16_e32 vcc_lo, 15, v14
	s_cbranch_vccz .LBB169_248
; %bb.246:
	global_load_u16 v0, v[4:5], off
	s_mov_b32 s22, -1
	s_mov_b32 s35, 0
	s_mov_b64 s[2:3], 0
	s_waitcnt vmcnt(0)
	v_lshlrev_b32_e32 v0, 16, v0
	s_delay_alu instid0(VALU_DEP_1)
	v_cvt_f64_f32_e32 v[0:1], v0
	s_branch .LBB169_249
.LBB169_247:
	s_mov_b32 s23, -1
                                        ; implicit-def: $sgpr2_sgpr3
                                        ; implicit-def: $vgpr0_vgpr1
	s_branch .LBB169_250
.LBB169_248:
	s_mov_b32 s35, -1
                                        ; implicit-def: $sgpr2_sgpr3
                                        ; implicit-def: $vgpr0_vgpr1
.LBB169_249:
	s_mov_b32 s23, 0
.LBB169_250:
	s_delay_alu instid0(SALU_CYCLE_1)
	s_and_b32 vcc_lo, exec_lo, s23
	s_cbranch_vccz .LBB169_254
; %bb.251:
	v_cmp_eq_u16_e32 vcc_lo, 11, v14
	s_cbranch_vccz .LBB169_253
; %bb.252:
	global_load_u8 v0, v[4:5], off
	s_mov_b32 s35, 0
	s_mov_b32 s22, -1
	s_mov_b64 s[2:3], 0
	s_waitcnt vmcnt(0)
	v_cmp_ne_u16_e32 vcc_lo, 0, v0
	v_mov_b32_e32 v0, 0
	v_cndmask_b32_e64 v1, 0, 0x3ff00000, vcc_lo
	s_branch .LBB169_254
.LBB169_253:
	s_mov_b32 s35, -1
                                        ; implicit-def: $sgpr2_sgpr3
                                        ; implicit-def: $vgpr0_vgpr1
.LBB169_254:
	v_dual_mov_b32 v2, s2 :: v_dual_mov_b32 v3, s3
.LBB169_255:
	s_branch .LBB169_23
.LBB169_256:
	v_cmp_gt_i16_e32 vcc_lo, 5, v14
	s_cbranch_vccnz .LBB169_261
; %bb.257:
	v_cmp_gt_i16_e32 vcc_lo, 8, v14
	s_cbranch_vccnz .LBB169_262
; %bb.258:
	;; [unrolled: 3-line block ×3, first 2 shown]
	v_cmp_lt_i16_e32 vcc_lo, 9, v14
	s_cbranch_vccz .LBB169_264
; %bb.260:
	global_load_b128 v[0:3], v[4:5], off
	s_mov_b32 s2, 0
	s_branch .LBB169_265
.LBB169_261:
                                        ; implicit-def: $vgpr2_vgpr3
	s_branch .LBB169_284
.LBB169_262:
	s_mov_b32 s2, -1
                                        ; implicit-def: $vgpr2_vgpr3
	s_branch .LBB169_271
.LBB169_263:
	s_mov_b32 s2, -1
                                        ; implicit-def: $vgpr2_vgpr3
	s_branch .LBB169_268
.LBB169_264:
	s_mov_b32 s2, -1
                                        ; implicit-def: $vgpr2_vgpr3
.LBB169_265:
	s_delay_alu instid0(SALU_CYCLE_1)
	s_and_not1_b32 vcc_lo, exec_lo, s2
	s_cbranch_vccnz .LBB169_267
; %bb.266:
	global_load_b64 v[1:2], v[4:5], off
	s_waitcnt vmcnt(0)
	v_cvt_f64_f32_e32 v[0:1], v1
	v_cvt_f64_f32_e32 v[2:3], v2
.LBB169_267:
	s_mov_b32 s2, 0
.LBB169_268:
	s_delay_alu instid0(SALU_CYCLE_1)
	s_and_not1_b32 vcc_lo, exec_lo, s2
	s_cbranch_vccnz .LBB169_270
; %bb.269:
	global_load_b32 v0, v[4:5], off
	s_waitcnt vmcnt(0)
	v_lshrrev_b32_e32 v1, 16, v0
	v_cvt_f32_f16_e32 v0, v0
	s_delay_alu instid0(VALU_DEP_2) | instskip(NEXT) | instid1(VALU_DEP_2)
	v_cvt_f32_f16_e32 v2, v1
	v_cvt_f64_f32_e32 v[0:1], v0
	s_delay_alu instid0(VALU_DEP_2)
	v_cvt_f64_f32_e32 v[2:3], v2
.LBB169_270:
	s_mov_b32 s2, 0
.LBB169_271:
	s_delay_alu instid0(SALU_CYCLE_1)
	s_and_not1_b32 vcc_lo, exec_lo, s2
	s_cbranch_vccnz .LBB169_283
; %bb.272:
	v_cmp_gt_i16_e32 vcc_lo, 6, v14
	s_cbranch_vccnz .LBB169_275
; %bb.273:
	v_cmp_lt_i16_e32 vcc_lo, 6, v14
	s_cbranch_vccz .LBB169_276
; %bb.274:
	global_load_b64 v[0:1], v[4:5], off
	s_mov_b32 s22, 0
	s_mov_b64 s[2:3], 0
	s_branch .LBB169_277
.LBB169_275:
	s_mov_b32 s22, -1
                                        ; implicit-def: $sgpr2_sgpr3
                                        ; implicit-def: $vgpr0_vgpr1
	s_branch .LBB169_280
.LBB169_276:
	s_mov_b32 s22, -1
                                        ; implicit-def: $sgpr2_sgpr3
                                        ; implicit-def: $vgpr0_vgpr1
.LBB169_277:
	s_delay_alu instid0(SALU_CYCLE_1)
	s_and_not1_b32 vcc_lo, exec_lo, s22
	s_cbranch_vccnz .LBB169_279
; %bb.278:
	global_load_b32 v0, v[4:5], off
	s_mov_b64 s[2:3], 0
	s_waitcnt vmcnt(0)
	v_cvt_f64_f32_e32 v[0:1], v0
.LBB169_279:
	s_mov_b32 s22, 0
.LBB169_280:
	s_delay_alu instid0(SALU_CYCLE_1)
	s_and_not1_b32 vcc_lo, exec_lo, s22
	s_cbranch_vccnz .LBB169_282
; %bb.281:
	global_load_u16 v0, v[4:5], off
	s_mov_b64 s[2:3], 0
	s_waitcnt vmcnt(0)
	v_cvt_f32_f16_e32 v0, v0
	s_delay_alu instid0(VALU_DEP_1)
	v_cvt_f64_f32_e32 v[0:1], v0
.LBB169_282:
	s_waitcnt vmcnt(0)
	v_dual_mov_b32 v2, s2 :: v_dual_mov_b32 v3, s3
.LBB169_283:
	s_cbranch_execnz .LBB169_304
.LBB169_284:
	v_cmp_gt_i16_e32 vcc_lo, 2, v14
	s_cbranch_vccnz .LBB169_288
; %bb.285:
	v_cmp_gt_i16_e32 vcc_lo, 3, v14
	s_cbranch_vccnz .LBB169_289
; %bb.286:
	v_cmp_lt_i16_e32 vcc_lo, 3, v14
	s_cbranch_vccz .LBB169_290
; %bb.287:
	global_load_b64 v[0:1], v[4:5], off
	s_mov_b32 s22, 0
	s_mov_b64 s[2:3], 0
	s_waitcnt vmcnt(0)
	v_cvt_f64_i32_e32 v[1:2], v1
	v_cvt_f64_u32_e32 v[6:7], v0
	s_delay_alu instid0(VALU_DEP_2) | instskip(NEXT) | instid1(VALU_DEP_1)
	v_ldexp_f64 v[1:2], v[1:2], 32
	v_add_f64 v[0:1], v[1:2], v[6:7]
	s_branch .LBB169_291
.LBB169_288:
	s_mov_b32 s22, -1
                                        ; implicit-def: $sgpr2_sgpr3
                                        ; implicit-def: $vgpr0_vgpr1
	s_branch .LBB169_297
.LBB169_289:
	s_mov_b32 s22, -1
                                        ; implicit-def: $sgpr2_sgpr3
                                        ; implicit-def: $vgpr0_vgpr1
	s_branch .LBB169_294
.LBB169_290:
	s_mov_b32 s22, -1
                                        ; implicit-def: $sgpr2_sgpr3
                                        ; implicit-def: $vgpr0_vgpr1
.LBB169_291:
	s_delay_alu instid0(SALU_CYCLE_1)
	s_and_not1_b32 vcc_lo, exec_lo, s22
	s_cbranch_vccnz .LBB169_293
; %bb.292:
	global_load_b32 v0, v[4:5], off
	s_mov_b64 s[2:3], 0
	s_waitcnt vmcnt(0)
	v_cvt_f64_i32_e32 v[0:1], v0
.LBB169_293:
	s_mov_b32 s22, 0
.LBB169_294:
	s_delay_alu instid0(SALU_CYCLE_1)
	s_and_not1_b32 vcc_lo, exec_lo, s22
	s_cbranch_vccnz .LBB169_296
; %bb.295:
	global_load_i16 v0, v[4:5], off
	s_mov_b64 s[2:3], 0
	s_waitcnt vmcnt(0)
	v_cvt_f64_i32_e32 v[0:1], v0
.LBB169_296:
	s_mov_b32 s22, 0
.LBB169_297:
	s_delay_alu instid0(SALU_CYCLE_1)
	s_and_not1_b32 vcc_lo, exec_lo, s22
	s_cbranch_vccnz .LBB169_303
; %bb.298:
	v_cmp_lt_i16_e32 vcc_lo, 0, v14
	s_mov_b32 s22, 0
	s_cbranch_vccz .LBB169_300
; %bb.299:
	global_load_i8 v0, v[4:5], off
	s_mov_b64 s[2:3], 0
	s_waitcnt vmcnt(0)
	v_cvt_f64_i32_e32 v[0:1], v0
	s_branch .LBB169_301
.LBB169_300:
	s_mov_b32 s22, -1
                                        ; implicit-def: $sgpr2_sgpr3
                                        ; implicit-def: $vgpr0_vgpr1
.LBB169_301:
	s_delay_alu instid0(SALU_CYCLE_1)
	s_and_not1_b32 vcc_lo, exec_lo, s22
	s_cbranch_vccnz .LBB169_303
; %bb.302:
	global_load_u8 v0, v[4:5], off
	s_mov_b64 s[2:3], 0
	s_waitcnt vmcnt(0)
	v_cvt_f64_u32_e32 v[0:1], v0
.LBB169_303:
	s_waitcnt vmcnt(0)
	v_dual_mov_b32 v2, s2 :: v_dual_mov_b32 v3, s3
.LBB169_304:
	s_branch .LBB169_24
.LBB169_305:
	s_mov_b32 s2, 0
.LBB169_306:
	s_mov_b32 s3, 0
                                        ; implicit-def: $vgpr16
.LBB169_307:
	s_and_b32 s34, s2, exec_lo
	s_and_b32 s35, s35, exec_lo
	s_or_not1_b32 s3, s3, exec_lo
.LBB169_308:
	s_or_b32 exec_lo, exec_lo, s36
	s_mov_b32 s2, 0
	s_mov_b32 s22, 0
                                        ; implicit-def: $vgpr4_vgpr5
                                        ; implicit-def: $vgpr8
                                        ; implicit-def: $vgpr2_vgpr3
	s_and_saveexec_b32 s36, s3
	s_cbranch_execz .LBB169_1044
; %bb.309:
	s_mov_b32 s22, -1
	s_mov_b32 s37, s35
	s_mov_b32 s38, s34
	s_mov_b32 s39, exec_lo
	v_cmpx_gt_i32_e64 s30, v16
	s_cbranch_execz .LBB169_623
; %bb.310:
	s_and_not1_b32 vcc_lo, exec_lo, s27
	s_cbranch_vccnz .LBB169_315
; %bb.311:
	v_mov_b32_e32 v8, 0
	s_waitcnt vmcnt(0)
	v_mov_b32_e32 v0, 0
	s_and_not1_b32 vcc_lo, exec_lo, s33
	s_mov_b32 s37, 0
	s_cbranch_vccnz .LBB169_320
; %bb.312:
	v_mov_b32_e32 v8, 0
	s_add_i32 s40, s31, 1
	s_cmp_eq_u32 s25, 2
	s_mov_b32 s38, 0
	s_cbranch_scc1 .LBB169_316
; %bb.313:
	v_dual_mov_b32 v0, 0 :: v_dual_mov_b32 v1, v16
	v_mov_b32_e32 v8, 0
	s_and_b32 s38, s40, 28
	s_mov_b32 s41, 0
	s_mov_b64 s[2:3], s[20:21]
	s_mov_b64 s[22:23], s[16:17]
.LBB169_314:                            ; =>This Inner Loop Header: Depth=1
	s_clause 0x1
	s_load_b256 s[44:51], s[22:23], 0x4
	s_load_b128 s[60:63], s[22:23], 0x24
	s_load_b256 s[52:59], s[2:3], 0x0
	s_add_u32 s22, s22, 48
	s_addc_u32 s23, s23, 0
	s_add_i32 s41, s41, 4
	s_add_u32 s2, s2, 32
	s_addc_u32 s3, s3, 0
	s_cmp_eq_u32 s38, s41
	s_waitcnt lgkmcnt(0)
	v_mul_hi_u32 v2, s45, v1
	s_delay_alu instid0(VALU_DEP_1) | instskip(NEXT) | instid1(VALU_DEP_1)
	v_add_nc_u32_e32 v2, v1, v2
	v_lshrrev_b32_e32 v2, s46, v2
	s_delay_alu instid0(VALU_DEP_1) | instskip(SKIP_1) | instid1(VALU_DEP_2)
	v_mul_hi_u32 v3, s48, v2
	v_mul_lo_u32 v5, v2, s44
	v_add_nc_u32_e32 v3, v2, v3
	s_delay_alu instid0(VALU_DEP_2) | instskip(NEXT) | instid1(VALU_DEP_2)
	v_sub_nc_u32_e32 v1, v1, v5
	v_lshrrev_b32_e32 v3, s49, v3
	s_delay_alu instid0(VALU_DEP_2) | instskip(SKIP_1) | instid1(VALU_DEP_3)
	v_mul_lo_u32 v5, v1, s52
	v_mul_lo_u32 v7, v1, s53
	v_mul_hi_u32 v4, s51, v3
	s_delay_alu instid0(VALU_DEP_1) | instskip(NEXT) | instid1(VALU_DEP_1)
	v_add_nc_u32_e32 v4, v3, v4
	v_lshrrev_b32_e32 v4, s60, v4
	s_delay_alu instid0(VALU_DEP_1) | instskip(SKIP_1) | instid1(VALU_DEP_2)
	v_mul_hi_u32 v6, s62, v4
	v_mul_lo_u32 v9, v4, s50
	v_add_nc_u32_e32 v1, v4, v6
	v_mul_lo_u32 v6, v3, s47
	s_delay_alu instid0(VALU_DEP_3) | instskip(NEXT) | instid1(VALU_DEP_3)
	v_sub_nc_u32_e32 v3, v3, v9
	v_lshrrev_b32_e32 v1, s63, v1
	s_delay_alu instid0(VALU_DEP_2) | instskip(SKIP_2) | instid1(VALU_DEP_4)
	v_mul_lo_u32 v9, v3, s56
	v_mul_lo_u32 v3, v3, s57
	v_sub_nc_u32_e32 v2, v2, v6
	v_mul_lo_u32 v10, v1, s61
	s_delay_alu instid0(VALU_DEP_2) | instskip(SKIP_1) | instid1(VALU_DEP_3)
	v_mul_lo_u32 v6, v2, s54
	v_mul_lo_u32 v2, v2, s55
	v_sub_nc_u32_e32 v4, v4, v10
	s_delay_alu instid0(VALU_DEP_3) | instskip(NEXT) | instid1(VALU_DEP_2)
	v_add3_u32 v5, v5, v8, v6
	v_mul_lo_u32 v10, v4, s58
	v_mul_lo_u32 v4, v4, s59
	v_add3_u32 v0, v7, v0, v2
	s_delay_alu instid0(VALU_DEP_3) | instskip(NEXT) | instid1(VALU_DEP_2)
	v_add3_u32 v8, v9, v5, v10
	v_add3_u32 v0, v3, v0, v4
	s_cbranch_scc0 .LBB169_314
	s_branch .LBB169_317
.LBB169_315:
	s_mov_b32 s37, -1
                                        ; implicit-def: $vgpr8
                                        ; implicit-def: $vgpr0
	s_branch .LBB169_320
.LBB169_316:
	v_dual_mov_b32 v1, v16 :: v_dual_mov_b32 v0, 0
.LBB169_317:
	s_and_b32 s40, s40, 3
	s_delay_alu instid0(SALU_CYCLE_1)
	s_cmp_eq_u32 s40, 0
	s_cbranch_scc1 .LBB169_320
; %bb.318:
	s_lshl_b32 s2, s38, 3
	s_mul_i32 s22, s38, 12
	s_add_u32 s2, s2, s16
	s_addc_u32 s3, s17, 0
	s_add_u32 s2, s2, 0xc4
	s_addc_u32 s3, s3, 0
	;; [unrolled: 2-line block ×3, first 2 shown]
	.p2align	6
.LBB169_319:                            ; =>This Inner Loop Header: Depth=1
	s_clause 0x1
	s_load_b64 s[42:43], s[22:23], 0x4
	s_load_b32 s38, s[22:23], 0xc
	s_load_b64 s[44:45], s[2:3], 0x0
	s_add_u32 s22, s22, 12
	s_addc_u32 s23, s23, 0
	s_add_u32 s2, s2, 8
	s_addc_u32 s3, s3, 0
	s_add_i32 s40, s40, -1
	s_delay_alu instid0(SALU_CYCLE_1) | instskip(SKIP_2) | instid1(VALU_DEP_1)
	s_cmp_lg_u32 s40, 0
	s_waitcnt lgkmcnt(0)
	v_mul_hi_u32 v2, s43, v1
	v_add_nc_u32_e32 v2, v1, v2
	s_delay_alu instid0(VALU_DEP_1) | instskip(NEXT) | instid1(VALU_DEP_1)
	v_lshrrev_b32_e32 v5, s38, v2
	v_mul_lo_u32 v2, v5, s42
	s_delay_alu instid0(VALU_DEP_1) | instskip(NEXT) | instid1(VALU_DEP_1)
	v_sub_nc_u32_e32 v1, v1, v2
	v_mad_u64_u32 v[2:3], null, v1, s44, v[8:9]
	v_mad_u64_u32 v[3:4], null, v1, s45, v[0:1]
	s_delay_alu instid0(VALU_DEP_2) | instskip(NEXT) | instid1(VALU_DEP_2)
	v_dual_mov_b32 v1, v5 :: v_dual_mov_b32 v8, v2
	v_mov_b32_e32 v0, v3
	s_cbranch_scc1 .LBB169_319
.LBB169_320:
	s_and_not1_b32 vcc_lo, exec_lo, s37
	s_cbranch_vccnz .LBB169_323
; %bb.321:
	s_waitcnt vmcnt(0) lgkmcnt(0)
	v_mul_hi_u32 v0, s13, v16
	s_and_not1_b32 vcc_lo, exec_lo, s29
	s_delay_alu instid0(VALU_DEP_1) | instskip(NEXT) | instid1(VALU_DEP_1)
	v_add_nc_u32_e32 v0, v16, v0
	v_lshrrev_b32_e32 v1, s14, v0
	s_delay_alu instid0(VALU_DEP_1) | instskip(NEXT) | instid1(VALU_DEP_1)
	v_mul_lo_u32 v0, v1, s12
	v_sub_nc_u32_e32 v0, v16, v0
	s_delay_alu instid0(VALU_DEP_1)
	v_mul_lo_u32 v8, v0, s8
	v_mul_lo_u32 v0, v0, s9
	s_cbranch_vccnz .LBB169_323
; %bb.322:
	v_mul_hi_u32 v2, s18, v1
	s_delay_alu instid0(VALU_DEP_1) | instskip(NEXT) | instid1(VALU_DEP_1)
	v_add_nc_u32_e32 v2, v1, v2
	v_lshrrev_b32_e32 v2, s19, v2
	s_delay_alu instid0(VALU_DEP_1) | instskip(NEXT) | instid1(VALU_DEP_1)
	v_mul_lo_u32 v2, v2, s15
	v_sub_nc_u32_e32 v4, v1, v2
	s_delay_alu instid0(VALU_DEP_1) | instskip(NEXT) | instid1(VALU_DEP_1)
	v_mad_u64_u32 v[1:2], null, v4, s10, v[8:9]
	v_mad_u64_u32 v[2:3], null, v4, s11, v[0:1]
	v_mov_b32_e32 v8, v1
	s_delay_alu instid0(VALU_DEP_2)
	v_mov_b32_e32 v0, v2
.LBB169_323:
	v_cmp_gt_i16_e32 vcc_lo, 11, v14
	s_waitcnt vmcnt(0) lgkmcnt(0)
	s_delay_alu instid0(VALU_DEP_2) | instskip(NEXT) | instid1(VALU_DEP_1)
	v_add_co_u32 v4, s2, s6, v0
	v_add_co_ci_u32_e64 v5, null, s7, 0, s2
	s_mov_b32 s22, 0
	s_cbranch_vccnz .LBB169_330
; %bb.324:
	v_cmp_lt_i16_e32 vcc_lo, 25, v14
	s_cbranch_vccz .LBB169_348
; %bb.325:
	v_cmp_lt_i16_e32 vcc_lo, 28, v14
	s_cbranch_vccz .LBB169_349
	;; [unrolled: 3-line block ×4, first 2 shown]
; %bb.328:
	v_cmp_eq_u16_e32 vcc_lo, 46, v14
	s_mov_b32 s2, 0
	s_cbranch_vccz .LBB169_428
; %bb.329:
	global_load_b32 v0, v[4:5], off
	s_mov_b32 s22, -1
	s_mov_b32 s37, 0
	s_waitcnt vmcnt(0)
	v_lshlrev_b32_e32 v1, 16, v0
	v_and_b32_e32 v2, 0xffff0000, v0
	s_delay_alu instid0(VALU_DEP_2) | instskip(NEXT) | instid1(VALU_DEP_2)
	v_cvt_f64_f32_e32 v[0:1], v1
	v_cvt_f64_f32_e32 v[2:3], v2
	s_branch .LBB169_430
.LBB169_330:
	s_mov_b32 s37, s35
                                        ; implicit-def: $vgpr2_vgpr3
	s_cbranch_execnz .LBB169_570
.LBB169_331:
	s_and_not1_b32 vcc_lo, exec_lo, s22
	s_cbranch_vccnz .LBB169_620
.LBB169_332:
	s_waitcnt vmcnt(0)
	s_delay_alu instid0(VALU_DEP_1) | instskip(NEXT) | instid1(VALU_DEP_2)
	v_cmp_neq_f64_e32 vcc_lo, 0, v[0:1]
	v_cmp_neq_f64_e64 s2, 0, v[2:3]
	v_mov_b32_e32 v9, 0
	v_mov_b32_e32 v10, 0
	s_delay_alu instid0(VALU_DEP_3) | instskip(NEXT) | instid1(SALU_CYCLE_1)
	s_or_b32 s2, vcc_lo, s2
	s_and_saveexec_b32 s22, s2
	s_cbranch_execz .LBB169_368
; %bb.333:
	s_mov_b32 s2, 0
	s_mov_b32 s3, 0x7ff00000
	v_mov_b32_e32 v9, s2
	v_mov_b32_e32 v10, s3
	s_mov_b32 s23, exec_lo
	v_cmpx_neq_f64_e64 0x7ff00000, |v[2:3]|
	s_cbranch_execz .LBB169_367
; %bb.334:
	s_mov_b32 s2, exec_lo
	v_cmpx_o_f64_e32 v[0:1], v[0:1]
	s_xor_b32 s38, exec_lo, s2
	s_cbranch_execz .LBB169_364
; %bb.335:
	s_mov_b32 s3, exec_lo
	v_cmpx_neq_f64_e64 0x7ff00000, |v[0:1]|
	s_xor_b32 s40, exec_lo, s3
	s_cbranch_execz .LBB169_357
; %bb.336:
	v_max_f64 v[4:5], |v[2:3]|, |v[2:3]|
	v_max_f64 v[6:7], |v[0:1]|, |v[0:1]|
	s_mov_b32 s2, 0x99fcef32
	s_mov_b32 s3, 0x7fda8279
                                        ; implicit-def: $sgpr41
	s_delay_alu instid0(VALU_DEP_1) | instskip(NEXT) | instid1(VALU_DEP_1)
	v_max_f64 v[4:5], v[6:7], v[4:5]
	v_cmp_nle_f64_e64 s2, s[2:3], v[4:5]
	s_delay_alu instid0(VALU_DEP_1) | instskip(NEXT) | instid1(SALU_CYCLE_1)
	s_and_saveexec_b32 s3, s2
	s_xor_b32 s3, exec_lo, s3
	s_cbranch_execz .LBB169_340
; %bb.337:
	v_cmp_ge_f64_e64 s41, 0x200000, |v[0:1]|
	v_cmp_ge_f64_e64 s42, 0x200000, |v[2:3]|
	s_delay_alu instid0(VALU_DEP_1)
	s_and_b32 s43, s41, s42
	s_mov_b32 s41, 0
	s_and_saveexec_b32 s42, s43
; %bb.338:
	v_mul_f64 v[0:1], v[0:1], 4.0
	v_mul_f64 v[2:3], v[2:3], 4.0
	s_mov_b32 s41, exec_lo
; %bb.339:
	s_or_b32 exec_lo, exec_lo, s42
	s_delay_alu instid0(SALU_CYCLE_1)
	s_and_b32 s41, s41, exec_lo
.LBB169_340:
	s_and_not1_saveexec_b32 s3, s3
; %bb.341:
	s_delay_alu instid0(VALU_DEP_2) | instskip(NEXT) | instid1(VALU_DEP_2)
	v_ldexp_f64 v[0:1], v[0:1], -2
	v_ldexp_f64 v[2:3], v[2:3], -2
	s_and_not1_b32 s41, s41, exec_lo
; %bb.342:
	s_or_b32 exec_lo, exec_lo, s3
	s_delay_alu instid0(VALU_DEP_1) | instskip(NEXT) | instid1(VALU_DEP_3)
	v_max_f64 v[4:5], |v[2:3]|, |v[2:3]|
	v_max_f64 v[6:7], |v[0:1]|, |v[0:1]|
	v_cmp_class_f64_e64 s42, v[0:1], 0x204
	v_cmp_class_f64_e64 s43, v[2:3], 0x204
	v_cmp_le_f64_e64 s3, 0, v[0:1]
	s_delay_alu instid0(VALU_DEP_4) | instskip(NEXT) | instid1(VALU_DEP_3)
	v_max_f64 v[4:5], v[6:7], v[4:5]
	s_or_b32 s42, s43, s42
	s_delay_alu instid0(VALU_DEP_1) | instskip(NEXT) | instid1(VALU_DEP_1)
	v_frexp_exp_i32_f64_e32 v15, v[4:5]
	v_sub_nc_u32_e32 v6, 0, v15
	s_delay_alu instid0(VALU_DEP_1) | instskip(SKIP_1) | instid1(VALU_DEP_2)
	v_ldexp_f64 v[4:5], |v[2:3]|, v6
	v_ldexp_f64 v[6:7], |v[0:1]|, v6
	v_mul_f64 v[4:5], v[4:5], v[4:5]
	s_delay_alu instid0(VALU_DEP_1) | instskip(NEXT) | instid1(VALU_DEP_1)
	v_fma_f64 v[4:5], v[6:7], v[6:7], v[4:5]
	v_rsq_f64_e32 v[6:7], v[4:5]
	v_cmp_eq_f64_e32 vcc_lo, 0, v[4:5]
	s_waitcnt_depctr 0xfff
	v_mul_f64 v[9:10], v[4:5], v[6:7]
	v_mul_f64 v[6:7], v[6:7], 0.5
	s_delay_alu instid0(VALU_DEP_1) | instskip(NEXT) | instid1(VALU_DEP_1)
	v_fma_f64 v[11:12], -v[6:7], v[9:10], 0.5
	v_fma_f64 v[9:10], v[9:10], v[11:12], v[9:10]
	v_fma_f64 v[6:7], v[6:7], v[11:12], v[6:7]
	s_delay_alu instid0(VALU_DEP_2) | instskip(NEXT) | instid1(VALU_DEP_1)
	v_fma_f64 v[11:12], -v[9:10], v[9:10], v[4:5]
	v_fma_f64 v[6:7], v[11:12], v[6:7], v[9:10]
	s_delay_alu instid0(VALU_DEP_1) | instskip(SKIP_1) | instid1(VALU_DEP_2)
	v_dual_cndmask_b32 v5, v7, v5 :: v_dual_cndmask_b32 v4, v6, v4
	v_cmp_o_f64_e32 vcc_lo, v[2:3], v[2:3]
	v_ldexp_f64 v[4:5], v[4:5], v15
	s_delay_alu instid0(VALU_DEP_1) | instskip(NEXT) | instid1(VALU_DEP_2)
	v_cndmask_b32_e32 v4, 0, v4, vcc_lo
	v_cndmask_b32_e32 v5, 0x7ff80000, v5, vcc_lo
	s_delay_alu instid0(VALU_DEP_2) | instskip(NEXT) | instid1(VALU_DEP_2)
	v_cndmask_b32_e64 v4, v4, 0, s42
	v_cndmask_b32_e64 v5, v5, 0x7ff00000, s42
	s_and_saveexec_b32 s42, s3
	s_delay_alu instid0(SALU_CYCLE_1)
	s_xor_b32 s3, exec_lo, s42
	s_cbranch_execz .LBB169_352
; %bb.343:
	s_delay_alu instid0(VALU_DEP_1) | instskip(NEXT) | instid1(VALU_DEP_1)
	v_add_f64 v[0:1], v[0:1], v[4:5]
	v_mul_f64 v[0:1], v[0:1], 0.5
	s_delay_alu instid0(VALU_DEP_1) | instskip(SKIP_1) | instid1(VALU_DEP_1)
	v_cmp_gt_f64_e32 vcc_lo, 0x10000000, v[0:1]
	v_cndmask_b32_e64 v4, 0, 1, vcc_lo
	v_lshlrev_b32_e32 v4, 8, v4
	s_delay_alu instid0(VALU_DEP_1) | instskip(NEXT) | instid1(VALU_DEP_1)
	v_ldexp_f64 v[0:1], v[0:1], v4
	v_rsq_f64_e32 v[4:5], v[0:1]
	s_waitcnt_depctr 0xfff
	v_mul_f64 v[6:7], v[0:1], v[4:5]
	v_mul_f64 v[4:5], v[4:5], 0.5
	s_delay_alu instid0(VALU_DEP_1) | instskip(NEXT) | instid1(VALU_DEP_1)
	v_fma_f64 v[9:10], -v[4:5], v[6:7], 0.5
	v_fma_f64 v[6:7], v[6:7], v[9:10], v[6:7]
	v_fma_f64 v[4:5], v[4:5], v[9:10], v[4:5]
	s_delay_alu instid0(VALU_DEP_2) | instskip(NEXT) | instid1(VALU_DEP_1)
	v_fma_f64 v[9:10], -v[6:7], v[6:7], v[0:1]
	v_fma_f64 v[6:7], v[9:10], v[4:5], v[6:7]
	s_delay_alu instid0(VALU_DEP_1) | instskip(NEXT) | instid1(VALU_DEP_1)
	v_fma_f64 v[9:10], -v[6:7], v[6:7], v[0:1]
	v_fma_f64 v[4:5], v[9:10], v[4:5], v[6:7]
	v_cndmask_b32_e64 v6, 0, 0xffffff80, vcc_lo
	v_cmp_class_f64_e64 vcc_lo, v[0:1], 0x260
	s_delay_alu instid0(VALU_DEP_2) | instskip(NEXT) | instid1(VALU_DEP_1)
	v_ldexp_f64 v[4:5], v[4:5], v6
	v_dual_cndmask_b32 v1, v5, v1 :: v_dual_cndmask_b32 v0, v4, v0
	s_delay_alu instid0(VALU_DEP_1) | instskip(NEXT) | instid1(VALU_DEP_1)
	v_add_f64 v[4:5], v[0:1], v[0:1]
	v_div_scale_f64 v[6:7], null, v[4:5], v[4:5], v[2:3]
	s_delay_alu instid0(VALU_DEP_1) | instskip(SKIP_2) | instid1(VALU_DEP_1)
	v_rcp_f64_e32 v[9:10], v[6:7]
	s_waitcnt_depctr 0xfff
	v_fma_f64 v[11:12], -v[6:7], v[9:10], 1.0
	v_fma_f64 v[9:10], v[9:10], v[11:12], v[9:10]
	s_delay_alu instid0(VALU_DEP_1) | instskip(NEXT) | instid1(VALU_DEP_1)
	v_fma_f64 v[11:12], -v[6:7], v[9:10], 1.0
	v_fma_f64 v[9:10], v[9:10], v[11:12], v[9:10]
	v_div_scale_f64 v[11:12], vcc_lo, v[2:3], v[4:5], v[2:3]
	s_delay_alu instid0(VALU_DEP_1) | instskip(NEXT) | instid1(VALU_DEP_1)
	v_mul_f64 v[17:18], v[11:12], v[9:10]
	v_fma_f64 v[6:7], -v[6:7], v[17:18], v[11:12]
	s_delay_alu instid0(VALU_DEP_1) | instskip(NEXT) | instid1(VALU_DEP_1)
	v_div_fmas_f64 v[6:7], v[6:7], v[9:10], v[17:18]
	v_div_fixup_f64 v[2:3], v[6:7], v[4:5], v[2:3]
                                        ; implicit-def: $vgpr4_vgpr5
	s_and_not1_saveexec_b32 s3, s3
	s_cbranch_execnz .LBB169_353
.LBB169_344:
	s_or_b32 exec_lo, exec_lo, s3
	s_and_saveexec_b32 s3, s2
	s_delay_alu instid0(SALU_CYCLE_1)
	s_xor_b32 s2, exec_lo, s3
	s_cbranch_execz .LBB169_354
.LBB169_345:
	s_and_saveexec_b32 s3, s41
; %bb.346:
	s_delay_alu instid0(VALU_DEP_2) | instskip(NEXT) | instid1(VALU_DEP_2)
	v_mul_f64 v[0:1], v[0:1], 0.5
	v_mul_f64 v[2:3], v[2:3], 0.5
; %bb.347:
	s_or_b32 exec_lo, exec_lo, s3
	s_and_not1_saveexec_b32 s2, s2
	s_cbranch_execnz .LBB169_355
	s_branch .LBB169_356
.LBB169_348:
	s_mov_b32 s2, -1
	s_mov_b32 s37, s35
                                        ; implicit-def: $vgpr2_vgpr3
	s_branch .LBB169_535
.LBB169_349:
	s_mov_b32 s2, -1
	s_mov_b32 s37, s35
                                        ; implicit-def: $vgpr2_vgpr3
	s_branch .LBB169_514
.LBB169_350:
	s_mov_b32 s2, -1
	s_mov_b32 s37, s35
                                        ; implicit-def: $vgpr2_vgpr3
	s_branch .LBB169_508
.LBB169_351:
	s_mov_b32 s2, -1
	s_mov_b32 s37, s35
	s_branch .LBB169_429
.LBB169_352:
	s_and_not1_saveexec_b32 s3, s3
	s_cbranch_execz .LBB169_344
.LBB169_353:
	v_add_f64 v[0:1], v[4:5], -v[0:1]
	s_delay_alu instid0(VALU_DEP_1) | instskip(NEXT) | instid1(VALU_DEP_1)
	v_mul_f64 v[0:1], v[0:1], 0.5
	v_cmp_gt_f64_e32 vcc_lo, 0x10000000, v[0:1]
	v_cndmask_b32_e64 v4, 0, 1, vcc_lo
	s_delay_alu instid0(VALU_DEP_1) | instskip(NEXT) | instid1(VALU_DEP_1)
	v_lshlrev_b32_e32 v4, 8, v4
	v_ldexp_f64 v[0:1], v[0:1], v4
	s_delay_alu instid0(VALU_DEP_1) | instskip(SKIP_3) | instid1(VALU_DEP_1)
	v_rsq_f64_e32 v[4:5], v[0:1]
	s_waitcnt_depctr 0xfff
	v_mul_f64 v[6:7], v[0:1], v[4:5]
	v_mul_f64 v[4:5], v[4:5], 0.5
	v_fma_f64 v[9:10], -v[4:5], v[6:7], 0.5
	s_delay_alu instid0(VALU_DEP_1) | instskip(SKIP_1) | instid1(VALU_DEP_2)
	v_fma_f64 v[6:7], v[6:7], v[9:10], v[6:7]
	v_fma_f64 v[4:5], v[4:5], v[9:10], v[4:5]
	v_fma_f64 v[9:10], -v[6:7], v[6:7], v[0:1]
	s_delay_alu instid0(VALU_DEP_1) | instskip(NEXT) | instid1(VALU_DEP_1)
	v_fma_f64 v[6:7], v[9:10], v[4:5], v[6:7]
	v_fma_f64 v[9:10], -v[6:7], v[6:7], v[0:1]
	s_delay_alu instid0(VALU_DEP_1) | instskip(SKIP_3) | instid1(VALU_DEP_3)
	v_fma_f64 v[4:5], v[9:10], v[4:5], v[6:7]
	v_cndmask_b32_e64 v6, 0, 0xffffff80, vcc_lo
	v_cmp_class_f64_e64 vcc_lo, v[0:1], 0x260
	v_and_b32_e32 v7, 0x7fffffff, v3
	v_ldexp_f64 v[4:5], v[4:5], v6
	s_delay_alu instid0(VALU_DEP_1) | instskip(NEXT) | instid1(VALU_DEP_1)
	v_dual_cndmask_b32 v5, v5, v1 :: v_dual_cndmask_b32 v4, v4, v0
	v_add_f64 v[0:1], v[4:5], v[4:5]
	v_bfi_b32 v5, 0x7fffffff, v5, v3
	v_mov_b32_e32 v6, v2
	s_delay_alu instid0(VALU_DEP_1) | instskip(SKIP_1) | instid1(VALU_DEP_2)
	v_div_scale_f64 v[9:10], null, v[0:1], v[0:1], v[6:7]
	v_div_scale_f64 v[6:7], vcc_lo, v[6:7], v[0:1], v[6:7]
	v_rcp_f64_e32 v[11:12], v[9:10]
	s_waitcnt_depctr 0xfff
	v_fma_f64 v[17:18], -v[9:10], v[11:12], 1.0
	s_delay_alu instid0(VALU_DEP_1) | instskip(NEXT) | instid1(VALU_DEP_1)
	v_fma_f64 v[11:12], v[11:12], v[17:18], v[11:12]
	v_fma_f64 v[17:18], -v[9:10], v[11:12], 1.0
	s_delay_alu instid0(VALU_DEP_1) | instskip(NEXT) | instid1(VALU_DEP_1)
	v_fma_f64 v[11:12], v[11:12], v[17:18], v[11:12]
	v_mul_f64 v[17:18], v[6:7], v[11:12]
	s_delay_alu instid0(VALU_DEP_1) | instskip(NEXT) | instid1(VALU_DEP_1)
	v_fma_f64 v[6:7], -v[9:10], v[17:18], v[6:7]
	v_div_fmas_f64 v[6:7], v[6:7], v[11:12], v[17:18]
	s_delay_alu instid0(VALU_DEP_1) | instskip(SKIP_3) | instid1(SALU_CYCLE_1)
	v_div_fixup_f64 v[0:1], v[6:7], v[0:1], |v[2:3]|
	v_dual_mov_b32 v2, v4 :: v_dual_mov_b32 v3, v5
	s_or_b32 exec_lo, exec_lo, s3
	s_and_saveexec_b32 s3, s2
	s_xor_b32 s2, exec_lo, s3
	s_cbranch_execnz .LBB169_345
.LBB169_354:
	s_and_not1_saveexec_b32 s2, s2
.LBB169_355:
	s_delay_alu instid0(VALU_DEP_2) | instskip(NEXT) | instid1(VALU_DEP_2)
	v_add_f64 v[0:1], v[0:1], v[0:1]
	v_add_f64 v[2:3], v[2:3], v[2:3]
.LBB169_356:
	s_or_b32 exec_lo, exec_lo, s2
.LBB169_357:
	s_and_not1_saveexec_b32 s2, s40
	s_cbranch_execz .LBB169_363
; %bb.358:
	s_delay_alu instid0(VALU_DEP_1) | instskip(SKIP_1) | instid1(VALU_DEP_3)
	v_add_f64 v[4:5], v[2:3], -v[2:3]
	s_mov_b32 s3, exec_lo
	v_cmpx_lt_i64_e32 -1, v[0:1]
	s_xor_b32 s3, exec_lo, s3
; %bb.359:
	s_delay_alu instid0(VALU_DEP_2) | instskip(NEXT) | instid1(VALU_DEP_1)
	v_bfi_b32 v5, 0x7fffffff, v5, v3
	v_dual_mov_b32 v2, v4 :: v_dual_mov_b32 v3, v5
                                        ; implicit-def: $vgpr4_vgpr5
; %bb.360:
	s_and_not1_saveexec_b32 s3, s3
; %bb.361:
	s_delay_alu instid0(VALU_DEP_1) | instskip(SKIP_1) | instid1(VALU_DEP_2)
	v_bfi_b32 v1, 0x7fffffff, v1, v3
	v_and_b32_e32 v5, 0x7fffffff, v5
	v_dual_mov_b32 v3, v1 :: v_dual_mov_b32 v2, v0
	s_delay_alu instid0(VALU_DEP_2)
	v_dual_mov_b32 v0, v4 :: v_dual_mov_b32 v1, v5
; %bb.362:
	s_or_b32 exec_lo, exec_lo, s3
.LBB169_363:
	s_delay_alu instid0(SALU_CYCLE_1)
	s_or_b32 exec_lo, exec_lo, s2
.LBB169_364:
	s_and_not1_saveexec_b32 s2, s38
; %bb.365:
	s_delay_alu instid0(VALU_DEP_1) | instskip(NEXT) | instid1(VALU_DEP_1)
	v_add_f64 v[2:3], v[2:3], -v[2:3]
	v_div_scale_f64 v[4:5], vcc_lo, v[2:3], v[2:3], v[2:3]
	s_delay_alu instid0(VALU_DEP_1) | instskip(SKIP_2) | instid1(VALU_DEP_1)
	v_rcp_f64_e32 v[6:7], v[4:5]
	s_waitcnt_depctr 0xfff
	v_fma_f64 v[9:10], -v[4:5], v[6:7], 1.0
	v_fma_f64 v[6:7], v[6:7], v[9:10], v[6:7]
	s_delay_alu instid0(VALU_DEP_1) | instskip(NEXT) | instid1(VALU_DEP_1)
	v_fma_f64 v[9:10], -v[4:5], v[6:7], 1.0
	v_fma_f64 v[6:7], v[6:7], v[9:10], v[6:7]
	s_delay_alu instid0(VALU_DEP_1) | instskip(NEXT) | instid1(VALU_DEP_1)
	v_mul_f64 v[9:10], v[4:5], v[6:7]
	v_fma_f64 v[4:5], -v[4:5], v[9:10], v[4:5]
	s_delay_alu instid0(VALU_DEP_1) | instskip(NEXT) | instid1(VALU_DEP_1)
	v_div_fmas_f64 v[4:5], v[4:5], v[6:7], v[9:10]
	v_div_fixup_f64 v[2:3], v[4:5], v[2:3], v[2:3]
; %bb.366:
	s_or_b32 exec_lo, exec_lo, s2
	v_dual_mov_b32 v10, v1 :: v_dual_mov_b32 v9, v0
.LBB169_367:
	s_or_b32 exec_lo, exec_lo, s23
.LBB169_368:
	s_delay_alu instid0(SALU_CYCLE_1) | instskip(NEXT) | instid1(VALU_DEP_1)
	s_or_b32 exec_lo, exec_lo, s22
	v_cmp_gt_f64_e32 vcc_lo, 0, v[9:10]
	s_delay_alu instid0(VALU_DEP_3) | instskip(SKIP_2) | instid1(VALU_DEP_2)
	v_cmp_gt_f64_e64 s2, 0, v[2:3]
	v_xor_b32_e32 v0, 0x80000000, v10
	v_xor_b32_e32 v4, 0x80000000, v3
                                        ; implicit-def: $vgpr6_vgpr7
	v_dual_cndmask_b32 v1, v10, v0 :: v_dual_cndmask_b32 v0, v9, v9
	s_delay_alu instid0(VALU_DEP_2) | instskip(SKIP_2) | instid1(VALU_DEP_1)
	v_cndmask_b32_e64 v12, v3, v4, s2
	v_cndmask_b32_e64 v11, v2, v2, s2
	s_mov_b32 s2, exec_lo
	v_cmpx_ge_f64_e32 v[0:1], v[11:12]
	s_xor_b32 s3, exec_lo, s2
	s_cbranch_execz .LBB169_374
; %bb.369:
	v_cmp_neq_f64_e32 vcc_lo, 0, v[9:10]
	v_cmp_neq_f64_e64 s2, 0, v[2:3]
                                        ; implicit-def: $vgpr6_vgpr7
	s_delay_alu instid0(VALU_DEP_1) | instskip(NEXT) | instid1(SALU_CYCLE_1)
	s_or_b32 s2, vcc_lo, s2
	s_and_saveexec_b32 s22, s2
	s_delay_alu instid0(SALU_CYCLE_1)
	s_xor_b32 s2, exec_lo, s22
	s_cbranch_execz .LBB169_371
; %bb.370:
	v_div_scale_f64 v[0:1], null, v[9:10], v[9:10], v[2:3]
	v_div_scale_f64 v[11:12], vcc_lo, v[2:3], v[9:10], v[2:3]
	s_delay_alu instid0(VALU_DEP_2) | instskip(SKIP_2) | instid1(VALU_DEP_1)
	v_rcp_f64_e32 v[4:5], v[0:1]
	s_waitcnt_depctr 0xfff
	v_fma_f64 v[6:7], -v[0:1], v[4:5], 1.0
	v_fma_f64 v[4:5], v[4:5], v[6:7], v[4:5]
	s_delay_alu instid0(VALU_DEP_1) | instskip(NEXT) | instid1(VALU_DEP_1)
	v_fma_f64 v[6:7], -v[0:1], v[4:5], 1.0
	v_fma_f64 v[4:5], v[4:5], v[6:7], v[4:5]
	s_delay_alu instid0(VALU_DEP_1) | instskip(NEXT) | instid1(VALU_DEP_1)
	v_mul_f64 v[6:7], v[11:12], v[4:5]
	v_fma_f64 v[0:1], -v[0:1], v[6:7], v[11:12]
	s_delay_alu instid0(VALU_DEP_1) | instskip(NEXT) | instid1(VALU_DEP_1)
	v_div_fmas_f64 v[0:1], v[0:1], v[4:5], v[6:7]
	v_div_fixup_f64 v[0:1], v[0:1], v[9:10], v[2:3]
	s_delay_alu instid0(VALU_DEP_1) | instskip(NEXT) | instid1(VALU_DEP_1)
	v_fma_f64 v[2:3], v[2:3], v[0:1], v[9:10]
	v_div_scale_f64 v[4:5], null, v[2:3], v[2:3], 1.0
	v_div_scale_f64 v[11:12], vcc_lo, 1.0, v[2:3], 1.0
	s_delay_alu instid0(VALU_DEP_2) | instskip(SKIP_2) | instid1(VALU_DEP_1)
	v_rcp_f64_e32 v[6:7], v[4:5]
	s_waitcnt_depctr 0xfff
	v_fma_f64 v[9:10], -v[4:5], v[6:7], 1.0
	v_fma_f64 v[6:7], v[6:7], v[9:10], v[6:7]
	s_delay_alu instid0(VALU_DEP_1) | instskip(NEXT) | instid1(VALU_DEP_1)
	v_fma_f64 v[9:10], -v[4:5], v[6:7], 1.0
	v_fma_f64 v[6:7], v[6:7], v[9:10], v[6:7]
	s_delay_alu instid0(VALU_DEP_1) | instskip(NEXT) | instid1(VALU_DEP_1)
	v_mul_f64 v[9:10], v[11:12], v[6:7]
	v_fma_f64 v[4:5], -v[4:5], v[9:10], v[11:12]
                                        ; implicit-def: $vgpr11_vgpr12
	s_delay_alu instid0(VALU_DEP_1) | instskip(SKIP_2) | instid1(VALU_DEP_3)
	v_div_fmas_f64 v[4:5], v[4:5], v[6:7], v[9:10]
	v_fma_f64 v[6:7], v[0:1], 0, 1.0
	v_add_f64 v[0:1], -v[0:1], 0
	v_div_fixup_f64 v[2:3], v[4:5], v[2:3], 1.0
	s_delay_alu instid0(VALU_DEP_1) | instskip(NEXT) | instid1(VALU_DEP_3)
	v_mul_f64 v[4:5], v[6:7], v[2:3]
	v_mul_f64 v[6:7], v[0:1], v[2:3]
                                        ; implicit-def: $vgpr0_vgpr1
.LBB169_371:
	s_and_not1_saveexec_b32 s22, s2
	s_cbranch_execz .LBB169_373
; %bb.372:
	v_div_scale_f64 v[2:3], null, v[0:1], v[0:1], 1.0
	v_div_scale_f64 v[4:5], null, v[11:12], v[11:12], 0
	v_div_scale_f64 v[21:22], vcc_lo, 1.0, v[0:1], 1.0
	s_delay_alu instid0(VALU_DEP_3) | instskip(NEXT) | instid1(VALU_DEP_2)
	v_rcp_f64_e32 v[6:7], v[2:3]
	v_rcp_f64_e32 v[9:10], v[4:5]
	s_waitcnt_depctr 0xfff
	v_fma_f64 v[17:18], -v[2:3], v[6:7], 1.0
	v_fma_f64 v[19:20], -v[4:5], v[9:10], 1.0
	s_delay_alu instid0(VALU_DEP_2) | instskip(NEXT) | instid1(VALU_DEP_2)
	v_fma_f64 v[6:7], v[6:7], v[17:18], v[6:7]
	v_fma_f64 v[9:10], v[9:10], v[19:20], v[9:10]
	s_delay_alu instid0(VALU_DEP_2) | instskip(NEXT) | instid1(VALU_DEP_2)
	v_fma_f64 v[17:18], -v[2:3], v[6:7], 1.0
	v_fma_f64 v[19:20], -v[4:5], v[9:10], 1.0
	s_delay_alu instid0(VALU_DEP_2) | instskip(SKIP_1) | instid1(VALU_DEP_3)
	v_fma_f64 v[6:7], v[6:7], v[17:18], v[6:7]
	v_div_scale_f64 v[17:18], s2, 0, v[11:12], 0
	v_fma_f64 v[9:10], v[9:10], v[19:20], v[9:10]
	s_delay_alu instid0(VALU_DEP_3) | instskip(NEXT) | instid1(VALU_DEP_2)
	v_mul_f64 v[19:20], v[21:22], v[6:7]
	v_mul_f64 v[23:24], v[17:18], v[9:10]
	s_delay_alu instid0(VALU_DEP_2) | instskip(NEXT) | instid1(VALU_DEP_2)
	v_fma_f64 v[2:3], -v[2:3], v[19:20], v[21:22]
	v_fma_f64 v[4:5], -v[4:5], v[23:24], v[17:18]
	s_delay_alu instid0(VALU_DEP_2) | instskip(SKIP_1) | instid1(VALU_DEP_2)
	v_div_fmas_f64 v[2:3], v[2:3], v[6:7], v[19:20]
	s_mov_b32 vcc_lo, s2
	v_div_fmas_f64 v[6:7], v[4:5], v[9:10], v[23:24]
	s_delay_alu instid0(VALU_DEP_2) | instskip(NEXT) | instid1(VALU_DEP_2)
	v_div_fixup_f64 v[4:5], v[2:3], v[0:1], 1.0
	v_div_fixup_f64 v[6:7], v[6:7], v[11:12], 0
.LBB169_373:
	s_or_b32 exec_lo, exec_lo, s22
                                        ; implicit-def: $vgpr2_vgpr3
                                        ; implicit-def: $vgpr9_vgpr10
.LBB169_374:
	s_and_not1_saveexec_b32 s2, s3
	s_cbranch_execz .LBB169_376
; %bb.375:
	v_div_scale_f64 v[0:1], null, v[2:3], v[2:3], v[9:10]
	v_div_scale_f64 v[11:12], vcc_lo, v[9:10], v[2:3], v[9:10]
	s_delay_alu instid0(VALU_DEP_2) | instskip(SKIP_2) | instid1(VALU_DEP_1)
	v_rcp_f64_e32 v[4:5], v[0:1]
	s_waitcnt_depctr 0xfff
	v_fma_f64 v[6:7], -v[0:1], v[4:5], 1.0
	v_fma_f64 v[4:5], v[4:5], v[6:7], v[4:5]
	s_delay_alu instid0(VALU_DEP_1) | instskip(NEXT) | instid1(VALU_DEP_1)
	v_fma_f64 v[6:7], -v[0:1], v[4:5], 1.0
	v_fma_f64 v[4:5], v[4:5], v[6:7], v[4:5]
	s_delay_alu instid0(VALU_DEP_1) | instskip(NEXT) | instid1(VALU_DEP_1)
	v_mul_f64 v[6:7], v[11:12], v[4:5]
	v_fma_f64 v[0:1], -v[0:1], v[6:7], v[11:12]
	s_delay_alu instid0(VALU_DEP_1) | instskip(NEXT) | instid1(VALU_DEP_1)
	v_div_fmas_f64 v[0:1], v[0:1], v[4:5], v[6:7]
	v_div_fixup_f64 v[0:1], v[0:1], v[2:3], v[9:10]
	s_delay_alu instid0(VALU_DEP_1) | instskip(NEXT) | instid1(VALU_DEP_1)
	v_fma_f64 v[2:3], v[9:10], v[0:1], v[2:3]
	v_div_scale_f64 v[4:5], null, v[2:3], v[2:3], 1.0
	v_div_scale_f64 v[11:12], vcc_lo, 1.0, v[2:3], 1.0
	s_delay_alu instid0(VALU_DEP_2) | instskip(SKIP_2) | instid1(VALU_DEP_1)
	v_rcp_f64_e32 v[6:7], v[4:5]
	s_waitcnt_depctr 0xfff
	v_fma_f64 v[9:10], -v[4:5], v[6:7], 1.0
	v_fma_f64 v[6:7], v[6:7], v[9:10], v[6:7]
	s_delay_alu instid0(VALU_DEP_1) | instskip(NEXT) | instid1(VALU_DEP_1)
	v_fma_f64 v[9:10], -v[4:5], v[6:7], 1.0
	v_fma_f64 v[6:7], v[6:7], v[9:10], v[6:7]
	s_delay_alu instid0(VALU_DEP_1) | instskip(NEXT) | instid1(VALU_DEP_1)
	v_mul_f64 v[9:10], v[11:12], v[6:7]
	v_fma_f64 v[4:5], -v[4:5], v[9:10], v[11:12]
	s_delay_alu instid0(VALU_DEP_1) | instskip(SKIP_2) | instid1(VALU_DEP_3)
	v_div_fmas_f64 v[4:5], v[4:5], v[6:7], v[9:10]
	v_add_f64 v[6:7], v[0:1], 0
	v_fma_f64 v[0:1], v[0:1], 0, -1.0
	v_div_fixup_f64 v[2:3], v[4:5], v[2:3], 1.0
	s_delay_alu instid0(VALU_DEP_1) | instskip(NEXT) | instid1(VALU_DEP_3)
	v_mul_f64 v[4:5], v[6:7], v[2:3]
	v_mul_f64 v[6:7], v[0:1], v[2:3]
.LBB169_376:
	s_or_b32 exec_lo, exec_lo, s2
	v_and_b32_e32 v2, 0xff, v13
	v_add_co_u32 v0, s2, s4, v8
	s_delay_alu instid0(VALU_DEP_1) | instskip(NEXT) | instid1(VALU_DEP_3)
	v_add_co_ci_u32_e64 v1, null, s5, 0, s2
	v_cmp_gt_i16_e32 vcc_lo, 11, v2
	s_mov_b32 s3, 0
	s_mov_b32 s22, -1
	s_mov_b32 s2, s34
	s_cbranch_vccnz .LBB169_383
; %bb.377:
	v_cmp_lt_i16_e32 vcc_lo, 25, v2
	s_cbranch_vccz .LBB169_423
; %bb.378:
	v_cmp_lt_i16_e32 vcc_lo, 28, v2
	s_cbranch_vccz .LBB169_424
	;; [unrolled: 3-line block ×4, first 2 shown]
; %bb.381:
	v_cmp_eq_u16_e32 vcc_lo, 46, v2
	s_mov_b32 s22, 0
	s_mov_b32 s2, -1
	s_cbranch_vccz .LBB169_434
; %bb.382:
	v_cvt_f32_f64_e32 v3, v[6:7]
	v_cvt_f32_f64_e32 v8, v[4:5]
	s_mov_b32 s3, -1
	s_mov_b32 s2, 0
	s_delay_alu instid0(VALU_DEP_2) | instskip(NEXT) | instid1(VALU_DEP_2)
	v_bfe_u32 v9, v3, 16, 1
	v_bfe_u32 v10, v8, 16, 1
	v_cmp_o_f32_e32 vcc_lo, v3, v3
	s_delay_alu instid0(VALU_DEP_3) | instskip(NEXT) | instid1(VALU_DEP_3)
	v_add3_u32 v9, v3, v9, 0x7fff
	v_add3_u32 v10, v8, v10, 0x7fff
	s_delay_alu instid0(VALU_DEP_2) | instskip(NEXT) | instid1(VALU_DEP_2)
	v_and_b32_e32 v9, 0xffff0000, v9
	v_lshrrev_b32_e32 v10, 16, v10
	s_delay_alu instid0(VALU_DEP_2) | instskip(SKIP_1) | instid1(VALU_DEP_3)
	v_cndmask_b32_e32 v3, 0x7fc00000, v9, vcc_lo
	v_cmp_o_f32_e32 vcc_lo, v8, v8
	v_cndmask_b32_e32 v8, 0x7fc0, v10, vcc_lo
	s_delay_alu instid0(VALU_DEP_1)
	v_or_b32_e32 v3, v3, v8
	global_store_b32 v[0:1], v3, off
	s_branch .LBB169_434
.LBB169_383:
	s_and_b32 vcc_lo, exec_lo, s22
	s_cbranch_vccz .LBB169_503
; %bb.384:
	v_cmp_gt_i16_e32 vcc_lo, 5, v2
	s_mov_b32 s3, -1
	s_cbranch_vccnz .LBB169_405
; %bb.385:
	v_cmp_gt_i16_e32 vcc_lo, 8, v2
	s_cbranch_vccnz .LBB169_395
; %bb.386:
	v_cmp_gt_i16_e32 vcc_lo, 9, v2
	s_cbranch_vccnz .LBB169_392
; %bb.387:
	v_cmp_lt_i16_e32 vcc_lo, 9, v2
	s_cbranch_vccz .LBB169_389
; %bb.388:
	s_mov_b32 s3, 0
	global_store_b128 v[0:1], v[4:7], off
.LBB169_389:
	s_and_not1_b32 vcc_lo, exec_lo, s3
	s_cbranch_vccnz .LBB169_391
; %bb.390:
	v_cvt_f32_f64_e32 v8, v[4:5]
	v_cvt_f32_f64_e32 v9, v[6:7]
	global_store_b64 v[0:1], v[8:9], off
.LBB169_391:
	s_mov_b32 s3, 0
.LBB169_392:
	s_delay_alu instid0(SALU_CYCLE_1)
	s_and_not1_b32 vcc_lo, exec_lo, s3
	s_cbranch_vccnz .LBB169_394
; %bb.393:
	v_cvt_f32_f64_e32 v3, v[6:7]
	v_cvt_f32_f64_e32 v6, v[4:5]
	s_delay_alu instid0(VALU_DEP_2) | instskip(NEXT) | instid1(VALU_DEP_2)
	v_cvt_f16_f32_e32 v3, v3
	v_cvt_f16_f32_e32 v6, v6
	s_delay_alu instid0(VALU_DEP_2) | instskip(NEXT) | instid1(VALU_DEP_2)
	v_lshlrev_b32_e32 v3, 16, v3
	v_and_b32_e32 v6, 0xffff, v6
	s_delay_alu instid0(VALU_DEP_1)
	v_or_b32_e32 v3, v3, v6
	global_store_b32 v[0:1], v3, off
.LBB169_394:
	s_mov_b32 s3, 0
.LBB169_395:
	s_delay_alu instid0(SALU_CYCLE_1)
	s_and_not1_b32 vcc_lo, exec_lo, s3
	s_cbranch_vccnz .LBB169_404
; %bb.396:
	v_cmp_gt_i16_e32 vcc_lo, 6, v2
	s_mov_b32 s3, -1
	s_cbranch_vccnz .LBB169_402
; %bb.397:
	v_cmp_lt_i16_e32 vcc_lo, 6, v2
	s_cbranch_vccz .LBB169_399
; %bb.398:
	s_mov_b32 s3, 0
	global_store_b64 v[0:1], v[4:5], off
.LBB169_399:
	s_and_not1_b32 vcc_lo, exec_lo, s3
	s_cbranch_vccnz .LBB169_401
; %bb.400:
	v_cvt_f32_f64_e32 v3, v[4:5]
	global_store_b32 v[0:1], v3, off
.LBB169_401:
	s_mov_b32 s3, 0
.LBB169_402:
	s_delay_alu instid0(SALU_CYCLE_1)
	s_and_not1_b32 vcc_lo, exec_lo, s3
	s_cbranch_vccnz .LBB169_404
; %bb.403:
	v_cvt_f32_f64_e32 v3, v[4:5]
	s_delay_alu instid0(VALU_DEP_1)
	v_cvt_f16_f32_e32 v3, v3
	global_store_b16 v[0:1], v3, off
.LBB169_404:
	s_mov_b32 s3, 0
.LBB169_405:
	s_delay_alu instid0(SALU_CYCLE_1)
	s_and_not1_b32 vcc_lo, exec_lo, s3
	s_cbranch_vccnz .LBB169_421
; %bb.406:
	v_cmp_gt_i16_e32 vcc_lo, 2, v2
	s_mov_b32 s3, -1
	s_cbranch_vccnz .LBB169_416
; %bb.407:
	v_cmp_gt_i16_e32 vcc_lo, 3, v2
	s_cbranch_vccnz .LBB169_413
; %bb.408:
	v_cmp_lt_i16_e32 vcc_lo, 3, v2
	s_cbranch_vccz .LBB169_410
; %bb.409:
	v_trunc_f64_e32 v[6:7], v[4:5]
	s_mov_b32 s3, 0
	s_delay_alu instid0(VALU_DEP_1) | instskip(NEXT) | instid1(VALU_DEP_1)
	v_ldexp_f64 v[8:9], v[6:7], 0xffffffe0
	v_floor_f64_e32 v[8:9], v[8:9]
	s_delay_alu instid0(VALU_DEP_1) | instskip(SKIP_1) | instid1(VALU_DEP_2)
	v_fma_f64 v[6:7], 0xc1f00000, v[8:9], v[6:7]
	v_cvt_i32_f64_e32 v8, v[8:9]
	v_cvt_u32_f64_e32 v7, v[6:7]
	global_store_b64 v[0:1], v[7:8], off
.LBB169_410:
	s_and_not1_b32 vcc_lo, exec_lo, s3
	s_cbranch_vccnz .LBB169_412
; %bb.411:
	v_cvt_i32_f64_e32 v3, v[4:5]
	global_store_b32 v[0:1], v3, off
.LBB169_412:
	s_mov_b32 s3, 0
.LBB169_413:
	s_delay_alu instid0(SALU_CYCLE_1)
	s_and_not1_b32 vcc_lo, exec_lo, s3
	s_cbranch_vccnz .LBB169_415
; %bb.414:
	v_cvt_i32_f64_e32 v3, v[4:5]
	global_store_b16 v[0:1], v3, off
.LBB169_415:
	s_mov_b32 s3, 0
.LBB169_416:
	s_delay_alu instid0(SALU_CYCLE_1)
	s_and_not1_b32 vcc_lo, exec_lo, s3
	s_cbranch_vccnz .LBB169_421
; %bb.417:
	v_cmp_lt_i16_e32 vcc_lo, 0, v2
	s_mov_b32 s3, -1
	s_cbranch_vccz .LBB169_419
; %bb.418:
	v_cvt_i32_f64_e32 v2, v[4:5]
	s_mov_b32 s3, 0
	global_store_b8 v[0:1], v2, off
.LBB169_419:
	s_and_not1_b32 vcc_lo, exec_lo, s3
	s_cbranch_vccnz .LBB169_421
; %bb.420:
	v_trunc_f64_e32 v[2:3], v[4:5]
	s_delay_alu instid0(VALU_DEP_1) | instskip(NEXT) | instid1(VALU_DEP_1)
	v_ldexp_f64 v[4:5], v[2:3], 0xffffffe0
	v_floor_f64_e32 v[4:5], v[4:5]
	s_delay_alu instid0(VALU_DEP_1) | instskip(NEXT) | instid1(VALU_DEP_1)
	v_fma_f64 v[2:3], 0xc1f00000, v[4:5], v[2:3]
	v_cvt_u32_f64_e32 v2, v[2:3]
	global_store_b8 v[0:1], v2, off
.LBB169_421:
	s_branch .LBB169_504
.LBB169_422:
	s_mov_b32 s3, 0
	s_branch .LBB169_621
.LBB169_423:
	s_mov_b32 s2, s34
	s_branch .LBB169_461
.LBB169_424:
	s_mov_b32 s2, s34
	s_branch .LBB169_444
.LBB169_425:
	s_mov_b32 s2, s34
	s_branch .LBB169_440
.LBB169_426:
	s_or_saveexec_b32 s23, s23
                                        ; implicit-def: $sgpr34
	s_delay_alu instid0(SALU_CYCLE_1)
	s_xor_b32 exec_lo, exec_lo, s23
	s_cbranch_execz .LBB169_109
.LBB169_427:
	v_add_f32_e64 v8, 0x42800000, |v3|
	s_and_not1_b32 s22, s22, exec_lo
	s_mov_b32 s34, 0
	s_delay_alu instid0(VALU_DEP_1) | instskip(NEXT) | instid1(VALU_DEP_1)
	v_and_b32_e32 v8, 0xff, v8
	v_cmp_ne_u32_e32 vcc_lo, 0, v8
	s_and_b32 s38, vcc_lo, exec_lo
	s_delay_alu instid0(SALU_CYCLE_1)
	s_or_b32 s22, s22, s38
	s_or_b32 exec_lo, exec_lo, s23
	v_mov_b32_e32 v9, s34
	s_and_saveexec_b32 s23, s22
	s_cbranch_execnz .LBB169_110
	s_branch .LBB169_111
.LBB169_428:
	s_mov_b32 s37, -1
.LBB169_429:
                                        ; implicit-def: $vgpr2_vgpr3
.LBB169_430:
	s_and_b32 vcc_lo, exec_lo, s2
	s_cbranch_vccz .LBB169_507
; %bb.431:
	v_cmp_eq_u16_e32 vcc_lo, 44, v14
	s_cbranch_vccz .LBB169_505
; %bb.432:
	global_load_u8 v2, v[4:5], off
	s_mov_b32 s37, 0
	s_mov_b32 s22, -1
	s_mov_b64 s[2:3], 0
	s_waitcnt vmcnt(0)
	v_cmp_ne_u32_e32 vcc_lo, 0xff, v2
	v_lshlrev_b32_e32 v0, 23, v2
	s_delay_alu instid0(VALU_DEP_1) | instskip(NEXT) | instid1(VALU_DEP_1)
	v_cvt_f64_f32_e32 v[0:1], v0
	v_cndmask_b32_e32 v1, 0x7ff80000, v1, vcc_lo
	s_delay_alu instid0(VALU_DEP_2) | instskip(SKIP_1) | instid1(VALU_DEP_3)
	v_cndmask_b32_e32 v0, 0x20000000, v0, vcc_lo
	v_cmp_ne_u32_e32 vcc_lo, 0, v2
	v_cndmask_b32_e32 v1, 0x38000000, v1, vcc_lo
	s_delay_alu instid0(VALU_DEP_3)
	v_cndmask_b32_e32 v0, 0, v0, vcc_lo
	s_branch .LBB169_506
.LBB169_433:
	s_mov_b32 s2, s34
.LBB169_434:
	s_and_b32 vcc_lo, exec_lo, s22
	s_cbranch_vccz .LBB169_439
; %bb.435:
	v_cmp_eq_u16_e32 vcc_lo, 44, v2
	s_mov_b32 s2, -1
	s_cbranch_vccz .LBB169_439
; %bb.436:
	v_cvt_f32_f64_e32 v3, v[4:5]
	v_mov_b32_e32 v8, 0xff
	s_mov_b32 s3, exec_lo
	s_delay_alu instid0(VALU_DEP_2) | instskip(NEXT) | instid1(VALU_DEP_1)
	v_bfe_u32 v9, v3, 23, 8
	v_cmpx_ne_u32_e32 0xff, v9
; %bb.437:
	v_and_b32_e32 v8, 0x400000, v3
	v_and_or_b32 v9, 0x3fffff, v3, v9
	v_lshrrev_b32_e32 v3, 23, v3
	s_delay_alu instid0(VALU_DEP_3) | instskip(NEXT) | instid1(VALU_DEP_3)
	v_cmp_ne_u32_e32 vcc_lo, 0, v8
	v_cmp_ne_u32_e64 s2, 0, v9
	s_delay_alu instid0(VALU_DEP_1) | instskip(NEXT) | instid1(SALU_CYCLE_1)
	s_and_b32 s2, vcc_lo, s2
	v_cndmask_b32_e64 v8, 0, 1, s2
	s_delay_alu instid0(VALU_DEP_1)
	v_add_nc_u32_e32 v8, v3, v8
; %bb.438:
	s_or_b32 exec_lo, exec_lo, s3
	s_mov_b32 s3, -1
	s_mov_b32 s2, 0
	global_store_b8 v[0:1], v8, off
.LBB169_439:
	s_mov_b32 s22, 0
.LBB169_440:
	s_delay_alu instid0(SALU_CYCLE_1)
	s_and_b32 vcc_lo, exec_lo, s22
	s_cbranch_vccz .LBB169_443
; %bb.441:
	v_cmp_eq_u16_e32 vcc_lo, 29, v2
	s_mov_b32 s2, -1
	s_cbranch_vccz .LBB169_443
; %bb.442:
	v_trunc_f64_e32 v[8:9], v[4:5]
	s_mov_b32 s3, -1
	s_mov_b32 s2, 0
	s_mov_b32 s22, 0
	s_delay_alu instid0(VALU_DEP_1) | instskip(NEXT) | instid1(VALU_DEP_1)
	v_ldexp_f64 v[10:11], v[8:9], 0xffffffe0
	v_floor_f64_e32 v[10:11], v[10:11]
	s_delay_alu instid0(VALU_DEP_1) | instskip(SKIP_1) | instid1(VALU_DEP_2)
	v_fma_f64 v[8:9], 0xc1f00000, v[10:11], v[8:9]
	v_cvt_u32_f64_e32 v10, v[10:11]
	v_cvt_u32_f64_e32 v9, v[8:9]
	global_store_b64 v[0:1], v[9:10], off
	s_branch .LBB169_444
.LBB169_443:
	s_mov_b32 s22, 0
.LBB169_444:
	s_delay_alu instid0(SALU_CYCLE_1)
	s_and_b32 vcc_lo, exec_lo, s22
	s_cbranch_vccz .LBB169_460
; %bb.445:
	v_cmp_gt_i16_e32 vcc_lo, 27, v2
	s_mov_b32 s3, -1
	s_cbranch_vccnz .LBB169_451
; %bb.446:
	v_cmp_lt_i16_e32 vcc_lo, 27, v2
	s_cbranch_vccz .LBB169_448
; %bb.447:
	v_cvt_u32_f64_e32 v3, v[4:5]
	s_mov_b32 s3, 0
	global_store_b32 v[0:1], v3, off
.LBB169_448:
	s_and_not1_b32 vcc_lo, exec_lo, s3
	s_cbranch_vccnz .LBB169_450
; %bb.449:
	v_cvt_u32_f64_e32 v3, v[4:5]
	global_store_b16 v[0:1], v3, off
.LBB169_450:
	s_mov_b32 s3, 0
.LBB169_451:
	s_delay_alu instid0(SALU_CYCLE_1)
	s_and_not1_b32 vcc_lo, exec_lo, s3
	s_cbranch_vccnz .LBB169_459
; %bb.452:
	v_cvt_f32_f64_e32 v3, v[4:5]
	v_mov_b32_e32 v9, 0x80
	s_mov_b32 s3, exec_lo
	s_delay_alu instid0(VALU_DEP_2) | instskip(NEXT) | instid1(VALU_DEP_1)
	v_and_b32_e32 v8, 0x7fffffff, v3
	v_cmpx_gt_u32_e32 0x43800000, v8
	s_cbranch_execz .LBB169_458
; %bb.453:
	v_cmp_lt_u32_e32 vcc_lo, 0x3bffffff, v8
	s_mov_b32 s22, 0
                                        ; implicit-def: $vgpr8
	s_and_saveexec_b32 s23, vcc_lo
	s_delay_alu instid0(SALU_CYCLE_1)
	s_xor_b32 s23, exec_lo, s23
	s_cbranch_execz .LBB169_649
; %bb.454:
	v_bfe_u32 v8, v3, 20, 1
	s_mov_b32 s22, exec_lo
	s_delay_alu instid0(VALU_DEP_1) | instskip(NEXT) | instid1(VALU_DEP_1)
	v_add3_u32 v8, v3, v8, 0x487ffff
	v_lshrrev_b32_e32 v8, 20, v8
	s_or_saveexec_b32 s23, s23
                                        ; implicit-def: $sgpr38
	s_delay_alu instid0(SALU_CYCLE_1)
	s_xor_b32 exec_lo, exec_lo, s23
	s_cbranch_execnz .LBB169_650
.LBB169_455:
	s_or_b32 exec_lo, exec_lo, s23
	v_mov_b32_e32 v9, s38
	s_and_saveexec_b32 s23, s22
.LBB169_456:
	v_lshrrev_b32_e32 v3, 24, v3
	s_delay_alu instid0(VALU_DEP_1)
	v_and_or_b32 v9, 0x80, v3, v8
.LBB169_457:
	s_or_b32 exec_lo, exec_lo, s23
.LBB169_458:
	s_delay_alu instid0(SALU_CYCLE_1)
	s_or_b32 exec_lo, exec_lo, s3
	global_store_b8 v[0:1], v9, off
.LBB169_459:
	s_mov_b32 s3, -1
.LBB169_460:
	s_mov_b32 s22, 0
.LBB169_461:
	s_delay_alu instid0(SALU_CYCLE_1)
	s_and_b32 vcc_lo, exec_lo, s22
	s_cbranch_vccz .LBB169_502
; %bb.462:
	v_cmp_lt_i16_e32 vcc_lo, 22, v2
	s_mov_b32 s22, -1
	s_cbranch_vccz .LBB169_494
; %bb.463:
	v_cmp_gt_i16_e32 vcc_lo, 24, v2
	s_mov_b32 s3, -1
	s_cbranch_vccnz .LBB169_483
; %bb.464:
	v_cmp_lt_i16_e32 vcc_lo, 24, v2
	s_cbranch_vccz .LBB169_472
; %bb.465:
	v_cvt_f32_f64_e32 v3, v[4:5]
	v_mov_b32_e32 v9, 0x80
	s_mov_b32 s3, exec_lo
	s_delay_alu instid0(VALU_DEP_2) | instskip(NEXT) | instid1(VALU_DEP_1)
	v_and_b32_e32 v8, 0x7fffffff, v3
	v_cmpx_gt_u32_e32 0x47800000, v8
	s_cbranch_execz .LBB169_471
; %bb.466:
	v_cmp_lt_u32_e32 vcc_lo, 0x37ffffff, v8
	s_mov_b32 s22, 0
                                        ; implicit-def: $vgpr8
	s_and_saveexec_b32 s23, vcc_lo
	s_delay_alu instid0(SALU_CYCLE_1)
	s_xor_b32 s23, exec_lo, s23
	s_cbranch_execz .LBB169_652
; %bb.467:
	v_bfe_u32 v8, v3, 21, 1
	s_mov_b32 s22, exec_lo
	s_delay_alu instid0(VALU_DEP_1) | instskip(NEXT) | instid1(VALU_DEP_1)
	v_add3_u32 v8, v3, v8, 0x88fffff
	v_lshrrev_b32_e32 v8, 21, v8
	s_or_saveexec_b32 s23, s23
                                        ; implicit-def: $sgpr38
	s_delay_alu instid0(SALU_CYCLE_1)
	s_xor_b32 exec_lo, exec_lo, s23
	s_cbranch_execnz .LBB169_653
.LBB169_468:
	s_or_b32 exec_lo, exec_lo, s23
	v_mov_b32_e32 v9, s38
	s_and_saveexec_b32 s23, s22
.LBB169_469:
	v_lshrrev_b32_e32 v3, 24, v3
	s_delay_alu instid0(VALU_DEP_1)
	v_and_or_b32 v9, 0x80, v3, v8
.LBB169_470:
	s_or_b32 exec_lo, exec_lo, s23
.LBB169_471:
	s_delay_alu instid0(SALU_CYCLE_1)
	s_or_b32 exec_lo, exec_lo, s3
	s_mov_b32 s3, 0
	global_store_b8 v[0:1], v9, off
.LBB169_472:
	s_and_b32 vcc_lo, exec_lo, s3
	s_cbranch_vccz .LBB169_482
; %bb.473:
	v_cvt_f32_f64_e32 v3, v[4:5]
	s_mov_b32 s3, exec_lo
                                        ; implicit-def: $vgpr8
	s_delay_alu instid0(VALU_DEP_1) | instskip(NEXT) | instid1(VALU_DEP_1)
	v_and_b32_e32 v9, 0x7fffffff, v3
	v_cmpx_gt_u32_e32 0x43f00000, v9
	s_xor_b32 s3, exec_lo, s3
	s_cbranch_execz .LBB169_479
; %bb.474:
	s_mov_b32 s22, exec_lo
                                        ; implicit-def: $vgpr8
	v_cmpx_lt_u32_e32 0x3c7fffff, v9
	s_xor_b32 s22, exec_lo, s22
; %bb.475:
	v_bfe_u32 v8, v3, 20, 1
	s_delay_alu instid0(VALU_DEP_1) | instskip(NEXT) | instid1(VALU_DEP_1)
	v_add3_u32 v8, v3, v8, 0x407ffff
	v_and_b32_e32 v9, 0xff00000, v8
	v_lshrrev_b32_e32 v8, 20, v8
	s_delay_alu instid0(VALU_DEP_2) | instskip(NEXT) | instid1(VALU_DEP_2)
	v_cmp_ne_u32_e32 vcc_lo, 0x7f00000, v9
	v_cndmask_b32_e32 v8, 0x7e, v8, vcc_lo
; %bb.476:
	s_and_not1_saveexec_b32 s22, s22
; %bb.477:
	v_add_f32_e64 v8, 0x46800000, |v3|
; %bb.478:
	s_or_b32 exec_lo, exec_lo, s22
                                        ; implicit-def: $vgpr9
.LBB169_479:
	s_and_not1_saveexec_b32 s3, s3
; %bb.480:
	v_mov_b32_e32 v8, 0x7f
	v_cmp_lt_u32_e32 vcc_lo, 0x7f800000, v9
	s_delay_alu instid0(VALU_DEP_2)
	v_cndmask_b32_e32 v8, 0x7e, v8, vcc_lo
; %bb.481:
	s_or_b32 exec_lo, exec_lo, s3
	v_lshrrev_b32_e32 v3, 24, v3
	s_delay_alu instid0(VALU_DEP_1)
	v_and_or_b32 v3, 0x80, v3, v8
	global_store_b8 v[0:1], v3, off
.LBB169_482:
	s_mov_b32 s3, 0
.LBB169_483:
	s_delay_alu instid0(SALU_CYCLE_1)
	s_and_not1_b32 vcc_lo, exec_lo, s3
	s_cbranch_vccnz .LBB169_493
; %bb.484:
	v_cvt_f32_f64_e32 v3, v[4:5]
	s_mov_b32 s3, exec_lo
                                        ; implicit-def: $vgpr8
	s_delay_alu instid0(VALU_DEP_1) | instskip(NEXT) | instid1(VALU_DEP_1)
	v_and_b32_e32 v9, 0x7fffffff, v3
	v_cmpx_gt_u32_e32 0x47800000, v9
	s_xor_b32 s3, exec_lo, s3
	s_cbranch_execz .LBB169_490
; %bb.485:
	s_mov_b32 s22, exec_lo
                                        ; implicit-def: $vgpr8
	v_cmpx_lt_u32_e32 0x387fffff, v9
	s_xor_b32 s22, exec_lo, s22
; %bb.486:
	v_bfe_u32 v8, v3, 21, 1
	s_delay_alu instid0(VALU_DEP_1) | instskip(NEXT) | instid1(VALU_DEP_1)
	v_add3_u32 v8, v3, v8, 0x80fffff
	v_lshrrev_b32_e32 v8, 21, v8
; %bb.487:
	s_and_not1_saveexec_b32 s22, s22
; %bb.488:
	v_add_f32_e64 v8, 0x43000000, |v3|
; %bb.489:
	s_or_b32 exec_lo, exec_lo, s22
                                        ; implicit-def: $vgpr9
.LBB169_490:
	s_and_not1_saveexec_b32 s3, s3
; %bb.491:
	v_mov_b32_e32 v8, 0x7f
	v_cmp_lt_u32_e32 vcc_lo, 0x7f800000, v9
	s_delay_alu instid0(VALU_DEP_2)
	v_cndmask_b32_e32 v8, 0x7c, v8, vcc_lo
; %bb.492:
	s_or_b32 exec_lo, exec_lo, s3
	v_lshrrev_b32_e32 v3, 24, v3
	s_delay_alu instid0(VALU_DEP_1)
	v_and_or_b32 v3, 0x80, v3, v8
	global_store_b8 v[0:1], v3, off
.LBB169_493:
	s_mov_b32 s22, 0
	s_mov_b32 s3, -1
.LBB169_494:
	s_and_not1_b32 vcc_lo, exec_lo, s22
	s_cbranch_vccnz .LBB169_502
; %bb.495:
	v_cmp_lt_i16_e32 vcc_lo, 14, v2
	s_mov_b32 s22, -1
	s_cbranch_vccz .LBB169_499
; %bb.496:
	v_cmp_eq_u16_e32 vcc_lo, 15, v2
	s_mov_b32 s2, -1
	s_cbranch_vccz .LBB169_498
; %bb.497:
	v_cvt_f32_f64_e32 v3, v[4:5]
	s_mov_b32 s3, -1
	s_mov_b32 s2, 0
	s_delay_alu instid0(VALU_DEP_1) | instskip(SKIP_1) | instid1(VALU_DEP_2)
	v_bfe_u32 v8, v3, 16, 1
	v_cmp_o_f32_e32 vcc_lo, v3, v3
	v_add3_u32 v8, v3, v8, 0x7fff
	s_delay_alu instid0(VALU_DEP_1) | instskip(NEXT) | instid1(VALU_DEP_1)
	v_lshrrev_b32_e32 v8, 16, v8
	v_cndmask_b32_e32 v3, 0x7fc0, v8, vcc_lo
	global_store_b16 v[0:1], v3, off
.LBB169_498:
	s_mov_b32 s22, 0
.LBB169_499:
	s_delay_alu instid0(SALU_CYCLE_1)
	s_and_b32 vcc_lo, exec_lo, s22
	s_cbranch_vccz .LBB169_502
; %bb.500:
	v_cmp_eq_u16_e32 vcc_lo, 11, v2
	s_mov_b32 s2, -1
	s_cbranch_vccz .LBB169_502
; %bb.501:
	v_cmp_neq_f64_e32 vcc_lo, 0, v[4:5]
	v_cmp_neq_f64_e64 s2, 0, v[6:7]
	s_mov_b32 s3, -1
	s_delay_alu instid0(VALU_DEP_1) | instskip(NEXT) | instid1(SALU_CYCLE_1)
	s_or_b32 s2, vcc_lo, s2
	v_cndmask_b32_e64 v3, 0, 1, s2
	s_mov_b32 s2, 0
	global_store_b8 v[0:1], v3, off
.LBB169_502:
.LBB169_503:
	s_and_not1_b32 vcc_lo, exec_lo, s3
	s_cbranch_vccnz .LBB169_422
.LBB169_504:
	v_add_nc_u32_e32 v16, 0x80, v16
	s_mov_b32 s3, -1
	s_branch .LBB169_622
.LBB169_505:
	s_mov_b32 s37, -1
                                        ; implicit-def: $sgpr2_sgpr3
                                        ; implicit-def: $vgpr0_vgpr1
.LBB169_506:
	v_dual_mov_b32 v2, s2 :: v_dual_mov_b32 v3, s3
.LBB169_507:
	s_mov_b32 s2, 0
.LBB169_508:
	s_delay_alu instid0(SALU_CYCLE_1)
	s_and_b32 vcc_lo, exec_lo, s2
	s_cbranch_vccz .LBB169_513
; %bb.509:
	v_cmp_eq_u16_e32 vcc_lo, 29, v14
	s_cbranch_vccz .LBB169_511
; %bb.510:
	global_load_b64 v[0:1], v[4:5], off
	s_mov_b32 s22, -1
	s_mov_b32 s37, 0
	s_mov_b64 s[2:3], 0
	s_waitcnt vmcnt(0)
	v_cvt_f64_u32_e32 v[1:2], v1
	v_cvt_f64_u32_e32 v[6:7], v0
	s_delay_alu instid0(VALU_DEP_2) | instskip(NEXT) | instid1(VALU_DEP_1)
	v_ldexp_f64 v[1:2], v[1:2], 32
	v_add_f64 v[0:1], v[1:2], v[6:7]
	s_branch .LBB169_512
.LBB169_511:
	s_mov_b32 s37, -1
                                        ; implicit-def: $sgpr2_sgpr3
                                        ; implicit-def: $vgpr0_vgpr1
.LBB169_512:
	v_dual_mov_b32 v2, s2 :: v_dual_mov_b32 v3, s3
.LBB169_513:
	s_mov_b32 s2, 0
.LBB169_514:
	s_delay_alu instid0(SALU_CYCLE_1)
	s_and_b32 vcc_lo, exec_lo, s2
	s_cbranch_vccz .LBB169_534
; %bb.515:
	v_cmp_gt_i16_e32 vcc_lo, 27, v14
	s_cbranch_vccnz .LBB169_518
; %bb.516:
	v_cmp_lt_i16_e32 vcc_lo, 27, v14
	s_cbranch_vccz .LBB169_519
; %bb.517:
	global_load_b32 v0, v[4:5], off
	s_mov_b32 s22, 0
	s_mov_b64 s[2:3], 0
	s_waitcnt vmcnt(0)
	v_cvt_f64_u32_e32 v[0:1], v0
	s_branch .LBB169_520
.LBB169_518:
	s_mov_b32 s22, -1
                                        ; implicit-def: $sgpr2_sgpr3
                                        ; implicit-def: $vgpr0_vgpr1
	s_branch .LBB169_523
.LBB169_519:
	s_mov_b32 s22, -1
                                        ; implicit-def: $sgpr2_sgpr3
                                        ; implicit-def: $vgpr0_vgpr1
.LBB169_520:
	s_delay_alu instid0(SALU_CYCLE_1)
	s_and_not1_b32 vcc_lo, exec_lo, s22
	s_cbranch_vccnz .LBB169_522
; %bb.521:
	global_load_u16 v0, v[4:5], off
	s_mov_b64 s[2:3], 0
	s_waitcnt vmcnt(0)
	v_cvt_f64_u32_e32 v[0:1], v0
.LBB169_522:
	s_mov_b32 s22, 0
.LBB169_523:
	v_dual_mov_b32 v2, s2 :: v_dual_mov_b32 v3, s3
	s_and_not1_b32 vcc_lo, exec_lo, s22
	s_cbranch_vccnz .LBB169_533
; %bb.524:
	global_load_u8 v6, v[4:5], off
	s_mov_b32 s38, 0
	s_mov_b32 s40, exec_lo
                                        ; implicit-def: $sgpr2_sgpr3
                                        ; implicit-def: $sgpr22_sgpr23
	s_waitcnt vmcnt(0)
	v_cmpx_lt_i16_e32 0x7f, v6
	s_xor_b32 s40, exec_lo, s40
	s_cbranch_execz .LBB169_528
; %bb.525:
	s_mov_b32 s38, -1
	s_mov_b32 s41, exec_lo
                                        ; implicit-def: $sgpr2_sgpr3
                                        ; implicit-def: $sgpr22_sgpr23
	v_cmpx_eq_u16_e32 0x80, v6
; %bb.526:
	s_mov_b64 s[2:3], 0
	s_mov_b32 s23, 0x7ff80000
	s_brev_b32 s22, 4
	s_xor_b32 s38, exec_lo, -1
; %bb.527:
	s_or_b32 exec_lo, exec_lo, s41
	s_delay_alu instid0(SALU_CYCLE_1)
	s_and_b32 s38, s38, exec_lo
.LBB169_528:
	s_or_saveexec_b32 s40, s40
	v_dual_mov_b32 v2, s2 :: v_dual_mov_b32 v3, s3
	v_dual_mov_b32 v0, s22 :: v_dual_mov_b32 v1, s23
	s_xor_b32 exec_lo, exec_lo, s40
; %bb.529:
	v_mov_b32_e32 v2, 0
	v_mov_b32_e32 v3, 0
	v_cmp_ne_u16_e32 vcc_lo, 0, v6
	s_delay_alu instid0(VALU_DEP_3) | instskip(SKIP_1) | instid1(VALU_DEP_3)
	v_mov_b32_e32 v0, v2
	s_and_not1_b32 s2, s38, exec_lo
	v_mov_b32_e32 v1, v3
	s_and_b32 s3, vcc_lo, exec_lo
	s_delay_alu instid0(SALU_CYCLE_1)
	s_or_b32 s38, s2, s3
; %bb.530:
	s_or_b32 exec_lo, exec_lo, s40
	s_and_saveexec_b32 s2, s38
	s_cbranch_execz .LBB169_532
; %bb.531:
	v_and_b32_e32 v0, 0xffff, v6
	v_lshlrev_b32_e32 v6, 24, v6
	s_delay_alu instid0(VALU_DEP_2) | instskip(NEXT) | instid1(VALU_DEP_1)
	v_and_b32_e32 v1, 7, v0
	v_clz_i32_u32_e32 v2, v1
	s_delay_alu instid0(VALU_DEP_1) | instskip(NEXT) | instid1(VALU_DEP_1)
	v_min_u32_e32 v2, 32, v2
	v_subrev_nc_u32_e32 v3, 28, v2
	v_sub_nc_u32_e32 v2, 29, v2
	s_delay_alu instid0(VALU_DEP_2) | instskip(SKIP_1) | instid1(VALU_DEP_2)
	v_lshlrev_b32_e32 v3, v3, v0
	v_bfe_u32 v0, v0, 3, 4
	v_and_b32_e32 v3, 7, v3
	s_delay_alu instid0(VALU_DEP_2) | instskip(NEXT) | instid1(VALU_DEP_2)
	v_cmp_eq_u32_e32 vcc_lo, 0, v0
	v_dual_cndmask_b32 v0, v0, v2 :: v_dual_cndmask_b32 v1, v1, v3
	v_and_b32_e32 v2, 0x80000000, v6
	s_delay_alu instid0(VALU_DEP_2) | instskip(NEXT) | instid1(VALU_DEP_3)
	v_lshl_add_u32 v0, v0, 23, 0x3b800000
	v_lshlrev_b32_e32 v1, 20, v1
	s_delay_alu instid0(VALU_DEP_1) | instskip(SKIP_2) | instid1(VALU_DEP_3)
	v_or3_b32 v0, v2, v0, v1
	v_mov_b32_e32 v2, 0
	v_mov_b32_e32 v3, 0
	v_cvt_f64_f32_e32 v[0:1], v0
.LBB169_532:
	s_or_b32 exec_lo, exec_lo, s2
.LBB169_533:
	s_mov_b32 s22, -1
.LBB169_534:
	s_mov_b32 s2, 0
.LBB169_535:
	s_delay_alu instid0(SALU_CYCLE_1)
	s_and_b32 vcc_lo, exec_lo, s2
	s_cbranch_vccz .LBB169_569
; %bb.536:
	v_cmp_lt_i16_e32 vcc_lo, 22, v14
	s_cbranch_vccz .LBB169_548
; %bb.537:
	v_cmp_gt_i16_e32 vcc_lo, 24, v14
	s_cbranch_vccnz .LBB169_549
; %bb.538:
	v_cmp_lt_i16_e32 vcc_lo, 24, v14
	s_cbranch_vccz .LBB169_550
; %bb.539:
	global_load_u8 v6, v[4:5], off
	s_mov_b32 s38, 0
	s_mov_b32 s40, exec_lo
                                        ; implicit-def: $sgpr2_sgpr3
                                        ; implicit-def: $sgpr22_sgpr23
	s_waitcnt vmcnt(0)
	v_cmpx_lt_i16_e32 0x7f, v6
	s_xor_b32 s40, exec_lo, s40
	s_cbranch_execz .LBB169_543
; %bb.540:
	s_mov_b32 s38, -1
	s_mov_b32 s41, exec_lo
                                        ; implicit-def: $sgpr2_sgpr3
                                        ; implicit-def: $sgpr22_sgpr23
	v_cmpx_eq_u16_e32 0x80, v6
; %bb.541:
	s_mov_b64 s[2:3], 0
	s_mov_b32 s23, 0x7ff80000
	s_brev_b32 s22, 4
	s_xor_b32 s38, exec_lo, -1
; %bb.542:
	s_or_b32 exec_lo, exec_lo, s41
	s_delay_alu instid0(SALU_CYCLE_1)
	s_and_b32 s38, s38, exec_lo
.LBB169_543:
	s_or_saveexec_b32 s40, s40
	v_dual_mov_b32 v2, s2 :: v_dual_mov_b32 v3, s3
	v_dual_mov_b32 v0, s22 :: v_dual_mov_b32 v1, s23
	s_xor_b32 exec_lo, exec_lo, s40
; %bb.544:
	v_mov_b32_e32 v2, 0
	v_mov_b32_e32 v3, 0
	v_cmp_ne_u16_e32 vcc_lo, 0, v6
	s_delay_alu instid0(VALU_DEP_3) | instskip(SKIP_1) | instid1(VALU_DEP_3)
	v_mov_b32_e32 v0, v2
	s_and_not1_b32 s2, s38, exec_lo
	v_mov_b32_e32 v1, v3
	s_and_b32 s3, vcc_lo, exec_lo
	s_delay_alu instid0(SALU_CYCLE_1)
	s_or_b32 s38, s2, s3
; %bb.545:
	s_or_b32 exec_lo, exec_lo, s40
	s_and_saveexec_b32 s2, s38
	s_cbranch_execz .LBB169_547
; %bb.546:
	v_and_b32_e32 v0, 0xffff, v6
	v_lshlrev_b32_e32 v6, 24, v6
	s_delay_alu instid0(VALU_DEP_2) | instskip(NEXT) | instid1(VALU_DEP_1)
	v_and_b32_e32 v1, 3, v0
	v_clz_i32_u32_e32 v2, v1
	s_delay_alu instid0(VALU_DEP_1) | instskip(NEXT) | instid1(VALU_DEP_1)
	v_min_u32_e32 v2, 32, v2
	v_subrev_nc_u32_e32 v3, 29, v2
	v_sub_nc_u32_e32 v2, 30, v2
	s_delay_alu instid0(VALU_DEP_2) | instskip(SKIP_1) | instid1(VALU_DEP_2)
	v_lshlrev_b32_e32 v3, v3, v0
	v_bfe_u32 v0, v0, 2, 5
	v_and_b32_e32 v3, 3, v3
	s_delay_alu instid0(VALU_DEP_2) | instskip(NEXT) | instid1(VALU_DEP_2)
	v_cmp_eq_u32_e32 vcc_lo, 0, v0
	v_dual_cndmask_b32 v0, v0, v2 :: v_dual_cndmask_b32 v1, v1, v3
	v_and_b32_e32 v2, 0x80000000, v6
	s_delay_alu instid0(VALU_DEP_2) | instskip(NEXT) | instid1(VALU_DEP_3)
	v_lshl_add_u32 v0, v0, 23, 0x37800000
	v_lshlrev_b32_e32 v1, 21, v1
	s_delay_alu instid0(VALU_DEP_1) | instskip(SKIP_2) | instid1(VALU_DEP_3)
	v_or3_b32 v0, v2, v0, v1
	v_mov_b32_e32 v2, 0
	v_mov_b32_e32 v3, 0
	v_cvt_f64_f32_e32 v[0:1], v0
.LBB169_547:
	s_or_b32 exec_lo, exec_lo, s2
	s_mov_b32 s2, 0
	s_branch .LBB169_551
.LBB169_548:
	s_mov_b32 s2, -1
                                        ; implicit-def: $vgpr2_vgpr3
	s_branch .LBB169_557
.LBB169_549:
	s_mov_b32 s2, -1
                                        ; implicit-def: $vgpr2_vgpr3
	s_branch .LBB169_554
.LBB169_550:
	s_mov_b32 s2, -1
                                        ; implicit-def: $vgpr2_vgpr3
.LBB169_551:
	s_delay_alu instid0(SALU_CYCLE_1)
	s_and_b32 vcc_lo, exec_lo, s2
	s_cbranch_vccz .LBB169_553
; %bb.552:
	global_load_u8 v0, v[4:5], off
	s_waitcnt vmcnt(0)
	v_lshlrev_b32_e32 v0, 24, v0
	s_delay_alu instid0(VALU_DEP_1) | instskip(NEXT) | instid1(VALU_DEP_1)
	v_and_b32_e32 v1, 0x7f000000, v0
	v_clz_i32_u32_e32 v2, v1
	v_add_nc_u32_e32 v6, 0x1000000, v1
	v_cmp_ne_u32_e32 vcc_lo, 0, v1
	s_delay_alu instid0(VALU_DEP_3) | instskip(NEXT) | instid1(VALU_DEP_1)
	v_min_u32_e32 v2, 32, v2
	v_sub_nc_u32_e64 v2, v2, 4 clamp
	s_delay_alu instid0(VALU_DEP_1) | instskip(SKIP_1) | instid1(VALU_DEP_2)
	v_lshlrev_b32_e32 v3, v2, v1
	v_lshlrev_b32_e32 v2, 23, v2
	v_lshrrev_b32_e32 v3, 4, v3
	s_delay_alu instid0(VALU_DEP_1) | instskip(SKIP_1) | instid1(VALU_DEP_2)
	v_sub_nc_u32_e32 v2, v3, v2
	v_ashrrev_i32_e32 v3, 8, v6
	v_add_nc_u32_e32 v2, 0x3c000000, v2
	s_delay_alu instid0(VALU_DEP_1) | instskip(NEXT) | instid1(VALU_DEP_1)
	v_and_or_b32 v2, 0x7f800000, v3, v2
	v_dual_cndmask_b32 v1, 0, v2 :: v_dual_mov_b32 v2, 0
	v_mov_b32_e32 v3, 0
	s_delay_alu instid0(VALU_DEP_2) | instskip(NEXT) | instid1(VALU_DEP_1)
	v_and_or_b32 v0, 0x80000000, v0, v1
	v_cvt_f64_f32_e32 v[0:1], v0
.LBB169_553:
	s_mov_b32 s2, 0
.LBB169_554:
	s_delay_alu instid0(SALU_CYCLE_1)
	s_and_not1_b32 vcc_lo, exec_lo, s2
	s_cbranch_vccnz .LBB169_556
; %bb.555:
	global_load_u8 v0, v[4:5], off
	s_waitcnt vmcnt(0)
	v_lshlrev_b32_e32 v1, 25, v0
	v_lshlrev_b16 v0, 8, v0
	s_delay_alu instid0(VALU_DEP_2) | instskip(NEXT) | instid1(VALU_DEP_2)
	v_lshrrev_b32_e32 v2, 4, v1
	v_and_or_b32 v3, 0x7f00, v0, 0.5
	v_bfe_i32 v0, v0, 0, 16
	s_delay_alu instid0(VALU_DEP_3) | instskip(NEXT) | instid1(VALU_DEP_1)
	v_or_b32_e32 v2, 0x70000000, v2
	v_dual_add_f32 v3, -0.5, v3 :: v_dual_mul_f32 v2, 0x7800000, v2
	v_cmp_gt_u32_e32 vcc_lo, 0x8000000, v1
	s_delay_alu instid0(VALU_DEP_2) | instskip(SKIP_1) | instid1(VALU_DEP_2)
	v_dual_cndmask_b32 v1, v2, v3 :: v_dual_mov_b32 v2, 0
	v_mov_b32_e32 v3, 0
	v_and_or_b32 v0, 0x80000000, v0, v1
	s_delay_alu instid0(VALU_DEP_1)
	v_cvt_f64_f32_e32 v[0:1], v0
.LBB169_556:
	s_mov_b32 s2, 0
	s_mov_b32 s22, -1
.LBB169_557:
	s_and_not1_b32 vcc_lo, exec_lo, s2
	s_cbranch_vccnz .LBB169_569
; %bb.558:
	v_cmp_lt_i16_e32 vcc_lo, 14, v14
	s_cbranch_vccz .LBB169_561
; %bb.559:
	v_cmp_eq_u16_e32 vcc_lo, 15, v14
	s_cbranch_vccz .LBB169_562
; %bb.560:
	global_load_u16 v0, v[4:5], off
	s_mov_b32 s22, -1
	s_mov_b32 s37, 0
	s_mov_b64 s[2:3], 0
	s_waitcnt vmcnt(0)
	v_lshlrev_b32_e32 v0, 16, v0
	s_delay_alu instid0(VALU_DEP_1)
	v_cvt_f64_f32_e32 v[0:1], v0
	s_branch .LBB169_563
.LBB169_561:
	s_mov_b32 s23, -1
                                        ; implicit-def: $sgpr2_sgpr3
                                        ; implicit-def: $vgpr0_vgpr1
	s_branch .LBB169_564
.LBB169_562:
	s_mov_b32 s37, -1
                                        ; implicit-def: $sgpr2_sgpr3
                                        ; implicit-def: $vgpr0_vgpr1
.LBB169_563:
	s_mov_b32 s23, 0
.LBB169_564:
	s_delay_alu instid0(SALU_CYCLE_1)
	s_and_b32 vcc_lo, exec_lo, s23
	s_cbranch_vccz .LBB169_568
; %bb.565:
	v_cmp_eq_u16_e32 vcc_lo, 11, v14
	s_cbranch_vccz .LBB169_567
; %bb.566:
	global_load_u8 v0, v[4:5], off
	s_mov_b32 s37, 0
	s_mov_b32 s22, -1
	s_mov_b64 s[2:3], 0
	s_waitcnt vmcnt(0)
	v_cmp_ne_u16_e32 vcc_lo, 0, v0
	v_mov_b32_e32 v0, 0
	v_cndmask_b32_e64 v1, 0, 0x3ff00000, vcc_lo
	s_branch .LBB169_568
.LBB169_567:
	s_mov_b32 s37, -1
                                        ; implicit-def: $sgpr2_sgpr3
                                        ; implicit-def: $vgpr0_vgpr1
.LBB169_568:
	v_dual_mov_b32 v2, s2 :: v_dual_mov_b32 v3, s3
.LBB169_569:
	s_branch .LBB169_331
.LBB169_570:
	v_cmp_gt_i16_e32 vcc_lo, 5, v14
	s_cbranch_vccnz .LBB169_575
; %bb.571:
	v_cmp_gt_i16_e32 vcc_lo, 8, v14
	s_cbranch_vccnz .LBB169_576
; %bb.572:
	;; [unrolled: 3-line block ×3, first 2 shown]
	v_cmp_lt_i16_e32 vcc_lo, 9, v14
	s_cbranch_vccz .LBB169_578
; %bb.574:
	global_load_b128 v[0:3], v[4:5], off
	s_mov_b32 s2, 0
	s_branch .LBB169_579
.LBB169_575:
	s_mov_b32 s2, -1
                                        ; implicit-def: $vgpr2_vgpr3
	s_branch .LBB169_598
.LBB169_576:
	s_mov_b32 s2, -1
                                        ; implicit-def: $vgpr2_vgpr3
	s_branch .LBB169_585
.LBB169_577:
	s_mov_b32 s2, -1
                                        ; implicit-def: $vgpr2_vgpr3
	s_branch .LBB169_582
.LBB169_578:
	s_mov_b32 s2, -1
                                        ; implicit-def: $vgpr2_vgpr3
.LBB169_579:
	s_delay_alu instid0(SALU_CYCLE_1)
	s_and_not1_b32 vcc_lo, exec_lo, s2
	s_cbranch_vccnz .LBB169_581
; %bb.580:
	global_load_b64 v[1:2], v[4:5], off
	s_waitcnt vmcnt(0)
	v_cvt_f64_f32_e32 v[0:1], v1
	v_cvt_f64_f32_e32 v[2:3], v2
.LBB169_581:
	s_mov_b32 s2, 0
.LBB169_582:
	s_delay_alu instid0(SALU_CYCLE_1)
	s_and_not1_b32 vcc_lo, exec_lo, s2
	s_cbranch_vccnz .LBB169_584
; %bb.583:
	global_load_b32 v0, v[4:5], off
	s_waitcnt vmcnt(0)
	v_lshrrev_b32_e32 v1, 16, v0
	v_cvt_f32_f16_e32 v0, v0
	s_delay_alu instid0(VALU_DEP_2) | instskip(NEXT) | instid1(VALU_DEP_2)
	v_cvt_f32_f16_e32 v2, v1
	v_cvt_f64_f32_e32 v[0:1], v0
	s_delay_alu instid0(VALU_DEP_2)
	v_cvt_f64_f32_e32 v[2:3], v2
.LBB169_584:
	s_mov_b32 s2, 0
.LBB169_585:
	s_delay_alu instid0(SALU_CYCLE_1)
	s_and_not1_b32 vcc_lo, exec_lo, s2
	s_cbranch_vccnz .LBB169_597
; %bb.586:
	v_cmp_gt_i16_e32 vcc_lo, 6, v14
	s_cbranch_vccnz .LBB169_589
; %bb.587:
	v_cmp_lt_i16_e32 vcc_lo, 6, v14
	s_cbranch_vccz .LBB169_590
; %bb.588:
	global_load_b64 v[0:1], v[4:5], off
	s_mov_b32 s22, 0
	s_mov_b64 s[2:3], 0
	s_branch .LBB169_591
.LBB169_589:
	s_mov_b32 s22, -1
                                        ; implicit-def: $sgpr2_sgpr3
                                        ; implicit-def: $vgpr0_vgpr1
	s_branch .LBB169_594
.LBB169_590:
	s_mov_b32 s22, -1
                                        ; implicit-def: $sgpr2_sgpr3
                                        ; implicit-def: $vgpr0_vgpr1
.LBB169_591:
	s_delay_alu instid0(SALU_CYCLE_1)
	s_and_not1_b32 vcc_lo, exec_lo, s22
	s_cbranch_vccnz .LBB169_593
; %bb.592:
	global_load_b32 v0, v[4:5], off
	s_mov_b64 s[2:3], 0
	s_waitcnt vmcnt(0)
	v_cvt_f64_f32_e32 v[0:1], v0
.LBB169_593:
	s_mov_b32 s22, 0
.LBB169_594:
	s_delay_alu instid0(SALU_CYCLE_1)
	s_and_not1_b32 vcc_lo, exec_lo, s22
	s_cbranch_vccnz .LBB169_596
; %bb.595:
	global_load_u16 v0, v[4:5], off
	s_mov_b64 s[2:3], 0
	s_waitcnt vmcnt(0)
	v_cvt_f32_f16_e32 v0, v0
	s_delay_alu instid0(VALU_DEP_1)
	v_cvt_f64_f32_e32 v[0:1], v0
.LBB169_596:
	s_waitcnt vmcnt(0)
	v_dual_mov_b32 v2, s2 :: v_dual_mov_b32 v3, s3
.LBB169_597:
	s_mov_b32 s2, 0
.LBB169_598:
	s_delay_alu instid0(SALU_CYCLE_1)
	s_and_not1_b32 vcc_lo, exec_lo, s2
	s_cbranch_vccnz .LBB169_619
; %bb.599:
	v_cmp_gt_i16_e32 vcc_lo, 2, v14
	s_cbranch_vccnz .LBB169_603
; %bb.600:
	v_cmp_gt_i16_e32 vcc_lo, 3, v14
	s_cbranch_vccnz .LBB169_604
; %bb.601:
	v_cmp_lt_i16_e32 vcc_lo, 3, v14
	s_cbranch_vccz .LBB169_605
; %bb.602:
	global_load_b64 v[0:1], v[4:5], off
	s_mov_b32 s22, 0
	s_mov_b64 s[2:3], 0
	s_waitcnt vmcnt(0)
	v_cvt_f64_i32_e32 v[1:2], v1
	v_cvt_f64_u32_e32 v[6:7], v0
	s_delay_alu instid0(VALU_DEP_2) | instskip(NEXT) | instid1(VALU_DEP_1)
	v_ldexp_f64 v[1:2], v[1:2], 32
	v_add_f64 v[0:1], v[1:2], v[6:7]
	s_branch .LBB169_606
.LBB169_603:
	s_mov_b32 s22, -1
                                        ; implicit-def: $sgpr2_sgpr3
                                        ; implicit-def: $vgpr0_vgpr1
	s_branch .LBB169_612
.LBB169_604:
	s_mov_b32 s22, -1
                                        ; implicit-def: $sgpr2_sgpr3
                                        ; implicit-def: $vgpr0_vgpr1
	s_branch .LBB169_609
.LBB169_605:
	s_mov_b32 s22, -1
                                        ; implicit-def: $sgpr2_sgpr3
                                        ; implicit-def: $vgpr0_vgpr1
.LBB169_606:
	s_delay_alu instid0(SALU_CYCLE_1)
	s_and_not1_b32 vcc_lo, exec_lo, s22
	s_cbranch_vccnz .LBB169_608
; %bb.607:
	global_load_b32 v0, v[4:5], off
	s_mov_b64 s[2:3], 0
	s_waitcnt vmcnt(0)
	v_cvt_f64_i32_e32 v[0:1], v0
.LBB169_608:
	s_mov_b32 s22, 0
.LBB169_609:
	s_delay_alu instid0(SALU_CYCLE_1)
	s_and_not1_b32 vcc_lo, exec_lo, s22
	s_cbranch_vccnz .LBB169_611
; %bb.610:
	global_load_i16 v0, v[4:5], off
	s_mov_b64 s[2:3], 0
	s_waitcnt vmcnt(0)
	v_cvt_f64_i32_e32 v[0:1], v0
.LBB169_611:
	s_mov_b32 s22, 0
.LBB169_612:
	s_delay_alu instid0(SALU_CYCLE_1)
	s_and_not1_b32 vcc_lo, exec_lo, s22
	s_cbranch_vccnz .LBB169_618
; %bb.613:
	v_cmp_lt_i16_e32 vcc_lo, 0, v14
	s_mov_b32 s22, 0
	s_cbranch_vccz .LBB169_615
; %bb.614:
	global_load_i8 v0, v[4:5], off
	s_mov_b64 s[2:3], 0
	s_waitcnt vmcnt(0)
	v_cvt_f64_i32_e32 v[0:1], v0
	s_branch .LBB169_616
.LBB169_615:
	s_mov_b32 s22, -1
                                        ; implicit-def: $sgpr2_sgpr3
                                        ; implicit-def: $vgpr0_vgpr1
.LBB169_616:
	s_delay_alu instid0(SALU_CYCLE_1)
	s_and_not1_b32 vcc_lo, exec_lo, s22
	s_cbranch_vccnz .LBB169_618
; %bb.617:
	global_load_u8 v0, v[4:5], off
	s_mov_b64 s[2:3], 0
	s_waitcnt vmcnt(0)
	v_cvt_f64_u32_e32 v[0:1], v0
.LBB169_618:
	s_waitcnt vmcnt(0)
	v_dual_mov_b32 v2, s2 :: v_dual_mov_b32 v3, s3
.LBB169_619:
	s_branch .LBB169_332
.LBB169_620:
	s_mov_b32 s3, 0
	s_mov_b32 s2, s34
.LBB169_621:
                                        ; implicit-def: $vgpr16
.LBB169_622:
	s_and_not1_b32 s22, s34, exec_lo
	s_and_b32 s2, s2, exec_lo
	s_and_not1_b32 s23, s35, exec_lo
	s_and_b32 s37, s37, exec_lo
	s_or_b32 s38, s22, s2
	s_or_b32 s37, s23, s37
	s_or_not1_b32 s22, s3, exec_lo
.LBB169_623:
	s_or_b32 exec_lo, exec_lo, s39
	s_mov_b32 s3, 0
	s_mov_b32 s2, 0
	;; [unrolled: 1-line block ×3, first 2 shown]
                                        ; implicit-def: $vgpr4_vgpr5
                                        ; implicit-def: $vgpr8
                                        ; implicit-def: $vgpr2_vgpr3
	s_and_saveexec_b32 s39, s22
	s_cbranch_execz .LBB169_1043
; %bb.624:
	s_mov_b32 s42, -1
	s_mov_b32 s22, s37
	s_mov_b32 s23, s38
	s_mov_b32 s40, exec_lo
	v_cmpx_gt_i32_e64 s30, v16
	s_cbranch_execz .LBB169_941
; %bb.625:
	s_and_not1_b32 vcc_lo, exec_lo, s27
	s_cbranch_vccnz .LBB169_630
; %bb.626:
	v_mov_b32_e32 v8, 0
	s_waitcnt vmcnt(0)
	v_mov_b32_e32 v0, 0
	s_and_not1_b32 vcc_lo, exec_lo, s33
	s_mov_b32 s41, 0
	s_cbranch_vccnz .LBB169_635
; %bb.627:
	v_mov_b32_e32 v8, 0
	s_add_i32 s43, s31, 1
	s_cmp_eq_u32 s25, 2
	s_mov_b32 s42, 0
	s_cbranch_scc1 .LBB169_631
; %bb.628:
	v_dual_mov_b32 v0, 0 :: v_dual_mov_b32 v1, v16
	v_mov_b32_e32 v8, 0
	s_and_b32 s42, s43, 28
	s_mov_b32 s44, 0
	s_mov_b64 s[2:3], s[20:21]
	s_mov_b64 s[22:23], s[16:17]
.LBB169_629:                            ; =>This Inner Loop Header: Depth=1
	s_clause 0x1
	s_load_b256 s[48:55], s[22:23], 0x4
	s_load_b128 s[64:67], s[22:23], 0x24
	s_load_b256 s[56:63], s[2:3], 0x0
	s_add_u32 s22, s22, 48
	s_addc_u32 s23, s23, 0
	s_add_i32 s44, s44, 4
	s_add_u32 s2, s2, 32
	s_addc_u32 s3, s3, 0
	s_cmp_eq_u32 s42, s44
	s_waitcnt lgkmcnt(0)
	v_mul_hi_u32 v2, s49, v1
	s_delay_alu instid0(VALU_DEP_1) | instskip(NEXT) | instid1(VALU_DEP_1)
	v_add_nc_u32_e32 v2, v1, v2
	v_lshrrev_b32_e32 v2, s50, v2
	s_delay_alu instid0(VALU_DEP_1) | instskip(SKIP_1) | instid1(VALU_DEP_2)
	v_mul_hi_u32 v3, s52, v2
	v_mul_lo_u32 v5, v2, s48
	v_add_nc_u32_e32 v3, v2, v3
	s_delay_alu instid0(VALU_DEP_2) | instskip(NEXT) | instid1(VALU_DEP_2)
	v_sub_nc_u32_e32 v1, v1, v5
	v_lshrrev_b32_e32 v3, s53, v3
	s_delay_alu instid0(VALU_DEP_2) | instskip(SKIP_1) | instid1(VALU_DEP_3)
	v_mul_lo_u32 v5, v1, s56
	v_mul_lo_u32 v7, v1, s57
	v_mul_hi_u32 v4, s55, v3
	s_delay_alu instid0(VALU_DEP_1) | instskip(NEXT) | instid1(VALU_DEP_1)
	v_add_nc_u32_e32 v4, v3, v4
	v_lshrrev_b32_e32 v4, s64, v4
	s_delay_alu instid0(VALU_DEP_1) | instskip(SKIP_1) | instid1(VALU_DEP_2)
	v_mul_hi_u32 v6, s66, v4
	v_mul_lo_u32 v9, v4, s54
	v_add_nc_u32_e32 v1, v4, v6
	v_mul_lo_u32 v6, v3, s51
	s_delay_alu instid0(VALU_DEP_3) | instskip(NEXT) | instid1(VALU_DEP_3)
	v_sub_nc_u32_e32 v3, v3, v9
	v_lshrrev_b32_e32 v1, s67, v1
	s_delay_alu instid0(VALU_DEP_2) | instskip(SKIP_2) | instid1(VALU_DEP_4)
	v_mul_lo_u32 v9, v3, s60
	v_mul_lo_u32 v3, v3, s61
	v_sub_nc_u32_e32 v2, v2, v6
	v_mul_lo_u32 v10, v1, s65
	s_delay_alu instid0(VALU_DEP_2) | instskip(SKIP_1) | instid1(VALU_DEP_3)
	v_mul_lo_u32 v6, v2, s58
	v_mul_lo_u32 v2, v2, s59
	v_sub_nc_u32_e32 v4, v4, v10
	s_delay_alu instid0(VALU_DEP_3) | instskip(NEXT) | instid1(VALU_DEP_2)
	v_add3_u32 v5, v5, v8, v6
	v_mul_lo_u32 v10, v4, s62
	v_mul_lo_u32 v4, v4, s63
	v_add3_u32 v0, v7, v0, v2
	s_delay_alu instid0(VALU_DEP_3) | instskip(NEXT) | instid1(VALU_DEP_2)
	v_add3_u32 v8, v9, v5, v10
	v_add3_u32 v0, v3, v0, v4
	s_cbranch_scc0 .LBB169_629
	s_branch .LBB169_632
.LBB169_630:
	s_mov_b32 s41, -1
                                        ; implicit-def: $vgpr8
                                        ; implicit-def: $vgpr0
	s_branch .LBB169_635
.LBB169_631:
	v_dual_mov_b32 v1, v16 :: v_dual_mov_b32 v0, 0
.LBB169_632:
	s_and_b32 s43, s43, 3
	s_delay_alu instid0(SALU_CYCLE_1)
	s_cmp_eq_u32 s43, 0
	s_cbranch_scc1 .LBB169_635
; %bb.633:
	s_lshl_b32 s2, s42, 3
	s_mul_i32 s22, s42, 12
	s_add_u32 s2, s2, s16
	s_addc_u32 s3, s17, 0
	s_add_u32 s2, s2, 0xc4
	s_addc_u32 s3, s3, 0
	;; [unrolled: 2-line block ×3, first 2 shown]
	.p2align	6
.LBB169_634:                            ; =>This Inner Loop Header: Depth=1
	s_clause 0x1
	s_load_b64 s[44:45], s[22:23], 0x4
	s_load_b32 s42, s[22:23], 0xc
	s_load_b64 s[46:47], s[2:3], 0x0
	s_add_u32 s22, s22, 12
	s_addc_u32 s23, s23, 0
	s_add_u32 s2, s2, 8
	s_addc_u32 s3, s3, 0
	s_add_i32 s43, s43, -1
	s_delay_alu instid0(SALU_CYCLE_1) | instskip(SKIP_2) | instid1(VALU_DEP_1)
	s_cmp_lg_u32 s43, 0
	s_waitcnt lgkmcnt(0)
	v_mul_hi_u32 v2, s45, v1
	v_add_nc_u32_e32 v2, v1, v2
	s_delay_alu instid0(VALU_DEP_1) | instskip(NEXT) | instid1(VALU_DEP_1)
	v_lshrrev_b32_e32 v5, s42, v2
	v_mul_lo_u32 v2, v5, s44
	s_delay_alu instid0(VALU_DEP_1) | instskip(NEXT) | instid1(VALU_DEP_1)
	v_sub_nc_u32_e32 v1, v1, v2
	v_mad_u64_u32 v[2:3], null, v1, s46, v[8:9]
	v_mad_u64_u32 v[3:4], null, v1, s47, v[0:1]
	s_delay_alu instid0(VALU_DEP_2) | instskip(NEXT) | instid1(VALU_DEP_2)
	v_dual_mov_b32 v1, v5 :: v_dual_mov_b32 v8, v2
	v_mov_b32_e32 v0, v3
	s_cbranch_scc1 .LBB169_634
.LBB169_635:
	s_and_not1_b32 vcc_lo, exec_lo, s41
	s_cbranch_vccnz .LBB169_638
; %bb.636:
	s_waitcnt vmcnt(0) lgkmcnt(0)
	v_mul_hi_u32 v0, s13, v16
	s_and_not1_b32 vcc_lo, exec_lo, s29
	s_delay_alu instid0(VALU_DEP_1) | instskip(NEXT) | instid1(VALU_DEP_1)
	v_add_nc_u32_e32 v0, v16, v0
	v_lshrrev_b32_e32 v1, s14, v0
	s_delay_alu instid0(VALU_DEP_1) | instskip(NEXT) | instid1(VALU_DEP_1)
	v_mul_lo_u32 v0, v1, s12
	v_sub_nc_u32_e32 v0, v16, v0
	s_delay_alu instid0(VALU_DEP_1)
	v_mul_lo_u32 v8, v0, s8
	v_mul_lo_u32 v0, v0, s9
	s_cbranch_vccnz .LBB169_638
; %bb.637:
	v_mul_hi_u32 v2, s18, v1
	s_delay_alu instid0(VALU_DEP_1) | instskip(NEXT) | instid1(VALU_DEP_1)
	v_add_nc_u32_e32 v2, v1, v2
	v_lshrrev_b32_e32 v2, s19, v2
	s_delay_alu instid0(VALU_DEP_1) | instskip(NEXT) | instid1(VALU_DEP_1)
	v_mul_lo_u32 v2, v2, s15
	v_sub_nc_u32_e32 v4, v1, v2
	s_delay_alu instid0(VALU_DEP_1) | instskip(NEXT) | instid1(VALU_DEP_1)
	v_mad_u64_u32 v[1:2], null, v4, s10, v[8:9]
	v_mad_u64_u32 v[2:3], null, v4, s11, v[0:1]
	v_mov_b32_e32 v8, v1
	s_delay_alu instid0(VALU_DEP_2)
	v_mov_b32_e32 v0, v2
.LBB169_638:
	v_cmp_gt_i16_e32 vcc_lo, 11, v14
	s_waitcnt vmcnt(0) lgkmcnt(0)
	s_delay_alu instid0(VALU_DEP_2) | instskip(NEXT) | instid1(VALU_DEP_1)
	v_add_co_u32 v4, s2, s6, v0
	v_add_co_ci_u32_e64 v5, null, s7, 0, s2
	s_mov_b32 s22, 0
	s_cbranch_vccnz .LBB169_645
; %bb.639:
	v_cmp_lt_i16_e32 vcc_lo, 25, v14
	s_cbranch_vccz .LBB169_646
; %bb.640:
	v_cmp_lt_i16_e32 vcc_lo, 28, v14
	s_cbranch_vccz .LBB169_647
	;; [unrolled: 3-line block ×4, first 2 shown]
; %bb.643:
	v_cmp_eq_u16_e32 vcc_lo, 46, v14
	s_mov_b32 s2, 0
	s_cbranch_vccz .LBB169_654
; %bb.644:
	global_load_b32 v0, v[4:5], off
	s_mov_b32 s22, -1
	s_mov_b32 s41, 0
	s_waitcnt vmcnt(0)
	v_lshlrev_b32_e32 v1, 16, v0
	v_and_b32_e32 v2, 0xffff0000, v0
	s_delay_alu instid0(VALU_DEP_2) | instskip(NEXT) | instid1(VALU_DEP_2)
	v_cvt_f64_f32_e32 v[0:1], v1
	v_cvt_f64_f32_e32 v[2:3], v2
	s_branch .LBB169_656
.LBB169_645:
	s_mov_b32 s2, -1
	s_mov_b32 s41, s37
                                        ; implicit-def: $vgpr2_vgpr3
	s_branch .LBB169_724
.LBB169_646:
	s_mov_b32 s2, -1
	s_mov_b32 s41, s37
                                        ; implicit-def: $vgpr2_vgpr3
	s_branch .LBB169_689
.LBB169_647:
	s_mov_b32 s2, -1
	s_mov_b32 s41, s37
                                        ; implicit-def: $vgpr2_vgpr3
	s_branch .LBB169_668
.LBB169_648:
	s_mov_b32 s2, -1
	s_mov_b32 s41, s37
                                        ; implicit-def: $vgpr2_vgpr3
	s_branch .LBB169_662
.LBB169_649:
	s_or_saveexec_b32 s23, s23
                                        ; implicit-def: $sgpr38
	s_delay_alu instid0(SALU_CYCLE_1)
	s_xor_b32 exec_lo, exec_lo, s23
	s_cbranch_execz .LBB169_455
.LBB169_650:
	v_add_f32_e64 v8, 0x46000000, |v3|
	s_and_not1_b32 s22, s22, exec_lo
	s_mov_b32 s38, 0
	s_delay_alu instid0(VALU_DEP_1) | instskip(NEXT) | instid1(VALU_DEP_1)
	v_and_b32_e32 v8, 0xff, v8
	v_cmp_ne_u32_e32 vcc_lo, 0, v8
	s_and_b32 s40, vcc_lo, exec_lo
	s_delay_alu instid0(SALU_CYCLE_1)
	s_or_b32 s22, s22, s40
	s_or_b32 exec_lo, exec_lo, s23
	v_mov_b32_e32 v9, s38
	s_and_saveexec_b32 s23, s22
	s_cbranch_execnz .LBB169_456
	s_branch .LBB169_457
.LBB169_651:
	s_mov_b32 s2, -1
	s_mov_b32 s41, s37
	s_branch .LBB169_655
.LBB169_652:
	s_or_saveexec_b32 s23, s23
                                        ; implicit-def: $sgpr38
	s_delay_alu instid0(SALU_CYCLE_1)
	s_xor_b32 exec_lo, exec_lo, s23
	s_cbranch_execz .LBB169_468
.LBB169_653:
	v_add_f32_e64 v8, 0x42800000, |v3|
	s_and_not1_b32 s22, s22, exec_lo
	s_mov_b32 s38, 0
	s_delay_alu instid0(VALU_DEP_1) | instskip(NEXT) | instid1(VALU_DEP_1)
	v_and_b32_e32 v8, 0xff, v8
	v_cmp_ne_u32_e32 vcc_lo, 0, v8
	s_and_b32 s40, vcc_lo, exec_lo
	s_delay_alu instid0(SALU_CYCLE_1)
	s_or_b32 s22, s22, s40
	s_or_b32 exec_lo, exec_lo, s23
	v_mov_b32_e32 v9, s38
	s_and_saveexec_b32 s23, s22
	s_cbranch_execnz .LBB169_469
	s_branch .LBB169_470
.LBB169_654:
	s_mov_b32 s41, -1
.LBB169_655:
                                        ; implicit-def: $vgpr2_vgpr3
.LBB169_656:
	s_and_b32 vcc_lo, exec_lo, s2
	s_cbranch_vccz .LBB169_661
; %bb.657:
	v_cmp_eq_u16_e32 vcc_lo, 44, v14
	s_cbranch_vccz .LBB169_659
; %bb.658:
	global_load_u8 v2, v[4:5], off
	s_mov_b32 s41, 0
	s_mov_b32 s22, -1
	s_mov_b64 s[2:3], 0
	s_waitcnt vmcnt(0)
	v_cmp_ne_u32_e32 vcc_lo, 0xff, v2
	v_lshlrev_b32_e32 v0, 23, v2
	s_delay_alu instid0(VALU_DEP_1) | instskip(NEXT) | instid1(VALU_DEP_1)
	v_cvt_f64_f32_e32 v[0:1], v0
	v_cndmask_b32_e32 v1, 0x7ff80000, v1, vcc_lo
	s_delay_alu instid0(VALU_DEP_2) | instskip(SKIP_1) | instid1(VALU_DEP_3)
	v_cndmask_b32_e32 v0, 0x20000000, v0, vcc_lo
	v_cmp_ne_u32_e32 vcc_lo, 0, v2
	v_cndmask_b32_e32 v1, 0x38000000, v1, vcc_lo
	s_delay_alu instid0(VALU_DEP_3)
	v_cndmask_b32_e32 v0, 0, v0, vcc_lo
	s_branch .LBB169_660
.LBB169_659:
	s_mov_b32 s41, -1
                                        ; implicit-def: $sgpr2_sgpr3
                                        ; implicit-def: $vgpr0_vgpr1
.LBB169_660:
	v_dual_mov_b32 v2, s2 :: v_dual_mov_b32 v3, s3
.LBB169_661:
	s_mov_b32 s2, 0
.LBB169_662:
	s_delay_alu instid0(SALU_CYCLE_1)
	s_and_b32 vcc_lo, exec_lo, s2
	s_cbranch_vccz .LBB169_667
; %bb.663:
	v_cmp_eq_u16_e32 vcc_lo, 29, v14
	s_cbranch_vccz .LBB169_665
; %bb.664:
	global_load_b64 v[0:1], v[4:5], off
	s_mov_b32 s22, -1
	s_mov_b32 s41, 0
	s_mov_b64 s[2:3], 0
	s_waitcnt vmcnt(0)
	v_cvt_f64_u32_e32 v[1:2], v1
	v_cvt_f64_u32_e32 v[6:7], v0
	s_delay_alu instid0(VALU_DEP_2) | instskip(NEXT) | instid1(VALU_DEP_1)
	v_ldexp_f64 v[1:2], v[1:2], 32
	v_add_f64 v[0:1], v[1:2], v[6:7]
	s_branch .LBB169_666
.LBB169_665:
	s_mov_b32 s41, -1
                                        ; implicit-def: $sgpr2_sgpr3
                                        ; implicit-def: $vgpr0_vgpr1
.LBB169_666:
	v_dual_mov_b32 v2, s2 :: v_dual_mov_b32 v3, s3
.LBB169_667:
	s_mov_b32 s2, 0
.LBB169_668:
	s_delay_alu instid0(SALU_CYCLE_1)
	s_and_b32 vcc_lo, exec_lo, s2
	s_cbranch_vccz .LBB169_688
; %bb.669:
	v_cmp_gt_i16_e32 vcc_lo, 27, v14
	s_cbranch_vccnz .LBB169_672
; %bb.670:
	v_cmp_lt_i16_e32 vcc_lo, 27, v14
	s_cbranch_vccz .LBB169_673
; %bb.671:
	global_load_b32 v0, v[4:5], off
	s_mov_b32 s22, 0
	s_mov_b64 s[2:3], 0
	s_waitcnt vmcnt(0)
	v_cvt_f64_u32_e32 v[0:1], v0
	s_branch .LBB169_674
.LBB169_672:
	s_mov_b32 s22, -1
                                        ; implicit-def: $sgpr2_sgpr3
                                        ; implicit-def: $vgpr0_vgpr1
	s_branch .LBB169_677
.LBB169_673:
	s_mov_b32 s22, -1
                                        ; implicit-def: $sgpr2_sgpr3
                                        ; implicit-def: $vgpr0_vgpr1
.LBB169_674:
	s_delay_alu instid0(SALU_CYCLE_1)
	s_and_not1_b32 vcc_lo, exec_lo, s22
	s_cbranch_vccnz .LBB169_676
; %bb.675:
	global_load_u16 v0, v[4:5], off
	s_mov_b64 s[2:3], 0
	s_waitcnt vmcnt(0)
	v_cvt_f64_u32_e32 v[0:1], v0
.LBB169_676:
	s_mov_b32 s22, 0
.LBB169_677:
	v_dual_mov_b32 v2, s2 :: v_dual_mov_b32 v3, s3
	s_and_not1_b32 vcc_lo, exec_lo, s22
	s_cbranch_vccnz .LBB169_687
; %bb.678:
	global_load_u8 v6, v[4:5], off
	s_mov_b32 s42, 0
	s_mov_b32 s43, exec_lo
                                        ; implicit-def: $sgpr2_sgpr3
                                        ; implicit-def: $sgpr22_sgpr23
	s_waitcnt vmcnt(0)
	v_cmpx_lt_i16_e32 0x7f, v6
	s_xor_b32 s43, exec_lo, s43
	s_cbranch_execz .LBB169_682
; %bb.679:
	s_mov_b32 s42, -1
	s_mov_b32 s44, exec_lo
                                        ; implicit-def: $sgpr2_sgpr3
                                        ; implicit-def: $sgpr22_sgpr23
	v_cmpx_eq_u16_e32 0x80, v6
; %bb.680:
	s_mov_b64 s[2:3], 0
	s_mov_b32 s23, 0x7ff80000
	s_brev_b32 s22, 4
	s_xor_b32 s42, exec_lo, -1
; %bb.681:
	s_or_b32 exec_lo, exec_lo, s44
	s_delay_alu instid0(SALU_CYCLE_1)
	s_and_b32 s42, s42, exec_lo
.LBB169_682:
	s_or_saveexec_b32 s43, s43
	v_dual_mov_b32 v2, s2 :: v_dual_mov_b32 v3, s3
	v_dual_mov_b32 v0, s22 :: v_dual_mov_b32 v1, s23
	s_xor_b32 exec_lo, exec_lo, s43
; %bb.683:
	v_mov_b32_e32 v2, 0
	v_mov_b32_e32 v3, 0
	v_cmp_ne_u16_e32 vcc_lo, 0, v6
	s_delay_alu instid0(VALU_DEP_3) | instskip(SKIP_1) | instid1(VALU_DEP_3)
	v_mov_b32_e32 v0, v2
	s_and_not1_b32 s2, s42, exec_lo
	v_mov_b32_e32 v1, v3
	s_and_b32 s3, vcc_lo, exec_lo
	s_delay_alu instid0(SALU_CYCLE_1)
	s_or_b32 s42, s2, s3
; %bb.684:
	s_or_b32 exec_lo, exec_lo, s43
	s_and_saveexec_b32 s2, s42
	s_cbranch_execz .LBB169_686
; %bb.685:
	v_and_b32_e32 v0, 0xffff, v6
	v_lshlrev_b32_e32 v6, 24, v6
	s_delay_alu instid0(VALU_DEP_2) | instskip(NEXT) | instid1(VALU_DEP_1)
	v_and_b32_e32 v1, 7, v0
	v_clz_i32_u32_e32 v2, v1
	s_delay_alu instid0(VALU_DEP_1) | instskip(NEXT) | instid1(VALU_DEP_1)
	v_min_u32_e32 v2, 32, v2
	v_subrev_nc_u32_e32 v3, 28, v2
	v_sub_nc_u32_e32 v2, 29, v2
	s_delay_alu instid0(VALU_DEP_2) | instskip(SKIP_1) | instid1(VALU_DEP_2)
	v_lshlrev_b32_e32 v3, v3, v0
	v_bfe_u32 v0, v0, 3, 4
	v_and_b32_e32 v3, 7, v3
	s_delay_alu instid0(VALU_DEP_2) | instskip(NEXT) | instid1(VALU_DEP_2)
	v_cmp_eq_u32_e32 vcc_lo, 0, v0
	v_dual_cndmask_b32 v0, v0, v2 :: v_dual_cndmask_b32 v1, v1, v3
	v_and_b32_e32 v2, 0x80000000, v6
	s_delay_alu instid0(VALU_DEP_2) | instskip(NEXT) | instid1(VALU_DEP_3)
	v_lshl_add_u32 v0, v0, 23, 0x3b800000
	v_lshlrev_b32_e32 v1, 20, v1
	s_delay_alu instid0(VALU_DEP_1) | instskip(SKIP_2) | instid1(VALU_DEP_3)
	v_or3_b32 v0, v2, v0, v1
	v_mov_b32_e32 v2, 0
	v_mov_b32_e32 v3, 0
	v_cvt_f64_f32_e32 v[0:1], v0
.LBB169_686:
	s_or_b32 exec_lo, exec_lo, s2
.LBB169_687:
	s_mov_b32 s22, -1
.LBB169_688:
	s_mov_b32 s2, 0
.LBB169_689:
	s_delay_alu instid0(SALU_CYCLE_1)
	s_and_b32 vcc_lo, exec_lo, s2
	s_cbranch_vccz .LBB169_723
; %bb.690:
	v_cmp_lt_i16_e32 vcc_lo, 22, v14
	s_cbranch_vccz .LBB169_702
; %bb.691:
	v_cmp_gt_i16_e32 vcc_lo, 24, v14
	s_cbranch_vccnz .LBB169_703
; %bb.692:
	v_cmp_lt_i16_e32 vcc_lo, 24, v14
	s_cbranch_vccz .LBB169_704
; %bb.693:
	global_load_u8 v6, v[4:5], off
	s_mov_b32 s42, 0
	s_mov_b32 s43, exec_lo
                                        ; implicit-def: $sgpr2_sgpr3
                                        ; implicit-def: $sgpr22_sgpr23
	s_waitcnt vmcnt(0)
	v_cmpx_lt_i16_e32 0x7f, v6
	s_xor_b32 s43, exec_lo, s43
	s_cbranch_execz .LBB169_697
; %bb.694:
	s_mov_b32 s42, -1
	s_mov_b32 s44, exec_lo
                                        ; implicit-def: $sgpr2_sgpr3
                                        ; implicit-def: $sgpr22_sgpr23
	v_cmpx_eq_u16_e32 0x80, v6
; %bb.695:
	s_mov_b64 s[2:3], 0
	s_mov_b32 s23, 0x7ff80000
	s_brev_b32 s22, 4
	s_xor_b32 s42, exec_lo, -1
; %bb.696:
	s_or_b32 exec_lo, exec_lo, s44
	s_delay_alu instid0(SALU_CYCLE_1)
	s_and_b32 s42, s42, exec_lo
.LBB169_697:
	s_or_saveexec_b32 s43, s43
	v_dual_mov_b32 v2, s2 :: v_dual_mov_b32 v3, s3
	v_dual_mov_b32 v0, s22 :: v_dual_mov_b32 v1, s23
	s_xor_b32 exec_lo, exec_lo, s43
; %bb.698:
	v_mov_b32_e32 v2, 0
	v_mov_b32_e32 v3, 0
	v_cmp_ne_u16_e32 vcc_lo, 0, v6
	s_delay_alu instid0(VALU_DEP_3) | instskip(SKIP_1) | instid1(VALU_DEP_3)
	v_mov_b32_e32 v0, v2
	s_and_not1_b32 s2, s42, exec_lo
	v_mov_b32_e32 v1, v3
	s_and_b32 s3, vcc_lo, exec_lo
	s_delay_alu instid0(SALU_CYCLE_1)
	s_or_b32 s42, s2, s3
; %bb.699:
	s_or_b32 exec_lo, exec_lo, s43
	s_and_saveexec_b32 s2, s42
	s_cbranch_execz .LBB169_701
; %bb.700:
	v_and_b32_e32 v0, 0xffff, v6
	v_lshlrev_b32_e32 v6, 24, v6
	s_delay_alu instid0(VALU_DEP_2) | instskip(NEXT) | instid1(VALU_DEP_1)
	v_and_b32_e32 v1, 3, v0
	v_clz_i32_u32_e32 v2, v1
	s_delay_alu instid0(VALU_DEP_1) | instskip(NEXT) | instid1(VALU_DEP_1)
	v_min_u32_e32 v2, 32, v2
	v_subrev_nc_u32_e32 v3, 29, v2
	v_sub_nc_u32_e32 v2, 30, v2
	s_delay_alu instid0(VALU_DEP_2) | instskip(SKIP_1) | instid1(VALU_DEP_2)
	v_lshlrev_b32_e32 v3, v3, v0
	v_bfe_u32 v0, v0, 2, 5
	v_and_b32_e32 v3, 3, v3
	s_delay_alu instid0(VALU_DEP_2) | instskip(NEXT) | instid1(VALU_DEP_2)
	v_cmp_eq_u32_e32 vcc_lo, 0, v0
	v_dual_cndmask_b32 v0, v0, v2 :: v_dual_cndmask_b32 v1, v1, v3
	v_and_b32_e32 v2, 0x80000000, v6
	s_delay_alu instid0(VALU_DEP_2) | instskip(NEXT) | instid1(VALU_DEP_3)
	v_lshl_add_u32 v0, v0, 23, 0x37800000
	v_lshlrev_b32_e32 v1, 21, v1
	s_delay_alu instid0(VALU_DEP_1) | instskip(SKIP_2) | instid1(VALU_DEP_3)
	v_or3_b32 v0, v2, v0, v1
	v_mov_b32_e32 v2, 0
	v_mov_b32_e32 v3, 0
	v_cvt_f64_f32_e32 v[0:1], v0
.LBB169_701:
	s_or_b32 exec_lo, exec_lo, s2
	s_mov_b32 s2, 0
	s_branch .LBB169_705
.LBB169_702:
	s_mov_b32 s2, -1
                                        ; implicit-def: $vgpr2_vgpr3
	s_branch .LBB169_711
.LBB169_703:
	s_mov_b32 s2, -1
                                        ; implicit-def: $vgpr2_vgpr3
	s_branch .LBB169_708
.LBB169_704:
	s_mov_b32 s2, -1
                                        ; implicit-def: $vgpr2_vgpr3
.LBB169_705:
	s_delay_alu instid0(SALU_CYCLE_1)
	s_and_b32 vcc_lo, exec_lo, s2
	s_cbranch_vccz .LBB169_707
; %bb.706:
	global_load_u8 v0, v[4:5], off
	s_waitcnt vmcnt(0)
	v_lshlrev_b32_e32 v0, 24, v0
	s_delay_alu instid0(VALU_DEP_1) | instskip(NEXT) | instid1(VALU_DEP_1)
	v_and_b32_e32 v1, 0x7f000000, v0
	v_clz_i32_u32_e32 v2, v1
	v_add_nc_u32_e32 v6, 0x1000000, v1
	v_cmp_ne_u32_e32 vcc_lo, 0, v1
	s_delay_alu instid0(VALU_DEP_3) | instskip(NEXT) | instid1(VALU_DEP_1)
	v_min_u32_e32 v2, 32, v2
	v_sub_nc_u32_e64 v2, v2, 4 clamp
	s_delay_alu instid0(VALU_DEP_1) | instskip(SKIP_1) | instid1(VALU_DEP_2)
	v_lshlrev_b32_e32 v3, v2, v1
	v_lshlrev_b32_e32 v2, 23, v2
	v_lshrrev_b32_e32 v3, 4, v3
	s_delay_alu instid0(VALU_DEP_1) | instskip(SKIP_1) | instid1(VALU_DEP_2)
	v_sub_nc_u32_e32 v2, v3, v2
	v_ashrrev_i32_e32 v3, 8, v6
	v_add_nc_u32_e32 v2, 0x3c000000, v2
	s_delay_alu instid0(VALU_DEP_1) | instskip(NEXT) | instid1(VALU_DEP_1)
	v_and_or_b32 v2, 0x7f800000, v3, v2
	v_dual_cndmask_b32 v1, 0, v2 :: v_dual_mov_b32 v2, 0
	v_mov_b32_e32 v3, 0
	s_delay_alu instid0(VALU_DEP_2) | instskip(NEXT) | instid1(VALU_DEP_1)
	v_and_or_b32 v0, 0x80000000, v0, v1
	v_cvt_f64_f32_e32 v[0:1], v0
.LBB169_707:
	s_mov_b32 s2, 0
.LBB169_708:
	s_delay_alu instid0(SALU_CYCLE_1)
	s_and_not1_b32 vcc_lo, exec_lo, s2
	s_cbranch_vccnz .LBB169_710
; %bb.709:
	global_load_u8 v0, v[4:5], off
	s_waitcnt vmcnt(0)
	v_lshlrev_b32_e32 v1, 25, v0
	v_lshlrev_b16 v0, 8, v0
	s_delay_alu instid0(VALU_DEP_2) | instskip(NEXT) | instid1(VALU_DEP_2)
	v_lshrrev_b32_e32 v2, 4, v1
	v_and_or_b32 v3, 0x7f00, v0, 0.5
	v_bfe_i32 v0, v0, 0, 16
	s_delay_alu instid0(VALU_DEP_3) | instskip(NEXT) | instid1(VALU_DEP_1)
	v_or_b32_e32 v2, 0x70000000, v2
	v_dual_add_f32 v3, -0.5, v3 :: v_dual_mul_f32 v2, 0x7800000, v2
	v_cmp_gt_u32_e32 vcc_lo, 0x8000000, v1
	s_delay_alu instid0(VALU_DEP_2) | instskip(SKIP_1) | instid1(VALU_DEP_2)
	v_dual_cndmask_b32 v1, v2, v3 :: v_dual_mov_b32 v2, 0
	v_mov_b32_e32 v3, 0
	v_and_or_b32 v0, 0x80000000, v0, v1
	s_delay_alu instid0(VALU_DEP_1)
	v_cvt_f64_f32_e32 v[0:1], v0
.LBB169_710:
	s_mov_b32 s2, 0
	s_mov_b32 s22, -1
.LBB169_711:
	s_and_not1_b32 vcc_lo, exec_lo, s2
	s_cbranch_vccnz .LBB169_723
; %bb.712:
	v_cmp_lt_i16_e32 vcc_lo, 14, v14
	s_cbranch_vccz .LBB169_715
; %bb.713:
	v_cmp_eq_u16_e32 vcc_lo, 15, v14
	s_cbranch_vccz .LBB169_716
; %bb.714:
	global_load_u16 v0, v[4:5], off
	s_mov_b32 s22, -1
	s_mov_b32 s41, 0
	s_mov_b64 s[2:3], 0
	s_waitcnt vmcnt(0)
	v_lshlrev_b32_e32 v0, 16, v0
	s_delay_alu instid0(VALU_DEP_1)
	v_cvt_f64_f32_e32 v[0:1], v0
	s_branch .LBB169_717
.LBB169_715:
	s_mov_b32 s23, -1
                                        ; implicit-def: $sgpr2_sgpr3
                                        ; implicit-def: $vgpr0_vgpr1
	s_branch .LBB169_718
.LBB169_716:
	s_mov_b32 s41, -1
                                        ; implicit-def: $sgpr2_sgpr3
                                        ; implicit-def: $vgpr0_vgpr1
.LBB169_717:
	s_mov_b32 s23, 0
.LBB169_718:
	s_delay_alu instid0(SALU_CYCLE_1)
	s_and_b32 vcc_lo, exec_lo, s23
	s_cbranch_vccz .LBB169_722
; %bb.719:
	v_cmp_eq_u16_e32 vcc_lo, 11, v14
	s_cbranch_vccz .LBB169_721
; %bb.720:
	global_load_u8 v0, v[4:5], off
	s_mov_b32 s41, 0
	s_mov_b32 s22, -1
	s_mov_b64 s[2:3], 0
	s_waitcnt vmcnt(0)
	v_cmp_ne_u16_e32 vcc_lo, 0, v0
	v_mov_b32_e32 v0, 0
	v_cndmask_b32_e64 v1, 0, 0x3ff00000, vcc_lo
	s_branch .LBB169_722
.LBB169_721:
	s_mov_b32 s41, -1
                                        ; implicit-def: $sgpr2_sgpr3
                                        ; implicit-def: $vgpr0_vgpr1
.LBB169_722:
	v_dual_mov_b32 v2, s2 :: v_dual_mov_b32 v3, s3
.LBB169_723:
	s_mov_b32 s2, 0
.LBB169_724:
	s_delay_alu instid0(SALU_CYCLE_1)
	s_and_b32 vcc_lo, exec_lo, s2
	s_cbranch_vccz .LBB169_775
; %bb.725:
	v_cmp_gt_i16_e32 vcc_lo, 5, v14
	s_cbranch_vccnz .LBB169_730
; %bb.726:
	v_cmp_gt_i16_e32 vcc_lo, 8, v14
	s_cbranch_vccnz .LBB169_731
	;; [unrolled: 3-line block ×3, first 2 shown]
; %bb.728:
	v_cmp_lt_i16_e32 vcc_lo, 9, v14
	s_cbranch_vccz .LBB169_733
; %bb.729:
	global_load_b128 v[0:3], v[4:5], off
	s_mov_b32 s2, 0
	s_branch .LBB169_734
.LBB169_730:
	s_mov_b32 s2, -1
                                        ; implicit-def: $vgpr2_vgpr3
	s_branch .LBB169_753
.LBB169_731:
	s_mov_b32 s2, -1
                                        ; implicit-def: $vgpr2_vgpr3
	s_branch .LBB169_740
.LBB169_732:
	s_mov_b32 s2, -1
                                        ; implicit-def: $vgpr2_vgpr3
	s_branch .LBB169_737
.LBB169_733:
	s_mov_b32 s2, -1
                                        ; implicit-def: $vgpr2_vgpr3
.LBB169_734:
	s_delay_alu instid0(SALU_CYCLE_1)
	s_and_not1_b32 vcc_lo, exec_lo, s2
	s_cbranch_vccnz .LBB169_736
; %bb.735:
	global_load_b64 v[1:2], v[4:5], off
	s_waitcnt vmcnt(0)
	v_cvt_f64_f32_e32 v[0:1], v1
	v_cvt_f64_f32_e32 v[2:3], v2
.LBB169_736:
	s_mov_b32 s2, 0
.LBB169_737:
	s_delay_alu instid0(SALU_CYCLE_1)
	s_and_not1_b32 vcc_lo, exec_lo, s2
	s_cbranch_vccnz .LBB169_739
; %bb.738:
	global_load_b32 v0, v[4:5], off
	s_waitcnt vmcnt(0)
	v_lshrrev_b32_e32 v1, 16, v0
	v_cvt_f32_f16_e32 v0, v0
	s_delay_alu instid0(VALU_DEP_2) | instskip(NEXT) | instid1(VALU_DEP_2)
	v_cvt_f32_f16_e32 v2, v1
	v_cvt_f64_f32_e32 v[0:1], v0
	s_delay_alu instid0(VALU_DEP_2)
	v_cvt_f64_f32_e32 v[2:3], v2
.LBB169_739:
	s_mov_b32 s2, 0
.LBB169_740:
	s_delay_alu instid0(SALU_CYCLE_1)
	s_and_not1_b32 vcc_lo, exec_lo, s2
	s_cbranch_vccnz .LBB169_752
; %bb.741:
	v_cmp_gt_i16_e32 vcc_lo, 6, v14
	s_cbranch_vccnz .LBB169_744
; %bb.742:
	v_cmp_lt_i16_e32 vcc_lo, 6, v14
	s_cbranch_vccz .LBB169_745
; %bb.743:
	global_load_b64 v[0:1], v[4:5], off
	s_mov_b32 s22, 0
	s_mov_b64 s[2:3], 0
	s_branch .LBB169_746
.LBB169_744:
	s_mov_b32 s22, -1
                                        ; implicit-def: $sgpr2_sgpr3
                                        ; implicit-def: $vgpr0_vgpr1
	s_branch .LBB169_749
.LBB169_745:
	s_mov_b32 s22, -1
                                        ; implicit-def: $sgpr2_sgpr3
                                        ; implicit-def: $vgpr0_vgpr1
.LBB169_746:
	s_delay_alu instid0(SALU_CYCLE_1)
	s_and_not1_b32 vcc_lo, exec_lo, s22
	s_cbranch_vccnz .LBB169_748
; %bb.747:
	global_load_b32 v0, v[4:5], off
	s_mov_b64 s[2:3], 0
	s_waitcnt vmcnt(0)
	v_cvt_f64_f32_e32 v[0:1], v0
.LBB169_748:
	s_mov_b32 s22, 0
.LBB169_749:
	s_delay_alu instid0(SALU_CYCLE_1)
	s_and_not1_b32 vcc_lo, exec_lo, s22
	s_cbranch_vccnz .LBB169_751
; %bb.750:
	global_load_u16 v0, v[4:5], off
	s_mov_b64 s[2:3], 0
	s_waitcnt vmcnt(0)
	v_cvt_f32_f16_e32 v0, v0
	s_delay_alu instid0(VALU_DEP_1)
	v_cvt_f64_f32_e32 v[0:1], v0
.LBB169_751:
	s_waitcnt vmcnt(0)
	v_dual_mov_b32 v2, s2 :: v_dual_mov_b32 v3, s3
.LBB169_752:
	s_mov_b32 s2, 0
.LBB169_753:
	s_delay_alu instid0(SALU_CYCLE_1)
	s_and_not1_b32 vcc_lo, exec_lo, s2
	s_cbranch_vccnz .LBB169_774
; %bb.754:
	v_cmp_gt_i16_e32 vcc_lo, 2, v14
	s_cbranch_vccnz .LBB169_758
; %bb.755:
	v_cmp_gt_i16_e32 vcc_lo, 3, v14
	s_cbranch_vccnz .LBB169_759
; %bb.756:
	v_cmp_lt_i16_e32 vcc_lo, 3, v14
	s_cbranch_vccz .LBB169_760
; %bb.757:
	global_load_b64 v[0:1], v[4:5], off
	s_mov_b32 s22, 0
	s_mov_b64 s[2:3], 0
	s_waitcnt vmcnt(0)
	v_cvt_f64_i32_e32 v[1:2], v1
	v_cvt_f64_u32_e32 v[6:7], v0
	s_delay_alu instid0(VALU_DEP_2) | instskip(NEXT) | instid1(VALU_DEP_1)
	v_ldexp_f64 v[1:2], v[1:2], 32
	v_add_f64 v[0:1], v[1:2], v[6:7]
	s_branch .LBB169_761
.LBB169_758:
	s_mov_b32 s22, -1
                                        ; implicit-def: $sgpr2_sgpr3
                                        ; implicit-def: $vgpr0_vgpr1
	s_branch .LBB169_767
.LBB169_759:
	s_mov_b32 s22, -1
                                        ; implicit-def: $sgpr2_sgpr3
                                        ; implicit-def: $vgpr0_vgpr1
	s_branch .LBB169_764
.LBB169_760:
	s_mov_b32 s22, -1
                                        ; implicit-def: $sgpr2_sgpr3
                                        ; implicit-def: $vgpr0_vgpr1
.LBB169_761:
	s_delay_alu instid0(SALU_CYCLE_1)
	s_and_not1_b32 vcc_lo, exec_lo, s22
	s_cbranch_vccnz .LBB169_763
; %bb.762:
	global_load_b32 v0, v[4:5], off
	s_mov_b64 s[2:3], 0
	s_waitcnt vmcnt(0)
	v_cvt_f64_i32_e32 v[0:1], v0
.LBB169_763:
	s_mov_b32 s22, 0
.LBB169_764:
	s_delay_alu instid0(SALU_CYCLE_1)
	s_and_not1_b32 vcc_lo, exec_lo, s22
	s_cbranch_vccnz .LBB169_766
; %bb.765:
	global_load_i16 v0, v[4:5], off
	s_mov_b64 s[2:3], 0
	s_waitcnt vmcnt(0)
	v_cvt_f64_i32_e32 v[0:1], v0
.LBB169_766:
	s_mov_b32 s22, 0
.LBB169_767:
	s_delay_alu instid0(SALU_CYCLE_1)
	s_and_not1_b32 vcc_lo, exec_lo, s22
	s_cbranch_vccnz .LBB169_773
; %bb.768:
	v_cmp_lt_i16_e32 vcc_lo, 0, v14
	s_mov_b32 s22, 0
	s_cbranch_vccz .LBB169_770
; %bb.769:
	global_load_i8 v0, v[4:5], off
	s_mov_b64 s[2:3], 0
	s_waitcnt vmcnt(0)
	v_cvt_f64_i32_e32 v[0:1], v0
	s_branch .LBB169_771
.LBB169_770:
	s_mov_b32 s22, -1
                                        ; implicit-def: $sgpr2_sgpr3
                                        ; implicit-def: $vgpr0_vgpr1
.LBB169_771:
	s_delay_alu instid0(SALU_CYCLE_1)
	s_and_not1_b32 vcc_lo, exec_lo, s22
	s_cbranch_vccnz .LBB169_773
; %bb.772:
	global_load_u8 v0, v[4:5], off
	s_mov_b64 s[2:3], 0
	s_waitcnt vmcnt(0)
	v_cvt_f64_u32_e32 v[0:1], v0
.LBB169_773:
	s_waitcnt vmcnt(0)
	v_dual_mov_b32 v2, s2 :: v_dual_mov_b32 v3, s3
.LBB169_774:
	s_mov_b32 s22, -1
.LBB169_775:
	s_delay_alu instid0(SALU_CYCLE_1)
	s_and_not1_b32 vcc_lo, exec_lo, s22
	s_cbranch_vccnz .LBB169_792
; %bb.776:
	s_waitcnt vmcnt(0)
	s_delay_alu instid0(VALU_DEP_1) | instskip(NEXT) | instid1(VALU_DEP_2)
	v_cmp_neq_f64_e32 vcc_lo, 0, v[0:1]
	v_cmp_neq_f64_e64 s2, 0, v[2:3]
	v_mov_b32_e32 v9, 0
	v_mov_b32_e32 v10, 0
	s_delay_alu instid0(VALU_DEP_3) | instskip(NEXT) | instid1(SALU_CYCLE_1)
	s_or_b32 s2, vcc_lo, s2
	s_and_saveexec_b32 s22, s2
	s_cbranch_execz .LBB169_809
; %bb.777:
	s_mov_b32 s2, 0
	s_mov_b32 s3, 0x7ff00000
	v_mov_b32_e32 v9, s2
	v_mov_b32_e32 v10, s3
	s_mov_b32 s23, exec_lo
	v_cmpx_neq_f64_e64 0x7ff00000, |v[2:3]|
	s_cbranch_execz .LBB169_808
; %bb.778:
	s_mov_b32 s2, exec_lo
	v_cmpx_o_f64_e32 v[0:1], v[0:1]
	s_xor_b32 s42, exec_lo, s2
	s_cbranch_execz .LBB169_805
; %bb.779:
	s_mov_b32 s3, exec_lo
	v_cmpx_neq_f64_e64 0x7ff00000, |v[0:1]|
	s_xor_b32 s43, exec_lo, s3
	s_cbranch_execz .LBB169_798
; %bb.780:
	v_max_f64 v[4:5], |v[2:3]|, |v[2:3]|
	v_max_f64 v[6:7], |v[0:1]|, |v[0:1]|
	s_mov_b32 s2, 0x99fcef32
	s_mov_b32 s3, 0x7fda8279
                                        ; implicit-def: $sgpr44
	s_delay_alu instid0(VALU_DEP_1) | instskip(NEXT) | instid1(VALU_DEP_1)
	v_max_f64 v[4:5], v[6:7], v[4:5]
	v_cmp_nle_f64_e64 s2, s[2:3], v[4:5]
	s_delay_alu instid0(VALU_DEP_1) | instskip(NEXT) | instid1(SALU_CYCLE_1)
	s_and_saveexec_b32 s3, s2
	s_xor_b32 s3, exec_lo, s3
	s_cbranch_execz .LBB169_784
; %bb.781:
	v_cmp_ge_f64_e64 s44, 0x200000, |v[0:1]|
	v_cmp_ge_f64_e64 s45, 0x200000, |v[2:3]|
	s_delay_alu instid0(VALU_DEP_1)
	s_and_b32 s46, s44, s45
	s_mov_b32 s44, 0
	s_and_saveexec_b32 s45, s46
; %bb.782:
	v_mul_f64 v[0:1], v[0:1], 4.0
	v_mul_f64 v[2:3], v[2:3], 4.0
	s_mov_b32 s44, exec_lo
; %bb.783:
	s_or_b32 exec_lo, exec_lo, s45
	s_delay_alu instid0(SALU_CYCLE_1)
	s_and_b32 s44, s44, exec_lo
.LBB169_784:
	s_and_not1_saveexec_b32 s3, s3
; %bb.785:
	s_delay_alu instid0(VALU_DEP_2) | instskip(NEXT) | instid1(VALU_DEP_2)
	v_ldexp_f64 v[0:1], v[0:1], -2
	v_ldexp_f64 v[2:3], v[2:3], -2
	s_and_not1_b32 s44, s44, exec_lo
; %bb.786:
	s_or_b32 exec_lo, exec_lo, s3
	s_delay_alu instid0(VALU_DEP_1) | instskip(NEXT) | instid1(VALU_DEP_3)
	v_max_f64 v[4:5], |v[2:3]|, |v[2:3]|
	v_max_f64 v[6:7], |v[0:1]|, |v[0:1]|
	v_cmp_class_f64_e64 s45, v[0:1], 0x204
	v_cmp_class_f64_e64 s46, v[2:3], 0x204
	v_cmp_le_f64_e64 s3, 0, v[0:1]
	s_delay_alu instid0(VALU_DEP_4) | instskip(NEXT) | instid1(VALU_DEP_3)
	v_max_f64 v[4:5], v[6:7], v[4:5]
	s_or_b32 s45, s46, s45
	s_delay_alu instid0(VALU_DEP_1) | instskip(NEXT) | instid1(VALU_DEP_1)
	v_frexp_exp_i32_f64_e32 v15, v[4:5]
	v_sub_nc_u32_e32 v6, 0, v15
	s_delay_alu instid0(VALU_DEP_1) | instskip(SKIP_1) | instid1(VALU_DEP_2)
	v_ldexp_f64 v[4:5], |v[2:3]|, v6
	v_ldexp_f64 v[6:7], |v[0:1]|, v6
	v_mul_f64 v[4:5], v[4:5], v[4:5]
	s_delay_alu instid0(VALU_DEP_1) | instskip(NEXT) | instid1(VALU_DEP_1)
	v_fma_f64 v[4:5], v[6:7], v[6:7], v[4:5]
	v_rsq_f64_e32 v[6:7], v[4:5]
	v_cmp_eq_f64_e32 vcc_lo, 0, v[4:5]
	s_waitcnt_depctr 0xfff
	v_mul_f64 v[9:10], v[4:5], v[6:7]
	v_mul_f64 v[6:7], v[6:7], 0.5
	s_delay_alu instid0(VALU_DEP_1) | instskip(NEXT) | instid1(VALU_DEP_1)
	v_fma_f64 v[11:12], -v[6:7], v[9:10], 0.5
	v_fma_f64 v[9:10], v[9:10], v[11:12], v[9:10]
	v_fma_f64 v[6:7], v[6:7], v[11:12], v[6:7]
	s_delay_alu instid0(VALU_DEP_2) | instskip(NEXT) | instid1(VALU_DEP_1)
	v_fma_f64 v[11:12], -v[9:10], v[9:10], v[4:5]
	v_fma_f64 v[6:7], v[11:12], v[6:7], v[9:10]
	s_delay_alu instid0(VALU_DEP_1) | instskip(SKIP_1) | instid1(VALU_DEP_2)
	v_dual_cndmask_b32 v5, v7, v5 :: v_dual_cndmask_b32 v4, v6, v4
	v_cmp_o_f64_e32 vcc_lo, v[2:3], v[2:3]
	v_ldexp_f64 v[4:5], v[4:5], v15
	s_delay_alu instid0(VALU_DEP_1) | instskip(NEXT) | instid1(VALU_DEP_2)
	v_cndmask_b32_e32 v4, 0, v4, vcc_lo
	v_cndmask_b32_e32 v5, 0x7ff80000, v5, vcc_lo
	s_delay_alu instid0(VALU_DEP_2) | instskip(NEXT) | instid1(VALU_DEP_2)
	v_cndmask_b32_e64 v4, v4, 0, s45
	v_cndmask_b32_e64 v5, v5, 0x7ff00000, s45
	s_and_saveexec_b32 s45, s3
	s_delay_alu instid0(SALU_CYCLE_1)
	s_xor_b32 s3, exec_lo, s45
	s_cbranch_execz .LBB169_793
; %bb.787:
	s_delay_alu instid0(VALU_DEP_1) | instskip(NEXT) | instid1(VALU_DEP_1)
	v_add_f64 v[0:1], v[0:1], v[4:5]
	v_mul_f64 v[0:1], v[0:1], 0.5
	s_delay_alu instid0(VALU_DEP_1) | instskip(SKIP_1) | instid1(VALU_DEP_1)
	v_cmp_gt_f64_e32 vcc_lo, 0x10000000, v[0:1]
	v_cndmask_b32_e64 v4, 0, 1, vcc_lo
	v_lshlrev_b32_e32 v4, 8, v4
	s_delay_alu instid0(VALU_DEP_1) | instskip(NEXT) | instid1(VALU_DEP_1)
	v_ldexp_f64 v[0:1], v[0:1], v4
	v_rsq_f64_e32 v[4:5], v[0:1]
	s_waitcnt_depctr 0xfff
	v_mul_f64 v[6:7], v[0:1], v[4:5]
	v_mul_f64 v[4:5], v[4:5], 0.5
	s_delay_alu instid0(VALU_DEP_1) | instskip(NEXT) | instid1(VALU_DEP_1)
	v_fma_f64 v[9:10], -v[4:5], v[6:7], 0.5
	v_fma_f64 v[6:7], v[6:7], v[9:10], v[6:7]
	v_fma_f64 v[4:5], v[4:5], v[9:10], v[4:5]
	s_delay_alu instid0(VALU_DEP_2) | instskip(NEXT) | instid1(VALU_DEP_1)
	v_fma_f64 v[9:10], -v[6:7], v[6:7], v[0:1]
	v_fma_f64 v[6:7], v[9:10], v[4:5], v[6:7]
	s_delay_alu instid0(VALU_DEP_1) | instskip(NEXT) | instid1(VALU_DEP_1)
	v_fma_f64 v[9:10], -v[6:7], v[6:7], v[0:1]
	v_fma_f64 v[4:5], v[9:10], v[4:5], v[6:7]
	v_cndmask_b32_e64 v6, 0, 0xffffff80, vcc_lo
	v_cmp_class_f64_e64 vcc_lo, v[0:1], 0x260
	s_delay_alu instid0(VALU_DEP_2) | instskip(NEXT) | instid1(VALU_DEP_1)
	v_ldexp_f64 v[4:5], v[4:5], v6
	v_dual_cndmask_b32 v1, v5, v1 :: v_dual_cndmask_b32 v0, v4, v0
	s_delay_alu instid0(VALU_DEP_1) | instskip(NEXT) | instid1(VALU_DEP_1)
	v_add_f64 v[4:5], v[0:1], v[0:1]
	v_div_scale_f64 v[6:7], null, v[4:5], v[4:5], v[2:3]
	s_delay_alu instid0(VALU_DEP_1) | instskip(SKIP_2) | instid1(VALU_DEP_1)
	v_rcp_f64_e32 v[9:10], v[6:7]
	s_waitcnt_depctr 0xfff
	v_fma_f64 v[11:12], -v[6:7], v[9:10], 1.0
	v_fma_f64 v[9:10], v[9:10], v[11:12], v[9:10]
	s_delay_alu instid0(VALU_DEP_1) | instskip(NEXT) | instid1(VALU_DEP_1)
	v_fma_f64 v[11:12], -v[6:7], v[9:10], 1.0
	v_fma_f64 v[9:10], v[9:10], v[11:12], v[9:10]
	v_div_scale_f64 v[11:12], vcc_lo, v[2:3], v[4:5], v[2:3]
	s_delay_alu instid0(VALU_DEP_1) | instskip(NEXT) | instid1(VALU_DEP_1)
	v_mul_f64 v[17:18], v[11:12], v[9:10]
	v_fma_f64 v[6:7], -v[6:7], v[17:18], v[11:12]
	s_delay_alu instid0(VALU_DEP_1) | instskip(NEXT) | instid1(VALU_DEP_1)
	v_div_fmas_f64 v[6:7], v[6:7], v[9:10], v[17:18]
	v_div_fixup_f64 v[2:3], v[6:7], v[4:5], v[2:3]
                                        ; implicit-def: $vgpr4_vgpr5
	s_and_not1_saveexec_b32 s3, s3
	s_cbranch_execnz .LBB169_794
.LBB169_788:
	s_or_b32 exec_lo, exec_lo, s3
	s_and_saveexec_b32 s3, s2
	s_delay_alu instid0(SALU_CYCLE_1)
	s_xor_b32 s2, exec_lo, s3
	s_cbranch_execz .LBB169_795
.LBB169_789:
	s_and_saveexec_b32 s3, s44
; %bb.790:
	s_delay_alu instid0(VALU_DEP_2) | instskip(NEXT) | instid1(VALU_DEP_2)
	v_mul_f64 v[0:1], v[0:1], 0.5
	v_mul_f64 v[2:3], v[2:3], 0.5
; %bb.791:
	s_or_b32 exec_lo, exec_lo, s3
	s_and_not1_saveexec_b32 s2, s2
	s_cbranch_execnz .LBB169_796
	s_branch .LBB169_797
.LBB169_792:
	s_mov_b32 s3, 0
	s_mov_b32 s2, s38
	s_branch .LBB169_864
.LBB169_793:
	s_and_not1_saveexec_b32 s3, s3
	s_cbranch_execz .LBB169_788
.LBB169_794:
	v_add_f64 v[0:1], v[4:5], -v[0:1]
	s_delay_alu instid0(VALU_DEP_1) | instskip(NEXT) | instid1(VALU_DEP_1)
	v_mul_f64 v[0:1], v[0:1], 0.5
	v_cmp_gt_f64_e32 vcc_lo, 0x10000000, v[0:1]
	v_cndmask_b32_e64 v4, 0, 1, vcc_lo
	s_delay_alu instid0(VALU_DEP_1) | instskip(NEXT) | instid1(VALU_DEP_1)
	v_lshlrev_b32_e32 v4, 8, v4
	v_ldexp_f64 v[0:1], v[0:1], v4
	s_delay_alu instid0(VALU_DEP_1) | instskip(SKIP_3) | instid1(VALU_DEP_1)
	v_rsq_f64_e32 v[4:5], v[0:1]
	s_waitcnt_depctr 0xfff
	v_mul_f64 v[6:7], v[0:1], v[4:5]
	v_mul_f64 v[4:5], v[4:5], 0.5
	v_fma_f64 v[9:10], -v[4:5], v[6:7], 0.5
	s_delay_alu instid0(VALU_DEP_1) | instskip(SKIP_1) | instid1(VALU_DEP_2)
	v_fma_f64 v[6:7], v[6:7], v[9:10], v[6:7]
	v_fma_f64 v[4:5], v[4:5], v[9:10], v[4:5]
	v_fma_f64 v[9:10], -v[6:7], v[6:7], v[0:1]
	s_delay_alu instid0(VALU_DEP_1) | instskip(NEXT) | instid1(VALU_DEP_1)
	v_fma_f64 v[6:7], v[9:10], v[4:5], v[6:7]
	v_fma_f64 v[9:10], -v[6:7], v[6:7], v[0:1]
	s_delay_alu instid0(VALU_DEP_1) | instskip(SKIP_3) | instid1(VALU_DEP_3)
	v_fma_f64 v[4:5], v[9:10], v[4:5], v[6:7]
	v_cndmask_b32_e64 v6, 0, 0xffffff80, vcc_lo
	v_cmp_class_f64_e64 vcc_lo, v[0:1], 0x260
	v_and_b32_e32 v7, 0x7fffffff, v3
	v_ldexp_f64 v[4:5], v[4:5], v6
	s_delay_alu instid0(VALU_DEP_1) | instskip(NEXT) | instid1(VALU_DEP_1)
	v_dual_cndmask_b32 v5, v5, v1 :: v_dual_cndmask_b32 v4, v4, v0
	v_add_f64 v[0:1], v[4:5], v[4:5]
	v_bfi_b32 v5, 0x7fffffff, v5, v3
	v_mov_b32_e32 v6, v2
	s_delay_alu instid0(VALU_DEP_1) | instskip(SKIP_1) | instid1(VALU_DEP_2)
	v_div_scale_f64 v[9:10], null, v[0:1], v[0:1], v[6:7]
	v_div_scale_f64 v[6:7], vcc_lo, v[6:7], v[0:1], v[6:7]
	v_rcp_f64_e32 v[11:12], v[9:10]
	s_waitcnt_depctr 0xfff
	v_fma_f64 v[17:18], -v[9:10], v[11:12], 1.0
	s_delay_alu instid0(VALU_DEP_1) | instskip(NEXT) | instid1(VALU_DEP_1)
	v_fma_f64 v[11:12], v[11:12], v[17:18], v[11:12]
	v_fma_f64 v[17:18], -v[9:10], v[11:12], 1.0
	s_delay_alu instid0(VALU_DEP_1) | instskip(NEXT) | instid1(VALU_DEP_1)
	v_fma_f64 v[11:12], v[11:12], v[17:18], v[11:12]
	v_mul_f64 v[17:18], v[6:7], v[11:12]
	s_delay_alu instid0(VALU_DEP_1) | instskip(NEXT) | instid1(VALU_DEP_1)
	v_fma_f64 v[6:7], -v[9:10], v[17:18], v[6:7]
	v_div_fmas_f64 v[6:7], v[6:7], v[11:12], v[17:18]
	s_delay_alu instid0(VALU_DEP_1) | instskip(SKIP_3) | instid1(SALU_CYCLE_1)
	v_div_fixup_f64 v[0:1], v[6:7], v[0:1], |v[2:3]|
	v_dual_mov_b32 v2, v4 :: v_dual_mov_b32 v3, v5
	s_or_b32 exec_lo, exec_lo, s3
	s_and_saveexec_b32 s3, s2
	s_xor_b32 s2, exec_lo, s3
	s_cbranch_execnz .LBB169_789
.LBB169_795:
	s_and_not1_saveexec_b32 s2, s2
.LBB169_796:
	s_delay_alu instid0(VALU_DEP_2) | instskip(NEXT) | instid1(VALU_DEP_2)
	v_add_f64 v[0:1], v[0:1], v[0:1]
	v_add_f64 v[2:3], v[2:3], v[2:3]
.LBB169_797:
	s_or_b32 exec_lo, exec_lo, s2
.LBB169_798:
	s_and_not1_saveexec_b32 s2, s43
	s_cbranch_execz .LBB169_804
; %bb.799:
	s_delay_alu instid0(VALU_DEP_1) | instskip(SKIP_1) | instid1(VALU_DEP_3)
	v_add_f64 v[4:5], v[2:3], -v[2:3]
	s_mov_b32 s3, exec_lo
	v_cmpx_lt_i64_e32 -1, v[0:1]
	s_xor_b32 s3, exec_lo, s3
; %bb.800:
	s_delay_alu instid0(VALU_DEP_2) | instskip(NEXT) | instid1(VALU_DEP_1)
	v_bfi_b32 v5, 0x7fffffff, v5, v3
	v_dual_mov_b32 v2, v4 :: v_dual_mov_b32 v3, v5
                                        ; implicit-def: $vgpr4_vgpr5
; %bb.801:
	s_and_not1_saveexec_b32 s3, s3
; %bb.802:
	s_delay_alu instid0(VALU_DEP_1) | instskip(SKIP_1) | instid1(VALU_DEP_2)
	v_bfi_b32 v1, 0x7fffffff, v1, v3
	v_and_b32_e32 v5, 0x7fffffff, v5
	v_dual_mov_b32 v3, v1 :: v_dual_mov_b32 v2, v0
	s_delay_alu instid0(VALU_DEP_2)
	v_dual_mov_b32 v0, v4 :: v_dual_mov_b32 v1, v5
; %bb.803:
	s_or_b32 exec_lo, exec_lo, s3
.LBB169_804:
	s_delay_alu instid0(SALU_CYCLE_1)
	s_or_b32 exec_lo, exec_lo, s2
.LBB169_805:
	s_and_not1_saveexec_b32 s2, s42
; %bb.806:
	s_delay_alu instid0(VALU_DEP_1) | instskip(NEXT) | instid1(VALU_DEP_1)
	v_add_f64 v[2:3], v[2:3], -v[2:3]
	v_div_scale_f64 v[4:5], vcc_lo, v[2:3], v[2:3], v[2:3]
	s_delay_alu instid0(VALU_DEP_1) | instskip(SKIP_2) | instid1(VALU_DEP_1)
	v_rcp_f64_e32 v[6:7], v[4:5]
	s_waitcnt_depctr 0xfff
	v_fma_f64 v[9:10], -v[4:5], v[6:7], 1.0
	v_fma_f64 v[6:7], v[6:7], v[9:10], v[6:7]
	s_delay_alu instid0(VALU_DEP_1) | instskip(NEXT) | instid1(VALU_DEP_1)
	v_fma_f64 v[9:10], -v[4:5], v[6:7], 1.0
	v_fma_f64 v[6:7], v[6:7], v[9:10], v[6:7]
	s_delay_alu instid0(VALU_DEP_1) | instskip(NEXT) | instid1(VALU_DEP_1)
	v_mul_f64 v[9:10], v[4:5], v[6:7]
	v_fma_f64 v[4:5], -v[4:5], v[9:10], v[4:5]
	s_delay_alu instid0(VALU_DEP_1) | instskip(NEXT) | instid1(VALU_DEP_1)
	v_div_fmas_f64 v[4:5], v[4:5], v[6:7], v[9:10]
	v_div_fixup_f64 v[2:3], v[4:5], v[2:3], v[2:3]
; %bb.807:
	s_or_b32 exec_lo, exec_lo, s2
	v_dual_mov_b32 v10, v1 :: v_dual_mov_b32 v9, v0
.LBB169_808:
	s_or_b32 exec_lo, exec_lo, s23
.LBB169_809:
	s_delay_alu instid0(SALU_CYCLE_1) | instskip(NEXT) | instid1(VALU_DEP_1)
	s_or_b32 exec_lo, exec_lo, s22
	v_cmp_gt_f64_e32 vcc_lo, 0, v[9:10]
	s_delay_alu instid0(VALU_DEP_3) | instskip(SKIP_2) | instid1(VALU_DEP_2)
	v_cmp_gt_f64_e64 s2, 0, v[2:3]
	v_xor_b32_e32 v0, 0x80000000, v10
	v_xor_b32_e32 v4, 0x80000000, v3
                                        ; implicit-def: $vgpr6_vgpr7
	v_dual_cndmask_b32 v1, v10, v0 :: v_dual_cndmask_b32 v0, v9, v9
	s_delay_alu instid0(VALU_DEP_2) | instskip(SKIP_2) | instid1(VALU_DEP_1)
	v_cndmask_b32_e64 v12, v3, v4, s2
	v_cndmask_b32_e64 v11, v2, v2, s2
	s_mov_b32 s2, exec_lo
	v_cmpx_ge_f64_e32 v[0:1], v[11:12]
	s_xor_b32 s3, exec_lo, s2
	s_cbranch_execz .LBB169_815
; %bb.810:
	v_cmp_neq_f64_e32 vcc_lo, 0, v[9:10]
	v_cmp_neq_f64_e64 s2, 0, v[2:3]
                                        ; implicit-def: $vgpr6_vgpr7
	s_delay_alu instid0(VALU_DEP_1) | instskip(NEXT) | instid1(SALU_CYCLE_1)
	s_or_b32 s2, vcc_lo, s2
	s_and_saveexec_b32 s22, s2
	s_delay_alu instid0(SALU_CYCLE_1)
	s_xor_b32 s2, exec_lo, s22
	s_cbranch_execz .LBB169_812
; %bb.811:
	v_div_scale_f64 v[0:1], null, v[9:10], v[9:10], v[2:3]
	v_div_scale_f64 v[11:12], vcc_lo, v[2:3], v[9:10], v[2:3]
	s_delay_alu instid0(VALU_DEP_2) | instskip(SKIP_2) | instid1(VALU_DEP_1)
	v_rcp_f64_e32 v[4:5], v[0:1]
	s_waitcnt_depctr 0xfff
	v_fma_f64 v[6:7], -v[0:1], v[4:5], 1.0
	v_fma_f64 v[4:5], v[4:5], v[6:7], v[4:5]
	s_delay_alu instid0(VALU_DEP_1) | instskip(NEXT) | instid1(VALU_DEP_1)
	v_fma_f64 v[6:7], -v[0:1], v[4:5], 1.0
	v_fma_f64 v[4:5], v[4:5], v[6:7], v[4:5]
	s_delay_alu instid0(VALU_DEP_1) | instskip(NEXT) | instid1(VALU_DEP_1)
	v_mul_f64 v[6:7], v[11:12], v[4:5]
	v_fma_f64 v[0:1], -v[0:1], v[6:7], v[11:12]
	s_delay_alu instid0(VALU_DEP_1) | instskip(NEXT) | instid1(VALU_DEP_1)
	v_div_fmas_f64 v[0:1], v[0:1], v[4:5], v[6:7]
	v_div_fixup_f64 v[0:1], v[0:1], v[9:10], v[2:3]
	s_delay_alu instid0(VALU_DEP_1) | instskip(NEXT) | instid1(VALU_DEP_1)
	v_fma_f64 v[2:3], v[2:3], v[0:1], v[9:10]
	v_div_scale_f64 v[4:5], null, v[2:3], v[2:3], 1.0
	v_div_scale_f64 v[11:12], vcc_lo, 1.0, v[2:3], 1.0
	s_delay_alu instid0(VALU_DEP_2) | instskip(SKIP_2) | instid1(VALU_DEP_1)
	v_rcp_f64_e32 v[6:7], v[4:5]
	s_waitcnt_depctr 0xfff
	v_fma_f64 v[9:10], -v[4:5], v[6:7], 1.0
	v_fma_f64 v[6:7], v[6:7], v[9:10], v[6:7]
	s_delay_alu instid0(VALU_DEP_1) | instskip(NEXT) | instid1(VALU_DEP_1)
	v_fma_f64 v[9:10], -v[4:5], v[6:7], 1.0
	v_fma_f64 v[6:7], v[6:7], v[9:10], v[6:7]
	s_delay_alu instid0(VALU_DEP_1) | instskip(NEXT) | instid1(VALU_DEP_1)
	v_mul_f64 v[9:10], v[11:12], v[6:7]
	v_fma_f64 v[4:5], -v[4:5], v[9:10], v[11:12]
                                        ; implicit-def: $vgpr11_vgpr12
	s_delay_alu instid0(VALU_DEP_1) | instskip(SKIP_2) | instid1(VALU_DEP_3)
	v_div_fmas_f64 v[4:5], v[4:5], v[6:7], v[9:10]
	v_fma_f64 v[6:7], v[0:1], 0, 1.0
	v_add_f64 v[0:1], -v[0:1], 0
	v_div_fixup_f64 v[2:3], v[4:5], v[2:3], 1.0
	s_delay_alu instid0(VALU_DEP_1) | instskip(NEXT) | instid1(VALU_DEP_3)
	v_mul_f64 v[4:5], v[6:7], v[2:3]
	v_mul_f64 v[6:7], v[0:1], v[2:3]
                                        ; implicit-def: $vgpr0_vgpr1
.LBB169_812:
	s_and_not1_saveexec_b32 s22, s2
	s_cbranch_execz .LBB169_814
; %bb.813:
	v_div_scale_f64 v[2:3], null, v[0:1], v[0:1], 1.0
	v_div_scale_f64 v[4:5], null, v[11:12], v[11:12], 0
	v_div_scale_f64 v[21:22], vcc_lo, 1.0, v[0:1], 1.0
	s_delay_alu instid0(VALU_DEP_3) | instskip(NEXT) | instid1(VALU_DEP_2)
	v_rcp_f64_e32 v[6:7], v[2:3]
	v_rcp_f64_e32 v[9:10], v[4:5]
	s_waitcnt_depctr 0xfff
	v_fma_f64 v[17:18], -v[2:3], v[6:7], 1.0
	v_fma_f64 v[19:20], -v[4:5], v[9:10], 1.0
	s_delay_alu instid0(VALU_DEP_2) | instskip(NEXT) | instid1(VALU_DEP_2)
	v_fma_f64 v[6:7], v[6:7], v[17:18], v[6:7]
	v_fma_f64 v[9:10], v[9:10], v[19:20], v[9:10]
	s_delay_alu instid0(VALU_DEP_2) | instskip(NEXT) | instid1(VALU_DEP_2)
	v_fma_f64 v[17:18], -v[2:3], v[6:7], 1.0
	v_fma_f64 v[19:20], -v[4:5], v[9:10], 1.0
	s_delay_alu instid0(VALU_DEP_2) | instskip(SKIP_1) | instid1(VALU_DEP_3)
	v_fma_f64 v[6:7], v[6:7], v[17:18], v[6:7]
	v_div_scale_f64 v[17:18], s2, 0, v[11:12], 0
	v_fma_f64 v[9:10], v[9:10], v[19:20], v[9:10]
	s_delay_alu instid0(VALU_DEP_3) | instskip(NEXT) | instid1(VALU_DEP_2)
	v_mul_f64 v[19:20], v[21:22], v[6:7]
	v_mul_f64 v[23:24], v[17:18], v[9:10]
	s_delay_alu instid0(VALU_DEP_2) | instskip(NEXT) | instid1(VALU_DEP_2)
	v_fma_f64 v[2:3], -v[2:3], v[19:20], v[21:22]
	v_fma_f64 v[4:5], -v[4:5], v[23:24], v[17:18]
	s_delay_alu instid0(VALU_DEP_2) | instskip(SKIP_1) | instid1(VALU_DEP_2)
	v_div_fmas_f64 v[2:3], v[2:3], v[6:7], v[19:20]
	s_mov_b32 vcc_lo, s2
	v_div_fmas_f64 v[6:7], v[4:5], v[9:10], v[23:24]
	s_delay_alu instid0(VALU_DEP_2) | instskip(NEXT) | instid1(VALU_DEP_2)
	v_div_fixup_f64 v[4:5], v[2:3], v[0:1], 1.0
	v_div_fixup_f64 v[6:7], v[6:7], v[11:12], 0
.LBB169_814:
	s_or_b32 exec_lo, exec_lo, s22
                                        ; implicit-def: $vgpr2_vgpr3
                                        ; implicit-def: $vgpr9_vgpr10
.LBB169_815:
	s_and_not1_saveexec_b32 s2, s3
	s_cbranch_execz .LBB169_817
; %bb.816:
	v_div_scale_f64 v[0:1], null, v[2:3], v[2:3], v[9:10]
	v_div_scale_f64 v[11:12], vcc_lo, v[9:10], v[2:3], v[9:10]
	s_delay_alu instid0(VALU_DEP_2) | instskip(SKIP_2) | instid1(VALU_DEP_1)
	v_rcp_f64_e32 v[4:5], v[0:1]
	s_waitcnt_depctr 0xfff
	v_fma_f64 v[6:7], -v[0:1], v[4:5], 1.0
	v_fma_f64 v[4:5], v[4:5], v[6:7], v[4:5]
	s_delay_alu instid0(VALU_DEP_1) | instskip(NEXT) | instid1(VALU_DEP_1)
	v_fma_f64 v[6:7], -v[0:1], v[4:5], 1.0
	v_fma_f64 v[4:5], v[4:5], v[6:7], v[4:5]
	s_delay_alu instid0(VALU_DEP_1) | instskip(NEXT) | instid1(VALU_DEP_1)
	v_mul_f64 v[6:7], v[11:12], v[4:5]
	v_fma_f64 v[0:1], -v[0:1], v[6:7], v[11:12]
	s_delay_alu instid0(VALU_DEP_1) | instskip(NEXT) | instid1(VALU_DEP_1)
	v_div_fmas_f64 v[0:1], v[0:1], v[4:5], v[6:7]
	v_div_fixup_f64 v[0:1], v[0:1], v[2:3], v[9:10]
	s_delay_alu instid0(VALU_DEP_1) | instskip(NEXT) | instid1(VALU_DEP_1)
	v_fma_f64 v[2:3], v[9:10], v[0:1], v[2:3]
	v_div_scale_f64 v[4:5], null, v[2:3], v[2:3], 1.0
	v_div_scale_f64 v[11:12], vcc_lo, 1.0, v[2:3], 1.0
	s_delay_alu instid0(VALU_DEP_2) | instskip(SKIP_2) | instid1(VALU_DEP_1)
	v_rcp_f64_e32 v[6:7], v[4:5]
	s_waitcnt_depctr 0xfff
	v_fma_f64 v[9:10], -v[4:5], v[6:7], 1.0
	v_fma_f64 v[6:7], v[6:7], v[9:10], v[6:7]
	s_delay_alu instid0(VALU_DEP_1) | instskip(NEXT) | instid1(VALU_DEP_1)
	v_fma_f64 v[9:10], -v[4:5], v[6:7], 1.0
	v_fma_f64 v[6:7], v[6:7], v[9:10], v[6:7]
	s_delay_alu instid0(VALU_DEP_1) | instskip(NEXT) | instid1(VALU_DEP_1)
	v_mul_f64 v[9:10], v[11:12], v[6:7]
	v_fma_f64 v[4:5], -v[4:5], v[9:10], v[11:12]
	s_delay_alu instid0(VALU_DEP_1) | instskip(SKIP_2) | instid1(VALU_DEP_3)
	v_div_fmas_f64 v[4:5], v[4:5], v[6:7], v[9:10]
	v_add_f64 v[6:7], v[0:1], 0
	v_fma_f64 v[0:1], v[0:1], 0, -1.0
	v_div_fixup_f64 v[2:3], v[4:5], v[2:3], 1.0
	s_delay_alu instid0(VALU_DEP_1) | instskip(NEXT) | instid1(VALU_DEP_3)
	v_mul_f64 v[4:5], v[6:7], v[2:3]
	v_mul_f64 v[6:7], v[0:1], v[2:3]
.LBB169_817:
	s_or_b32 exec_lo, exec_lo, s2
	v_and_b32_e32 v2, 0xff, v13
	v_add_co_u32 v0, s2, s4, v8
	s_delay_alu instid0(VALU_DEP_1) | instskip(NEXT) | instid1(VALU_DEP_3)
	v_add_co_ci_u32_e64 v1, null, s5, 0, s2
	v_cmp_gt_i16_e32 vcc_lo, 11, v2
	s_mov_b32 s3, 0
	s_mov_b32 s22, -1
	s_mov_b32 s2, s38
	s_cbranch_vccnz .LBB169_824
; %bb.818:
	v_cmp_lt_i16_e32 vcc_lo, 25, v2
	s_cbranch_vccz .LBB169_865
; %bb.819:
	v_cmp_lt_i16_e32 vcc_lo, 28, v2
	s_cbranch_vccz .LBB169_866
	;; [unrolled: 3-line block ×4, first 2 shown]
; %bb.822:
	v_cmp_eq_u16_e32 vcc_lo, 46, v2
	s_mov_b32 s22, 0
	s_mov_b32 s2, -1
	s_cbranch_vccz .LBB169_869
; %bb.823:
	v_cvt_f32_f64_e32 v3, v[6:7]
	v_cvt_f32_f64_e32 v8, v[4:5]
	s_mov_b32 s3, -1
	s_mov_b32 s2, 0
	s_delay_alu instid0(VALU_DEP_2) | instskip(NEXT) | instid1(VALU_DEP_2)
	v_bfe_u32 v9, v3, 16, 1
	v_bfe_u32 v10, v8, 16, 1
	v_cmp_o_f32_e32 vcc_lo, v3, v3
	s_delay_alu instid0(VALU_DEP_3) | instskip(NEXT) | instid1(VALU_DEP_3)
	v_add3_u32 v9, v3, v9, 0x7fff
	v_add3_u32 v10, v8, v10, 0x7fff
	s_delay_alu instid0(VALU_DEP_2) | instskip(NEXT) | instid1(VALU_DEP_2)
	v_and_b32_e32 v9, 0xffff0000, v9
	v_lshrrev_b32_e32 v10, 16, v10
	s_delay_alu instid0(VALU_DEP_2) | instskip(SKIP_1) | instid1(VALU_DEP_3)
	v_cndmask_b32_e32 v3, 0x7fc00000, v9, vcc_lo
	v_cmp_o_f32_e32 vcc_lo, v8, v8
	v_cndmask_b32_e32 v8, 0x7fc0, v10, vcc_lo
	s_delay_alu instid0(VALU_DEP_1)
	v_or_b32_e32 v3, v3, v8
	global_store_b32 v[0:1], v3, off
	s_branch .LBB169_869
.LBB169_824:
	s_and_b32 vcc_lo, exec_lo, s22
	s_cbranch_vccz .LBB169_938
; %bb.825:
	v_cmp_gt_i16_e32 vcc_lo, 5, v2
	s_mov_b32 s3, -1
	s_cbranch_vccnz .LBB169_846
; %bb.826:
	v_cmp_gt_i16_e32 vcc_lo, 8, v2
	s_cbranch_vccnz .LBB169_836
; %bb.827:
	v_cmp_gt_i16_e32 vcc_lo, 9, v2
	s_cbranch_vccnz .LBB169_833
; %bb.828:
	v_cmp_lt_i16_e32 vcc_lo, 9, v2
	s_cbranch_vccz .LBB169_830
; %bb.829:
	s_mov_b32 s3, 0
	global_store_b128 v[0:1], v[4:7], off
.LBB169_830:
	s_and_not1_b32 vcc_lo, exec_lo, s3
	s_cbranch_vccnz .LBB169_832
; %bb.831:
	v_cvt_f32_f64_e32 v8, v[4:5]
	v_cvt_f32_f64_e32 v9, v[6:7]
	global_store_b64 v[0:1], v[8:9], off
.LBB169_832:
	s_mov_b32 s3, 0
.LBB169_833:
	s_delay_alu instid0(SALU_CYCLE_1)
	s_and_not1_b32 vcc_lo, exec_lo, s3
	s_cbranch_vccnz .LBB169_835
; %bb.834:
	v_cvt_f32_f64_e32 v3, v[6:7]
	v_cvt_f32_f64_e32 v6, v[4:5]
	s_delay_alu instid0(VALU_DEP_2) | instskip(NEXT) | instid1(VALU_DEP_2)
	v_cvt_f16_f32_e32 v3, v3
	v_cvt_f16_f32_e32 v6, v6
	s_delay_alu instid0(VALU_DEP_2) | instskip(NEXT) | instid1(VALU_DEP_2)
	v_lshlrev_b32_e32 v3, 16, v3
	v_and_b32_e32 v6, 0xffff, v6
	s_delay_alu instid0(VALU_DEP_1)
	v_or_b32_e32 v3, v3, v6
	global_store_b32 v[0:1], v3, off
.LBB169_835:
	s_mov_b32 s3, 0
.LBB169_836:
	s_delay_alu instid0(SALU_CYCLE_1)
	s_and_not1_b32 vcc_lo, exec_lo, s3
	s_cbranch_vccnz .LBB169_845
; %bb.837:
	v_cmp_gt_i16_e32 vcc_lo, 6, v2
	s_mov_b32 s3, -1
	s_cbranch_vccnz .LBB169_843
; %bb.838:
	v_cmp_lt_i16_e32 vcc_lo, 6, v2
	s_cbranch_vccz .LBB169_840
; %bb.839:
	s_mov_b32 s3, 0
	global_store_b64 v[0:1], v[4:5], off
.LBB169_840:
	s_and_not1_b32 vcc_lo, exec_lo, s3
	s_cbranch_vccnz .LBB169_842
; %bb.841:
	v_cvt_f32_f64_e32 v3, v[4:5]
	global_store_b32 v[0:1], v3, off
.LBB169_842:
	s_mov_b32 s3, 0
.LBB169_843:
	s_delay_alu instid0(SALU_CYCLE_1)
	s_and_not1_b32 vcc_lo, exec_lo, s3
	s_cbranch_vccnz .LBB169_845
; %bb.844:
	v_cvt_f32_f64_e32 v3, v[4:5]
	s_delay_alu instid0(VALU_DEP_1)
	v_cvt_f16_f32_e32 v3, v3
	global_store_b16 v[0:1], v3, off
.LBB169_845:
	s_mov_b32 s3, 0
.LBB169_846:
	s_delay_alu instid0(SALU_CYCLE_1)
	s_and_not1_b32 vcc_lo, exec_lo, s3
	s_cbranch_vccnz .LBB169_862
; %bb.847:
	v_cmp_gt_i16_e32 vcc_lo, 2, v2
	s_mov_b32 s3, -1
	s_cbranch_vccnz .LBB169_857
; %bb.848:
	v_cmp_gt_i16_e32 vcc_lo, 3, v2
	s_cbranch_vccnz .LBB169_854
; %bb.849:
	v_cmp_lt_i16_e32 vcc_lo, 3, v2
	s_cbranch_vccz .LBB169_851
; %bb.850:
	v_trunc_f64_e32 v[6:7], v[4:5]
	s_mov_b32 s3, 0
	s_delay_alu instid0(VALU_DEP_1) | instskip(NEXT) | instid1(VALU_DEP_1)
	v_ldexp_f64 v[8:9], v[6:7], 0xffffffe0
	v_floor_f64_e32 v[8:9], v[8:9]
	s_delay_alu instid0(VALU_DEP_1) | instskip(SKIP_1) | instid1(VALU_DEP_2)
	v_fma_f64 v[6:7], 0xc1f00000, v[8:9], v[6:7]
	v_cvt_i32_f64_e32 v8, v[8:9]
	v_cvt_u32_f64_e32 v7, v[6:7]
	global_store_b64 v[0:1], v[7:8], off
.LBB169_851:
	s_and_not1_b32 vcc_lo, exec_lo, s3
	s_cbranch_vccnz .LBB169_853
; %bb.852:
	v_cvt_i32_f64_e32 v3, v[4:5]
	global_store_b32 v[0:1], v3, off
.LBB169_853:
	s_mov_b32 s3, 0
.LBB169_854:
	s_delay_alu instid0(SALU_CYCLE_1)
	s_and_not1_b32 vcc_lo, exec_lo, s3
	s_cbranch_vccnz .LBB169_856
; %bb.855:
	v_cvt_i32_f64_e32 v3, v[4:5]
	global_store_b16 v[0:1], v3, off
.LBB169_856:
	s_mov_b32 s3, 0
.LBB169_857:
	s_delay_alu instid0(SALU_CYCLE_1)
	s_and_not1_b32 vcc_lo, exec_lo, s3
	s_cbranch_vccnz .LBB169_862
; %bb.858:
	v_cmp_lt_i16_e32 vcc_lo, 0, v2
	s_mov_b32 s3, -1
	s_cbranch_vccz .LBB169_860
; %bb.859:
	v_cvt_i32_f64_e32 v2, v[4:5]
	s_mov_b32 s3, 0
	global_store_b8 v[0:1], v2, off
.LBB169_860:
	s_and_not1_b32 vcc_lo, exec_lo, s3
	s_cbranch_vccnz .LBB169_862
; %bb.861:
	v_trunc_f64_e32 v[2:3], v[4:5]
	s_delay_alu instid0(VALU_DEP_1) | instskip(NEXT) | instid1(VALU_DEP_1)
	v_ldexp_f64 v[4:5], v[2:3], 0xffffffe0
	v_floor_f64_e32 v[4:5], v[4:5]
	s_delay_alu instid0(VALU_DEP_1) | instskip(NEXT) | instid1(VALU_DEP_1)
	v_fma_f64 v[2:3], 0xc1f00000, v[4:5], v[2:3]
	v_cvt_u32_f64_e32 v2, v[2:3]
	global_store_b8 v[0:1], v2, off
.LBB169_862:
	s_branch .LBB169_939
.LBB169_863:
	s_mov_b32 s3, 0
.LBB169_864:
                                        ; implicit-def: $vgpr16
	s_branch .LBB169_940
.LBB169_865:
	s_mov_b32 s2, s38
	s_branch .LBB169_896
.LBB169_866:
	s_mov_b32 s2, s38
	s_branch .LBB169_879
.LBB169_867:
	s_mov_b32 s2, s38
	s_branch .LBB169_875
.LBB169_868:
	s_mov_b32 s2, s38
.LBB169_869:
	s_and_b32 vcc_lo, exec_lo, s22
	s_cbranch_vccz .LBB169_874
; %bb.870:
	v_cmp_eq_u16_e32 vcc_lo, 44, v2
	s_mov_b32 s2, -1
	s_cbranch_vccz .LBB169_874
; %bb.871:
	v_cvt_f32_f64_e32 v3, v[4:5]
	v_mov_b32_e32 v8, 0xff
	s_mov_b32 s3, exec_lo
	s_delay_alu instid0(VALU_DEP_2) | instskip(NEXT) | instid1(VALU_DEP_1)
	v_bfe_u32 v9, v3, 23, 8
	v_cmpx_ne_u32_e32 0xff, v9
; %bb.872:
	v_and_b32_e32 v8, 0x400000, v3
	v_and_or_b32 v9, 0x3fffff, v3, v9
	v_lshrrev_b32_e32 v3, 23, v3
	s_delay_alu instid0(VALU_DEP_3) | instskip(NEXT) | instid1(VALU_DEP_3)
	v_cmp_ne_u32_e32 vcc_lo, 0, v8
	v_cmp_ne_u32_e64 s2, 0, v9
	s_delay_alu instid0(VALU_DEP_1) | instskip(NEXT) | instid1(SALU_CYCLE_1)
	s_and_b32 s2, vcc_lo, s2
	v_cndmask_b32_e64 v8, 0, 1, s2
	s_delay_alu instid0(VALU_DEP_1)
	v_add_nc_u32_e32 v8, v3, v8
; %bb.873:
	s_or_b32 exec_lo, exec_lo, s3
	s_mov_b32 s3, -1
	s_mov_b32 s2, 0
	global_store_b8 v[0:1], v8, off
.LBB169_874:
	s_mov_b32 s22, 0
.LBB169_875:
	s_delay_alu instid0(SALU_CYCLE_1)
	s_and_b32 vcc_lo, exec_lo, s22
	s_cbranch_vccz .LBB169_878
; %bb.876:
	v_cmp_eq_u16_e32 vcc_lo, 29, v2
	s_mov_b32 s2, -1
	s_cbranch_vccz .LBB169_878
; %bb.877:
	v_trunc_f64_e32 v[8:9], v[4:5]
	s_mov_b32 s3, -1
	s_mov_b32 s2, 0
	s_mov_b32 s22, 0
	s_delay_alu instid0(VALU_DEP_1) | instskip(NEXT) | instid1(VALU_DEP_1)
	v_ldexp_f64 v[10:11], v[8:9], 0xffffffe0
	v_floor_f64_e32 v[10:11], v[10:11]
	s_delay_alu instid0(VALU_DEP_1) | instskip(SKIP_1) | instid1(VALU_DEP_2)
	v_fma_f64 v[8:9], 0xc1f00000, v[10:11], v[8:9]
	v_cvt_u32_f64_e32 v10, v[10:11]
	v_cvt_u32_f64_e32 v9, v[8:9]
	global_store_b64 v[0:1], v[9:10], off
	s_branch .LBB169_879
.LBB169_878:
	s_mov_b32 s22, 0
.LBB169_879:
	s_delay_alu instid0(SALU_CYCLE_1)
	s_and_b32 vcc_lo, exec_lo, s22
	s_cbranch_vccz .LBB169_895
; %bb.880:
	v_cmp_gt_i16_e32 vcc_lo, 27, v2
	s_mov_b32 s3, -1
	s_cbranch_vccnz .LBB169_886
; %bb.881:
	v_cmp_lt_i16_e32 vcc_lo, 27, v2
	s_cbranch_vccz .LBB169_883
; %bb.882:
	v_cvt_u32_f64_e32 v3, v[4:5]
	s_mov_b32 s3, 0
	global_store_b32 v[0:1], v3, off
.LBB169_883:
	s_and_not1_b32 vcc_lo, exec_lo, s3
	s_cbranch_vccnz .LBB169_885
; %bb.884:
	v_cvt_u32_f64_e32 v3, v[4:5]
	global_store_b16 v[0:1], v3, off
.LBB169_885:
	s_mov_b32 s3, 0
.LBB169_886:
	s_delay_alu instid0(SALU_CYCLE_1)
	s_and_not1_b32 vcc_lo, exec_lo, s3
	s_cbranch_vccnz .LBB169_894
; %bb.887:
	v_cvt_f32_f64_e32 v3, v[4:5]
	v_mov_b32_e32 v9, 0x80
	s_mov_b32 s3, exec_lo
	s_delay_alu instid0(VALU_DEP_2) | instskip(NEXT) | instid1(VALU_DEP_1)
	v_and_b32_e32 v8, 0x7fffffff, v3
	v_cmpx_gt_u32_e32 0x43800000, v8
	s_cbranch_execz .LBB169_893
; %bb.888:
	v_cmp_lt_u32_e32 vcc_lo, 0x3bffffff, v8
	s_mov_b32 s22, 0
                                        ; implicit-def: $vgpr8
	s_and_saveexec_b32 s23, vcc_lo
	s_delay_alu instid0(SALU_CYCLE_1)
	s_xor_b32 s23, exec_lo, s23
	s_cbranch_execz .LBB169_967
; %bb.889:
	v_bfe_u32 v8, v3, 20, 1
	s_mov_b32 s22, exec_lo
	s_delay_alu instid0(VALU_DEP_1) | instskip(NEXT) | instid1(VALU_DEP_1)
	v_add3_u32 v8, v3, v8, 0x487ffff
	v_lshrrev_b32_e32 v8, 20, v8
	s_or_saveexec_b32 s23, s23
                                        ; implicit-def: $sgpr42
	s_delay_alu instid0(SALU_CYCLE_1)
	s_xor_b32 exec_lo, exec_lo, s23
	s_cbranch_execnz .LBB169_968
.LBB169_890:
	s_or_b32 exec_lo, exec_lo, s23
	v_mov_b32_e32 v9, s42
	s_and_saveexec_b32 s23, s22
.LBB169_891:
	v_lshrrev_b32_e32 v3, 24, v3
	s_delay_alu instid0(VALU_DEP_1)
	v_and_or_b32 v9, 0x80, v3, v8
.LBB169_892:
	s_or_b32 exec_lo, exec_lo, s23
.LBB169_893:
	s_delay_alu instid0(SALU_CYCLE_1)
	s_or_b32 exec_lo, exec_lo, s3
	global_store_b8 v[0:1], v9, off
.LBB169_894:
	s_mov_b32 s3, -1
.LBB169_895:
	s_mov_b32 s22, 0
.LBB169_896:
	s_delay_alu instid0(SALU_CYCLE_1)
	s_and_b32 vcc_lo, exec_lo, s22
	s_cbranch_vccz .LBB169_937
; %bb.897:
	v_cmp_lt_i16_e32 vcc_lo, 22, v2
	s_mov_b32 s22, -1
	s_cbranch_vccz .LBB169_929
; %bb.898:
	v_cmp_gt_i16_e32 vcc_lo, 24, v2
	s_mov_b32 s3, -1
	s_cbranch_vccnz .LBB169_918
; %bb.899:
	v_cmp_lt_i16_e32 vcc_lo, 24, v2
	s_cbranch_vccz .LBB169_907
; %bb.900:
	v_cvt_f32_f64_e32 v3, v[4:5]
	v_mov_b32_e32 v9, 0x80
	s_mov_b32 s3, exec_lo
	s_delay_alu instid0(VALU_DEP_2) | instskip(NEXT) | instid1(VALU_DEP_1)
	v_and_b32_e32 v8, 0x7fffffff, v3
	v_cmpx_gt_u32_e32 0x47800000, v8
	s_cbranch_execz .LBB169_906
; %bb.901:
	v_cmp_lt_u32_e32 vcc_lo, 0x37ffffff, v8
	s_mov_b32 s22, 0
                                        ; implicit-def: $vgpr8
	s_and_saveexec_b32 s23, vcc_lo
	s_delay_alu instid0(SALU_CYCLE_1)
	s_xor_b32 s23, exec_lo, s23
	s_cbranch_execz .LBB169_970
; %bb.902:
	v_bfe_u32 v8, v3, 21, 1
	s_mov_b32 s22, exec_lo
	s_delay_alu instid0(VALU_DEP_1) | instskip(NEXT) | instid1(VALU_DEP_1)
	v_add3_u32 v8, v3, v8, 0x88fffff
	v_lshrrev_b32_e32 v8, 21, v8
	s_or_saveexec_b32 s23, s23
                                        ; implicit-def: $sgpr42
	s_delay_alu instid0(SALU_CYCLE_1)
	s_xor_b32 exec_lo, exec_lo, s23
	s_cbranch_execnz .LBB169_971
.LBB169_903:
	s_or_b32 exec_lo, exec_lo, s23
	v_mov_b32_e32 v9, s42
	s_and_saveexec_b32 s23, s22
.LBB169_904:
	v_lshrrev_b32_e32 v3, 24, v3
	s_delay_alu instid0(VALU_DEP_1)
	v_and_or_b32 v9, 0x80, v3, v8
.LBB169_905:
	s_or_b32 exec_lo, exec_lo, s23
.LBB169_906:
	s_delay_alu instid0(SALU_CYCLE_1)
	s_or_b32 exec_lo, exec_lo, s3
	s_mov_b32 s3, 0
	global_store_b8 v[0:1], v9, off
.LBB169_907:
	s_and_b32 vcc_lo, exec_lo, s3
	s_cbranch_vccz .LBB169_917
; %bb.908:
	v_cvt_f32_f64_e32 v3, v[4:5]
	s_mov_b32 s3, exec_lo
                                        ; implicit-def: $vgpr8
	s_delay_alu instid0(VALU_DEP_1) | instskip(NEXT) | instid1(VALU_DEP_1)
	v_and_b32_e32 v9, 0x7fffffff, v3
	v_cmpx_gt_u32_e32 0x43f00000, v9
	s_xor_b32 s3, exec_lo, s3
	s_cbranch_execz .LBB169_914
; %bb.909:
	s_mov_b32 s22, exec_lo
                                        ; implicit-def: $vgpr8
	v_cmpx_lt_u32_e32 0x3c7fffff, v9
	s_xor_b32 s22, exec_lo, s22
; %bb.910:
	v_bfe_u32 v8, v3, 20, 1
	s_delay_alu instid0(VALU_DEP_1) | instskip(NEXT) | instid1(VALU_DEP_1)
	v_add3_u32 v8, v3, v8, 0x407ffff
	v_and_b32_e32 v9, 0xff00000, v8
	v_lshrrev_b32_e32 v8, 20, v8
	s_delay_alu instid0(VALU_DEP_2) | instskip(NEXT) | instid1(VALU_DEP_2)
	v_cmp_ne_u32_e32 vcc_lo, 0x7f00000, v9
	v_cndmask_b32_e32 v8, 0x7e, v8, vcc_lo
; %bb.911:
	s_and_not1_saveexec_b32 s22, s22
; %bb.912:
	v_add_f32_e64 v8, 0x46800000, |v3|
; %bb.913:
	s_or_b32 exec_lo, exec_lo, s22
                                        ; implicit-def: $vgpr9
.LBB169_914:
	s_and_not1_saveexec_b32 s3, s3
; %bb.915:
	v_mov_b32_e32 v8, 0x7f
	v_cmp_lt_u32_e32 vcc_lo, 0x7f800000, v9
	s_delay_alu instid0(VALU_DEP_2)
	v_cndmask_b32_e32 v8, 0x7e, v8, vcc_lo
; %bb.916:
	s_or_b32 exec_lo, exec_lo, s3
	v_lshrrev_b32_e32 v3, 24, v3
	s_delay_alu instid0(VALU_DEP_1)
	v_and_or_b32 v3, 0x80, v3, v8
	global_store_b8 v[0:1], v3, off
.LBB169_917:
	s_mov_b32 s3, 0
.LBB169_918:
	s_delay_alu instid0(SALU_CYCLE_1)
	s_and_not1_b32 vcc_lo, exec_lo, s3
	s_cbranch_vccnz .LBB169_928
; %bb.919:
	v_cvt_f32_f64_e32 v3, v[4:5]
	s_mov_b32 s3, exec_lo
                                        ; implicit-def: $vgpr8
	s_delay_alu instid0(VALU_DEP_1) | instskip(NEXT) | instid1(VALU_DEP_1)
	v_and_b32_e32 v9, 0x7fffffff, v3
	v_cmpx_gt_u32_e32 0x47800000, v9
	s_xor_b32 s3, exec_lo, s3
	s_cbranch_execz .LBB169_925
; %bb.920:
	s_mov_b32 s22, exec_lo
                                        ; implicit-def: $vgpr8
	v_cmpx_lt_u32_e32 0x387fffff, v9
	s_xor_b32 s22, exec_lo, s22
; %bb.921:
	v_bfe_u32 v8, v3, 21, 1
	s_delay_alu instid0(VALU_DEP_1) | instskip(NEXT) | instid1(VALU_DEP_1)
	v_add3_u32 v8, v3, v8, 0x80fffff
	v_lshrrev_b32_e32 v8, 21, v8
; %bb.922:
	s_and_not1_saveexec_b32 s22, s22
; %bb.923:
	v_add_f32_e64 v8, 0x43000000, |v3|
; %bb.924:
	s_or_b32 exec_lo, exec_lo, s22
                                        ; implicit-def: $vgpr9
.LBB169_925:
	s_and_not1_saveexec_b32 s3, s3
; %bb.926:
	v_mov_b32_e32 v8, 0x7f
	v_cmp_lt_u32_e32 vcc_lo, 0x7f800000, v9
	s_delay_alu instid0(VALU_DEP_2)
	v_cndmask_b32_e32 v8, 0x7c, v8, vcc_lo
; %bb.927:
	s_or_b32 exec_lo, exec_lo, s3
	v_lshrrev_b32_e32 v3, 24, v3
	s_delay_alu instid0(VALU_DEP_1)
	v_and_or_b32 v3, 0x80, v3, v8
	global_store_b8 v[0:1], v3, off
.LBB169_928:
	s_mov_b32 s22, 0
	s_mov_b32 s3, -1
.LBB169_929:
	s_and_not1_b32 vcc_lo, exec_lo, s22
	s_cbranch_vccnz .LBB169_937
; %bb.930:
	v_cmp_lt_i16_e32 vcc_lo, 14, v2
	s_mov_b32 s22, -1
	s_cbranch_vccz .LBB169_934
; %bb.931:
	v_cmp_eq_u16_e32 vcc_lo, 15, v2
	s_mov_b32 s2, -1
	s_cbranch_vccz .LBB169_933
; %bb.932:
	v_cvt_f32_f64_e32 v3, v[4:5]
	s_mov_b32 s3, -1
	s_mov_b32 s2, 0
	s_delay_alu instid0(VALU_DEP_1) | instskip(SKIP_1) | instid1(VALU_DEP_2)
	v_bfe_u32 v8, v3, 16, 1
	v_cmp_o_f32_e32 vcc_lo, v3, v3
	v_add3_u32 v8, v3, v8, 0x7fff
	s_delay_alu instid0(VALU_DEP_1) | instskip(NEXT) | instid1(VALU_DEP_1)
	v_lshrrev_b32_e32 v8, 16, v8
	v_cndmask_b32_e32 v3, 0x7fc0, v8, vcc_lo
	global_store_b16 v[0:1], v3, off
.LBB169_933:
	s_mov_b32 s22, 0
.LBB169_934:
	s_delay_alu instid0(SALU_CYCLE_1)
	s_and_b32 vcc_lo, exec_lo, s22
	s_cbranch_vccz .LBB169_937
; %bb.935:
	v_cmp_eq_u16_e32 vcc_lo, 11, v2
	s_mov_b32 s2, -1
	s_cbranch_vccz .LBB169_937
; %bb.936:
	v_cmp_neq_f64_e32 vcc_lo, 0, v[4:5]
	v_cmp_neq_f64_e64 s2, 0, v[6:7]
	s_mov_b32 s3, -1
	s_delay_alu instid0(VALU_DEP_1) | instskip(NEXT) | instid1(SALU_CYCLE_1)
	s_or_b32 s2, vcc_lo, s2
	v_cndmask_b32_e64 v3, 0, 1, s2
	s_mov_b32 s2, 0
	global_store_b8 v[0:1], v3, off
.LBB169_937:
.LBB169_938:
	s_and_not1_b32 vcc_lo, exec_lo, s3
	s_cbranch_vccnz .LBB169_863
.LBB169_939:
	v_add_nc_u32_e32 v16, 0x80, v16
	s_mov_b32 s3, -1
.LBB169_940:
	s_and_not1_b32 s22, s38, exec_lo
	s_and_b32 s2, s2, exec_lo
	s_and_not1_b32 s42, s37, exec_lo
	s_and_b32 s41, s41, exec_lo
	s_or_b32 s23, s22, s2
	s_or_b32 s22, s42, s41
	s_or_not1_b32 s42, s3, exec_lo
.LBB169_941:
	s_or_b32 exec_lo, exec_lo, s40
	s_mov_b32 s3, 0
	s_mov_b32 s2, 0
	s_mov_b32 s41, 0
                                        ; implicit-def: $vgpr4_vgpr5
                                        ; implicit-def: $vgpr8
                                        ; implicit-def: $vgpr2_vgpr3
	s_and_saveexec_b32 s40, s42
	s_cbranch_execz .LBB169_1042
; %bb.942:
	v_cmp_gt_i32_e32 vcc_lo, s30, v16
	s_mov_b32 s42, s22
                                        ; implicit-def: $vgpr4_vgpr5
                                        ; implicit-def: $vgpr8
                                        ; implicit-def: $vgpr2_vgpr3
	s_and_saveexec_b32 s30, vcc_lo
	s_cbranch_execz .LBB169_1041
; %bb.943:
	s_and_not1_b32 vcc_lo, exec_lo, s27
	s_cbranch_vccnz .LBB169_948
; %bb.944:
	v_mov_b32_e32 v8, 0
	s_waitcnt vmcnt(0)
	v_mov_b32_e32 v0, 0
	s_and_not1_b32 vcc_lo, exec_lo, s33
	s_mov_b32 s33, 0
	s_cbranch_vccnz .LBB169_953
; %bb.945:
	v_mov_b32_e32 v8, 0
	s_add_i32 s41, s31, 1
	s_cmp_eq_u32 s25, 2
	s_mov_b32 s31, 0
	s_cbranch_scc1 .LBB169_949
; %bb.946:
	v_dual_mov_b32 v0, 0 :: v_dual_mov_b32 v1, v16
	v_mov_b32_e32 v8, 0
	s_and_b32 s31, s41, 28
	s_mov_b32 s42, 0
	s_mov_b64 s[2:3], s[16:17]
.LBB169_947:                            ; =>This Inner Loop Header: Depth=1
	s_clause 0x1
	s_load_b256 s[44:51], s[2:3], 0x4
	s_load_b128 s[60:63], s[2:3], 0x24
	s_load_b256 s[52:59], s[20:21], 0x0
	s_add_u32 s2, s2, 48
	s_addc_u32 s3, s3, 0
	s_add_i32 s42, s42, 4
	s_add_u32 s20, s20, 32
	s_addc_u32 s21, s21, 0
	s_cmp_eq_u32 s31, s42
	s_waitcnt lgkmcnt(0)
	v_mul_hi_u32 v2, s45, v1
	s_delay_alu instid0(VALU_DEP_1) | instskip(NEXT) | instid1(VALU_DEP_1)
	v_add_nc_u32_e32 v2, v1, v2
	v_lshrrev_b32_e32 v2, s46, v2
	s_delay_alu instid0(VALU_DEP_1) | instskip(SKIP_1) | instid1(VALU_DEP_2)
	v_mul_hi_u32 v3, s48, v2
	v_mul_lo_u32 v5, v2, s44
	v_add_nc_u32_e32 v3, v2, v3
	s_delay_alu instid0(VALU_DEP_2) | instskip(NEXT) | instid1(VALU_DEP_2)
	v_sub_nc_u32_e32 v1, v1, v5
	v_lshrrev_b32_e32 v3, s49, v3
	s_delay_alu instid0(VALU_DEP_2) | instskip(SKIP_1) | instid1(VALU_DEP_3)
	v_mul_lo_u32 v5, v1, s52
	v_mul_lo_u32 v7, v1, s53
	v_mul_hi_u32 v4, s51, v3
	s_delay_alu instid0(VALU_DEP_1) | instskip(NEXT) | instid1(VALU_DEP_1)
	v_add_nc_u32_e32 v4, v3, v4
	v_lshrrev_b32_e32 v4, s60, v4
	s_delay_alu instid0(VALU_DEP_1) | instskip(SKIP_1) | instid1(VALU_DEP_2)
	v_mul_hi_u32 v6, s62, v4
	v_mul_lo_u32 v9, v4, s50
	v_add_nc_u32_e32 v1, v4, v6
	v_mul_lo_u32 v6, v3, s47
	s_delay_alu instid0(VALU_DEP_3) | instskip(NEXT) | instid1(VALU_DEP_3)
	v_sub_nc_u32_e32 v3, v3, v9
	v_lshrrev_b32_e32 v1, s63, v1
	s_delay_alu instid0(VALU_DEP_2) | instskip(SKIP_2) | instid1(VALU_DEP_4)
	v_mul_lo_u32 v9, v3, s56
	v_mul_lo_u32 v3, v3, s57
	v_sub_nc_u32_e32 v2, v2, v6
	v_mul_lo_u32 v10, v1, s61
	s_delay_alu instid0(VALU_DEP_2) | instskip(SKIP_1) | instid1(VALU_DEP_3)
	v_mul_lo_u32 v6, v2, s54
	v_mul_lo_u32 v2, v2, s55
	v_sub_nc_u32_e32 v4, v4, v10
	s_delay_alu instid0(VALU_DEP_3) | instskip(NEXT) | instid1(VALU_DEP_2)
	v_add3_u32 v5, v5, v8, v6
	v_mul_lo_u32 v10, v4, s58
	v_mul_lo_u32 v4, v4, s59
	v_add3_u32 v0, v7, v0, v2
	s_delay_alu instid0(VALU_DEP_3) | instskip(NEXT) | instid1(VALU_DEP_2)
	v_add3_u32 v8, v9, v5, v10
	v_add3_u32 v0, v3, v0, v4
	s_cbranch_scc0 .LBB169_947
	s_branch .LBB169_950
.LBB169_948:
	s_mov_b32 s33, -1
                                        ; implicit-def: $vgpr8
                                        ; implicit-def: $vgpr0
	s_branch .LBB169_953
.LBB169_949:
	v_dual_mov_b32 v1, v16 :: v_dual_mov_b32 v0, 0
.LBB169_950:
	s_and_b32 s41, s41, 3
	s_delay_alu instid0(SALU_CYCLE_1)
	s_cmp_eq_u32 s41, 0
	s_cbranch_scc1 .LBB169_953
; %bb.951:
	s_lshl_b32 s2, s31, 3
	s_mul_i32 s20, s31, 12
	s_add_u32 s2, s2, s16
	s_addc_u32 s3, s17, 0
	s_add_u32 s2, s2, 0xc4
	s_addc_u32 s3, s3, 0
	;; [unrolled: 2-line block ×3, first 2 shown]
.LBB169_952:                            ; =>This Inner Loop Header: Depth=1
	s_clause 0x1
	s_load_b64 s[42:43], s[20:21], 0x4
	s_load_b32 s31, s[20:21], 0xc
	s_load_b64 s[44:45], s[2:3], 0x0
	s_add_u32 s20, s20, 12
	s_addc_u32 s21, s21, 0
	s_add_u32 s2, s2, 8
	s_addc_u32 s3, s3, 0
	s_add_i32 s41, s41, -1
	s_delay_alu instid0(SALU_CYCLE_1) | instskip(SKIP_2) | instid1(VALU_DEP_1)
	s_cmp_lg_u32 s41, 0
	s_waitcnt lgkmcnt(0)
	v_mul_hi_u32 v2, s43, v1
	v_add_nc_u32_e32 v2, v1, v2
	s_delay_alu instid0(VALU_DEP_1) | instskip(NEXT) | instid1(VALU_DEP_1)
	v_lshrrev_b32_e32 v5, s31, v2
	v_mul_lo_u32 v2, v5, s42
	s_delay_alu instid0(VALU_DEP_1) | instskip(NEXT) | instid1(VALU_DEP_1)
	v_sub_nc_u32_e32 v1, v1, v2
	v_mad_u64_u32 v[2:3], null, v1, s44, v[8:9]
	v_mad_u64_u32 v[3:4], null, v1, s45, v[0:1]
	s_delay_alu instid0(VALU_DEP_2) | instskip(NEXT) | instid1(VALU_DEP_2)
	v_dual_mov_b32 v1, v5 :: v_dual_mov_b32 v8, v2
	v_mov_b32_e32 v0, v3
	s_cbranch_scc1 .LBB169_952
.LBB169_953:
	s_and_not1_b32 vcc_lo, exec_lo, s33
	s_cbranch_vccnz .LBB169_956
; %bb.954:
	s_waitcnt vmcnt(0) lgkmcnt(0)
	v_mul_hi_u32 v0, s13, v16
	s_and_not1_b32 vcc_lo, exec_lo, s29
	s_delay_alu instid0(VALU_DEP_1) | instskip(NEXT) | instid1(VALU_DEP_1)
	v_add_nc_u32_e32 v0, v16, v0
	v_lshrrev_b32_e32 v1, s14, v0
	s_delay_alu instid0(VALU_DEP_1) | instskip(NEXT) | instid1(VALU_DEP_1)
	v_mul_lo_u32 v0, v1, s12
	v_sub_nc_u32_e32 v0, v16, v0
	s_delay_alu instid0(VALU_DEP_1)
	v_mul_lo_u32 v8, v0, s8
	v_mul_lo_u32 v0, v0, s9
	s_cbranch_vccnz .LBB169_956
; %bb.955:
	v_mul_hi_u32 v2, s18, v1
	s_delay_alu instid0(VALU_DEP_1) | instskip(NEXT) | instid1(VALU_DEP_1)
	v_add_nc_u32_e32 v2, v1, v2
	v_lshrrev_b32_e32 v2, s19, v2
	s_delay_alu instid0(VALU_DEP_1) | instskip(NEXT) | instid1(VALU_DEP_1)
	v_mul_lo_u32 v2, v2, s15
	v_sub_nc_u32_e32 v4, v1, v2
	s_delay_alu instid0(VALU_DEP_1) | instskip(NEXT) | instid1(VALU_DEP_1)
	v_mad_u64_u32 v[1:2], null, v4, s10, v[8:9]
	v_mad_u64_u32 v[2:3], null, v4, s11, v[0:1]
	v_mov_b32_e32 v8, v1
	s_delay_alu instid0(VALU_DEP_2)
	v_mov_b32_e32 v0, v2
.LBB169_956:
	v_cmp_gt_i16_e32 vcc_lo, 11, v14
	s_waitcnt vmcnt(0) lgkmcnt(0)
	s_delay_alu instid0(VALU_DEP_2) | instskip(NEXT) | instid1(VALU_DEP_1)
	v_add_co_u32 v4, s2, s6, v0
	v_add_co_ci_u32_e64 v5, null, s7, 0, s2
	s_mov_b32 s6, 0
	s_cbranch_vccnz .LBB169_963
; %bb.957:
	v_cmp_lt_i16_e32 vcc_lo, 25, v14
	s_mov_b32 s9, 0
	s_cbranch_vccz .LBB169_964
; %bb.958:
	v_cmp_lt_i16_e32 vcc_lo, 28, v14
	s_cbranch_vccz .LBB169_965
; %bb.959:
	v_cmp_lt_i16_e32 vcc_lo, 43, v14
	s_cbranch_vccz .LBB169_966
; %bb.960:
	v_cmp_lt_i16_e32 vcc_lo, 45, v14
	s_cbranch_vccz .LBB169_969
; %bb.961:
	v_cmp_eq_u16_e32 vcc_lo, 46, v14
	s_mov_b32 s2, 0
	s_cbranch_vccz .LBB169_972
; %bb.962:
	global_load_b32 v0, v[4:5], off
	s_mov_b32 s8, 0
	s_mov_b32 s6, -1
	s_waitcnt vmcnt(0)
	v_lshlrev_b32_e32 v1, 16, v0
	v_and_b32_e32 v2, 0xffff0000, v0
	s_delay_alu instid0(VALU_DEP_2) | instskip(NEXT) | instid1(VALU_DEP_2)
	v_cvt_f64_f32_e32 v[0:1], v1
	v_cvt_f64_f32_e32 v[2:3], v2
	s_branch .LBB169_974
.LBB169_963:
	s_mov_b32 s2, -1
	s_mov_b32 s9, 0
	s_mov_b32 s8, s22
                                        ; implicit-def: $vgpr2_vgpr3
	s_branch .LBB169_1040
.LBB169_964:
	s_mov_b32 s2, -1
	s_mov_b32 s8, s22
                                        ; implicit-def: $vgpr2_vgpr3
	s_branch .LBB169_1007
.LBB169_965:
	s_mov_b32 s2, -1
	s_mov_b32 s8, s22
                                        ; implicit-def: $vgpr2_vgpr3
	s_branch .LBB169_986
.LBB169_966:
	s_mov_b32 s2, -1
	s_mov_b32 s8, s22
                                        ; implicit-def: $vgpr2_vgpr3
	s_branch .LBB169_980
.LBB169_967:
	s_or_saveexec_b32 s23, s23
                                        ; implicit-def: $sgpr42
	s_delay_alu instid0(SALU_CYCLE_1)
	s_xor_b32 exec_lo, exec_lo, s23
	s_cbranch_execz .LBB169_890
.LBB169_968:
	v_add_f32_e64 v8, 0x46000000, |v3|
	s_and_not1_b32 s22, s22, exec_lo
	s_mov_b32 s42, 0
	s_delay_alu instid0(VALU_DEP_1) | instskip(NEXT) | instid1(VALU_DEP_1)
	v_and_b32_e32 v8, 0xff, v8
	v_cmp_ne_u32_e32 vcc_lo, 0, v8
	s_and_b32 s43, vcc_lo, exec_lo
	s_delay_alu instid0(SALU_CYCLE_1)
	s_or_b32 s22, s22, s43
	s_or_b32 exec_lo, exec_lo, s23
	v_mov_b32_e32 v9, s42
	s_and_saveexec_b32 s23, s22
	s_cbranch_execnz .LBB169_891
	s_branch .LBB169_892
.LBB169_969:
	s_mov_b32 s2, -1
	s_mov_b32 s8, s22
	s_branch .LBB169_973
.LBB169_970:
	s_or_saveexec_b32 s23, s23
                                        ; implicit-def: $sgpr42
	s_delay_alu instid0(SALU_CYCLE_1)
	s_xor_b32 exec_lo, exec_lo, s23
	s_cbranch_execz .LBB169_903
.LBB169_971:
	v_add_f32_e64 v8, 0x42800000, |v3|
	s_and_not1_b32 s22, s22, exec_lo
	s_mov_b32 s42, 0
	s_delay_alu instid0(VALU_DEP_1) | instskip(NEXT) | instid1(VALU_DEP_1)
	v_and_b32_e32 v8, 0xff, v8
	v_cmp_ne_u32_e32 vcc_lo, 0, v8
	s_and_b32 s43, vcc_lo, exec_lo
	s_delay_alu instid0(SALU_CYCLE_1)
	s_or_b32 s22, s22, s43
	s_or_b32 exec_lo, exec_lo, s23
	v_mov_b32_e32 v9, s42
	s_and_saveexec_b32 s23, s22
	s_cbranch_execnz .LBB169_904
	s_branch .LBB169_905
.LBB169_972:
	s_mov_b32 s8, -1
.LBB169_973:
                                        ; implicit-def: $vgpr2_vgpr3
.LBB169_974:
	s_and_b32 vcc_lo, exec_lo, s2
	s_cbranch_vccz .LBB169_979
; %bb.975:
	v_cmp_eq_u16_e32 vcc_lo, 44, v14
	s_cbranch_vccz .LBB169_977
; %bb.976:
	global_load_u8 v2, v[4:5], off
	s_mov_b32 s8, 0
	s_mov_b32 s6, -1
	s_mov_b64 s[2:3], 0
	s_waitcnt vmcnt(0)
	v_cmp_ne_u32_e32 vcc_lo, 0xff, v2
	v_lshlrev_b32_e32 v0, 23, v2
	s_delay_alu instid0(VALU_DEP_1) | instskip(NEXT) | instid1(VALU_DEP_1)
	v_cvt_f64_f32_e32 v[0:1], v0
	v_cndmask_b32_e32 v1, 0x7ff80000, v1, vcc_lo
	s_delay_alu instid0(VALU_DEP_2) | instskip(SKIP_1) | instid1(VALU_DEP_3)
	v_cndmask_b32_e32 v0, 0x20000000, v0, vcc_lo
	v_cmp_ne_u32_e32 vcc_lo, 0, v2
	v_cndmask_b32_e32 v1, 0x38000000, v1, vcc_lo
	s_delay_alu instid0(VALU_DEP_3)
	v_cndmask_b32_e32 v0, 0, v0, vcc_lo
	s_branch .LBB169_978
.LBB169_977:
	s_mov_b32 s8, -1
                                        ; implicit-def: $sgpr2_sgpr3
                                        ; implicit-def: $vgpr0_vgpr1
.LBB169_978:
	v_dual_mov_b32 v2, s2 :: v_dual_mov_b32 v3, s3
.LBB169_979:
	s_mov_b32 s2, 0
.LBB169_980:
	s_delay_alu instid0(SALU_CYCLE_1)
	s_and_b32 vcc_lo, exec_lo, s2
	s_cbranch_vccz .LBB169_985
; %bb.981:
	v_cmp_eq_u16_e32 vcc_lo, 29, v14
	s_cbranch_vccz .LBB169_983
; %bb.982:
	global_load_b64 v[0:1], v[4:5], off
	s_mov_b32 s8, 0
	s_mov_b32 s6, -1
	s_mov_b64 s[2:3], 0
	s_waitcnt vmcnt(0)
	v_cvt_f64_u32_e32 v[1:2], v1
	v_cvt_f64_u32_e32 v[6:7], v0
	s_delay_alu instid0(VALU_DEP_2) | instskip(NEXT) | instid1(VALU_DEP_1)
	v_ldexp_f64 v[1:2], v[1:2], 32
	v_add_f64 v[0:1], v[1:2], v[6:7]
	s_branch .LBB169_984
.LBB169_983:
	s_mov_b32 s8, -1
                                        ; implicit-def: $sgpr2_sgpr3
                                        ; implicit-def: $vgpr0_vgpr1
.LBB169_984:
	v_dual_mov_b32 v2, s2 :: v_dual_mov_b32 v3, s3
.LBB169_985:
	s_mov_b32 s2, 0
.LBB169_986:
	s_delay_alu instid0(SALU_CYCLE_1)
	s_and_b32 vcc_lo, exec_lo, s2
	s_cbranch_vccz .LBB169_1006
; %bb.987:
	v_cmp_gt_i16_e32 vcc_lo, 27, v14
	s_cbranch_vccnz .LBB169_990
; %bb.988:
	v_cmp_lt_i16_e32 vcc_lo, 27, v14
	s_cbranch_vccz .LBB169_991
; %bb.989:
	global_load_b32 v0, v[4:5], off
	s_mov_b32 s6, 0
	s_mov_b64 s[2:3], 0
	s_waitcnt vmcnt(0)
	v_cvt_f64_u32_e32 v[0:1], v0
	s_branch .LBB169_992
.LBB169_990:
	s_mov_b32 s6, -1
                                        ; implicit-def: $sgpr2_sgpr3
                                        ; implicit-def: $vgpr0_vgpr1
	s_branch .LBB169_995
.LBB169_991:
	s_mov_b32 s6, -1
                                        ; implicit-def: $sgpr2_sgpr3
                                        ; implicit-def: $vgpr0_vgpr1
.LBB169_992:
	s_delay_alu instid0(SALU_CYCLE_1)
	s_and_not1_b32 vcc_lo, exec_lo, s6
	s_cbranch_vccnz .LBB169_994
; %bb.993:
	global_load_u16 v0, v[4:5], off
	s_mov_b64 s[2:3], 0
	s_waitcnt vmcnt(0)
	v_cvt_f64_u32_e32 v[0:1], v0
.LBB169_994:
	s_mov_b32 s6, 0
.LBB169_995:
	v_dual_mov_b32 v2, s2 :: v_dual_mov_b32 v3, s3
	s_and_not1_b32 vcc_lo, exec_lo, s6
	s_cbranch_vccnz .LBB169_1005
; %bb.996:
	global_load_u8 v6, v[4:5], off
	s_mov_b32 s10, 0
	s_mov_b32 s11, exec_lo
                                        ; implicit-def: $sgpr2_sgpr3
                                        ; implicit-def: $sgpr6_sgpr7
	s_waitcnt vmcnt(0)
	v_cmpx_lt_i16_e32 0x7f, v6
	s_xor_b32 s11, exec_lo, s11
	s_cbranch_execz .LBB169_1000
; %bb.997:
	s_mov_b32 s10, -1
	s_mov_b32 s12, exec_lo
                                        ; implicit-def: $sgpr2_sgpr3
                                        ; implicit-def: $sgpr6_sgpr7
	v_cmpx_eq_u16_e32 0x80, v6
; %bb.998:
	s_mov_b64 s[2:3], 0
	s_mov_b32 s7, 0x7ff80000
	s_brev_b32 s6, 4
	s_xor_b32 s10, exec_lo, -1
; %bb.999:
	s_or_b32 exec_lo, exec_lo, s12
	s_delay_alu instid0(SALU_CYCLE_1)
	s_and_b32 s10, s10, exec_lo
.LBB169_1000:
	s_or_saveexec_b32 s11, s11
	v_dual_mov_b32 v2, s2 :: v_dual_mov_b32 v3, s3
	v_dual_mov_b32 v0, s6 :: v_dual_mov_b32 v1, s7
	s_xor_b32 exec_lo, exec_lo, s11
; %bb.1001:
	v_mov_b32_e32 v2, 0
	v_mov_b32_e32 v3, 0
	v_cmp_ne_u16_e32 vcc_lo, 0, v6
	s_delay_alu instid0(VALU_DEP_3) | instskip(SKIP_1) | instid1(VALU_DEP_3)
	v_mov_b32_e32 v0, v2
	s_and_not1_b32 s2, s10, exec_lo
	v_mov_b32_e32 v1, v3
	s_and_b32 s3, vcc_lo, exec_lo
	s_delay_alu instid0(SALU_CYCLE_1)
	s_or_b32 s10, s2, s3
; %bb.1002:
	s_or_b32 exec_lo, exec_lo, s11
	s_and_saveexec_b32 s2, s10
	s_cbranch_execz .LBB169_1004
; %bb.1003:
	v_and_b32_e32 v0, 0xffff, v6
	v_lshlrev_b32_e32 v6, 24, v6
	s_delay_alu instid0(VALU_DEP_2) | instskip(NEXT) | instid1(VALU_DEP_1)
	v_and_b32_e32 v1, 7, v0
	v_clz_i32_u32_e32 v2, v1
	s_delay_alu instid0(VALU_DEP_1) | instskip(NEXT) | instid1(VALU_DEP_1)
	v_min_u32_e32 v2, 32, v2
	v_subrev_nc_u32_e32 v3, 28, v2
	v_sub_nc_u32_e32 v2, 29, v2
	s_delay_alu instid0(VALU_DEP_2) | instskip(SKIP_1) | instid1(VALU_DEP_2)
	v_lshlrev_b32_e32 v3, v3, v0
	v_bfe_u32 v0, v0, 3, 4
	v_and_b32_e32 v3, 7, v3
	s_delay_alu instid0(VALU_DEP_2) | instskip(NEXT) | instid1(VALU_DEP_2)
	v_cmp_eq_u32_e32 vcc_lo, 0, v0
	v_dual_cndmask_b32 v0, v0, v2 :: v_dual_cndmask_b32 v1, v1, v3
	v_and_b32_e32 v2, 0x80000000, v6
	s_delay_alu instid0(VALU_DEP_2) | instskip(NEXT) | instid1(VALU_DEP_3)
	v_lshl_add_u32 v0, v0, 23, 0x3b800000
	v_lshlrev_b32_e32 v1, 20, v1
	s_delay_alu instid0(VALU_DEP_1) | instskip(SKIP_2) | instid1(VALU_DEP_3)
	v_or3_b32 v0, v2, v0, v1
	v_mov_b32_e32 v2, 0
	v_mov_b32_e32 v3, 0
	v_cvt_f64_f32_e32 v[0:1], v0
.LBB169_1004:
	s_or_b32 exec_lo, exec_lo, s2
.LBB169_1005:
	s_mov_b32 s6, -1
.LBB169_1006:
	s_mov_b32 s2, 0
.LBB169_1007:
	s_delay_alu instid0(SALU_CYCLE_1)
	s_and_b32 vcc_lo, exec_lo, s2
	s_cbranch_vccz .LBB169_1039
; %bb.1008:
	v_cmp_lt_i16_e32 vcc_lo, 22, v14
	s_cbranch_vccz .LBB169_1020
; %bb.1009:
	v_cmp_gt_i16_e32 vcc_lo, 24, v14
	s_cbranch_vccnz .LBB169_1021
; %bb.1010:
	v_cmp_lt_i16_e32 vcc_lo, 24, v14
	s_cbranch_vccz .LBB169_1022
; %bb.1011:
	global_load_u8 v6, v[4:5], off
	s_mov_b32 s10, exec_lo
                                        ; implicit-def: $sgpr2_sgpr3
                                        ; implicit-def: $sgpr6_sgpr7
	s_waitcnt vmcnt(0)
	v_cmpx_lt_i16_e32 0x7f, v6
	s_xor_b32 s10, exec_lo, s10
	s_cbranch_execz .LBB169_1015
; %bb.1012:
	s_mov_b32 s9, -1
	s_mov_b32 s11, exec_lo
                                        ; implicit-def: $sgpr2_sgpr3
                                        ; implicit-def: $sgpr6_sgpr7
	v_cmpx_eq_u16_e32 0x80, v6
; %bb.1013:
	s_mov_b64 s[2:3], 0
	s_mov_b32 s7, 0x7ff80000
	s_brev_b32 s6, 4
	s_xor_b32 s9, exec_lo, -1
; %bb.1014:
	s_or_b32 exec_lo, exec_lo, s11
	s_delay_alu instid0(SALU_CYCLE_1)
	s_and_b32 s9, s9, exec_lo
.LBB169_1015:
	s_or_saveexec_b32 s10, s10
	v_dual_mov_b32 v2, s2 :: v_dual_mov_b32 v3, s3
	v_dual_mov_b32 v0, s6 :: v_dual_mov_b32 v1, s7
	s_xor_b32 exec_lo, exec_lo, s10
; %bb.1016:
	v_mov_b32_e32 v2, 0
	v_mov_b32_e32 v3, 0
	v_cmp_ne_u16_e32 vcc_lo, 0, v6
	s_delay_alu instid0(VALU_DEP_3) | instskip(SKIP_1) | instid1(VALU_DEP_3)
	v_mov_b32_e32 v0, v2
	s_and_not1_b32 s2, s9, exec_lo
	v_mov_b32_e32 v1, v3
	s_and_b32 s3, vcc_lo, exec_lo
	s_delay_alu instid0(SALU_CYCLE_1)
	s_or_b32 s9, s2, s3
; %bb.1017:
	s_or_b32 exec_lo, exec_lo, s10
	s_and_saveexec_b32 s2, s9
	s_cbranch_execz .LBB169_1019
; %bb.1018:
	v_and_b32_e32 v0, 0xffff, v6
	v_lshlrev_b32_e32 v6, 24, v6
	s_delay_alu instid0(VALU_DEP_2) | instskip(NEXT) | instid1(VALU_DEP_1)
	v_and_b32_e32 v1, 3, v0
	v_clz_i32_u32_e32 v2, v1
	s_delay_alu instid0(VALU_DEP_1) | instskip(NEXT) | instid1(VALU_DEP_1)
	v_min_u32_e32 v2, 32, v2
	v_subrev_nc_u32_e32 v3, 29, v2
	v_sub_nc_u32_e32 v2, 30, v2
	s_delay_alu instid0(VALU_DEP_2) | instskip(SKIP_1) | instid1(VALU_DEP_2)
	v_lshlrev_b32_e32 v3, v3, v0
	v_bfe_u32 v0, v0, 2, 5
	v_and_b32_e32 v3, 3, v3
	s_delay_alu instid0(VALU_DEP_2) | instskip(NEXT) | instid1(VALU_DEP_2)
	v_cmp_eq_u32_e32 vcc_lo, 0, v0
	v_dual_cndmask_b32 v0, v0, v2 :: v_dual_cndmask_b32 v1, v1, v3
	v_and_b32_e32 v2, 0x80000000, v6
	s_delay_alu instid0(VALU_DEP_2) | instskip(NEXT) | instid1(VALU_DEP_3)
	v_lshl_add_u32 v0, v0, 23, 0x37800000
	v_lshlrev_b32_e32 v1, 21, v1
	s_delay_alu instid0(VALU_DEP_1) | instskip(SKIP_2) | instid1(VALU_DEP_3)
	v_or3_b32 v0, v2, v0, v1
	v_mov_b32_e32 v2, 0
	v_mov_b32_e32 v3, 0
	v_cvt_f64_f32_e32 v[0:1], v0
.LBB169_1019:
	s_or_b32 exec_lo, exec_lo, s2
	s_mov_b32 s2, 0
	s_branch .LBB169_1023
.LBB169_1020:
	s_mov_b32 s2, -1
                                        ; implicit-def: $vgpr2_vgpr3
	s_branch .LBB169_1029
.LBB169_1021:
	s_mov_b32 s2, -1
                                        ; implicit-def: $vgpr2_vgpr3
	s_branch .LBB169_1026
.LBB169_1022:
	s_mov_b32 s2, -1
                                        ; implicit-def: $vgpr2_vgpr3
.LBB169_1023:
	s_delay_alu instid0(SALU_CYCLE_1)
	s_and_b32 vcc_lo, exec_lo, s2
	s_cbranch_vccz .LBB169_1025
; %bb.1024:
	global_load_u8 v0, v[4:5], off
	s_waitcnt vmcnt(0)
	v_lshlrev_b32_e32 v0, 24, v0
	s_delay_alu instid0(VALU_DEP_1) | instskip(NEXT) | instid1(VALU_DEP_1)
	v_and_b32_e32 v1, 0x7f000000, v0
	v_clz_i32_u32_e32 v2, v1
	v_add_nc_u32_e32 v6, 0x1000000, v1
	v_cmp_ne_u32_e32 vcc_lo, 0, v1
	s_delay_alu instid0(VALU_DEP_3) | instskip(NEXT) | instid1(VALU_DEP_1)
	v_min_u32_e32 v2, 32, v2
	v_sub_nc_u32_e64 v2, v2, 4 clamp
	s_delay_alu instid0(VALU_DEP_1) | instskip(SKIP_1) | instid1(VALU_DEP_2)
	v_lshlrev_b32_e32 v3, v2, v1
	v_lshlrev_b32_e32 v2, 23, v2
	v_lshrrev_b32_e32 v3, 4, v3
	s_delay_alu instid0(VALU_DEP_1) | instskip(SKIP_1) | instid1(VALU_DEP_2)
	v_sub_nc_u32_e32 v2, v3, v2
	v_ashrrev_i32_e32 v3, 8, v6
	v_add_nc_u32_e32 v2, 0x3c000000, v2
	s_delay_alu instid0(VALU_DEP_1) | instskip(NEXT) | instid1(VALU_DEP_1)
	v_and_or_b32 v2, 0x7f800000, v3, v2
	v_dual_cndmask_b32 v1, 0, v2 :: v_dual_mov_b32 v2, 0
	v_mov_b32_e32 v3, 0
	s_delay_alu instid0(VALU_DEP_2) | instskip(NEXT) | instid1(VALU_DEP_1)
	v_and_or_b32 v0, 0x80000000, v0, v1
	v_cvt_f64_f32_e32 v[0:1], v0
.LBB169_1025:
	s_mov_b32 s2, 0
.LBB169_1026:
	s_delay_alu instid0(SALU_CYCLE_1)
	s_and_not1_b32 vcc_lo, exec_lo, s2
	s_cbranch_vccnz .LBB169_1028
; %bb.1027:
	global_load_u8 v0, v[4:5], off
	s_waitcnt vmcnt(0)
	v_lshlrev_b32_e32 v1, 25, v0
	v_lshlrev_b16 v0, 8, v0
	s_delay_alu instid0(VALU_DEP_2) | instskip(NEXT) | instid1(VALU_DEP_2)
	v_lshrrev_b32_e32 v2, 4, v1
	v_and_or_b32 v3, 0x7f00, v0, 0.5
	v_bfe_i32 v0, v0, 0, 16
	s_delay_alu instid0(VALU_DEP_3) | instskip(NEXT) | instid1(VALU_DEP_1)
	v_or_b32_e32 v2, 0x70000000, v2
	v_dual_add_f32 v3, -0.5, v3 :: v_dual_mul_f32 v2, 0x7800000, v2
	v_cmp_gt_u32_e32 vcc_lo, 0x8000000, v1
	s_delay_alu instid0(VALU_DEP_2) | instskip(SKIP_1) | instid1(VALU_DEP_2)
	v_dual_cndmask_b32 v1, v2, v3 :: v_dual_mov_b32 v2, 0
	v_mov_b32_e32 v3, 0
	v_and_or_b32 v0, 0x80000000, v0, v1
	s_delay_alu instid0(VALU_DEP_1)
	v_cvt_f64_f32_e32 v[0:1], v0
.LBB169_1028:
	s_mov_b32 s2, 0
	s_mov_b32 s6, -1
.LBB169_1029:
	s_and_not1_b32 vcc_lo, exec_lo, s2
	s_mov_b32 s9, 0
	s_cbranch_vccnz .LBB169_1039
; %bb.1030:
	v_cmp_lt_i16_e32 vcc_lo, 14, v14
	s_cbranch_vccz .LBB169_1033
; %bb.1031:
	v_cmp_eq_u16_e32 vcc_lo, 15, v14
	s_cbranch_vccz .LBB169_1034
; %bb.1032:
	global_load_u16 v0, v[4:5], off
	s_mov_b32 s8, 0
	s_mov_b32 s6, -1
	s_mov_b64 s[2:3], 0
	s_waitcnt vmcnt(0)
	v_lshlrev_b32_e32 v0, 16, v0
	s_delay_alu instid0(VALU_DEP_1)
	v_cvt_f64_f32_e32 v[0:1], v0
	s_branch .LBB169_1035
.LBB169_1033:
	s_mov_b32 s7, -1
                                        ; implicit-def: $sgpr2_sgpr3
                                        ; implicit-def: $vgpr0_vgpr1
	s_branch .LBB169_1036
.LBB169_1034:
	s_mov_b32 s8, -1
                                        ; implicit-def: $sgpr2_sgpr3
                                        ; implicit-def: $vgpr0_vgpr1
.LBB169_1035:
	s_mov_b32 s7, 0
.LBB169_1036:
	s_delay_alu instid0(SALU_CYCLE_1)
	s_and_b32 vcc_lo, exec_lo, s7
	s_cbranch_vccz .LBB169_1038
; %bb.1037:
	v_cmp_ne_u16_e32 vcc_lo, 11, v14
	s_and_not1_b32 s2, s8, exec_lo
	s_mov_b32 s9, -1
                                        ; implicit-def: $vgpr0_vgpr1
	s_and_b32 s3, vcc_lo, exec_lo
	s_delay_alu instid0(SALU_CYCLE_1)
	s_or_b32 s8, s2, s3
                                        ; implicit-def: $sgpr2_sgpr3
.LBB169_1038:
	v_dual_mov_b32 v2, s2 :: v_dual_mov_b32 v3, s3
.LBB169_1039:
	s_mov_b32 s2, 0
.LBB169_1040:
	s_and_b32 s41, s6, exec_lo
	s_and_not1_b32 s6, s22, exec_lo
	s_and_b32 s7, s8, exec_lo
	s_and_b32 s2, s2, exec_lo
	;; [unrolled: 1-line block ×3, first 2 shown]
	s_or_b32 s42, s6, s7
.LBB169_1041:
	s_or_b32 exec_lo, exec_lo, s30
	s_waitcnt lgkmcnt(0)
	s_and_not1_b32 s6, s22, exec_lo
	s_and_b32 s7, s42, exec_lo
	s_and_b32 s41, s41, exec_lo
	;; [unrolled: 1-line block ×4, first 2 shown]
	s_or_b32 s22, s6, s7
.LBB169_1042:
	s_or_b32 exec_lo, exec_lo, s40
	s_waitcnt lgkmcnt(0)
	s_and_not1_b32 s6, s38, exec_lo
	s_and_b32 s7, s23, exec_lo
	s_and_b32 s23, s41, exec_lo
	s_or_b32 s38, s6, s7
	s_and_not1_b32 s6, s37, exec_lo
	s_and_b32 s7, s22, exec_lo
	s_and_b32 s2, s2, exec_lo
	;; [unrolled: 1-line block ×3, first 2 shown]
	s_or_b32 s37, s6, s7
.LBB169_1043:
	s_or_b32 exec_lo, exec_lo, s39
	s_waitcnt lgkmcnt(0)
	s_and_not1_b32 s6, s34, exec_lo
	s_and_b32 s7, s38, exec_lo
	s_and_b32 s22, s23, exec_lo
	s_or_b32 s34, s6, s7
	s_and_not1_b32 s6, s35, exec_lo
	s_and_b32 s7, s37, exec_lo
	s_and_b32 s2, s2, exec_lo
	;; [unrolled: 1-line block ×3, first 2 shown]
	s_or_b32 s35, s6, s7
.LBB169_1044:
	s_or_b32 exec_lo, exec_lo, s36
	s_waitcnt lgkmcnt(0)
	s_mov_b32 s6, 0
	s_and_saveexec_b32 s3, s35
	s_cbranch_execnz .LBB169_1056
; %bb.1045:
	s_or_b32 exec_lo, exec_lo, s3
	s_and_saveexec_b32 s3, s37
	s_delay_alu instid0(SALU_CYCLE_1)
	s_xor_b32 s3, exec_lo, s3
	s_cbranch_execz .LBB169_1047
.LBB169_1046:
	global_load_u8 v0, v[4:5], off
	s_waitcnt vmcnt(1)
	v_mov_b32_e32 v2, 0
	v_mov_b32_e32 v3, 0
	s_or_b32 s22, s22, exec_lo
	s_waitcnt vmcnt(0)
	v_cmp_ne_u16_e32 vcc_lo, 0, v0
	v_mov_b32_e32 v0, 0
	v_cndmask_b32_e64 v1, 0, 0x3ff00000, vcc_lo
.LBB169_1047:
	s_or_b32 exec_lo, exec_lo, s3
	s_and_saveexec_b32 s7, s2
	s_cbranch_execz .LBB169_1097
; %bb.1048:
	v_cmp_gt_i16_e32 vcc_lo, 5, v14
	s_cbranch_vccnz .LBB169_1053
; %bb.1049:
	v_cmp_gt_i16_e32 vcc_lo, 8, v14
	s_cbranch_vccnz .LBB169_1054
	;; [unrolled: 3-line block ×3, first 2 shown]
; %bb.1051:
	v_cmp_lt_i16_e32 vcc_lo, 9, v14
	s_cbranch_vccz .LBB169_1058
; %bb.1052:
	global_load_b128 v[0:3], v[4:5], off
	s_mov_b32 s2, 0
	s_branch .LBB169_1059
.LBB169_1053:
                                        ; implicit-def: $vgpr2_vgpr3
	s_branch .LBB169_1077
.LBB169_1054:
                                        ; implicit-def: $vgpr2_vgpr3
	s_branch .LBB169_1065
.LBB169_1055:
	s_mov_b32 s2, -1
                                        ; implicit-def: $vgpr2_vgpr3
	s_branch .LBB169_1062
.LBB169_1056:
	s_cbranch_execnz .LBB169_1370
; %bb.1057:
	s_mov_b32 s6, exec_lo
	s_and_not1_b32 s37, s37, exec_lo
                                        ; implicit-def: $vgpr2_vgpr3
	s_or_b32 exec_lo, exec_lo, s3
	s_and_saveexec_b32 s3, s37
	s_delay_alu instid0(SALU_CYCLE_1)
	s_xor_b32 s3, exec_lo, s3
	s_cbranch_execnz .LBB169_1046
	s_branch .LBB169_1047
.LBB169_1058:
	s_mov_b32 s2, -1
                                        ; implicit-def: $vgpr2_vgpr3
.LBB169_1059:
	s_delay_alu instid0(SALU_CYCLE_1)
	s_and_not1_b32 vcc_lo, exec_lo, s2
	s_cbranch_vccnz .LBB169_1061
; %bb.1060:
	global_load_b64 v[1:2], v[4:5], off
	s_waitcnt vmcnt(0)
	v_cvt_f64_f32_e32 v[0:1], v1
	v_cvt_f64_f32_e32 v[2:3], v2
.LBB169_1061:
	s_mov_b32 s2, 0
.LBB169_1062:
	s_delay_alu instid0(SALU_CYCLE_1)
	s_and_not1_b32 vcc_lo, exec_lo, s2
	s_cbranch_vccnz .LBB169_1064
; %bb.1063:
	global_load_b32 v0, v[4:5], off
	s_waitcnt vmcnt(0)
	v_lshrrev_b32_e32 v1, 16, v0
	v_cvt_f32_f16_e32 v0, v0
	s_delay_alu instid0(VALU_DEP_2) | instskip(NEXT) | instid1(VALU_DEP_2)
	v_cvt_f32_f16_e32 v2, v1
	v_cvt_f64_f32_e32 v[0:1], v0
	s_delay_alu instid0(VALU_DEP_2)
	v_cvt_f64_f32_e32 v[2:3], v2
.LBB169_1064:
	s_cbranch_execnz .LBB169_1076
.LBB169_1065:
	v_cmp_gt_i16_e32 vcc_lo, 6, v14
	s_cbranch_vccnz .LBB169_1068
; %bb.1066:
	v_cmp_lt_i16_e32 vcc_lo, 6, v14
	s_cbranch_vccz .LBB169_1069
; %bb.1067:
	global_load_b64 v[0:1], v[4:5], off
	s_mov_b32 s8, 0
	s_mov_b64 s[2:3], 0
	s_branch .LBB169_1070
.LBB169_1068:
	s_mov_b32 s8, -1
                                        ; implicit-def: $sgpr2_sgpr3
                                        ; implicit-def: $vgpr0_vgpr1
	s_branch .LBB169_1073
.LBB169_1069:
	s_mov_b32 s8, -1
                                        ; implicit-def: $sgpr2_sgpr3
                                        ; implicit-def: $vgpr0_vgpr1
.LBB169_1070:
	s_delay_alu instid0(SALU_CYCLE_1)
	s_and_not1_b32 vcc_lo, exec_lo, s8
	s_cbranch_vccnz .LBB169_1072
; %bb.1071:
	global_load_b32 v0, v[4:5], off
	s_mov_b64 s[2:3], 0
	s_waitcnt vmcnt(0)
	v_cvt_f64_f32_e32 v[0:1], v0
.LBB169_1072:
	s_mov_b32 s8, 0
.LBB169_1073:
	s_delay_alu instid0(SALU_CYCLE_1)
	s_and_not1_b32 vcc_lo, exec_lo, s8
	s_cbranch_vccnz .LBB169_1075
; %bb.1074:
	global_load_u16 v0, v[4:5], off
	s_mov_b64 s[2:3], 0
	s_waitcnt vmcnt(0)
	v_cvt_f32_f16_e32 v0, v0
	s_delay_alu instid0(VALU_DEP_1)
	v_cvt_f64_f32_e32 v[0:1], v0
.LBB169_1075:
	s_waitcnt vmcnt(0)
	v_dual_mov_b32 v2, s2 :: v_dual_mov_b32 v3, s3
.LBB169_1076:
	s_cbranch_execnz .LBB169_1096
.LBB169_1077:
	v_cmp_gt_i16_e32 vcc_lo, 2, v14
	s_cbranch_vccnz .LBB169_1081
; %bb.1078:
	v_cmp_gt_i16_e32 vcc_lo, 3, v14
	s_cbranch_vccnz .LBB169_1082
; %bb.1079:
	v_cmp_lt_i16_e32 vcc_lo, 3, v14
	s_cbranch_vccz .LBB169_1083
; %bb.1080:
	global_load_b64 v[0:1], v[4:5], off
	s_mov_b32 s8, 0
	s_mov_b64 s[2:3], 0
	s_waitcnt vmcnt(0)
	v_cvt_f64_i32_e32 v[1:2], v1
	v_cvt_f64_u32_e32 v[6:7], v0
	s_delay_alu instid0(VALU_DEP_2) | instskip(NEXT) | instid1(VALU_DEP_1)
	v_ldexp_f64 v[1:2], v[1:2], 32
	v_add_f64 v[0:1], v[1:2], v[6:7]
	s_branch .LBB169_1084
.LBB169_1081:
                                        ; implicit-def: $sgpr2_sgpr3
                                        ; implicit-def: $vgpr0_vgpr1
	s_branch .LBB169_1090
.LBB169_1082:
	s_mov_b32 s8, -1
                                        ; implicit-def: $sgpr2_sgpr3
                                        ; implicit-def: $vgpr0_vgpr1
	s_branch .LBB169_1087
.LBB169_1083:
	s_mov_b32 s8, -1
                                        ; implicit-def: $sgpr2_sgpr3
                                        ; implicit-def: $vgpr0_vgpr1
.LBB169_1084:
	s_delay_alu instid0(SALU_CYCLE_1)
	s_and_not1_b32 vcc_lo, exec_lo, s8
	s_cbranch_vccnz .LBB169_1086
; %bb.1085:
	global_load_b32 v0, v[4:5], off
	s_mov_b64 s[2:3], 0
	s_waitcnt vmcnt(0)
	v_cvt_f64_i32_e32 v[0:1], v0
.LBB169_1086:
	s_mov_b32 s8, 0
.LBB169_1087:
	s_delay_alu instid0(SALU_CYCLE_1)
	s_and_not1_b32 vcc_lo, exec_lo, s8
	s_cbranch_vccnz .LBB169_1089
; %bb.1088:
	global_load_i16 v0, v[4:5], off
	s_mov_b64 s[2:3], 0
	s_waitcnt vmcnt(0)
	v_cvt_f64_i32_e32 v[0:1], v0
.LBB169_1089:
	s_cbranch_execnz .LBB169_1095
.LBB169_1090:
	v_cmp_lt_i16_e32 vcc_lo, 0, v14
	s_mov_b32 s8, 0
	s_cbranch_vccz .LBB169_1092
; %bb.1091:
	global_load_i8 v0, v[4:5], off
	s_mov_b64 s[2:3], 0
	s_waitcnt vmcnt(0)
	v_cvt_f64_i32_e32 v[0:1], v0
	s_branch .LBB169_1093
.LBB169_1092:
	s_mov_b32 s8, -1
                                        ; implicit-def: $sgpr2_sgpr3
                                        ; implicit-def: $vgpr0_vgpr1
.LBB169_1093:
	s_delay_alu instid0(SALU_CYCLE_1)
	s_and_not1_b32 vcc_lo, exec_lo, s8
	s_cbranch_vccnz .LBB169_1095
; %bb.1094:
	global_load_u8 v0, v[4:5], off
	s_mov_b64 s[2:3], 0
	s_waitcnt vmcnt(0)
	v_cvt_f64_u32_e32 v[0:1], v0
.LBB169_1095:
	s_waitcnt vmcnt(0)
	v_dual_mov_b32 v2, s2 :: v_dual_mov_b32 v3, s3
.LBB169_1096:
	s_or_b32 s22, s22, exec_lo
.LBB169_1097:
	s_or_b32 exec_lo, exec_lo, s7
	s_mov_b32 s2, 0
	s_mov_b32 s3, 0
                                        ; implicit-def: $vgpr11
                                        ; implicit-def: $vgpr9_vgpr10
                                        ; implicit-def: $vgpr6_vgpr7
	s_and_saveexec_b32 s7, s22
	s_cbranch_execz .LBB169_1214
; %bb.1098:
	s_waitcnt vmcnt(0)
	s_delay_alu instid0(VALU_DEP_1) | instskip(NEXT) | instid1(VALU_DEP_2)
	v_cmp_neq_f64_e32 vcc_lo, 0, v[0:1]
	v_cmp_neq_f64_e64 s2, 0, v[2:3]
	v_mov_b32_e32 v9, 0
	v_mov_b32_e32 v10, 0
	s_delay_alu instid0(VALU_DEP_3) | instskip(NEXT) | instid1(SALU_CYCLE_1)
	s_or_b32 s2, vcc_lo, s2
	s_and_saveexec_b32 s8, s2
	s_cbranch_execz .LBB169_1130
; %bb.1099:
	s_mov_b32 s2, 0
	s_mov_b32 s3, 0x7ff00000
	v_mov_b32_e32 v9, s2
	v_mov_b32_e32 v10, s3
	s_mov_b32 s9, exec_lo
	v_cmpx_neq_f64_e64 0x7ff00000, |v[2:3]|
	s_cbranch_execz .LBB169_1129
; %bb.1100:
	s_mov_b32 s2, exec_lo
	v_cmpx_o_f64_e32 v[0:1], v[0:1]
	s_xor_b32 s10, exec_lo, s2
	s_cbranch_execz .LBB169_1126
; %bb.1101:
	s_mov_b32 s3, exec_lo
	v_cmpx_neq_f64_e64 0x7ff00000, |v[0:1]|
	s_xor_b32 s11, exec_lo, s3
	s_cbranch_execz .LBB169_1119
; %bb.1102:
	v_max_f64 v[4:5], |v[2:3]|, |v[2:3]|
	v_max_f64 v[6:7], |v[0:1]|, |v[0:1]|
	s_mov_b32 s2, 0x99fcef32
	s_mov_b32 s3, 0x7fda8279
                                        ; implicit-def: $sgpr12
	s_delay_alu instid0(VALU_DEP_1) | instskip(NEXT) | instid1(VALU_DEP_1)
	v_max_f64 v[4:5], v[6:7], v[4:5]
	v_cmp_nle_f64_e64 s2, s[2:3], v[4:5]
	s_delay_alu instid0(VALU_DEP_1) | instskip(NEXT) | instid1(SALU_CYCLE_1)
	s_and_saveexec_b32 s3, s2
	s_xor_b32 s3, exec_lo, s3
	s_cbranch_execz .LBB169_1106
; %bb.1103:
	v_cmp_ge_f64_e64 s12, 0x200000, |v[0:1]|
	v_cmp_ge_f64_e64 s13, 0x200000, |v[2:3]|
	s_delay_alu instid0(VALU_DEP_1)
	s_and_b32 s14, s12, s13
	s_mov_b32 s12, 0
	s_and_saveexec_b32 s13, s14
; %bb.1104:
	v_mul_f64 v[0:1], v[0:1], 4.0
	v_mul_f64 v[2:3], v[2:3], 4.0
	s_mov_b32 s12, exec_lo
; %bb.1105:
	s_or_b32 exec_lo, exec_lo, s13
	s_delay_alu instid0(SALU_CYCLE_1)
	s_and_b32 s12, s12, exec_lo
.LBB169_1106:
	s_and_not1_saveexec_b32 s3, s3
; %bb.1107:
	s_delay_alu instid0(VALU_DEP_2) | instskip(NEXT) | instid1(VALU_DEP_2)
	v_ldexp_f64 v[0:1], v[0:1], -2
	v_ldexp_f64 v[2:3], v[2:3], -2
	s_and_not1_b32 s12, s12, exec_lo
; %bb.1108:
	s_or_b32 exec_lo, exec_lo, s3
	s_delay_alu instid0(VALU_DEP_1) | instskip(NEXT) | instid1(VALU_DEP_3)
	v_max_f64 v[4:5], |v[2:3]|, |v[2:3]|
	v_max_f64 v[6:7], |v[0:1]|, |v[0:1]|
	v_cmp_class_f64_e64 s13, v[0:1], 0x204
	v_cmp_class_f64_e64 s14, v[2:3], 0x204
	v_cmp_le_f64_e64 s3, 0, v[0:1]
	s_delay_alu instid0(VALU_DEP_4) | instskip(NEXT) | instid1(VALU_DEP_3)
	v_max_f64 v[4:5], v[6:7], v[4:5]
	s_or_b32 s13, s14, s13
	s_delay_alu instid0(VALU_DEP_1) | instskip(NEXT) | instid1(VALU_DEP_1)
	v_frexp_exp_i32_f64_e32 v14, v[4:5]
	v_sub_nc_u32_e32 v6, 0, v14
	s_delay_alu instid0(VALU_DEP_1) | instskip(SKIP_1) | instid1(VALU_DEP_2)
	v_ldexp_f64 v[4:5], |v[2:3]|, v6
	v_ldexp_f64 v[6:7], |v[0:1]|, v6
	v_mul_f64 v[4:5], v[4:5], v[4:5]
	s_delay_alu instid0(VALU_DEP_1) | instskip(NEXT) | instid1(VALU_DEP_1)
	v_fma_f64 v[4:5], v[6:7], v[6:7], v[4:5]
	v_rsq_f64_e32 v[6:7], v[4:5]
	v_cmp_eq_f64_e32 vcc_lo, 0, v[4:5]
	s_waitcnt_depctr 0xfff
	v_mul_f64 v[9:10], v[4:5], v[6:7]
	v_mul_f64 v[6:7], v[6:7], 0.5
	s_delay_alu instid0(VALU_DEP_1) | instskip(NEXT) | instid1(VALU_DEP_1)
	v_fma_f64 v[11:12], -v[6:7], v[9:10], 0.5
	v_fma_f64 v[9:10], v[9:10], v[11:12], v[9:10]
	v_fma_f64 v[6:7], v[6:7], v[11:12], v[6:7]
	s_delay_alu instid0(VALU_DEP_2) | instskip(NEXT) | instid1(VALU_DEP_1)
	v_fma_f64 v[11:12], -v[9:10], v[9:10], v[4:5]
	v_fma_f64 v[6:7], v[11:12], v[6:7], v[9:10]
	s_delay_alu instid0(VALU_DEP_1) | instskip(SKIP_1) | instid1(VALU_DEP_2)
	v_dual_cndmask_b32 v5, v7, v5 :: v_dual_cndmask_b32 v4, v6, v4
	v_cmp_o_f64_e32 vcc_lo, v[2:3], v[2:3]
	v_ldexp_f64 v[4:5], v[4:5], v14
	s_delay_alu instid0(VALU_DEP_1) | instskip(NEXT) | instid1(VALU_DEP_2)
	v_cndmask_b32_e32 v4, 0, v4, vcc_lo
	v_cndmask_b32_e32 v5, 0x7ff80000, v5, vcc_lo
	s_delay_alu instid0(VALU_DEP_2) | instskip(NEXT) | instid1(VALU_DEP_2)
	v_cndmask_b32_e64 v4, v4, 0, s13
	v_cndmask_b32_e64 v5, v5, 0x7ff00000, s13
	s_and_saveexec_b32 s13, s3
	s_delay_alu instid0(SALU_CYCLE_1)
	s_xor_b32 s3, exec_lo, s13
	s_cbranch_execz .LBB169_1114
; %bb.1109:
	s_delay_alu instid0(VALU_DEP_1) | instskip(NEXT) | instid1(VALU_DEP_1)
	v_add_f64 v[0:1], v[0:1], v[4:5]
	v_mul_f64 v[0:1], v[0:1], 0.5
	s_delay_alu instid0(VALU_DEP_1) | instskip(SKIP_1) | instid1(VALU_DEP_1)
	v_cmp_gt_f64_e32 vcc_lo, 0x10000000, v[0:1]
	v_cndmask_b32_e64 v4, 0, 1, vcc_lo
	v_lshlrev_b32_e32 v4, 8, v4
	s_delay_alu instid0(VALU_DEP_1) | instskip(NEXT) | instid1(VALU_DEP_1)
	v_ldexp_f64 v[0:1], v[0:1], v4
	v_rsq_f64_e32 v[4:5], v[0:1]
	s_waitcnt_depctr 0xfff
	v_mul_f64 v[6:7], v[0:1], v[4:5]
	v_mul_f64 v[4:5], v[4:5], 0.5
	s_delay_alu instid0(VALU_DEP_1) | instskip(NEXT) | instid1(VALU_DEP_1)
	v_fma_f64 v[9:10], -v[4:5], v[6:7], 0.5
	v_fma_f64 v[6:7], v[6:7], v[9:10], v[6:7]
	v_fma_f64 v[4:5], v[4:5], v[9:10], v[4:5]
	s_delay_alu instid0(VALU_DEP_2) | instskip(NEXT) | instid1(VALU_DEP_1)
	v_fma_f64 v[9:10], -v[6:7], v[6:7], v[0:1]
	v_fma_f64 v[6:7], v[9:10], v[4:5], v[6:7]
	s_delay_alu instid0(VALU_DEP_1) | instskip(NEXT) | instid1(VALU_DEP_1)
	v_fma_f64 v[9:10], -v[6:7], v[6:7], v[0:1]
	v_fma_f64 v[4:5], v[9:10], v[4:5], v[6:7]
	v_cndmask_b32_e64 v6, 0, 0xffffff80, vcc_lo
	v_cmp_class_f64_e64 vcc_lo, v[0:1], 0x260
	s_delay_alu instid0(VALU_DEP_2) | instskip(NEXT) | instid1(VALU_DEP_1)
	v_ldexp_f64 v[4:5], v[4:5], v6
	v_dual_cndmask_b32 v1, v5, v1 :: v_dual_cndmask_b32 v0, v4, v0
	s_delay_alu instid0(VALU_DEP_1) | instskip(NEXT) | instid1(VALU_DEP_1)
	v_add_f64 v[4:5], v[0:1], v[0:1]
	v_div_scale_f64 v[6:7], null, v[4:5], v[4:5], v[2:3]
	s_delay_alu instid0(VALU_DEP_1) | instskip(SKIP_2) | instid1(VALU_DEP_1)
	v_rcp_f64_e32 v[9:10], v[6:7]
	s_waitcnt_depctr 0xfff
	v_fma_f64 v[11:12], -v[6:7], v[9:10], 1.0
	v_fma_f64 v[9:10], v[9:10], v[11:12], v[9:10]
	s_delay_alu instid0(VALU_DEP_1) | instskip(NEXT) | instid1(VALU_DEP_1)
	v_fma_f64 v[11:12], -v[6:7], v[9:10], 1.0
	v_fma_f64 v[9:10], v[9:10], v[11:12], v[9:10]
	v_div_scale_f64 v[11:12], vcc_lo, v[2:3], v[4:5], v[2:3]
	s_delay_alu instid0(VALU_DEP_1) | instskip(NEXT) | instid1(VALU_DEP_1)
	v_mul_f64 v[14:15], v[11:12], v[9:10]
	v_fma_f64 v[6:7], -v[6:7], v[14:15], v[11:12]
	s_delay_alu instid0(VALU_DEP_1) | instskip(NEXT) | instid1(VALU_DEP_1)
	v_div_fmas_f64 v[6:7], v[6:7], v[9:10], v[14:15]
	v_div_fixup_f64 v[2:3], v[6:7], v[4:5], v[2:3]
                                        ; implicit-def: $vgpr4_vgpr5
	s_and_not1_saveexec_b32 s3, s3
	s_cbranch_execnz .LBB169_1115
.LBB169_1110:
	s_or_b32 exec_lo, exec_lo, s3
	s_and_saveexec_b32 s3, s2
	s_delay_alu instid0(SALU_CYCLE_1)
	s_xor_b32 s2, exec_lo, s3
	s_cbranch_execz .LBB169_1116
.LBB169_1111:
	s_and_saveexec_b32 s3, s12
; %bb.1112:
	s_delay_alu instid0(VALU_DEP_2) | instskip(NEXT) | instid1(VALU_DEP_2)
	v_mul_f64 v[0:1], v[0:1], 0.5
	v_mul_f64 v[2:3], v[2:3], 0.5
; %bb.1113:
	s_or_b32 exec_lo, exec_lo, s3
	s_and_not1_saveexec_b32 s2, s2
	s_cbranch_execnz .LBB169_1117
	s_branch .LBB169_1118
.LBB169_1114:
	s_and_not1_saveexec_b32 s3, s3
	s_cbranch_execz .LBB169_1110
.LBB169_1115:
	v_add_f64 v[0:1], v[4:5], -v[0:1]
	s_delay_alu instid0(VALU_DEP_1) | instskip(NEXT) | instid1(VALU_DEP_1)
	v_mul_f64 v[0:1], v[0:1], 0.5
	v_cmp_gt_f64_e32 vcc_lo, 0x10000000, v[0:1]
	v_cndmask_b32_e64 v4, 0, 1, vcc_lo
	s_delay_alu instid0(VALU_DEP_1) | instskip(NEXT) | instid1(VALU_DEP_1)
	v_lshlrev_b32_e32 v4, 8, v4
	v_ldexp_f64 v[0:1], v[0:1], v4
	s_delay_alu instid0(VALU_DEP_1) | instskip(SKIP_3) | instid1(VALU_DEP_1)
	v_rsq_f64_e32 v[4:5], v[0:1]
	s_waitcnt_depctr 0xfff
	v_mul_f64 v[6:7], v[0:1], v[4:5]
	v_mul_f64 v[4:5], v[4:5], 0.5
	v_fma_f64 v[9:10], -v[4:5], v[6:7], 0.5
	s_delay_alu instid0(VALU_DEP_1) | instskip(SKIP_1) | instid1(VALU_DEP_2)
	v_fma_f64 v[6:7], v[6:7], v[9:10], v[6:7]
	v_fma_f64 v[4:5], v[4:5], v[9:10], v[4:5]
	v_fma_f64 v[9:10], -v[6:7], v[6:7], v[0:1]
	s_delay_alu instid0(VALU_DEP_1) | instskip(NEXT) | instid1(VALU_DEP_1)
	v_fma_f64 v[6:7], v[9:10], v[4:5], v[6:7]
	v_fma_f64 v[9:10], -v[6:7], v[6:7], v[0:1]
	s_delay_alu instid0(VALU_DEP_1) | instskip(SKIP_3) | instid1(VALU_DEP_3)
	v_fma_f64 v[4:5], v[9:10], v[4:5], v[6:7]
	v_cndmask_b32_e64 v6, 0, 0xffffff80, vcc_lo
	v_cmp_class_f64_e64 vcc_lo, v[0:1], 0x260
	v_and_b32_e32 v7, 0x7fffffff, v3
	v_ldexp_f64 v[4:5], v[4:5], v6
	s_delay_alu instid0(VALU_DEP_1) | instskip(NEXT) | instid1(VALU_DEP_1)
	v_dual_cndmask_b32 v5, v5, v1 :: v_dual_cndmask_b32 v4, v4, v0
	v_add_f64 v[0:1], v[4:5], v[4:5]
	v_bfi_b32 v5, 0x7fffffff, v5, v3
	v_mov_b32_e32 v6, v2
	s_delay_alu instid0(VALU_DEP_1) | instskip(SKIP_1) | instid1(VALU_DEP_2)
	v_div_scale_f64 v[9:10], null, v[0:1], v[0:1], v[6:7]
	v_div_scale_f64 v[6:7], vcc_lo, v[6:7], v[0:1], v[6:7]
	v_rcp_f64_e32 v[11:12], v[9:10]
	s_waitcnt_depctr 0xfff
	v_fma_f64 v[14:15], -v[9:10], v[11:12], 1.0
	s_delay_alu instid0(VALU_DEP_1) | instskip(NEXT) | instid1(VALU_DEP_1)
	v_fma_f64 v[11:12], v[11:12], v[14:15], v[11:12]
	v_fma_f64 v[14:15], -v[9:10], v[11:12], 1.0
	s_delay_alu instid0(VALU_DEP_1) | instskip(NEXT) | instid1(VALU_DEP_1)
	v_fma_f64 v[11:12], v[11:12], v[14:15], v[11:12]
	v_mul_f64 v[14:15], v[6:7], v[11:12]
	s_delay_alu instid0(VALU_DEP_1) | instskip(NEXT) | instid1(VALU_DEP_1)
	v_fma_f64 v[6:7], -v[9:10], v[14:15], v[6:7]
	v_div_fmas_f64 v[6:7], v[6:7], v[11:12], v[14:15]
	s_delay_alu instid0(VALU_DEP_1) | instskip(SKIP_3) | instid1(SALU_CYCLE_1)
	v_div_fixup_f64 v[0:1], v[6:7], v[0:1], |v[2:3]|
	v_dual_mov_b32 v2, v4 :: v_dual_mov_b32 v3, v5
	s_or_b32 exec_lo, exec_lo, s3
	s_and_saveexec_b32 s3, s2
	s_xor_b32 s2, exec_lo, s3
	s_cbranch_execnz .LBB169_1111
.LBB169_1116:
	s_and_not1_saveexec_b32 s2, s2
.LBB169_1117:
	s_delay_alu instid0(VALU_DEP_2) | instskip(NEXT) | instid1(VALU_DEP_2)
	v_add_f64 v[0:1], v[0:1], v[0:1]
	v_add_f64 v[2:3], v[2:3], v[2:3]
.LBB169_1118:
	s_or_b32 exec_lo, exec_lo, s2
.LBB169_1119:
	s_and_not1_saveexec_b32 s2, s11
	s_cbranch_execz .LBB169_1125
; %bb.1120:
	s_delay_alu instid0(VALU_DEP_1) | instskip(SKIP_1) | instid1(VALU_DEP_3)
	v_add_f64 v[4:5], v[2:3], -v[2:3]
	s_mov_b32 s3, exec_lo
	v_cmpx_lt_i64_e32 -1, v[0:1]
	s_xor_b32 s3, exec_lo, s3
; %bb.1121:
	s_delay_alu instid0(VALU_DEP_2) | instskip(NEXT) | instid1(VALU_DEP_1)
	v_bfi_b32 v5, 0x7fffffff, v5, v3
	v_dual_mov_b32 v2, v4 :: v_dual_mov_b32 v3, v5
                                        ; implicit-def: $vgpr4_vgpr5
; %bb.1122:
	s_and_not1_saveexec_b32 s3, s3
; %bb.1123:
	s_delay_alu instid0(VALU_DEP_1) | instskip(SKIP_1) | instid1(VALU_DEP_2)
	v_bfi_b32 v1, 0x7fffffff, v1, v3
	v_and_b32_e32 v5, 0x7fffffff, v5
	v_dual_mov_b32 v3, v1 :: v_dual_mov_b32 v2, v0
	s_delay_alu instid0(VALU_DEP_2)
	v_dual_mov_b32 v0, v4 :: v_dual_mov_b32 v1, v5
; %bb.1124:
	s_or_b32 exec_lo, exec_lo, s3
.LBB169_1125:
	s_delay_alu instid0(SALU_CYCLE_1)
	s_or_b32 exec_lo, exec_lo, s2
.LBB169_1126:
	s_and_not1_saveexec_b32 s2, s10
; %bb.1127:
	s_delay_alu instid0(VALU_DEP_1) | instskip(NEXT) | instid1(VALU_DEP_1)
	v_add_f64 v[2:3], v[2:3], -v[2:3]
	v_div_scale_f64 v[4:5], vcc_lo, v[2:3], v[2:3], v[2:3]
	s_delay_alu instid0(VALU_DEP_1) | instskip(SKIP_2) | instid1(VALU_DEP_1)
	v_rcp_f64_e32 v[6:7], v[4:5]
	s_waitcnt_depctr 0xfff
	v_fma_f64 v[9:10], -v[4:5], v[6:7], 1.0
	v_fma_f64 v[6:7], v[6:7], v[9:10], v[6:7]
	s_delay_alu instid0(VALU_DEP_1) | instskip(NEXT) | instid1(VALU_DEP_1)
	v_fma_f64 v[9:10], -v[4:5], v[6:7], 1.0
	v_fma_f64 v[6:7], v[6:7], v[9:10], v[6:7]
	s_delay_alu instid0(VALU_DEP_1) | instskip(NEXT) | instid1(VALU_DEP_1)
	v_mul_f64 v[9:10], v[4:5], v[6:7]
	v_fma_f64 v[4:5], -v[4:5], v[9:10], v[4:5]
	s_delay_alu instid0(VALU_DEP_1) | instskip(NEXT) | instid1(VALU_DEP_1)
	v_div_fmas_f64 v[4:5], v[4:5], v[6:7], v[9:10]
	v_div_fixup_f64 v[2:3], v[4:5], v[2:3], v[2:3]
; %bb.1128:
	s_or_b32 exec_lo, exec_lo, s2
	v_dual_mov_b32 v10, v1 :: v_dual_mov_b32 v9, v0
.LBB169_1129:
	s_or_b32 exec_lo, exec_lo, s9
.LBB169_1130:
	s_delay_alu instid0(SALU_CYCLE_1) | instskip(NEXT) | instid1(VALU_DEP_1)
	s_or_b32 exec_lo, exec_lo, s8
	v_cmp_gt_f64_e32 vcc_lo, 0, v[9:10]
	s_delay_alu instid0(VALU_DEP_3) | instskip(SKIP_2) | instid1(VALU_DEP_2)
	v_cmp_gt_f64_e64 s2, 0, v[2:3]
	v_xor_b32_e32 v0, 0x80000000, v10
	v_xor_b32_e32 v4, 0x80000000, v3
                                        ; implicit-def: $vgpr6_vgpr7
	v_dual_cndmask_b32 v1, v10, v0 :: v_dual_cndmask_b32 v0, v9, v9
	s_delay_alu instid0(VALU_DEP_2) | instskip(SKIP_2) | instid1(VALU_DEP_1)
	v_cndmask_b32_e64 v12, v3, v4, s2
	v_cndmask_b32_e64 v11, v2, v2, s2
	s_mov_b32 s2, exec_lo
	v_cmpx_ge_f64_e32 v[0:1], v[11:12]
	s_xor_b32 s3, exec_lo, s2
	s_cbranch_execz .LBB169_1136
; %bb.1131:
	v_cmp_neq_f64_e32 vcc_lo, 0, v[9:10]
	v_cmp_neq_f64_e64 s2, 0, v[2:3]
                                        ; implicit-def: $vgpr6_vgpr7
	s_delay_alu instid0(VALU_DEP_1) | instskip(NEXT) | instid1(SALU_CYCLE_1)
	s_or_b32 s2, vcc_lo, s2
	s_and_saveexec_b32 s8, s2
	s_delay_alu instid0(SALU_CYCLE_1)
	s_xor_b32 s2, exec_lo, s8
	s_cbranch_execz .LBB169_1133
; %bb.1132:
	v_div_scale_f64 v[0:1], null, v[9:10], v[9:10], v[2:3]
	v_div_scale_f64 v[11:12], vcc_lo, v[2:3], v[9:10], v[2:3]
	s_delay_alu instid0(VALU_DEP_2) | instskip(SKIP_2) | instid1(VALU_DEP_1)
	v_rcp_f64_e32 v[4:5], v[0:1]
	s_waitcnt_depctr 0xfff
	v_fma_f64 v[6:7], -v[0:1], v[4:5], 1.0
	v_fma_f64 v[4:5], v[4:5], v[6:7], v[4:5]
	s_delay_alu instid0(VALU_DEP_1) | instskip(NEXT) | instid1(VALU_DEP_1)
	v_fma_f64 v[6:7], -v[0:1], v[4:5], 1.0
	v_fma_f64 v[4:5], v[4:5], v[6:7], v[4:5]
	s_delay_alu instid0(VALU_DEP_1) | instskip(NEXT) | instid1(VALU_DEP_1)
	v_mul_f64 v[6:7], v[11:12], v[4:5]
	v_fma_f64 v[0:1], -v[0:1], v[6:7], v[11:12]
	s_delay_alu instid0(VALU_DEP_1) | instskip(NEXT) | instid1(VALU_DEP_1)
	v_div_fmas_f64 v[0:1], v[0:1], v[4:5], v[6:7]
	v_div_fixup_f64 v[0:1], v[0:1], v[9:10], v[2:3]
	s_delay_alu instid0(VALU_DEP_1) | instskip(NEXT) | instid1(VALU_DEP_1)
	v_fma_f64 v[2:3], v[2:3], v[0:1], v[9:10]
	v_div_scale_f64 v[4:5], null, v[2:3], v[2:3], 1.0
	v_div_scale_f64 v[11:12], vcc_lo, 1.0, v[2:3], 1.0
	s_delay_alu instid0(VALU_DEP_2) | instskip(SKIP_2) | instid1(VALU_DEP_1)
	v_rcp_f64_e32 v[6:7], v[4:5]
	s_waitcnt_depctr 0xfff
	v_fma_f64 v[9:10], -v[4:5], v[6:7], 1.0
	v_fma_f64 v[6:7], v[6:7], v[9:10], v[6:7]
	s_delay_alu instid0(VALU_DEP_1) | instskip(NEXT) | instid1(VALU_DEP_1)
	v_fma_f64 v[9:10], -v[4:5], v[6:7], 1.0
	v_fma_f64 v[6:7], v[6:7], v[9:10], v[6:7]
	s_delay_alu instid0(VALU_DEP_1) | instskip(NEXT) | instid1(VALU_DEP_1)
	v_mul_f64 v[9:10], v[11:12], v[6:7]
	v_fma_f64 v[4:5], -v[4:5], v[9:10], v[11:12]
                                        ; implicit-def: $vgpr11_vgpr12
	s_delay_alu instid0(VALU_DEP_1) | instskip(SKIP_2) | instid1(VALU_DEP_3)
	v_div_fmas_f64 v[4:5], v[4:5], v[6:7], v[9:10]
	v_fma_f64 v[6:7], v[0:1], 0, 1.0
	v_add_f64 v[0:1], -v[0:1], 0
	v_div_fixup_f64 v[2:3], v[4:5], v[2:3], 1.0
	s_delay_alu instid0(VALU_DEP_1) | instskip(NEXT) | instid1(VALU_DEP_3)
	v_mul_f64 v[4:5], v[6:7], v[2:3]
	v_mul_f64 v[6:7], v[0:1], v[2:3]
                                        ; implicit-def: $vgpr0_vgpr1
.LBB169_1133:
	s_and_not1_saveexec_b32 s8, s2
	s_cbranch_execz .LBB169_1135
; %bb.1134:
	v_div_scale_f64 v[2:3], null, v[0:1], v[0:1], 1.0
	v_div_scale_f64 v[4:5], null, v[11:12], v[11:12], 0
	v_div_scale_f64 v[18:19], vcc_lo, 1.0, v[0:1], 1.0
	s_delay_alu instid0(VALU_DEP_3) | instskip(NEXT) | instid1(VALU_DEP_2)
	v_rcp_f64_e32 v[6:7], v[2:3]
	v_rcp_f64_e32 v[9:10], v[4:5]
	s_waitcnt_depctr 0xfff
	v_fma_f64 v[14:15], -v[2:3], v[6:7], 1.0
	v_fma_f64 v[16:17], -v[4:5], v[9:10], 1.0
	s_delay_alu instid0(VALU_DEP_2) | instskip(NEXT) | instid1(VALU_DEP_2)
	v_fma_f64 v[6:7], v[6:7], v[14:15], v[6:7]
	v_fma_f64 v[9:10], v[9:10], v[16:17], v[9:10]
	s_delay_alu instid0(VALU_DEP_2) | instskip(NEXT) | instid1(VALU_DEP_2)
	v_fma_f64 v[14:15], -v[2:3], v[6:7], 1.0
	v_fma_f64 v[16:17], -v[4:5], v[9:10], 1.0
	s_delay_alu instid0(VALU_DEP_2) | instskip(SKIP_1) | instid1(VALU_DEP_3)
	v_fma_f64 v[6:7], v[6:7], v[14:15], v[6:7]
	v_div_scale_f64 v[14:15], s2, 0, v[11:12], 0
	v_fma_f64 v[9:10], v[9:10], v[16:17], v[9:10]
	s_delay_alu instid0(VALU_DEP_3) | instskip(NEXT) | instid1(VALU_DEP_2)
	v_mul_f64 v[16:17], v[18:19], v[6:7]
	v_mul_f64 v[20:21], v[14:15], v[9:10]
	s_delay_alu instid0(VALU_DEP_2) | instskip(NEXT) | instid1(VALU_DEP_2)
	v_fma_f64 v[2:3], -v[2:3], v[16:17], v[18:19]
	v_fma_f64 v[4:5], -v[4:5], v[20:21], v[14:15]
	s_delay_alu instid0(VALU_DEP_2) | instskip(SKIP_1) | instid1(VALU_DEP_2)
	v_div_fmas_f64 v[2:3], v[2:3], v[6:7], v[16:17]
	s_mov_b32 vcc_lo, s2
	v_div_fmas_f64 v[6:7], v[4:5], v[9:10], v[20:21]
	s_delay_alu instid0(VALU_DEP_2) | instskip(NEXT) | instid1(VALU_DEP_2)
	v_div_fixup_f64 v[4:5], v[2:3], v[0:1], 1.0
	v_div_fixup_f64 v[6:7], v[6:7], v[11:12], 0
.LBB169_1135:
	s_or_b32 exec_lo, exec_lo, s8
                                        ; implicit-def: $vgpr2_vgpr3
                                        ; implicit-def: $vgpr9_vgpr10
.LBB169_1136:
	s_and_not1_saveexec_b32 s2, s3
	s_cbranch_execz .LBB169_1138
; %bb.1137:
	v_div_scale_f64 v[0:1], null, v[2:3], v[2:3], v[9:10]
	v_div_scale_f64 v[11:12], vcc_lo, v[9:10], v[2:3], v[9:10]
	s_delay_alu instid0(VALU_DEP_2) | instskip(SKIP_2) | instid1(VALU_DEP_1)
	v_rcp_f64_e32 v[4:5], v[0:1]
	s_waitcnt_depctr 0xfff
	v_fma_f64 v[6:7], -v[0:1], v[4:5], 1.0
	v_fma_f64 v[4:5], v[4:5], v[6:7], v[4:5]
	s_delay_alu instid0(VALU_DEP_1) | instskip(NEXT) | instid1(VALU_DEP_1)
	v_fma_f64 v[6:7], -v[0:1], v[4:5], 1.0
	v_fma_f64 v[4:5], v[4:5], v[6:7], v[4:5]
	s_delay_alu instid0(VALU_DEP_1) | instskip(NEXT) | instid1(VALU_DEP_1)
	v_mul_f64 v[6:7], v[11:12], v[4:5]
	v_fma_f64 v[0:1], -v[0:1], v[6:7], v[11:12]
	s_delay_alu instid0(VALU_DEP_1) | instskip(NEXT) | instid1(VALU_DEP_1)
	v_div_fmas_f64 v[0:1], v[0:1], v[4:5], v[6:7]
	v_div_fixup_f64 v[0:1], v[0:1], v[2:3], v[9:10]
	s_delay_alu instid0(VALU_DEP_1) | instskip(NEXT) | instid1(VALU_DEP_1)
	v_fma_f64 v[2:3], v[9:10], v[0:1], v[2:3]
	v_div_scale_f64 v[4:5], null, v[2:3], v[2:3], 1.0
	v_div_scale_f64 v[11:12], vcc_lo, 1.0, v[2:3], 1.0
	s_delay_alu instid0(VALU_DEP_2) | instskip(SKIP_2) | instid1(VALU_DEP_1)
	v_rcp_f64_e32 v[6:7], v[4:5]
	s_waitcnt_depctr 0xfff
	v_fma_f64 v[9:10], -v[4:5], v[6:7], 1.0
	v_fma_f64 v[6:7], v[6:7], v[9:10], v[6:7]
	s_delay_alu instid0(VALU_DEP_1) | instskip(NEXT) | instid1(VALU_DEP_1)
	v_fma_f64 v[9:10], -v[4:5], v[6:7], 1.0
	v_fma_f64 v[6:7], v[6:7], v[9:10], v[6:7]
	s_delay_alu instid0(VALU_DEP_1) | instskip(NEXT) | instid1(VALU_DEP_1)
	v_mul_f64 v[9:10], v[11:12], v[6:7]
	v_fma_f64 v[4:5], -v[4:5], v[9:10], v[11:12]
	s_delay_alu instid0(VALU_DEP_1) | instskip(SKIP_2) | instid1(VALU_DEP_3)
	v_div_fmas_f64 v[4:5], v[4:5], v[6:7], v[9:10]
	v_add_f64 v[6:7], v[0:1], 0
	v_fma_f64 v[0:1], v[0:1], 0, -1.0
	v_div_fixup_f64 v[2:3], v[4:5], v[2:3], 1.0
	s_delay_alu instid0(VALU_DEP_1) | instskip(NEXT) | instid1(VALU_DEP_3)
	v_mul_f64 v[4:5], v[6:7], v[2:3]
	v_mul_f64 v[6:7], v[0:1], v[2:3]
.LBB169_1138:
	s_or_b32 exec_lo, exec_lo, s2
	v_and_b32_e32 v11, 0xff, v13
	v_add_co_u32 v9, s2, s4, v8
	s_delay_alu instid0(VALU_DEP_1) | instskip(NEXT) | instid1(VALU_DEP_3)
	v_add_co_ci_u32_e64 v10, null, s5, 0, s2
	v_cmp_gt_i16_e32 vcc_lo, 11, v11
	s_mov_b32 s8, 0
	s_mov_b32 s3, -1
	s_mov_b32 s2, s34
	s_cbranch_vccnz .LBB169_1213
; %bb.1139:
	v_cmp_lt_i16_e32 vcc_lo, 25, v11
	s_mov_b32 s2, s34
	s_cbranch_vccz .LBB169_1172
; %bb.1140:
	v_cmp_lt_i16_e32 vcc_lo, 28, v11
	s_mov_b32 s2, s34
	s_cbranch_vccz .LBB169_1156
; %bb.1141:
	v_cmp_lt_i16_e32 vcc_lo, 43, v11
	s_mov_b32 s2, s34
	s_cbranch_vccz .LBB169_1152
; %bb.1142:
	v_cmp_lt_i16_e32 vcc_lo, 45, v11
	s_mov_b32 s2, s34
	s_cbranch_vccz .LBB169_1146
; %bb.1143:
	v_cmp_eq_u16_e32 vcc_lo, 46, v11
	s_mov_b32 s2, -1
	s_cbranch_vccz .LBB169_1145
; %bb.1144:
	v_cvt_f32_f64_e32 v0, v[6:7]
	v_cvt_f32_f64_e32 v1, v[4:5]
	s_mov_b32 s2, 0
	s_delay_alu instid0(VALU_DEP_2) | instskip(NEXT) | instid1(VALU_DEP_2)
	v_bfe_u32 v2, v0, 16, 1
	v_bfe_u32 v3, v1, 16, 1
	v_cmp_o_f32_e32 vcc_lo, v0, v0
	s_delay_alu instid0(VALU_DEP_3) | instskip(NEXT) | instid1(VALU_DEP_3)
	v_add3_u32 v2, v0, v2, 0x7fff
	v_add3_u32 v3, v1, v3, 0x7fff
	s_delay_alu instid0(VALU_DEP_2) | instskip(NEXT) | instid1(VALU_DEP_2)
	v_and_b32_e32 v2, 0xffff0000, v2
	v_lshrrev_b32_e32 v3, 16, v3
	s_delay_alu instid0(VALU_DEP_2) | instskip(SKIP_1) | instid1(VALU_DEP_3)
	v_cndmask_b32_e32 v0, 0x7fc00000, v2, vcc_lo
	v_cmp_o_f32_e32 vcc_lo, v1, v1
	v_cndmask_b32_e32 v1, 0x7fc0, v3, vcc_lo
	s_delay_alu instid0(VALU_DEP_1)
	v_or_b32_e32 v0, v0, v1
	global_store_b32 v[9:10], v0, off
.LBB169_1145:
	s_mov_b32 s3, 0
.LBB169_1146:
	s_delay_alu instid0(SALU_CYCLE_1)
	s_and_b32 vcc_lo, exec_lo, s3
	s_cbranch_vccz .LBB169_1151
; %bb.1147:
	v_cmp_eq_u16_e32 vcc_lo, 44, v11
	s_mov_b32 s2, -1
	s_cbranch_vccz .LBB169_1151
; %bb.1148:
	v_cvt_f32_f64_e32 v0, v[4:5]
	v_mov_b32_e32 v1, 0xff
	s_mov_b32 s3, exec_lo
	s_delay_alu instid0(VALU_DEP_2) | instskip(NEXT) | instid1(VALU_DEP_1)
	v_bfe_u32 v2, v0, 23, 8
	v_cmpx_ne_u32_e32 0xff, v2
; %bb.1149:
	v_and_b32_e32 v1, 0x400000, v0
	v_and_or_b32 v2, 0x3fffff, v0, v2
	v_lshrrev_b32_e32 v0, 23, v0
	s_delay_alu instid0(VALU_DEP_3) | instskip(NEXT) | instid1(VALU_DEP_3)
	v_cmp_ne_u32_e32 vcc_lo, 0, v1
	v_cmp_ne_u32_e64 s2, 0, v2
	s_delay_alu instid0(VALU_DEP_1) | instskip(NEXT) | instid1(SALU_CYCLE_1)
	s_and_b32 s2, vcc_lo, s2
	v_cndmask_b32_e64 v1, 0, 1, s2
	s_delay_alu instid0(VALU_DEP_1)
	v_add_nc_u32_e32 v1, v0, v1
; %bb.1150:
	s_or_b32 exec_lo, exec_lo, s3
	s_mov_b32 s2, 0
	global_store_b8 v[9:10], v1, off
.LBB169_1151:
	s_mov_b32 s3, 0
.LBB169_1152:
	s_delay_alu instid0(SALU_CYCLE_1)
	s_and_b32 vcc_lo, exec_lo, s3
	s_cbranch_vccz .LBB169_1155
; %bb.1153:
	v_cmp_eq_u16_e32 vcc_lo, 29, v11
	s_mov_b32 s2, -1
	s_cbranch_vccz .LBB169_1155
; %bb.1154:
	v_trunc_f64_e32 v[0:1], v[4:5]
	s_mov_b32 s2, 0
	s_delay_alu instid0(VALU_DEP_1) | instskip(NEXT) | instid1(VALU_DEP_1)
	v_ldexp_f64 v[2:3], v[0:1], 0xffffffe0
	v_floor_f64_e32 v[2:3], v[2:3]
	s_delay_alu instid0(VALU_DEP_1) | instskip(SKIP_1) | instid1(VALU_DEP_2)
	v_fma_f64 v[0:1], 0xc1f00000, v[2:3], v[0:1]
	v_cvt_u32_f64_e32 v2, v[2:3]
	v_cvt_u32_f64_e32 v1, v[0:1]
	global_store_b64 v[9:10], v[1:2], off
.LBB169_1155:
	s_mov_b32 s3, 0
.LBB169_1156:
	s_delay_alu instid0(SALU_CYCLE_1)
	s_and_b32 vcc_lo, exec_lo, s3
	s_cbranch_vccz .LBB169_1171
; %bb.1157:
	v_cmp_gt_i16_e32 vcc_lo, 27, v11
	s_mov_b32 s3, -1
	s_cbranch_vccnz .LBB169_1163
; %bb.1158:
	v_cvt_u32_f64_e32 v0, v[4:5]
	v_cmp_lt_i16_e32 vcc_lo, 27, v11
	s_cbranch_vccz .LBB169_1160
; %bb.1159:
	s_mov_b32 s3, 0
	global_store_b32 v[9:10], v0, off
.LBB169_1160:
	s_and_not1_b32 vcc_lo, exec_lo, s3
	s_cbranch_vccnz .LBB169_1162
; %bb.1161:
	global_store_b16 v[9:10], v0, off
.LBB169_1162:
	s_mov_b32 s3, 0
.LBB169_1163:
	s_delay_alu instid0(SALU_CYCLE_1)
	s_and_not1_b32 vcc_lo, exec_lo, s3
	s_cbranch_vccnz .LBB169_1171
; %bb.1164:
	v_cvt_f32_f64_e32 v0, v[4:5]
	v_mov_b32_e32 v2, 0x80
	s_mov_b32 s3, exec_lo
	s_delay_alu instid0(VALU_DEP_2) | instskip(NEXT) | instid1(VALU_DEP_1)
	v_and_b32_e32 v1, 0x7fffffff, v0
	v_cmpx_gt_u32_e32 0x43800000, v1
	s_cbranch_execz .LBB169_1170
; %bb.1165:
	v_cmp_lt_u32_e32 vcc_lo, 0x3bffffff, v1
	s_mov_b32 s4, 0
                                        ; implicit-def: $vgpr1
	s_and_saveexec_b32 s5, vcc_lo
	s_delay_alu instid0(SALU_CYCLE_1)
	s_xor_b32 s5, exec_lo, s5
	s_cbranch_execz .LBB169_1505
; %bb.1166:
	v_bfe_u32 v1, v0, 20, 1
	s_mov_b32 s4, exec_lo
	s_delay_alu instid0(VALU_DEP_1) | instskip(NEXT) | instid1(VALU_DEP_1)
	v_add3_u32 v1, v0, v1, 0x487ffff
	v_lshrrev_b32_e32 v1, 20, v1
	s_or_saveexec_b32 s5, s5
                                        ; implicit-def: $sgpr8
	s_delay_alu instid0(SALU_CYCLE_1)
	s_xor_b32 exec_lo, exec_lo, s5
	s_cbranch_execnz .LBB169_1506
.LBB169_1167:
	s_or_b32 exec_lo, exec_lo, s5
	v_mov_b32_e32 v2, s8
	s_and_saveexec_b32 s5, s4
.LBB169_1168:
	v_lshrrev_b32_e32 v0, 24, v0
	s_delay_alu instid0(VALU_DEP_1)
	v_and_or_b32 v2, 0x80, v0, v1
.LBB169_1169:
	s_or_b32 exec_lo, exec_lo, s5
.LBB169_1170:
	s_delay_alu instid0(SALU_CYCLE_1)
	s_or_b32 exec_lo, exec_lo, s3
	global_store_b8 v[9:10], v2, off
.LBB169_1171:
	s_mov_b32 s3, 0
.LBB169_1172:
	s_delay_alu instid0(SALU_CYCLE_1)
	s_and_b32 vcc_lo, exec_lo, s3
	s_mov_b32 s3, 0
	s_cbranch_vccz .LBB169_1212
; %bb.1173:
	v_cmp_lt_i16_e32 vcc_lo, 22, v11
	s_mov_b32 s4, -1
	s_cbranch_vccz .LBB169_1205
; %bb.1174:
	v_cmp_gt_i16_e32 vcc_lo, 24, v11
	s_cbranch_vccnz .LBB169_1194
; %bb.1175:
	v_cmp_lt_i16_e32 vcc_lo, 24, v11
	s_cbranch_vccz .LBB169_1183
; %bb.1176:
	v_cvt_f32_f64_e32 v0, v[4:5]
	v_mov_b32_e32 v2, 0x80
	s_mov_b32 s4, exec_lo
	s_delay_alu instid0(VALU_DEP_2) | instskip(NEXT) | instid1(VALU_DEP_1)
	v_and_b32_e32 v1, 0x7fffffff, v0
	v_cmpx_gt_u32_e32 0x47800000, v1
	s_cbranch_execz .LBB169_1182
; %bb.1177:
	v_cmp_lt_u32_e32 vcc_lo, 0x37ffffff, v1
	s_mov_b32 s5, 0
                                        ; implicit-def: $vgpr1
	s_and_saveexec_b32 s8, vcc_lo
	s_delay_alu instid0(SALU_CYCLE_1)
	s_xor_b32 s8, exec_lo, s8
	s_cbranch_execz .LBB169_1550
; %bb.1178:
	v_bfe_u32 v1, v0, 21, 1
	s_mov_b32 s5, exec_lo
	s_delay_alu instid0(VALU_DEP_1) | instskip(NEXT) | instid1(VALU_DEP_1)
	v_add3_u32 v1, v0, v1, 0x88fffff
	v_lshrrev_b32_e32 v1, 21, v1
	s_or_saveexec_b32 s8, s8
                                        ; implicit-def: $sgpr9
	s_delay_alu instid0(SALU_CYCLE_1)
	s_xor_b32 exec_lo, exec_lo, s8
	s_cbranch_execnz .LBB169_1551
.LBB169_1179:
	s_or_b32 exec_lo, exec_lo, s8
	v_mov_b32_e32 v2, s9
	s_and_saveexec_b32 s8, s5
.LBB169_1180:
	v_lshrrev_b32_e32 v0, 24, v0
	s_delay_alu instid0(VALU_DEP_1)
	v_and_or_b32 v2, 0x80, v0, v1
.LBB169_1181:
	s_or_b32 exec_lo, exec_lo, s8
.LBB169_1182:
	s_delay_alu instid0(SALU_CYCLE_1)
	s_or_b32 exec_lo, exec_lo, s4
	s_mov_b32 s4, 0
	global_store_b8 v[9:10], v2, off
.LBB169_1183:
	s_and_b32 vcc_lo, exec_lo, s4
	s_cbranch_vccz .LBB169_1193
; %bb.1184:
	v_cvt_f32_f64_e32 v0, v[4:5]
	s_mov_b32 s4, exec_lo
                                        ; implicit-def: $vgpr1
	s_delay_alu instid0(VALU_DEP_1) | instskip(NEXT) | instid1(VALU_DEP_1)
	v_and_b32_e32 v2, 0x7fffffff, v0
	v_cmpx_gt_u32_e32 0x43f00000, v2
	s_xor_b32 s4, exec_lo, s4
	s_cbranch_execz .LBB169_1190
; %bb.1185:
	s_mov_b32 s5, exec_lo
                                        ; implicit-def: $vgpr1
	v_cmpx_lt_u32_e32 0x3c7fffff, v2
	s_xor_b32 s5, exec_lo, s5
; %bb.1186:
	v_bfe_u32 v1, v0, 20, 1
	s_delay_alu instid0(VALU_DEP_1) | instskip(NEXT) | instid1(VALU_DEP_1)
	v_add3_u32 v1, v0, v1, 0x407ffff
	v_and_b32_e32 v2, 0xff00000, v1
	v_lshrrev_b32_e32 v1, 20, v1
	s_delay_alu instid0(VALU_DEP_2) | instskip(NEXT) | instid1(VALU_DEP_2)
	v_cmp_ne_u32_e32 vcc_lo, 0x7f00000, v2
	v_cndmask_b32_e32 v1, 0x7e, v1, vcc_lo
; %bb.1187:
	s_and_not1_saveexec_b32 s5, s5
; %bb.1188:
	v_add_f32_e64 v1, 0x46800000, |v0|
; %bb.1189:
	s_or_b32 exec_lo, exec_lo, s5
                                        ; implicit-def: $vgpr2
.LBB169_1190:
	s_and_not1_saveexec_b32 s4, s4
; %bb.1191:
	v_mov_b32_e32 v1, 0x7f
	v_cmp_lt_u32_e32 vcc_lo, 0x7f800000, v2
	s_delay_alu instid0(VALU_DEP_2)
	v_cndmask_b32_e32 v1, 0x7e, v1, vcc_lo
; %bb.1192:
	s_or_b32 exec_lo, exec_lo, s4
	v_lshrrev_b32_e32 v0, 24, v0
	s_delay_alu instid0(VALU_DEP_1)
	v_and_or_b32 v0, 0x80, v0, v1
	global_store_b8 v[9:10], v0, off
.LBB169_1193:
	s_mov_b32 s4, 0
.LBB169_1194:
	s_delay_alu instid0(SALU_CYCLE_1)
	s_and_not1_b32 vcc_lo, exec_lo, s4
	s_cbranch_vccnz .LBB169_1204
; %bb.1195:
	v_cvt_f32_f64_e32 v0, v[4:5]
	s_mov_b32 s4, exec_lo
                                        ; implicit-def: $vgpr1
	s_delay_alu instid0(VALU_DEP_1) | instskip(NEXT) | instid1(VALU_DEP_1)
	v_and_b32_e32 v2, 0x7fffffff, v0
	v_cmpx_gt_u32_e32 0x47800000, v2
	s_xor_b32 s4, exec_lo, s4
	s_cbranch_execz .LBB169_1201
; %bb.1196:
	s_mov_b32 s5, exec_lo
                                        ; implicit-def: $vgpr1
	v_cmpx_lt_u32_e32 0x387fffff, v2
	s_xor_b32 s5, exec_lo, s5
; %bb.1197:
	v_bfe_u32 v1, v0, 21, 1
	s_delay_alu instid0(VALU_DEP_1) | instskip(NEXT) | instid1(VALU_DEP_1)
	v_add3_u32 v1, v0, v1, 0x80fffff
	v_lshrrev_b32_e32 v1, 21, v1
; %bb.1198:
	s_and_not1_saveexec_b32 s5, s5
; %bb.1199:
	v_add_f32_e64 v1, 0x43000000, |v0|
; %bb.1200:
	s_or_b32 exec_lo, exec_lo, s5
                                        ; implicit-def: $vgpr2
.LBB169_1201:
	s_and_not1_saveexec_b32 s4, s4
; %bb.1202:
	v_mov_b32_e32 v1, 0x7f
	v_cmp_lt_u32_e32 vcc_lo, 0x7f800000, v2
	s_delay_alu instid0(VALU_DEP_2)
	v_cndmask_b32_e32 v1, 0x7c, v1, vcc_lo
; %bb.1203:
	s_or_b32 exec_lo, exec_lo, s4
	v_lshrrev_b32_e32 v0, 24, v0
	s_delay_alu instid0(VALU_DEP_1)
	v_and_or_b32 v0, 0x80, v0, v1
	global_store_b8 v[9:10], v0, off
.LBB169_1204:
	s_mov_b32 s4, 0
.LBB169_1205:
	s_delay_alu instid0(SALU_CYCLE_1)
	s_and_not1_b32 vcc_lo, exec_lo, s4
	s_mov_b32 s8, 0
	s_cbranch_vccnz .LBB169_1213
; %bb.1206:
	v_cmp_lt_i16_e32 vcc_lo, 14, v11
	s_mov_b32 s4, -1
	s_cbranch_vccz .LBB169_1210
; %bb.1207:
	v_cmp_eq_u16_e32 vcc_lo, 15, v11
	s_mov_b32 s2, -1
	s_cbranch_vccz .LBB169_1209
; %bb.1208:
	v_cvt_f32_f64_e32 v0, v[4:5]
	s_mov_b32 s2, 0
	s_delay_alu instid0(VALU_DEP_1) | instskip(SKIP_1) | instid1(VALU_DEP_2)
	v_bfe_u32 v1, v0, 16, 1
	v_cmp_o_f32_e32 vcc_lo, v0, v0
	v_add3_u32 v1, v0, v1, 0x7fff
	s_delay_alu instid0(VALU_DEP_1) | instskip(NEXT) | instid1(VALU_DEP_1)
	v_lshrrev_b32_e32 v1, 16, v1
	v_cndmask_b32_e32 v0, 0x7fc0, v1, vcc_lo
	global_store_b16 v[9:10], v0, off
.LBB169_1209:
	s_mov_b32 s4, 0
.LBB169_1210:
	s_delay_alu instid0(SALU_CYCLE_1)
	s_and_b32 vcc_lo, exec_lo, s4
	s_cbranch_vccz .LBB169_1213
; %bb.1211:
	v_cmp_ne_u16_e32 vcc_lo, 11, v11
	s_and_not1_b32 s2, s2, exec_lo
	s_mov_b32 s8, -1
	s_and_b32 s4, vcc_lo, exec_lo
	s_delay_alu instid0(SALU_CYCLE_1)
	s_or_b32 s2, s2, s4
	s_branch .LBB169_1213
.LBB169_1212:
	s_mov_b32 s8, 0
.LBB169_1213:
	s_and_not1_b32 s4, s34, exec_lo
	s_and_b32 s5, s2, exec_lo
	s_and_b32 s3, s3, exec_lo
	;; [unrolled: 1-line block ×3, first 2 shown]
	s_or_b32 s34, s4, s5
.LBB169_1214:
	s_or_b32 exec_lo, exec_lo, s7
	s_and_saveexec_b32 s4, s34
	s_cbranch_execnz .LBB169_1329
; %bb.1215:
	s_or_b32 exec_lo, exec_lo, s4
	s_and_saveexec_b32 s4, s2
	s_delay_alu instid0(SALU_CYCLE_1)
	s_xor_b32 s4, exec_lo, s4
	s_cbranch_execz .LBB169_1217
.LBB169_1216:
	v_cmp_neq_f64_e32 vcc_lo, 0, v[4:5]
	v_cmp_neq_f64_e64 s2, 0, v[6:7]
	s_delay_alu instid0(VALU_DEP_1)
	s_or_b32 s2, vcc_lo, s2
	s_waitcnt vmcnt(0)
	v_cndmask_b32_e64 v0, 0, 1, s2
	global_store_b8 v[9:10], v0, off
.LBB169_1217:
	s_or_b32 exec_lo, exec_lo, s4
	s_and_saveexec_b32 s2, s3
	s_delay_alu instid0(SALU_CYCLE_1)
	s_xor_b32 s2, exec_lo, s2
	s_cbranch_execz .LBB169_1255
; %bb.1218:
	v_cmp_gt_i16_e32 vcc_lo, 5, v11
	s_mov_b32 s3, -1
	s_cbranch_vccnz .LBB169_1239
; %bb.1219:
	v_cmp_gt_i16_e32 vcc_lo, 8, v11
	s_cbranch_vccnz .LBB169_1229
; %bb.1220:
	v_cmp_gt_i16_e32 vcc_lo, 9, v11
	s_cbranch_vccnz .LBB169_1226
; %bb.1221:
	v_cmp_lt_i16_e32 vcc_lo, 9, v11
	s_cbranch_vccz .LBB169_1223
; %bb.1222:
	s_mov_b32 s3, 0
	global_store_b128 v[9:10], v[4:7], off
.LBB169_1223:
	s_and_not1_b32 vcc_lo, exec_lo, s3
	s_cbranch_vccnz .LBB169_1225
; %bb.1224:
	s_waitcnt vmcnt(0)
	v_cvt_f32_f64_e32 v0, v[4:5]
	v_cvt_f32_f64_e32 v1, v[6:7]
	global_store_b64 v[9:10], v[0:1], off
.LBB169_1225:
	s_mov_b32 s3, 0
.LBB169_1226:
	s_delay_alu instid0(SALU_CYCLE_1)
	s_and_not1_b32 vcc_lo, exec_lo, s3
	s_cbranch_vccnz .LBB169_1228
; %bb.1227:
	s_waitcnt vmcnt(0)
	v_cvt_f32_f64_e32 v0, v[6:7]
	v_cvt_f32_f64_e32 v1, v[4:5]
	s_delay_alu instid0(VALU_DEP_2) | instskip(NEXT) | instid1(VALU_DEP_2)
	v_cvt_f16_f32_e32 v0, v0
	v_cvt_f16_f32_e32 v1, v1
	s_delay_alu instid0(VALU_DEP_2) | instskip(NEXT) | instid1(VALU_DEP_2)
	v_lshlrev_b32_e32 v0, 16, v0
	v_and_b32_e32 v1, 0xffff, v1
	s_delay_alu instid0(VALU_DEP_1)
	v_or_b32_e32 v0, v0, v1
	global_store_b32 v[9:10], v0, off
.LBB169_1228:
	s_mov_b32 s3, 0
.LBB169_1229:
	s_delay_alu instid0(SALU_CYCLE_1)
	s_and_not1_b32 vcc_lo, exec_lo, s3
	s_cbranch_vccnz .LBB169_1238
; %bb.1230:
	v_cmp_gt_i16_e32 vcc_lo, 6, v11
	s_mov_b32 s3, -1
	s_cbranch_vccnz .LBB169_1236
; %bb.1231:
	v_cmp_lt_i16_e32 vcc_lo, 6, v11
	s_cbranch_vccz .LBB169_1233
; %bb.1232:
	s_mov_b32 s3, 0
	global_store_b64 v[9:10], v[4:5], off
.LBB169_1233:
	s_and_not1_b32 vcc_lo, exec_lo, s3
	s_cbranch_vccnz .LBB169_1235
; %bb.1234:
	s_waitcnt vmcnt(0)
	v_cvt_f32_f64_e32 v0, v[4:5]
	global_store_b32 v[9:10], v0, off
.LBB169_1235:
	s_mov_b32 s3, 0
.LBB169_1236:
	s_delay_alu instid0(SALU_CYCLE_1)
	s_and_not1_b32 vcc_lo, exec_lo, s3
	s_cbranch_vccnz .LBB169_1238
; %bb.1237:
	s_waitcnt vmcnt(0)
	v_cvt_f32_f64_e32 v0, v[4:5]
	s_delay_alu instid0(VALU_DEP_1)
	v_cvt_f16_f32_e32 v0, v0
	global_store_b16 v[9:10], v0, off
.LBB169_1238:
	s_mov_b32 s3, 0
.LBB169_1239:
	s_delay_alu instid0(SALU_CYCLE_1)
	s_and_not1_b32 vcc_lo, exec_lo, s3
	s_cbranch_vccnz .LBB169_1255
; %bb.1240:
	v_cmp_gt_i16_e32 vcc_lo, 2, v11
	s_mov_b32 s3, -1
	s_cbranch_vccnz .LBB169_1250
; %bb.1241:
	v_cmp_gt_i16_e32 vcc_lo, 3, v11
	s_cbranch_vccnz .LBB169_1247
; %bb.1242:
	v_cmp_lt_i16_e32 vcc_lo, 3, v11
	s_cbranch_vccz .LBB169_1244
; %bb.1243:
	s_waitcnt vmcnt(0)
	v_trunc_f64_e32 v[0:1], v[4:5]
	s_mov_b32 s3, 0
	s_delay_alu instid0(VALU_DEP_1) | instskip(NEXT) | instid1(VALU_DEP_1)
	v_ldexp_f64 v[2:3], v[0:1], 0xffffffe0
	v_floor_f64_e32 v[2:3], v[2:3]
	s_delay_alu instid0(VALU_DEP_1) | instskip(SKIP_1) | instid1(VALU_DEP_2)
	v_fma_f64 v[0:1], 0xc1f00000, v[2:3], v[0:1]
	v_cvt_i32_f64_e32 v2, v[2:3]
	v_cvt_u32_f64_e32 v1, v[0:1]
	global_store_b64 v[9:10], v[1:2], off
.LBB169_1244:
	s_and_not1_b32 vcc_lo, exec_lo, s3
	s_cbranch_vccnz .LBB169_1246
; %bb.1245:
	s_waitcnt vmcnt(0)
	v_cvt_i32_f64_e32 v0, v[4:5]
	global_store_b32 v[9:10], v0, off
.LBB169_1246:
	s_mov_b32 s3, 0
.LBB169_1247:
	s_delay_alu instid0(SALU_CYCLE_1)
	s_and_not1_b32 vcc_lo, exec_lo, s3
	s_cbranch_vccnz .LBB169_1249
; %bb.1248:
	s_waitcnt vmcnt(0)
	v_cvt_i32_f64_e32 v0, v[4:5]
	global_store_b16 v[9:10], v0, off
.LBB169_1249:
	s_mov_b32 s3, 0
.LBB169_1250:
	s_delay_alu instid0(SALU_CYCLE_1)
	s_and_not1_b32 vcc_lo, exec_lo, s3
	s_cbranch_vccnz .LBB169_1255
; %bb.1251:
	v_cmp_lt_i16_e32 vcc_lo, 0, v11
	s_mov_b32 s3, -1
	s_cbranch_vccz .LBB169_1253
; %bb.1252:
	s_waitcnt vmcnt(0)
	v_cvt_i32_f64_e32 v0, v[4:5]
	s_mov_b32 s3, 0
	global_store_b8 v[9:10], v0, off
.LBB169_1253:
	s_and_not1_b32 vcc_lo, exec_lo, s3
	s_cbranch_vccnz .LBB169_1255
; %bb.1254:
	s_waitcnt vmcnt(0)
	v_trunc_f64_e32 v[0:1], v[4:5]
	s_delay_alu instid0(VALU_DEP_1) | instskip(NEXT) | instid1(VALU_DEP_1)
	v_ldexp_f64 v[2:3], v[0:1], 0xffffffe0
	v_floor_f64_e32 v[2:3], v[2:3]
	s_delay_alu instid0(VALU_DEP_1) | instskip(NEXT) | instid1(VALU_DEP_1)
	v_fma_f64 v[0:1], 0xc1f00000, v[2:3], v[0:1]
	v_cvt_u32_f64_e32 v0, v[0:1]
	global_store_b8 v[9:10], v0, off
.LBB169_1255:
	s_or_b32 exec_lo, exec_lo, s2
	s_delay_alu instid0(SALU_CYCLE_1)
	s_and_b32 s8, s6, exec_lo
                                        ; implicit-def: $vgpr2
                                        ; implicit-def: $vgpr16
.LBB169_1256:
	s_or_saveexec_b32 s9, s28
	s_mov_b32 s2, 0
                                        ; implicit-def: $vgpr0_vgpr1
                                        ; implicit-def: $vgpr22
                                        ; implicit-def: $vgpr14_vgpr15
	s_xor_b32 exec_lo, exec_lo, s9
	s_cbranch_execz .LBB169_1998
; %bb.1257:
	s_waitcnt vmcnt(0)
	v_cndmask_b32_e64 v1, 0, 1, s27
	s_and_not1_b32 vcc_lo, exec_lo, s27
	s_cbranch_vccnz .LBB169_1263
; %bb.1258:
	v_dual_mov_b32 v21, 0 :: v_dual_mov_b32 v0, 0
	s_cmp_lg_u32 s24, 0
	s_mov_b32 s6, 0
	s_cbranch_scc0 .LBB169_1267
; %bb.1259:
	s_min_u32 s7, s25, 15
	v_mov_b32_e32 v21, 0
	s_add_i32 s7, s7, 1
	s_cmp_eq_u32 s25, 2
	s_mov_b32 s10, 0
	s_cbranch_scc1 .LBB169_1264
; %bb.1260:
	v_dual_mov_b32 v0, 0 :: v_dual_mov_b32 v21, 0
	v_mov_b32_e32 v3, v16
	s_add_u32 s2, s16, 0xc4
	s_addc_u32 s3, s17, 0
	s_and_b32 s10, s7, 28
	s_mov_b32 s11, 0
	s_mov_b64 s[4:5], s[16:17]
.LBB169_1261:                           ; =>This Inner Loop Header: Depth=1
	s_clause 0x1
	s_load_b256 s[36:43], s[4:5], 0x4
	s_load_b128 s[12:15], s[4:5], 0x24
	s_load_b256 s[44:51], s[2:3], 0x0
	s_add_u32 s4, s4, 48
	s_addc_u32 s5, s5, 0
	s_add_i32 s11, s11, 4
	s_add_u32 s2, s2, 32
	s_addc_u32 s3, s3, 0
	s_cmp_lg_u32 s10, s11
	s_waitcnt lgkmcnt(0)
	v_mul_hi_u32 v4, s37, v3
	s_delay_alu instid0(VALU_DEP_1) | instskip(NEXT) | instid1(VALU_DEP_1)
	v_add_nc_u32_e32 v4, v3, v4
	v_lshrrev_b32_e32 v4, s38, v4
	s_delay_alu instid0(VALU_DEP_1) | instskip(SKIP_1) | instid1(VALU_DEP_2)
	v_mul_hi_u32 v5, s40, v4
	v_mul_lo_u32 v7, v4, s36
	v_add_nc_u32_e32 v5, v4, v5
	s_delay_alu instid0(VALU_DEP_2) | instskip(NEXT) | instid1(VALU_DEP_2)
	v_sub_nc_u32_e32 v3, v3, v7
	v_lshrrev_b32_e32 v5, s41, v5
	s_delay_alu instid0(VALU_DEP_2) | instskip(SKIP_1) | instid1(VALU_DEP_3)
	v_mul_lo_u32 v7, v3, s44
	v_mul_lo_u32 v9, v3, s45
	v_mul_hi_u32 v6, s43, v5
	s_delay_alu instid0(VALU_DEP_1) | instskip(NEXT) | instid1(VALU_DEP_1)
	v_add_nc_u32_e32 v6, v5, v6
	v_lshrrev_b32_e32 v6, s12, v6
	s_delay_alu instid0(VALU_DEP_1) | instskip(SKIP_1) | instid1(VALU_DEP_2)
	v_mul_hi_u32 v8, s14, v6
	v_mul_lo_u32 v10, v6, s42
	v_add_nc_u32_e32 v3, v6, v8
	v_mul_lo_u32 v8, v5, s39
	s_delay_alu instid0(VALU_DEP_3) | instskip(NEXT) | instid1(VALU_DEP_3)
	v_sub_nc_u32_e32 v5, v5, v10
	v_lshrrev_b32_e32 v3, s15, v3
	s_delay_alu instid0(VALU_DEP_2) | instskip(SKIP_2) | instid1(VALU_DEP_4)
	v_mul_lo_u32 v10, v5, s48
	v_mul_lo_u32 v5, v5, s49
	v_sub_nc_u32_e32 v4, v4, v8
	v_mul_lo_u32 v11, v3, s13
	s_delay_alu instid0(VALU_DEP_2) | instskip(SKIP_1) | instid1(VALU_DEP_3)
	v_mul_lo_u32 v8, v4, s46
	v_mul_lo_u32 v4, v4, s47
	v_sub_nc_u32_e32 v6, v6, v11
	s_delay_alu instid0(VALU_DEP_3) | instskip(NEXT) | instid1(VALU_DEP_2)
	v_add3_u32 v7, v7, v21, v8
	v_mul_lo_u32 v11, v6, s50
	v_mul_lo_u32 v6, v6, s51
	v_add3_u32 v0, v9, v0, v4
	s_delay_alu instid0(VALU_DEP_3) | instskip(NEXT) | instid1(VALU_DEP_2)
	v_add3_u32 v21, v10, v7, v11
	v_add3_u32 v0, v5, v0, v6
	s_cbranch_scc1 .LBB169_1261
; %bb.1262:
	s_and_b32 s7, s7, 3
	s_delay_alu instid0(SALU_CYCLE_1)
	s_cmp_eq_u32 s7, 0
	s_cbranch_scc0 .LBB169_1265
	s_branch .LBB169_1267
.LBB169_1263:
	s_mov_b32 s6, -1
                                        ; implicit-def: $vgpr21
                                        ; implicit-def: $vgpr0
	s_branch .LBB169_1267
.LBB169_1264:
	v_dual_mov_b32 v3, v16 :: v_dual_mov_b32 v0, 0
	s_and_b32 s7, s7, 3
	s_delay_alu instid0(SALU_CYCLE_1)
	s_cmp_eq_u32 s7, 0
	s_cbranch_scc1 .LBB169_1267
.LBB169_1265:
	s_lshl_b32 s2, s10, 3
	s_mul_i32 s4, s10, 12
	s_add_u32 s2, s2, s16
	s_addc_u32 s3, 0, s17
	s_add_u32 s2, s2, 0xc4
	s_addc_u32 s3, s3, 0
	;; [unrolled: 2-line block ×3, first 2 shown]
	.p2align	6
.LBB169_1266:                           ; =>This Inner Loop Header: Depth=1
	s_clause 0x1
	s_load_b64 s[10:11], s[4:5], 0x4
	s_load_b32 s14, s[4:5], 0xc
	s_load_b64 s[12:13], s[2:3], 0x0
	s_add_u32 s4, s4, 12
	s_addc_u32 s5, s5, 0
	s_add_u32 s2, s2, 8
	s_addc_u32 s3, s3, 0
	s_add_i32 s7, s7, -1
	s_delay_alu instid0(SALU_CYCLE_1) | instskip(SKIP_2) | instid1(VALU_DEP_1)
	s_cmp_lg_u32 s7, 0
	s_waitcnt lgkmcnt(0)
	v_mul_hi_u32 v4, s11, v3
	v_add_nc_u32_e32 v4, v3, v4
	s_delay_alu instid0(VALU_DEP_1) | instskip(NEXT) | instid1(VALU_DEP_1)
	v_lshrrev_b32_e32 v7, s14, v4
	v_mul_lo_u32 v4, v7, s10
	s_delay_alu instid0(VALU_DEP_1) | instskip(NEXT) | instid1(VALU_DEP_1)
	v_sub_nc_u32_e32 v3, v3, v4
	v_mad_u64_u32 v[4:5], null, v3, s12, v[21:22]
	v_mad_u64_u32 v[5:6], null, v3, s13, v[0:1]
	v_mov_b32_e32 v3, v7
	s_delay_alu instid0(VALU_DEP_2)
	v_dual_mov_b32 v21, v4 :: v_dual_mov_b32 v0, v5
	s_cbranch_scc1 .LBB169_1266
.LBB169_1267:
	s_and_not1_b32 vcc_lo, exec_lo, s6
	s_cbranch_vccnz .LBB169_1270
; %bb.1268:
	s_clause 0x1
	s_load_b128 s[4:7], s[16:17], 0x4
	s_load_b64 s[2:3], s[16:17], 0xc4
	s_cmp_lt_u32 s24, 2
	s_waitcnt lgkmcnt(0)
	v_mul_hi_u32 v0, s5, v16
	s_delay_alu instid0(VALU_DEP_1) | instskip(NEXT) | instid1(VALU_DEP_1)
	v_add_nc_u32_e32 v0, v16, v0
	v_lshrrev_b32_e32 v3, s6, v0
	s_delay_alu instid0(VALU_DEP_1) | instskip(NEXT) | instid1(VALU_DEP_1)
	v_mul_lo_u32 v0, v3, s4
	v_sub_nc_u32_e32 v0, v16, v0
	s_delay_alu instid0(VALU_DEP_1)
	v_mul_lo_u32 v21, v0, s2
	v_mul_lo_u32 v0, v0, s3
	s_cbranch_scc1 .LBB169_1270
; %bb.1269:
	s_clause 0x1
	s_load_b128 s[4:7], s[16:17], 0x10
	s_load_b64 s[2:3], s[16:17], 0xcc
	s_waitcnt lgkmcnt(0)
	v_mul_hi_u32 v4, s5, v3
	s_delay_alu instid0(VALU_DEP_1) | instskip(NEXT) | instid1(VALU_DEP_1)
	v_add_nc_u32_e32 v4, v3, v4
	v_lshrrev_b32_e32 v4, s6, v4
	s_delay_alu instid0(VALU_DEP_1) | instskip(NEXT) | instid1(VALU_DEP_1)
	v_mul_lo_u32 v4, v4, s4
	v_sub_nc_u32_e32 v6, v3, v4
	s_delay_alu instid0(VALU_DEP_1) | instskip(SKIP_1) | instid1(VALU_DEP_1)
	v_mad_u64_u32 v[3:4], null, v6, s2, v[21:22]
	v_mad_u64_u32 v[4:5], null, v6, s3, v[0:1]
	v_dual_mov_b32 v21, v3 :: v_dual_mov_b32 v0, v4
.LBB169_1270:
	v_cmp_ne_u32_e32 vcc_lo, 1, v1
	v_add_nc_u32_e32 v3, 0x80, v16
	s_cbranch_vccnz .LBB169_1276
; %bb.1271:
	v_mov_b32_e32 v20, 0
	v_mov_b32_e32 v6, 0
	s_cmp_lg_u32 s24, 0
	s_mov_b32 s6, 0
	s_cbranch_scc0 .LBB169_1280
; %bb.1272:
	s_min_u32 s7, s25, 15
	v_mov_b32_e32 v20, 0
	s_add_i32 s7, s7, 1
	s_cmp_eq_u32 s25, 2
	s_mov_b32 s10, 0
	s_cbranch_scc1 .LBB169_1277
; %bb.1273:
	v_mov_b32_e32 v6, 0
	v_mov_b32_e32 v20, 0
	;; [unrolled: 1-line block ×3, first 2 shown]
	s_add_u32 s2, s16, 0xc4
	s_addc_u32 s3, s17, 0
	s_and_b32 s10, s7, 28
	s_mov_b32 s11, 0
	s_mov_b64 s[4:5], s[16:17]
.LBB169_1274:                           ; =>This Inner Loop Header: Depth=1
	s_clause 0x1
	s_load_b256 s[36:43], s[4:5], 0x4
	s_load_b128 s[12:15], s[4:5], 0x24
	s_load_b256 s[44:51], s[2:3], 0x0
	s_add_u32 s4, s4, 48
	s_addc_u32 s5, s5, 0
	s_add_i32 s11, s11, 4
	s_add_u32 s2, s2, 32
	s_addc_u32 s3, s3, 0
	s_cmp_lg_u32 s10, s11
	s_waitcnt lgkmcnt(0)
	v_mul_hi_u32 v5, s37, v4
	s_delay_alu instid0(VALU_DEP_1) | instskip(NEXT) | instid1(VALU_DEP_1)
	v_add_nc_u32_e32 v5, v4, v5
	v_lshrrev_b32_e32 v5, s38, v5
	s_delay_alu instid0(VALU_DEP_1) | instskip(SKIP_1) | instid1(VALU_DEP_2)
	v_mul_hi_u32 v7, s40, v5
	v_mul_lo_u32 v9, v5, s36
	v_add_nc_u32_e32 v7, v5, v7
	s_delay_alu instid0(VALU_DEP_2) | instskip(NEXT) | instid1(VALU_DEP_2)
	v_sub_nc_u32_e32 v4, v4, v9
	v_lshrrev_b32_e32 v7, s41, v7
	s_delay_alu instid0(VALU_DEP_2) | instskip(SKIP_1) | instid1(VALU_DEP_3)
	v_mul_lo_u32 v9, v4, s44
	v_mul_lo_u32 v11, v4, s45
	v_mul_hi_u32 v8, s43, v7
	s_delay_alu instid0(VALU_DEP_1) | instskip(NEXT) | instid1(VALU_DEP_1)
	v_add_nc_u32_e32 v8, v7, v8
	v_lshrrev_b32_e32 v8, s12, v8
	s_delay_alu instid0(VALU_DEP_1) | instskip(SKIP_1) | instid1(VALU_DEP_2)
	v_mul_hi_u32 v10, s14, v8
	v_mul_lo_u32 v12, v8, s42
	v_add_nc_u32_e32 v4, v8, v10
	v_mul_lo_u32 v10, v7, s39
	s_delay_alu instid0(VALU_DEP_3) | instskip(NEXT) | instid1(VALU_DEP_3)
	v_sub_nc_u32_e32 v7, v7, v12
	v_lshrrev_b32_e32 v4, s15, v4
	s_delay_alu instid0(VALU_DEP_2) | instskip(SKIP_2) | instid1(VALU_DEP_4)
	v_mul_lo_u32 v12, v7, s48
	v_mul_lo_u32 v7, v7, s49
	v_sub_nc_u32_e32 v5, v5, v10
	v_mul_lo_u32 v13, v4, s13
	s_delay_alu instid0(VALU_DEP_2) | instskip(SKIP_1) | instid1(VALU_DEP_3)
	v_mul_lo_u32 v10, v5, s46
	v_mul_lo_u32 v5, v5, s47
	v_sub_nc_u32_e32 v8, v8, v13
	s_delay_alu instid0(VALU_DEP_3) | instskip(NEXT) | instid1(VALU_DEP_2)
	v_add3_u32 v9, v9, v20, v10
	v_mul_lo_u32 v13, v8, s50
	v_mul_lo_u32 v8, v8, s51
	v_add3_u32 v5, v11, v6, v5
	s_delay_alu instid0(VALU_DEP_3) | instskip(NEXT) | instid1(VALU_DEP_2)
	v_add3_u32 v20, v12, v9, v13
	v_add3_u32 v6, v7, v5, v8
	s_cbranch_scc1 .LBB169_1274
; %bb.1275:
	s_and_b32 s7, s7, 3
	s_delay_alu instid0(SALU_CYCLE_1)
	s_cmp_eq_u32 s7, 0
	s_cbranch_scc0 .LBB169_1278
	s_branch .LBB169_1280
.LBB169_1276:
	s_mov_b32 s6, -1
                                        ; implicit-def: $vgpr20
                                        ; implicit-def: $vgpr6
	s_branch .LBB169_1280
.LBB169_1277:
	v_mov_b32_e32 v4, v3
	v_mov_b32_e32 v6, 0
	s_and_b32 s7, s7, 3
	s_delay_alu instid0(SALU_CYCLE_1)
	s_cmp_eq_u32 s7, 0
	s_cbranch_scc1 .LBB169_1280
.LBB169_1278:
	s_lshl_b32 s2, s10, 3
	s_mul_i32 s4, s10, 12
	s_add_u32 s2, s2, s16
	s_addc_u32 s3, 0, s17
	s_add_u32 s2, s2, 0xc4
	s_addc_u32 s3, s3, 0
	;; [unrolled: 2-line block ×3, first 2 shown]
	.p2align	6
.LBB169_1279:                           ; =>This Inner Loop Header: Depth=1
	s_clause 0x1
	s_load_b64 s[10:11], s[4:5], 0x4
	s_load_b32 s14, s[4:5], 0xc
	s_load_b64 s[12:13], s[2:3], 0x0
	s_add_u32 s4, s4, 12
	s_addc_u32 s5, s5, 0
	s_add_u32 s2, s2, 8
	s_addc_u32 s3, s3, 0
	s_add_i32 s7, s7, -1
	s_delay_alu instid0(SALU_CYCLE_1) | instskip(SKIP_2) | instid1(VALU_DEP_1)
	s_cmp_lg_u32 s7, 0
	s_waitcnt lgkmcnt(0)
	v_mul_hi_u32 v5, s11, v4
	v_add_nc_u32_e32 v5, v4, v5
	s_delay_alu instid0(VALU_DEP_1) | instskip(NEXT) | instid1(VALU_DEP_1)
	v_lshrrev_b32_e32 v5, s14, v5
	v_mul_lo_u32 v7, v5, s10
	s_delay_alu instid0(VALU_DEP_1) | instskip(NEXT) | instid1(VALU_DEP_1)
	v_sub_nc_u32_e32 v4, v4, v7
	v_mad_u64_u32 v[7:8], null, v4, s12, v[20:21]
	s_delay_alu instid0(VALU_DEP_1) | instskip(SKIP_2) | instid1(VALU_DEP_2)
	v_mov_b32_e32 v20, v7
	v_mad_u64_u32 v[8:9], null, v4, s13, v[6:7]
	v_mov_b32_e32 v4, v5
	v_mov_b32_e32 v6, v8
	s_cbranch_scc1 .LBB169_1279
.LBB169_1280:
	s_and_not1_b32 vcc_lo, exec_lo, s6
	s_cbranch_vccnz .LBB169_1283
; %bb.1281:
	s_clause 0x1
	s_load_b128 s[4:7], s[16:17], 0x4
	s_load_b64 s[2:3], s[16:17], 0xc4
	s_cmp_lt_u32 s24, 2
	s_waitcnt lgkmcnt(0)
	v_mul_hi_u32 v4, s5, v3
	s_delay_alu instid0(VALU_DEP_1) | instskip(NEXT) | instid1(VALU_DEP_1)
	v_add_nc_u32_e32 v4, v3, v4
	v_lshrrev_b32_e32 v4, s6, v4
	s_delay_alu instid0(VALU_DEP_1) | instskip(NEXT) | instid1(VALU_DEP_1)
	v_mul_lo_u32 v5, v4, s4
	v_sub_nc_u32_e32 v3, v3, v5
	s_delay_alu instid0(VALU_DEP_1)
	v_mul_lo_u32 v20, v3, s2
	v_mul_lo_u32 v6, v3, s3
	s_cbranch_scc1 .LBB169_1283
; %bb.1282:
	s_clause 0x1
	s_load_b128 s[4:7], s[16:17], 0x10
	s_load_b64 s[2:3], s[16:17], 0xcc
	s_waitcnt lgkmcnt(0)
	v_mul_hi_u32 v3, s5, v4
	s_delay_alu instid0(VALU_DEP_1) | instskip(NEXT) | instid1(VALU_DEP_1)
	v_add_nc_u32_e32 v3, v4, v3
	v_lshrrev_b32_e32 v3, s6, v3
	s_delay_alu instid0(VALU_DEP_1) | instskip(NEXT) | instid1(VALU_DEP_1)
	v_mul_lo_u32 v3, v3, s4
	v_sub_nc_u32_e32 v7, v4, v3
	s_delay_alu instid0(VALU_DEP_1) | instskip(SKIP_1) | instid1(VALU_DEP_2)
	v_mad_u64_u32 v[3:4], null, v7, s2, v[20:21]
	v_mad_u64_u32 v[4:5], null, v7, s3, v[6:7]
	v_mov_b32_e32 v20, v3
	s_delay_alu instid0(VALU_DEP_2)
	v_mov_b32_e32 v6, v4
.LBB169_1283:
	v_cmp_ne_u32_e32 vcc_lo, 1, v1
	v_add_nc_u32_e32 v3, 0x100, v16
	s_cbranch_vccnz .LBB169_1289
; %bb.1284:
	v_dual_mov_b32 v19, 0 :: v_dual_mov_b32 v10, 0
	s_cmp_lg_u32 s24, 0
	s_mov_b32 s6, 0
	s_cbranch_scc0 .LBB169_1293
; %bb.1285:
	s_min_u32 s7, s25, 15
	v_mov_b32_e32 v19, 0
	s_add_i32 s7, s7, 1
	s_cmp_eq_u32 s25, 2
	s_mov_b32 s10, 0
	s_cbranch_scc1 .LBB169_1290
; %bb.1286:
	v_dual_mov_b32 v10, 0 :: v_dual_mov_b32 v19, 0
	v_mov_b32_e32 v4, v3
	s_add_u32 s2, s16, 0xc4
	s_addc_u32 s3, s17, 0
	s_and_b32 s10, s7, 28
	s_mov_b32 s11, 0
	s_mov_b64 s[4:5], s[16:17]
.LBB169_1287:                           ; =>This Inner Loop Header: Depth=1
	s_clause 0x1
	s_load_b256 s[36:43], s[4:5], 0x4
	s_load_b128 s[12:15], s[4:5], 0x24
	s_load_b256 s[44:51], s[2:3], 0x0
	s_add_u32 s4, s4, 48
	s_addc_u32 s5, s5, 0
	s_add_i32 s11, s11, 4
	s_add_u32 s2, s2, 32
	s_addc_u32 s3, s3, 0
	s_cmp_lg_u32 s10, s11
	s_waitcnt lgkmcnt(0)
	v_mul_hi_u32 v5, s37, v4
	s_delay_alu instid0(VALU_DEP_1) | instskip(NEXT) | instid1(VALU_DEP_1)
	v_add_nc_u32_e32 v5, v4, v5
	v_lshrrev_b32_e32 v5, s38, v5
	s_delay_alu instid0(VALU_DEP_1) | instskip(SKIP_1) | instid1(VALU_DEP_2)
	v_mul_hi_u32 v7, s40, v5
	v_mul_lo_u32 v9, v5, s36
	v_add_nc_u32_e32 v7, v5, v7
	s_delay_alu instid0(VALU_DEP_2) | instskip(NEXT) | instid1(VALU_DEP_2)
	v_sub_nc_u32_e32 v4, v4, v9
	v_lshrrev_b32_e32 v7, s41, v7
	s_delay_alu instid0(VALU_DEP_2) | instskip(SKIP_1) | instid1(VALU_DEP_3)
	v_mul_lo_u32 v9, v4, s44
	v_mul_lo_u32 v12, v4, s45
	v_mul_hi_u32 v8, s43, v7
	s_delay_alu instid0(VALU_DEP_1) | instskip(NEXT) | instid1(VALU_DEP_1)
	v_add_nc_u32_e32 v8, v7, v8
	v_lshrrev_b32_e32 v8, s12, v8
	s_delay_alu instid0(VALU_DEP_1) | instskip(SKIP_1) | instid1(VALU_DEP_2)
	v_mul_hi_u32 v11, s14, v8
	v_mul_lo_u32 v13, v8, s42
	v_add_nc_u32_e32 v4, v8, v11
	v_mul_lo_u32 v11, v7, s39
	s_delay_alu instid0(VALU_DEP_3) | instskip(NEXT) | instid1(VALU_DEP_3)
	v_sub_nc_u32_e32 v7, v7, v13
	v_lshrrev_b32_e32 v4, s15, v4
	s_delay_alu instid0(VALU_DEP_2) | instskip(SKIP_2) | instid1(VALU_DEP_4)
	v_mul_lo_u32 v13, v7, s48
	v_mul_lo_u32 v7, v7, s49
	v_sub_nc_u32_e32 v5, v5, v11
	v_mul_lo_u32 v14, v4, s13
	s_delay_alu instid0(VALU_DEP_2) | instskip(SKIP_1) | instid1(VALU_DEP_3)
	v_mul_lo_u32 v11, v5, s46
	v_mul_lo_u32 v5, v5, s47
	v_sub_nc_u32_e32 v8, v8, v14
	s_delay_alu instid0(VALU_DEP_3) | instskip(NEXT) | instid1(VALU_DEP_2)
	v_add3_u32 v9, v9, v19, v11
	v_mul_lo_u32 v14, v8, s50
	v_mul_lo_u32 v8, v8, s51
	v_add3_u32 v5, v12, v10, v5
	s_delay_alu instid0(VALU_DEP_3) | instskip(NEXT) | instid1(VALU_DEP_2)
	v_add3_u32 v19, v13, v9, v14
	v_add3_u32 v10, v7, v5, v8
	s_cbranch_scc1 .LBB169_1287
; %bb.1288:
	s_and_b32 s7, s7, 3
	s_delay_alu instid0(SALU_CYCLE_1)
	s_cmp_eq_u32 s7, 0
	s_cbranch_scc0 .LBB169_1291
	s_branch .LBB169_1293
.LBB169_1289:
	s_mov_b32 s6, -1
                                        ; implicit-def: $vgpr19
                                        ; implicit-def: $vgpr10
	s_branch .LBB169_1293
.LBB169_1290:
	v_mov_b32_e32 v4, v3
	v_mov_b32_e32 v10, 0
	s_and_b32 s7, s7, 3
	s_delay_alu instid0(SALU_CYCLE_1)
	s_cmp_eq_u32 s7, 0
	s_cbranch_scc1 .LBB169_1293
.LBB169_1291:
	s_lshl_b32 s2, s10, 3
	s_mul_i32 s4, s10, 12
	s_add_u32 s2, s2, s16
	s_addc_u32 s3, 0, s17
	s_add_u32 s2, s2, 0xc4
	s_addc_u32 s3, s3, 0
	;; [unrolled: 2-line block ×3, first 2 shown]
	.p2align	6
.LBB169_1292:                           ; =>This Inner Loop Header: Depth=1
	s_clause 0x1
	s_load_b64 s[10:11], s[4:5], 0x4
	s_load_b32 s14, s[4:5], 0xc
	s_load_b64 s[12:13], s[2:3], 0x0
	s_add_u32 s4, s4, 12
	s_addc_u32 s5, s5, 0
	s_add_u32 s2, s2, 8
	s_addc_u32 s3, s3, 0
	s_add_i32 s7, s7, -1
	s_delay_alu instid0(SALU_CYCLE_1) | instskip(SKIP_2) | instid1(VALU_DEP_1)
	s_cmp_lg_u32 s7, 0
	s_waitcnt lgkmcnt(0)
	v_mul_hi_u32 v5, s11, v4
	v_add_nc_u32_e32 v5, v4, v5
	s_delay_alu instid0(VALU_DEP_1) | instskip(NEXT) | instid1(VALU_DEP_1)
	v_lshrrev_b32_e32 v5, s14, v5
	v_mul_lo_u32 v7, v5, s10
	s_delay_alu instid0(VALU_DEP_1) | instskip(NEXT) | instid1(VALU_DEP_1)
	v_sub_nc_u32_e32 v4, v4, v7
	v_mad_u64_u32 v[7:8], null, v4, s12, v[19:20]
	v_mad_u64_u32 v[8:9], null, v4, s13, v[10:11]
	s_delay_alu instid0(VALU_DEP_2) | instskip(NEXT) | instid1(VALU_DEP_2)
	v_dual_mov_b32 v4, v5 :: v_dual_mov_b32 v19, v7
	v_mov_b32_e32 v10, v8
	s_cbranch_scc1 .LBB169_1292
.LBB169_1293:
	s_and_not1_b32 vcc_lo, exec_lo, s6
	s_cbranch_vccnz .LBB169_1296
; %bb.1294:
	s_clause 0x1
	s_load_b128 s[4:7], s[16:17], 0x4
	s_load_b64 s[2:3], s[16:17], 0xc4
	s_cmp_lt_u32 s24, 2
	s_waitcnt lgkmcnt(0)
	v_mul_hi_u32 v4, s5, v3
	s_delay_alu instid0(VALU_DEP_1) | instskip(NEXT) | instid1(VALU_DEP_1)
	v_add_nc_u32_e32 v4, v3, v4
	v_lshrrev_b32_e32 v4, s6, v4
	s_delay_alu instid0(VALU_DEP_1) | instskip(NEXT) | instid1(VALU_DEP_1)
	v_mul_lo_u32 v5, v4, s4
	v_sub_nc_u32_e32 v3, v3, v5
	s_delay_alu instid0(VALU_DEP_1)
	v_mul_lo_u32 v19, v3, s2
	v_mul_lo_u32 v10, v3, s3
	s_cbranch_scc1 .LBB169_1296
; %bb.1295:
	s_clause 0x1
	s_load_b128 s[4:7], s[16:17], 0x10
	s_load_b64 s[2:3], s[16:17], 0xcc
	s_waitcnt lgkmcnt(0)
	v_mul_hi_u32 v3, s5, v4
	s_delay_alu instid0(VALU_DEP_1) | instskip(NEXT) | instid1(VALU_DEP_1)
	v_add_nc_u32_e32 v3, v4, v3
	v_lshrrev_b32_e32 v3, s6, v3
	s_delay_alu instid0(VALU_DEP_1) | instskip(NEXT) | instid1(VALU_DEP_1)
	v_mul_lo_u32 v3, v3, s4
	v_sub_nc_u32_e32 v7, v4, v3
	s_delay_alu instid0(VALU_DEP_1) | instskip(SKIP_1) | instid1(VALU_DEP_1)
	v_mad_u64_u32 v[3:4], null, v7, s2, v[19:20]
	v_mad_u64_u32 v[4:5], null, v7, s3, v[10:11]
	v_dual_mov_b32 v19, v3 :: v_dual_mov_b32 v10, v4
.LBB169_1296:
	v_cmp_ne_u32_e32 vcc_lo, 1, v1
	s_cbranch_vccnz .LBB169_1302
; %bb.1297:
	v_mov_b32_e32 v18, 0
	v_mov_b32_e32 v14, 0
	s_cmp_lg_u32 s24, 0
	s_mov_b32 s6, 0
	s_cbranch_scc0 .LBB169_1306
; %bb.1298:
	s_min_u32 s7, s25, 15
	v_mov_b32_e32 v18, 0
	s_add_i32 s7, s7, 1
	s_cmp_eq_u32 s25, 2
	s_mov_b32 s10, 0
	s_cbranch_scc1 .LBB169_1303
; %bb.1299:
	v_dual_mov_b32 v14, 0 :: v_dual_mov_b32 v1, v2
	v_mov_b32_e32 v18, 0
	s_add_u32 s2, s16, 0xc4
	s_addc_u32 s3, s17, 0
	s_and_b32 s10, s7, 28
	s_mov_b32 s11, 0
	s_mov_b64 s[4:5], s[16:17]
.LBB169_1300:                           ; =>This Inner Loop Header: Depth=1
	s_clause 0x1
	s_load_b256 s[36:43], s[4:5], 0x4
	s_load_b128 s[12:15], s[4:5], 0x24
	s_load_b256 s[44:51], s[2:3], 0x0
	s_add_u32 s4, s4, 48
	s_addc_u32 s5, s5, 0
	s_add_i32 s11, s11, 4
	s_add_u32 s2, s2, 32
	s_addc_u32 s3, s3, 0
	s_cmp_lg_u32 s10, s11
	s_waitcnt lgkmcnt(0)
	v_mul_hi_u32 v3, s37, v1
	s_delay_alu instid0(VALU_DEP_1) | instskip(NEXT) | instid1(VALU_DEP_1)
	v_add_nc_u32_e32 v3, v1, v3
	v_lshrrev_b32_e32 v3, s38, v3
	s_delay_alu instid0(VALU_DEP_1) | instskip(SKIP_1) | instid1(VALU_DEP_2)
	v_mul_hi_u32 v4, s40, v3
	v_mul_lo_u32 v7, v3, s36
	v_add_nc_u32_e32 v4, v3, v4
	s_delay_alu instid0(VALU_DEP_2) | instskip(NEXT) | instid1(VALU_DEP_2)
	v_sub_nc_u32_e32 v1, v1, v7
	v_lshrrev_b32_e32 v4, s41, v4
	s_delay_alu instid0(VALU_DEP_2) | instskip(SKIP_1) | instid1(VALU_DEP_3)
	v_mul_lo_u32 v7, v1, s44
	v_mul_lo_u32 v9, v1, s45
	v_mul_hi_u32 v5, s43, v4
	s_delay_alu instid0(VALU_DEP_1) | instskip(NEXT) | instid1(VALU_DEP_1)
	v_add_nc_u32_e32 v5, v4, v5
	v_lshrrev_b32_e32 v5, s12, v5
	s_delay_alu instid0(VALU_DEP_1) | instskip(SKIP_1) | instid1(VALU_DEP_2)
	v_mul_hi_u32 v8, s14, v5
	v_mul_lo_u32 v11, v5, s42
	v_add_nc_u32_e32 v1, v5, v8
	v_mul_lo_u32 v8, v4, s39
	s_delay_alu instid0(VALU_DEP_3) | instskip(NEXT) | instid1(VALU_DEP_3)
	v_sub_nc_u32_e32 v4, v4, v11
	v_lshrrev_b32_e32 v1, s15, v1
	s_delay_alu instid0(VALU_DEP_2) | instskip(SKIP_2) | instid1(VALU_DEP_4)
	v_mul_lo_u32 v11, v4, s48
	v_mul_lo_u32 v4, v4, s49
	v_sub_nc_u32_e32 v3, v3, v8
	v_mul_lo_u32 v12, v1, s13
	s_delay_alu instid0(VALU_DEP_2) | instskip(SKIP_1) | instid1(VALU_DEP_3)
	v_mul_lo_u32 v8, v3, s46
	v_mul_lo_u32 v3, v3, s47
	v_sub_nc_u32_e32 v5, v5, v12
	s_delay_alu instid0(VALU_DEP_3) | instskip(NEXT) | instid1(VALU_DEP_2)
	v_add3_u32 v7, v7, v18, v8
	v_mul_lo_u32 v12, v5, s50
	v_mul_lo_u32 v5, v5, s51
	v_add3_u32 v3, v9, v14, v3
	s_delay_alu instid0(VALU_DEP_3) | instskip(NEXT) | instid1(VALU_DEP_2)
	v_add3_u32 v18, v11, v7, v12
	v_add3_u32 v14, v4, v3, v5
	s_cbranch_scc1 .LBB169_1300
; %bb.1301:
	s_and_b32 s7, s7, 3
	s_delay_alu instid0(SALU_CYCLE_1)
	s_cmp_eq_u32 s7, 0
	s_cbranch_scc0 .LBB169_1304
	s_branch .LBB169_1306
.LBB169_1302:
	s_mov_b32 s6, -1
                                        ; implicit-def: $vgpr18
                                        ; implicit-def: $vgpr14
	s_branch .LBB169_1306
.LBB169_1303:
	v_dual_mov_b32 v1, v2 :: v_dual_mov_b32 v14, 0
	s_and_b32 s7, s7, 3
	s_delay_alu instid0(SALU_CYCLE_1)
	s_cmp_eq_u32 s7, 0
	s_cbranch_scc1 .LBB169_1306
.LBB169_1304:
	s_lshl_b32 s2, s10, 3
	s_mul_i32 s4, s10, 12
	s_add_u32 s2, s2, s16
	s_addc_u32 s3, 0, s17
	s_add_u32 s2, s2, 0xc4
	s_addc_u32 s3, s3, 0
	;; [unrolled: 2-line block ×3, first 2 shown]
	.p2align	6
.LBB169_1305:                           ; =>This Inner Loop Header: Depth=1
	s_clause 0x1
	s_load_b64 s[10:11], s[4:5], 0x4
	s_load_b32 s14, s[4:5], 0xc
	s_load_b64 s[12:13], s[2:3], 0x0
	s_add_u32 s4, s4, 12
	s_addc_u32 s5, s5, 0
	s_add_u32 s2, s2, 8
	s_addc_u32 s3, s3, 0
	s_add_i32 s7, s7, -1
	s_delay_alu instid0(SALU_CYCLE_1) | instskip(SKIP_2) | instid1(VALU_DEP_1)
	s_cmp_lg_u32 s7, 0
	s_waitcnt lgkmcnt(0)
	v_mul_hi_u32 v3, s11, v1
	v_add_nc_u32_e32 v3, v1, v3
	s_delay_alu instid0(VALU_DEP_1) | instskip(NEXT) | instid1(VALU_DEP_1)
	v_lshrrev_b32_e32 v7, s14, v3
	v_mul_lo_u32 v3, v7, s10
	s_delay_alu instid0(VALU_DEP_1) | instskip(NEXT) | instid1(VALU_DEP_1)
	v_sub_nc_u32_e32 v1, v1, v3
	v_mad_u64_u32 v[3:4], null, v1, s12, v[18:19]
	v_mad_u64_u32 v[4:5], null, v1, s13, v[14:15]
	v_mov_b32_e32 v1, v7
	s_delay_alu instid0(VALU_DEP_3) | instskip(NEXT) | instid1(VALU_DEP_3)
	v_mov_b32_e32 v18, v3
	v_mov_b32_e32 v14, v4
	s_cbranch_scc1 .LBB169_1305
.LBB169_1306:
	s_and_not1_b32 vcc_lo, exec_lo, s6
	s_cbranch_vccnz .LBB169_1309
; %bb.1307:
	s_clause 0x1
	s_load_b128 s[4:7], s[16:17], 0x4
	s_load_b64 s[2:3], s[16:17], 0xc4
	s_cmp_lt_u32 s24, 2
	s_waitcnt lgkmcnt(0)
	v_mul_hi_u32 v1, s5, v2
	s_delay_alu instid0(VALU_DEP_1) | instskip(NEXT) | instid1(VALU_DEP_1)
	v_add_nc_u32_e32 v1, v2, v1
	v_lshrrev_b32_e32 v1, s6, v1
	s_delay_alu instid0(VALU_DEP_1) | instskip(NEXT) | instid1(VALU_DEP_1)
	v_mul_lo_u32 v3, v1, s4
	v_sub_nc_u32_e32 v2, v2, v3
	s_delay_alu instid0(VALU_DEP_1)
	v_mul_lo_u32 v18, v2, s2
	v_mul_lo_u32 v14, v2, s3
	s_cbranch_scc1 .LBB169_1309
; %bb.1308:
	s_clause 0x1
	s_load_b128 s[4:7], s[16:17], 0x10
	s_load_b64 s[2:3], s[16:17], 0xcc
	s_waitcnt lgkmcnt(0)
	v_mul_hi_u32 v2, s5, v1
	s_delay_alu instid0(VALU_DEP_1) | instskip(NEXT) | instid1(VALU_DEP_1)
	v_add_nc_u32_e32 v2, v1, v2
	v_lshrrev_b32_e32 v2, s6, v2
	s_delay_alu instid0(VALU_DEP_1) | instskip(NEXT) | instid1(VALU_DEP_1)
	v_mul_lo_u32 v2, v2, s4
	v_sub_nc_u32_e32 v4, v1, v2
	s_delay_alu instid0(VALU_DEP_1) | instskip(SKIP_1) | instid1(VALU_DEP_2)
	v_mad_u64_u32 v[1:2], null, v4, s2, v[18:19]
	v_mad_u64_u32 v[2:3], null, v4, s3, v[14:15]
	v_mov_b32_e32 v18, v1
	s_delay_alu instid0(VALU_DEP_2)
	v_mov_b32_e32 v14, v2
.LBB169_1309:
	s_clause 0x1
	s_load_b32 s11, s[0:1], 0x160
	s_load_b128 s[4:7], s[16:17], 0x148
	s_mov_b32 s2, 0
	s_waitcnt lgkmcnt(0)
	s_lshr_b32 s0, s11, 16
	s_delay_alu instid0(SALU_CYCLE_1) | instskip(SKIP_1) | instid1(VALU_DEP_1)
	v_and_b32_e64 v26, 0xff, s0
	v_add_co_u32 v0, s0, s6, v0
	v_add_co_ci_u32_e64 v1, null, s7, 0, s0
	s_delay_alu instid0(VALU_DEP_3)
	v_cmp_gt_i16_e32 vcc_lo, 11, v26
	s_cbranch_vccnz .LBB169_1316
; %bb.1310:
	v_cmp_lt_i16_e32 vcc_lo, 25, v26
	s_mov_b32 s12, 0
	s_cbranch_vccz .LBB169_1322
; %bb.1311:
	v_cmp_lt_i16_e32 vcc_lo, 28, v26
	s_cbranch_vccz .LBB169_1325
; %bb.1312:
	v_cmp_lt_i16_e32 vcc_lo, 43, v26
	;; [unrolled: 3-line block ×3, first 2 shown]
	s_cbranch_vccz .LBB169_1331
; %bb.1314:
	v_cmp_eq_u16_e32 vcc_lo, 46, v26
	s_mov_b32 s0, 0
	s_cbranch_vccz .LBB169_1374
; %bb.1315:
	global_load_b32 v2, v[0:1], off
	s_mov_b32 s10, 0
	s_mov_b32 s2, -1
	s_waitcnt vmcnt(0)
	v_lshlrev_b32_e32 v3, 16, v2
	v_and_b32_e32 v4, 0xffff0000, v2
	s_delay_alu instid0(VALU_DEP_2) | instskip(NEXT) | instid1(VALU_DEP_2)
	v_cvt_f64_f32_e32 v[2:3], v3
	v_cvt_f64_f32_e32 v[4:5], v4
	s_branch .LBB169_1376
.LBB169_1316:
	s_mov_b32 s10, s8
                                        ; implicit-def: $vgpr4_vgpr5
	s_cbranch_execz .LBB169_1442
; %bb.1317:
	v_cmp_gt_i16_e32 vcc_lo, 5, v26
	s_cbranch_vccnz .LBB169_1323
; %bb.1318:
	v_cmp_gt_i16_e32 vcc_lo, 8, v26
	s_cbranch_vccnz .LBB169_1326
; %bb.1319:
	v_cmp_gt_i16_e32 vcc_lo, 9, v26
	s_cbranch_vccnz .LBB169_1328
; %bb.1320:
	v_cmp_lt_i16_e32 vcc_lo, 9, v26
	s_cbranch_vccz .LBB169_1332
; %bb.1321:
	global_load_b128 v[2:5], v[0:1], off
	s_mov_b32 s0, 0
	s_branch .LBB169_1333
.LBB169_1322:
	s_mov_b32 s10, 0
                                        ; implicit-def: $vgpr4_vgpr5
	s_cbranch_execnz .LBB169_1408
	s_branch .LBB169_1438
.LBB169_1323:
                                        ; implicit-def: $vgpr4_vgpr5
	s_branch .LBB169_1351
.LBB169_1324:
                                        ; implicit-def: $vgpr12_vgpr13
	s_branch .LBB169_1443
.LBB169_1325:
	s_mov_b32 s10, 0
                                        ; implicit-def: $vgpr4_vgpr5
	s_cbranch_execnz .LBB169_1388
	s_branch .LBB169_1407
.LBB169_1326:
                                        ; implicit-def: $vgpr4_vgpr5
	s_branch .LBB169_1339
.LBB169_1327:
	s_mov_b32 s0, -1
	s_mov_b32 s10, 0
                                        ; implicit-def: $vgpr4_vgpr5
	s_branch .LBB169_1382
.LBB169_1328:
	s_mov_b32 s0, -1
                                        ; implicit-def: $vgpr4_vgpr5
	s_branch .LBB169_1336
.LBB169_1329:
	s_cbranch_execnz .LBB169_1372
; %bb.1330:
	s_or_b32 s6, s6, exec_lo
	s_and_not1_b32 s2, s2, exec_lo
	s_or_b32 exec_lo, exec_lo, s4
	s_and_saveexec_b32 s4, s2
	s_delay_alu instid0(SALU_CYCLE_1)
	s_xor_b32 s4, exec_lo, s4
	s_cbranch_execnz .LBB169_1216
	s_branch .LBB169_1217
.LBB169_1331:
	s_mov_b32 s0, -1
	s_mov_b32 s10, 0
	s_branch .LBB169_1375
.LBB169_1332:
	s_mov_b32 s0, -1
                                        ; implicit-def: $vgpr4_vgpr5
.LBB169_1333:
	s_delay_alu instid0(SALU_CYCLE_1)
	s_and_not1_b32 vcc_lo, exec_lo, s0
	s_cbranch_vccnz .LBB169_1335
; %bb.1334:
	global_load_b64 v[3:4], v[0:1], off
	s_waitcnt vmcnt(0)
	v_cvt_f64_f32_e32 v[2:3], v3
	v_cvt_f64_f32_e32 v[4:5], v4
.LBB169_1335:
	s_mov_b32 s0, 0
.LBB169_1336:
	s_delay_alu instid0(SALU_CYCLE_1)
	s_and_not1_b32 vcc_lo, exec_lo, s0
	s_cbranch_vccnz .LBB169_1338
; %bb.1337:
	global_load_b32 v2, v[0:1], off
	s_waitcnt vmcnt(0)
	v_lshrrev_b32_e32 v3, 16, v2
	v_cvt_f32_f16_e32 v2, v2
	s_delay_alu instid0(VALU_DEP_2) | instskip(NEXT) | instid1(VALU_DEP_2)
	v_cvt_f32_f16_e32 v4, v3
	v_cvt_f64_f32_e32 v[2:3], v2
	s_delay_alu instid0(VALU_DEP_2)
	v_cvt_f64_f32_e32 v[4:5], v4
.LBB169_1338:
	s_cbranch_execnz .LBB169_1350
.LBB169_1339:
	v_cmp_gt_i16_e32 vcc_lo, 6, v26
	s_cbranch_vccnz .LBB169_1342
; %bb.1340:
	v_cmp_lt_i16_e32 vcc_lo, 6, v26
	s_cbranch_vccz .LBB169_1343
; %bb.1341:
	global_load_b64 v[2:3], v[0:1], off
	s_mov_b32 s2, 0
	s_mov_b64 s[0:1], 0
	s_branch .LBB169_1344
.LBB169_1342:
	s_mov_b32 s2, -1
                                        ; implicit-def: $sgpr0_sgpr1
                                        ; implicit-def: $vgpr2_vgpr3
	s_branch .LBB169_1347
.LBB169_1343:
	s_mov_b32 s2, -1
                                        ; implicit-def: $sgpr0_sgpr1
                                        ; implicit-def: $vgpr2_vgpr3
.LBB169_1344:
	s_delay_alu instid0(SALU_CYCLE_1)
	s_and_not1_b32 vcc_lo, exec_lo, s2
	s_cbranch_vccnz .LBB169_1346
; %bb.1345:
	global_load_b32 v2, v[0:1], off
	s_mov_b64 s[0:1], 0
	s_waitcnt vmcnt(0)
	v_cvt_f64_f32_e32 v[2:3], v2
.LBB169_1346:
	s_mov_b32 s2, 0
.LBB169_1347:
	s_delay_alu instid0(SALU_CYCLE_1)
	s_and_not1_b32 vcc_lo, exec_lo, s2
	s_cbranch_vccnz .LBB169_1349
; %bb.1348:
	global_load_u16 v2, v[0:1], off
	s_mov_b64 s[0:1], 0
	s_waitcnt vmcnt(0)
	v_cvt_f32_f16_e32 v2, v2
	s_delay_alu instid0(VALU_DEP_1)
	v_cvt_f64_f32_e32 v[2:3], v2
.LBB169_1349:
	s_waitcnt vmcnt(0)
	v_dual_mov_b32 v5, s1 :: v_dual_mov_b32 v4, s0
.LBB169_1350:
	s_cbranch_execnz .LBB169_1324
.LBB169_1351:
	v_cmp_gt_i16_e32 vcc_lo, 2, v26
	s_cbranch_vccnz .LBB169_1355
; %bb.1352:
	v_cmp_gt_i16_e32 vcc_lo, 3, v26
	s_cbranch_vccnz .LBB169_1356
; %bb.1353:
	v_cmp_lt_i16_e32 vcc_lo, 3, v26
	s_cbranch_vccz .LBB169_1357
; %bb.1354:
	global_load_b64 v[2:3], v[0:1], off
	s_mov_b32 s2, 0
	s_mov_b64 s[0:1], 0
	s_waitcnt vmcnt(0)
	v_cvt_f64_i32_e32 v[3:4], v3
	v_cvt_f64_u32_e32 v[7:8], v2
	s_delay_alu instid0(VALU_DEP_2) | instskip(NEXT) | instid1(VALU_DEP_1)
	v_ldexp_f64 v[3:4], v[3:4], 32
	v_add_f64 v[2:3], v[3:4], v[7:8]
	s_branch .LBB169_1358
.LBB169_1355:
                                        ; implicit-def: $sgpr0_sgpr1
                                        ; implicit-def: $vgpr2_vgpr3
	s_branch .LBB169_1364
.LBB169_1356:
	s_mov_b32 s2, -1
                                        ; implicit-def: $sgpr0_sgpr1
                                        ; implicit-def: $vgpr2_vgpr3
	s_branch .LBB169_1361
.LBB169_1357:
	s_mov_b32 s2, -1
                                        ; implicit-def: $sgpr0_sgpr1
                                        ; implicit-def: $vgpr2_vgpr3
.LBB169_1358:
	s_delay_alu instid0(SALU_CYCLE_1)
	s_and_not1_b32 vcc_lo, exec_lo, s2
	s_cbranch_vccnz .LBB169_1360
; %bb.1359:
	global_load_b32 v2, v[0:1], off
	s_mov_b64 s[0:1], 0
	s_waitcnt vmcnt(0)
	v_cvt_f64_i32_e32 v[2:3], v2
.LBB169_1360:
	s_mov_b32 s2, 0
.LBB169_1361:
	s_delay_alu instid0(SALU_CYCLE_1)
	s_and_not1_b32 vcc_lo, exec_lo, s2
	s_cbranch_vccnz .LBB169_1363
; %bb.1362:
	global_load_i16 v2, v[0:1], off
	s_mov_b64 s[0:1], 0
	s_waitcnt vmcnt(0)
	v_cvt_f64_i32_e32 v[2:3], v2
.LBB169_1363:
	s_cbranch_execnz .LBB169_1369
.LBB169_1364:
	v_cmp_lt_i16_e32 vcc_lo, 0, v26
	s_mov_b32 s2, 0
	s_cbranch_vccz .LBB169_1366
; %bb.1365:
	global_load_i8 v2, v[0:1], off
	s_mov_b64 s[0:1], 0
	s_waitcnt vmcnt(0)
	v_cvt_f64_i32_e32 v[2:3], v2
	s_branch .LBB169_1367
.LBB169_1366:
	s_mov_b32 s2, -1
                                        ; implicit-def: $sgpr0_sgpr1
                                        ; implicit-def: $vgpr2_vgpr3
.LBB169_1367:
	s_delay_alu instid0(SALU_CYCLE_1)
	s_and_not1_b32 vcc_lo, exec_lo, s2
	s_cbranch_vccnz .LBB169_1369
; %bb.1368:
	global_load_u8 v0, v[0:1], off
	s_mov_b64 s[0:1], 0
	s_waitcnt vmcnt(0)
	v_cvt_f64_u32_e32 v[2:3], v0
.LBB169_1369:
	s_waitcnt vmcnt(0)
	v_dual_mov_b32 v5, s1 :: v_dual_mov_b32 v4, s0
                                        ; implicit-def: $vgpr12_vgpr13
	s_branch .LBB169_1443
.LBB169_1370:
	s_trap 2
	s_sendmsg_rtn_b32 s0, sendmsg(MSG_RTN_GET_DOORBELL)
	s_mov_b32 ttmp2, m0
	s_waitcnt lgkmcnt(0)
	s_and_b32 s0, s0, 0x3ff
	s_delay_alu instid0(SALU_CYCLE_1) | instskip(NEXT) | instid1(SALU_CYCLE_1)
	s_bitset1_b32 s0, 10
	s_mov_b32 m0, s0
	s_sendmsg sendmsg(MSG_INTERRUPT)
	s_mov_b32 m0, ttmp2
.LBB169_1371:                           ; =>This Inner Loop Header: Depth=1
	s_sethalt 5
	s_branch .LBB169_1371
.LBB169_1372:
	s_trap 2
	s_sendmsg_rtn_b32 s0, sendmsg(MSG_RTN_GET_DOORBELL)
	s_mov_b32 ttmp2, m0
	s_waitcnt lgkmcnt(0)
	s_and_b32 s0, s0, 0x3ff
	s_delay_alu instid0(SALU_CYCLE_1) | instskip(NEXT) | instid1(SALU_CYCLE_1)
	s_bitset1_b32 s0, 10
	s_mov_b32 m0, s0
	s_sendmsg sendmsg(MSG_INTERRUPT)
	s_mov_b32 m0, ttmp2
.LBB169_1373:                           ; =>This Inner Loop Header: Depth=1
	s_sethalt 5
	s_branch .LBB169_1373
.LBB169_1374:
	s_mov_b32 s10, -1
.LBB169_1375:
                                        ; implicit-def: $vgpr4_vgpr5
.LBB169_1376:
	s_and_b32 vcc_lo, exec_lo, s0
	s_cbranch_vccz .LBB169_1381
; %bb.1377:
	v_cmp_eq_u16_e32 vcc_lo, 44, v26
	s_cbranch_vccz .LBB169_1379
; %bb.1378:
	global_load_u8 v4, v[0:1], off
	s_mov_b32 s10, 0
	s_mov_b32 s2, -1
	s_mov_b64 s[0:1], 0
	s_waitcnt vmcnt(0)
	v_cmp_ne_u32_e32 vcc_lo, 0xff, v4
	v_lshlrev_b32_e32 v2, 23, v4
	s_delay_alu instid0(VALU_DEP_1) | instskip(NEXT) | instid1(VALU_DEP_1)
	v_cvt_f64_f32_e32 v[2:3], v2
	v_cndmask_b32_e32 v3, 0x7ff80000, v3, vcc_lo
	s_delay_alu instid0(VALU_DEP_2) | instskip(SKIP_1) | instid1(VALU_DEP_3)
	v_cndmask_b32_e32 v2, 0x20000000, v2, vcc_lo
	v_cmp_ne_u32_e32 vcc_lo, 0, v4
	v_cndmask_b32_e32 v3, 0x38000000, v3, vcc_lo
	s_delay_alu instid0(VALU_DEP_3)
	v_cndmask_b32_e32 v2, 0, v2, vcc_lo
	s_branch .LBB169_1380
.LBB169_1379:
	s_mov_b32 s10, -1
                                        ; implicit-def: $sgpr0_sgpr1
                                        ; implicit-def: $vgpr2_vgpr3
.LBB169_1380:
	v_dual_mov_b32 v5, s1 :: v_dual_mov_b32 v4, s0
.LBB169_1381:
	s_mov_b32 s0, 0
.LBB169_1382:
	s_delay_alu instid0(SALU_CYCLE_1)
	s_and_b32 vcc_lo, exec_lo, s0
	s_cbranch_vccz .LBB169_1387
; %bb.1383:
	v_cmp_eq_u16_e32 vcc_lo, 29, v26
	s_cbranch_vccz .LBB169_1385
; %bb.1384:
	global_load_b64 v[2:3], v[0:1], off
	s_mov_b32 s10, 0
	s_mov_b32 s2, -1
	s_mov_b64 s[0:1], 0
	s_waitcnt vmcnt(0)
	v_cvt_f64_u32_e32 v[3:4], v3
	v_cvt_f64_u32_e32 v[7:8], v2
	s_delay_alu instid0(VALU_DEP_2) | instskip(NEXT) | instid1(VALU_DEP_1)
	v_ldexp_f64 v[3:4], v[3:4], 32
	v_add_f64 v[2:3], v[3:4], v[7:8]
	s_branch .LBB169_1386
.LBB169_1385:
	s_mov_b32 s10, -1
                                        ; implicit-def: $sgpr0_sgpr1
                                        ; implicit-def: $vgpr2_vgpr3
.LBB169_1386:
	v_dual_mov_b32 v5, s1 :: v_dual_mov_b32 v4, s0
.LBB169_1387:
	s_branch .LBB169_1407
.LBB169_1388:
	v_cmp_gt_i16_e32 vcc_lo, 27, v26
	s_cbranch_vccnz .LBB169_1391
; %bb.1389:
	v_cmp_lt_i16_e32 vcc_lo, 27, v26
	s_cbranch_vccz .LBB169_1392
; %bb.1390:
	global_load_b32 v2, v[0:1], off
	s_mov_b32 s2, 0
	s_mov_b64 s[0:1], 0
	s_waitcnt vmcnt(0)
	v_cvt_f64_u32_e32 v[2:3], v2
	s_branch .LBB169_1393
.LBB169_1391:
	s_mov_b32 s2, -1
                                        ; implicit-def: $sgpr0_sgpr1
                                        ; implicit-def: $vgpr2_vgpr3
	s_branch .LBB169_1396
.LBB169_1392:
	s_mov_b32 s2, -1
                                        ; implicit-def: $sgpr0_sgpr1
                                        ; implicit-def: $vgpr2_vgpr3
.LBB169_1393:
	s_delay_alu instid0(SALU_CYCLE_1)
	s_and_not1_b32 vcc_lo, exec_lo, s2
	s_cbranch_vccnz .LBB169_1395
; %bb.1394:
	global_load_u16 v2, v[0:1], off
	s_mov_b64 s[0:1], 0
	s_waitcnt vmcnt(0)
	v_cvt_f64_u32_e32 v[2:3], v2
.LBB169_1395:
	s_mov_b32 s2, 0
.LBB169_1396:
	v_dual_mov_b32 v5, s1 :: v_dual_mov_b32 v4, s0
	s_and_not1_b32 vcc_lo, exec_lo, s2
	s_cbranch_vccnz .LBB169_1406
; %bb.1397:
	global_load_u8 v7, v[0:1], off
	s_mov_b32 s13, 0
	s_mov_b32 s14, exec_lo
                                        ; implicit-def: $sgpr0_sgpr1
                                        ; implicit-def: $sgpr2_sgpr3
	s_waitcnt vmcnt(0)
	v_cmpx_lt_i16_e32 0x7f, v7
	s_xor_b32 s14, exec_lo, s14
	s_cbranch_execz .LBB169_1401
; %bb.1398:
	s_mov_b32 s13, -1
	s_mov_b32 s15, exec_lo
                                        ; implicit-def: $sgpr0_sgpr1
                                        ; implicit-def: $sgpr2_sgpr3
	v_cmpx_eq_u16_e32 0x80, v7
; %bb.1399:
	s_mov_b64 s[0:1], 0
	s_mov_b32 s3, 0x7ff80000
	s_brev_b32 s2, 4
	s_xor_b32 s13, exec_lo, -1
; %bb.1400:
	s_or_b32 exec_lo, exec_lo, s15
	s_delay_alu instid0(SALU_CYCLE_1)
	s_and_b32 s13, s13, exec_lo
.LBB169_1401:
	s_or_saveexec_b32 s14, s14
	v_dual_mov_b32 v5, s1 :: v_dual_mov_b32 v4, s0
	v_dual_mov_b32 v2, s2 :: v_dual_mov_b32 v3, s3
	s_xor_b32 exec_lo, exec_lo, s14
; %bb.1402:
	v_mov_b32_e32 v4, 0
	v_mov_b32_e32 v5, 0
	v_cmp_ne_u16_e32 vcc_lo, 0, v7
	s_delay_alu instid0(VALU_DEP_3) | instskip(SKIP_1) | instid1(VALU_DEP_3)
	v_mov_b32_e32 v2, v4
	s_and_not1_b32 s0, s13, exec_lo
	v_mov_b32_e32 v3, v5
	s_and_b32 s1, vcc_lo, exec_lo
	s_delay_alu instid0(SALU_CYCLE_1)
	s_or_b32 s13, s0, s1
; %bb.1403:
	s_or_b32 exec_lo, exec_lo, s14
	s_and_saveexec_b32 s0, s13
	s_cbranch_execz .LBB169_1405
; %bb.1404:
	v_and_b32_e32 v2, 0xffff, v7
	v_lshlrev_b32_e32 v7, 24, v7
	s_delay_alu instid0(VALU_DEP_2) | instskip(NEXT) | instid1(VALU_DEP_1)
	v_and_b32_e32 v3, 7, v2
	v_clz_i32_u32_e32 v4, v3
	s_delay_alu instid0(VALU_DEP_1) | instskip(NEXT) | instid1(VALU_DEP_1)
	v_min_u32_e32 v4, 32, v4
	v_subrev_nc_u32_e32 v5, 28, v4
	v_sub_nc_u32_e32 v4, 29, v4
	s_delay_alu instid0(VALU_DEP_2) | instskip(SKIP_1) | instid1(VALU_DEP_2)
	v_lshlrev_b32_e32 v5, v5, v2
	v_bfe_u32 v2, v2, 3, 4
	v_and_b32_e32 v5, 7, v5
	s_delay_alu instid0(VALU_DEP_2) | instskip(NEXT) | instid1(VALU_DEP_2)
	v_cmp_eq_u32_e32 vcc_lo, 0, v2
	v_dual_cndmask_b32 v2, v2, v4 :: v_dual_cndmask_b32 v3, v3, v5
	v_and_b32_e32 v4, 0x80000000, v7
	s_delay_alu instid0(VALU_DEP_2) | instskip(NEXT) | instid1(VALU_DEP_3)
	v_lshl_add_u32 v2, v2, 23, 0x3b800000
	v_lshlrev_b32_e32 v3, 20, v3
	s_delay_alu instid0(VALU_DEP_1) | instskip(SKIP_2) | instid1(VALU_DEP_3)
	v_or3_b32 v2, v4, v2, v3
	v_mov_b32_e32 v4, 0
	v_mov_b32_e32 v5, 0
	v_cvt_f64_f32_e32 v[2:3], v2
.LBB169_1405:
	s_or_b32 exec_lo, exec_lo, s0
.LBB169_1406:
	s_mov_b32 s2, -1
.LBB169_1407:
	s_branch .LBB169_1438
.LBB169_1408:
	v_cmp_lt_i16_e32 vcc_lo, 22, v26
	s_cbranch_vccz .LBB169_1420
; %bb.1409:
	v_cmp_gt_i16_e32 vcc_lo, 24, v26
	s_cbranch_vccnz .LBB169_1421
; %bb.1410:
	v_cmp_lt_i16_e32 vcc_lo, 24, v26
	s_cbranch_vccz .LBB169_1422
; %bb.1411:
	global_load_u8 v7, v[0:1], off
	s_mov_b32 s13, exec_lo
                                        ; implicit-def: $sgpr0_sgpr1
                                        ; implicit-def: $sgpr2_sgpr3
	s_waitcnt vmcnt(0)
	v_cmpx_lt_i16_e32 0x7f, v7
	s_xor_b32 s13, exec_lo, s13
	s_cbranch_execz .LBB169_1415
; %bb.1412:
	s_mov_b32 s12, -1
	s_mov_b32 s14, exec_lo
                                        ; implicit-def: $sgpr0_sgpr1
                                        ; implicit-def: $sgpr2_sgpr3
	v_cmpx_eq_u16_e32 0x80, v7
; %bb.1413:
	s_mov_b64 s[0:1], 0
	s_mov_b32 s3, 0x7ff80000
	s_brev_b32 s2, 4
	s_xor_b32 s12, exec_lo, -1
; %bb.1414:
	s_or_b32 exec_lo, exec_lo, s14
	s_delay_alu instid0(SALU_CYCLE_1)
	s_and_b32 s12, s12, exec_lo
.LBB169_1415:
	s_or_saveexec_b32 s13, s13
	v_dual_mov_b32 v5, s1 :: v_dual_mov_b32 v4, s0
	v_dual_mov_b32 v2, s2 :: v_dual_mov_b32 v3, s3
	s_xor_b32 exec_lo, exec_lo, s13
; %bb.1416:
	v_mov_b32_e32 v4, 0
	v_mov_b32_e32 v5, 0
	v_cmp_ne_u16_e32 vcc_lo, 0, v7
	s_delay_alu instid0(VALU_DEP_3) | instskip(SKIP_1) | instid1(VALU_DEP_3)
	v_mov_b32_e32 v2, v4
	s_and_not1_b32 s0, s12, exec_lo
	v_mov_b32_e32 v3, v5
	s_and_b32 s1, vcc_lo, exec_lo
	s_delay_alu instid0(SALU_CYCLE_1)
	s_or_b32 s12, s0, s1
; %bb.1417:
	s_or_b32 exec_lo, exec_lo, s13
	s_and_saveexec_b32 s0, s12
	s_cbranch_execz .LBB169_1419
; %bb.1418:
	v_and_b32_e32 v2, 0xffff, v7
	v_lshlrev_b32_e32 v7, 24, v7
	s_delay_alu instid0(VALU_DEP_2) | instskip(NEXT) | instid1(VALU_DEP_1)
	v_and_b32_e32 v3, 3, v2
	v_clz_i32_u32_e32 v4, v3
	s_delay_alu instid0(VALU_DEP_1) | instskip(NEXT) | instid1(VALU_DEP_1)
	v_min_u32_e32 v4, 32, v4
	v_subrev_nc_u32_e32 v5, 29, v4
	v_sub_nc_u32_e32 v4, 30, v4
	s_delay_alu instid0(VALU_DEP_2) | instskip(SKIP_1) | instid1(VALU_DEP_2)
	v_lshlrev_b32_e32 v5, v5, v2
	v_bfe_u32 v2, v2, 2, 5
	v_and_b32_e32 v5, 3, v5
	s_delay_alu instid0(VALU_DEP_2) | instskip(NEXT) | instid1(VALU_DEP_2)
	v_cmp_eq_u32_e32 vcc_lo, 0, v2
	v_dual_cndmask_b32 v2, v2, v4 :: v_dual_cndmask_b32 v3, v3, v5
	v_and_b32_e32 v4, 0x80000000, v7
	s_delay_alu instid0(VALU_DEP_2) | instskip(NEXT) | instid1(VALU_DEP_3)
	v_lshl_add_u32 v2, v2, 23, 0x37800000
	v_lshlrev_b32_e32 v3, 21, v3
	s_delay_alu instid0(VALU_DEP_1) | instskip(SKIP_2) | instid1(VALU_DEP_3)
	v_or3_b32 v2, v4, v2, v3
	v_mov_b32_e32 v4, 0
	v_mov_b32_e32 v5, 0
	v_cvt_f64_f32_e32 v[2:3], v2
.LBB169_1419:
	s_or_b32 exec_lo, exec_lo, s0
	s_mov_b32 s0, 0
	s_branch .LBB169_1423
.LBB169_1420:
                                        ; implicit-def: $vgpr4_vgpr5
	s_mov_b32 s12, 0
	s_branch .LBB169_1429
.LBB169_1421:
	s_mov_b32 s0, -1
                                        ; implicit-def: $vgpr4_vgpr5
	s_branch .LBB169_1426
.LBB169_1422:
	s_mov_b32 s0, -1
                                        ; implicit-def: $vgpr4_vgpr5
.LBB169_1423:
	s_delay_alu instid0(SALU_CYCLE_1)
	s_and_b32 vcc_lo, exec_lo, s0
	s_cbranch_vccz .LBB169_1425
; %bb.1424:
	global_load_u8 v2, v[0:1], off
	s_waitcnt vmcnt(0)
	v_lshlrev_b32_e32 v2, 24, v2
	s_delay_alu instid0(VALU_DEP_1) | instskip(NEXT) | instid1(VALU_DEP_1)
	v_and_b32_e32 v3, 0x7f000000, v2
	v_clz_i32_u32_e32 v4, v3
	v_add_nc_u32_e32 v7, 0x1000000, v3
	v_cmp_ne_u32_e32 vcc_lo, 0, v3
	s_delay_alu instid0(VALU_DEP_3) | instskip(NEXT) | instid1(VALU_DEP_1)
	v_min_u32_e32 v4, 32, v4
	v_sub_nc_u32_e64 v4, v4, 4 clamp
	s_delay_alu instid0(VALU_DEP_1) | instskip(SKIP_1) | instid1(VALU_DEP_2)
	v_lshlrev_b32_e32 v5, v4, v3
	v_lshlrev_b32_e32 v4, 23, v4
	v_lshrrev_b32_e32 v5, 4, v5
	s_delay_alu instid0(VALU_DEP_1) | instskip(SKIP_1) | instid1(VALU_DEP_2)
	v_sub_nc_u32_e32 v4, v5, v4
	v_ashrrev_i32_e32 v5, 8, v7
	v_add_nc_u32_e32 v4, 0x3c000000, v4
	s_delay_alu instid0(VALU_DEP_1) | instskip(NEXT) | instid1(VALU_DEP_1)
	v_and_or_b32 v4, 0x7f800000, v5, v4
	v_dual_cndmask_b32 v3, 0, v4 :: v_dual_mov_b32 v4, 0
	v_mov_b32_e32 v5, 0
	s_delay_alu instid0(VALU_DEP_2) | instskip(NEXT) | instid1(VALU_DEP_1)
	v_and_or_b32 v2, 0x80000000, v2, v3
	v_cvt_f64_f32_e32 v[2:3], v2
.LBB169_1425:
	s_mov_b32 s0, 0
.LBB169_1426:
	s_delay_alu instid0(SALU_CYCLE_1)
	s_and_not1_b32 vcc_lo, exec_lo, s0
	s_cbranch_vccnz .LBB169_1428
; %bb.1427:
	global_load_u8 v2, v[0:1], off
	s_waitcnt vmcnt(0)
	v_lshlrev_b32_e32 v3, 25, v2
	v_lshlrev_b16 v2, 8, v2
	s_delay_alu instid0(VALU_DEP_2) | instskip(NEXT) | instid1(VALU_DEP_2)
	v_lshrrev_b32_e32 v4, 4, v3
	v_and_or_b32 v5, 0x7f00, v2, 0.5
	v_bfe_i32 v2, v2, 0, 16
	s_delay_alu instid0(VALU_DEP_3) | instskip(NEXT) | instid1(VALU_DEP_1)
	v_or_b32_e32 v4, 0x70000000, v4
	v_dual_add_f32 v5, -0.5, v5 :: v_dual_mul_f32 v4, 0x7800000, v4
	v_cmp_gt_u32_e32 vcc_lo, 0x8000000, v3
	s_delay_alu instid0(VALU_DEP_2) | instskip(SKIP_1) | instid1(VALU_DEP_2)
	v_dual_cndmask_b32 v3, v4, v5 :: v_dual_mov_b32 v4, 0
	v_mov_b32_e32 v5, 0
	v_and_or_b32 v2, 0x80000000, v2, v3
	s_delay_alu instid0(VALU_DEP_1)
	v_cvt_f64_f32_e32 v[2:3], v2
.LBB169_1428:
	s_mov_b32 s2, -1
	s_mov_b32 s12, 0
	s_cbranch_execnz .LBB169_1438
.LBB169_1429:
	v_cmp_lt_i16_e32 vcc_lo, 14, v26
	s_cbranch_vccz .LBB169_1432
; %bb.1430:
	v_cmp_eq_u16_e32 vcc_lo, 15, v26
	s_cbranch_vccz .LBB169_1433
; %bb.1431:
	global_load_u16 v2, v[0:1], off
	s_mov_b32 s10, 0
	s_mov_b32 s2, -1
	s_mov_b64 s[0:1], 0
	s_waitcnt vmcnt(0)
	v_lshlrev_b32_e32 v2, 16, v2
	s_delay_alu instid0(VALU_DEP_1)
	v_cvt_f64_f32_e32 v[2:3], v2
	s_branch .LBB169_1434
.LBB169_1432:
	s_mov_b32 s3, -1
                                        ; implicit-def: $sgpr0_sgpr1
                                        ; implicit-def: $vgpr2_vgpr3
	s_branch .LBB169_1435
.LBB169_1433:
	s_mov_b32 s10, -1
                                        ; implicit-def: $sgpr0_sgpr1
                                        ; implicit-def: $vgpr2_vgpr3
.LBB169_1434:
	s_mov_b32 s3, 0
.LBB169_1435:
	s_delay_alu instid0(SALU_CYCLE_1)
	s_and_b32 vcc_lo, exec_lo, s3
	s_cbranch_vccz .LBB169_1437
; %bb.1436:
	v_cmp_ne_u16_e64 s10, 11, v26
	s_mov_b32 s12, -1
                                        ; implicit-def: $sgpr0_sgpr1
                                        ; implicit-def: $vgpr2_vgpr3
.LBB169_1437:
	v_dual_mov_b32 v5, s1 :: v_dual_mov_b32 v4, s0
.LBB169_1438:
	s_delay_alu instid0(VALU_DEP_2)
	s_and_b32 vcc_lo, exec_lo, s10
	s_mov_b32 s10, s8
	s_cbranch_vccnz .LBB169_1503
; %bb.1439:
	s_and_not1_b32 vcc_lo, exec_lo, s12
	s_cbranch_vccnz .LBB169_1441
.LBB169_1440:
	global_load_u8 v2, v[0:1], off
	v_mov_b32_e32 v4, 0
	v_mov_b32_e32 v5, 0
	s_mov_b32 s2, -1
	s_waitcnt vmcnt(0)
	v_cmp_ne_u16_e32 vcc_lo, 0, v2
	v_mov_b32_e32 v2, 0
	v_cndmask_b32_e64 v3, 0, 0x3ff00000, vcc_lo
.LBB169_1441:
.LBB169_1442:
	s_and_not1_b32 vcc_lo, exec_lo, s2
                                        ; implicit-def: $vgpr12_vgpr13
	s_cbranch_vccnz .LBB169_1996
.LBB169_1443:
	s_waitcnt vmcnt(0)
	s_delay_alu instid0(VALU_DEP_1) | instskip(NEXT) | instid1(VALU_DEP_2)
	v_cmp_neq_f64_e32 vcc_lo, 0, v[2:3]
	v_cmp_neq_f64_e64 s0, 0, v[4:5]
	v_mov_b32_e32 v7, 0
	v_mov_b32_e32 v8, 0
	s_delay_alu instid0(VALU_DEP_3) | instskip(NEXT) | instid1(SALU_CYCLE_1)
	s_or_b32 s0, vcc_lo, s0
	s_and_saveexec_b32 s2, s0
	s_cbranch_execz .LBB169_1475
; %bb.1444:
	s_mov_b32 s0, 0
	s_mov_b32 s1, 0x7ff00000
	v_mov_b32_e32 v7, s0
	v_mov_b32_e32 v8, s1
	s_mov_b32 s3, exec_lo
	v_cmpx_neq_f64_e64 0x7ff00000, |v[4:5]|
	s_cbranch_execz .LBB169_1474
; %bb.1445:
	s_mov_b32 s0, exec_lo
	v_cmpx_o_f64_e32 v[2:3], v[2:3]
	s_xor_b32 s12, exec_lo, s0
	s_cbranch_execz .LBB169_1471
; %bb.1446:
	s_mov_b32 s1, exec_lo
	v_cmpx_neq_f64_e64 0x7ff00000, |v[2:3]|
	s_xor_b32 s13, exec_lo, s1
	s_cbranch_execz .LBB169_1464
; %bb.1447:
	v_max_f64 v[0:1], |v[4:5]|, |v[4:5]|
	v_max_f64 v[7:8], |v[2:3]|, |v[2:3]|
	s_mov_b32 s0, 0x99fcef32
	s_mov_b32 s1, 0x7fda8279
                                        ; implicit-def: $sgpr14
	s_delay_alu instid0(VALU_DEP_1) | instskip(NEXT) | instid1(VALU_DEP_1)
	v_max_f64 v[0:1], v[7:8], v[0:1]
	v_cmp_nle_f64_e64 s0, s[0:1], v[0:1]
	s_delay_alu instid0(VALU_DEP_1) | instskip(NEXT) | instid1(SALU_CYCLE_1)
	s_and_saveexec_b32 s1, s0
	s_xor_b32 s1, exec_lo, s1
	s_cbranch_execz .LBB169_1451
; %bb.1448:
	v_cmp_ge_f64_e64 s14, 0x200000, |v[2:3]|
	v_cmp_ge_f64_e64 s15, 0x200000, |v[4:5]|
	s_delay_alu instid0(VALU_DEP_1)
	s_and_b32 s16, s14, s15
	s_mov_b32 s14, 0
	s_and_saveexec_b32 s15, s16
; %bb.1449:
	v_mul_f64 v[2:3], v[2:3], 4.0
	v_mul_f64 v[4:5], v[4:5], 4.0
	s_mov_b32 s14, exec_lo
; %bb.1450:
	s_or_b32 exec_lo, exec_lo, s15
	s_delay_alu instid0(SALU_CYCLE_1)
	s_and_b32 s14, s14, exec_lo
.LBB169_1451:
	s_and_not1_saveexec_b32 s1, s1
; %bb.1452:
	s_delay_alu instid0(VALU_DEP_2) | instskip(NEXT) | instid1(VALU_DEP_2)
	v_ldexp_f64 v[2:3], v[2:3], -2
	v_ldexp_f64 v[4:5], v[4:5], -2
	s_and_not1_b32 s14, s14, exec_lo
; %bb.1453:
	s_or_b32 exec_lo, exec_lo, s1
	s_delay_alu instid0(VALU_DEP_1) | instskip(NEXT) | instid1(VALU_DEP_3)
	v_max_f64 v[0:1], |v[4:5]|, |v[4:5]|
	v_max_f64 v[7:8], |v[2:3]|, |v[2:3]|
	v_cmp_class_f64_e64 s15, v[2:3], 0x204
	v_cmp_class_f64_e64 s16, v[4:5], 0x204
	v_cmp_le_f64_e64 s1, 0, v[2:3]
	s_delay_alu instid0(VALU_DEP_4) | instskip(NEXT) | instid1(VALU_DEP_3)
	v_max_f64 v[0:1], v[7:8], v[0:1]
	s_or_b32 s15, s16, s15
	s_delay_alu instid0(VALU_DEP_1) | instskip(NEXT) | instid1(VALU_DEP_1)
	v_frexp_exp_i32_f64_e32 v9, v[0:1]
	v_sub_nc_u32_e32 v7, 0, v9
	s_delay_alu instid0(VALU_DEP_1) | instskip(SKIP_1) | instid1(VALU_DEP_2)
	v_ldexp_f64 v[0:1], |v[4:5]|, v7
	v_ldexp_f64 v[7:8], |v[2:3]|, v7
	v_mul_f64 v[0:1], v[0:1], v[0:1]
	s_delay_alu instid0(VALU_DEP_1) | instskip(NEXT) | instid1(VALU_DEP_1)
	v_fma_f64 v[0:1], v[7:8], v[7:8], v[0:1]
	v_rsq_f64_e32 v[7:8], v[0:1]
	v_cmp_eq_f64_e32 vcc_lo, 0, v[0:1]
	s_waitcnt_depctr 0xfff
	v_mul_f64 v[11:12], v[0:1], v[7:8]
	v_mul_f64 v[7:8], v[7:8], 0.5
	s_delay_alu instid0(VALU_DEP_1) | instskip(NEXT) | instid1(VALU_DEP_1)
	v_fma_f64 v[15:16], -v[7:8], v[11:12], 0.5
	v_fma_f64 v[11:12], v[11:12], v[15:16], v[11:12]
	v_fma_f64 v[7:8], v[7:8], v[15:16], v[7:8]
	s_delay_alu instid0(VALU_DEP_2) | instskip(NEXT) | instid1(VALU_DEP_1)
	v_fma_f64 v[15:16], -v[11:12], v[11:12], v[0:1]
	v_fma_f64 v[7:8], v[15:16], v[7:8], v[11:12]
	s_delay_alu instid0(VALU_DEP_1) | instskip(SKIP_1) | instid1(VALU_DEP_2)
	v_dual_cndmask_b32 v1, v8, v1 :: v_dual_cndmask_b32 v0, v7, v0
	v_cmp_o_f64_e32 vcc_lo, v[4:5], v[4:5]
	v_ldexp_f64 v[0:1], v[0:1], v9
	s_delay_alu instid0(VALU_DEP_1) | instskip(NEXT) | instid1(VALU_DEP_2)
	v_cndmask_b32_e32 v0, 0, v0, vcc_lo
	v_cndmask_b32_e32 v1, 0x7ff80000, v1, vcc_lo
	s_delay_alu instid0(VALU_DEP_2) | instskip(NEXT) | instid1(VALU_DEP_2)
	v_cndmask_b32_e64 v0, v0, 0, s15
	v_cndmask_b32_e64 v1, v1, 0x7ff00000, s15
	s_and_saveexec_b32 s15, s1
	s_delay_alu instid0(SALU_CYCLE_1)
	s_xor_b32 s1, exec_lo, s15
	s_cbranch_execz .LBB169_1459
; %bb.1454:
	s_delay_alu instid0(VALU_DEP_1) | instskip(NEXT) | instid1(VALU_DEP_1)
	v_add_f64 v[0:1], v[2:3], v[0:1]
	v_mul_f64 v[0:1], v[0:1], 0.5
	s_delay_alu instid0(VALU_DEP_1) | instskip(SKIP_1) | instid1(VALU_DEP_1)
	v_cmp_gt_f64_e32 vcc_lo, 0x10000000, v[0:1]
	v_cndmask_b32_e64 v2, 0, 1, vcc_lo
	v_lshlrev_b32_e32 v2, 8, v2
	s_delay_alu instid0(VALU_DEP_1) | instskip(NEXT) | instid1(VALU_DEP_1)
	v_ldexp_f64 v[0:1], v[0:1], v2
	v_rsq_f64_e32 v[2:3], v[0:1]
	s_waitcnt_depctr 0xfff
	v_mul_f64 v[7:8], v[0:1], v[2:3]
	v_mul_f64 v[2:3], v[2:3], 0.5
	s_delay_alu instid0(VALU_DEP_1) | instskip(NEXT) | instid1(VALU_DEP_1)
	v_fma_f64 v[11:12], -v[2:3], v[7:8], 0.5
	v_fma_f64 v[7:8], v[7:8], v[11:12], v[7:8]
	v_fma_f64 v[2:3], v[2:3], v[11:12], v[2:3]
	s_delay_alu instid0(VALU_DEP_2) | instskip(NEXT) | instid1(VALU_DEP_1)
	v_fma_f64 v[11:12], -v[7:8], v[7:8], v[0:1]
	v_fma_f64 v[7:8], v[11:12], v[2:3], v[7:8]
	s_delay_alu instid0(VALU_DEP_1) | instskip(NEXT) | instid1(VALU_DEP_1)
	v_fma_f64 v[11:12], -v[7:8], v[7:8], v[0:1]
	v_fma_f64 v[2:3], v[11:12], v[2:3], v[7:8]
	v_cndmask_b32_e64 v7, 0, 0xffffff80, vcc_lo
	v_cmp_class_f64_e64 vcc_lo, v[0:1], 0x260
	s_delay_alu instid0(VALU_DEP_2) | instskip(NEXT) | instid1(VALU_DEP_1)
	v_ldexp_f64 v[2:3], v[2:3], v7
	v_dual_cndmask_b32 v3, v3, v1 :: v_dual_cndmask_b32 v2, v2, v0
	s_delay_alu instid0(VALU_DEP_1) | instskip(NEXT) | instid1(VALU_DEP_1)
	v_add_f64 v[0:1], v[2:3], v[2:3]
	v_div_scale_f64 v[7:8], null, v[0:1], v[0:1], v[4:5]
	s_delay_alu instid0(VALU_DEP_1) | instskip(SKIP_2) | instid1(VALU_DEP_1)
	v_rcp_f64_e32 v[11:12], v[7:8]
	s_waitcnt_depctr 0xfff
	v_fma_f64 v[15:16], -v[7:8], v[11:12], 1.0
	v_fma_f64 v[11:12], v[11:12], v[15:16], v[11:12]
	s_delay_alu instid0(VALU_DEP_1) | instskip(NEXT) | instid1(VALU_DEP_1)
	v_fma_f64 v[15:16], -v[7:8], v[11:12], 1.0
	v_fma_f64 v[11:12], v[11:12], v[15:16], v[11:12]
	v_div_scale_f64 v[15:16], vcc_lo, v[4:5], v[0:1], v[4:5]
	s_delay_alu instid0(VALU_DEP_1) | instskip(NEXT) | instid1(VALU_DEP_1)
	v_mul_f64 v[22:23], v[15:16], v[11:12]
	v_fma_f64 v[7:8], -v[7:8], v[22:23], v[15:16]
	s_delay_alu instid0(VALU_DEP_1) | instskip(NEXT) | instid1(VALU_DEP_1)
	v_div_fmas_f64 v[7:8], v[7:8], v[11:12], v[22:23]
	v_div_fixup_f64 v[4:5], v[7:8], v[0:1], v[4:5]
                                        ; implicit-def: $vgpr0_vgpr1
	s_and_not1_saveexec_b32 s1, s1
	s_cbranch_execnz .LBB169_1460
.LBB169_1455:
	s_or_b32 exec_lo, exec_lo, s1
	s_and_saveexec_b32 s1, s0
	s_delay_alu instid0(SALU_CYCLE_1)
	s_xor_b32 s0, exec_lo, s1
	s_cbranch_execz .LBB169_1461
.LBB169_1456:
	s_and_saveexec_b32 s1, s14
; %bb.1457:
	s_delay_alu instid0(VALU_DEP_2) | instskip(NEXT) | instid1(VALU_DEP_2)
	v_mul_f64 v[2:3], v[2:3], 0.5
	v_mul_f64 v[4:5], v[4:5], 0.5
; %bb.1458:
	s_or_b32 exec_lo, exec_lo, s1
	s_and_not1_saveexec_b32 s0, s0
	s_cbranch_execnz .LBB169_1462
	s_branch .LBB169_1463
.LBB169_1459:
	s_and_not1_saveexec_b32 s1, s1
	s_cbranch_execz .LBB169_1455
.LBB169_1460:
	v_add_f64 v[0:1], v[0:1], -v[2:3]
	s_delay_alu instid0(VALU_DEP_1) | instskip(NEXT) | instid1(VALU_DEP_1)
	v_mul_f64 v[0:1], v[0:1], 0.5
	v_cmp_gt_f64_e32 vcc_lo, 0x10000000, v[0:1]
	v_cndmask_b32_e64 v2, 0, 1, vcc_lo
	s_delay_alu instid0(VALU_DEP_1) | instskip(NEXT) | instid1(VALU_DEP_1)
	v_lshlrev_b32_e32 v2, 8, v2
	v_ldexp_f64 v[0:1], v[0:1], v2
	s_delay_alu instid0(VALU_DEP_1) | instskip(SKIP_3) | instid1(VALU_DEP_1)
	v_rsq_f64_e32 v[2:3], v[0:1]
	s_waitcnt_depctr 0xfff
	v_mul_f64 v[7:8], v[0:1], v[2:3]
	v_mul_f64 v[2:3], v[2:3], 0.5
	v_fma_f64 v[11:12], -v[2:3], v[7:8], 0.5
	s_delay_alu instid0(VALU_DEP_1) | instskip(SKIP_1) | instid1(VALU_DEP_2)
	v_fma_f64 v[7:8], v[7:8], v[11:12], v[7:8]
	v_fma_f64 v[2:3], v[2:3], v[11:12], v[2:3]
	v_fma_f64 v[11:12], -v[7:8], v[7:8], v[0:1]
	s_delay_alu instid0(VALU_DEP_1) | instskip(NEXT) | instid1(VALU_DEP_1)
	v_fma_f64 v[7:8], v[11:12], v[2:3], v[7:8]
	v_fma_f64 v[11:12], -v[7:8], v[7:8], v[0:1]
	s_delay_alu instid0(VALU_DEP_1) | instskip(SKIP_2) | instid1(VALU_DEP_2)
	v_fma_f64 v[2:3], v[11:12], v[2:3], v[7:8]
	v_cndmask_b32_e64 v7, 0, 0xffffff80, vcc_lo
	v_cmp_class_f64_e64 vcc_lo, v[0:1], 0x260
	v_ldexp_f64 v[2:3], v[2:3], v7
	v_mov_b32_e32 v7, v4
	s_delay_alu instid0(VALU_DEP_2) | instskip(NEXT) | instid1(VALU_DEP_1)
	v_dual_cndmask_b32 v1, v3, v1 :: v_dual_cndmask_b32 v0, v2, v0
	v_add_f64 v[2:3], v[0:1], v[0:1]
	v_bfi_b32 v1, 0x7fffffff, v1, v5
	v_and_b32_e32 v8, 0x7fffffff, v5
	s_delay_alu instid0(VALU_DEP_1) | instskip(SKIP_1) | instid1(VALU_DEP_2)
	v_div_scale_f64 v[11:12], null, v[2:3], v[2:3], v[7:8]
	v_div_scale_f64 v[7:8], vcc_lo, v[7:8], v[2:3], v[7:8]
	v_rcp_f64_e32 v[15:16], v[11:12]
	s_waitcnt_depctr 0xfff
	v_fma_f64 v[22:23], -v[11:12], v[15:16], 1.0
	s_delay_alu instid0(VALU_DEP_1) | instskip(NEXT) | instid1(VALU_DEP_1)
	v_fma_f64 v[15:16], v[15:16], v[22:23], v[15:16]
	v_fma_f64 v[22:23], -v[11:12], v[15:16], 1.0
	s_delay_alu instid0(VALU_DEP_1) | instskip(NEXT) | instid1(VALU_DEP_1)
	v_fma_f64 v[15:16], v[15:16], v[22:23], v[15:16]
	v_mul_f64 v[22:23], v[7:8], v[15:16]
	s_delay_alu instid0(VALU_DEP_1) | instskip(NEXT) | instid1(VALU_DEP_1)
	v_fma_f64 v[7:8], -v[11:12], v[22:23], v[7:8]
	v_div_fmas_f64 v[7:8], v[7:8], v[15:16], v[22:23]
	s_delay_alu instid0(VALU_DEP_1) | instskip(SKIP_3) | instid1(SALU_CYCLE_1)
	v_div_fixup_f64 v[2:3], v[7:8], v[2:3], |v[4:5]|
	v_dual_mov_b32 v5, v1 :: v_dual_mov_b32 v4, v0
	s_or_b32 exec_lo, exec_lo, s1
	s_and_saveexec_b32 s1, s0
	s_xor_b32 s0, exec_lo, s1
	s_cbranch_execnz .LBB169_1456
.LBB169_1461:
	s_and_not1_saveexec_b32 s0, s0
.LBB169_1462:
	s_delay_alu instid0(VALU_DEP_2) | instskip(NEXT) | instid1(VALU_DEP_2)
	v_add_f64 v[2:3], v[2:3], v[2:3]
	v_add_f64 v[4:5], v[4:5], v[4:5]
.LBB169_1463:
	s_or_b32 exec_lo, exec_lo, s0
.LBB169_1464:
	s_and_not1_saveexec_b32 s0, s13
	s_cbranch_execz .LBB169_1470
; %bb.1465:
	s_delay_alu instid0(VALU_DEP_1) | instskip(SKIP_1) | instid1(VALU_DEP_3)
	v_add_f64 v[0:1], v[4:5], -v[4:5]
	s_mov_b32 s1, exec_lo
	v_cmpx_lt_i64_e32 -1, v[2:3]
	s_xor_b32 s1, exec_lo, s1
; %bb.1466:
	s_delay_alu instid0(VALU_DEP_2) | instskip(NEXT) | instid1(VALU_DEP_1)
	v_bfi_b32 v1, 0x7fffffff, v1, v5
	v_dual_mov_b32 v5, v1 :: v_dual_mov_b32 v4, v0
                                        ; implicit-def: $vgpr0_vgpr1
; %bb.1467:
	s_and_not1_saveexec_b32 s1, s1
; %bb.1468:
	s_delay_alu instid0(VALU_DEP_1) | instskip(SKIP_1) | instid1(VALU_DEP_2)
	v_bfi_b32 v3, 0x7fffffff, v3, v5
	v_and_b32_e32 v1, 0x7fffffff, v1
	v_dual_mov_b32 v5, v3 :: v_dual_mov_b32 v4, v2
	s_delay_alu instid0(VALU_DEP_2)
	v_dual_mov_b32 v3, v1 :: v_dual_mov_b32 v2, v0
; %bb.1469:
	s_or_b32 exec_lo, exec_lo, s1
.LBB169_1470:
	s_delay_alu instid0(SALU_CYCLE_1)
	s_or_b32 exec_lo, exec_lo, s0
.LBB169_1471:
	s_and_not1_saveexec_b32 s0, s12
; %bb.1472:
	s_delay_alu instid0(VALU_DEP_1) | instskip(NEXT) | instid1(VALU_DEP_1)
	v_add_f64 v[0:1], v[4:5], -v[4:5]
	v_div_scale_f64 v[4:5], vcc_lo, v[0:1], v[0:1], v[0:1]
	s_delay_alu instid0(VALU_DEP_1) | instskip(SKIP_2) | instid1(VALU_DEP_1)
	v_rcp_f64_e32 v[7:8], v[4:5]
	s_waitcnt_depctr 0xfff
	v_fma_f64 v[11:12], -v[4:5], v[7:8], 1.0
	v_fma_f64 v[7:8], v[7:8], v[11:12], v[7:8]
	s_delay_alu instid0(VALU_DEP_1) | instskip(NEXT) | instid1(VALU_DEP_1)
	v_fma_f64 v[11:12], -v[4:5], v[7:8], 1.0
	v_fma_f64 v[7:8], v[7:8], v[11:12], v[7:8]
	s_delay_alu instid0(VALU_DEP_1) | instskip(NEXT) | instid1(VALU_DEP_1)
	v_mul_f64 v[11:12], v[4:5], v[7:8]
	v_fma_f64 v[4:5], -v[4:5], v[11:12], v[4:5]
	s_delay_alu instid0(VALU_DEP_1) | instskip(NEXT) | instid1(VALU_DEP_1)
	v_div_fmas_f64 v[4:5], v[4:5], v[7:8], v[11:12]
	v_div_fixup_f64 v[4:5], v[4:5], v[0:1], v[0:1]
; %bb.1473:
	s_or_b32 exec_lo, exec_lo, s0
	v_dual_mov_b32 v8, v3 :: v_dual_mov_b32 v7, v2
.LBB169_1474:
	s_or_b32 exec_lo, exec_lo, s3
.LBB169_1475:
	s_delay_alu instid0(SALU_CYCLE_1) | instskip(NEXT) | instid1(VALU_DEP_1)
	s_or_b32 exec_lo, exec_lo, s2
	v_cmp_gt_f64_e32 vcc_lo, 0, v[7:8]
	s_delay_alu instid0(VALU_DEP_3) | instskip(SKIP_2) | instid1(VALU_DEP_2)
	v_cmp_gt_f64_e64 s0, 0, v[4:5]
	v_xor_b32_e32 v0, 0x80000000, v8
	v_xor_b32_e32 v1, 0x80000000, v5
                                        ; implicit-def: $vgpr2_vgpr3
	v_dual_cndmask_b32 v12, v8, v0 :: v_dual_cndmask_b32 v11, v7, v7
	s_delay_alu instid0(VALU_DEP_2) | instskip(SKIP_2) | instid1(VALU_DEP_1)
	v_cndmask_b32_e64 v16, v5, v1, s0
	v_cndmask_b32_e64 v15, v4, v4, s0
	s_mov_b32 s0, exec_lo
	v_cmpx_ge_f64_e32 v[11:12], v[15:16]
	s_xor_b32 s1, exec_lo, s0
	s_cbranch_execz .LBB169_1481
; %bb.1476:
	v_cmp_neq_f64_e32 vcc_lo, 0, v[7:8]
	v_cmp_neq_f64_e64 s0, 0, v[4:5]
                                        ; implicit-def: $vgpr2_vgpr3
	s_delay_alu instid0(VALU_DEP_1) | instskip(NEXT) | instid1(SALU_CYCLE_1)
	s_or_b32 s0, vcc_lo, s0
	s_and_saveexec_b32 s2, s0
	s_delay_alu instid0(SALU_CYCLE_1)
	s_xor_b32 s0, exec_lo, s2
	s_cbranch_execz .LBB169_1478
; %bb.1477:
	v_div_scale_f64 v[0:1], null, v[7:8], v[7:8], v[4:5]
	v_div_scale_f64 v[15:16], vcc_lo, v[4:5], v[7:8], v[4:5]
	s_delay_alu instid0(VALU_DEP_2) | instskip(SKIP_2) | instid1(VALU_DEP_1)
	v_rcp_f64_e32 v[2:3], v[0:1]
	s_waitcnt_depctr 0xfff
	v_fma_f64 v[11:12], -v[0:1], v[2:3], 1.0
	v_fma_f64 v[2:3], v[2:3], v[11:12], v[2:3]
	s_delay_alu instid0(VALU_DEP_1) | instskip(NEXT) | instid1(VALU_DEP_1)
	v_fma_f64 v[11:12], -v[0:1], v[2:3], 1.0
	v_fma_f64 v[2:3], v[2:3], v[11:12], v[2:3]
	s_delay_alu instid0(VALU_DEP_1) | instskip(NEXT) | instid1(VALU_DEP_1)
	v_mul_f64 v[11:12], v[15:16], v[2:3]
	v_fma_f64 v[0:1], -v[0:1], v[11:12], v[15:16]
	s_delay_alu instid0(VALU_DEP_1) | instskip(NEXT) | instid1(VALU_DEP_1)
	v_div_fmas_f64 v[0:1], v[0:1], v[2:3], v[11:12]
	v_div_fixup_f64 v[0:1], v[0:1], v[7:8], v[4:5]
	s_delay_alu instid0(VALU_DEP_1) | instskip(NEXT) | instid1(VALU_DEP_1)
	v_fma_f64 v[2:3], v[4:5], v[0:1], v[7:8]
	v_div_scale_f64 v[4:5], null, v[2:3], v[2:3], 1.0
	v_div_scale_f64 v[15:16], vcc_lo, 1.0, v[2:3], 1.0
	s_delay_alu instid0(VALU_DEP_2) | instskip(SKIP_2) | instid1(VALU_DEP_1)
	v_rcp_f64_e32 v[7:8], v[4:5]
	s_waitcnt_depctr 0xfff
	v_fma_f64 v[11:12], -v[4:5], v[7:8], 1.0
	v_fma_f64 v[7:8], v[7:8], v[11:12], v[7:8]
	s_delay_alu instid0(VALU_DEP_1) | instskip(NEXT) | instid1(VALU_DEP_1)
	v_fma_f64 v[11:12], -v[4:5], v[7:8], 1.0
	v_fma_f64 v[7:8], v[7:8], v[11:12], v[7:8]
	s_delay_alu instid0(VALU_DEP_1) | instskip(NEXT) | instid1(VALU_DEP_1)
	v_mul_f64 v[11:12], v[15:16], v[7:8]
	v_fma_f64 v[4:5], -v[4:5], v[11:12], v[15:16]
                                        ; implicit-def: $vgpr15_vgpr16
	s_delay_alu instid0(VALU_DEP_1) | instskip(SKIP_1) | instid1(VALU_DEP_2)
	v_div_fmas_f64 v[4:5], v[4:5], v[7:8], v[11:12]
	v_fma_f64 v[7:8], v[0:1], 0, 1.0
                                        ; implicit-def: $vgpr11_vgpr12
	v_div_fixup_f64 v[2:3], v[4:5], v[2:3], 1.0
	v_add_f64 v[4:5], -v[0:1], 0
	s_delay_alu instid0(VALU_DEP_2) | instskip(NEXT) | instid1(VALU_DEP_2)
	v_mul_f64 v[0:1], v[7:8], v[2:3]
	v_mul_f64 v[2:3], v[4:5], v[2:3]
.LBB169_1478:
	s_and_not1_saveexec_b32 s2, s0
	s_cbranch_execz .LBB169_1480
; %bb.1479:
	v_div_scale_f64 v[0:1], null, v[11:12], v[11:12], 1.0
	v_div_scale_f64 v[2:3], null, v[15:16], v[15:16], 0
	v_div_scale_f64 v[27:28], vcc_lo, 1.0, v[11:12], 1.0
	s_delay_alu instid0(VALU_DEP_3) | instskip(NEXT) | instid1(VALU_DEP_2)
	v_rcp_f64_e32 v[4:5], v[0:1]
	v_rcp_f64_e32 v[7:8], v[2:3]
	s_waitcnt_depctr 0xfff
	v_fma_f64 v[22:23], -v[0:1], v[4:5], 1.0
	v_fma_f64 v[24:25], -v[2:3], v[7:8], 1.0
	s_delay_alu instid0(VALU_DEP_2) | instskip(NEXT) | instid1(VALU_DEP_2)
	v_fma_f64 v[4:5], v[4:5], v[22:23], v[4:5]
	v_fma_f64 v[7:8], v[7:8], v[24:25], v[7:8]
	s_delay_alu instid0(VALU_DEP_2) | instskip(NEXT) | instid1(VALU_DEP_2)
	v_fma_f64 v[22:23], -v[0:1], v[4:5], 1.0
	v_fma_f64 v[24:25], -v[2:3], v[7:8], 1.0
	s_delay_alu instid0(VALU_DEP_2) | instskip(SKIP_1) | instid1(VALU_DEP_3)
	v_fma_f64 v[4:5], v[4:5], v[22:23], v[4:5]
	v_div_scale_f64 v[22:23], s0, 0, v[15:16], 0
	v_fma_f64 v[7:8], v[7:8], v[24:25], v[7:8]
	s_delay_alu instid0(VALU_DEP_3) | instskip(NEXT) | instid1(VALU_DEP_2)
	v_mul_f64 v[24:25], v[27:28], v[4:5]
	v_mul_f64 v[29:30], v[22:23], v[7:8]
	s_delay_alu instid0(VALU_DEP_2) | instskip(NEXT) | instid1(VALU_DEP_2)
	v_fma_f64 v[0:1], -v[0:1], v[24:25], v[27:28]
	v_fma_f64 v[2:3], -v[2:3], v[29:30], v[22:23]
	s_delay_alu instid0(VALU_DEP_2) | instskip(SKIP_1) | instid1(VALU_DEP_2)
	v_div_fmas_f64 v[0:1], v[0:1], v[4:5], v[24:25]
	s_mov_b32 vcc_lo, s0
	v_div_fmas_f64 v[2:3], v[2:3], v[7:8], v[29:30]
	s_delay_alu instid0(VALU_DEP_2) | instskip(NEXT) | instid1(VALU_DEP_2)
	v_div_fixup_f64 v[0:1], v[0:1], v[11:12], 1.0
	v_div_fixup_f64 v[2:3], v[2:3], v[15:16], 0
.LBB169_1480:
	s_or_b32 exec_lo, exec_lo, s2
                                        ; implicit-def: $vgpr4_vgpr5
                                        ; implicit-def: $vgpr7_vgpr8
.LBB169_1481:
	s_and_not1_saveexec_b32 s0, s1
	s_cbranch_execz .LBB169_1483
; %bb.1482:
	v_div_scale_f64 v[0:1], null, v[4:5], v[4:5], v[7:8]
	v_div_scale_f64 v[15:16], vcc_lo, v[7:8], v[4:5], v[7:8]
	s_delay_alu instid0(VALU_DEP_2) | instskip(SKIP_2) | instid1(VALU_DEP_1)
	v_rcp_f64_e32 v[2:3], v[0:1]
	s_waitcnt_depctr 0xfff
	v_fma_f64 v[11:12], -v[0:1], v[2:3], 1.0
	v_fma_f64 v[2:3], v[2:3], v[11:12], v[2:3]
	s_delay_alu instid0(VALU_DEP_1) | instskip(NEXT) | instid1(VALU_DEP_1)
	v_fma_f64 v[11:12], -v[0:1], v[2:3], 1.0
	v_fma_f64 v[2:3], v[2:3], v[11:12], v[2:3]
	s_delay_alu instid0(VALU_DEP_1) | instskip(NEXT) | instid1(VALU_DEP_1)
	v_mul_f64 v[11:12], v[15:16], v[2:3]
	v_fma_f64 v[0:1], -v[0:1], v[11:12], v[15:16]
	s_delay_alu instid0(VALU_DEP_1) | instskip(NEXT) | instid1(VALU_DEP_1)
	v_div_fmas_f64 v[0:1], v[0:1], v[2:3], v[11:12]
	v_div_fixup_f64 v[0:1], v[0:1], v[4:5], v[7:8]
	s_delay_alu instid0(VALU_DEP_1) | instskip(NEXT) | instid1(VALU_DEP_1)
	v_fma_f64 v[2:3], v[7:8], v[0:1], v[4:5]
	v_div_scale_f64 v[4:5], null, v[2:3], v[2:3], 1.0
	v_div_scale_f64 v[15:16], vcc_lo, 1.0, v[2:3], 1.0
	s_delay_alu instid0(VALU_DEP_2) | instskip(SKIP_2) | instid1(VALU_DEP_1)
	v_rcp_f64_e32 v[7:8], v[4:5]
	s_waitcnt_depctr 0xfff
	v_fma_f64 v[11:12], -v[4:5], v[7:8], 1.0
	v_fma_f64 v[7:8], v[7:8], v[11:12], v[7:8]
	s_delay_alu instid0(VALU_DEP_1) | instskip(NEXT) | instid1(VALU_DEP_1)
	v_fma_f64 v[11:12], -v[4:5], v[7:8], 1.0
	v_fma_f64 v[7:8], v[7:8], v[11:12], v[7:8]
	s_delay_alu instid0(VALU_DEP_1) | instskip(NEXT) | instid1(VALU_DEP_1)
	v_mul_f64 v[11:12], v[15:16], v[7:8]
	v_fma_f64 v[4:5], -v[4:5], v[11:12], v[15:16]
	s_delay_alu instid0(VALU_DEP_1) | instskip(SKIP_1) | instid1(VALU_DEP_2)
	v_div_fmas_f64 v[4:5], v[4:5], v[7:8], v[11:12]
	v_add_f64 v[7:8], v[0:1], 0
	v_div_fixup_f64 v[2:3], v[4:5], v[2:3], 1.0
	v_fma_f64 v[4:5], v[0:1], 0, -1.0
	s_delay_alu instid0(VALU_DEP_2) | instskip(NEXT) | instid1(VALU_DEP_2)
	v_mul_f64 v[0:1], v[7:8], v[2:3]
	v_mul_f64 v[2:3], v[4:5], v[2:3]
.LBB169_1483:
	s_or_b32 exec_lo, exec_lo, s0
	v_cmp_gt_i16_e32 vcc_lo, 11, v26
	v_add_co_u32 v4, s0, s6, v6
	s_delay_alu instid0(VALU_DEP_1)
	v_add_co_ci_u32_e64 v5, null, s7, 0, s0
	s_mov_b32 s2, 0
	s_cbranch_vccnz .LBB169_1490
; %bb.1484:
	v_cmp_lt_i16_e32 vcc_lo, 25, v26
	s_mov_b32 s13, 0
	s_cbranch_vccz .LBB169_1496
; %bb.1485:
	v_cmp_lt_i16_e32 vcc_lo, 28, v26
	s_cbranch_vccz .LBB169_1499
; %bb.1486:
	v_cmp_lt_i16_e32 vcc_lo, 43, v26
	;; [unrolled: 3-line block ×3, first 2 shown]
	s_cbranch_vccz .LBB169_1507
; %bb.1488:
	v_cmp_eq_u16_e32 vcc_lo, 46, v26
	s_mov_b32 s0, 0
	s_cbranch_vccz .LBB169_1552
; %bb.1489:
	global_load_b32 v6, v[4:5], off
	s_mov_b32 s12, 0
	s_mov_b32 s2, -1
	s_waitcnt vmcnt(0)
	v_lshlrev_b32_e32 v7, 16, v6
	v_and_b32_e32 v8, 0xffff0000, v6
	s_delay_alu instid0(VALU_DEP_2) | instskip(NEXT) | instid1(VALU_DEP_2)
	v_cvt_f64_f32_e32 v[6:7], v7
	v_cvt_f64_f32_e32 v[8:9], v8
	s_branch .LBB169_1554
.LBB169_1490:
                                        ; implicit-def: $vgpr8_vgpr9
	s_cbranch_execz .LBB169_1622
; %bb.1491:
	v_cmp_gt_i16_e32 vcc_lo, 5, v26
	s_cbranch_vccnz .LBB169_1497
; %bb.1492:
	v_cmp_gt_i16_e32 vcc_lo, 8, v26
	s_cbranch_vccnz .LBB169_1500
; %bb.1493:
	v_cmp_gt_i16_e32 vcc_lo, 9, v26
	s_cbranch_vccnz .LBB169_1502
; %bb.1494:
	v_cmp_lt_i16_e32 vcc_lo, 9, v26
	s_cbranch_vccz .LBB169_1508
; %bb.1495:
	global_load_b128 v[6:9], v[4:5], off
	s_mov_b32 s0, 0
	s_branch .LBB169_1509
.LBB169_1496:
	s_mov_b32 s12, 0
                                        ; implicit-def: $vgpr8_vgpr9
	s_cbranch_execnz .LBB169_1587
	s_branch .LBB169_1618
.LBB169_1497:
                                        ; implicit-def: $vgpr8_vgpr9
	s_branch .LBB169_1528
.LBB169_1498:
	s_branch .LBB169_1623
.LBB169_1499:
	s_mov_b32 s0, -1
	s_mov_b32 s12, 0
                                        ; implicit-def: $vgpr8_vgpr9
	s_branch .LBB169_1566
.LBB169_1500:
	s_mov_b32 s0, -1
                                        ; implicit-def: $vgpr8_vgpr9
	s_branch .LBB169_1515
.LBB169_1501:
	s_mov_b32 s0, -1
	s_mov_b32 s12, 0
                                        ; implicit-def: $vgpr8_vgpr9
	s_branch .LBB169_1560
.LBB169_1502:
	s_mov_b32 s0, -1
                                        ; implicit-def: $vgpr8_vgpr9
	s_branch .LBB169_1512
.LBB169_1503:
	s_cbranch_execnz .LBB169_1548
; %bb.1504:
	s_or_b32 s10, s8, exec_lo
                                        ; implicit-def: $vgpr4_vgpr5
	s_cbranch_execz .LBB169_1440
	s_branch .LBB169_1441
.LBB169_1505:
	s_or_saveexec_b32 s5, s5
                                        ; implicit-def: $sgpr8
	s_delay_alu instid0(SALU_CYCLE_1)
	s_xor_b32 exec_lo, exec_lo, s5
	s_cbranch_execz .LBB169_1167
.LBB169_1506:
	v_add_f32_e64 v1, 0x46000000, |v0|
	s_and_not1_b32 s4, s4, exec_lo
	s_mov_b32 s8, 0
	s_delay_alu instid0(VALU_DEP_1) | instskip(NEXT) | instid1(VALU_DEP_1)
	v_and_b32_e32 v1, 0xff, v1
	v_cmp_ne_u32_e32 vcc_lo, 0, v1
	s_and_b32 s9, vcc_lo, exec_lo
	s_delay_alu instid0(SALU_CYCLE_1)
	s_or_b32 s4, s4, s9
	s_or_b32 exec_lo, exec_lo, s5
	v_mov_b32_e32 v2, s8
	s_and_saveexec_b32 s5, s4
	s_cbranch_execnz .LBB169_1168
	s_branch .LBB169_1169
.LBB169_1507:
	s_mov_b32 s0, -1
	s_mov_b32 s12, 0
	s_branch .LBB169_1553
.LBB169_1508:
	s_mov_b32 s0, -1
                                        ; implicit-def: $vgpr8_vgpr9
.LBB169_1509:
	s_delay_alu instid0(SALU_CYCLE_1)
	s_and_not1_b32 vcc_lo, exec_lo, s0
	s_cbranch_vccnz .LBB169_1511
; %bb.1510:
	global_load_b64 v[7:8], v[4:5], off
	s_waitcnt vmcnt(0)
	v_cvt_f64_f32_e32 v[6:7], v7
	v_cvt_f64_f32_e32 v[8:9], v8
.LBB169_1511:
	s_mov_b32 s0, 0
.LBB169_1512:
	s_delay_alu instid0(SALU_CYCLE_1)
	s_and_not1_b32 vcc_lo, exec_lo, s0
	s_cbranch_vccnz .LBB169_1514
; %bb.1513:
	global_load_b32 v6, v[4:5], off
	s_waitcnt vmcnt(0)
	v_lshrrev_b32_e32 v7, 16, v6
	v_cvt_f32_f16_e32 v6, v6
	s_delay_alu instid0(VALU_DEP_2) | instskip(NEXT) | instid1(VALU_DEP_2)
	v_cvt_f32_f16_e32 v8, v7
	v_cvt_f64_f32_e32 v[6:7], v6
	s_delay_alu instid0(VALU_DEP_2)
	v_cvt_f64_f32_e32 v[8:9], v8
.LBB169_1514:
	s_mov_b32 s0, 0
.LBB169_1515:
	s_delay_alu instid0(SALU_CYCLE_1)
	s_and_not1_b32 vcc_lo, exec_lo, s0
	s_cbranch_vccnz .LBB169_1527
; %bb.1516:
	v_cmp_gt_i16_e32 vcc_lo, 6, v26
	s_cbranch_vccnz .LBB169_1519
; %bb.1517:
	v_cmp_lt_i16_e32 vcc_lo, 6, v26
	s_cbranch_vccz .LBB169_1520
; %bb.1518:
	global_load_b64 v[6:7], v[4:5], off
	s_mov_b32 s2, 0
	s_mov_b64 s[0:1], 0
	s_branch .LBB169_1521
.LBB169_1519:
	s_mov_b32 s2, -1
                                        ; implicit-def: $sgpr0_sgpr1
                                        ; implicit-def: $vgpr6_vgpr7
	s_branch .LBB169_1524
.LBB169_1520:
	s_mov_b32 s2, -1
                                        ; implicit-def: $sgpr0_sgpr1
                                        ; implicit-def: $vgpr6_vgpr7
.LBB169_1521:
	s_delay_alu instid0(SALU_CYCLE_1)
	s_and_not1_b32 vcc_lo, exec_lo, s2
	s_cbranch_vccnz .LBB169_1523
; %bb.1522:
	global_load_b32 v6, v[4:5], off
	s_mov_b64 s[0:1], 0
	s_waitcnt vmcnt(0)
	v_cvt_f64_f32_e32 v[6:7], v6
.LBB169_1523:
	s_mov_b32 s2, 0
.LBB169_1524:
	s_delay_alu instid0(SALU_CYCLE_1)
	s_and_not1_b32 vcc_lo, exec_lo, s2
	s_cbranch_vccnz .LBB169_1526
; %bb.1525:
	global_load_u16 v6, v[4:5], off
	s_mov_b64 s[0:1], 0
	s_waitcnt vmcnt(0)
	v_cvt_f32_f16_e32 v6, v6
	s_delay_alu instid0(VALU_DEP_1)
	v_cvt_f64_f32_e32 v[6:7], v6
.LBB169_1526:
	s_waitcnt vmcnt(0)
	v_dual_mov_b32 v9, s1 :: v_dual_mov_b32 v8, s0
.LBB169_1527:
	s_cbranch_execnz .LBB169_1498
.LBB169_1528:
	v_cmp_gt_i16_e32 vcc_lo, 2, v26
	s_cbranch_vccnz .LBB169_1532
; %bb.1529:
	v_cmp_gt_i16_e32 vcc_lo, 3, v26
	s_cbranch_vccnz .LBB169_1533
; %bb.1530:
	v_cmp_lt_i16_e32 vcc_lo, 3, v26
	s_cbranch_vccz .LBB169_1534
; %bb.1531:
	global_load_b64 v[6:7], v[4:5], off
	s_mov_b32 s2, 0
	s_mov_b64 s[0:1], 0
	s_waitcnt vmcnt(0)
	v_cvt_f64_i32_e32 v[7:8], v7
	v_cvt_f64_u32_e32 v[11:12], v6
	s_delay_alu instid0(VALU_DEP_2) | instskip(NEXT) | instid1(VALU_DEP_1)
	v_ldexp_f64 v[7:8], v[7:8], 32
	v_add_f64 v[6:7], v[7:8], v[11:12]
	s_branch .LBB169_1535
.LBB169_1532:
	s_mov_b32 s2, -1
                                        ; implicit-def: $sgpr0_sgpr1
                                        ; implicit-def: $vgpr6_vgpr7
	s_branch .LBB169_1541
.LBB169_1533:
	s_mov_b32 s2, -1
                                        ; implicit-def: $sgpr0_sgpr1
                                        ; implicit-def: $vgpr6_vgpr7
	s_branch .LBB169_1538
.LBB169_1534:
	s_mov_b32 s2, -1
                                        ; implicit-def: $sgpr0_sgpr1
                                        ; implicit-def: $vgpr6_vgpr7
.LBB169_1535:
	s_delay_alu instid0(SALU_CYCLE_1)
	s_and_not1_b32 vcc_lo, exec_lo, s2
	s_cbranch_vccnz .LBB169_1537
; %bb.1536:
	global_load_b32 v6, v[4:5], off
	s_mov_b64 s[0:1], 0
	s_waitcnt vmcnt(0)
	v_cvt_f64_i32_e32 v[6:7], v6
.LBB169_1537:
	s_mov_b32 s2, 0
.LBB169_1538:
	s_delay_alu instid0(SALU_CYCLE_1)
	s_and_not1_b32 vcc_lo, exec_lo, s2
	s_cbranch_vccnz .LBB169_1540
; %bb.1539:
	global_load_i16 v6, v[4:5], off
	s_mov_b64 s[0:1], 0
	s_waitcnt vmcnt(0)
	v_cvt_f64_i32_e32 v[6:7], v6
.LBB169_1540:
	s_mov_b32 s2, 0
.LBB169_1541:
	s_delay_alu instid0(SALU_CYCLE_1)
	s_and_not1_b32 vcc_lo, exec_lo, s2
	s_cbranch_vccnz .LBB169_1547
; %bb.1542:
	v_cmp_lt_i16_e32 vcc_lo, 0, v26
	s_mov_b32 s2, 0
	s_cbranch_vccz .LBB169_1544
; %bb.1543:
	global_load_i8 v6, v[4:5], off
	s_mov_b64 s[0:1], 0
	s_waitcnt vmcnt(0)
	v_cvt_f64_i32_e32 v[6:7], v6
	s_branch .LBB169_1545
.LBB169_1544:
	s_mov_b32 s2, -1
                                        ; implicit-def: $sgpr0_sgpr1
                                        ; implicit-def: $vgpr6_vgpr7
.LBB169_1545:
	s_delay_alu instid0(SALU_CYCLE_1)
	s_and_not1_b32 vcc_lo, exec_lo, s2
	s_cbranch_vccnz .LBB169_1547
; %bb.1546:
	global_load_u8 v4, v[4:5], off
	s_mov_b64 s[0:1], 0
	s_waitcnt vmcnt(0)
	v_cvt_f64_u32_e32 v[6:7], v4
.LBB169_1547:
	s_waitcnt vmcnt(0)
	v_dual_mov_b32 v9, s1 :: v_dual_mov_b32 v8, s0
	s_branch .LBB169_1623
.LBB169_1548:
	s_trap 2
	s_sendmsg_rtn_b32 s0, sendmsg(MSG_RTN_GET_DOORBELL)
	s_mov_b32 ttmp2, m0
	s_waitcnt lgkmcnt(0)
	s_and_b32 s0, s0, 0x3ff
	s_delay_alu instid0(SALU_CYCLE_1) | instskip(NEXT) | instid1(SALU_CYCLE_1)
	s_bitset1_b32 s0, 10
	s_mov_b32 m0, s0
	s_sendmsg sendmsg(MSG_INTERRUPT)
	s_mov_b32 m0, ttmp2
.LBB169_1549:                           ; =>This Inner Loop Header: Depth=1
	s_sethalt 5
	s_branch .LBB169_1549
.LBB169_1550:
	s_or_saveexec_b32 s8, s8
                                        ; implicit-def: $sgpr9
	s_delay_alu instid0(SALU_CYCLE_1)
	s_xor_b32 exec_lo, exec_lo, s8
	s_cbranch_execz .LBB169_1179
.LBB169_1551:
	v_add_f32_e64 v1, 0x42800000, |v0|
	s_and_not1_b32 s5, s5, exec_lo
	s_mov_b32 s9, 0
	s_delay_alu instid0(VALU_DEP_1) | instskip(NEXT) | instid1(VALU_DEP_1)
	v_and_b32_e32 v1, 0xff, v1
	v_cmp_ne_u32_e32 vcc_lo, 0, v1
	s_and_b32 s10, vcc_lo, exec_lo
	s_delay_alu instid0(SALU_CYCLE_1)
	s_or_b32 s5, s5, s10
	s_or_b32 exec_lo, exec_lo, s8
	v_mov_b32_e32 v2, s9
	s_and_saveexec_b32 s8, s5
	s_cbranch_execnz .LBB169_1180
	s_branch .LBB169_1181
.LBB169_1552:
	s_mov_b32 s12, -1
.LBB169_1553:
                                        ; implicit-def: $vgpr8_vgpr9
.LBB169_1554:
	s_and_b32 vcc_lo, exec_lo, s0
	s_cbranch_vccz .LBB169_1559
; %bb.1555:
	v_cmp_eq_u16_e32 vcc_lo, 44, v26
	s_cbranch_vccz .LBB169_1557
; %bb.1556:
	global_load_u8 v8, v[4:5], off
	s_mov_b32 s12, 0
	s_mov_b32 s2, -1
	s_mov_b64 s[0:1], 0
	s_waitcnt vmcnt(0)
	v_cmp_ne_u32_e32 vcc_lo, 0xff, v8
	v_lshlrev_b32_e32 v6, 23, v8
	s_delay_alu instid0(VALU_DEP_1) | instskip(NEXT) | instid1(VALU_DEP_1)
	v_cvt_f64_f32_e32 v[6:7], v6
	v_cndmask_b32_e32 v7, 0x7ff80000, v7, vcc_lo
	s_delay_alu instid0(VALU_DEP_2) | instskip(SKIP_1) | instid1(VALU_DEP_3)
	v_cndmask_b32_e32 v6, 0x20000000, v6, vcc_lo
	v_cmp_ne_u32_e32 vcc_lo, 0, v8
	v_cndmask_b32_e32 v7, 0x38000000, v7, vcc_lo
	s_delay_alu instid0(VALU_DEP_3)
	v_cndmask_b32_e32 v6, 0, v6, vcc_lo
	s_branch .LBB169_1558
.LBB169_1557:
	s_mov_b32 s12, -1
                                        ; implicit-def: $sgpr0_sgpr1
                                        ; implicit-def: $vgpr6_vgpr7
.LBB169_1558:
	v_dual_mov_b32 v9, s1 :: v_dual_mov_b32 v8, s0
.LBB169_1559:
	s_mov_b32 s0, 0
.LBB169_1560:
	s_delay_alu instid0(SALU_CYCLE_1)
	s_and_b32 vcc_lo, exec_lo, s0
	s_cbranch_vccz .LBB169_1565
; %bb.1561:
	v_cmp_eq_u16_e32 vcc_lo, 29, v26
	s_cbranch_vccz .LBB169_1563
; %bb.1562:
	global_load_b64 v[6:7], v[4:5], off
	s_mov_b32 s12, 0
	s_mov_b32 s2, -1
	s_mov_b64 s[0:1], 0
	s_waitcnt vmcnt(0)
	v_cvt_f64_u32_e32 v[7:8], v7
	v_cvt_f64_u32_e32 v[11:12], v6
	s_delay_alu instid0(VALU_DEP_2) | instskip(NEXT) | instid1(VALU_DEP_1)
	v_ldexp_f64 v[7:8], v[7:8], 32
	v_add_f64 v[6:7], v[7:8], v[11:12]
	s_branch .LBB169_1564
.LBB169_1563:
	s_mov_b32 s12, -1
                                        ; implicit-def: $sgpr0_sgpr1
                                        ; implicit-def: $vgpr6_vgpr7
.LBB169_1564:
	v_dual_mov_b32 v9, s1 :: v_dual_mov_b32 v8, s0
.LBB169_1565:
	s_mov_b32 s0, 0
.LBB169_1566:
	s_delay_alu instid0(SALU_CYCLE_1)
	s_and_b32 vcc_lo, exec_lo, s0
	s_cbranch_vccz .LBB169_1586
; %bb.1567:
	v_cmp_gt_i16_e32 vcc_lo, 27, v26
	s_cbranch_vccnz .LBB169_1570
; %bb.1568:
	v_cmp_lt_i16_e32 vcc_lo, 27, v26
	s_cbranch_vccz .LBB169_1571
; %bb.1569:
	global_load_b32 v6, v[4:5], off
	s_mov_b32 s2, 0
	s_mov_b64 s[0:1], 0
	s_waitcnt vmcnt(0)
	v_cvt_f64_u32_e32 v[6:7], v6
	s_branch .LBB169_1572
.LBB169_1570:
	s_mov_b32 s2, -1
                                        ; implicit-def: $sgpr0_sgpr1
                                        ; implicit-def: $vgpr6_vgpr7
	s_branch .LBB169_1575
.LBB169_1571:
	s_mov_b32 s2, -1
                                        ; implicit-def: $sgpr0_sgpr1
                                        ; implicit-def: $vgpr6_vgpr7
.LBB169_1572:
	s_delay_alu instid0(SALU_CYCLE_1)
	s_and_not1_b32 vcc_lo, exec_lo, s2
	s_cbranch_vccnz .LBB169_1574
; %bb.1573:
	global_load_u16 v6, v[4:5], off
	s_mov_b64 s[0:1], 0
	s_waitcnt vmcnt(0)
	v_cvt_f64_u32_e32 v[6:7], v6
.LBB169_1574:
	s_mov_b32 s2, 0
.LBB169_1575:
	v_dual_mov_b32 v9, s1 :: v_dual_mov_b32 v8, s0
	s_and_not1_b32 vcc_lo, exec_lo, s2
	s_cbranch_vccnz .LBB169_1585
; %bb.1576:
	global_load_u8 v11, v[4:5], off
	s_mov_b32 s14, 0
	s_mov_b32 s15, exec_lo
                                        ; implicit-def: $sgpr0_sgpr1
                                        ; implicit-def: $sgpr2_sgpr3
	s_waitcnt vmcnt(0)
	v_cmpx_lt_i16_e32 0x7f, v11
	s_xor_b32 s15, exec_lo, s15
	s_cbranch_execz .LBB169_1580
; %bb.1577:
	s_mov_b32 s14, -1
	s_mov_b32 s16, exec_lo
                                        ; implicit-def: $sgpr0_sgpr1
                                        ; implicit-def: $sgpr2_sgpr3
	v_cmpx_eq_u16_e32 0x80, v11
; %bb.1578:
	s_mov_b64 s[0:1], 0
	s_mov_b32 s3, 0x7ff80000
	s_brev_b32 s2, 4
	s_xor_b32 s14, exec_lo, -1
; %bb.1579:
	s_or_b32 exec_lo, exec_lo, s16
	s_delay_alu instid0(SALU_CYCLE_1)
	s_and_b32 s14, s14, exec_lo
.LBB169_1580:
	s_or_saveexec_b32 s15, s15
	v_dual_mov_b32 v9, s1 :: v_dual_mov_b32 v8, s0
	v_dual_mov_b32 v7, s3 :: v_dual_mov_b32 v6, s2
	s_xor_b32 exec_lo, exec_lo, s15
; %bb.1581:
	v_mov_b32_e32 v8, 0
	v_mov_b32_e32 v9, 0
	v_cmp_ne_u16_e32 vcc_lo, 0, v11
	s_delay_alu instid0(VALU_DEP_3) | instskip(SKIP_1) | instid1(VALU_DEP_3)
	v_mov_b32_e32 v6, v8
	s_and_not1_b32 s0, s14, exec_lo
	v_mov_b32_e32 v7, v9
	s_and_b32 s1, vcc_lo, exec_lo
	s_delay_alu instid0(SALU_CYCLE_1)
	s_or_b32 s14, s0, s1
; %bb.1582:
	s_or_b32 exec_lo, exec_lo, s15
	s_and_saveexec_b32 s0, s14
	s_cbranch_execz .LBB169_1584
; %bb.1583:
	v_and_b32_e32 v6, 0xffff, v11
	v_lshlrev_b32_e32 v11, 24, v11
	s_delay_alu instid0(VALU_DEP_2) | instskip(NEXT) | instid1(VALU_DEP_1)
	v_and_b32_e32 v7, 7, v6
	v_clz_i32_u32_e32 v8, v7
	s_delay_alu instid0(VALU_DEP_1) | instskip(NEXT) | instid1(VALU_DEP_1)
	v_min_u32_e32 v8, 32, v8
	v_subrev_nc_u32_e32 v9, 28, v8
	v_sub_nc_u32_e32 v8, 29, v8
	s_delay_alu instid0(VALU_DEP_2) | instskip(SKIP_1) | instid1(VALU_DEP_2)
	v_lshlrev_b32_e32 v9, v9, v6
	v_bfe_u32 v6, v6, 3, 4
	v_and_b32_e32 v9, 7, v9
	s_delay_alu instid0(VALU_DEP_2) | instskip(NEXT) | instid1(VALU_DEP_2)
	v_cmp_eq_u32_e32 vcc_lo, 0, v6
	v_dual_cndmask_b32 v6, v6, v8 :: v_dual_cndmask_b32 v7, v7, v9
	v_and_b32_e32 v8, 0x80000000, v11
	s_delay_alu instid0(VALU_DEP_2) | instskip(NEXT) | instid1(VALU_DEP_3)
	v_lshl_add_u32 v6, v6, 23, 0x3b800000
	v_lshlrev_b32_e32 v7, 20, v7
	s_delay_alu instid0(VALU_DEP_1) | instskip(SKIP_2) | instid1(VALU_DEP_3)
	v_or3_b32 v6, v8, v6, v7
	v_mov_b32_e32 v8, 0
	v_mov_b32_e32 v9, 0
	v_cvt_f64_f32_e32 v[6:7], v6
.LBB169_1584:
	s_or_b32 exec_lo, exec_lo, s0
.LBB169_1585:
	s_mov_b32 s2, -1
.LBB169_1586:
	s_branch .LBB169_1618
.LBB169_1587:
	v_cmp_lt_i16_e32 vcc_lo, 22, v26
	s_cbranch_vccz .LBB169_1599
; %bb.1588:
	v_cmp_gt_i16_e32 vcc_lo, 24, v26
	s_cbranch_vccnz .LBB169_1600
; %bb.1589:
	v_cmp_lt_i16_e32 vcc_lo, 24, v26
	s_cbranch_vccz .LBB169_1601
; %bb.1590:
	global_load_u8 v11, v[4:5], off
	s_mov_b32 s14, exec_lo
                                        ; implicit-def: $sgpr0_sgpr1
                                        ; implicit-def: $sgpr2_sgpr3
	s_waitcnt vmcnt(0)
	v_cmpx_lt_i16_e32 0x7f, v11
	s_xor_b32 s14, exec_lo, s14
	s_cbranch_execz .LBB169_1594
; %bb.1591:
	s_mov_b32 s13, -1
	s_mov_b32 s15, exec_lo
                                        ; implicit-def: $sgpr0_sgpr1
                                        ; implicit-def: $sgpr2_sgpr3
	v_cmpx_eq_u16_e32 0x80, v11
; %bb.1592:
	s_mov_b64 s[0:1], 0
	s_mov_b32 s3, 0x7ff80000
	s_brev_b32 s2, 4
	s_xor_b32 s13, exec_lo, -1
; %bb.1593:
	s_or_b32 exec_lo, exec_lo, s15
	s_delay_alu instid0(SALU_CYCLE_1)
	s_and_b32 s13, s13, exec_lo
.LBB169_1594:
	s_or_saveexec_b32 s14, s14
	v_dual_mov_b32 v9, s1 :: v_dual_mov_b32 v8, s0
	v_dual_mov_b32 v7, s3 :: v_dual_mov_b32 v6, s2
	s_xor_b32 exec_lo, exec_lo, s14
; %bb.1595:
	v_mov_b32_e32 v8, 0
	v_mov_b32_e32 v9, 0
	v_cmp_ne_u16_e32 vcc_lo, 0, v11
	s_delay_alu instid0(VALU_DEP_3) | instskip(SKIP_1) | instid1(VALU_DEP_3)
	v_mov_b32_e32 v6, v8
	s_and_not1_b32 s0, s13, exec_lo
	v_mov_b32_e32 v7, v9
	s_and_b32 s1, vcc_lo, exec_lo
	s_delay_alu instid0(SALU_CYCLE_1)
	s_or_b32 s13, s0, s1
; %bb.1596:
	s_or_b32 exec_lo, exec_lo, s14
	s_and_saveexec_b32 s0, s13
	s_cbranch_execz .LBB169_1598
; %bb.1597:
	v_and_b32_e32 v6, 0xffff, v11
	v_lshlrev_b32_e32 v11, 24, v11
	s_delay_alu instid0(VALU_DEP_2) | instskip(NEXT) | instid1(VALU_DEP_1)
	v_and_b32_e32 v7, 3, v6
	v_clz_i32_u32_e32 v8, v7
	s_delay_alu instid0(VALU_DEP_1) | instskip(NEXT) | instid1(VALU_DEP_1)
	v_min_u32_e32 v8, 32, v8
	v_subrev_nc_u32_e32 v9, 29, v8
	v_sub_nc_u32_e32 v8, 30, v8
	s_delay_alu instid0(VALU_DEP_2) | instskip(SKIP_1) | instid1(VALU_DEP_2)
	v_lshlrev_b32_e32 v9, v9, v6
	v_bfe_u32 v6, v6, 2, 5
	v_and_b32_e32 v9, 3, v9
	s_delay_alu instid0(VALU_DEP_2) | instskip(NEXT) | instid1(VALU_DEP_2)
	v_cmp_eq_u32_e32 vcc_lo, 0, v6
	v_dual_cndmask_b32 v6, v6, v8 :: v_dual_cndmask_b32 v7, v7, v9
	v_and_b32_e32 v8, 0x80000000, v11
	s_delay_alu instid0(VALU_DEP_2) | instskip(NEXT) | instid1(VALU_DEP_3)
	v_lshl_add_u32 v6, v6, 23, 0x37800000
	v_lshlrev_b32_e32 v7, 21, v7
	s_delay_alu instid0(VALU_DEP_1) | instskip(SKIP_2) | instid1(VALU_DEP_3)
	v_or3_b32 v6, v8, v6, v7
	v_mov_b32_e32 v8, 0
	v_mov_b32_e32 v9, 0
	v_cvt_f64_f32_e32 v[6:7], v6
.LBB169_1598:
	s_or_b32 exec_lo, exec_lo, s0
	s_mov_b32 s0, 0
	s_branch .LBB169_1602
.LBB169_1599:
	s_mov_b32 s0, -1
                                        ; implicit-def: $vgpr8_vgpr9
	s_branch .LBB169_1608
.LBB169_1600:
	s_mov_b32 s0, -1
                                        ; implicit-def: $vgpr8_vgpr9
	s_branch .LBB169_1605
.LBB169_1601:
	s_mov_b32 s0, -1
                                        ; implicit-def: $vgpr8_vgpr9
.LBB169_1602:
	s_delay_alu instid0(SALU_CYCLE_1)
	s_and_b32 vcc_lo, exec_lo, s0
	s_cbranch_vccz .LBB169_1604
; %bb.1603:
	global_load_u8 v6, v[4:5], off
	s_waitcnt vmcnt(0)
	v_lshlrev_b32_e32 v6, 24, v6
	s_delay_alu instid0(VALU_DEP_1) | instskip(NEXT) | instid1(VALU_DEP_1)
	v_and_b32_e32 v7, 0x7f000000, v6
	v_clz_i32_u32_e32 v8, v7
	v_add_nc_u32_e32 v11, 0x1000000, v7
	v_cmp_ne_u32_e32 vcc_lo, 0, v7
	s_delay_alu instid0(VALU_DEP_3) | instskip(NEXT) | instid1(VALU_DEP_1)
	v_min_u32_e32 v8, 32, v8
	v_sub_nc_u32_e64 v8, v8, 4 clamp
	s_delay_alu instid0(VALU_DEP_1) | instskip(SKIP_1) | instid1(VALU_DEP_2)
	v_lshlrev_b32_e32 v9, v8, v7
	v_lshlrev_b32_e32 v8, 23, v8
	v_lshrrev_b32_e32 v9, 4, v9
	s_delay_alu instid0(VALU_DEP_1) | instskip(SKIP_1) | instid1(VALU_DEP_2)
	v_sub_nc_u32_e32 v8, v9, v8
	v_ashrrev_i32_e32 v9, 8, v11
	v_add_nc_u32_e32 v8, 0x3c000000, v8
	s_delay_alu instid0(VALU_DEP_1) | instskip(NEXT) | instid1(VALU_DEP_1)
	v_and_or_b32 v8, 0x7f800000, v9, v8
	v_dual_cndmask_b32 v7, 0, v8 :: v_dual_mov_b32 v8, 0
	v_mov_b32_e32 v9, 0
	s_delay_alu instid0(VALU_DEP_2) | instskip(NEXT) | instid1(VALU_DEP_1)
	v_and_or_b32 v6, 0x80000000, v6, v7
	v_cvt_f64_f32_e32 v[6:7], v6
.LBB169_1604:
	s_mov_b32 s0, 0
.LBB169_1605:
	s_delay_alu instid0(SALU_CYCLE_1)
	s_and_not1_b32 vcc_lo, exec_lo, s0
	s_cbranch_vccnz .LBB169_1607
; %bb.1606:
	global_load_u8 v6, v[4:5], off
	s_waitcnt vmcnt(0)
	v_lshlrev_b32_e32 v7, 25, v6
	v_lshlrev_b16 v6, 8, v6
	s_delay_alu instid0(VALU_DEP_2) | instskip(NEXT) | instid1(VALU_DEP_2)
	v_lshrrev_b32_e32 v8, 4, v7
	v_and_or_b32 v9, 0x7f00, v6, 0.5
	v_bfe_i32 v6, v6, 0, 16
	s_delay_alu instid0(VALU_DEP_3) | instskip(NEXT) | instid1(VALU_DEP_1)
	v_or_b32_e32 v8, 0x70000000, v8
	v_dual_add_f32 v9, -0.5, v9 :: v_dual_mul_f32 v8, 0x7800000, v8
	v_cmp_gt_u32_e32 vcc_lo, 0x8000000, v7
	s_delay_alu instid0(VALU_DEP_2) | instskip(SKIP_1) | instid1(VALU_DEP_2)
	v_dual_cndmask_b32 v7, v8, v9 :: v_dual_mov_b32 v8, 0
	v_mov_b32_e32 v9, 0
	v_and_or_b32 v6, 0x80000000, v6, v7
	s_delay_alu instid0(VALU_DEP_1)
	v_cvt_f64_f32_e32 v[6:7], v6
.LBB169_1607:
	s_mov_b32 s0, 0
	s_mov_b32 s2, -1
.LBB169_1608:
	s_and_not1_b32 vcc_lo, exec_lo, s0
	s_mov_b32 s13, 0
	s_cbranch_vccnz .LBB169_1618
; %bb.1609:
	v_cmp_lt_i16_e32 vcc_lo, 14, v26
	s_cbranch_vccz .LBB169_1612
; %bb.1610:
	v_cmp_eq_u16_e32 vcc_lo, 15, v26
	s_cbranch_vccz .LBB169_1613
; %bb.1611:
	global_load_u16 v6, v[4:5], off
	s_mov_b32 s12, 0
	s_mov_b32 s2, -1
	s_mov_b64 s[0:1], 0
	s_waitcnt vmcnt(0)
	v_lshlrev_b32_e32 v6, 16, v6
	s_delay_alu instid0(VALU_DEP_1)
	v_cvt_f64_f32_e32 v[6:7], v6
	s_branch .LBB169_1614
.LBB169_1612:
	s_mov_b32 s3, -1
                                        ; implicit-def: $sgpr0_sgpr1
                                        ; implicit-def: $vgpr6_vgpr7
	s_branch .LBB169_1615
.LBB169_1613:
	s_mov_b32 s12, -1
                                        ; implicit-def: $sgpr0_sgpr1
                                        ; implicit-def: $vgpr6_vgpr7
.LBB169_1614:
	s_mov_b32 s3, 0
.LBB169_1615:
	s_delay_alu instid0(SALU_CYCLE_1)
	s_and_b32 vcc_lo, exec_lo, s3
	s_cbranch_vccz .LBB169_1617
; %bb.1616:
	v_cmp_ne_u16_e64 s12, 11, v26
	s_mov_b32 s13, -1
                                        ; implicit-def: $sgpr0_sgpr1
                                        ; implicit-def: $vgpr6_vgpr7
.LBB169_1617:
	v_dual_mov_b32 v9, s1 :: v_dual_mov_b32 v8, s0
.LBB169_1618:
	s_delay_alu instid0(VALU_DEP_2)
	s_and_b32 vcc_lo, exec_lo, s12
	s_cbranch_vccnz .LBB169_1682
; %bb.1619:
	s_and_not1_b32 vcc_lo, exec_lo, s13
	s_cbranch_vccnz .LBB169_1621
.LBB169_1620:
	global_load_u8 v6, v[4:5], off
	v_mov_b32_e32 v8, 0
	v_mov_b32_e32 v9, 0
	s_mov_b32 s2, -1
	s_waitcnt vmcnt(0)
	v_cmp_ne_u16_e32 vcc_lo, 0, v6
	v_mov_b32_e32 v6, 0
	v_cndmask_b32_e64 v7, 0, 0x3ff00000, vcc_lo
.LBB169_1621:
.LBB169_1622:
	s_and_not1_b32 vcc_lo, exec_lo, s2
	s_cbranch_vccnz .LBB169_1996
.LBB169_1623:
	s_waitcnt vmcnt(0)
	s_delay_alu instid0(VALU_DEP_1) | instskip(NEXT) | instid1(VALU_DEP_2)
	v_cmp_neq_f64_e32 vcc_lo, 0, v[6:7]
	v_cmp_neq_f64_e64 s0, 0, v[8:9]
	v_mov_b32_e32 v11, 0
	v_mov_b32_e32 v12, 0
	s_delay_alu instid0(VALU_DEP_3) | instskip(NEXT) | instid1(SALU_CYCLE_1)
	s_or_b32 s0, vcc_lo, s0
	s_and_saveexec_b32 s2, s0
	s_cbranch_execz .LBB169_1655
; %bb.1624:
	s_mov_b32 s0, 0
	s_mov_b32 s1, 0x7ff00000
	v_mov_b32_e32 v11, s0
	v_mov_b32_e32 v12, s1
	s_mov_b32 s3, exec_lo
	v_cmpx_neq_f64_e64 0x7ff00000, |v[8:9]|
	s_cbranch_execz .LBB169_1654
; %bb.1625:
	s_mov_b32 s0, exec_lo
	v_cmpx_o_f64_e32 v[6:7], v[6:7]
	s_xor_b32 s12, exec_lo, s0
	s_cbranch_execz .LBB169_1651
; %bb.1626:
	s_mov_b32 s1, exec_lo
	v_cmpx_neq_f64_e64 0x7ff00000, |v[6:7]|
	s_xor_b32 s13, exec_lo, s1
	s_cbranch_execz .LBB169_1644
; %bb.1627:
	v_max_f64 v[4:5], |v[8:9]|, |v[8:9]|
	v_max_f64 v[11:12], |v[6:7]|, |v[6:7]|
	s_mov_b32 s0, 0x99fcef32
	s_mov_b32 s1, 0x7fda8279
                                        ; implicit-def: $sgpr14
	s_delay_alu instid0(VALU_DEP_1) | instskip(NEXT) | instid1(VALU_DEP_1)
	v_max_f64 v[4:5], v[11:12], v[4:5]
	v_cmp_nle_f64_e64 s0, s[0:1], v[4:5]
	s_delay_alu instid0(VALU_DEP_1) | instskip(NEXT) | instid1(SALU_CYCLE_1)
	s_and_saveexec_b32 s1, s0
	s_xor_b32 s1, exec_lo, s1
	s_cbranch_execz .LBB169_1631
; %bb.1628:
	v_cmp_ge_f64_e64 s14, 0x200000, |v[6:7]|
	v_cmp_ge_f64_e64 s15, 0x200000, |v[8:9]|
	s_delay_alu instid0(VALU_DEP_1)
	s_and_b32 s16, s14, s15
	s_mov_b32 s14, 0
	s_and_saveexec_b32 s15, s16
; %bb.1629:
	v_mul_f64 v[6:7], v[6:7], 4.0
	v_mul_f64 v[8:9], v[8:9], 4.0
	s_mov_b32 s14, exec_lo
; %bb.1630:
	s_or_b32 exec_lo, exec_lo, s15
	s_delay_alu instid0(SALU_CYCLE_1)
	s_and_b32 s14, s14, exec_lo
.LBB169_1631:
	s_and_not1_saveexec_b32 s1, s1
; %bb.1632:
	s_delay_alu instid0(VALU_DEP_2) | instskip(NEXT) | instid1(VALU_DEP_2)
	v_ldexp_f64 v[6:7], v[6:7], -2
	v_ldexp_f64 v[8:9], v[8:9], -2
	s_and_not1_b32 s14, s14, exec_lo
; %bb.1633:
	s_or_b32 exec_lo, exec_lo, s1
	s_delay_alu instid0(VALU_DEP_1) | instskip(NEXT) | instid1(VALU_DEP_3)
	v_max_f64 v[4:5], |v[8:9]|, |v[8:9]|
	v_max_f64 v[11:12], |v[6:7]|, |v[6:7]|
	v_cmp_class_f64_e64 s15, v[6:7], 0x204
	v_cmp_class_f64_e64 s16, v[8:9], 0x204
	v_cmp_le_f64_e64 s1, 0, v[6:7]
	s_delay_alu instid0(VALU_DEP_4) | instskip(NEXT) | instid1(VALU_DEP_3)
	v_max_f64 v[4:5], v[11:12], v[4:5]
	s_or_b32 s15, s16, s15
	s_delay_alu instid0(VALU_DEP_1) | instskip(NEXT) | instid1(VALU_DEP_1)
	v_frexp_exp_i32_f64_e32 v13, v[4:5]
	v_sub_nc_u32_e32 v11, 0, v13
	s_delay_alu instid0(VALU_DEP_1) | instskip(SKIP_1) | instid1(VALU_DEP_2)
	v_ldexp_f64 v[4:5], |v[8:9]|, v11
	v_ldexp_f64 v[11:12], |v[6:7]|, v11
	v_mul_f64 v[4:5], v[4:5], v[4:5]
	s_delay_alu instid0(VALU_DEP_1) | instskip(NEXT) | instid1(VALU_DEP_1)
	v_fma_f64 v[4:5], v[11:12], v[11:12], v[4:5]
	v_rsq_f64_e32 v[11:12], v[4:5]
	v_cmp_eq_f64_e32 vcc_lo, 0, v[4:5]
	s_waitcnt_depctr 0xfff
	v_mul_f64 v[15:16], v[4:5], v[11:12]
	v_mul_f64 v[11:12], v[11:12], 0.5
	s_delay_alu instid0(VALU_DEP_1) | instskip(NEXT) | instid1(VALU_DEP_1)
	v_fma_f64 v[22:23], -v[11:12], v[15:16], 0.5
	v_fma_f64 v[15:16], v[15:16], v[22:23], v[15:16]
	v_fma_f64 v[11:12], v[11:12], v[22:23], v[11:12]
	s_delay_alu instid0(VALU_DEP_2) | instskip(NEXT) | instid1(VALU_DEP_1)
	v_fma_f64 v[22:23], -v[15:16], v[15:16], v[4:5]
	v_fma_f64 v[11:12], v[22:23], v[11:12], v[15:16]
	s_delay_alu instid0(VALU_DEP_1) | instskip(SKIP_1) | instid1(VALU_DEP_2)
	v_dual_cndmask_b32 v5, v12, v5 :: v_dual_cndmask_b32 v4, v11, v4
	v_cmp_o_f64_e32 vcc_lo, v[8:9], v[8:9]
	v_ldexp_f64 v[4:5], v[4:5], v13
	s_delay_alu instid0(VALU_DEP_1) | instskip(NEXT) | instid1(VALU_DEP_2)
	v_cndmask_b32_e32 v4, 0, v4, vcc_lo
	v_cndmask_b32_e32 v5, 0x7ff80000, v5, vcc_lo
	s_delay_alu instid0(VALU_DEP_2) | instskip(NEXT) | instid1(VALU_DEP_2)
	v_cndmask_b32_e64 v4, v4, 0, s15
	v_cndmask_b32_e64 v5, v5, 0x7ff00000, s15
	s_and_saveexec_b32 s15, s1
	s_delay_alu instid0(SALU_CYCLE_1)
	s_xor_b32 s1, exec_lo, s15
	s_cbranch_execz .LBB169_1639
; %bb.1634:
	s_delay_alu instid0(VALU_DEP_1) | instskip(NEXT) | instid1(VALU_DEP_1)
	v_add_f64 v[4:5], v[6:7], v[4:5]
	v_mul_f64 v[4:5], v[4:5], 0.5
	s_delay_alu instid0(VALU_DEP_1) | instskip(SKIP_1) | instid1(VALU_DEP_1)
	v_cmp_gt_f64_e32 vcc_lo, 0x10000000, v[4:5]
	v_cndmask_b32_e64 v6, 0, 1, vcc_lo
	v_lshlrev_b32_e32 v6, 8, v6
	s_delay_alu instid0(VALU_DEP_1) | instskip(NEXT) | instid1(VALU_DEP_1)
	v_ldexp_f64 v[4:5], v[4:5], v6
	v_rsq_f64_e32 v[6:7], v[4:5]
	s_waitcnt_depctr 0xfff
	v_mul_f64 v[11:12], v[4:5], v[6:7]
	v_mul_f64 v[6:7], v[6:7], 0.5
	s_delay_alu instid0(VALU_DEP_1) | instskip(NEXT) | instid1(VALU_DEP_1)
	v_fma_f64 v[15:16], -v[6:7], v[11:12], 0.5
	v_fma_f64 v[11:12], v[11:12], v[15:16], v[11:12]
	v_fma_f64 v[6:7], v[6:7], v[15:16], v[6:7]
	s_delay_alu instid0(VALU_DEP_2) | instskip(NEXT) | instid1(VALU_DEP_1)
	v_fma_f64 v[15:16], -v[11:12], v[11:12], v[4:5]
	v_fma_f64 v[11:12], v[15:16], v[6:7], v[11:12]
	s_delay_alu instid0(VALU_DEP_1) | instskip(NEXT) | instid1(VALU_DEP_1)
	v_fma_f64 v[15:16], -v[11:12], v[11:12], v[4:5]
	v_fma_f64 v[6:7], v[15:16], v[6:7], v[11:12]
	v_cndmask_b32_e64 v11, 0, 0xffffff80, vcc_lo
	v_cmp_class_f64_e64 vcc_lo, v[4:5], 0x260
	s_delay_alu instid0(VALU_DEP_2) | instskip(NEXT) | instid1(VALU_DEP_1)
	v_ldexp_f64 v[6:7], v[6:7], v11
	v_dual_cndmask_b32 v7, v7, v5 :: v_dual_cndmask_b32 v6, v6, v4
	s_delay_alu instid0(VALU_DEP_1) | instskip(NEXT) | instid1(VALU_DEP_1)
	v_add_f64 v[4:5], v[6:7], v[6:7]
	v_div_scale_f64 v[11:12], null, v[4:5], v[4:5], v[8:9]
	s_delay_alu instid0(VALU_DEP_1) | instskip(SKIP_2) | instid1(VALU_DEP_1)
	v_rcp_f64_e32 v[15:16], v[11:12]
	s_waitcnt_depctr 0xfff
	v_fma_f64 v[22:23], -v[11:12], v[15:16], 1.0
	v_fma_f64 v[15:16], v[15:16], v[22:23], v[15:16]
	s_delay_alu instid0(VALU_DEP_1) | instskip(NEXT) | instid1(VALU_DEP_1)
	v_fma_f64 v[22:23], -v[11:12], v[15:16], 1.0
	v_fma_f64 v[15:16], v[15:16], v[22:23], v[15:16]
	v_div_scale_f64 v[22:23], vcc_lo, v[8:9], v[4:5], v[8:9]
	s_delay_alu instid0(VALU_DEP_1) | instskip(NEXT) | instid1(VALU_DEP_1)
	v_mul_f64 v[24:25], v[22:23], v[15:16]
	v_fma_f64 v[11:12], -v[11:12], v[24:25], v[22:23]
	s_delay_alu instid0(VALU_DEP_1) | instskip(NEXT) | instid1(VALU_DEP_1)
	v_div_fmas_f64 v[11:12], v[11:12], v[15:16], v[24:25]
	v_div_fixup_f64 v[8:9], v[11:12], v[4:5], v[8:9]
                                        ; implicit-def: $vgpr4_vgpr5
	s_and_not1_saveexec_b32 s1, s1
	s_cbranch_execnz .LBB169_1640
.LBB169_1635:
	s_or_b32 exec_lo, exec_lo, s1
	s_and_saveexec_b32 s1, s0
	s_delay_alu instid0(SALU_CYCLE_1)
	s_xor_b32 s0, exec_lo, s1
	s_cbranch_execz .LBB169_1641
.LBB169_1636:
	s_and_saveexec_b32 s1, s14
; %bb.1637:
	s_delay_alu instid0(VALU_DEP_2) | instskip(NEXT) | instid1(VALU_DEP_2)
	v_mul_f64 v[6:7], v[6:7], 0.5
	v_mul_f64 v[8:9], v[8:9], 0.5
; %bb.1638:
	s_or_b32 exec_lo, exec_lo, s1
	s_and_not1_saveexec_b32 s0, s0
	s_cbranch_execnz .LBB169_1642
	s_branch .LBB169_1643
.LBB169_1639:
	s_and_not1_saveexec_b32 s1, s1
	s_cbranch_execz .LBB169_1635
.LBB169_1640:
	v_add_f64 v[4:5], v[4:5], -v[6:7]
	s_delay_alu instid0(VALU_DEP_1) | instskip(NEXT) | instid1(VALU_DEP_1)
	v_mul_f64 v[4:5], v[4:5], 0.5
	v_cmp_gt_f64_e32 vcc_lo, 0x10000000, v[4:5]
	v_cndmask_b32_e64 v6, 0, 1, vcc_lo
	s_delay_alu instid0(VALU_DEP_1) | instskip(NEXT) | instid1(VALU_DEP_1)
	v_lshlrev_b32_e32 v6, 8, v6
	v_ldexp_f64 v[4:5], v[4:5], v6
	s_delay_alu instid0(VALU_DEP_1) | instskip(SKIP_3) | instid1(VALU_DEP_1)
	v_rsq_f64_e32 v[6:7], v[4:5]
	s_waitcnt_depctr 0xfff
	v_mul_f64 v[11:12], v[4:5], v[6:7]
	v_mul_f64 v[6:7], v[6:7], 0.5
	v_fma_f64 v[15:16], -v[6:7], v[11:12], 0.5
	s_delay_alu instid0(VALU_DEP_1) | instskip(SKIP_1) | instid1(VALU_DEP_2)
	v_fma_f64 v[11:12], v[11:12], v[15:16], v[11:12]
	v_fma_f64 v[6:7], v[6:7], v[15:16], v[6:7]
	v_fma_f64 v[15:16], -v[11:12], v[11:12], v[4:5]
	s_delay_alu instid0(VALU_DEP_1) | instskip(NEXT) | instid1(VALU_DEP_1)
	v_fma_f64 v[11:12], v[15:16], v[6:7], v[11:12]
	v_fma_f64 v[15:16], -v[11:12], v[11:12], v[4:5]
	s_delay_alu instid0(VALU_DEP_1) | instskip(SKIP_2) | instid1(VALU_DEP_2)
	v_fma_f64 v[6:7], v[15:16], v[6:7], v[11:12]
	v_cndmask_b32_e64 v11, 0, 0xffffff80, vcc_lo
	v_cmp_class_f64_e64 vcc_lo, v[4:5], 0x260
	v_ldexp_f64 v[6:7], v[6:7], v11
	v_mov_b32_e32 v11, v8
	s_delay_alu instid0(VALU_DEP_2) | instskip(NEXT) | instid1(VALU_DEP_1)
	v_dual_cndmask_b32 v5, v7, v5 :: v_dual_cndmask_b32 v4, v6, v4
	v_add_f64 v[6:7], v[4:5], v[4:5]
	v_bfi_b32 v5, 0x7fffffff, v5, v9
	v_and_b32_e32 v12, 0x7fffffff, v9
	s_delay_alu instid0(VALU_DEP_1) | instskip(SKIP_1) | instid1(VALU_DEP_2)
	v_div_scale_f64 v[15:16], null, v[6:7], v[6:7], v[11:12]
	v_div_scale_f64 v[11:12], vcc_lo, v[11:12], v[6:7], v[11:12]
	v_rcp_f64_e32 v[22:23], v[15:16]
	s_waitcnt_depctr 0xfff
	v_fma_f64 v[24:25], -v[15:16], v[22:23], 1.0
	s_delay_alu instid0(VALU_DEP_1) | instskip(NEXT) | instid1(VALU_DEP_1)
	v_fma_f64 v[22:23], v[22:23], v[24:25], v[22:23]
	v_fma_f64 v[24:25], -v[15:16], v[22:23], 1.0
	s_delay_alu instid0(VALU_DEP_1) | instskip(NEXT) | instid1(VALU_DEP_1)
	v_fma_f64 v[22:23], v[22:23], v[24:25], v[22:23]
	v_mul_f64 v[24:25], v[11:12], v[22:23]
	s_delay_alu instid0(VALU_DEP_1) | instskip(NEXT) | instid1(VALU_DEP_1)
	v_fma_f64 v[11:12], -v[15:16], v[24:25], v[11:12]
	v_div_fmas_f64 v[11:12], v[11:12], v[22:23], v[24:25]
	s_delay_alu instid0(VALU_DEP_1) | instskip(SKIP_3) | instid1(SALU_CYCLE_1)
	v_div_fixup_f64 v[6:7], v[11:12], v[6:7], |v[8:9]|
	v_dual_mov_b32 v9, v5 :: v_dual_mov_b32 v8, v4
	s_or_b32 exec_lo, exec_lo, s1
	s_and_saveexec_b32 s1, s0
	s_xor_b32 s0, exec_lo, s1
	s_cbranch_execnz .LBB169_1636
.LBB169_1641:
	s_and_not1_saveexec_b32 s0, s0
.LBB169_1642:
	s_delay_alu instid0(VALU_DEP_2) | instskip(NEXT) | instid1(VALU_DEP_2)
	v_add_f64 v[6:7], v[6:7], v[6:7]
	v_add_f64 v[8:9], v[8:9], v[8:9]
.LBB169_1643:
	s_or_b32 exec_lo, exec_lo, s0
.LBB169_1644:
	s_and_not1_saveexec_b32 s0, s13
	s_cbranch_execz .LBB169_1650
; %bb.1645:
	s_delay_alu instid0(VALU_DEP_1) | instskip(SKIP_1) | instid1(VALU_DEP_3)
	v_add_f64 v[4:5], v[8:9], -v[8:9]
	s_mov_b32 s1, exec_lo
	v_cmpx_lt_i64_e32 -1, v[6:7]
	s_xor_b32 s1, exec_lo, s1
; %bb.1646:
	s_delay_alu instid0(VALU_DEP_2) | instskip(NEXT) | instid1(VALU_DEP_1)
	v_bfi_b32 v5, 0x7fffffff, v5, v9
	v_dual_mov_b32 v9, v5 :: v_dual_mov_b32 v8, v4
                                        ; implicit-def: $vgpr4_vgpr5
; %bb.1647:
	s_and_not1_saveexec_b32 s1, s1
; %bb.1648:
	s_delay_alu instid0(VALU_DEP_1) | instskip(SKIP_1) | instid1(VALU_DEP_2)
	v_bfi_b32 v7, 0x7fffffff, v7, v9
	v_and_b32_e32 v5, 0x7fffffff, v5
	v_dual_mov_b32 v9, v7 :: v_dual_mov_b32 v8, v6
	s_delay_alu instid0(VALU_DEP_2)
	v_dual_mov_b32 v7, v5 :: v_dual_mov_b32 v6, v4
; %bb.1649:
	s_or_b32 exec_lo, exec_lo, s1
.LBB169_1650:
	s_delay_alu instid0(SALU_CYCLE_1)
	s_or_b32 exec_lo, exec_lo, s0
.LBB169_1651:
	s_and_not1_saveexec_b32 s0, s12
; %bb.1652:
	s_delay_alu instid0(VALU_DEP_1) | instskip(NEXT) | instid1(VALU_DEP_1)
	v_add_f64 v[4:5], v[8:9], -v[8:9]
	v_div_scale_f64 v[8:9], vcc_lo, v[4:5], v[4:5], v[4:5]
	s_delay_alu instid0(VALU_DEP_1) | instskip(SKIP_2) | instid1(VALU_DEP_1)
	v_rcp_f64_e32 v[11:12], v[8:9]
	s_waitcnt_depctr 0xfff
	v_fma_f64 v[15:16], -v[8:9], v[11:12], 1.0
	v_fma_f64 v[11:12], v[11:12], v[15:16], v[11:12]
	s_delay_alu instid0(VALU_DEP_1) | instskip(NEXT) | instid1(VALU_DEP_1)
	v_fma_f64 v[15:16], -v[8:9], v[11:12], 1.0
	v_fma_f64 v[11:12], v[11:12], v[15:16], v[11:12]
	s_delay_alu instid0(VALU_DEP_1) | instskip(NEXT) | instid1(VALU_DEP_1)
	v_mul_f64 v[15:16], v[8:9], v[11:12]
	v_fma_f64 v[8:9], -v[8:9], v[15:16], v[8:9]
	s_delay_alu instid0(VALU_DEP_1) | instskip(NEXT) | instid1(VALU_DEP_1)
	v_div_fmas_f64 v[8:9], v[8:9], v[11:12], v[15:16]
	v_div_fixup_f64 v[8:9], v[8:9], v[4:5], v[4:5]
; %bb.1653:
	s_or_b32 exec_lo, exec_lo, s0
	v_dual_mov_b32 v12, v7 :: v_dual_mov_b32 v11, v6
.LBB169_1654:
	s_or_b32 exec_lo, exec_lo, s3
.LBB169_1655:
	s_delay_alu instid0(SALU_CYCLE_1) | instskip(NEXT) | instid1(VALU_DEP_1)
	s_or_b32 exec_lo, exec_lo, s2
	v_cmp_gt_f64_e32 vcc_lo, 0, v[11:12]
	s_delay_alu instid0(VALU_DEP_3) | instskip(SKIP_2) | instid1(VALU_DEP_2)
	v_cmp_gt_f64_e64 s0, 0, v[8:9]
	v_xor_b32_e32 v4, 0x80000000, v12
	v_xor_b32_e32 v5, 0x80000000, v9
                                        ; implicit-def: $vgpr6_vgpr7
	v_dual_cndmask_b32 v16, v12, v4 :: v_dual_cndmask_b32 v15, v11, v11
	s_delay_alu instid0(VALU_DEP_2) | instskip(SKIP_2) | instid1(VALU_DEP_1)
	v_cndmask_b32_e64 v23, v9, v5, s0
	v_cndmask_b32_e64 v22, v8, v8, s0
	s_mov_b32 s0, exec_lo
	v_cmpx_ge_f64_e32 v[15:16], v[22:23]
	s_xor_b32 s1, exec_lo, s0
	s_cbranch_execz .LBB169_1661
; %bb.1656:
	v_cmp_neq_f64_e32 vcc_lo, 0, v[11:12]
	v_cmp_neq_f64_e64 s0, 0, v[8:9]
                                        ; implicit-def: $vgpr6_vgpr7
	s_delay_alu instid0(VALU_DEP_1) | instskip(NEXT) | instid1(SALU_CYCLE_1)
	s_or_b32 s0, vcc_lo, s0
	s_and_saveexec_b32 s2, s0
	s_delay_alu instid0(SALU_CYCLE_1)
	s_xor_b32 s0, exec_lo, s2
	s_cbranch_execz .LBB169_1658
; %bb.1657:
	v_div_scale_f64 v[4:5], null, v[11:12], v[11:12], v[8:9]
	v_div_scale_f64 v[22:23], vcc_lo, v[8:9], v[11:12], v[8:9]
	s_delay_alu instid0(VALU_DEP_2) | instskip(SKIP_2) | instid1(VALU_DEP_1)
	v_rcp_f64_e32 v[6:7], v[4:5]
	s_waitcnt_depctr 0xfff
	v_fma_f64 v[15:16], -v[4:5], v[6:7], 1.0
	v_fma_f64 v[6:7], v[6:7], v[15:16], v[6:7]
	s_delay_alu instid0(VALU_DEP_1) | instskip(NEXT) | instid1(VALU_DEP_1)
	v_fma_f64 v[15:16], -v[4:5], v[6:7], 1.0
	v_fma_f64 v[6:7], v[6:7], v[15:16], v[6:7]
	s_delay_alu instid0(VALU_DEP_1) | instskip(NEXT) | instid1(VALU_DEP_1)
	v_mul_f64 v[15:16], v[22:23], v[6:7]
	v_fma_f64 v[4:5], -v[4:5], v[15:16], v[22:23]
	s_delay_alu instid0(VALU_DEP_1) | instskip(NEXT) | instid1(VALU_DEP_1)
	v_div_fmas_f64 v[4:5], v[4:5], v[6:7], v[15:16]
	v_div_fixup_f64 v[4:5], v[4:5], v[11:12], v[8:9]
	s_delay_alu instid0(VALU_DEP_1) | instskip(NEXT) | instid1(VALU_DEP_1)
	v_fma_f64 v[6:7], v[8:9], v[4:5], v[11:12]
	v_div_scale_f64 v[8:9], null, v[6:7], v[6:7], 1.0
	v_div_scale_f64 v[22:23], vcc_lo, 1.0, v[6:7], 1.0
	s_delay_alu instid0(VALU_DEP_2) | instskip(SKIP_2) | instid1(VALU_DEP_1)
	v_rcp_f64_e32 v[11:12], v[8:9]
	s_waitcnt_depctr 0xfff
	v_fma_f64 v[15:16], -v[8:9], v[11:12], 1.0
	v_fma_f64 v[11:12], v[11:12], v[15:16], v[11:12]
	s_delay_alu instid0(VALU_DEP_1) | instskip(NEXT) | instid1(VALU_DEP_1)
	v_fma_f64 v[15:16], -v[8:9], v[11:12], 1.0
	v_fma_f64 v[11:12], v[11:12], v[15:16], v[11:12]
	s_delay_alu instid0(VALU_DEP_1) | instskip(NEXT) | instid1(VALU_DEP_1)
	v_mul_f64 v[15:16], v[22:23], v[11:12]
	v_fma_f64 v[8:9], -v[8:9], v[15:16], v[22:23]
                                        ; implicit-def: $vgpr22_vgpr23
	s_delay_alu instid0(VALU_DEP_1) | instskip(SKIP_1) | instid1(VALU_DEP_2)
	v_div_fmas_f64 v[8:9], v[8:9], v[11:12], v[15:16]
	v_fma_f64 v[11:12], v[4:5], 0, 1.0
                                        ; implicit-def: $vgpr15_vgpr16
	v_div_fixup_f64 v[6:7], v[8:9], v[6:7], 1.0
	v_add_f64 v[8:9], -v[4:5], 0
	s_delay_alu instid0(VALU_DEP_2) | instskip(NEXT) | instid1(VALU_DEP_2)
	v_mul_f64 v[4:5], v[11:12], v[6:7]
	v_mul_f64 v[6:7], v[8:9], v[6:7]
.LBB169_1658:
	s_and_not1_saveexec_b32 s2, s0
	s_cbranch_execz .LBB169_1660
; %bb.1659:
	v_div_scale_f64 v[4:5], null, v[15:16], v[15:16], 1.0
	v_div_scale_f64 v[6:7], null, v[22:23], v[22:23], 0
	v_div_scale_f64 v[29:30], vcc_lo, 1.0, v[15:16], 1.0
	s_delay_alu instid0(VALU_DEP_3) | instskip(NEXT) | instid1(VALU_DEP_2)
	v_rcp_f64_e32 v[8:9], v[4:5]
	v_rcp_f64_e32 v[11:12], v[6:7]
	s_waitcnt_depctr 0xfff
	v_fma_f64 v[24:25], -v[4:5], v[8:9], 1.0
	v_fma_f64 v[27:28], -v[6:7], v[11:12], 1.0
	s_delay_alu instid0(VALU_DEP_2) | instskip(NEXT) | instid1(VALU_DEP_2)
	v_fma_f64 v[8:9], v[8:9], v[24:25], v[8:9]
	v_fma_f64 v[11:12], v[11:12], v[27:28], v[11:12]
	s_delay_alu instid0(VALU_DEP_2) | instskip(NEXT) | instid1(VALU_DEP_2)
	v_fma_f64 v[24:25], -v[4:5], v[8:9], 1.0
	v_fma_f64 v[27:28], -v[6:7], v[11:12], 1.0
	s_delay_alu instid0(VALU_DEP_2) | instskip(SKIP_1) | instid1(VALU_DEP_3)
	v_fma_f64 v[8:9], v[8:9], v[24:25], v[8:9]
	v_div_scale_f64 v[24:25], s0, 0, v[22:23], 0
	v_fma_f64 v[11:12], v[11:12], v[27:28], v[11:12]
	s_delay_alu instid0(VALU_DEP_3) | instskip(NEXT) | instid1(VALU_DEP_2)
	v_mul_f64 v[27:28], v[29:30], v[8:9]
	v_mul_f64 v[31:32], v[24:25], v[11:12]
	s_delay_alu instid0(VALU_DEP_2) | instskip(NEXT) | instid1(VALU_DEP_2)
	v_fma_f64 v[4:5], -v[4:5], v[27:28], v[29:30]
	v_fma_f64 v[6:7], -v[6:7], v[31:32], v[24:25]
	s_delay_alu instid0(VALU_DEP_2) | instskip(SKIP_1) | instid1(VALU_DEP_2)
	v_div_fmas_f64 v[4:5], v[4:5], v[8:9], v[27:28]
	s_mov_b32 vcc_lo, s0
	v_div_fmas_f64 v[6:7], v[6:7], v[11:12], v[31:32]
	s_delay_alu instid0(VALU_DEP_2) | instskip(NEXT) | instid1(VALU_DEP_2)
	v_div_fixup_f64 v[4:5], v[4:5], v[15:16], 1.0
	v_div_fixup_f64 v[6:7], v[6:7], v[22:23], 0
.LBB169_1660:
	s_or_b32 exec_lo, exec_lo, s2
                                        ; implicit-def: $vgpr8_vgpr9
                                        ; implicit-def: $vgpr11_vgpr12
.LBB169_1661:
	s_and_not1_saveexec_b32 s0, s1
	s_cbranch_execz .LBB169_1663
; %bb.1662:
	v_div_scale_f64 v[4:5], null, v[8:9], v[8:9], v[11:12]
	v_div_scale_f64 v[22:23], vcc_lo, v[11:12], v[8:9], v[11:12]
	s_delay_alu instid0(VALU_DEP_2) | instskip(SKIP_2) | instid1(VALU_DEP_1)
	v_rcp_f64_e32 v[6:7], v[4:5]
	s_waitcnt_depctr 0xfff
	v_fma_f64 v[15:16], -v[4:5], v[6:7], 1.0
	v_fma_f64 v[6:7], v[6:7], v[15:16], v[6:7]
	s_delay_alu instid0(VALU_DEP_1) | instskip(NEXT) | instid1(VALU_DEP_1)
	v_fma_f64 v[15:16], -v[4:5], v[6:7], 1.0
	v_fma_f64 v[6:7], v[6:7], v[15:16], v[6:7]
	s_delay_alu instid0(VALU_DEP_1) | instskip(NEXT) | instid1(VALU_DEP_1)
	v_mul_f64 v[15:16], v[22:23], v[6:7]
	v_fma_f64 v[4:5], -v[4:5], v[15:16], v[22:23]
	s_delay_alu instid0(VALU_DEP_1) | instskip(NEXT) | instid1(VALU_DEP_1)
	v_div_fmas_f64 v[4:5], v[4:5], v[6:7], v[15:16]
	v_div_fixup_f64 v[4:5], v[4:5], v[8:9], v[11:12]
	s_delay_alu instid0(VALU_DEP_1) | instskip(NEXT) | instid1(VALU_DEP_1)
	v_fma_f64 v[6:7], v[11:12], v[4:5], v[8:9]
	v_div_scale_f64 v[8:9], null, v[6:7], v[6:7], 1.0
	v_div_scale_f64 v[22:23], vcc_lo, 1.0, v[6:7], 1.0
	s_delay_alu instid0(VALU_DEP_2) | instskip(SKIP_2) | instid1(VALU_DEP_1)
	v_rcp_f64_e32 v[11:12], v[8:9]
	s_waitcnt_depctr 0xfff
	v_fma_f64 v[15:16], -v[8:9], v[11:12], 1.0
	v_fma_f64 v[11:12], v[11:12], v[15:16], v[11:12]
	s_delay_alu instid0(VALU_DEP_1) | instskip(NEXT) | instid1(VALU_DEP_1)
	v_fma_f64 v[15:16], -v[8:9], v[11:12], 1.0
	v_fma_f64 v[11:12], v[11:12], v[15:16], v[11:12]
	s_delay_alu instid0(VALU_DEP_1) | instskip(NEXT) | instid1(VALU_DEP_1)
	v_mul_f64 v[15:16], v[22:23], v[11:12]
	v_fma_f64 v[8:9], -v[8:9], v[15:16], v[22:23]
	s_delay_alu instid0(VALU_DEP_1) | instskip(SKIP_1) | instid1(VALU_DEP_2)
	v_div_fmas_f64 v[8:9], v[8:9], v[11:12], v[15:16]
	v_add_f64 v[11:12], v[4:5], 0
	v_div_fixup_f64 v[6:7], v[8:9], v[6:7], 1.0
	v_fma_f64 v[8:9], v[4:5], 0, -1.0
	s_delay_alu instid0(VALU_DEP_2) | instskip(NEXT) | instid1(VALU_DEP_2)
	v_mul_f64 v[4:5], v[11:12], v[6:7]
	v_mul_f64 v[6:7], v[8:9], v[6:7]
.LBB169_1663:
	s_or_b32 exec_lo, exec_lo, s0
	v_cmp_gt_i16_e32 vcc_lo, 11, v26
	v_add_co_u32 v8, s0, s6, v10
	s_delay_alu instid0(VALU_DEP_1)
	v_add_co_ci_u32_e64 v9, null, s7, 0, s0
	s_mov_b32 s2, 0
	s_cbranch_vccnz .LBB169_1670
; %bb.1664:
	v_cmp_lt_i16_e32 vcc_lo, 25, v26
	s_mov_b32 s13, 0
	s_cbranch_vccz .LBB169_1676
; %bb.1665:
	v_cmp_lt_i16_e32 vcc_lo, 28, v26
	s_cbranch_vccz .LBB169_1678
; %bb.1666:
	v_cmp_lt_i16_e32 vcc_lo, 43, v26
	;; [unrolled: 3-line block ×3, first 2 shown]
	s_cbranch_vccz .LBB169_1684
; %bb.1668:
	v_cmp_eq_u16_e32 vcc_lo, 46, v26
	s_mov_b32 s0, 0
	s_cbranch_vccz .LBB169_1729
; %bb.1669:
	global_load_b32 v10, v[8:9], off
	s_mov_b32 s12, 0
	s_mov_b32 s2, -1
	s_waitcnt vmcnt(0)
	v_lshlrev_b32_e32 v11, 16, v10
	v_and_b32_e32 v12, 0xffff0000, v10
	s_delay_alu instid0(VALU_DEP_2) | instskip(NEXT) | instid1(VALU_DEP_2)
	v_cvt_f64_f32_e32 v[10:11], v11
	v_cvt_f64_f32_e32 v[12:13], v12
	s_branch .LBB169_1731
.LBB169_1670:
                                        ; implicit-def: $vgpr12_vgpr13
	s_cbranch_execz .LBB169_1800
; %bb.1671:
	v_cmp_gt_i16_e32 vcc_lo, 5, v26
	s_cbranch_vccnz .LBB169_1677
; %bb.1672:
	v_cmp_gt_i16_e32 vcc_lo, 8, v26
	s_cbranch_vccnz .LBB169_1679
	;; [unrolled: 3-line block ×3, first 2 shown]
; %bb.1674:
	v_cmp_lt_i16_e32 vcc_lo, 9, v26
	s_cbranch_vccz .LBB169_1685
; %bb.1675:
	global_load_b128 v[10:13], v[8:9], off
	s_mov_b32 s0, 0
	s_branch .LBB169_1686
.LBB169_1676:
	s_mov_b32 s0, -1
	s_mov_b32 s12, 0
                                        ; implicit-def: $vgpr12_vgpr13
	s_branch .LBB169_1764
.LBB169_1677:
	s_mov_b32 s0, -1
                                        ; implicit-def: $vgpr12_vgpr13
	s_branch .LBB169_1705
.LBB169_1678:
	s_mov_b32 s0, -1
	s_mov_b32 s12, 0
                                        ; implicit-def: $vgpr12_vgpr13
	s_branch .LBB169_1743
.LBB169_1679:
	s_mov_b32 s0, -1
                                        ; implicit-def: $vgpr12_vgpr13
	s_branch .LBB169_1692
.LBB169_1680:
	s_mov_b32 s0, -1
	s_mov_b32 s12, 0
                                        ; implicit-def: $vgpr12_vgpr13
	s_branch .LBB169_1737
.LBB169_1681:
	s_mov_b32 s0, -1
                                        ; implicit-def: $vgpr12_vgpr13
	s_branch .LBB169_1689
.LBB169_1682:
	s_cbranch_execnz .LBB169_1727
; %bb.1683:
	s_or_b32 s10, s10, exec_lo
                                        ; implicit-def: $vgpr8_vgpr9
	s_cbranch_execz .LBB169_1620
	s_branch .LBB169_1621
.LBB169_1684:
	s_mov_b32 s0, -1
	s_mov_b32 s12, 0
	s_branch .LBB169_1730
.LBB169_1685:
	s_mov_b32 s0, -1
                                        ; implicit-def: $vgpr12_vgpr13
.LBB169_1686:
	s_delay_alu instid0(SALU_CYCLE_1)
	s_and_not1_b32 vcc_lo, exec_lo, s0
	s_cbranch_vccnz .LBB169_1688
; %bb.1687:
	global_load_b64 v[11:12], v[8:9], off
	s_waitcnt vmcnt(0)
	v_cvt_f64_f32_e32 v[10:11], v11
	v_cvt_f64_f32_e32 v[12:13], v12
.LBB169_1688:
	s_mov_b32 s0, 0
.LBB169_1689:
	s_delay_alu instid0(SALU_CYCLE_1)
	s_and_not1_b32 vcc_lo, exec_lo, s0
	s_cbranch_vccnz .LBB169_1691
; %bb.1690:
	global_load_b32 v10, v[8:9], off
	s_waitcnt vmcnt(0)
	v_lshrrev_b32_e32 v11, 16, v10
	v_cvt_f32_f16_e32 v10, v10
	s_delay_alu instid0(VALU_DEP_2) | instskip(NEXT) | instid1(VALU_DEP_2)
	v_cvt_f32_f16_e32 v12, v11
	v_cvt_f64_f32_e32 v[10:11], v10
	s_delay_alu instid0(VALU_DEP_2)
	v_cvt_f64_f32_e32 v[12:13], v12
.LBB169_1691:
	s_mov_b32 s0, 0
.LBB169_1692:
	s_delay_alu instid0(SALU_CYCLE_1)
	s_and_not1_b32 vcc_lo, exec_lo, s0
	s_cbranch_vccnz .LBB169_1704
; %bb.1693:
	v_cmp_gt_i16_e32 vcc_lo, 6, v26
	s_cbranch_vccnz .LBB169_1696
; %bb.1694:
	v_cmp_lt_i16_e32 vcc_lo, 6, v26
	s_cbranch_vccz .LBB169_1697
; %bb.1695:
	global_load_b64 v[10:11], v[8:9], off
	s_mov_b32 s2, 0
	s_mov_b64 s[0:1], 0
	s_branch .LBB169_1698
.LBB169_1696:
	s_mov_b32 s2, -1
                                        ; implicit-def: $sgpr0_sgpr1
                                        ; implicit-def: $vgpr10_vgpr11
	s_branch .LBB169_1701
.LBB169_1697:
	s_mov_b32 s2, -1
                                        ; implicit-def: $sgpr0_sgpr1
                                        ; implicit-def: $vgpr10_vgpr11
.LBB169_1698:
	s_delay_alu instid0(SALU_CYCLE_1)
	s_and_not1_b32 vcc_lo, exec_lo, s2
	s_cbranch_vccnz .LBB169_1700
; %bb.1699:
	global_load_b32 v10, v[8:9], off
	s_mov_b64 s[0:1], 0
	s_waitcnt vmcnt(0)
	v_cvt_f64_f32_e32 v[10:11], v10
.LBB169_1700:
	s_mov_b32 s2, 0
.LBB169_1701:
	s_delay_alu instid0(SALU_CYCLE_1)
	s_and_not1_b32 vcc_lo, exec_lo, s2
	s_cbranch_vccnz .LBB169_1703
; %bb.1702:
	global_load_u16 v10, v[8:9], off
	s_mov_b64 s[0:1], 0
	s_waitcnt vmcnt(0)
	v_cvt_f32_f16_e32 v10, v10
	s_delay_alu instid0(VALU_DEP_1)
	v_cvt_f64_f32_e32 v[10:11], v10
.LBB169_1703:
	s_waitcnt vmcnt(0)
	v_dual_mov_b32 v13, s1 :: v_dual_mov_b32 v12, s0
.LBB169_1704:
	s_mov_b32 s0, 0
.LBB169_1705:
	s_delay_alu instid0(SALU_CYCLE_1)
	s_and_not1_b32 vcc_lo, exec_lo, s0
	s_cbranch_vccnz .LBB169_1726
; %bb.1706:
	v_cmp_gt_i16_e32 vcc_lo, 2, v26
	s_cbranch_vccnz .LBB169_1710
; %bb.1707:
	v_cmp_gt_i16_e32 vcc_lo, 3, v26
	s_cbranch_vccnz .LBB169_1711
; %bb.1708:
	v_cmp_lt_i16_e32 vcc_lo, 3, v26
	s_cbranch_vccz .LBB169_1712
; %bb.1709:
	global_load_b64 v[10:11], v[8:9], off
	s_mov_b32 s2, 0
	s_mov_b64 s[0:1], 0
	s_waitcnt vmcnt(0)
	v_cvt_f64_i32_e32 v[11:12], v11
	v_cvt_f64_u32_e32 v[15:16], v10
	s_delay_alu instid0(VALU_DEP_2) | instskip(NEXT) | instid1(VALU_DEP_1)
	v_ldexp_f64 v[11:12], v[11:12], 32
	v_add_f64 v[10:11], v[11:12], v[15:16]
	s_branch .LBB169_1713
.LBB169_1710:
	s_mov_b32 s2, -1
                                        ; implicit-def: $sgpr0_sgpr1
                                        ; implicit-def: $vgpr10_vgpr11
	s_branch .LBB169_1719
.LBB169_1711:
	s_mov_b32 s2, -1
                                        ; implicit-def: $sgpr0_sgpr1
                                        ; implicit-def: $vgpr10_vgpr11
	s_branch .LBB169_1716
.LBB169_1712:
	s_mov_b32 s2, -1
                                        ; implicit-def: $sgpr0_sgpr1
                                        ; implicit-def: $vgpr10_vgpr11
.LBB169_1713:
	s_delay_alu instid0(SALU_CYCLE_1)
	s_and_not1_b32 vcc_lo, exec_lo, s2
	s_cbranch_vccnz .LBB169_1715
; %bb.1714:
	global_load_b32 v10, v[8:9], off
	s_mov_b64 s[0:1], 0
	s_waitcnt vmcnt(0)
	v_cvt_f64_i32_e32 v[10:11], v10
.LBB169_1715:
	s_mov_b32 s2, 0
.LBB169_1716:
	s_delay_alu instid0(SALU_CYCLE_1)
	s_and_not1_b32 vcc_lo, exec_lo, s2
	s_cbranch_vccnz .LBB169_1718
; %bb.1717:
	global_load_i16 v10, v[8:9], off
	s_mov_b64 s[0:1], 0
	s_waitcnt vmcnt(0)
	v_cvt_f64_i32_e32 v[10:11], v10
.LBB169_1718:
	s_mov_b32 s2, 0
.LBB169_1719:
	s_delay_alu instid0(SALU_CYCLE_1)
	s_and_not1_b32 vcc_lo, exec_lo, s2
	s_cbranch_vccnz .LBB169_1725
; %bb.1720:
	v_cmp_lt_i16_e32 vcc_lo, 0, v26
	s_mov_b32 s2, 0
	s_cbranch_vccz .LBB169_1722
; %bb.1721:
	global_load_i8 v10, v[8:9], off
	s_mov_b64 s[0:1], 0
	s_waitcnt vmcnt(0)
	v_cvt_f64_i32_e32 v[10:11], v10
	s_branch .LBB169_1723
.LBB169_1722:
	s_mov_b32 s2, -1
                                        ; implicit-def: $sgpr0_sgpr1
                                        ; implicit-def: $vgpr10_vgpr11
.LBB169_1723:
	s_delay_alu instid0(SALU_CYCLE_1)
	s_and_not1_b32 vcc_lo, exec_lo, s2
	s_cbranch_vccnz .LBB169_1725
; %bb.1724:
	global_load_u8 v8, v[8:9], off
	s_mov_b64 s[0:1], 0
	s_waitcnt vmcnt(0)
	v_cvt_f64_u32_e32 v[10:11], v8
.LBB169_1725:
	s_waitcnt vmcnt(0)
	v_dual_mov_b32 v13, s1 :: v_dual_mov_b32 v12, s0
.LBB169_1726:
	s_branch .LBB169_1801
.LBB169_1727:
	s_trap 2
	s_sendmsg_rtn_b32 s0, sendmsg(MSG_RTN_GET_DOORBELL)
	s_mov_b32 ttmp2, m0
	s_waitcnt lgkmcnt(0)
	s_and_b32 s0, s0, 0x3ff
	s_delay_alu instid0(SALU_CYCLE_1) | instskip(NEXT) | instid1(SALU_CYCLE_1)
	s_bitset1_b32 s0, 10
	s_mov_b32 m0, s0
	s_sendmsg sendmsg(MSG_INTERRUPT)
	s_mov_b32 m0, ttmp2
.LBB169_1728:                           ; =>This Inner Loop Header: Depth=1
	s_sethalt 5
	s_branch .LBB169_1728
.LBB169_1729:
	s_mov_b32 s12, -1
.LBB169_1730:
                                        ; implicit-def: $vgpr12_vgpr13
.LBB169_1731:
	s_and_b32 vcc_lo, exec_lo, s0
	s_cbranch_vccz .LBB169_1736
; %bb.1732:
	v_cmp_eq_u16_e32 vcc_lo, 44, v26
	s_cbranch_vccz .LBB169_1734
; %bb.1733:
	global_load_u8 v12, v[8:9], off
	s_mov_b32 s12, 0
	s_mov_b32 s2, -1
	s_mov_b64 s[0:1], 0
	s_waitcnt vmcnt(0)
	v_cmp_ne_u32_e32 vcc_lo, 0xff, v12
	v_lshlrev_b32_e32 v10, 23, v12
	s_delay_alu instid0(VALU_DEP_1) | instskip(NEXT) | instid1(VALU_DEP_1)
	v_cvt_f64_f32_e32 v[10:11], v10
	v_cndmask_b32_e32 v11, 0x7ff80000, v11, vcc_lo
	s_delay_alu instid0(VALU_DEP_2) | instskip(SKIP_1) | instid1(VALU_DEP_3)
	v_cndmask_b32_e32 v10, 0x20000000, v10, vcc_lo
	v_cmp_ne_u32_e32 vcc_lo, 0, v12
	v_cndmask_b32_e32 v11, 0x38000000, v11, vcc_lo
	s_delay_alu instid0(VALU_DEP_3)
	v_cndmask_b32_e32 v10, 0, v10, vcc_lo
	s_branch .LBB169_1735
.LBB169_1734:
	s_mov_b32 s12, -1
                                        ; implicit-def: $sgpr0_sgpr1
                                        ; implicit-def: $vgpr10_vgpr11
.LBB169_1735:
	v_dual_mov_b32 v13, s1 :: v_dual_mov_b32 v12, s0
.LBB169_1736:
	s_mov_b32 s0, 0
.LBB169_1737:
	s_delay_alu instid0(SALU_CYCLE_1)
	s_and_b32 vcc_lo, exec_lo, s0
	s_cbranch_vccz .LBB169_1742
; %bb.1738:
	v_cmp_eq_u16_e32 vcc_lo, 29, v26
	s_cbranch_vccz .LBB169_1740
; %bb.1739:
	global_load_b64 v[10:11], v[8:9], off
	s_mov_b32 s12, 0
	s_mov_b32 s2, -1
	s_mov_b64 s[0:1], 0
	s_waitcnt vmcnt(0)
	v_cvt_f64_u32_e32 v[11:12], v11
	v_cvt_f64_u32_e32 v[15:16], v10
	s_delay_alu instid0(VALU_DEP_2) | instskip(NEXT) | instid1(VALU_DEP_1)
	v_ldexp_f64 v[11:12], v[11:12], 32
	v_add_f64 v[10:11], v[11:12], v[15:16]
	s_branch .LBB169_1741
.LBB169_1740:
	s_mov_b32 s12, -1
                                        ; implicit-def: $sgpr0_sgpr1
                                        ; implicit-def: $vgpr10_vgpr11
.LBB169_1741:
	v_dual_mov_b32 v13, s1 :: v_dual_mov_b32 v12, s0
.LBB169_1742:
	s_mov_b32 s0, 0
.LBB169_1743:
	s_delay_alu instid0(SALU_CYCLE_1)
	s_and_b32 vcc_lo, exec_lo, s0
	s_cbranch_vccz .LBB169_1763
; %bb.1744:
	v_cmp_gt_i16_e32 vcc_lo, 27, v26
	s_cbranch_vccnz .LBB169_1747
; %bb.1745:
	v_cmp_lt_i16_e32 vcc_lo, 27, v26
	s_cbranch_vccz .LBB169_1748
; %bb.1746:
	global_load_b32 v10, v[8:9], off
	s_mov_b32 s2, 0
	s_mov_b64 s[0:1], 0
	s_waitcnt vmcnt(0)
	v_cvt_f64_u32_e32 v[10:11], v10
	s_branch .LBB169_1749
.LBB169_1747:
	s_mov_b32 s2, -1
                                        ; implicit-def: $sgpr0_sgpr1
                                        ; implicit-def: $vgpr10_vgpr11
	s_branch .LBB169_1752
.LBB169_1748:
	s_mov_b32 s2, -1
                                        ; implicit-def: $sgpr0_sgpr1
                                        ; implicit-def: $vgpr10_vgpr11
.LBB169_1749:
	s_delay_alu instid0(SALU_CYCLE_1)
	s_and_not1_b32 vcc_lo, exec_lo, s2
	s_cbranch_vccnz .LBB169_1751
; %bb.1750:
	global_load_u16 v10, v[8:9], off
	s_mov_b64 s[0:1], 0
	s_waitcnt vmcnt(0)
	v_cvt_f64_u32_e32 v[10:11], v10
.LBB169_1751:
	s_mov_b32 s2, 0
.LBB169_1752:
	v_dual_mov_b32 v13, s1 :: v_dual_mov_b32 v12, s0
	s_and_not1_b32 vcc_lo, exec_lo, s2
	s_cbranch_vccnz .LBB169_1762
; %bb.1753:
	global_load_u8 v15, v[8:9], off
	s_mov_b32 s14, 0
	s_mov_b32 s15, exec_lo
                                        ; implicit-def: $sgpr0_sgpr1
                                        ; implicit-def: $sgpr2_sgpr3
	s_waitcnt vmcnt(0)
	v_cmpx_lt_i16_e32 0x7f, v15
	s_xor_b32 s15, exec_lo, s15
	s_cbranch_execz .LBB169_1757
; %bb.1754:
	s_mov_b32 s14, -1
	s_mov_b32 s16, exec_lo
                                        ; implicit-def: $sgpr0_sgpr1
                                        ; implicit-def: $sgpr2_sgpr3
	v_cmpx_eq_u16_e32 0x80, v15
; %bb.1755:
	s_mov_b64 s[0:1], 0
	s_mov_b32 s3, 0x7ff80000
	s_brev_b32 s2, 4
	s_xor_b32 s14, exec_lo, -1
; %bb.1756:
	s_or_b32 exec_lo, exec_lo, s16
	s_delay_alu instid0(SALU_CYCLE_1)
	s_and_b32 s14, s14, exec_lo
.LBB169_1757:
	s_or_saveexec_b32 s15, s15
	v_dual_mov_b32 v13, s1 :: v_dual_mov_b32 v12, s0
	v_dual_mov_b32 v11, s3 :: v_dual_mov_b32 v10, s2
	s_xor_b32 exec_lo, exec_lo, s15
; %bb.1758:
	v_mov_b32_e32 v12, 0
	v_mov_b32_e32 v13, 0
	v_cmp_ne_u16_e32 vcc_lo, 0, v15
	s_delay_alu instid0(VALU_DEP_3) | instskip(SKIP_1) | instid1(VALU_DEP_3)
	v_mov_b32_e32 v10, v12
	s_and_not1_b32 s0, s14, exec_lo
	v_mov_b32_e32 v11, v13
	s_and_b32 s1, vcc_lo, exec_lo
	s_delay_alu instid0(SALU_CYCLE_1)
	s_or_b32 s14, s0, s1
; %bb.1759:
	s_or_b32 exec_lo, exec_lo, s15
	s_and_saveexec_b32 s0, s14
	s_cbranch_execz .LBB169_1761
; %bb.1760:
	v_and_b32_e32 v10, 0xffff, v15
	v_lshlrev_b32_e32 v15, 24, v15
	s_delay_alu instid0(VALU_DEP_2) | instskip(NEXT) | instid1(VALU_DEP_1)
	v_and_b32_e32 v11, 7, v10
	v_clz_i32_u32_e32 v12, v11
	s_delay_alu instid0(VALU_DEP_1) | instskip(NEXT) | instid1(VALU_DEP_1)
	v_min_u32_e32 v12, 32, v12
	v_subrev_nc_u32_e32 v13, 28, v12
	v_sub_nc_u32_e32 v12, 29, v12
	s_delay_alu instid0(VALU_DEP_2) | instskip(SKIP_1) | instid1(VALU_DEP_2)
	v_lshlrev_b32_e32 v13, v13, v10
	v_bfe_u32 v10, v10, 3, 4
	v_and_b32_e32 v13, 7, v13
	s_delay_alu instid0(VALU_DEP_2) | instskip(NEXT) | instid1(VALU_DEP_2)
	v_cmp_eq_u32_e32 vcc_lo, 0, v10
	v_dual_cndmask_b32 v10, v10, v12 :: v_dual_cndmask_b32 v11, v11, v13
	v_and_b32_e32 v12, 0x80000000, v15
	s_delay_alu instid0(VALU_DEP_2) | instskip(NEXT) | instid1(VALU_DEP_3)
	v_lshl_add_u32 v10, v10, 23, 0x3b800000
	v_lshlrev_b32_e32 v11, 20, v11
	s_delay_alu instid0(VALU_DEP_1) | instskip(SKIP_2) | instid1(VALU_DEP_3)
	v_or3_b32 v10, v12, v10, v11
	v_mov_b32_e32 v12, 0
	v_mov_b32_e32 v13, 0
	v_cvt_f64_f32_e32 v[10:11], v10
.LBB169_1761:
	s_or_b32 exec_lo, exec_lo, s0
.LBB169_1762:
	s_mov_b32 s2, -1
.LBB169_1763:
	s_mov_b32 s0, 0
.LBB169_1764:
	s_delay_alu instid0(SALU_CYCLE_1)
	s_and_b32 vcc_lo, exec_lo, s0
	s_cbranch_vccz .LBB169_1796
; %bb.1765:
	v_cmp_lt_i16_e32 vcc_lo, 22, v26
	s_cbranch_vccz .LBB169_1777
; %bb.1766:
	v_cmp_gt_i16_e32 vcc_lo, 24, v26
	s_cbranch_vccnz .LBB169_1778
; %bb.1767:
	v_cmp_lt_i16_e32 vcc_lo, 24, v26
	s_cbranch_vccz .LBB169_1779
; %bb.1768:
	global_load_u8 v15, v[8:9], off
	s_mov_b32 s14, exec_lo
                                        ; implicit-def: $sgpr0_sgpr1
                                        ; implicit-def: $sgpr2_sgpr3
	s_waitcnt vmcnt(0)
	v_cmpx_lt_i16_e32 0x7f, v15
	s_xor_b32 s14, exec_lo, s14
	s_cbranch_execz .LBB169_1772
; %bb.1769:
	s_mov_b32 s13, -1
	s_mov_b32 s15, exec_lo
                                        ; implicit-def: $sgpr0_sgpr1
                                        ; implicit-def: $sgpr2_sgpr3
	v_cmpx_eq_u16_e32 0x80, v15
; %bb.1770:
	s_mov_b64 s[0:1], 0
	s_mov_b32 s3, 0x7ff80000
	s_brev_b32 s2, 4
	s_xor_b32 s13, exec_lo, -1
; %bb.1771:
	s_or_b32 exec_lo, exec_lo, s15
	s_delay_alu instid0(SALU_CYCLE_1)
	s_and_b32 s13, s13, exec_lo
.LBB169_1772:
	s_or_saveexec_b32 s14, s14
	v_dual_mov_b32 v13, s1 :: v_dual_mov_b32 v12, s0
	v_dual_mov_b32 v11, s3 :: v_dual_mov_b32 v10, s2
	s_xor_b32 exec_lo, exec_lo, s14
; %bb.1773:
	v_mov_b32_e32 v12, 0
	v_mov_b32_e32 v13, 0
	v_cmp_ne_u16_e32 vcc_lo, 0, v15
	s_delay_alu instid0(VALU_DEP_3) | instskip(SKIP_1) | instid1(VALU_DEP_3)
	v_mov_b32_e32 v10, v12
	s_and_not1_b32 s0, s13, exec_lo
	v_mov_b32_e32 v11, v13
	s_and_b32 s1, vcc_lo, exec_lo
	s_delay_alu instid0(SALU_CYCLE_1)
	s_or_b32 s13, s0, s1
; %bb.1774:
	s_or_b32 exec_lo, exec_lo, s14
	s_and_saveexec_b32 s0, s13
	s_cbranch_execz .LBB169_1776
; %bb.1775:
	v_and_b32_e32 v10, 0xffff, v15
	v_lshlrev_b32_e32 v15, 24, v15
	s_delay_alu instid0(VALU_DEP_2) | instskip(NEXT) | instid1(VALU_DEP_1)
	v_and_b32_e32 v11, 3, v10
	v_clz_i32_u32_e32 v12, v11
	s_delay_alu instid0(VALU_DEP_1) | instskip(NEXT) | instid1(VALU_DEP_1)
	v_min_u32_e32 v12, 32, v12
	v_subrev_nc_u32_e32 v13, 29, v12
	v_sub_nc_u32_e32 v12, 30, v12
	s_delay_alu instid0(VALU_DEP_2) | instskip(SKIP_1) | instid1(VALU_DEP_2)
	v_lshlrev_b32_e32 v13, v13, v10
	v_bfe_u32 v10, v10, 2, 5
	v_and_b32_e32 v13, 3, v13
	s_delay_alu instid0(VALU_DEP_2) | instskip(NEXT) | instid1(VALU_DEP_2)
	v_cmp_eq_u32_e32 vcc_lo, 0, v10
	v_dual_cndmask_b32 v10, v10, v12 :: v_dual_cndmask_b32 v11, v11, v13
	v_and_b32_e32 v12, 0x80000000, v15
	s_delay_alu instid0(VALU_DEP_2) | instskip(NEXT) | instid1(VALU_DEP_3)
	v_lshl_add_u32 v10, v10, 23, 0x37800000
	v_lshlrev_b32_e32 v11, 21, v11
	s_delay_alu instid0(VALU_DEP_1) | instskip(SKIP_2) | instid1(VALU_DEP_3)
	v_or3_b32 v10, v12, v10, v11
	v_mov_b32_e32 v12, 0
	v_mov_b32_e32 v13, 0
	v_cvt_f64_f32_e32 v[10:11], v10
.LBB169_1776:
	s_or_b32 exec_lo, exec_lo, s0
	s_mov_b32 s0, 0
	s_branch .LBB169_1780
.LBB169_1777:
	s_mov_b32 s0, -1
                                        ; implicit-def: $vgpr12_vgpr13
	s_branch .LBB169_1786
.LBB169_1778:
	s_mov_b32 s0, -1
                                        ; implicit-def: $vgpr12_vgpr13
	s_branch .LBB169_1783
.LBB169_1779:
	s_mov_b32 s0, -1
                                        ; implicit-def: $vgpr12_vgpr13
.LBB169_1780:
	s_delay_alu instid0(SALU_CYCLE_1)
	s_and_b32 vcc_lo, exec_lo, s0
	s_cbranch_vccz .LBB169_1782
; %bb.1781:
	global_load_u8 v10, v[8:9], off
	s_waitcnt vmcnt(0)
	v_lshlrev_b32_e32 v10, 24, v10
	s_delay_alu instid0(VALU_DEP_1) | instskip(NEXT) | instid1(VALU_DEP_1)
	v_and_b32_e32 v11, 0x7f000000, v10
	v_clz_i32_u32_e32 v12, v11
	v_add_nc_u32_e32 v15, 0x1000000, v11
	v_cmp_ne_u32_e32 vcc_lo, 0, v11
	s_delay_alu instid0(VALU_DEP_3) | instskip(NEXT) | instid1(VALU_DEP_1)
	v_min_u32_e32 v12, 32, v12
	v_sub_nc_u32_e64 v12, v12, 4 clamp
	s_delay_alu instid0(VALU_DEP_1) | instskip(SKIP_1) | instid1(VALU_DEP_2)
	v_lshlrev_b32_e32 v13, v12, v11
	v_lshlrev_b32_e32 v12, 23, v12
	v_lshrrev_b32_e32 v13, 4, v13
	s_delay_alu instid0(VALU_DEP_1) | instskip(SKIP_1) | instid1(VALU_DEP_2)
	v_sub_nc_u32_e32 v12, v13, v12
	v_ashrrev_i32_e32 v13, 8, v15
	v_add_nc_u32_e32 v12, 0x3c000000, v12
	s_delay_alu instid0(VALU_DEP_1) | instskip(NEXT) | instid1(VALU_DEP_1)
	v_and_or_b32 v12, 0x7f800000, v13, v12
	v_dual_cndmask_b32 v11, 0, v12 :: v_dual_mov_b32 v12, 0
	v_mov_b32_e32 v13, 0
	s_delay_alu instid0(VALU_DEP_2) | instskip(NEXT) | instid1(VALU_DEP_1)
	v_and_or_b32 v10, 0x80000000, v10, v11
	v_cvt_f64_f32_e32 v[10:11], v10
.LBB169_1782:
	s_mov_b32 s0, 0
.LBB169_1783:
	s_delay_alu instid0(SALU_CYCLE_1)
	s_and_not1_b32 vcc_lo, exec_lo, s0
	s_cbranch_vccnz .LBB169_1785
; %bb.1784:
	global_load_u8 v10, v[8:9], off
	s_waitcnt vmcnt(0)
	v_lshlrev_b32_e32 v11, 25, v10
	v_lshlrev_b16 v10, 8, v10
	s_delay_alu instid0(VALU_DEP_2) | instskip(NEXT) | instid1(VALU_DEP_2)
	v_lshrrev_b32_e32 v12, 4, v11
	v_and_or_b32 v13, 0x7f00, v10, 0.5
	v_bfe_i32 v10, v10, 0, 16
	s_delay_alu instid0(VALU_DEP_3) | instskip(NEXT) | instid1(VALU_DEP_1)
	v_or_b32_e32 v12, 0x70000000, v12
	v_dual_add_f32 v13, -0.5, v13 :: v_dual_mul_f32 v12, 0x7800000, v12
	v_cmp_gt_u32_e32 vcc_lo, 0x8000000, v11
	s_delay_alu instid0(VALU_DEP_2) | instskip(SKIP_1) | instid1(VALU_DEP_2)
	v_dual_cndmask_b32 v11, v12, v13 :: v_dual_mov_b32 v12, 0
	v_mov_b32_e32 v13, 0
	v_and_or_b32 v10, 0x80000000, v10, v11
	s_delay_alu instid0(VALU_DEP_1)
	v_cvt_f64_f32_e32 v[10:11], v10
.LBB169_1785:
	s_mov_b32 s0, 0
	s_mov_b32 s2, -1
.LBB169_1786:
	s_and_not1_b32 vcc_lo, exec_lo, s0
	s_mov_b32 s13, 0
	s_cbranch_vccnz .LBB169_1796
; %bb.1787:
	v_cmp_lt_i16_e32 vcc_lo, 14, v26
	s_cbranch_vccz .LBB169_1790
; %bb.1788:
	v_cmp_eq_u16_e32 vcc_lo, 15, v26
	s_cbranch_vccz .LBB169_1791
; %bb.1789:
	global_load_u16 v10, v[8:9], off
	s_mov_b32 s12, 0
	s_mov_b32 s2, -1
	s_mov_b64 s[0:1], 0
	s_waitcnt vmcnt(0)
	v_lshlrev_b32_e32 v10, 16, v10
	s_delay_alu instid0(VALU_DEP_1)
	v_cvt_f64_f32_e32 v[10:11], v10
	s_branch .LBB169_1792
.LBB169_1790:
	s_mov_b32 s3, -1
                                        ; implicit-def: $sgpr0_sgpr1
                                        ; implicit-def: $vgpr10_vgpr11
	s_branch .LBB169_1793
.LBB169_1791:
	s_mov_b32 s12, -1
                                        ; implicit-def: $sgpr0_sgpr1
                                        ; implicit-def: $vgpr10_vgpr11
.LBB169_1792:
	s_mov_b32 s3, 0
.LBB169_1793:
	s_delay_alu instid0(SALU_CYCLE_1)
	s_and_b32 vcc_lo, exec_lo, s3
	s_cbranch_vccz .LBB169_1795
; %bb.1794:
	v_cmp_ne_u16_e64 s12, 11, v26
	s_mov_b32 s13, -1
                                        ; implicit-def: $sgpr0_sgpr1
                                        ; implicit-def: $vgpr10_vgpr11
.LBB169_1795:
	v_dual_mov_b32 v13, s1 :: v_dual_mov_b32 v12, s0
.LBB169_1796:
	s_delay_alu instid0(VALU_DEP_2)
	s_and_b32 vcc_lo, exec_lo, s12
	s_cbranch_vccnz .LBB169_1852
; %bb.1797:
	s_and_not1_b32 vcc_lo, exec_lo, s13
	s_cbranch_vccnz .LBB169_1799
.LBB169_1798:
	global_load_u8 v10, v[8:9], off
	v_mov_b32_e32 v12, 0
	v_mov_b32_e32 v13, 0
	s_mov_b32 s2, -1
	s_waitcnt vmcnt(0)
	v_cmp_ne_u16_e32 vcc_lo, 0, v10
	v_mov_b32_e32 v10, 0
	v_cndmask_b32_e64 v11, 0, 0x3ff00000, vcc_lo
.LBB169_1799:
.LBB169_1800:
	s_and_not1_b32 vcc_lo, exec_lo, s2
	s_cbranch_vccnz .LBB169_1996
.LBB169_1801:
	s_waitcnt vmcnt(0)
	s_delay_alu instid0(VALU_DEP_1) | instskip(NEXT) | instid1(VALU_DEP_2)
	v_cmp_neq_f64_e32 vcc_lo, 0, v[10:11]
	v_cmp_neq_f64_e64 s0, 0, v[12:13]
	v_mov_b32_e32 v15, 0
	v_mov_b32_e32 v16, 0
	s_delay_alu instid0(VALU_DEP_3) | instskip(NEXT) | instid1(SALU_CYCLE_1)
	s_or_b32 s0, vcc_lo, s0
	s_and_saveexec_b32 s2, s0
	s_cbranch_execz .LBB169_1833
; %bb.1802:
	s_mov_b32 s0, 0
	s_mov_b32 s1, 0x7ff00000
	v_mov_b32_e32 v15, s0
	v_mov_b32_e32 v16, s1
	s_mov_b32 s3, exec_lo
	v_cmpx_neq_f64_e64 0x7ff00000, |v[12:13]|
	s_cbranch_execz .LBB169_1832
; %bb.1803:
	s_mov_b32 s0, exec_lo
	v_cmpx_o_f64_e32 v[10:11], v[10:11]
	s_xor_b32 s12, exec_lo, s0
	s_cbranch_execz .LBB169_1829
; %bb.1804:
	s_mov_b32 s1, exec_lo
	v_cmpx_neq_f64_e64 0x7ff00000, |v[10:11]|
	s_xor_b32 s13, exec_lo, s1
	s_cbranch_execz .LBB169_1822
; %bb.1805:
	v_max_f64 v[8:9], |v[12:13]|, |v[12:13]|
	v_max_f64 v[15:16], |v[10:11]|, |v[10:11]|
	s_mov_b32 s0, 0x99fcef32
	s_mov_b32 s1, 0x7fda8279
                                        ; implicit-def: $sgpr14
	s_delay_alu instid0(VALU_DEP_1) | instskip(NEXT) | instid1(VALU_DEP_1)
	v_max_f64 v[8:9], v[15:16], v[8:9]
	v_cmp_nle_f64_e64 s0, s[0:1], v[8:9]
	s_delay_alu instid0(VALU_DEP_1) | instskip(NEXT) | instid1(SALU_CYCLE_1)
	s_and_saveexec_b32 s1, s0
	s_xor_b32 s1, exec_lo, s1
	s_cbranch_execz .LBB169_1809
; %bb.1806:
	v_cmp_ge_f64_e64 s14, 0x200000, |v[10:11]|
	v_cmp_ge_f64_e64 s15, 0x200000, |v[12:13]|
	s_delay_alu instid0(VALU_DEP_1)
	s_and_b32 s16, s14, s15
	s_mov_b32 s14, 0
	s_and_saveexec_b32 s15, s16
; %bb.1807:
	v_mul_f64 v[10:11], v[10:11], 4.0
	v_mul_f64 v[12:13], v[12:13], 4.0
	s_mov_b32 s14, exec_lo
; %bb.1808:
	s_or_b32 exec_lo, exec_lo, s15
	s_delay_alu instid0(SALU_CYCLE_1)
	s_and_b32 s14, s14, exec_lo
.LBB169_1809:
	s_and_not1_saveexec_b32 s1, s1
; %bb.1810:
	s_delay_alu instid0(VALU_DEP_2) | instskip(NEXT) | instid1(VALU_DEP_2)
	v_ldexp_f64 v[10:11], v[10:11], -2
	v_ldexp_f64 v[12:13], v[12:13], -2
	s_and_not1_b32 s14, s14, exec_lo
; %bb.1811:
	s_or_b32 exec_lo, exec_lo, s1
	s_delay_alu instid0(VALU_DEP_1) | instskip(NEXT) | instid1(VALU_DEP_3)
	v_max_f64 v[8:9], |v[12:13]|, |v[12:13]|
	v_max_f64 v[15:16], |v[10:11]|, |v[10:11]|
	v_cmp_class_f64_e64 s15, v[10:11], 0x204
	v_cmp_class_f64_e64 s16, v[12:13], 0x204
	v_cmp_le_f64_e64 s1, 0, v[10:11]
	s_delay_alu instid0(VALU_DEP_4) | instskip(NEXT) | instid1(VALU_DEP_3)
	v_max_f64 v[8:9], v[15:16], v[8:9]
	s_or_b32 s15, s16, s15
	s_delay_alu instid0(VALU_DEP_1) | instskip(NEXT) | instid1(VALU_DEP_1)
	v_frexp_exp_i32_f64_e32 v17, v[8:9]
	v_sub_nc_u32_e32 v15, 0, v17
	s_delay_alu instid0(VALU_DEP_1) | instskip(SKIP_1) | instid1(VALU_DEP_2)
	v_ldexp_f64 v[8:9], |v[12:13]|, v15
	v_ldexp_f64 v[15:16], |v[10:11]|, v15
	v_mul_f64 v[8:9], v[8:9], v[8:9]
	s_delay_alu instid0(VALU_DEP_1) | instskip(NEXT) | instid1(VALU_DEP_1)
	v_fma_f64 v[8:9], v[15:16], v[15:16], v[8:9]
	v_rsq_f64_e32 v[15:16], v[8:9]
	v_cmp_eq_f64_e32 vcc_lo, 0, v[8:9]
	s_waitcnt_depctr 0xfff
	v_mul_f64 v[22:23], v[8:9], v[15:16]
	v_mul_f64 v[15:16], v[15:16], 0.5
	s_delay_alu instid0(VALU_DEP_1) | instskip(NEXT) | instid1(VALU_DEP_1)
	v_fma_f64 v[24:25], -v[15:16], v[22:23], 0.5
	v_fma_f64 v[22:23], v[22:23], v[24:25], v[22:23]
	v_fma_f64 v[15:16], v[15:16], v[24:25], v[15:16]
	s_delay_alu instid0(VALU_DEP_2) | instskip(NEXT) | instid1(VALU_DEP_1)
	v_fma_f64 v[24:25], -v[22:23], v[22:23], v[8:9]
	v_fma_f64 v[15:16], v[24:25], v[15:16], v[22:23]
	s_delay_alu instid0(VALU_DEP_1) | instskip(SKIP_1) | instid1(VALU_DEP_2)
	v_dual_cndmask_b32 v9, v16, v9 :: v_dual_cndmask_b32 v8, v15, v8
	v_cmp_o_f64_e32 vcc_lo, v[12:13], v[12:13]
	v_ldexp_f64 v[8:9], v[8:9], v17
	s_delay_alu instid0(VALU_DEP_1) | instskip(NEXT) | instid1(VALU_DEP_2)
	v_cndmask_b32_e32 v8, 0, v8, vcc_lo
	v_cndmask_b32_e32 v9, 0x7ff80000, v9, vcc_lo
	s_delay_alu instid0(VALU_DEP_2) | instskip(NEXT) | instid1(VALU_DEP_2)
	v_cndmask_b32_e64 v8, v8, 0, s15
	v_cndmask_b32_e64 v9, v9, 0x7ff00000, s15
	s_and_saveexec_b32 s15, s1
	s_delay_alu instid0(SALU_CYCLE_1)
	s_xor_b32 s1, exec_lo, s15
	s_cbranch_execz .LBB169_1817
; %bb.1812:
	s_delay_alu instid0(VALU_DEP_1) | instskip(NEXT) | instid1(VALU_DEP_1)
	v_add_f64 v[8:9], v[10:11], v[8:9]
	v_mul_f64 v[8:9], v[8:9], 0.5
	s_delay_alu instid0(VALU_DEP_1) | instskip(SKIP_1) | instid1(VALU_DEP_1)
	v_cmp_gt_f64_e32 vcc_lo, 0x10000000, v[8:9]
	v_cndmask_b32_e64 v10, 0, 1, vcc_lo
	v_lshlrev_b32_e32 v10, 8, v10
	s_delay_alu instid0(VALU_DEP_1) | instskip(NEXT) | instid1(VALU_DEP_1)
	v_ldexp_f64 v[8:9], v[8:9], v10
	v_rsq_f64_e32 v[10:11], v[8:9]
	s_waitcnt_depctr 0xfff
	v_mul_f64 v[15:16], v[8:9], v[10:11]
	v_mul_f64 v[10:11], v[10:11], 0.5
	s_delay_alu instid0(VALU_DEP_1) | instskip(NEXT) | instid1(VALU_DEP_1)
	v_fma_f64 v[22:23], -v[10:11], v[15:16], 0.5
	v_fma_f64 v[15:16], v[15:16], v[22:23], v[15:16]
	v_fma_f64 v[10:11], v[10:11], v[22:23], v[10:11]
	s_delay_alu instid0(VALU_DEP_2) | instskip(NEXT) | instid1(VALU_DEP_1)
	v_fma_f64 v[22:23], -v[15:16], v[15:16], v[8:9]
	v_fma_f64 v[15:16], v[22:23], v[10:11], v[15:16]
	s_delay_alu instid0(VALU_DEP_1) | instskip(NEXT) | instid1(VALU_DEP_1)
	v_fma_f64 v[22:23], -v[15:16], v[15:16], v[8:9]
	v_fma_f64 v[10:11], v[22:23], v[10:11], v[15:16]
	v_cndmask_b32_e64 v15, 0, 0xffffff80, vcc_lo
	v_cmp_class_f64_e64 vcc_lo, v[8:9], 0x260
	s_delay_alu instid0(VALU_DEP_2) | instskip(NEXT) | instid1(VALU_DEP_1)
	v_ldexp_f64 v[10:11], v[10:11], v15
	v_dual_cndmask_b32 v11, v11, v9 :: v_dual_cndmask_b32 v10, v10, v8
	s_delay_alu instid0(VALU_DEP_1) | instskip(NEXT) | instid1(VALU_DEP_1)
	v_add_f64 v[8:9], v[10:11], v[10:11]
	v_div_scale_f64 v[15:16], null, v[8:9], v[8:9], v[12:13]
	s_delay_alu instid0(VALU_DEP_1) | instskip(SKIP_2) | instid1(VALU_DEP_1)
	v_rcp_f64_e32 v[22:23], v[15:16]
	s_waitcnt_depctr 0xfff
	v_fma_f64 v[24:25], -v[15:16], v[22:23], 1.0
	v_fma_f64 v[22:23], v[22:23], v[24:25], v[22:23]
	s_delay_alu instid0(VALU_DEP_1) | instskip(NEXT) | instid1(VALU_DEP_1)
	v_fma_f64 v[24:25], -v[15:16], v[22:23], 1.0
	v_fma_f64 v[22:23], v[22:23], v[24:25], v[22:23]
	v_div_scale_f64 v[24:25], vcc_lo, v[12:13], v[8:9], v[12:13]
	s_delay_alu instid0(VALU_DEP_1) | instskip(NEXT) | instid1(VALU_DEP_1)
	v_mul_f64 v[27:28], v[24:25], v[22:23]
	v_fma_f64 v[15:16], -v[15:16], v[27:28], v[24:25]
	s_delay_alu instid0(VALU_DEP_1) | instskip(NEXT) | instid1(VALU_DEP_1)
	v_div_fmas_f64 v[15:16], v[15:16], v[22:23], v[27:28]
	v_div_fixup_f64 v[12:13], v[15:16], v[8:9], v[12:13]
                                        ; implicit-def: $vgpr8_vgpr9
	s_and_not1_saveexec_b32 s1, s1
	s_cbranch_execnz .LBB169_1818
.LBB169_1813:
	s_or_b32 exec_lo, exec_lo, s1
	s_and_saveexec_b32 s1, s0
	s_delay_alu instid0(SALU_CYCLE_1)
	s_xor_b32 s0, exec_lo, s1
	s_cbranch_execz .LBB169_1819
.LBB169_1814:
	s_and_saveexec_b32 s1, s14
; %bb.1815:
	s_delay_alu instid0(VALU_DEP_2) | instskip(NEXT) | instid1(VALU_DEP_2)
	v_mul_f64 v[10:11], v[10:11], 0.5
	v_mul_f64 v[12:13], v[12:13], 0.5
; %bb.1816:
	s_or_b32 exec_lo, exec_lo, s1
	s_and_not1_saveexec_b32 s0, s0
	s_cbranch_execnz .LBB169_1820
	s_branch .LBB169_1821
.LBB169_1817:
	s_and_not1_saveexec_b32 s1, s1
	s_cbranch_execz .LBB169_1813
.LBB169_1818:
	v_add_f64 v[8:9], v[8:9], -v[10:11]
	s_delay_alu instid0(VALU_DEP_1) | instskip(NEXT) | instid1(VALU_DEP_1)
	v_mul_f64 v[8:9], v[8:9], 0.5
	v_cmp_gt_f64_e32 vcc_lo, 0x10000000, v[8:9]
	v_cndmask_b32_e64 v10, 0, 1, vcc_lo
	s_delay_alu instid0(VALU_DEP_1) | instskip(NEXT) | instid1(VALU_DEP_1)
	v_lshlrev_b32_e32 v10, 8, v10
	v_ldexp_f64 v[8:9], v[8:9], v10
	s_delay_alu instid0(VALU_DEP_1) | instskip(SKIP_3) | instid1(VALU_DEP_1)
	v_rsq_f64_e32 v[10:11], v[8:9]
	s_waitcnt_depctr 0xfff
	v_mul_f64 v[15:16], v[8:9], v[10:11]
	v_mul_f64 v[10:11], v[10:11], 0.5
	v_fma_f64 v[22:23], -v[10:11], v[15:16], 0.5
	s_delay_alu instid0(VALU_DEP_1) | instskip(SKIP_1) | instid1(VALU_DEP_2)
	v_fma_f64 v[15:16], v[15:16], v[22:23], v[15:16]
	v_fma_f64 v[10:11], v[10:11], v[22:23], v[10:11]
	v_fma_f64 v[22:23], -v[15:16], v[15:16], v[8:9]
	s_delay_alu instid0(VALU_DEP_1) | instskip(NEXT) | instid1(VALU_DEP_1)
	v_fma_f64 v[15:16], v[22:23], v[10:11], v[15:16]
	v_fma_f64 v[22:23], -v[15:16], v[15:16], v[8:9]
	s_delay_alu instid0(VALU_DEP_1) | instskip(SKIP_2) | instid1(VALU_DEP_2)
	v_fma_f64 v[10:11], v[22:23], v[10:11], v[15:16]
	v_cndmask_b32_e64 v15, 0, 0xffffff80, vcc_lo
	v_cmp_class_f64_e64 vcc_lo, v[8:9], 0x260
	v_ldexp_f64 v[10:11], v[10:11], v15
	v_mov_b32_e32 v15, v12
	s_delay_alu instid0(VALU_DEP_2) | instskip(NEXT) | instid1(VALU_DEP_1)
	v_dual_cndmask_b32 v9, v11, v9 :: v_dual_cndmask_b32 v8, v10, v8
	v_add_f64 v[10:11], v[8:9], v[8:9]
	v_bfi_b32 v9, 0x7fffffff, v9, v13
	v_and_b32_e32 v16, 0x7fffffff, v13
	s_delay_alu instid0(VALU_DEP_1) | instskip(SKIP_1) | instid1(VALU_DEP_2)
	v_div_scale_f64 v[22:23], null, v[10:11], v[10:11], v[15:16]
	v_div_scale_f64 v[15:16], vcc_lo, v[15:16], v[10:11], v[15:16]
	v_rcp_f64_e32 v[24:25], v[22:23]
	s_waitcnt_depctr 0xfff
	v_fma_f64 v[27:28], -v[22:23], v[24:25], 1.0
	s_delay_alu instid0(VALU_DEP_1) | instskip(NEXT) | instid1(VALU_DEP_1)
	v_fma_f64 v[24:25], v[24:25], v[27:28], v[24:25]
	v_fma_f64 v[27:28], -v[22:23], v[24:25], 1.0
	s_delay_alu instid0(VALU_DEP_1) | instskip(NEXT) | instid1(VALU_DEP_1)
	v_fma_f64 v[24:25], v[24:25], v[27:28], v[24:25]
	v_mul_f64 v[27:28], v[15:16], v[24:25]
	s_delay_alu instid0(VALU_DEP_1) | instskip(NEXT) | instid1(VALU_DEP_1)
	v_fma_f64 v[15:16], -v[22:23], v[27:28], v[15:16]
	v_div_fmas_f64 v[15:16], v[15:16], v[24:25], v[27:28]
	s_delay_alu instid0(VALU_DEP_1) | instskip(SKIP_3) | instid1(SALU_CYCLE_1)
	v_div_fixup_f64 v[10:11], v[15:16], v[10:11], |v[12:13]|
	v_dual_mov_b32 v13, v9 :: v_dual_mov_b32 v12, v8
	s_or_b32 exec_lo, exec_lo, s1
	s_and_saveexec_b32 s1, s0
	s_xor_b32 s0, exec_lo, s1
	s_cbranch_execnz .LBB169_1814
.LBB169_1819:
	s_and_not1_saveexec_b32 s0, s0
.LBB169_1820:
	s_delay_alu instid0(VALU_DEP_2) | instskip(NEXT) | instid1(VALU_DEP_2)
	v_add_f64 v[10:11], v[10:11], v[10:11]
	v_add_f64 v[12:13], v[12:13], v[12:13]
.LBB169_1821:
	s_or_b32 exec_lo, exec_lo, s0
.LBB169_1822:
	s_and_not1_saveexec_b32 s0, s13
	s_cbranch_execz .LBB169_1828
; %bb.1823:
	s_delay_alu instid0(VALU_DEP_1) | instskip(SKIP_1) | instid1(VALU_DEP_3)
	v_add_f64 v[8:9], v[12:13], -v[12:13]
	s_mov_b32 s1, exec_lo
	v_cmpx_lt_i64_e32 -1, v[10:11]
	s_xor_b32 s1, exec_lo, s1
; %bb.1824:
	s_delay_alu instid0(VALU_DEP_2) | instskip(NEXT) | instid1(VALU_DEP_1)
	v_bfi_b32 v9, 0x7fffffff, v9, v13
	v_dual_mov_b32 v13, v9 :: v_dual_mov_b32 v12, v8
                                        ; implicit-def: $vgpr8_vgpr9
; %bb.1825:
	s_and_not1_saveexec_b32 s1, s1
; %bb.1826:
	s_delay_alu instid0(VALU_DEP_1) | instskip(SKIP_1) | instid1(VALU_DEP_2)
	v_bfi_b32 v11, 0x7fffffff, v11, v13
	v_and_b32_e32 v9, 0x7fffffff, v9
	v_dual_mov_b32 v13, v11 :: v_dual_mov_b32 v12, v10
	s_delay_alu instid0(VALU_DEP_2)
	v_dual_mov_b32 v11, v9 :: v_dual_mov_b32 v10, v8
; %bb.1827:
	s_or_b32 exec_lo, exec_lo, s1
.LBB169_1828:
	s_delay_alu instid0(SALU_CYCLE_1)
	s_or_b32 exec_lo, exec_lo, s0
.LBB169_1829:
	s_and_not1_saveexec_b32 s0, s12
; %bb.1830:
	s_delay_alu instid0(VALU_DEP_1) | instskip(NEXT) | instid1(VALU_DEP_1)
	v_add_f64 v[8:9], v[12:13], -v[12:13]
	v_div_scale_f64 v[12:13], vcc_lo, v[8:9], v[8:9], v[8:9]
	s_delay_alu instid0(VALU_DEP_1) | instskip(SKIP_2) | instid1(VALU_DEP_1)
	v_rcp_f64_e32 v[15:16], v[12:13]
	s_waitcnt_depctr 0xfff
	v_fma_f64 v[22:23], -v[12:13], v[15:16], 1.0
	v_fma_f64 v[15:16], v[15:16], v[22:23], v[15:16]
	s_delay_alu instid0(VALU_DEP_1) | instskip(NEXT) | instid1(VALU_DEP_1)
	v_fma_f64 v[22:23], -v[12:13], v[15:16], 1.0
	v_fma_f64 v[15:16], v[15:16], v[22:23], v[15:16]
	s_delay_alu instid0(VALU_DEP_1) | instskip(NEXT) | instid1(VALU_DEP_1)
	v_mul_f64 v[22:23], v[12:13], v[15:16]
	v_fma_f64 v[12:13], -v[12:13], v[22:23], v[12:13]
	s_delay_alu instid0(VALU_DEP_1) | instskip(NEXT) | instid1(VALU_DEP_1)
	v_div_fmas_f64 v[12:13], v[12:13], v[15:16], v[22:23]
	v_div_fixup_f64 v[12:13], v[12:13], v[8:9], v[8:9]
; %bb.1831:
	s_or_b32 exec_lo, exec_lo, s0
	v_dual_mov_b32 v16, v11 :: v_dual_mov_b32 v15, v10
.LBB169_1832:
	s_or_b32 exec_lo, exec_lo, s3
.LBB169_1833:
	s_delay_alu instid0(SALU_CYCLE_1) | instskip(NEXT) | instid1(VALU_DEP_1)
	s_or_b32 exec_lo, exec_lo, s2
	v_cmp_gt_f64_e32 vcc_lo, 0, v[15:16]
	s_delay_alu instid0(VALU_DEP_3) | instskip(SKIP_2) | instid1(VALU_DEP_2)
	v_cmp_gt_f64_e64 s0, 0, v[12:13]
	v_xor_b32_e32 v8, 0x80000000, v16
	v_xor_b32_e32 v9, 0x80000000, v13
                                        ; implicit-def: $vgpr10_vgpr11
	v_dual_cndmask_b32 v23, v16, v8 :: v_dual_cndmask_b32 v22, v15, v15
	s_delay_alu instid0(VALU_DEP_2) | instskip(SKIP_2) | instid1(VALU_DEP_1)
	v_cndmask_b32_e64 v25, v13, v9, s0
	v_cndmask_b32_e64 v24, v12, v12, s0
	s_mov_b32 s0, exec_lo
	v_cmpx_ge_f64_e32 v[22:23], v[24:25]
	s_xor_b32 s1, exec_lo, s0
	s_cbranch_execz .LBB169_1839
; %bb.1834:
	v_cmp_neq_f64_e32 vcc_lo, 0, v[15:16]
	v_cmp_neq_f64_e64 s0, 0, v[12:13]
                                        ; implicit-def: $vgpr10_vgpr11
	s_delay_alu instid0(VALU_DEP_1) | instskip(NEXT) | instid1(SALU_CYCLE_1)
	s_or_b32 s0, vcc_lo, s0
	s_and_saveexec_b32 s2, s0
	s_delay_alu instid0(SALU_CYCLE_1)
	s_xor_b32 s0, exec_lo, s2
	s_cbranch_execz .LBB169_1836
; %bb.1835:
	v_div_scale_f64 v[8:9], null, v[15:16], v[15:16], v[12:13]
	v_div_scale_f64 v[24:25], vcc_lo, v[12:13], v[15:16], v[12:13]
	s_delay_alu instid0(VALU_DEP_2) | instskip(SKIP_2) | instid1(VALU_DEP_1)
	v_rcp_f64_e32 v[10:11], v[8:9]
	s_waitcnt_depctr 0xfff
	v_fma_f64 v[22:23], -v[8:9], v[10:11], 1.0
	v_fma_f64 v[10:11], v[10:11], v[22:23], v[10:11]
	s_delay_alu instid0(VALU_DEP_1) | instskip(NEXT) | instid1(VALU_DEP_1)
	v_fma_f64 v[22:23], -v[8:9], v[10:11], 1.0
	v_fma_f64 v[10:11], v[10:11], v[22:23], v[10:11]
	s_delay_alu instid0(VALU_DEP_1) | instskip(NEXT) | instid1(VALU_DEP_1)
	v_mul_f64 v[22:23], v[24:25], v[10:11]
	v_fma_f64 v[8:9], -v[8:9], v[22:23], v[24:25]
	s_delay_alu instid0(VALU_DEP_1) | instskip(NEXT) | instid1(VALU_DEP_1)
	v_div_fmas_f64 v[8:9], v[8:9], v[10:11], v[22:23]
	v_div_fixup_f64 v[8:9], v[8:9], v[15:16], v[12:13]
	s_delay_alu instid0(VALU_DEP_1) | instskip(NEXT) | instid1(VALU_DEP_1)
	v_fma_f64 v[10:11], v[12:13], v[8:9], v[15:16]
	v_div_scale_f64 v[12:13], null, v[10:11], v[10:11], 1.0
	v_div_scale_f64 v[24:25], vcc_lo, 1.0, v[10:11], 1.0
	s_delay_alu instid0(VALU_DEP_2) | instskip(SKIP_2) | instid1(VALU_DEP_1)
	v_rcp_f64_e32 v[15:16], v[12:13]
	s_waitcnt_depctr 0xfff
	v_fma_f64 v[22:23], -v[12:13], v[15:16], 1.0
	v_fma_f64 v[15:16], v[15:16], v[22:23], v[15:16]
	s_delay_alu instid0(VALU_DEP_1) | instskip(NEXT) | instid1(VALU_DEP_1)
	v_fma_f64 v[22:23], -v[12:13], v[15:16], 1.0
	v_fma_f64 v[15:16], v[15:16], v[22:23], v[15:16]
	s_delay_alu instid0(VALU_DEP_1) | instskip(NEXT) | instid1(VALU_DEP_1)
	v_mul_f64 v[22:23], v[24:25], v[15:16]
	v_fma_f64 v[12:13], -v[12:13], v[22:23], v[24:25]
                                        ; implicit-def: $vgpr24_vgpr25
	s_delay_alu instid0(VALU_DEP_1) | instskip(SKIP_1) | instid1(VALU_DEP_2)
	v_div_fmas_f64 v[12:13], v[12:13], v[15:16], v[22:23]
	v_fma_f64 v[15:16], v[8:9], 0, 1.0
                                        ; implicit-def: $vgpr22_vgpr23
	v_div_fixup_f64 v[10:11], v[12:13], v[10:11], 1.0
	v_add_f64 v[12:13], -v[8:9], 0
	s_delay_alu instid0(VALU_DEP_2) | instskip(NEXT) | instid1(VALU_DEP_2)
	v_mul_f64 v[8:9], v[15:16], v[10:11]
	v_mul_f64 v[10:11], v[12:13], v[10:11]
.LBB169_1836:
	s_and_not1_saveexec_b32 s2, s0
	s_cbranch_execz .LBB169_1838
; %bb.1837:
	v_div_scale_f64 v[8:9], null, v[22:23], v[22:23], 1.0
	v_div_scale_f64 v[10:11], null, v[24:25], v[24:25], 0
	v_div_scale_f64 v[31:32], vcc_lo, 1.0, v[22:23], 1.0
	s_delay_alu instid0(VALU_DEP_3) | instskip(NEXT) | instid1(VALU_DEP_2)
	v_rcp_f64_e32 v[12:13], v[8:9]
	v_rcp_f64_e32 v[15:16], v[10:11]
	s_waitcnt_depctr 0xfff
	v_fma_f64 v[27:28], -v[8:9], v[12:13], 1.0
	v_fma_f64 v[29:30], -v[10:11], v[15:16], 1.0
	s_delay_alu instid0(VALU_DEP_2) | instskip(NEXT) | instid1(VALU_DEP_2)
	v_fma_f64 v[12:13], v[12:13], v[27:28], v[12:13]
	v_fma_f64 v[15:16], v[15:16], v[29:30], v[15:16]
	s_delay_alu instid0(VALU_DEP_2) | instskip(NEXT) | instid1(VALU_DEP_2)
	v_fma_f64 v[27:28], -v[8:9], v[12:13], 1.0
	v_fma_f64 v[29:30], -v[10:11], v[15:16], 1.0
	s_delay_alu instid0(VALU_DEP_2) | instskip(SKIP_1) | instid1(VALU_DEP_3)
	v_fma_f64 v[12:13], v[12:13], v[27:28], v[12:13]
	v_div_scale_f64 v[27:28], s0, 0, v[24:25], 0
	v_fma_f64 v[15:16], v[15:16], v[29:30], v[15:16]
	s_delay_alu instid0(VALU_DEP_3) | instskip(NEXT) | instid1(VALU_DEP_2)
	v_mul_f64 v[29:30], v[31:32], v[12:13]
	v_mul_f64 v[33:34], v[27:28], v[15:16]
	s_delay_alu instid0(VALU_DEP_2) | instskip(NEXT) | instid1(VALU_DEP_2)
	v_fma_f64 v[8:9], -v[8:9], v[29:30], v[31:32]
	v_fma_f64 v[10:11], -v[10:11], v[33:34], v[27:28]
	s_delay_alu instid0(VALU_DEP_2) | instskip(SKIP_1) | instid1(VALU_DEP_2)
	v_div_fmas_f64 v[8:9], v[8:9], v[12:13], v[29:30]
	s_mov_b32 vcc_lo, s0
	v_div_fmas_f64 v[10:11], v[10:11], v[15:16], v[33:34]
	s_delay_alu instid0(VALU_DEP_2) | instskip(NEXT) | instid1(VALU_DEP_2)
	v_div_fixup_f64 v[8:9], v[8:9], v[22:23], 1.0
	v_div_fixup_f64 v[10:11], v[10:11], v[24:25], 0
.LBB169_1838:
	s_or_b32 exec_lo, exec_lo, s2
                                        ; implicit-def: $vgpr12_vgpr13
                                        ; implicit-def: $vgpr15_vgpr16
.LBB169_1839:
	s_and_not1_saveexec_b32 s0, s1
	s_cbranch_execz .LBB169_1841
; %bb.1840:
	v_div_scale_f64 v[8:9], null, v[12:13], v[12:13], v[15:16]
	v_div_scale_f64 v[24:25], vcc_lo, v[15:16], v[12:13], v[15:16]
	s_delay_alu instid0(VALU_DEP_2) | instskip(SKIP_2) | instid1(VALU_DEP_1)
	v_rcp_f64_e32 v[10:11], v[8:9]
	s_waitcnt_depctr 0xfff
	v_fma_f64 v[22:23], -v[8:9], v[10:11], 1.0
	v_fma_f64 v[10:11], v[10:11], v[22:23], v[10:11]
	s_delay_alu instid0(VALU_DEP_1) | instskip(NEXT) | instid1(VALU_DEP_1)
	v_fma_f64 v[22:23], -v[8:9], v[10:11], 1.0
	v_fma_f64 v[10:11], v[10:11], v[22:23], v[10:11]
	s_delay_alu instid0(VALU_DEP_1) | instskip(NEXT) | instid1(VALU_DEP_1)
	v_mul_f64 v[22:23], v[24:25], v[10:11]
	v_fma_f64 v[8:9], -v[8:9], v[22:23], v[24:25]
	s_delay_alu instid0(VALU_DEP_1) | instskip(NEXT) | instid1(VALU_DEP_1)
	v_div_fmas_f64 v[8:9], v[8:9], v[10:11], v[22:23]
	v_div_fixup_f64 v[8:9], v[8:9], v[12:13], v[15:16]
	s_delay_alu instid0(VALU_DEP_1) | instskip(NEXT) | instid1(VALU_DEP_1)
	v_fma_f64 v[10:11], v[15:16], v[8:9], v[12:13]
	v_div_scale_f64 v[12:13], null, v[10:11], v[10:11], 1.0
	v_div_scale_f64 v[24:25], vcc_lo, 1.0, v[10:11], 1.0
	s_delay_alu instid0(VALU_DEP_2) | instskip(SKIP_2) | instid1(VALU_DEP_1)
	v_rcp_f64_e32 v[15:16], v[12:13]
	s_waitcnt_depctr 0xfff
	v_fma_f64 v[22:23], -v[12:13], v[15:16], 1.0
	v_fma_f64 v[15:16], v[15:16], v[22:23], v[15:16]
	s_delay_alu instid0(VALU_DEP_1) | instskip(NEXT) | instid1(VALU_DEP_1)
	v_fma_f64 v[22:23], -v[12:13], v[15:16], 1.0
	v_fma_f64 v[15:16], v[15:16], v[22:23], v[15:16]
	s_delay_alu instid0(VALU_DEP_1) | instskip(NEXT) | instid1(VALU_DEP_1)
	v_mul_f64 v[22:23], v[24:25], v[15:16]
	v_fma_f64 v[12:13], -v[12:13], v[22:23], v[24:25]
	s_delay_alu instid0(VALU_DEP_1) | instskip(SKIP_1) | instid1(VALU_DEP_2)
	v_div_fmas_f64 v[12:13], v[12:13], v[15:16], v[22:23]
	v_add_f64 v[15:16], v[8:9], 0
	v_div_fixup_f64 v[10:11], v[12:13], v[10:11], 1.0
	v_fma_f64 v[12:13], v[8:9], 0, -1.0
	s_delay_alu instid0(VALU_DEP_2) | instskip(NEXT) | instid1(VALU_DEP_2)
	v_mul_f64 v[8:9], v[15:16], v[10:11]
	v_mul_f64 v[10:11], v[12:13], v[10:11]
.LBB169_1841:
	s_or_b32 exec_lo, exec_lo, s0
	v_cmp_gt_i16_e32 vcc_lo, 11, v26
	v_add_co_u32 v12, s0, s6, v14
	s_delay_alu instid0(VALU_DEP_1)
	v_add_co_ci_u32_e64 v13, null, s7, 0, s0
	s_mov_b32 s2, 0
	s_cbranch_vccnz .LBB169_1848
; %bb.1842:
	v_cmp_lt_i16_e32 vcc_lo, 25, v26
	s_mov_b32 s7, 0
	s_cbranch_vccz .LBB169_1849
; %bb.1843:
	v_cmp_lt_i16_e32 vcc_lo, 28, v26
	s_cbranch_vccz .LBB169_1850
; %bb.1844:
	v_cmp_lt_i16_e32 vcc_lo, 43, v26
	;; [unrolled: 3-line block ×3, first 2 shown]
	s_cbranch_vccz .LBB169_1854
; %bb.1846:
	v_cmp_eq_u16_e32 vcc_lo, 46, v26
	s_mov_b32 s0, 0
	s_cbranch_vccz .LBB169_1857
; %bb.1847:
	global_load_b32 v14, v[12:13], off
	s_mov_b32 s6, 0
	s_mov_b32 s2, -1
	s_waitcnt vmcnt(0)
	v_lshlrev_b32_e32 v15, 16, v14
	v_and_b32_e32 v16, 0xffff0000, v14
	s_delay_alu instid0(VALU_DEP_2) | instskip(NEXT) | instid1(VALU_DEP_2)
	v_cvt_f64_f32_e32 v[14:15], v15
	v_cvt_f64_f32_e32 v[16:17], v16
	s_branch .LBB169_1859
.LBB169_1848:
	s_mov_b32 s0, -1
                                        ; implicit-def: $vgpr16_vgpr17
	s_branch .LBB169_1928
.LBB169_1849:
	s_mov_b32 s0, -1
	s_mov_b32 s6, 0
                                        ; implicit-def: $vgpr16_vgpr17
	s_branch .LBB169_1892
.LBB169_1850:
	s_mov_b32 s0, -1
	s_mov_b32 s6, 0
                                        ; implicit-def: $vgpr16_vgpr17
	s_branch .LBB169_1871
.LBB169_1851:
	s_mov_b32 s0, -1
	s_mov_b32 s6, 0
                                        ; implicit-def: $vgpr16_vgpr17
	s_branch .LBB169_1865
.LBB169_1852:
	s_cbranch_execnz .LBB169_1855
; %bb.1853:
	s_or_b32 s10, s10, exec_lo
                                        ; implicit-def: $vgpr12_vgpr13
	s_cbranch_execz .LBB169_1798
	s_branch .LBB169_1799
.LBB169_1854:
	s_mov_b32 s0, -1
	s_mov_b32 s6, 0
	s_branch .LBB169_1858
.LBB169_1855:
	s_trap 2
	s_sendmsg_rtn_b32 s0, sendmsg(MSG_RTN_GET_DOORBELL)
	s_mov_b32 ttmp2, m0
	s_waitcnt lgkmcnt(0)
	s_and_b32 s0, s0, 0x3ff
	s_delay_alu instid0(SALU_CYCLE_1) | instskip(NEXT) | instid1(SALU_CYCLE_1)
	s_bitset1_b32 s0, 10
	s_mov_b32 m0, s0
	s_sendmsg sendmsg(MSG_INTERRUPT)
	s_mov_b32 m0, ttmp2
.LBB169_1856:                           ; =>This Inner Loop Header: Depth=1
	s_sethalt 5
	s_branch .LBB169_1856
.LBB169_1857:
	s_mov_b32 s6, -1
.LBB169_1858:
                                        ; implicit-def: $vgpr16_vgpr17
.LBB169_1859:
	s_and_b32 vcc_lo, exec_lo, s0
	s_cbranch_vccz .LBB169_1864
; %bb.1860:
	v_cmp_eq_u16_e32 vcc_lo, 44, v26
	s_cbranch_vccz .LBB169_1862
; %bb.1861:
	global_load_u8 v16, v[12:13], off
	s_mov_b32 s6, 0
	s_mov_b32 s2, -1
	s_mov_b64 s[0:1], 0
	s_waitcnt vmcnt(0)
	v_cmp_ne_u32_e32 vcc_lo, 0xff, v16
	v_lshlrev_b32_e32 v14, 23, v16
	s_delay_alu instid0(VALU_DEP_1) | instskip(NEXT) | instid1(VALU_DEP_1)
	v_cvt_f64_f32_e32 v[14:15], v14
	v_cndmask_b32_e32 v15, 0x7ff80000, v15, vcc_lo
	s_delay_alu instid0(VALU_DEP_2) | instskip(SKIP_1) | instid1(VALU_DEP_3)
	v_cndmask_b32_e32 v14, 0x20000000, v14, vcc_lo
	v_cmp_ne_u32_e32 vcc_lo, 0, v16
	v_cndmask_b32_e32 v15, 0x38000000, v15, vcc_lo
	s_delay_alu instid0(VALU_DEP_3)
	v_cndmask_b32_e32 v14, 0, v14, vcc_lo
	s_branch .LBB169_1863
.LBB169_1862:
	s_mov_b32 s6, -1
                                        ; implicit-def: $sgpr0_sgpr1
                                        ; implicit-def: $vgpr14_vgpr15
.LBB169_1863:
	v_dual_mov_b32 v17, s1 :: v_dual_mov_b32 v16, s0
.LBB169_1864:
	s_mov_b32 s0, 0
.LBB169_1865:
	s_delay_alu instid0(SALU_CYCLE_1)
	s_and_b32 vcc_lo, exec_lo, s0
	s_cbranch_vccz .LBB169_1870
; %bb.1866:
	v_cmp_eq_u16_e32 vcc_lo, 29, v26
	s_cbranch_vccz .LBB169_1868
; %bb.1867:
	global_load_b64 v[14:15], v[12:13], off
	s_mov_b32 s6, 0
	s_mov_b32 s2, -1
	s_mov_b64 s[0:1], 0
	s_waitcnt vmcnt(0)
	v_cvt_f64_u32_e32 v[15:16], v15
	v_cvt_f64_u32_e32 v[22:23], v14
	s_delay_alu instid0(VALU_DEP_2) | instskip(NEXT) | instid1(VALU_DEP_1)
	v_ldexp_f64 v[15:16], v[15:16], 32
	v_add_f64 v[14:15], v[15:16], v[22:23]
	s_branch .LBB169_1869
.LBB169_1868:
	s_mov_b32 s6, -1
                                        ; implicit-def: $sgpr0_sgpr1
                                        ; implicit-def: $vgpr14_vgpr15
.LBB169_1869:
	v_dual_mov_b32 v17, s1 :: v_dual_mov_b32 v16, s0
.LBB169_1870:
	s_mov_b32 s0, 0
.LBB169_1871:
	s_delay_alu instid0(SALU_CYCLE_1)
	s_and_b32 vcc_lo, exec_lo, s0
	s_cbranch_vccz .LBB169_1891
; %bb.1872:
	v_cmp_gt_i16_e32 vcc_lo, 27, v26
	s_cbranch_vccnz .LBB169_1875
; %bb.1873:
	v_cmp_lt_i16_e32 vcc_lo, 27, v26
	s_cbranch_vccz .LBB169_1876
; %bb.1874:
	global_load_b32 v14, v[12:13], off
	s_mov_b32 s2, 0
	s_mov_b64 s[0:1], 0
	s_waitcnt vmcnt(0)
	v_cvt_f64_u32_e32 v[14:15], v14
	s_branch .LBB169_1877
.LBB169_1875:
	s_mov_b32 s2, -1
                                        ; implicit-def: $sgpr0_sgpr1
                                        ; implicit-def: $vgpr14_vgpr15
	s_branch .LBB169_1880
.LBB169_1876:
	s_mov_b32 s2, -1
                                        ; implicit-def: $sgpr0_sgpr1
                                        ; implicit-def: $vgpr14_vgpr15
.LBB169_1877:
	s_delay_alu instid0(SALU_CYCLE_1)
	s_and_not1_b32 vcc_lo, exec_lo, s2
	s_cbranch_vccnz .LBB169_1879
; %bb.1878:
	global_load_u16 v14, v[12:13], off
	s_mov_b64 s[0:1], 0
	s_waitcnt vmcnt(0)
	v_cvt_f64_u32_e32 v[14:15], v14
.LBB169_1879:
	s_mov_b32 s2, 0
.LBB169_1880:
	v_dual_mov_b32 v17, s1 :: v_dual_mov_b32 v16, s0
	s_and_not1_b32 vcc_lo, exec_lo, s2
	s_cbranch_vccnz .LBB169_1890
; %bb.1881:
	global_load_u8 v22, v[12:13], off
	s_mov_b32 s12, 0
	s_mov_b32 s13, exec_lo
                                        ; implicit-def: $sgpr0_sgpr1
                                        ; implicit-def: $sgpr2_sgpr3
	s_waitcnt vmcnt(0)
	v_cmpx_lt_i16_e32 0x7f, v22
	s_xor_b32 s13, exec_lo, s13
	s_cbranch_execz .LBB169_1885
; %bb.1882:
	s_mov_b32 s12, -1
	s_mov_b32 s14, exec_lo
                                        ; implicit-def: $sgpr0_sgpr1
                                        ; implicit-def: $sgpr2_sgpr3
	v_cmpx_eq_u16_e32 0x80, v22
; %bb.1883:
	s_mov_b64 s[0:1], 0
	s_mov_b32 s3, 0x7ff80000
	s_brev_b32 s2, 4
	s_xor_b32 s12, exec_lo, -1
; %bb.1884:
	s_or_b32 exec_lo, exec_lo, s14
	s_delay_alu instid0(SALU_CYCLE_1)
	s_and_b32 s12, s12, exec_lo
.LBB169_1885:
	s_or_saveexec_b32 s13, s13
	v_dual_mov_b32 v17, s1 :: v_dual_mov_b32 v16, s0
	v_dual_mov_b32 v15, s3 :: v_dual_mov_b32 v14, s2
	s_xor_b32 exec_lo, exec_lo, s13
; %bb.1886:
	v_mov_b32_e32 v16, 0
	v_mov_b32_e32 v17, 0
	v_cmp_ne_u16_e32 vcc_lo, 0, v22
	s_delay_alu instid0(VALU_DEP_3) | instskip(SKIP_1) | instid1(VALU_DEP_3)
	v_mov_b32_e32 v14, v16
	s_and_not1_b32 s0, s12, exec_lo
	v_mov_b32_e32 v15, v17
	s_and_b32 s1, vcc_lo, exec_lo
	s_delay_alu instid0(SALU_CYCLE_1)
	s_or_b32 s12, s0, s1
; %bb.1887:
	s_or_b32 exec_lo, exec_lo, s13
	s_and_saveexec_b32 s0, s12
	s_cbranch_execz .LBB169_1889
; %bb.1888:
	v_and_b32_e32 v14, 0xffff, v22
	v_lshlrev_b32_e32 v22, 24, v22
	s_delay_alu instid0(VALU_DEP_2) | instskip(NEXT) | instid1(VALU_DEP_1)
	v_and_b32_e32 v15, 7, v14
	v_clz_i32_u32_e32 v16, v15
	s_delay_alu instid0(VALU_DEP_1) | instskip(NEXT) | instid1(VALU_DEP_1)
	v_min_u32_e32 v16, 32, v16
	v_subrev_nc_u32_e32 v17, 28, v16
	v_sub_nc_u32_e32 v16, 29, v16
	s_delay_alu instid0(VALU_DEP_2) | instskip(SKIP_1) | instid1(VALU_DEP_2)
	v_lshlrev_b32_e32 v17, v17, v14
	v_bfe_u32 v14, v14, 3, 4
	v_and_b32_e32 v17, 7, v17
	s_delay_alu instid0(VALU_DEP_2) | instskip(NEXT) | instid1(VALU_DEP_2)
	v_cmp_eq_u32_e32 vcc_lo, 0, v14
	v_dual_cndmask_b32 v14, v14, v16 :: v_dual_cndmask_b32 v15, v15, v17
	v_and_b32_e32 v16, 0x80000000, v22
	s_delay_alu instid0(VALU_DEP_2) | instskip(NEXT) | instid1(VALU_DEP_3)
	v_lshl_add_u32 v14, v14, 23, 0x3b800000
	v_lshlrev_b32_e32 v15, 20, v15
	s_delay_alu instid0(VALU_DEP_1) | instskip(SKIP_2) | instid1(VALU_DEP_3)
	v_or3_b32 v14, v16, v14, v15
	v_mov_b32_e32 v16, 0
	v_mov_b32_e32 v17, 0
	v_cvt_f64_f32_e32 v[14:15], v14
.LBB169_1889:
	s_or_b32 exec_lo, exec_lo, s0
.LBB169_1890:
	s_mov_b32 s2, -1
.LBB169_1891:
	s_mov_b32 s0, 0
.LBB169_1892:
	s_delay_alu instid0(SALU_CYCLE_1)
	s_and_b32 vcc_lo, exec_lo, s0
	s_cbranch_vccz .LBB169_1924
; %bb.1893:
	v_cmp_lt_i16_e32 vcc_lo, 22, v26
	s_cbranch_vccz .LBB169_1905
; %bb.1894:
	v_cmp_gt_i16_e32 vcc_lo, 24, v26
	s_cbranch_vccnz .LBB169_1906
; %bb.1895:
	v_cmp_lt_i16_e32 vcc_lo, 24, v26
	s_cbranch_vccz .LBB169_1907
; %bb.1896:
	global_load_u8 v22, v[12:13], off
	s_mov_b32 s12, exec_lo
                                        ; implicit-def: $sgpr0_sgpr1
                                        ; implicit-def: $sgpr2_sgpr3
	s_waitcnt vmcnt(0)
	v_cmpx_lt_i16_e32 0x7f, v22
	s_xor_b32 s12, exec_lo, s12
	s_cbranch_execz .LBB169_1900
; %bb.1897:
	s_mov_b32 s7, -1
	s_mov_b32 s13, exec_lo
                                        ; implicit-def: $sgpr0_sgpr1
                                        ; implicit-def: $sgpr2_sgpr3
	v_cmpx_eq_u16_e32 0x80, v22
; %bb.1898:
	s_mov_b64 s[0:1], 0
	s_mov_b32 s3, 0x7ff80000
	s_brev_b32 s2, 4
	s_xor_b32 s7, exec_lo, -1
; %bb.1899:
	s_or_b32 exec_lo, exec_lo, s13
	s_delay_alu instid0(SALU_CYCLE_1)
	s_and_b32 s7, s7, exec_lo
.LBB169_1900:
	s_or_saveexec_b32 s12, s12
	v_dual_mov_b32 v17, s1 :: v_dual_mov_b32 v16, s0
	v_dual_mov_b32 v15, s3 :: v_dual_mov_b32 v14, s2
	s_xor_b32 exec_lo, exec_lo, s12
; %bb.1901:
	v_mov_b32_e32 v16, 0
	v_mov_b32_e32 v17, 0
	v_cmp_ne_u16_e32 vcc_lo, 0, v22
	s_delay_alu instid0(VALU_DEP_3) | instskip(SKIP_1) | instid1(VALU_DEP_3)
	v_mov_b32_e32 v14, v16
	s_and_not1_b32 s0, s7, exec_lo
	v_mov_b32_e32 v15, v17
	s_and_b32 s1, vcc_lo, exec_lo
	s_delay_alu instid0(SALU_CYCLE_1)
	s_or_b32 s7, s0, s1
; %bb.1902:
	s_or_b32 exec_lo, exec_lo, s12
	s_and_saveexec_b32 s0, s7
	s_cbranch_execz .LBB169_1904
; %bb.1903:
	v_and_b32_e32 v14, 0xffff, v22
	v_lshlrev_b32_e32 v22, 24, v22
	s_delay_alu instid0(VALU_DEP_2) | instskip(NEXT) | instid1(VALU_DEP_1)
	v_and_b32_e32 v15, 3, v14
	v_clz_i32_u32_e32 v16, v15
	s_delay_alu instid0(VALU_DEP_1) | instskip(NEXT) | instid1(VALU_DEP_1)
	v_min_u32_e32 v16, 32, v16
	v_subrev_nc_u32_e32 v17, 29, v16
	v_sub_nc_u32_e32 v16, 30, v16
	s_delay_alu instid0(VALU_DEP_2) | instskip(SKIP_1) | instid1(VALU_DEP_2)
	v_lshlrev_b32_e32 v17, v17, v14
	v_bfe_u32 v14, v14, 2, 5
	v_and_b32_e32 v17, 3, v17
	s_delay_alu instid0(VALU_DEP_2) | instskip(NEXT) | instid1(VALU_DEP_2)
	v_cmp_eq_u32_e32 vcc_lo, 0, v14
	v_dual_cndmask_b32 v14, v14, v16 :: v_dual_cndmask_b32 v15, v15, v17
	v_and_b32_e32 v16, 0x80000000, v22
	s_delay_alu instid0(VALU_DEP_2) | instskip(NEXT) | instid1(VALU_DEP_3)
	v_lshl_add_u32 v14, v14, 23, 0x37800000
	v_lshlrev_b32_e32 v15, 21, v15
	s_delay_alu instid0(VALU_DEP_1) | instskip(SKIP_2) | instid1(VALU_DEP_3)
	v_or3_b32 v14, v16, v14, v15
	v_mov_b32_e32 v16, 0
	v_mov_b32_e32 v17, 0
	v_cvt_f64_f32_e32 v[14:15], v14
.LBB169_1904:
	s_or_b32 exec_lo, exec_lo, s0
	s_mov_b32 s0, 0
	s_branch .LBB169_1908
.LBB169_1905:
	s_mov_b32 s0, -1
                                        ; implicit-def: $vgpr16_vgpr17
	s_branch .LBB169_1914
.LBB169_1906:
	s_mov_b32 s0, -1
                                        ; implicit-def: $vgpr16_vgpr17
	s_branch .LBB169_1911
.LBB169_1907:
	s_mov_b32 s0, -1
                                        ; implicit-def: $vgpr16_vgpr17
.LBB169_1908:
	s_delay_alu instid0(SALU_CYCLE_1)
	s_and_b32 vcc_lo, exec_lo, s0
	s_cbranch_vccz .LBB169_1910
; %bb.1909:
	global_load_u8 v14, v[12:13], off
	s_waitcnt vmcnt(0)
	v_lshlrev_b32_e32 v14, 24, v14
	s_delay_alu instid0(VALU_DEP_1) | instskip(NEXT) | instid1(VALU_DEP_1)
	v_and_b32_e32 v15, 0x7f000000, v14
	v_clz_i32_u32_e32 v16, v15
	v_add_nc_u32_e32 v22, 0x1000000, v15
	v_cmp_ne_u32_e32 vcc_lo, 0, v15
	s_delay_alu instid0(VALU_DEP_3) | instskip(NEXT) | instid1(VALU_DEP_1)
	v_min_u32_e32 v16, 32, v16
	v_sub_nc_u32_e64 v16, v16, 4 clamp
	s_delay_alu instid0(VALU_DEP_1) | instskip(SKIP_1) | instid1(VALU_DEP_2)
	v_lshlrev_b32_e32 v17, v16, v15
	v_lshlrev_b32_e32 v16, 23, v16
	v_lshrrev_b32_e32 v17, 4, v17
	s_delay_alu instid0(VALU_DEP_1) | instskip(SKIP_1) | instid1(VALU_DEP_2)
	v_sub_nc_u32_e32 v16, v17, v16
	v_ashrrev_i32_e32 v17, 8, v22
	v_add_nc_u32_e32 v16, 0x3c000000, v16
	s_delay_alu instid0(VALU_DEP_1) | instskip(NEXT) | instid1(VALU_DEP_1)
	v_and_or_b32 v16, 0x7f800000, v17, v16
	v_dual_cndmask_b32 v15, 0, v16 :: v_dual_mov_b32 v16, 0
	v_mov_b32_e32 v17, 0
	s_delay_alu instid0(VALU_DEP_2) | instskip(NEXT) | instid1(VALU_DEP_1)
	v_and_or_b32 v14, 0x80000000, v14, v15
	v_cvt_f64_f32_e32 v[14:15], v14
.LBB169_1910:
	s_mov_b32 s0, 0
.LBB169_1911:
	s_delay_alu instid0(SALU_CYCLE_1)
	s_and_not1_b32 vcc_lo, exec_lo, s0
	s_cbranch_vccnz .LBB169_1913
; %bb.1912:
	global_load_u8 v14, v[12:13], off
	s_waitcnt vmcnt(0)
	v_lshlrev_b32_e32 v15, 25, v14
	v_lshlrev_b16 v14, 8, v14
	s_delay_alu instid0(VALU_DEP_2) | instskip(NEXT) | instid1(VALU_DEP_2)
	v_lshrrev_b32_e32 v16, 4, v15
	v_and_or_b32 v17, 0x7f00, v14, 0.5
	v_bfe_i32 v14, v14, 0, 16
	s_delay_alu instid0(VALU_DEP_3) | instskip(NEXT) | instid1(VALU_DEP_1)
	v_or_b32_e32 v16, 0x70000000, v16
	v_dual_add_f32 v17, -0.5, v17 :: v_dual_mul_f32 v16, 0x7800000, v16
	v_cmp_gt_u32_e32 vcc_lo, 0x8000000, v15
	s_delay_alu instid0(VALU_DEP_2) | instskip(SKIP_1) | instid1(VALU_DEP_2)
	v_dual_cndmask_b32 v15, v16, v17 :: v_dual_mov_b32 v16, 0
	v_mov_b32_e32 v17, 0
	v_and_or_b32 v14, 0x80000000, v14, v15
	s_delay_alu instid0(VALU_DEP_1)
	v_cvt_f64_f32_e32 v[14:15], v14
.LBB169_1913:
	s_mov_b32 s0, 0
	s_mov_b32 s2, -1
.LBB169_1914:
	s_and_not1_b32 vcc_lo, exec_lo, s0
	s_mov_b32 s7, 0
	s_cbranch_vccnz .LBB169_1924
; %bb.1915:
	v_cmp_lt_i16_e32 vcc_lo, 14, v26
	s_cbranch_vccz .LBB169_1918
; %bb.1916:
	v_cmp_eq_u16_e32 vcc_lo, 15, v26
	s_cbranch_vccz .LBB169_1919
; %bb.1917:
	global_load_u16 v14, v[12:13], off
	s_mov_b32 s6, 0
	s_mov_b32 s2, -1
	s_mov_b64 s[0:1], 0
	s_waitcnt vmcnt(0)
	v_lshlrev_b32_e32 v14, 16, v14
	s_delay_alu instid0(VALU_DEP_1)
	v_cvt_f64_f32_e32 v[14:15], v14
	s_branch .LBB169_1920
.LBB169_1918:
	s_mov_b32 s3, -1
                                        ; implicit-def: $sgpr0_sgpr1
                                        ; implicit-def: $vgpr14_vgpr15
	s_branch .LBB169_1921
.LBB169_1919:
	s_mov_b32 s6, -1
                                        ; implicit-def: $sgpr0_sgpr1
                                        ; implicit-def: $vgpr14_vgpr15
.LBB169_1920:
	s_mov_b32 s3, 0
.LBB169_1921:
	s_delay_alu instid0(SALU_CYCLE_1)
	s_and_b32 vcc_lo, exec_lo, s3
	s_cbranch_vccz .LBB169_1923
; %bb.1922:
	v_cmp_ne_u16_e64 s6, 11, v26
	s_mov_b32 s7, -1
                                        ; implicit-def: $sgpr0_sgpr1
                                        ; implicit-def: $vgpr14_vgpr15
.LBB169_1923:
	v_dual_mov_b32 v17, s1 :: v_dual_mov_b32 v16, s0
.LBB169_1924:
	s_delay_alu instid0(VALU_DEP_2)
	s_and_b32 vcc_lo, exec_lo, s6
	s_cbranch_vccnz .LBB169_2496
; %bb.1925:
	s_and_not1_b32 vcc_lo, exec_lo, s7
	s_cbranch_vccnz .LBB169_1927
.LBB169_1926:
	global_load_u8 v14, v[12:13], off
	v_mov_b32_e32 v16, 0
	v_mov_b32_e32 v17, 0
	s_mov_b32 s2, -1
	s_waitcnt vmcnt(0)
	v_cmp_ne_u16_e32 vcc_lo, 0, v14
	v_mov_b32_e32 v14, 0
	v_cndmask_b32_e64 v15, 0, 0x3ff00000, vcc_lo
.LBB169_1927:
	s_mov_b32 s0, 0
.LBB169_1928:
	s_delay_alu instid0(SALU_CYCLE_1)
	s_and_b32 vcc_lo, exec_lo, s0
	s_cbranch_vccz .LBB169_1979
; %bb.1929:
	v_cmp_gt_i16_e32 vcc_lo, 5, v26
	s_cbranch_vccnz .LBB169_1934
; %bb.1930:
	v_cmp_gt_i16_e32 vcc_lo, 8, v26
	s_cbranch_vccnz .LBB169_1935
	;; [unrolled: 3-line block ×3, first 2 shown]
; %bb.1932:
	v_cmp_lt_i16_e32 vcc_lo, 9, v26
	s_cbranch_vccz .LBB169_1937
; %bb.1933:
	global_load_b128 v[14:17], v[12:13], off
	s_mov_b32 s0, 0
	s_branch .LBB169_1938
.LBB169_1934:
	s_mov_b32 s0, -1
                                        ; implicit-def: $vgpr16_vgpr17
	s_branch .LBB169_1957
.LBB169_1935:
	s_mov_b32 s0, -1
                                        ; implicit-def: $vgpr16_vgpr17
	s_branch .LBB169_1944
.LBB169_1936:
	s_mov_b32 s0, -1
                                        ; implicit-def: $vgpr16_vgpr17
	s_branch .LBB169_1941
.LBB169_1937:
	s_mov_b32 s0, -1
                                        ; implicit-def: $vgpr16_vgpr17
.LBB169_1938:
	s_delay_alu instid0(SALU_CYCLE_1)
	s_and_not1_b32 vcc_lo, exec_lo, s0
	s_cbranch_vccnz .LBB169_1940
; %bb.1939:
	global_load_b64 v[15:16], v[12:13], off
	s_waitcnt vmcnt(0)
	v_cvt_f64_f32_e32 v[14:15], v15
	v_cvt_f64_f32_e32 v[16:17], v16
.LBB169_1940:
	s_mov_b32 s0, 0
.LBB169_1941:
	s_delay_alu instid0(SALU_CYCLE_1)
	s_and_not1_b32 vcc_lo, exec_lo, s0
	s_cbranch_vccnz .LBB169_1943
; %bb.1942:
	global_load_b32 v14, v[12:13], off
	s_waitcnt vmcnt(0)
	v_lshrrev_b32_e32 v15, 16, v14
	v_cvt_f32_f16_e32 v14, v14
	s_delay_alu instid0(VALU_DEP_2) | instskip(NEXT) | instid1(VALU_DEP_2)
	v_cvt_f32_f16_e32 v16, v15
	v_cvt_f64_f32_e32 v[14:15], v14
	s_delay_alu instid0(VALU_DEP_2)
	v_cvt_f64_f32_e32 v[16:17], v16
.LBB169_1943:
	s_mov_b32 s0, 0
.LBB169_1944:
	s_delay_alu instid0(SALU_CYCLE_1)
	s_and_not1_b32 vcc_lo, exec_lo, s0
	s_cbranch_vccnz .LBB169_1956
; %bb.1945:
	v_cmp_gt_i16_e32 vcc_lo, 6, v26
	s_cbranch_vccnz .LBB169_1948
; %bb.1946:
	v_cmp_lt_i16_e32 vcc_lo, 6, v26
	s_cbranch_vccz .LBB169_1949
; %bb.1947:
	global_load_b64 v[14:15], v[12:13], off
	s_mov_b32 s2, 0
	s_mov_b64 s[0:1], 0
	s_branch .LBB169_1950
.LBB169_1948:
	s_mov_b32 s2, -1
                                        ; implicit-def: $sgpr0_sgpr1
                                        ; implicit-def: $vgpr14_vgpr15
	s_branch .LBB169_1953
.LBB169_1949:
	s_mov_b32 s2, -1
                                        ; implicit-def: $sgpr0_sgpr1
                                        ; implicit-def: $vgpr14_vgpr15
.LBB169_1950:
	s_delay_alu instid0(SALU_CYCLE_1)
	s_and_not1_b32 vcc_lo, exec_lo, s2
	s_cbranch_vccnz .LBB169_1952
; %bb.1951:
	global_load_b32 v14, v[12:13], off
	s_mov_b64 s[0:1], 0
	s_waitcnt vmcnt(0)
	v_cvt_f64_f32_e32 v[14:15], v14
.LBB169_1952:
	s_mov_b32 s2, 0
.LBB169_1953:
	s_delay_alu instid0(SALU_CYCLE_1)
	s_and_not1_b32 vcc_lo, exec_lo, s2
	s_cbranch_vccnz .LBB169_1955
; %bb.1954:
	global_load_u16 v14, v[12:13], off
	s_mov_b64 s[0:1], 0
	s_waitcnt vmcnt(0)
	v_cvt_f32_f16_e32 v14, v14
	s_delay_alu instid0(VALU_DEP_1)
	v_cvt_f64_f32_e32 v[14:15], v14
.LBB169_1955:
	s_waitcnt vmcnt(0)
	v_dual_mov_b32 v17, s1 :: v_dual_mov_b32 v16, s0
.LBB169_1956:
	s_mov_b32 s0, 0
.LBB169_1957:
	s_delay_alu instid0(SALU_CYCLE_1)
	s_and_not1_b32 vcc_lo, exec_lo, s0
	s_cbranch_vccnz .LBB169_1978
; %bb.1958:
	v_cmp_gt_i16_e32 vcc_lo, 2, v26
	s_cbranch_vccnz .LBB169_1962
; %bb.1959:
	v_cmp_gt_i16_e32 vcc_lo, 3, v26
	s_cbranch_vccnz .LBB169_1963
; %bb.1960:
	v_cmp_lt_i16_e32 vcc_lo, 3, v26
	s_cbranch_vccz .LBB169_1964
; %bb.1961:
	global_load_b64 v[14:15], v[12:13], off
	s_mov_b32 s2, 0
	s_mov_b64 s[0:1], 0
	s_waitcnt vmcnt(0)
	v_cvt_f64_i32_e32 v[15:16], v15
	v_cvt_f64_u32_e32 v[22:23], v14
	s_delay_alu instid0(VALU_DEP_2) | instskip(NEXT) | instid1(VALU_DEP_1)
	v_ldexp_f64 v[15:16], v[15:16], 32
	v_add_f64 v[14:15], v[15:16], v[22:23]
	s_branch .LBB169_1965
.LBB169_1962:
	s_mov_b32 s2, -1
                                        ; implicit-def: $sgpr0_sgpr1
                                        ; implicit-def: $vgpr14_vgpr15
	s_branch .LBB169_1971
.LBB169_1963:
	s_mov_b32 s2, -1
                                        ; implicit-def: $sgpr0_sgpr1
                                        ; implicit-def: $vgpr14_vgpr15
	s_branch .LBB169_1968
.LBB169_1964:
	s_mov_b32 s2, -1
                                        ; implicit-def: $sgpr0_sgpr1
                                        ; implicit-def: $vgpr14_vgpr15
.LBB169_1965:
	s_delay_alu instid0(SALU_CYCLE_1)
	s_and_not1_b32 vcc_lo, exec_lo, s2
	s_cbranch_vccnz .LBB169_1967
; %bb.1966:
	global_load_b32 v14, v[12:13], off
	s_mov_b64 s[0:1], 0
	s_waitcnt vmcnt(0)
	v_cvt_f64_i32_e32 v[14:15], v14
.LBB169_1967:
	s_mov_b32 s2, 0
.LBB169_1968:
	s_delay_alu instid0(SALU_CYCLE_1)
	s_and_not1_b32 vcc_lo, exec_lo, s2
	s_cbranch_vccnz .LBB169_1970
; %bb.1969:
	global_load_i16 v14, v[12:13], off
	s_mov_b64 s[0:1], 0
	s_waitcnt vmcnt(0)
	v_cvt_f64_i32_e32 v[14:15], v14
.LBB169_1970:
	s_mov_b32 s2, 0
.LBB169_1971:
	s_delay_alu instid0(SALU_CYCLE_1)
	s_and_not1_b32 vcc_lo, exec_lo, s2
	s_cbranch_vccnz .LBB169_1977
; %bb.1972:
	v_cmp_lt_i16_e32 vcc_lo, 0, v26
	s_mov_b32 s2, 0
	s_cbranch_vccz .LBB169_1974
; %bb.1973:
	global_load_i8 v14, v[12:13], off
	s_mov_b64 s[0:1], 0
	s_waitcnt vmcnt(0)
	v_cvt_f64_i32_e32 v[14:15], v14
	s_branch .LBB169_1975
.LBB169_1974:
	s_mov_b32 s2, -1
                                        ; implicit-def: $sgpr0_sgpr1
                                        ; implicit-def: $vgpr14_vgpr15
.LBB169_1975:
	s_delay_alu instid0(SALU_CYCLE_1)
	s_and_not1_b32 vcc_lo, exec_lo, s2
	s_cbranch_vccnz .LBB169_1977
; %bb.1976:
	global_load_u8 v12, v[12:13], off
	s_mov_b64 s[0:1], 0
	s_waitcnt vmcnt(0)
	v_cvt_f64_u32_e32 v[14:15], v12
.LBB169_1977:
	s_waitcnt vmcnt(0)
	v_dual_mov_b32 v17, s1 :: v_dual_mov_b32 v16, s0
.LBB169_1978:
	s_mov_b32 s2, -1
.LBB169_1979:
	s_delay_alu instid0(SALU_CYCLE_1)
	s_and_not1_b32 vcc_lo, exec_lo, s2
	s_cbranch_vccnz .LBB169_1996
; %bb.1980:
	s_waitcnt vmcnt(0)
	s_delay_alu instid0(VALU_DEP_1) | instskip(NEXT) | instid1(VALU_DEP_2)
	v_cmp_neq_f64_e32 vcc_lo, 0, v[14:15]
	v_cmp_neq_f64_e64 s0, 0, v[16:17]
	v_mov_b32_e32 v22, 0
	v_mov_b32_e32 v23, 0
	s_delay_alu instid0(VALU_DEP_3) | instskip(NEXT) | instid1(SALU_CYCLE_1)
	s_or_b32 s0, vcc_lo, s0
	s_and_saveexec_b32 s2, s0
	s_cbranch_execz .LBB169_2057
; %bb.1981:
	s_mov_b32 s0, 0
	s_mov_b32 s1, 0x7ff00000
	v_mov_b32_e32 v22, s0
	v_mov_b32_e32 v23, s1
	s_mov_b32 s3, exec_lo
	v_cmpx_neq_f64_e64 0x7ff00000, |v[16:17]|
	s_cbranch_execz .LBB169_2056
; %bb.1982:
	s_mov_b32 s0, exec_lo
	v_cmpx_o_f64_e32 v[14:15], v[14:15]
	s_xor_b32 s6, exec_lo, s0
	s_cbranch_execz .LBB169_2053
; %bb.1983:
	s_mov_b32 s1, exec_lo
	v_cmpx_neq_f64_e64 0x7ff00000, |v[14:15]|
	s_xor_b32 s7, exec_lo, s1
	s_cbranch_execz .LBB169_2046
; %bb.1984:
	v_max_f64 v[12:13], |v[16:17]|, |v[16:17]|
	v_max_f64 v[22:23], |v[14:15]|, |v[14:15]|
	s_mov_b32 s0, 0x99fcef32
	s_mov_b32 s1, 0x7fda8279
                                        ; implicit-def: $sgpr12
	s_delay_alu instid0(VALU_DEP_1) | instskip(NEXT) | instid1(VALU_DEP_1)
	v_max_f64 v[12:13], v[22:23], v[12:13]
	v_cmp_nle_f64_e64 s0, s[0:1], v[12:13]
	s_delay_alu instid0(VALU_DEP_1) | instskip(NEXT) | instid1(SALU_CYCLE_1)
	s_and_saveexec_b32 s1, s0
	s_xor_b32 s1, exec_lo, s1
	s_cbranch_execz .LBB169_1988
; %bb.1985:
	v_cmp_ge_f64_e64 s12, 0x200000, |v[14:15]|
	v_cmp_ge_f64_e64 s13, 0x200000, |v[16:17]|
	s_delay_alu instid0(VALU_DEP_1)
	s_and_b32 s14, s12, s13
	s_mov_b32 s12, 0
	s_and_saveexec_b32 s13, s14
; %bb.1986:
	v_mul_f64 v[14:15], v[14:15], 4.0
	v_mul_f64 v[16:17], v[16:17], 4.0
	s_mov_b32 s12, exec_lo
; %bb.1987:
	s_or_b32 exec_lo, exec_lo, s13
	s_delay_alu instid0(SALU_CYCLE_1)
	s_and_b32 s12, s12, exec_lo
.LBB169_1988:
	s_and_not1_saveexec_b32 s1, s1
; %bb.1989:
	s_delay_alu instid0(VALU_DEP_2) | instskip(NEXT) | instid1(VALU_DEP_2)
	v_ldexp_f64 v[14:15], v[14:15], -2
	v_ldexp_f64 v[16:17], v[16:17], -2
	s_and_not1_b32 s12, s12, exec_lo
; %bb.1990:
	s_or_b32 exec_lo, exec_lo, s1
	s_delay_alu instid0(VALU_DEP_1) | instskip(NEXT) | instid1(VALU_DEP_3)
	v_max_f64 v[12:13], |v[16:17]|, |v[16:17]|
	v_max_f64 v[22:23], |v[14:15]|, |v[14:15]|
	v_cmp_class_f64_e64 s13, v[14:15], 0x204
	v_cmp_class_f64_e64 s14, v[16:17], 0x204
	v_cmp_le_f64_e64 s1, 0, v[14:15]
	s_delay_alu instid0(VALU_DEP_4) | instskip(NEXT) | instid1(VALU_DEP_3)
	v_max_f64 v[12:13], v[22:23], v[12:13]
	s_or_b32 s13, s14, s13
	s_delay_alu instid0(VALU_DEP_1) | instskip(NEXT) | instid1(VALU_DEP_1)
	v_frexp_exp_i32_f64_e32 v28, v[12:13]
	v_sub_nc_u32_e32 v22, 0, v28
	s_delay_alu instid0(VALU_DEP_1) | instskip(SKIP_1) | instid1(VALU_DEP_2)
	v_ldexp_f64 v[12:13], |v[16:17]|, v22
	v_ldexp_f64 v[22:23], |v[14:15]|, v22
	v_mul_f64 v[12:13], v[12:13], v[12:13]
	s_delay_alu instid0(VALU_DEP_1) | instskip(NEXT) | instid1(VALU_DEP_1)
	v_fma_f64 v[12:13], v[22:23], v[22:23], v[12:13]
	v_rsq_f64_e32 v[22:23], v[12:13]
	v_cmp_eq_f64_e32 vcc_lo, 0, v[12:13]
	s_waitcnt_depctr 0xfff
	v_mul_f64 v[24:25], v[12:13], v[22:23]
	v_mul_f64 v[22:23], v[22:23], 0.5
	s_delay_alu instid0(VALU_DEP_1) | instskip(NEXT) | instid1(VALU_DEP_1)
	v_fma_f64 v[26:27], -v[22:23], v[24:25], 0.5
	v_fma_f64 v[24:25], v[24:25], v[26:27], v[24:25]
	v_fma_f64 v[22:23], v[22:23], v[26:27], v[22:23]
	s_delay_alu instid0(VALU_DEP_2) | instskip(NEXT) | instid1(VALU_DEP_1)
	v_fma_f64 v[26:27], -v[24:25], v[24:25], v[12:13]
	v_fma_f64 v[22:23], v[26:27], v[22:23], v[24:25]
	s_delay_alu instid0(VALU_DEP_1) | instskip(SKIP_1) | instid1(VALU_DEP_2)
	v_dual_cndmask_b32 v13, v23, v13 :: v_dual_cndmask_b32 v12, v22, v12
	v_cmp_o_f64_e32 vcc_lo, v[16:17], v[16:17]
	v_ldexp_f64 v[12:13], v[12:13], v28
	s_delay_alu instid0(VALU_DEP_1) | instskip(NEXT) | instid1(VALU_DEP_2)
	v_cndmask_b32_e32 v12, 0, v12, vcc_lo
	v_cndmask_b32_e32 v13, 0x7ff80000, v13, vcc_lo
	s_delay_alu instid0(VALU_DEP_2) | instskip(NEXT) | instid1(VALU_DEP_2)
	v_cndmask_b32_e64 v12, v12, 0, s13
	v_cndmask_b32_e64 v13, v13, 0x7ff00000, s13
	s_and_saveexec_b32 s13, s1
	s_delay_alu instid0(SALU_CYCLE_1)
	s_xor_b32 s1, exec_lo, s13
	s_cbranch_execz .LBB169_2041
; %bb.1991:
	s_delay_alu instid0(VALU_DEP_1) | instskip(NEXT) | instid1(VALU_DEP_1)
	v_add_f64 v[12:13], v[14:15], v[12:13]
	v_mul_f64 v[12:13], v[12:13], 0.5
	s_delay_alu instid0(VALU_DEP_1) | instskip(SKIP_1) | instid1(VALU_DEP_1)
	v_cmp_gt_f64_e32 vcc_lo, 0x10000000, v[12:13]
	v_cndmask_b32_e64 v14, 0, 1, vcc_lo
	v_lshlrev_b32_e32 v14, 8, v14
	s_delay_alu instid0(VALU_DEP_1) | instskip(NEXT) | instid1(VALU_DEP_1)
	v_ldexp_f64 v[12:13], v[12:13], v14
	v_rsq_f64_e32 v[14:15], v[12:13]
	s_waitcnt_depctr 0xfff
	v_mul_f64 v[22:23], v[12:13], v[14:15]
	v_mul_f64 v[14:15], v[14:15], 0.5
	s_delay_alu instid0(VALU_DEP_1) | instskip(NEXT) | instid1(VALU_DEP_1)
	v_fma_f64 v[24:25], -v[14:15], v[22:23], 0.5
	v_fma_f64 v[22:23], v[22:23], v[24:25], v[22:23]
	v_fma_f64 v[14:15], v[14:15], v[24:25], v[14:15]
	s_delay_alu instid0(VALU_DEP_2) | instskip(NEXT) | instid1(VALU_DEP_1)
	v_fma_f64 v[24:25], -v[22:23], v[22:23], v[12:13]
	v_fma_f64 v[22:23], v[24:25], v[14:15], v[22:23]
	s_delay_alu instid0(VALU_DEP_1) | instskip(NEXT) | instid1(VALU_DEP_1)
	v_fma_f64 v[24:25], -v[22:23], v[22:23], v[12:13]
	v_fma_f64 v[14:15], v[24:25], v[14:15], v[22:23]
	v_cndmask_b32_e64 v22, 0, 0xffffff80, vcc_lo
	v_cmp_class_f64_e64 vcc_lo, v[12:13], 0x260
	s_delay_alu instid0(VALU_DEP_2) | instskip(NEXT) | instid1(VALU_DEP_1)
	v_ldexp_f64 v[14:15], v[14:15], v22
	v_dual_cndmask_b32 v15, v15, v13 :: v_dual_cndmask_b32 v14, v14, v12
	s_delay_alu instid0(VALU_DEP_1) | instskip(NEXT) | instid1(VALU_DEP_1)
	v_add_f64 v[12:13], v[14:15], v[14:15]
	v_div_scale_f64 v[22:23], null, v[12:13], v[12:13], v[16:17]
	s_delay_alu instid0(VALU_DEP_1) | instskip(SKIP_2) | instid1(VALU_DEP_1)
	v_rcp_f64_e32 v[24:25], v[22:23]
	s_waitcnt_depctr 0xfff
	v_fma_f64 v[26:27], -v[22:23], v[24:25], 1.0
	v_fma_f64 v[24:25], v[24:25], v[26:27], v[24:25]
	s_delay_alu instid0(VALU_DEP_1) | instskip(NEXT) | instid1(VALU_DEP_1)
	v_fma_f64 v[26:27], -v[22:23], v[24:25], 1.0
	v_fma_f64 v[24:25], v[24:25], v[26:27], v[24:25]
	v_div_scale_f64 v[26:27], vcc_lo, v[16:17], v[12:13], v[16:17]
	s_delay_alu instid0(VALU_DEP_1) | instskip(NEXT) | instid1(VALU_DEP_1)
	v_mul_f64 v[28:29], v[26:27], v[24:25]
	v_fma_f64 v[22:23], -v[22:23], v[28:29], v[26:27]
	s_delay_alu instid0(VALU_DEP_1) | instskip(NEXT) | instid1(VALU_DEP_1)
	v_div_fmas_f64 v[22:23], v[22:23], v[24:25], v[28:29]
	v_div_fixup_f64 v[16:17], v[22:23], v[12:13], v[16:17]
                                        ; implicit-def: $vgpr12_vgpr13
	s_and_not1_saveexec_b32 s1, s1
	s_cbranch_execnz .LBB169_2042
.LBB169_1992:
	s_or_b32 exec_lo, exec_lo, s1
	s_and_saveexec_b32 s1, s0
	s_delay_alu instid0(SALU_CYCLE_1)
	s_xor_b32 s0, exec_lo, s1
	s_cbranch_execz .LBB169_2043
.LBB169_1993:
	s_and_saveexec_b32 s1, s12
; %bb.1994:
	s_delay_alu instid0(VALU_DEP_2) | instskip(NEXT) | instid1(VALU_DEP_2)
	v_mul_f64 v[14:15], v[14:15], 0.5
	v_mul_f64 v[16:17], v[16:17], 0.5
; %bb.1995:
	s_or_b32 exec_lo, exec_lo, s1
	s_and_not1_saveexec_b32 s0, s0
	s_cbranch_execnz .LBB169_2044
	s_branch .LBB169_2045
.LBB169_1996:
	s_mov_b32 s0, 0
	s_mov_b32 s1, 0
                                        ; implicit-def: $vgpr0_vgpr1
                                        ; implicit-def: $vgpr22
                                        ; implicit-def: $vgpr14_vgpr15
.LBB169_1997:
	s_and_b32 s2, s0, exec_lo
	s_and_not1_b32 s0, s8, exec_lo
	s_and_b32 s3, s10, exec_lo
	s_and_b32 s26, s1, exec_lo
	s_or_b32 s8, s0, s3
.LBB169_1998:
	s_or_b32 exec_lo, exec_lo, s9
	s_and_saveexec_b32 s0, s8
	s_cbranch_execz .LBB169_2001
; %bb.1999:
	; divergent unreachable
	s_or_b32 exec_lo, exec_lo, s0
	s_and_saveexec_b32 s0, s26
	s_delay_alu instid0(SALU_CYCLE_1)
	s_xor_b32 s1, exec_lo, s0
	s_cbranch_execnz .LBB169_2002
.LBB169_2000:
	s_or_b32 exec_lo, exec_lo, s1
	s_and_saveexec_b32 s0, s2
	s_cbranch_execnz .LBB169_2003
	s_branch .LBB169_2040
.LBB169_2001:
	s_or_b32 exec_lo, exec_lo, s0
	s_and_saveexec_b32 s0, s26
	s_delay_alu instid0(SALU_CYCLE_1)
	s_xor_b32 s1, exec_lo, s0
	s_cbranch_execz .LBB169_2000
.LBB169_2002:
	s_waitcnt vmcnt(0)
	s_delay_alu instid0(VALU_DEP_1) | instskip(NEXT) | instid1(VALU_DEP_2)
	v_cmp_neq_f64_e32 vcc_lo, 0, v[12:13]
	v_cmp_neq_f64_e64 s0, 0, v[14:15]
	s_delay_alu instid0(VALU_DEP_1) | instskip(NEXT) | instid1(SALU_CYCLE_1)
	s_or_b32 s0, vcc_lo, s0
	v_cndmask_b32_e64 v2, 0, 1, s0
	global_store_b8 v[0:1], v2, off
	s_or_b32 exec_lo, exec_lo, s1
	s_and_saveexec_b32 s0, s2
	s_cbranch_execz .LBB169_2040
.LBB169_2003:
	v_cmp_gt_i16_e32 vcc_lo, 5, v22
	s_mov_b32 s0, -1
	s_cbranch_vccnz .LBB169_2024
; %bb.2004:
	v_cmp_gt_i16_e32 vcc_lo, 8, v22
	s_cbranch_vccnz .LBB169_2014
; %bb.2005:
	v_cmp_gt_i16_e32 vcc_lo, 9, v22
	s_cbranch_vccnz .LBB169_2011
; %bb.2006:
	v_cmp_lt_i16_e32 vcc_lo, 9, v22
	s_cbranch_vccz .LBB169_2008
; %bb.2007:
	s_mov_b32 s0, 0
	s_waitcnt vmcnt(0)
	global_store_b128 v[0:1], v[12:15], off
.LBB169_2008:
	s_and_not1_b32 vcc_lo, exec_lo, s0
	s_cbranch_vccnz .LBB169_2010
; %bb.2009:
	s_waitcnt vmcnt(0)
	v_cvt_f32_f64_e32 v2, v[12:13]
	v_cvt_f32_f64_e32 v3, v[14:15]
	global_store_b64 v[0:1], v[2:3], off
.LBB169_2010:
	s_mov_b32 s0, 0
.LBB169_2011:
	s_delay_alu instid0(SALU_CYCLE_1)
	s_and_not1_b32 vcc_lo, exec_lo, s0
	s_cbranch_vccnz .LBB169_2013
; %bb.2012:
	s_waitcnt vmcnt(0)
	s_delay_alu instid0(VALU_DEP_4) | instskip(SKIP_1) | instid1(VALU_DEP_2)
	v_cvt_f32_f64_e32 v2, v[14:15]
	v_cvt_f32_f64_e32 v3, v[12:13]
	v_cvt_f16_f32_e32 v2, v2
	s_delay_alu instid0(VALU_DEP_2) | instskip(NEXT) | instid1(VALU_DEP_2)
	v_cvt_f16_f32_e32 v3, v3
	v_lshlrev_b32_e32 v2, 16, v2
	s_delay_alu instid0(VALU_DEP_2) | instskip(NEXT) | instid1(VALU_DEP_1)
	v_and_b32_e32 v3, 0xffff, v3
	v_or_b32_e32 v2, v2, v3
	global_store_b32 v[0:1], v2, off
.LBB169_2013:
	s_mov_b32 s0, 0
.LBB169_2014:
	s_delay_alu instid0(SALU_CYCLE_1)
	s_and_not1_b32 vcc_lo, exec_lo, s0
	s_cbranch_vccnz .LBB169_2023
; %bb.2015:
	v_cmp_gt_i16_e32 vcc_lo, 6, v22
	s_mov_b32 s0, -1
	s_cbranch_vccnz .LBB169_2021
; %bb.2016:
	v_cmp_lt_i16_e32 vcc_lo, 6, v22
	s_cbranch_vccz .LBB169_2018
; %bb.2017:
	s_mov_b32 s0, 0
	s_waitcnt vmcnt(0)
	global_store_b64 v[0:1], v[12:13], off
.LBB169_2018:
	s_and_not1_b32 vcc_lo, exec_lo, s0
	s_cbranch_vccnz .LBB169_2020
; %bb.2019:
	s_waitcnt vmcnt(0)
	v_cvt_f32_f64_e32 v2, v[12:13]
	global_store_b32 v[0:1], v2, off
.LBB169_2020:
	s_mov_b32 s0, 0
.LBB169_2021:
	s_delay_alu instid0(SALU_CYCLE_1)
	s_and_not1_b32 vcc_lo, exec_lo, s0
	s_cbranch_vccnz .LBB169_2023
; %bb.2022:
	s_waitcnt vmcnt(0)
	v_cvt_f32_f64_e32 v2, v[12:13]
	s_delay_alu instid0(VALU_DEP_1)
	v_cvt_f16_f32_e32 v2, v2
	global_store_b16 v[0:1], v2, off
.LBB169_2023:
	s_mov_b32 s0, 0
.LBB169_2024:
	s_delay_alu instid0(SALU_CYCLE_1)
	s_and_not1_b32 vcc_lo, exec_lo, s0
	s_cbranch_vccnz .LBB169_2040
; %bb.2025:
	v_cmp_gt_i16_e32 vcc_lo, 2, v22
	s_mov_b32 s0, -1
	s_cbranch_vccnz .LBB169_2035
; %bb.2026:
	v_cmp_gt_i16_e32 vcc_lo, 3, v22
	s_cbranch_vccnz .LBB169_2032
; %bb.2027:
	v_cmp_lt_i16_e32 vcc_lo, 3, v22
	s_cbranch_vccz .LBB169_2029
; %bb.2028:
	s_waitcnt vmcnt(0)
	v_trunc_f64_e32 v[2:3], v[12:13]
	s_mov_b32 s0, 0
	s_delay_alu instid0(VALU_DEP_1) | instskip(NEXT) | instid1(VALU_DEP_1)
	v_ldexp_f64 v[4:5], v[2:3], 0xffffffe0
	v_floor_f64_e32 v[4:5], v[4:5]
	s_delay_alu instid0(VALU_DEP_1) | instskip(SKIP_1) | instid1(VALU_DEP_2)
	v_fma_f64 v[2:3], 0xc1f00000, v[4:5], v[2:3]
	v_cvt_i32_f64_e32 v4, v[4:5]
	v_cvt_u32_f64_e32 v3, v[2:3]
	global_store_b64 v[0:1], v[3:4], off
.LBB169_2029:
	s_and_not1_b32 vcc_lo, exec_lo, s0
	s_cbranch_vccnz .LBB169_2031
; %bb.2030:
	s_waitcnt vmcnt(0)
	v_cvt_i32_f64_e32 v2, v[12:13]
	global_store_b32 v[0:1], v2, off
.LBB169_2031:
	s_mov_b32 s0, 0
.LBB169_2032:
	s_delay_alu instid0(SALU_CYCLE_1)
	s_and_not1_b32 vcc_lo, exec_lo, s0
	s_cbranch_vccnz .LBB169_2034
; %bb.2033:
	s_waitcnt vmcnt(0)
	v_cvt_i32_f64_e32 v2, v[12:13]
	global_store_b16 v[0:1], v2, off
.LBB169_2034:
	s_mov_b32 s0, 0
.LBB169_2035:
	s_delay_alu instid0(SALU_CYCLE_1)
	s_and_not1_b32 vcc_lo, exec_lo, s0
	s_cbranch_vccnz .LBB169_2040
; %bb.2036:
	v_cmp_lt_i16_e32 vcc_lo, 0, v22
	s_mov_b32 s0, -1
	s_cbranch_vccz .LBB169_2038
; %bb.2037:
	s_waitcnt vmcnt(0)
	v_cvt_i32_f64_e32 v2, v[12:13]
	s_mov_b32 s0, 0
	global_store_b8 v[0:1], v2, off
.LBB169_2038:
	s_and_not1_b32 vcc_lo, exec_lo, s0
	s_cbranch_vccnz .LBB169_2040
; %bb.2039:
	s_waitcnt vmcnt(0)
	v_trunc_f64_e32 v[2:3], v[12:13]
	s_delay_alu instid0(VALU_DEP_1) | instskip(NEXT) | instid1(VALU_DEP_1)
	v_ldexp_f64 v[4:5], v[2:3], 0xffffffe0
	v_floor_f64_e32 v[4:5], v[4:5]
	s_delay_alu instid0(VALU_DEP_1) | instskip(NEXT) | instid1(VALU_DEP_1)
	v_fma_f64 v[2:3], 0xc1f00000, v[4:5], v[2:3]
	v_cvt_u32_f64_e32 v2, v[2:3]
	global_store_b8 v[0:1], v2, off
	s_nop 0
	s_sendmsg sendmsg(MSG_DEALLOC_VGPRS)
	s_endpgm
.LBB169_2040:
	s_nop 0
	s_sendmsg sendmsg(MSG_DEALLOC_VGPRS)
	s_endpgm
.LBB169_2041:
	s_and_not1_saveexec_b32 s1, s1
	s_cbranch_execz .LBB169_1992
.LBB169_2042:
	v_add_f64 v[12:13], v[12:13], -v[14:15]
	s_delay_alu instid0(VALU_DEP_1) | instskip(NEXT) | instid1(VALU_DEP_1)
	v_mul_f64 v[12:13], v[12:13], 0.5
	v_cmp_gt_f64_e32 vcc_lo, 0x10000000, v[12:13]
	v_cndmask_b32_e64 v14, 0, 1, vcc_lo
	s_delay_alu instid0(VALU_DEP_1) | instskip(NEXT) | instid1(VALU_DEP_1)
	v_lshlrev_b32_e32 v14, 8, v14
	v_ldexp_f64 v[12:13], v[12:13], v14
	s_delay_alu instid0(VALU_DEP_1) | instskip(SKIP_3) | instid1(VALU_DEP_1)
	v_rsq_f64_e32 v[14:15], v[12:13]
	s_waitcnt_depctr 0xfff
	v_mul_f64 v[22:23], v[12:13], v[14:15]
	v_mul_f64 v[14:15], v[14:15], 0.5
	v_fma_f64 v[24:25], -v[14:15], v[22:23], 0.5
	s_delay_alu instid0(VALU_DEP_1) | instskip(SKIP_1) | instid1(VALU_DEP_2)
	v_fma_f64 v[22:23], v[22:23], v[24:25], v[22:23]
	v_fma_f64 v[14:15], v[14:15], v[24:25], v[14:15]
	v_fma_f64 v[24:25], -v[22:23], v[22:23], v[12:13]
	s_delay_alu instid0(VALU_DEP_1) | instskip(NEXT) | instid1(VALU_DEP_1)
	v_fma_f64 v[22:23], v[24:25], v[14:15], v[22:23]
	v_fma_f64 v[24:25], -v[22:23], v[22:23], v[12:13]
	s_delay_alu instid0(VALU_DEP_1) | instskip(SKIP_3) | instid1(VALU_DEP_3)
	v_fma_f64 v[14:15], v[24:25], v[14:15], v[22:23]
	v_cndmask_b32_e64 v22, 0, 0xffffff80, vcc_lo
	v_cmp_class_f64_e64 vcc_lo, v[12:13], 0x260
	v_and_b32_e32 v23, 0x7fffffff, v17
	v_ldexp_f64 v[14:15], v[14:15], v22
	s_delay_alu instid0(VALU_DEP_1) | instskip(NEXT) | instid1(VALU_DEP_1)
	v_dual_cndmask_b32 v13, v15, v13 :: v_dual_cndmask_b32 v12, v14, v12
	v_add_f64 v[14:15], v[12:13], v[12:13]
	v_bfi_b32 v13, 0x7fffffff, v13, v17
	v_mov_b32_e32 v22, v16
	s_delay_alu instid0(VALU_DEP_1) | instskip(SKIP_1) | instid1(VALU_DEP_2)
	v_div_scale_f64 v[24:25], null, v[14:15], v[14:15], v[22:23]
	v_div_scale_f64 v[22:23], vcc_lo, v[22:23], v[14:15], v[22:23]
	v_rcp_f64_e32 v[26:27], v[24:25]
	s_waitcnt_depctr 0xfff
	v_fma_f64 v[28:29], -v[24:25], v[26:27], 1.0
	s_delay_alu instid0(VALU_DEP_1) | instskip(NEXT) | instid1(VALU_DEP_1)
	v_fma_f64 v[26:27], v[26:27], v[28:29], v[26:27]
	v_fma_f64 v[28:29], -v[24:25], v[26:27], 1.0
	s_delay_alu instid0(VALU_DEP_1) | instskip(NEXT) | instid1(VALU_DEP_1)
	v_fma_f64 v[26:27], v[26:27], v[28:29], v[26:27]
	v_mul_f64 v[28:29], v[22:23], v[26:27]
	s_delay_alu instid0(VALU_DEP_1) | instskip(NEXT) | instid1(VALU_DEP_1)
	v_fma_f64 v[22:23], -v[24:25], v[28:29], v[22:23]
	v_div_fmas_f64 v[22:23], v[22:23], v[26:27], v[28:29]
	s_delay_alu instid0(VALU_DEP_1) | instskip(SKIP_3) | instid1(SALU_CYCLE_1)
	v_div_fixup_f64 v[14:15], v[22:23], v[14:15], |v[16:17]|
	v_dual_mov_b32 v17, v13 :: v_dual_mov_b32 v16, v12
	s_or_b32 exec_lo, exec_lo, s1
	s_and_saveexec_b32 s1, s0
	s_xor_b32 s0, exec_lo, s1
	s_cbranch_execnz .LBB169_1993
.LBB169_2043:
	s_and_not1_saveexec_b32 s0, s0
.LBB169_2044:
	s_delay_alu instid0(VALU_DEP_2) | instskip(NEXT) | instid1(VALU_DEP_2)
	v_add_f64 v[14:15], v[14:15], v[14:15]
	v_add_f64 v[16:17], v[16:17], v[16:17]
.LBB169_2045:
	s_or_b32 exec_lo, exec_lo, s0
.LBB169_2046:
	s_and_not1_saveexec_b32 s0, s7
	s_cbranch_execz .LBB169_2052
; %bb.2047:
	s_delay_alu instid0(VALU_DEP_1) | instskip(SKIP_1) | instid1(VALU_DEP_3)
	v_add_f64 v[12:13], v[16:17], -v[16:17]
	s_mov_b32 s1, exec_lo
	v_cmpx_lt_i64_e32 -1, v[14:15]
	s_xor_b32 s1, exec_lo, s1
; %bb.2048:
	s_delay_alu instid0(VALU_DEP_2) | instskip(NEXT) | instid1(VALU_DEP_1)
	v_bfi_b32 v13, 0x7fffffff, v13, v17
	v_dual_mov_b32 v17, v13 :: v_dual_mov_b32 v16, v12
                                        ; implicit-def: $vgpr12_vgpr13
; %bb.2049:
	s_and_not1_saveexec_b32 s1, s1
; %bb.2050:
	s_delay_alu instid0(VALU_DEP_1) | instskip(SKIP_1) | instid1(VALU_DEP_2)
	v_bfi_b32 v15, 0x7fffffff, v15, v17
	v_and_b32_e32 v13, 0x7fffffff, v13
	v_dual_mov_b32 v17, v15 :: v_dual_mov_b32 v16, v14
	s_delay_alu instid0(VALU_DEP_2)
	v_dual_mov_b32 v15, v13 :: v_dual_mov_b32 v14, v12
; %bb.2051:
	s_or_b32 exec_lo, exec_lo, s1
.LBB169_2052:
	s_delay_alu instid0(SALU_CYCLE_1)
	s_or_b32 exec_lo, exec_lo, s0
.LBB169_2053:
	s_and_not1_saveexec_b32 s0, s6
; %bb.2054:
	s_delay_alu instid0(VALU_DEP_1) | instskip(NEXT) | instid1(VALU_DEP_1)
	v_add_f64 v[12:13], v[16:17], -v[16:17]
	v_div_scale_f64 v[16:17], vcc_lo, v[12:13], v[12:13], v[12:13]
	s_delay_alu instid0(VALU_DEP_1) | instskip(SKIP_2) | instid1(VALU_DEP_1)
	v_rcp_f64_e32 v[22:23], v[16:17]
	s_waitcnt_depctr 0xfff
	v_fma_f64 v[24:25], -v[16:17], v[22:23], 1.0
	v_fma_f64 v[22:23], v[22:23], v[24:25], v[22:23]
	s_delay_alu instid0(VALU_DEP_1) | instskip(NEXT) | instid1(VALU_DEP_1)
	v_fma_f64 v[24:25], -v[16:17], v[22:23], 1.0
	v_fma_f64 v[22:23], v[22:23], v[24:25], v[22:23]
	s_delay_alu instid0(VALU_DEP_1) | instskip(NEXT) | instid1(VALU_DEP_1)
	v_mul_f64 v[24:25], v[16:17], v[22:23]
	v_fma_f64 v[16:17], -v[16:17], v[24:25], v[16:17]
	s_delay_alu instid0(VALU_DEP_1) | instskip(NEXT) | instid1(VALU_DEP_1)
	v_div_fmas_f64 v[16:17], v[16:17], v[22:23], v[24:25]
	v_div_fixup_f64 v[16:17], v[16:17], v[12:13], v[12:13]
; %bb.2055:
	s_or_b32 exec_lo, exec_lo, s0
	v_dual_mov_b32 v23, v15 :: v_dual_mov_b32 v22, v14
.LBB169_2056:
	s_or_b32 exec_lo, exec_lo, s3
.LBB169_2057:
	s_delay_alu instid0(SALU_CYCLE_1) | instskip(NEXT) | instid1(VALU_DEP_1)
	s_or_b32 exec_lo, exec_lo, s2
	v_cmp_gt_f64_e32 vcc_lo, 0, v[22:23]
	s_delay_alu instid0(VALU_DEP_3) | instskip(SKIP_2) | instid1(VALU_DEP_2)
	v_cmp_gt_f64_e64 s0, 0, v[16:17]
	v_xor_b32_e32 v12, 0x80000000, v23
	v_xor_b32_e32 v13, 0x80000000, v17
                                        ; implicit-def: $vgpr14_vgpr15
	v_dual_cndmask_b32 v25, v23, v12 :: v_dual_cndmask_b32 v24, v22, v22
	s_delay_alu instid0(VALU_DEP_2) | instskip(SKIP_2) | instid1(VALU_DEP_1)
	v_cndmask_b32_e64 v27, v17, v13, s0
	v_cndmask_b32_e64 v26, v16, v16, s0
	s_mov_b32 s0, exec_lo
	v_cmpx_ge_f64_e32 v[24:25], v[26:27]
	s_xor_b32 s1, exec_lo, s0
	s_cbranch_execz .LBB169_2063
; %bb.2058:
	v_cmp_neq_f64_e32 vcc_lo, 0, v[22:23]
	v_cmp_neq_f64_e64 s0, 0, v[16:17]
                                        ; implicit-def: $vgpr14_vgpr15
	s_delay_alu instid0(VALU_DEP_1) | instskip(NEXT) | instid1(SALU_CYCLE_1)
	s_or_b32 s0, vcc_lo, s0
	s_and_saveexec_b32 s2, s0
	s_delay_alu instid0(SALU_CYCLE_1)
	s_xor_b32 s0, exec_lo, s2
	s_cbranch_execz .LBB169_2060
; %bb.2059:
	v_div_scale_f64 v[12:13], null, v[22:23], v[22:23], v[16:17]
	v_div_scale_f64 v[26:27], vcc_lo, v[16:17], v[22:23], v[16:17]
	s_delay_alu instid0(VALU_DEP_2) | instskip(SKIP_2) | instid1(VALU_DEP_1)
	v_rcp_f64_e32 v[14:15], v[12:13]
	s_waitcnt_depctr 0xfff
	v_fma_f64 v[24:25], -v[12:13], v[14:15], 1.0
	v_fma_f64 v[14:15], v[14:15], v[24:25], v[14:15]
	s_delay_alu instid0(VALU_DEP_1) | instskip(NEXT) | instid1(VALU_DEP_1)
	v_fma_f64 v[24:25], -v[12:13], v[14:15], 1.0
	v_fma_f64 v[14:15], v[14:15], v[24:25], v[14:15]
	s_delay_alu instid0(VALU_DEP_1) | instskip(NEXT) | instid1(VALU_DEP_1)
	v_mul_f64 v[24:25], v[26:27], v[14:15]
	v_fma_f64 v[12:13], -v[12:13], v[24:25], v[26:27]
	s_delay_alu instid0(VALU_DEP_1) | instskip(NEXT) | instid1(VALU_DEP_1)
	v_div_fmas_f64 v[12:13], v[12:13], v[14:15], v[24:25]
	v_div_fixup_f64 v[12:13], v[12:13], v[22:23], v[16:17]
	s_delay_alu instid0(VALU_DEP_1) | instskip(NEXT) | instid1(VALU_DEP_1)
	v_fma_f64 v[14:15], v[16:17], v[12:13], v[22:23]
	v_div_scale_f64 v[16:17], null, v[14:15], v[14:15], 1.0
	v_div_scale_f64 v[26:27], vcc_lo, 1.0, v[14:15], 1.0
	s_delay_alu instid0(VALU_DEP_2) | instskip(SKIP_2) | instid1(VALU_DEP_1)
	v_rcp_f64_e32 v[22:23], v[16:17]
	s_waitcnt_depctr 0xfff
	v_fma_f64 v[24:25], -v[16:17], v[22:23], 1.0
	v_fma_f64 v[22:23], v[22:23], v[24:25], v[22:23]
	s_delay_alu instid0(VALU_DEP_1) | instskip(NEXT) | instid1(VALU_DEP_1)
	v_fma_f64 v[24:25], -v[16:17], v[22:23], 1.0
	v_fma_f64 v[22:23], v[22:23], v[24:25], v[22:23]
	s_delay_alu instid0(VALU_DEP_1) | instskip(NEXT) | instid1(VALU_DEP_1)
	v_mul_f64 v[24:25], v[26:27], v[22:23]
	v_fma_f64 v[16:17], -v[16:17], v[24:25], v[26:27]
                                        ; implicit-def: $vgpr26_vgpr27
	s_delay_alu instid0(VALU_DEP_1) | instskip(SKIP_1) | instid1(VALU_DEP_2)
	v_div_fmas_f64 v[16:17], v[16:17], v[22:23], v[24:25]
	v_fma_f64 v[22:23], v[12:13], 0, 1.0
                                        ; implicit-def: $vgpr24_vgpr25
	v_div_fixup_f64 v[14:15], v[16:17], v[14:15], 1.0
	v_add_f64 v[16:17], -v[12:13], 0
	s_delay_alu instid0(VALU_DEP_2) | instskip(NEXT) | instid1(VALU_DEP_2)
	v_mul_f64 v[12:13], v[22:23], v[14:15]
	v_mul_f64 v[14:15], v[16:17], v[14:15]
.LBB169_2060:
	s_and_not1_saveexec_b32 s2, s0
	s_cbranch_execz .LBB169_2062
; %bb.2061:
	v_div_scale_f64 v[12:13], null, v[24:25], v[24:25], 1.0
	v_div_scale_f64 v[14:15], null, v[26:27], v[26:27], 0
	v_div_scale_f64 v[32:33], vcc_lo, 1.0, v[24:25], 1.0
	s_delay_alu instid0(VALU_DEP_3) | instskip(NEXT) | instid1(VALU_DEP_2)
	v_rcp_f64_e32 v[16:17], v[12:13]
	v_rcp_f64_e32 v[22:23], v[14:15]
	s_waitcnt_depctr 0xfff
	v_fma_f64 v[28:29], -v[12:13], v[16:17], 1.0
	v_fma_f64 v[30:31], -v[14:15], v[22:23], 1.0
	s_delay_alu instid0(VALU_DEP_2) | instskip(NEXT) | instid1(VALU_DEP_2)
	v_fma_f64 v[16:17], v[16:17], v[28:29], v[16:17]
	v_fma_f64 v[22:23], v[22:23], v[30:31], v[22:23]
	s_delay_alu instid0(VALU_DEP_2) | instskip(NEXT) | instid1(VALU_DEP_2)
	v_fma_f64 v[28:29], -v[12:13], v[16:17], 1.0
	v_fma_f64 v[30:31], -v[14:15], v[22:23], 1.0
	s_delay_alu instid0(VALU_DEP_2) | instskip(SKIP_1) | instid1(VALU_DEP_3)
	v_fma_f64 v[16:17], v[16:17], v[28:29], v[16:17]
	v_div_scale_f64 v[28:29], s0, 0, v[26:27], 0
	v_fma_f64 v[22:23], v[22:23], v[30:31], v[22:23]
	s_delay_alu instid0(VALU_DEP_3) | instskip(NEXT) | instid1(VALU_DEP_2)
	v_mul_f64 v[30:31], v[32:33], v[16:17]
	v_mul_f64 v[34:35], v[28:29], v[22:23]
	s_delay_alu instid0(VALU_DEP_2) | instskip(NEXT) | instid1(VALU_DEP_2)
	v_fma_f64 v[12:13], -v[12:13], v[30:31], v[32:33]
	v_fma_f64 v[14:15], -v[14:15], v[34:35], v[28:29]
	s_delay_alu instid0(VALU_DEP_2) | instskip(SKIP_1) | instid1(VALU_DEP_2)
	v_div_fmas_f64 v[12:13], v[12:13], v[16:17], v[30:31]
	s_mov_b32 vcc_lo, s0
	v_div_fmas_f64 v[14:15], v[14:15], v[22:23], v[34:35]
	s_delay_alu instid0(VALU_DEP_2) | instskip(NEXT) | instid1(VALU_DEP_2)
	v_div_fixup_f64 v[12:13], v[12:13], v[24:25], 1.0
	v_div_fixup_f64 v[14:15], v[14:15], v[26:27], 0
.LBB169_2062:
	s_or_b32 exec_lo, exec_lo, s2
                                        ; implicit-def: $vgpr16_vgpr17
                                        ; implicit-def: $vgpr22_vgpr23
.LBB169_2063:
	s_and_not1_saveexec_b32 s0, s1
	s_cbranch_execz .LBB169_2065
; %bb.2064:
	v_div_scale_f64 v[12:13], null, v[16:17], v[16:17], v[22:23]
	v_div_scale_f64 v[26:27], vcc_lo, v[22:23], v[16:17], v[22:23]
	s_delay_alu instid0(VALU_DEP_2) | instskip(SKIP_2) | instid1(VALU_DEP_1)
	v_rcp_f64_e32 v[14:15], v[12:13]
	s_waitcnt_depctr 0xfff
	v_fma_f64 v[24:25], -v[12:13], v[14:15], 1.0
	v_fma_f64 v[14:15], v[14:15], v[24:25], v[14:15]
	s_delay_alu instid0(VALU_DEP_1) | instskip(NEXT) | instid1(VALU_DEP_1)
	v_fma_f64 v[24:25], -v[12:13], v[14:15], 1.0
	v_fma_f64 v[14:15], v[14:15], v[24:25], v[14:15]
	s_delay_alu instid0(VALU_DEP_1) | instskip(NEXT) | instid1(VALU_DEP_1)
	v_mul_f64 v[24:25], v[26:27], v[14:15]
	v_fma_f64 v[12:13], -v[12:13], v[24:25], v[26:27]
	s_delay_alu instid0(VALU_DEP_1) | instskip(NEXT) | instid1(VALU_DEP_1)
	v_div_fmas_f64 v[12:13], v[12:13], v[14:15], v[24:25]
	v_div_fixup_f64 v[12:13], v[12:13], v[16:17], v[22:23]
	s_delay_alu instid0(VALU_DEP_1) | instskip(NEXT) | instid1(VALU_DEP_1)
	v_fma_f64 v[14:15], v[22:23], v[12:13], v[16:17]
	v_div_scale_f64 v[16:17], null, v[14:15], v[14:15], 1.0
	v_div_scale_f64 v[26:27], vcc_lo, 1.0, v[14:15], 1.0
	s_delay_alu instid0(VALU_DEP_2) | instskip(SKIP_2) | instid1(VALU_DEP_1)
	v_rcp_f64_e32 v[22:23], v[16:17]
	s_waitcnt_depctr 0xfff
	v_fma_f64 v[24:25], -v[16:17], v[22:23], 1.0
	v_fma_f64 v[22:23], v[22:23], v[24:25], v[22:23]
	s_delay_alu instid0(VALU_DEP_1) | instskip(NEXT) | instid1(VALU_DEP_1)
	v_fma_f64 v[24:25], -v[16:17], v[22:23], 1.0
	v_fma_f64 v[22:23], v[22:23], v[24:25], v[22:23]
	s_delay_alu instid0(VALU_DEP_1) | instskip(NEXT) | instid1(VALU_DEP_1)
	v_mul_f64 v[24:25], v[26:27], v[22:23]
	v_fma_f64 v[16:17], -v[16:17], v[24:25], v[26:27]
	s_delay_alu instid0(VALU_DEP_1) | instskip(SKIP_1) | instid1(VALU_DEP_2)
	v_div_fmas_f64 v[16:17], v[16:17], v[22:23], v[24:25]
	v_add_f64 v[22:23], v[12:13], 0
	v_div_fixup_f64 v[14:15], v[16:17], v[14:15], 1.0
	v_fma_f64 v[16:17], v[12:13], 0, -1.0
	s_delay_alu instid0(VALU_DEP_2) | instskip(NEXT) | instid1(VALU_DEP_2)
	v_mul_f64 v[12:13], v[22:23], v[14:15]
	v_mul_f64 v[14:15], v[16:17], v[14:15]
.LBB169_2065:
	s_or_b32 exec_lo, exec_lo, s0
	s_lshr_b32 s0, s11, 8
	s_mov_b32 s2, 0
	v_and_b32_e64 v22, 0xff, s0
	v_add_co_u32 v16, s0, s4, v21
	s_delay_alu instid0(VALU_DEP_1) | instskip(NEXT) | instid1(VALU_DEP_3)
	v_add_co_ci_u32_e64 v17, null, s5, 0, s0
	v_cmp_gt_i16_e32 vcc_lo, 11, v22
	s_mov_b32 s0, -1
	s_cbranch_vccnz .LBB169_2143
; %bb.2066:
	v_cmp_lt_i16_e32 vcc_lo, 25, v22
	s_mov_b32 s3, -1
	s_mov_b32 s1, 0
	s_mov_b32 s0, 0
	s_cbranch_vccz .LBB169_2099
; %bb.2067:
	v_cmp_lt_i16_e32 vcc_lo, 28, v22
	s_cbranch_vccz .LBB169_2082
; %bb.2068:
	v_cmp_lt_i16_e32 vcc_lo, 43, v22
	;; [unrolled: 3-line block ×3, first 2 shown]
	s_cbranch_vccz .LBB169_2072
; %bb.2070:
	v_cmp_eq_u16_e32 vcc_lo, 46, v22
	s_mov_b32 s0, -1
	s_mov_b32 s3, 0
	s_cbranch_vccz .LBB169_2072
; %bb.2071:
	v_cvt_f32_f64_e32 v21, v[2:3]
	v_cvt_f32_f64_e32 v23, v[0:1]
	s_mov_b32 s0, 0
	s_mov_b32 s2, -1
	s_delay_alu instid0(VALU_DEP_2) | instskip(NEXT) | instid1(VALU_DEP_2)
	v_bfe_u32 v24, v21, 16, 1
	v_bfe_u32 v25, v23, 16, 1
	v_cmp_o_f32_e32 vcc_lo, v21, v21
	s_delay_alu instid0(VALU_DEP_3) | instskip(NEXT) | instid1(VALU_DEP_3)
	v_add3_u32 v24, v21, v24, 0x7fff
	v_add3_u32 v25, v23, v25, 0x7fff
	s_delay_alu instid0(VALU_DEP_2) | instskip(NEXT) | instid1(VALU_DEP_2)
	v_and_b32_e32 v24, 0xffff0000, v24
	v_lshrrev_b32_e32 v25, 16, v25
	s_delay_alu instid0(VALU_DEP_2) | instskip(SKIP_1) | instid1(VALU_DEP_3)
	v_cndmask_b32_e32 v21, 0x7fc00000, v24, vcc_lo
	v_cmp_o_f32_e32 vcc_lo, v23, v23
	v_cndmask_b32_e32 v23, 0x7fc0, v25, vcc_lo
	s_delay_alu instid0(VALU_DEP_1)
	v_or_b32_e32 v21, v21, v23
	global_store_b32 v[16:17], v21, off
.LBB169_2072:
	s_and_b32 vcc_lo, exec_lo, s3
	s_cbranch_vccz .LBB169_2077
; %bb.2073:
	v_cmp_eq_u16_e32 vcc_lo, 44, v22
	s_mov_b32 s0, -1
	s_cbranch_vccz .LBB169_2077
; %bb.2074:
	v_cvt_f32_f64_e32 v21, v[0:1]
	v_mov_b32_e32 v23, 0xff
	s_mov_b32 s2, exec_lo
	s_delay_alu instid0(VALU_DEP_2) | instskip(NEXT) | instid1(VALU_DEP_1)
	v_bfe_u32 v24, v21, 23, 8
	v_cmpx_ne_u32_e32 0xff, v24
; %bb.2075:
	v_and_b32_e32 v23, 0x400000, v21
	v_and_or_b32 v24, 0x3fffff, v21, v24
	v_lshrrev_b32_e32 v21, 23, v21
	s_delay_alu instid0(VALU_DEP_3) | instskip(NEXT) | instid1(VALU_DEP_3)
	v_cmp_ne_u32_e32 vcc_lo, 0, v23
	v_cmp_ne_u32_e64 s0, 0, v24
	s_delay_alu instid0(VALU_DEP_1) | instskip(NEXT) | instid1(SALU_CYCLE_1)
	s_and_b32 s0, vcc_lo, s0
	v_cndmask_b32_e64 v23, 0, 1, s0
	s_delay_alu instid0(VALU_DEP_1)
	v_add_nc_u32_e32 v23, v21, v23
; %bb.2076:
	s_or_b32 exec_lo, exec_lo, s2
	s_mov_b32 s0, 0
	s_mov_b32 s2, -1
	global_store_b8 v[16:17], v23, off
.LBB169_2077:
	s_mov_b32 s3, 0
.LBB169_2078:
	s_delay_alu instid0(SALU_CYCLE_1)
	s_and_b32 vcc_lo, exec_lo, s3
	s_cbranch_vccz .LBB169_2081
; %bb.2079:
	v_cmp_eq_u16_e32 vcc_lo, 29, v22
	s_mov_b32 s0, -1
	s_cbranch_vccz .LBB169_2081
; %bb.2080:
	v_trunc_f64_e32 v[23:24], v[0:1]
	s_mov_b32 s0, 0
	s_mov_b32 s2, -1
	s_delay_alu instid0(VALU_DEP_1) | instskip(NEXT) | instid1(VALU_DEP_1)
	v_ldexp_f64 v[25:26], v[23:24], 0xffffffe0
	v_floor_f64_e32 v[25:26], v[25:26]
	s_delay_alu instid0(VALU_DEP_1) | instskip(SKIP_1) | instid1(VALU_DEP_2)
	v_fma_f64 v[23:24], 0xc1f00000, v[25:26], v[23:24]
	v_cvt_u32_f64_e32 v25, v[25:26]
	v_cvt_u32_f64_e32 v24, v[23:24]
	global_store_b64 v[16:17], v[24:25], off
.LBB169_2081:
	s_mov_b32 s3, 0
.LBB169_2082:
	s_delay_alu instid0(SALU_CYCLE_1)
	s_and_b32 vcc_lo, exec_lo, s3
	s_cbranch_vccz .LBB169_2098
; %bb.2083:
	v_cmp_gt_i16_e32 vcc_lo, 27, v22
	s_mov_b32 s2, -1
	s_cbranch_vccnz .LBB169_2089
; %bb.2084:
	v_cvt_u32_f64_e32 v21, v[0:1]
	v_cmp_lt_i16_e32 vcc_lo, 27, v22
	s_cbranch_vccz .LBB169_2086
; %bb.2085:
	s_mov_b32 s2, 0
	global_store_b32 v[16:17], v21, off
.LBB169_2086:
	s_and_not1_b32 vcc_lo, exec_lo, s2
	s_cbranch_vccnz .LBB169_2088
; %bb.2087:
	global_store_b16 v[16:17], v21, off
.LBB169_2088:
	s_mov_b32 s2, 0
.LBB169_2089:
	s_delay_alu instid0(SALU_CYCLE_1)
	s_and_not1_b32 vcc_lo, exec_lo, s2
	s_cbranch_vccnz .LBB169_2097
; %bb.2090:
	v_cvt_f32_f64_e32 v21, v[0:1]
	v_mov_b32_e32 v24, 0x80
	s_mov_b32 s2, exec_lo
	s_delay_alu instid0(VALU_DEP_2) | instskip(NEXT) | instid1(VALU_DEP_1)
	v_and_b32_e32 v23, 0x7fffffff, v21
	v_cmpx_gt_u32_e32 0x43800000, v23
	s_cbranch_execz .LBB169_2096
; %bb.2091:
	v_cmp_lt_u32_e32 vcc_lo, 0x3bffffff, v23
	s_mov_b32 s3, 0
                                        ; implicit-def: $vgpr23
	s_and_saveexec_b32 s6, vcc_lo
	s_delay_alu instid0(SALU_CYCLE_1)
	s_xor_b32 s6, exec_lo, s6
	s_cbranch_execz .LBB169_2498
; %bb.2092:
	v_bfe_u32 v23, v21, 20, 1
	s_mov_b32 s3, exec_lo
	s_delay_alu instid0(VALU_DEP_1) | instskip(NEXT) | instid1(VALU_DEP_1)
	v_add3_u32 v23, v21, v23, 0x487ffff
	v_lshrrev_b32_e32 v23, 20, v23
	s_or_saveexec_b32 s6, s6
                                        ; implicit-def: $sgpr7
	s_delay_alu instid0(SALU_CYCLE_1)
	s_xor_b32 exec_lo, exec_lo, s6
	s_cbranch_execnz .LBB169_2499
.LBB169_2093:
	s_or_b32 exec_lo, exec_lo, s6
	v_mov_b32_e32 v24, s7
	s_and_saveexec_b32 s6, s3
.LBB169_2094:
	v_lshrrev_b32_e32 v21, 24, v21
	s_delay_alu instid0(VALU_DEP_1)
	v_and_or_b32 v24, 0x80, v21, v23
.LBB169_2095:
	s_or_b32 exec_lo, exec_lo, s6
.LBB169_2096:
	s_delay_alu instid0(SALU_CYCLE_1)
	s_or_b32 exec_lo, exec_lo, s2
	global_store_b8 v[16:17], v24, off
.LBB169_2097:
	s_mov_b32 s2, -1
.LBB169_2098:
	s_mov_b32 s3, 0
.LBB169_2099:
	s_delay_alu instid0(SALU_CYCLE_1)
	s_and_b32 vcc_lo, exec_lo, s3
	s_cbranch_vccz .LBB169_2139
; %bb.2100:
	v_cmp_lt_i16_e32 vcc_lo, 22, v22
	s_mov_b32 s1, -1
	s_cbranch_vccz .LBB169_2132
; %bb.2101:
	v_cmp_gt_i16_e32 vcc_lo, 24, v22
	s_cbranch_vccnz .LBB169_2121
; %bb.2102:
	v_cmp_lt_i16_e32 vcc_lo, 24, v22
	s_cbranch_vccz .LBB169_2110
; %bb.2103:
	v_cvt_f32_f64_e32 v21, v[0:1]
	v_mov_b32_e32 v24, 0x80
	s_mov_b32 s1, exec_lo
	s_delay_alu instid0(VALU_DEP_2) | instskip(NEXT) | instid1(VALU_DEP_1)
	v_and_b32_e32 v23, 0x7fffffff, v21
	v_cmpx_gt_u32_e32 0x47800000, v23
	s_cbranch_execz .LBB169_2109
; %bb.2104:
	v_cmp_lt_u32_e32 vcc_lo, 0x37ffffff, v23
	s_mov_b32 s2, 0
                                        ; implicit-def: $vgpr23
	s_and_saveexec_b32 s3, vcc_lo
	s_delay_alu instid0(SALU_CYCLE_1)
	s_xor_b32 s3, exec_lo, s3
	s_cbranch_execz .LBB169_2504
; %bb.2105:
	v_bfe_u32 v23, v21, 21, 1
	s_mov_b32 s2, exec_lo
	s_delay_alu instid0(VALU_DEP_1) | instskip(NEXT) | instid1(VALU_DEP_1)
	v_add3_u32 v23, v21, v23, 0x88fffff
	v_lshrrev_b32_e32 v23, 21, v23
	s_or_saveexec_b32 s3, s3
                                        ; implicit-def: $sgpr6
	s_delay_alu instid0(SALU_CYCLE_1)
	s_xor_b32 exec_lo, exec_lo, s3
	s_cbranch_execnz .LBB169_2505
.LBB169_2106:
	s_or_b32 exec_lo, exec_lo, s3
	v_mov_b32_e32 v24, s6
	s_and_saveexec_b32 s3, s2
.LBB169_2107:
	v_lshrrev_b32_e32 v21, 24, v21
	s_delay_alu instid0(VALU_DEP_1)
	v_and_or_b32 v24, 0x80, v21, v23
.LBB169_2108:
	s_or_b32 exec_lo, exec_lo, s3
.LBB169_2109:
	s_delay_alu instid0(SALU_CYCLE_1)
	s_or_b32 exec_lo, exec_lo, s1
	s_mov_b32 s1, 0
	global_store_b8 v[16:17], v24, off
.LBB169_2110:
	s_and_b32 vcc_lo, exec_lo, s1
	s_cbranch_vccz .LBB169_2120
; %bb.2111:
	v_cvt_f32_f64_e32 v21, v[0:1]
	s_mov_b32 s1, exec_lo
                                        ; implicit-def: $vgpr23
	s_delay_alu instid0(VALU_DEP_1) | instskip(NEXT) | instid1(VALU_DEP_1)
	v_and_b32_e32 v24, 0x7fffffff, v21
	v_cmpx_gt_u32_e32 0x43f00000, v24
	s_xor_b32 s1, exec_lo, s1
	s_cbranch_execz .LBB169_2117
; %bb.2112:
	s_mov_b32 s2, exec_lo
                                        ; implicit-def: $vgpr23
	v_cmpx_lt_u32_e32 0x3c7fffff, v24
	s_xor_b32 s2, exec_lo, s2
; %bb.2113:
	v_bfe_u32 v23, v21, 20, 1
	s_delay_alu instid0(VALU_DEP_1) | instskip(NEXT) | instid1(VALU_DEP_1)
	v_add3_u32 v23, v21, v23, 0x407ffff
	v_and_b32_e32 v24, 0xff00000, v23
	v_lshrrev_b32_e32 v23, 20, v23
	s_delay_alu instid0(VALU_DEP_2) | instskip(NEXT) | instid1(VALU_DEP_2)
	v_cmp_ne_u32_e32 vcc_lo, 0x7f00000, v24
	v_cndmask_b32_e32 v23, 0x7e, v23, vcc_lo
; %bb.2114:
	s_and_not1_saveexec_b32 s2, s2
; %bb.2115:
	v_add_f32_e64 v23, 0x46800000, |v21|
; %bb.2116:
	s_or_b32 exec_lo, exec_lo, s2
                                        ; implicit-def: $vgpr24
.LBB169_2117:
	s_and_not1_saveexec_b32 s1, s1
; %bb.2118:
	v_mov_b32_e32 v23, 0x7f
	v_cmp_lt_u32_e32 vcc_lo, 0x7f800000, v24
	s_delay_alu instid0(VALU_DEP_2)
	v_cndmask_b32_e32 v23, 0x7e, v23, vcc_lo
; %bb.2119:
	s_or_b32 exec_lo, exec_lo, s1
	v_lshrrev_b32_e32 v21, 24, v21
	s_delay_alu instid0(VALU_DEP_1)
	v_and_or_b32 v21, 0x80, v21, v23
	global_store_b8 v[16:17], v21, off
.LBB169_2120:
	s_mov_b32 s1, 0
.LBB169_2121:
	s_delay_alu instid0(SALU_CYCLE_1)
	s_and_not1_b32 vcc_lo, exec_lo, s1
	s_cbranch_vccnz .LBB169_2131
; %bb.2122:
	v_cvt_f32_f64_e32 v21, v[0:1]
	s_mov_b32 s1, exec_lo
                                        ; implicit-def: $vgpr23
	s_delay_alu instid0(VALU_DEP_1) | instskip(NEXT) | instid1(VALU_DEP_1)
	v_and_b32_e32 v24, 0x7fffffff, v21
	v_cmpx_gt_u32_e32 0x47800000, v24
	s_xor_b32 s1, exec_lo, s1
	s_cbranch_execz .LBB169_2128
; %bb.2123:
	s_mov_b32 s2, exec_lo
                                        ; implicit-def: $vgpr23
	v_cmpx_lt_u32_e32 0x387fffff, v24
	s_xor_b32 s2, exec_lo, s2
; %bb.2124:
	v_bfe_u32 v23, v21, 21, 1
	s_delay_alu instid0(VALU_DEP_1) | instskip(NEXT) | instid1(VALU_DEP_1)
	v_add3_u32 v23, v21, v23, 0x80fffff
	v_lshrrev_b32_e32 v23, 21, v23
; %bb.2125:
	s_and_not1_saveexec_b32 s2, s2
; %bb.2126:
	v_add_f32_e64 v23, 0x43000000, |v21|
; %bb.2127:
	s_or_b32 exec_lo, exec_lo, s2
                                        ; implicit-def: $vgpr24
.LBB169_2128:
	s_and_not1_saveexec_b32 s1, s1
; %bb.2129:
	v_mov_b32_e32 v23, 0x7f
	v_cmp_lt_u32_e32 vcc_lo, 0x7f800000, v24
	s_delay_alu instid0(VALU_DEP_2)
	v_cndmask_b32_e32 v23, 0x7c, v23, vcc_lo
; %bb.2130:
	s_or_b32 exec_lo, exec_lo, s1
	v_lshrrev_b32_e32 v21, 24, v21
	s_delay_alu instid0(VALU_DEP_1)
	v_and_or_b32 v21, 0x80, v21, v23
	global_store_b8 v[16:17], v21, off
.LBB169_2131:
	s_mov_b32 s1, 0
	s_mov_b32 s2, -1
.LBB169_2132:
	s_and_not1_b32 vcc_lo, exec_lo, s1
	s_mov_b32 s1, 0
	s_cbranch_vccnz .LBB169_2139
; %bb.2133:
	v_cmp_lt_i16_e32 vcc_lo, 14, v22
	s_mov_b32 s1, -1
	s_cbranch_vccz .LBB169_2137
; %bb.2134:
	v_cmp_eq_u16_e32 vcc_lo, 15, v22
	s_mov_b32 s0, -1
	s_cbranch_vccz .LBB169_2136
; %bb.2135:
	v_cvt_f32_f64_e32 v21, v[0:1]
	s_mov_b32 s0, 0
	s_mov_b32 s2, -1
	s_delay_alu instid0(VALU_DEP_1) | instskip(SKIP_1) | instid1(VALU_DEP_2)
	v_bfe_u32 v23, v21, 16, 1
	v_cmp_o_f32_e32 vcc_lo, v21, v21
	v_add3_u32 v23, v21, v23, 0x7fff
	s_delay_alu instid0(VALU_DEP_1) | instskip(NEXT) | instid1(VALU_DEP_1)
	v_lshrrev_b32_e32 v23, 16, v23
	v_cndmask_b32_e32 v21, 0x7fc0, v23, vcc_lo
	global_store_b16 v[16:17], v21, off
.LBB169_2136:
	s_mov_b32 s1, 0
.LBB169_2137:
	s_delay_alu instid0(SALU_CYCLE_1)
	s_and_b32 vcc_lo, exec_lo, s1
	s_mov_b32 s1, 0
	s_cbranch_vccz .LBB169_2139
; %bb.2138:
	v_cmp_ne_u16_e64 s0, 11, v22
	s_mov_b32 s1, -1
.LBB169_2139:
	s_delay_alu instid0(VALU_DEP_1)
	s_and_b32 vcc_lo, exec_lo, s0
	s_cbranch_vccnz .LBB169_2502
; %bb.2140:
	s_and_not1_b32 vcc_lo, exec_lo, s1
	s_cbranch_vccnz .LBB169_2142
.LBB169_2141:
	v_cmp_neq_f64_e32 vcc_lo, 0, v[0:1]
	v_cmp_neq_f64_e64 s0, 0, v[2:3]
	s_mov_b32 s2, -1
	s_delay_alu instid0(VALU_DEP_1) | instskip(NEXT) | instid1(SALU_CYCLE_1)
	s_or_b32 s0, vcc_lo, s0
	v_cndmask_b32_e64 v21, 0, 1, s0
	global_store_b8 v[16:17], v21, off
.LBB169_2142:
	s_mov_b32 s0, 0
.LBB169_2143:
	s_delay_alu instid0(SALU_CYCLE_1)
	s_and_b32 vcc_lo, exec_lo, s0
	s_cbranch_vccz .LBB169_2182
; %bb.2144:
	v_cmp_gt_i16_e32 vcc_lo, 5, v22
	s_mov_b32 s0, -1
	s_cbranch_vccnz .LBB169_2165
; %bb.2145:
	v_cmp_gt_i16_e32 vcc_lo, 8, v22
	s_cbranch_vccnz .LBB169_2155
; %bb.2146:
	v_cmp_gt_i16_e32 vcc_lo, 9, v22
	s_cbranch_vccnz .LBB169_2152
; %bb.2147:
	v_cmp_lt_i16_e32 vcc_lo, 9, v22
	s_cbranch_vccz .LBB169_2149
; %bb.2148:
	s_mov_b32 s0, 0
	global_store_b128 v[16:17], v[0:3], off
.LBB169_2149:
	s_and_not1_b32 vcc_lo, exec_lo, s0
	s_cbranch_vccnz .LBB169_2151
; %bb.2150:
	v_cvt_f32_f64_e32 v23, v[0:1]
	v_cvt_f32_f64_e32 v24, v[2:3]
	global_store_b64 v[16:17], v[23:24], off
.LBB169_2151:
	s_mov_b32 s0, 0
.LBB169_2152:
	s_delay_alu instid0(SALU_CYCLE_1)
	s_and_not1_b32 vcc_lo, exec_lo, s0
	s_cbranch_vccnz .LBB169_2154
; %bb.2153:
	v_cvt_f32_f64_e32 v2, v[2:3]
	v_cvt_f32_f64_e32 v3, v[0:1]
	s_delay_alu instid0(VALU_DEP_2) | instskip(NEXT) | instid1(VALU_DEP_2)
	v_cvt_f16_f32_e32 v2, v2
	v_cvt_f16_f32_e32 v3, v3
	s_delay_alu instid0(VALU_DEP_2) | instskip(NEXT) | instid1(VALU_DEP_2)
	v_lshlrev_b32_e32 v2, 16, v2
	v_and_b32_e32 v3, 0xffff, v3
	s_delay_alu instid0(VALU_DEP_1)
	v_or_b32_e32 v2, v2, v3
	global_store_b32 v[16:17], v2, off
.LBB169_2154:
	s_mov_b32 s0, 0
.LBB169_2155:
	s_delay_alu instid0(SALU_CYCLE_1)
	s_and_not1_b32 vcc_lo, exec_lo, s0
	s_cbranch_vccnz .LBB169_2164
; %bb.2156:
	v_cmp_gt_i16_e32 vcc_lo, 6, v22
	s_mov_b32 s0, -1
	s_cbranch_vccnz .LBB169_2162
; %bb.2157:
	v_cmp_lt_i16_e32 vcc_lo, 6, v22
	s_cbranch_vccz .LBB169_2159
; %bb.2158:
	s_mov_b32 s0, 0
	global_store_b64 v[16:17], v[0:1], off
.LBB169_2159:
	s_and_not1_b32 vcc_lo, exec_lo, s0
	s_cbranch_vccnz .LBB169_2161
; %bb.2160:
	v_cvt_f32_f64_e32 v2, v[0:1]
	global_store_b32 v[16:17], v2, off
.LBB169_2161:
	s_mov_b32 s0, 0
.LBB169_2162:
	s_delay_alu instid0(SALU_CYCLE_1)
	s_and_not1_b32 vcc_lo, exec_lo, s0
	s_cbranch_vccnz .LBB169_2164
; %bb.2163:
	v_cvt_f32_f64_e32 v2, v[0:1]
	s_delay_alu instid0(VALU_DEP_1)
	v_cvt_f16_f32_e32 v2, v2
	global_store_b16 v[16:17], v2, off
.LBB169_2164:
	s_mov_b32 s0, 0
.LBB169_2165:
	s_delay_alu instid0(SALU_CYCLE_1)
	s_and_not1_b32 vcc_lo, exec_lo, s0
	s_cbranch_vccnz .LBB169_2181
; %bb.2166:
	v_cmp_gt_i16_e32 vcc_lo, 2, v22
	s_mov_b32 s0, -1
	s_cbranch_vccnz .LBB169_2176
; %bb.2167:
	v_cmp_gt_i16_e32 vcc_lo, 3, v22
	s_cbranch_vccnz .LBB169_2173
; %bb.2168:
	v_cmp_lt_i16_e32 vcc_lo, 3, v22
	s_cbranch_vccz .LBB169_2170
; %bb.2169:
	v_trunc_f64_e32 v[2:3], v[0:1]
	s_mov_b32 s0, 0
	s_delay_alu instid0(VALU_DEP_1) | instskip(NEXT) | instid1(VALU_DEP_1)
	v_ldexp_f64 v[23:24], v[2:3], 0xffffffe0
	v_floor_f64_e32 v[23:24], v[23:24]
	s_delay_alu instid0(VALU_DEP_1) | instskip(SKIP_1) | instid1(VALU_DEP_2)
	v_fma_f64 v[2:3], 0xc1f00000, v[23:24], v[2:3]
	v_cvt_i32_f64_e32 v24, v[23:24]
	v_cvt_u32_f64_e32 v23, v[2:3]
	global_store_b64 v[16:17], v[23:24], off
.LBB169_2170:
	s_and_not1_b32 vcc_lo, exec_lo, s0
	s_cbranch_vccnz .LBB169_2172
; %bb.2171:
	v_cvt_i32_f64_e32 v2, v[0:1]
	global_store_b32 v[16:17], v2, off
.LBB169_2172:
	s_mov_b32 s0, 0
.LBB169_2173:
	s_delay_alu instid0(SALU_CYCLE_1)
	s_and_not1_b32 vcc_lo, exec_lo, s0
	s_cbranch_vccnz .LBB169_2175
; %bb.2174:
	v_cvt_i32_f64_e32 v2, v[0:1]
	global_store_b16 v[16:17], v2, off
.LBB169_2175:
	s_mov_b32 s0, 0
.LBB169_2176:
	s_delay_alu instid0(SALU_CYCLE_1)
	s_and_not1_b32 vcc_lo, exec_lo, s0
	s_cbranch_vccnz .LBB169_2181
; %bb.2177:
	v_cmp_lt_i16_e32 vcc_lo, 0, v22
	s_mov_b32 s0, -1
	s_cbranch_vccz .LBB169_2179
; %bb.2178:
	v_cvt_i32_f64_e32 v2, v[0:1]
	s_mov_b32 s0, 0
	global_store_b8 v[16:17], v2, off
.LBB169_2179:
	s_and_not1_b32 vcc_lo, exec_lo, s0
	s_cbranch_vccnz .LBB169_2181
; %bb.2180:
	v_trunc_f64_e32 v[0:1], v[0:1]
	s_delay_alu instid0(VALU_DEP_1) | instskip(NEXT) | instid1(VALU_DEP_1)
	v_ldexp_f64 v[2:3], v[0:1], 0xffffffe0
	v_floor_f64_e32 v[2:3], v[2:3]
	s_delay_alu instid0(VALU_DEP_1) | instskip(NEXT) | instid1(VALU_DEP_1)
	v_fma_f64 v[0:1], 0xc1f00000, v[2:3], v[0:1]
	v_cvt_u32_f64_e32 v0, v[0:1]
	global_store_b8 v[16:17], v0, off
.LBB169_2181:
	s_mov_b32 s2, -1
.LBB169_2182:
	s_delay_alu instid0(SALU_CYCLE_1)
	s_and_not1_b32 vcc_lo, exec_lo, s2
	s_cbranch_vccnz .LBB169_2495
; %bb.2183:
	v_cmp_gt_i16_e32 vcc_lo, 11, v22
	v_add_co_u32 v0, s0, s4, v20
	s_delay_alu instid0(VALU_DEP_1)
	v_add_co_ci_u32_e64 v1, null, s5, 0, s0
	s_mov_b32 s2, 0
	s_mov_b32 s0, -1
	s_cbranch_vccnz .LBB169_2261
; %bb.2184:
	v_cmp_lt_i16_e32 vcc_lo, 25, v22
	s_mov_b32 s3, -1
	s_mov_b32 s1, 0
	s_mov_b32 s0, 0
	s_cbranch_vccz .LBB169_2217
; %bb.2185:
	v_cmp_lt_i16_e32 vcc_lo, 28, v22
	s_cbranch_vccz .LBB169_2200
; %bb.2186:
	v_cmp_lt_i16_e32 vcc_lo, 43, v22
	;; [unrolled: 3-line block ×3, first 2 shown]
	s_cbranch_vccz .LBB169_2190
; %bb.2188:
	v_cmp_eq_u16_e32 vcc_lo, 46, v22
	s_mov_b32 s0, -1
	s_mov_b32 s3, 0
	s_cbranch_vccz .LBB169_2190
; %bb.2189:
	v_cvt_f32_f64_e32 v2, v[6:7]
	v_cvt_f32_f64_e32 v3, v[4:5]
	s_mov_b32 s0, 0
	s_mov_b32 s2, -1
	s_delay_alu instid0(VALU_DEP_2) | instskip(NEXT) | instid1(VALU_DEP_2)
	v_bfe_u32 v16, v2, 16, 1
	v_bfe_u32 v17, v3, 16, 1
	v_cmp_o_f32_e32 vcc_lo, v2, v2
	s_delay_alu instid0(VALU_DEP_3) | instskip(NEXT) | instid1(VALU_DEP_3)
	v_add3_u32 v16, v2, v16, 0x7fff
	v_add3_u32 v17, v3, v17, 0x7fff
	s_delay_alu instid0(VALU_DEP_2) | instskip(NEXT) | instid1(VALU_DEP_2)
	v_and_b32_e32 v16, 0xffff0000, v16
	v_lshrrev_b32_e32 v17, 16, v17
	s_delay_alu instid0(VALU_DEP_2) | instskip(SKIP_1) | instid1(VALU_DEP_3)
	v_cndmask_b32_e32 v2, 0x7fc00000, v16, vcc_lo
	v_cmp_o_f32_e32 vcc_lo, v3, v3
	v_cndmask_b32_e32 v3, 0x7fc0, v17, vcc_lo
	s_delay_alu instid0(VALU_DEP_1)
	v_or_b32_e32 v2, v2, v3
	global_store_b32 v[0:1], v2, off
.LBB169_2190:
	s_and_b32 vcc_lo, exec_lo, s3
	s_cbranch_vccz .LBB169_2195
; %bb.2191:
	v_cmp_eq_u16_e32 vcc_lo, 44, v22
	s_mov_b32 s0, -1
	s_cbranch_vccz .LBB169_2195
; %bb.2192:
	v_cvt_f32_f64_e32 v2, v[4:5]
	v_mov_b32_e32 v3, 0xff
	s_mov_b32 s2, exec_lo
	s_delay_alu instid0(VALU_DEP_2) | instskip(NEXT) | instid1(VALU_DEP_1)
	v_bfe_u32 v16, v2, 23, 8
	v_cmpx_ne_u32_e32 0xff, v16
; %bb.2193:
	v_and_b32_e32 v3, 0x400000, v2
	v_and_or_b32 v16, 0x3fffff, v2, v16
	v_lshrrev_b32_e32 v2, 23, v2
	s_delay_alu instid0(VALU_DEP_3) | instskip(NEXT) | instid1(VALU_DEP_3)
	v_cmp_ne_u32_e32 vcc_lo, 0, v3
	v_cmp_ne_u32_e64 s0, 0, v16
	s_delay_alu instid0(VALU_DEP_1) | instskip(NEXT) | instid1(SALU_CYCLE_1)
	s_and_b32 s0, vcc_lo, s0
	v_cndmask_b32_e64 v3, 0, 1, s0
	s_delay_alu instid0(VALU_DEP_1)
	v_add_nc_u32_e32 v3, v2, v3
; %bb.2194:
	s_or_b32 exec_lo, exec_lo, s2
	s_mov_b32 s0, 0
	s_mov_b32 s2, -1
	global_store_b8 v[0:1], v3, off
.LBB169_2195:
	s_mov_b32 s3, 0
.LBB169_2196:
	s_delay_alu instid0(SALU_CYCLE_1)
	s_and_b32 vcc_lo, exec_lo, s3
	s_cbranch_vccz .LBB169_2199
; %bb.2197:
	v_cmp_eq_u16_e32 vcc_lo, 29, v22
	s_mov_b32 s0, -1
	s_cbranch_vccz .LBB169_2199
; %bb.2198:
	v_trunc_f64_e32 v[2:3], v[4:5]
	s_mov_b32 s0, 0
	s_mov_b32 s2, -1
	s_delay_alu instid0(VALU_DEP_1) | instskip(NEXT) | instid1(VALU_DEP_1)
	v_ldexp_f64 v[16:17], v[2:3], 0xffffffe0
	v_floor_f64_e32 v[16:17], v[16:17]
	s_delay_alu instid0(VALU_DEP_1) | instskip(SKIP_1) | instid1(VALU_DEP_2)
	v_fma_f64 v[2:3], 0xc1f00000, v[16:17], v[2:3]
	v_cvt_u32_f64_e32 v17, v[16:17]
	v_cvt_u32_f64_e32 v16, v[2:3]
	global_store_b64 v[0:1], v[16:17], off
.LBB169_2199:
	s_mov_b32 s3, 0
.LBB169_2200:
	s_delay_alu instid0(SALU_CYCLE_1)
	s_and_b32 vcc_lo, exec_lo, s3
	s_cbranch_vccz .LBB169_2216
; %bb.2201:
	v_cmp_gt_i16_e32 vcc_lo, 27, v22
	s_mov_b32 s2, -1
	s_cbranch_vccnz .LBB169_2207
; %bb.2202:
	v_cvt_u32_f64_e32 v2, v[4:5]
	v_cmp_lt_i16_e32 vcc_lo, 27, v22
	s_cbranch_vccz .LBB169_2204
; %bb.2203:
	s_mov_b32 s2, 0
	global_store_b32 v[0:1], v2, off
.LBB169_2204:
	s_and_not1_b32 vcc_lo, exec_lo, s2
	s_cbranch_vccnz .LBB169_2206
; %bb.2205:
	global_store_b16 v[0:1], v2, off
.LBB169_2206:
	s_mov_b32 s2, 0
.LBB169_2207:
	s_delay_alu instid0(SALU_CYCLE_1)
	s_and_not1_b32 vcc_lo, exec_lo, s2
	s_cbranch_vccnz .LBB169_2215
; %bb.2208:
	v_cvt_f32_f64_e32 v2, v[4:5]
	v_mov_b32_e32 v16, 0x80
	s_mov_b32 s2, exec_lo
	s_delay_alu instid0(VALU_DEP_2) | instskip(NEXT) | instid1(VALU_DEP_1)
	v_and_b32_e32 v3, 0x7fffffff, v2
	v_cmpx_gt_u32_e32 0x43800000, v3
	s_cbranch_execz .LBB169_2214
; %bb.2209:
	v_cmp_lt_u32_e32 vcc_lo, 0x3bffffff, v3
	s_mov_b32 s3, 0
                                        ; implicit-def: $vgpr3
	s_and_saveexec_b32 s6, vcc_lo
	s_delay_alu instid0(SALU_CYCLE_1)
	s_xor_b32 s6, exec_lo, s6
	s_cbranch_execz .LBB169_2506
; %bb.2210:
	v_bfe_u32 v3, v2, 20, 1
	s_mov_b32 s3, exec_lo
	s_delay_alu instid0(VALU_DEP_1) | instskip(NEXT) | instid1(VALU_DEP_1)
	v_add3_u32 v3, v2, v3, 0x487ffff
	v_lshrrev_b32_e32 v3, 20, v3
	s_or_saveexec_b32 s6, s6
                                        ; implicit-def: $sgpr7
	s_delay_alu instid0(SALU_CYCLE_1)
	s_xor_b32 exec_lo, exec_lo, s6
	s_cbranch_execnz .LBB169_2507
.LBB169_2211:
	s_or_b32 exec_lo, exec_lo, s6
	v_mov_b32_e32 v16, s7
	s_and_saveexec_b32 s6, s3
.LBB169_2212:
	v_lshrrev_b32_e32 v2, 24, v2
	s_delay_alu instid0(VALU_DEP_1)
	v_and_or_b32 v16, 0x80, v2, v3
.LBB169_2213:
	s_or_b32 exec_lo, exec_lo, s6
.LBB169_2214:
	s_delay_alu instid0(SALU_CYCLE_1)
	s_or_b32 exec_lo, exec_lo, s2
	global_store_b8 v[0:1], v16, off
.LBB169_2215:
	s_mov_b32 s2, -1
.LBB169_2216:
	s_mov_b32 s3, 0
.LBB169_2217:
	s_delay_alu instid0(SALU_CYCLE_1)
	s_and_b32 vcc_lo, exec_lo, s3
	s_cbranch_vccz .LBB169_2257
; %bb.2218:
	v_cmp_lt_i16_e32 vcc_lo, 22, v22
	s_mov_b32 s1, -1
	s_cbranch_vccz .LBB169_2250
; %bb.2219:
	v_cmp_gt_i16_e32 vcc_lo, 24, v22
	s_cbranch_vccnz .LBB169_2239
; %bb.2220:
	v_cmp_lt_i16_e32 vcc_lo, 24, v22
	s_cbranch_vccz .LBB169_2228
; %bb.2221:
	v_cvt_f32_f64_e32 v2, v[4:5]
	v_mov_b32_e32 v16, 0x80
	s_mov_b32 s1, exec_lo
	s_delay_alu instid0(VALU_DEP_2) | instskip(NEXT) | instid1(VALU_DEP_1)
	v_and_b32_e32 v3, 0x7fffffff, v2
	v_cmpx_gt_u32_e32 0x47800000, v3
	s_cbranch_execz .LBB169_2227
; %bb.2222:
	v_cmp_lt_u32_e32 vcc_lo, 0x37ffffff, v3
	s_mov_b32 s2, 0
                                        ; implicit-def: $vgpr3
	s_and_saveexec_b32 s3, vcc_lo
	s_delay_alu instid0(SALU_CYCLE_1)
	s_xor_b32 s3, exec_lo, s3
	s_cbranch_execz .LBB169_2512
; %bb.2223:
	v_bfe_u32 v3, v2, 21, 1
	s_mov_b32 s2, exec_lo
	s_delay_alu instid0(VALU_DEP_1) | instskip(NEXT) | instid1(VALU_DEP_1)
	v_add3_u32 v3, v2, v3, 0x88fffff
	v_lshrrev_b32_e32 v3, 21, v3
	s_or_saveexec_b32 s3, s3
                                        ; implicit-def: $sgpr6
	s_delay_alu instid0(SALU_CYCLE_1)
	s_xor_b32 exec_lo, exec_lo, s3
	s_cbranch_execnz .LBB169_2513
.LBB169_2224:
	s_or_b32 exec_lo, exec_lo, s3
	v_mov_b32_e32 v16, s6
	s_and_saveexec_b32 s3, s2
.LBB169_2225:
	v_lshrrev_b32_e32 v2, 24, v2
	s_delay_alu instid0(VALU_DEP_1)
	v_and_or_b32 v16, 0x80, v2, v3
.LBB169_2226:
	s_or_b32 exec_lo, exec_lo, s3
.LBB169_2227:
	s_delay_alu instid0(SALU_CYCLE_1)
	s_or_b32 exec_lo, exec_lo, s1
	s_mov_b32 s1, 0
	global_store_b8 v[0:1], v16, off
.LBB169_2228:
	s_and_b32 vcc_lo, exec_lo, s1
	s_cbranch_vccz .LBB169_2238
; %bb.2229:
	v_cvt_f32_f64_e32 v2, v[4:5]
	s_mov_b32 s1, exec_lo
                                        ; implicit-def: $vgpr3
	s_delay_alu instid0(VALU_DEP_1) | instskip(NEXT) | instid1(VALU_DEP_1)
	v_and_b32_e32 v16, 0x7fffffff, v2
	v_cmpx_gt_u32_e32 0x43f00000, v16
	s_xor_b32 s1, exec_lo, s1
	s_cbranch_execz .LBB169_2235
; %bb.2230:
	s_mov_b32 s2, exec_lo
                                        ; implicit-def: $vgpr3
	v_cmpx_lt_u32_e32 0x3c7fffff, v16
	s_xor_b32 s2, exec_lo, s2
; %bb.2231:
	v_bfe_u32 v3, v2, 20, 1
	s_delay_alu instid0(VALU_DEP_1) | instskip(NEXT) | instid1(VALU_DEP_1)
	v_add3_u32 v3, v2, v3, 0x407ffff
	v_and_b32_e32 v16, 0xff00000, v3
	v_lshrrev_b32_e32 v3, 20, v3
	s_delay_alu instid0(VALU_DEP_2) | instskip(NEXT) | instid1(VALU_DEP_2)
	v_cmp_ne_u32_e32 vcc_lo, 0x7f00000, v16
	v_cndmask_b32_e32 v3, 0x7e, v3, vcc_lo
; %bb.2232:
	s_and_not1_saveexec_b32 s2, s2
; %bb.2233:
	v_add_f32_e64 v3, 0x46800000, |v2|
; %bb.2234:
	s_or_b32 exec_lo, exec_lo, s2
                                        ; implicit-def: $vgpr16
.LBB169_2235:
	s_and_not1_saveexec_b32 s1, s1
; %bb.2236:
	v_mov_b32_e32 v3, 0x7f
	v_cmp_lt_u32_e32 vcc_lo, 0x7f800000, v16
	s_delay_alu instid0(VALU_DEP_2)
	v_cndmask_b32_e32 v3, 0x7e, v3, vcc_lo
; %bb.2237:
	s_or_b32 exec_lo, exec_lo, s1
	v_lshrrev_b32_e32 v2, 24, v2
	s_delay_alu instid0(VALU_DEP_1)
	v_and_or_b32 v2, 0x80, v2, v3
	global_store_b8 v[0:1], v2, off
.LBB169_2238:
	s_mov_b32 s1, 0
.LBB169_2239:
	s_delay_alu instid0(SALU_CYCLE_1)
	s_and_not1_b32 vcc_lo, exec_lo, s1
	s_cbranch_vccnz .LBB169_2249
; %bb.2240:
	v_cvt_f32_f64_e32 v2, v[4:5]
	s_mov_b32 s1, exec_lo
                                        ; implicit-def: $vgpr3
	s_delay_alu instid0(VALU_DEP_1) | instskip(NEXT) | instid1(VALU_DEP_1)
	v_and_b32_e32 v16, 0x7fffffff, v2
	v_cmpx_gt_u32_e32 0x47800000, v16
	s_xor_b32 s1, exec_lo, s1
	s_cbranch_execz .LBB169_2246
; %bb.2241:
	s_mov_b32 s2, exec_lo
                                        ; implicit-def: $vgpr3
	v_cmpx_lt_u32_e32 0x387fffff, v16
	s_xor_b32 s2, exec_lo, s2
; %bb.2242:
	v_bfe_u32 v3, v2, 21, 1
	s_delay_alu instid0(VALU_DEP_1) | instskip(NEXT) | instid1(VALU_DEP_1)
	v_add3_u32 v3, v2, v3, 0x80fffff
	v_lshrrev_b32_e32 v3, 21, v3
; %bb.2243:
	s_and_not1_saveexec_b32 s2, s2
; %bb.2244:
	v_add_f32_e64 v3, 0x43000000, |v2|
; %bb.2245:
	s_or_b32 exec_lo, exec_lo, s2
                                        ; implicit-def: $vgpr16
.LBB169_2246:
	s_and_not1_saveexec_b32 s1, s1
; %bb.2247:
	v_mov_b32_e32 v3, 0x7f
	v_cmp_lt_u32_e32 vcc_lo, 0x7f800000, v16
	s_delay_alu instid0(VALU_DEP_2)
	v_cndmask_b32_e32 v3, 0x7c, v3, vcc_lo
; %bb.2248:
	s_or_b32 exec_lo, exec_lo, s1
	v_lshrrev_b32_e32 v2, 24, v2
	s_delay_alu instid0(VALU_DEP_1)
	v_and_or_b32 v2, 0x80, v2, v3
	global_store_b8 v[0:1], v2, off
.LBB169_2249:
	s_mov_b32 s1, 0
	s_mov_b32 s2, -1
.LBB169_2250:
	s_and_not1_b32 vcc_lo, exec_lo, s1
	s_mov_b32 s1, 0
	s_cbranch_vccnz .LBB169_2257
; %bb.2251:
	v_cmp_lt_i16_e32 vcc_lo, 14, v22
	s_mov_b32 s1, -1
	s_cbranch_vccz .LBB169_2255
; %bb.2252:
	v_cmp_eq_u16_e32 vcc_lo, 15, v22
	s_mov_b32 s0, -1
	s_cbranch_vccz .LBB169_2254
; %bb.2253:
	v_cvt_f32_f64_e32 v2, v[4:5]
	s_mov_b32 s0, 0
	s_mov_b32 s2, -1
	s_delay_alu instid0(VALU_DEP_1) | instskip(SKIP_1) | instid1(VALU_DEP_2)
	v_bfe_u32 v3, v2, 16, 1
	v_cmp_o_f32_e32 vcc_lo, v2, v2
	v_add3_u32 v3, v2, v3, 0x7fff
	s_delay_alu instid0(VALU_DEP_1) | instskip(NEXT) | instid1(VALU_DEP_1)
	v_lshrrev_b32_e32 v3, 16, v3
	v_cndmask_b32_e32 v2, 0x7fc0, v3, vcc_lo
	global_store_b16 v[0:1], v2, off
.LBB169_2254:
	s_mov_b32 s1, 0
.LBB169_2255:
	s_delay_alu instid0(SALU_CYCLE_1)
	s_and_b32 vcc_lo, exec_lo, s1
	s_mov_b32 s1, 0
	s_cbranch_vccz .LBB169_2257
; %bb.2256:
	v_cmp_ne_u16_e64 s0, 11, v22
	s_mov_b32 s1, -1
.LBB169_2257:
	s_delay_alu instid0(VALU_DEP_1)
	s_and_b32 vcc_lo, exec_lo, s0
	s_cbranch_vccnz .LBB169_2510
; %bb.2258:
	s_and_not1_b32 vcc_lo, exec_lo, s1
	s_cbranch_vccnz .LBB169_2260
.LBB169_2259:
	v_cmp_neq_f64_e32 vcc_lo, 0, v[4:5]
	v_cmp_neq_f64_e64 s0, 0, v[6:7]
	s_mov_b32 s2, -1
	s_delay_alu instid0(VALU_DEP_1) | instskip(NEXT) | instid1(SALU_CYCLE_1)
	s_or_b32 s0, vcc_lo, s0
	v_cndmask_b32_e64 v2, 0, 1, s0
	global_store_b8 v[0:1], v2, off
.LBB169_2260:
	s_mov_b32 s0, 0
.LBB169_2261:
	s_delay_alu instid0(SALU_CYCLE_1)
	s_and_b32 vcc_lo, exec_lo, s0
	s_cbranch_vccz .LBB169_2300
; %bb.2262:
	v_cmp_gt_i16_e32 vcc_lo, 5, v22
	s_mov_b32 s0, -1
	s_cbranch_vccnz .LBB169_2283
; %bb.2263:
	v_cmp_gt_i16_e32 vcc_lo, 8, v22
	s_cbranch_vccnz .LBB169_2273
; %bb.2264:
	v_cmp_gt_i16_e32 vcc_lo, 9, v22
	s_cbranch_vccnz .LBB169_2270
; %bb.2265:
	v_cmp_lt_i16_e32 vcc_lo, 9, v22
	s_cbranch_vccz .LBB169_2267
; %bb.2266:
	s_mov_b32 s0, 0
	global_store_b128 v[0:1], v[4:7], off
.LBB169_2267:
	s_and_not1_b32 vcc_lo, exec_lo, s0
	s_cbranch_vccnz .LBB169_2269
; %bb.2268:
	v_cvt_f32_f64_e32 v2, v[4:5]
	v_cvt_f32_f64_e32 v3, v[6:7]
	global_store_b64 v[0:1], v[2:3], off
.LBB169_2269:
	s_mov_b32 s0, 0
.LBB169_2270:
	s_delay_alu instid0(SALU_CYCLE_1)
	s_and_not1_b32 vcc_lo, exec_lo, s0
	s_cbranch_vccnz .LBB169_2272
; %bb.2271:
	v_cvt_f32_f64_e32 v2, v[6:7]
	v_cvt_f32_f64_e32 v3, v[4:5]
	s_delay_alu instid0(VALU_DEP_2) | instskip(NEXT) | instid1(VALU_DEP_2)
	v_cvt_f16_f32_e32 v2, v2
	v_cvt_f16_f32_e32 v3, v3
	s_delay_alu instid0(VALU_DEP_2) | instskip(NEXT) | instid1(VALU_DEP_2)
	v_lshlrev_b32_e32 v2, 16, v2
	v_and_b32_e32 v3, 0xffff, v3
	s_delay_alu instid0(VALU_DEP_1)
	v_or_b32_e32 v2, v2, v3
	global_store_b32 v[0:1], v2, off
.LBB169_2272:
	s_mov_b32 s0, 0
.LBB169_2273:
	s_delay_alu instid0(SALU_CYCLE_1)
	s_and_not1_b32 vcc_lo, exec_lo, s0
	s_cbranch_vccnz .LBB169_2282
; %bb.2274:
	v_cmp_gt_i16_e32 vcc_lo, 6, v22
	s_mov_b32 s0, -1
	s_cbranch_vccnz .LBB169_2280
; %bb.2275:
	v_cmp_lt_i16_e32 vcc_lo, 6, v22
	s_cbranch_vccz .LBB169_2277
; %bb.2276:
	s_mov_b32 s0, 0
	global_store_b64 v[0:1], v[4:5], off
.LBB169_2277:
	s_and_not1_b32 vcc_lo, exec_lo, s0
	s_cbranch_vccnz .LBB169_2279
; %bb.2278:
	v_cvt_f32_f64_e32 v2, v[4:5]
	global_store_b32 v[0:1], v2, off
.LBB169_2279:
	s_mov_b32 s0, 0
.LBB169_2280:
	s_delay_alu instid0(SALU_CYCLE_1)
	s_and_not1_b32 vcc_lo, exec_lo, s0
	s_cbranch_vccnz .LBB169_2282
; %bb.2281:
	v_cvt_f32_f64_e32 v2, v[4:5]
	s_delay_alu instid0(VALU_DEP_1)
	v_cvt_f16_f32_e32 v2, v2
	global_store_b16 v[0:1], v2, off
.LBB169_2282:
	s_mov_b32 s0, 0
.LBB169_2283:
	s_delay_alu instid0(SALU_CYCLE_1)
	s_and_not1_b32 vcc_lo, exec_lo, s0
	s_cbranch_vccnz .LBB169_2299
; %bb.2284:
	v_cmp_gt_i16_e32 vcc_lo, 2, v22
	s_mov_b32 s0, -1
	s_cbranch_vccnz .LBB169_2294
; %bb.2285:
	v_cmp_gt_i16_e32 vcc_lo, 3, v22
	s_cbranch_vccnz .LBB169_2291
; %bb.2286:
	v_cmp_lt_i16_e32 vcc_lo, 3, v22
	s_cbranch_vccz .LBB169_2288
; %bb.2287:
	v_trunc_f64_e32 v[2:3], v[4:5]
	s_mov_b32 s0, 0
	s_delay_alu instid0(VALU_DEP_1) | instskip(NEXT) | instid1(VALU_DEP_1)
	v_ldexp_f64 v[6:7], v[2:3], 0xffffffe0
	v_floor_f64_e32 v[6:7], v[6:7]
	s_delay_alu instid0(VALU_DEP_1) | instskip(SKIP_1) | instid1(VALU_DEP_2)
	v_fma_f64 v[2:3], 0xc1f00000, v[6:7], v[2:3]
	v_cvt_i32_f64_e32 v7, v[6:7]
	v_cvt_u32_f64_e32 v6, v[2:3]
	global_store_b64 v[0:1], v[6:7], off
.LBB169_2288:
	s_and_not1_b32 vcc_lo, exec_lo, s0
	s_cbranch_vccnz .LBB169_2290
; %bb.2289:
	v_cvt_i32_f64_e32 v2, v[4:5]
	global_store_b32 v[0:1], v2, off
.LBB169_2290:
	s_mov_b32 s0, 0
.LBB169_2291:
	s_delay_alu instid0(SALU_CYCLE_1)
	s_and_not1_b32 vcc_lo, exec_lo, s0
	s_cbranch_vccnz .LBB169_2293
; %bb.2292:
	v_cvt_i32_f64_e32 v2, v[4:5]
	global_store_b16 v[0:1], v2, off
.LBB169_2293:
	s_mov_b32 s0, 0
.LBB169_2294:
	s_delay_alu instid0(SALU_CYCLE_1)
	s_and_not1_b32 vcc_lo, exec_lo, s0
	s_cbranch_vccnz .LBB169_2299
; %bb.2295:
	v_cmp_lt_i16_e32 vcc_lo, 0, v22
	s_mov_b32 s0, -1
	s_cbranch_vccz .LBB169_2297
; %bb.2296:
	v_cvt_i32_f64_e32 v2, v[4:5]
	s_mov_b32 s0, 0
	global_store_b8 v[0:1], v2, off
.LBB169_2297:
	s_and_not1_b32 vcc_lo, exec_lo, s0
	s_cbranch_vccnz .LBB169_2299
; %bb.2298:
	v_trunc_f64_e32 v[2:3], v[4:5]
	s_delay_alu instid0(VALU_DEP_1) | instskip(NEXT) | instid1(VALU_DEP_1)
	v_ldexp_f64 v[4:5], v[2:3], 0xffffffe0
	v_floor_f64_e32 v[4:5], v[4:5]
	s_delay_alu instid0(VALU_DEP_1) | instskip(NEXT) | instid1(VALU_DEP_1)
	v_fma_f64 v[2:3], 0xc1f00000, v[4:5], v[2:3]
	v_cvt_u32_f64_e32 v2, v[2:3]
	global_store_b8 v[0:1], v2, off
.LBB169_2299:
	s_mov_b32 s2, -1
.LBB169_2300:
	s_delay_alu instid0(SALU_CYCLE_1)
	s_and_not1_b32 vcc_lo, exec_lo, s2
	s_cbranch_vccnz .LBB169_2495
; %bb.2301:
	v_cmp_gt_i16_e32 vcc_lo, 11, v22
	v_add_co_u32 v0, s0, s4, v19
	s_delay_alu instid0(VALU_DEP_1)
	v_add_co_ci_u32_e64 v1, null, s5, 0, s0
	s_mov_b32 s2, 0
	s_mov_b32 s0, -1
	s_cbranch_vccnz .LBB169_2379
; %bb.2302:
	v_cmp_lt_i16_e32 vcc_lo, 25, v22
	s_mov_b32 s3, -1
	s_mov_b32 s1, 0
	s_mov_b32 s0, 0
	s_cbranch_vccz .LBB169_2335
; %bb.2303:
	v_cmp_lt_i16_e32 vcc_lo, 28, v22
	s_cbranch_vccz .LBB169_2318
; %bb.2304:
	v_cmp_lt_i16_e32 vcc_lo, 43, v22
	;; [unrolled: 3-line block ×3, first 2 shown]
	s_cbranch_vccz .LBB169_2308
; %bb.2306:
	v_cmp_eq_u16_e32 vcc_lo, 46, v22
	s_mov_b32 s0, -1
	s_mov_b32 s3, 0
	s_cbranch_vccz .LBB169_2308
; %bb.2307:
	v_cvt_f32_f64_e32 v2, v[10:11]
	v_cvt_f32_f64_e32 v3, v[8:9]
	s_mov_b32 s0, 0
	s_mov_b32 s2, -1
	s_delay_alu instid0(VALU_DEP_2) | instskip(NEXT) | instid1(VALU_DEP_2)
	v_bfe_u32 v4, v2, 16, 1
	v_bfe_u32 v5, v3, 16, 1
	v_cmp_o_f32_e32 vcc_lo, v2, v2
	s_delay_alu instid0(VALU_DEP_3) | instskip(NEXT) | instid1(VALU_DEP_3)
	v_add3_u32 v4, v2, v4, 0x7fff
	v_add3_u32 v5, v3, v5, 0x7fff
	s_delay_alu instid0(VALU_DEP_2) | instskip(NEXT) | instid1(VALU_DEP_2)
	v_and_b32_e32 v4, 0xffff0000, v4
	v_lshrrev_b32_e32 v5, 16, v5
	s_delay_alu instid0(VALU_DEP_2) | instskip(SKIP_1) | instid1(VALU_DEP_3)
	v_cndmask_b32_e32 v2, 0x7fc00000, v4, vcc_lo
	v_cmp_o_f32_e32 vcc_lo, v3, v3
	v_cndmask_b32_e32 v3, 0x7fc0, v5, vcc_lo
	s_delay_alu instid0(VALU_DEP_1)
	v_or_b32_e32 v2, v2, v3
	global_store_b32 v[0:1], v2, off
.LBB169_2308:
	s_and_b32 vcc_lo, exec_lo, s3
	s_cbranch_vccz .LBB169_2313
; %bb.2309:
	v_cmp_eq_u16_e32 vcc_lo, 44, v22
	s_mov_b32 s0, -1
	s_cbranch_vccz .LBB169_2313
; %bb.2310:
	v_cvt_f32_f64_e32 v2, v[8:9]
	v_mov_b32_e32 v3, 0xff
	s_mov_b32 s2, exec_lo
	s_delay_alu instid0(VALU_DEP_2) | instskip(NEXT) | instid1(VALU_DEP_1)
	v_bfe_u32 v4, v2, 23, 8
	v_cmpx_ne_u32_e32 0xff, v4
; %bb.2311:
	v_and_b32_e32 v3, 0x400000, v2
	v_and_or_b32 v4, 0x3fffff, v2, v4
	v_lshrrev_b32_e32 v2, 23, v2
	s_delay_alu instid0(VALU_DEP_3) | instskip(NEXT) | instid1(VALU_DEP_3)
	v_cmp_ne_u32_e32 vcc_lo, 0, v3
	v_cmp_ne_u32_e64 s0, 0, v4
	s_delay_alu instid0(VALU_DEP_1) | instskip(NEXT) | instid1(SALU_CYCLE_1)
	s_and_b32 s0, vcc_lo, s0
	v_cndmask_b32_e64 v3, 0, 1, s0
	s_delay_alu instid0(VALU_DEP_1)
	v_add_nc_u32_e32 v3, v2, v3
; %bb.2312:
	s_or_b32 exec_lo, exec_lo, s2
	s_mov_b32 s0, 0
	s_mov_b32 s2, -1
	global_store_b8 v[0:1], v3, off
.LBB169_2313:
	s_mov_b32 s3, 0
.LBB169_2314:
	s_delay_alu instid0(SALU_CYCLE_1)
	s_and_b32 vcc_lo, exec_lo, s3
	s_cbranch_vccz .LBB169_2317
; %bb.2315:
	v_cmp_eq_u16_e32 vcc_lo, 29, v22
	s_mov_b32 s0, -1
	s_cbranch_vccz .LBB169_2317
; %bb.2316:
	v_trunc_f64_e32 v[2:3], v[8:9]
	s_mov_b32 s0, 0
	s_mov_b32 s2, -1
	s_delay_alu instid0(VALU_DEP_1) | instskip(NEXT) | instid1(VALU_DEP_1)
	v_ldexp_f64 v[4:5], v[2:3], 0xffffffe0
	v_floor_f64_e32 v[4:5], v[4:5]
	s_delay_alu instid0(VALU_DEP_1) | instskip(SKIP_1) | instid1(VALU_DEP_2)
	v_fma_f64 v[2:3], 0xc1f00000, v[4:5], v[2:3]
	v_cvt_u32_f64_e32 v4, v[4:5]
	v_cvt_u32_f64_e32 v3, v[2:3]
	global_store_b64 v[0:1], v[3:4], off
.LBB169_2317:
	s_mov_b32 s3, 0
.LBB169_2318:
	s_delay_alu instid0(SALU_CYCLE_1)
	s_and_b32 vcc_lo, exec_lo, s3
	s_cbranch_vccz .LBB169_2334
; %bb.2319:
	v_cmp_gt_i16_e32 vcc_lo, 27, v22
	s_mov_b32 s2, -1
	s_cbranch_vccnz .LBB169_2325
; %bb.2320:
	v_cvt_u32_f64_e32 v2, v[8:9]
	v_cmp_lt_i16_e32 vcc_lo, 27, v22
	s_cbranch_vccz .LBB169_2322
; %bb.2321:
	s_mov_b32 s2, 0
	global_store_b32 v[0:1], v2, off
.LBB169_2322:
	s_and_not1_b32 vcc_lo, exec_lo, s2
	s_cbranch_vccnz .LBB169_2324
; %bb.2323:
	global_store_b16 v[0:1], v2, off
.LBB169_2324:
	s_mov_b32 s2, 0
.LBB169_2325:
	s_delay_alu instid0(SALU_CYCLE_1)
	s_and_not1_b32 vcc_lo, exec_lo, s2
	s_cbranch_vccnz .LBB169_2333
; %bb.2326:
	v_cvt_f32_f64_e32 v2, v[8:9]
	v_mov_b32_e32 v4, 0x80
	s_mov_b32 s2, exec_lo
	s_delay_alu instid0(VALU_DEP_2) | instskip(NEXT) | instid1(VALU_DEP_1)
	v_and_b32_e32 v3, 0x7fffffff, v2
	v_cmpx_gt_u32_e32 0x43800000, v3
	s_cbranch_execz .LBB169_2332
; %bb.2327:
	v_cmp_lt_u32_e32 vcc_lo, 0x3bffffff, v3
	s_mov_b32 s3, 0
                                        ; implicit-def: $vgpr3
	s_and_saveexec_b32 s6, vcc_lo
	s_delay_alu instid0(SALU_CYCLE_1)
	s_xor_b32 s6, exec_lo, s6
	s_cbranch_execz .LBB169_2514
; %bb.2328:
	v_bfe_u32 v3, v2, 20, 1
	s_mov_b32 s3, exec_lo
	s_delay_alu instid0(VALU_DEP_1) | instskip(NEXT) | instid1(VALU_DEP_1)
	v_add3_u32 v3, v2, v3, 0x487ffff
	v_lshrrev_b32_e32 v3, 20, v3
	s_or_saveexec_b32 s6, s6
                                        ; implicit-def: $sgpr7
	s_delay_alu instid0(SALU_CYCLE_1)
	s_xor_b32 exec_lo, exec_lo, s6
	s_cbranch_execnz .LBB169_2515
.LBB169_2329:
	s_or_b32 exec_lo, exec_lo, s6
	v_mov_b32_e32 v4, s7
	s_and_saveexec_b32 s6, s3
.LBB169_2330:
	v_lshrrev_b32_e32 v2, 24, v2
	s_delay_alu instid0(VALU_DEP_1)
	v_and_or_b32 v4, 0x80, v2, v3
.LBB169_2331:
	s_or_b32 exec_lo, exec_lo, s6
.LBB169_2332:
	s_delay_alu instid0(SALU_CYCLE_1)
	s_or_b32 exec_lo, exec_lo, s2
	global_store_b8 v[0:1], v4, off
.LBB169_2333:
	s_mov_b32 s2, -1
.LBB169_2334:
	s_mov_b32 s3, 0
.LBB169_2335:
	s_delay_alu instid0(SALU_CYCLE_1)
	s_and_b32 vcc_lo, exec_lo, s3
	s_cbranch_vccz .LBB169_2375
; %bb.2336:
	v_cmp_lt_i16_e32 vcc_lo, 22, v22
	s_mov_b32 s1, -1
	s_cbranch_vccz .LBB169_2368
; %bb.2337:
	v_cmp_gt_i16_e32 vcc_lo, 24, v22
	s_cbranch_vccnz .LBB169_2357
; %bb.2338:
	v_cmp_lt_i16_e32 vcc_lo, 24, v22
	s_cbranch_vccz .LBB169_2346
; %bb.2339:
	v_cvt_f32_f64_e32 v2, v[8:9]
	v_mov_b32_e32 v4, 0x80
	s_mov_b32 s1, exec_lo
	s_delay_alu instid0(VALU_DEP_2) | instskip(NEXT) | instid1(VALU_DEP_1)
	v_and_b32_e32 v3, 0x7fffffff, v2
	v_cmpx_gt_u32_e32 0x47800000, v3
	s_cbranch_execz .LBB169_2345
; %bb.2340:
	v_cmp_lt_u32_e32 vcc_lo, 0x37ffffff, v3
	s_mov_b32 s2, 0
                                        ; implicit-def: $vgpr3
	s_and_saveexec_b32 s3, vcc_lo
	s_delay_alu instid0(SALU_CYCLE_1)
	s_xor_b32 s3, exec_lo, s3
	s_cbranch_execz .LBB169_2520
; %bb.2341:
	v_bfe_u32 v3, v2, 21, 1
	s_mov_b32 s2, exec_lo
	s_delay_alu instid0(VALU_DEP_1) | instskip(NEXT) | instid1(VALU_DEP_1)
	v_add3_u32 v3, v2, v3, 0x88fffff
	v_lshrrev_b32_e32 v3, 21, v3
	s_or_saveexec_b32 s3, s3
                                        ; implicit-def: $sgpr6
	s_delay_alu instid0(SALU_CYCLE_1)
	s_xor_b32 exec_lo, exec_lo, s3
	s_cbranch_execnz .LBB169_2521
.LBB169_2342:
	s_or_b32 exec_lo, exec_lo, s3
	v_mov_b32_e32 v4, s6
	s_and_saveexec_b32 s3, s2
.LBB169_2343:
	v_lshrrev_b32_e32 v2, 24, v2
	s_delay_alu instid0(VALU_DEP_1)
	v_and_or_b32 v4, 0x80, v2, v3
.LBB169_2344:
	s_or_b32 exec_lo, exec_lo, s3
.LBB169_2345:
	s_delay_alu instid0(SALU_CYCLE_1)
	s_or_b32 exec_lo, exec_lo, s1
	s_mov_b32 s1, 0
	global_store_b8 v[0:1], v4, off
.LBB169_2346:
	s_and_b32 vcc_lo, exec_lo, s1
	s_cbranch_vccz .LBB169_2356
; %bb.2347:
	v_cvt_f32_f64_e32 v2, v[8:9]
	s_mov_b32 s1, exec_lo
                                        ; implicit-def: $vgpr3
	s_delay_alu instid0(VALU_DEP_1) | instskip(NEXT) | instid1(VALU_DEP_1)
	v_and_b32_e32 v4, 0x7fffffff, v2
	v_cmpx_gt_u32_e32 0x43f00000, v4
	s_xor_b32 s1, exec_lo, s1
	s_cbranch_execz .LBB169_2353
; %bb.2348:
	s_mov_b32 s2, exec_lo
                                        ; implicit-def: $vgpr3
	v_cmpx_lt_u32_e32 0x3c7fffff, v4
	s_xor_b32 s2, exec_lo, s2
; %bb.2349:
	v_bfe_u32 v3, v2, 20, 1
	s_delay_alu instid0(VALU_DEP_1) | instskip(NEXT) | instid1(VALU_DEP_1)
	v_add3_u32 v3, v2, v3, 0x407ffff
	v_and_b32_e32 v4, 0xff00000, v3
	v_lshrrev_b32_e32 v3, 20, v3
	s_delay_alu instid0(VALU_DEP_2) | instskip(NEXT) | instid1(VALU_DEP_2)
	v_cmp_ne_u32_e32 vcc_lo, 0x7f00000, v4
	v_cndmask_b32_e32 v3, 0x7e, v3, vcc_lo
; %bb.2350:
	s_and_not1_saveexec_b32 s2, s2
; %bb.2351:
	v_add_f32_e64 v3, 0x46800000, |v2|
; %bb.2352:
	s_or_b32 exec_lo, exec_lo, s2
                                        ; implicit-def: $vgpr4
.LBB169_2353:
	s_and_not1_saveexec_b32 s1, s1
; %bb.2354:
	v_mov_b32_e32 v3, 0x7f
	v_cmp_lt_u32_e32 vcc_lo, 0x7f800000, v4
	s_delay_alu instid0(VALU_DEP_2)
	v_cndmask_b32_e32 v3, 0x7e, v3, vcc_lo
; %bb.2355:
	s_or_b32 exec_lo, exec_lo, s1
	v_lshrrev_b32_e32 v2, 24, v2
	s_delay_alu instid0(VALU_DEP_1)
	v_and_or_b32 v2, 0x80, v2, v3
	global_store_b8 v[0:1], v2, off
.LBB169_2356:
	s_mov_b32 s1, 0
.LBB169_2357:
	s_delay_alu instid0(SALU_CYCLE_1)
	s_and_not1_b32 vcc_lo, exec_lo, s1
	s_cbranch_vccnz .LBB169_2367
; %bb.2358:
	v_cvt_f32_f64_e32 v2, v[8:9]
	s_mov_b32 s1, exec_lo
                                        ; implicit-def: $vgpr3
	s_delay_alu instid0(VALU_DEP_1) | instskip(NEXT) | instid1(VALU_DEP_1)
	v_and_b32_e32 v4, 0x7fffffff, v2
	v_cmpx_gt_u32_e32 0x47800000, v4
	s_xor_b32 s1, exec_lo, s1
	s_cbranch_execz .LBB169_2364
; %bb.2359:
	s_mov_b32 s2, exec_lo
                                        ; implicit-def: $vgpr3
	v_cmpx_lt_u32_e32 0x387fffff, v4
	s_xor_b32 s2, exec_lo, s2
; %bb.2360:
	v_bfe_u32 v3, v2, 21, 1
	s_delay_alu instid0(VALU_DEP_1) | instskip(NEXT) | instid1(VALU_DEP_1)
	v_add3_u32 v3, v2, v3, 0x80fffff
	v_lshrrev_b32_e32 v3, 21, v3
; %bb.2361:
	s_and_not1_saveexec_b32 s2, s2
; %bb.2362:
	v_add_f32_e64 v3, 0x43000000, |v2|
; %bb.2363:
	s_or_b32 exec_lo, exec_lo, s2
                                        ; implicit-def: $vgpr4
.LBB169_2364:
	s_and_not1_saveexec_b32 s1, s1
; %bb.2365:
	v_mov_b32_e32 v3, 0x7f
	v_cmp_lt_u32_e32 vcc_lo, 0x7f800000, v4
	s_delay_alu instid0(VALU_DEP_2)
	v_cndmask_b32_e32 v3, 0x7c, v3, vcc_lo
; %bb.2366:
	s_or_b32 exec_lo, exec_lo, s1
	v_lshrrev_b32_e32 v2, 24, v2
	s_delay_alu instid0(VALU_DEP_1)
	v_and_or_b32 v2, 0x80, v2, v3
	global_store_b8 v[0:1], v2, off
.LBB169_2367:
	s_mov_b32 s1, 0
	s_mov_b32 s2, -1
.LBB169_2368:
	s_and_not1_b32 vcc_lo, exec_lo, s1
	s_mov_b32 s1, 0
	s_cbranch_vccnz .LBB169_2375
; %bb.2369:
	v_cmp_lt_i16_e32 vcc_lo, 14, v22
	s_mov_b32 s1, -1
	s_cbranch_vccz .LBB169_2373
; %bb.2370:
	v_cmp_eq_u16_e32 vcc_lo, 15, v22
	s_mov_b32 s0, -1
	s_cbranch_vccz .LBB169_2372
; %bb.2371:
	v_cvt_f32_f64_e32 v2, v[8:9]
	s_mov_b32 s0, 0
	s_mov_b32 s2, -1
	s_delay_alu instid0(VALU_DEP_1) | instskip(SKIP_1) | instid1(VALU_DEP_2)
	v_bfe_u32 v3, v2, 16, 1
	v_cmp_o_f32_e32 vcc_lo, v2, v2
	v_add3_u32 v3, v2, v3, 0x7fff
	s_delay_alu instid0(VALU_DEP_1) | instskip(NEXT) | instid1(VALU_DEP_1)
	v_lshrrev_b32_e32 v3, 16, v3
	v_cndmask_b32_e32 v2, 0x7fc0, v3, vcc_lo
	global_store_b16 v[0:1], v2, off
.LBB169_2372:
	s_mov_b32 s1, 0
.LBB169_2373:
	s_delay_alu instid0(SALU_CYCLE_1)
	s_and_b32 vcc_lo, exec_lo, s1
	s_mov_b32 s1, 0
	s_cbranch_vccz .LBB169_2375
; %bb.2374:
	v_cmp_ne_u16_e64 s0, 11, v22
	s_mov_b32 s1, -1
.LBB169_2375:
	s_delay_alu instid0(VALU_DEP_1)
	s_and_b32 vcc_lo, exec_lo, s0
	s_cbranch_vccnz .LBB169_2518
; %bb.2376:
	s_and_not1_b32 vcc_lo, exec_lo, s1
	s_cbranch_vccnz .LBB169_2378
.LBB169_2377:
	v_cmp_neq_f64_e32 vcc_lo, 0, v[8:9]
	v_cmp_neq_f64_e64 s0, 0, v[10:11]
	s_mov_b32 s2, -1
	s_delay_alu instid0(VALU_DEP_1) | instskip(NEXT) | instid1(SALU_CYCLE_1)
	s_or_b32 s0, vcc_lo, s0
	v_cndmask_b32_e64 v2, 0, 1, s0
	global_store_b8 v[0:1], v2, off
.LBB169_2378:
	s_mov_b32 s0, 0
.LBB169_2379:
	s_delay_alu instid0(SALU_CYCLE_1)
	s_and_b32 vcc_lo, exec_lo, s0
	s_cbranch_vccz .LBB169_2418
; %bb.2380:
	v_cmp_gt_i16_e32 vcc_lo, 5, v22
	s_mov_b32 s0, -1
	s_cbranch_vccnz .LBB169_2401
; %bb.2381:
	v_cmp_gt_i16_e32 vcc_lo, 8, v22
	s_cbranch_vccnz .LBB169_2391
; %bb.2382:
	v_cmp_gt_i16_e32 vcc_lo, 9, v22
	s_cbranch_vccnz .LBB169_2388
; %bb.2383:
	v_cmp_lt_i16_e32 vcc_lo, 9, v22
	s_cbranch_vccz .LBB169_2385
; %bb.2384:
	s_mov_b32 s0, 0
	global_store_b128 v[0:1], v[8:11], off
.LBB169_2385:
	s_and_not1_b32 vcc_lo, exec_lo, s0
	s_cbranch_vccnz .LBB169_2387
; %bb.2386:
	v_cvt_f32_f64_e32 v2, v[8:9]
	v_cvt_f32_f64_e32 v3, v[10:11]
	global_store_b64 v[0:1], v[2:3], off
.LBB169_2387:
	s_mov_b32 s0, 0
.LBB169_2388:
	s_delay_alu instid0(SALU_CYCLE_1)
	s_and_not1_b32 vcc_lo, exec_lo, s0
	s_cbranch_vccnz .LBB169_2390
; %bb.2389:
	v_cvt_f32_f64_e32 v2, v[10:11]
	v_cvt_f32_f64_e32 v3, v[8:9]
	s_delay_alu instid0(VALU_DEP_2) | instskip(NEXT) | instid1(VALU_DEP_2)
	v_cvt_f16_f32_e32 v2, v2
	v_cvt_f16_f32_e32 v3, v3
	s_delay_alu instid0(VALU_DEP_2) | instskip(NEXT) | instid1(VALU_DEP_2)
	v_lshlrev_b32_e32 v2, 16, v2
	v_and_b32_e32 v3, 0xffff, v3
	s_delay_alu instid0(VALU_DEP_1)
	v_or_b32_e32 v2, v2, v3
	global_store_b32 v[0:1], v2, off
.LBB169_2390:
	s_mov_b32 s0, 0
.LBB169_2391:
	s_delay_alu instid0(SALU_CYCLE_1)
	s_and_not1_b32 vcc_lo, exec_lo, s0
	s_cbranch_vccnz .LBB169_2400
; %bb.2392:
	v_cmp_gt_i16_e32 vcc_lo, 6, v22
	s_mov_b32 s0, -1
	s_cbranch_vccnz .LBB169_2398
; %bb.2393:
	v_cmp_lt_i16_e32 vcc_lo, 6, v22
	s_cbranch_vccz .LBB169_2395
; %bb.2394:
	s_mov_b32 s0, 0
	global_store_b64 v[0:1], v[8:9], off
.LBB169_2395:
	s_and_not1_b32 vcc_lo, exec_lo, s0
	s_cbranch_vccnz .LBB169_2397
; %bb.2396:
	v_cvt_f32_f64_e32 v2, v[8:9]
	global_store_b32 v[0:1], v2, off
.LBB169_2397:
	s_mov_b32 s0, 0
.LBB169_2398:
	s_delay_alu instid0(SALU_CYCLE_1)
	s_and_not1_b32 vcc_lo, exec_lo, s0
	s_cbranch_vccnz .LBB169_2400
; %bb.2399:
	v_cvt_f32_f64_e32 v2, v[8:9]
	s_delay_alu instid0(VALU_DEP_1)
	v_cvt_f16_f32_e32 v2, v2
	global_store_b16 v[0:1], v2, off
.LBB169_2400:
	s_mov_b32 s0, 0
.LBB169_2401:
	s_delay_alu instid0(SALU_CYCLE_1)
	s_and_not1_b32 vcc_lo, exec_lo, s0
	s_cbranch_vccnz .LBB169_2417
; %bb.2402:
	v_cmp_gt_i16_e32 vcc_lo, 2, v22
	s_mov_b32 s0, -1
	s_cbranch_vccnz .LBB169_2412
; %bb.2403:
	v_cmp_gt_i16_e32 vcc_lo, 3, v22
	s_cbranch_vccnz .LBB169_2409
; %bb.2404:
	v_cmp_lt_i16_e32 vcc_lo, 3, v22
	s_cbranch_vccz .LBB169_2406
; %bb.2405:
	v_trunc_f64_e32 v[2:3], v[8:9]
	s_mov_b32 s0, 0
	s_delay_alu instid0(VALU_DEP_1) | instskip(NEXT) | instid1(VALU_DEP_1)
	v_ldexp_f64 v[4:5], v[2:3], 0xffffffe0
	v_floor_f64_e32 v[4:5], v[4:5]
	s_delay_alu instid0(VALU_DEP_1) | instskip(SKIP_1) | instid1(VALU_DEP_2)
	v_fma_f64 v[2:3], 0xc1f00000, v[4:5], v[2:3]
	v_cvt_i32_f64_e32 v4, v[4:5]
	v_cvt_u32_f64_e32 v3, v[2:3]
	global_store_b64 v[0:1], v[3:4], off
.LBB169_2406:
	s_and_not1_b32 vcc_lo, exec_lo, s0
	s_cbranch_vccnz .LBB169_2408
; %bb.2407:
	v_cvt_i32_f64_e32 v2, v[8:9]
	global_store_b32 v[0:1], v2, off
.LBB169_2408:
	s_mov_b32 s0, 0
.LBB169_2409:
	s_delay_alu instid0(SALU_CYCLE_1)
	s_and_not1_b32 vcc_lo, exec_lo, s0
	s_cbranch_vccnz .LBB169_2411
; %bb.2410:
	v_cvt_i32_f64_e32 v2, v[8:9]
	global_store_b16 v[0:1], v2, off
.LBB169_2411:
	s_mov_b32 s0, 0
.LBB169_2412:
	s_delay_alu instid0(SALU_CYCLE_1)
	s_and_not1_b32 vcc_lo, exec_lo, s0
	s_cbranch_vccnz .LBB169_2417
; %bb.2413:
	v_cmp_lt_i16_e32 vcc_lo, 0, v22
	s_mov_b32 s0, -1
	s_cbranch_vccz .LBB169_2415
; %bb.2414:
	v_cvt_i32_f64_e32 v2, v[8:9]
	s_mov_b32 s0, 0
	global_store_b8 v[0:1], v2, off
.LBB169_2415:
	s_and_not1_b32 vcc_lo, exec_lo, s0
	s_cbranch_vccnz .LBB169_2417
; %bb.2416:
	v_trunc_f64_e32 v[2:3], v[8:9]
	s_delay_alu instid0(VALU_DEP_1) | instskip(NEXT) | instid1(VALU_DEP_1)
	v_ldexp_f64 v[4:5], v[2:3], 0xffffffe0
	v_floor_f64_e32 v[4:5], v[4:5]
	s_delay_alu instid0(VALU_DEP_1) | instskip(NEXT) | instid1(VALU_DEP_1)
	v_fma_f64 v[2:3], 0xc1f00000, v[4:5], v[2:3]
	v_cvt_u32_f64_e32 v2, v[2:3]
	global_store_b8 v[0:1], v2, off
.LBB169_2417:
	s_mov_b32 s2, -1
.LBB169_2418:
	s_delay_alu instid0(SALU_CYCLE_1)
	s_and_not1_b32 vcc_lo, exec_lo, s2
	s_cbranch_vccnz .LBB169_2495
; %bb.2419:
	v_cmp_gt_i16_e32 vcc_lo, 11, v22
	v_add_co_u32 v0, s0, s4, v18
	s_delay_alu instid0(VALU_DEP_1)
	v_add_co_ci_u32_e64 v1, null, s5, 0, s0
	s_mov_b32 s1, 0
	s_mov_b32 s0, -1
	s_cbranch_vccnz .LBB169_1997
; %bb.2420:
	v_cmp_lt_i16_e32 vcc_lo, 25, v22
	s_mov_b32 s2, -1
	s_mov_b32 s0, 0
	s_cbranch_vccz .LBB169_2453
; %bb.2421:
	v_cmp_lt_i16_e32 vcc_lo, 28, v22
	s_cbranch_vccz .LBB169_2437
; %bb.2422:
	v_cmp_lt_i16_e32 vcc_lo, 43, v22
	;; [unrolled: 3-line block ×3, first 2 shown]
	s_cbranch_vccz .LBB169_2427
; %bb.2424:
	v_cmp_eq_u16_e32 vcc_lo, 46, v22
	s_mov_b32 s0, -1
	s_cbranch_vccz .LBB169_2426
; %bb.2425:
	v_cvt_f32_f64_e32 v2, v[14:15]
	v_cvt_f32_f64_e32 v3, v[12:13]
	s_mov_b32 s0, 0
	s_delay_alu instid0(VALU_DEP_2) | instskip(NEXT) | instid1(VALU_DEP_2)
	v_bfe_u32 v4, v2, 16, 1
	v_bfe_u32 v5, v3, 16, 1
	v_cmp_o_f32_e32 vcc_lo, v2, v2
	s_delay_alu instid0(VALU_DEP_3) | instskip(NEXT) | instid1(VALU_DEP_3)
	v_add3_u32 v4, v2, v4, 0x7fff
	v_add3_u32 v5, v3, v5, 0x7fff
	s_delay_alu instid0(VALU_DEP_2) | instskip(NEXT) | instid1(VALU_DEP_2)
	v_and_b32_e32 v4, 0xffff0000, v4
	v_lshrrev_b32_e32 v5, 16, v5
	s_delay_alu instid0(VALU_DEP_2) | instskip(SKIP_1) | instid1(VALU_DEP_3)
	v_cndmask_b32_e32 v2, 0x7fc00000, v4, vcc_lo
	v_cmp_o_f32_e32 vcc_lo, v3, v3
	v_cndmask_b32_e32 v3, 0x7fc0, v5, vcc_lo
	s_delay_alu instid0(VALU_DEP_1)
	v_or_b32_e32 v2, v2, v3
	global_store_b32 v[0:1], v2, off
.LBB169_2426:
	s_mov_b32 s2, 0
.LBB169_2427:
	s_delay_alu instid0(SALU_CYCLE_1)
	s_and_b32 vcc_lo, exec_lo, s2
	s_cbranch_vccz .LBB169_2432
; %bb.2428:
	v_cmp_eq_u16_e32 vcc_lo, 44, v22
	s_mov_b32 s0, -1
	s_cbranch_vccz .LBB169_2432
; %bb.2429:
	v_cvt_f32_f64_e32 v2, v[12:13]
	v_mov_b32_e32 v3, 0xff
	s_mov_b32 s2, exec_lo
	s_delay_alu instid0(VALU_DEP_2) | instskip(NEXT) | instid1(VALU_DEP_1)
	v_bfe_u32 v4, v2, 23, 8
	v_cmpx_ne_u32_e32 0xff, v4
; %bb.2430:
	v_and_b32_e32 v3, 0x400000, v2
	v_and_or_b32 v4, 0x3fffff, v2, v4
	v_lshrrev_b32_e32 v2, 23, v2
	s_delay_alu instid0(VALU_DEP_3) | instskip(NEXT) | instid1(VALU_DEP_3)
	v_cmp_ne_u32_e32 vcc_lo, 0, v3
	v_cmp_ne_u32_e64 s0, 0, v4
	s_delay_alu instid0(VALU_DEP_1) | instskip(NEXT) | instid1(SALU_CYCLE_1)
	s_and_b32 s0, vcc_lo, s0
	v_cndmask_b32_e64 v3, 0, 1, s0
	s_delay_alu instid0(VALU_DEP_1)
	v_add_nc_u32_e32 v3, v2, v3
; %bb.2431:
	s_or_b32 exec_lo, exec_lo, s2
	s_mov_b32 s0, 0
	global_store_b8 v[0:1], v3, off
.LBB169_2432:
	s_mov_b32 s2, 0
.LBB169_2433:
	s_delay_alu instid0(SALU_CYCLE_1)
	s_and_b32 vcc_lo, exec_lo, s2
	s_cbranch_vccz .LBB169_2436
; %bb.2434:
	v_cmp_eq_u16_e32 vcc_lo, 29, v22
	s_mov_b32 s0, -1
	s_cbranch_vccz .LBB169_2436
; %bb.2435:
	v_trunc_f64_e32 v[2:3], v[12:13]
	s_mov_b32 s0, 0
	s_delay_alu instid0(VALU_DEP_1) | instskip(NEXT) | instid1(VALU_DEP_1)
	v_ldexp_f64 v[4:5], v[2:3], 0xffffffe0
	v_floor_f64_e32 v[4:5], v[4:5]
	s_delay_alu instid0(VALU_DEP_1) | instskip(SKIP_1) | instid1(VALU_DEP_2)
	v_fma_f64 v[2:3], 0xc1f00000, v[4:5], v[2:3]
	v_cvt_u32_f64_e32 v4, v[4:5]
	v_cvt_u32_f64_e32 v3, v[2:3]
	global_store_b64 v[0:1], v[3:4], off
.LBB169_2436:
	s_mov_b32 s2, 0
.LBB169_2437:
	s_delay_alu instid0(SALU_CYCLE_1)
	s_and_b32 vcc_lo, exec_lo, s2
	s_cbranch_vccz .LBB169_2452
; %bb.2438:
	v_cmp_gt_i16_e32 vcc_lo, 27, v22
	s_mov_b32 s2, -1
	s_cbranch_vccnz .LBB169_2444
; %bb.2439:
	v_cvt_u32_f64_e32 v2, v[12:13]
	v_cmp_lt_i16_e32 vcc_lo, 27, v22
	s_cbranch_vccz .LBB169_2441
; %bb.2440:
	s_mov_b32 s2, 0
	global_store_b32 v[0:1], v2, off
.LBB169_2441:
	s_and_not1_b32 vcc_lo, exec_lo, s2
	s_cbranch_vccnz .LBB169_2443
; %bb.2442:
	global_store_b16 v[0:1], v2, off
.LBB169_2443:
	s_mov_b32 s2, 0
.LBB169_2444:
	s_delay_alu instid0(SALU_CYCLE_1)
	s_and_not1_b32 vcc_lo, exec_lo, s2
	s_cbranch_vccnz .LBB169_2452
; %bb.2445:
	v_cvt_f32_f64_e32 v2, v[12:13]
	v_mov_b32_e32 v4, 0x80
	s_mov_b32 s2, exec_lo
	s_delay_alu instid0(VALU_DEP_2) | instskip(NEXT) | instid1(VALU_DEP_1)
	v_and_b32_e32 v3, 0x7fffffff, v2
	v_cmpx_gt_u32_e32 0x43800000, v3
	s_cbranch_execz .LBB169_2451
; %bb.2446:
	v_cmp_lt_u32_e32 vcc_lo, 0x3bffffff, v3
	s_mov_b32 s3, 0
                                        ; implicit-def: $vgpr3
	s_and_saveexec_b32 s4, vcc_lo
	s_delay_alu instid0(SALU_CYCLE_1)
	s_xor_b32 s4, exec_lo, s4
	s_cbranch_execz .LBB169_2522
; %bb.2447:
	v_bfe_u32 v3, v2, 20, 1
	s_mov_b32 s3, exec_lo
	s_delay_alu instid0(VALU_DEP_1) | instskip(NEXT) | instid1(VALU_DEP_1)
	v_add3_u32 v3, v2, v3, 0x487ffff
	v_lshrrev_b32_e32 v3, 20, v3
	s_or_saveexec_b32 s4, s4
                                        ; implicit-def: $sgpr5
	s_delay_alu instid0(SALU_CYCLE_1)
	s_xor_b32 exec_lo, exec_lo, s4
	s_cbranch_execnz .LBB169_2523
.LBB169_2448:
	s_or_b32 exec_lo, exec_lo, s4
	v_mov_b32_e32 v4, s5
	s_and_saveexec_b32 s4, s3
.LBB169_2449:
	v_lshrrev_b32_e32 v2, 24, v2
	s_delay_alu instid0(VALU_DEP_1)
	v_and_or_b32 v4, 0x80, v2, v3
.LBB169_2450:
	s_or_b32 exec_lo, exec_lo, s4
.LBB169_2451:
	s_delay_alu instid0(SALU_CYCLE_1)
	s_or_b32 exec_lo, exec_lo, s2
	global_store_b8 v[0:1], v4, off
.LBB169_2452:
	s_mov_b32 s2, 0
.LBB169_2453:
	s_delay_alu instid0(SALU_CYCLE_1)
	s_and_b32 vcc_lo, exec_lo, s2
	s_cbranch_vccz .LBB169_2493
; %bb.2454:
	v_cmp_lt_i16_e32 vcc_lo, 22, v22
	s_mov_b32 s1, -1
	s_cbranch_vccz .LBB169_2486
; %bb.2455:
	v_cmp_gt_i16_e32 vcc_lo, 24, v22
	s_cbranch_vccnz .LBB169_2475
; %bb.2456:
	v_cmp_lt_i16_e32 vcc_lo, 24, v22
	s_cbranch_vccz .LBB169_2464
; %bb.2457:
	v_cvt_f32_f64_e32 v2, v[12:13]
	v_mov_b32_e32 v4, 0x80
	s_mov_b32 s1, exec_lo
	s_delay_alu instid0(VALU_DEP_2) | instskip(NEXT) | instid1(VALU_DEP_1)
	v_and_b32_e32 v3, 0x7fffffff, v2
	v_cmpx_gt_u32_e32 0x47800000, v3
	s_cbranch_execz .LBB169_2463
; %bb.2458:
	v_cmp_lt_u32_e32 vcc_lo, 0x37ffffff, v3
	s_mov_b32 s2, 0
                                        ; implicit-def: $vgpr3
	s_and_saveexec_b32 s3, vcc_lo
	s_delay_alu instid0(SALU_CYCLE_1)
	s_xor_b32 s3, exec_lo, s3
	s_cbranch_execz .LBB169_2528
; %bb.2459:
	v_bfe_u32 v3, v2, 21, 1
	s_mov_b32 s2, exec_lo
	s_delay_alu instid0(VALU_DEP_1) | instskip(NEXT) | instid1(VALU_DEP_1)
	v_add3_u32 v3, v2, v3, 0x88fffff
	v_lshrrev_b32_e32 v3, 21, v3
	s_or_saveexec_b32 s3, s3
                                        ; implicit-def: $sgpr4
	s_delay_alu instid0(SALU_CYCLE_1)
	s_xor_b32 exec_lo, exec_lo, s3
	s_cbranch_execnz .LBB169_2529
.LBB169_2460:
	s_or_b32 exec_lo, exec_lo, s3
	v_mov_b32_e32 v4, s4
	s_and_saveexec_b32 s3, s2
.LBB169_2461:
	v_lshrrev_b32_e32 v2, 24, v2
	s_delay_alu instid0(VALU_DEP_1)
	v_and_or_b32 v4, 0x80, v2, v3
.LBB169_2462:
	s_or_b32 exec_lo, exec_lo, s3
.LBB169_2463:
	s_delay_alu instid0(SALU_CYCLE_1)
	s_or_b32 exec_lo, exec_lo, s1
	s_mov_b32 s1, 0
	global_store_b8 v[0:1], v4, off
.LBB169_2464:
	s_and_b32 vcc_lo, exec_lo, s1
	s_cbranch_vccz .LBB169_2474
; %bb.2465:
	v_cvt_f32_f64_e32 v2, v[12:13]
	s_mov_b32 s1, exec_lo
                                        ; implicit-def: $vgpr3
	s_delay_alu instid0(VALU_DEP_1) | instskip(NEXT) | instid1(VALU_DEP_1)
	v_and_b32_e32 v4, 0x7fffffff, v2
	v_cmpx_gt_u32_e32 0x43f00000, v4
	s_xor_b32 s1, exec_lo, s1
	s_cbranch_execz .LBB169_2471
; %bb.2466:
	s_mov_b32 s2, exec_lo
                                        ; implicit-def: $vgpr3
	v_cmpx_lt_u32_e32 0x3c7fffff, v4
	s_xor_b32 s2, exec_lo, s2
; %bb.2467:
	v_bfe_u32 v3, v2, 20, 1
	s_delay_alu instid0(VALU_DEP_1) | instskip(NEXT) | instid1(VALU_DEP_1)
	v_add3_u32 v3, v2, v3, 0x407ffff
	v_and_b32_e32 v4, 0xff00000, v3
	v_lshrrev_b32_e32 v3, 20, v3
	s_delay_alu instid0(VALU_DEP_2) | instskip(NEXT) | instid1(VALU_DEP_2)
	v_cmp_ne_u32_e32 vcc_lo, 0x7f00000, v4
	v_cndmask_b32_e32 v3, 0x7e, v3, vcc_lo
; %bb.2468:
	s_and_not1_saveexec_b32 s2, s2
; %bb.2469:
	v_add_f32_e64 v3, 0x46800000, |v2|
; %bb.2470:
	s_or_b32 exec_lo, exec_lo, s2
                                        ; implicit-def: $vgpr4
.LBB169_2471:
	s_and_not1_saveexec_b32 s1, s1
; %bb.2472:
	v_mov_b32_e32 v3, 0x7f
	v_cmp_lt_u32_e32 vcc_lo, 0x7f800000, v4
	s_delay_alu instid0(VALU_DEP_2)
	v_cndmask_b32_e32 v3, 0x7e, v3, vcc_lo
; %bb.2473:
	s_or_b32 exec_lo, exec_lo, s1
	v_lshrrev_b32_e32 v2, 24, v2
	s_delay_alu instid0(VALU_DEP_1)
	v_and_or_b32 v2, 0x80, v2, v3
	global_store_b8 v[0:1], v2, off
.LBB169_2474:
	s_mov_b32 s1, 0
.LBB169_2475:
	s_delay_alu instid0(SALU_CYCLE_1)
	s_and_not1_b32 vcc_lo, exec_lo, s1
	s_cbranch_vccnz .LBB169_2485
; %bb.2476:
	v_cvt_f32_f64_e32 v2, v[12:13]
	s_mov_b32 s1, exec_lo
                                        ; implicit-def: $vgpr3
	s_delay_alu instid0(VALU_DEP_1) | instskip(NEXT) | instid1(VALU_DEP_1)
	v_and_b32_e32 v4, 0x7fffffff, v2
	v_cmpx_gt_u32_e32 0x47800000, v4
	s_xor_b32 s1, exec_lo, s1
	s_cbranch_execz .LBB169_2482
; %bb.2477:
	s_mov_b32 s2, exec_lo
                                        ; implicit-def: $vgpr3
	v_cmpx_lt_u32_e32 0x387fffff, v4
	s_xor_b32 s2, exec_lo, s2
; %bb.2478:
	v_bfe_u32 v3, v2, 21, 1
	s_delay_alu instid0(VALU_DEP_1) | instskip(NEXT) | instid1(VALU_DEP_1)
	v_add3_u32 v3, v2, v3, 0x80fffff
	v_lshrrev_b32_e32 v3, 21, v3
; %bb.2479:
	s_and_not1_saveexec_b32 s2, s2
; %bb.2480:
	v_add_f32_e64 v3, 0x43000000, |v2|
; %bb.2481:
	s_or_b32 exec_lo, exec_lo, s2
                                        ; implicit-def: $vgpr4
.LBB169_2482:
	s_and_not1_saveexec_b32 s1, s1
; %bb.2483:
	v_mov_b32_e32 v3, 0x7f
	v_cmp_lt_u32_e32 vcc_lo, 0x7f800000, v4
	s_delay_alu instid0(VALU_DEP_2)
	v_cndmask_b32_e32 v3, 0x7c, v3, vcc_lo
; %bb.2484:
	s_or_b32 exec_lo, exec_lo, s1
	v_lshrrev_b32_e32 v2, 24, v2
	s_delay_alu instid0(VALU_DEP_1)
	v_and_or_b32 v2, 0x80, v2, v3
	global_store_b8 v[0:1], v2, off
.LBB169_2485:
	s_mov_b32 s1, 0
.LBB169_2486:
	s_delay_alu instid0(SALU_CYCLE_1)
	s_and_not1_b32 vcc_lo, exec_lo, s1
	s_mov_b32 s1, 0
	s_cbranch_vccnz .LBB169_2493
; %bb.2487:
	v_cmp_lt_i16_e32 vcc_lo, 14, v22
	s_mov_b32 s1, -1
	s_cbranch_vccz .LBB169_2491
; %bb.2488:
	v_cmp_eq_u16_e32 vcc_lo, 15, v22
	s_mov_b32 s0, -1
	s_cbranch_vccz .LBB169_2490
; %bb.2489:
	v_cvt_f32_f64_e32 v2, v[12:13]
	s_mov_b32 s0, 0
	s_delay_alu instid0(VALU_DEP_1) | instskip(SKIP_1) | instid1(VALU_DEP_2)
	v_bfe_u32 v3, v2, 16, 1
	v_cmp_o_f32_e32 vcc_lo, v2, v2
	v_add3_u32 v3, v2, v3, 0x7fff
	s_delay_alu instid0(VALU_DEP_1) | instskip(NEXT) | instid1(VALU_DEP_1)
	v_lshrrev_b32_e32 v3, 16, v3
	v_cndmask_b32_e32 v2, 0x7fc0, v3, vcc_lo
	global_store_b16 v[0:1], v2, off
.LBB169_2490:
	s_mov_b32 s1, 0
.LBB169_2491:
	s_delay_alu instid0(SALU_CYCLE_1)
	s_and_b32 vcc_lo, exec_lo, s1
	s_mov_b32 s1, 0
	s_cbranch_vccz .LBB169_2493
; %bb.2492:
	v_cmp_ne_u16_e64 s0, 11, v22
	s_mov_b32 s1, -1
.LBB169_2493:
	s_delay_alu instid0(VALU_DEP_1)
	s_and_b32 vcc_lo, exec_lo, s0
	s_cbranch_vccnz .LBB169_2526
.LBB169_2494:
	s_mov_b32 s0, 0
	s_branch .LBB169_1997
.LBB169_2495:
	s_mov_b32 s0, 0
	s_mov_b32 s1, 0
                                        ; implicit-def: $vgpr0_vgpr1
                                        ; implicit-def: $vgpr22
	s_branch .LBB169_1997
.LBB169_2496:
	s_cbranch_execnz .LBB169_2500
; %bb.2497:
	s_or_b32 s10, s10, exec_lo
                                        ; implicit-def: $vgpr16_vgpr17
	s_cbranch_execz .LBB169_1926
	s_branch .LBB169_1927
.LBB169_2498:
	s_or_saveexec_b32 s6, s6
                                        ; implicit-def: $sgpr7
	s_delay_alu instid0(SALU_CYCLE_1)
	s_xor_b32 exec_lo, exec_lo, s6
	s_cbranch_execz .LBB169_2093
.LBB169_2499:
	v_add_f32_e64 v23, 0x46000000, |v21|
	s_and_not1_b32 s3, s3, exec_lo
	s_mov_b32 s7, 0
	s_delay_alu instid0(VALU_DEP_1) | instskip(NEXT) | instid1(VALU_DEP_1)
	v_and_b32_e32 v23, 0xff, v23
	v_cmp_ne_u32_e32 vcc_lo, 0, v23
	s_and_b32 s11, vcc_lo, exec_lo
	s_delay_alu instid0(SALU_CYCLE_1)
	s_or_b32 s3, s3, s11
	s_or_b32 exec_lo, exec_lo, s6
	v_mov_b32_e32 v24, s7
	s_and_saveexec_b32 s6, s3
	s_cbranch_execnz .LBB169_2094
	s_branch .LBB169_2095
.LBB169_2500:
	s_trap 2
	s_sendmsg_rtn_b32 s0, sendmsg(MSG_RTN_GET_DOORBELL)
	s_mov_b32 ttmp2, m0
	s_waitcnt lgkmcnt(0)
	s_and_b32 s0, s0, 0x3ff
	s_delay_alu instid0(SALU_CYCLE_1) | instskip(NEXT) | instid1(SALU_CYCLE_1)
	s_bitset1_b32 s0, 10
	s_mov_b32 m0, s0
	s_sendmsg sendmsg(MSG_INTERRUPT)
	s_mov_b32 m0, ttmp2
.LBB169_2501:                           ; =>This Inner Loop Header: Depth=1
	s_sethalt 5
	s_branch .LBB169_2501
.LBB169_2502:
	s_cbranch_execnz .LBB169_2508
; %bb.2503:
	s_or_b32 s10, s10, exec_lo
	s_cbranch_execz .LBB169_2141
	s_branch .LBB169_2142
.LBB169_2504:
	s_or_saveexec_b32 s3, s3
                                        ; implicit-def: $sgpr6
	s_delay_alu instid0(SALU_CYCLE_1)
	s_xor_b32 exec_lo, exec_lo, s3
	s_cbranch_execz .LBB169_2106
.LBB169_2505:
	v_add_f32_e64 v23, 0x42800000, |v21|
	s_and_not1_b32 s2, s2, exec_lo
	s_mov_b32 s6, 0
	s_delay_alu instid0(VALU_DEP_1) | instskip(NEXT) | instid1(VALU_DEP_1)
	v_and_b32_e32 v23, 0xff, v23
	v_cmp_ne_u32_e32 vcc_lo, 0, v23
	s_and_b32 s7, vcc_lo, exec_lo
	s_delay_alu instid0(SALU_CYCLE_1)
	s_or_b32 s2, s2, s7
	s_or_b32 exec_lo, exec_lo, s3
	v_mov_b32_e32 v24, s6
	s_and_saveexec_b32 s3, s2
	s_cbranch_execnz .LBB169_2107
	s_branch .LBB169_2108
.LBB169_2506:
	s_or_saveexec_b32 s6, s6
                                        ; implicit-def: $sgpr7
	s_delay_alu instid0(SALU_CYCLE_1)
	s_xor_b32 exec_lo, exec_lo, s6
	s_cbranch_execz .LBB169_2211
.LBB169_2507:
	v_add_f32_e64 v3, 0x46000000, |v2|
	s_and_not1_b32 s3, s3, exec_lo
	s_mov_b32 s7, 0
	s_delay_alu instid0(VALU_DEP_1) | instskip(NEXT) | instid1(VALU_DEP_1)
	v_and_b32_e32 v3, 0xff, v3
	v_cmp_ne_u32_e32 vcc_lo, 0, v3
	s_and_b32 s11, vcc_lo, exec_lo
	s_delay_alu instid0(SALU_CYCLE_1)
	s_or_b32 s3, s3, s11
	s_or_b32 exec_lo, exec_lo, s6
	v_mov_b32_e32 v16, s7
	s_and_saveexec_b32 s6, s3
	s_cbranch_execnz .LBB169_2212
	s_branch .LBB169_2213
.LBB169_2508:
	s_trap 2
	s_sendmsg_rtn_b32 s0, sendmsg(MSG_RTN_GET_DOORBELL)
	s_mov_b32 ttmp2, m0
	s_waitcnt lgkmcnt(0)
	s_and_b32 s0, s0, 0x3ff
	s_delay_alu instid0(SALU_CYCLE_1) | instskip(NEXT) | instid1(SALU_CYCLE_1)
	s_bitset1_b32 s0, 10
	s_mov_b32 m0, s0
	s_sendmsg sendmsg(MSG_INTERRUPT)
	s_mov_b32 m0, ttmp2
.LBB169_2509:                           ; =>This Inner Loop Header: Depth=1
	s_sethalt 5
	s_branch .LBB169_2509
.LBB169_2510:
	s_cbranch_execnz .LBB169_2516
; %bb.2511:
	s_or_b32 s10, s10, exec_lo
	s_cbranch_execz .LBB169_2259
	s_branch .LBB169_2260
.LBB169_2512:
	s_or_saveexec_b32 s3, s3
                                        ; implicit-def: $sgpr6
	s_delay_alu instid0(SALU_CYCLE_1)
	s_xor_b32 exec_lo, exec_lo, s3
	s_cbranch_execz .LBB169_2224
.LBB169_2513:
	v_add_f32_e64 v3, 0x42800000, |v2|
	s_and_not1_b32 s2, s2, exec_lo
	s_mov_b32 s6, 0
	s_delay_alu instid0(VALU_DEP_1) | instskip(NEXT) | instid1(VALU_DEP_1)
	v_and_b32_e32 v3, 0xff, v3
	v_cmp_ne_u32_e32 vcc_lo, 0, v3
	s_and_b32 s7, vcc_lo, exec_lo
	s_delay_alu instid0(SALU_CYCLE_1)
	s_or_b32 s2, s2, s7
	s_or_b32 exec_lo, exec_lo, s3
	v_mov_b32_e32 v16, s6
	s_and_saveexec_b32 s3, s2
	s_cbranch_execnz .LBB169_2225
	s_branch .LBB169_2226
.LBB169_2514:
	s_or_saveexec_b32 s6, s6
                                        ; implicit-def: $sgpr7
	s_delay_alu instid0(SALU_CYCLE_1)
	s_xor_b32 exec_lo, exec_lo, s6
	s_cbranch_execz .LBB169_2329
.LBB169_2515:
	v_add_f32_e64 v3, 0x46000000, |v2|
	s_and_not1_b32 s3, s3, exec_lo
	s_mov_b32 s7, 0
	s_delay_alu instid0(VALU_DEP_1) | instskip(NEXT) | instid1(VALU_DEP_1)
	v_and_b32_e32 v3, 0xff, v3
	v_cmp_ne_u32_e32 vcc_lo, 0, v3
	s_and_b32 s11, vcc_lo, exec_lo
	s_delay_alu instid0(SALU_CYCLE_1)
	s_or_b32 s3, s3, s11
	s_or_b32 exec_lo, exec_lo, s6
	v_mov_b32_e32 v4, s7
	s_and_saveexec_b32 s6, s3
	s_cbranch_execnz .LBB169_2330
	s_branch .LBB169_2331
.LBB169_2516:
	s_trap 2
	s_sendmsg_rtn_b32 s0, sendmsg(MSG_RTN_GET_DOORBELL)
	s_mov_b32 ttmp2, m0
	s_waitcnt lgkmcnt(0)
	s_and_b32 s0, s0, 0x3ff
	s_delay_alu instid0(SALU_CYCLE_1) | instskip(NEXT) | instid1(SALU_CYCLE_1)
	s_bitset1_b32 s0, 10
	s_mov_b32 m0, s0
	s_sendmsg sendmsg(MSG_INTERRUPT)
	s_mov_b32 m0, ttmp2
.LBB169_2517:                           ; =>This Inner Loop Header: Depth=1
	s_sethalt 5
	s_branch .LBB169_2517
.LBB169_2518:
	s_cbranch_execnz .LBB169_2524
; %bb.2519:
	s_or_b32 s10, s10, exec_lo
	s_cbranch_execz .LBB169_2377
	s_branch .LBB169_2378
.LBB169_2520:
	s_or_saveexec_b32 s3, s3
                                        ; implicit-def: $sgpr6
	s_delay_alu instid0(SALU_CYCLE_1)
	s_xor_b32 exec_lo, exec_lo, s3
	s_cbranch_execz .LBB169_2342
.LBB169_2521:
	v_add_f32_e64 v3, 0x42800000, |v2|
	s_and_not1_b32 s2, s2, exec_lo
	s_mov_b32 s6, 0
	s_delay_alu instid0(VALU_DEP_1) | instskip(NEXT) | instid1(VALU_DEP_1)
	v_and_b32_e32 v3, 0xff, v3
	v_cmp_ne_u32_e32 vcc_lo, 0, v3
	s_and_b32 s7, vcc_lo, exec_lo
	s_delay_alu instid0(SALU_CYCLE_1)
	s_or_b32 s2, s2, s7
	s_or_b32 exec_lo, exec_lo, s3
	v_mov_b32_e32 v4, s6
	s_and_saveexec_b32 s3, s2
	s_cbranch_execnz .LBB169_2343
	s_branch .LBB169_2344
.LBB169_2522:
	s_or_saveexec_b32 s4, s4
                                        ; implicit-def: $sgpr5
	s_delay_alu instid0(SALU_CYCLE_1)
	s_xor_b32 exec_lo, exec_lo, s4
	s_cbranch_execz .LBB169_2448
.LBB169_2523:
	v_add_f32_e64 v3, 0x46000000, |v2|
	s_and_not1_b32 s3, s3, exec_lo
	s_mov_b32 s5, 0
	s_delay_alu instid0(VALU_DEP_1) | instskip(NEXT) | instid1(VALU_DEP_1)
	v_and_b32_e32 v3, 0xff, v3
	v_cmp_ne_u32_e32 vcc_lo, 0, v3
	s_and_b32 s6, vcc_lo, exec_lo
	s_delay_alu instid0(SALU_CYCLE_1)
	s_or_b32 s3, s3, s6
	s_or_b32 exec_lo, exec_lo, s4
	v_mov_b32_e32 v4, s5
	s_and_saveexec_b32 s4, s3
	s_cbranch_execnz .LBB169_2449
	s_branch .LBB169_2450
.LBB169_2524:
	s_trap 2
	s_sendmsg_rtn_b32 s0, sendmsg(MSG_RTN_GET_DOORBELL)
	s_mov_b32 ttmp2, m0
	s_waitcnt lgkmcnt(0)
	s_and_b32 s0, s0, 0x3ff
	s_delay_alu instid0(SALU_CYCLE_1) | instskip(NEXT) | instid1(SALU_CYCLE_1)
	s_bitset1_b32 s0, 10
	s_mov_b32 m0, s0
	s_sendmsg sendmsg(MSG_INTERRUPT)
	s_mov_b32 m0, ttmp2
.LBB169_2525:                           ; =>This Inner Loop Header: Depth=1
	s_sethalt 5
	s_branch .LBB169_2525
.LBB169_2526:
	s_cbranch_execnz .LBB169_2530
; %bb.2527:
	s_mov_b32 s1, 0
	s_or_b32 s10, s10, exec_lo
	s_branch .LBB169_2494
.LBB169_2528:
	s_or_saveexec_b32 s3, s3
                                        ; implicit-def: $sgpr4
	s_delay_alu instid0(SALU_CYCLE_1)
	s_xor_b32 exec_lo, exec_lo, s3
	s_cbranch_execz .LBB169_2460
.LBB169_2529:
	v_add_f32_e64 v3, 0x42800000, |v2|
	s_and_not1_b32 s2, s2, exec_lo
	s_mov_b32 s4, 0
	s_delay_alu instid0(VALU_DEP_1) | instskip(NEXT) | instid1(VALU_DEP_1)
	v_and_b32_e32 v3, 0xff, v3
	v_cmp_ne_u32_e32 vcc_lo, 0, v3
	s_and_b32 s5, vcc_lo, exec_lo
	s_delay_alu instid0(SALU_CYCLE_1)
	s_or_b32 s2, s2, s5
	s_or_b32 exec_lo, exec_lo, s3
	v_mov_b32_e32 v4, s4
	s_and_saveexec_b32 s3, s2
	s_cbranch_execnz .LBB169_2461
	s_branch .LBB169_2462
.LBB169_2530:
	s_trap 2
	s_sendmsg_rtn_b32 s0, sendmsg(MSG_RTN_GET_DOORBELL)
	s_mov_b32 ttmp2, m0
	s_waitcnt lgkmcnt(0)
	s_and_b32 s0, s0, 0x3ff
	s_delay_alu instid0(SALU_CYCLE_1) | instskip(NEXT) | instid1(SALU_CYCLE_1)
	s_bitset1_b32 s0, 10
	s_mov_b32 m0, s0
	s_sendmsg sendmsg(MSG_INTERRUPT)
	s_mov_b32 m0, ttmp2
.LBB169_2531:                           ; =>This Inner Loop Header: Depth=1
	s_sethalt 5
	s_branch .LBB169_2531
	.section	.rodata,"a",@progbits
	.p2align	6, 0x0
	.amdhsa_kernel _ZN2at6native32elementwise_kernel_manual_unrollILi128ELi4EZNS0_15gpu_kernel_implIZZZNS0_17rsqrt_kernel_cudaERNS_18TensorIteratorBaseEENKUlvE_clEvENKUlvE_clEvEUlN3c107complexIdEEE_EEvS4_RKT_EUlibE0_EEviT1_
		.amdhsa_group_segment_fixed_size 0
		.amdhsa_private_segment_fixed_size 0
		.amdhsa_kernarg_size 360
		.amdhsa_user_sgpr_count 15
		.amdhsa_user_sgpr_dispatch_ptr 0
		.amdhsa_user_sgpr_queue_ptr 0
		.amdhsa_user_sgpr_kernarg_segment_ptr 1
		.amdhsa_user_sgpr_dispatch_id 0
		.amdhsa_user_sgpr_private_segment_size 0
		.amdhsa_wavefront_size32 1
		.amdhsa_uses_dynamic_stack 0
		.amdhsa_enable_private_segment 0
		.amdhsa_system_sgpr_workgroup_id_x 1
		.amdhsa_system_sgpr_workgroup_id_y 0
		.amdhsa_system_sgpr_workgroup_id_z 0
		.amdhsa_system_sgpr_workgroup_info 0
		.amdhsa_system_vgpr_workitem_id 0
		.amdhsa_next_free_vgpr 36
		.amdhsa_next_free_sgpr 68
		.amdhsa_reserve_vcc 1
		.amdhsa_float_round_mode_32 0
		.amdhsa_float_round_mode_16_64 0
		.amdhsa_float_denorm_mode_32 3
		.amdhsa_float_denorm_mode_16_64 3
		.amdhsa_dx10_clamp 1
		.amdhsa_ieee_mode 1
		.amdhsa_fp16_overflow 0
		.amdhsa_workgroup_processor_mode 1
		.amdhsa_memory_ordered 1
		.amdhsa_forward_progress 0
		.amdhsa_shared_vgpr_count 0
		.amdhsa_exception_fp_ieee_invalid_op 0
		.amdhsa_exception_fp_denorm_src 0
		.amdhsa_exception_fp_ieee_div_zero 0
		.amdhsa_exception_fp_ieee_overflow 0
		.amdhsa_exception_fp_ieee_underflow 0
		.amdhsa_exception_fp_ieee_inexact 0
		.amdhsa_exception_int_div_zero 0
	.end_amdhsa_kernel
	.section	.text._ZN2at6native32elementwise_kernel_manual_unrollILi128ELi4EZNS0_15gpu_kernel_implIZZZNS0_17rsqrt_kernel_cudaERNS_18TensorIteratorBaseEENKUlvE_clEvENKUlvE_clEvEUlN3c107complexIdEEE_EEvS4_RKT_EUlibE0_EEviT1_,"axG",@progbits,_ZN2at6native32elementwise_kernel_manual_unrollILi128ELi4EZNS0_15gpu_kernel_implIZZZNS0_17rsqrt_kernel_cudaERNS_18TensorIteratorBaseEENKUlvE_clEvENKUlvE_clEvEUlN3c107complexIdEEE_EEvS4_RKT_EUlibE0_EEviT1_,comdat
.Lfunc_end169:
	.size	_ZN2at6native32elementwise_kernel_manual_unrollILi128ELi4EZNS0_15gpu_kernel_implIZZZNS0_17rsqrt_kernel_cudaERNS_18TensorIteratorBaseEENKUlvE_clEvENKUlvE_clEvEUlN3c107complexIdEEE_EEvS4_RKT_EUlibE0_EEviT1_, .Lfunc_end169-_ZN2at6native32elementwise_kernel_manual_unrollILi128ELi4EZNS0_15gpu_kernel_implIZZZNS0_17rsqrt_kernel_cudaERNS_18TensorIteratorBaseEENKUlvE_clEvENKUlvE_clEvEUlN3c107complexIdEEE_EEvS4_RKT_EUlibE0_EEviT1_
                                        ; -- End function
	.section	.AMDGPU.csdata,"",@progbits
; Kernel info:
; codeLenInByte = 63064
; NumSgprs: 70
; NumVgprs: 36
; ScratchSize: 0
; MemoryBound: 1
; FloatMode: 240
; IeeeMode: 1
; LDSByteSize: 0 bytes/workgroup (compile time only)
; SGPRBlocks: 8
; VGPRBlocks: 4
; NumSGPRsForWavesPerEU: 70
; NumVGPRsForWavesPerEU: 36
; Occupancy: 16
; WaveLimiterHint : 1
; COMPUTE_PGM_RSRC2:SCRATCH_EN: 0
; COMPUTE_PGM_RSRC2:USER_SGPR: 15
; COMPUTE_PGM_RSRC2:TRAP_HANDLER: 0
; COMPUTE_PGM_RSRC2:TGID_X_EN: 1
; COMPUTE_PGM_RSRC2:TGID_Y_EN: 0
; COMPUTE_PGM_RSRC2:TGID_Z_EN: 0
; COMPUTE_PGM_RSRC2:TIDIG_COMP_CNT: 0
	.section	.text._ZN2at6native29vectorized_elementwise_kernelILi16EZZZNS0_17rsqrt_kernel_cudaERNS_18TensorIteratorBaseEENKUlvE_clEvENKUlvE0_clEvEUlN3c107complexIfEEE_St5arrayIPcLm2EEEEviT0_T1_,"axG",@progbits,_ZN2at6native29vectorized_elementwise_kernelILi16EZZZNS0_17rsqrt_kernel_cudaERNS_18TensorIteratorBaseEENKUlvE_clEvENKUlvE0_clEvEUlN3c107complexIfEEE_St5arrayIPcLm2EEEEviT0_T1_,comdat
	.globl	_ZN2at6native29vectorized_elementwise_kernelILi16EZZZNS0_17rsqrt_kernel_cudaERNS_18TensorIteratorBaseEENKUlvE_clEvENKUlvE0_clEvEUlN3c107complexIfEEE_St5arrayIPcLm2EEEEviT0_T1_ ; -- Begin function _ZN2at6native29vectorized_elementwise_kernelILi16EZZZNS0_17rsqrt_kernel_cudaERNS_18TensorIteratorBaseEENKUlvE_clEvENKUlvE0_clEvEUlN3c107complexIfEEE_St5arrayIPcLm2EEEEviT0_T1_
	.p2align	8
	.type	_ZN2at6native29vectorized_elementwise_kernelILi16EZZZNS0_17rsqrt_kernel_cudaERNS_18TensorIteratorBaseEENKUlvE_clEvENKUlvE0_clEvEUlN3c107complexIfEEE_St5arrayIPcLm2EEEEviT0_T1_,@function
_ZN2at6native29vectorized_elementwise_kernelILi16EZZZNS0_17rsqrt_kernel_cudaERNS_18TensorIteratorBaseEENKUlvE_clEvENKUlvE0_clEvEUlN3c107complexIfEEE_St5arrayIPcLm2EEEEviT0_T1_: ; @_ZN2at6native29vectorized_elementwise_kernelILi16EZZZNS0_17rsqrt_kernel_cudaERNS_18TensorIteratorBaseEENKUlvE_clEvENKUlvE0_clEvEUlN3c107complexIfEEE_St5arrayIPcLm2EEEEviT0_T1_
; %bb.0:
	s_clause 0x1
	s_load_b32 s2, s[0:1], 0x0
	s_load_b128 s[4:7], s[0:1], 0x8
	s_lshl_b32 s8, s15, 10
	s_mov_b32 s0, -1
	s_waitcnt lgkmcnt(0)
	s_sub_i32 s10, s2, s8
	s_delay_alu instid0(SALU_CYCLE_1)
	s_cmpk_gt_i32 s10, 0x3ff
	s_cbranch_scc0 .LBB170_154
; %bb.1:
	s_ashr_i32 s9, s8, 31
	v_lshlrev_b32_e32 v13, 5, v0
	s_lshl_b64 s[2:3], s[8:9], 3
	v_mov_b32_e32 v11, 0
	s_add_u32 s0, s6, s2
	s_addc_u32 s1, s7, s3
	s_clause 0x1
	global_load_b128 v[6:9], v13, s[0:1]
	global_load_b128 v[1:4], v13, s[0:1] offset:16
	s_waitcnt vmcnt(1)
	v_mov_b32_e32 v10, v7
	v_cmp_neq_f32_e32 vcc_lo, 0, v6
	v_cmp_neq_f32_e64 s0, 0, v7
	s_delay_alu instid0(VALU_DEP_1) | instskip(NEXT) | instid1(SALU_CYCLE_1)
	s_or_b32 s0, vcc_lo, s0
	s_and_saveexec_b32 s9, s0
	s_cbranch_execz .LBB170_31
; %bb.2:
	v_dual_mov_b32 v11, 0x7f800000 :: v_dual_mov_b32 v10, v7
	s_mov_b32 s11, exec_lo
	v_cmpx_neq_f32_e64 0x7f800000, |v7|
	s_cbranch_execz .LBB170_30
; %bb.3:
                                        ; implicit-def: $vgpr10
                                        ; implicit-def: $vgpr11
	s_mov_b32 s0, exec_lo
	v_cmpx_o_f32_e32 v6, v6
	s_xor_b32 s12, exec_lo, s0
	s_cbranch_execz .LBB170_27
; %bb.4:
                                        ; implicit-def: $vgpr10
                                        ; implicit-def: $vgpr11
	s_mov_b32 s1, exec_lo
	v_cmpx_neq_f32_e64 0x7f800000, |v6|
	s_xor_b32 s13, exec_lo, s1
	s_cbranch_execz .LBB170_20
; %bb.5:
	v_max_f32_e64 v5, |v7|, |v7|
	v_max_f32_e64 v10, |v6|, |v6|
                                        ; implicit-def: $sgpr14
	s_delay_alu instid0(VALU_DEP_1) | instskip(NEXT) | instid1(VALU_DEP_1)
	v_max_f32_e32 v5, v10, v5
                                        ; implicit-def: $vgpr10
	v_cmp_nle_f32_e64 s0, 0x7ed413cb, v5
                                        ; implicit-def: $vgpr5
	s_delay_alu instid0(VALU_DEP_1) | instskip(NEXT) | instid1(SALU_CYCLE_1)
	s_and_saveexec_b32 s1, s0
	s_xor_b32 s1, exec_lo, s1
	s_cbranch_execz .LBB170_9
; %bb.6:
	v_cmp_ge_f32_e64 s14, 0x1000000, |v6|
	v_cmp_ge_f32_e64 s15, 0x1000000, |v7|
	v_dual_mov_b32 v10, v6 :: v_dual_mov_b32 v5, v7
	s_delay_alu instid0(VALU_DEP_2)
	s_and_b32 s16, s14, s15
	s_mov_b32 s14, 0
	s_and_saveexec_b32 s15, s16
; %bb.7:
	v_dual_mul_f32 v10, 4.0, v6 :: v_dual_mul_f32 v5, 4.0, v7
	s_mov_b32 s14, exec_lo
; %bb.8:
	s_or_b32 exec_lo, exec_lo, s15
	s_delay_alu instid0(SALU_CYCLE_1)
	s_and_b32 s14, s14, exec_lo
.LBB170_9:
	s_and_not1_saveexec_b32 s1, s1
; %bb.10:
	v_dual_mul_f32 v10, 0x3e800000, v6 :: v_dual_mul_f32 v5, 0x3e800000, v7
	s_and_not1_b32 s14, s14, exec_lo
; %bb.11:
	s_or_b32 exec_lo, exec_lo, s1
	s_delay_alu instid0(VALU_DEP_1) | instskip(NEXT) | instid1(VALU_DEP_2)
	v_max_f32_e64 v11, |v5|, |v5|
	v_max_f32_e64 v12, |v10|, |v10|
	s_delay_alu instid0(VALU_DEP_1) | instskip(NEXT) | instid1(VALU_DEP_1)
	v_max_f32_e32 v14, v12, v11
	v_cvt_f64_f32_e32 v[11:12], v14
	v_cmp_neq_f32_e64 s1, 0x7f800000, v14
                                        ; implicit-def: $vgpr14
	s_delay_alu instid0(VALU_DEP_2) | instskip(NEXT) | instid1(VALU_DEP_1)
	v_frexp_exp_i32_f64_e32 v11, v[11:12]
	v_sub_nc_u32_e32 v12, 0, v11
	s_delay_alu instid0(VALU_DEP_1) | instskip(SKIP_1) | instid1(VALU_DEP_2)
	v_ldexp_f32 v15, |v5|, v12
	v_ldexp_f32 v12, |v10|, v12
	v_mul_f32_e32 v15, v15, v15
	s_delay_alu instid0(VALU_DEP_1) | instskip(NEXT) | instid1(VALU_DEP_1)
	v_fmac_f32_e32 v15, v12, v12
	v_sqrt_f32_e32 v12, v15
	s_waitcnt_depctr 0xfff
	v_ldexp_f32 v11, v12, v11
                                        ; implicit-def: $vgpr12
	s_delay_alu instid0(VALU_DEP_1)
	v_cndmask_b32_e64 v11, 0x7f800000, v11, s1
	s_mov_b32 s1, exec_lo
	v_cmpx_le_f32_e32 0, v10
	s_xor_b32 s15, exec_lo, s1
	s_cbranch_execz .LBB170_13
; %bb.12:
	v_add_f32_e32 v10, v10, v11
	s_delay_alu instid0(VALU_DEP_1) | instskip(NEXT) | instid1(VALU_DEP_1)
	v_mul_f32_e32 v10, 0.5, v10
	v_mul_f32_e32 v11, 0x4f800000, v10
	v_cmp_gt_f32_e32 vcc_lo, 0xf800000, v10
	s_delay_alu instid0(VALU_DEP_2) | instskip(NEXT) | instid1(VALU_DEP_1)
	v_cndmask_b32_e32 v10, v10, v11, vcc_lo
	v_sqrt_f32_e32 v11, v10
	s_waitcnt_depctr 0xfff
	v_add_nc_u32_e32 v12, -1, v11
	v_add_nc_u32_e32 v14, 1, v11
	s_delay_alu instid0(VALU_DEP_2) | instskip(NEXT) | instid1(VALU_DEP_2)
	v_fma_f32 v15, -v12, v11, v10
	v_fma_f32 v16, -v14, v11, v10
	s_delay_alu instid0(VALU_DEP_2) | instskip(NEXT) | instid1(VALU_DEP_1)
	v_cmp_ge_f32_e64 s1, 0, v15
	v_cndmask_b32_e64 v11, v11, v12, s1
	s_delay_alu instid0(VALU_DEP_3) | instskip(NEXT) | instid1(VALU_DEP_1)
	v_cmp_lt_f32_e64 s1, 0, v16
	v_cndmask_b32_e64 v11, v11, v14, s1
	s_delay_alu instid0(VALU_DEP_1) | instskip(NEXT) | instid1(VALU_DEP_1)
	v_mul_f32_e32 v12, 0x37800000, v11
	v_cndmask_b32_e32 v11, v11, v12, vcc_lo
	v_cmp_class_f32_e64 vcc_lo, v10, 0x260
	s_delay_alu instid0(VALU_DEP_2) | instskip(NEXT) | instid1(VALU_DEP_1)
	v_cndmask_b32_e32 v12, v11, v10, vcc_lo
	v_add_f32_e32 v10, v12, v12
	s_delay_alu instid0(VALU_DEP_1) | instskip(NEXT) | instid1(VALU_DEP_1)
	v_div_scale_f32 v11, null, v10, v10, v5
	v_rcp_f32_e32 v14, v11
	s_waitcnt_depctr 0xfff
	v_fma_f32 v15, -v11, v14, 1.0
	s_delay_alu instid0(VALU_DEP_1) | instskip(SKIP_1) | instid1(VALU_DEP_1)
	v_fmac_f32_e32 v14, v15, v14
	v_div_scale_f32 v15, vcc_lo, v5, v10, v5
	v_mul_f32_e32 v16, v15, v14
	s_delay_alu instid0(VALU_DEP_1) | instskip(NEXT) | instid1(VALU_DEP_1)
	v_fma_f32 v17, -v11, v16, v15
	v_fmac_f32_e32 v16, v17, v14
	s_delay_alu instid0(VALU_DEP_1) | instskip(NEXT) | instid1(VALU_DEP_1)
	v_fma_f32 v11, -v11, v16, v15
	v_div_fmas_f32 v11, v11, v14, v16
	s_delay_alu instid0(VALU_DEP_1)
	v_div_fixup_f32 v14, v11, v10, v5
                                        ; implicit-def: $vgpr11
                                        ; implicit-def: $vgpr10
                                        ; implicit-def: $vgpr5
	s_and_not1_saveexec_b32 s15, s15
	s_cbranch_execz .LBB170_15
	s_branch .LBB170_14
.LBB170_13:
	s_and_not1_saveexec_b32 s15, s15
	s_cbranch_execz .LBB170_15
.LBB170_14:
	v_sub_f32_e32 v10, v11, v10
	s_delay_alu instid0(VALU_DEP_1) | instskip(NEXT) | instid1(VALU_DEP_1)
	v_mul_f32_e32 v10, 0.5, v10
	v_mul_f32_e32 v11, 0x4f800000, v10
	v_cmp_gt_f32_e32 vcc_lo, 0xf800000, v10
	s_delay_alu instid0(VALU_DEP_2) | instskip(NEXT) | instid1(VALU_DEP_1)
	v_cndmask_b32_e32 v10, v10, v11, vcc_lo
	v_sqrt_f32_e32 v11, v10
	s_waitcnt_depctr 0xfff
	v_add_nc_u32_e32 v12, -1, v11
	v_add_nc_u32_e32 v14, 1, v11
	s_delay_alu instid0(VALU_DEP_2) | instskip(NEXT) | instid1(VALU_DEP_2)
	v_fma_f32 v15, -v12, v11, v10
	v_fma_f32 v16, -v14, v11, v10
	s_delay_alu instid0(VALU_DEP_2) | instskip(NEXT) | instid1(VALU_DEP_1)
	v_cmp_ge_f32_e64 s1, 0, v15
	v_cndmask_b32_e64 v11, v11, v12, s1
	s_delay_alu instid0(VALU_DEP_3) | instskip(NEXT) | instid1(VALU_DEP_1)
	v_cmp_lt_f32_e64 s1, 0, v16
	v_cndmask_b32_e64 v11, v11, v14, s1
	s_delay_alu instid0(VALU_DEP_1) | instskip(NEXT) | instid1(VALU_DEP_1)
	v_mul_f32_e32 v12, 0x37800000, v11
	v_cndmask_b32_e32 v11, v11, v12, vcc_lo
	v_cmp_class_f32_e64 vcc_lo, v10, 0x260
	s_delay_alu instid0(VALU_DEP_2) | instskip(NEXT) | instid1(VALU_DEP_1)
	v_dual_cndmask_b32 v10, v11, v10 :: v_dual_and_b32 v11, 0x7fffffff, v5
	v_add_f32_e32 v12, v10, v10
	s_delay_alu instid0(VALU_DEP_1) | instskip(SKIP_1) | instid1(VALU_DEP_2)
	v_div_scale_f32 v14, null, v12, v12, v11
	v_div_scale_f32 v11, vcc_lo, v11, v12, v11
	v_rcp_f32_e32 v15, v14
	s_waitcnt_depctr 0xfff
	v_fma_f32 v16, -v14, v15, 1.0
	s_delay_alu instid0(VALU_DEP_1) | instskip(NEXT) | instid1(VALU_DEP_1)
	v_fmac_f32_e32 v15, v16, v15
	v_mul_f32_e32 v16, v11, v15
	s_delay_alu instid0(VALU_DEP_1) | instskip(NEXT) | instid1(VALU_DEP_1)
	v_fma_f32 v17, -v14, v16, v11
	v_fmac_f32_e32 v16, v17, v15
	s_delay_alu instid0(VALU_DEP_1) | instskip(SKIP_1) | instid1(VALU_DEP_2)
	v_fma_f32 v11, -v14, v16, v11
	v_bfi_b32 v14, 0x7fffffff, v10, v5
	v_div_fmas_f32 v11, v11, v15, v16
	s_delay_alu instid0(VALU_DEP_1)
	v_div_fixup_f32 v12, v11, v12, |v5|
.LBB170_15:
	s_or_b32 exec_lo, exec_lo, s15
                                        ; implicit-def: $vgpr10
                                        ; implicit-def: $vgpr11
	s_and_saveexec_b32 s1, s0
	s_delay_alu instid0(SALU_CYCLE_1)
	s_xor_b32 s0, exec_lo, s1
	s_cbranch_execz .LBB170_17
; %bb.16:
	v_dual_mul_f32 v5, 0.5, v12 :: v_dual_mul_f32 v10, 0.5, v14
	s_delay_alu instid0(VALU_DEP_1) | instskip(NEXT) | instid1(VALU_DEP_2)
	v_cndmask_b32_e64 v11, v12, v5, s14
	v_cndmask_b32_e64 v10, v14, v10, s14
                                        ; implicit-def: $vgpr12
                                        ; implicit-def: $vgpr14
	s_and_not1_saveexec_b32 s0, s0
	s_cbranch_execnz .LBB170_18
	s_branch .LBB170_19
.LBB170_17:
	s_and_not1_saveexec_b32 s0, s0
.LBB170_18:
	v_dual_add_f32 v11, v12, v12 :: v_dual_add_f32 v10, v14, v14
.LBB170_19:
	s_or_b32 exec_lo, exec_lo, s0
.LBB170_20:
	s_and_not1_saveexec_b32 s0, s13
	s_cbranch_execz .LBB170_26
; %bb.21:
	v_sub_f32_e32 v5, v7, v7
	s_mov_b32 s1, exec_lo
                                        ; implicit-def: $vgpr10
	v_cmpx_lt_i32_e32 -1, v6
	s_xor_b32 s1, exec_lo, s1
; %bb.22:
	s_delay_alu instid0(VALU_DEP_2)
	v_bfi_b32 v10, 0x7fffffff, v5, v7
                                        ; implicit-def: $vgpr5
; %bb.23:
	s_or_saveexec_b32 s1, s1
	v_mov_b32_e32 v11, v6
	s_xor_b32 exec_lo, exec_lo, s1
; %bb.24:
	v_and_b32_e32 v11, 0x7fffffff, v5
	v_bfi_b32 v10, 0x7fffffff, v6, v7
; %bb.25:
	s_or_b32 exec_lo, exec_lo, s1
.LBB170_26:
	s_delay_alu instid0(SALU_CYCLE_1)
	s_or_b32 exec_lo, exec_lo, s0
.LBB170_27:
	s_and_not1_saveexec_b32 s0, s12
	s_cbranch_execz .LBB170_29
; %bb.28:
	v_sub_f32_e32 v5, v7, v7
	s_delay_alu instid0(VALU_DEP_1) | instskip(NEXT) | instid1(VALU_DEP_1)
	v_div_scale_f32 v7, vcc_lo, v5, v5, v5
	v_rcp_f32_e32 v10, v7
	s_waitcnt_depctr 0xfff
	v_fma_f32 v11, -v7, v10, 1.0
	s_delay_alu instid0(VALU_DEP_1) | instskip(NEXT) | instid1(VALU_DEP_1)
	v_fmac_f32_e32 v10, v11, v10
	v_mul_f32_e32 v11, v7, v10
	s_delay_alu instid0(VALU_DEP_1) | instskip(NEXT) | instid1(VALU_DEP_1)
	v_fma_f32 v12, -v7, v11, v7
	v_fmac_f32_e32 v11, v12, v10
	s_delay_alu instid0(VALU_DEP_1) | instskip(NEXT) | instid1(VALU_DEP_1)
	v_fma_f32 v7, -v7, v11, v7
	v_div_fmas_f32 v7, v7, v10, v11
	v_mov_b32_e32 v11, v6
	s_delay_alu instid0(VALU_DEP_2)
	v_div_fixup_f32 v10, v7, v5, v5
.LBB170_29:
	s_or_b32 exec_lo, exec_lo, s0
.LBB170_30:
	s_delay_alu instid0(SALU_CYCLE_1)
	s_or_b32 exec_lo, exec_lo, s11
.LBB170_31:
	s_delay_alu instid0(SALU_CYCLE_1)
	s_or_b32 exec_lo, exec_lo, s9
	v_cmp_gt_f32_e32 vcc_lo, 0, v11
                                        ; implicit-def: $vgpr6
	s_mov_b32 s0, exec_lo
	v_cndmask_b32_e64 v7, v11, -v11, vcc_lo
	v_cmp_gt_f32_e32 vcc_lo, 0, v10
	v_cndmask_b32_e64 v12, v10, -v10, vcc_lo
	s_delay_alu instid0(VALU_DEP_1)
	v_cmpx_ge_f32_e32 v7, v12
	s_xor_b32 s1, exec_lo, s0
	s_cbranch_execz .LBB170_37
; %bb.32:
	v_cmp_neq_f32_e32 vcc_lo, 0, v11
	v_cmp_neq_f32_e64 s0, 0, v10
                                        ; implicit-def: $vgpr6
	s_delay_alu instid0(VALU_DEP_1) | instskip(NEXT) | instid1(SALU_CYCLE_1)
	s_or_b32 s0, vcc_lo, s0
	s_and_saveexec_b32 s9, s0
	s_delay_alu instid0(SALU_CYCLE_1)
	s_xor_b32 s0, exec_lo, s9
	s_cbranch_execz .LBB170_34
; %bb.33:
	v_div_scale_f32 v5, null, v11, v11, v10
	v_div_scale_f32 v12, vcc_lo, v10, v11, v10
	s_delay_alu instid0(VALU_DEP_2) | instskip(SKIP_2) | instid1(VALU_DEP_1)
	v_rcp_f32_e32 v6, v5
	s_waitcnt_depctr 0xfff
	v_fma_f32 v7, -v5, v6, 1.0
	v_fmac_f32_e32 v6, v7, v6
	s_delay_alu instid0(VALU_DEP_1) | instskip(NEXT) | instid1(VALU_DEP_1)
	v_mul_f32_e32 v7, v12, v6
	v_fma_f32 v14, -v5, v7, v12
	s_delay_alu instid0(VALU_DEP_1) | instskip(NEXT) | instid1(VALU_DEP_1)
	v_fmac_f32_e32 v7, v14, v6
	v_fma_f32 v5, -v5, v7, v12
	s_delay_alu instid0(VALU_DEP_1) | instskip(NEXT) | instid1(VALU_DEP_1)
	v_div_fmas_f32 v5, v5, v6, v7
	v_div_fixup_f32 v6, v5, v11, v10
	s_delay_alu instid0(VALU_DEP_1) | instskip(NEXT) | instid1(VALU_DEP_1)
	v_fmac_f32_e32 v11, v10, v6
	v_div_scale_f32 v5, null, v11, v11, 1.0
	v_div_scale_f32 v12, vcc_lo, 1.0, v11, 1.0
	s_delay_alu instid0(VALU_DEP_2) | instskip(SKIP_2) | instid1(VALU_DEP_1)
	v_rcp_f32_e32 v7, v5
	s_waitcnt_depctr 0xfff
	v_fma_f32 v10, -v5, v7, 1.0
	v_fmac_f32_e32 v7, v10, v7
	s_delay_alu instid0(VALU_DEP_1) | instskip(NEXT) | instid1(VALU_DEP_1)
	v_mul_f32_e32 v10, v12, v7
	v_fma_f32 v14, -v5, v10, v12
	s_delay_alu instid0(VALU_DEP_1) | instskip(NEXT) | instid1(VALU_DEP_1)
	v_fmac_f32_e32 v10, v14, v7
	v_fma_f32 v5, -v5, v10, v12
                                        ; implicit-def: $vgpr12
	s_delay_alu instid0(VALU_DEP_1) | instskip(SKIP_1) | instid1(VALU_DEP_2)
	v_div_fmas_f32 v5, v5, v7, v10
	v_fma_f32 v7, v6, 0, 1.0
	v_div_fixup_f32 v10, v5, v11, 1.0
	s_delay_alu instid0(VALU_DEP_1)
	v_mul_f32_e32 v5, v7, v10
	v_mul_f32_e64 v6, -v6, v10
                                        ; implicit-def: $vgpr7
.LBB170_34:
	s_and_not1_saveexec_b32 s9, s0
	s_cbranch_execz .LBB170_36
; %bb.35:
	v_div_scale_f32 v5, null, v7, v7, 1.0
	v_div_scale_f32 v6, null, v12, v12, 0
	v_div_scale_f32 v16, vcc_lo, 1.0, v7, 1.0
	s_delay_alu instid0(VALU_DEP_3) | instskip(NEXT) | instid1(VALU_DEP_2)
	v_rcp_f32_e32 v10, v5
	v_rcp_f32_e32 v11, v6
	s_waitcnt_depctr 0xfff
	v_fma_f32 v14, -v5, v10, 1.0
	v_fma_f32 v15, -v6, v11, 1.0
	s_delay_alu instid0(VALU_DEP_1) | instskip(SKIP_1) | instid1(VALU_DEP_2)
	v_dual_fmac_f32 v10, v14, v10 :: v_dual_fmac_f32 v11, v15, v11
	v_div_scale_f32 v14, s0, 0, v12, 0
	v_mul_f32_e32 v15, v16, v10
	s_delay_alu instid0(VALU_DEP_2) | instskip(NEXT) | instid1(VALU_DEP_2)
	v_mul_f32_e32 v17, v14, v11
	v_fma_f32 v18, -v5, v15, v16
	s_delay_alu instid0(VALU_DEP_2) | instskip(NEXT) | instid1(VALU_DEP_2)
	v_fma_f32 v19, -v6, v17, v14
	v_fmac_f32_e32 v15, v18, v10
	s_delay_alu instid0(VALU_DEP_2) | instskip(NEXT) | instid1(VALU_DEP_2)
	v_fmac_f32_e32 v17, v19, v11
	v_fma_f32 v5, -v5, v15, v16
	s_delay_alu instid0(VALU_DEP_2) | instskip(NEXT) | instid1(VALU_DEP_2)
	v_fma_f32 v6, -v6, v17, v14
	v_div_fmas_f32 v5, v5, v10, v15
	s_mov_b32 vcc_lo, s0
	s_delay_alu instid0(VALU_DEP_2) | instskip(NEXT) | instid1(VALU_DEP_2)
	v_div_fmas_f32 v6, v6, v11, v17
	v_div_fixup_f32 v5, v5, v7, 1.0
	s_delay_alu instid0(VALU_DEP_2)
	v_div_fixup_f32 v6, v6, v12, 0
.LBB170_36:
	s_or_b32 exec_lo, exec_lo, s9
                                        ; implicit-def: $vgpr10
                                        ; implicit-def: $vgpr11
.LBB170_37:
	s_and_not1_saveexec_b32 s0, s1
	s_cbranch_execz .LBB170_39
; %bb.38:
	v_div_scale_f32 v5, null, v10, v10, v11
	v_div_scale_f32 v12, vcc_lo, v11, v10, v11
	s_delay_alu instid0(VALU_DEP_2) | instskip(SKIP_2) | instid1(VALU_DEP_1)
	v_rcp_f32_e32 v6, v5
	s_waitcnt_depctr 0xfff
	v_fma_f32 v7, -v5, v6, 1.0
	v_fmac_f32_e32 v6, v7, v6
	s_delay_alu instid0(VALU_DEP_1) | instskip(NEXT) | instid1(VALU_DEP_1)
	v_mul_f32_e32 v7, v12, v6
	v_fma_f32 v14, -v5, v7, v12
	s_delay_alu instid0(VALU_DEP_1) | instskip(NEXT) | instid1(VALU_DEP_1)
	v_fmac_f32_e32 v7, v14, v6
	v_fma_f32 v5, -v5, v7, v12
	s_delay_alu instid0(VALU_DEP_1) | instskip(NEXT) | instid1(VALU_DEP_1)
	v_div_fmas_f32 v5, v5, v6, v7
	v_div_fixup_f32 v5, v5, v10, v11
	s_delay_alu instid0(VALU_DEP_1) | instskip(NEXT) | instid1(VALU_DEP_1)
	v_fmac_f32_e32 v10, v11, v5
	v_div_scale_f32 v6, null, v10, v10, 1.0
	v_div_scale_f32 v12, vcc_lo, 1.0, v10, 1.0
	s_delay_alu instid0(VALU_DEP_2) | instskip(SKIP_2) | instid1(VALU_DEP_1)
	v_rcp_f32_e32 v7, v6
	s_waitcnt_depctr 0xfff
	v_fma_f32 v11, -v6, v7, 1.0
	v_fmac_f32_e32 v7, v11, v7
	s_delay_alu instid0(VALU_DEP_1) | instskip(NEXT) | instid1(VALU_DEP_1)
	v_mul_f32_e32 v11, v12, v7
	v_fma_f32 v14, -v6, v11, v12
	s_delay_alu instid0(VALU_DEP_1) | instskip(NEXT) | instid1(VALU_DEP_1)
	v_fmac_f32_e32 v11, v14, v7
	v_fma_f32 v6, -v6, v11, v12
	s_delay_alu instid0(VALU_DEP_1) | instskip(SKIP_1) | instid1(VALU_DEP_2)
	v_div_fmas_f32 v6, v6, v7, v11
	v_add_f32_e32 v7, 0, v5
	v_div_fixup_f32 v6, v6, v10, 1.0
	v_fma_f32 v10, v5, 0, -1.0
	s_delay_alu instid0(VALU_DEP_2) | instskip(NEXT) | instid1(VALU_DEP_2)
	v_mul_f32_e32 v5, v7, v6
	v_mul_f32_e32 v6, v10, v6
.LBB170_39:
	s_or_b32 exec_lo, exec_lo, s0
	v_cmp_neq_f32_e32 vcc_lo, 0, v8
	v_cmp_neq_f32_e64 s0, 0, v9
	v_mov_b32_e32 v10, 0
	s_delay_alu instid0(VALU_DEP_2) | instskip(NEXT) | instid1(SALU_CYCLE_1)
	s_or_b32 s0, vcc_lo, s0
	s_and_saveexec_b32 s9, s0
	s_cbranch_execz .LBB170_69
; %bb.40:
	v_mov_b32_e32 v10, 0x7f800000
	s_mov_b32 s11, exec_lo
	v_cmpx_neq_f32_e64 0x7f800000, |v9|
	s_cbranch_execz .LBB170_68
; %bb.41:
	s_mov_b32 s0, exec_lo
	v_cmpx_o_f32_e32 v8, v8
	s_xor_b32 s12, exec_lo, s0
	s_cbranch_execz .LBB170_65
; %bb.42:
	s_mov_b32 s1, exec_lo
	v_cmpx_neq_f32_e64 0x7f800000, |v8|
	s_xor_b32 s13, exec_lo, s1
	s_cbranch_execz .LBB170_58
; %bb.43:
	v_max_f32_e64 v7, |v9|, |v9|
	v_max_f32_e64 v10, |v8|, |v8|
                                        ; implicit-def: $sgpr14
	s_delay_alu instid0(VALU_DEP_1) | instskip(NEXT) | instid1(VALU_DEP_1)
	v_max_f32_e32 v7, v10, v7
	v_cmp_nle_f32_e64 s0, 0x7ed413cb, v7
	s_delay_alu instid0(VALU_DEP_1) | instskip(NEXT) | instid1(SALU_CYCLE_1)
	s_and_saveexec_b32 s1, s0
	s_xor_b32 s1, exec_lo, s1
	s_cbranch_execz .LBB170_47
; %bb.44:
	v_cmp_ge_f32_e64 s14, 0x1000000, |v8|
	v_cmp_ge_f32_e64 s15, 0x1000000, |v9|
	s_delay_alu instid0(VALU_DEP_1)
	s_and_b32 s16, s14, s15
	s_mov_b32 s14, 0
	s_and_saveexec_b32 s15, s16
; %bb.45:
	v_dual_mul_f32 v8, 4.0, v8 :: v_dual_mul_f32 v9, 4.0, v9
	s_mov_b32 s14, exec_lo
; %bb.46:
	s_or_b32 exec_lo, exec_lo, s15
	s_delay_alu instid0(SALU_CYCLE_1)
	s_and_b32 s14, s14, exec_lo
.LBB170_47:
	s_and_not1_saveexec_b32 s1, s1
; %bb.48:
	v_dual_mul_f32 v8, 0x3e800000, v8 :: v_dual_mul_f32 v9, 0x3e800000, v9
	s_and_not1_b32 s14, s14, exec_lo
; %bb.49:
	s_or_b32 exec_lo, exec_lo, s1
	s_delay_alu instid0(VALU_DEP_1) | instskip(NEXT) | instid1(VALU_DEP_2)
	v_max_f32_e64 v7, |v9|, |v9|
	v_max_f32_e64 v10, |v8|, |v8|
	s_delay_alu instid0(VALU_DEP_1) | instskip(NEXT) | instid1(VALU_DEP_1)
	v_max_f32_e32 v7, v10, v7
	v_cvt_f64_f32_e32 v[10:11], v7
	s_delay_alu instid0(VALU_DEP_1) | instskip(NEXT) | instid1(VALU_DEP_1)
	v_frexp_exp_i32_f64_e32 v10, v[10:11]
	v_sub_nc_u32_e32 v11, 0, v10
	s_delay_alu instid0(VALU_DEP_1) | instskip(SKIP_1) | instid1(VALU_DEP_2)
	v_ldexp_f32 v12, |v9|, v11
	v_ldexp_f32 v11, |v8|, v11
	v_mul_f32_e32 v12, v12, v12
	v_cmp_neq_f32_e64 s1, 0x7f800000, v7
                                        ; implicit-def: $vgpr7
	s_delay_alu instid0(VALU_DEP_2) | instskip(NEXT) | instid1(VALU_DEP_1)
	v_fmac_f32_e32 v12, v11, v11
	v_sqrt_f32_e32 v11, v12
	s_waitcnt_depctr 0xfff
	v_ldexp_f32 v10, v11, v10
	s_delay_alu instid0(VALU_DEP_1)
	v_cndmask_b32_e64 v11, 0x7f800000, v10, s1
                                        ; implicit-def: $vgpr10
	s_mov_b32 s1, exec_lo
	v_cmpx_le_f32_e32 0, v8
	s_xor_b32 s15, exec_lo, s1
	s_cbranch_execz .LBB170_51
; %bb.50:
	v_add_f32_e32 v7, v8, v11
	s_delay_alu instid0(VALU_DEP_1) | instskip(NEXT) | instid1(VALU_DEP_1)
	v_mul_f32_e32 v7, 0.5, v7
	v_mul_f32_e32 v8, 0x4f800000, v7
	v_cmp_gt_f32_e32 vcc_lo, 0xf800000, v7
	s_delay_alu instid0(VALU_DEP_2) | instskip(NEXT) | instid1(VALU_DEP_1)
	v_cndmask_b32_e32 v7, v7, v8, vcc_lo
	v_sqrt_f32_e32 v8, v7
	s_waitcnt_depctr 0xfff
	v_add_nc_u32_e32 v10, -1, v8
	v_add_nc_u32_e32 v11, 1, v8
	s_delay_alu instid0(VALU_DEP_2) | instskip(NEXT) | instid1(VALU_DEP_2)
	v_fma_f32 v12, -v10, v8, v7
	v_fma_f32 v14, -v11, v8, v7
	s_delay_alu instid0(VALU_DEP_2) | instskip(NEXT) | instid1(VALU_DEP_1)
	v_cmp_ge_f32_e64 s1, 0, v12
	v_cndmask_b32_e64 v8, v8, v10, s1
	s_delay_alu instid0(VALU_DEP_3) | instskip(NEXT) | instid1(VALU_DEP_1)
	v_cmp_lt_f32_e64 s1, 0, v14
	v_cndmask_b32_e64 v8, v8, v11, s1
	s_delay_alu instid0(VALU_DEP_1) | instskip(NEXT) | instid1(VALU_DEP_1)
	v_mul_f32_e32 v10, 0x37800000, v8
	v_cndmask_b32_e32 v8, v8, v10, vcc_lo
	v_cmp_class_f32_e64 vcc_lo, v7, 0x260
	s_delay_alu instid0(VALU_DEP_2) | instskip(NEXT) | instid1(VALU_DEP_1)
	v_cndmask_b32_e32 v7, v8, v7, vcc_lo
	v_add_f32_e32 v8, v7, v7
	s_delay_alu instid0(VALU_DEP_1) | instskip(NEXT) | instid1(VALU_DEP_1)
	v_div_scale_f32 v10, null, v8, v8, v9
	v_rcp_f32_e32 v11, v10
	s_waitcnt_depctr 0xfff
	v_fma_f32 v12, -v10, v11, 1.0
	s_delay_alu instid0(VALU_DEP_1) | instskip(SKIP_1) | instid1(VALU_DEP_1)
	v_fmac_f32_e32 v11, v12, v11
	v_div_scale_f32 v12, vcc_lo, v9, v8, v9
	v_mul_f32_e32 v14, v12, v11
	s_delay_alu instid0(VALU_DEP_1) | instskip(NEXT) | instid1(VALU_DEP_1)
	v_fma_f32 v15, -v10, v14, v12
	v_fmac_f32_e32 v14, v15, v11
	s_delay_alu instid0(VALU_DEP_1) | instskip(NEXT) | instid1(VALU_DEP_1)
	v_fma_f32 v10, -v10, v14, v12
	v_div_fmas_f32 v10, v10, v11, v14
                                        ; implicit-def: $vgpr11
	s_delay_alu instid0(VALU_DEP_1)
	v_div_fixup_f32 v10, v10, v8, v9
                                        ; implicit-def: $vgpr8
	s_and_not1_saveexec_b32 s15, s15
	s_cbranch_execz .LBB170_53
	s_branch .LBB170_52
.LBB170_51:
	s_and_not1_saveexec_b32 s15, s15
	s_cbranch_execz .LBB170_53
.LBB170_52:
	v_sub_f32_e32 v7, v11, v8
	s_delay_alu instid0(VALU_DEP_1) | instskip(NEXT) | instid1(VALU_DEP_1)
	v_mul_f32_e32 v7, 0.5, v7
	v_mul_f32_e32 v8, 0x4f800000, v7
	v_cmp_gt_f32_e32 vcc_lo, 0xf800000, v7
	s_delay_alu instid0(VALU_DEP_2) | instskip(NEXT) | instid1(VALU_DEP_1)
	v_cndmask_b32_e32 v7, v7, v8, vcc_lo
	v_sqrt_f32_e32 v8, v7
	s_waitcnt_depctr 0xfff
	v_add_nc_u32_e32 v10, -1, v8
	v_add_nc_u32_e32 v11, 1, v8
	s_delay_alu instid0(VALU_DEP_2) | instskip(NEXT) | instid1(VALU_DEP_2)
	v_fma_f32 v12, -v10, v8, v7
	v_fma_f32 v14, -v11, v8, v7
	s_delay_alu instid0(VALU_DEP_2) | instskip(NEXT) | instid1(VALU_DEP_1)
	v_cmp_ge_f32_e64 s1, 0, v12
	v_cndmask_b32_e64 v8, v8, v10, s1
	s_delay_alu instid0(VALU_DEP_3) | instskip(NEXT) | instid1(VALU_DEP_1)
	v_cmp_lt_f32_e64 s1, 0, v14
	v_cndmask_b32_e64 v8, v8, v11, s1
	s_delay_alu instid0(VALU_DEP_1) | instskip(NEXT) | instid1(VALU_DEP_1)
	v_mul_f32_e32 v10, 0x37800000, v8
	v_cndmask_b32_e32 v8, v8, v10, vcc_lo
	v_cmp_class_f32_e64 vcc_lo, v7, 0x260
	s_delay_alu instid0(VALU_DEP_2) | instskip(NEXT) | instid1(VALU_DEP_1)
	v_dual_cndmask_b32 v8, v8, v7 :: v_dual_and_b32 v7, 0x7fffffff, v9
	v_add_f32_e32 v10, v8, v8
	s_delay_alu instid0(VALU_DEP_1) | instskip(SKIP_1) | instid1(VALU_DEP_2)
	v_div_scale_f32 v11, null, v10, v10, v7
	v_div_scale_f32 v7, vcc_lo, v7, v10, v7
	v_rcp_f32_e32 v12, v11
	s_waitcnt_depctr 0xfff
	v_fma_f32 v14, -v11, v12, 1.0
	s_delay_alu instid0(VALU_DEP_1) | instskip(NEXT) | instid1(VALU_DEP_1)
	v_fmac_f32_e32 v12, v14, v12
	v_mul_f32_e32 v14, v7, v12
	s_delay_alu instid0(VALU_DEP_1) | instskip(NEXT) | instid1(VALU_DEP_1)
	v_fma_f32 v15, -v11, v14, v7
	v_fmac_f32_e32 v14, v15, v12
	s_delay_alu instid0(VALU_DEP_1) | instskip(NEXT) | instid1(VALU_DEP_1)
	v_fma_f32 v7, -v11, v14, v7
	v_div_fmas_f32 v7, v7, v12, v14
	s_delay_alu instid0(VALU_DEP_1)
	v_div_fixup_f32 v7, v7, v10, |v9|
	v_bfi_b32 v10, 0x7fffffff, v8, v9
.LBB170_53:
	s_or_b32 exec_lo, exec_lo, s15
                                        ; implicit-def: $vgpr9
	s_and_saveexec_b32 s1, s0
	s_delay_alu instid0(SALU_CYCLE_1)
	s_xor_b32 s0, exec_lo, s1
	s_cbranch_execz .LBB170_55
; %bb.54:
	v_dual_mul_f32 v8, 0.5, v7 :: v_dual_mul_f32 v9, 0.5, v10
	s_delay_alu instid0(VALU_DEP_1) | instskip(NEXT) | instid1(VALU_DEP_2)
	v_cndmask_b32_e64 v8, v7, v8, s14
	v_cndmask_b32_e64 v9, v10, v9, s14
                                        ; implicit-def: $vgpr7
                                        ; implicit-def: $vgpr10
	s_and_not1_saveexec_b32 s0, s0
	s_cbranch_execnz .LBB170_56
	s_branch .LBB170_57
.LBB170_55:
	s_and_not1_saveexec_b32 s0, s0
.LBB170_56:
	v_dual_add_f32 v8, v7, v7 :: v_dual_add_f32 v9, v10, v10
.LBB170_57:
	s_or_b32 exec_lo, exec_lo, s0
.LBB170_58:
	s_and_not1_saveexec_b32 s0, s13
	s_cbranch_execz .LBB170_64
; %bb.59:
	s_delay_alu instid0(VALU_DEP_1)
	v_sub_f32_e32 v7, v9, v9
	s_mov_b32 s1, exec_lo
	v_cmpx_lt_i32_e32 -1, v8
	s_xor_b32 s1, exec_lo, s1
; %bb.60:
	s_delay_alu instid0(VALU_DEP_2)
	v_bfi_b32 v9, 0x7fffffff, v7, v9
                                        ; implicit-def: $vgpr7
; %bb.61:
	s_and_not1_saveexec_b32 s1, s1
; %bb.62:
	v_and_b32_e32 v7, 0x7fffffff, v7
	s_delay_alu instid0(VALU_DEP_2) | instskip(NEXT) | instid1(VALU_DEP_2)
	v_bfi_b32 v9, 0x7fffffff, v8, v9
	v_mov_b32_e32 v8, v7
; %bb.63:
	s_or_b32 exec_lo, exec_lo, s1
.LBB170_64:
	s_delay_alu instid0(SALU_CYCLE_1)
	s_or_b32 exec_lo, exec_lo, s0
.LBB170_65:
	s_and_not1_saveexec_b32 s0, s12
; %bb.66:
	v_sub_f32_e32 v7, v9, v9
	s_delay_alu instid0(VALU_DEP_1) | instskip(NEXT) | instid1(VALU_DEP_1)
	v_div_scale_f32 v9, vcc_lo, v7, v7, v7
	v_rcp_f32_e32 v10, v9
	s_waitcnt_depctr 0xfff
	v_fma_f32 v11, -v9, v10, 1.0
	s_delay_alu instid0(VALU_DEP_1) | instskip(NEXT) | instid1(VALU_DEP_1)
	v_fmac_f32_e32 v10, v11, v10
	v_mul_f32_e32 v11, v9, v10
	s_delay_alu instid0(VALU_DEP_1) | instskip(NEXT) | instid1(VALU_DEP_1)
	v_fma_f32 v12, -v9, v11, v9
	v_fmac_f32_e32 v11, v12, v10
	s_delay_alu instid0(VALU_DEP_1) | instskip(NEXT) | instid1(VALU_DEP_1)
	v_fma_f32 v9, -v9, v11, v9
	v_div_fmas_f32 v9, v9, v10, v11
	s_delay_alu instid0(VALU_DEP_1)
	v_div_fixup_f32 v9, v9, v7, v7
; %bb.67:
	s_or_b32 exec_lo, exec_lo, s0
	v_mov_b32_e32 v10, v8
.LBB170_68:
	s_or_b32 exec_lo, exec_lo, s11
.LBB170_69:
	s_delay_alu instid0(SALU_CYCLE_1) | instskip(NEXT) | instid1(VALU_DEP_1)
	s_or_b32 exec_lo, exec_lo, s9
	v_cmp_gt_f32_e32 vcc_lo, 0, v10
	s_mov_b32 s0, exec_lo
	v_cndmask_b32_e64 v11, v10, -v10, vcc_lo
	v_cmp_gt_f32_e32 vcc_lo, 0, v9
	v_cndmask_b32_e64 v12, v9, -v9, vcc_lo
	s_delay_alu instid0(VALU_DEP_1)
	v_cmpx_ge_f32_e32 v11, v12
	s_xor_b32 s1, exec_lo, s0
	s_cbranch_execz .LBB170_75
; %bb.70:
	v_cmp_neq_f32_e32 vcc_lo, 0, v10
	v_cmp_neq_f32_e64 s0, 0, v9
	s_delay_alu instid0(VALU_DEP_1) | instskip(NEXT) | instid1(SALU_CYCLE_1)
	s_or_b32 s0, vcc_lo, s0
	s_and_saveexec_b32 s9, s0
	s_delay_alu instid0(SALU_CYCLE_1)
	s_xor_b32 s0, exec_lo, s9
	s_cbranch_execz .LBB170_72
; %bb.71:
	v_div_scale_f32 v7, null, v10, v10, v9
	v_div_scale_f32 v12, vcc_lo, v9, v10, v9
	s_delay_alu instid0(VALU_DEP_2) | instskip(SKIP_2) | instid1(VALU_DEP_1)
	v_rcp_f32_e32 v8, v7
	s_waitcnt_depctr 0xfff
	v_fma_f32 v11, -v7, v8, 1.0
	v_fmac_f32_e32 v8, v11, v8
	s_delay_alu instid0(VALU_DEP_1) | instskip(NEXT) | instid1(VALU_DEP_1)
	v_mul_f32_e32 v11, v12, v8
	v_fma_f32 v14, -v7, v11, v12
	s_delay_alu instid0(VALU_DEP_1) | instskip(NEXT) | instid1(VALU_DEP_1)
	v_fmac_f32_e32 v11, v14, v8
	v_fma_f32 v7, -v7, v11, v12
	s_delay_alu instid0(VALU_DEP_1) | instskip(NEXT) | instid1(VALU_DEP_1)
	v_div_fmas_f32 v7, v7, v8, v11
	v_div_fixup_f32 v8, v7, v10, v9
	s_delay_alu instid0(VALU_DEP_1) | instskip(NEXT) | instid1(VALU_DEP_1)
	v_fmac_f32_e32 v10, v9, v8
	v_div_scale_f32 v7, null, v10, v10, 1.0
	s_delay_alu instid0(VALU_DEP_1) | instskip(SKIP_2) | instid1(VALU_DEP_1)
	v_rcp_f32_e32 v9, v7
	s_waitcnt_depctr 0xfff
	v_fma_f32 v11, -v7, v9, 1.0
	v_fmac_f32_e32 v9, v11, v9
	v_div_scale_f32 v12, vcc_lo, 1.0, v10, 1.0
	s_delay_alu instid0(VALU_DEP_1) | instskip(NEXT) | instid1(VALU_DEP_1)
	v_mul_f32_e32 v11, v12, v9
	v_fma_f32 v14, -v7, v11, v12
	s_delay_alu instid0(VALU_DEP_1) | instskip(NEXT) | instid1(VALU_DEP_1)
	v_fmac_f32_e32 v11, v14, v9
	v_fma_f32 v7, -v7, v11, v12
                                        ; implicit-def: $vgpr12
	s_delay_alu instid0(VALU_DEP_1) | instskip(SKIP_1) | instid1(VALU_DEP_2)
	v_div_fmas_f32 v7, v7, v9, v11
	v_fma_f32 v9, v8, 0, 1.0
                                        ; implicit-def: $vgpr11
	v_div_fixup_f32 v10, v7, v10, 1.0
	s_delay_alu instid0(VALU_DEP_1)
	v_mul_f32_e32 v7, v9, v10
	v_mul_f32_e64 v8, -v8, v10
.LBB170_72:
	s_and_not1_saveexec_b32 s9, s0
	s_cbranch_execz .LBB170_74
; %bb.73:
	v_div_scale_f32 v7, null, v11, v11, 1.0
	v_div_scale_f32 v8, null, v12, v12, 0
	v_div_scale_f32 v16, vcc_lo, 1.0, v11, 1.0
	s_delay_alu instid0(VALU_DEP_3) | instskip(NEXT) | instid1(VALU_DEP_2)
	v_rcp_f32_e32 v9, v7
	v_rcp_f32_e32 v10, v8
	s_waitcnt_depctr 0xfff
	v_fma_f32 v14, -v7, v9, 1.0
	v_fma_f32 v15, -v8, v10, 1.0
	s_delay_alu instid0(VALU_DEP_1) | instskip(SKIP_1) | instid1(VALU_DEP_2)
	v_dual_fmac_f32 v9, v14, v9 :: v_dual_fmac_f32 v10, v15, v10
	v_div_scale_f32 v14, s0, 0, v12, 0
	v_mul_f32_e32 v15, v16, v9
	s_delay_alu instid0(VALU_DEP_2) | instskip(NEXT) | instid1(VALU_DEP_2)
	v_mul_f32_e32 v17, v14, v10
	v_fma_f32 v18, -v7, v15, v16
	s_delay_alu instid0(VALU_DEP_2) | instskip(NEXT) | instid1(VALU_DEP_2)
	v_fma_f32 v19, -v8, v17, v14
	v_fmac_f32_e32 v15, v18, v9
	s_delay_alu instid0(VALU_DEP_2) | instskip(NEXT) | instid1(VALU_DEP_2)
	v_fmac_f32_e32 v17, v19, v10
	v_fma_f32 v7, -v7, v15, v16
	s_delay_alu instid0(VALU_DEP_2) | instskip(NEXT) | instid1(VALU_DEP_2)
	v_fma_f32 v8, -v8, v17, v14
	v_div_fmas_f32 v7, v7, v9, v15
	s_mov_b32 vcc_lo, s0
	s_delay_alu instid0(VALU_DEP_2) | instskip(NEXT) | instid1(VALU_DEP_2)
	v_div_fmas_f32 v8, v8, v10, v17
	v_div_fixup_f32 v7, v7, v11, 1.0
	s_delay_alu instid0(VALU_DEP_2)
	v_div_fixup_f32 v8, v8, v12, 0
.LBB170_74:
	s_or_b32 exec_lo, exec_lo, s9
                                        ; implicit-def: $vgpr9
                                        ; implicit-def: $vgpr10
.LBB170_75:
	s_and_not1_saveexec_b32 s0, s1
	s_cbranch_execz .LBB170_77
; %bb.76:
	v_div_scale_f32 v7, null, v9, v9, v10
	v_div_scale_f32 v12, vcc_lo, v10, v9, v10
	s_delay_alu instid0(VALU_DEP_2) | instskip(SKIP_2) | instid1(VALU_DEP_1)
	v_rcp_f32_e32 v8, v7
	s_waitcnt_depctr 0xfff
	v_fma_f32 v11, -v7, v8, 1.0
	v_fmac_f32_e32 v8, v11, v8
	s_delay_alu instid0(VALU_DEP_1) | instskip(NEXT) | instid1(VALU_DEP_1)
	v_mul_f32_e32 v11, v12, v8
	v_fma_f32 v14, -v7, v11, v12
	s_delay_alu instid0(VALU_DEP_1) | instskip(NEXT) | instid1(VALU_DEP_1)
	v_fmac_f32_e32 v11, v14, v8
	v_fma_f32 v7, -v7, v11, v12
	s_delay_alu instid0(VALU_DEP_1) | instskip(NEXT) | instid1(VALU_DEP_1)
	v_div_fmas_f32 v7, v7, v8, v11
	v_div_fixup_f32 v7, v7, v9, v10
	s_delay_alu instid0(VALU_DEP_1) | instskip(NEXT) | instid1(VALU_DEP_1)
	v_fmac_f32_e32 v9, v10, v7
	v_div_scale_f32 v8, null, v9, v9, 1.0
	v_div_scale_f32 v12, vcc_lo, 1.0, v9, 1.0
	s_delay_alu instid0(VALU_DEP_2) | instskip(SKIP_2) | instid1(VALU_DEP_1)
	v_rcp_f32_e32 v10, v8
	s_waitcnt_depctr 0xfff
	v_fma_f32 v11, -v8, v10, 1.0
	v_fmac_f32_e32 v10, v11, v10
	s_delay_alu instid0(VALU_DEP_1) | instskip(NEXT) | instid1(VALU_DEP_1)
	v_mul_f32_e32 v11, v12, v10
	v_fma_f32 v14, -v8, v11, v12
	s_delay_alu instid0(VALU_DEP_1) | instskip(NEXT) | instid1(VALU_DEP_1)
	v_fmac_f32_e32 v11, v14, v10
	v_fma_f32 v8, -v8, v11, v12
	s_delay_alu instid0(VALU_DEP_1) | instskip(SKIP_1) | instid1(VALU_DEP_2)
	v_div_fmas_f32 v8, v8, v10, v11
	v_add_f32_e32 v10, 0, v7
	v_div_fixup_f32 v8, v8, v9, 1.0
	v_fma_f32 v9, v7, 0, -1.0
	s_delay_alu instid0(VALU_DEP_2) | instskip(NEXT) | instid1(VALU_DEP_2)
	v_mul_f32_e32 v7, v10, v8
	v_mul_f32_e32 v8, v9, v8
.LBB170_77:
	s_or_b32 exec_lo, exec_lo, s0
	s_waitcnt vmcnt(0)
	v_cmp_neq_f32_e32 vcc_lo, 0, v1
	v_cmp_neq_f32_e64 s0, 0, v2
	v_dual_mov_b32 v12, 0 :: v_dual_mov_b32 v11, v2
	s_delay_alu instid0(VALU_DEP_2) | instskip(NEXT) | instid1(SALU_CYCLE_1)
	s_or_b32 s0, vcc_lo, s0
	s_and_saveexec_b32 s9, s0
	s_cbranch_execz .LBB170_107
; %bb.78:
	v_dual_mov_b32 v12, 0x7f800000 :: v_dual_mov_b32 v11, v2
	s_mov_b32 s11, exec_lo
	v_cmpx_neq_f32_e64 0x7f800000, |v2|
	s_cbranch_execz .LBB170_106
; %bb.79:
                                        ; implicit-def: $vgpr11
                                        ; implicit-def: $vgpr12
	s_mov_b32 s0, exec_lo
	v_cmpx_o_f32_e32 v1, v1
	s_xor_b32 s12, exec_lo, s0
	s_cbranch_execz .LBB170_103
; %bb.80:
                                        ; implicit-def: $vgpr11
                                        ; implicit-def: $vgpr12
	s_mov_b32 s1, exec_lo
	v_cmpx_neq_f32_e64 0x7f800000, |v1|
	s_xor_b32 s13, exec_lo, s1
	s_cbranch_execz .LBB170_96
; %bb.81:
	v_max_f32_e64 v9, |v2|, |v2|
	v_max_f32_e64 v10, |v1|, |v1|
                                        ; implicit-def: $sgpr14
	s_delay_alu instid0(VALU_DEP_1) | instskip(NEXT) | instid1(VALU_DEP_1)
	v_max_f32_e32 v9, v10, v9
                                        ; implicit-def: $vgpr10
	v_cmp_nle_f32_e64 s0, 0x7ed413cb, v9
                                        ; implicit-def: $vgpr9
	s_delay_alu instid0(VALU_DEP_1) | instskip(NEXT) | instid1(SALU_CYCLE_1)
	s_and_saveexec_b32 s1, s0
	s_xor_b32 s1, exec_lo, s1
	s_cbranch_execz .LBB170_85
; %bb.82:
	v_cmp_ge_f32_e64 s14, 0x1000000, |v1|
	v_cmp_ge_f32_e64 s15, 0x1000000, |v2|
	v_dual_mov_b32 v10, v1 :: v_dual_mov_b32 v9, v2
	s_delay_alu instid0(VALU_DEP_2)
	s_and_b32 s16, s14, s15
	s_mov_b32 s14, 0
	s_and_saveexec_b32 s15, s16
; %bb.83:
	v_dual_mul_f32 v10, 4.0, v1 :: v_dual_mul_f32 v9, 4.0, v2
	s_mov_b32 s14, exec_lo
; %bb.84:
	s_or_b32 exec_lo, exec_lo, s15
	s_delay_alu instid0(SALU_CYCLE_1)
	s_and_b32 s14, s14, exec_lo
.LBB170_85:
	s_and_not1_saveexec_b32 s1, s1
; %bb.86:
	v_dual_mul_f32 v10, 0x3e800000, v1 :: v_dual_mul_f32 v9, 0x3e800000, v2
	s_and_not1_b32 s14, s14, exec_lo
; %bb.87:
	s_or_b32 exec_lo, exec_lo, s1
	s_delay_alu instid0(VALU_DEP_1) | instskip(NEXT) | instid1(VALU_DEP_2)
	v_max_f32_e64 v11, |v9|, |v9|
	v_max_f32_e64 v12, |v10|, |v10|
	s_delay_alu instid0(VALU_DEP_1) | instskip(NEXT) | instid1(VALU_DEP_1)
	v_max_f32_e32 v14, v12, v11
	v_cvt_f64_f32_e32 v[11:12], v14
	v_cmp_neq_f32_e64 s1, 0x7f800000, v14
                                        ; implicit-def: $vgpr14
	s_delay_alu instid0(VALU_DEP_2) | instskip(NEXT) | instid1(VALU_DEP_1)
	v_frexp_exp_i32_f64_e32 v11, v[11:12]
	v_sub_nc_u32_e32 v12, 0, v11
	s_delay_alu instid0(VALU_DEP_1) | instskip(SKIP_1) | instid1(VALU_DEP_2)
	v_ldexp_f32 v15, |v9|, v12
	v_ldexp_f32 v12, |v10|, v12
	v_mul_f32_e32 v15, v15, v15
	s_delay_alu instid0(VALU_DEP_1) | instskip(NEXT) | instid1(VALU_DEP_1)
	v_fmac_f32_e32 v15, v12, v12
	v_sqrt_f32_e32 v12, v15
                                        ; implicit-def: $vgpr15
	s_waitcnt_depctr 0xfff
	v_ldexp_f32 v11, v12, v11
	s_delay_alu instid0(VALU_DEP_1)
	v_cndmask_b32_e64 v11, 0x7f800000, v11, s1
	s_mov_b32 s1, exec_lo
	v_cmpx_le_f32_e32 0, v10
	s_xor_b32 s15, exec_lo, s1
	s_cbranch_execz .LBB170_89
; %bb.88:
	v_add_f32_e32 v10, v10, v11
	s_delay_alu instid0(VALU_DEP_1) | instskip(NEXT) | instid1(VALU_DEP_1)
	v_mul_f32_e32 v10, 0.5, v10
	v_mul_f32_e32 v11, 0x4f800000, v10
	v_cmp_gt_f32_e32 vcc_lo, 0xf800000, v10
	s_delay_alu instid0(VALU_DEP_2) | instskip(NEXT) | instid1(VALU_DEP_1)
	v_cndmask_b32_e32 v10, v10, v11, vcc_lo
	v_sqrt_f32_e32 v11, v10
	s_waitcnt_depctr 0xfff
	v_add_nc_u32_e32 v12, -1, v11
	v_add_nc_u32_e32 v14, 1, v11
	s_delay_alu instid0(VALU_DEP_2) | instskip(NEXT) | instid1(VALU_DEP_2)
	v_fma_f32 v15, -v12, v11, v10
	v_fma_f32 v16, -v14, v11, v10
	s_delay_alu instid0(VALU_DEP_2) | instskip(NEXT) | instid1(VALU_DEP_1)
	v_cmp_ge_f32_e64 s1, 0, v15
	v_cndmask_b32_e64 v11, v11, v12, s1
	s_delay_alu instid0(VALU_DEP_3) | instskip(NEXT) | instid1(VALU_DEP_1)
	v_cmp_lt_f32_e64 s1, 0, v16
	v_cndmask_b32_e64 v11, v11, v14, s1
	s_delay_alu instid0(VALU_DEP_1) | instskip(NEXT) | instid1(VALU_DEP_1)
	v_mul_f32_e32 v12, 0x37800000, v11
	v_cndmask_b32_e32 v11, v11, v12, vcc_lo
	v_cmp_class_f32_e64 vcc_lo, v10, 0x260
	s_delay_alu instid0(VALU_DEP_2) | instskip(NEXT) | instid1(VALU_DEP_1)
	v_cndmask_b32_e32 v14, v11, v10, vcc_lo
	v_add_f32_e32 v10, v14, v14
	s_delay_alu instid0(VALU_DEP_1) | instskip(NEXT) | instid1(VALU_DEP_1)
	v_div_scale_f32 v11, null, v10, v10, v9
	v_rcp_f32_e32 v12, v11
	s_waitcnt_depctr 0xfff
	v_fma_f32 v15, -v11, v12, 1.0
	s_delay_alu instid0(VALU_DEP_1) | instskip(SKIP_1) | instid1(VALU_DEP_1)
	v_fmac_f32_e32 v12, v15, v12
	v_div_scale_f32 v15, vcc_lo, v9, v10, v9
	v_mul_f32_e32 v16, v15, v12
	s_delay_alu instid0(VALU_DEP_1) | instskip(NEXT) | instid1(VALU_DEP_1)
	v_fma_f32 v17, -v11, v16, v15
	v_fmac_f32_e32 v16, v17, v12
	s_delay_alu instid0(VALU_DEP_1) | instskip(NEXT) | instid1(VALU_DEP_1)
	v_fma_f32 v11, -v11, v16, v15
	v_div_fmas_f32 v11, v11, v12, v16
	s_delay_alu instid0(VALU_DEP_1)
	v_div_fixup_f32 v15, v11, v10, v9
                                        ; implicit-def: $vgpr11
                                        ; implicit-def: $vgpr10
                                        ; implicit-def: $vgpr9
	s_and_not1_saveexec_b32 s15, s15
	s_cbranch_execz .LBB170_91
	s_branch .LBB170_90
.LBB170_89:
	s_and_not1_saveexec_b32 s15, s15
	s_cbranch_execz .LBB170_91
.LBB170_90:
	v_sub_f32_e32 v10, v11, v10
	s_delay_alu instid0(VALU_DEP_1) | instskip(NEXT) | instid1(VALU_DEP_1)
	v_mul_f32_e32 v10, 0.5, v10
	v_mul_f32_e32 v11, 0x4f800000, v10
	v_cmp_gt_f32_e32 vcc_lo, 0xf800000, v10
	s_delay_alu instid0(VALU_DEP_2) | instskip(NEXT) | instid1(VALU_DEP_1)
	v_cndmask_b32_e32 v10, v10, v11, vcc_lo
	v_sqrt_f32_e32 v11, v10
	s_waitcnt_depctr 0xfff
	v_add_nc_u32_e32 v12, -1, v11
	v_add_nc_u32_e32 v14, 1, v11
	s_delay_alu instid0(VALU_DEP_2) | instskip(NEXT) | instid1(VALU_DEP_2)
	v_fma_f32 v15, -v12, v11, v10
	v_fma_f32 v16, -v14, v11, v10
	s_delay_alu instid0(VALU_DEP_2) | instskip(NEXT) | instid1(VALU_DEP_1)
	v_cmp_ge_f32_e64 s1, 0, v15
	v_cndmask_b32_e64 v11, v11, v12, s1
	s_delay_alu instid0(VALU_DEP_3) | instskip(NEXT) | instid1(VALU_DEP_1)
	v_cmp_lt_f32_e64 s1, 0, v16
	v_cndmask_b32_e64 v11, v11, v14, s1
	s_delay_alu instid0(VALU_DEP_1) | instskip(NEXT) | instid1(VALU_DEP_1)
	v_mul_f32_e32 v12, 0x37800000, v11
	v_cndmask_b32_e32 v11, v11, v12, vcc_lo
	v_cmp_class_f32_e64 vcc_lo, v10, 0x260
	s_delay_alu instid0(VALU_DEP_2) | instskip(NEXT) | instid1(VALU_DEP_1)
	v_dual_cndmask_b32 v10, v11, v10 :: v_dual_and_b32 v11, 0x7fffffff, v9
	v_add_f32_e32 v12, v10, v10
	s_delay_alu instid0(VALU_DEP_1) | instskip(SKIP_1) | instid1(VALU_DEP_2)
	v_div_scale_f32 v14, null, v12, v12, v11
	v_div_scale_f32 v11, vcc_lo, v11, v12, v11
	v_rcp_f32_e32 v15, v14
	s_waitcnt_depctr 0xfff
	v_fma_f32 v16, -v14, v15, 1.0
	s_delay_alu instid0(VALU_DEP_1) | instskip(NEXT) | instid1(VALU_DEP_1)
	v_fmac_f32_e32 v15, v16, v15
	v_mul_f32_e32 v16, v11, v15
	s_delay_alu instid0(VALU_DEP_1) | instskip(NEXT) | instid1(VALU_DEP_1)
	v_fma_f32 v17, -v14, v16, v11
	v_fmac_f32_e32 v16, v17, v15
	s_delay_alu instid0(VALU_DEP_1) | instskip(NEXT) | instid1(VALU_DEP_1)
	v_fma_f32 v11, -v14, v16, v11
	v_div_fmas_f32 v11, v11, v15, v16
	v_bfi_b32 v15, 0x7fffffff, v10, v9
	s_delay_alu instid0(VALU_DEP_2)
	v_div_fixup_f32 v14, v11, v12, |v9|
.LBB170_91:
	s_or_b32 exec_lo, exec_lo, s15
                                        ; implicit-def: $vgpr11
                                        ; implicit-def: $vgpr12
	s_and_saveexec_b32 s1, s0
	s_delay_alu instid0(SALU_CYCLE_1)
	s_xor_b32 s0, exec_lo, s1
	s_cbranch_execz .LBB170_93
; %bb.92:
	v_dual_mul_f32 v9, 0.5, v14 :: v_dual_mul_f32 v10, 0.5, v15
	s_delay_alu instid0(VALU_DEP_1) | instskip(NEXT) | instid1(VALU_DEP_2)
	v_cndmask_b32_e64 v12, v14, v9, s14
	v_cndmask_b32_e64 v11, v15, v10, s14
                                        ; implicit-def: $vgpr14
                                        ; implicit-def: $vgpr15
	s_and_not1_saveexec_b32 s0, s0
	s_cbranch_execnz .LBB170_94
	s_branch .LBB170_95
.LBB170_93:
	s_and_not1_saveexec_b32 s0, s0
.LBB170_94:
	v_dual_add_f32 v12, v14, v14 :: v_dual_add_f32 v11, v15, v15
.LBB170_95:
	s_or_b32 exec_lo, exec_lo, s0
.LBB170_96:
	s_and_not1_saveexec_b32 s0, s13
	s_cbranch_execz .LBB170_102
; %bb.97:
	v_sub_f32_e32 v9, v2, v2
	s_mov_b32 s1, exec_lo
                                        ; implicit-def: $vgpr11
	v_cmpx_lt_i32_e32 -1, v1
	s_xor_b32 s1, exec_lo, s1
; %bb.98:
	s_delay_alu instid0(VALU_DEP_2)
	v_bfi_b32 v11, 0x7fffffff, v9, v2
                                        ; implicit-def: $vgpr9
; %bb.99:
	s_or_saveexec_b32 s1, s1
	v_mov_b32_e32 v12, v1
	s_xor_b32 exec_lo, exec_lo, s1
; %bb.100:
	v_and_b32_e32 v12, 0x7fffffff, v9
	v_bfi_b32 v11, 0x7fffffff, v1, v2
; %bb.101:
	s_or_b32 exec_lo, exec_lo, s1
.LBB170_102:
	s_delay_alu instid0(SALU_CYCLE_1)
	s_or_b32 exec_lo, exec_lo, s0
.LBB170_103:
	s_and_not1_saveexec_b32 s0, s12
; %bb.104:
	v_sub_f32_e32 v2, v2, v2
	s_delay_alu instid0(VALU_DEP_1) | instskip(NEXT) | instid1(VALU_DEP_1)
	v_div_scale_f32 v9, vcc_lo, v2, v2, v2
	v_rcp_f32_e32 v10, v9
	s_waitcnt_depctr 0xfff
	v_fma_f32 v11, -v9, v10, 1.0
	s_delay_alu instid0(VALU_DEP_1) | instskip(NEXT) | instid1(VALU_DEP_1)
	v_fmac_f32_e32 v10, v11, v10
	v_mul_f32_e32 v11, v9, v10
	s_delay_alu instid0(VALU_DEP_1) | instskip(NEXT) | instid1(VALU_DEP_1)
	v_fma_f32 v12, -v9, v11, v9
	v_dual_fmac_f32 v11, v12, v10 :: v_dual_mov_b32 v12, v1
	s_delay_alu instid0(VALU_DEP_1) | instskip(NEXT) | instid1(VALU_DEP_1)
	v_fma_f32 v9, -v9, v11, v9
	v_div_fmas_f32 v9, v9, v10, v11
	s_delay_alu instid0(VALU_DEP_1)
	v_div_fixup_f32 v11, v9, v2, v2
; %bb.105:
	s_or_b32 exec_lo, exec_lo, s0
.LBB170_106:
	s_delay_alu instid0(SALU_CYCLE_1)
	s_or_b32 exec_lo, exec_lo, s11
.LBB170_107:
	s_delay_alu instid0(SALU_CYCLE_1)
	s_or_b32 exec_lo, exec_lo, s9
	v_cmp_gt_f32_e32 vcc_lo, 0, v12
                                        ; implicit-def: $vgpr10
	s_mov_b32 s0, exec_lo
	v_cndmask_b32_e64 v1, v12, -v12, vcc_lo
	v_cmp_gt_f32_e32 vcc_lo, 0, v11
	v_cndmask_b32_e64 v2, v11, -v11, vcc_lo
	s_delay_alu instid0(VALU_DEP_1)
	v_cmpx_ge_f32_e32 v1, v2
	s_xor_b32 s1, exec_lo, s0
	s_cbranch_execz .LBB170_113
; %bb.108:
	v_cmp_neq_f32_e32 vcc_lo, 0, v12
	v_cmp_neq_f32_e64 s0, 0, v11
                                        ; implicit-def: $vgpr10
	s_delay_alu instid0(VALU_DEP_1) | instskip(NEXT) | instid1(SALU_CYCLE_1)
	s_or_b32 s0, vcc_lo, s0
	s_and_saveexec_b32 s9, s0
	s_delay_alu instid0(SALU_CYCLE_1)
	s_xor_b32 s0, exec_lo, s9
	s_cbranch_execz .LBB170_110
; %bb.109:
	v_div_scale_f32 v1, null, v12, v12, v11
	v_div_scale_f32 v10, vcc_lo, v11, v12, v11
	s_delay_alu instid0(VALU_DEP_2) | instskip(SKIP_2) | instid1(VALU_DEP_1)
	v_rcp_f32_e32 v2, v1
	s_waitcnt_depctr 0xfff
	v_fma_f32 v9, -v1, v2, 1.0
	v_fmac_f32_e32 v2, v9, v2
	s_delay_alu instid0(VALU_DEP_1) | instskip(NEXT) | instid1(VALU_DEP_1)
	v_mul_f32_e32 v9, v10, v2
	v_fma_f32 v14, -v1, v9, v10
	s_delay_alu instid0(VALU_DEP_1) | instskip(NEXT) | instid1(VALU_DEP_1)
	v_fmac_f32_e32 v9, v14, v2
	v_fma_f32 v1, -v1, v9, v10
	s_delay_alu instid0(VALU_DEP_1) | instskip(NEXT) | instid1(VALU_DEP_1)
	v_div_fmas_f32 v1, v1, v2, v9
	v_div_fixup_f32 v1, v1, v12, v11
	s_delay_alu instid0(VALU_DEP_1) | instskip(NEXT) | instid1(VALU_DEP_1)
	v_fmac_f32_e32 v12, v11, v1
	v_div_scale_f32 v2, null, v12, v12, 1.0
	v_div_scale_f32 v11, vcc_lo, 1.0, v12, 1.0
	s_delay_alu instid0(VALU_DEP_2) | instskip(SKIP_2) | instid1(VALU_DEP_1)
	v_rcp_f32_e32 v9, v2
	s_waitcnt_depctr 0xfff
	v_fma_f32 v10, -v2, v9, 1.0
	v_fmac_f32_e32 v9, v10, v9
	s_delay_alu instid0(VALU_DEP_1) | instskip(NEXT) | instid1(VALU_DEP_1)
	v_mul_f32_e32 v10, v11, v9
	v_fma_f32 v14, -v2, v10, v11
	s_delay_alu instid0(VALU_DEP_1) | instskip(NEXT) | instid1(VALU_DEP_1)
	v_fmac_f32_e32 v10, v14, v9
	v_fma_f32 v2, -v2, v10, v11
	s_delay_alu instid0(VALU_DEP_1) | instskip(SKIP_1) | instid1(VALU_DEP_2)
	v_div_fmas_f32 v2, v2, v9, v10
	v_fma_f32 v9, v1, 0, 1.0
	v_div_fixup_f32 v2, v2, v12, 1.0
	s_delay_alu instid0(VALU_DEP_1)
	v_mul_f32_e32 v9, v9, v2
	v_mul_f32_e64 v10, -v1, v2
                                        ; implicit-def: $vgpr1
                                        ; implicit-def: $vgpr2
.LBB170_110:
	s_and_not1_saveexec_b32 s9, s0
	s_cbranch_execz .LBB170_112
; %bb.111:
	v_div_scale_f32 v9, null, v1, v1, 1.0
	v_div_scale_f32 v10, null, v2, v2, 0
	v_div_scale_f32 v16, vcc_lo, 1.0, v1, 1.0
	s_delay_alu instid0(VALU_DEP_3) | instskip(NEXT) | instid1(VALU_DEP_2)
	v_rcp_f32_e32 v11, v9
	v_rcp_f32_e32 v12, v10
	s_waitcnt_depctr 0xfff
	v_fma_f32 v14, -v9, v11, 1.0
	v_fma_f32 v15, -v10, v12, 1.0
	s_delay_alu instid0(VALU_DEP_1) | instskip(SKIP_1) | instid1(VALU_DEP_2)
	v_dual_fmac_f32 v11, v14, v11 :: v_dual_fmac_f32 v12, v15, v12
	v_div_scale_f32 v14, s0, 0, v2, 0
	v_mul_f32_e32 v15, v16, v11
	s_delay_alu instid0(VALU_DEP_2) | instskip(NEXT) | instid1(VALU_DEP_2)
	v_mul_f32_e32 v17, v14, v12
	v_fma_f32 v18, -v9, v15, v16
	s_delay_alu instid0(VALU_DEP_2) | instskip(NEXT) | instid1(VALU_DEP_2)
	v_fma_f32 v19, -v10, v17, v14
	v_fmac_f32_e32 v15, v18, v11
	s_delay_alu instid0(VALU_DEP_2) | instskip(NEXT) | instid1(VALU_DEP_2)
	v_fmac_f32_e32 v17, v19, v12
	v_fma_f32 v9, -v9, v15, v16
	s_delay_alu instid0(VALU_DEP_2) | instskip(NEXT) | instid1(VALU_DEP_2)
	v_fma_f32 v10, -v10, v17, v14
	v_div_fmas_f32 v9, v9, v11, v15
	s_mov_b32 vcc_lo, s0
	s_delay_alu instid0(VALU_DEP_2) | instskip(NEXT) | instid1(VALU_DEP_2)
	v_div_fmas_f32 v10, v10, v12, v17
	v_div_fixup_f32 v9, v9, v1, 1.0
	s_delay_alu instid0(VALU_DEP_2)
	v_div_fixup_f32 v10, v10, v2, 0
.LBB170_112:
	s_or_b32 exec_lo, exec_lo, s9
                                        ; implicit-def: $vgpr11
                                        ; implicit-def: $vgpr12
.LBB170_113:
	s_and_not1_saveexec_b32 s0, s1
	s_cbranch_execz .LBB170_115
; %bb.114:
	v_div_scale_f32 v1, null, v11, v11, v12
	v_div_scale_f32 v10, vcc_lo, v12, v11, v12
	s_delay_alu instid0(VALU_DEP_2) | instskip(SKIP_2) | instid1(VALU_DEP_1)
	v_rcp_f32_e32 v2, v1
	s_waitcnt_depctr 0xfff
	v_fma_f32 v9, -v1, v2, 1.0
	v_fmac_f32_e32 v2, v9, v2
	s_delay_alu instid0(VALU_DEP_1) | instskip(NEXT) | instid1(VALU_DEP_1)
	v_mul_f32_e32 v9, v10, v2
	v_fma_f32 v14, -v1, v9, v10
	s_delay_alu instid0(VALU_DEP_1) | instskip(NEXT) | instid1(VALU_DEP_1)
	v_fmac_f32_e32 v9, v14, v2
	v_fma_f32 v1, -v1, v9, v10
	s_delay_alu instid0(VALU_DEP_1) | instskip(NEXT) | instid1(VALU_DEP_1)
	v_div_fmas_f32 v1, v1, v2, v9
	v_div_fixup_f32 v1, v1, v11, v12
	s_delay_alu instid0(VALU_DEP_1) | instskip(NEXT) | instid1(VALU_DEP_1)
	v_fmac_f32_e32 v11, v12, v1
	v_div_scale_f32 v2, null, v11, v11, 1.0
	v_div_scale_f32 v12, vcc_lo, 1.0, v11, 1.0
	s_delay_alu instid0(VALU_DEP_2) | instskip(SKIP_2) | instid1(VALU_DEP_1)
	v_rcp_f32_e32 v9, v2
	s_waitcnt_depctr 0xfff
	v_fma_f32 v10, -v2, v9, 1.0
	v_fmac_f32_e32 v9, v10, v9
	s_delay_alu instid0(VALU_DEP_1) | instskip(NEXT) | instid1(VALU_DEP_1)
	v_mul_f32_e32 v10, v12, v9
	v_fma_f32 v14, -v2, v10, v12
	s_delay_alu instid0(VALU_DEP_1) | instskip(NEXT) | instid1(VALU_DEP_1)
	v_fmac_f32_e32 v10, v14, v9
	v_fma_f32 v2, -v2, v10, v12
	s_delay_alu instid0(VALU_DEP_1) | instskip(SKIP_2) | instid1(VALU_DEP_3)
	v_div_fmas_f32 v2, v2, v9, v10
	v_add_f32_e32 v9, 0, v1
	v_fma_f32 v1, v1, 0, -1.0
	v_div_fixup_f32 v2, v2, v11, 1.0
	s_delay_alu instid0(VALU_DEP_1) | instskip(NEXT) | instid1(VALU_DEP_3)
	v_mul_f32_e32 v9, v9, v2
	v_mul_f32_e32 v10, v1, v2
.LBB170_115:
	s_or_b32 exec_lo, exec_lo, s0
	v_cmp_neq_f32_e32 vcc_lo, 0, v3
	v_cmp_neq_f32_e64 s0, 0, v4
	v_mov_b32_e32 v1, 0
	s_delay_alu instid0(VALU_DEP_2) | instskip(NEXT) | instid1(SALU_CYCLE_1)
	s_or_b32 s0, vcc_lo, s0
	s_and_saveexec_b32 s9, s0
	s_cbranch_execz .LBB170_145
; %bb.116:
	v_mov_b32_e32 v1, 0x7f800000
	s_mov_b32 s11, exec_lo
	v_cmpx_neq_f32_e64 0x7f800000, |v4|
	s_cbranch_execz .LBB170_144
; %bb.117:
	s_mov_b32 s0, exec_lo
	v_cmpx_o_f32_e32 v3, v3
	s_xor_b32 s12, exec_lo, s0
	s_cbranch_execz .LBB170_141
; %bb.118:
	s_mov_b32 s1, exec_lo
	v_cmpx_neq_f32_e64 0x7f800000, |v3|
	s_xor_b32 s13, exec_lo, s1
	s_cbranch_execz .LBB170_134
; %bb.119:
	v_max_f32_e64 v1, |v4|, |v4|
	v_max_f32_e64 v2, |v3|, |v3|
                                        ; implicit-def: $sgpr14
	s_delay_alu instid0(VALU_DEP_1) | instskip(NEXT) | instid1(VALU_DEP_1)
	v_max_f32_e32 v1, v2, v1
	v_cmp_nle_f32_e64 s0, 0x7ed413cb, v1
	s_delay_alu instid0(VALU_DEP_1) | instskip(NEXT) | instid1(SALU_CYCLE_1)
	s_and_saveexec_b32 s1, s0
	s_xor_b32 s1, exec_lo, s1
	s_cbranch_execz .LBB170_123
; %bb.120:
	v_cmp_ge_f32_e64 s14, 0x1000000, |v3|
	v_cmp_ge_f32_e64 s15, 0x1000000, |v4|
	s_delay_alu instid0(VALU_DEP_1)
	s_and_b32 s16, s14, s15
	s_mov_b32 s14, 0
	s_and_saveexec_b32 s15, s16
; %bb.121:
	v_dual_mul_f32 v3, 4.0, v3 :: v_dual_mul_f32 v4, 4.0, v4
	s_mov_b32 s14, exec_lo
; %bb.122:
	s_or_b32 exec_lo, exec_lo, s15
	s_delay_alu instid0(SALU_CYCLE_1)
	s_and_b32 s14, s14, exec_lo
.LBB170_123:
	s_and_not1_saveexec_b32 s1, s1
; %bb.124:
	v_dual_mul_f32 v3, 0x3e800000, v3 :: v_dual_mul_f32 v4, 0x3e800000, v4
	s_and_not1_b32 s14, s14, exec_lo
; %bb.125:
	s_or_b32 exec_lo, exec_lo, s1
	s_delay_alu instid0(VALU_DEP_1) | instskip(NEXT) | instid1(VALU_DEP_2)
	v_max_f32_e64 v1, |v4|, |v4|
	v_max_f32_e64 v2, |v3|, |v3|
	s_delay_alu instid0(VALU_DEP_1) | instskip(NEXT) | instid1(VALU_DEP_1)
	v_max_f32_e32 v11, v2, v1
	v_cvt_f64_f32_e32 v[1:2], v11
	s_delay_alu instid0(VALU_DEP_1) | instskip(NEXT) | instid1(VALU_DEP_1)
	v_frexp_exp_i32_f64_e32 v1, v[1:2]
	v_sub_nc_u32_e32 v2, 0, v1
	s_delay_alu instid0(VALU_DEP_1) | instskip(SKIP_1) | instid1(VALU_DEP_2)
	v_ldexp_f32 v12, |v4|, v2
	v_ldexp_f32 v2, |v3|, v2
	v_mul_f32_e32 v12, v12, v12
	v_cmp_neq_f32_e64 s1, 0x7f800000, v11
	s_delay_alu instid0(VALU_DEP_2) | instskip(NEXT) | instid1(VALU_DEP_1)
	v_fmac_f32_e32 v12, v2, v2
	v_sqrt_f32_e32 v2, v12
	s_waitcnt_depctr 0xfff
	v_ldexp_f32 v1, v2, v1
                                        ; implicit-def: $vgpr2
	s_delay_alu instid0(VALU_DEP_1)
	v_cndmask_b32_e64 v11, 0x7f800000, v1, s1
                                        ; implicit-def: $vgpr1
	s_mov_b32 s1, exec_lo
	v_cmpx_le_f32_e32 0, v3
	s_xor_b32 s15, exec_lo, s1
	s_cbranch_execz .LBB170_127
; %bb.126:
	v_add_f32_e32 v1, v3, v11
	s_delay_alu instid0(VALU_DEP_1) | instskip(NEXT) | instid1(VALU_DEP_1)
	v_mul_f32_e32 v1, 0.5, v1
	v_mul_f32_e32 v2, 0x4f800000, v1
	v_cmp_gt_f32_e32 vcc_lo, 0xf800000, v1
	s_delay_alu instid0(VALU_DEP_2) | instskip(NEXT) | instid1(VALU_DEP_1)
	v_cndmask_b32_e32 v1, v1, v2, vcc_lo
	v_sqrt_f32_e32 v2, v1
	s_waitcnt_depctr 0xfff
	v_add_nc_u32_e32 v3, -1, v2
	v_add_nc_u32_e32 v11, 1, v2
	s_delay_alu instid0(VALU_DEP_2) | instskip(NEXT) | instid1(VALU_DEP_2)
	v_fma_f32 v12, -v3, v2, v1
	v_fma_f32 v14, -v11, v2, v1
	s_delay_alu instid0(VALU_DEP_2) | instskip(NEXT) | instid1(VALU_DEP_1)
	v_cmp_ge_f32_e64 s1, 0, v12
	v_cndmask_b32_e64 v2, v2, v3, s1
	s_delay_alu instid0(VALU_DEP_3) | instskip(NEXT) | instid1(VALU_DEP_1)
	v_cmp_lt_f32_e64 s1, 0, v14
	v_cndmask_b32_e64 v2, v2, v11, s1
	s_delay_alu instid0(VALU_DEP_1) | instskip(NEXT) | instid1(VALU_DEP_1)
	v_mul_f32_e32 v3, 0x37800000, v2
	v_cndmask_b32_e32 v2, v2, v3, vcc_lo
	v_cmp_class_f32_e64 vcc_lo, v1, 0x260
	s_delay_alu instid0(VALU_DEP_2) | instskip(NEXT) | instid1(VALU_DEP_1)
	v_cndmask_b32_e32 v1, v2, v1, vcc_lo
	v_add_f32_e32 v2, v1, v1
	s_delay_alu instid0(VALU_DEP_1) | instskip(NEXT) | instid1(VALU_DEP_1)
	v_div_scale_f32 v3, null, v2, v2, v4
	v_rcp_f32_e32 v11, v3
	s_waitcnt_depctr 0xfff
	v_fma_f32 v12, -v3, v11, 1.0
	s_delay_alu instid0(VALU_DEP_1) | instskip(SKIP_1) | instid1(VALU_DEP_1)
	v_fmac_f32_e32 v11, v12, v11
	v_div_scale_f32 v12, vcc_lo, v4, v2, v4
	v_mul_f32_e32 v14, v12, v11
	s_delay_alu instid0(VALU_DEP_1) | instskip(NEXT) | instid1(VALU_DEP_1)
	v_fma_f32 v15, -v3, v14, v12
	v_fmac_f32_e32 v14, v15, v11
	s_delay_alu instid0(VALU_DEP_1) | instskip(NEXT) | instid1(VALU_DEP_1)
	v_fma_f32 v3, -v3, v14, v12
	v_div_fmas_f32 v3, v3, v11, v14
                                        ; implicit-def: $vgpr11
	s_delay_alu instid0(VALU_DEP_1)
	v_div_fixup_f32 v2, v3, v2, v4
                                        ; implicit-def: $vgpr3
	s_and_not1_saveexec_b32 s15, s15
	s_cbranch_execz .LBB170_129
	s_branch .LBB170_128
.LBB170_127:
	s_and_not1_saveexec_b32 s15, s15
	s_cbranch_execz .LBB170_129
.LBB170_128:
	v_sub_f32_e32 v1, v11, v3
	s_delay_alu instid0(VALU_DEP_1) | instskip(NEXT) | instid1(VALU_DEP_1)
	v_mul_f32_e32 v1, 0.5, v1
	v_mul_f32_e32 v2, 0x4f800000, v1
	v_cmp_gt_f32_e32 vcc_lo, 0xf800000, v1
	s_delay_alu instid0(VALU_DEP_2) | instskip(NEXT) | instid1(VALU_DEP_1)
	v_cndmask_b32_e32 v1, v1, v2, vcc_lo
	v_sqrt_f32_e32 v2, v1
	s_waitcnt_depctr 0xfff
	v_add_nc_u32_e32 v3, -1, v2
	v_add_nc_u32_e32 v11, 1, v2
	s_delay_alu instid0(VALU_DEP_2) | instskip(NEXT) | instid1(VALU_DEP_2)
	v_fma_f32 v12, -v3, v2, v1
	v_fma_f32 v14, -v11, v2, v1
	s_delay_alu instid0(VALU_DEP_2) | instskip(NEXT) | instid1(VALU_DEP_1)
	v_cmp_ge_f32_e64 s1, 0, v12
	v_cndmask_b32_e64 v2, v2, v3, s1
	s_delay_alu instid0(VALU_DEP_3) | instskip(NEXT) | instid1(VALU_DEP_1)
	v_cmp_lt_f32_e64 s1, 0, v14
	v_cndmask_b32_e64 v2, v2, v11, s1
	s_delay_alu instid0(VALU_DEP_1) | instskip(NEXT) | instid1(VALU_DEP_1)
	v_mul_f32_e32 v3, 0x37800000, v2
	v_cndmask_b32_e32 v2, v2, v3, vcc_lo
	v_cmp_class_f32_e64 vcc_lo, v1, 0x260
	s_delay_alu instid0(VALU_DEP_2) | instskip(NEXT) | instid1(VALU_DEP_1)
	v_dual_cndmask_b32 v2, v2, v1 :: v_dual_and_b32 v1, 0x7fffffff, v4
	v_add_f32_e32 v3, v2, v2
	v_bfi_b32 v2, 0x7fffffff, v2, v4
	s_delay_alu instid0(VALU_DEP_2) | instskip(SKIP_1) | instid1(VALU_DEP_2)
	v_div_scale_f32 v11, null, v3, v3, v1
	v_div_scale_f32 v1, vcc_lo, v1, v3, v1
	v_rcp_f32_e32 v12, v11
	s_waitcnt_depctr 0xfff
	v_fma_f32 v14, -v11, v12, 1.0
	s_delay_alu instid0(VALU_DEP_1) | instskip(NEXT) | instid1(VALU_DEP_1)
	v_fmac_f32_e32 v12, v14, v12
	v_mul_f32_e32 v14, v1, v12
	s_delay_alu instid0(VALU_DEP_1) | instskip(NEXT) | instid1(VALU_DEP_1)
	v_fma_f32 v15, -v11, v14, v1
	v_fmac_f32_e32 v14, v15, v12
	s_delay_alu instid0(VALU_DEP_1) | instskip(NEXT) | instid1(VALU_DEP_1)
	v_fma_f32 v1, -v11, v14, v1
	v_div_fmas_f32 v1, v1, v12, v14
	s_delay_alu instid0(VALU_DEP_1)
	v_div_fixup_f32 v1, v1, v3, |v4|
.LBB170_129:
	s_or_b32 exec_lo, exec_lo, s15
                                        ; implicit-def: $vgpr4
	s_and_saveexec_b32 s1, s0
	s_delay_alu instid0(SALU_CYCLE_1)
	s_xor_b32 s0, exec_lo, s1
	s_cbranch_execz .LBB170_131
; %bb.130:
	v_dual_mul_f32 v3, 0.5, v1 :: v_dual_mul_f32 v4, 0.5, v2
	s_delay_alu instid0(VALU_DEP_1) | instskip(NEXT) | instid1(VALU_DEP_2)
	v_cndmask_b32_e64 v3, v1, v3, s14
	v_cndmask_b32_e64 v4, v2, v4, s14
                                        ; implicit-def: $vgpr1
                                        ; implicit-def: $vgpr2
	s_and_not1_saveexec_b32 s0, s0
	s_cbranch_execnz .LBB170_132
	s_branch .LBB170_133
.LBB170_131:
	s_and_not1_saveexec_b32 s0, s0
.LBB170_132:
	v_dual_add_f32 v3, v1, v1 :: v_dual_add_f32 v4, v2, v2
.LBB170_133:
	s_or_b32 exec_lo, exec_lo, s0
.LBB170_134:
	s_and_not1_saveexec_b32 s0, s13
	s_cbranch_execz .LBB170_140
; %bb.135:
	s_delay_alu instid0(VALU_DEP_1)
	v_sub_f32_e32 v1, v4, v4
	s_mov_b32 s1, exec_lo
	v_cmpx_lt_i32_e32 -1, v3
	s_xor_b32 s1, exec_lo, s1
; %bb.136:
	s_delay_alu instid0(VALU_DEP_2)
	v_bfi_b32 v4, 0x7fffffff, v1, v4
                                        ; implicit-def: $vgpr1
; %bb.137:
	s_and_not1_saveexec_b32 s1, s1
; %bb.138:
	v_and_b32_e32 v1, 0x7fffffff, v1
	s_delay_alu instid0(VALU_DEP_2) | instskip(NEXT) | instid1(VALU_DEP_2)
	v_bfi_b32 v4, 0x7fffffff, v3, v4
	v_mov_b32_e32 v3, v1
; %bb.139:
	s_or_b32 exec_lo, exec_lo, s1
.LBB170_140:
	s_delay_alu instid0(SALU_CYCLE_1)
	s_or_b32 exec_lo, exec_lo, s0
.LBB170_141:
	s_and_not1_saveexec_b32 s0, s12
; %bb.142:
	v_sub_f32_e32 v1, v4, v4
	s_delay_alu instid0(VALU_DEP_1) | instskip(NEXT) | instid1(VALU_DEP_1)
	v_div_scale_f32 v2, vcc_lo, v1, v1, v1
	v_rcp_f32_e32 v4, v2
	s_waitcnt_depctr 0xfff
	v_fma_f32 v11, -v2, v4, 1.0
	s_delay_alu instid0(VALU_DEP_1) | instskip(NEXT) | instid1(VALU_DEP_1)
	v_fmac_f32_e32 v4, v11, v4
	v_mul_f32_e32 v11, v2, v4
	s_delay_alu instid0(VALU_DEP_1) | instskip(NEXT) | instid1(VALU_DEP_1)
	v_fma_f32 v12, -v2, v11, v2
	v_fmac_f32_e32 v11, v12, v4
	s_delay_alu instid0(VALU_DEP_1) | instskip(NEXT) | instid1(VALU_DEP_1)
	v_fma_f32 v2, -v2, v11, v2
	v_div_fmas_f32 v2, v2, v4, v11
	s_delay_alu instid0(VALU_DEP_1)
	v_div_fixup_f32 v4, v2, v1, v1
; %bb.143:
	s_or_b32 exec_lo, exec_lo, s0
	v_mov_b32_e32 v1, v3
.LBB170_144:
	s_or_b32 exec_lo, exec_lo, s11
.LBB170_145:
	s_delay_alu instid0(SALU_CYCLE_1) | instskip(NEXT) | instid1(VALU_DEP_1)
	s_or_b32 exec_lo, exec_lo, s9
	v_cmp_gt_f32_e32 vcc_lo, 0, v1
	s_mov_b32 s0, exec_lo
	v_cndmask_b32_e64 v2, v1, -v1, vcc_lo
	v_cmp_gt_f32_e32 vcc_lo, 0, v4
	v_cndmask_b32_e64 v3, v4, -v4, vcc_lo
	s_delay_alu instid0(VALU_DEP_1)
	v_cmpx_ge_f32_e32 v2, v3
	s_xor_b32 s1, exec_lo, s0
	s_cbranch_execz .LBB170_151
; %bb.146:
	v_cmp_neq_f32_e32 vcc_lo, 0, v1
	v_cmp_neq_f32_e64 s0, 0, v4
	s_delay_alu instid0(VALU_DEP_1) | instskip(NEXT) | instid1(SALU_CYCLE_1)
	s_or_b32 s0, vcc_lo, s0
	s_and_saveexec_b32 s9, s0
	s_delay_alu instid0(SALU_CYCLE_1)
	s_xor_b32 s0, exec_lo, s9
	s_cbranch_execz .LBB170_148
; %bb.147:
	v_div_scale_f32 v2, null, v1, v1, v4
	v_div_scale_f32 v12, vcc_lo, v4, v1, v4
	s_delay_alu instid0(VALU_DEP_2) | instskip(SKIP_2) | instid1(VALU_DEP_1)
	v_rcp_f32_e32 v3, v2
	s_waitcnt_depctr 0xfff
	v_fma_f32 v11, -v2, v3, 1.0
	v_fmac_f32_e32 v3, v11, v3
	s_delay_alu instid0(VALU_DEP_1) | instskip(NEXT) | instid1(VALU_DEP_1)
	v_mul_f32_e32 v11, v12, v3
	v_fma_f32 v14, -v2, v11, v12
	s_delay_alu instid0(VALU_DEP_1) | instskip(NEXT) | instid1(VALU_DEP_1)
	v_fmac_f32_e32 v11, v14, v3
	v_fma_f32 v2, -v2, v11, v12
	s_delay_alu instid0(VALU_DEP_1) | instskip(NEXT) | instid1(VALU_DEP_1)
	v_div_fmas_f32 v2, v2, v3, v11
	v_div_fixup_f32 v2, v2, v1, v4
	s_delay_alu instid0(VALU_DEP_1) | instskip(NEXT) | instid1(VALU_DEP_1)
	v_fmac_f32_e32 v1, v4, v2
	v_div_scale_f32 v3, null, v1, v1, 1.0
	s_delay_alu instid0(VALU_DEP_1) | instskip(SKIP_2) | instid1(VALU_DEP_1)
	v_rcp_f32_e32 v4, v3
	s_waitcnt_depctr 0xfff
	v_fma_f32 v11, -v3, v4, 1.0
	v_fmac_f32_e32 v4, v11, v4
	v_div_scale_f32 v12, vcc_lo, 1.0, v1, 1.0
	s_delay_alu instid0(VALU_DEP_1) | instskip(NEXT) | instid1(VALU_DEP_1)
	v_mul_f32_e32 v11, v12, v4
	v_fma_f32 v14, -v3, v11, v12
	s_delay_alu instid0(VALU_DEP_1) | instskip(NEXT) | instid1(VALU_DEP_1)
	v_fmac_f32_e32 v11, v14, v4
	v_fma_f32 v3, -v3, v11, v12
	s_delay_alu instid0(VALU_DEP_1) | instskip(SKIP_1) | instid1(VALU_DEP_2)
	v_div_fmas_f32 v3, v3, v4, v11
	v_fma_f32 v4, v2, 0, 1.0
	v_div_fixup_f32 v1, v3, v1, 1.0
                                        ; implicit-def: $vgpr3
	s_delay_alu instid0(VALU_DEP_1)
	v_mul_f32_e32 v11, v4, v1
	v_mul_f32_e64 v12, -v2, v1
                                        ; implicit-def: $vgpr2
.LBB170_148:
	s_and_not1_saveexec_b32 s9, s0
	s_cbranch_execz .LBB170_150
; %bb.149:
	v_div_scale_f32 v1, null, v2, v2, 1.0
	v_div_scale_f32 v4, null, v3, v3, 0
	v_div_scale_f32 v16, vcc_lo, 1.0, v2, 1.0
	s_delay_alu instid0(VALU_DEP_3) | instskip(NEXT) | instid1(VALU_DEP_2)
	v_rcp_f32_e32 v11, v1
	v_rcp_f32_e32 v12, v4
	s_waitcnt_depctr 0xfff
	v_fma_f32 v14, -v1, v11, 1.0
	v_fma_f32 v15, -v4, v12, 1.0
	s_delay_alu instid0(VALU_DEP_1) | instskip(SKIP_1) | instid1(VALU_DEP_2)
	v_dual_fmac_f32 v11, v14, v11 :: v_dual_fmac_f32 v12, v15, v12
	v_div_scale_f32 v14, s0, 0, v3, 0
	v_mul_f32_e32 v15, v16, v11
	s_delay_alu instid0(VALU_DEP_2) | instskip(NEXT) | instid1(VALU_DEP_2)
	v_mul_f32_e32 v17, v14, v12
	v_fma_f32 v18, -v1, v15, v16
	s_delay_alu instid0(VALU_DEP_2) | instskip(NEXT) | instid1(VALU_DEP_2)
	v_fma_f32 v19, -v4, v17, v14
	v_fmac_f32_e32 v15, v18, v11
	s_delay_alu instid0(VALU_DEP_2) | instskip(NEXT) | instid1(VALU_DEP_2)
	v_fmac_f32_e32 v17, v19, v12
	v_fma_f32 v1, -v1, v15, v16
	s_delay_alu instid0(VALU_DEP_2) | instskip(NEXT) | instid1(VALU_DEP_2)
	v_fma_f32 v4, -v4, v17, v14
	v_div_fmas_f32 v1, v1, v11, v15
	s_mov_b32 vcc_lo, s0
	s_delay_alu instid0(VALU_DEP_2) | instskip(NEXT) | instid1(VALU_DEP_2)
	v_div_fmas_f32 v4, v4, v12, v17
	v_div_fixup_f32 v11, v1, v2, 1.0
	s_delay_alu instid0(VALU_DEP_2)
	v_div_fixup_f32 v12, v4, v3, 0
.LBB170_150:
	s_or_b32 exec_lo, exec_lo, s9
                                        ; implicit-def: $vgpr4
                                        ; implicit-def: $vgpr1
.LBB170_151:
	s_and_not1_saveexec_b32 s0, s1
	s_cbranch_execz .LBB170_153
; %bb.152:
	v_div_scale_f32 v2, null, v4, v4, v1
	v_div_scale_f32 v12, vcc_lo, v1, v4, v1
	s_delay_alu instid0(VALU_DEP_2) | instskip(SKIP_2) | instid1(VALU_DEP_1)
	v_rcp_f32_e32 v3, v2
	s_waitcnt_depctr 0xfff
	v_fma_f32 v11, -v2, v3, 1.0
	v_fmac_f32_e32 v3, v11, v3
	s_delay_alu instid0(VALU_DEP_1) | instskip(NEXT) | instid1(VALU_DEP_1)
	v_mul_f32_e32 v11, v12, v3
	v_fma_f32 v14, -v2, v11, v12
	s_delay_alu instid0(VALU_DEP_1) | instskip(NEXT) | instid1(VALU_DEP_1)
	v_fmac_f32_e32 v11, v14, v3
	v_fma_f32 v2, -v2, v11, v12
	s_delay_alu instid0(VALU_DEP_1) | instskip(NEXT) | instid1(VALU_DEP_1)
	v_div_fmas_f32 v2, v2, v3, v11
	v_div_fixup_f32 v2, v2, v4, v1
	s_delay_alu instid0(VALU_DEP_1) | instskip(NEXT) | instid1(VALU_DEP_1)
	v_fmac_f32_e32 v4, v1, v2
	v_div_scale_f32 v1, null, v4, v4, 1.0
	v_div_scale_f32 v12, vcc_lo, 1.0, v4, 1.0
	s_delay_alu instid0(VALU_DEP_2) | instskip(SKIP_2) | instid1(VALU_DEP_1)
	v_rcp_f32_e32 v3, v1
	s_waitcnt_depctr 0xfff
	v_fma_f32 v11, -v1, v3, 1.0
	v_fmac_f32_e32 v3, v11, v3
	s_delay_alu instid0(VALU_DEP_1) | instskip(NEXT) | instid1(VALU_DEP_1)
	v_mul_f32_e32 v11, v12, v3
	v_fma_f32 v14, -v1, v11, v12
	s_delay_alu instid0(VALU_DEP_1) | instskip(NEXT) | instid1(VALU_DEP_1)
	v_fmac_f32_e32 v11, v14, v3
	v_fma_f32 v1, -v1, v11, v12
	s_delay_alu instid0(VALU_DEP_1) | instskip(SKIP_2) | instid1(VALU_DEP_3)
	v_div_fmas_f32 v1, v1, v3, v11
	v_add_f32_e32 v3, 0, v2
	v_fma_f32 v2, v2, 0, -1.0
	v_div_fixup_f32 v1, v1, v4, 1.0
	s_delay_alu instid0(VALU_DEP_1) | instskip(NEXT) | instid1(VALU_DEP_4)
	v_mul_f32_e32 v12, v2, v1
	v_mul_f32_e32 v11, v3, v1
.LBB170_153:
	s_or_b32 exec_lo, exec_lo, s0
	s_add_u32 s2, s4, s2
	s_addc_u32 s3, s5, s3
	s_mov_b32 s0, 0
	s_clause 0x1
	global_store_b128 v13, v[5:8], s[2:3]
	global_store_b128 v13, v[9:12], s[2:3] offset:16
.LBB170_154:
	s_and_b32 vcc_lo, exec_lo, s0
	s_cbranch_vccz .LBB170_331
; %bb.155:
	v_cmp_gt_i32_e64 s0, s10, v0
	v_dual_mov_b32 v11, 0 :: v_dual_mov_b32 v8, 0
	v_or_b32_e32 v1, s8, v0
	v_or_b32_e32 v12, 0x100, v0
	v_dual_mov_b32 v9, 0 :: v_dual_mov_b32 v4, v0
	s_and_saveexec_b32 s1, s0
	s_cbranch_execz .LBB170_157
; %bb.156:
	v_mov_b32_e32 v2, 0
	v_or_b32_e32 v4, 0x100, v0
	s_delay_alu instid0(VALU_DEP_2) | instskip(NEXT) | instid1(VALU_DEP_1)
	v_lshlrev_b64 v[2:3], 3, v[1:2]
	v_add_co_u32 v2, vcc_lo, s6, v2
	s_delay_alu instid0(VALU_DEP_2)
	v_add_co_ci_u32_e32 v3, vcc_lo, s7, v3, vcc_lo
	global_load_b64 v[8:9], v[2:3], off
.LBB170_157:
	s_or_b32 exec_lo, exec_lo, s1
	v_mov_b32_e32 v10, 0
	s_mov_b32 s1, exec_lo
	v_cmpx_gt_i32_e64 s10, v4
	s_cbranch_execz .LBB170_159
; %bb.158:
	v_dual_mov_b32 v3, 0 :: v_dual_add_nc_u32 v2, s8, v4
	v_add_nc_u32_e32 v4, 0x100, v4
	s_delay_alu instid0(VALU_DEP_2) | instskip(NEXT) | instid1(VALU_DEP_1)
	v_lshlrev_b64 v[2:3], 3, v[2:3]
	v_add_co_u32 v2, vcc_lo, s6, v2
	s_delay_alu instid0(VALU_DEP_2)
	v_add_co_ci_u32_e32 v3, vcc_lo, s7, v3, vcc_lo
	global_load_b64 v[10:11], v[2:3], off
.LBB170_159:
	s_or_b32 exec_lo, exec_lo, s1
	v_dual_mov_b32 v3, 0 :: v_dual_mov_b32 v6, 0
	v_mov_b32_e32 v7, 0
	s_mov_b32 s1, exec_lo
	v_cmpx_gt_i32_e64 s10, v4
	s_cbranch_execz .LBB170_161
; %bb.160:
	v_dual_mov_b32 v6, 0 :: v_dual_add_nc_u32 v5, s8, v4
	v_add_nc_u32_e32 v4, 0x100, v4
	s_delay_alu instid0(VALU_DEP_2) | instskip(NEXT) | instid1(VALU_DEP_1)
	v_lshlrev_b64 v[5:6], 3, v[5:6]
	v_add_co_u32 v5, vcc_lo, s6, v5
	s_delay_alu instid0(VALU_DEP_2)
	v_add_co_ci_u32_e32 v6, vcc_lo, s7, v6, vcc_lo
	global_load_b64 v[6:7], v[5:6], off
.LBB170_161:
	s_or_b32 exec_lo, exec_lo, s1
	v_mov_b32_e32 v2, 0
	s_mov_b32 s1, exec_lo
	v_cmpx_gt_i32_e64 s10, v4
	s_cbranch_execz .LBB170_163
; %bb.162:
	v_dual_mov_b32 v3, 0 :: v_dual_add_nc_u32 v2, s8, v4
	s_delay_alu instid0(VALU_DEP_1) | instskip(NEXT) | instid1(VALU_DEP_1)
	v_lshlrev_b64 v[2:3], 3, v[2:3]
	v_add_co_u32 v2, vcc_lo, s6, v2
	s_delay_alu instid0(VALU_DEP_2)
	v_add_co_ci_u32_e32 v3, vcc_lo, s7, v3, vcc_lo
	global_load_b64 v[2:3], v[2:3], off
.LBB170_163:
	s_or_b32 exec_lo, exec_lo, s1
	v_dual_mov_b32 v4, 0 :: v_dual_mov_b32 v5, 0
	s_and_saveexec_b32 s3, s0
	s_cbranch_execz .LBB170_203
; %bb.164:
	s_waitcnt vmcnt(0)
	v_cmp_neq_f32_e32 vcc_lo, 0, v8
	v_cmp_neq_f32_e64 s1, 0, v9
	v_mov_b32_e32 v13, 0
	s_delay_alu instid0(VALU_DEP_2) | instskip(NEXT) | instid1(SALU_CYCLE_1)
	s_or_b32 s1, vcc_lo, s1
	s_and_saveexec_b32 s6, s1
	s_cbranch_execz .LBB170_194
; %bb.165:
	v_mov_b32_e32 v13, 0x7f800000
	s_mov_b32 s7, exec_lo
	v_cmpx_neq_f32_e64 0x7f800000, |v9|
	s_cbranch_execz .LBB170_193
; %bb.166:
	s_mov_b32 s1, exec_lo
	v_cmpx_o_f32_e32 v8, v8
	s_xor_b32 s9, exec_lo, s1
	s_cbranch_execz .LBB170_190
; %bb.167:
	s_mov_b32 s2, exec_lo
	v_cmpx_neq_f32_e64 0x7f800000, |v8|
	s_xor_b32 s11, exec_lo, s2
	s_cbranch_execz .LBB170_183
; %bb.168:
	v_max_f32_e64 v4, |v8|, |v8|
	v_max_f32_e64 v5, |v9|, |v9|
                                        ; implicit-def: $sgpr12
	s_delay_alu instid0(VALU_DEP_1) | instskip(NEXT) | instid1(VALU_DEP_1)
	v_max_f32_e32 v4, v5, v4
	v_cmp_nle_f32_e64 s1, 0x7ed413cb, v4
	s_delay_alu instid0(VALU_DEP_1) | instskip(NEXT) | instid1(SALU_CYCLE_1)
	s_and_saveexec_b32 s2, s1
	s_xor_b32 s2, exec_lo, s2
	s_cbranch_execz .LBB170_172
; %bb.169:
	v_cmp_ge_f32_e64 s12, 0x1000000, |v8|
	v_cmp_ge_f32_e64 s13, 0x1000000, |v9|
	s_delay_alu instid0(VALU_DEP_1)
	s_and_b32 s14, s13, s12
	s_mov_b32 s12, 0
	s_and_saveexec_b32 s13, s14
; %bb.170:
	v_dual_mul_f32 v8, 4.0, v8 :: v_dual_mul_f32 v9, 4.0, v9
	s_mov_b32 s12, exec_lo
; %bb.171:
	s_or_b32 exec_lo, exec_lo, s13
	s_delay_alu instid0(SALU_CYCLE_1)
	s_and_b32 s12, s12, exec_lo
.LBB170_172:
	s_and_not1_saveexec_b32 s2, s2
; %bb.173:
	v_dual_mul_f32 v8, 0x3e800000, v8 :: v_dual_mul_f32 v9, 0x3e800000, v9
	s_and_not1_b32 s12, s12, exec_lo
; %bb.174:
	s_or_b32 exec_lo, exec_lo, s2
	s_delay_alu instid0(VALU_DEP_1) | instskip(NEXT) | instid1(VALU_DEP_2)
	v_max_f32_e64 v4, |v9|, |v9|
	v_max_f32_e64 v5, |v8|, |v8|
	s_delay_alu instid0(VALU_DEP_1) | instskip(NEXT) | instid1(VALU_DEP_1)
	v_max_f32_e32 v13, v5, v4
	v_cvt_f64_f32_e32 v[4:5], v13
	s_delay_alu instid0(VALU_DEP_1) | instskip(NEXT) | instid1(VALU_DEP_1)
	v_frexp_exp_i32_f64_e32 v4, v[4:5]
	v_sub_nc_u32_e32 v5, 0, v4
	s_delay_alu instid0(VALU_DEP_1) | instskip(SKIP_1) | instid1(VALU_DEP_2)
	v_ldexp_f32 v14, |v9|, v5
	v_ldexp_f32 v5, |v8|, v5
	v_mul_f32_e32 v14, v14, v14
	v_cmp_neq_f32_e64 s2, 0x7f800000, v13
	s_delay_alu instid0(VALU_DEP_2) | instskip(NEXT) | instid1(VALU_DEP_1)
	v_fmac_f32_e32 v14, v5, v5
	v_sqrt_f32_e32 v5, v14
	s_waitcnt_depctr 0xfff
	v_ldexp_f32 v4, v5, v4
                                        ; implicit-def: $vgpr5
	s_delay_alu instid0(VALU_DEP_1)
	v_cndmask_b32_e64 v13, 0x7f800000, v4, s2
                                        ; implicit-def: $vgpr4
	s_mov_b32 s2, exec_lo
	v_cmpx_le_f32_e32 0, v8
	s_xor_b32 s13, exec_lo, s2
	s_cbranch_execz .LBB170_176
; %bb.175:
	v_add_f32_e32 v4, v8, v13
	s_delay_alu instid0(VALU_DEP_1) | instskip(NEXT) | instid1(VALU_DEP_1)
	v_mul_f32_e32 v4, 0.5, v4
	v_mul_f32_e32 v5, 0x4f800000, v4
	v_cmp_gt_f32_e32 vcc_lo, 0xf800000, v4
	s_delay_alu instid0(VALU_DEP_2) | instskip(NEXT) | instid1(VALU_DEP_1)
	v_cndmask_b32_e32 v4, v4, v5, vcc_lo
	v_sqrt_f32_e32 v5, v4
	s_waitcnt_depctr 0xfff
	v_add_nc_u32_e32 v13, 1, v5
	v_add_nc_u32_e32 v8, -1, v5
	s_delay_alu instid0(VALU_DEP_2) | instskip(NEXT) | instid1(VALU_DEP_2)
	v_fma_f32 v15, -v13, v5, v4
	v_fma_f32 v14, -v8, v5, v4
	s_delay_alu instid0(VALU_DEP_1) | instskip(NEXT) | instid1(VALU_DEP_1)
	v_cmp_ge_f32_e64 s2, 0, v14
	v_cndmask_b32_e64 v5, v5, v8, s2
	s_delay_alu instid0(VALU_DEP_4) | instskip(NEXT) | instid1(VALU_DEP_1)
	v_cmp_lt_f32_e64 s2, 0, v15
	v_cndmask_b32_e64 v5, v5, v13, s2
	s_delay_alu instid0(VALU_DEP_1) | instskip(NEXT) | instid1(VALU_DEP_1)
	v_mul_f32_e32 v8, 0x37800000, v5
	v_cndmask_b32_e32 v5, v5, v8, vcc_lo
	v_cmp_class_f32_e64 vcc_lo, v4, 0x260
	s_delay_alu instid0(VALU_DEP_2) | instskip(NEXT) | instid1(VALU_DEP_1)
	v_cndmask_b32_e32 v4, v5, v4, vcc_lo
	v_add_f32_e32 v5, v4, v4
	s_delay_alu instid0(VALU_DEP_1) | instskip(NEXT) | instid1(VALU_DEP_1)
	v_div_scale_f32 v8, null, v5, v5, v9
	v_rcp_f32_e32 v13, v8
	s_waitcnt_depctr 0xfff
	v_fma_f32 v14, -v8, v13, 1.0
	s_delay_alu instid0(VALU_DEP_1) | instskip(SKIP_1) | instid1(VALU_DEP_1)
	v_fmac_f32_e32 v13, v14, v13
	v_div_scale_f32 v14, vcc_lo, v9, v5, v9
	v_mul_f32_e32 v15, v14, v13
	s_delay_alu instid0(VALU_DEP_1) | instskip(NEXT) | instid1(VALU_DEP_1)
	v_fma_f32 v16, -v8, v15, v14
	v_fmac_f32_e32 v15, v16, v13
	s_delay_alu instid0(VALU_DEP_1) | instskip(NEXT) | instid1(VALU_DEP_1)
	v_fma_f32 v8, -v8, v15, v14
	v_div_fmas_f32 v8, v8, v13, v15
                                        ; implicit-def: $vgpr13
	s_delay_alu instid0(VALU_DEP_1)
	v_div_fixup_f32 v5, v8, v5, v9
                                        ; implicit-def: $vgpr8
	s_and_not1_saveexec_b32 s13, s13
	s_cbranch_execz .LBB170_178
	s_branch .LBB170_177
.LBB170_176:
	s_and_not1_saveexec_b32 s13, s13
	s_cbranch_execz .LBB170_178
.LBB170_177:
	v_sub_f32_e32 v4, v13, v8
	s_delay_alu instid0(VALU_DEP_1) | instskip(NEXT) | instid1(VALU_DEP_1)
	v_mul_f32_e32 v4, 0.5, v4
	v_mul_f32_e32 v5, 0x4f800000, v4
	v_cmp_gt_f32_e32 vcc_lo, 0xf800000, v4
	s_delay_alu instid0(VALU_DEP_2) | instskip(NEXT) | instid1(VALU_DEP_1)
	v_cndmask_b32_e32 v4, v4, v5, vcc_lo
	v_sqrt_f32_e32 v5, v4
	s_waitcnt_depctr 0xfff
	v_add_nc_u32_e32 v8, -1, v5
	v_add_nc_u32_e32 v13, 1, v5
	s_delay_alu instid0(VALU_DEP_2) | instskip(NEXT) | instid1(VALU_DEP_2)
	v_fma_f32 v14, -v8, v5, v4
	v_fma_f32 v15, -v13, v5, v4
	s_delay_alu instid0(VALU_DEP_2) | instskip(NEXT) | instid1(VALU_DEP_1)
	v_cmp_ge_f32_e64 s2, 0, v14
	v_cndmask_b32_e64 v5, v5, v8, s2
	s_delay_alu instid0(VALU_DEP_3) | instskip(NEXT) | instid1(VALU_DEP_1)
	v_cmp_lt_f32_e64 s2, 0, v15
	v_cndmask_b32_e64 v5, v5, v13, s2
	s_delay_alu instid0(VALU_DEP_1) | instskip(NEXT) | instid1(VALU_DEP_1)
	v_mul_f32_e32 v8, 0x37800000, v5
	v_cndmask_b32_e32 v5, v5, v8, vcc_lo
	v_cmp_class_f32_e64 vcc_lo, v4, 0x260
	s_delay_alu instid0(VALU_DEP_2) | instskip(NEXT) | instid1(VALU_DEP_1)
	v_dual_cndmask_b32 v5, v5, v4 :: v_dual_and_b32 v4, 0x7fffffff, v9
	v_add_f32_e32 v8, v5, v5
	v_bfi_b32 v5, 0x7fffffff, v5, v9
	s_delay_alu instid0(VALU_DEP_2) | instskip(SKIP_1) | instid1(VALU_DEP_2)
	v_div_scale_f32 v13, null, v8, v8, v4
	v_div_scale_f32 v4, vcc_lo, v4, v8, v4
	v_rcp_f32_e32 v14, v13
	s_waitcnt_depctr 0xfff
	v_fma_f32 v15, -v13, v14, 1.0
	s_delay_alu instid0(VALU_DEP_1) | instskip(NEXT) | instid1(VALU_DEP_1)
	v_fmac_f32_e32 v14, v15, v14
	v_mul_f32_e32 v15, v4, v14
	s_delay_alu instid0(VALU_DEP_1) | instskip(NEXT) | instid1(VALU_DEP_1)
	v_fma_f32 v16, -v13, v15, v4
	v_fmac_f32_e32 v15, v16, v14
	s_delay_alu instid0(VALU_DEP_1) | instskip(NEXT) | instid1(VALU_DEP_1)
	v_fma_f32 v4, -v13, v15, v4
	v_div_fmas_f32 v4, v4, v14, v15
	s_delay_alu instid0(VALU_DEP_1)
	v_div_fixup_f32 v4, v4, v8, |v9|
.LBB170_178:
	s_or_b32 exec_lo, exec_lo, s13
                                        ; implicit-def: $vgpr9
	s_and_saveexec_b32 s2, s1
	s_delay_alu instid0(SALU_CYCLE_1)
	s_xor_b32 s1, exec_lo, s2
	s_cbranch_execz .LBB170_180
; %bb.179:
	v_dual_mul_f32 v8, 0.5, v4 :: v_dual_mul_f32 v9, 0.5, v5
	s_delay_alu instid0(VALU_DEP_1) | instskip(NEXT) | instid1(VALU_DEP_2)
	v_cndmask_b32_e64 v8, v4, v8, s12
	v_cndmask_b32_e64 v9, v5, v9, s12
                                        ; implicit-def: $vgpr4
                                        ; implicit-def: $vgpr5
	s_and_not1_saveexec_b32 s1, s1
	s_cbranch_execnz .LBB170_181
	s_branch .LBB170_182
.LBB170_180:
	s_and_not1_saveexec_b32 s1, s1
.LBB170_181:
	v_dual_add_f32 v8, v4, v4 :: v_dual_add_f32 v9, v5, v5
.LBB170_182:
	s_or_b32 exec_lo, exec_lo, s1
.LBB170_183:
	s_and_not1_saveexec_b32 s1, s11
	s_cbranch_execz .LBB170_189
; %bb.184:
	s_delay_alu instid0(VALU_DEP_1)
	v_sub_f32_e32 v4, v9, v9
	s_mov_b32 s2, exec_lo
	v_cmpx_lt_i32_e32 -1, v8
	s_xor_b32 s2, exec_lo, s2
; %bb.185:
	s_delay_alu instid0(VALU_DEP_2)
	v_bfi_b32 v9, 0x7fffffff, v4, v9
                                        ; implicit-def: $vgpr4
; %bb.186:
	s_and_not1_saveexec_b32 s2, s2
; %bb.187:
	v_and_b32_e32 v4, 0x7fffffff, v4
	s_delay_alu instid0(VALU_DEP_2) | instskip(NEXT) | instid1(VALU_DEP_2)
	v_bfi_b32 v9, 0x7fffffff, v8, v9
	v_mov_b32_e32 v8, v4
; %bb.188:
	s_or_b32 exec_lo, exec_lo, s2
.LBB170_189:
	s_delay_alu instid0(SALU_CYCLE_1)
	s_or_b32 exec_lo, exec_lo, s1
.LBB170_190:
	s_and_not1_saveexec_b32 s1, s9
; %bb.191:
	v_sub_f32_e32 v4, v9, v9
	s_delay_alu instid0(VALU_DEP_1) | instskip(NEXT) | instid1(VALU_DEP_1)
	v_div_scale_f32 v5, vcc_lo, v4, v4, v4
	v_rcp_f32_e32 v9, v5
	s_waitcnt_depctr 0xfff
	v_fma_f32 v13, -v5, v9, 1.0
	s_delay_alu instid0(VALU_DEP_1) | instskip(NEXT) | instid1(VALU_DEP_1)
	v_fmac_f32_e32 v9, v13, v9
	v_mul_f32_e32 v13, v5, v9
	s_delay_alu instid0(VALU_DEP_1) | instskip(NEXT) | instid1(VALU_DEP_1)
	v_fma_f32 v14, -v5, v13, v5
	v_fmac_f32_e32 v13, v14, v9
	s_delay_alu instid0(VALU_DEP_1) | instskip(NEXT) | instid1(VALU_DEP_1)
	v_fma_f32 v5, -v5, v13, v5
	v_div_fmas_f32 v5, v5, v9, v13
	s_delay_alu instid0(VALU_DEP_1)
	v_div_fixup_f32 v9, v5, v4, v4
; %bb.192:
	s_or_b32 exec_lo, exec_lo, s1
	v_mov_b32_e32 v13, v8
.LBB170_193:
	s_or_b32 exec_lo, exec_lo, s7
.LBB170_194:
	s_delay_alu instid0(SALU_CYCLE_1) | instskip(NEXT) | instid1(VALU_DEP_1)
	s_or_b32 exec_lo, exec_lo, s6
	v_cmp_gt_f32_e32 vcc_lo, 0, v13
                                        ; implicit-def: $vgpr4
	s_mov_b32 s1, exec_lo
	v_cndmask_b32_e64 v8, v13, -v13, vcc_lo
	v_cmp_gt_f32_e32 vcc_lo, 0, v9
	v_cndmask_b32_e64 v14, v9, -v9, vcc_lo
	s_delay_alu instid0(VALU_DEP_1)
	v_cmpx_ge_f32_e32 v8, v14
	s_xor_b32 s2, exec_lo, s1
	s_cbranch_execz .LBB170_200
; %bb.195:
	v_cmp_neq_f32_e32 vcc_lo, 0, v13
	v_cmp_neq_f32_e64 s1, 0, v9
                                        ; implicit-def: $vgpr4
	s_delay_alu instid0(VALU_DEP_1) | instskip(NEXT) | instid1(SALU_CYCLE_1)
	s_or_b32 s1, vcc_lo, s1
	s_and_saveexec_b32 s6, s1
	s_delay_alu instid0(SALU_CYCLE_1)
	s_xor_b32 s1, exec_lo, s6
	s_cbranch_execz .LBB170_197
; %bb.196:
	v_div_scale_f32 v4, null, v13, v13, v9
	v_div_scale_f32 v14, vcc_lo, v9, v13, v9
	s_delay_alu instid0(VALU_DEP_2) | instskip(SKIP_2) | instid1(VALU_DEP_1)
	v_rcp_f32_e32 v5, v4
	s_waitcnt_depctr 0xfff
	v_fma_f32 v8, -v4, v5, 1.0
	v_fmac_f32_e32 v5, v8, v5
	s_delay_alu instid0(VALU_DEP_1) | instskip(NEXT) | instid1(VALU_DEP_1)
	v_mul_f32_e32 v8, v14, v5
	v_fma_f32 v15, -v4, v8, v14
	s_delay_alu instid0(VALU_DEP_1) | instskip(NEXT) | instid1(VALU_DEP_1)
	v_fmac_f32_e32 v8, v15, v5
	v_fma_f32 v4, -v4, v8, v14
	s_delay_alu instid0(VALU_DEP_1) | instskip(NEXT) | instid1(VALU_DEP_1)
	v_div_fmas_f32 v4, v4, v5, v8
	v_div_fixup_f32 v5, v4, v13, v9
	s_delay_alu instid0(VALU_DEP_1) | instskip(NEXT) | instid1(VALU_DEP_1)
	v_fmac_f32_e32 v13, v9, v5
	v_div_scale_f32 v4, null, v13, v13, 1.0
	v_div_scale_f32 v14, vcc_lo, 1.0, v13, 1.0
	s_delay_alu instid0(VALU_DEP_2) | instskip(SKIP_2) | instid1(VALU_DEP_1)
	v_rcp_f32_e32 v8, v4
	s_waitcnt_depctr 0xfff
	v_fma_f32 v9, -v4, v8, 1.0
	v_fmac_f32_e32 v8, v9, v8
	s_delay_alu instid0(VALU_DEP_1) | instskip(NEXT) | instid1(VALU_DEP_1)
	v_mul_f32_e32 v9, v14, v8
	v_fma_f32 v15, -v4, v9, v14
	s_delay_alu instid0(VALU_DEP_1) | instskip(NEXT) | instid1(VALU_DEP_1)
	v_fmac_f32_e32 v9, v15, v8
	v_fma_f32 v4, -v4, v9, v14
                                        ; implicit-def: $vgpr14
	s_delay_alu instid0(VALU_DEP_1) | instskip(SKIP_1) | instid1(VALU_DEP_2)
	v_div_fmas_f32 v4, v4, v8, v9
	v_fma_f32 v8, v5, 0, 1.0
	v_div_fixup_f32 v9, v4, v13, 1.0
	s_delay_alu instid0(VALU_DEP_1)
	v_mul_f32_e32 v4, v8, v9
	v_mul_f32_e64 v5, -v5, v9
                                        ; implicit-def: $vgpr8
.LBB170_197:
	s_and_not1_saveexec_b32 s6, s1
	s_cbranch_execz .LBB170_199
; %bb.198:
	v_div_scale_f32 v4, null, v8, v8, 1.0
	v_div_scale_f32 v5, null, v14, v14, 0
	v_div_scale_f32 v17, vcc_lo, 1.0, v8, 1.0
	s_delay_alu instid0(VALU_DEP_3) | instskip(NEXT) | instid1(VALU_DEP_2)
	v_rcp_f32_e32 v9, v4
	v_rcp_f32_e32 v13, v5
	s_waitcnt_depctr 0xfff
	v_fma_f32 v15, -v4, v9, 1.0
	v_fma_f32 v16, -v5, v13, 1.0
	s_delay_alu instid0(VALU_DEP_2) | instskip(SKIP_1) | instid1(VALU_DEP_3)
	v_fmac_f32_e32 v9, v15, v9
	v_div_scale_f32 v15, s1, 0, v14, 0
	v_fmac_f32_e32 v13, v16, v13
	s_delay_alu instid0(VALU_DEP_3) | instskip(NEXT) | instid1(VALU_DEP_2)
	v_mul_f32_e32 v16, v17, v9
	v_mul_f32_e32 v18, v15, v13
	s_delay_alu instid0(VALU_DEP_2) | instskip(NEXT) | instid1(VALU_DEP_2)
	v_fma_f32 v19, -v4, v16, v17
	v_fma_f32 v20, -v5, v18, v15
	s_delay_alu instid0(VALU_DEP_2) | instskip(NEXT) | instid1(VALU_DEP_2)
	v_fmac_f32_e32 v16, v19, v9
	v_fmac_f32_e32 v18, v20, v13
	s_delay_alu instid0(VALU_DEP_2) | instskip(NEXT) | instid1(VALU_DEP_2)
	v_fma_f32 v4, -v4, v16, v17
	v_fma_f32 v5, -v5, v18, v15
	s_delay_alu instid0(VALU_DEP_2) | instskip(SKIP_1) | instid1(VALU_DEP_2)
	v_div_fmas_f32 v4, v4, v9, v16
	s_mov_b32 vcc_lo, s1
	v_div_fmas_f32 v5, v5, v13, v18
	s_delay_alu instid0(VALU_DEP_2) | instskip(NEXT) | instid1(VALU_DEP_2)
	v_div_fixup_f32 v4, v4, v8, 1.0
	v_div_fixup_f32 v5, v5, v14, 0
.LBB170_199:
	s_or_b32 exec_lo, exec_lo, s6
                                        ; implicit-def: $vgpr9
                                        ; implicit-def: $vgpr13
.LBB170_200:
	s_and_not1_saveexec_b32 s1, s2
	s_cbranch_execz .LBB170_202
; %bb.201:
	v_div_scale_f32 v4, null, v9, v9, v13
	v_div_scale_f32 v14, vcc_lo, v13, v9, v13
	s_delay_alu instid0(VALU_DEP_2) | instskip(SKIP_2) | instid1(VALU_DEP_1)
	v_rcp_f32_e32 v5, v4
	s_waitcnt_depctr 0xfff
	v_fma_f32 v8, -v4, v5, 1.0
	v_fmac_f32_e32 v5, v8, v5
	s_delay_alu instid0(VALU_DEP_1) | instskip(NEXT) | instid1(VALU_DEP_1)
	v_mul_f32_e32 v8, v14, v5
	v_fma_f32 v15, -v4, v8, v14
	s_delay_alu instid0(VALU_DEP_1) | instskip(NEXT) | instid1(VALU_DEP_1)
	v_fmac_f32_e32 v8, v15, v5
	v_fma_f32 v4, -v4, v8, v14
	s_delay_alu instid0(VALU_DEP_1) | instskip(NEXT) | instid1(VALU_DEP_1)
	v_div_fmas_f32 v4, v4, v5, v8
	v_div_fixup_f32 v4, v4, v9, v13
	s_delay_alu instid0(VALU_DEP_1) | instskip(NEXT) | instid1(VALU_DEP_1)
	v_fmac_f32_e32 v9, v13, v4
	v_div_scale_f32 v5, null, v9, v9, 1.0
	v_div_scale_f32 v14, vcc_lo, 1.0, v9, 1.0
	s_delay_alu instid0(VALU_DEP_2) | instskip(SKIP_2) | instid1(VALU_DEP_1)
	v_rcp_f32_e32 v8, v5
	s_waitcnt_depctr 0xfff
	v_fma_f32 v13, -v5, v8, 1.0
	v_fmac_f32_e32 v8, v13, v8
	s_delay_alu instid0(VALU_DEP_1) | instskip(NEXT) | instid1(VALU_DEP_1)
	v_mul_f32_e32 v13, v14, v8
	v_fma_f32 v15, -v5, v13, v14
	s_delay_alu instid0(VALU_DEP_1) | instskip(NEXT) | instid1(VALU_DEP_1)
	v_fmac_f32_e32 v13, v15, v8
	v_fma_f32 v5, -v5, v13, v14
	s_delay_alu instid0(VALU_DEP_1) | instskip(NEXT) | instid1(VALU_DEP_1)
	v_div_fmas_f32 v5, v5, v8, v13
	v_div_fixup_f32 v5, v5, v9, 1.0
	v_fma_f32 v9, v4, 0, -1.0
	v_add_f32_e32 v8, 0, v4
	s_delay_alu instid0(VALU_DEP_1) | instskip(NEXT) | instid1(VALU_DEP_3)
	v_mul_f32_e32 v4, v8, v5
	v_mul_f32_e32 v5, v9, v5
.LBB170_202:
	s_or_b32 exec_lo, exec_lo, s1
.LBB170_203:
	s_delay_alu instid0(SALU_CYCLE_1)
	s_or_b32 exec_lo, exec_lo, s3
	s_waitcnt vmcnt(0)
	v_dual_mov_b32 v8, 0 :: v_dual_mov_b32 v9, 0
	s_mov_b32 s3, exec_lo
	v_cmpx_gt_i32_e64 s10, v12
	s_cbranch_execz .LBB170_243
; %bb.204:
	v_cmp_neq_f32_e32 vcc_lo, 0, v10
	v_cmp_neq_f32_e64 s1, 0, v11
	v_mov_b32_e32 v13, 0
	s_delay_alu instid0(VALU_DEP_2) | instskip(NEXT) | instid1(SALU_CYCLE_1)
	s_or_b32 s1, vcc_lo, s1
	s_and_saveexec_b32 s6, s1
	s_cbranch_execz .LBB170_234
; %bb.205:
	v_mov_b32_e32 v13, 0x7f800000
	s_mov_b32 s7, exec_lo
	v_cmpx_neq_f32_e64 0x7f800000, |v11|
	s_cbranch_execz .LBB170_233
; %bb.206:
	s_mov_b32 s1, exec_lo
	v_cmpx_o_f32_e32 v10, v10
	s_xor_b32 s9, exec_lo, s1
	s_cbranch_execz .LBB170_230
; %bb.207:
	s_mov_b32 s2, exec_lo
	v_cmpx_neq_f32_e64 0x7f800000, |v10|
	s_xor_b32 s11, exec_lo, s2
	s_cbranch_execz .LBB170_223
; %bb.208:
	v_max_f32_e64 v8, |v10|, |v10|
	v_max_f32_e64 v9, |v11|, |v11|
                                        ; implicit-def: $sgpr12
	s_delay_alu instid0(VALU_DEP_1) | instskip(NEXT) | instid1(VALU_DEP_1)
	v_max_f32_e32 v8, v9, v8
	v_cmp_nle_f32_e64 s1, 0x7ed413cb, v8
	s_delay_alu instid0(VALU_DEP_1) | instskip(NEXT) | instid1(SALU_CYCLE_1)
	s_and_saveexec_b32 s2, s1
	s_xor_b32 s2, exec_lo, s2
	s_cbranch_execz .LBB170_212
; %bb.209:
	v_cmp_ge_f32_e64 s12, 0x1000000, |v10|
	v_cmp_ge_f32_e64 s13, 0x1000000, |v11|
	s_delay_alu instid0(VALU_DEP_1)
	s_and_b32 s14, s13, s12
	s_mov_b32 s12, 0
	s_and_saveexec_b32 s13, s14
; %bb.210:
	v_dual_mul_f32 v10, 4.0, v10 :: v_dual_mul_f32 v11, 4.0, v11
	s_mov_b32 s12, exec_lo
; %bb.211:
	s_or_b32 exec_lo, exec_lo, s13
	s_delay_alu instid0(SALU_CYCLE_1)
	s_and_b32 s12, s12, exec_lo
.LBB170_212:
	s_and_not1_saveexec_b32 s2, s2
; %bb.213:
	v_dual_mul_f32 v10, 0x3e800000, v10 :: v_dual_mul_f32 v11, 0x3e800000, v11
	s_and_not1_b32 s12, s12, exec_lo
; %bb.214:
	s_or_b32 exec_lo, exec_lo, s2
	s_delay_alu instid0(VALU_DEP_1) | instskip(NEXT) | instid1(VALU_DEP_2)
	v_max_f32_e64 v8, |v11|, |v11|
	v_max_f32_e64 v9, |v10|, |v10|
	s_delay_alu instid0(VALU_DEP_1) | instskip(NEXT) | instid1(VALU_DEP_1)
	v_max_f32_e32 v13, v9, v8
	v_cvt_f64_f32_e32 v[8:9], v13
	s_delay_alu instid0(VALU_DEP_1) | instskip(NEXT) | instid1(VALU_DEP_1)
	v_frexp_exp_i32_f64_e32 v8, v[8:9]
	v_sub_nc_u32_e32 v9, 0, v8
	s_delay_alu instid0(VALU_DEP_1) | instskip(SKIP_1) | instid1(VALU_DEP_2)
	v_ldexp_f32 v14, |v11|, v9
	v_ldexp_f32 v9, |v10|, v9
	v_mul_f32_e32 v14, v14, v14
	v_cmp_neq_f32_e64 s2, 0x7f800000, v13
	s_delay_alu instid0(VALU_DEP_2) | instskip(NEXT) | instid1(VALU_DEP_1)
	v_fmac_f32_e32 v14, v9, v9
	v_sqrt_f32_e32 v9, v14
	s_waitcnt_depctr 0xfff
	v_ldexp_f32 v8, v9, v8
                                        ; implicit-def: $vgpr9
	s_delay_alu instid0(VALU_DEP_1)
	v_cndmask_b32_e64 v13, 0x7f800000, v8, s2
                                        ; implicit-def: $vgpr8
	s_mov_b32 s2, exec_lo
	v_cmpx_le_f32_e32 0, v10
	s_xor_b32 s13, exec_lo, s2
	s_cbranch_execz .LBB170_216
; %bb.215:
	v_add_f32_e32 v8, v10, v13
	s_delay_alu instid0(VALU_DEP_1) | instskip(NEXT) | instid1(VALU_DEP_1)
	v_mul_f32_e32 v8, 0.5, v8
	v_mul_f32_e32 v9, 0x4f800000, v8
	v_cmp_gt_f32_e32 vcc_lo, 0xf800000, v8
	s_delay_alu instid0(VALU_DEP_2) | instskip(NEXT) | instid1(VALU_DEP_1)
	v_cndmask_b32_e32 v8, v8, v9, vcc_lo
	v_sqrt_f32_e32 v9, v8
	s_waitcnt_depctr 0xfff
	v_add_nc_u32_e32 v13, 1, v9
	v_add_nc_u32_e32 v10, -1, v9
	s_delay_alu instid0(VALU_DEP_2) | instskip(NEXT) | instid1(VALU_DEP_2)
	v_fma_f32 v15, -v13, v9, v8
	v_fma_f32 v14, -v10, v9, v8
	s_delay_alu instid0(VALU_DEP_1) | instskip(NEXT) | instid1(VALU_DEP_1)
	v_cmp_ge_f32_e64 s2, 0, v14
	v_cndmask_b32_e64 v9, v9, v10, s2
	s_delay_alu instid0(VALU_DEP_4) | instskip(NEXT) | instid1(VALU_DEP_1)
	v_cmp_lt_f32_e64 s2, 0, v15
	v_cndmask_b32_e64 v9, v9, v13, s2
	s_delay_alu instid0(VALU_DEP_1) | instskip(NEXT) | instid1(VALU_DEP_1)
	v_mul_f32_e32 v10, 0x37800000, v9
	v_cndmask_b32_e32 v9, v9, v10, vcc_lo
	v_cmp_class_f32_e64 vcc_lo, v8, 0x260
	s_delay_alu instid0(VALU_DEP_2) | instskip(NEXT) | instid1(VALU_DEP_1)
	v_cndmask_b32_e32 v8, v9, v8, vcc_lo
	v_add_f32_e32 v9, v8, v8
	s_delay_alu instid0(VALU_DEP_1) | instskip(NEXT) | instid1(VALU_DEP_1)
	v_div_scale_f32 v10, null, v9, v9, v11
	v_rcp_f32_e32 v13, v10
	s_waitcnt_depctr 0xfff
	v_fma_f32 v14, -v10, v13, 1.0
	s_delay_alu instid0(VALU_DEP_1) | instskip(SKIP_1) | instid1(VALU_DEP_1)
	v_fmac_f32_e32 v13, v14, v13
	v_div_scale_f32 v14, vcc_lo, v11, v9, v11
	v_mul_f32_e32 v15, v14, v13
	s_delay_alu instid0(VALU_DEP_1) | instskip(NEXT) | instid1(VALU_DEP_1)
	v_fma_f32 v16, -v10, v15, v14
	v_fmac_f32_e32 v15, v16, v13
	s_delay_alu instid0(VALU_DEP_1) | instskip(NEXT) | instid1(VALU_DEP_1)
	v_fma_f32 v10, -v10, v15, v14
	v_div_fmas_f32 v10, v10, v13, v15
                                        ; implicit-def: $vgpr13
	s_delay_alu instid0(VALU_DEP_1)
	v_div_fixup_f32 v9, v10, v9, v11
                                        ; implicit-def: $vgpr10
	s_and_not1_saveexec_b32 s13, s13
	s_cbranch_execz .LBB170_218
	s_branch .LBB170_217
.LBB170_216:
	s_and_not1_saveexec_b32 s13, s13
	s_cbranch_execz .LBB170_218
.LBB170_217:
	v_sub_f32_e32 v8, v13, v10
	s_delay_alu instid0(VALU_DEP_1) | instskip(NEXT) | instid1(VALU_DEP_1)
	v_mul_f32_e32 v8, 0.5, v8
	v_mul_f32_e32 v9, 0x4f800000, v8
	v_cmp_gt_f32_e32 vcc_lo, 0xf800000, v8
	s_delay_alu instid0(VALU_DEP_2) | instskip(NEXT) | instid1(VALU_DEP_1)
	v_cndmask_b32_e32 v8, v8, v9, vcc_lo
	v_sqrt_f32_e32 v9, v8
	s_waitcnt_depctr 0xfff
	v_add_nc_u32_e32 v10, -1, v9
	v_add_nc_u32_e32 v13, 1, v9
	s_delay_alu instid0(VALU_DEP_2) | instskip(NEXT) | instid1(VALU_DEP_2)
	v_fma_f32 v14, -v10, v9, v8
	v_fma_f32 v15, -v13, v9, v8
	s_delay_alu instid0(VALU_DEP_2) | instskip(NEXT) | instid1(VALU_DEP_1)
	v_cmp_ge_f32_e64 s2, 0, v14
	v_cndmask_b32_e64 v9, v9, v10, s2
	s_delay_alu instid0(VALU_DEP_3) | instskip(NEXT) | instid1(VALU_DEP_1)
	v_cmp_lt_f32_e64 s2, 0, v15
	v_cndmask_b32_e64 v9, v9, v13, s2
	s_delay_alu instid0(VALU_DEP_1) | instskip(NEXT) | instid1(VALU_DEP_1)
	v_mul_f32_e32 v10, 0x37800000, v9
	v_cndmask_b32_e32 v9, v9, v10, vcc_lo
	v_cmp_class_f32_e64 vcc_lo, v8, 0x260
	s_delay_alu instid0(VALU_DEP_2) | instskip(NEXT) | instid1(VALU_DEP_1)
	v_dual_cndmask_b32 v9, v9, v8 :: v_dual_and_b32 v8, 0x7fffffff, v11
	v_add_f32_e32 v10, v9, v9
	v_bfi_b32 v9, 0x7fffffff, v9, v11
	s_delay_alu instid0(VALU_DEP_2) | instskip(SKIP_1) | instid1(VALU_DEP_2)
	v_div_scale_f32 v13, null, v10, v10, v8
	v_div_scale_f32 v8, vcc_lo, v8, v10, v8
	v_rcp_f32_e32 v14, v13
	s_waitcnt_depctr 0xfff
	v_fma_f32 v15, -v13, v14, 1.0
	s_delay_alu instid0(VALU_DEP_1) | instskip(NEXT) | instid1(VALU_DEP_1)
	v_fmac_f32_e32 v14, v15, v14
	v_mul_f32_e32 v15, v8, v14
	s_delay_alu instid0(VALU_DEP_1) | instskip(NEXT) | instid1(VALU_DEP_1)
	v_fma_f32 v16, -v13, v15, v8
	v_fmac_f32_e32 v15, v16, v14
	s_delay_alu instid0(VALU_DEP_1) | instskip(NEXT) | instid1(VALU_DEP_1)
	v_fma_f32 v8, -v13, v15, v8
	v_div_fmas_f32 v8, v8, v14, v15
	s_delay_alu instid0(VALU_DEP_1)
	v_div_fixup_f32 v8, v8, v10, |v11|
.LBB170_218:
	s_or_b32 exec_lo, exec_lo, s13
                                        ; implicit-def: $vgpr11
	s_and_saveexec_b32 s2, s1
	s_delay_alu instid0(SALU_CYCLE_1)
	s_xor_b32 s1, exec_lo, s2
	s_cbranch_execz .LBB170_220
; %bb.219:
	v_dual_mul_f32 v10, 0.5, v8 :: v_dual_mul_f32 v11, 0.5, v9
	s_delay_alu instid0(VALU_DEP_1) | instskip(NEXT) | instid1(VALU_DEP_2)
	v_cndmask_b32_e64 v10, v8, v10, s12
	v_cndmask_b32_e64 v11, v9, v11, s12
                                        ; implicit-def: $vgpr8
                                        ; implicit-def: $vgpr9
	s_and_not1_saveexec_b32 s1, s1
	s_cbranch_execnz .LBB170_221
	s_branch .LBB170_222
.LBB170_220:
	s_and_not1_saveexec_b32 s1, s1
.LBB170_221:
	v_dual_add_f32 v10, v8, v8 :: v_dual_add_f32 v11, v9, v9
.LBB170_222:
	s_or_b32 exec_lo, exec_lo, s1
.LBB170_223:
	s_and_not1_saveexec_b32 s1, s11
	s_cbranch_execz .LBB170_229
; %bb.224:
	s_delay_alu instid0(VALU_DEP_1)
	v_sub_f32_e32 v8, v11, v11
	s_mov_b32 s2, exec_lo
	v_cmpx_lt_i32_e32 -1, v10
	s_xor_b32 s2, exec_lo, s2
; %bb.225:
	s_delay_alu instid0(VALU_DEP_2)
	v_bfi_b32 v11, 0x7fffffff, v8, v11
                                        ; implicit-def: $vgpr8
; %bb.226:
	s_and_not1_saveexec_b32 s2, s2
; %bb.227:
	v_and_b32_e32 v8, 0x7fffffff, v8
	s_delay_alu instid0(VALU_DEP_2) | instskip(NEXT) | instid1(VALU_DEP_2)
	v_bfi_b32 v11, 0x7fffffff, v10, v11
	v_mov_b32_e32 v10, v8
; %bb.228:
	s_or_b32 exec_lo, exec_lo, s2
.LBB170_229:
	s_delay_alu instid0(SALU_CYCLE_1)
	s_or_b32 exec_lo, exec_lo, s1
.LBB170_230:
	s_and_not1_saveexec_b32 s1, s9
; %bb.231:
	v_sub_f32_e32 v8, v11, v11
	s_delay_alu instid0(VALU_DEP_1) | instskip(NEXT) | instid1(VALU_DEP_1)
	v_div_scale_f32 v9, vcc_lo, v8, v8, v8
	v_rcp_f32_e32 v11, v9
	s_waitcnt_depctr 0xfff
	v_fma_f32 v13, -v9, v11, 1.0
	s_delay_alu instid0(VALU_DEP_1) | instskip(NEXT) | instid1(VALU_DEP_1)
	v_fmac_f32_e32 v11, v13, v11
	v_mul_f32_e32 v13, v9, v11
	s_delay_alu instid0(VALU_DEP_1) | instskip(NEXT) | instid1(VALU_DEP_1)
	v_fma_f32 v14, -v9, v13, v9
	v_fmac_f32_e32 v13, v14, v11
	s_delay_alu instid0(VALU_DEP_1) | instskip(NEXT) | instid1(VALU_DEP_1)
	v_fma_f32 v9, -v9, v13, v9
	v_div_fmas_f32 v9, v9, v11, v13
	s_delay_alu instid0(VALU_DEP_1)
	v_div_fixup_f32 v11, v9, v8, v8
; %bb.232:
	s_or_b32 exec_lo, exec_lo, s1
	v_mov_b32_e32 v13, v10
.LBB170_233:
	s_or_b32 exec_lo, exec_lo, s7
.LBB170_234:
	s_delay_alu instid0(SALU_CYCLE_1) | instskip(NEXT) | instid1(VALU_DEP_1)
	s_or_b32 exec_lo, exec_lo, s6
	v_cmp_gt_f32_e32 vcc_lo, 0, v13
                                        ; implicit-def: $vgpr8
	s_mov_b32 s1, exec_lo
	v_cndmask_b32_e64 v10, v13, -v13, vcc_lo
	v_cmp_gt_f32_e32 vcc_lo, 0, v11
	v_cndmask_b32_e64 v14, v11, -v11, vcc_lo
	s_delay_alu instid0(VALU_DEP_1)
	v_cmpx_ge_f32_e32 v10, v14
	s_xor_b32 s2, exec_lo, s1
	s_cbranch_execz .LBB170_240
; %bb.235:
	v_cmp_neq_f32_e32 vcc_lo, 0, v13
	v_cmp_neq_f32_e64 s1, 0, v11
                                        ; implicit-def: $vgpr8
	s_delay_alu instid0(VALU_DEP_1) | instskip(NEXT) | instid1(SALU_CYCLE_1)
	s_or_b32 s1, vcc_lo, s1
	s_and_saveexec_b32 s6, s1
	s_delay_alu instid0(SALU_CYCLE_1)
	s_xor_b32 s1, exec_lo, s6
	s_cbranch_execz .LBB170_237
; %bb.236:
	v_div_scale_f32 v8, null, v13, v13, v11
	v_div_scale_f32 v14, vcc_lo, v11, v13, v11
	s_delay_alu instid0(VALU_DEP_2) | instskip(SKIP_2) | instid1(VALU_DEP_1)
	v_rcp_f32_e32 v9, v8
	s_waitcnt_depctr 0xfff
	v_fma_f32 v10, -v8, v9, 1.0
	v_fmac_f32_e32 v9, v10, v9
	s_delay_alu instid0(VALU_DEP_1) | instskip(NEXT) | instid1(VALU_DEP_1)
	v_mul_f32_e32 v10, v14, v9
	v_fma_f32 v15, -v8, v10, v14
	s_delay_alu instid0(VALU_DEP_1) | instskip(NEXT) | instid1(VALU_DEP_1)
	v_fmac_f32_e32 v10, v15, v9
	v_fma_f32 v8, -v8, v10, v14
	s_delay_alu instid0(VALU_DEP_1) | instskip(NEXT) | instid1(VALU_DEP_1)
	v_div_fmas_f32 v8, v8, v9, v10
	v_div_fixup_f32 v9, v8, v13, v11
	s_delay_alu instid0(VALU_DEP_1) | instskip(NEXT) | instid1(VALU_DEP_1)
	v_fmac_f32_e32 v13, v11, v9
	v_div_scale_f32 v8, null, v13, v13, 1.0
	v_div_scale_f32 v14, vcc_lo, 1.0, v13, 1.0
	s_delay_alu instid0(VALU_DEP_2) | instskip(SKIP_2) | instid1(VALU_DEP_1)
	v_rcp_f32_e32 v10, v8
	s_waitcnt_depctr 0xfff
	v_fma_f32 v11, -v8, v10, 1.0
	v_fmac_f32_e32 v10, v11, v10
	s_delay_alu instid0(VALU_DEP_1) | instskip(NEXT) | instid1(VALU_DEP_1)
	v_mul_f32_e32 v11, v14, v10
	v_fma_f32 v15, -v8, v11, v14
	s_delay_alu instid0(VALU_DEP_1) | instskip(NEXT) | instid1(VALU_DEP_1)
	v_fmac_f32_e32 v11, v15, v10
	v_fma_f32 v8, -v8, v11, v14
                                        ; implicit-def: $vgpr14
	s_delay_alu instid0(VALU_DEP_1) | instskip(SKIP_1) | instid1(VALU_DEP_2)
	v_div_fmas_f32 v8, v8, v10, v11
	v_fma_f32 v10, v9, 0, 1.0
	v_div_fixup_f32 v11, v8, v13, 1.0
	s_delay_alu instid0(VALU_DEP_1)
	v_mul_f32_e32 v8, v10, v11
	v_mul_f32_e64 v9, -v9, v11
                                        ; implicit-def: $vgpr10
.LBB170_237:
	s_and_not1_saveexec_b32 s6, s1
	s_cbranch_execz .LBB170_239
; %bb.238:
	v_div_scale_f32 v8, null, v10, v10, 1.0
	v_div_scale_f32 v9, null, v14, v14, 0
	v_div_scale_f32 v17, vcc_lo, 1.0, v10, 1.0
	s_delay_alu instid0(VALU_DEP_3) | instskip(NEXT) | instid1(VALU_DEP_2)
	v_rcp_f32_e32 v11, v8
	v_rcp_f32_e32 v13, v9
	s_waitcnt_depctr 0xfff
	v_fma_f32 v15, -v8, v11, 1.0
	v_fma_f32 v16, -v9, v13, 1.0
	s_delay_alu instid0(VALU_DEP_1) | instskip(NEXT) | instid1(VALU_DEP_3)
	v_fmac_f32_e32 v13, v16, v13
	v_fmac_f32_e32 v11, v15, v11
	v_div_scale_f32 v15, s1, 0, v14, 0
	s_delay_alu instid0(VALU_DEP_1) | instskip(NEXT) | instid1(VALU_DEP_1)
	v_mul_f32_e32 v18, v15, v13
	v_fma_f32 v20, -v9, v18, v15
	s_delay_alu instid0(VALU_DEP_1) | instskip(SKIP_1) | instid1(VALU_DEP_2)
	v_fmac_f32_e32 v18, v20, v13
	v_mul_f32_e32 v16, v17, v11
	v_fma_f32 v9, -v9, v18, v15
	s_delay_alu instid0(VALU_DEP_2) | instskip(NEXT) | instid1(VALU_DEP_1)
	v_fma_f32 v19, -v8, v16, v17
	v_fmac_f32_e32 v16, v19, v11
	s_delay_alu instid0(VALU_DEP_1) | instskip(NEXT) | instid1(VALU_DEP_1)
	v_fma_f32 v8, -v8, v16, v17
	v_div_fmas_f32 v8, v8, v11, v16
	s_mov_b32 vcc_lo, s1
	v_div_fmas_f32 v9, v9, v13, v18
	s_delay_alu instid0(VALU_DEP_2) | instskip(NEXT) | instid1(VALU_DEP_2)
	v_div_fixup_f32 v8, v8, v10, 1.0
	v_div_fixup_f32 v9, v9, v14, 0
.LBB170_239:
	s_or_b32 exec_lo, exec_lo, s6
                                        ; implicit-def: $vgpr11
                                        ; implicit-def: $vgpr13
.LBB170_240:
	s_and_not1_saveexec_b32 s1, s2
	s_cbranch_execz .LBB170_242
; %bb.241:
	v_div_scale_f32 v8, null, v11, v11, v13
	v_div_scale_f32 v14, vcc_lo, v13, v11, v13
	s_delay_alu instid0(VALU_DEP_2) | instskip(SKIP_2) | instid1(VALU_DEP_1)
	v_rcp_f32_e32 v9, v8
	s_waitcnt_depctr 0xfff
	v_fma_f32 v10, -v8, v9, 1.0
	v_fmac_f32_e32 v9, v10, v9
	s_delay_alu instid0(VALU_DEP_1) | instskip(NEXT) | instid1(VALU_DEP_1)
	v_mul_f32_e32 v10, v14, v9
	v_fma_f32 v15, -v8, v10, v14
	s_delay_alu instid0(VALU_DEP_1) | instskip(NEXT) | instid1(VALU_DEP_1)
	v_fmac_f32_e32 v10, v15, v9
	v_fma_f32 v8, -v8, v10, v14
	s_delay_alu instid0(VALU_DEP_1) | instskip(NEXT) | instid1(VALU_DEP_1)
	v_div_fmas_f32 v8, v8, v9, v10
	v_div_fixup_f32 v8, v8, v11, v13
	s_delay_alu instid0(VALU_DEP_1) | instskip(NEXT) | instid1(VALU_DEP_1)
	v_fmac_f32_e32 v11, v13, v8
	v_div_scale_f32 v9, null, v11, v11, 1.0
	v_div_scale_f32 v14, vcc_lo, 1.0, v11, 1.0
	s_delay_alu instid0(VALU_DEP_2) | instskip(SKIP_2) | instid1(VALU_DEP_1)
	v_rcp_f32_e32 v10, v9
	s_waitcnt_depctr 0xfff
	v_fma_f32 v13, -v9, v10, 1.0
	v_fmac_f32_e32 v10, v13, v10
	s_delay_alu instid0(VALU_DEP_1) | instskip(NEXT) | instid1(VALU_DEP_1)
	v_mul_f32_e32 v13, v14, v10
	v_fma_f32 v15, -v9, v13, v14
	s_delay_alu instid0(VALU_DEP_1) | instskip(NEXT) | instid1(VALU_DEP_1)
	v_fmac_f32_e32 v13, v15, v10
	v_fma_f32 v9, -v9, v13, v14
	s_delay_alu instid0(VALU_DEP_1) | instskip(SKIP_1) | instid1(VALU_DEP_2)
	v_div_fmas_f32 v9, v9, v10, v13
	v_add_f32_e32 v10, 0, v8
	v_div_fixup_f32 v9, v9, v11, 1.0
	v_fma_f32 v11, v8, 0, -1.0
	s_delay_alu instid0(VALU_DEP_2) | instskip(NEXT) | instid1(VALU_DEP_2)
	v_mul_f32_e32 v8, v10, v9
	v_mul_f32_e32 v9, v11, v9
.LBB170_242:
	s_or_b32 exec_lo, exec_lo, s1
.LBB170_243:
	s_delay_alu instid0(SALU_CYCLE_1) | instskip(SKIP_2) | instid1(VALU_DEP_2)
	s_or_b32 exec_lo, exec_lo, s3
	v_or_b32_e32 v11, 0x200, v0
	v_mov_b32_e32 v10, 0
	v_cmp_gt_i32_e32 vcc_lo, s10, v11
	v_mov_b32_e32 v11, 0
	s_and_saveexec_b32 s3, vcc_lo
	s_cbranch_execz .LBB170_283
; %bb.244:
	v_cmp_neq_f32_e32 vcc_lo, 0, v6
	v_cmp_neq_f32_e64 s1, 0, v7
	v_mov_b32_e32 v13, 0
	s_delay_alu instid0(VALU_DEP_2) | instskip(NEXT) | instid1(SALU_CYCLE_1)
	s_or_b32 s1, vcc_lo, s1
	s_and_saveexec_b32 s6, s1
	s_cbranch_execz .LBB170_274
; %bb.245:
	v_mov_b32_e32 v13, 0x7f800000
	s_mov_b32 s7, exec_lo
	v_cmpx_neq_f32_e64 0x7f800000, |v7|
	s_cbranch_execz .LBB170_273
; %bb.246:
	s_mov_b32 s1, exec_lo
	v_cmpx_o_f32_e32 v6, v6
	s_xor_b32 s9, exec_lo, s1
	s_cbranch_execz .LBB170_270
; %bb.247:
	s_mov_b32 s2, exec_lo
	v_cmpx_neq_f32_e64 0x7f800000, |v6|
	s_xor_b32 s11, exec_lo, s2
	s_cbranch_execz .LBB170_263
; %bb.248:
	v_max_f32_e64 v10, |v6|, |v6|
	v_max_f32_e64 v11, |v7|, |v7|
                                        ; implicit-def: $sgpr12
	s_delay_alu instid0(VALU_DEP_1) | instskip(NEXT) | instid1(VALU_DEP_1)
	v_max_f32_e32 v10, v11, v10
	v_cmp_nle_f32_e64 s1, 0x7ed413cb, v10
	s_delay_alu instid0(VALU_DEP_1) | instskip(NEXT) | instid1(SALU_CYCLE_1)
	s_and_saveexec_b32 s2, s1
	s_xor_b32 s2, exec_lo, s2
	s_cbranch_execz .LBB170_252
; %bb.249:
	v_cmp_ge_f32_e64 s12, 0x1000000, |v6|
	v_cmp_ge_f32_e64 s13, 0x1000000, |v7|
	s_delay_alu instid0(VALU_DEP_1)
	s_and_b32 s14, s13, s12
	s_mov_b32 s12, 0
	s_and_saveexec_b32 s13, s14
; %bb.250:
	v_dual_mul_f32 v6, 4.0, v6 :: v_dual_mul_f32 v7, 4.0, v7
	s_mov_b32 s12, exec_lo
; %bb.251:
	s_or_b32 exec_lo, exec_lo, s13
	s_delay_alu instid0(SALU_CYCLE_1)
	s_and_b32 s12, s12, exec_lo
.LBB170_252:
	s_and_not1_saveexec_b32 s2, s2
; %bb.253:
	v_dual_mul_f32 v6, 0x3e800000, v6 :: v_dual_mul_f32 v7, 0x3e800000, v7
	s_and_not1_b32 s12, s12, exec_lo
; %bb.254:
	s_or_b32 exec_lo, exec_lo, s2
	s_delay_alu instid0(VALU_DEP_1) | instskip(NEXT) | instid1(VALU_DEP_2)
	v_max_f32_e64 v10, |v7|, |v7|
	v_max_f32_e64 v11, |v6|, |v6|
	s_delay_alu instid0(VALU_DEP_1) | instskip(NEXT) | instid1(VALU_DEP_1)
	v_max_f32_e32 v13, v11, v10
	v_cvt_f64_f32_e32 v[10:11], v13
	v_cmp_neq_f32_e64 s2, 0x7f800000, v13
	s_delay_alu instid0(VALU_DEP_2) | instskip(NEXT) | instid1(VALU_DEP_1)
	v_frexp_exp_i32_f64_e32 v10, v[10:11]
	v_sub_nc_u32_e32 v11, 0, v10
	s_delay_alu instid0(VALU_DEP_1) | instskip(SKIP_1) | instid1(VALU_DEP_2)
	v_ldexp_f32 v14, |v7|, v11
	v_ldexp_f32 v11, |v6|, v11
	v_mul_f32_e32 v14, v14, v14
	s_delay_alu instid0(VALU_DEP_1) | instskip(NEXT) | instid1(VALU_DEP_1)
	v_fmac_f32_e32 v14, v11, v11
	v_sqrt_f32_e32 v11, v14
	s_waitcnt_depctr 0xfff
	v_ldexp_f32 v10, v11, v10
                                        ; implicit-def: $vgpr11
	s_delay_alu instid0(VALU_DEP_1)
	v_cndmask_b32_e64 v13, 0x7f800000, v10, s2
                                        ; implicit-def: $vgpr10
	s_mov_b32 s2, exec_lo
	v_cmpx_le_f32_e32 0, v6
	s_xor_b32 s13, exec_lo, s2
	s_cbranch_execz .LBB170_256
; %bb.255:
	v_add_f32_e32 v6, v6, v13
	s_delay_alu instid0(VALU_DEP_1) | instskip(NEXT) | instid1(VALU_DEP_1)
	v_mul_f32_e32 v6, 0.5, v6
	v_mul_f32_e32 v10, 0x4f800000, v6
	v_cmp_gt_f32_e32 vcc_lo, 0xf800000, v6
	s_delay_alu instid0(VALU_DEP_2) | instskip(NEXT) | instid1(VALU_DEP_1)
	v_cndmask_b32_e32 v6, v6, v10, vcc_lo
	v_sqrt_f32_e32 v10, v6
	s_waitcnt_depctr 0xfff
	v_add_nc_u32_e32 v11, -1, v10
	v_add_nc_u32_e32 v13, 1, v10
	s_delay_alu instid0(VALU_DEP_2) | instskip(NEXT) | instid1(VALU_DEP_2)
	v_fma_f32 v14, -v11, v10, v6
	v_fma_f32 v15, -v13, v10, v6
	s_delay_alu instid0(VALU_DEP_2) | instskip(NEXT) | instid1(VALU_DEP_1)
	v_cmp_ge_f32_e64 s2, 0, v14
	v_cndmask_b32_e64 v10, v10, v11, s2
	s_delay_alu instid0(VALU_DEP_3) | instskip(NEXT) | instid1(VALU_DEP_1)
	v_cmp_lt_f32_e64 s2, 0, v15
	v_cndmask_b32_e64 v10, v10, v13, s2
	s_delay_alu instid0(VALU_DEP_1) | instskip(NEXT) | instid1(VALU_DEP_1)
	v_mul_f32_e32 v11, 0x37800000, v10
	v_cndmask_b32_e32 v10, v10, v11, vcc_lo
	v_cmp_class_f32_e64 vcc_lo, v6, 0x260
	s_delay_alu instid0(VALU_DEP_2) | instskip(NEXT) | instid1(VALU_DEP_1)
	v_cndmask_b32_e32 v10, v10, v6, vcc_lo
	v_add_f32_e32 v6, v10, v10
	s_delay_alu instid0(VALU_DEP_1) | instskip(NEXT) | instid1(VALU_DEP_1)
	v_div_scale_f32 v11, null, v6, v6, v7
	v_rcp_f32_e32 v13, v11
	s_waitcnt_depctr 0xfff
	v_fma_f32 v14, -v11, v13, 1.0
	s_delay_alu instid0(VALU_DEP_1) | instskip(SKIP_1) | instid1(VALU_DEP_1)
	v_fmac_f32_e32 v13, v14, v13
	v_div_scale_f32 v14, vcc_lo, v7, v6, v7
	v_mul_f32_e32 v15, v14, v13
	s_delay_alu instid0(VALU_DEP_1) | instskip(NEXT) | instid1(VALU_DEP_1)
	v_fma_f32 v16, -v11, v15, v14
	v_fmac_f32_e32 v15, v16, v13
	s_delay_alu instid0(VALU_DEP_1) | instskip(NEXT) | instid1(VALU_DEP_1)
	v_fma_f32 v11, -v11, v15, v14
	v_div_fmas_f32 v11, v11, v13, v15
                                        ; implicit-def: $vgpr13
	s_delay_alu instid0(VALU_DEP_1)
	v_div_fixup_f32 v11, v11, v6, v7
                                        ; implicit-def: $vgpr6
	s_and_not1_saveexec_b32 s13, s13
	s_cbranch_execz .LBB170_258
	s_branch .LBB170_257
.LBB170_256:
	s_and_not1_saveexec_b32 s13, s13
	s_cbranch_execz .LBB170_258
.LBB170_257:
	v_sub_f32_e32 v6, v13, v6
	s_delay_alu instid0(VALU_DEP_1) | instskip(NEXT) | instid1(VALU_DEP_1)
	v_mul_f32_e32 v6, 0.5, v6
	v_mul_f32_e32 v10, 0x4f800000, v6
	v_cmp_gt_f32_e32 vcc_lo, 0xf800000, v6
	s_delay_alu instid0(VALU_DEP_2) | instskip(NEXT) | instid1(VALU_DEP_1)
	v_cndmask_b32_e32 v6, v6, v10, vcc_lo
	v_sqrt_f32_e32 v10, v6
	s_waitcnt_depctr 0xfff
	v_add_nc_u32_e32 v11, -1, v10
	v_add_nc_u32_e32 v13, 1, v10
	s_delay_alu instid0(VALU_DEP_2) | instskip(NEXT) | instid1(VALU_DEP_2)
	v_fma_f32 v14, -v11, v10, v6
	v_fma_f32 v15, -v13, v10, v6
	s_delay_alu instid0(VALU_DEP_2) | instskip(NEXT) | instid1(VALU_DEP_1)
	v_cmp_ge_f32_e64 s2, 0, v14
	v_cndmask_b32_e64 v10, v10, v11, s2
	s_delay_alu instid0(VALU_DEP_3) | instskip(NEXT) | instid1(VALU_DEP_1)
	v_cmp_lt_f32_e64 s2, 0, v15
	v_cndmask_b32_e64 v10, v10, v13, s2
	s_delay_alu instid0(VALU_DEP_1) | instskip(NEXT) | instid1(VALU_DEP_1)
	v_mul_f32_e32 v11, 0x37800000, v10
	v_cndmask_b32_e32 v10, v10, v11, vcc_lo
	v_cmp_class_f32_e64 vcc_lo, v6, 0x260
	s_delay_alu instid0(VALU_DEP_2) | instskip(NEXT) | instid1(VALU_DEP_1)
	v_cndmask_b32_e32 v6, v10, v6, vcc_lo
	v_dual_add_f32 v11, v6, v6 :: v_dual_and_b32 v10, 0x7fffffff, v7
	s_delay_alu instid0(VALU_DEP_1) | instskip(SKIP_1) | instid1(VALU_DEP_2)
	v_div_scale_f32 v13, null, v11, v11, v10
	v_div_scale_f32 v10, vcc_lo, v10, v11, v10
	v_rcp_f32_e32 v14, v13
	s_waitcnt_depctr 0xfff
	v_fma_f32 v15, -v13, v14, 1.0
	s_delay_alu instid0(VALU_DEP_1) | instskip(NEXT) | instid1(VALU_DEP_1)
	v_fmac_f32_e32 v14, v15, v14
	v_mul_f32_e32 v15, v10, v14
	s_delay_alu instid0(VALU_DEP_1) | instskip(NEXT) | instid1(VALU_DEP_1)
	v_fma_f32 v16, -v13, v15, v10
	v_fmac_f32_e32 v15, v16, v14
	s_delay_alu instid0(VALU_DEP_1) | instskip(NEXT) | instid1(VALU_DEP_1)
	v_fma_f32 v10, -v13, v15, v10
	v_div_fmas_f32 v10, v10, v14, v15
	s_delay_alu instid0(VALU_DEP_1)
	v_div_fixup_f32 v10, v10, v11, |v7|
	v_bfi_b32 v11, 0x7fffffff, v6, v7
.LBB170_258:
	s_or_b32 exec_lo, exec_lo, s13
                                        ; implicit-def: $vgpr7
	s_and_saveexec_b32 s2, s1
	s_delay_alu instid0(SALU_CYCLE_1)
	s_xor_b32 s1, exec_lo, s2
	s_cbranch_execz .LBB170_260
; %bb.259:
	v_dual_mul_f32 v6, 0.5, v10 :: v_dual_mul_f32 v7, 0.5, v11
	s_delay_alu instid0(VALU_DEP_1) | instskip(NEXT) | instid1(VALU_DEP_2)
	v_cndmask_b32_e64 v6, v10, v6, s12
	v_cndmask_b32_e64 v7, v11, v7, s12
                                        ; implicit-def: $vgpr10
                                        ; implicit-def: $vgpr11
	s_and_not1_saveexec_b32 s1, s1
	s_cbranch_execnz .LBB170_261
	s_branch .LBB170_262
.LBB170_260:
	s_and_not1_saveexec_b32 s1, s1
.LBB170_261:
	v_dual_add_f32 v6, v10, v10 :: v_dual_add_f32 v7, v11, v11
.LBB170_262:
	s_or_b32 exec_lo, exec_lo, s1
.LBB170_263:
	s_and_not1_saveexec_b32 s1, s11
	s_cbranch_execz .LBB170_269
; %bb.264:
	s_delay_alu instid0(VALU_DEP_1)
	v_sub_f32_e32 v10, v7, v7
	s_mov_b32 s2, exec_lo
	v_cmpx_lt_i32_e32 -1, v6
	s_xor_b32 s2, exec_lo, s2
; %bb.265:
	s_delay_alu instid0(VALU_DEP_2)
	v_bfi_b32 v7, 0x7fffffff, v10, v7
                                        ; implicit-def: $vgpr10
; %bb.266:
	s_and_not1_saveexec_b32 s2, s2
; %bb.267:
	v_and_b32_e32 v10, 0x7fffffff, v10
	s_delay_alu instid0(VALU_DEP_2) | instskip(NEXT) | instid1(VALU_DEP_2)
	v_bfi_b32 v7, 0x7fffffff, v6, v7
	v_mov_b32_e32 v6, v10
; %bb.268:
	s_or_b32 exec_lo, exec_lo, s2
.LBB170_269:
	s_delay_alu instid0(SALU_CYCLE_1)
	s_or_b32 exec_lo, exec_lo, s1
.LBB170_270:
	s_and_not1_saveexec_b32 s1, s9
; %bb.271:
	v_sub_f32_e32 v7, v7, v7
	s_delay_alu instid0(VALU_DEP_1) | instskip(NEXT) | instid1(VALU_DEP_1)
	v_div_scale_f32 v10, vcc_lo, v7, v7, v7
	v_rcp_f32_e32 v11, v10
	s_waitcnt_depctr 0xfff
	v_fma_f32 v13, -v10, v11, 1.0
	s_delay_alu instid0(VALU_DEP_1) | instskip(NEXT) | instid1(VALU_DEP_1)
	v_fmac_f32_e32 v11, v13, v11
	v_mul_f32_e32 v13, v10, v11
	s_delay_alu instid0(VALU_DEP_1) | instskip(NEXT) | instid1(VALU_DEP_1)
	v_fma_f32 v14, -v10, v13, v10
	v_fmac_f32_e32 v13, v14, v11
	s_delay_alu instid0(VALU_DEP_1) | instskip(NEXT) | instid1(VALU_DEP_1)
	v_fma_f32 v10, -v10, v13, v10
	v_div_fmas_f32 v10, v10, v11, v13
	s_delay_alu instid0(VALU_DEP_1)
	v_div_fixup_f32 v7, v10, v7, v7
; %bb.272:
	s_or_b32 exec_lo, exec_lo, s1
	v_mov_b32_e32 v13, v6
.LBB170_273:
	s_or_b32 exec_lo, exec_lo, s7
.LBB170_274:
	s_delay_alu instid0(SALU_CYCLE_1) | instskip(NEXT) | instid1(VALU_DEP_1)
	s_or_b32 exec_lo, exec_lo, s6
	v_cmp_gt_f32_e32 vcc_lo, 0, v13
                                        ; implicit-def: $vgpr10
	s_mov_b32 s1, exec_lo
	v_cndmask_b32_e64 v6, v13, -v13, vcc_lo
	v_cmp_gt_f32_e32 vcc_lo, 0, v7
	v_cndmask_b32_e64 v14, v7, -v7, vcc_lo
	s_delay_alu instid0(VALU_DEP_1)
	v_cmpx_ge_f32_e32 v6, v14
	s_xor_b32 s2, exec_lo, s1
	s_cbranch_execz .LBB170_280
; %bb.275:
	v_cmp_neq_f32_e32 vcc_lo, 0, v13
	v_cmp_neq_f32_e64 s1, 0, v7
                                        ; implicit-def: $vgpr10
	s_delay_alu instid0(VALU_DEP_1) | instskip(NEXT) | instid1(SALU_CYCLE_1)
	s_or_b32 s1, vcc_lo, s1
	s_and_saveexec_b32 s6, s1
	s_delay_alu instid0(SALU_CYCLE_1)
	s_xor_b32 s1, exec_lo, s6
	s_cbranch_execz .LBB170_277
; %bb.276:
	v_div_scale_f32 v6, null, v13, v13, v7
	v_div_scale_f32 v14, vcc_lo, v7, v13, v7
	s_delay_alu instid0(VALU_DEP_2) | instskip(SKIP_2) | instid1(VALU_DEP_1)
	v_rcp_f32_e32 v10, v6
	s_waitcnt_depctr 0xfff
	v_fma_f32 v11, -v6, v10, 1.0
	v_fmac_f32_e32 v10, v11, v10
	s_delay_alu instid0(VALU_DEP_1) | instskip(NEXT) | instid1(VALU_DEP_1)
	v_mul_f32_e32 v11, v14, v10
	v_fma_f32 v15, -v6, v11, v14
	s_delay_alu instid0(VALU_DEP_1) | instskip(NEXT) | instid1(VALU_DEP_1)
	v_fmac_f32_e32 v11, v15, v10
	v_fma_f32 v6, -v6, v11, v14
	s_delay_alu instid0(VALU_DEP_1) | instskip(NEXT) | instid1(VALU_DEP_1)
	v_div_fmas_f32 v6, v6, v10, v11
	v_div_fixup_f32 v6, v6, v13, v7
	s_delay_alu instid0(VALU_DEP_1) | instskip(NEXT) | instid1(VALU_DEP_1)
	v_fmac_f32_e32 v13, v7, v6
	v_div_scale_f32 v7, null, v13, v13, 1.0
	v_div_scale_f32 v14, vcc_lo, 1.0, v13, 1.0
	s_delay_alu instid0(VALU_DEP_2) | instskip(SKIP_2) | instid1(VALU_DEP_1)
	v_rcp_f32_e32 v10, v7
	s_waitcnt_depctr 0xfff
	v_fma_f32 v11, -v7, v10, 1.0
	v_fmac_f32_e32 v10, v11, v10
	s_delay_alu instid0(VALU_DEP_1) | instskip(NEXT) | instid1(VALU_DEP_1)
	v_mul_f32_e32 v11, v14, v10
	v_fma_f32 v15, -v7, v11, v14
	s_delay_alu instid0(VALU_DEP_1) | instskip(NEXT) | instid1(VALU_DEP_1)
	v_fmac_f32_e32 v11, v15, v10
	v_fma_f32 v7, -v7, v11, v14
                                        ; implicit-def: $vgpr14
	s_delay_alu instid0(VALU_DEP_1) | instskip(SKIP_1) | instid1(VALU_DEP_2)
	v_div_fmas_f32 v7, v7, v10, v11
	v_fma_f32 v10, v6, 0, 1.0
	v_div_fixup_f32 v7, v7, v13, 1.0
	s_delay_alu instid0(VALU_DEP_1)
	v_mul_f32_e32 v10, v10, v7
	v_mul_f32_e64 v11, -v6, v7
                                        ; implicit-def: $vgpr6
.LBB170_277:
	s_and_not1_saveexec_b32 s6, s1
	s_cbranch_execz .LBB170_279
; %bb.278:
	v_div_scale_f32 v7, null, v6, v6, 1.0
	v_div_scale_f32 v10, null, v14, v14, 0
	v_div_scale_f32 v17, vcc_lo, 1.0, v6, 1.0
	s_delay_alu instid0(VALU_DEP_3) | instskip(NEXT) | instid1(VALU_DEP_2)
	v_rcp_f32_e32 v11, v7
	v_rcp_f32_e32 v13, v10
	s_waitcnt_depctr 0xfff
	v_fma_f32 v15, -v7, v11, 1.0
	v_fma_f32 v16, -v10, v13, 1.0
	s_delay_alu instid0(VALU_DEP_1) | instskip(NEXT) | instid1(VALU_DEP_3)
	v_fmac_f32_e32 v13, v16, v13
	v_fmac_f32_e32 v11, v15, v11
	v_div_scale_f32 v15, s1, 0, v14, 0
	s_delay_alu instid0(VALU_DEP_1) | instskip(NEXT) | instid1(VALU_DEP_1)
	v_mul_f32_e32 v18, v15, v13
	v_fma_f32 v20, -v10, v18, v15
	s_delay_alu instid0(VALU_DEP_1) | instskip(SKIP_1) | instid1(VALU_DEP_2)
	v_fmac_f32_e32 v18, v20, v13
	v_mul_f32_e32 v16, v17, v11
	v_fma_f32 v10, -v10, v18, v15
	s_delay_alu instid0(VALU_DEP_2) | instskip(NEXT) | instid1(VALU_DEP_1)
	v_fma_f32 v19, -v7, v16, v17
	v_fmac_f32_e32 v16, v19, v11
	s_delay_alu instid0(VALU_DEP_1) | instskip(NEXT) | instid1(VALU_DEP_1)
	v_fma_f32 v7, -v7, v16, v17
	v_div_fmas_f32 v7, v7, v11, v16
	s_mov_b32 vcc_lo, s1
	v_div_fmas_f32 v11, v10, v13, v18
	s_delay_alu instid0(VALU_DEP_2) | instskip(NEXT) | instid1(VALU_DEP_2)
	v_div_fixup_f32 v10, v7, v6, 1.0
	v_div_fixup_f32 v11, v11, v14, 0
.LBB170_279:
	s_or_b32 exec_lo, exec_lo, s6
                                        ; implicit-def: $vgpr7
                                        ; implicit-def: $vgpr13
.LBB170_280:
	s_and_not1_saveexec_b32 s1, s2
	s_cbranch_execz .LBB170_282
; %bb.281:
	v_div_scale_f32 v6, null, v7, v7, v13
	v_div_scale_f32 v14, vcc_lo, v13, v7, v13
	s_delay_alu instid0(VALU_DEP_2) | instskip(SKIP_2) | instid1(VALU_DEP_1)
	v_rcp_f32_e32 v10, v6
	s_waitcnt_depctr 0xfff
	v_fma_f32 v11, -v6, v10, 1.0
	v_fmac_f32_e32 v10, v11, v10
	s_delay_alu instid0(VALU_DEP_1) | instskip(NEXT) | instid1(VALU_DEP_1)
	v_mul_f32_e32 v11, v14, v10
	v_fma_f32 v15, -v6, v11, v14
	s_delay_alu instid0(VALU_DEP_1) | instskip(NEXT) | instid1(VALU_DEP_1)
	v_fmac_f32_e32 v11, v15, v10
	v_fma_f32 v6, -v6, v11, v14
	s_delay_alu instid0(VALU_DEP_1) | instskip(NEXT) | instid1(VALU_DEP_1)
	v_div_fmas_f32 v6, v6, v10, v11
	v_div_fixup_f32 v6, v6, v7, v13
	s_delay_alu instid0(VALU_DEP_1) | instskip(NEXT) | instid1(VALU_DEP_1)
	v_fmac_f32_e32 v7, v13, v6
	v_div_scale_f32 v10, null, v7, v7, 1.0
	v_div_scale_f32 v14, vcc_lo, 1.0, v7, 1.0
	s_delay_alu instid0(VALU_DEP_2) | instskip(SKIP_2) | instid1(VALU_DEP_1)
	v_rcp_f32_e32 v11, v10
	s_waitcnt_depctr 0xfff
	v_fma_f32 v13, -v10, v11, 1.0
	v_fmac_f32_e32 v11, v13, v11
	s_delay_alu instid0(VALU_DEP_1) | instskip(NEXT) | instid1(VALU_DEP_1)
	v_mul_f32_e32 v13, v14, v11
	v_fma_f32 v15, -v10, v13, v14
	s_delay_alu instid0(VALU_DEP_1) | instskip(NEXT) | instid1(VALU_DEP_1)
	v_fmac_f32_e32 v13, v15, v11
	v_fma_f32 v10, -v10, v13, v14
	s_delay_alu instid0(VALU_DEP_1) | instskip(SKIP_2) | instid1(VALU_DEP_3)
	v_div_fmas_f32 v10, v10, v11, v13
	v_add_f32_e32 v11, 0, v6
	v_fma_f32 v6, v6, 0, -1.0
	v_div_fixup_f32 v7, v10, v7, 1.0
	s_delay_alu instid0(VALU_DEP_1) | instskip(NEXT) | instid1(VALU_DEP_3)
	v_mul_f32_e32 v10, v11, v7
	v_mul_f32_e32 v11, v6, v7
.LBB170_282:
	s_or_b32 exec_lo, exec_lo, s1
.LBB170_283:
	s_delay_alu instid0(SALU_CYCLE_1) | instskip(SKIP_2) | instid1(VALU_DEP_2)
	s_or_b32 exec_lo, exec_lo, s3
	v_or_b32_e32 v7, 0x300, v0
	v_mov_b32_e32 v6, 0
	v_cmp_gt_i32_e32 vcc_lo, s10, v7
	v_mov_b32_e32 v7, 0
	s_and_saveexec_b32 s3, vcc_lo
	s_cbranch_execz .LBB170_296
; %bb.284:
	v_cmp_neq_f32_e32 vcc_lo, 0, v2
	v_cmp_neq_f32_e64 s1, 0, v3
	v_mov_b32_e32 v13, 0
	s_delay_alu instid0(VALU_DEP_2) | instskip(NEXT) | instid1(SALU_CYCLE_1)
	s_or_b32 s1, vcc_lo, s1
	s_and_saveexec_b32 s6, s1
	s_cbranch_execz .LBB170_318
; %bb.285:
	v_mov_b32_e32 v13, 0x7f800000
	s_mov_b32 s7, exec_lo
	v_cmpx_neq_f32_e64 0x7f800000, |v3|
	s_cbranch_execz .LBB170_317
; %bb.286:
	s_mov_b32 s1, exec_lo
	v_cmpx_o_f32_e32 v2, v2
	s_xor_b32 s9, exec_lo, s1
	s_cbranch_execz .LBB170_314
; %bb.287:
	s_mov_b32 s2, exec_lo
	v_cmpx_neq_f32_e64 0x7f800000, |v2|
	s_xor_b32 s11, exec_lo, s2
	s_cbranch_execz .LBB170_307
; %bb.288:
	v_max_f32_e64 v6, |v2|, |v2|
	v_max_f32_e64 v7, |v3|, |v3|
                                        ; implicit-def: $sgpr12
	s_delay_alu instid0(VALU_DEP_1) | instskip(NEXT) | instid1(VALU_DEP_1)
	v_max_f32_e32 v6, v7, v6
	v_cmp_nle_f32_e64 s1, 0x7ed413cb, v6
	s_delay_alu instid0(VALU_DEP_1) | instskip(NEXT) | instid1(SALU_CYCLE_1)
	s_and_saveexec_b32 s2, s1
	s_xor_b32 s2, exec_lo, s2
	s_cbranch_execz .LBB170_292
; %bb.289:
	v_cmp_ge_f32_e64 s12, 0x1000000, |v2|
	v_cmp_ge_f32_e64 s13, 0x1000000, |v3|
	s_delay_alu instid0(VALU_DEP_1)
	s_and_b32 s14, s13, s12
	s_mov_b32 s12, 0
	s_and_saveexec_b32 s13, s14
; %bb.290:
	v_dual_mul_f32 v2, 4.0, v2 :: v_dual_mul_f32 v3, 4.0, v3
	s_mov_b32 s12, exec_lo
; %bb.291:
	s_or_b32 exec_lo, exec_lo, s13
	s_delay_alu instid0(SALU_CYCLE_1)
	s_and_b32 s12, s12, exec_lo
.LBB170_292:
	s_and_not1_saveexec_b32 s2, s2
; %bb.293:
	v_dual_mul_f32 v2, 0x3e800000, v2 :: v_dual_mul_f32 v3, 0x3e800000, v3
	s_and_not1_b32 s12, s12, exec_lo
; %bb.294:
	s_or_b32 exec_lo, exec_lo, s2
	s_delay_alu instid0(VALU_DEP_1) | instskip(NEXT) | instid1(VALU_DEP_2)
	v_max_f32_e64 v6, |v3|, |v3|
	v_max_f32_e64 v7, |v2|, |v2|
	s_delay_alu instid0(VALU_DEP_1) | instskip(NEXT) | instid1(VALU_DEP_1)
	v_max_f32_e32 v13, v7, v6
	v_cvt_f64_f32_e32 v[6:7], v13
	v_cmp_neq_f32_e64 s2, 0x7f800000, v13
	s_delay_alu instid0(VALU_DEP_2) | instskip(NEXT) | instid1(VALU_DEP_1)
	v_frexp_exp_i32_f64_e32 v6, v[6:7]
	v_sub_nc_u32_e32 v7, 0, v6
	s_delay_alu instid0(VALU_DEP_1) | instskip(SKIP_1) | instid1(VALU_DEP_2)
	v_ldexp_f32 v14, |v3|, v7
	v_ldexp_f32 v7, |v2|, v7
	v_mul_f32_e32 v14, v14, v14
	s_delay_alu instid0(VALU_DEP_1) | instskip(NEXT) | instid1(VALU_DEP_1)
	v_fmac_f32_e32 v14, v7, v7
	v_sqrt_f32_e32 v7, v14
	s_waitcnt_depctr 0xfff
	v_ldexp_f32 v6, v7, v6
                                        ; implicit-def: $vgpr7
	s_delay_alu instid0(VALU_DEP_1)
	v_cndmask_b32_e64 v13, 0x7f800000, v6, s2
                                        ; implicit-def: $vgpr6
	s_mov_b32 s2, exec_lo
	v_cmpx_le_f32_e32 0, v2
	s_xor_b32 s13, exec_lo, s2
	s_cbranch_execz .LBB170_300
; %bb.295:
	v_add_f32_e32 v2, v2, v13
	s_delay_alu instid0(VALU_DEP_1) | instskip(NEXT) | instid1(VALU_DEP_1)
	v_mul_f32_e32 v2, 0.5, v2
	v_mul_f32_e32 v6, 0x4f800000, v2
	v_cmp_gt_f32_e32 vcc_lo, 0xf800000, v2
	s_delay_alu instid0(VALU_DEP_2) | instskip(NEXT) | instid1(VALU_DEP_1)
	v_cndmask_b32_e32 v2, v2, v6, vcc_lo
	v_sqrt_f32_e32 v6, v2
	s_waitcnt_depctr 0xfff
	v_add_nc_u32_e32 v7, -1, v6
	v_add_nc_u32_e32 v13, 1, v6
	s_delay_alu instid0(VALU_DEP_2) | instskip(NEXT) | instid1(VALU_DEP_2)
	v_fma_f32 v14, -v7, v6, v2
	v_fma_f32 v15, -v13, v6, v2
	s_delay_alu instid0(VALU_DEP_2) | instskip(NEXT) | instid1(VALU_DEP_1)
	v_cmp_ge_f32_e64 s2, 0, v14
	v_cndmask_b32_e64 v6, v6, v7, s2
	s_delay_alu instid0(VALU_DEP_3) | instskip(NEXT) | instid1(VALU_DEP_1)
	v_cmp_lt_f32_e64 s2, 0, v15
	v_cndmask_b32_e64 v6, v6, v13, s2
	s_delay_alu instid0(VALU_DEP_1) | instskip(NEXT) | instid1(VALU_DEP_1)
	v_mul_f32_e32 v7, 0x37800000, v6
	v_cndmask_b32_e32 v6, v6, v7, vcc_lo
	v_cmp_class_f32_e64 vcc_lo, v2, 0x260
	s_delay_alu instid0(VALU_DEP_2) | instskip(NEXT) | instid1(VALU_DEP_1)
	v_cndmask_b32_e32 v6, v6, v2, vcc_lo
	v_add_f32_e32 v2, v6, v6
	s_delay_alu instid0(VALU_DEP_1) | instskip(NEXT) | instid1(VALU_DEP_1)
	v_div_scale_f32 v7, null, v2, v2, v3
	v_rcp_f32_e32 v13, v7
	s_waitcnt_depctr 0xfff
	v_fma_f32 v14, -v7, v13, 1.0
	s_delay_alu instid0(VALU_DEP_1) | instskip(SKIP_1) | instid1(VALU_DEP_1)
	v_fmac_f32_e32 v13, v14, v13
	v_div_scale_f32 v14, vcc_lo, v3, v2, v3
	v_mul_f32_e32 v15, v14, v13
	s_delay_alu instid0(VALU_DEP_1) | instskip(NEXT) | instid1(VALU_DEP_1)
	v_fma_f32 v16, -v7, v15, v14
	v_fmac_f32_e32 v15, v16, v13
	s_delay_alu instid0(VALU_DEP_1) | instskip(NEXT) | instid1(VALU_DEP_1)
	v_fma_f32 v7, -v7, v15, v14
	v_div_fmas_f32 v7, v7, v13, v15
                                        ; implicit-def: $vgpr13
	s_delay_alu instid0(VALU_DEP_1)
	v_div_fixup_f32 v7, v7, v2, v3
                                        ; implicit-def: $vgpr2
	s_and_not1_saveexec_b32 s13, s13
	s_cbranch_execz .LBB170_302
	s_branch .LBB170_301
.LBB170_296:
	s_or_b32 exec_lo, exec_lo, s3
	s_and_saveexec_b32 s1, s0
	s_delay_alu instid0(SALU_CYCLE_1)
	s_xor_b32 s0, exec_lo, s1
	s_cbranch_execz .LBB170_327
.LBB170_297:
	v_mov_b32_e32 v2, 0
	s_delay_alu instid0(VALU_DEP_1) | instskip(NEXT) | instid1(VALU_DEP_1)
	v_lshlrev_b64 v[0:1], 3, v[1:2]
	v_add_co_u32 v2, vcc_lo, s4, v0
	s_delay_alu instid0(VALU_DEP_2) | instskip(SKIP_3) | instid1(SALU_CYCLE_1)
	v_add_co_ci_u32_e32 v3, vcc_lo, s5, v1, vcc_lo
	v_mov_b32_e32 v0, v12
	global_store_b64 v[2:3], v[4:5], off
	s_or_b32 exec_lo, exec_lo, s0
	s_mov_b32 s0, exec_lo
	v_cmpx_gt_i32_e64 s10, v0
	s_cbranch_execnz .LBB170_328
.LBB170_298:
	s_or_b32 exec_lo, exec_lo, s0
	s_delay_alu instid0(SALU_CYCLE_1)
	s_mov_b32 s0, exec_lo
	v_cmpx_gt_i32_e64 s10, v0
	s_cbranch_execz .LBB170_329
.LBB170_299:
	v_dual_mov_b32 v2, 0 :: v_dual_add_nc_u32 v1, s8, v0
	v_add_nc_u32_e32 v0, 0x100, v0
	s_delay_alu instid0(VALU_DEP_2) | instskip(NEXT) | instid1(VALU_DEP_1)
	v_lshlrev_b64 v[1:2], 3, v[1:2]
	v_add_co_u32 v1, vcc_lo, s4, v1
	s_delay_alu instid0(VALU_DEP_2) | instskip(SKIP_2) | instid1(SALU_CYCLE_1)
	v_add_co_ci_u32_e32 v2, vcc_lo, s5, v2, vcc_lo
	global_store_b64 v[1:2], v[10:11], off
	s_or_b32 exec_lo, exec_lo, s0
	s_mov_b32 s0, exec_lo
	v_cmpx_gt_i32_e64 s10, v0
	s_cbranch_execnz .LBB170_330
	s_branch .LBB170_331
.LBB170_300:
	s_and_not1_saveexec_b32 s13, s13
	s_cbranch_execz .LBB170_302
.LBB170_301:
	v_sub_f32_e32 v2, v13, v2
	s_delay_alu instid0(VALU_DEP_1) | instskip(NEXT) | instid1(VALU_DEP_1)
	v_mul_f32_e32 v2, 0.5, v2
	v_mul_f32_e32 v6, 0x4f800000, v2
	v_cmp_gt_f32_e32 vcc_lo, 0xf800000, v2
	s_delay_alu instid0(VALU_DEP_2) | instskip(NEXT) | instid1(VALU_DEP_1)
	v_cndmask_b32_e32 v2, v2, v6, vcc_lo
	v_sqrt_f32_e32 v6, v2
	s_waitcnt_depctr 0xfff
	v_add_nc_u32_e32 v7, -1, v6
	v_add_nc_u32_e32 v13, 1, v6
	s_delay_alu instid0(VALU_DEP_2) | instskip(NEXT) | instid1(VALU_DEP_2)
	v_fma_f32 v14, -v7, v6, v2
	v_fma_f32 v15, -v13, v6, v2
	s_delay_alu instid0(VALU_DEP_2) | instskip(NEXT) | instid1(VALU_DEP_1)
	v_cmp_ge_f32_e64 s2, 0, v14
	v_cndmask_b32_e64 v6, v6, v7, s2
	s_delay_alu instid0(VALU_DEP_3) | instskip(NEXT) | instid1(VALU_DEP_1)
	v_cmp_lt_f32_e64 s2, 0, v15
	v_cndmask_b32_e64 v6, v6, v13, s2
	s_delay_alu instid0(VALU_DEP_1) | instskip(NEXT) | instid1(VALU_DEP_1)
	v_mul_f32_e32 v7, 0x37800000, v6
	v_cndmask_b32_e32 v6, v6, v7, vcc_lo
	v_cmp_class_f32_e64 vcc_lo, v2, 0x260
	s_delay_alu instid0(VALU_DEP_2) | instskip(NEXT) | instid1(VALU_DEP_1)
	v_cndmask_b32_e32 v2, v6, v2, vcc_lo
	v_dual_add_f32 v7, v2, v2 :: v_dual_and_b32 v6, 0x7fffffff, v3
	s_delay_alu instid0(VALU_DEP_1) | instskip(SKIP_1) | instid1(VALU_DEP_2)
	v_div_scale_f32 v13, null, v7, v7, v6
	v_div_scale_f32 v6, vcc_lo, v6, v7, v6
	v_rcp_f32_e32 v14, v13
	s_waitcnt_depctr 0xfff
	v_fma_f32 v15, -v13, v14, 1.0
	s_delay_alu instid0(VALU_DEP_1) | instskip(NEXT) | instid1(VALU_DEP_1)
	v_fmac_f32_e32 v14, v15, v14
	v_mul_f32_e32 v15, v6, v14
	s_delay_alu instid0(VALU_DEP_1) | instskip(NEXT) | instid1(VALU_DEP_1)
	v_fma_f32 v16, -v13, v15, v6
	v_fmac_f32_e32 v15, v16, v14
	s_delay_alu instid0(VALU_DEP_1) | instskip(NEXT) | instid1(VALU_DEP_1)
	v_fma_f32 v6, -v13, v15, v6
	v_div_fmas_f32 v6, v6, v14, v15
	s_delay_alu instid0(VALU_DEP_1)
	v_div_fixup_f32 v6, v6, v7, |v3|
	v_bfi_b32 v7, 0x7fffffff, v2, v3
.LBB170_302:
	s_or_b32 exec_lo, exec_lo, s13
                                        ; implicit-def: $vgpr3
	s_and_saveexec_b32 s2, s1
	s_delay_alu instid0(SALU_CYCLE_1)
	s_xor_b32 s1, exec_lo, s2
	s_cbranch_execz .LBB170_304
; %bb.303:
	v_dual_mul_f32 v2, 0.5, v6 :: v_dual_mul_f32 v3, 0.5, v7
	s_delay_alu instid0(VALU_DEP_1) | instskip(NEXT) | instid1(VALU_DEP_2)
	v_cndmask_b32_e64 v2, v6, v2, s12
	v_cndmask_b32_e64 v3, v7, v3, s12
                                        ; implicit-def: $vgpr6
                                        ; implicit-def: $vgpr7
	s_and_not1_saveexec_b32 s1, s1
	s_cbranch_execnz .LBB170_305
	s_branch .LBB170_306
.LBB170_304:
	s_and_not1_saveexec_b32 s1, s1
.LBB170_305:
	v_dual_add_f32 v2, v6, v6 :: v_dual_add_f32 v3, v7, v7
.LBB170_306:
	s_or_b32 exec_lo, exec_lo, s1
.LBB170_307:
	s_and_not1_saveexec_b32 s1, s11
	s_cbranch_execz .LBB170_313
; %bb.308:
	s_delay_alu instid0(VALU_DEP_1)
	v_sub_f32_e32 v6, v3, v3
	s_mov_b32 s2, exec_lo
	v_cmpx_lt_i32_e32 -1, v2
	s_xor_b32 s2, exec_lo, s2
; %bb.309:
	s_delay_alu instid0(VALU_DEP_2)
	v_bfi_b32 v3, 0x7fffffff, v6, v3
                                        ; implicit-def: $vgpr6
; %bb.310:
	s_and_not1_saveexec_b32 s2, s2
; %bb.311:
	v_and_b32_e32 v6, 0x7fffffff, v6
	s_delay_alu instid0(VALU_DEP_2) | instskip(NEXT) | instid1(VALU_DEP_2)
	v_bfi_b32 v3, 0x7fffffff, v2, v3
	v_mov_b32_e32 v2, v6
; %bb.312:
	s_or_b32 exec_lo, exec_lo, s2
.LBB170_313:
	s_delay_alu instid0(SALU_CYCLE_1)
	s_or_b32 exec_lo, exec_lo, s1
.LBB170_314:
	s_and_not1_saveexec_b32 s1, s9
; %bb.315:
	v_sub_f32_e32 v3, v3, v3
	s_delay_alu instid0(VALU_DEP_1) | instskip(NEXT) | instid1(VALU_DEP_1)
	v_div_scale_f32 v6, vcc_lo, v3, v3, v3
	v_rcp_f32_e32 v7, v6
	s_waitcnt_depctr 0xfff
	v_fma_f32 v13, -v6, v7, 1.0
	s_delay_alu instid0(VALU_DEP_1) | instskip(NEXT) | instid1(VALU_DEP_1)
	v_fmac_f32_e32 v7, v13, v7
	v_mul_f32_e32 v13, v6, v7
	s_delay_alu instid0(VALU_DEP_1) | instskip(NEXT) | instid1(VALU_DEP_1)
	v_fma_f32 v14, -v6, v13, v6
	v_fmac_f32_e32 v13, v14, v7
	s_delay_alu instid0(VALU_DEP_1) | instskip(NEXT) | instid1(VALU_DEP_1)
	v_fma_f32 v6, -v6, v13, v6
	v_div_fmas_f32 v6, v6, v7, v13
	s_delay_alu instid0(VALU_DEP_1)
	v_div_fixup_f32 v3, v6, v3, v3
; %bb.316:
	s_or_b32 exec_lo, exec_lo, s1
	v_mov_b32_e32 v13, v2
.LBB170_317:
	s_or_b32 exec_lo, exec_lo, s7
.LBB170_318:
	s_delay_alu instid0(SALU_CYCLE_1) | instskip(NEXT) | instid1(VALU_DEP_1)
	s_or_b32 exec_lo, exec_lo, s6
	v_cmp_gt_f32_e32 vcc_lo, 0, v13
                                        ; implicit-def: $vgpr7
	s_mov_b32 s1, exec_lo
	v_cndmask_b32_e64 v2, v13, -v13, vcc_lo
	v_cmp_gt_f32_e32 vcc_lo, 0, v3
	v_cndmask_b32_e64 v14, v3, -v3, vcc_lo
	s_delay_alu instid0(VALU_DEP_1)
	v_cmpx_ge_f32_e32 v2, v14
	s_xor_b32 s2, exec_lo, s1
	s_cbranch_execz .LBB170_324
; %bb.319:
	v_cmp_neq_f32_e32 vcc_lo, 0, v13
	v_cmp_neq_f32_e64 s1, 0, v3
                                        ; implicit-def: $vgpr7
	s_delay_alu instid0(VALU_DEP_1) | instskip(NEXT) | instid1(SALU_CYCLE_1)
	s_or_b32 s1, vcc_lo, s1
	s_and_saveexec_b32 s6, s1
	s_delay_alu instid0(SALU_CYCLE_1)
	s_xor_b32 s1, exec_lo, s6
	s_cbranch_execz .LBB170_321
; %bb.320:
	v_div_scale_f32 v2, null, v13, v13, v3
	v_div_scale_f32 v14, vcc_lo, v3, v13, v3
	s_delay_alu instid0(VALU_DEP_2) | instskip(SKIP_2) | instid1(VALU_DEP_1)
	v_rcp_f32_e32 v6, v2
	s_waitcnt_depctr 0xfff
	v_fma_f32 v7, -v2, v6, 1.0
	v_fmac_f32_e32 v6, v7, v6
	s_delay_alu instid0(VALU_DEP_1) | instskip(NEXT) | instid1(VALU_DEP_1)
	v_mul_f32_e32 v7, v14, v6
	v_fma_f32 v15, -v2, v7, v14
	s_delay_alu instid0(VALU_DEP_1) | instskip(NEXT) | instid1(VALU_DEP_1)
	v_fmac_f32_e32 v7, v15, v6
	v_fma_f32 v2, -v2, v7, v14
	s_delay_alu instid0(VALU_DEP_1) | instskip(NEXT) | instid1(VALU_DEP_1)
	v_div_fmas_f32 v2, v2, v6, v7
	v_div_fixup_f32 v2, v2, v13, v3
	s_delay_alu instid0(VALU_DEP_1) | instskip(NEXT) | instid1(VALU_DEP_1)
	v_fmac_f32_e32 v13, v3, v2
	v_div_scale_f32 v3, null, v13, v13, 1.0
	v_div_scale_f32 v14, vcc_lo, 1.0, v13, 1.0
	s_delay_alu instid0(VALU_DEP_2) | instskip(SKIP_2) | instid1(VALU_DEP_1)
	v_rcp_f32_e32 v6, v3
	s_waitcnt_depctr 0xfff
	v_fma_f32 v7, -v3, v6, 1.0
	v_fmac_f32_e32 v6, v7, v6
	s_delay_alu instid0(VALU_DEP_1) | instskip(NEXT) | instid1(VALU_DEP_1)
	v_mul_f32_e32 v7, v14, v6
	v_fma_f32 v15, -v3, v7, v14
	s_delay_alu instid0(VALU_DEP_1) | instskip(NEXT) | instid1(VALU_DEP_1)
	v_fmac_f32_e32 v7, v15, v6
	v_fma_f32 v3, -v3, v7, v14
                                        ; implicit-def: $vgpr14
	s_delay_alu instid0(VALU_DEP_1) | instskip(SKIP_1) | instid1(VALU_DEP_2)
	v_div_fmas_f32 v3, v3, v6, v7
	v_fma_f32 v6, v2, 0, 1.0
	v_div_fixup_f32 v3, v3, v13, 1.0
	s_delay_alu instid0(VALU_DEP_1)
	v_mul_f32_e32 v6, v6, v3
	v_mul_f32_e64 v7, -v2, v3
                                        ; implicit-def: $vgpr2
.LBB170_321:
	s_and_not1_saveexec_b32 s6, s1
	s_cbranch_execz .LBB170_323
; %bb.322:
	v_div_scale_f32 v3, null, v2, v2, 1.0
	v_div_scale_f32 v6, null, v14, v14, 0
	v_div_scale_f32 v17, vcc_lo, 1.0, v2, 1.0
	s_delay_alu instid0(VALU_DEP_3) | instskip(NEXT) | instid1(VALU_DEP_2)
	v_rcp_f32_e32 v7, v3
	v_rcp_f32_e32 v13, v6
	s_waitcnt_depctr 0xfff
	v_fma_f32 v15, -v3, v7, 1.0
	v_fma_f32 v16, -v6, v13, 1.0
	s_delay_alu instid0(VALU_DEP_1) | instskip(NEXT) | instid1(VALU_DEP_3)
	v_fmac_f32_e32 v13, v16, v13
	v_fmac_f32_e32 v7, v15, v7
	v_div_scale_f32 v15, s1, 0, v14, 0
	s_delay_alu instid0(VALU_DEP_1) | instskip(NEXT) | instid1(VALU_DEP_1)
	v_mul_f32_e32 v18, v15, v13
	v_fma_f32 v20, -v6, v18, v15
	s_delay_alu instid0(VALU_DEP_1) | instskip(SKIP_1) | instid1(VALU_DEP_2)
	v_fmac_f32_e32 v18, v20, v13
	v_mul_f32_e32 v16, v17, v7
	v_fma_f32 v6, -v6, v18, v15
	s_delay_alu instid0(VALU_DEP_2) | instskip(NEXT) | instid1(VALU_DEP_1)
	v_fma_f32 v19, -v3, v16, v17
	v_fmac_f32_e32 v16, v19, v7
	s_delay_alu instid0(VALU_DEP_1) | instskip(NEXT) | instid1(VALU_DEP_1)
	v_fma_f32 v3, -v3, v16, v17
	v_div_fmas_f32 v3, v3, v7, v16
	s_mov_b32 vcc_lo, s1
	v_div_fmas_f32 v7, v6, v13, v18
	s_delay_alu instid0(VALU_DEP_2) | instskip(NEXT) | instid1(VALU_DEP_2)
	v_div_fixup_f32 v6, v3, v2, 1.0
	v_div_fixup_f32 v7, v7, v14, 0
.LBB170_323:
	s_or_b32 exec_lo, exec_lo, s6
                                        ; implicit-def: $vgpr3
                                        ; implicit-def: $vgpr13
.LBB170_324:
	s_and_not1_saveexec_b32 s1, s2
	s_cbranch_execz .LBB170_326
; %bb.325:
	v_div_scale_f32 v2, null, v3, v3, v13
	v_div_scale_f32 v14, vcc_lo, v13, v3, v13
	s_delay_alu instid0(VALU_DEP_2) | instskip(SKIP_2) | instid1(VALU_DEP_1)
	v_rcp_f32_e32 v6, v2
	s_waitcnt_depctr 0xfff
	v_fma_f32 v7, -v2, v6, 1.0
	v_fmac_f32_e32 v6, v7, v6
	s_delay_alu instid0(VALU_DEP_1) | instskip(NEXT) | instid1(VALU_DEP_1)
	v_mul_f32_e32 v7, v14, v6
	v_fma_f32 v15, -v2, v7, v14
	s_delay_alu instid0(VALU_DEP_1) | instskip(NEXT) | instid1(VALU_DEP_1)
	v_fmac_f32_e32 v7, v15, v6
	v_fma_f32 v2, -v2, v7, v14
	s_delay_alu instid0(VALU_DEP_1) | instskip(NEXT) | instid1(VALU_DEP_1)
	v_div_fmas_f32 v2, v2, v6, v7
	v_div_fixup_f32 v2, v2, v3, v13
	s_delay_alu instid0(VALU_DEP_1) | instskip(NEXT) | instid1(VALU_DEP_1)
	v_fmac_f32_e32 v3, v13, v2
	v_div_scale_f32 v6, null, v3, v3, 1.0
	v_div_scale_f32 v14, vcc_lo, 1.0, v3, 1.0
	s_delay_alu instid0(VALU_DEP_2) | instskip(SKIP_2) | instid1(VALU_DEP_1)
	v_rcp_f32_e32 v7, v6
	s_waitcnt_depctr 0xfff
	v_fma_f32 v13, -v6, v7, 1.0
	v_fmac_f32_e32 v7, v13, v7
	s_delay_alu instid0(VALU_DEP_1) | instskip(NEXT) | instid1(VALU_DEP_1)
	v_mul_f32_e32 v13, v14, v7
	v_fma_f32 v15, -v6, v13, v14
	s_delay_alu instid0(VALU_DEP_1) | instskip(NEXT) | instid1(VALU_DEP_1)
	v_fmac_f32_e32 v13, v15, v7
	v_fma_f32 v6, -v6, v13, v14
	s_delay_alu instid0(VALU_DEP_1) | instskip(SKIP_2) | instid1(VALU_DEP_3)
	v_div_fmas_f32 v6, v6, v7, v13
	v_add_f32_e32 v7, 0, v2
	v_fma_f32 v2, v2, 0, -1.0
	v_div_fixup_f32 v3, v6, v3, 1.0
	s_delay_alu instid0(VALU_DEP_1) | instskip(NEXT) | instid1(VALU_DEP_3)
	v_mul_f32_e32 v6, v7, v3
	v_mul_f32_e32 v7, v2, v3
.LBB170_326:
	s_or_b32 exec_lo, exec_lo, s1
	s_delay_alu instid0(SALU_CYCLE_1) | instskip(SKIP_1) | instid1(SALU_CYCLE_1)
	s_or_b32 exec_lo, exec_lo, s3
	s_and_saveexec_b32 s1, s0
	s_xor_b32 s0, exec_lo, s1
	s_cbranch_execnz .LBB170_297
.LBB170_327:
	s_or_b32 exec_lo, exec_lo, s0
	s_delay_alu instid0(SALU_CYCLE_1)
	s_mov_b32 s0, exec_lo
	v_cmpx_gt_i32_e64 s10, v0
	s_cbranch_execz .LBB170_298
.LBB170_328:
	v_dual_mov_b32 v2, 0 :: v_dual_add_nc_u32 v1, s8, v0
	v_add_nc_u32_e32 v0, 0x100, v0
	s_delay_alu instid0(VALU_DEP_2) | instskip(NEXT) | instid1(VALU_DEP_1)
	v_lshlrev_b64 v[1:2], 3, v[1:2]
	v_add_co_u32 v1, vcc_lo, s4, v1
	s_delay_alu instid0(VALU_DEP_2) | instskip(SKIP_2) | instid1(SALU_CYCLE_1)
	v_add_co_ci_u32_e32 v2, vcc_lo, s5, v2, vcc_lo
	global_store_b64 v[1:2], v[8:9], off
	s_or_b32 exec_lo, exec_lo, s0
	s_mov_b32 s0, exec_lo
	v_cmpx_gt_i32_e64 s10, v0
	s_cbranch_execnz .LBB170_299
.LBB170_329:
	s_or_b32 exec_lo, exec_lo, s0
	s_delay_alu instid0(SALU_CYCLE_1)
	s_mov_b32 s0, exec_lo
	v_cmpx_gt_i32_e64 s10, v0
	s_cbranch_execz .LBB170_331
.LBB170_330:
	v_dual_mov_b32 v1, 0 :: v_dual_add_nc_u32 v0, s8, v0
	s_delay_alu instid0(VALU_DEP_1) | instskip(NEXT) | instid1(VALU_DEP_1)
	v_lshlrev_b64 v[0:1], 3, v[0:1]
	v_add_co_u32 v0, vcc_lo, s4, v0
	s_delay_alu instid0(VALU_DEP_2)
	v_add_co_ci_u32_e32 v1, vcc_lo, s5, v1, vcc_lo
	global_store_b64 v[0:1], v[6:7], off
.LBB170_331:
	s_nop 0
	s_sendmsg sendmsg(MSG_DEALLOC_VGPRS)
	s_endpgm
	.section	.rodata,"a",@progbits
	.p2align	6, 0x0
	.amdhsa_kernel _ZN2at6native29vectorized_elementwise_kernelILi16EZZZNS0_17rsqrt_kernel_cudaERNS_18TensorIteratorBaseEENKUlvE_clEvENKUlvE0_clEvEUlN3c107complexIfEEE_St5arrayIPcLm2EEEEviT0_T1_
		.amdhsa_group_segment_fixed_size 0
		.amdhsa_private_segment_fixed_size 0
		.amdhsa_kernarg_size 24
		.amdhsa_user_sgpr_count 15
		.amdhsa_user_sgpr_dispatch_ptr 0
		.amdhsa_user_sgpr_queue_ptr 0
		.amdhsa_user_sgpr_kernarg_segment_ptr 1
		.amdhsa_user_sgpr_dispatch_id 0
		.amdhsa_user_sgpr_private_segment_size 0
		.amdhsa_wavefront_size32 1
		.amdhsa_uses_dynamic_stack 0
		.amdhsa_enable_private_segment 0
		.amdhsa_system_sgpr_workgroup_id_x 1
		.amdhsa_system_sgpr_workgroup_id_y 0
		.amdhsa_system_sgpr_workgroup_id_z 0
		.amdhsa_system_sgpr_workgroup_info 0
		.amdhsa_system_vgpr_workitem_id 0
		.amdhsa_next_free_vgpr 21
		.amdhsa_next_free_sgpr 17
		.amdhsa_reserve_vcc 1
		.amdhsa_float_round_mode_32 0
		.amdhsa_float_round_mode_16_64 0
		.amdhsa_float_denorm_mode_32 3
		.amdhsa_float_denorm_mode_16_64 3
		.amdhsa_dx10_clamp 1
		.amdhsa_ieee_mode 1
		.amdhsa_fp16_overflow 0
		.amdhsa_workgroup_processor_mode 1
		.amdhsa_memory_ordered 1
		.amdhsa_forward_progress 0
		.amdhsa_shared_vgpr_count 0
		.amdhsa_exception_fp_ieee_invalid_op 0
		.amdhsa_exception_fp_denorm_src 0
		.amdhsa_exception_fp_ieee_div_zero 0
		.amdhsa_exception_fp_ieee_overflow 0
		.amdhsa_exception_fp_ieee_underflow 0
		.amdhsa_exception_fp_ieee_inexact 0
		.amdhsa_exception_int_div_zero 0
	.end_amdhsa_kernel
	.section	.text._ZN2at6native29vectorized_elementwise_kernelILi16EZZZNS0_17rsqrt_kernel_cudaERNS_18TensorIteratorBaseEENKUlvE_clEvENKUlvE0_clEvEUlN3c107complexIfEEE_St5arrayIPcLm2EEEEviT0_T1_,"axG",@progbits,_ZN2at6native29vectorized_elementwise_kernelILi16EZZZNS0_17rsqrt_kernel_cudaERNS_18TensorIteratorBaseEENKUlvE_clEvENKUlvE0_clEvEUlN3c107complexIfEEE_St5arrayIPcLm2EEEEviT0_T1_,comdat
.Lfunc_end170:
	.size	_ZN2at6native29vectorized_elementwise_kernelILi16EZZZNS0_17rsqrt_kernel_cudaERNS_18TensorIteratorBaseEENKUlvE_clEvENKUlvE0_clEvEUlN3c107complexIfEEE_St5arrayIPcLm2EEEEviT0_T1_, .Lfunc_end170-_ZN2at6native29vectorized_elementwise_kernelILi16EZZZNS0_17rsqrt_kernel_cudaERNS_18TensorIteratorBaseEENKUlvE_clEvENKUlvE0_clEvEUlN3c107complexIfEEE_St5arrayIPcLm2EEEEviT0_T1_
                                        ; -- End function
	.section	.AMDGPU.csdata,"",@progbits
; Kernel info:
; codeLenInByte = 16288
; NumSgprs: 19
; NumVgprs: 21
; ScratchSize: 0
; MemoryBound: 0
; FloatMode: 240
; IeeeMode: 1
; LDSByteSize: 0 bytes/workgroup (compile time only)
; SGPRBlocks: 2
; VGPRBlocks: 2
; NumSGPRsForWavesPerEU: 19
; NumVGPRsForWavesPerEU: 21
; Occupancy: 16
; WaveLimiterHint : 0
; COMPUTE_PGM_RSRC2:SCRATCH_EN: 0
; COMPUTE_PGM_RSRC2:USER_SGPR: 15
; COMPUTE_PGM_RSRC2:TRAP_HANDLER: 0
; COMPUTE_PGM_RSRC2:TGID_X_EN: 1
; COMPUTE_PGM_RSRC2:TGID_Y_EN: 0
; COMPUTE_PGM_RSRC2:TGID_Z_EN: 0
; COMPUTE_PGM_RSRC2:TIDIG_COMP_CNT: 0
	.section	.text._ZN2at6native29vectorized_elementwise_kernelILi8EZZZNS0_17rsqrt_kernel_cudaERNS_18TensorIteratorBaseEENKUlvE_clEvENKUlvE0_clEvEUlN3c107complexIfEEE_St5arrayIPcLm2EEEEviT0_T1_,"axG",@progbits,_ZN2at6native29vectorized_elementwise_kernelILi8EZZZNS0_17rsqrt_kernel_cudaERNS_18TensorIteratorBaseEENKUlvE_clEvENKUlvE0_clEvEUlN3c107complexIfEEE_St5arrayIPcLm2EEEEviT0_T1_,comdat
	.globl	_ZN2at6native29vectorized_elementwise_kernelILi8EZZZNS0_17rsqrt_kernel_cudaERNS_18TensorIteratorBaseEENKUlvE_clEvENKUlvE0_clEvEUlN3c107complexIfEEE_St5arrayIPcLm2EEEEviT0_T1_ ; -- Begin function _ZN2at6native29vectorized_elementwise_kernelILi8EZZZNS0_17rsqrt_kernel_cudaERNS_18TensorIteratorBaseEENKUlvE_clEvENKUlvE0_clEvEUlN3c107complexIfEEE_St5arrayIPcLm2EEEEviT0_T1_
	.p2align	8
	.type	_ZN2at6native29vectorized_elementwise_kernelILi8EZZZNS0_17rsqrt_kernel_cudaERNS_18TensorIteratorBaseEENKUlvE_clEvENKUlvE0_clEvEUlN3c107complexIfEEE_St5arrayIPcLm2EEEEviT0_T1_,@function
_ZN2at6native29vectorized_elementwise_kernelILi8EZZZNS0_17rsqrt_kernel_cudaERNS_18TensorIteratorBaseEENKUlvE_clEvENKUlvE0_clEvEUlN3c107complexIfEEE_St5arrayIPcLm2EEEEviT0_T1_: ; @_ZN2at6native29vectorized_elementwise_kernelILi8EZZZNS0_17rsqrt_kernel_cudaERNS_18TensorIteratorBaseEENKUlvE_clEvENKUlvE0_clEvEUlN3c107complexIfEEE_St5arrayIPcLm2EEEEviT0_T1_
; %bb.0:
	s_clause 0x1
	s_load_b32 s2, s[0:1], 0x0
	s_load_b128 s[4:7], s[0:1], 0x8
	s_lshl_b32 s8, s15, 10
	s_mov_b32 s0, -1
	s_waitcnt lgkmcnt(0)
	s_sub_i32 s10, s2, s8
	s_delay_alu instid0(SALU_CYCLE_1)
	s_cmpk_gt_i32 s10, 0x3ff
	s_cbranch_scc0 .LBB171_154
; %bb.1:
	s_ashr_i32 s9, s8, 31
	v_lshlrev_b32_e32 v13, 5, v0
	s_lshl_b64 s[2:3], s[8:9], 3
	v_mov_b32_e32 v11, 0
	s_add_u32 s0, s6, s2
	s_addc_u32 s1, s7, s3
	s_clause 0x1
	global_load_b128 v[6:9], v13, s[0:1]
	global_load_b128 v[1:4], v13, s[0:1] offset:16
	s_waitcnt vmcnt(1)
	v_mov_b32_e32 v10, v7
	v_cmp_neq_f32_e32 vcc_lo, 0, v6
	v_cmp_neq_f32_e64 s0, 0, v7
	s_delay_alu instid0(VALU_DEP_1) | instskip(NEXT) | instid1(SALU_CYCLE_1)
	s_or_b32 s0, vcc_lo, s0
	s_and_saveexec_b32 s9, s0
	s_cbranch_execz .LBB171_31
; %bb.2:
	v_dual_mov_b32 v11, 0x7f800000 :: v_dual_mov_b32 v10, v7
	s_mov_b32 s11, exec_lo
	v_cmpx_neq_f32_e64 0x7f800000, |v7|
	s_cbranch_execz .LBB171_30
; %bb.3:
                                        ; implicit-def: $vgpr10
                                        ; implicit-def: $vgpr11
	s_mov_b32 s0, exec_lo
	v_cmpx_o_f32_e32 v6, v6
	s_xor_b32 s12, exec_lo, s0
	s_cbranch_execz .LBB171_27
; %bb.4:
                                        ; implicit-def: $vgpr10
                                        ; implicit-def: $vgpr11
	s_mov_b32 s1, exec_lo
	v_cmpx_neq_f32_e64 0x7f800000, |v6|
	s_xor_b32 s13, exec_lo, s1
	s_cbranch_execz .LBB171_20
; %bb.5:
	v_max_f32_e64 v5, |v7|, |v7|
	v_max_f32_e64 v10, |v6|, |v6|
                                        ; implicit-def: $sgpr14
	s_delay_alu instid0(VALU_DEP_1) | instskip(NEXT) | instid1(VALU_DEP_1)
	v_max_f32_e32 v5, v10, v5
                                        ; implicit-def: $vgpr10
	v_cmp_nle_f32_e64 s0, 0x7ed413cb, v5
                                        ; implicit-def: $vgpr5
	s_delay_alu instid0(VALU_DEP_1) | instskip(NEXT) | instid1(SALU_CYCLE_1)
	s_and_saveexec_b32 s1, s0
	s_xor_b32 s1, exec_lo, s1
	s_cbranch_execz .LBB171_9
; %bb.6:
	v_cmp_ge_f32_e64 s14, 0x1000000, |v6|
	v_cmp_ge_f32_e64 s15, 0x1000000, |v7|
	v_dual_mov_b32 v10, v6 :: v_dual_mov_b32 v5, v7
	s_delay_alu instid0(VALU_DEP_2)
	s_and_b32 s16, s14, s15
	s_mov_b32 s14, 0
	s_and_saveexec_b32 s15, s16
; %bb.7:
	v_dual_mul_f32 v10, 4.0, v6 :: v_dual_mul_f32 v5, 4.0, v7
	s_mov_b32 s14, exec_lo
; %bb.8:
	s_or_b32 exec_lo, exec_lo, s15
	s_delay_alu instid0(SALU_CYCLE_1)
	s_and_b32 s14, s14, exec_lo
.LBB171_9:
	s_and_not1_saveexec_b32 s1, s1
; %bb.10:
	v_dual_mul_f32 v10, 0x3e800000, v6 :: v_dual_mul_f32 v5, 0x3e800000, v7
	s_and_not1_b32 s14, s14, exec_lo
; %bb.11:
	s_or_b32 exec_lo, exec_lo, s1
	s_delay_alu instid0(VALU_DEP_1) | instskip(NEXT) | instid1(VALU_DEP_2)
	v_max_f32_e64 v11, |v5|, |v5|
	v_max_f32_e64 v12, |v10|, |v10|
	s_delay_alu instid0(VALU_DEP_1) | instskip(NEXT) | instid1(VALU_DEP_1)
	v_max_f32_e32 v14, v12, v11
	v_cvt_f64_f32_e32 v[11:12], v14
	v_cmp_neq_f32_e64 s1, 0x7f800000, v14
                                        ; implicit-def: $vgpr14
	s_delay_alu instid0(VALU_DEP_2) | instskip(NEXT) | instid1(VALU_DEP_1)
	v_frexp_exp_i32_f64_e32 v11, v[11:12]
	v_sub_nc_u32_e32 v12, 0, v11
	s_delay_alu instid0(VALU_DEP_1) | instskip(SKIP_1) | instid1(VALU_DEP_2)
	v_ldexp_f32 v15, |v5|, v12
	v_ldexp_f32 v12, |v10|, v12
	v_mul_f32_e32 v15, v15, v15
	s_delay_alu instid0(VALU_DEP_1) | instskip(NEXT) | instid1(VALU_DEP_1)
	v_fmac_f32_e32 v15, v12, v12
	v_sqrt_f32_e32 v12, v15
	s_waitcnt_depctr 0xfff
	v_ldexp_f32 v11, v12, v11
                                        ; implicit-def: $vgpr12
	s_delay_alu instid0(VALU_DEP_1)
	v_cndmask_b32_e64 v11, 0x7f800000, v11, s1
	s_mov_b32 s1, exec_lo
	v_cmpx_le_f32_e32 0, v10
	s_xor_b32 s15, exec_lo, s1
	s_cbranch_execz .LBB171_13
; %bb.12:
	v_add_f32_e32 v10, v10, v11
	s_delay_alu instid0(VALU_DEP_1) | instskip(NEXT) | instid1(VALU_DEP_1)
	v_mul_f32_e32 v10, 0.5, v10
	v_mul_f32_e32 v11, 0x4f800000, v10
	v_cmp_gt_f32_e32 vcc_lo, 0xf800000, v10
	s_delay_alu instid0(VALU_DEP_2) | instskip(NEXT) | instid1(VALU_DEP_1)
	v_cndmask_b32_e32 v10, v10, v11, vcc_lo
	v_sqrt_f32_e32 v11, v10
	s_waitcnt_depctr 0xfff
	v_add_nc_u32_e32 v12, -1, v11
	v_add_nc_u32_e32 v14, 1, v11
	s_delay_alu instid0(VALU_DEP_2) | instskip(NEXT) | instid1(VALU_DEP_2)
	v_fma_f32 v15, -v12, v11, v10
	v_fma_f32 v16, -v14, v11, v10
	s_delay_alu instid0(VALU_DEP_2) | instskip(NEXT) | instid1(VALU_DEP_1)
	v_cmp_ge_f32_e64 s1, 0, v15
	v_cndmask_b32_e64 v11, v11, v12, s1
	s_delay_alu instid0(VALU_DEP_3) | instskip(NEXT) | instid1(VALU_DEP_1)
	v_cmp_lt_f32_e64 s1, 0, v16
	v_cndmask_b32_e64 v11, v11, v14, s1
	s_delay_alu instid0(VALU_DEP_1) | instskip(NEXT) | instid1(VALU_DEP_1)
	v_mul_f32_e32 v12, 0x37800000, v11
	v_cndmask_b32_e32 v11, v11, v12, vcc_lo
	v_cmp_class_f32_e64 vcc_lo, v10, 0x260
	s_delay_alu instid0(VALU_DEP_2) | instskip(NEXT) | instid1(VALU_DEP_1)
	v_cndmask_b32_e32 v12, v11, v10, vcc_lo
	v_add_f32_e32 v10, v12, v12
	s_delay_alu instid0(VALU_DEP_1) | instskip(NEXT) | instid1(VALU_DEP_1)
	v_div_scale_f32 v11, null, v10, v10, v5
	v_rcp_f32_e32 v14, v11
	s_waitcnt_depctr 0xfff
	v_fma_f32 v15, -v11, v14, 1.0
	s_delay_alu instid0(VALU_DEP_1) | instskip(SKIP_1) | instid1(VALU_DEP_1)
	v_fmac_f32_e32 v14, v15, v14
	v_div_scale_f32 v15, vcc_lo, v5, v10, v5
	v_mul_f32_e32 v16, v15, v14
	s_delay_alu instid0(VALU_DEP_1) | instskip(NEXT) | instid1(VALU_DEP_1)
	v_fma_f32 v17, -v11, v16, v15
	v_fmac_f32_e32 v16, v17, v14
	s_delay_alu instid0(VALU_DEP_1) | instskip(NEXT) | instid1(VALU_DEP_1)
	v_fma_f32 v11, -v11, v16, v15
	v_div_fmas_f32 v11, v11, v14, v16
	s_delay_alu instid0(VALU_DEP_1)
	v_div_fixup_f32 v14, v11, v10, v5
                                        ; implicit-def: $vgpr11
                                        ; implicit-def: $vgpr10
                                        ; implicit-def: $vgpr5
	s_and_not1_saveexec_b32 s15, s15
	s_cbranch_execz .LBB171_15
	s_branch .LBB171_14
.LBB171_13:
	s_and_not1_saveexec_b32 s15, s15
	s_cbranch_execz .LBB171_15
.LBB171_14:
	v_sub_f32_e32 v10, v11, v10
	s_delay_alu instid0(VALU_DEP_1) | instskip(NEXT) | instid1(VALU_DEP_1)
	v_mul_f32_e32 v10, 0.5, v10
	v_mul_f32_e32 v11, 0x4f800000, v10
	v_cmp_gt_f32_e32 vcc_lo, 0xf800000, v10
	s_delay_alu instid0(VALU_DEP_2) | instskip(NEXT) | instid1(VALU_DEP_1)
	v_cndmask_b32_e32 v10, v10, v11, vcc_lo
	v_sqrt_f32_e32 v11, v10
	s_waitcnt_depctr 0xfff
	v_add_nc_u32_e32 v12, -1, v11
	v_add_nc_u32_e32 v14, 1, v11
	s_delay_alu instid0(VALU_DEP_2) | instskip(NEXT) | instid1(VALU_DEP_2)
	v_fma_f32 v15, -v12, v11, v10
	v_fma_f32 v16, -v14, v11, v10
	s_delay_alu instid0(VALU_DEP_2) | instskip(NEXT) | instid1(VALU_DEP_1)
	v_cmp_ge_f32_e64 s1, 0, v15
	v_cndmask_b32_e64 v11, v11, v12, s1
	s_delay_alu instid0(VALU_DEP_3) | instskip(NEXT) | instid1(VALU_DEP_1)
	v_cmp_lt_f32_e64 s1, 0, v16
	v_cndmask_b32_e64 v11, v11, v14, s1
	s_delay_alu instid0(VALU_DEP_1) | instskip(NEXT) | instid1(VALU_DEP_1)
	v_mul_f32_e32 v12, 0x37800000, v11
	v_cndmask_b32_e32 v11, v11, v12, vcc_lo
	v_cmp_class_f32_e64 vcc_lo, v10, 0x260
	s_delay_alu instid0(VALU_DEP_2) | instskip(NEXT) | instid1(VALU_DEP_1)
	v_dual_cndmask_b32 v10, v11, v10 :: v_dual_and_b32 v11, 0x7fffffff, v5
	v_add_f32_e32 v12, v10, v10
	s_delay_alu instid0(VALU_DEP_1) | instskip(SKIP_1) | instid1(VALU_DEP_2)
	v_div_scale_f32 v14, null, v12, v12, v11
	v_div_scale_f32 v11, vcc_lo, v11, v12, v11
	v_rcp_f32_e32 v15, v14
	s_waitcnt_depctr 0xfff
	v_fma_f32 v16, -v14, v15, 1.0
	s_delay_alu instid0(VALU_DEP_1) | instskip(NEXT) | instid1(VALU_DEP_1)
	v_fmac_f32_e32 v15, v16, v15
	v_mul_f32_e32 v16, v11, v15
	s_delay_alu instid0(VALU_DEP_1) | instskip(NEXT) | instid1(VALU_DEP_1)
	v_fma_f32 v17, -v14, v16, v11
	v_fmac_f32_e32 v16, v17, v15
	s_delay_alu instid0(VALU_DEP_1) | instskip(SKIP_1) | instid1(VALU_DEP_2)
	v_fma_f32 v11, -v14, v16, v11
	v_bfi_b32 v14, 0x7fffffff, v10, v5
	v_div_fmas_f32 v11, v11, v15, v16
	s_delay_alu instid0(VALU_DEP_1)
	v_div_fixup_f32 v12, v11, v12, |v5|
.LBB171_15:
	s_or_b32 exec_lo, exec_lo, s15
                                        ; implicit-def: $vgpr10
                                        ; implicit-def: $vgpr11
	s_and_saveexec_b32 s1, s0
	s_delay_alu instid0(SALU_CYCLE_1)
	s_xor_b32 s0, exec_lo, s1
	s_cbranch_execz .LBB171_17
; %bb.16:
	v_dual_mul_f32 v5, 0.5, v12 :: v_dual_mul_f32 v10, 0.5, v14
	s_delay_alu instid0(VALU_DEP_1) | instskip(NEXT) | instid1(VALU_DEP_2)
	v_cndmask_b32_e64 v11, v12, v5, s14
	v_cndmask_b32_e64 v10, v14, v10, s14
                                        ; implicit-def: $vgpr12
                                        ; implicit-def: $vgpr14
	s_and_not1_saveexec_b32 s0, s0
	s_cbranch_execnz .LBB171_18
	s_branch .LBB171_19
.LBB171_17:
	s_and_not1_saveexec_b32 s0, s0
.LBB171_18:
	v_dual_add_f32 v11, v12, v12 :: v_dual_add_f32 v10, v14, v14
.LBB171_19:
	s_or_b32 exec_lo, exec_lo, s0
.LBB171_20:
	s_and_not1_saveexec_b32 s0, s13
	s_cbranch_execz .LBB171_26
; %bb.21:
	v_sub_f32_e32 v5, v7, v7
	s_mov_b32 s1, exec_lo
                                        ; implicit-def: $vgpr10
	v_cmpx_lt_i32_e32 -1, v6
	s_xor_b32 s1, exec_lo, s1
; %bb.22:
	s_delay_alu instid0(VALU_DEP_2)
	v_bfi_b32 v10, 0x7fffffff, v5, v7
                                        ; implicit-def: $vgpr5
; %bb.23:
	s_or_saveexec_b32 s1, s1
	v_mov_b32_e32 v11, v6
	s_xor_b32 exec_lo, exec_lo, s1
; %bb.24:
	v_and_b32_e32 v11, 0x7fffffff, v5
	v_bfi_b32 v10, 0x7fffffff, v6, v7
; %bb.25:
	s_or_b32 exec_lo, exec_lo, s1
.LBB171_26:
	s_delay_alu instid0(SALU_CYCLE_1)
	s_or_b32 exec_lo, exec_lo, s0
.LBB171_27:
	s_and_not1_saveexec_b32 s0, s12
	s_cbranch_execz .LBB171_29
; %bb.28:
	v_sub_f32_e32 v5, v7, v7
	s_delay_alu instid0(VALU_DEP_1) | instskip(NEXT) | instid1(VALU_DEP_1)
	v_div_scale_f32 v7, vcc_lo, v5, v5, v5
	v_rcp_f32_e32 v10, v7
	s_waitcnt_depctr 0xfff
	v_fma_f32 v11, -v7, v10, 1.0
	s_delay_alu instid0(VALU_DEP_1) | instskip(NEXT) | instid1(VALU_DEP_1)
	v_fmac_f32_e32 v10, v11, v10
	v_mul_f32_e32 v11, v7, v10
	s_delay_alu instid0(VALU_DEP_1) | instskip(NEXT) | instid1(VALU_DEP_1)
	v_fma_f32 v12, -v7, v11, v7
	v_fmac_f32_e32 v11, v12, v10
	s_delay_alu instid0(VALU_DEP_1) | instskip(NEXT) | instid1(VALU_DEP_1)
	v_fma_f32 v7, -v7, v11, v7
	v_div_fmas_f32 v7, v7, v10, v11
	v_mov_b32_e32 v11, v6
	s_delay_alu instid0(VALU_DEP_2)
	v_div_fixup_f32 v10, v7, v5, v5
.LBB171_29:
	s_or_b32 exec_lo, exec_lo, s0
.LBB171_30:
	s_delay_alu instid0(SALU_CYCLE_1)
	s_or_b32 exec_lo, exec_lo, s11
.LBB171_31:
	s_delay_alu instid0(SALU_CYCLE_1)
	s_or_b32 exec_lo, exec_lo, s9
	v_cmp_gt_f32_e32 vcc_lo, 0, v11
                                        ; implicit-def: $vgpr6
	s_mov_b32 s0, exec_lo
	v_cndmask_b32_e64 v7, v11, -v11, vcc_lo
	v_cmp_gt_f32_e32 vcc_lo, 0, v10
	v_cndmask_b32_e64 v12, v10, -v10, vcc_lo
	s_delay_alu instid0(VALU_DEP_1)
	v_cmpx_ge_f32_e32 v7, v12
	s_xor_b32 s1, exec_lo, s0
	s_cbranch_execz .LBB171_37
; %bb.32:
	v_cmp_neq_f32_e32 vcc_lo, 0, v11
	v_cmp_neq_f32_e64 s0, 0, v10
                                        ; implicit-def: $vgpr6
	s_delay_alu instid0(VALU_DEP_1) | instskip(NEXT) | instid1(SALU_CYCLE_1)
	s_or_b32 s0, vcc_lo, s0
	s_and_saveexec_b32 s9, s0
	s_delay_alu instid0(SALU_CYCLE_1)
	s_xor_b32 s0, exec_lo, s9
	s_cbranch_execz .LBB171_34
; %bb.33:
	v_div_scale_f32 v5, null, v11, v11, v10
	v_div_scale_f32 v12, vcc_lo, v10, v11, v10
	s_delay_alu instid0(VALU_DEP_2) | instskip(SKIP_2) | instid1(VALU_DEP_1)
	v_rcp_f32_e32 v6, v5
	s_waitcnt_depctr 0xfff
	v_fma_f32 v7, -v5, v6, 1.0
	v_fmac_f32_e32 v6, v7, v6
	s_delay_alu instid0(VALU_DEP_1) | instskip(NEXT) | instid1(VALU_DEP_1)
	v_mul_f32_e32 v7, v12, v6
	v_fma_f32 v14, -v5, v7, v12
	s_delay_alu instid0(VALU_DEP_1) | instskip(NEXT) | instid1(VALU_DEP_1)
	v_fmac_f32_e32 v7, v14, v6
	v_fma_f32 v5, -v5, v7, v12
	s_delay_alu instid0(VALU_DEP_1) | instskip(NEXT) | instid1(VALU_DEP_1)
	v_div_fmas_f32 v5, v5, v6, v7
	v_div_fixup_f32 v6, v5, v11, v10
	s_delay_alu instid0(VALU_DEP_1) | instskip(NEXT) | instid1(VALU_DEP_1)
	v_fmac_f32_e32 v11, v10, v6
	v_div_scale_f32 v5, null, v11, v11, 1.0
	v_div_scale_f32 v12, vcc_lo, 1.0, v11, 1.0
	s_delay_alu instid0(VALU_DEP_2) | instskip(SKIP_2) | instid1(VALU_DEP_1)
	v_rcp_f32_e32 v7, v5
	s_waitcnt_depctr 0xfff
	v_fma_f32 v10, -v5, v7, 1.0
	v_fmac_f32_e32 v7, v10, v7
	s_delay_alu instid0(VALU_DEP_1) | instskip(NEXT) | instid1(VALU_DEP_1)
	v_mul_f32_e32 v10, v12, v7
	v_fma_f32 v14, -v5, v10, v12
	s_delay_alu instid0(VALU_DEP_1) | instskip(NEXT) | instid1(VALU_DEP_1)
	v_fmac_f32_e32 v10, v14, v7
	v_fma_f32 v5, -v5, v10, v12
                                        ; implicit-def: $vgpr12
	s_delay_alu instid0(VALU_DEP_1) | instskip(SKIP_1) | instid1(VALU_DEP_2)
	v_div_fmas_f32 v5, v5, v7, v10
	v_fma_f32 v7, v6, 0, 1.0
	v_div_fixup_f32 v10, v5, v11, 1.0
	s_delay_alu instid0(VALU_DEP_1)
	v_mul_f32_e32 v5, v7, v10
	v_mul_f32_e64 v6, -v6, v10
                                        ; implicit-def: $vgpr7
.LBB171_34:
	s_and_not1_saveexec_b32 s9, s0
	s_cbranch_execz .LBB171_36
; %bb.35:
	v_div_scale_f32 v5, null, v7, v7, 1.0
	v_div_scale_f32 v6, null, v12, v12, 0
	v_div_scale_f32 v16, vcc_lo, 1.0, v7, 1.0
	s_delay_alu instid0(VALU_DEP_3) | instskip(NEXT) | instid1(VALU_DEP_2)
	v_rcp_f32_e32 v10, v5
	v_rcp_f32_e32 v11, v6
	s_waitcnt_depctr 0xfff
	v_fma_f32 v14, -v5, v10, 1.0
	v_fma_f32 v15, -v6, v11, 1.0
	s_delay_alu instid0(VALU_DEP_1) | instskip(SKIP_1) | instid1(VALU_DEP_2)
	v_dual_fmac_f32 v10, v14, v10 :: v_dual_fmac_f32 v11, v15, v11
	v_div_scale_f32 v14, s0, 0, v12, 0
	v_mul_f32_e32 v15, v16, v10
	s_delay_alu instid0(VALU_DEP_2) | instskip(NEXT) | instid1(VALU_DEP_2)
	v_mul_f32_e32 v17, v14, v11
	v_fma_f32 v18, -v5, v15, v16
	s_delay_alu instid0(VALU_DEP_2) | instskip(NEXT) | instid1(VALU_DEP_2)
	v_fma_f32 v19, -v6, v17, v14
	v_fmac_f32_e32 v15, v18, v10
	s_delay_alu instid0(VALU_DEP_2) | instskip(NEXT) | instid1(VALU_DEP_2)
	v_fmac_f32_e32 v17, v19, v11
	v_fma_f32 v5, -v5, v15, v16
	s_delay_alu instid0(VALU_DEP_2) | instskip(NEXT) | instid1(VALU_DEP_2)
	v_fma_f32 v6, -v6, v17, v14
	v_div_fmas_f32 v5, v5, v10, v15
	s_mov_b32 vcc_lo, s0
	s_delay_alu instid0(VALU_DEP_2) | instskip(NEXT) | instid1(VALU_DEP_2)
	v_div_fmas_f32 v6, v6, v11, v17
	v_div_fixup_f32 v5, v5, v7, 1.0
	s_delay_alu instid0(VALU_DEP_2)
	v_div_fixup_f32 v6, v6, v12, 0
.LBB171_36:
	s_or_b32 exec_lo, exec_lo, s9
                                        ; implicit-def: $vgpr10
                                        ; implicit-def: $vgpr11
.LBB171_37:
	s_and_not1_saveexec_b32 s0, s1
	s_cbranch_execz .LBB171_39
; %bb.38:
	v_div_scale_f32 v5, null, v10, v10, v11
	v_div_scale_f32 v12, vcc_lo, v11, v10, v11
	s_delay_alu instid0(VALU_DEP_2) | instskip(SKIP_2) | instid1(VALU_DEP_1)
	v_rcp_f32_e32 v6, v5
	s_waitcnt_depctr 0xfff
	v_fma_f32 v7, -v5, v6, 1.0
	v_fmac_f32_e32 v6, v7, v6
	s_delay_alu instid0(VALU_DEP_1) | instskip(NEXT) | instid1(VALU_DEP_1)
	v_mul_f32_e32 v7, v12, v6
	v_fma_f32 v14, -v5, v7, v12
	s_delay_alu instid0(VALU_DEP_1) | instskip(NEXT) | instid1(VALU_DEP_1)
	v_fmac_f32_e32 v7, v14, v6
	v_fma_f32 v5, -v5, v7, v12
	s_delay_alu instid0(VALU_DEP_1) | instskip(NEXT) | instid1(VALU_DEP_1)
	v_div_fmas_f32 v5, v5, v6, v7
	v_div_fixup_f32 v5, v5, v10, v11
	s_delay_alu instid0(VALU_DEP_1) | instskip(NEXT) | instid1(VALU_DEP_1)
	v_fmac_f32_e32 v10, v11, v5
	v_div_scale_f32 v6, null, v10, v10, 1.0
	v_div_scale_f32 v12, vcc_lo, 1.0, v10, 1.0
	s_delay_alu instid0(VALU_DEP_2) | instskip(SKIP_2) | instid1(VALU_DEP_1)
	v_rcp_f32_e32 v7, v6
	s_waitcnt_depctr 0xfff
	v_fma_f32 v11, -v6, v7, 1.0
	v_fmac_f32_e32 v7, v11, v7
	s_delay_alu instid0(VALU_DEP_1) | instskip(NEXT) | instid1(VALU_DEP_1)
	v_mul_f32_e32 v11, v12, v7
	v_fma_f32 v14, -v6, v11, v12
	s_delay_alu instid0(VALU_DEP_1) | instskip(NEXT) | instid1(VALU_DEP_1)
	v_fmac_f32_e32 v11, v14, v7
	v_fma_f32 v6, -v6, v11, v12
	s_delay_alu instid0(VALU_DEP_1) | instskip(SKIP_1) | instid1(VALU_DEP_2)
	v_div_fmas_f32 v6, v6, v7, v11
	v_add_f32_e32 v7, 0, v5
	v_div_fixup_f32 v6, v6, v10, 1.0
	v_fma_f32 v10, v5, 0, -1.0
	s_delay_alu instid0(VALU_DEP_2) | instskip(NEXT) | instid1(VALU_DEP_2)
	v_mul_f32_e32 v5, v7, v6
	v_mul_f32_e32 v6, v10, v6
.LBB171_39:
	s_or_b32 exec_lo, exec_lo, s0
	v_cmp_neq_f32_e32 vcc_lo, 0, v8
	v_cmp_neq_f32_e64 s0, 0, v9
	v_mov_b32_e32 v10, 0
	s_delay_alu instid0(VALU_DEP_2) | instskip(NEXT) | instid1(SALU_CYCLE_1)
	s_or_b32 s0, vcc_lo, s0
	s_and_saveexec_b32 s9, s0
	s_cbranch_execz .LBB171_69
; %bb.40:
	v_mov_b32_e32 v10, 0x7f800000
	s_mov_b32 s11, exec_lo
	v_cmpx_neq_f32_e64 0x7f800000, |v9|
	s_cbranch_execz .LBB171_68
; %bb.41:
	s_mov_b32 s0, exec_lo
	v_cmpx_o_f32_e32 v8, v8
	s_xor_b32 s12, exec_lo, s0
	s_cbranch_execz .LBB171_65
; %bb.42:
	s_mov_b32 s1, exec_lo
	v_cmpx_neq_f32_e64 0x7f800000, |v8|
	s_xor_b32 s13, exec_lo, s1
	s_cbranch_execz .LBB171_58
; %bb.43:
	v_max_f32_e64 v7, |v9|, |v9|
	v_max_f32_e64 v10, |v8|, |v8|
                                        ; implicit-def: $sgpr14
	s_delay_alu instid0(VALU_DEP_1) | instskip(NEXT) | instid1(VALU_DEP_1)
	v_max_f32_e32 v7, v10, v7
	v_cmp_nle_f32_e64 s0, 0x7ed413cb, v7
	s_delay_alu instid0(VALU_DEP_1) | instskip(NEXT) | instid1(SALU_CYCLE_1)
	s_and_saveexec_b32 s1, s0
	s_xor_b32 s1, exec_lo, s1
	s_cbranch_execz .LBB171_47
; %bb.44:
	v_cmp_ge_f32_e64 s14, 0x1000000, |v8|
	v_cmp_ge_f32_e64 s15, 0x1000000, |v9|
	s_delay_alu instid0(VALU_DEP_1)
	s_and_b32 s16, s14, s15
	s_mov_b32 s14, 0
	s_and_saveexec_b32 s15, s16
; %bb.45:
	v_dual_mul_f32 v8, 4.0, v8 :: v_dual_mul_f32 v9, 4.0, v9
	s_mov_b32 s14, exec_lo
; %bb.46:
	s_or_b32 exec_lo, exec_lo, s15
	s_delay_alu instid0(SALU_CYCLE_1)
	s_and_b32 s14, s14, exec_lo
.LBB171_47:
	s_and_not1_saveexec_b32 s1, s1
; %bb.48:
	v_dual_mul_f32 v8, 0x3e800000, v8 :: v_dual_mul_f32 v9, 0x3e800000, v9
	s_and_not1_b32 s14, s14, exec_lo
; %bb.49:
	s_or_b32 exec_lo, exec_lo, s1
	s_delay_alu instid0(VALU_DEP_1) | instskip(NEXT) | instid1(VALU_DEP_2)
	v_max_f32_e64 v7, |v9|, |v9|
	v_max_f32_e64 v10, |v8|, |v8|
	s_delay_alu instid0(VALU_DEP_1) | instskip(NEXT) | instid1(VALU_DEP_1)
	v_max_f32_e32 v7, v10, v7
	v_cvt_f64_f32_e32 v[10:11], v7
	s_delay_alu instid0(VALU_DEP_1) | instskip(NEXT) | instid1(VALU_DEP_1)
	v_frexp_exp_i32_f64_e32 v10, v[10:11]
	v_sub_nc_u32_e32 v11, 0, v10
	s_delay_alu instid0(VALU_DEP_1) | instskip(SKIP_1) | instid1(VALU_DEP_2)
	v_ldexp_f32 v12, |v9|, v11
	v_ldexp_f32 v11, |v8|, v11
	v_mul_f32_e32 v12, v12, v12
	v_cmp_neq_f32_e64 s1, 0x7f800000, v7
                                        ; implicit-def: $vgpr7
	s_delay_alu instid0(VALU_DEP_2) | instskip(NEXT) | instid1(VALU_DEP_1)
	v_fmac_f32_e32 v12, v11, v11
	v_sqrt_f32_e32 v11, v12
	s_waitcnt_depctr 0xfff
	v_ldexp_f32 v10, v11, v10
	s_delay_alu instid0(VALU_DEP_1)
	v_cndmask_b32_e64 v11, 0x7f800000, v10, s1
                                        ; implicit-def: $vgpr10
	s_mov_b32 s1, exec_lo
	v_cmpx_le_f32_e32 0, v8
	s_xor_b32 s15, exec_lo, s1
	s_cbranch_execz .LBB171_51
; %bb.50:
	v_add_f32_e32 v7, v8, v11
	s_delay_alu instid0(VALU_DEP_1) | instskip(NEXT) | instid1(VALU_DEP_1)
	v_mul_f32_e32 v7, 0.5, v7
	v_mul_f32_e32 v8, 0x4f800000, v7
	v_cmp_gt_f32_e32 vcc_lo, 0xf800000, v7
	s_delay_alu instid0(VALU_DEP_2) | instskip(NEXT) | instid1(VALU_DEP_1)
	v_cndmask_b32_e32 v7, v7, v8, vcc_lo
	v_sqrt_f32_e32 v8, v7
	s_waitcnt_depctr 0xfff
	v_add_nc_u32_e32 v10, -1, v8
	v_add_nc_u32_e32 v11, 1, v8
	s_delay_alu instid0(VALU_DEP_2) | instskip(NEXT) | instid1(VALU_DEP_2)
	v_fma_f32 v12, -v10, v8, v7
	v_fma_f32 v14, -v11, v8, v7
	s_delay_alu instid0(VALU_DEP_2) | instskip(NEXT) | instid1(VALU_DEP_1)
	v_cmp_ge_f32_e64 s1, 0, v12
	v_cndmask_b32_e64 v8, v8, v10, s1
	s_delay_alu instid0(VALU_DEP_3) | instskip(NEXT) | instid1(VALU_DEP_1)
	v_cmp_lt_f32_e64 s1, 0, v14
	v_cndmask_b32_e64 v8, v8, v11, s1
	s_delay_alu instid0(VALU_DEP_1) | instskip(NEXT) | instid1(VALU_DEP_1)
	v_mul_f32_e32 v10, 0x37800000, v8
	v_cndmask_b32_e32 v8, v8, v10, vcc_lo
	v_cmp_class_f32_e64 vcc_lo, v7, 0x260
	s_delay_alu instid0(VALU_DEP_2) | instskip(NEXT) | instid1(VALU_DEP_1)
	v_cndmask_b32_e32 v7, v8, v7, vcc_lo
	v_add_f32_e32 v8, v7, v7
	s_delay_alu instid0(VALU_DEP_1) | instskip(NEXT) | instid1(VALU_DEP_1)
	v_div_scale_f32 v10, null, v8, v8, v9
	v_rcp_f32_e32 v11, v10
	s_waitcnt_depctr 0xfff
	v_fma_f32 v12, -v10, v11, 1.0
	s_delay_alu instid0(VALU_DEP_1) | instskip(SKIP_1) | instid1(VALU_DEP_1)
	v_fmac_f32_e32 v11, v12, v11
	v_div_scale_f32 v12, vcc_lo, v9, v8, v9
	v_mul_f32_e32 v14, v12, v11
	s_delay_alu instid0(VALU_DEP_1) | instskip(NEXT) | instid1(VALU_DEP_1)
	v_fma_f32 v15, -v10, v14, v12
	v_fmac_f32_e32 v14, v15, v11
	s_delay_alu instid0(VALU_DEP_1) | instskip(NEXT) | instid1(VALU_DEP_1)
	v_fma_f32 v10, -v10, v14, v12
	v_div_fmas_f32 v10, v10, v11, v14
                                        ; implicit-def: $vgpr11
	s_delay_alu instid0(VALU_DEP_1)
	v_div_fixup_f32 v10, v10, v8, v9
                                        ; implicit-def: $vgpr8
	s_and_not1_saveexec_b32 s15, s15
	s_cbranch_execz .LBB171_53
	s_branch .LBB171_52
.LBB171_51:
	s_and_not1_saveexec_b32 s15, s15
	s_cbranch_execz .LBB171_53
.LBB171_52:
	v_sub_f32_e32 v7, v11, v8
	s_delay_alu instid0(VALU_DEP_1) | instskip(NEXT) | instid1(VALU_DEP_1)
	v_mul_f32_e32 v7, 0.5, v7
	v_mul_f32_e32 v8, 0x4f800000, v7
	v_cmp_gt_f32_e32 vcc_lo, 0xf800000, v7
	s_delay_alu instid0(VALU_DEP_2) | instskip(NEXT) | instid1(VALU_DEP_1)
	v_cndmask_b32_e32 v7, v7, v8, vcc_lo
	v_sqrt_f32_e32 v8, v7
	s_waitcnt_depctr 0xfff
	v_add_nc_u32_e32 v10, -1, v8
	v_add_nc_u32_e32 v11, 1, v8
	s_delay_alu instid0(VALU_DEP_2) | instskip(NEXT) | instid1(VALU_DEP_2)
	v_fma_f32 v12, -v10, v8, v7
	v_fma_f32 v14, -v11, v8, v7
	s_delay_alu instid0(VALU_DEP_2) | instskip(NEXT) | instid1(VALU_DEP_1)
	v_cmp_ge_f32_e64 s1, 0, v12
	v_cndmask_b32_e64 v8, v8, v10, s1
	s_delay_alu instid0(VALU_DEP_3) | instskip(NEXT) | instid1(VALU_DEP_1)
	v_cmp_lt_f32_e64 s1, 0, v14
	v_cndmask_b32_e64 v8, v8, v11, s1
	s_delay_alu instid0(VALU_DEP_1) | instskip(NEXT) | instid1(VALU_DEP_1)
	v_mul_f32_e32 v10, 0x37800000, v8
	v_cndmask_b32_e32 v8, v8, v10, vcc_lo
	v_cmp_class_f32_e64 vcc_lo, v7, 0x260
	s_delay_alu instid0(VALU_DEP_2) | instskip(NEXT) | instid1(VALU_DEP_1)
	v_dual_cndmask_b32 v8, v8, v7 :: v_dual_and_b32 v7, 0x7fffffff, v9
	v_add_f32_e32 v10, v8, v8
	s_delay_alu instid0(VALU_DEP_1) | instskip(SKIP_1) | instid1(VALU_DEP_2)
	v_div_scale_f32 v11, null, v10, v10, v7
	v_div_scale_f32 v7, vcc_lo, v7, v10, v7
	v_rcp_f32_e32 v12, v11
	s_waitcnt_depctr 0xfff
	v_fma_f32 v14, -v11, v12, 1.0
	s_delay_alu instid0(VALU_DEP_1) | instskip(NEXT) | instid1(VALU_DEP_1)
	v_fmac_f32_e32 v12, v14, v12
	v_mul_f32_e32 v14, v7, v12
	s_delay_alu instid0(VALU_DEP_1) | instskip(NEXT) | instid1(VALU_DEP_1)
	v_fma_f32 v15, -v11, v14, v7
	v_fmac_f32_e32 v14, v15, v12
	s_delay_alu instid0(VALU_DEP_1) | instskip(NEXT) | instid1(VALU_DEP_1)
	v_fma_f32 v7, -v11, v14, v7
	v_div_fmas_f32 v7, v7, v12, v14
	s_delay_alu instid0(VALU_DEP_1)
	v_div_fixup_f32 v7, v7, v10, |v9|
	v_bfi_b32 v10, 0x7fffffff, v8, v9
.LBB171_53:
	s_or_b32 exec_lo, exec_lo, s15
                                        ; implicit-def: $vgpr9
	s_and_saveexec_b32 s1, s0
	s_delay_alu instid0(SALU_CYCLE_1)
	s_xor_b32 s0, exec_lo, s1
	s_cbranch_execz .LBB171_55
; %bb.54:
	v_dual_mul_f32 v8, 0.5, v7 :: v_dual_mul_f32 v9, 0.5, v10
	s_delay_alu instid0(VALU_DEP_1) | instskip(NEXT) | instid1(VALU_DEP_2)
	v_cndmask_b32_e64 v8, v7, v8, s14
	v_cndmask_b32_e64 v9, v10, v9, s14
                                        ; implicit-def: $vgpr7
                                        ; implicit-def: $vgpr10
	s_and_not1_saveexec_b32 s0, s0
	s_cbranch_execnz .LBB171_56
	s_branch .LBB171_57
.LBB171_55:
	s_and_not1_saveexec_b32 s0, s0
.LBB171_56:
	v_dual_add_f32 v8, v7, v7 :: v_dual_add_f32 v9, v10, v10
.LBB171_57:
	s_or_b32 exec_lo, exec_lo, s0
.LBB171_58:
	s_and_not1_saveexec_b32 s0, s13
	s_cbranch_execz .LBB171_64
; %bb.59:
	s_delay_alu instid0(VALU_DEP_1)
	v_sub_f32_e32 v7, v9, v9
	s_mov_b32 s1, exec_lo
	v_cmpx_lt_i32_e32 -1, v8
	s_xor_b32 s1, exec_lo, s1
; %bb.60:
	s_delay_alu instid0(VALU_DEP_2)
	v_bfi_b32 v9, 0x7fffffff, v7, v9
                                        ; implicit-def: $vgpr7
; %bb.61:
	s_and_not1_saveexec_b32 s1, s1
; %bb.62:
	v_and_b32_e32 v7, 0x7fffffff, v7
	s_delay_alu instid0(VALU_DEP_2) | instskip(NEXT) | instid1(VALU_DEP_2)
	v_bfi_b32 v9, 0x7fffffff, v8, v9
	v_mov_b32_e32 v8, v7
; %bb.63:
	s_or_b32 exec_lo, exec_lo, s1
.LBB171_64:
	s_delay_alu instid0(SALU_CYCLE_1)
	s_or_b32 exec_lo, exec_lo, s0
.LBB171_65:
	s_and_not1_saveexec_b32 s0, s12
; %bb.66:
	v_sub_f32_e32 v7, v9, v9
	s_delay_alu instid0(VALU_DEP_1) | instskip(NEXT) | instid1(VALU_DEP_1)
	v_div_scale_f32 v9, vcc_lo, v7, v7, v7
	v_rcp_f32_e32 v10, v9
	s_waitcnt_depctr 0xfff
	v_fma_f32 v11, -v9, v10, 1.0
	s_delay_alu instid0(VALU_DEP_1) | instskip(NEXT) | instid1(VALU_DEP_1)
	v_fmac_f32_e32 v10, v11, v10
	v_mul_f32_e32 v11, v9, v10
	s_delay_alu instid0(VALU_DEP_1) | instskip(NEXT) | instid1(VALU_DEP_1)
	v_fma_f32 v12, -v9, v11, v9
	v_fmac_f32_e32 v11, v12, v10
	s_delay_alu instid0(VALU_DEP_1) | instskip(NEXT) | instid1(VALU_DEP_1)
	v_fma_f32 v9, -v9, v11, v9
	v_div_fmas_f32 v9, v9, v10, v11
	s_delay_alu instid0(VALU_DEP_1)
	v_div_fixup_f32 v9, v9, v7, v7
; %bb.67:
	s_or_b32 exec_lo, exec_lo, s0
	v_mov_b32_e32 v10, v8
.LBB171_68:
	s_or_b32 exec_lo, exec_lo, s11
.LBB171_69:
	s_delay_alu instid0(SALU_CYCLE_1) | instskip(NEXT) | instid1(VALU_DEP_1)
	s_or_b32 exec_lo, exec_lo, s9
	v_cmp_gt_f32_e32 vcc_lo, 0, v10
	s_mov_b32 s0, exec_lo
	v_cndmask_b32_e64 v11, v10, -v10, vcc_lo
	v_cmp_gt_f32_e32 vcc_lo, 0, v9
	v_cndmask_b32_e64 v12, v9, -v9, vcc_lo
	s_delay_alu instid0(VALU_DEP_1)
	v_cmpx_ge_f32_e32 v11, v12
	s_xor_b32 s1, exec_lo, s0
	s_cbranch_execz .LBB171_75
; %bb.70:
	v_cmp_neq_f32_e32 vcc_lo, 0, v10
	v_cmp_neq_f32_e64 s0, 0, v9
	s_delay_alu instid0(VALU_DEP_1) | instskip(NEXT) | instid1(SALU_CYCLE_1)
	s_or_b32 s0, vcc_lo, s0
	s_and_saveexec_b32 s9, s0
	s_delay_alu instid0(SALU_CYCLE_1)
	s_xor_b32 s0, exec_lo, s9
	s_cbranch_execz .LBB171_72
; %bb.71:
	v_div_scale_f32 v7, null, v10, v10, v9
	v_div_scale_f32 v12, vcc_lo, v9, v10, v9
	s_delay_alu instid0(VALU_DEP_2) | instskip(SKIP_2) | instid1(VALU_DEP_1)
	v_rcp_f32_e32 v8, v7
	s_waitcnt_depctr 0xfff
	v_fma_f32 v11, -v7, v8, 1.0
	v_fmac_f32_e32 v8, v11, v8
	s_delay_alu instid0(VALU_DEP_1) | instskip(NEXT) | instid1(VALU_DEP_1)
	v_mul_f32_e32 v11, v12, v8
	v_fma_f32 v14, -v7, v11, v12
	s_delay_alu instid0(VALU_DEP_1) | instskip(NEXT) | instid1(VALU_DEP_1)
	v_fmac_f32_e32 v11, v14, v8
	v_fma_f32 v7, -v7, v11, v12
	s_delay_alu instid0(VALU_DEP_1) | instskip(NEXT) | instid1(VALU_DEP_1)
	v_div_fmas_f32 v7, v7, v8, v11
	v_div_fixup_f32 v8, v7, v10, v9
	s_delay_alu instid0(VALU_DEP_1) | instskip(NEXT) | instid1(VALU_DEP_1)
	v_fmac_f32_e32 v10, v9, v8
	v_div_scale_f32 v7, null, v10, v10, 1.0
	s_delay_alu instid0(VALU_DEP_1) | instskip(SKIP_2) | instid1(VALU_DEP_1)
	v_rcp_f32_e32 v9, v7
	s_waitcnt_depctr 0xfff
	v_fma_f32 v11, -v7, v9, 1.0
	v_fmac_f32_e32 v9, v11, v9
	v_div_scale_f32 v12, vcc_lo, 1.0, v10, 1.0
	s_delay_alu instid0(VALU_DEP_1) | instskip(NEXT) | instid1(VALU_DEP_1)
	v_mul_f32_e32 v11, v12, v9
	v_fma_f32 v14, -v7, v11, v12
	s_delay_alu instid0(VALU_DEP_1) | instskip(NEXT) | instid1(VALU_DEP_1)
	v_fmac_f32_e32 v11, v14, v9
	v_fma_f32 v7, -v7, v11, v12
                                        ; implicit-def: $vgpr12
	s_delay_alu instid0(VALU_DEP_1) | instskip(SKIP_1) | instid1(VALU_DEP_2)
	v_div_fmas_f32 v7, v7, v9, v11
	v_fma_f32 v9, v8, 0, 1.0
                                        ; implicit-def: $vgpr11
	v_div_fixup_f32 v10, v7, v10, 1.0
	s_delay_alu instid0(VALU_DEP_1)
	v_mul_f32_e32 v7, v9, v10
	v_mul_f32_e64 v8, -v8, v10
.LBB171_72:
	s_and_not1_saveexec_b32 s9, s0
	s_cbranch_execz .LBB171_74
; %bb.73:
	v_div_scale_f32 v7, null, v11, v11, 1.0
	v_div_scale_f32 v8, null, v12, v12, 0
	v_div_scale_f32 v16, vcc_lo, 1.0, v11, 1.0
	s_delay_alu instid0(VALU_DEP_3) | instskip(NEXT) | instid1(VALU_DEP_2)
	v_rcp_f32_e32 v9, v7
	v_rcp_f32_e32 v10, v8
	s_waitcnt_depctr 0xfff
	v_fma_f32 v14, -v7, v9, 1.0
	v_fma_f32 v15, -v8, v10, 1.0
	s_delay_alu instid0(VALU_DEP_1) | instskip(SKIP_1) | instid1(VALU_DEP_2)
	v_dual_fmac_f32 v9, v14, v9 :: v_dual_fmac_f32 v10, v15, v10
	v_div_scale_f32 v14, s0, 0, v12, 0
	v_mul_f32_e32 v15, v16, v9
	s_delay_alu instid0(VALU_DEP_2) | instskip(NEXT) | instid1(VALU_DEP_2)
	v_mul_f32_e32 v17, v14, v10
	v_fma_f32 v18, -v7, v15, v16
	s_delay_alu instid0(VALU_DEP_2) | instskip(NEXT) | instid1(VALU_DEP_2)
	v_fma_f32 v19, -v8, v17, v14
	v_fmac_f32_e32 v15, v18, v9
	s_delay_alu instid0(VALU_DEP_2) | instskip(NEXT) | instid1(VALU_DEP_2)
	v_fmac_f32_e32 v17, v19, v10
	v_fma_f32 v7, -v7, v15, v16
	s_delay_alu instid0(VALU_DEP_2) | instskip(NEXT) | instid1(VALU_DEP_2)
	v_fma_f32 v8, -v8, v17, v14
	v_div_fmas_f32 v7, v7, v9, v15
	s_mov_b32 vcc_lo, s0
	s_delay_alu instid0(VALU_DEP_2) | instskip(NEXT) | instid1(VALU_DEP_2)
	v_div_fmas_f32 v8, v8, v10, v17
	v_div_fixup_f32 v7, v7, v11, 1.0
	s_delay_alu instid0(VALU_DEP_2)
	v_div_fixup_f32 v8, v8, v12, 0
.LBB171_74:
	s_or_b32 exec_lo, exec_lo, s9
                                        ; implicit-def: $vgpr9
                                        ; implicit-def: $vgpr10
.LBB171_75:
	s_and_not1_saveexec_b32 s0, s1
	s_cbranch_execz .LBB171_77
; %bb.76:
	v_div_scale_f32 v7, null, v9, v9, v10
	v_div_scale_f32 v12, vcc_lo, v10, v9, v10
	s_delay_alu instid0(VALU_DEP_2) | instskip(SKIP_2) | instid1(VALU_DEP_1)
	v_rcp_f32_e32 v8, v7
	s_waitcnt_depctr 0xfff
	v_fma_f32 v11, -v7, v8, 1.0
	v_fmac_f32_e32 v8, v11, v8
	s_delay_alu instid0(VALU_DEP_1) | instskip(NEXT) | instid1(VALU_DEP_1)
	v_mul_f32_e32 v11, v12, v8
	v_fma_f32 v14, -v7, v11, v12
	s_delay_alu instid0(VALU_DEP_1) | instskip(NEXT) | instid1(VALU_DEP_1)
	v_fmac_f32_e32 v11, v14, v8
	v_fma_f32 v7, -v7, v11, v12
	s_delay_alu instid0(VALU_DEP_1) | instskip(NEXT) | instid1(VALU_DEP_1)
	v_div_fmas_f32 v7, v7, v8, v11
	v_div_fixup_f32 v7, v7, v9, v10
	s_delay_alu instid0(VALU_DEP_1) | instskip(NEXT) | instid1(VALU_DEP_1)
	v_fmac_f32_e32 v9, v10, v7
	v_div_scale_f32 v8, null, v9, v9, 1.0
	v_div_scale_f32 v12, vcc_lo, 1.0, v9, 1.0
	s_delay_alu instid0(VALU_DEP_2) | instskip(SKIP_2) | instid1(VALU_DEP_1)
	v_rcp_f32_e32 v10, v8
	s_waitcnt_depctr 0xfff
	v_fma_f32 v11, -v8, v10, 1.0
	v_fmac_f32_e32 v10, v11, v10
	s_delay_alu instid0(VALU_DEP_1) | instskip(NEXT) | instid1(VALU_DEP_1)
	v_mul_f32_e32 v11, v12, v10
	v_fma_f32 v14, -v8, v11, v12
	s_delay_alu instid0(VALU_DEP_1) | instskip(NEXT) | instid1(VALU_DEP_1)
	v_fmac_f32_e32 v11, v14, v10
	v_fma_f32 v8, -v8, v11, v12
	s_delay_alu instid0(VALU_DEP_1) | instskip(SKIP_1) | instid1(VALU_DEP_2)
	v_div_fmas_f32 v8, v8, v10, v11
	v_add_f32_e32 v10, 0, v7
	v_div_fixup_f32 v8, v8, v9, 1.0
	v_fma_f32 v9, v7, 0, -1.0
	s_delay_alu instid0(VALU_DEP_2) | instskip(NEXT) | instid1(VALU_DEP_2)
	v_mul_f32_e32 v7, v10, v8
	v_mul_f32_e32 v8, v9, v8
.LBB171_77:
	s_or_b32 exec_lo, exec_lo, s0
	s_waitcnt vmcnt(0)
	v_cmp_neq_f32_e32 vcc_lo, 0, v1
	v_cmp_neq_f32_e64 s0, 0, v2
	v_dual_mov_b32 v12, 0 :: v_dual_mov_b32 v11, v2
	s_delay_alu instid0(VALU_DEP_2) | instskip(NEXT) | instid1(SALU_CYCLE_1)
	s_or_b32 s0, vcc_lo, s0
	s_and_saveexec_b32 s9, s0
	s_cbranch_execz .LBB171_107
; %bb.78:
	v_dual_mov_b32 v12, 0x7f800000 :: v_dual_mov_b32 v11, v2
	s_mov_b32 s11, exec_lo
	v_cmpx_neq_f32_e64 0x7f800000, |v2|
	s_cbranch_execz .LBB171_106
; %bb.79:
                                        ; implicit-def: $vgpr11
                                        ; implicit-def: $vgpr12
	s_mov_b32 s0, exec_lo
	v_cmpx_o_f32_e32 v1, v1
	s_xor_b32 s12, exec_lo, s0
	s_cbranch_execz .LBB171_103
; %bb.80:
                                        ; implicit-def: $vgpr11
                                        ; implicit-def: $vgpr12
	s_mov_b32 s1, exec_lo
	v_cmpx_neq_f32_e64 0x7f800000, |v1|
	s_xor_b32 s13, exec_lo, s1
	s_cbranch_execz .LBB171_96
; %bb.81:
	v_max_f32_e64 v9, |v2|, |v2|
	v_max_f32_e64 v10, |v1|, |v1|
                                        ; implicit-def: $sgpr14
	s_delay_alu instid0(VALU_DEP_1) | instskip(NEXT) | instid1(VALU_DEP_1)
	v_max_f32_e32 v9, v10, v9
                                        ; implicit-def: $vgpr10
	v_cmp_nle_f32_e64 s0, 0x7ed413cb, v9
                                        ; implicit-def: $vgpr9
	s_delay_alu instid0(VALU_DEP_1) | instskip(NEXT) | instid1(SALU_CYCLE_1)
	s_and_saveexec_b32 s1, s0
	s_xor_b32 s1, exec_lo, s1
	s_cbranch_execz .LBB171_85
; %bb.82:
	v_cmp_ge_f32_e64 s14, 0x1000000, |v1|
	v_cmp_ge_f32_e64 s15, 0x1000000, |v2|
	v_dual_mov_b32 v10, v1 :: v_dual_mov_b32 v9, v2
	s_delay_alu instid0(VALU_DEP_2)
	s_and_b32 s16, s14, s15
	s_mov_b32 s14, 0
	s_and_saveexec_b32 s15, s16
; %bb.83:
	v_dual_mul_f32 v10, 4.0, v1 :: v_dual_mul_f32 v9, 4.0, v2
	s_mov_b32 s14, exec_lo
; %bb.84:
	s_or_b32 exec_lo, exec_lo, s15
	s_delay_alu instid0(SALU_CYCLE_1)
	s_and_b32 s14, s14, exec_lo
.LBB171_85:
	s_and_not1_saveexec_b32 s1, s1
; %bb.86:
	v_dual_mul_f32 v10, 0x3e800000, v1 :: v_dual_mul_f32 v9, 0x3e800000, v2
	s_and_not1_b32 s14, s14, exec_lo
; %bb.87:
	s_or_b32 exec_lo, exec_lo, s1
	s_delay_alu instid0(VALU_DEP_1) | instskip(NEXT) | instid1(VALU_DEP_2)
	v_max_f32_e64 v11, |v9|, |v9|
	v_max_f32_e64 v12, |v10|, |v10|
	s_delay_alu instid0(VALU_DEP_1) | instskip(NEXT) | instid1(VALU_DEP_1)
	v_max_f32_e32 v14, v12, v11
	v_cvt_f64_f32_e32 v[11:12], v14
	v_cmp_neq_f32_e64 s1, 0x7f800000, v14
                                        ; implicit-def: $vgpr14
	s_delay_alu instid0(VALU_DEP_2) | instskip(NEXT) | instid1(VALU_DEP_1)
	v_frexp_exp_i32_f64_e32 v11, v[11:12]
	v_sub_nc_u32_e32 v12, 0, v11
	s_delay_alu instid0(VALU_DEP_1) | instskip(SKIP_1) | instid1(VALU_DEP_2)
	v_ldexp_f32 v15, |v9|, v12
	v_ldexp_f32 v12, |v10|, v12
	v_mul_f32_e32 v15, v15, v15
	s_delay_alu instid0(VALU_DEP_1) | instskip(NEXT) | instid1(VALU_DEP_1)
	v_fmac_f32_e32 v15, v12, v12
	v_sqrt_f32_e32 v12, v15
                                        ; implicit-def: $vgpr15
	s_waitcnt_depctr 0xfff
	v_ldexp_f32 v11, v12, v11
	s_delay_alu instid0(VALU_DEP_1)
	v_cndmask_b32_e64 v11, 0x7f800000, v11, s1
	s_mov_b32 s1, exec_lo
	v_cmpx_le_f32_e32 0, v10
	s_xor_b32 s15, exec_lo, s1
	s_cbranch_execz .LBB171_89
; %bb.88:
	v_add_f32_e32 v10, v10, v11
	s_delay_alu instid0(VALU_DEP_1) | instskip(NEXT) | instid1(VALU_DEP_1)
	v_mul_f32_e32 v10, 0.5, v10
	v_mul_f32_e32 v11, 0x4f800000, v10
	v_cmp_gt_f32_e32 vcc_lo, 0xf800000, v10
	s_delay_alu instid0(VALU_DEP_2) | instskip(NEXT) | instid1(VALU_DEP_1)
	v_cndmask_b32_e32 v10, v10, v11, vcc_lo
	v_sqrt_f32_e32 v11, v10
	s_waitcnt_depctr 0xfff
	v_add_nc_u32_e32 v12, -1, v11
	v_add_nc_u32_e32 v14, 1, v11
	s_delay_alu instid0(VALU_DEP_2) | instskip(NEXT) | instid1(VALU_DEP_2)
	v_fma_f32 v15, -v12, v11, v10
	v_fma_f32 v16, -v14, v11, v10
	s_delay_alu instid0(VALU_DEP_2) | instskip(NEXT) | instid1(VALU_DEP_1)
	v_cmp_ge_f32_e64 s1, 0, v15
	v_cndmask_b32_e64 v11, v11, v12, s1
	s_delay_alu instid0(VALU_DEP_3) | instskip(NEXT) | instid1(VALU_DEP_1)
	v_cmp_lt_f32_e64 s1, 0, v16
	v_cndmask_b32_e64 v11, v11, v14, s1
	s_delay_alu instid0(VALU_DEP_1) | instskip(NEXT) | instid1(VALU_DEP_1)
	v_mul_f32_e32 v12, 0x37800000, v11
	v_cndmask_b32_e32 v11, v11, v12, vcc_lo
	v_cmp_class_f32_e64 vcc_lo, v10, 0x260
	s_delay_alu instid0(VALU_DEP_2) | instskip(NEXT) | instid1(VALU_DEP_1)
	v_cndmask_b32_e32 v14, v11, v10, vcc_lo
	v_add_f32_e32 v10, v14, v14
	s_delay_alu instid0(VALU_DEP_1) | instskip(NEXT) | instid1(VALU_DEP_1)
	v_div_scale_f32 v11, null, v10, v10, v9
	v_rcp_f32_e32 v12, v11
	s_waitcnt_depctr 0xfff
	v_fma_f32 v15, -v11, v12, 1.0
	s_delay_alu instid0(VALU_DEP_1) | instskip(SKIP_1) | instid1(VALU_DEP_1)
	v_fmac_f32_e32 v12, v15, v12
	v_div_scale_f32 v15, vcc_lo, v9, v10, v9
	v_mul_f32_e32 v16, v15, v12
	s_delay_alu instid0(VALU_DEP_1) | instskip(NEXT) | instid1(VALU_DEP_1)
	v_fma_f32 v17, -v11, v16, v15
	v_fmac_f32_e32 v16, v17, v12
	s_delay_alu instid0(VALU_DEP_1) | instskip(NEXT) | instid1(VALU_DEP_1)
	v_fma_f32 v11, -v11, v16, v15
	v_div_fmas_f32 v11, v11, v12, v16
	s_delay_alu instid0(VALU_DEP_1)
	v_div_fixup_f32 v15, v11, v10, v9
                                        ; implicit-def: $vgpr11
                                        ; implicit-def: $vgpr10
                                        ; implicit-def: $vgpr9
	s_and_not1_saveexec_b32 s15, s15
	s_cbranch_execz .LBB171_91
	s_branch .LBB171_90
.LBB171_89:
	s_and_not1_saveexec_b32 s15, s15
	s_cbranch_execz .LBB171_91
.LBB171_90:
	v_sub_f32_e32 v10, v11, v10
	s_delay_alu instid0(VALU_DEP_1) | instskip(NEXT) | instid1(VALU_DEP_1)
	v_mul_f32_e32 v10, 0.5, v10
	v_mul_f32_e32 v11, 0x4f800000, v10
	v_cmp_gt_f32_e32 vcc_lo, 0xf800000, v10
	s_delay_alu instid0(VALU_DEP_2) | instskip(NEXT) | instid1(VALU_DEP_1)
	v_cndmask_b32_e32 v10, v10, v11, vcc_lo
	v_sqrt_f32_e32 v11, v10
	s_waitcnt_depctr 0xfff
	v_add_nc_u32_e32 v12, -1, v11
	v_add_nc_u32_e32 v14, 1, v11
	s_delay_alu instid0(VALU_DEP_2) | instskip(NEXT) | instid1(VALU_DEP_2)
	v_fma_f32 v15, -v12, v11, v10
	v_fma_f32 v16, -v14, v11, v10
	s_delay_alu instid0(VALU_DEP_2) | instskip(NEXT) | instid1(VALU_DEP_1)
	v_cmp_ge_f32_e64 s1, 0, v15
	v_cndmask_b32_e64 v11, v11, v12, s1
	s_delay_alu instid0(VALU_DEP_3) | instskip(NEXT) | instid1(VALU_DEP_1)
	v_cmp_lt_f32_e64 s1, 0, v16
	v_cndmask_b32_e64 v11, v11, v14, s1
	s_delay_alu instid0(VALU_DEP_1) | instskip(NEXT) | instid1(VALU_DEP_1)
	v_mul_f32_e32 v12, 0x37800000, v11
	v_cndmask_b32_e32 v11, v11, v12, vcc_lo
	v_cmp_class_f32_e64 vcc_lo, v10, 0x260
	s_delay_alu instid0(VALU_DEP_2) | instskip(NEXT) | instid1(VALU_DEP_1)
	v_dual_cndmask_b32 v10, v11, v10 :: v_dual_and_b32 v11, 0x7fffffff, v9
	v_add_f32_e32 v12, v10, v10
	s_delay_alu instid0(VALU_DEP_1) | instskip(SKIP_1) | instid1(VALU_DEP_2)
	v_div_scale_f32 v14, null, v12, v12, v11
	v_div_scale_f32 v11, vcc_lo, v11, v12, v11
	v_rcp_f32_e32 v15, v14
	s_waitcnt_depctr 0xfff
	v_fma_f32 v16, -v14, v15, 1.0
	s_delay_alu instid0(VALU_DEP_1) | instskip(NEXT) | instid1(VALU_DEP_1)
	v_fmac_f32_e32 v15, v16, v15
	v_mul_f32_e32 v16, v11, v15
	s_delay_alu instid0(VALU_DEP_1) | instskip(NEXT) | instid1(VALU_DEP_1)
	v_fma_f32 v17, -v14, v16, v11
	v_fmac_f32_e32 v16, v17, v15
	s_delay_alu instid0(VALU_DEP_1) | instskip(NEXT) | instid1(VALU_DEP_1)
	v_fma_f32 v11, -v14, v16, v11
	v_div_fmas_f32 v11, v11, v15, v16
	v_bfi_b32 v15, 0x7fffffff, v10, v9
	s_delay_alu instid0(VALU_DEP_2)
	v_div_fixup_f32 v14, v11, v12, |v9|
.LBB171_91:
	s_or_b32 exec_lo, exec_lo, s15
                                        ; implicit-def: $vgpr11
                                        ; implicit-def: $vgpr12
	s_and_saveexec_b32 s1, s0
	s_delay_alu instid0(SALU_CYCLE_1)
	s_xor_b32 s0, exec_lo, s1
	s_cbranch_execz .LBB171_93
; %bb.92:
	v_dual_mul_f32 v9, 0.5, v14 :: v_dual_mul_f32 v10, 0.5, v15
	s_delay_alu instid0(VALU_DEP_1) | instskip(NEXT) | instid1(VALU_DEP_2)
	v_cndmask_b32_e64 v12, v14, v9, s14
	v_cndmask_b32_e64 v11, v15, v10, s14
                                        ; implicit-def: $vgpr14
                                        ; implicit-def: $vgpr15
	s_and_not1_saveexec_b32 s0, s0
	s_cbranch_execnz .LBB171_94
	s_branch .LBB171_95
.LBB171_93:
	s_and_not1_saveexec_b32 s0, s0
.LBB171_94:
	v_dual_add_f32 v12, v14, v14 :: v_dual_add_f32 v11, v15, v15
.LBB171_95:
	s_or_b32 exec_lo, exec_lo, s0
.LBB171_96:
	s_and_not1_saveexec_b32 s0, s13
	s_cbranch_execz .LBB171_102
; %bb.97:
	v_sub_f32_e32 v9, v2, v2
	s_mov_b32 s1, exec_lo
                                        ; implicit-def: $vgpr11
	v_cmpx_lt_i32_e32 -1, v1
	s_xor_b32 s1, exec_lo, s1
; %bb.98:
	s_delay_alu instid0(VALU_DEP_2)
	v_bfi_b32 v11, 0x7fffffff, v9, v2
                                        ; implicit-def: $vgpr9
; %bb.99:
	s_or_saveexec_b32 s1, s1
	v_mov_b32_e32 v12, v1
	s_xor_b32 exec_lo, exec_lo, s1
; %bb.100:
	v_and_b32_e32 v12, 0x7fffffff, v9
	v_bfi_b32 v11, 0x7fffffff, v1, v2
; %bb.101:
	s_or_b32 exec_lo, exec_lo, s1
.LBB171_102:
	s_delay_alu instid0(SALU_CYCLE_1)
	s_or_b32 exec_lo, exec_lo, s0
.LBB171_103:
	s_and_not1_saveexec_b32 s0, s12
; %bb.104:
	v_sub_f32_e32 v2, v2, v2
	s_delay_alu instid0(VALU_DEP_1) | instskip(NEXT) | instid1(VALU_DEP_1)
	v_div_scale_f32 v9, vcc_lo, v2, v2, v2
	v_rcp_f32_e32 v10, v9
	s_waitcnt_depctr 0xfff
	v_fma_f32 v11, -v9, v10, 1.0
	s_delay_alu instid0(VALU_DEP_1) | instskip(NEXT) | instid1(VALU_DEP_1)
	v_fmac_f32_e32 v10, v11, v10
	v_mul_f32_e32 v11, v9, v10
	s_delay_alu instid0(VALU_DEP_1) | instskip(NEXT) | instid1(VALU_DEP_1)
	v_fma_f32 v12, -v9, v11, v9
	v_dual_fmac_f32 v11, v12, v10 :: v_dual_mov_b32 v12, v1
	s_delay_alu instid0(VALU_DEP_1) | instskip(NEXT) | instid1(VALU_DEP_1)
	v_fma_f32 v9, -v9, v11, v9
	v_div_fmas_f32 v9, v9, v10, v11
	s_delay_alu instid0(VALU_DEP_1)
	v_div_fixup_f32 v11, v9, v2, v2
; %bb.105:
	s_or_b32 exec_lo, exec_lo, s0
.LBB171_106:
	s_delay_alu instid0(SALU_CYCLE_1)
	s_or_b32 exec_lo, exec_lo, s11
.LBB171_107:
	s_delay_alu instid0(SALU_CYCLE_1)
	s_or_b32 exec_lo, exec_lo, s9
	v_cmp_gt_f32_e32 vcc_lo, 0, v12
                                        ; implicit-def: $vgpr10
	s_mov_b32 s0, exec_lo
	v_cndmask_b32_e64 v1, v12, -v12, vcc_lo
	v_cmp_gt_f32_e32 vcc_lo, 0, v11
	v_cndmask_b32_e64 v2, v11, -v11, vcc_lo
	s_delay_alu instid0(VALU_DEP_1)
	v_cmpx_ge_f32_e32 v1, v2
	s_xor_b32 s1, exec_lo, s0
	s_cbranch_execz .LBB171_113
; %bb.108:
	v_cmp_neq_f32_e32 vcc_lo, 0, v12
	v_cmp_neq_f32_e64 s0, 0, v11
                                        ; implicit-def: $vgpr10
	s_delay_alu instid0(VALU_DEP_1) | instskip(NEXT) | instid1(SALU_CYCLE_1)
	s_or_b32 s0, vcc_lo, s0
	s_and_saveexec_b32 s9, s0
	s_delay_alu instid0(SALU_CYCLE_1)
	s_xor_b32 s0, exec_lo, s9
	s_cbranch_execz .LBB171_110
; %bb.109:
	v_div_scale_f32 v1, null, v12, v12, v11
	v_div_scale_f32 v10, vcc_lo, v11, v12, v11
	s_delay_alu instid0(VALU_DEP_2) | instskip(SKIP_2) | instid1(VALU_DEP_1)
	v_rcp_f32_e32 v2, v1
	s_waitcnt_depctr 0xfff
	v_fma_f32 v9, -v1, v2, 1.0
	v_fmac_f32_e32 v2, v9, v2
	s_delay_alu instid0(VALU_DEP_1) | instskip(NEXT) | instid1(VALU_DEP_1)
	v_mul_f32_e32 v9, v10, v2
	v_fma_f32 v14, -v1, v9, v10
	s_delay_alu instid0(VALU_DEP_1) | instskip(NEXT) | instid1(VALU_DEP_1)
	v_fmac_f32_e32 v9, v14, v2
	v_fma_f32 v1, -v1, v9, v10
	s_delay_alu instid0(VALU_DEP_1) | instskip(NEXT) | instid1(VALU_DEP_1)
	v_div_fmas_f32 v1, v1, v2, v9
	v_div_fixup_f32 v1, v1, v12, v11
	s_delay_alu instid0(VALU_DEP_1) | instskip(NEXT) | instid1(VALU_DEP_1)
	v_fmac_f32_e32 v12, v11, v1
	v_div_scale_f32 v2, null, v12, v12, 1.0
	v_div_scale_f32 v11, vcc_lo, 1.0, v12, 1.0
	s_delay_alu instid0(VALU_DEP_2) | instskip(SKIP_2) | instid1(VALU_DEP_1)
	v_rcp_f32_e32 v9, v2
	s_waitcnt_depctr 0xfff
	v_fma_f32 v10, -v2, v9, 1.0
	v_fmac_f32_e32 v9, v10, v9
	s_delay_alu instid0(VALU_DEP_1) | instskip(NEXT) | instid1(VALU_DEP_1)
	v_mul_f32_e32 v10, v11, v9
	v_fma_f32 v14, -v2, v10, v11
	s_delay_alu instid0(VALU_DEP_1) | instskip(NEXT) | instid1(VALU_DEP_1)
	v_fmac_f32_e32 v10, v14, v9
	v_fma_f32 v2, -v2, v10, v11
	s_delay_alu instid0(VALU_DEP_1) | instskip(SKIP_1) | instid1(VALU_DEP_2)
	v_div_fmas_f32 v2, v2, v9, v10
	v_fma_f32 v9, v1, 0, 1.0
	v_div_fixup_f32 v2, v2, v12, 1.0
	s_delay_alu instid0(VALU_DEP_1)
	v_mul_f32_e32 v9, v9, v2
	v_mul_f32_e64 v10, -v1, v2
                                        ; implicit-def: $vgpr1
                                        ; implicit-def: $vgpr2
.LBB171_110:
	s_and_not1_saveexec_b32 s9, s0
	s_cbranch_execz .LBB171_112
; %bb.111:
	v_div_scale_f32 v9, null, v1, v1, 1.0
	v_div_scale_f32 v10, null, v2, v2, 0
	v_div_scale_f32 v16, vcc_lo, 1.0, v1, 1.0
	s_delay_alu instid0(VALU_DEP_3) | instskip(NEXT) | instid1(VALU_DEP_2)
	v_rcp_f32_e32 v11, v9
	v_rcp_f32_e32 v12, v10
	s_waitcnt_depctr 0xfff
	v_fma_f32 v14, -v9, v11, 1.0
	v_fma_f32 v15, -v10, v12, 1.0
	s_delay_alu instid0(VALU_DEP_1) | instskip(SKIP_1) | instid1(VALU_DEP_2)
	v_dual_fmac_f32 v11, v14, v11 :: v_dual_fmac_f32 v12, v15, v12
	v_div_scale_f32 v14, s0, 0, v2, 0
	v_mul_f32_e32 v15, v16, v11
	s_delay_alu instid0(VALU_DEP_2) | instskip(NEXT) | instid1(VALU_DEP_2)
	v_mul_f32_e32 v17, v14, v12
	v_fma_f32 v18, -v9, v15, v16
	s_delay_alu instid0(VALU_DEP_2) | instskip(NEXT) | instid1(VALU_DEP_2)
	v_fma_f32 v19, -v10, v17, v14
	v_fmac_f32_e32 v15, v18, v11
	s_delay_alu instid0(VALU_DEP_2) | instskip(NEXT) | instid1(VALU_DEP_2)
	v_fmac_f32_e32 v17, v19, v12
	v_fma_f32 v9, -v9, v15, v16
	s_delay_alu instid0(VALU_DEP_2) | instskip(NEXT) | instid1(VALU_DEP_2)
	v_fma_f32 v10, -v10, v17, v14
	v_div_fmas_f32 v9, v9, v11, v15
	s_mov_b32 vcc_lo, s0
	s_delay_alu instid0(VALU_DEP_2) | instskip(NEXT) | instid1(VALU_DEP_2)
	v_div_fmas_f32 v10, v10, v12, v17
	v_div_fixup_f32 v9, v9, v1, 1.0
	s_delay_alu instid0(VALU_DEP_2)
	v_div_fixup_f32 v10, v10, v2, 0
.LBB171_112:
	s_or_b32 exec_lo, exec_lo, s9
                                        ; implicit-def: $vgpr11
                                        ; implicit-def: $vgpr12
.LBB171_113:
	s_and_not1_saveexec_b32 s0, s1
	s_cbranch_execz .LBB171_115
; %bb.114:
	v_div_scale_f32 v1, null, v11, v11, v12
	v_div_scale_f32 v10, vcc_lo, v12, v11, v12
	s_delay_alu instid0(VALU_DEP_2) | instskip(SKIP_2) | instid1(VALU_DEP_1)
	v_rcp_f32_e32 v2, v1
	s_waitcnt_depctr 0xfff
	v_fma_f32 v9, -v1, v2, 1.0
	v_fmac_f32_e32 v2, v9, v2
	s_delay_alu instid0(VALU_DEP_1) | instskip(NEXT) | instid1(VALU_DEP_1)
	v_mul_f32_e32 v9, v10, v2
	v_fma_f32 v14, -v1, v9, v10
	s_delay_alu instid0(VALU_DEP_1) | instskip(NEXT) | instid1(VALU_DEP_1)
	v_fmac_f32_e32 v9, v14, v2
	v_fma_f32 v1, -v1, v9, v10
	s_delay_alu instid0(VALU_DEP_1) | instskip(NEXT) | instid1(VALU_DEP_1)
	v_div_fmas_f32 v1, v1, v2, v9
	v_div_fixup_f32 v1, v1, v11, v12
	s_delay_alu instid0(VALU_DEP_1) | instskip(NEXT) | instid1(VALU_DEP_1)
	v_fmac_f32_e32 v11, v12, v1
	v_div_scale_f32 v2, null, v11, v11, 1.0
	v_div_scale_f32 v12, vcc_lo, 1.0, v11, 1.0
	s_delay_alu instid0(VALU_DEP_2) | instskip(SKIP_2) | instid1(VALU_DEP_1)
	v_rcp_f32_e32 v9, v2
	s_waitcnt_depctr 0xfff
	v_fma_f32 v10, -v2, v9, 1.0
	v_fmac_f32_e32 v9, v10, v9
	s_delay_alu instid0(VALU_DEP_1) | instskip(NEXT) | instid1(VALU_DEP_1)
	v_mul_f32_e32 v10, v12, v9
	v_fma_f32 v14, -v2, v10, v12
	s_delay_alu instid0(VALU_DEP_1) | instskip(NEXT) | instid1(VALU_DEP_1)
	v_fmac_f32_e32 v10, v14, v9
	v_fma_f32 v2, -v2, v10, v12
	s_delay_alu instid0(VALU_DEP_1) | instskip(SKIP_2) | instid1(VALU_DEP_3)
	v_div_fmas_f32 v2, v2, v9, v10
	v_add_f32_e32 v9, 0, v1
	v_fma_f32 v1, v1, 0, -1.0
	v_div_fixup_f32 v2, v2, v11, 1.0
	s_delay_alu instid0(VALU_DEP_1) | instskip(NEXT) | instid1(VALU_DEP_3)
	v_mul_f32_e32 v9, v9, v2
	v_mul_f32_e32 v10, v1, v2
.LBB171_115:
	s_or_b32 exec_lo, exec_lo, s0
	v_cmp_neq_f32_e32 vcc_lo, 0, v3
	v_cmp_neq_f32_e64 s0, 0, v4
	v_mov_b32_e32 v1, 0
	s_delay_alu instid0(VALU_DEP_2) | instskip(NEXT) | instid1(SALU_CYCLE_1)
	s_or_b32 s0, vcc_lo, s0
	s_and_saveexec_b32 s9, s0
	s_cbranch_execz .LBB171_145
; %bb.116:
	v_mov_b32_e32 v1, 0x7f800000
	s_mov_b32 s11, exec_lo
	v_cmpx_neq_f32_e64 0x7f800000, |v4|
	s_cbranch_execz .LBB171_144
; %bb.117:
	s_mov_b32 s0, exec_lo
	v_cmpx_o_f32_e32 v3, v3
	s_xor_b32 s12, exec_lo, s0
	s_cbranch_execz .LBB171_141
; %bb.118:
	s_mov_b32 s1, exec_lo
	v_cmpx_neq_f32_e64 0x7f800000, |v3|
	s_xor_b32 s13, exec_lo, s1
	s_cbranch_execz .LBB171_134
; %bb.119:
	v_max_f32_e64 v1, |v4|, |v4|
	v_max_f32_e64 v2, |v3|, |v3|
                                        ; implicit-def: $sgpr14
	s_delay_alu instid0(VALU_DEP_1) | instskip(NEXT) | instid1(VALU_DEP_1)
	v_max_f32_e32 v1, v2, v1
	v_cmp_nle_f32_e64 s0, 0x7ed413cb, v1
	s_delay_alu instid0(VALU_DEP_1) | instskip(NEXT) | instid1(SALU_CYCLE_1)
	s_and_saveexec_b32 s1, s0
	s_xor_b32 s1, exec_lo, s1
	s_cbranch_execz .LBB171_123
; %bb.120:
	v_cmp_ge_f32_e64 s14, 0x1000000, |v3|
	v_cmp_ge_f32_e64 s15, 0x1000000, |v4|
	s_delay_alu instid0(VALU_DEP_1)
	s_and_b32 s16, s14, s15
	s_mov_b32 s14, 0
	s_and_saveexec_b32 s15, s16
; %bb.121:
	v_dual_mul_f32 v3, 4.0, v3 :: v_dual_mul_f32 v4, 4.0, v4
	s_mov_b32 s14, exec_lo
; %bb.122:
	s_or_b32 exec_lo, exec_lo, s15
	s_delay_alu instid0(SALU_CYCLE_1)
	s_and_b32 s14, s14, exec_lo
.LBB171_123:
	s_and_not1_saveexec_b32 s1, s1
; %bb.124:
	v_dual_mul_f32 v3, 0x3e800000, v3 :: v_dual_mul_f32 v4, 0x3e800000, v4
	s_and_not1_b32 s14, s14, exec_lo
; %bb.125:
	s_or_b32 exec_lo, exec_lo, s1
	s_delay_alu instid0(VALU_DEP_1) | instskip(NEXT) | instid1(VALU_DEP_2)
	v_max_f32_e64 v1, |v4|, |v4|
	v_max_f32_e64 v2, |v3|, |v3|
	s_delay_alu instid0(VALU_DEP_1) | instskip(NEXT) | instid1(VALU_DEP_1)
	v_max_f32_e32 v11, v2, v1
	v_cvt_f64_f32_e32 v[1:2], v11
	s_delay_alu instid0(VALU_DEP_1) | instskip(NEXT) | instid1(VALU_DEP_1)
	v_frexp_exp_i32_f64_e32 v1, v[1:2]
	v_sub_nc_u32_e32 v2, 0, v1
	s_delay_alu instid0(VALU_DEP_1) | instskip(SKIP_1) | instid1(VALU_DEP_2)
	v_ldexp_f32 v12, |v4|, v2
	v_ldexp_f32 v2, |v3|, v2
	v_mul_f32_e32 v12, v12, v12
	v_cmp_neq_f32_e64 s1, 0x7f800000, v11
	s_delay_alu instid0(VALU_DEP_2) | instskip(NEXT) | instid1(VALU_DEP_1)
	v_fmac_f32_e32 v12, v2, v2
	v_sqrt_f32_e32 v2, v12
	s_waitcnt_depctr 0xfff
	v_ldexp_f32 v1, v2, v1
                                        ; implicit-def: $vgpr2
	s_delay_alu instid0(VALU_DEP_1)
	v_cndmask_b32_e64 v11, 0x7f800000, v1, s1
                                        ; implicit-def: $vgpr1
	s_mov_b32 s1, exec_lo
	v_cmpx_le_f32_e32 0, v3
	s_xor_b32 s15, exec_lo, s1
	s_cbranch_execz .LBB171_127
; %bb.126:
	v_add_f32_e32 v1, v3, v11
	s_delay_alu instid0(VALU_DEP_1) | instskip(NEXT) | instid1(VALU_DEP_1)
	v_mul_f32_e32 v1, 0.5, v1
	v_mul_f32_e32 v2, 0x4f800000, v1
	v_cmp_gt_f32_e32 vcc_lo, 0xf800000, v1
	s_delay_alu instid0(VALU_DEP_2) | instskip(NEXT) | instid1(VALU_DEP_1)
	v_cndmask_b32_e32 v1, v1, v2, vcc_lo
	v_sqrt_f32_e32 v2, v1
	s_waitcnt_depctr 0xfff
	v_add_nc_u32_e32 v3, -1, v2
	v_add_nc_u32_e32 v11, 1, v2
	s_delay_alu instid0(VALU_DEP_2) | instskip(NEXT) | instid1(VALU_DEP_2)
	v_fma_f32 v12, -v3, v2, v1
	v_fma_f32 v14, -v11, v2, v1
	s_delay_alu instid0(VALU_DEP_2) | instskip(NEXT) | instid1(VALU_DEP_1)
	v_cmp_ge_f32_e64 s1, 0, v12
	v_cndmask_b32_e64 v2, v2, v3, s1
	s_delay_alu instid0(VALU_DEP_3) | instskip(NEXT) | instid1(VALU_DEP_1)
	v_cmp_lt_f32_e64 s1, 0, v14
	v_cndmask_b32_e64 v2, v2, v11, s1
	s_delay_alu instid0(VALU_DEP_1) | instskip(NEXT) | instid1(VALU_DEP_1)
	v_mul_f32_e32 v3, 0x37800000, v2
	v_cndmask_b32_e32 v2, v2, v3, vcc_lo
	v_cmp_class_f32_e64 vcc_lo, v1, 0x260
	s_delay_alu instid0(VALU_DEP_2) | instskip(NEXT) | instid1(VALU_DEP_1)
	v_cndmask_b32_e32 v1, v2, v1, vcc_lo
	v_add_f32_e32 v2, v1, v1
	s_delay_alu instid0(VALU_DEP_1) | instskip(NEXT) | instid1(VALU_DEP_1)
	v_div_scale_f32 v3, null, v2, v2, v4
	v_rcp_f32_e32 v11, v3
	s_waitcnt_depctr 0xfff
	v_fma_f32 v12, -v3, v11, 1.0
	s_delay_alu instid0(VALU_DEP_1) | instskip(SKIP_1) | instid1(VALU_DEP_1)
	v_fmac_f32_e32 v11, v12, v11
	v_div_scale_f32 v12, vcc_lo, v4, v2, v4
	v_mul_f32_e32 v14, v12, v11
	s_delay_alu instid0(VALU_DEP_1) | instskip(NEXT) | instid1(VALU_DEP_1)
	v_fma_f32 v15, -v3, v14, v12
	v_fmac_f32_e32 v14, v15, v11
	s_delay_alu instid0(VALU_DEP_1) | instskip(NEXT) | instid1(VALU_DEP_1)
	v_fma_f32 v3, -v3, v14, v12
	v_div_fmas_f32 v3, v3, v11, v14
                                        ; implicit-def: $vgpr11
	s_delay_alu instid0(VALU_DEP_1)
	v_div_fixup_f32 v2, v3, v2, v4
                                        ; implicit-def: $vgpr3
	s_and_not1_saveexec_b32 s15, s15
	s_cbranch_execz .LBB171_129
	s_branch .LBB171_128
.LBB171_127:
	s_and_not1_saveexec_b32 s15, s15
	s_cbranch_execz .LBB171_129
.LBB171_128:
	v_sub_f32_e32 v1, v11, v3
	s_delay_alu instid0(VALU_DEP_1) | instskip(NEXT) | instid1(VALU_DEP_1)
	v_mul_f32_e32 v1, 0.5, v1
	v_mul_f32_e32 v2, 0x4f800000, v1
	v_cmp_gt_f32_e32 vcc_lo, 0xf800000, v1
	s_delay_alu instid0(VALU_DEP_2) | instskip(NEXT) | instid1(VALU_DEP_1)
	v_cndmask_b32_e32 v1, v1, v2, vcc_lo
	v_sqrt_f32_e32 v2, v1
	s_waitcnt_depctr 0xfff
	v_add_nc_u32_e32 v3, -1, v2
	v_add_nc_u32_e32 v11, 1, v2
	s_delay_alu instid0(VALU_DEP_2) | instskip(NEXT) | instid1(VALU_DEP_2)
	v_fma_f32 v12, -v3, v2, v1
	v_fma_f32 v14, -v11, v2, v1
	s_delay_alu instid0(VALU_DEP_2) | instskip(NEXT) | instid1(VALU_DEP_1)
	v_cmp_ge_f32_e64 s1, 0, v12
	v_cndmask_b32_e64 v2, v2, v3, s1
	s_delay_alu instid0(VALU_DEP_3) | instskip(NEXT) | instid1(VALU_DEP_1)
	v_cmp_lt_f32_e64 s1, 0, v14
	v_cndmask_b32_e64 v2, v2, v11, s1
	s_delay_alu instid0(VALU_DEP_1) | instskip(NEXT) | instid1(VALU_DEP_1)
	v_mul_f32_e32 v3, 0x37800000, v2
	v_cndmask_b32_e32 v2, v2, v3, vcc_lo
	v_cmp_class_f32_e64 vcc_lo, v1, 0x260
	s_delay_alu instid0(VALU_DEP_2) | instskip(NEXT) | instid1(VALU_DEP_1)
	v_dual_cndmask_b32 v2, v2, v1 :: v_dual_and_b32 v1, 0x7fffffff, v4
	v_add_f32_e32 v3, v2, v2
	v_bfi_b32 v2, 0x7fffffff, v2, v4
	s_delay_alu instid0(VALU_DEP_2) | instskip(SKIP_1) | instid1(VALU_DEP_2)
	v_div_scale_f32 v11, null, v3, v3, v1
	v_div_scale_f32 v1, vcc_lo, v1, v3, v1
	v_rcp_f32_e32 v12, v11
	s_waitcnt_depctr 0xfff
	v_fma_f32 v14, -v11, v12, 1.0
	s_delay_alu instid0(VALU_DEP_1) | instskip(NEXT) | instid1(VALU_DEP_1)
	v_fmac_f32_e32 v12, v14, v12
	v_mul_f32_e32 v14, v1, v12
	s_delay_alu instid0(VALU_DEP_1) | instskip(NEXT) | instid1(VALU_DEP_1)
	v_fma_f32 v15, -v11, v14, v1
	v_fmac_f32_e32 v14, v15, v12
	s_delay_alu instid0(VALU_DEP_1) | instskip(NEXT) | instid1(VALU_DEP_1)
	v_fma_f32 v1, -v11, v14, v1
	v_div_fmas_f32 v1, v1, v12, v14
	s_delay_alu instid0(VALU_DEP_1)
	v_div_fixup_f32 v1, v1, v3, |v4|
.LBB171_129:
	s_or_b32 exec_lo, exec_lo, s15
                                        ; implicit-def: $vgpr4
	s_and_saveexec_b32 s1, s0
	s_delay_alu instid0(SALU_CYCLE_1)
	s_xor_b32 s0, exec_lo, s1
	s_cbranch_execz .LBB171_131
; %bb.130:
	v_dual_mul_f32 v3, 0.5, v1 :: v_dual_mul_f32 v4, 0.5, v2
	s_delay_alu instid0(VALU_DEP_1) | instskip(NEXT) | instid1(VALU_DEP_2)
	v_cndmask_b32_e64 v3, v1, v3, s14
	v_cndmask_b32_e64 v4, v2, v4, s14
                                        ; implicit-def: $vgpr1
                                        ; implicit-def: $vgpr2
	s_and_not1_saveexec_b32 s0, s0
	s_cbranch_execnz .LBB171_132
	s_branch .LBB171_133
.LBB171_131:
	s_and_not1_saveexec_b32 s0, s0
.LBB171_132:
	v_dual_add_f32 v3, v1, v1 :: v_dual_add_f32 v4, v2, v2
.LBB171_133:
	s_or_b32 exec_lo, exec_lo, s0
.LBB171_134:
	s_and_not1_saveexec_b32 s0, s13
	s_cbranch_execz .LBB171_140
; %bb.135:
	s_delay_alu instid0(VALU_DEP_1)
	v_sub_f32_e32 v1, v4, v4
	s_mov_b32 s1, exec_lo
	v_cmpx_lt_i32_e32 -1, v3
	s_xor_b32 s1, exec_lo, s1
; %bb.136:
	s_delay_alu instid0(VALU_DEP_2)
	v_bfi_b32 v4, 0x7fffffff, v1, v4
                                        ; implicit-def: $vgpr1
; %bb.137:
	s_and_not1_saveexec_b32 s1, s1
; %bb.138:
	v_and_b32_e32 v1, 0x7fffffff, v1
	s_delay_alu instid0(VALU_DEP_2) | instskip(NEXT) | instid1(VALU_DEP_2)
	v_bfi_b32 v4, 0x7fffffff, v3, v4
	v_mov_b32_e32 v3, v1
; %bb.139:
	s_or_b32 exec_lo, exec_lo, s1
.LBB171_140:
	s_delay_alu instid0(SALU_CYCLE_1)
	s_or_b32 exec_lo, exec_lo, s0
.LBB171_141:
	s_and_not1_saveexec_b32 s0, s12
; %bb.142:
	v_sub_f32_e32 v1, v4, v4
	s_delay_alu instid0(VALU_DEP_1) | instskip(NEXT) | instid1(VALU_DEP_1)
	v_div_scale_f32 v2, vcc_lo, v1, v1, v1
	v_rcp_f32_e32 v4, v2
	s_waitcnt_depctr 0xfff
	v_fma_f32 v11, -v2, v4, 1.0
	s_delay_alu instid0(VALU_DEP_1) | instskip(NEXT) | instid1(VALU_DEP_1)
	v_fmac_f32_e32 v4, v11, v4
	v_mul_f32_e32 v11, v2, v4
	s_delay_alu instid0(VALU_DEP_1) | instskip(NEXT) | instid1(VALU_DEP_1)
	v_fma_f32 v12, -v2, v11, v2
	v_fmac_f32_e32 v11, v12, v4
	s_delay_alu instid0(VALU_DEP_1) | instskip(NEXT) | instid1(VALU_DEP_1)
	v_fma_f32 v2, -v2, v11, v2
	v_div_fmas_f32 v2, v2, v4, v11
	s_delay_alu instid0(VALU_DEP_1)
	v_div_fixup_f32 v4, v2, v1, v1
; %bb.143:
	s_or_b32 exec_lo, exec_lo, s0
	v_mov_b32_e32 v1, v3
.LBB171_144:
	s_or_b32 exec_lo, exec_lo, s11
.LBB171_145:
	s_delay_alu instid0(SALU_CYCLE_1) | instskip(NEXT) | instid1(VALU_DEP_1)
	s_or_b32 exec_lo, exec_lo, s9
	v_cmp_gt_f32_e32 vcc_lo, 0, v1
	s_mov_b32 s0, exec_lo
	v_cndmask_b32_e64 v2, v1, -v1, vcc_lo
	v_cmp_gt_f32_e32 vcc_lo, 0, v4
	v_cndmask_b32_e64 v3, v4, -v4, vcc_lo
	s_delay_alu instid0(VALU_DEP_1)
	v_cmpx_ge_f32_e32 v2, v3
	s_xor_b32 s1, exec_lo, s0
	s_cbranch_execz .LBB171_151
; %bb.146:
	v_cmp_neq_f32_e32 vcc_lo, 0, v1
	v_cmp_neq_f32_e64 s0, 0, v4
	s_delay_alu instid0(VALU_DEP_1) | instskip(NEXT) | instid1(SALU_CYCLE_1)
	s_or_b32 s0, vcc_lo, s0
	s_and_saveexec_b32 s9, s0
	s_delay_alu instid0(SALU_CYCLE_1)
	s_xor_b32 s0, exec_lo, s9
	s_cbranch_execz .LBB171_148
; %bb.147:
	v_div_scale_f32 v2, null, v1, v1, v4
	v_div_scale_f32 v12, vcc_lo, v4, v1, v4
	s_delay_alu instid0(VALU_DEP_2) | instskip(SKIP_2) | instid1(VALU_DEP_1)
	v_rcp_f32_e32 v3, v2
	s_waitcnt_depctr 0xfff
	v_fma_f32 v11, -v2, v3, 1.0
	v_fmac_f32_e32 v3, v11, v3
	s_delay_alu instid0(VALU_DEP_1) | instskip(NEXT) | instid1(VALU_DEP_1)
	v_mul_f32_e32 v11, v12, v3
	v_fma_f32 v14, -v2, v11, v12
	s_delay_alu instid0(VALU_DEP_1) | instskip(NEXT) | instid1(VALU_DEP_1)
	v_fmac_f32_e32 v11, v14, v3
	v_fma_f32 v2, -v2, v11, v12
	s_delay_alu instid0(VALU_DEP_1) | instskip(NEXT) | instid1(VALU_DEP_1)
	v_div_fmas_f32 v2, v2, v3, v11
	v_div_fixup_f32 v2, v2, v1, v4
	s_delay_alu instid0(VALU_DEP_1) | instskip(NEXT) | instid1(VALU_DEP_1)
	v_fmac_f32_e32 v1, v4, v2
	v_div_scale_f32 v3, null, v1, v1, 1.0
	s_delay_alu instid0(VALU_DEP_1) | instskip(SKIP_2) | instid1(VALU_DEP_1)
	v_rcp_f32_e32 v4, v3
	s_waitcnt_depctr 0xfff
	v_fma_f32 v11, -v3, v4, 1.0
	v_fmac_f32_e32 v4, v11, v4
	v_div_scale_f32 v12, vcc_lo, 1.0, v1, 1.0
	s_delay_alu instid0(VALU_DEP_1) | instskip(NEXT) | instid1(VALU_DEP_1)
	v_mul_f32_e32 v11, v12, v4
	v_fma_f32 v14, -v3, v11, v12
	s_delay_alu instid0(VALU_DEP_1) | instskip(NEXT) | instid1(VALU_DEP_1)
	v_fmac_f32_e32 v11, v14, v4
	v_fma_f32 v3, -v3, v11, v12
	s_delay_alu instid0(VALU_DEP_1) | instskip(SKIP_1) | instid1(VALU_DEP_2)
	v_div_fmas_f32 v3, v3, v4, v11
	v_fma_f32 v4, v2, 0, 1.0
	v_div_fixup_f32 v1, v3, v1, 1.0
                                        ; implicit-def: $vgpr3
	s_delay_alu instid0(VALU_DEP_1)
	v_mul_f32_e32 v11, v4, v1
	v_mul_f32_e64 v12, -v2, v1
                                        ; implicit-def: $vgpr2
.LBB171_148:
	s_and_not1_saveexec_b32 s9, s0
	s_cbranch_execz .LBB171_150
; %bb.149:
	v_div_scale_f32 v1, null, v2, v2, 1.0
	v_div_scale_f32 v4, null, v3, v3, 0
	v_div_scale_f32 v16, vcc_lo, 1.0, v2, 1.0
	s_delay_alu instid0(VALU_DEP_3) | instskip(NEXT) | instid1(VALU_DEP_2)
	v_rcp_f32_e32 v11, v1
	v_rcp_f32_e32 v12, v4
	s_waitcnt_depctr 0xfff
	v_fma_f32 v14, -v1, v11, 1.0
	v_fma_f32 v15, -v4, v12, 1.0
	s_delay_alu instid0(VALU_DEP_1) | instskip(SKIP_1) | instid1(VALU_DEP_2)
	v_dual_fmac_f32 v11, v14, v11 :: v_dual_fmac_f32 v12, v15, v12
	v_div_scale_f32 v14, s0, 0, v3, 0
	v_mul_f32_e32 v15, v16, v11
	s_delay_alu instid0(VALU_DEP_2) | instskip(NEXT) | instid1(VALU_DEP_2)
	v_mul_f32_e32 v17, v14, v12
	v_fma_f32 v18, -v1, v15, v16
	s_delay_alu instid0(VALU_DEP_2) | instskip(NEXT) | instid1(VALU_DEP_2)
	v_fma_f32 v19, -v4, v17, v14
	v_fmac_f32_e32 v15, v18, v11
	s_delay_alu instid0(VALU_DEP_2) | instskip(NEXT) | instid1(VALU_DEP_2)
	v_fmac_f32_e32 v17, v19, v12
	v_fma_f32 v1, -v1, v15, v16
	s_delay_alu instid0(VALU_DEP_2) | instskip(NEXT) | instid1(VALU_DEP_2)
	v_fma_f32 v4, -v4, v17, v14
	v_div_fmas_f32 v1, v1, v11, v15
	s_mov_b32 vcc_lo, s0
	s_delay_alu instid0(VALU_DEP_2) | instskip(NEXT) | instid1(VALU_DEP_2)
	v_div_fmas_f32 v4, v4, v12, v17
	v_div_fixup_f32 v11, v1, v2, 1.0
	s_delay_alu instid0(VALU_DEP_2)
	v_div_fixup_f32 v12, v4, v3, 0
.LBB171_150:
	s_or_b32 exec_lo, exec_lo, s9
                                        ; implicit-def: $vgpr4
                                        ; implicit-def: $vgpr1
.LBB171_151:
	s_and_not1_saveexec_b32 s0, s1
	s_cbranch_execz .LBB171_153
; %bb.152:
	v_div_scale_f32 v2, null, v4, v4, v1
	v_div_scale_f32 v12, vcc_lo, v1, v4, v1
	s_delay_alu instid0(VALU_DEP_2) | instskip(SKIP_2) | instid1(VALU_DEP_1)
	v_rcp_f32_e32 v3, v2
	s_waitcnt_depctr 0xfff
	v_fma_f32 v11, -v2, v3, 1.0
	v_fmac_f32_e32 v3, v11, v3
	s_delay_alu instid0(VALU_DEP_1) | instskip(NEXT) | instid1(VALU_DEP_1)
	v_mul_f32_e32 v11, v12, v3
	v_fma_f32 v14, -v2, v11, v12
	s_delay_alu instid0(VALU_DEP_1) | instskip(NEXT) | instid1(VALU_DEP_1)
	v_fmac_f32_e32 v11, v14, v3
	v_fma_f32 v2, -v2, v11, v12
	s_delay_alu instid0(VALU_DEP_1) | instskip(NEXT) | instid1(VALU_DEP_1)
	v_div_fmas_f32 v2, v2, v3, v11
	v_div_fixup_f32 v2, v2, v4, v1
	s_delay_alu instid0(VALU_DEP_1) | instskip(NEXT) | instid1(VALU_DEP_1)
	v_fmac_f32_e32 v4, v1, v2
	v_div_scale_f32 v1, null, v4, v4, 1.0
	v_div_scale_f32 v12, vcc_lo, 1.0, v4, 1.0
	s_delay_alu instid0(VALU_DEP_2) | instskip(SKIP_2) | instid1(VALU_DEP_1)
	v_rcp_f32_e32 v3, v1
	s_waitcnt_depctr 0xfff
	v_fma_f32 v11, -v1, v3, 1.0
	v_fmac_f32_e32 v3, v11, v3
	s_delay_alu instid0(VALU_DEP_1) | instskip(NEXT) | instid1(VALU_DEP_1)
	v_mul_f32_e32 v11, v12, v3
	v_fma_f32 v14, -v1, v11, v12
	s_delay_alu instid0(VALU_DEP_1) | instskip(NEXT) | instid1(VALU_DEP_1)
	v_fmac_f32_e32 v11, v14, v3
	v_fma_f32 v1, -v1, v11, v12
	s_delay_alu instid0(VALU_DEP_1) | instskip(SKIP_2) | instid1(VALU_DEP_3)
	v_div_fmas_f32 v1, v1, v3, v11
	v_add_f32_e32 v3, 0, v2
	v_fma_f32 v2, v2, 0, -1.0
	v_div_fixup_f32 v1, v1, v4, 1.0
	s_delay_alu instid0(VALU_DEP_1) | instskip(NEXT) | instid1(VALU_DEP_4)
	v_mul_f32_e32 v12, v2, v1
	v_mul_f32_e32 v11, v3, v1
.LBB171_153:
	s_or_b32 exec_lo, exec_lo, s0
	s_add_u32 s2, s4, s2
	s_addc_u32 s3, s5, s3
	s_mov_b32 s0, 0
	s_clause 0x1
	global_store_b128 v13, v[5:8], s[2:3]
	global_store_b128 v13, v[9:12], s[2:3] offset:16
.LBB171_154:
	s_and_b32 vcc_lo, exec_lo, s0
	s_cbranch_vccz .LBB171_331
; %bb.155:
	v_cmp_gt_i32_e64 s0, s10, v0
	v_dual_mov_b32 v11, 0 :: v_dual_mov_b32 v8, 0
	v_or_b32_e32 v1, s8, v0
	v_or_b32_e32 v12, 0x100, v0
	v_dual_mov_b32 v9, 0 :: v_dual_mov_b32 v4, v0
	s_and_saveexec_b32 s1, s0
	s_cbranch_execz .LBB171_157
; %bb.156:
	v_mov_b32_e32 v2, 0
	v_or_b32_e32 v4, 0x100, v0
	s_delay_alu instid0(VALU_DEP_2) | instskip(NEXT) | instid1(VALU_DEP_1)
	v_lshlrev_b64 v[2:3], 3, v[1:2]
	v_add_co_u32 v2, vcc_lo, s6, v2
	s_delay_alu instid0(VALU_DEP_2)
	v_add_co_ci_u32_e32 v3, vcc_lo, s7, v3, vcc_lo
	global_load_b64 v[8:9], v[2:3], off
.LBB171_157:
	s_or_b32 exec_lo, exec_lo, s1
	v_mov_b32_e32 v10, 0
	s_mov_b32 s1, exec_lo
	v_cmpx_gt_i32_e64 s10, v4
	s_cbranch_execz .LBB171_159
; %bb.158:
	v_dual_mov_b32 v3, 0 :: v_dual_add_nc_u32 v2, s8, v4
	v_add_nc_u32_e32 v4, 0x100, v4
	s_delay_alu instid0(VALU_DEP_2) | instskip(NEXT) | instid1(VALU_DEP_1)
	v_lshlrev_b64 v[2:3], 3, v[2:3]
	v_add_co_u32 v2, vcc_lo, s6, v2
	s_delay_alu instid0(VALU_DEP_2)
	v_add_co_ci_u32_e32 v3, vcc_lo, s7, v3, vcc_lo
	global_load_b64 v[10:11], v[2:3], off
.LBB171_159:
	s_or_b32 exec_lo, exec_lo, s1
	v_dual_mov_b32 v3, 0 :: v_dual_mov_b32 v6, 0
	v_mov_b32_e32 v7, 0
	s_mov_b32 s1, exec_lo
	v_cmpx_gt_i32_e64 s10, v4
	s_cbranch_execz .LBB171_161
; %bb.160:
	v_dual_mov_b32 v6, 0 :: v_dual_add_nc_u32 v5, s8, v4
	v_add_nc_u32_e32 v4, 0x100, v4
	s_delay_alu instid0(VALU_DEP_2) | instskip(NEXT) | instid1(VALU_DEP_1)
	v_lshlrev_b64 v[5:6], 3, v[5:6]
	v_add_co_u32 v5, vcc_lo, s6, v5
	s_delay_alu instid0(VALU_DEP_2)
	v_add_co_ci_u32_e32 v6, vcc_lo, s7, v6, vcc_lo
	global_load_b64 v[6:7], v[5:6], off
.LBB171_161:
	s_or_b32 exec_lo, exec_lo, s1
	v_mov_b32_e32 v2, 0
	s_mov_b32 s1, exec_lo
	v_cmpx_gt_i32_e64 s10, v4
	s_cbranch_execz .LBB171_163
; %bb.162:
	v_dual_mov_b32 v3, 0 :: v_dual_add_nc_u32 v2, s8, v4
	s_delay_alu instid0(VALU_DEP_1) | instskip(NEXT) | instid1(VALU_DEP_1)
	v_lshlrev_b64 v[2:3], 3, v[2:3]
	v_add_co_u32 v2, vcc_lo, s6, v2
	s_delay_alu instid0(VALU_DEP_2)
	v_add_co_ci_u32_e32 v3, vcc_lo, s7, v3, vcc_lo
	global_load_b64 v[2:3], v[2:3], off
.LBB171_163:
	s_or_b32 exec_lo, exec_lo, s1
	v_dual_mov_b32 v4, 0 :: v_dual_mov_b32 v5, 0
	s_and_saveexec_b32 s3, s0
	s_cbranch_execz .LBB171_203
; %bb.164:
	s_waitcnt vmcnt(0)
	v_cmp_neq_f32_e32 vcc_lo, 0, v8
	v_cmp_neq_f32_e64 s1, 0, v9
	v_mov_b32_e32 v13, 0
	s_delay_alu instid0(VALU_DEP_2) | instskip(NEXT) | instid1(SALU_CYCLE_1)
	s_or_b32 s1, vcc_lo, s1
	s_and_saveexec_b32 s6, s1
	s_cbranch_execz .LBB171_194
; %bb.165:
	v_mov_b32_e32 v13, 0x7f800000
	s_mov_b32 s7, exec_lo
	v_cmpx_neq_f32_e64 0x7f800000, |v9|
	s_cbranch_execz .LBB171_193
; %bb.166:
	s_mov_b32 s1, exec_lo
	v_cmpx_o_f32_e32 v8, v8
	s_xor_b32 s9, exec_lo, s1
	s_cbranch_execz .LBB171_190
; %bb.167:
	s_mov_b32 s2, exec_lo
	v_cmpx_neq_f32_e64 0x7f800000, |v8|
	s_xor_b32 s11, exec_lo, s2
	s_cbranch_execz .LBB171_183
; %bb.168:
	v_max_f32_e64 v4, |v8|, |v8|
	v_max_f32_e64 v5, |v9|, |v9|
                                        ; implicit-def: $sgpr12
	s_delay_alu instid0(VALU_DEP_1) | instskip(NEXT) | instid1(VALU_DEP_1)
	v_max_f32_e32 v4, v5, v4
	v_cmp_nle_f32_e64 s1, 0x7ed413cb, v4
	s_delay_alu instid0(VALU_DEP_1) | instskip(NEXT) | instid1(SALU_CYCLE_1)
	s_and_saveexec_b32 s2, s1
	s_xor_b32 s2, exec_lo, s2
	s_cbranch_execz .LBB171_172
; %bb.169:
	v_cmp_ge_f32_e64 s12, 0x1000000, |v8|
	v_cmp_ge_f32_e64 s13, 0x1000000, |v9|
	s_delay_alu instid0(VALU_DEP_1)
	s_and_b32 s14, s13, s12
	s_mov_b32 s12, 0
	s_and_saveexec_b32 s13, s14
; %bb.170:
	v_dual_mul_f32 v8, 4.0, v8 :: v_dual_mul_f32 v9, 4.0, v9
	s_mov_b32 s12, exec_lo
; %bb.171:
	s_or_b32 exec_lo, exec_lo, s13
	s_delay_alu instid0(SALU_CYCLE_1)
	s_and_b32 s12, s12, exec_lo
.LBB171_172:
	s_and_not1_saveexec_b32 s2, s2
; %bb.173:
	v_dual_mul_f32 v8, 0x3e800000, v8 :: v_dual_mul_f32 v9, 0x3e800000, v9
	s_and_not1_b32 s12, s12, exec_lo
; %bb.174:
	s_or_b32 exec_lo, exec_lo, s2
	s_delay_alu instid0(VALU_DEP_1) | instskip(NEXT) | instid1(VALU_DEP_2)
	v_max_f32_e64 v4, |v9|, |v9|
	v_max_f32_e64 v5, |v8|, |v8|
	s_delay_alu instid0(VALU_DEP_1) | instskip(NEXT) | instid1(VALU_DEP_1)
	v_max_f32_e32 v13, v5, v4
	v_cvt_f64_f32_e32 v[4:5], v13
	s_delay_alu instid0(VALU_DEP_1) | instskip(NEXT) | instid1(VALU_DEP_1)
	v_frexp_exp_i32_f64_e32 v4, v[4:5]
	v_sub_nc_u32_e32 v5, 0, v4
	s_delay_alu instid0(VALU_DEP_1) | instskip(SKIP_1) | instid1(VALU_DEP_2)
	v_ldexp_f32 v14, |v9|, v5
	v_ldexp_f32 v5, |v8|, v5
	v_mul_f32_e32 v14, v14, v14
	v_cmp_neq_f32_e64 s2, 0x7f800000, v13
	s_delay_alu instid0(VALU_DEP_2) | instskip(NEXT) | instid1(VALU_DEP_1)
	v_fmac_f32_e32 v14, v5, v5
	v_sqrt_f32_e32 v5, v14
	s_waitcnt_depctr 0xfff
	v_ldexp_f32 v4, v5, v4
                                        ; implicit-def: $vgpr5
	s_delay_alu instid0(VALU_DEP_1)
	v_cndmask_b32_e64 v13, 0x7f800000, v4, s2
                                        ; implicit-def: $vgpr4
	s_mov_b32 s2, exec_lo
	v_cmpx_le_f32_e32 0, v8
	s_xor_b32 s13, exec_lo, s2
	s_cbranch_execz .LBB171_176
; %bb.175:
	v_add_f32_e32 v4, v8, v13
	s_delay_alu instid0(VALU_DEP_1) | instskip(NEXT) | instid1(VALU_DEP_1)
	v_mul_f32_e32 v4, 0.5, v4
	v_mul_f32_e32 v5, 0x4f800000, v4
	v_cmp_gt_f32_e32 vcc_lo, 0xf800000, v4
	s_delay_alu instid0(VALU_DEP_2) | instskip(NEXT) | instid1(VALU_DEP_1)
	v_cndmask_b32_e32 v4, v4, v5, vcc_lo
	v_sqrt_f32_e32 v5, v4
	s_waitcnt_depctr 0xfff
	v_add_nc_u32_e32 v13, 1, v5
	v_add_nc_u32_e32 v8, -1, v5
	s_delay_alu instid0(VALU_DEP_2) | instskip(NEXT) | instid1(VALU_DEP_2)
	v_fma_f32 v15, -v13, v5, v4
	v_fma_f32 v14, -v8, v5, v4
	s_delay_alu instid0(VALU_DEP_1) | instskip(NEXT) | instid1(VALU_DEP_1)
	v_cmp_ge_f32_e64 s2, 0, v14
	v_cndmask_b32_e64 v5, v5, v8, s2
	s_delay_alu instid0(VALU_DEP_4) | instskip(NEXT) | instid1(VALU_DEP_1)
	v_cmp_lt_f32_e64 s2, 0, v15
	v_cndmask_b32_e64 v5, v5, v13, s2
	s_delay_alu instid0(VALU_DEP_1) | instskip(NEXT) | instid1(VALU_DEP_1)
	v_mul_f32_e32 v8, 0x37800000, v5
	v_cndmask_b32_e32 v5, v5, v8, vcc_lo
	v_cmp_class_f32_e64 vcc_lo, v4, 0x260
	s_delay_alu instid0(VALU_DEP_2) | instskip(NEXT) | instid1(VALU_DEP_1)
	v_cndmask_b32_e32 v4, v5, v4, vcc_lo
	v_add_f32_e32 v5, v4, v4
	s_delay_alu instid0(VALU_DEP_1) | instskip(NEXT) | instid1(VALU_DEP_1)
	v_div_scale_f32 v8, null, v5, v5, v9
	v_rcp_f32_e32 v13, v8
	s_waitcnt_depctr 0xfff
	v_fma_f32 v14, -v8, v13, 1.0
	s_delay_alu instid0(VALU_DEP_1) | instskip(SKIP_1) | instid1(VALU_DEP_1)
	v_fmac_f32_e32 v13, v14, v13
	v_div_scale_f32 v14, vcc_lo, v9, v5, v9
	v_mul_f32_e32 v15, v14, v13
	s_delay_alu instid0(VALU_DEP_1) | instskip(NEXT) | instid1(VALU_DEP_1)
	v_fma_f32 v16, -v8, v15, v14
	v_fmac_f32_e32 v15, v16, v13
	s_delay_alu instid0(VALU_DEP_1) | instskip(NEXT) | instid1(VALU_DEP_1)
	v_fma_f32 v8, -v8, v15, v14
	v_div_fmas_f32 v8, v8, v13, v15
                                        ; implicit-def: $vgpr13
	s_delay_alu instid0(VALU_DEP_1)
	v_div_fixup_f32 v5, v8, v5, v9
                                        ; implicit-def: $vgpr8
	s_and_not1_saveexec_b32 s13, s13
	s_cbranch_execz .LBB171_178
	s_branch .LBB171_177
.LBB171_176:
	s_and_not1_saveexec_b32 s13, s13
	s_cbranch_execz .LBB171_178
.LBB171_177:
	v_sub_f32_e32 v4, v13, v8
	s_delay_alu instid0(VALU_DEP_1) | instskip(NEXT) | instid1(VALU_DEP_1)
	v_mul_f32_e32 v4, 0.5, v4
	v_mul_f32_e32 v5, 0x4f800000, v4
	v_cmp_gt_f32_e32 vcc_lo, 0xf800000, v4
	s_delay_alu instid0(VALU_DEP_2) | instskip(NEXT) | instid1(VALU_DEP_1)
	v_cndmask_b32_e32 v4, v4, v5, vcc_lo
	v_sqrt_f32_e32 v5, v4
	s_waitcnt_depctr 0xfff
	v_add_nc_u32_e32 v8, -1, v5
	v_add_nc_u32_e32 v13, 1, v5
	s_delay_alu instid0(VALU_DEP_2) | instskip(NEXT) | instid1(VALU_DEP_2)
	v_fma_f32 v14, -v8, v5, v4
	v_fma_f32 v15, -v13, v5, v4
	s_delay_alu instid0(VALU_DEP_2) | instskip(NEXT) | instid1(VALU_DEP_1)
	v_cmp_ge_f32_e64 s2, 0, v14
	v_cndmask_b32_e64 v5, v5, v8, s2
	s_delay_alu instid0(VALU_DEP_3) | instskip(NEXT) | instid1(VALU_DEP_1)
	v_cmp_lt_f32_e64 s2, 0, v15
	v_cndmask_b32_e64 v5, v5, v13, s2
	s_delay_alu instid0(VALU_DEP_1) | instskip(NEXT) | instid1(VALU_DEP_1)
	v_mul_f32_e32 v8, 0x37800000, v5
	v_cndmask_b32_e32 v5, v5, v8, vcc_lo
	v_cmp_class_f32_e64 vcc_lo, v4, 0x260
	s_delay_alu instid0(VALU_DEP_2) | instskip(NEXT) | instid1(VALU_DEP_1)
	v_dual_cndmask_b32 v5, v5, v4 :: v_dual_and_b32 v4, 0x7fffffff, v9
	v_add_f32_e32 v8, v5, v5
	v_bfi_b32 v5, 0x7fffffff, v5, v9
	s_delay_alu instid0(VALU_DEP_2) | instskip(SKIP_1) | instid1(VALU_DEP_2)
	v_div_scale_f32 v13, null, v8, v8, v4
	v_div_scale_f32 v4, vcc_lo, v4, v8, v4
	v_rcp_f32_e32 v14, v13
	s_waitcnt_depctr 0xfff
	v_fma_f32 v15, -v13, v14, 1.0
	s_delay_alu instid0(VALU_DEP_1) | instskip(NEXT) | instid1(VALU_DEP_1)
	v_fmac_f32_e32 v14, v15, v14
	v_mul_f32_e32 v15, v4, v14
	s_delay_alu instid0(VALU_DEP_1) | instskip(NEXT) | instid1(VALU_DEP_1)
	v_fma_f32 v16, -v13, v15, v4
	v_fmac_f32_e32 v15, v16, v14
	s_delay_alu instid0(VALU_DEP_1) | instskip(NEXT) | instid1(VALU_DEP_1)
	v_fma_f32 v4, -v13, v15, v4
	v_div_fmas_f32 v4, v4, v14, v15
	s_delay_alu instid0(VALU_DEP_1)
	v_div_fixup_f32 v4, v4, v8, |v9|
.LBB171_178:
	s_or_b32 exec_lo, exec_lo, s13
                                        ; implicit-def: $vgpr9
	s_and_saveexec_b32 s2, s1
	s_delay_alu instid0(SALU_CYCLE_1)
	s_xor_b32 s1, exec_lo, s2
	s_cbranch_execz .LBB171_180
; %bb.179:
	v_dual_mul_f32 v8, 0.5, v4 :: v_dual_mul_f32 v9, 0.5, v5
	s_delay_alu instid0(VALU_DEP_1) | instskip(NEXT) | instid1(VALU_DEP_2)
	v_cndmask_b32_e64 v8, v4, v8, s12
	v_cndmask_b32_e64 v9, v5, v9, s12
                                        ; implicit-def: $vgpr4
                                        ; implicit-def: $vgpr5
	s_and_not1_saveexec_b32 s1, s1
	s_cbranch_execnz .LBB171_181
	s_branch .LBB171_182
.LBB171_180:
	s_and_not1_saveexec_b32 s1, s1
.LBB171_181:
	v_dual_add_f32 v8, v4, v4 :: v_dual_add_f32 v9, v5, v5
.LBB171_182:
	s_or_b32 exec_lo, exec_lo, s1
.LBB171_183:
	s_and_not1_saveexec_b32 s1, s11
	s_cbranch_execz .LBB171_189
; %bb.184:
	s_delay_alu instid0(VALU_DEP_1)
	v_sub_f32_e32 v4, v9, v9
	s_mov_b32 s2, exec_lo
	v_cmpx_lt_i32_e32 -1, v8
	s_xor_b32 s2, exec_lo, s2
; %bb.185:
	s_delay_alu instid0(VALU_DEP_2)
	v_bfi_b32 v9, 0x7fffffff, v4, v9
                                        ; implicit-def: $vgpr4
; %bb.186:
	s_and_not1_saveexec_b32 s2, s2
; %bb.187:
	v_and_b32_e32 v4, 0x7fffffff, v4
	s_delay_alu instid0(VALU_DEP_2) | instskip(NEXT) | instid1(VALU_DEP_2)
	v_bfi_b32 v9, 0x7fffffff, v8, v9
	v_mov_b32_e32 v8, v4
; %bb.188:
	s_or_b32 exec_lo, exec_lo, s2
.LBB171_189:
	s_delay_alu instid0(SALU_CYCLE_1)
	s_or_b32 exec_lo, exec_lo, s1
.LBB171_190:
	s_and_not1_saveexec_b32 s1, s9
; %bb.191:
	v_sub_f32_e32 v4, v9, v9
	s_delay_alu instid0(VALU_DEP_1) | instskip(NEXT) | instid1(VALU_DEP_1)
	v_div_scale_f32 v5, vcc_lo, v4, v4, v4
	v_rcp_f32_e32 v9, v5
	s_waitcnt_depctr 0xfff
	v_fma_f32 v13, -v5, v9, 1.0
	s_delay_alu instid0(VALU_DEP_1) | instskip(NEXT) | instid1(VALU_DEP_1)
	v_fmac_f32_e32 v9, v13, v9
	v_mul_f32_e32 v13, v5, v9
	s_delay_alu instid0(VALU_DEP_1) | instskip(NEXT) | instid1(VALU_DEP_1)
	v_fma_f32 v14, -v5, v13, v5
	v_fmac_f32_e32 v13, v14, v9
	s_delay_alu instid0(VALU_DEP_1) | instskip(NEXT) | instid1(VALU_DEP_1)
	v_fma_f32 v5, -v5, v13, v5
	v_div_fmas_f32 v5, v5, v9, v13
	s_delay_alu instid0(VALU_DEP_1)
	v_div_fixup_f32 v9, v5, v4, v4
; %bb.192:
	s_or_b32 exec_lo, exec_lo, s1
	v_mov_b32_e32 v13, v8
.LBB171_193:
	s_or_b32 exec_lo, exec_lo, s7
.LBB171_194:
	s_delay_alu instid0(SALU_CYCLE_1) | instskip(NEXT) | instid1(VALU_DEP_1)
	s_or_b32 exec_lo, exec_lo, s6
	v_cmp_gt_f32_e32 vcc_lo, 0, v13
                                        ; implicit-def: $vgpr4
	s_mov_b32 s1, exec_lo
	v_cndmask_b32_e64 v8, v13, -v13, vcc_lo
	v_cmp_gt_f32_e32 vcc_lo, 0, v9
	v_cndmask_b32_e64 v14, v9, -v9, vcc_lo
	s_delay_alu instid0(VALU_DEP_1)
	v_cmpx_ge_f32_e32 v8, v14
	s_xor_b32 s2, exec_lo, s1
	s_cbranch_execz .LBB171_200
; %bb.195:
	v_cmp_neq_f32_e32 vcc_lo, 0, v13
	v_cmp_neq_f32_e64 s1, 0, v9
                                        ; implicit-def: $vgpr4
	s_delay_alu instid0(VALU_DEP_1) | instskip(NEXT) | instid1(SALU_CYCLE_1)
	s_or_b32 s1, vcc_lo, s1
	s_and_saveexec_b32 s6, s1
	s_delay_alu instid0(SALU_CYCLE_1)
	s_xor_b32 s1, exec_lo, s6
	s_cbranch_execz .LBB171_197
; %bb.196:
	v_div_scale_f32 v4, null, v13, v13, v9
	v_div_scale_f32 v14, vcc_lo, v9, v13, v9
	s_delay_alu instid0(VALU_DEP_2) | instskip(SKIP_2) | instid1(VALU_DEP_1)
	v_rcp_f32_e32 v5, v4
	s_waitcnt_depctr 0xfff
	v_fma_f32 v8, -v4, v5, 1.0
	v_fmac_f32_e32 v5, v8, v5
	s_delay_alu instid0(VALU_DEP_1) | instskip(NEXT) | instid1(VALU_DEP_1)
	v_mul_f32_e32 v8, v14, v5
	v_fma_f32 v15, -v4, v8, v14
	s_delay_alu instid0(VALU_DEP_1) | instskip(NEXT) | instid1(VALU_DEP_1)
	v_fmac_f32_e32 v8, v15, v5
	v_fma_f32 v4, -v4, v8, v14
	s_delay_alu instid0(VALU_DEP_1) | instskip(NEXT) | instid1(VALU_DEP_1)
	v_div_fmas_f32 v4, v4, v5, v8
	v_div_fixup_f32 v5, v4, v13, v9
	s_delay_alu instid0(VALU_DEP_1) | instskip(NEXT) | instid1(VALU_DEP_1)
	v_fmac_f32_e32 v13, v9, v5
	v_div_scale_f32 v4, null, v13, v13, 1.0
	v_div_scale_f32 v14, vcc_lo, 1.0, v13, 1.0
	s_delay_alu instid0(VALU_DEP_2) | instskip(SKIP_2) | instid1(VALU_DEP_1)
	v_rcp_f32_e32 v8, v4
	s_waitcnt_depctr 0xfff
	v_fma_f32 v9, -v4, v8, 1.0
	v_fmac_f32_e32 v8, v9, v8
	s_delay_alu instid0(VALU_DEP_1) | instskip(NEXT) | instid1(VALU_DEP_1)
	v_mul_f32_e32 v9, v14, v8
	v_fma_f32 v15, -v4, v9, v14
	s_delay_alu instid0(VALU_DEP_1) | instskip(NEXT) | instid1(VALU_DEP_1)
	v_fmac_f32_e32 v9, v15, v8
	v_fma_f32 v4, -v4, v9, v14
                                        ; implicit-def: $vgpr14
	s_delay_alu instid0(VALU_DEP_1) | instskip(SKIP_1) | instid1(VALU_DEP_2)
	v_div_fmas_f32 v4, v4, v8, v9
	v_fma_f32 v8, v5, 0, 1.0
	v_div_fixup_f32 v9, v4, v13, 1.0
	s_delay_alu instid0(VALU_DEP_1)
	v_mul_f32_e32 v4, v8, v9
	v_mul_f32_e64 v5, -v5, v9
                                        ; implicit-def: $vgpr8
.LBB171_197:
	s_and_not1_saveexec_b32 s6, s1
	s_cbranch_execz .LBB171_199
; %bb.198:
	v_div_scale_f32 v4, null, v8, v8, 1.0
	v_div_scale_f32 v5, null, v14, v14, 0
	v_div_scale_f32 v17, vcc_lo, 1.0, v8, 1.0
	s_delay_alu instid0(VALU_DEP_3) | instskip(NEXT) | instid1(VALU_DEP_2)
	v_rcp_f32_e32 v9, v4
	v_rcp_f32_e32 v13, v5
	s_waitcnt_depctr 0xfff
	v_fma_f32 v15, -v4, v9, 1.0
	v_fma_f32 v16, -v5, v13, 1.0
	s_delay_alu instid0(VALU_DEP_2) | instskip(SKIP_1) | instid1(VALU_DEP_3)
	v_fmac_f32_e32 v9, v15, v9
	v_div_scale_f32 v15, s1, 0, v14, 0
	v_fmac_f32_e32 v13, v16, v13
	s_delay_alu instid0(VALU_DEP_3) | instskip(NEXT) | instid1(VALU_DEP_2)
	v_mul_f32_e32 v16, v17, v9
	v_mul_f32_e32 v18, v15, v13
	s_delay_alu instid0(VALU_DEP_2) | instskip(NEXT) | instid1(VALU_DEP_2)
	v_fma_f32 v19, -v4, v16, v17
	v_fma_f32 v20, -v5, v18, v15
	s_delay_alu instid0(VALU_DEP_2) | instskip(NEXT) | instid1(VALU_DEP_2)
	v_fmac_f32_e32 v16, v19, v9
	v_fmac_f32_e32 v18, v20, v13
	s_delay_alu instid0(VALU_DEP_2) | instskip(NEXT) | instid1(VALU_DEP_2)
	v_fma_f32 v4, -v4, v16, v17
	v_fma_f32 v5, -v5, v18, v15
	s_delay_alu instid0(VALU_DEP_2) | instskip(SKIP_1) | instid1(VALU_DEP_2)
	v_div_fmas_f32 v4, v4, v9, v16
	s_mov_b32 vcc_lo, s1
	v_div_fmas_f32 v5, v5, v13, v18
	s_delay_alu instid0(VALU_DEP_2) | instskip(NEXT) | instid1(VALU_DEP_2)
	v_div_fixup_f32 v4, v4, v8, 1.0
	v_div_fixup_f32 v5, v5, v14, 0
.LBB171_199:
	s_or_b32 exec_lo, exec_lo, s6
                                        ; implicit-def: $vgpr9
                                        ; implicit-def: $vgpr13
.LBB171_200:
	s_and_not1_saveexec_b32 s1, s2
	s_cbranch_execz .LBB171_202
; %bb.201:
	v_div_scale_f32 v4, null, v9, v9, v13
	v_div_scale_f32 v14, vcc_lo, v13, v9, v13
	s_delay_alu instid0(VALU_DEP_2) | instskip(SKIP_2) | instid1(VALU_DEP_1)
	v_rcp_f32_e32 v5, v4
	s_waitcnt_depctr 0xfff
	v_fma_f32 v8, -v4, v5, 1.0
	v_fmac_f32_e32 v5, v8, v5
	s_delay_alu instid0(VALU_DEP_1) | instskip(NEXT) | instid1(VALU_DEP_1)
	v_mul_f32_e32 v8, v14, v5
	v_fma_f32 v15, -v4, v8, v14
	s_delay_alu instid0(VALU_DEP_1) | instskip(NEXT) | instid1(VALU_DEP_1)
	v_fmac_f32_e32 v8, v15, v5
	v_fma_f32 v4, -v4, v8, v14
	s_delay_alu instid0(VALU_DEP_1) | instskip(NEXT) | instid1(VALU_DEP_1)
	v_div_fmas_f32 v4, v4, v5, v8
	v_div_fixup_f32 v4, v4, v9, v13
	s_delay_alu instid0(VALU_DEP_1) | instskip(NEXT) | instid1(VALU_DEP_1)
	v_fmac_f32_e32 v9, v13, v4
	v_div_scale_f32 v5, null, v9, v9, 1.0
	v_div_scale_f32 v14, vcc_lo, 1.0, v9, 1.0
	s_delay_alu instid0(VALU_DEP_2) | instskip(SKIP_2) | instid1(VALU_DEP_1)
	v_rcp_f32_e32 v8, v5
	s_waitcnt_depctr 0xfff
	v_fma_f32 v13, -v5, v8, 1.0
	v_fmac_f32_e32 v8, v13, v8
	s_delay_alu instid0(VALU_DEP_1) | instskip(NEXT) | instid1(VALU_DEP_1)
	v_mul_f32_e32 v13, v14, v8
	v_fma_f32 v15, -v5, v13, v14
	s_delay_alu instid0(VALU_DEP_1) | instskip(NEXT) | instid1(VALU_DEP_1)
	v_fmac_f32_e32 v13, v15, v8
	v_fma_f32 v5, -v5, v13, v14
	s_delay_alu instid0(VALU_DEP_1) | instskip(NEXT) | instid1(VALU_DEP_1)
	v_div_fmas_f32 v5, v5, v8, v13
	v_div_fixup_f32 v5, v5, v9, 1.0
	v_fma_f32 v9, v4, 0, -1.0
	v_add_f32_e32 v8, 0, v4
	s_delay_alu instid0(VALU_DEP_1) | instskip(NEXT) | instid1(VALU_DEP_3)
	v_mul_f32_e32 v4, v8, v5
	v_mul_f32_e32 v5, v9, v5
.LBB171_202:
	s_or_b32 exec_lo, exec_lo, s1
.LBB171_203:
	s_delay_alu instid0(SALU_CYCLE_1)
	s_or_b32 exec_lo, exec_lo, s3
	s_waitcnt vmcnt(0)
	v_dual_mov_b32 v8, 0 :: v_dual_mov_b32 v9, 0
	s_mov_b32 s3, exec_lo
	v_cmpx_gt_i32_e64 s10, v12
	s_cbranch_execz .LBB171_243
; %bb.204:
	v_cmp_neq_f32_e32 vcc_lo, 0, v10
	v_cmp_neq_f32_e64 s1, 0, v11
	v_mov_b32_e32 v13, 0
	s_delay_alu instid0(VALU_DEP_2) | instskip(NEXT) | instid1(SALU_CYCLE_1)
	s_or_b32 s1, vcc_lo, s1
	s_and_saveexec_b32 s6, s1
	s_cbranch_execz .LBB171_234
; %bb.205:
	v_mov_b32_e32 v13, 0x7f800000
	s_mov_b32 s7, exec_lo
	v_cmpx_neq_f32_e64 0x7f800000, |v11|
	s_cbranch_execz .LBB171_233
; %bb.206:
	s_mov_b32 s1, exec_lo
	v_cmpx_o_f32_e32 v10, v10
	s_xor_b32 s9, exec_lo, s1
	s_cbranch_execz .LBB171_230
; %bb.207:
	s_mov_b32 s2, exec_lo
	v_cmpx_neq_f32_e64 0x7f800000, |v10|
	s_xor_b32 s11, exec_lo, s2
	s_cbranch_execz .LBB171_223
; %bb.208:
	v_max_f32_e64 v8, |v10|, |v10|
	v_max_f32_e64 v9, |v11|, |v11|
                                        ; implicit-def: $sgpr12
	s_delay_alu instid0(VALU_DEP_1) | instskip(NEXT) | instid1(VALU_DEP_1)
	v_max_f32_e32 v8, v9, v8
	v_cmp_nle_f32_e64 s1, 0x7ed413cb, v8
	s_delay_alu instid0(VALU_DEP_1) | instskip(NEXT) | instid1(SALU_CYCLE_1)
	s_and_saveexec_b32 s2, s1
	s_xor_b32 s2, exec_lo, s2
	s_cbranch_execz .LBB171_212
; %bb.209:
	v_cmp_ge_f32_e64 s12, 0x1000000, |v10|
	v_cmp_ge_f32_e64 s13, 0x1000000, |v11|
	s_delay_alu instid0(VALU_DEP_1)
	s_and_b32 s14, s13, s12
	s_mov_b32 s12, 0
	s_and_saveexec_b32 s13, s14
; %bb.210:
	v_dual_mul_f32 v10, 4.0, v10 :: v_dual_mul_f32 v11, 4.0, v11
	s_mov_b32 s12, exec_lo
; %bb.211:
	s_or_b32 exec_lo, exec_lo, s13
	s_delay_alu instid0(SALU_CYCLE_1)
	s_and_b32 s12, s12, exec_lo
.LBB171_212:
	s_and_not1_saveexec_b32 s2, s2
; %bb.213:
	v_dual_mul_f32 v10, 0x3e800000, v10 :: v_dual_mul_f32 v11, 0x3e800000, v11
	s_and_not1_b32 s12, s12, exec_lo
; %bb.214:
	s_or_b32 exec_lo, exec_lo, s2
	s_delay_alu instid0(VALU_DEP_1) | instskip(NEXT) | instid1(VALU_DEP_2)
	v_max_f32_e64 v8, |v11|, |v11|
	v_max_f32_e64 v9, |v10|, |v10|
	s_delay_alu instid0(VALU_DEP_1) | instskip(NEXT) | instid1(VALU_DEP_1)
	v_max_f32_e32 v13, v9, v8
	v_cvt_f64_f32_e32 v[8:9], v13
	s_delay_alu instid0(VALU_DEP_1) | instskip(NEXT) | instid1(VALU_DEP_1)
	v_frexp_exp_i32_f64_e32 v8, v[8:9]
	v_sub_nc_u32_e32 v9, 0, v8
	s_delay_alu instid0(VALU_DEP_1) | instskip(SKIP_1) | instid1(VALU_DEP_2)
	v_ldexp_f32 v14, |v11|, v9
	v_ldexp_f32 v9, |v10|, v9
	v_mul_f32_e32 v14, v14, v14
	v_cmp_neq_f32_e64 s2, 0x7f800000, v13
	s_delay_alu instid0(VALU_DEP_2) | instskip(NEXT) | instid1(VALU_DEP_1)
	v_fmac_f32_e32 v14, v9, v9
	v_sqrt_f32_e32 v9, v14
	s_waitcnt_depctr 0xfff
	v_ldexp_f32 v8, v9, v8
                                        ; implicit-def: $vgpr9
	s_delay_alu instid0(VALU_DEP_1)
	v_cndmask_b32_e64 v13, 0x7f800000, v8, s2
                                        ; implicit-def: $vgpr8
	s_mov_b32 s2, exec_lo
	v_cmpx_le_f32_e32 0, v10
	s_xor_b32 s13, exec_lo, s2
	s_cbranch_execz .LBB171_216
; %bb.215:
	v_add_f32_e32 v8, v10, v13
	s_delay_alu instid0(VALU_DEP_1) | instskip(NEXT) | instid1(VALU_DEP_1)
	v_mul_f32_e32 v8, 0.5, v8
	v_mul_f32_e32 v9, 0x4f800000, v8
	v_cmp_gt_f32_e32 vcc_lo, 0xf800000, v8
	s_delay_alu instid0(VALU_DEP_2) | instskip(NEXT) | instid1(VALU_DEP_1)
	v_cndmask_b32_e32 v8, v8, v9, vcc_lo
	v_sqrt_f32_e32 v9, v8
	s_waitcnt_depctr 0xfff
	v_add_nc_u32_e32 v13, 1, v9
	v_add_nc_u32_e32 v10, -1, v9
	s_delay_alu instid0(VALU_DEP_2) | instskip(NEXT) | instid1(VALU_DEP_2)
	v_fma_f32 v15, -v13, v9, v8
	v_fma_f32 v14, -v10, v9, v8
	s_delay_alu instid0(VALU_DEP_1) | instskip(NEXT) | instid1(VALU_DEP_1)
	v_cmp_ge_f32_e64 s2, 0, v14
	v_cndmask_b32_e64 v9, v9, v10, s2
	s_delay_alu instid0(VALU_DEP_4) | instskip(NEXT) | instid1(VALU_DEP_1)
	v_cmp_lt_f32_e64 s2, 0, v15
	v_cndmask_b32_e64 v9, v9, v13, s2
	s_delay_alu instid0(VALU_DEP_1) | instskip(NEXT) | instid1(VALU_DEP_1)
	v_mul_f32_e32 v10, 0x37800000, v9
	v_cndmask_b32_e32 v9, v9, v10, vcc_lo
	v_cmp_class_f32_e64 vcc_lo, v8, 0x260
	s_delay_alu instid0(VALU_DEP_2) | instskip(NEXT) | instid1(VALU_DEP_1)
	v_cndmask_b32_e32 v8, v9, v8, vcc_lo
	v_add_f32_e32 v9, v8, v8
	s_delay_alu instid0(VALU_DEP_1) | instskip(NEXT) | instid1(VALU_DEP_1)
	v_div_scale_f32 v10, null, v9, v9, v11
	v_rcp_f32_e32 v13, v10
	s_waitcnt_depctr 0xfff
	v_fma_f32 v14, -v10, v13, 1.0
	s_delay_alu instid0(VALU_DEP_1) | instskip(SKIP_1) | instid1(VALU_DEP_1)
	v_fmac_f32_e32 v13, v14, v13
	v_div_scale_f32 v14, vcc_lo, v11, v9, v11
	v_mul_f32_e32 v15, v14, v13
	s_delay_alu instid0(VALU_DEP_1) | instskip(NEXT) | instid1(VALU_DEP_1)
	v_fma_f32 v16, -v10, v15, v14
	v_fmac_f32_e32 v15, v16, v13
	s_delay_alu instid0(VALU_DEP_1) | instskip(NEXT) | instid1(VALU_DEP_1)
	v_fma_f32 v10, -v10, v15, v14
	v_div_fmas_f32 v10, v10, v13, v15
                                        ; implicit-def: $vgpr13
	s_delay_alu instid0(VALU_DEP_1)
	v_div_fixup_f32 v9, v10, v9, v11
                                        ; implicit-def: $vgpr10
	s_and_not1_saveexec_b32 s13, s13
	s_cbranch_execz .LBB171_218
	s_branch .LBB171_217
.LBB171_216:
	s_and_not1_saveexec_b32 s13, s13
	s_cbranch_execz .LBB171_218
.LBB171_217:
	v_sub_f32_e32 v8, v13, v10
	s_delay_alu instid0(VALU_DEP_1) | instskip(NEXT) | instid1(VALU_DEP_1)
	v_mul_f32_e32 v8, 0.5, v8
	v_mul_f32_e32 v9, 0x4f800000, v8
	v_cmp_gt_f32_e32 vcc_lo, 0xf800000, v8
	s_delay_alu instid0(VALU_DEP_2) | instskip(NEXT) | instid1(VALU_DEP_1)
	v_cndmask_b32_e32 v8, v8, v9, vcc_lo
	v_sqrt_f32_e32 v9, v8
	s_waitcnt_depctr 0xfff
	v_add_nc_u32_e32 v10, -1, v9
	v_add_nc_u32_e32 v13, 1, v9
	s_delay_alu instid0(VALU_DEP_2) | instskip(NEXT) | instid1(VALU_DEP_2)
	v_fma_f32 v14, -v10, v9, v8
	v_fma_f32 v15, -v13, v9, v8
	s_delay_alu instid0(VALU_DEP_2) | instskip(NEXT) | instid1(VALU_DEP_1)
	v_cmp_ge_f32_e64 s2, 0, v14
	v_cndmask_b32_e64 v9, v9, v10, s2
	s_delay_alu instid0(VALU_DEP_3) | instskip(NEXT) | instid1(VALU_DEP_1)
	v_cmp_lt_f32_e64 s2, 0, v15
	v_cndmask_b32_e64 v9, v9, v13, s2
	s_delay_alu instid0(VALU_DEP_1) | instskip(NEXT) | instid1(VALU_DEP_1)
	v_mul_f32_e32 v10, 0x37800000, v9
	v_cndmask_b32_e32 v9, v9, v10, vcc_lo
	v_cmp_class_f32_e64 vcc_lo, v8, 0x260
	s_delay_alu instid0(VALU_DEP_2) | instskip(NEXT) | instid1(VALU_DEP_1)
	v_dual_cndmask_b32 v9, v9, v8 :: v_dual_and_b32 v8, 0x7fffffff, v11
	v_add_f32_e32 v10, v9, v9
	v_bfi_b32 v9, 0x7fffffff, v9, v11
	s_delay_alu instid0(VALU_DEP_2) | instskip(SKIP_1) | instid1(VALU_DEP_2)
	v_div_scale_f32 v13, null, v10, v10, v8
	v_div_scale_f32 v8, vcc_lo, v8, v10, v8
	v_rcp_f32_e32 v14, v13
	s_waitcnt_depctr 0xfff
	v_fma_f32 v15, -v13, v14, 1.0
	s_delay_alu instid0(VALU_DEP_1) | instskip(NEXT) | instid1(VALU_DEP_1)
	v_fmac_f32_e32 v14, v15, v14
	v_mul_f32_e32 v15, v8, v14
	s_delay_alu instid0(VALU_DEP_1) | instskip(NEXT) | instid1(VALU_DEP_1)
	v_fma_f32 v16, -v13, v15, v8
	v_fmac_f32_e32 v15, v16, v14
	s_delay_alu instid0(VALU_DEP_1) | instskip(NEXT) | instid1(VALU_DEP_1)
	v_fma_f32 v8, -v13, v15, v8
	v_div_fmas_f32 v8, v8, v14, v15
	s_delay_alu instid0(VALU_DEP_1)
	v_div_fixup_f32 v8, v8, v10, |v11|
.LBB171_218:
	s_or_b32 exec_lo, exec_lo, s13
                                        ; implicit-def: $vgpr11
	s_and_saveexec_b32 s2, s1
	s_delay_alu instid0(SALU_CYCLE_1)
	s_xor_b32 s1, exec_lo, s2
	s_cbranch_execz .LBB171_220
; %bb.219:
	v_dual_mul_f32 v10, 0.5, v8 :: v_dual_mul_f32 v11, 0.5, v9
	s_delay_alu instid0(VALU_DEP_1) | instskip(NEXT) | instid1(VALU_DEP_2)
	v_cndmask_b32_e64 v10, v8, v10, s12
	v_cndmask_b32_e64 v11, v9, v11, s12
                                        ; implicit-def: $vgpr8
                                        ; implicit-def: $vgpr9
	s_and_not1_saveexec_b32 s1, s1
	s_cbranch_execnz .LBB171_221
	s_branch .LBB171_222
.LBB171_220:
	s_and_not1_saveexec_b32 s1, s1
.LBB171_221:
	v_dual_add_f32 v10, v8, v8 :: v_dual_add_f32 v11, v9, v9
.LBB171_222:
	s_or_b32 exec_lo, exec_lo, s1
.LBB171_223:
	s_and_not1_saveexec_b32 s1, s11
	s_cbranch_execz .LBB171_229
; %bb.224:
	s_delay_alu instid0(VALU_DEP_1)
	v_sub_f32_e32 v8, v11, v11
	s_mov_b32 s2, exec_lo
	v_cmpx_lt_i32_e32 -1, v10
	s_xor_b32 s2, exec_lo, s2
; %bb.225:
	s_delay_alu instid0(VALU_DEP_2)
	v_bfi_b32 v11, 0x7fffffff, v8, v11
                                        ; implicit-def: $vgpr8
; %bb.226:
	s_and_not1_saveexec_b32 s2, s2
; %bb.227:
	v_and_b32_e32 v8, 0x7fffffff, v8
	s_delay_alu instid0(VALU_DEP_2) | instskip(NEXT) | instid1(VALU_DEP_2)
	v_bfi_b32 v11, 0x7fffffff, v10, v11
	v_mov_b32_e32 v10, v8
; %bb.228:
	s_or_b32 exec_lo, exec_lo, s2
.LBB171_229:
	s_delay_alu instid0(SALU_CYCLE_1)
	s_or_b32 exec_lo, exec_lo, s1
.LBB171_230:
	s_and_not1_saveexec_b32 s1, s9
; %bb.231:
	v_sub_f32_e32 v8, v11, v11
	s_delay_alu instid0(VALU_DEP_1) | instskip(NEXT) | instid1(VALU_DEP_1)
	v_div_scale_f32 v9, vcc_lo, v8, v8, v8
	v_rcp_f32_e32 v11, v9
	s_waitcnt_depctr 0xfff
	v_fma_f32 v13, -v9, v11, 1.0
	s_delay_alu instid0(VALU_DEP_1) | instskip(NEXT) | instid1(VALU_DEP_1)
	v_fmac_f32_e32 v11, v13, v11
	v_mul_f32_e32 v13, v9, v11
	s_delay_alu instid0(VALU_DEP_1) | instskip(NEXT) | instid1(VALU_DEP_1)
	v_fma_f32 v14, -v9, v13, v9
	v_fmac_f32_e32 v13, v14, v11
	s_delay_alu instid0(VALU_DEP_1) | instskip(NEXT) | instid1(VALU_DEP_1)
	v_fma_f32 v9, -v9, v13, v9
	v_div_fmas_f32 v9, v9, v11, v13
	s_delay_alu instid0(VALU_DEP_1)
	v_div_fixup_f32 v11, v9, v8, v8
; %bb.232:
	s_or_b32 exec_lo, exec_lo, s1
	v_mov_b32_e32 v13, v10
.LBB171_233:
	s_or_b32 exec_lo, exec_lo, s7
.LBB171_234:
	s_delay_alu instid0(SALU_CYCLE_1) | instskip(NEXT) | instid1(VALU_DEP_1)
	s_or_b32 exec_lo, exec_lo, s6
	v_cmp_gt_f32_e32 vcc_lo, 0, v13
                                        ; implicit-def: $vgpr8
	s_mov_b32 s1, exec_lo
	v_cndmask_b32_e64 v10, v13, -v13, vcc_lo
	v_cmp_gt_f32_e32 vcc_lo, 0, v11
	v_cndmask_b32_e64 v14, v11, -v11, vcc_lo
	s_delay_alu instid0(VALU_DEP_1)
	v_cmpx_ge_f32_e32 v10, v14
	s_xor_b32 s2, exec_lo, s1
	s_cbranch_execz .LBB171_240
; %bb.235:
	v_cmp_neq_f32_e32 vcc_lo, 0, v13
	v_cmp_neq_f32_e64 s1, 0, v11
                                        ; implicit-def: $vgpr8
	s_delay_alu instid0(VALU_DEP_1) | instskip(NEXT) | instid1(SALU_CYCLE_1)
	s_or_b32 s1, vcc_lo, s1
	s_and_saveexec_b32 s6, s1
	s_delay_alu instid0(SALU_CYCLE_1)
	s_xor_b32 s1, exec_lo, s6
	s_cbranch_execz .LBB171_237
; %bb.236:
	v_div_scale_f32 v8, null, v13, v13, v11
	v_div_scale_f32 v14, vcc_lo, v11, v13, v11
	s_delay_alu instid0(VALU_DEP_2) | instskip(SKIP_2) | instid1(VALU_DEP_1)
	v_rcp_f32_e32 v9, v8
	s_waitcnt_depctr 0xfff
	v_fma_f32 v10, -v8, v9, 1.0
	v_fmac_f32_e32 v9, v10, v9
	s_delay_alu instid0(VALU_DEP_1) | instskip(NEXT) | instid1(VALU_DEP_1)
	v_mul_f32_e32 v10, v14, v9
	v_fma_f32 v15, -v8, v10, v14
	s_delay_alu instid0(VALU_DEP_1) | instskip(NEXT) | instid1(VALU_DEP_1)
	v_fmac_f32_e32 v10, v15, v9
	v_fma_f32 v8, -v8, v10, v14
	s_delay_alu instid0(VALU_DEP_1) | instskip(NEXT) | instid1(VALU_DEP_1)
	v_div_fmas_f32 v8, v8, v9, v10
	v_div_fixup_f32 v9, v8, v13, v11
	s_delay_alu instid0(VALU_DEP_1) | instskip(NEXT) | instid1(VALU_DEP_1)
	v_fmac_f32_e32 v13, v11, v9
	v_div_scale_f32 v8, null, v13, v13, 1.0
	v_div_scale_f32 v14, vcc_lo, 1.0, v13, 1.0
	s_delay_alu instid0(VALU_DEP_2) | instskip(SKIP_2) | instid1(VALU_DEP_1)
	v_rcp_f32_e32 v10, v8
	s_waitcnt_depctr 0xfff
	v_fma_f32 v11, -v8, v10, 1.0
	v_fmac_f32_e32 v10, v11, v10
	s_delay_alu instid0(VALU_DEP_1) | instskip(NEXT) | instid1(VALU_DEP_1)
	v_mul_f32_e32 v11, v14, v10
	v_fma_f32 v15, -v8, v11, v14
	s_delay_alu instid0(VALU_DEP_1) | instskip(NEXT) | instid1(VALU_DEP_1)
	v_fmac_f32_e32 v11, v15, v10
	v_fma_f32 v8, -v8, v11, v14
                                        ; implicit-def: $vgpr14
	s_delay_alu instid0(VALU_DEP_1) | instskip(SKIP_1) | instid1(VALU_DEP_2)
	v_div_fmas_f32 v8, v8, v10, v11
	v_fma_f32 v10, v9, 0, 1.0
	v_div_fixup_f32 v11, v8, v13, 1.0
	s_delay_alu instid0(VALU_DEP_1)
	v_mul_f32_e32 v8, v10, v11
	v_mul_f32_e64 v9, -v9, v11
                                        ; implicit-def: $vgpr10
.LBB171_237:
	s_and_not1_saveexec_b32 s6, s1
	s_cbranch_execz .LBB171_239
; %bb.238:
	v_div_scale_f32 v8, null, v10, v10, 1.0
	v_div_scale_f32 v9, null, v14, v14, 0
	v_div_scale_f32 v17, vcc_lo, 1.0, v10, 1.0
	s_delay_alu instid0(VALU_DEP_3) | instskip(NEXT) | instid1(VALU_DEP_2)
	v_rcp_f32_e32 v11, v8
	v_rcp_f32_e32 v13, v9
	s_waitcnt_depctr 0xfff
	v_fma_f32 v15, -v8, v11, 1.0
	v_fma_f32 v16, -v9, v13, 1.0
	s_delay_alu instid0(VALU_DEP_1) | instskip(NEXT) | instid1(VALU_DEP_3)
	v_fmac_f32_e32 v13, v16, v13
	v_fmac_f32_e32 v11, v15, v11
	v_div_scale_f32 v15, s1, 0, v14, 0
	s_delay_alu instid0(VALU_DEP_1) | instskip(NEXT) | instid1(VALU_DEP_1)
	v_mul_f32_e32 v18, v15, v13
	v_fma_f32 v20, -v9, v18, v15
	s_delay_alu instid0(VALU_DEP_1) | instskip(SKIP_1) | instid1(VALU_DEP_2)
	v_fmac_f32_e32 v18, v20, v13
	v_mul_f32_e32 v16, v17, v11
	v_fma_f32 v9, -v9, v18, v15
	s_delay_alu instid0(VALU_DEP_2) | instskip(NEXT) | instid1(VALU_DEP_1)
	v_fma_f32 v19, -v8, v16, v17
	v_fmac_f32_e32 v16, v19, v11
	s_delay_alu instid0(VALU_DEP_1) | instskip(NEXT) | instid1(VALU_DEP_1)
	v_fma_f32 v8, -v8, v16, v17
	v_div_fmas_f32 v8, v8, v11, v16
	s_mov_b32 vcc_lo, s1
	v_div_fmas_f32 v9, v9, v13, v18
	s_delay_alu instid0(VALU_DEP_2) | instskip(NEXT) | instid1(VALU_DEP_2)
	v_div_fixup_f32 v8, v8, v10, 1.0
	v_div_fixup_f32 v9, v9, v14, 0
.LBB171_239:
	s_or_b32 exec_lo, exec_lo, s6
                                        ; implicit-def: $vgpr11
                                        ; implicit-def: $vgpr13
.LBB171_240:
	s_and_not1_saveexec_b32 s1, s2
	s_cbranch_execz .LBB171_242
; %bb.241:
	v_div_scale_f32 v8, null, v11, v11, v13
	v_div_scale_f32 v14, vcc_lo, v13, v11, v13
	s_delay_alu instid0(VALU_DEP_2) | instskip(SKIP_2) | instid1(VALU_DEP_1)
	v_rcp_f32_e32 v9, v8
	s_waitcnt_depctr 0xfff
	v_fma_f32 v10, -v8, v9, 1.0
	v_fmac_f32_e32 v9, v10, v9
	s_delay_alu instid0(VALU_DEP_1) | instskip(NEXT) | instid1(VALU_DEP_1)
	v_mul_f32_e32 v10, v14, v9
	v_fma_f32 v15, -v8, v10, v14
	s_delay_alu instid0(VALU_DEP_1) | instskip(NEXT) | instid1(VALU_DEP_1)
	v_fmac_f32_e32 v10, v15, v9
	v_fma_f32 v8, -v8, v10, v14
	s_delay_alu instid0(VALU_DEP_1) | instskip(NEXT) | instid1(VALU_DEP_1)
	v_div_fmas_f32 v8, v8, v9, v10
	v_div_fixup_f32 v8, v8, v11, v13
	s_delay_alu instid0(VALU_DEP_1) | instskip(NEXT) | instid1(VALU_DEP_1)
	v_fmac_f32_e32 v11, v13, v8
	v_div_scale_f32 v9, null, v11, v11, 1.0
	v_div_scale_f32 v14, vcc_lo, 1.0, v11, 1.0
	s_delay_alu instid0(VALU_DEP_2) | instskip(SKIP_2) | instid1(VALU_DEP_1)
	v_rcp_f32_e32 v10, v9
	s_waitcnt_depctr 0xfff
	v_fma_f32 v13, -v9, v10, 1.0
	v_fmac_f32_e32 v10, v13, v10
	s_delay_alu instid0(VALU_DEP_1) | instskip(NEXT) | instid1(VALU_DEP_1)
	v_mul_f32_e32 v13, v14, v10
	v_fma_f32 v15, -v9, v13, v14
	s_delay_alu instid0(VALU_DEP_1) | instskip(NEXT) | instid1(VALU_DEP_1)
	v_fmac_f32_e32 v13, v15, v10
	v_fma_f32 v9, -v9, v13, v14
	s_delay_alu instid0(VALU_DEP_1) | instskip(SKIP_1) | instid1(VALU_DEP_2)
	v_div_fmas_f32 v9, v9, v10, v13
	v_add_f32_e32 v10, 0, v8
	v_div_fixup_f32 v9, v9, v11, 1.0
	v_fma_f32 v11, v8, 0, -1.0
	s_delay_alu instid0(VALU_DEP_2) | instskip(NEXT) | instid1(VALU_DEP_2)
	v_mul_f32_e32 v8, v10, v9
	v_mul_f32_e32 v9, v11, v9
.LBB171_242:
	s_or_b32 exec_lo, exec_lo, s1
.LBB171_243:
	s_delay_alu instid0(SALU_CYCLE_1) | instskip(SKIP_2) | instid1(VALU_DEP_2)
	s_or_b32 exec_lo, exec_lo, s3
	v_or_b32_e32 v11, 0x200, v0
	v_mov_b32_e32 v10, 0
	v_cmp_gt_i32_e32 vcc_lo, s10, v11
	v_mov_b32_e32 v11, 0
	s_and_saveexec_b32 s3, vcc_lo
	s_cbranch_execz .LBB171_283
; %bb.244:
	v_cmp_neq_f32_e32 vcc_lo, 0, v6
	v_cmp_neq_f32_e64 s1, 0, v7
	v_mov_b32_e32 v13, 0
	s_delay_alu instid0(VALU_DEP_2) | instskip(NEXT) | instid1(SALU_CYCLE_1)
	s_or_b32 s1, vcc_lo, s1
	s_and_saveexec_b32 s6, s1
	s_cbranch_execz .LBB171_274
; %bb.245:
	v_mov_b32_e32 v13, 0x7f800000
	s_mov_b32 s7, exec_lo
	v_cmpx_neq_f32_e64 0x7f800000, |v7|
	s_cbranch_execz .LBB171_273
; %bb.246:
	s_mov_b32 s1, exec_lo
	v_cmpx_o_f32_e32 v6, v6
	s_xor_b32 s9, exec_lo, s1
	s_cbranch_execz .LBB171_270
; %bb.247:
	s_mov_b32 s2, exec_lo
	v_cmpx_neq_f32_e64 0x7f800000, |v6|
	s_xor_b32 s11, exec_lo, s2
	s_cbranch_execz .LBB171_263
; %bb.248:
	v_max_f32_e64 v10, |v6|, |v6|
	v_max_f32_e64 v11, |v7|, |v7|
                                        ; implicit-def: $sgpr12
	s_delay_alu instid0(VALU_DEP_1) | instskip(NEXT) | instid1(VALU_DEP_1)
	v_max_f32_e32 v10, v11, v10
	v_cmp_nle_f32_e64 s1, 0x7ed413cb, v10
	s_delay_alu instid0(VALU_DEP_1) | instskip(NEXT) | instid1(SALU_CYCLE_1)
	s_and_saveexec_b32 s2, s1
	s_xor_b32 s2, exec_lo, s2
	s_cbranch_execz .LBB171_252
; %bb.249:
	v_cmp_ge_f32_e64 s12, 0x1000000, |v6|
	v_cmp_ge_f32_e64 s13, 0x1000000, |v7|
	s_delay_alu instid0(VALU_DEP_1)
	s_and_b32 s14, s13, s12
	s_mov_b32 s12, 0
	s_and_saveexec_b32 s13, s14
; %bb.250:
	v_dual_mul_f32 v6, 4.0, v6 :: v_dual_mul_f32 v7, 4.0, v7
	s_mov_b32 s12, exec_lo
; %bb.251:
	s_or_b32 exec_lo, exec_lo, s13
	s_delay_alu instid0(SALU_CYCLE_1)
	s_and_b32 s12, s12, exec_lo
.LBB171_252:
	s_and_not1_saveexec_b32 s2, s2
; %bb.253:
	v_dual_mul_f32 v6, 0x3e800000, v6 :: v_dual_mul_f32 v7, 0x3e800000, v7
	s_and_not1_b32 s12, s12, exec_lo
; %bb.254:
	s_or_b32 exec_lo, exec_lo, s2
	s_delay_alu instid0(VALU_DEP_1) | instskip(NEXT) | instid1(VALU_DEP_2)
	v_max_f32_e64 v10, |v7|, |v7|
	v_max_f32_e64 v11, |v6|, |v6|
	s_delay_alu instid0(VALU_DEP_1) | instskip(NEXT) | instid1(VALU_DEP_1)
	v_max_f32_e32 v13, v11, v10
	v_cvt_f64_f32_e32 v[10:11], v13
	v_cmp_neq_f32_e64 s2, 0x7f800000, v13
	s_delay_alu instid0(VALU_DEP_2) | instskip(NEXT) | instid1(VALU_DEP_1)
	v_frexp_exp_i32_f64_e32 v10, v[10:11]
	v_sub_nc_u32_e32 v11, 0, v10
	s_delay_alu instid0(VALU_DEP_1) | instskip(SKIP_1) | instid1(VALU_DEP_2)
	v_ldexp_f32 v14, |v7|, v11
	v_ldexp_f32 v11, |v6|, v11
	v_mul_f32_e32 v14, v14, v14
	s_delay_alu instid0(VALU_DEP_1) | instskip(NEXT) | instid1(VALU_DEP_1)
	v_fmac_f32_e32 v14, v11, v11
	v_sqrt_f32_e32 v11, v14
	s_waitcnt_depctr 0xfff
	v_ldexp_f32 v10, v11, v10
                                        ; implicit-def: $vgpr11
	s_delay_alu instid0(VALU_DEP_1)
	v_cndmask_b32_e64 v13, 0x7f800000, v10, s2
                                        ; implicit-def: $vgpr10
	s_mov_b32 s2, exec_lo
	v_cmpx_le_f32_e32 0, v6
	s_xor_b32 s13, exec_lo, s2
	s_cbranch_execz .LBB171_256
; %bb.255:
	v_add_f32_e32 v6, v6, v13
	s_delay_alu instid0(VALU_DEP_1) | instskip(NEXT) | instid1(VALU_DEP_1)
	v_mul_f32_e32 v6, 0.5, v6
	v_mul_f32_e32 v10, 0x4f800000, v6
	v_cmp_gt_f32_e32 vcc_lo, 0xf800000, v6
	s_delay_alu instid0(VALU_DEP_2) | instskip(NEXT) | instid1(VALU_DEP_1)
	v_cndmask_b32_e32 v6, v6, v10, vcc_lo
	v_sqrt_f32_e32 v10, v6
	s_waitcnt_depctr 0xfff
	v_add_nc_u32_e32 v11, -1, v10
	v_add_nc_u32_e32 v13, 1, v10
	s_delay_alu instid0(VALU_DEP_2) | instskip(NEXT) | instid1(VALU_DEP_2)
	v_fma_f32 v14, -v11, v10, v6
	v_fma_f32 v15, -v13, v10, v6
	s_delay_alu instid0(VALU_DEP_2) | instskip(NEXT) | instid1(VALU_DEP_1)
	v_cmp_ge_f32_e64 s2, 0, v14
	v_cndmask_b32_e64 v10, v10, v11, s2
	s_delay_alu instid0(VALU_DEP_3) | instskip(NEXT) | instid1(VALU_DEP_1)
	v_cmp_lt_f32_e64 s2, 0, v15
	v_cndmask_b32_e64 v10, v10, v13, s2
	s_delay_alu instid0(VALU_DEP_1) | instskip(NEXT) | instid1(VALU_DEP_1)
	v_mul_f32_e32 v11, 0x37800000, v10
	v_cndmask_b32_e32 v10, v10, v11, vcc_lo
	v_cmp_class_f32_e64 vcc_lo, v6, 0x260
	s_delay_alu instid0(VALU_DEP_2) | instskip(NEXT) | instid1(VALU_DEP_1)
	v_cndmask_b32_e32 v10, v10, v6, vcc_lo
	v_add_f32_e32 v6, v10, v10
	s_delay_alu instid0(VALU_DEP_1) | instskip(NEXT) | instid1(VALU_DEP_1)
	v_div_scale_f32 v11, null, v6, v6, v7
	v_rcp_f32_e32 v13, v11
	s_waitcnt_depctr 0xfff
	v_fma_f32 v14, -v11, v13, 1.0
	s_delay_alu instid0(VALU_DEP_1) | instskip(SKIP_1) | instid1(VALU_DEP_1)
	v_fmac_f32_e32 v13, v14, v13
	v_div_scale_f32 v14, vcc_lo, v7, v6, v7
	v_mul_f32_e32 v15, v14, v13
	s_delay_alu instid0(VALU_DEP_1) | instskip(NEXT) | instid1(VALU_DEP_1)
	v_fma_f32 v16, -v11, v15, v14
	v_fmac_f32_e32 v15, v16, v13
	s_delay_alu instid0(VALU_DEP_1) | instskip(NEXT) | instid1(VALU_DEP_1)
	v_fma_f32 v11, -v11, v15, v14
	v_div_fmas_f32 v11, v11, v13, v15
                                        ; implicit-def: $vgpr13
	s_delay_alu instid0(VALU_DEP_1)
	v_div_fixup_f32 v11, v11, v6, v7
                                        ; implicit-def: $vgpr6
	s_and_not1_saveexec_b32 s13, s13
	s_cbranch_execz .LBB171_258
	s_branch .LBB171_257
.LBB171_256:
	s_and_not1_saveexec_b32 s13, s13
	s_cbranch_execz .LBB171_258
.LBB171_257:
	v_sub_f32_e32 v6, v13, v6
	s_delay_alu instid0(VALU_DEP_1) | instskip(NEXT) | instid1(VALU_DEP_1)
	v_mul_f32_e32 v6, 0.5, v6
	v_mul_f32_e32 v10, 0x4f800000, v6
	v_cmp_gt_f32_e32 vcc_lo, 0xf800000, v6
	s_delay_alu instid0(VALU_DEP_2) | instskip(NEXT) | instid1(VALU_DEP_1)
	v_cndmask_b32_e32 v6, v6, v10, vcc_lo
	v_sqrt_f32_e32 v10, v6
	s_waitcnt_depctr 0xfff
	v_add_nc_u32_e32 v11, -1, v10
	v_add_nc_u32_e32 v13, 1, v10
	s_delay_alu instid0(VALU_DEP_2) | instskip(NEXT) | instid1(VALU_DEP_2)
	v_fma_f32 v14, -v11, v10, v6
	v_fma_f32 v15, -v13, v10, v6
	s_delay_alu instid0(VALU_DEP_2) | instskip(NEXT) | instid1(VALU_DEP_1)
	v_cmp_ge_f32_e64 s2, 0, v14
	v_cndmask_b32_e64 v10, v10, v11, s2
	s_delay_alu instid0(VALU_DEP_3) | instskip(NEXT) | instid1(VALU_DEP_1)
	v_cmp_lt_f32_e64 s2, 0, v15
	v_cndmask_b32_e64 v10, v10, v13, s2
	s_delay_alu instid0(VALU_DEP_1) | instskip(NEXT) | instid1(VALU_DEP_1)
	v_mul_f32_e32 v11, 0x37800000, v10
	v_cndmask_b32_e32 v10, v10, v11, vcc_lo
	v_cmp_class_f32_e64 vcc_lo, v6, 0x260
	s_delay_alu instid0(VALU_DEP_2) | instskip(NEXT) | instid1(VALU_DEP_1)
	v_cndmask_b32_e32 v6, v10, v6, vcc_lo
	v_dual_add_f32 v11, v6, v6 :: v_dual_and_b32 v10, 0x7fffffff, v7
	s_delay_alu instid0(VALU_DEP_1) | instskip(SKIP_1) | instid1(VALU_DEP_2)
	v_div_scale_f32 v13, null, v11, v11, v10
	v_div_scale_f32 v10, vcc_lo, v10, v11, v10
	v_rcp_f32_e32 v14, v13
	s_waitcnt_depctr 0xfff
	v_fma_f32 v15, -v13, v14, 1.0
	s_delay_alu instid0(VALU_DEP_1) | instskip(NEXT) | instid1(VALU_DEP_1)
	v_fmac_f32_e32 v14, v15, v14
	v_mul_f32_e32 v15, v10, v14
	s_delay_alu instid0(VALU_DEP_1) | instskip(NEXT) | instid1(VALU_DEP_1)
	v_fma_f32 v16, -v13, v15, v10
	v_fmac_f32_e32 v15, v16, v14
	s_delay_alu instid0(VALU_DEP_1) | instskip(NEXT) | instid1(VALU_DEP_1)
	v_fma_f32 v10, -v13, v15, v10
	v_div_fmas_f32 v10, v10, v14, v15
	s_delay_alu instid0(VALU_DEP_1)
	v_div_fixup_f32 v10, v10, v11, |v7|
	v_bfi_b32 v11, 0x7fffffff, v6, v7
.LBB171_258:
	s_or_b32 exec_lo, exec_lo, s13
                                        ; implicit-def: $vgpr7
	s_and_saveexec_b32 s2, s1
	s_delay_alu instid0(SALU_CYCLE_1)
	s_xor_b32 s1, exec_lo, s2
	s_cbranch_execz .LBB171_260
; %bb.259:
	v_dual_mul_f32 v6, 0.5, v10 :: v_dual_mul_f32 v7, 0.5, v11
	s_delay_alu instid0(VALU_DEP_1) | instskip(NEXT) | instid1(VALU_DEP_2)
	v_cndmask_b32_e64 v6, v10, v6, s12
	v_cndmask_b32_e64 v7, v11, v7, s12
                                        ; implicit-def: $vgpr10
                                        ; implicit-def: $vgpr11
	s_and_not1_saveexec_b32 s1, s1
	s_cbranch_execnz .LBB171_261
	s_branch .LBB171_262
.LBB171_260:
	s_and_not1_saveexec_b32 s1, s1
.LBB171_261:
	v_dual_add_f32 v6, v10, v10 :: v_dual_add_f32 v7, v11, v11
.LBB171_262:
	s_or_b32 exec_lo, exec_lo, s1
.LBB171_263:
	s_and_not1_saveexec_b32 s1, s11
	s_cbranch_execz .LBB171_269
; %bb.264:
	s_delay_alu instid0(VALU_DEP_1)
	v_sub_f32_e32 v10, v7, v7
	s_mov_b32 s2, exec_lo
	v_cmpx_lt_i32_e32 -1, v6
	s_xor_b32 s2, exec_lo, s2
; %bb.265:
	s_delay_alu instid0(VALU_DEP_2)
	v_bfi_b32 v7, 0x7fffffff, v10, v7
                                        ; implicit-def: $vgpr10
; %bb.266:
	s_and_not1_saveexec_b32 s2, s2
; %bb.267:
	v_and_b32_e32 v10, 0x7fffffff, v10
	s_delay_alu instid0(VALU_DEP_2) | instskip(NEXT) | instid1(VALU_DEP_2)
	v_bfi_b32 v7, 0x7fffffff, v6, v7
	v_mov_b32_e32 v6, v10
; %bb.268:
	s_or_b32 exec_lo, exec_lo, s2
.LBB171_269:
	s_delay_alu instid0(SALU_CYCLE_1)
	s_or_b32 exec_lo, exec_lo, s1
.LBB171_270:
	s_and_not1_saveexec_b32 s1, s9
; %bb.271:
	v_sub_f32_e32 v7, v7, v7
	s_delay_alu instid0(VALU_DEP_1) | instskip(NEXT) | instid1(VALU_DEP_1)
	v_div_scale_f32 v10, vcc_lo, v7, v7, v7
	v_rcp_f32_e32 v11, v10
	s_waitcnt_depctr 0xfff
	v_fma_f32 v13, -v10, v11, 1.0
	s_delay_alu instid0(VALU_DEP_1) | instskip(NEXT) | instid1(VALU_DEP_1)
	v_fmac_f32_e32 v11, v13, v11
	v_mul_f32_e32 v13, v10, v11
	s_delay_alu instid0(VALU_DEP_1) | instskip(NEXT) | instid1(VALU_DEP_1)
	v_fma_f32 v14, -v10, v13, v10
	v_fmac_f32_e32 v13, v14, v11
	s_delay_alu instid0(VALU_DEP_1) | instskip(NEXT) | instid1(VALU_DEP_1)
	v_fma_f32 v10, -v10, v13, v10
	v_div_fmas_f32 v10, v10, v11, v13
	s_delay_alu instid0(VALU_DEP_1)
	v_div_fixup_f32 v7, v10, v7, v7
; %bb.272:
	s_or_b32 exec_lo, exec_lo, s1
	v_mov_b32_e32 v13, v6
.LBB171_273:
	s_or_b32 exec_lo, exec_lo, s7
.LBB171_274:
	s_delay_alu instid0(SALU_CYCLE_1) | instskip(NEXT) | instid1(VALU_DEP_1)
	s_or_b32 exec_lo, exec_lo, s6
	v_cmp_gt_f32_e32 vcc_lo, 0, v13
                                        ; implicit-def: $vgpr10
	s_mov_b32 s1, exec_lo
	v_cndmask_b32_e64 v6, v13, -v13, vcc_lo
	v_cmp_gt_f32_e32 vcc_lo, 0, v7
	v_cndmask_b32_e64 v14, v7, -v7, vcc_lo
	s_delay_alu instid0(VALU_DEP_1)
	v_cmpx_ge_f32_e32 v6, v14
	s_xor_b32 s2, exec_lo, s1
	s_cbranch_execz .LBB171_280
; %bb.275:
	v_cmp_neq_f32_e32 vcc_lo, 0, v13
	v_cmp_neq_f32_e64 s1, 0, v7
                                        ; implicit-def: $vgpr10
	s_delay_alu instid0(VALU_DEP_1) | instskip(NEXT) | instid1(SALU_CYCLE_1)
	s_or_b32 s1, vcc_lo, s1
	s_and_saveexec_b32 s6, s1
	s_delay_alu instid0(SALU_CYCLE_1)
	s_xor_b32 s1, exec_lo, s6
	s_cbranch_execz .LBB171_277
; %bb.276:
	v_div_scale_f32 v6, null, v13, v13, v7
	v_div_scale_f32 v14, vcc_lo, v7, v13, v7
	s_delay_alu instid0(VALU_DEP_2) | instskip(SKIP_2) | instid1(VALU_DEP_1)
	v_rcp_f32_e32 v10, v6
	s_waitcnt_depctr 0xfff
	v_fma_f32 v11, -v6, v10, 1.0
	v_fmac_f32_e32 v10, v11, v10
	s_delay_alu instid0(VALU_DEP_1) | instskip(NEXT) | instid1(VALU_DEP_1)
	v_mul_f32_e32 v11, v14, v10
	v_fma_f32 v15, -v6, v11, v14
	s_delay_alu instid0(VALU_DEP_1) | instskip(NEXT) | instid1(VALU_DEP_1)
	v_fmac_f32_e32 v11, v15, v10
	v_fma_f32 v6, -v6, v11, v14
	s_delay_alu instid0(VALU_DEP_1) | instskip(NEXT) | instid1(VALU_DEP_1)
	v_div_fmas_f32 v6, v6, v10, v11
	v_div_fixup_f32 v6, v6, v13, v7
	s_delay_alu instid0(VALU_DEP_1) | instskip(NEXT) | instid1(VALU_DEP_1)
	v_fmac_f32_e32 v13, v7, v6
	v_div_scale_f32 v7, null, v13, v13, 1.0
	v_div_scale_f32 v14, vcc_lo, 1.0, v13, 1.0
	s_delay_alu instid0(VALU_DEP_2) | instskip(SKIP_2) | instid1(VALU_DEP_1)
	v_rcp_f32_e32 v10, v7
	s_waitcnt_depctr 0xfff
	v_fma_f32 v11, -v7, v10, 1.0
	v_fmac_f32_e32 v10, v11, v10
	s_delay_alu instid0(VALU_DEP_1) | instskip(NEXT) | instid1(VALU_DEP_1)
	v_mul_f32_e32 v11, v14, v10
	v_fma_f32 v15, -v7, v11, v14
	s_delay_alu instid0(VALU_DEP_1) | instskip(NEXT) | instid1(VALU_DEP_1)
	v_fmac_f32_e32 v11, v15, v10
	v_fma_f32 v7, -v7, v11, v14
                                        ; implicit-def: $vgpr14
	s_delay_alu instid0(VALU_DEP_1) | instskip(SKIP_1) | instid1(VALU_DEP_2)
	v_div_fmas_f32 v7, v7, v10, v11
	v_fma_f32 v10, v6, 0, 1.0
	v_div_fixup_f32 v7, v7, v13, 1.0
	s_delay_alu instid0(VALU_DEP_1)
	v_mul_f32_e32 v10, v10, v7
	v_mul_f32_e64 v11, -v6, v7
                                        ; implicit-def: $vgpr6
.LBB171_277:
	s_and_not1_saveexec_b32 s6, s1
	s_cbranch_execz .LBB171_279
; %bb.278:
	v_div_scale_f32 v7, null, v6, v6, 1.0
	v_div_scale_f32 v10, null, v14, v14, 0
	v_div_scale_f32 v17, vcc_lo, 1.0, v6, 1.0
	s_delay_alu instid0(VALU_DEP_3) | instskip(NEXT) | instid1(VALU_DEP_2)
	v_rcp_f32_e32 v11, v7
	v_rcp_f32_e32 v13, v10
	s_waitcnt_depctr 0xfff
	v_fma_f32 v15, -v7, v11, 1.0
	v_fma_f32 v16, -v10, v13, 1.0
	s_delay_alu instid0(VALU_DEP_1) | instskip(NEXT) | instid1(VALU_DEP_3)
	v_fmac_f32_e32 v13, v16, v13
	v_fmac_f32_e32 v11, v15, v11
	v_div_scale_f32 v15, s1, 0, v14, 0
	s_delay_alu instid0(VALU_DEP_1) | instskip(NEXT) | instid1(VALU_DEP_1)
	v_mul_f32_e32 v18, v15, v13
	v_fma_f32 v20, -v10, v18, v15
	s_delay_alu instid0(VALU_DEP_1) | instskip(SKIP_1) | instid1(VALU_DEP_2)
	v_fmac_f32_e32 v18, v20, v13
	v_mul_f32_e32 v16, v17, v11
	v_fma_f32 v10, -v10, v18, v15
	s_delay_alu instid0(VALU_DEP_2) | instskip(NEXT) | instid1(VALU_DEP_1)
	v_fma_f32 v19, -v7, v16, v17
	v_fmac_f32_e32 v16, v19, v11
	s_delay_alu instid0(VALU_DEP_1) | instskip(NEXT) | instid1(VALU_DEP_1)
	v_fma_f32 v7, -v7, v16, v17
	v_div_fmas_f32 v7, v7, v11, v16
	s_mov_b32 vcc_lo, s1
	v_div_fmas_f32 v11, v10, v13, v18
	s_delay_alu instid0(VALU_DEP_2) | instskip(NEXT) | instid1(VALU_DEP_2)
	v_div_fixup_f32 v10, v7, v6, 1.0
	v_div_fixup_f32 v11, v11, v14, 0
.LBB171_279:
	s_or_b32 exec_lo, exec_lo, s6
                                        ; implicit-def: $vgpr7
                                        ; implicit-def: $vgpr13
.LBB171_280:
	s_and_not1_saveexec_b32 s1, s2
	s_cbranch_execz .LBB171_282
; %bb.281:
	v_div_scale_f32 v6, null, v7, v7, v13
	v_div_scale_f32 v14, vcc_lo, v13, v7, v13
	s_delay_alu instid0(VALU_DEP_2) | instskip(SKIP_2) | instid1(VALU_DEP_1)
	v_rcp_f32_e32 v10, v6
	s_waitcnt_depctr 0xfff
	v_fma_f32 v11, -v6, v10, 1.0
	v_fmac_f32_e32 v10, v11, v10
	s_delay_alu instid0(VALU_DEP_1) | instskip(NEXT) | instid1(VALU_DEP_1)
	v_mul_f32_e32 v11, v14, v10
	v_fma_f32 v15, -v6, v11, v14
	s_delay_alu instid0(VALU_DEP_1) | instskip(NEXT) | instid1(VALU_DEP_1)
	v_fmac_f32_e32 v11, v15, v10
	v_fma_f32 v6, -v6, v11, v14
	s_delay_alu instid0(VALU_DEP_1) | instskip(NEXT) | instid1(VALU_DEP_1)
	v_div_fmas_f32 v6, v6, v10, v11
	v_div_fixup_f32 v6, v6, v7, v13
	s_delay_alu instid0(VALU_DEP_1) | instskip(NEXT) | instid1(VALU_DEP_1)
	v_fmac_f32_e32 v7, v13, v6
	v_div_scale_f32 v10, null, v7, v7, 1.0
	v_div_scale_f32 v14, vcc_lo, 1.0, v7, 1.0
	s_delay_alu instid0(VALU_DEP_2) | instskip(SKIP_2) | instid1(VALU_DEP_1)
	v_rcp_f32_e32 v11, v10
	s_waitcnt_depctr 0xfff
	v_fma_f32 v13, -v10, v11, 1.0
	v_fmac_f32_e32 v11, v13, v11
	s_delay_alu instid0(VALU_DEP_1) | instskip(NEXT) | instid1(VALU_DEP_1)
	v_mul_f32_e32 v13, v14, v11
	v_fma_f32 v15, -v10, v13, v14
	s_delay_alu instid0(VALU_DEP_1) | instskip(NEXT) | instid1(VALU_DEP_1)
	v_fmac_f32_e32 v13, v15, v11
	v_fma_f32 v10, -v10, v13, v14
	s_delay_alu instid0(VALU_DEP_1) | instskip(SKIP_2) | instid1(VALU_DEP_3)
	v_div_fmas_f32 v10, v10, v11, v13
	v_add_f32_e32 v11, 0, v6
	v_fma_f32 v6, v6, 0, -1.0
	v_div_fixup_f32 v7, v10, v7, 1.0
	s_delay_alu instid0(VALU_DEP_1) | instskip(NEXT) | instid1(VALU_DEP_3)
	v_mul_f32_e32 v10, v11, v7
	v_mul_f32_e32 v11, v6, v7
.LBB171_282:
	s_or_b32 exec_lo, exec_lo, s1
.LBB171_283:
	s_delay_alu instid0(SALU_CYCLE_1) | instskip(SKIP_2) | instid1(VALU_DEP_2)
	s_or_b32 exec_lo, exec_lo, s3
	v_or_b32_e32 v7, 0x300, v0
	v_mov_b32_e32 v6, 0
	v_cmp_gt_i32_e32 vcc_lo, s10, v7
	v_mov_b32_e32 v7, 0
	s_and_saveexec_b32 s3, vcc_lo
	s_cbranch_execz .LBB171_296
; %bb.284:
	v_cmp_neq_f32_e32 vcc_lo, 0, v2
	v_cmp_neq_f32_e64 s1, 0, v3
	v_mov_b32_e32 v13, 0
	s_delay_alu instid0(VALU_DEP_2) | instskip(NEXT) | instid1(SALU_CYCLE_1)
	s_or_b32 s1, vcc_lo, s1
	s_and_saveexec_b32 s6, s1
	s_cbranch_execz .LBB171_318
; %bb.285:
	v_mov_b32_e32 v13, 0x7f800000
	s_mov_b32 s7, exec_lo
	v_cmpx_neq_f32_e64 0x7f800000, |v3|
	s_cbranch_execz .LBB171_317
; %bb.286:
	s_mov_b32 s1, exec_lo
	v_cmpx_o_f32_e32 v2, v2
	s_xor_b32 s9, exec_lo, s1
	s_cbranch_execz .LBB171_314
; %bb.287:
	s_mov_b32 s2, exec_lo
	v_cmpx_neq_f32_e64 0x7f800000, |v2|
	s_xor_b32 s11, exec_lo, s2
	s_cbranch_execz .LBB171_307
; %bb.288:
	v_max_f32_e64 v6, |v2|, |v2|
	v_max_f32_e64 v7, |v3|, |v3|
                                        ; implicit-def: $sgpr12
	s_delay_alu instid0(VALU_DEP_1) | instskip(NEXT) | instid1(VALU_DEP_1)
	v_max_f32_e32 v6, v7, v6
	v_cmp_nle_f32_e64 s1, 0x7ed413cb, v6
	s_delay_alu instid0(VALU_DEP_1) | instskip(NEXT) | instid1(SALU_CYCLE_1)
	s_and_saveexec_b32 s2, s1
	s_xor_b32 s2, exec_lo, s2
	s_cbranch_execz .LBB171_292
; %bb.289:
	v_cmp_ge_f32_e64 s12, 0x1000000, |v2|
	v_cmp_ge_f32_e64 s13, 0x1000000, |v3|
	s_delay_alu instid0(VALU_DEP_1)
	s_and_b32 s14, s13, s12
	s_mov_b32 s12, 0
	s_and_saveexec_b32 s13, s14
; %bb.290:
	v_dual_mul_f32 v2, 4.0, v2 :: v_dual_mul_f32 v3, 4.0, v3
	s_mov_b32 s12, exec_lo
; %bb.291:
	s_or_b32 exec_lo, exec_lo, s13
	s_delay_alu instid0(SALU_CYCLE_1)
	s_and_b32 s12, s12, exec_lo
.LBB171_292:
	s_and_not1_saveexec_b32 s2, s2
; %bb.293:
	v_dual_mul_f32 v2, 0x3e800000, v2 :: v_dual_mul_f32 v3, 0x3e800000, v3
	s_and_not1_b32 s12, s12, exec_lo
; %bb.294:
	s_or_b32 exec_lo, exec_lo, s2
	s_delay_alu instid0(VALU_DEP_1) | instskip(NEXT) | instid1(VALU_DEP_2)
	v_max_f32_e64 v6, |v3|, |v3|
	v_max_f32_e64 v7, |v2|, |v2|
	s_delay_alu instid0(VALU_DEP_1) | instskip(NEXT) | instid1(VALU_DEP_1)
	v_max_f32_e32 v13, v7, v6
	v_cvt_f64_f32_e32 v[6:7], v13
	v_cmp_neq_f32_e64 s2, 0x7f800000, v13
	s_delay_alu instid0(VALU_DEP_2) | instskip(NEXT) | instid1(VALU_DEP_1)
	v_frexp_exp_i32_f64_e32 v6, v[6:7]
	v_sub_nc_u32_e32 v7, 0, v6
	s_delay_alu instid0(VALU_DEP_1) | instskip(SKIP_1) | instid1(VALU_DEP_2)
	v_ldexp_f32 v14, |v3|, v7
	v_ldexp_f32 v7, |v2|, v7
	v_mul_f32_e32 v14, v14, v14
	s_delay_alu instid0(VALU_DEP_1) | instskip(NEXT) | instid1(VALU_DEP_1)
	v_fmac_f32_e32 v14, v7, v7
	v_sqrt_f32_e32 v7, v14
	s_waitcnt_depctr 0xfff
	v_ldexp_f32 v6, v7, v6
                                        ; implicit-def: $vgpr7
	s_delay_alu instid0(VALU_DEP_1)
	v_cndmask_b32_e64 v13, 0x7f800000, v6, s2
                                        ; implicit-def: $vgpr6
	s_mov_b32 s2, exec_lo
	v_cmpx_le_f32_e32 0, v2
	s_xor_b32 s13, exec_lo, s2
	s_cbranch_execz .LBB171_300
; %bb.295:
	v_add_f32_e32 v2, v2, v13
	s_delay_alu instid0(VALU_DEP_1) | instskip(NEXT) | instid1(VALU_DEP_1)
	v_mul_f32_e32 v2, 0.5, v2
	v_mul_f32_e32 v6, 0x4f800000, v2
	v_cmp_gt_f32_e32 vcc_lo, 0xf800000, v2
	s_delay_alu instid0(VALU_DEP_2) | instskip(NEXT) | instid1(VALU_DEP_1)
	v_cndmask_b32_e32 v2, v2, v6, vcc_lo
	v_sqrt_f32_e32 v6, v2
	s_waitcnt_depctr 0xfff
	v_add_nc_u32_e32 v7, -1, v6
	v_add_nc_u32_e32 v13, 1, v6
	s_delay_alu instid0(VALU_DEP_2) | instskip(NEXT) | instid1(VALU_DEP_2)
	v_fma_f32 v14, -v7, v6, v2
	v_fma_f32 v15, -v13, v6, v2
	s_delay_alu instid0(VALU_DEP_2) | instskip(NEXT) | instid1(VALU_DEP_1)
	v_cmp_ge_f32_e64 s2, 0, v14
	v_cndmask_b32_e64 v6, v6, v7, s2
	s_delay_alu instid0(VALU_DEP_3) | instskip(NEXT) | instid1(VALU_DEP_1)
	v_cmp_lt_f32_e64 s2, 0, v15
	v_cndmask_b32_e64 v6, v6, v13, s2
	s_delay_alu instid0(VALU_DEP_1) | instskip(NEXT) | instid1(VALU_DEP_1)
	v_mul_f32_e32 v7, 0x37800000, v6
	v_cndmask_b32_e32 v6, v6, v7, vcc_lo
	v_cmp_class_f32_e64 vcc_lo, v2, 0x260
	s_delay_alu instid0(VALU_DEP_2) | instskip(NEXT) | instid1(VALU_DEP_1)
	v_cndmask_b32_e32 v6, v6, v2, vcc_lo
	v_add_f32_e32 v2, v6, v6
	s_delay_alu instid0(VALU_DEP_1) | instskip(NEXT) | instid1(VALU_DEP_1)
	v_div_scale_f32 v7, null, v2, v2, v3
	v_rcp_f32_e32 v13, v7
	s_waitcnt_depctr 0xfff
	v_fma_f32 v14, -v7, v13, 1.0
	s_delay_alu instid0(VALU_DEP_1) | instskip(SKIP_1) | instid1(VALU_DEP_1)
	v_fmac_f32_e32 v13, v14, v13
	v_div_scale_f32 v14, vcc_lo, v3, v2, v3
	v_mul_f32_e32 v15, v14, v13
	s_delay_alu instid0(VALU_DEP_1) | instskip(NEXT) | instid1(VALU_DEP_1)
	v_fma_f32 v16, -v7, v15, v14
	v_fmac_f32_e32 v15, v16, v13
	s_delay_alu instid0(VALU_DEP_1) | instskip(NEXT) | instid1(VALU_DEP_1)
	v_fma_f32 v7, -v7, v15, v14
	v_div_fmas_f32 v7, v7, v13, v15
                                        ; implicit-def: $vgpr13
	s_delay_alu instid0(VALU_DEP_1)
	v_div_fixup_f32 v7, v7, v2, v3
                                        ; implicit-def: $vgpr2
	s_and_not1_saveexec_b32 s13, s13
	s_cbranch_execz .LBB171_302
	s_branch .LBB171_301
.LBB171_296:
	s_or_b32 exec_lo, exec_lo, s3
	s_and_saveexec_b32 s1, s0
	s_delay_alu instid0(SALU_CYCLE_1)
	s_xor_b32 s0, exec_lo, s1
	s_cbranch_execz .LBB171_327
.LBB171_297:
	v_mov_b32_e32 v2, 0
	s_delay_alu instid0(VALU_DEP_1) | instskip(NEXT) | instid1(VALU_DEP_1)
	v_lshlrev_b64 v[0:1], 3, v[1:2]
	v_add_co_u32 v2, vcc_lo, s4, v0
	s_delay_alu instid0(VALU_DEP_2) | instskip(SKIP_3) | instid1(SALU_CYCLE_1)
	v_add_co_ci_u32_e32 v3, vcc_lo, s5, v1, vcc_lo
	v_mov_b32_e32 v0, v12
	global_store_b64 v[2:3], v[4:5], off
	s_or_b32 exec_lo, exec_lo, s0
	s_mov_b32 s0, exec_lo
	v_cmpx_gt_i32_e64 s10, v0
	s_cbranch_execnz .LBB171_328
.LBB171_298:
	s_or_b32 exec_lo, exec_lo, s0
	s_delay_alu instid0(SALU_CYCLE_1)
	s_mov_b32 s0, exec_lo
	v_cmpx_gt_i32_e64 s10, v0
	s_cbranch_execz .LBB171_329
.LBB171_299:
	v_dual_mov_b32 v2, 0 :: v_dual_add_nc_u32 v1, s8, v0
	v_add_nc_u32_e32 v0, 0x100, v0
	s_delay_alu instid0(VALU_DEP_2) | instskip(NEXT) | instid1(VALU_DEP_1)
	v_lshlrev_b64 v[1:2], 3, v[1:2]
	v_add_co_u32 v1, vcc_lo, s4, v1
	s_delay_alu instid0(VALU_DEP_2) | instskip(SKIP_2) | instid1(SALU_CYCLE_1)
	v_add_co_ci_u32_e32 v2, vcc_lo, s5, v2, vcc_lo
	global_store_b64 v[1:2], v[10:11], off
	s_or_b32 exec_lo, exec_lo, s0
	s_mov_b32 s0, exec_lo
	v_cmpx_gt_i32_e64 s10, v0
	s_cbranch_execnz .LBB171_330
	s_branch .LBB171_331
.LBB171_300:
	s_and_not1_saveexec_b32 s13, s13
	s_cbranch_execz .LBB171_302
.LBB171_301:
	v_sub_f32_e32 v2, v13, v2
	s_delay_alu instid0(VALU_DEP_1) | instskip(NEXT) | instid1(VALU_DEP_1)
	v_mul_f32_e32 v2, 0.5, v2
	v_mul_f32_e32 v6, 0x4f800000, v2
	v_cmp_gt_f32_e32 vcc_lo, 0xf800000, v2
	s_delay_alu instid0(VALU_DEP_2) | instskip(NEXT) | instid1(VALU_DEP_1)
	v_cndmask_b32_e32 v2, v2, v6, vcc_lo
	v_sqrt_f32_e32 v6, v2
	s_waitcnt_depctr 0xfff
	v_add_nc_u32_e32 v7, -1, v6
	v_add_nc_u32_e32 v13, 1, v6
	s_delay_alu instid0(VALU_DEP_2) | instskip(NEXT) | instid1(VALU_DEP_2)
	v_fma_f32 v14, -v7, v6, v2
	v_fma_f32 v15, -v13, v6, v2
	s_delay_alu instid0(VALU_DEP_2) | instskip(NEXT) | instid1(VALU_DEP_1)
	v_cmp_ge_f32_e64 s2, 0, v14
	v_cndmask_b32_e64 v6, v6, v7, s2
	s_delay_alu instid0(VALU_DEP_3) | instskip(NEXT) | instid1(VALU_DEP_1)
	v_cmp_lt_f32_e64 s2, 0, v15
	v_cndmask_b32_e64 v6, v6, v13, s2
	s_delay_alu instid0(VALU_DEP_1) | instskip(NEXT) | instid1(VALU_DEP_1)
	v_mul_f32_e32 v7, 0x37800000, v6
	v_cndmask_b32_e32 v6, v6, v7, vcc_lo
	v_cmp_class_f32_e64 vcc_lo, v2, 0x260
	s_delay_alu instid0(VALU_DEP_2) | instskip(NEXT) | instid1(VALU_DEP_1)
	v_cndmask_b32_e32 v2, v6, v2, vcc_lo
	v_dual_add_f32 v7, v2, v2 :: v_dual_and_b32 v6, 0x7fffffff, v3
	s_delay_alu instid0(VALU_DEP_1) | instskip(SKIP_1) | instid1(VALU_DEP_2)
	v_div_scale_f32 v13, null, v7, v7, v6
	v_div_scale_f32 v6, vcc_lo, v6, v7, v6
	v_rcp_f32_e32 v14, v13
	s_waitcnt_depctr 0xfff
	v_fma_f32 v15, -v13, v14, 1.0
	s_delay_alu instid0(VALU_DEP_1) | instskip(NEXT) | instid1(VALU_DEP_1)
	v_fmac_f32_e32 v14, v15, v14
	v_mul_f32_e32 v15, v6, v14
	s_delay_alu instid0(VALU_DEP_1) | instskip(NEXT) | instid1(VALU_DEP_1)
	v_fma_f32 v16, -v13, v15, v6
	v_fmac_f32_e32 v15, v16, v14
	s_delay_alu instid0(VALU_DEP_1) | instskip(NEXT) | instid1(VALU_DEP_1)
	v_fma_f32 v6, -v13, v15, v6
	v_div_fmas_f32 v6, v6, v14, v15
	s_delay_alu instid0(VALU_DEP_1)
	v_div_fixup_f32 v6, v6, v7, |v3|
	v_bfi_b32 v7, 0x7fffffff, v2, v3
.LBB171_302:
	s_or_b32 exec_lo, exec_lo, s13
                                        ; implicit-def: $vgpr3
	s_and_saveexec_b32 s2, s1
	s_delay_alu instid0(SALU_CYCLE_1)
	s_xor_b32 s1, exec_lo, s2
	s_cbranch_execz .LBB171_304
; %bb.303:
	v_dual_mul_f32 v2, 0.5, v6 :: v_dual_mul_f32 v3, 0.5, v7
	s_delay_alu instid0(VALU_DEP_1) | instskip(NEXT) | instid1(VALU_DEP_2)
	v_cndmask_b32_e64 v2, v6, v2, s12
	v_cndmask_b32_e64 v3, v7, v3, s12
                                        ; implicit-def: $vgpr6
                                        ; implicit-def: $vgpr7
	s_and_not1_saveexec_b32 s1, s1
	s_cbranch_execnz .LBB171_305
	s_branch .LBB171_306
.LBB171_304:
	s_and_not1_saveexec_b32 s1, s1
.LBB171_305:
	v_dual_add_f32 v2, v6, v6 :: v_dual_add_f32 v3, v7, v7
.LBB171_306:
	s_or_b32 exec_lo, exec_lo, s1
.LBB171_307:
	s_and_not1_saveexec_b32 s1, s11
	s_cbranch_execz .LBB171_313
; %bb.308:
	s_delay_alu instid0(VALU_DEP_1)
	v_sub_f32_e32 v6, v3, v3
	s_mov_b32 s2, exec_lo
	v_cmpx_lt_i32_e32 -1, v2
	s_xor_b32 s2, exec_lo, s2
; %bb.309:
	s_delay_alu instid0(VALU_DEP_2)
	v_bfi_b32 v3, 0x7fffffff, v6, v3
                                        ; implicit-def: $vgpr6
; %bb.310:
	s_and_not1_saveexec_b32 s2, s2
; %bb.311:
	v_and_b32_e32 v6, 0x7fffffff, v6
	s_delay_alu instid0(VALU_DEP_2) | instskip(NEXT) | instid1(VALU_DEP_2)
	v_bfi_b32 v3, 0x7fffffff, v2, v3
	v_mov_b32_e32 v2, v6
; %bb.312:
	s_or_b32 exec_lo, exec_lo, s2
.LBB171_313:
	s_delay_alu instid0(SALU_CYCLE_1)
	s_or_b32 exec_lo, exec_lo, s1
.LBB171_314:
	s_and_not1_saveexec_b32 s1, s9
; %bb.315:
	v_sub_f32_e32 v3, v3, v3
	s_delay_alu instid0(VALU_DEP_1) | instskip(NEXT) | instid1(VALU_DEP_1)
	v_div_scale_f32 v6, vcc_lo, v3, v3, v3
	v_rcp_f32_e32 v7, v6
	s_waitcnt_depctr 0xfff
	v_fma_f32 v13, -v6, v7, 1.0
	s_delay_alu instid0(VALU_DEP_1) | instskip(NEXT) | instid1(VALU_DEP_1)
	v_fmac_f32_e32 v7, v13, v7
	v_mul_f32_e32 v13, v6, v7
	s_delay_alu instid0(VALU_DEP_1) | instskip(NEXT) | instid1(VALU_DEP_1)
	v_fma_f32 v14, -v6, v13, v6
	v_fmac_f32_e32 v13, v14, v7
	s_delay_alu instid0(VALU_DEP_1) | instskip(NEXT) | instid1(VALU_DEP_1)
	v_fma_f32 v6, -v6, v13, v6
	v_div_fmas_f32 v6, v6, v7, v13
	s_delay_alu instid0(VALU_DEP_1)
	v_div_fixup_f32 v3, v6, v3, v3
; %bb.316:
	s_or_b32 exec_lo, exec_lo, s1
	v_mov_b32_e32 v13, v2
.LBB171_317:
	s_or_b32 exec_lo, exec_lo, s7
.LBB171_318:
	s_delay_alu instid0(SALU_CYCLE_1) | instskip(NEXT) | instid1(VALU_DEP_1)
	s_or_b32 exec_lo, exec_lo, s6
	v_cmp_gt_f32_e32 vcc_lo, 0, v13
                                        ; implicit-def: $vgpr7
	s_mov_b32 s1, exec_lo
	v_cndmask_b32_e64 v2, v13, -v13, vcc_lo
	v_cmp_gt_f32_e32 vcc_lo, 0, v3
	v_cndmask_b32_e64 v14, v3, -v3, vcc_lo
	s_delay_alu instid0(VALU_DEP_1)
	v_cmpx_ge_f32_e32 v2, v14
	s_xor_b32 s2, exec_lo, s1
	s_cbranch_execz .LBB171_324
; %bb.319:
	v_cmp_neq_f32_e32 vcc_lo, 0, v13
	v_cmp_neq_f32_e64 s1, 0, v3
                                        ; implicit-def: $vgpr7
	s_delay_alu instid0(VALU_DEP_1) | instskip(NEXT) | instid1(SALU_CYCLE_1)
	s_or_b32 s1, vcc_lo, s1
	s_and_saveexec_b32 s6, s1
	s_delay_alu instid0(SALU_CYCLE_1)
	s_xor_b32 s1, exec_lo, s6
	s_cbranch_execz .LBB171_321
; %bb.320:
	v_div_scale_f32 v2, null, v13, v13, v3
	v_div_scale_f32 v14, vcc_lo, v3, v13, v3
	s_delay_alu instid0(VALU_DEP_2) | instskip(SKIP_2) | instid1(VALU_DEP_1)
	v_rcp_f32_e32 v6, v2
	s_waitcnt_depctr 0xfff
	v_fma_f32 v7, -v2, v6, 1.0
	v_fmac_f32_e32 v6, v7, v6
	s_delay_alu instid0(VALU_DEP_1) | instskip(NEXT) | instid1(VALU_DEP_1)
	v_mul_f32_e32 v7, v14, v6
	v_fma_f32 v15, -v2, v7, v14
	s_delay_alu instid0(VALU_DEP_1) | instskip(NEXT) | instid1(VALU_DEP_1)
	v_fmac_f32_e32 v7, v15, v6
	v_fma_f32 v2, -v2, v7, v14
	s_delay_alu instid0(VALU_DEP_1) | instskip(NEXT) | instid1(VALU_DEP_1)
	v_div_fmas_f32 v2, v2, v6, v7
	v_div_fixup_f32 v2, v2, v13, v3
	s_delay_alu instid0(VALU_DEP_1) | instskip(NEXT) | instid1(VALU_DEP_1)
	v_fmac_f32_e32 v13, v3, v2
	v_div_scale_f32 v3, null, v13, v13, 1.0
	v_div_scale_f32 v14, vcc_lo, 1.0, v13, 1.0
	s_delay_alu instid0(VALU_DEP_2) | instskip(SKIP_2) | instid1(VALU_DEP_1)
	v_rcp_f32_e32 v6, v3
	s_waitcnt_depctr 0xfff
	v_fma_f32 v7, -v3, v6, 1.0
	v_fmac_f32_e32 v6, v7, v6
	s_delay_alu instid0(VALU_DEP_1) | instskip(NEXT) | instid1(VALU_DEP_1)
	v_mul_f32_e32 v7, v14, v6
	v_fma_f32 v15, -v3, v7, v14
	s_delay_alu instid0(VALU_DEP_1) | instskip(NEXT) | instid1(VALU_DEP_1)
	v_fmac_f32_e32 v7, v15, v6
	v_fma_f32 v3, -v3, v7, v14
                                        ; implicit-def: $vgpr14
	s_delay_alu instid0(VALU_DEP_1) | instskip(SKIP_1) | instid1(VALU_DEP_2)
	v_div_fmas_f32 v3, v3, v6, v7
	v_fma_f32 v6, v2, 0, 1.0
	v_div_fixup_f32 v3, v3, v13, 1.0
	s_delay_alu instid0(VALU_DEP_1)
	v_mul_f32_e32 v6, v6, v3
	v_mul_f32_e64 v7, -v2, v3
                                        ; implicit-def: $vgpr2
.LBB171_321:
	s_and_not1_saveexec_b32 s6, s1
	s_cbranch_execz .LBB171_323
; %bb.322:
	v_div_scale_f32 v3, null, v2, v2, 1.0
	v_div_scale_f32 v6, null, v14, v14, 0
	v_div_scale_f32 v17, vcc_lo, 1.0, v2, 1.0
	s_delay_alu instid0(VALU_DEP_3) | instskip(NEXT) | instid1(VALU_DEP_2)
	v_rcp_f32_e32 v7, v3
	v_rcp_f32_e32 v13, v6
	s_waitcnt_depctr 0xfff
	v_fma_f32 v15, -v3, v7, 1.0
	v_fma_f32 v16, -v6, v13, 1.0
	s_delay_alu instid0(VALU_DEP_1) | instskip(NEXT) | instid1(VALU_DEP_3)
	v_fmac_f32_e32 v13, v16, v13
	v_fmac_f32_e32 v7, v15, v7
	v_div_scale_f32 v15, s1, 0, v14, 0
	s_delay_alu instid0(VALU_DEP_1) | instskip(NEXT) | instid1(VALU_DEP_1)
	v_mul_f32_e32 v18, v15, v13
	v_fma_f32 v20, -v6, v18, v15
	s_delay_alu instid0(VALU_DEP_1) | instskip(SKIP_1) | instid1(VALU_DEP_2)
	v_fmac_f32_e32 v18, v20, v13
	v_mul_f32_e32 v16, v17, v7
	v_fma_f32 v6, -v6, v18, v15
	s_delay_alu instid0(VALU_DEP_2) | instskip(NEXT) | instid1(VALU_DEP_1)
	v_fma_f32 v19, -v3, v16, v17
	v_fmac_f32_e32 v16, v19, v7
	s_delay_alu instid0(VALU_DEP_1) | instskip(NEXT) | instid1(VALU_DEP_1)
	v_fma_f32 v3, -v3, v16, v17
	v_div_fmas_f32 v3, v3, v7, v16
	s_mov_b32 vcc_lo, s1
	v_div_fmas_f32 v7, v6, v13, v18
	s_delay_alu instid0(VALU_DEP_2) | instskip(NEXT) | instid1(VALU_DEP_2)
	v_div_fixup_f32 v6, v3, v2, 1.0
	v_div_fixup_f32 v7, v7, v14, 0
.LBB171_323:
	s_or_b32 exec_lo, exec_lo, s6
                                        ; implicit-def: $vgpr3
                                        ; implicit-def: $vgpr13
.LBB171_324:
	s_and_not1_saveexec_b32 s1, s2
	s_cbranch_execz .LBB171_326
; %bb.325:
	v_div_scale_f32 v2, null, v3, v3, v13
	v_div_scale_f32 v14, vcc_lo, v13, v3, v13
	s_delay_alu instid0(VALU_DEP_2) | instskip(SKIP_2) | instid1(VALU_DEP_1)
	v_rcp_f32_e32 v6, v2
	s_waitcnt_depctr 0xfff
	v_fma_f32 v7, -v2, v6, 1.0
	v_fmac_f32_e32 v6, v7, v6
	s_delay_alu instid0(VALU_DEP_1) | instskip(NEXT) | instid1(VALU_DEP_1)
	v_mul_f32_e32 v7, v14, v6
	v_fma_f32 v15, -v2, v7, v14
	s_delay_alu instid0(VALU_DEP_1) | instskip(NEXT) | instid1(VALU_DEP_1)
	v_fmac_f32_e32 v7, v15, v6
	v_fma_f32 v2, -v2, v7, v14
	s_delay_alu instid0(VALU_DEP_1) | instskip(NEXT) | instid1(VALU_DEP_1)
	v_div_fmas_f32 v2, v2, v6, v7
	v_div_fixup_f32 v2, v2, v3, v13
	s_delay_alu instid0(VALU_DEP_1) | instskip(NEXT) | instid1(VALU_DEP_1)
	v_fmac_f32_e32 v3, v13, v2
	v_div_scale_f32 v6, null, v3, v3, 1.0
	v_div_scale_f32 v14, vcc_lo, 1.0, v3, 1.0
	s_delay_alu instid0(VALU_DEP_2) | instskip(SKIP_2) | instid1(VALU_DEP_1)
	v_rcp_f32_e32 v7, v6
	s_waitcnt_depctr 0xfff
	v_fma_f32 v13, -v6, v7, 1.0
	v_fmac_f32_e32 v7, v13, v7
	s_delay_alu instid0(VALU_DEP_1) | instskip(NEXT) | instid1(VALU_DEP_1)
	v_mul_f32_e32 v13, v14, v7
	v_fma_f32 v15, -v6, v13, v14
	s_delay_alu instid0(VALU_DEP_1) | instskip(NEXT) | instid1(VALU_DEP_1)
	v_fmac_f32_e32 v13, v15, v7
	v_fma_f32 v6, -v6, v13, v14
	s_delay_alu instid0(VALU_DEP_1) | instskip(SKIP_2) | instid1(VALU_DEP_3)
	v_div_fmas_f32 v6, v6, v7, v13
	v_add_f32_e32 v7, 0, v2
	v_fma_f32 v2, v2, 0, -1.0
	v_div_fixup_f32 v3, v6, v3, 1.0
	s_delay_alu instid0(VALU_DEP_1) | instskip(NEXT) | instid1(VALU_DEP_3)
	v_mul_f32_e32 v6, v7, v3
	v_mul_f32_e32 v7, v2, v3
.LBB171_326:
	s_or_b32 exec_lo, exec_lo, s1
	s_delay_alu instid0(SALU_CYCLE_1) | instskip(SKIP_1) | instid1(SALU_CYCLE_1)
	s_or_b32 exec_lo, exec_lo, s3
	s_and_saveexec_b32 s1, s0
	s_xor_b32 s0, exec_lo, s1
	s_cbranch_execnz .LBB171_297
.LBB171_327:
	s_or_b32 exec_lo, exec_lo, s0
	s_delay_alu instid0(SALU_CYCLE_1)
	s_mov_b32 s0, exec_lo
	v_cmpx_gt_i32_e64 s10, v0
	s_cbranch_execz .LBB171_298
.LBB171_328:
	v_dual_mov_b32 v2, 0 :: v_dual_add_nc_u32 v1, s8, v0
	v_add_nc_u32_e32 v0, 0x100, v0
	s_delay_alu instid0(VALU_DEP_2) | instskip(NEXT) | instid1(VALU_DEP_1)
	v_lshlrev_b64 v[1:2], 3, v[1:2]
	v_add_co_u32 v1, vcc_lo, s4, v1
	s_delay_alu instid0(VALU_DEP_2) | instskip(SKIP_2) | instid1(SALU_CYCLE_1)
	v_add_co_ci_u32_e32 v2, vcc_lo, s5, v2, vcc_lo
	global_store_b64 v[1:2], v[8:9], off
	s_or_b32 exec_lo, exec_lo, s0
	s_mov_b32 s0, exec_lo
	v_cmpx_gt_i32_e64 s10, v0
	s_cbranch_execnz .LBB171_299
.LBB171_329:
	s_or_b32 exec_lo, exec_lo, s0
	s_delay_alu instid0(SALU_CYCLE_1)
	s_mov_b32 s0, exec_lo
	v_cmpx_gt_i32_e64 s10, v0
	s_cbranch_execz .LBB171_331
.LBB171_330:
	v_dual_mov_b32 v1, 0 :: v_dual_add_nc_u32 v0, s8, v0
	s_delay_alu instid0(VALU_DEP_1) | instskip(NEXT) | instid1(VALU_DEP_1)
	v_lshlrev_b64 v[0:1], 3, v[0:1]
	v_add_co_u32 v0, vcc_lo, s4, v0
	s_delay_alu instid0(VALU_DEP_2)
	v_add_co_ci_u32_e32 v1, vcc_lo, s5, v1, vcc_lo
	global_store_b64 v[0:1], v[6:7], off
.LBB171_331:
	s_nop 0
	s_sendmsg sendmsg(MSG_DEALLOC_VGPRS)
	s_endpgm
	.section	.rodata,"a",@progbits
	.p2align	6, 0x0
	.amdhsa_kernel _ZN2at6native29vectorized_elementwise_kernelILi8EZZZNS0_17rsqrt_kernel_cudaERNS_18TensorIteratorBaseEENKUlvE_clEvENKUlvE0_clEvEUlN3c107complexIfEEE_St5arrayIPcLm2EEEEviT0_T1_
		.amdhsa_group_segment_fixed_size 0
		.amdhsa_private_segment_fixed_size 0
		.amdhsa_kernarg_size 24
		.amdhsa_user_sgpr_count 15
		.amdhsa_user_sgpr_dispatch_ptr 0
		.amdhsa_user_sgpr_queue_ptr 0
		.amdhsa_user_sgpr_kernarg_segment_ptr 1
		.amdhsa_user_sgpr_dispatch_id 0
		.amdhsa_user_sgpr_private_segment_size 0
		.amdhsa_wavefront_size32 1
		.amdhsa_uses_dynamic_stack 0
		.amdhsa_enable_private_segment 0
		.amdhsa_system_sgpr_workgroup_id_x 1
		.amdhsa_system_sgpr_workgroup_id_y 0
		.amdhsa_system_sgpr_workgroup_id_z 0
		.amdhsa_system_sgpr_workgroup_info 0
		.amdhsa_system_vgpr_workitem_id 0
		.amdhsa_next_free_vgpr 21
		.amdhsa_next_free_sgpr 17
		.amdhsa_reserve_vcc 1
		.amdhsa_float_round_mode_32 0
		.amdhsa_float_round_mode_16_64 0
		.amdhsa_float_denorm_mode_32 3
		.amdhsa_float_denorm_mode_16_64 3
		.amdhsa_dx10_clamp 1
		.amdhsa_ieee_mode 1
		.amdhsa_fp16_overflow 0
		.amdhsa_workgroup_processor_mode 1
		.amdhsa_memory_ordered 1
		.amdhsa_forward_progress 0
		.amdhsa_shared_vgpr_count 0
		.amdhsa_exception_fp_ieee_invalid_op 0
		.amdhsa_exception_fp_denorm_src 0
		.amdhsa_exception_fp_ieee_div_zero 0
		.amdhsa_exception_fp_ieee_overflow 0
		.amdhsa_exception_fp_ieee_underflow 0
		.amdhsa_exception_fp_ieee_inexact 0
		.amdhsa_exception_int_div_zero 0
	.end_amdhsa_kernel
	.section	.text._ZN2at6native29vectorized_elementwise_kernelILi8EZZZNS0_17rsqrt_kernel_cudaERNS_18TensorIteratorBaseEENKUlvE_clEvENKUlvE0_clEvEUlN3c107complexIfEEE_St5arrayIPcLm2EEEEviT0_T1_,"axG",@progbits,_ZN2at6native29vectorized_elementwise_kernelILi8EZZZNS0_17rsqrt_kernel_cudaERNS_18TensorIteratorBaseEENKUlvE_clEvENKUlvE0_clEvEUlN3c107complexIfEEE_St5arrayIPcLm2EEEEviT0_T1_,comdat
.Lfunc_end171:
	.size	_ZN2at6native29vectorized_elementwise_kernelILi8EZZZNS0_17rsqrt_kernel_cudaERNS_18TensorIteratorBaseEENKUlvE_clEvENKUlvE0_clEvEUlN3c107complexIfEEE_St5arrayIPcLm2EEEEviT0_T1_, .Lfunc_end171-_ZN2at6native29vectorized_elementwise_kernelILi8EZZZNS0_17rsqrt_kernel_cudaERNS_18TensorIteratorBaseEENKUlvE_clEvENKUlvE0_clEvEUlN3c107complexIfEEE_St5arrayIPcLm2EEEEviT0_T1_
                                        ; -- End function
	.section	.AMDGPU.csdata,"",@progbits
; Kernel info:
; codeLenInByte = 16288
; NumSgprs: 19
; NumVgprs: 21
; ScratchSize: 0
; MemoryBound: 0
; FloatMode: 240
; IeeeMode: 1
; LDSByteSize: 0 bytes/workgroup (compile time only)
; SGPRBlocks: 2
; VGPRBlocks: 2
; NumSGPRsForWavesPerEU: 19
; NumVGPRsForWavesPerEU: 21
; Occupancy: 16
; WaveLimiterHint : 0
; COMPUTE_PGM_RSRC2:SCRATCH_EN: 0
; COMPUTE_PGM_RSRC2:USER_SGPR: 15
; COMPUTE_PGM_RSRC2:TRAP_HANDLER: 0
; COMPUTE_PGM_RSRC2:TGID_X_EN: 1
; COMPUTE_PGM_RSRC2:TGID_Y_EN: 0
; COMPUTE_PGM_RSRC2:TGID_Z_EN: 0
; COMPUTE_PGM_RSRC2:TIDIG_COMP_CNT: 0
	.section	.text._ZN2at6native29vectorized_elementwise_kernelILi4EZZZNS0_17rsqrt_kernel_cudaERNS_18TensorIteratorBaseEENKUlvE_clEvENKUlvE0_clEvEUlN3c107complexIfEEE_St5arrayIPcLm2EEEEviT0_T1_,"axG",@progbits,_ZN2at6native29vectorized_elementwise_kernelILi4EZZZNS0_17rsqrt_kernel_cudaERNS_18TensorIteratorBaseEENKUlvE_clEvENKUlvE0_clEvEUlN3c107complexIfEEE_St5arrayIPcLm2EEEEviT0_T1_,comdat
	.globl	_ZN2at6native29vectorized_elementwise_kernelILi4EZZZNS0_17rsqrt_kernel_cudaERNS_18TensorIteratorBaseEENKUlvE_clEvENKUlvE0_clEvEUlN3c107complexIfEEE_St5arrayIPcLm2EEEEviT0_T1_ ; -- Begin function _ZN2at6native29vectorized_elementwise_kernelILi4EZZZNS0_17rsqrt_kernel_cudaERNS_18TensorIteratorBaseEENKUlvE_clEvENKUlvE0_clEvEUlN3c107complexIfEEE_St5arrayIPcLm2EEEEviT0_T1_
	.p2align	8
	.type	_ZN2at6native29vectorized_elementwise_kernelILi4EZZZNS0_17rsqrt_kernel_cudaERNS_18TensorIteratorBaseEENKUlvE_clEvENKUlvE0_clEvEUlN3c107complexIfEEE_St5arrayIPcLm2EEEEviT0_T1_,@function
_ZN2at6native29vectorized_elementwise_kernelILi4EZZZNS0_17rsqrt_kernel_cudaERNS_18TensorIteratorBaseEENKUlvE_clEvENKUlvE0_clEvEUlN3c107complexIfEEE_St5arrayIPcLm2EEEEviT0_T1_: ; @_ZN2at6native29vectorized_elementwise_kernelILi4EZZZNS0_17rsqrt_kernel_cudaERNS_18TensorIteratorBaseEENKUlvE_clEvENKUlvE0_clEvEUlN3c107complexIfEEE_St5arrayIPcLm2EEEEviT0_T1_
; %bb.0:
	s_clause 0x1
	s_load_b32 s2, s[0:1], 0x0
	s_load_b128 s[4:7], s[0:1], 0x8
	s_lshl_b32 s8, s15, 10
	s_mov_b32 s0, -1
	s_waitcnt lgkmcnt(0)
	s_sub_i32 s10, s2, s8
	s_delay_alu instid0(SALU_CYCLE_1)
	s_cmpk_gt_i32 s10, 0x3ff
	s_cbranch_scc0 .LBB172_154
; %bb.1:
	s_ashr_i32 s9, s8, 31
	v_lshlrev_b32_e32 v13, 5, v0
	s_lshl_b64 s[2:3], s[8:9], 3
	v_mov_b32_e32 v11, 0
	s_add_u32 s0, s6, s2
	s_addc_u32 s1, s7, s3
	s_clause 0x1
	global_load_b128 v[6:9], v13, s[0:1]
	global_load_b128 v[1:4], v13, s[0:1] offset:16
	s_waitcnt vmcnt(1)
	v_mov_b32_e32 v10, v7
	v_cmp_neq_f32_e32 vcc_lo, 0, v6
	v_cmp_neq_f32_e64 s0, 0, v7
	s_delay_alu instid0(VALU_DEP_1) | instskip(NEXT) | instid1(SALU_CYCLE_1)
	s_or_b32 s0, vcc_lo, s0
	s_and_saveexec_b32 s9, s0
	s_cbranch_execz .LBB172_31
; %bb.2:
	v_dual_mov_b32 v11, 0x7f800000 :: v_dual_mov_b32 v10, v7
	s_mov_b32 s11, exec_lo
	v_cmpx_neq_f32_e64 0x7f800000, |v7|
	s_cbranch_execz .LBB172_30
; %bb.3:
                                        ; implicit-def: $vgpr10
                                        ; implicit-def: $vgpr11
	s_mov_b32 s0, exec_lo
	v_cmpx_o_f32_e32 v6, v6
	s_xor_b32 s12, exec_lo, s0
	s_cbranch_execz .LBB172_27
; %bb.4:
                                        ; implicit-def: $vgpr10
                                        ; implicit-def: $vgpr11
	s_mov_b32 s1, exec_lo
	v_cmpx_neq_f32_e64 0x7f800000, |v6|
	s_xor_b32 s13, exec_lo, s1
	s_cbranch_execz .LBB172_20
; %bb.5:
	v_max_f32_e64 v5, |v7|, |v7|
	v_max_f32_e64 v10, |v6|, |v6|
                                        ; implicit-def: $sgpr14
	s_delay_alu instid0(VALU_DEP_1) | instskip(NEXT) | instid1(VALU_DEP_1)
	v_max_f32_e32 v5, v10, v5
                                        ; implicit-def: $vgpr10
	v_cmp_nle_f32_e64 s0, 0x7ed413cb, v5
                                        ; implicit-def: $vgpr5
	s_delay_alu instid0(VALU_DEP_1) | instskip(NEXT) | instid1(SALU_CYCLE_1)
	s_and_saveexec_b32 s1, s0
	s_xor_b32 s1, exec_lo, s1
	s_cbranch_execz .LBB172_9
; %bb.6:
	v_cmp_ge_f32_e64 s14, 0x1000000, |v6|
	v_cmp_ge_f32_e64 s15, 0x1000000, |v7|
	v_dual_mov_b32 v10, v6 :: v_dual_mov_b32 v5, v7
	s_delay_alu instid0(VALU_DEP_2)
	s_and_b32 s16, s14, s15
	s_mov_b32 s14, 0
	s_and_saveexec_b32 s15, s16
; %bb.7:
	v_dual_mul_f32 v10, 4.0, v6 :: v_dual_mul_f32 v5, 4.0, v7
	s_mov_b32 s14, exec_lo
; %bb.8:
	s_or_b32 exec_lo, exec_lo, s15
	s_delay_alu instid0(SALU_CYCLE_1)
	s_and_b32 s14, s14, exec_lo
.LBB172_9:
	s_and_not1_saveexec_b32 s1, s1
; %bb.10:
	v_dual_mul_f32 v10, 0x3e800000, v6 :: v_dual_mul_f32 v5, 0x3e800000, v7
	s_and_not1_b32 s14, s14, exec_lo
; %bb.11:
	s_or_b32 exec_lo, exec_lo, s1
	s_delay_alu instid0(VALU_DEP_1) | instskip(NEXT) | instid1(VALU_DEP_2)
	v_max_f32_e64 v11, |v5|, |v5|
	v_max_f32_e64 v12, |v10|, |v10|
	s_delay_alu instid0(VALU_DEP_1) | instskip(NEXT) | instid1(VALU_DEP_1)
	v_max_f32_e32 v14, v12, v11
	v_cvt_f64_f32_e32 v[11:12], v14
	v_cmp_neq_f32_e64 s1, 0x7f800000, v14
                                        ; implicit-def: $vgpr14
	s_delay_alu instid0(VALU_DEP_2) | instskip(NEXT) | instid1(VALU_DEP_1)
	v_frexp_exp_i32_f64_e32 v11, v[11:12]
	v_sub_nc_u32_e32 v12, 0, v11
	s_delay_alu instid0(VALU_DEP_1) | instskip(SKIP_1) | instid1(VALU_DEP_2)
	v_ldexp_f32 v15, |v5|, v12
	v_ldexp_f32 v12, |v10|, v12
	v_mul_f32_e32 v15, v15, v15
	s_delay_alu instid0(VALU_DEP_1) | instskip(NEXT) | instid1(VALU_DEP_1)
	v_fmac_f32_e32 v15, v12, v12
	v_sqrt_f32_e32 v12, v15
	s_waitcnt_depctr 0xfff
	v_ldexp_f32 v11, v12, v11
                                        ; implicit-def: $vgpr12
	s_delay_alu instid0(VALU_DEP_1)
	v_cndmask_b32_e64 v11, 0x7f800000, v11, s1
	s_mov_b32 s1, exec_lo
	v_cmpx_le_f32_e32 0, v10
	s_xor_b32 s15, exec_lo, s1
	s_cbranch_execz .LBB172_13
; %bb.12:
	v_add_f32_e32 v10, v10, v11
	s_delay_alu instid0(VALU_DEP_1) | instskip(NEXT) | instid1(VALU_DEP_1)
	v_mul_f32_e32 v10, 0.5, v10
	v_mul_f32_e32 v11, 0x4f800000, v10
	v_cmp_gt_f32_e32 vcc_lo, 0xf800000, v10
	s_delay_alu instid0(VALU_DEP_2) | instskip(NEXT) | instid1(VALU_DEP_1)
	v_cndmask_b32_e32 v10, v10, v11, vcc_lo
	v_sqrt_f32_e32 v11, v10
	s_waitcnt_depctr 0xfff
	v_add_nc_u32_e32 v12, -1, v11
	v_add_nc_u32_e32 v14, 1, v11
	s_delay_alu instid0(VALU_DEP_2) | instskip(NEXT) | instid1(VALU_DEP_2)
	v_fma_f32 v15, -v12, v11, v10
	v_fma_f32 v16, -v14, v11, v10
	s_delay_alu instid0(VALU_DEP_2) | instskip(NEXT) | instid1(VALU_DEP_1)
	v_cmp_ge_f32_e64 s1, 0, v15
	v_cndmask_b32_e64 v11, v11, v12, s1
	s_delay_alu instid0(VALU_DEP_3) | instskip(NEXT) | instid1(VALU_DEP_1)
	v_cmp_lt_f32_e64 s1, 0, v16
	v_cndmask_b32_e64 v11, v11, v14, s1
	s_delay_alu instid0(VALU_DEP_1) | instskip(NEXT) | instid1(VALU_DEP_1)
	v_mul_f32_e32 v12, 0x37800000, v11
	v_cndmask_b32_e32 v11, v11, v12, vcc_lo
	v_cmp_class_f32_e64 vcc_lo, v10, 0x260
	s_delay_alu instid0(VALU_DEP_2) | instskip(NEXT) | instid1(VALU_DEP_1)
	v_cndmask_b32_e32 v12, v11, v10, vcc_lo
	v_add_f32_e32 v10, v12, v12
	s_delay_alu instid0(VALU_DEP_1) | instskip(NEXT) | instid1(VALU_DEP_1)
	v_div_scale_f32 v11, null, v10, v10, v5
	v_rcp_f32_e32 v14, v11
	s_waitcnt_depctr 0xfff
	v_fma_f32 v15, -v11, v14, 1.0
	s_delay_alu instid0(VALU_DEP_1) | instskip(SKIP_1) | instid1(VALU_DEP_1)
	v_fmac_f32_e32 v14, v15, v14
	v_div_scale_f32 v15, vcc_lo, v5, v10, v5
	v_mul_f32_e32 v16, v15, v14
	s_delay_alu instid0(VALU_DEP_1) | instskip(NEXT) | instid1(VALU_DEP_1)
	v_fma_f32 v17, -v11, v16, v15
	v_fmac_f32_e32 v16, v17, v14
	s_delay_alu instid0(VALU_DEP_1) | instskip(NEXT) | instid1(VALU_DEP_1)
	v_fma_f32 v11, -v11, v16, v15
	v_div_fmas_f32 v11, v11, v14, v16
	s_delay_alu instid0(VALU_DEP_1)
	v_div_fixup_f32 v14, v11, v10, v5
                                        ; implicit-def: $vgpr11
                                        ; implicit-def: $vgpr10
                                        ; implicit-def: $vgpr5
	s_and_not1_saveexec_b32 s15, s15
	s_cbranch_execz .LBB172_15
	s_branch .LBB172_14
.LBB172_13:
	s_and_not1_saveexec_b32 s15, s15
	s_cbranch_execz .LBB172_15
.LBB172_14:
	v_sub_f32_e32 v10, v11, v10
	s_delay_alu instid0(VALU_DEP_1) | instskip(NEXT) | instid1(VALU_DEP_1)
	v_mul_f32_e32 v10, 0.5, v10
	v_mul_f32_e32 v11, 0x4f800000, v10
	v_cmp_gt_f32_e32 vcc_lo, 0xf800000, v10
	s_delay_alu instid0(VALU_DEP_2) | instskip(NEXT) | instid1(VALU_DEP_1)
	v_cndmask_b32_e32 v10, v10, v11, vcc_lo
	v_sqrt_f32_e32 v11, v10
	s_waitcnt_depctr 0xfff
	v_add_nc_u32_e32 v12, -1, v11
	v_add_nc_u32_e32 v14, 1, v11
	s_delay_alu instid0(VALU_DEP_2) | instskip(NEXT) | instid1(VALU_DEP_2)
	v_fma_f32 v15, -v12, v11, v10
	v_fma_f32 v16, -v14, v11, v10
	s_delay_alu instid0(VALU_DEP_2) | instskip(NEXT) | instid1(VALU_DEP_1)
	v_cmp_ge_f32_e64 s1, 0, v15
	v_cndmask_b32_e64 v11, v11, v12, s1
	s_delay_alu instid0(VALU_DEP_3) | instskip(NEXT) | instid1(VALU_DEP_1)
	v_cmp_lt_f32_e64 s1, 0, v16
	v_cndmask_b32_e64 v11, v11, v14, s1
	s_delay_alu instid0(VALU_DEP_1) | instskip(NEXT) | instid1(VALU_DEP_1)
	v_mul_f32_e32 v12, 0x37800000, v11
	v_cndmask_b32_e32 v11, v11, v12, vcc_lo
	v_cmp_class_f32_e64 vcc_lo, v10, 0x260
	s_delay_alu instid0(VALU_DEP_2) | instskip(NEXT) | instid1(VALU_DEP_1)
	v_dual_cndmask_b32 v10, v11, v10 :: v_dual_and_b32 v11, 0x7fffffff, v5
	v_add_f32_e32 v12, v10, v10
	s_delay_alu instid0(VALU_DEP_1) | instskip(SKIP_1) | instid1(VALU_DEP_2)
	v_div_scale_f32 v14, null, v12, v12, v11
	v_div_scale_f32 v11, vcc_lo, v11, v12, v11
	v_rcp_f32_e32 v15, v14
	s_waitcnt_depctr 0xfff
	v_fma_f32 v16, -v14, v15, 1.0
	s_delay_alu instid0(VALU_DEP_1) | instskip(NEXT) | instid1(VALU_DEP_1)
	v_fmac_f32_e32 v15, v16, v15
	v_mul_f32_e32 v16, v11, v15
	s_delay_alu instid0(VALU_DEP_1) | instskip(NEXT) | instid1(VALU_DEP_1)
	v_fma_f32 v17, -v14, v16, v11
	v_fmac_f32_e32 v16, v17, v15
	s_delay_alu instid0(VALU_DEP_1) | instskip(SKIP_1) | instid1(VALU_DEP_2)
	v_fma_f32 v11, -v14, v16, v11
	v_bfi_b32 v14, 0x7fffffff, v10, v5
	v_div_fmas_f32 v11, v11, v15, v16
	s_delay_alu instid0(VALU_DEP_1)
	v_div_fixup_f32 v12, v11, v12, |v5|
.LBB172_15:
	s_or_b32 exec_lo, exec_lo, s15
                                        ; implicit-def: $vgpr10
                                        ; implicit-def: $vgpr11
	s_and_saveexec_b32 s1, s0
	s_delay_alu instid0(SALU_CYCLE_1)
	s_xor_b32 s0, exec_lo, s1
	s_cbranch_execz .LBB172_17
; %bb.16:
	v_dual_mul_f32 v5, 0.5, v12 :: v_dual_mul_f32 v10, 0.5, v14
	s_delay_alu instid0(VALU_DEP_1) | instskip(NEXT) | instid1(VALU_DEP_2)
	v_cndmask_b32_e64 v11, v12, v5, s14
	v_cndmask_b32_e64 v10, v14, v10, s14
                                        ; implicit-def: $vgpr12
                                        ; implicit-def: $vgpr14
	s_and_not1_saveexec_b32 s0, s0
	s_cbranch_execnz .LBB172_18
	s_branch .LBB172_19
.LBB172_17:
	s_and_not1_saveexec_b32 s0, s0
.LBB172_18:
	v_dual_add_f32 v11, v12, v12 :: v_dual_add_f32 v10, v14, v14
.LBB172_19:
	s_or_b32 exec_lo, exec_lo, s0
.LBB172_20:
	s_and_not1_saveexec_b32 s0, s13
	s_cbranch_execz .LBB172_26
; %bb.21:
	v_sub_f32_e32 v5, v7, v7
	s_mov_b32 s1, exec_lo
                                        ; implicit-def: $vgpr10
	v_cmpx_lt_i32_e32 -1, v6
	s_xor_b32 s1, exec_lo, s1
; %bb.22:
	s_delay_alu instid0(VALU_DEP_2)
	v_bfi_b32 v10, 0x7fffffff, v5, v7
                                        ; implicit-def: $vgpr5
; %bb.23:
	s_or_saveexec_b32 s1, s1
	v_mov_b32_e32 v11, v6
	s_xor_b32 exec_lo, exec_lo, s1
; %bb.24:
	v_and_b32_e32 v11, 0x7fffffff, v5
	v_bfi_b32 v10, 0x7fffffff, v6, v7
; %bb.25:
	s_or_b32 exec_lo, exec_lo, s1
.LBB172_26:
	s_delay_alu instid0(SALU_CYCLE_1)
	s_or_b32 exec_lo, exec_lo, s0
.LBB172_27:
	s_and_not1_saveexec_b32 s0, s12
	s_cbranch_execz .LBB172_29
; %bb.28:
	v_sub_f32_e32 v5, v7, v7
	s_delay_alu instid0(VALU_DEP_1) | instskip(NEXT) | instid1(VALU_DEP_1)
	v_div_scale_f32 v7, vcc_lo, v5, v5, v5
	v_rcp_f32_e32 v10, v7
	s_waitcnt_depctr 0xfff
	v_fma_f32 v11, -v7, v10, 1.0
	s_delay_alu instid0(VALU_DEP_1) | instskip(NEXT) | instid1(VALU_DEP_1)
	v_fmac_f32_e32 v10, v11, v10
	v_mul_f32_e32 v11, v7, v10
	s_delay_alu instid0(VALU_DEP_1) | instskip(NEXT) | instid1(VALU_DEP_1)
	v_fma_f32 v12, -v7, v11, v7
	v_fmac_f32_e32 v11, v12, v10
	s_delay_alu instid0(VALU_DEP_1) | instskip(NEXT) | instid1(VALU_DEP_1)
	v_fma_f32 v7, -v7, v11, v7
	v_div_fmas_f32 v7, v7, v10, v11
	v_mov_b32_e32 v11, v6
	s_delay_alu instid0(VALU_DEP_2)
	v_div_fixup_f32 v10, v7, v5, v5
.LBB172_29:
	s_or_b32 exec_lo, exec_lo, s0
.LBB172_30:
	s_delay_alu instid0(SALU_CYCLE_1)
	s_or_b32 exec_lo, exec_lo, s11
.LBB172_31:
	s_delay_alu instid0(SALU_CYCLE_1)
	s_or_b32 exec_lo, exec_lo, s9
	v_cmp_gt_f32_e32 vcc_lo, 0, v11
                                        ; implicit-def: $vgpr6
	s_mov_b32 s0, exec_lo
	v_cndmask_b32_e64 v7, v11, -v11, vcc_lo
	v_cmp_gt_f32_e32 vcc_lo, 0, v10
	v_cndmask_b32_e64 v12, v10, -v10, vcc_lo
	s_delay_alu instid0(VALU_DEP_1)
	v_cmpx_ge_f32_e32 v7, v12
	s_xor_b32 s1, exec_lo, s0
	s_cbranch_execz .LBB172_37
; %bb.32:
	v_cmp_neq_f32_e32 vcc_lo, 0, v11
	v_cmp_neq_f32_e64 s0, 0, v10
                                        ; implicit-def: $vgpr6
	s_delay_alu instid0(VALU_DEP_1) | instskip(NEXT) | instid1(SALU_CYCLE_1)
	s_or_b32 s0, vcc_lo, s0
	s_and_saveexec_b32 s9, s0
	s_delay_alu instid0(SALU_CYCLE_1)
	s_xor_b32 s0, exec_lo, s9
	s_cbranch_execz .LBB172_34
; %bb.33:
	v_div_scale_f32 v5, null, v11, v11, v10
	v_div_scale_f32 v12, vcc_lo, v10, v11, v10
	s_delay_alu instid0(VALU_DEP_2) | instskip(SKIP_2) | instid1(VALU_DEP_1)
	v_rcp_f32_e32 v6, v5
	s_waitcnt_depctr 0xfff
	v_fma_f32 v7, -v5, v6, 1.0
	v_fmac_f32_e32 v6, v7, v6
	s_delay_alu instid0(VALU_DEP_1) | instskip(NEXT) | instid1(VALU_DEP_1)
	v_mul_f32_e32 v7, v12, v6
	v_fma_f32 v14, -v5, v7, v12
	s_delay_alu instid0(VALU_DEP_1) | instskip(NEXT) | instid1(VALU_DEP_1)
	v_fmac_f32_e32 v7, v14, v6
	v_fma_f32 v5, -v5, v7, v12
	s_delay_alu instid0(VALU_DEP_1) | instskip(NEXT) | instid1(VALU_DEP_1)
	v_div_fmas_f32 v5, v5, v6, v7
	v_div_fixup_f32 v6, v5, v11, v10
	s_delay_alu instid0(VALU_DEP_1) | instskip(NEXT) | instid1(VALU_DEP_1)
	v_fmac_f32_e32 v11, v10, v6
	v_div_scale_f32 v5, null, v11, v11, 1.0
	v_div_scale_f32 v12, vcc_lo, 1.0, v11, 1.0
	s_delay_alu instid0(VALU_DEP_2) | instskip(SKIP_2) | instid1(VALU_DEP_1)
	v_rcp_f32_e32 v7, v5
	s_waitcnt_depctr 0xfff
	v_fma_f32 v10, -v5, v7, 1.0
	v_fmac_f32_e32 v7, v10, v7
	s_delay_alu instid0(VALU_DEP_1) | instskip(NEXT) | instid1(VALU_DEP_1)
	v_mul_f32_e32 v10, v12, v7
	v_fma_f32 v14, -v5, v10, v12
	s_delay_alu instid0(VALU_DEP_1) | instskip(NEXT) | instid1(VALU_DEP_1)
	v_fmac_f32_e32 v10, v14, v7
	v_fma_f32 v5, -v5, v10, v12
                                        ; implicit-def: $vgpr12
	s_delay_alu instid0(VALU_DEP_1) | instskip(SKIP_1) | instid1(VALU_DEP_2)
	v_div_fmas_f32 v5, v5, v7, v10
	v_fma_f32 v7, v6, 0, 1.0
	v_div_fixup_f32 v10, v5, v11, 1.0
	s_delay_alu instid0(VALU_DEP_1)
	v_mul_f32_e32 v5, v7, v10
	v_mul_f32_e64 v6, -v6, v10
                                        ; implicit-def: $vgpr7
.LBB172_34:
	s_and_not1_saveexec_b32 s9, s0
	s_cbranch_execz .LBB172_36
; %bb.35:
	v_div_scale_f32 v5, null, v7, v7, 1.0
	v_div_scale_f32 v6, null, v12, v12, 0
	v_div_scale_f32 v16, vcc_lo, 1.0, v7, 1.0
	s_delay_alu instid0(VALU_DEP_3) | instskip(NEXT) | instid1(VALU_DEP_2)
	v_rcp_f32_e32 v10, v5
	v_rcp_f32_e32 v11, v6
	s_waitcnt_depctr 0xfff
	v_fma_f32 v14, -v5, v10, 1.0
	v_fma_f32 v15, -v6, v11, 1.0
	s_delay_alu instid0(VALU_DEP_1) | instskip(SKIP_1) | instid1(VALU_DEP_2)
	v_dual_fmac_f32 v10, v14, v10 :: v_dual_fmac_f32 v11, v15, v11
	v_div_scale_f32 v14, s0, 0, v12, 0
	v_mul_f32_e32 v15, v16, v10
	s_delay_alu instid0(VALU_DEP_2) | instskip(NEXT) | instid1(VALU_DEP_2)
	v_mul_f32_e32 v17, v14, v11
	v_fma_f32 v18, -v5, v15, v16
	s_delay_alu instid0(VALU_DEP_2) | instskip(NEXT) | instid1(VALU_DEP_2)
	v_fma_f32 v19, -v6, v17, v14
	v_fmac_f32_e32 v15, v18, v10
	s_delay_alu instid0(VALU_DEP_2) | instskip(NEXT) | instid1(VALU_DEP_2)
	v_fmac_f32_e32 v17, v19, v11
	v_fma_f32 v5, -v5, v15, v16
	s_delay_alu instid0(VALU_DEP_2) | instskip(NEXT) | instid1(VALU_DEP_2)
	v_fma_f32 v6, -v6, v17, v14
	v_div_fmas_f32 v5, v5, v10, v15
	s_mov_b32 vcc_lo, s0
	s_delay_alu instid0(VALU_DEP_2) | instskip(NEXT) | instid1(VALU_DEP_2)
	v_div_fmas_f32 v6, v6, v11, v17
	v_div_fixup_f32 v5, v5, v7, 1.0
	s_delay_alu instid0(VALU_DEP_2)
	v_div_fixup_f32 v6, v6, v12, 0
.LBB172_36:
	s_or_b32 exec_lo, exec_lo, s9
                                        ; implicit-def: $vgpr10
                                        ; implicit-def: $vgpr11
.LBB172_37:
	s_and_not1_saveexec_b32 s0, s1
	s_cbranch_execz .LBB172_39
; %bb.38:
	v_div_scale_f32 v5, null, v10, v10, v11
	v_div_scale_f32 v12, vcc_lo, v11, v10, v11
	s_delay_alu instid0(VALU_DEP_2) | instskip(SKIP_2) | instid1(VALU_DEP_1)
	v_rcp_f32_e32 v6, v5
	s_waitcnt_depctr 0xfff
	v_fma_f32 v7, -v5, v6, 1.0
	v_fmac_f32_e32 v6, v7, v6
	s_delay_alu instid0(VALU_DEP_1) | instskip(NEXT) | instid1(VALU_DEP_1)
	v_mul_f32_e32 v7, v12, v6
	v_fma_f32 v14, -v5, v7, v12
	s_delay_alu instid0(VALU_DEP_1) | instskip(NEXT) | instid1(VALU_DEP_1)
	v_fmac_f32_e32 v7, v14, v6
	v_fma_f32 v5, -v5, v7, v12
	s_delay_alu instid0(VALU_DEP_1) | instskip(NEXT) | instid1(VALU_DEP_1)
	v_div_fmas_f32 v5, v5, v6, v7
	v_div_fixup_f32 v5, v5, v10, v11
	s_delay_alu instid0(VALU_DEP_1) | instskip(NEXT) | instid1(VALU_DEP_1)
	v_fmac_f32_e32 v10, v11, v5
	v_div_scale_f32 v6, null, v10, v10, 1.0
	v_div_scale_f32 v12, vcc_lo, 1.0, v10, 1.0
	s_delay_alu instid0(VALU_DEP_2) | instskip(SKIP_2) | instid1(VALU_DEP_1)
	v_rcp_f32_e32 v7, v6
	s_waitcnt_depctr 0xfff
	v_fma_f32 v11, -v6, v7, 1.0
	v_fmac_f32_e32 v7, v11, v7
	s_delay_alu instid0(VALU_DEP_1) | instskip(NEXT) | instid1(VALU_DEP_1)
	v_mul_f32_e32 v11, v12, v7
	v_fma_f32 v14, -v6, v11, v12
	s_delay_alu instid0(VALU_DEP_1) | instskip(NEXT) | instid1(VALU_DEP_1)
	v_fmac_f32_e32 v11, v14, v7
	v_fma_f32 v6, -v6, v11, v12
	s_delay_alu instid0(VALU_DEP_1) | instskip(SKIP_1) | instid1(VALU_DEP_2)
	v_div_fmas_f32 v6, v6, v7, v11
	v_add_f32_e32 v7, 0, v5
	v_div_fixup_f32 v6, v6, v10, 1.0
	v_fma_f32 v10, v5, 0, -1.0
	s_delay_alu instid0(VALU_DEP_2) | instskip(NEXT) | instid1(VALU_DEP_2)
	v_mul_f32_e32 v5, v7, v6
	v_mul_f32_e32 v6, v10, v6
.LBB172_39:
	s_or_b32 exec_lo, exec_lo, s0
	v_cmp_neq_f32_e32 vcc_lo, 0, v8
	v_cmp_neq_f32_e64 s0, 0, v9
	v_mov_b32_e32 v10, 0
	s_delay_alu instid0(VALU_DEP_2) | instskip(NEXT) | instid1(SALU_CYCLE_1)
	s_or_b32 s0, vcc_lo, s0
	s_and_saveexec_b32 s9, s0
	s_cbranch_execz .LBB172_69
; %bb.40:
	v_mov_b32_e32 v10, 0x7f800000
	s_mov_b32 s11, exec_lo
	v_cmpx_neq_f32_e64 0x7f800000, |v9|
	s_cbranch_execz .LBB172_68
; %bb.41:
	s_mov_b32 s0, exec_lo
	v_cmpx_o_f32_e32 v8, v8
	s_xor_b32 s12, exec_lo, s0
	s_cbranch_execz .LBB172_65
; %bb.42:
	s_mov_b32 s1, exec_lo
	v_cmpx_neq_f32_e64 0x7f800000, |v8|
	s_xor_b32 s13, exec_lo, s1
	s_cbranch_execz .LBB172_58
; %bb.43:
	v_max_f32_e64 v7, |v9|, |v9|
	v_max_f32_e64 v10, |v8|, |v8|
                                        ; implicit-def: $sgpr14
	s_delay_alu instid0(VALU_DEP_1) | instskip(NEXT) | instid1(VALU_DEP_1)
	v_max_f32_e32 v7, v10, v7
	v_cmp_nle_f32_e64 s0, 0x7ed413cb, v7
	s_delay_alu instid0(VALU_DEP_1) | instskip(NEXT) | instid1(SALU_CYCLE_1)
	s_and_saveexec_b32 s1, s0
	s_xor_b32 s1, exec_lo, s1
	s_cbranch_execz .LBB172_47
; %bb.44:
	v_cmp_ge_f32_e64 s14, 0x1000000, |v8|
	v_cmp_ge_f32_e64 s15, 0x1000000, |v9|
	s_delay_alu instid0(VALU_DEP_1)
	s_and_b32 s16, s14, s15
	s_mov_b32 s14, 0
	s_and_saveexec_b32 s15, s16
; %bb.45:
	v_dual_mul_f32 v8, 4.0, v8 :: v_dual_mul_f32 v9, 4.0, v9
	s_mov_b32 s14, exec_lo
; %bb.46:
	s_or_b32 exec_lo, exec_lo, s15
	s_delay_alu instid0(SALU_CYCLE_1)
	s_and_b32 s14, s14, exec_lo
.LBB172_47:
	s_and_not1_saveexec_b32 s1, s1
; %bb.48:
	v_dual_mul_f32 v8, 0x3e800000, v8 :: v_dual_mul_f32 v9, 0x3e800000, v9
	s_and_not1_b32 s14, s14, exec_lo
; %bb.49:
	s_or_b32 exec_lo, exec_lo, s1
	s_delay_alu instid0(VALU_DEP_1) | instskip(NEXT) | instid1(VALU_DEP_2)
	v_max_f32_e64 v7, |v9|, |v9|
	v_max_f32_e64 v10, |v8|, |v8|
	s_delay_alu instid0(VALU_DEP_1) | instskip(NEXT) | instid1(VALU_DEP_1)
	v_max_f32_e32 v7, v10, v7
	v_cvt_f64_f32_e32 v[10:11], v7
	s_delay_alu instid0(VALU_DEP_1) | instskip(NEXT) | instid1(VALU_DEP_1)
	v_frexp_exp_i32_f64_e32 v10, v[10:11]
	v_sub_nc_u32_e32 v11, 0, v10
	s_delay_alu instid0(VALU_DEP_1) | instskip(SKIP_1) | instid1(VALU_DEP_2)
	v_ldexp_f32 v12, |v9|, v11
	v_ldexp_f32 v11, |v8|, v11
	v_mul_f32_e32 v12, v12, v12
	v_cmp_neq_f32_e64 s1, 0x7f800000, v7
                                        ; implicit-def: $vgpr7
	s_delay_alu instid0(VALU_DEP_2) | instskip(NEXT) | instid1(VALU_DEP_1)
	v_fmac_f32_e32 v12, v11, v11
	v_sqrt_f32_e32 v11, v12
	s_waitcnt_depctr 0xfff
	v_ldexp_f32 v10, v11, v10
	s_delay_alu instid0(VALU_DEP_1)
	v_cndmask_b32_e64 v11, 0x7f800000, v10, s1
                                        ; implicit-def: $vgpr10
	s_mov_b32 s1, exec_lo
	v_cmpx_le_f32_e32 0, v8
	s_xor_b32 s15, exec_lo, s1
	s_cbranch_execz .LBB172_51
; %bb.50:
	v_add_f32_e32 v7, v8, v11
	s_delay_alu instid0(VALU_DEP_1) | instskip(NEXT) | instid1(VALU_DEP_1)
	v_mul_f32_e32 v7, 0.5, v7
	v_mul_f32_e32 v8, 0x4f800000, v7
	v_cmp_gt_f32_e32 vcc_lo, 0xf800000, v7
	s_delay_alu instid0(VALU_DEP_2) | instskip(NEXT) | instid1(VALU_DEP_1)
	v_cndmask_b32_e32 v7, v7, v8, vcc_lo
	v_sqrt_f32_e32 v8, v7
	s_waitcnt_depctr 0xfff
	v_add_nc_u32_e32 v10, -1, v8
	v_add_nc_u32_e32 v11, 1, v8
	s_delay_alu instid0(VALU_DEP_2) | instskip(NEXT) | instid1(VALU_DEP_2)
	v_fma_f32 v12, -v10, v8, v7
	v_fma_f32 v14, -v11, v8, v7
	s_delay_alu instid0(VALU_DEP_2) | instskip(NEXT) | instid1(VALU_DEP_1)
	v_cmp_ge_f32_e64 s1, 0, v12
	v_cndmask_b32_e64 v8, v8, v10, s1
	s_delay_alu instid0(VALU_DEP_3) | instskip(NEXT) | instid1(VALU_DEP_1)
	v_cmp_lt_f32_e64 s1, 0, v14
	v_cndmask_b32_e64 v8, v8, v11, s1
	s_delay_alu instid0(VALU_DEP_1) | instskip(NEXT) | instid1(VALU_DEP_1)
	v_mul_f32_e32 v10, 0x37800000, v8
	v_cndmask_b32_e32 v8, v8, v10, vcc_lo
	v_cmp_class_f32_e64 vcc_lo, v7, 0x260
	s_delay_alu instid0(VALU_DEP_2) | instskip(NEXT) | instid1(VALU_DEP_1)
	v_cndmask_b32_e32 v7, v8, v7, vcc_lo
	v_add_f32_e32 v8, v7, v7
	s_delay_alu instid0(VALU_DEP_1) | instskip(NEXT) | instid1(VALU_DEP_1)
	v_div_scale_f32 v10, null, v8, v8, v9
	v_rcp_f32_e32 v11, v10
	s_waitcnt_depctr 0xfff
	v_fma_f32 v12, -v10, v11, 1.0
	s_delay_alu instid0(VALU_DEP_1) | instskip(SKIP_1) | instid1(VALU_DEP_1)
	v_fmac_f32_e32 v11, v12, v11
	v_div_scale_f32 v12, vcc_lo, v9, v8, v9
	v_mul_f32_e32 v14, v12, v11
	s_delay_alu instid0(VALU_DEP_1) | instskip(NEXT) | instid1(VALU_DEP_1)
	v_fma_f32 v15, -v10, v14, v12
	v_fmac_f32_e32 v14, v15, v11
	s_delay_alu instid0(VALU_DEP_1) | instskip(NEXT) | instid1(VALU_DEP_1)
	v_fma_f32 v10, -v10, v14, v12
	v_div_fmas_f32 v10, v10, v11, v14
                                        ; implicit-def: $vgpr11
	s_delay_alu instid0(VALU_DEP_1)
	v_div_fixup_f32 v10, v10, v8, v9
                                        ; implicit-def: $vgpr8
	s_and_not1_saveexec_b32 s15, s15
	s_cbranch_execz .LBB172_53
	s_branch .LBB172_52
.LBB172_51:
	s_and_not1_saveexec_b32 s15, s15
	s_cbranch_execz .LBB172_53
.LBB172_52:
	v_sub_f32_e32 v7, v11, v8
	s_delay_alu instid0(VALU_DEP_1) | instskip(NEXT) | instid1(VALU_DEP_1)
	v_mul_f32_e32 v7, 0.5, v7
	v_mul_f32_e32 v8, 0x4f800000, v7
	v_cmp_gt_f32_e32 vcc_lo, 0xf800000, v7
	s_delay_alu instid0(VALU_DEP_2) | instskip(NEXT) | instid1(VALU_DEP_1)
	v_cndmask_b32_e32 v7, v7, v8, vcc_lo
	v_sqrt_f32_e32 v8, v7
	s_waitcnt_depctr 0xfff
	v_add_nc_u32_e32 v10, -1, v8
	v_add_nc_u32_e32 v11, 1, v8
	s_delay_alu instid0(VALU_DEP_2) | instskip(NEXT) | instid1(VALU_DEP_2)
	v_fma_f32 v12, -v10, v8, v7
	v_fma_f32 v14, -v11, v8, v7
	s_delay_alu instid0(VALU_DEP_2) | instskip(NEXT) | instid1(VALU_DEP_1)
	v_cmp_ge_f32_e64 s1, 0, v12
	v_cndmask_b32_e64 v8, v8, v10, s1
	s_delay_alu instid0(VALU_DEP_3) | instskip(NEXT) | instid1(VALU_DEP_1)
	v_cmp_lt_f32_e64 s1, 0, v14
	v_cndmask_b32_e64 v8, v8, v11, s1
	s_delay_alu instid0(VALU_DEP_1) | instskip(NEXT) | instid1(VALU_DEP_1)
	v_mul_f32_e32 v10, 0x37800000, v8
	v_cndmask_b32_e32 v8, v8, v10, vcc_lo
	v_cmp_class_f32_e64 vcc_lo, v7, 0x260
	s_delay_alu instid0(VALU_DEP_2) | instskip(NEXT) | instid1(VALU_DEP_1)
	v_dual_cndmask_b32 v8, v8, v7 :: v_dual_and_b32 v7, 0x7fffffff, v9
	v_add_f32_e32 v10, v8, v8
	s_delay_alu instid0(VALU_DEP_1) | instskip(SKIP_1) | instid1(VALU_DEP_2)
	v_div_scale_f32 v11, null, v10, v10, v7
	v_div_scale_f32 v7, vcc_lo, v7, v10, v7
	v_rcp_f32_e32 v12, v11
	s_waitcnt_depctr 0xfff
	v_fma_f32 v14, -v11, v12, 1.0
	s_delay_alu instid0(VALU_DEP_1) | instskip(NEXT) | instid1(VALU_DEP_1)
	v_fmac_f32_e32 v12, v14, v12
	v_mul_f32_e32 v14, v7, v12
	s_delay_alu instid0(VALU_DEP_1) | instskip(NEXT) | instid1(VALU_DEP_1)
	v_fma_f32 v15, -v11, v14, v7
	v_fmac_f32_e32 v14, v15, v12
	s_delay_alu instid0(VALU_DEP_1) | instskip(NEXT) | instid1(VALU_DEP_1)
	v_fma_f32 v7, -v11, v14, v7
	v_div_fmas_f32 v7, v7, v12, v14
	s_delay_alu instid0(VALU_DEP_1)
	v_div_fixup_f32 v7, v7, v10, |v9|
	v_bfi_b32 v10, 0x7fffffff, v8, v9
.LBB172_53:
	s_or_b32 exec_lo, exec_lo, s15
                                        ; implicit-def: $vgpr9
	s_and_saveexec_b32 s1, s0
	s_delay_alu instid0(SALU_CYCLE_1)
	s_xor_b32 s0, exec_lo, s1
	s_cbranch_execz .LBB172_55
; %bb.54:
	v_dual_mul_f32 v8, 0.5, v7 :: v_dual_mul_f32 v9, 0.5, v10
	s_delay_alu instid0(VALU_DEP_1) | instskip(NEXT) | instid1(VALU_DEP_2)
	v_cndmask_b32_e64 v8, v7, v8, s14
	v_cndmask_b32_e64 v9, v10, v9, s14
                                        ; implicit-def: $vgpr7
                                        ; implicit-def: $vgpr10
	s_and_not1_saveexec_b32 s0, s0
	s_cbranch_execnz .LBB172_56
	s_branch .LBB172_57
.LBB172_55:
	s_and_not1_saveexec_b32 s0, s0
.LBB172_56:
	v_dual_add_f32 v8, v7, v7 :: v_dual_add_f32 v9, v10, v10
.LBB172_57:
	s_or_b32 exec_lo, exec_lo, s0
.LBB172_58:
	s_and_not1_saveexec_b32 s0, s13
	s_cbranch_execz .LBB172_64
; %bb.59:
	s_delay_alu instid0(VALU_DEP_1)
	v_sub_f32_e32 v7, v9, v9
	s_mov_b32 s1, exec_lo
	v_cmpx_lt_i32_e32 -1, v8
	s_xor_b32 s1, exec_lo, s1
; %bb.60:
	s_delay_alu instid0(VALU_DEP_2)
	v_bfi_b32 v9, 0x7fffffff, v7, v9
                                        ; implicit-def: $vgpr7
; %bb.61:
	s_and_not1_saveexec_b32 s1, s1
; %bb.62:
	v_and_b32_e32 v7, 0x7fffffff, v7
	s_delay_alu instid0(VALU_DEP_2) | instskip(NEXT) | instid1(VALU_DEP_2)
	v_bfi_b32 v9, 0x7fffffff, v8, v9
	v_mov_b32_e32 v8, v7
; %bb.63:
	s_or_b32 exec_lo, exec_lo, s1
.LBB172_64:
	s_delay_alu instid0(SALU_CYCLE_1)
	s_or_b32 exec_lo, exec_lo, s0
.LBB172_65:
	s_and_not1_saveexec_b32 s0, s12
; %bb.66:
	v_sub_f32_e32 v7, v9, v9
	s_delay_alu instid0(VALU_DEP_1) | instskip(NEXT) | instid1(VALU_DEP_1)
	v_div_scale_f32 v9, vcc_lo, v7, v7, v7
	v_rcp_f32_e32 v10, v9
	s_waitcnt_depctr 0xfff
	v_fma_f32 v11, -v9, v10, 1.0
	s_delay_alu instid0(VALU_DEP_1) | instskip(NEXT) | instid1(VALU_DEP_1)
	v_fmac_f32_e32 v10, v11, v10
	v_mul_f32_e32 v11, v9, v10
	s_delay_alu instid0(VALU_DEP_1) | instskip(NEXT) | instid1(VALU_DEP_1)
	v_fma_f32 v12, -v9, v11, v9
	v_fmac_f32_e32 v11, v12, v10
	s_delay_alu instid0(VALU_DEP_1) | instskip(NEXT) | instid1(VALU_DEP_1)
	v_fma_f32 v9, -v9, v11, v9
	v_div_fmas_f32 v9, v9, v10, v11
	s_delay_alu instid0(VALU_DEP_1)
	v_div_fixup_f32 v9, v9, v7, v7
; %bb.67:
	s_or_b32 exec_lo, exec_lo, s0
	v_mov_b32_e32 v10, v8
.LBB172_68:
	s_or_b32 exec_lo, exec_lo, s11
.LBB172_69:
	s_delay_alu instid0(SALU_CYCLE_1) | instskip(NEXT) | instid1(VALU_DEP_1)
	s_or_b32 exec_lo, exec_lo, s9
	v_cmp_gt_f32_e32 vcc_lo, 0, v10
	s_mov_b32 s0, exec_lo
	v_cndmask_b32_e64 v11, v10, -v10, vcc_lo
	v_cmp_gt_f32_e32 vcc_lo, 0, v9
	v_cndmask_b32_e64 v12, v9, -v9, vcc_lo
	s_delay_alu instid0(VALU_DEP_1)
	v_cmpx_ge_f32_e32 v11, v12
	s_xor_b32 s1, exec_lo, s0
	s_cbranch_execz .LBB172_75
; %bb.70:
	v_cmp_neq_f32_e32 vcc_lo, 0, v10
	v_cmp_neq_f32_e64 s0, 0, v9
	s_delay_alu instid0(VALU_DEP_1) | instskip(NEXT) | instid1(SALU_CYCLE_1)
	s_or_b32 s0, vcc_lo, s0
	s_and_saveexec_b32 s9, s0
	s_delay_alu instid0(SALU_CYCLE_1)
	s_xor_b32 s0, exec_lo, s9
	s_cbranch_execz .LBB172_72
; %bb.71:
	v_div_scale_f32 v7, null, v10, v10, v9
	v_div_scale_f32 v12, vcc_lo, v9, v10, v9
	s_delay_alu instid0(VALU_DEP_2) | instskip(SKIP_2) | instid1(VALU_DEP_1)
	v_rcp_f32_e32 v8, v7
	s_waitcnt_depctr 0xfff
	v_fma_f32 v11, -v7, v8, 1.0
	v_fmac_f32_e32 v8, v11, v8
	s_delay_alu instid0(VALU_DEP_1) | instskip(NEXT) | instid1(VALU_DEP_1)
	v_mul_f32_e32 v11, v12, v8
	v_fma_f32 v14, -v7, v11, v12
	s_delay_alu instid0(VALU_DEP_1) | instskip(NEXT) | instid1(VALU_DEP_1)
	v_fmac_f32_e32 v11, v14, v8
	v_fma_f32 v7, -v7, v11, v12
	s_delay_alu instid0(VALU_DEP_1) | instskip(NEXT) | instid1(VALU_DEP_1)
	v_div_fmas_f32 v7, v7, v8, v11
	v_div_fixup_f32 v8, v7, v10, v9
	s_delay_alu instid0(VALU_DEP_1) | instskip(NEXT) | instid1(VALU_DEP_1)
	v_fmac_f32_e32 v10, v9, v8
	v_div_scale_f32 v7, null, v10, v10, 1.0
	s_delay_alu instid0(VALU_DEP_1) | instskip(SKIP_2) | instid1(VALU_DEP_1)
	v_rcp_f32_e32 v9, v7
	s_waitcnt_depctr 0xfff
	v_fma_f32 v11, -v7, v9, 1.0
	v_fmac_f32_e32 v9, v11, v9
	v_div_scale_f32 v12, vcc_lo, 1.0, v10, 1.0
	s_delay_alu instid0(VALU_DEP_1) | instskip(NEXT) | instid1(VALU_DEP_1)
	v_mul_f32_e32 v11, v12, v9
	v_fma_f32 v14, -v7, v11, v12
	s_delay_alu instid0(VALU_DEP_1) | instskip(NEXT) | instid1(VALU_DEP_1)
	v_fmac_f32_e32 v11, v14, v9
	v_fma_f32 v7, -v7, v11, v12
                                        ; implicit-def: $vgpr12
	s_delay_alu instid0(VALU_DEP_1) | instskip(SKIP_1) | instid1(VALU_DEP_2)
	v_div_fmas_f32 v7, v7, v9, v11
	v_fma_f32 v9, v8, 0, 1.0
                                        ; implicit-def: $vgpr11
	v_div_fixup_f32 v10, v7, v10, 1.0
	s_delay_alu instid0(VALU_DEP_1)
	v_mul_f32_e32 v7, v9, v10
	v_mul_f32_e64 v8, -v8, v10
.LBB172_72:
	s_and_not1_saveexec_b32 s9, s0
	s_cbranch_execz .LBB172_74
; %bb.73:
	v_div_scale_f32 v7, null, v11, v11, 1.0
	v_div_scale_f32 v8, null, v12, v12, 0
	v_div_scale_f32 v16, vcc_lo, 1.0, v11, 1.0
	s_delay_alu instid0(VALU_DEP_3) | instskip(NEXT) | instid1(VALU_DEP_2)
	v_rcp_f32_e32 v9, v7
	v_rcp_f32_e32 v10, v8
	s_waitcnt_depctr 0xfff
	v_fma_f32 v14, -v7, v9, 1.0
	v_fma_f32 v15, -v8, v10, 1.0
	s_delay_alu instid0(VALU_DEP_1) | instskip(SKIP_1) | instid1(VALU_DEP_2)
	v_dual_fmac_f32 v9, v14, v9 :: v_dual_fmac_f32 v10, v15, v10
	v_div_scale_f32 v14, s0, 0, v12, 0
	v_mul_f32_e32 v15, v16, v9
	s_delay_alu instid0(VALU_DEP_2) | instskip(NEXT) | instid1(VALU_DEP_2)
	v_mul_f32_e32 v17, v14, v10
	v_fma_f32 v18, -v7, v15, v16
	s_delay_alu instid0(VALU_DEP_2) | instskip(NEXT) | instid1(VALU_DEP_2)
	v_fma_f32 v19, -v8, v17, v14
	v_fmac_f32_e32 v15, v18, v9
	s_delay_alu instid0(VALU_DEP_2) | instskip(NEXT) | instid1(VALU_DEP_2)
	v_fmac_f32_e32 v17, v19, v10
	v_fma_f32 v7, -v7, v15, v16
	s_delay_alu instid0(VALU_DEP_2) | instskip(NEXT) | instid1(VALU_DEP_2)
	v_fma_f32 v8, -v8, v17, v14
	v_div_fmas_f32 v7, v7, v9, v15
	s_mov_b32 vcc_lo, s0
	s_delay_alu instid0(VALU_DEP_2) | instskip(NEXT) | instid1(VALU_DEP_2)
	v_div_fmas_f32 v8, v8, v10, v17
	v_div_fixup_f32 v7, v7, v11, 1.0
	s_delay_alu instid0(VALU_DEP_2)
	v_div_fixup_f32 v8, v8, v12, 0
.LBB172_74:
	s_or_b32 exec_lo, exec_lo, s9
                                        ; implicit-def: $vgpr9
                                        ; implicit-def: $vgpr10
.LBB172_75:
	s_and_not1_saveexec_b32 s0, s1
	s_cbranch_execz .LBB172_77
; %bb.76:
	v_div_scale_f32 v7, null, v9, v9, v10
	v_div_scale_f32 v12, vcc_lo, v10, v9, v10
	s_delay_alu instid0(VALU_DEP_2) | instskip(SKIP_2) | instid1(VALU_DEP_1)
	v_rcp_f32_e32 v8, v7
	s_waitcnt_depctr 0xfff
	v_fma_f32 v11, -v7, v8, 1.0
	v_fmac_f32_e32 v8, v11, v8
	s_delay_alu instid0(VALU_DEP_1) | instskip(NEXT) | instid1(VALU_DEP_1)
	v_mul_f32_e32 v11, v12, v8
	v_fma_f32 v14, -v7, v11, v12
	s_delay_alu instid0(VALU_DEP_1) | instskip(NEXT) | instid1(VALU_DEP_1)
	v_fmac_f32_e32 v11, v14, v8
	v_fma_f32 v7, -v7, v11, v12
	s_delay_alu instid0(VALU_DEP_1) | instskip(NEXT) | instid1(VALU_DEP_1)
	v_div_fmas_f32 v7, v7, v8, v11
	v_div_fixup_f32 v7, v7, v9, v10
	s_delay_alu instid0(VALU_DEP_1) | instskip(NEXT) | instid1(VALU_DEP_1)
	v_fmac_f32_e32 v9, v10, v7
	v_div_scale_f32 v8, null, v9, v9, 1.0
	v_div_scale_f32 v12, vcc_lo, 1.0, v9, 1.0
	s_delay_alu instid0(VALU_DEP_2) | instskip(SKIP_2) | instid1(VALU_DEP_1)
	v_rcp_f32_e32 v10, v8
	s_waitcnt_depctr 0xfff
	v_fma_f32 v11, -v8, v10, 1.0
	v_fmac_f32_e32 v10, v11, v10
	s_delay_alu instid0(VALU_DEP_1) | instskip(NEXT) | instid1(VALU_DEP_1)
	v_mul_f32_e32 v11, v12, v10
	v_fma_f32 v14, -v8, v11, v12
	s_delay_alu instid0(VALU_DEP_1) | instskip(NEXT) | instid1(VALU_DEP_1)
	v_fmac_f32_e32 v11, v14, v10
	v_fma_f32 v8, -v8, v11, v12
	s_delay_alu instid0(VALU_DEP_1) | instskip(SKIP_1) | instid1(VALU_DEP_2)
	v_div_fmas_f32 v8, v8, v10, v11
	v_add_f32_e32 v10, 0, v7
	v_div_fixup_f32 v8, v8, v9, 1.0
	v_fma_f32 v9, v7, 0, -1.0
	s_delay_alu instid0(VALU_DEP_2) | instskip(NEXT) | instid1(VALU_DEP_2)
	v_mul_f32_e32 v7, v10, v8
	v_mul_f32_e32 v8, v9, v8
.LBB172_77:
	s_or_b32 exec_lo, exec_lo, s0
	s_waitcnt vmcnt(0)
	v_cmp_neq_f32_e32 vcc_lo, 0, v1
	v_cmp_neq_f32_e64 s0, 0, v2
	v_dual_mov_b32 v12, 0 :: v_dual_mov_b32 v11, v2
	s_delay_alu instid0(VALU_DEP_2) | instskip(NEXT) | instid1(SALU_CYCLE_1)
	s_or_b32 s0, vcc_lo, s0
	s_and_saveexec_b32 s9, s0
	s_cbranch_execz .LBB172_107
; %bb.78:
	v_dual_mov_b32 v12, 0x7f800000 :: v_dual_mov_b32 v11, v2
	s_mov_b32 s11, exec_lo
	v_cmpx_neq_f32_e64 0x7f800000, |v2|
	s_cbranch_execz .LBB172_106
; %bb.79:
                                        ; implicit-def: $vgpr11
                                        ; implicit-def: $vgpr12
	s_mov_b32 s0, exec_lo
	v_cmpx_o_f32_e32 v1, v1
	s_xor_b32 s12, exec_lo, s0
	s_cbranch_execz .LBB172_103
; %bb.80:
                                        ; implicit-def: $vgpr11
                                        ; implicit-def: $vgpr12
	s_mov_b32 s1, exec_lo
	v_cmpx_neq_f32_e64 0x7f800000, |v1|
	s_xor_b32 s13, exec_lo, s1
	s_cbranch_execz .LBB172_96
; %bb.81:
	v_max_f32_e64 v9, |v2|, |v2|
	v_max_f32_e64 v10, |v1|, |v1|
                                        ; implicit-def: $sgpr14
	s_delay_alu instid0(VALU_DEP_1) | instskip(NEXT) | instid1(VALU_DEP_1)
	v_max_f32_e32 v9, v10, v9
                                        ; implicit-def: $vgpr10
	v_cmp_nle_f32_e64 s0, 0x7ed413cb, v9
                                        ; implicit-def: $vgpr9
	s_delay_alu instid0(VALU_DEP_1) | instskip(NEXT) | instid1(SALU_CYCLE_1)
	s_and_saveexec_b32 s1, s0
	s_xor_b32 s1, exec_lo, s1
	s_cbranch_execz .LBB172_85
; %bb.82:
	v_cmp_ge_f32_e64 s14, 0x1000000, |v1|
	v_cmp_ge_f32_e64 s15, 0x1000000, |v2|
	v_dual_mov_b32 v10, v1 :: v_dual_mov_b32 v9, v2
	s_delay_alu instid0(VALU_DEP_2)
	s_and_b32 s16, s14, s15
	s_mov_b32 s14, 0
	s_and_saveexec_b32 s15, s16
; %bb.83:
	v_dual_mul_f32 v10, 4.0, v1 :: v_dual_mul_f32 v9, 4.0, v2
	s_mov_b32 s14, exec_lo
; %bb.84:
	s_or_b32 exec_lo, exec_lo, s15
	s_delay_alu instid0(SALU_CYCLE_1)
	s_and_b32 s14, s14, exec_lo
.LBB172_85:
	s_and_not1_saveexec_b32 s1, s1
; %bb.86:
	v_dual_mul_f32 v10, 0x3e800000, v1 :: v_dual_mul_f32 v9, 0x3e800000, v2
	s_and_not1_b32 s14, s14, exec_lo
; %bb.87:
	s_or_b32 exec_lo, exec_lo, s1
	s_delay_alu instid0(VALU_DEP_1) | instskip(NEXT) | instid1(VALU_DEP_2)
	v_max_f32_e64 v11, |v9|, |v9|
	v_max_f32_e64 v12, |v10|, |v10|
	s_delay_alu instid0(VALU_DEP_1) | instskip(NEXT) | instid1(VALU_DEP_1)
	v_max_f32_e32 v14, v12, v11
	v_cvt_f64_f32_e32 v[11:12], v14
	v_cmp_neq_f32_e64 s1, 0x7f800000, v14
                                        ; implicit-def: $vgpr14
	s_delay_alu instid0(VALU_DEP_2) | instskip(NEXT) | instid1(VALU_DEP_1)
	v_frexp_exp_i32_f64_e32 v11, v[11:12]
	v_sub_nc_u32_e32 v12, 0, v11
	s_delay_alu instid0(VALU_DEP_1) | instskip(SKIP_1) | instid1(VALU_DEP_2)
	v_ldexp_f32 v15, |v9|, v12
	v_ldexp_f32 v12, |v10|, v12
	v_mul_f32_e32 v15, v15, v15
	s_delay_alu instid0(VALU_DEP_1) | instskip(NEXT) | instid1(VALU_DEP_1)
	v_fmac_f32_e32 v15, v12, v12
	v_sqrt_f32_e32 v12, v15
                                        ; implicit-def: $vgpr15
	s_waitcnt_depctr 0xfff
	v_ldexp_f32 v11, v12, v11
	s_delay_alu instid0(VALU_DEP_1)
	v_cndmask_b32_e64 v11, 0x7f800000, v11, s1
	s_mov_b32 s1, exec_lo
	v_cmpx_le_f32_e32 0, v10
	s_xor_b32 s15, exec_lo, s1
	s_cbranch_execz .LBB172_89
; %bb.88:
	v_add_f32_e32 v10, v10, v11
	s_delay_alu instid0(VALU_DEP_1) | instskip(NEXT) | instid1(VALU_DEP_1)
	v_mul_f32_e32 v10, 0.5, v10
	v_mul_f32_e32 v11, 0x4f800000, v10
	v_cmp_gt_f32_e32 vcc_lo, 0xf800000, v10
	s_delay_alu instid0(VALU_DEP_2) | instskip(NEXT) | instid1(VALU_DEP_1)
	v_cndmask_b32_e32 v10, v10, v11, vcc_lo
	v_sqrt_f32_e32 v11, v10
	s_waitcnt_depctr 0xfff
	v_add_nc_u32_e32 v12, -1, v11
	v_add_nc_u32_e32 v14, 1, v11
	s_delay_alu instid0(VALU_DEP_2) | instskip(NEXT) | instid1(VALU_DEP_2)
	v_fma_f32 v15, -v12, v11, v10
	v_fma_f32 v16, -v14, v11, v10
	s_delay_alu instid0(VALU_DEP_2) | instskip(NEXT) | instid1(VALU_DEP_1)
	v_cmp_ge_f32_e64 s1, 0, v15
	v_cndmask_b32_e64 v11, v11, v12, s1
	s_delay_alu instid0(VALU_DEP_3) | instskip(NEXT) | instid1(VALU_DEP_1)
	v_cmp_lt_f32_e64 s1, 0, v16
	v_cndmask_b32_e64 v11, v11, v14, s1
	s_delay_alu instid0(VALU_DEP_1) | instskip(NEXT) | instid1(VALU_DEP_1)
	v_mul_f32_e32 v12, 0x37800000, v11
	v_cndmask_b32_e32 v11, v11, v12, vcc_lo
	v_cmp_class_f32_e64 vcc_lo, v10, 0x260
	s_delay_alu instid0(VALU_DEP_2) | instskip(NEXT) | instid1(VALU_DEP_1)
	v_cndmask_b32_e32 v14, v11, v10, vcc_lo
	v_add_f32_e32 v10, v14, v14
	s_delay_alu instid0(VALU_DEP_1) | instskip(NEXT) | instid1(VALU_DEP_1)
	v_div_scale_f32 v11, null, v10, v10, v9
	v_rcp_f32_e32 v12, v11
	s_waitcnt_depctr 0xfff
	v_fma_f32 v15, -v11, v12, 1.0
	s_delay_alu instid0(VALU_DEP_1) | instskip(SKIP_1) | instid1(VALU_DEP_1)
	v_fmac_f32_e32 v12, v15, v12
	v_div_scale_f32 v15, vcc_lo, v9, v10, v9
	v_mul_f32_e32 v16, v15, v12
	s_delay_alu instid0(VALU_DEP_1) | instskip(NEXT) | instid1(VALU_DEP_1)
	v_fma_f32 v17, -v11, v16, v15
	v_fmac_f32_e32 v16, v17, v12
	s_delay_alu instid0(VALU_DEP_1) | instskip(NEXT) | instid1(VALU_DEP_1)
	v_fma_f32 v11, -v11, v16, v15
	v_div_fmas_f32 v11, v11, v12, v16
	s_delay_alu instid0(VALU_DEP_1)
	v_div_fixup_f32 v15, v11, v10, v9
                                        ; implicit-def: $vgpr11
                                        ; implicit-def: $vgpr10
                                        ; implicit-def: $vgpr9
	s_and_not1_saveexec_b32 s15, s15
	s_cbranch_execz .LBB172_91
	s_branch .LBB172_90
.LBB172_89:
	s_and_not1_saveexec_b32 s15, s15
	s_cbranch_execz .LBB172_91
.LBB172_90:
	v_sub_f32_e32 v10, v11, v10
	s_delay_alu instid0(VALU_DEP_1) | instskip(NEXT) | instid1(VALU_DEP_1)
	v_mul_f32_e32 v10, 0.5, v10
	v_mul_f32_e32 v11, 0x4f800000, v10
	v_cmp_gt_f32_e32 vcc_lo, 0xf800000, v10
	s_delay_alu instid0(VALU_DEP_2) | instskip(NEXT) | instid1(VALU_DEP_1)
	v_cndmask_b32_e32 v10, v10, v11, vcc_lo
	v_sqrt_f32_e32 v11, v10
	s_waitcnt_depctr 0xfff
	v_add_nc_u32_e32 v12, -1, v11
	v_add_nc_u32_e32 v14, 1, v11
	s_delay_alu instid0(VALU_DEP_2) | instskip(NEXT) | instid1(VALU_DEP_2)
	v_fma_f32 v15, -v12, v11, v10
	v_fma_f32 v16, -v14, v11, v10
	s_delay_alu instid0(VALU_DEP_2) | instskip(NEXT) | instid1(VALU_DEP_1)
	v_cmp_ge_f32_e64 s1, 0, v15
	v_cndmask_b32_e64 v11, v11, v12, s1
	s_delay_alu instid0(VALU_DEP_3) | instskip(NEXT) | instid1(VALU_DEP_1)
	v_cmp_lt_f32_e64 s1, 0, v16
	v_cndmask_b32_e64 v11, v11, v14, s1
	s_delay_alu instid0(VALU_DEP_1) | instskip(NEXT) | instid1(VALU_DEP_1)
	v_mul_f32_e32 v12, 0x37800000, v11
	v_cndmask_b32_e32 v11, v11, v12, vcc_lo
	v_cmp_class_f32_e64 vcc_lo, v10, 0x260
	s_delay_alu instid0(VALU_DEP_2) | instskip(NEXT) | instid1(VALU_DEP_1)
	v_dual_cndmask_b32 v10, v11, v10 :: v_dual_and_b32 v11, 0x7fffffff, v9
	v_add_f32_e32 v12, v10, v10
	s_delay_alu instid0(VALU_DEP_1) | instskip(SKIP_1) | instid1(VALU_DEP_2)
	v_div_scale_f32 v14, null, v12, v12, v11
	v_div_scale_f32 v11, vcc_lo, v11, v12, v11
	v_rcp_f32_e32 v15, v14
	s_waitcnt_depctr 0xfff
	v_fma_f32 v16, -v14, v15, 1.0
	s_delay_alu instid0(VALU_DEP_1) | instskip(NEXT) | instid1(VALU_DEP_1)
	v_fmac_f32_e32 v15, v16, v15
	v_mul_f32_e32 v16, v11, v15
	s_delay_alu instid0(VALU_DEP_1) | instskip(NEXT) | instid1(VALU_DEP_1)
	v_fma_f32 v17, -v14, v16, v11
	v_fmac_f32_e32 v16, v17, v15
	s_delay_alu instid0(VALU_DEP_1) | instskip(NEXT) | instid1(VALU_DEP_1)
	v_fma_f32 v11, -v14, v16, v11
	v_div_fmas_f32 v11, v11, v15, v16
	v_bfi_b32 v15, 0x7fffffff, v10, v9
	s_delay_alu instid0(VALU_DEP_2)
	v_div_fixup_f32 v14, v11, v12, |v9|
.LBB172_91:
	s_or_b32 exec_lo, exec_lo, s15
                                        ; implicit-def: $vgpr11
                                        ; implicit-def: $vgpr12
	s_and_saveexec_b32 s1, s0
	s_delay_alu instid0(SALU_CYCLE_1)
	s_xor_b32 s0, exec_lo, s1
	s_cbranch_execz .LBB172_93
; %bb.92:
	v_dual_mul_f32 v9, 0.5, v14 :: v_dual_mul_f32 v10, 0.5, v15
	s_delay_alu instid0(VALU_DEP_1) | instskip(NEXT) | instid1(VALU_DEP_2)
	v_cndmask_b32_e64 v12, v14, v9, s14
	v_cndmask_b32_e64 v11, v15, v10, s14
                                        ; implicit-def: $vgpr14
                                        ; implicit-def: $vgpr15
	s_and_not1_saveexec_b32 s0, s0
	s_cbranch_execnz .LBB172_94
	s_branch .LBB172_95
.LBB172_93:
	s_and_not1_saveexec_b32 s0, s0
.LBB172_94:
	v_dual_add_f32 v12, v14, v14 :: v_dual_add_f32 v11, v15, v15
.LBB172_95:
	s_or_b32 exec_lo, exec_lo, s0
.LBB172_96:
	s_and_not1_saveexec_b32 s0, s13
	s_cbranch_execz .LBB172_102
; %bb.97:
	v_sub_f32_e32 v9, v2, v2
	s_mov_b32 s1, exec_lo
                                        ; implicit-def: $vgpr11
	v_cmpx_lt_i32_e32 -1, v1
	s_xor_b32 s1, exec_lo, s1
; %bb.98:
	s_delay_alu instid0(VALU_DEP_2)
	v_bfi_b32 v11, 0x7fffffff, v9, v2
                                        ; implicit-def: $vgpr9
; %bb.99:
	s_or_saveexec_b32 s1, s1
	v_mov_b32_e32 v12, v1
	s_xor_b32 exec_lo, exec_lo, s1
; %bb.100:
	v_and_b32_e32 v12, 0x7fffffff, v9
	v_bfi_b32 v11, 0x7fffffff, v1, v2
; %bb.101:
	s_or_b32 exec_lo, exec_lo, s1
.LBB172_102:
	s_delay_alu instid0(SALU_CYCLE_1)
	s_or_b32 exec_lo, exec_lo, s0
.LBB172_103:
	s_and_not1_saveexec_b32 s0, s12
; %bb.104:
	v_sub_f32_e32 v2, v2, v2
	s_delay_alu instid0(VALU_DEP_1) | instskip(NEXT) | instid1(VALU_DEP_1)
	v_div_scale_f32 v9, vcc_lo, v2, v2, v2
	v_rcp_f32_e32 v10, v9
	s_waitcnt_depctr 0xfff
	v_fma_f32 v11, -v9, v10, 1.0
	s_delay_alu instid0(VALU_DEP_1) | instskip(NEXT) | instid1(VALU_DEP_1)
	v_fmac_f32_e32 v10, v11, v10
	v_mul_f32_e32 v11, v9, v10
	s_delay_alu instid0(VALU_DEP_1) | instskip(NEXT) | instid1(VALU_DEP_1)
	v_fma_f32 v12, -v9, v11, v9
	v_dual_fmac_f32 v11, v12, v10 :: v_dual_mov_b32 v12, v1
	s_delay_alu instid0(VALU_DEP_1) | instskip(NEXT) | instid1(VALU_DEP_1)
	v_fma_f32 v9, -v9, v11, v9
	v_div_fmas_f32 v9, v9, v10, v11
	s_delay_alu instid0(VALU_DEP_1)
	v_div_fixup_f32 v11, v9, v2, v2
; %bb.105:
	s_or_b32 exec_lo, exec_lo, s0
.LBB172_106:
	s_delay_alu instid0(SALU_CYCLE_1)
	s_or_b32 exec_lo, exec_lo, s11
.LBB172_107:
	s_delay_alu instid0(SALU_CYCLE_1)
	s_or_b32 exec_lo, exec_lo, s9
	v_cmp_gt_f32_e32 vcc_lo, 0, v12
                                        ; implicit-def: $vgpr10
	s_mov_b32 s0, exec_lo
	v_cndmask_b32_e64 v1, v12, -v12, vcc_lo
	v_cmp_gt_f32_e32 vcc_lo, 0, v11
	v_cndmask_b32_e64 v2, v11, -v11, vcc_lo
	s_delay_alu instid0(VALU_DEP_1)
	v_cmpx_ge_f32_e32 v1, v2
	s_xor_b32 s1, exec_lo, s0
	s_cbranch_execz .LBB172_113
; %bb.108:
	v_cmp_neq_f32_e32 vcc_lo, 0, v12
	v_cmp_neq_f32_e64 s0, 0, v11
                                        ; implicit-def: $vgpr10
	s_delay_alu instid0(VALU_DEP_1) | instskip(NEXT) | instid1(SALU_CYCLE_1)
	s_or_b32 s0, vcc_lo, s0
	s_and_saveexec_b32 s9, s0
	s_delay_alu instid0(SALU_CYCLE_1)
	s_xor_b32 s0, exec_lo, s9
	s_cbranch_execz .LBB172_110
; %bb.109:
	v_div_scale_f32 v1, null, v12, v12, v11
	v_div_scale_f32 v10, vcc_lo, v11, v12, v11
	s_delay_alu instid0(VALU_DEP_2) | instskip(SKIP_2) | instid1(VALU_DEP_1)
	v_rcp_f32_e32 v2, v1
	s_waitcnt_depctr 0xfff
	v_fma_f32 v9, -v1, v2, 1.0
	v_fmac_f32_e32 v2, v9, v2
	s_delay_alu instid0(VALU_DEP_1) | instskip(NEXT) | instid1(VALU_DEP_1)
	v_mul_f32_e32 v9, v10, v2
	v_fma_f32 v14, -v1, v9, v10
	s_delay_alu instid0(VALU_DEP_1) | instskip(NEXT) | instid1(VALU_DEP_1)
	v_fmac_f32_e32 v9, v14, v2
	v_fma_f32 v1, -v1, v9, v10
	s_delay_alu instid0(VALU_DEP_1) | instskip(NEXT) | instid1(VALU_DEP_1)
	v_div_fmas_f32 v1, v1, v2, v9
	v_div_fixup_f32 v1, v1, v12, v11
	s_delay_alu instid0(VALU_DEP_1) | instskip(NEXT) | instid1(VALU_DEP_1)
	v_fmac_f32_e32 v12, v11, v1
	v_div_scale_f32 v2, null, v12, v12, 1.0
	v_div_scale_f32 v11, vcc_lo, 1.0, v12, 1.0
	s_delay_alu instid0(VALU_DEP_2) | instskip(SKIP_2) | instid1(VALU_DEP_1)
	v_rcp_f32_e32 v9, v2
	s_waitcnt_depctr 0xfff
	v_fma_f32 v10, -v2, v9, 1.0
	v_fmac_f32_e32 v9, v10, v9
	s_delay_alu instid0(VALU_DEP_1) | instskip(NEXT) | instid1(VALU_DEP_1)
	v_mul_f32_e32 v10, v11, v9
	v_fma_f32 v14, -v2, v10, v11
	s_delay_alu instid0(VALU_DEP_1) | instskip(NEXT) | instid1(VALU_DEP_1)
	v_fmac_f32_e32 v10, v14, v9
	v_fma_f32 v2, -v2, v10, v11
	s_delay_alu instid0(VALU_DEP_1) | instskip(SKIP_1) | instid1(VALU_DEP_2)
	v_div_fmas_f32 v2, v2, v9, v10
	v_fma_f32 v9, v1, 0, 1.0
	v_div_fixup_f32 v2, v2, v12, 1.0
	s_delay_alu instid0(VALU_DEP_1)
	v_mul_f32_e32 v9, v9, v2
	v_mul_f32_e64 v10, -v1, v2
                                        ; implicit-def: $vgpr1
                                        ; implicit-def: $vgpr2
.LBB172_110:
	s_and_not1_saveexec_b32 s9, s0
	s_cbranch_execz .LBB172_112
; %bb.111:
	v_div_scale_f32 v9, null, v1, v1, 1.0
	v_div_scale_f32 v10, null, v2, v2, 0
	v_div_scale_f32 v16, vcc_lo, 1.0, v1, 1.0
	s_delay_alu instid0(VALU_DEP_3) | instskip(NEXT) | instid1(VALU_DEP_2)
	v_rcp_f32_e32 v11, v9
	v_rcp_f32_e32 v12, v10
	s_waitcnt_depctr 0xfff
	v_fma_f32 v14, -v9, v11, 1.0
	v_fma_f32 v15, -v10, v12, 1.0
	s_delay_alu instid0(VALU_DEP_1) | instskip(SKIP_1) | instid1(VALU_DEP_2)
	v_dual_fmac_f32 v11, v14, v11 :: v_dual_fmac_f32 v12, v15, v12
	v_div_scale_f32 v14, s0, 0, v2, 0
	v_mul_f32_e32 v15, v16, v11
	s_delay_alu instid0(VALU_DEP_2) | instskip(NEXT) | instid1(VALU_DEP_2)
	v_mul_f32_e32 v17, v14, v12
	v_fma_f32 v18, -v9, v15, v16
	s_delay_alu instid0(VALU_DEP_2) | instskip(NEXT) | instid1(VALU_DEP_2)
	v_fma_f32 v19, -v10, v17, v14
	v_fmac_f32_e32 v15, v18, v11
	s_delay_alu instid0(VALU_DEP_2) | instskip(NEXT) | instid1(VALU_DEP_2)
	v_fmac_f32_e32 v17, v19, v12
	v_fma_f32 v9, -v9, v15, v16
	s_delay_alu instid0(VALU_DEP_2) | instskip(NEXT) | instid1(VALU_DEP_2)
	v_fma_f32 v10, -v10, v17, v14
	v_div_fmas_f32 v9, v9, v11, v15
	s_mov_b32 vcc_lo, s0
	s_delay_alu instid0(VALU_DEP_2) | instskip(NEXT) | instid1(VALU_DEP_2)
	v_div_fmas_f32 v10, v10, v12, v17
	v_div_fixup_f32 v9, v9, v1, 1.0
	s_delay_alu instid0(VALU_DEP_2)
	v_div_fixup_f32 v10, v10, v2, 0
.LBB172_112:
	s_or_b32 exec_lo, exec_lo, s9
                                        ; implicit-def: $vgpr11
                                        ; implicit-def: $vgpr12
.LBB172_113:
	s_and_not1_saveexec_b32 s0, s1
	s_cbranch_execz .LBB172_115
; %bb.114:
	v_div_scale_f32 v1, null, v11, v11, v12
	v_div_scale_f32 v10, vcc_lo, v12, v11, v12
	s_delay_alu instid0(VALU_DEP_2) | instskip(SKIP_2) | instid1(VALU_DEP_1)
	v_rcp_f32_e32 v2, v1
	s_waitcnt_depctr 0xfff
	v_fma_f32 v9, -v1, v2, 1.0
	v_fmac_f32_e32 v2, v9, v2
	s_delay_alu instid0(VALU_DEP_1) | instskip(NEXT) | instid1(VALU_DEP_1)
	v_mul_f32_e32 v9, v10, v2
	v_fma_f32 v14, -v1, v9, v10
	s_delay_alu instid0(VALU_DEP_1) | instskip(NEXT) | instid1(VALU_DEP_1)
	v_fmac_f32_e32 v9, v14, v2
	v_fma_f32 v1, -v1, v9, v10
	s_delay_alu instid0(VALU_DEP_1) | instskip(NEXT) | instid1(VALU_DEP_1)
	v_div_fmas_f32 v1, v1, v2, v9
	v_div_fixup_f32 v1, v1, v11, v12
	s_delay_alu instid0(VALU_DEP_1) | instskip(NEXT) | instid1(VALU_DEP_1)
	v_fmac_f32_e32 v11, v12, v1
	v_div_scale_f32 v2, null, v11, v11, 1.0
	v_div_scale_f32 v12, vcc_lo, 1.0, v11, 1.0
	s_delay_alu instid0(VALU_DEP_2) | instskip(SKIP_2) | instid1(VALU_DEP_1)
	v_rcp_f32_e32 v9, v2
	s_waitcnt_depctr 0xfff
	v_fma_f32 v10, -v2, v9, 1.0
	v_fmac_f32_e32 v9, v10, v9
	s_delay_alu instid0(VALU_DEP_1) | instskip(NEXT) | instid1(VALU_DEP_1)
	v_mul_f32_e32 v10, v12, v9
	v_fma_f32 v14, -v2, v10, v12
	s_delay_alu instid0(VALU_DEP_1) | instskip(NEXT) | instid1(VALU_DEP_1)
	v_fmac_f32_e32 v10, v14, v9
	v_fma_f32 v2, -v2, v10, v12
	s_delay_alu instid0(VALU_DEP_1) | instskip(SKIP_2) | instid1(VALU_DEP_3)
	v_div_fmas_f32 v2, v2, v9, v10
	v_add_f32_e32 v9, 0, v1
	v_fma_f32 v1, v1, 0, -1.0
	v_div_fixup_f32 v2, v2, v11, 1.0
	s_delay_alu instid0(VALU_DEP_1) | instskip(NEXT) | instid1(VALU_DEP_3)
	v_mul_f32_e32 v9, v9, v2
	v_mul_f32_e32 v10, v1, v2
.LBB172_115:
	s_or_b32 exec_lo, exec_lo, s0
	v_cmp_neq_f32_e32 vcc_lo, 0, v3
	v_cmp_neq_f32_e64 s0, 0, v4
	v_mov_b32_e32 v1, 0
	s_delay_alu instid0(VALU_DEP_2) | instskip(NEXT) | instid1(SALU_CYCLE_1)
	s_or_b32 s0, vcc_lo, s0
	s_and_saveexec_b32 s9, s0
	s_cbranch_execz .LBB172_145
; %bb.116:
	v_mov_b32_e32 v1, 0x7f800000
	s_mov_b32 s11, exec_lo
	v_cmpx_neq_f32_e64 0x7f800000, |v4|
	s_cbranch_execz .LBB172_144
; %bb.117:
	s_mov_b32 s0, exec_lo
	v_cmpx_o_f32_e32 v3, v3
	s_xor_b32 s12, exec_lo, s0
	s_cbranch_execz .LBB172_141
; %bb.118:
	s_mov_b32 s1, exec_lo
	v_cmpx_neq_f32_e64 0x7f800000, |v3|
	s_xor_b32 s13, exec_lo, s1
	s_cbranch_execz .LBB172_134
; %bb.119:
	v_max_f32_e64 v1, |v4|, |v4|
	v_max_f32_e64 v2, |v3|, |v3|
                                        ; implicit-def: $sgpr14
	s_delay_alu instid0(VALU_DEP_1) | instskip(NEXT) | instid1(VALU_DEP_1)
	v_max_f32_e32 v1, v2, v1
	v_cmp_nle_f32_e64 s0, 0x7ed413cb, v1
	s_delay_alu instid0(VALU_DEP_1) | instskip(NEXT) | instid1(SALU_CYCLE_1)
	s_and_saveexec_b32 s1, s0
	s_xor_b32 s1, exec_lo, s1
	s_cbranch_execz .LBB172_123
; %bb.120:
	v_cmp_ge_f32_e64 s14, 0x1000000, |v3|
	v_cmp_ge_f32_e64 s15, 0x1000000, |v4|
	s_delay_alu instid0(VALU_DEP_1)
	s_and_b32 s16, s14, s15
	s_mov_b32 s14, 0
	s_and_saveexec_b32 s15, s16
; %bb.121:
	v_dual_mul_f32 v3, 4.0, v3 :: v_dual_mul_f32 v4, 4.0, v4
	s_mov_b32 s14, exec_lo
; %bb.122:
	s_or_b32 exec_lo, exec_lo, s15
	s_delay_alu instid0(SALU_CYCLE_1)
	s_and_b32 s14, s14, exec_lo
.LBB172_123:
	s_and_not1_saveexec_b32 s1, s1
; %bb.124:
	v_dual_mul_f32 v3, 0x3e800000, v3 :: v_dual_mul_f32 v4, 0x3e800000, v4
	s_and_not1_b32 s14, s14, exec_lo
; %bb.125:
	s_or_b32 exec_lo, exec_lo, s1
	s_delay_alu instid0(VALU_DEP_1) | instskip(NEXT) | instid1(VALU_DEP_2)
	v_max_f32_e64 v1, |v4|, |v4|
	v_max_f32_e64 v2, |v3|, |v3|
	s_delay_alu instid0(VALU_DEP_1) | instskip(NEXT) | instid1(VALU_DEP_1)
	v_max_f32_e32 v11, v2, v1
	v_cvt_f64_f32_e32 v[1:2], v11
	s_delay_alu instid0(VALU_DEP_1) | instskip(NEXT) | instid1(VALU_DEP_1)
	v_frexp_exp_i32_f64_e32 v1, v[1:2]
	v_sub_nc_u32_e32 v2, 0, v1
	s_delay_alu instid0(VALU_DEP_1) | instskip(SKIP_1) | instid1(VALU_DEP_2)
	v_ldexp_f32 v12, |v4|, v2
	v_ldexp_f32 v2, |v3|, v2
	v_mul_f32_e32 v12, v12, v12
	v_cmp_neq_f32_e64 s1, 0x7f800000, v11
	s_delay_alu instid0(VALU_DEP_2) | instskip(NEXT) | instid1(VALU_DEP_1)
	v_fmac_f32_e32 v12, v2, v2
	v_sqrt_f32_e32 v2, v12
	s_waitcnt_depctr 0xfff
	v_ldexp_f32 v1, v2, v1
                                        ; implicit-def: $vgpr2
	s_delay_alu instid0(VALU_DEP_1)
	v_cndmask_b32_e64 v11, 0x7f800000, v1, s1
                                        ; implicit-def: $vgpr1
	s_mov_b32 s1, exec_lo
	v_cmpx_le_f32_e32 0, v3
	s_xor_b32 s15, exec_lo, s1
	s_cbranch_execz .LBB172_127
; %bb.126:
	v_add_f32_e32 v1, v3, v11
	s_delay_alu instid0(VALU_DEP_1) | instskip(NEXT) | instid1(VALU_DEP_1)
	v_mul_f32_e32 v1, 0.5, v1
	v_mul_f32_e32 v2, 0x4f800000, v1
	v_cmp_gt_f32_e32 vcc_lo, 0xf800000, v1
	s_delay_alu instid0(VALU_DEP_2) | instskip(NEXT) | instid1(VALU_DEP_1)
	v_cndmask_b32_e32 v1, v1, v2, vcc_lo
	v_sqrt_f32_e32 v2, v1
	s_waitcnt_depctr 0xfff
	v_add_nc_u32_e32 v3, -1, v2
	v_add_nc_u32_e32 v11, 1, v2
	s_delay_alu instid0(VALU_DEP_2) | instskip(NEXT) | instid1(VALU_DEP_2)
	v_fma_f32 v12, -v3, v2, v1
	v_fma_f32 v14, -v11, v2, v1
	s_delay_alu instid0(VALU_DEP_2) | instskip(NEXT) | instid1(VALU_DEP_1)
	v_cmp_ge_f32_e64 s1, 0, v12
	v_cndmask_b32_e64 v2, v2, v3, s1
	s_delay_alu instid0(VALU_DEP_3) | instskip(NEXT) | instid1(VALU_DEP_1)
	v_cmp_lt_f32_e64 s1, 0, v14
	v_cndmask_b32_e64 v2, v2, v11, s1
	s_delay_alu instid0(VALU_DEP_1) | instskip(NEXT) | instid1(VALU_DEP_1)
	v_mul_f32_e32 v3, 0x37800000, v2
	v_cndmask_b32_e32 v2, v2, v3, vcc_lo
	v_cmp_class_f32_e64 vcc_lo, v1, 0x260
	s_delay_alu instid0(VALU_DEP_2) | instskip(NEXT) | instid1(VALU_DEP_1)
	v_cndmask_b32_e32 v1, v2, v1, vcc_lo
	v_add_f32_e32 v2, v1, v1
	s_delay_alu instid0(VALU_DEP_1) | instskip(NEXT) | instid1(VALU_DEP_1)
	v_div_scale_f32 v3, null, v2, v2, v4
	v_rcp_f32_e32 v11, v3
	s_waitcnt_depctr 0xfff
	v_fma_f32 v12, -v3, v11, 1.0
	s_delay_alu instid0(VALU_DEP_1) | instskip(SKIP_1) | instid1(VALU_DEP_1)
	v_fmac_f32_e32 v11, v12, v11
	v_div_scale_f32 v12, vcc_lo, v4, v2, v4
	v_mul_f32_e32 v14, v12, v11
	s_delay_alu instid0(VALU_DEP_1) | instskip(NEXT) | instid1(VALU_DEP_1)
	v_fma_f32 v15, -v3, v14, v12
	v_fmac_f32_e32 v14, v15, v11
	s_delay_alu instid0(VALU_DEP_1) | instskip(NEXT) | instid1(VALU_DEP_1)
	v_fma_f32 v3, -v3, v14, v12
	v_div_fmas_f32 v3, v3, v11, v14
                                        ; implicit-def: $vgpr11
	s_delay_alu instid0(VALU_DEP_1)
	v_div_fixup_f32 v2, v3, v2, v4
                                        ; implicit-def: $vgpr3
	s_and_not1_saveexec_b32 s15, s15
	s_cbranch_execz .LBB172_129
	s_branch .LBB172_128
.LBB172_127:
	s_and_not1_saveexec_b32 s15, s15
	s_cbranch_execz .LBB172_129
.LBB172_128:
	v_sub_f32_e32 v1, v11, v3
	s_delay_alu instid0(VALU_DEP_1) | instskip(NEXT) | instid1(VALU_DEP_1)
	v_mul_f32_e32 v1, 0.5, v1
	v_mul_f32_e32 v2, 0x4f800000, v1
	v_cmp_gt_f32_e32 vcc_lo, 0xf800000, v1
	s_delay_alu instid0(VALU_DEP_2) | instskip(NEXT) | instid1(VALU_DEP_1)
	v_cndmask_b32_e32 v1, v1, v2, vcc_lo
	v_sqrt_f32_e32 v2, v1
	s_waitcnt_depctr 0xfff
	v_add_nc_u32_e32 v3, -1, v2
	v_add_nc_u32_e32 v11, 1, v2
	s_delay_alu instid0(VALU_DEP_2) | instskip(NEXT) | instid1(VALU_DEP_2)
	v_fma_f32 v12, -v3, v2, v1
	v_fma_f32 v14, -v11, v2, v1
	s_delay_alu instid0(VALU_DEP_2) | instskip(NEXT) | instid1(VALU_DEP_1)
	v_cmp_ge_f32_e64 s1, 0, v12
	v_cndmask_b32_e64 v2, v2, v3, s1
	s_delay_alu instid0(VALU_DEP_3) | instskip(NEXT) | instid1(VALU_DEP_1)
	v_cmp_lt_f32_e64 s1, 0, v14
	v_cndmask_b32_e64 v2, v2, v11, s1
	s_delay_alu instid0(VALU_DEP_1) | instskip(NEXT) | instid1(VALU_DEP_1)
	v_mul_f32_e32 v3, 0x37800000, v2
	v_cndmask_b32_e32 v2, v2, v3, vcc_lo
	v_cmp_class_f32_e64 vcc_lo, v1, 0x260
	s_delay_alu instid0(VALU_DEP_2) | instskip(NEXT) | instid1(VALU_DEP_1)
	v_dual_cndmask_b32 v2, v2, v1 :: v_dual_and_b32 v1, 0x7fffffff, v4
	v_add_f32_e32 v3, v2, v2
	v_bfi_b32 v2, 0x7fffffff, v2, v4
	s_delay_alu instid0(VALU_DEP_2) | instskip(SKIP_1) | instid1(VALU_DEP_2)
	v_div_scale_f32 v11, null, v3, v3, v1
	v_div_scale_f32 v1, vcc_lo, v1, v3, v1
	v_rcp_f32_e32 v12, v11
	s_waitcnt_depctr 0xfff
	v_fma_f32 v14, -v11, v12, 1.0
	s_delay_alu instid0(VALU_DEP_1) | instskip(NEXT) | instid1(VALU_DEP_1)
	v_fmac_f32_e32 v12, v14, v12
	v_mul_f32_e32 v14, v1, v12
	s_delay_alu instid0(VALU_DEP_1) | instskip(NEXT) | instid1(VALU_DEP_1)
	v_fma_f32 v15, -v11, v14, v1
	v_fmac_f32_e32 v14, v15, v12
	s_delay_alu instid0(VALU_DEP_1) | instskip(NEXT) | instid1(VALU_DEP_1)
	v_fma_f32 v1, -v11, v14, v1
	v_div_fmas_f32 v1, v1, v12, v14
	s_delay_alu instid0(VALU_DEP_1)
	v_div_fixup_f32 v1, v1, v3, |v4|
.LBB172_129:
	s_or_b32 exec_lo, exec_lo, s15
                                        ; implicit-def: $vgpr4
	s_and_saveexec_b32 s1, s0
	s_delay_alu instid0(SALU_CYCLE_1)
	s_xor_b32 s0, exec_lo, s1
	s_cbranch_execz .LBB172_131
; %bb.130:
	v_dual_mul_f32 v3, 0.5, v1 :: v_dual_mul_f32 v4, 0.5, v2
	s_delay_alu instid0(VALU_DEP_1) | instskip(NEXT) | instid1(VALU_DEP_2)
	v_cndmask_b32_e64 v3, v1, v3, s14
	v_cndmask_b32_e64 v4, v2, v4, s14
                                        ; implicit-def: $vgpr1
                                        ; implicit-def: $vgpr2
	s_and_not1_saveexec_b32 s0, s0
	s_cbranch_execnz .LBB172_132
	s_branch .LBB172_133
.LBB172_131:
	s_and_not1_saveexec_b32 s0, s0
.LBB172_132:
	v_dual_add_f32 v3, v1, v1 :: v_dual_add_f32 v4, v2, v2
.LBB172_133:
	s_or_b32 exec_lo, exec_lo, s0
.LBB172_134:
	s_and_not1_saveexec_b32 s0, s13
	s_cbranch_execz .LBB172_140
; %bb.135:
	s_delay_alu instid0(VALU_DEP_1)
	v_sub_f32_e32 v1, v4, v4
	s_mov_b32 s1, exec_lo
	v_cmpx_lt_i32_e32 -1, v3
	s_xor_b32 s1, exec_lo, s1
; %bb.136:
	s_delay_alu instid0(VALU_DEP_2)
	v_bfi_b32 v4, 0x7fffffff, v1, v4
                                        ; implicit-def: $vgpr1
; %bb.137:
	s_and_not1_saveexec_b32 s1, s1
; %bb.138:
	v_and_b32_e32 v1, 0x7fffffff, v1
	s_delay_alu instid0(VALU_DEP_2) | instskip(NEXT) | instid1(VALU_DEP_2)
	v_bfi_b32 v4, 0x7fffffff, v3, v4
	v_mov_b32_e32 v3, v1
; %bb.139:
	s_or_b32 exec_lo, exec_lo, s1
.LBB172_140:
	s_delay_alu instid0(SALU_CYCLE_1)
	s_or_b32 exec_lo, exec_lo, s0
.LBB172_141:
	s_and_not1_saveexec_b32 s0, s12
; %bb.142:
	v_sub_f32_e32 v1, v4, v4
	s_delay_alu instid0(VALU_DEP_1) | instskip(NEXT) | instid1(VALU_DEP_1)
	v_div_scale_f32 v2, vcc_lo, v1, v1, v1
	v_rcp_f32_e32 v4, v2
	s_waitcnt_depctr 0xfff
	v_fma_f32 v11, -v2, v4, 1.0
	s_delay_alu instid0(VALU_DEP_1) | instskip(NEXT) | instid1(VALU_DEP_1)
	v_fmac_f32_e32 v4, v11, v4
	v_mul_f32_e32 v11, v2, v4
	s_delay_alu instid0(VALU_DEP_1) | instskip(NEXT) | instid1(VALU_DEP_1)
	v_fma_f32 v12, -v2, v11, v2
	v_fmac_f32_e32 v11, v12, v4
	s_delay_alu instid0(VALU_DEP_1) | instskip(NEXT) | instid1(VALU_DEP_1)
	v_fma_f32 v2, -v2, v11, v2
	v_div_fmas_f32 v2, v2, v4, v11
	s_delay_alu instid0(VALU_DEP_1)
	v_div_fixup_f32 v4, v2, v1, v1
; %bb.143:
	s_or_b32 exec_lo, exec_lo, s0
	v_mov_b32_e32 v1, v3
.LBB172_144:
	s_or_b32 exec_lo, exec_lo, s11
.LBB172_145:
	s_delay_alu instid0(SALU_CYCLE_1) | instskip(NEXT) | instid1(VALU_DEP_1)
	s_or_b32 exec_lo, exec_lo, s9
	v_cmp_gt_f32_e32 vcc_lo, 0, v1
	s_mov_b32 s0, exec_lo
	v_cndmask_b32_e64 v2, v1, -v1, vcc_lo
	v_cmp_gt_f32_e32 vcc_lo, 0, v4
	v_cndmask_b32_e64 v3, v4, -v4, vcc_lo
	s_delay_alu instid0(VALU_DEP_1)
	v_cmpx_ge_f32_e32 v2, v3
	s_xor_b32 s1, exec_lo, s0
	s_cbranch_execz .LBB172_151
; %bb.146:
	v_cmp_neq_f32_e32 vcc_lo, 0, v1
	v_cmp_neq_f32_e64 s0, 0, v4
	s_delay_alu instid0(VALU_DEP_1) | instskip(NEXT) | instid1(SALU_CYCLE_1)
	s_or_b32 s0, vcc_lo, s0
	s_and_saveexec_b32 s9, s0
	s_delay_alu instid0(SALU_CYCLE_1)
	s_xor_b32 s0, exec_lo, s9
	s_cbranch_execz .LBB172_148
; %bb.147:
	v_div_scale_f32 v2, null, v1, v1, v4
	v_div_scale_f32 v12, vcc_lo, v4, v1, v4
	s_delay_alu instid0(VALU_DEP_2) | instskip(SKIP_2) | instid1(VALU_DEP_1)
	v_rcp_f32_e32 v3, v2
	s_waitcnt_depctr 0xfff
	v_fma_f32 v11, -v2, v3, 1.0
	v_fmac_f32_e32 v3, v11, v3
	s_delay_alu instid0(VALU_DEP_1) | instskip(NEXT) | instid1(VALU_DEP_1)
	v_mul_f32_e32 v11, v12, v3
	v_fma_f32 v14, -v2, v11, v12
	s_delay_alu instid0(VALU_DEP_1) | instskip(NEXT) | instid1(VALU_DEP_1)
	v_fmac_f32_e32 v11, v14, v3
	v_fma_f32 v2, -v2, v11, v12
	s_delay_alu instid0(VALU_DEP_1) | instskip(NEXT) | instid1(VALU_DEP_1)
	v_div_fmas_f32 v2, v2, v3, v11
	v_div_fixup_f32 v2, v2, v1, v4
	s_delay_alu instid0(VALU_DEP_1) | instskip(NEXT) | instid1(VALU_DEP_1)
	v_fmac_f32_e32 v1, v4, v2
	v_div_scale_f32 v3, null, v1, v1, 1.0
	s_delay_alu instid0(VALU_DEP_1) | instskip(SKIP_2) | instid1(VALU_DEP_1)
	v_rcp_f32_e32 v4, v3
	s_waitcnt_depctr 0xfff
	v_fma_f32 v11, -v3, v4, 1.0
	v_fmac_f32_e32 v4, v11, v4
	v_div_scale_f32 v12, vcc_lo, 1.0, v1, 1.0
	s_delay_alu instid0(VALU_DEP_1) | instskip(NEXT) | instid1(VALU_DEP_1)
	v_mul_f32_e32 v11, v12, v4
	v_fma_f32 v14, -v3, v11, v12
	s_delay_alu instid0(VALU_DEP_1) | instskip(NEXT) | instid1(VALU_DEP_1)
	v_fmac_f32_e32 v11, v14, v4
	v_fma_f32 v3, -v3, v11, v12
	s_delay_alu instid0(VALU_DEP_1) | instskip(SKIP_1) | instid1(VALU_DEP_2)
	v_div_fmas_f32 v3, v3, v4, v11
	v_fma_f32 v4, v2, 0, 1.0
	v_div_fixup_f32 v1, v3, v1, 1.0
                                        ; implicit-def: $vgpr3
	s_delay_alu instid0(VALU_DEP_1)
	v_mul_f32_e32 v11, v4, v1
	v_mul_f32_e64 v12, -v2, v1
                                        ; implicit-def: $vgpr2
.LBB172_148:
	s_and_not1_saveexec_b32 s9, s0
	s_cbranch_execz .LBB172_150
; %bb.149:
	v_div_scale_f32 v1, null, v2, v2, 1.0
	v_div_scale_f32 v4, null, v3, v3, 0
	v_div_scale_f32 v16, vcc_lo, 1.0, v2, 1.0
	s_delay_alu instid0(VALU_DEP_3) | instskip(NEXT) | instid1(VALU_DEP_2)
	v_rcp_f32_e32 v11, v1
	v_rcp_f32_e32 v12, v4
	s_waitcnt_depctr 0xfff
	v_fma_f32 v14, -v1, v11, 1.0
	v_fma_f32 v15, -v4, v12, 1.0
	s_delay_alu instid0(VALU_DEP_1) | instskip(SKIP_1) | instid1(VALU_DEP_2)
	v_dual_fmac_f32 v11, v14, v11 :: v_dual_fmac_f32 v12, v15, v12
	v_div_scale_f32 v14, s0, 0, v3, 0
	v_mul_f32_e32 v15, v16, v11
	s_delay_alu instid0(VALU_DEP_2) | instskip(NEXT) | instid1(VALU_DEP_2)
	v_mul_f32_e32 v17, v14, v12
	v_fma_f32 v18, -v1, v15, v16
	s_delay_alu instid0(VALU_DEP_2) | instskip(NEXT) | instid1(VALU_DEP_2)
	v_fma_f32 v19, -v4, v17, v14
	v_fmac_f32_e32 v15, v18, v11
	s_delay_alu instid0(VALU_DEP_2) | instskip(NEXT) | instid1(VALU_DEP_2)
	v_fmac_f32_e32 v17, v19, v12
	v_fma_f32 v1, -v1, v15, v16
	s_delay_alu instid0(VALU_DEP_2) | instskip(NEXT) | instid1(VALU_DEP_2)
	v_fma_f32 v4, -v4, v17, v14
	v_div_fmas_f32 v1, v1, v11, v15
	s_mov_b32 vcc_lo, s0
	s_delay_alu instid0(VALU_DEP_2) | instskip(NEXT) | instid1(VALU_DEP_2)
	v_div_fmas_f32 v4, v4, v12, v17
	v_div_fixup_f32 v11, v1, v2, 1.0
	s_delay_alu instid0(VALU_DEP_2)
	v_div_fixup_f32 v12, v4, v3, 0
.LBB172_150:
	s_or_b32 exec_lo, exec_lo, s9
                                        ; implicit-def: $vgpr4
                                        ; implicit-def: $vgpr1
.LBB172_151:
	s_and_not1_saveexec_b32 s0, s1
	s_cbranch_execz .LBB172_153
; %bb.152:
	v_div_scale_f32 v2, null, v4, v4, v1
	v_div_scale_f32 v12, vcc_lo, v1, v4, v1
	s_delay_alu instid0(VALU_DEP_2) | instskip(SKIP_2) | instid1(VALU_DEP_1)
	v_rcp_f32_e32 v3, v2
	s_waitcnt_depctr 0xfff
	v_fma_f32 v11, -v2, v3, 1.0
	v_fmac_f32_e32 v3, v11, v3
	s_delay_alu instid0(VALU_DEP_1) | instskip(NEXT) | instid1(VALU_DEP_1)
	v_mul_f32_e32 v11, v12, v3
	v_fma_f32 v14, -v2, v11, v12
	s_delay_alu instid0(VALU_DEP_1) | instskip(NEXT) | instid1(VALU_DEP_1)
	v_fmac_f32_e32 v11, v14, v3
	v_fma_f32 v2, -v2, v11, v12
	s_delay_alu instid0(VALU_DEP_1) | instskip(NEXT) | instid1(VALU_DEP_1)
	v_div_fmas_f32 v2, v2, v3, v11
	v_div_fixup_f32 v2, v2, v4, v1
	s_delay_alu instid0(VALU_DEP_1) | instskip(NEXT) | instid1(VALU_DEP_1)
	v_fmac_f32_e32 v4, v1, v2
	v_div_scale_f32 v1, null, v4, v4, 1.0
	v_div_scale_f32 v12, vcc_lo, 1.0, v4, 1.0
	s_delay_alu instid0(VALU_DEP_2) | instskip(SKIP_2) | instid1(VALU_DEP_1)
	v_rcp_f32_e32 v3, v1
	s_waitcnt_depctr 0xfff
	v_fma_f32 v11, -v1, v3, 1.0
	v_fmac_f32_e32 v3, v11, v3
	s_delay_alu instid0(VALU_DEP_1) | instskip(NEXT) | instid1(VALU_DEP_1)
	v_mul_f32_e32 v11, v12, v3
	v_fma_f32 v14, -v1, v11, v12
	s_delay_alu instid0(VALU_DEP_1) | instskip(NEXT) | instid1(VALU_DEP_1)
	v_fmac_f32_e32 v11, v14, v3
	v_fma_f32 v1, -v1, v11, v12
	s_delay_alu instid0(VALU_DEP_1) | instskip(SKIP_2) | instid1(VALU_DEP_3)
	v_div_fmas_f32 v1, v1, v3, v11
	v_add_f32_e32 v3, 0, v2
	v_fma_f32 v2, v2, 0, -1.0
	v_div_fixup_f32 v1, v1, v4, 1.0
	s_delay_alu instid0(VALU_DEP_1) | instskip(NEXT) | instid1(VALU_DEP_4)
	v_mul_f32_e32 v12, v2, v1
	v_mul_f32_e32 v11, v3, v1
.LBB172_153:
	s_or_b32 exec_lo, exec_lo, s0
	s_add_u32 s2, s4, s2
	s_addc_u32 s3, s5, s3
	s_mov_b32 s0, 0
	s_clause 0x1
	global_store_b128 v13, v[5:8], s[2:3]
	global_store_b128 v13, v[9:12], s[2:3] offset:16
.LBB172_154:
	s_and_b32 vcc_lo, exec_lo, s0
	s_cbranch_vccz .LBB172_331
; %bb.155:
	v_cmp_gt_i32_e64 s0, s10, v0
	v_dual_mov_b32 v11, 0 :: v_dual_mov_b32 v8, 0
	v_or_b32_e32 v1, s8, v0
	v_or_b32_e32 v12, 0x100, v0
	v_dual_mov_b32 v9, 0 :: v_dual_mov_b32 v4, v0
	s_and_saveexec_b32 s1, s0
	s_cbranch_execz .LBB172_157
; %bb.156:
	v_mov_b32_e32 v2, 0
	v_or_b32_e32 v4, 0x100, v0
	s_delay_alu instid0(VALU_DEP_2) | instskip(NEXT) | instid1(VALU_DEP_1)
	v_lshlrev_b64 v[2:3], 3, v[1:2]
	v_add_co_u32 v2, vcc_lo, s6, v2
	s_delay_alu instid0(VALU_DEP_2)
	v_add_co_ci_u32_e32 v3, vcc_lo, s7, v3, vcc_lo
	global_load_b64 v[8:9], v[2:3], off
.LBB172_157:
	s_or_b32 exec_lo, exec_lo, s1
	v_mov_b32_e32 v10, 0
	s_mov_b32 s1, exec_lo
	v_cmpx_gt_i32_e64 s10, v4
	s_cbranch_execz .LBB172_159
; %bb.158:
	v_dual_mov_b32 v3, 0 :: v_dual_add_nc_u32 v2, s8, v4
	v_add_nc_u32_e32 v4, 0x100, v4
	s_delay_alu instid0(VALU_DEP_2) | instskip(NEXT) | instid1(VALU_DEP_1)
	v_lshlrev_b64 v[2:3], 3, v[2:3]
	v_add_co_u32 v2, vcc_lo, s6, v2
	s_delay_alu instid0(VALU_DEP_2)
	v_add_co_ci_u32_e32 v3, vcc_lo, s7, v3, vcc_lo
	global_load_b64 v[10:11], v[2:3], off
.LBB172_159:
	s_or_b32 exec_lo, exec_lo, s1
	v_dual_mov_b32 v3, 0 :: v_dual_mov_b32 v6, 0
	v_mov_b32_e32 v7, 0
	s_mov_b32 s1, exec_lo
	v_cmpx_gt_i32_e64 s10, v4
	s_cbranch_execz .LBB172_161
; %bb.160:
	v_dual_mov_b32 v6, 0 :: v_dual_add_nc_u32 v5, s8, v4
	v_add_nc_u32_e32 v4, 0x100, v4
	s_delay_alu instid0(VALU_DEP_2) | instskip(NEXT) | instid1(VALU_DEP_1)
	v_lshlrev_b64 v[5:6], 3, v[5:6]
	v_add_co_u32 v5, vcc_lo, s6, v5
	s_delay_alu instid0(VALU_DEP_2)
	v_add_co_ci_u32_e32 v6, vcc_lo, s7, v6, vcc_lo
	global_load_b64 v[6:7], v[5:6], off
.LBB172_161:
	s_or_b32 exec_lo, exec_lo, s1
	v_mov_b32_e32 v2, 0
	s_mov_b32 s1, exec_lo
	v_cmpx_gt_i32_e64 s10, v4
	s_cbranch_execz .LBB172_163
; %bb.162:
	v_dual_mov_b32 v3, 0 :: v_dual_add_nc_u32 v2, s8, v4
	s_delay_alu instid0(VALU_DEP_1) | instskip(NEXT) | instid1(VALU_DEP_1)
	v_lshlrev_b64 v[2:3], 3, v[2:3]
	v_add_co_u32 v2, vcc_lo, s6, v2
	s_delay_alu instid0(VALU_DEP_2)
	v_add_co_ci_u32_e32 v3, vcc_lo, s7, v3, vcc_lo
	global_load_b64 v[2:3], v[2:3], off
.LBB172_163:
	s_or_b32 exec_lo, exec_lo, s1
	v_dual_mov_b32 v4, 0 :: v_dual_mov_b32 v5, 0
	s_and_saveexec_b32 s3, s0
	s_cbranch_execz .LBB172_203
; %bb.164:
	s_waitcnt vmcnt(0)
	v_cmp_neq_f32_e32 vcc_lo, 0, v8
	v_cmp_neq_f32_e64 s1, 0, v9
	v_mov_b32_e32 v13, 0
	s_delay_alu instid0(VALU_DEP_2) | instskip(NEXT) | instid1(SALU_CYCLE_1)
	s_or_b32 s1, vcc_lo, s1
	s_and_saveexec_b32 s6, s1
	s_cbranch_execz .LBB172_194
; %bb.165:
	v_mov_b32_e32 v13, 0x7f800000
	s_mov_b32 s7, exec_lo
	v_cmpx_neq_f32_e64 0x7f800000, |v9|
	s_cbranch_execz .LBB172_193
; %bb.166:
	s_mov_b32 s1, exec_lo
	v_cmpx_o_f32_e32 v8, v8
	s_xor_b32 s9, exec_lo, s1
	s_cbranch_execz .LBB172_190
; %bb.167:
	s_mov_b32 s2, exec_lo
	v_cmpx_neq_f32_e64 0x7f800000, |v8|
	s_xor_b32 s11, exec_lo, s2
	s_cbranch_execz .LBB172_183
; %bb.168:
	v_max_f32_e64 v4, |v8|, |v8|
	v_max_f32_e64 v5, |v9|, |v9|
                                        ; implicit-def: $sgpr12
	s_delay_alu instid0(VALU_DEP_1) | instskip(NEXT) | instid1(VALU_DEP_1)
	v_max_f32_e32 v4, v5, v4
	v_cmp_nle_f32_e64 s1, 0x7ed413cb, v4
	s_delay_alu instid0(VALU_DEP_1) | instskip(NEXT) | instid1(SALU_CYCLE_1)
	s_and_saveexec_b32 s2, s1
	s_xor_b32 s2, exec_lo, s2
	s_cbranch_execz .LBB172_172
; %bb.169:
	v_cmp_ge_f32_e64 s12, 0x1000000, |v8|
	v_cmp_ge_f32_e64 s13, 0x1000000, |v9|
	s_delay_alu instid0(VALU_DEP_1)
	s_and_b32 s14, s13, s12
	s_mov_b32 s12, 0
	s_and_saveexec_b32 s13, s14
; %bb.170:
	v_dual_mul_f32 v8, 4.0, v8 :: v_dual_mul_f32 v9, 4.0, v9
	s_mov_b32 s12, exec_lo
; %bb.171:
	s_or_b32 exec_lo, exec_lo, s13
	s_delay_alu instid0(SALU_CYCLE_1)
	s_and_b32 s12, s12, exec_lo
.LBB172_172:
	s_and_not1_saveexec_b32 s2, s2
; %bb.173:
	v_dual_mul_f32 v8, 0x3e800000, v8 :: v_dual_mul_f32 v9, 0x3e800000, v9
	s_and_not1_b32 s12, s12, exec_lo
; %bb.174:
	s_or_b32 exec_lo, exec_lo, s2
	s_delay_alu instid0(VALU_DEP_1) | instskip(NEXT) | instid1(VALU_DEP_2)
	v_max_f32_e64 v4, |v9|, |v9|
	v_max_f32_e64 v5, |v8|, |v8|
	s_delay_alu instid0(VALU_DEP_1) | instskip(NEXT) | instid1(VALU_DEP_1)
	v_max_f32_e32 v13, v5, v4
	v_cvt_f64_f32_e32 v[4:5], v13
	s_delay_alu instid0(VALU_DEP_1) | instskip(NEXT) | instid1(VALU_DEP_1)
	v_frexp_exp_i32_f64_e32 v4, v[4:5]
	v_sub_nc_u32_e32 v5, 0, v4
	s_delay_alu instid0(VALU_DEP_1) | instskip(SKIP_1) | instid1(VALU_DEP_2)
	v_ldexp_f32 v14, |v9|, v5
	v_ldexp_f32 v5, |v8|, v5
	v_mul_f32_e32 v14, v14, v14
	v_cmp_neq_f32_e64 s2, 0x7f800000, v13
	s_delay_alu instid0(VALU_DEP_2) | instskip(NEXT) | instid1(VALU_DEP_1)
	v_fmac_f32_e32 v14, v5, v5
	v_sqrt_f32_e32 v5, v14
	s_waitcnt_depctr 0xfff
	v_ldexp_f32 v4, v5, v4
                                        ; implicit-def: $vgpr5
	s_delay_alu instid0(VALU_DEP_1)
	v_cndmask_b32_e64 v13, 0x7f800000, v4, s2
                                        ; implicit-def: $vgpr4
	s_mov_b32 s2, exec_lo
	v_cmpx_le_f32_e32 0, v8
	s_xor_b32 s13, exec_lo, s2
	s_cbranch_execz .LBB172_176
; %bb.175:
	v_add_f32_e32 v4, v8, v13
	s_delay_alu instid0(VALU_DEP_1) | instskip(NEXT) | instid1(VALU_DEP_1)
	v_mul_f32_e32 v4, 0.5, v4
	v_mul_f32_e32 v5, 0x4f800000, v4
	v_cmp_gt_f32_e32 vcc_lo, 0xf800000, v4
	s_delay_alu instid0(VALU_DEP_2) | instskip(NEXT) | instid1(VALU_DEP_1)
	v_cndmask_b32_e32 v4, v4, v5, vcc_lo
	v_sqrt_f32_e32 v5, v4
	s_waitcnt_depctr 0xfff
	v_add_nc_u32_e32 v13, 1, v5
	v_add_nc_u32_e32 v8, -1, v5
	s_delay_alu instid0(VALU_DEP_2) | instskip(NEXT) | instid1(VALU_DEP_2)
	v_fma_f32 v15, -v13, v5, v4
	v_fma_f32 v14, -v8, v5, v4
	s_delay_alu instid0(VALU_DEP_1) | instskip(NEXT) | instid1(VALU_DEP_1)
	v_cmp_ge_f32_e64 s2, 0, v14
	v_cndmask_b32_e64 v5, v5, v8, s2
	s_delay_alu instid0(VALU_DEP_4) | instskip(NEXT) | instid1(VALU_DEP_1)
	v_cmp_lt_f32_e64 s2, 0, v15
	v_cndmask_b32_e64 v5, v5, v13, s2
	s_delay_alu instid0(VALU_DEP_1) | instskip(NEXT) | instid1(VALU_DEP_1)
	v_mul_f32_e32 v8, 0x37800000, v5
	v_cndmask_b32_e32 v5, v5, v8, vcc_lo
	v_cmp_class_f32_e64 vcc_lo, v4, 0x260
	s_delay_alu instid0(VALU_DEP_2) | instskip(NEXT) | instid1(VALU_DEP_1)
	v_cndmask_b32_e32 v4, v5, v4, vcc_lo
	v_add_f32_e32 v5, v4, v4
	s_delay_alu instid0(VALU_DEP_1) | instskip(NEXT) | instid1(VALU_DEP_1)
	v_div_scale_f32 v8, null, v5, v5, v9
	v_rcp_f32_e32 v13, v8
	s_waitcnt_depctr 0xfff
	v_fma_f32 v14, -v8, v13, 1.0
	s_delay_alu instid0(VALU_DEP_1) | instskip(SKIP_1) | instid1(VALU_DEP_1)
	v_fmac_f32_e32 v13, v14, v13
	v_div_scale_f32 v14, vcc_lo, v9, v5, v9
	v_mul_f32_e32 v15, v14, v13
	s_delay_alu instid0(VALU_DEP_1) | instskip(NEXT) | instid1(VALU_DEP_1)
	v_fma_f32 v16, -v8, v15, v14
	v_fmac_f32_e32 v15, v16, v13
	s_delay_alu instid0(VALU_DEP_1) | instskip(NEXT) | instid1(VALU_DEP_1)
	v_fma_f32 v8, -v8, v15, v14
	v_div_fmas_f32 v8, v8, v13, v15
                                        ; implicit-def: $vgpr13
	s_delay_alu instid0(VALU_DEP_1)
	v_div_fixup_f32 v5, v8, v5, v9
                                        ; implicit-def: $vgpr8
	s_and_not1_saveexec_b32 s13, s13
	s_cbranch_execz .LBB172_178
	s_branch .LBB172_177
.LBB172_176:
	s_and_not1_saveexec_b32 s13, s13
	s_cbranch_execz .LBB172_178
.LBB172_177:
	v_sub_f32_e32 v4, v13, v8
	s_delay_alu instid0(VALU_DEP_1) | instskip(NEXT) | instid1(VALU_DEP_1)
	v_mul_f32_e32 v4, 0.5, v4
	v_mul_f32_e32 v5, 0x4f800000, v4
	v_cmp_gt_f32_e32 vcc_lo, 0xf800000, v4
	s_delay_alu instid0(VALU_DEP_2) | instskip(NEXT) | instid1(VALU_DEP_1)
	v_cndmask_b32_e32 v4, v4, v5, vcc_lo
	v_sqrt_f32_e32 v5, v4
	s_waitcnt_depctr 0xfff
	v_add_nc_u32_e32 v8, -1, v5
	v_add_nc_u32_e32 v13, 1, v5
	s_delay_alu instid0(VALU_DEP_2) | instskip(NEXT) | instid1(VALU_DEP_2)
	v_fma_f32 v14, -v8, v5, v4
	v_fma_f32 v15, -v13, v5, v4
	s_delay_alu instid0(VALU_DEP_2) | instskip(NEXT) | instid1(VALU_DEP_1)
	v_cmp_ge_f32_e64 s2, 0, v14
	v_cndmask_b32_e64 v5, v5, v8, s2
	s_delay_alu instid0(VALU_DEP_3) | instskip(NEXT) | instid1(VALU_DEP_1)
	v_cmp_lt_f32_e64 s2, 0, v15
	v_cndmask_b32_e64 v5, v5, v13, s2
	s_delay_alu instid0(VALU_DEP_1) | instskip(NEXT) | instid1(VALU_DEP_1)
	v_mul_f32_e32 v8, 0x37800000, v5
	v_cndmask_b32_e32 v5, v5, v8, vcc_lo
	v_cmp_class_f32_e64 vcc_lo, v4, 0x260
	s_delay_alu instid0(VALU_DEP_2) | instskip(NEXT) | instid1(VALU_DEP_1)
	v_dual_cndmask_b32 v5, v5, v4 :: v_dual_and_b32 v4, 0x7fffffff, v9
	v_add_f32_e32 v8, v5, v5
	v_bfi_b32 v5, 0x7fffffff, v5, v9
	s_delay_alu instid0(VALU_DEP_2) | instskip(SKIP_1) | instid1(VALU_DEP_2)
	v_div_scale_f32 v13, null, v8, v8, v4
	v_div_scale_f32 v4, vcc_lo, v4, v8, v4
	v_rcp_f32_e32 v14, v13
	s_waitcnt_depctr 0xfff
	v_fma_f32 v15, -v13, v14, 1.0
	s_delay_alu instid0(VALU_DEP_1) | instskip(NEXT) | instid1(VALU_DEP_1)
	v_fmac_f32_e32 v14, v15, v14
	v_mul_f32_e32 v15, v4, v14
	s_delay_alu instid0(VALU_DEP_1) | instskip(NEXT) | instid1(VALU_DEP_1)
	v_fma_f32 v16, -v13, v15, v4
	v_fmac_f32_e32 v15, v16, v14
	s_delay_alu instid0(VALU_DEP_1) | instskip(NEXT) | instid1(VALU_DEP_1)
	v_fma_f32 v4, -v13, v15, v4
	v_div_fmas_f32 v4, v4, v14, v15
	s_delay_alu instid0(VALU_DEP_1)
	v_div_fixup_f32 v4, v4, v8, |v9|
.LBB172_178:
	s_or_b32 exec_lo, exec_lo, s13
                                        ; implicit-def: $vgpr9
	s_and_saveexec_b32 s2, s1
	s_delay_alu instid0(SALU_CYCLE_1)
	s_xor_b32 s1, exec_lo, s2
	s_cbranch_execz .LBB172_180
; %bb.179:
	v_dual_mul_f32 v8, 0.5, v4 :: v_dual_mul_f32 v9, 0.5, v5
	s_delay_alu instid0(VALU_DEP_1) | instskip(NEXT) | instid1(VALU_DEP_2)
	v_cndmask_b32_e64 v8, v4, v8, s12
	v_cndmask_b32_e64 v9, v5, v9, s12
                                        ; implicit-def: $vgpr4
                                        ; implicit-def: $vgpr5
	s_and_not1_saveexec_b32 s1, s1
	s_cbranch_execnz .LBB172_181
	s_branch .LBB172_182
.LBB172_180:
	s_and_not1_saveexec_b32 s1, s1
.LBB172_181:
	v_dual_add_f32 v8, v4, v4 :: v_dual_add_f32 v9, v5, v5
.LBB172_182:
	s_or_b32 exec_lo, exec_lo, s1
.LBB172_183:
	s_and_not1_saveexec_b32 s1, s11
	s_cbranch_execz .LBB172_189
; %bb.184:
	s_delay_alu instid0(VALU_DEP_1)
	v_sub_f32_e32 v4, v9, v9
	s_mov_b32 s2, exec_lo
	v_cmpx_lt_i32_e32 -1, v8
	s_xor_b32 s2, exec_lo, s2
; %bb.185:
	s_delay_alu instid0(VALU_DEP_2)
	v_bfi_b32 v9, 0x7fffffff, v4, v9
                                        ; implicit-def: $vgpr4
; %bb.186:
	s_and_not1_saveexec_b32 s2, s2
; %bb.187:
	v_and_b32_e32 v4, 0x7fffffff, v4
	s_delay_alu instid0(VALU_DEP_2) | instskip(NEXT) | instid1(VALU_DEP_2)
	v_bfi_b32 v9, 0x7fffffff, v8, v9
	v_mov_b32_e32 v8, v4
; %bb.188:
	s_or_b32 exec_lo, exec_lo, s2
.LBB172_189:
	s_delay_alu instid0(SALU_CYCLE_1)
	s_or_b32 exec_lo, exec_lo, s1
.LBB172_190:
	s_and_not1_saveexec_b32 s1, s9
; %bb.191:
	v_sub_f32_e32 v4, v9, v9
	s_delay_alu instid0(VALU_DEP_1) | instskip(NEXT) | instid1(VALU_DEP_1)
	v_div_scale_f32 v5, vcc_lo, v4, v4, v4
	v_rcp_f32_e32 v9, v5
	s_waitcnt_depctr 0xfff
	v_fma_f32 v13, -v5, v9, 1.0
	s_delay_alu instid0(VALU_DEP_1) | instskip(NEXT) | instid1(VALU_DEP_1)
	v_fmac_f32_e32 v9, v13, v9
	v_mul_f32_e32 v13, v5, v9
	s_delay_alu instid0(VALU_DEP_1) | instskip(NEXT) | instid1(VALU_DEP_1)
	v_fma_f32 v14, -v5, v13, v5
	v_fmac_f32_e32 v13, v14, v9
	s_delay_alu instid0(VALU_DEP_1) | instskip(NEXT) | instid1(VALU_DEP_1)
	v_fma_f32 v5, -v5, v13, v5
	v_div_fmas_f32 v5, v5, v9, v13
	s_delay_alu instid0(VALU_DEP_1)
	v_div_fixup_f32 v9, v5, v4, v4
; %bb.192:
	s_or_b32 exec_lo, exec_lo, s1
	v_mov_b32_e32 v13, v8
.LBB172_193:
	s_or_b32 exec_lo, exec_lo, s7
.LBB172_194:
	s_delay_alu instid0(SALU_CYCLE_1) | instskip(NEXT) | instid1(VALU_DEP_1)
	s_or_b32 exec_lo, exec_lo, s6
	v_cmp_gt_f32_e32 vcc_lo, 0, v13
                                        ; implicit-def: $vgpr4
	s_mov_b32 s1, exec_lo
	v_cndmask_b32_e64 v8, v13, -v13, vcc_lo
	v_cmp_gt_f32_e32 vcc_lo, 0, v9
	v_cndmask_b32_e64 v14, v9, -v9, vcc_lo
	s_delay_alu instid0(VALU_DEP_1)
	v_cmpx_ge_f32_e32 v8, v14
	s_xor_b32 s2, exec_lo, s1
	s_cbranch_execz .LBB172_200
; %bb.195:
	v_cmp_neq_f32_e32 vcc_lo, 0, v13
	v_cmp_neq_f32_e64 s1, 0, v9
                                        ; implicit-def: $vgpr4
	s_delay_alu instid0(VALU_DEP_1) | instskip(NEXT) | instid1(SALU_CYCLE_1)
	s_or_b32 s1, vcc_lo, s1
	s_and_saveexec_b32 s6, s1
	s_delay_alu instid0(SALU_CYCLE_1)
	s_xor_b32 s1, exec_lo, s6
	s_cbranch_execz .LBB172_197
; %bb.196:
	v_div_scale_f32 v4, null, v13, v13, v9
	v_div_scale_f32 v14, vcc_lo, v9, v13, v9
	s_delay_alu instid0(VALU_DEP_2) | instskip(SKIP_2) | instid1(VALU_DEP_1)
	v_rcp_f32_e32 v5, v4
	s_waitcnt_depctr 0xfff
	v_fma_f32 v8, -v4, v5, 1.0
	v_fmac_f32_e32 v5, v8, v5
	s_delay_alu instid0(VALU_DEP_1) | instskip(NEXT) | instid1(VALU_DEP_1)
	v_mul_f32_e32 v8, v14, v5
	v_fma_f32 v15, -v4, v8, v14
	s_delay_alu instid0(VALU_DEP_1) | instskip(NEXT) | instid1(VALU_DEP_1)
	v_fmac_f32_e32 v8, v15, v5
	v_fma_f32 v4, -v4, v8, v14
	s_delay_alu instid0(VALU_DEP_1) | instskip(NEXT) | instid1(VALU_DEP_1)
	v_div_fmas_f32 v4, v4, v5, v8
	v_div_fixup_f32 v5, v4, v13, v9
	s_delay_alu instid0(VALU_DEP_1) | instskip(NEXT) | instid1(VALU_DEP_1)
	v_fmac_f32_e32 v13, v9, v5
	v_div_scale_f32 v4, null, v13, v13, 1.0
	v_div_scale_f32 v14, vcc_lo, 1.0, v13, 1.0
	s_delay_alu instid0(VALU_DEP_2) | instskip(SKIP_2) | instid1(VALU_DEP_1)
	v_rcp_f32_e32 v8, v4
	s_waitcnt_depctr 0xfff
	v_fma_f32 v9, -v4, v8, 1.0
	v_fmac_f32_e32 v8, v9, v8
	s_delay_alu instid0(VALU_DEP_1) | instskip(NEXT) | instid1(VALU_DEP_1)
	v_mul_f32_e32 v9, v14, v8
	v_fma_f32 v15, -v4, v9, v14
	s_delay_alu instid0(VALU_DEP_1) | instskip(NEXT) | instid1(VALU_DEP_1)
	v_fmac_f32_e32 v9, v15, v8
	v_fma_f32 v4, -v4, v9, v14
                                        ; implicit-def: $vgpr14
	s_delay_alu instid0(VALU_DEP_1) | instskip(SKIP_1) | instid1(VALU_DEP_2)
	v_div_fmas_f32 v4, v4, v8, v9
	v_fma_f32 v8, v5, 0, 1.0
	v_div_fixup_f32 v9, v4, v13, 1.0
	s_delay_alu instid0(VALU_DEP_1)
	v_mul_f32_e32 v4, v8, v9
	v_mul_f32_e64 v5, -v5, v9
                                        ; implicit-def: $vgpr8
.LBB172_197:
	s_and_not1_saveexec_b32 s6, s1
	s_cbranch_execz .LBB172_199
; %bb.198:
	v_div_scale_f32 v4, null, v8, v8, 1.0
	v_div_scale_f32 v5, null, v14, v14, 0
	v_div_scale_f32 v17, vcc_lo, 1.0, v8, 1.0
	s_delay_alu instid0(VALU_DEP_3) | instskip(NEXT) | instid1(VALU_DEP_2)
	v_rcp_f32_e32 v9, v4
	v_rcp_f32_e32 v13, v5
	s_waitcnt_depctr 0xfff
	v_fma_f32 v15, -v4, v9, 1.0
	v_fma_f32 v16, -v5, v13, 1.0
	s_delay_alu instid0(VALU_DEP_2) | instskip(SKIP_1) | instid1(VALU_DEP_3)
	v_fmac_f32_e32 v9, v15, v9
	v_div_scale_f32 v15, s1, 0, v14, 0
	v_fmac_f32_e32 v13, v16, v13
	s_delay_alu instid0(VALU_DEP_3) | instskip(NEXT) | instid1(VALU_DEP_2)
	v_mul_f32_e32 v16, v17, v9
	v_mul_f32_e32 v18, v15, v13
	s_delay_alu instid0(VALU_DEP_2) | instskip(NEXT) | instid1(VALU_DEP_2)
	v_fma_f32 v19, -v4, v16, v17
	v_fma_f32 v20, -v5, v18, v15
	s_delay_alu instid0(VALU_DEP_2) | instskip(NEXT) | instid1(VALU_DEP_2)
	v_fmac_f32_e32 v16, v19, v9
	v_fmac_f32_e32 v18, v20, v13
	s_delay_alu instid0(VALU_DEP_2) | instskip(NEXT) | instid1(VALU_DEP_2)
	v_fma_f32 v4, -v4, v16, v17
	v_fma_f32 v5, -v5, v18, v15
	s_delay_alu instid0(VALU_DEP_2) | instskip(SKIP_1) | instid1(VALU_DEP_2)
	v_div_fmas_f32 v4, v4, v9, v16
	s_mov_b32 vcc_lo, s1
	v_div_fmas_f32 v5, v5, v13, v18
	s_delay_alu instid0(VALU_DEP_2) | instskip(NEXT) | instid1(VALU_DEP_2)
	v_div_fixup_f32 v4, v4, v8, 1.0
	v_div_fixup_f32 v5, v5, v14, 0
.LBB172_199:
	s_or_b32 exec_lo, exec_lo, s6
                                        ; implicit-def: $vgpr9
                                        ; implicit-def: $vgpr13
.LBB172_200:
	s_and_not1_saveexec_b32 s1, s2
	s_cbranch_execz .LBB172_202
; %bb.201:
	v_div_scale_f32 v4, null, v9, v9, v13
	v_div_scale_f32 v14, vcc_lo, v13, v9, v13
	s_delay_alu instid0(VALU_DEP_2) | instskip(SKIP_2) | instid1(VALU_DEP_1)
	v_rcp_f32_e32 v5, v4
	s_waitcnt_depctr 0xfff
	v_fma_f32 v8, -v4, v5, 1.0
	v_fmac_f32_e32 v5, v8, v5
	s_delay_alu instid0(VALU_DEP_1) | instskip(NEXT) | instid1(VALU_DEP_1)
	v_mul_f32_e32 v8, v14, v5
	v_fma_f32 v15, -v4, v8, v14
	s_delay_alu instid0(VALU_DEP_1) | instskip(NEXT) | instid1(VALU_DEP_1)
	v_fmac_f32_e32 v8, v15, v5
	v_fma_f32 v4, -v4, v8, v14
	s_delay_alu instid0(VALU_DEP_1) | instskip(NEXT) | instid1(VALU_DEP_1)
	v_div_fmas_f32 v4, v4, v5, v8
	v_div_fixup_f32 v4, v4, v9, v13
	s_delay_alu instid0(VALU_DEP_1) | instskip(NEXT) | instid1(VALU_DEP_1)
	v_fmac_f32_e32 v9, v13, v4
	v_div_scale_f32 v5, null, v9, v9, 1.0
	v_div_scale_f32 v14, vcc_lo, 1.0, v9, 1.0
	s_delay_alu instid0(VALU_DEP_2) | instskip(SKIP_2) | instid1(VALU_DEP_1)
	v_rcp_f32_e32 v8, v5
	s_waitcnt_depctr 0xfff
	v_fma_f32 v13, -v5, v8, 1.0
	v_fmac_f32_e32 v8, v13, v8
	s_delay_alu instid0(VALU_DEP_1) | instskip(NEXT) | instid1(VALU_DEP_1)
	v_mul_f32_e32 v13, v14, v8
	v_fma_f32 v15, -v5, v13, v14
	s_delay_alu instid0(VALU_DEP_1) | instskip(NEXT) | instid1(VALU_DEP_1)
	v_fmac_f32_e32 v13, v15, v8
	v_fma_f32 v5, -v5, v13, v14
	s_delay_alu instid0(VALU_DEP_1) | instskip(NEXT) | instid1(VALU_DEP_1)
	v_div_fmas_f32 v5, v5, v8, v13
	v_div_fixup_f32 v5, v5, v9, 1.0
	v_fma_f32 v9, v4, 0, -1.0
	v_add_f32_e32 v8, 0, v4
	s_delay_alu instid0(VALU_DEP_1) | instskip(NEXT) | instid1(VALU_DEP_3)
	v_mul_f32_e32 v4, v8, v5
	v_mul_f32_e32 v5, v9, v5
.LBB172_202:
	s_or_b32 exec_lo, exec_lo, s1
.LBB172_203:
	s_delay_alu instid0(SALU_CYCLE_1)
	s_or_b32 exec_lo, exec_lo, s3
	s_waitcnt vmcnt(0)
	v_dual_mov_b32 v8, 0 :: v_dual_mov_b32 v9, 0
	s_mov_b32 s3, exec_lo
	v_cmpx_gt_i32_e64 s10, v12
	s_cbranch_execz .LBB172_243
; %bb.204:
	v_cmp_neq_f32_e32 vcc_lo, 0, v10
	v_cmp_neq_f32_e64 s1, 0, v11
	v_mov_b32_e32 v13, 0
	s_delay_alu instid0(VALU_DEP_2) | instskip(NEXT) | instid1(SALU_CYCLE_1)
	s_or_b32 s1, vcc_lo, s1
	s_and_saveexec_b32 s6, s1
	s_cbranch_execz .LBB172_234
; %bb.205:
	v_mov_b32_e32 v13, 0x7f800000
	s_mov_b32 s7, exec_lo
	v_cmpx_neq_f32_e64 0x7f800000, |v11|
	s_cbranch_execz .LBB172_233
; %bb.206:
	s_mov_b32 s1, exec_lo
	v_cmpx_o_f32_e32 v10, v10
	s_xor_b32 s9, exec_lo, s1
	s_cbranch_execz .LBB172_230
; %bb.207:
	s_mov_b32 s2, exec_lo
	v_cmpx_neq_f32_e64 0x7f800000, |v10|
	s_xor_b32 s11, exec_lo, s2
	s_cbranch_execz .LBB172_223
; %bb.208:
	v_max_f32_e64 v8, |v10|, |v10|
	v_max_f32_e64 v9, |v11|, |v11|
                                        ; implicit-def: $sgpr12
	s_delay_alu instid0(VALU_DEP_1) | instskip(NEXT) | instid1(VALU_DEP_1)
	v_max_f32_e32 v8, v9, v8
	v_cmp_nle_f32_e64 s1, 0x7ed413cb, v8
	s_delay_alu instid0(VALU_DEP_1) | instskip(NEXT) | instid1(SALU_CYCLE_1)
	s_and_saveexec_b32 s2, s1
	s_xor_b32 s2, exec_lo, s2
	s_cbranch_execz .LBB172_212
; %bb.209:
	v_cmp_ge_f32_e64 s12, 0x1000000, |v10|
	v_cmp_ge_f32_e64 s13, 0x1000000, |v11|
	s_delay_alu instid0(VALU_DEP_1)
	s_and_b32 s14, s13, s12
	s_mov_b32 s12, 0
	s_and_saveexec_b32 s13, s14
; %bb.210:
	v_dual_mul_f32 v10, 4.0, v10 :: v_dual_mul_f32 v11, 4.0, v11
	s_mov_b32 s12, exec_lo
; %bb.211:
	s_or_b32 exec_lo, exec_lo, s13
	s_delay_alu instid0(SALU_CYCLE_1)
	s_and_b32 s12, s12, exec_lo
.LBB172_212:
	s_and_not1_saveexec_b32 s2, s2
; %bb.213:
	v_dual_mul_f32 v10, 0x3e800000, v10 :: v_dual_mul_f32 v11, 0x3e800000, v11
	s_and_not1_b32 s12, s12, exec_lo
; %bb.214:
	s_or_b32 exec_lo, exec_lo, s2
	s_delay_alu instid0(VALU_DEP_1) | instskip(NEXT) | instid1(VALU_DEP_2)
	v_max_f32_e64 v8, |v11|, |v11|
	v_max_f32_e64 v9, |v10|, |v10|
	s_delay_alu instid0(VALU_DEP_1) | instskip(NEXT) | instid1(VALU_DEP_1)
	v_max_f32_e32 v13, v9, v8
	v_cvt_f64_f32_e32 v[8:9], v13
	s_delay_alu instid0(VALU_DEP_1) | instskip(NEXT) | instid1(VALU_DEP_1)
	v_frexp_exp_i32_f64_e32 v8, v[8:9]
	v_sub_nc_u32_e32 v9, 0, v8
	s_delay_alu instid0(VALU_DEP_1) | instskip(SKIP_1) | instid1(VALU_DEP_2)
	v_ldexp_f32 v14, |v11|, v9
	v_ldexp_f32 v9, |v10|, v9
	v_mul_f32_e32 v14, v14, v14
	v_cmp_neq_f32_e64 s2, 0x7f800000, v13
	s_delay_alu instid0(VALU_DEP_2) | instskip(NEXT) | instid1(VALU_DEP_1)
	v_fmac_f32_e32 v14, v9, v9
	v_sqrt_f32_e32 v9, v14
	s_waitcnt_depctr 0xfff
	v_ldexp_f32 v8, v9, v8
                                        ; implicit-def: $vgpr9
	s_delay_alu instid0(VALU_DEP_1)
	v_cndmask_b32_e64 v13, 0x7f800000, v8, s2
                                        ; implicit-def: $vgpr8
	s_mov_b32 s2, exec_lo
	v_cmpx_le_f32_e32 0, v10
	s_xor_b32 s13, exec_lo, s2
	s_cbranch_execz .LBB172_216
; %bb.215:
	v_add_f32_e32 v8, v10, v13
	s_delay_alu instid0(VALU_DEP_1) | instskip(NEXT) | instid1(VALU_DEP_1)
	v_mul_f32_e32 v8, 0.5, v8
	v_mul_f32_e32 v9, 0x4f800000, v8
	v_cmp_gt_f32_e32 vcc_lo, 0xf800000, v8
	s_delay_alu instid0(VALU_DEP_2) | instskip(NEXT) | instid1(VALU_DEP_1)
	v_cndmask_b32_e32 v8, v8, v9, vcc_lo
	v_sqrt_f32_e32 v9, v8
	s_waitcnt_depctr 0xfff
	v_add_nc_u32_e32 v13, 1, v9
	v_add_nc_u32_e32 v10, -1, v9
	s_delay_alu instid0(VALU_DEP_2) | instskip(NEXT) | instid1(VALU_DEP_2)
	v_fma_f32 v15, -v13, v9, v8
	v_fma_f32 v14, -v10, v9, v8
	s_delay_alu instid0(VALU_DEP_1) | instskip(NEXT) | instid1(VALU_DEP_1)
	v_cmp_ge_f32_e64 s2, 0, v14
	v_cndmask_b32_e64 v9, v9, v10, s2
	s_delay_alu instid0(VALU_DEP_4) | instskip(NEXT) | instid1(VALU_DEP_1)
	v_cmp_lt_f32_e64 s2, 0, v15
	v_cndmask_b32_e64 v9, v9, v13, s2
	s_delay_alu instid0(VALU_DEP_1) | instskip(NEXT) | instid1(VALU_DEP_1)
	v_mul_f32_e32 v10, 0x37800000, v9
	v_cndmask_b32_e32 v9, v9, v10, vcc_lo
	v_cmp_class_f32_e64 vcc_lo, v8, 0x260
	s_delay_alu instid0(VALU_DEP_2) | instskip(NEXT) | instid1(VALU_DEP_1)
	v_cndmask_b32_e32 v8, v9, v8, vcc_lo
	v_add_f32_e32 v9, v8, v8
	s_delay_alu instid0(VALU_DEP_1) | instskip(NEXT) | instid1(VALU_DEP_1)
	v_div_scale_f32 v10, null, v9, v9, v11
	v_rcp_f32_e32 v13, v10
	s_waitcnt_depctr 0xfff
	v_fma_f32 v14, -v10, v13, 1.0
	s_delay_alu instid0(VALU_DEP_1) | instskip(SKIP_1) | instid1(VALU_DEP_1)
	v_fmac_f32_e32 v13, v14, v13
	v_div_scale_f32 v14, vcc_lo, v11, v9, v11
	v_mul_f32_e32 v15, v14, v13
	s_delay_alu instid0(VALU_DEP_1) | instskip(NEXT) | instid1(VALU_DEP_1)
	v_fma_f32 v16, -v10, v15, v14
	v_fmac_f32_e32 v15, v16, v13
	s_delay_alu instid0(VALU_DEP_1) | instskip(NEXT) | instid1(VALU_DEP_1)
	v_fma_f32 v10, -v10, v15, v14
	v_div_fmas_f32 v10, v10, v13, v15
                                        ; implicit-def: $vgpr13
	s_delay_alu instid0(VALU_DEP_1)
	v_div_fixup_f32 v9, v10, v9, v11
                                        ; implicit-def: $vgpr10
	s_and_not1_saveexec_b32 s13, s13
	s_cbranch_execz .LBB172_218
	s_branch .LBB172_217
.LBB172_216:
	s_and_not1_saveexec_b32 s13, s13
	s_cbranch_execz .LBB172_218
.LBB172_217:
	v_sub_f32_e32 v8, v13, v10
	s_delay_alu instid0(VALU_DEP_1) | instskip(NEXT) | instid1(VALU_DEP_1)
	v_mul_f32_e32 v8, 0.5, v8
	v_mul_f32_e32 v9, 0x4f800000, v8
	v_cmp_gt_f32_e32 vcc_lo, 0xf800000, v8
	s_delay_alu instid0(VALU_DEP_2) | instskip(NEXT) | instid1(VALU_DEP_1)
	v_cndmask_b32_e32 v8, v8, v9, vcc_lo
	v_sqrt_f32_e32 v9, v8
	s_waitcnt_depctr 0xfff
	v_add_nc_u32_e32 v10, -1, v9
	v_add_nc_u32_e32 v13, 1, v9
	s_delay_alu instid0(VALU_DEP_2) | instskip(NEXT) | instid1(VALU_DEP_2)
	v_fma_f32 v14, -v10, v9, v8
	v_fma_f32 v15, -v13, v9, v8
	s_delay_alu instid0(VALU_DEP_2) | instskip(NEXT) | instid1(VALU_DEP_1)
	v_cmp_ge_f32_e64 s2, 0, v14
	v_cndmask_b32_e64 v9, v9, v10, s2
	s_delay_alu instid0(VALU_DEP_3) | instskip(NEXT) | instid1(VALU_DEP_1)
	v_cmp_lt_f32_e64 s2, 0, v15
	v_cndmask_b32_e64 v9, v9, v13, s2
	s_delay_alu instid0(VALU_DEP_1) | instskip(NEXT) | instid1(VALU_DEP_1)
	v_mul_f32_e32 v10, 0x37800000, v9
	v_cndmask_b32_e32 v9, v9, v10, vcc_lo
	v_cmp_class_f32_e64 vcc_lo, v8, 0x260
	s_delay_alu instid0(VALU_DEP_2) | instskip(NEXT) | instid1(VALU_DEP_1)
	v_dual_cndmask_b32 v9, v9, v8 :: v_dual_and_b32 v8, 0x7fffffff, v11
	v_add_f32_e32 v10, v9, v9
	v_bfi_b32 v9, 0x7fffffff, v9, v11
	s_delay_alu instid0(VALU_DEP_2) | instskip(SKIP_1) | instid1(VALU_DEP_2)
	v_div_scale_f32 v13, null, v10, v10, v8
	v_div_scale_f32 v8, vcc_lo, v8, v10, v8
	v_rcp_f32_e32 v14, v13
	s_waitcnt_depctr 0xfff
	v_fma_f32 v15, -v13, v14, 1.0
	s_delay_alu instid0(VALU_DEP_1) | instskip(NEXT) | instid1(VALU_DEP_1)
	v_fmac_f32_e32 v14, v15, v14
	v_mul_f32_e32 v15, v8, v14
	s_delay_alu instid0(VALU_DEP_1) | instskip(NEXT) | instid1(VALU_DEP_1)
	v_fma_f32 v16, -v13, v15, v8
	v_fmac_f32_e32 v15, v16, v14
	s_delay_alu instid0(VALU_DEP_1) | instskip(NEXT) | instid1(VALU_DEP_1)
	v_fma_f32 v8, -v13, v15, v8
	v_div_fmas_f32 v8, v8, v14, v15
	s_delay_alu instid0(VALU_DEP_1)
	v_div_fixup_f32 v8, v8, v10, |v11|
.LBB172_218:
	s_or_b32 exec_lo, exec_lo, s13
                                        ; implicit-def: $vgpr11
	s_and_saveexec_b32 s2, s1
	s_delay_alu instid0(SALU_CYCLE_1)
	s_xor_b32 s1, exec_lo, s2
	s_cbranch_execz .LBB172_220
; %bb.219:
	v_dual_mul_f32 v10, 0.5, v8 :: v_dual_mul_f32 v11, 0.5, v9
	s_delay_alu instid0(VALU_DEP_1) | instskip(NEXT) | instid1(VALU_DEP_2)
	v_cndmask_b32_e64 v10, v8, v10, s12
	v_cndmask_b32_e64 v11, v9, v11, s12
                                        ; implicit-def: $vgpr8
                                        ; implicit-def: $vgpr9
	s_and_not1_saveexec_b32 s1, s1
	s_cbranch_execnz .LBB172_221
	s_branch .LBB172_222
.LBB172_220:
	s_and_not1_saveexec_b32 s1, s1
.LBB172_221:
	v_dual_add_f32 v10, v8, v8 :: v_dual_add_f32 v11, v9, v9
.LBB172_222:
	s_or_b32 exec_lo, exec_lo, s1
.LBB172_223:
	s_and_not1_saveexec_b32 s1, s11
	s_cbranch_execz .LBB172_229
; %bb.224:
	s_delay_alu instid0(VALU_DEP_1)
	v_sub_f32_e32 v8, v11, v11
	s_mov_b32 s2, exec_lo
	v_cmpx_lt_i32_e32 -1, v10
	s_xor_b32 s2, exec_lo, s2
; %bb.225:
	s_delay_alu instid0(VALU_DEP_2)
	v_bfi_b32 v11, 0x7fffffff, v8, v11
                                        ; implicit-def: $vgpr8
; %bb.226:
	s_and_not1_saveexec_b32 s2, s2
; %bb.227:
	v_and_b32_e32 v8, 0x7fffffff, v8
	s_delay_alu instid0(VALU_DEP_2) | instskip(NEXT) | instid1(VALU_DEP_2)
	v_bfi_b32 v11, 0x7fffffff, v10, v11
	v_mov_b32_e32 v10, v8
; %bb.228:
	s_or_b32 exec_lo, exec_lo, s2
.LBB172_229:
	s_delay_alu instid0(SALU_CYCLE_1)
	s_or_b32 exec_lo, exec_lo, s1
.LBB172_230:
	s_and_not1_saveexec_b32 s1, s9
; %bb.231:
	v_sub_f32_e32 v8, v11, v11
	s_delay_alu instid0(VALU_DEP_1) | instskip(NEXT) | instid1(VALU_DEP_1)
	v_div_scale_f32 v9, vcc_lo, v8, v8, v8
	v_rcp_f32_e32 v11, v9
	s_waitcnt_depctr 0xfff
	v_fma_f32 v13, -v9, v11, 1.0
	s_delay_alu instid0(VALU_DEP_1) | instskip(NEXT) | instid1(VALU_DEP_1)
	v_fmac_f32_e32 v11, v13, v11
	v_mul_f32_e32 v13, v9, v11
	s_delay_alu instid0(VALU_DEP_1) | instskip(NEXT) | instid1(VALU_DEP_1)
	v_fma_f32 v14, -v9, v13, v9
	v_fmac_f32_e32 v13, v14, v11
	s_delay_alu instid0(VALU_DEP_1) | instskip(NEXT) | instid1(VALU_DEP_1)
	v_fma_f32 v9, -v9, v13, v9
	v_div_fmas_f32 v9, v9, v11, v13
	s_delay_alu instid0(VALU_DEP_1)
	v_div_fixup_f32 v11, v9, v8, v8
; %bb.232:
	s_or_b32 exec_lo, exec_lo, s1
	v_mov_b32_e32 v13, v10
.LBB172_233:
	s_or_b32 exec_lo, exec_lo, s7
.LBB172_234:
	s_delay_alu instid0(SALU_CYCLE_1) | instskip(NEXT) | instid1(VALU_DEP_1)
	s_or_b32 exec_lo, exec_lo, s6
	v_cmp_gt_f32_e32 vcc_lo, 0, v13
                                        ; implicit-def: $vgpr8
	s_mov_b32 s1, exec_lo
	v_cndmask_b32_e64 v10, v13, -v13, vcc_lo
	v_cmp_gt_f32_e32 vcc_lo, 0, v11
	v_cndmask_b32_e64 v14, v11, -v11, vcc_lo
	s_delay_alu instid0(VALU_DEP_1)
	v_cmpx_ge_f32_e32 v10, v14
	s_xor_b32 s2, exec_lo, s1
	s_cbranch_execz .LBB172_240
; %bb.235:
	v_cmp_neq_f32_e32 vcc_lo, 0, v13
	v_cmp_neq_f32_e64 s1, 0, v11
                                        ; implicit-def: $vgpr8
	s_delay_alu instid0(VALU_DEP_1) | instskip(NEXT) | instid1(SALU_CYCLE_1)
	s_or_b32 s1, vcc_lo, s1
	s_and_saveexec_b32 s6, s1
	s_delay_alu instid0(SALU_CYCLE_1)
	s_xor_b32 s1, exec_lo, s6
	s_cbranch_execz .LBB172_237
; %bb.236:
	v_div_scale_f32 v8, null, v13, v13, v11
	v_div_scale_f32 v14, vcc_lo, v11, v13, v11
	s_delay_alu instid0(VALU_DEP_2) | instskip(SKIP_2) | instid1(VALU_DEP_1)
	v_rcp_f32_e32 v9, v8
	s_waitcnt_depctr 0xfff
	v_fma_f32 v10, -v8, v9, 1.0
	v_fmac_f32_e32 v9, v10, v9
	s_delay_alu instid0(VALU_DEP_1) | instskip(NEXT) | instid1(VALU_DEP_1)
	v_mul_f32_e32 v10, v14, v9
	v_fma_f32 v15, -v8, v10, v14
	s_delay_alu instid0(VALU_DEP_1) | instskip(NEXT) | instid1(VALU_DEP_1)
	v_fmac_f32_e32 v10, v15, v9
	v_fma_f32 v8, -v8, v10, v14
	s_delay_alu instid0(VALU_DEP_1) | instskip(NEXT) | instid1(VALU_DEP_1)
	v_div_fmas_f32 v8, v8, v9, v10
	v_div_fixup_f32 v9, v8, v13, v11
	s_delay_alu instid0(VALU_DEP_1) | instskip(NEXT) | instid1(VALU_DEP_1)
	v_fmac_f32_e32 v13, v11, v9
	v_div_scale_f32 v8, null, v13, v13, 1.0
	v_div_scale_f32 v14, vcc_lo, 1.0, v13, 1.0
	s_delay_alu instid0(VALU_DEP_2) | instskip(SKIP_2) | instid1(VALU_DEP_1)
	v_rcp_f32_e32 v10, v8
	s_waitcnt_depctr 0xfff
	v_fma_f32 v11, -v8, v10, 1.0
	v_fmac_f32_e32 v10, v11, v10
	s_delay_alu instid0(VALU_DEP_1) | instskip(NEXT) | instid1(VALU_DEP_1)
	v_mul_f32_e32 v11, v14, v10
	v_fma_f32 v15, -v8, v11, v14
	s_delay_alu instid0(VALU_DEP_1) | instskip(NEXT) | instid1(VALU_DEP_1)
	v_fmac_f32_e32 v11, v15, v10
	v_fma_f32 v8, -v8, v11, v14
                                        ; implicit-def: $vgpr14
	s_delay_alu instid0(VALU_DEP_1) | instskip(SKIP_1) | instid1(VALU_DEP_2)
	v_div_fmas_f32 v8, v8, v10, v11
	v_fma_f32 v10, v9, 0, 1.0
	v_div_fixup_f32 v11, v8, v13, 1.0
	s_delay_alu instid0(VALU_DEP_1)
	v_mul_f32_e32 v8, v10, v11
	v_mul_f32_e64 v9, -v9, v11
                                        ; implicit-def: $vgpr10
.LBB172_237:
	s_and_not1_saveexec_b32 s6, s1
	s_cbranch_execz .LBB172_239
; %bb.238:
	v_div_scale_f32 v8, null, v10, v10, 1.0
	v_div_scale_f32 v9, null, v14, v14, 0
	v_div_scale_f32 v17, vcc_lo, 1.0, v10, 1.0
	s_delay_alu instid0(VALU_DEP_3) | instskip(NEXT) | instid1(VALU_DEP_2)
	v_rcp_f32_e32 v11, v8
	v_rcp_f32_e32 v13, v9
	s_waitcnt_depctr 0xfff
	v_fma_f32 v15, -v8, v11, 1.0
	v_fma_f32 v16, -v9, v13, 1.0
	s_delay_alu instid0(VALU_DEP_1) | instskip(NEXT) | instid1(VALU_DEP_3)
	v_fmac_f32_e32 v13, v16, v13
	v_fmac_f32_e32 v11, v15, v11
	v_div_scale_f32 v15, s1, 0, v14, 0
	s_delay_alu instid0(VALU_DEP_1) | instskip(NEXT) | instid1(VALU_DEP_1)
	v_mul_f32_e32 v18, v15, v13
	v_fma_f32 v20, -v9, v18, v15
	s_delay_alu instid0(VALU_DEP_1) | instskip(SKIP_1) | instid1(VALU_DEP_2)
	v_fmac_f32_e32 v18, v20, v13
	v_mul_f32_e32 v16, v17, v11
	v_fma_f32 v9, -v9, v18, v15
	s_delay_alu instid0(VALU_DEP_2) | instskip(NEXT) | instid1(VALU_DEP_1)
	v_fma_f32 v19, -v8, v16, v17
	v_fmac_f32_e32 v16, v19, v11
	s_delay_alu instid0(VALU_DEP_1) | instskip(NEXT) | instid1(VALU_DEP_1)
	v_fma_f32 v8, -v8, v16, v17
	v_div_fmas_f32 v8, v8, v11, v16
	s_mov_b32 vcc_lo, s1
	v_div_fmas_f32 v9, v9, v13, v18
	s_delay_alu instid0(VALU_DEP_2) | instskip(NEXT) | instid1(VALU_DEP_2)
	v_div_fixup_f32 v8, v8, v10, 1.0
	v_div_fixup_f32 v9, v9, v14, 0
.LBB172_239:
	s_or_b32 exec_lo, exec_lo, s6
                                        ; implicit-def: $vgpr11
                                        ; implicit-def: $vgpr13
.LBB172_240:
	s_and_not1_saveexec_b32 s1, s2
	s_cbranch_execz .LBB172_242
; %bb.241:
	v_div_scale_f32 v8, null, v11, v11, v13
	v_div_scale_f32 v14, vcc_lo, v13, v11, v13
	s_delay_alu instid0(VALU_DEP_2) | instskip(SKIP_2) | instid1(VALU_DEP_1)
	v_rcp_f32_e32 v9, v8
	s_waitcnt_depctr 0xfff
	v_fma_f32 v10, -v8, v9, 1.0
	v_fmac_f32_e32 v9, v10, v9
	s_delay_alu instid0(VALU_DEP_1) | instskip(NEXT) | instid1(VALU_DEP_1)
	v_mul_f32_e32 v10, v14, v9
	v_fma_f32 v15, -v8, v10, v14
	s_delay_alu instid0(VALU_DEP_1) | instskip(NEXT) | instid1(VALU_DEP_1)
	v_fmac_f32_e32 v10, v15, v9
	v_fma_f32 v8, -v8, v10, v14
	s_delay_alu instid0(VALU_DEP_1) | instskip(NEXT) | instid1(VALU_DEP_1)
	v_div_fmas_f32 v8, v8, v9, v10
	v_div_fixup_f32 v8, v8, v11, v13
	s_delay_alu instid0(VALU_DEP_1) | instskip(NEXT) | instid1(VALU_DEP_1)
	v_fmac_f32_e32 v11, v13, v8
	v_div_scale_f32 v9, null, v11, v11, 1.0
	v_div_scale_f32 v14, vcc_lo, 1.0, v11, 1.0
	s_delay_alu instid0(VALU_DEP_2) | instskip(SKIP_2) | instid1(VALU_DEP_1)
	v_rcp_f32_e32 v10, v9
	s_waitcnt_depctr 0xfff
	v_fma_f32 v13, -v9, v10, 1.0
	v_fmac_f32_e32 v10, v13, v10
	s_delay_alu instid0(VALU_DEP_1) | instskip(NEXT) | instid1(VALU_DEP_1)
	v_mul_f32_e32 v13, v14, v10
	v_fma_f32 v15, -v9, v13, v14
	s_delay_alu instid0(VALU_DEP_1) | instskip(NEXT) | instid1(VALU_DEP_1)
	v_fmac_f32_e32 v13, v15, v10
	v_fma_f32 v9, -v9, v13, v14
	s_delay_alu instid0(VALU_DEP_1) | instskip(SKIP_1) | instid1(VALU_DEP_2)
	v_div_fmas_f32 v9, v9, v10, v13
	v_add_f32_e32 v10, 0, v8
	v_div_fixup_f32 v9, v9, v11, 1.0
	v_fma_f32 v11, v8, 0, -1.0
	s_delay_alu instid0(VALU_DEP_2) | instskip(NEXT) | instid1(VALU_DEP_2)
	v_mul_f32_e32 v8, v10, v9
	v_mul_f32_e32 v9, v11, v9
.LBB172_242:
	s_or_b32 exec_lo, exec_lo, s1
.LBB172_243:
	s_delay_alu instid0(SALU_CYCLE_1) | instskip(SKIP_2) | instid1(VALU_DEP_2)
	s_or_b32 exec_lo, exec_lo, s3
	v_or_b32_e32 v11, 0x200, v0
	v_mov_b32_e32 v10, 0
	v_cmp_gt_i32_e32 vcc_lo, s10, v11
	v_mov_b32_e32 v11, 0
	s_and_saveexec_b32 s3, vcc_lo
	s_cbranch_execz .LBB172_283
; %bb.244:
	v_cmp_neq_f32_e32 vcc_lo, 0, v6
	v_cmp_neq_f32_e64 s1, 0, v7
	v_mov_b32_e32 v13, 0
	s_delay_alu instid0(VALU_DEP_2) | instskip(NEXT) | instid1(SALU_CYCLE_1)
	s_or_b32 s1, vcc_lo, s1
	s_and_saveexec_b32 s6, s1
	s_cbranch_execz .LBB172_274
; %bb.245:
	v_mov_b32_e32 v13, 0x7f800000
	s_mov_b32 s7, exec_lo
	v_cmpx_neq_f32_e64 0x7f800000, |v7|
	s_cbranch_execz .LBB172_273
; %bb.246:
	s_mov_b32 s1, exec_lo
	v_cmpx_o_f32_e32 v6, v6
	s_xor_b32 s9, exec_lo, s1
	s_cbranch_execz .LBB172_270
; %bb.247:
	s_mov_b32 s2, exec_lo
	v_cmpx_neq_f32_e64 0x7f800000, |v6|
	s_xor_b32 s11, exec_lo, s2
	s_cbranch_execz .LBB172_263
; %bb.248:
	v_max_f32_e64 v10, |v6|, |v6|
	v_max_f32_e64 v11, |v7|, |v7|
                                        ; implicit-def: $sgpr12
	s_delay_alu instid0(VALU_DEP_1) | instskip(NEXT) | instid1(VALU_DEP_1)
	v_max_f32_e32 v10, v11, v10
	v_cmp_nle_f32_e64 s1, 0x7ed413cb, v10
	s_delay_alu instid0(VALU_DEP_1) | instskip(NEXT) | instid1(SALU_CYCLE_1)
	s_and_saveexec_b32 s2, s1
	s_xor_b32 s2, exec_lo, s2
	s_cbranch_execz .LBB172_252
; %bb.249:
	v_cmp_ge_f32_e64 s12, 0x1000000, |v6|
	v_cmp_ge_f32_e64 s13, 0x1000000, |v7|
	s_delay_alu instid0(VALU_DEP_1)
	s_and_b32 s14, s13, s12
	s_mov_b32 s12, 0
	s_and_saveexec_b32 s13, s14
; %bb.250:
	v_dual_mul_f32 v6, 4.0, v6 :: v_dual_mul_f32 v7, 4.0, v7
	s_mov_b32 s12, exec_lo
; %bb.251:
	s_or_b32 exec_lo, exec_lo, s13
	s_delay_alu instid0(SALU_CYCLE_1)
	s_and_b32 s12, s12, exec_lo
.LBB172_252:
	s_and_not1_saveexec_b32 s2, s2
; %bb.253:
	v_dual_mul_f32 v6, 0x3e800000, v6 :: v_dual_mul_f32 v7, 0x3e800000, v7
	s_and_not1_b32 s12, s12, exec_lo
; %bb.254:
	s_or_b32 exec_lo, exec_lo, s2
	s_delay_alu instid0(VALU_DEP_1) | instskip(NEXT) | instid1(VALU_DEP_2)
	v_max_f32_e64 v10, |v7|, |v7|
	v_max_f32_e64 v11, |v6|, |v6|
	s_delay_alu instid0(VALU_DEP_1) | instskip(NEXT) | instid1(VALU_DEP_1)
	v_max_f32_e32 v13, v11, v10
	v_cvt_f64_f32_e32 v[10:11], v13
	v_cmp_neq_f32_e64 s2, 0x7f800000, v13
	s_delay_alu instid0(VALU_DEP_2) | instskip(NEXT) | instid1(VALU_DEP_1)
	v_frexp_exp_i32_f64_e32 v10, v[10:11]
	v_sub_nc_u32_e32 v11, 0, v10
	s_delay_alu instid0(VALU_DEP_1) | instskip(SKIP_1) | instid1(VALU_DEP_2)
	v_ldexp_f32 v14, |v7|, v11
	v_ldexp_f32 v11, |v6|, v11
	v_mul_f32_e32 v14, v14, v14
	s_delay_alu instid0(VALU_DEP_1) | instskip(NEXT) | instid1(VALU_DEP_1)
	v_fmac_f32_e32 v14, v11, v11
	v_sqrt_f32_e32 v11, v14
	s_waitcnt_depctr 0xfff
	v_ldexp_f32 v10, v11, v10
                                        ; implicit-def: $vgpr11
	s_delay_alu instid0(VALU_DEP_1)
	v_cndmask_b32_e64 v13, 0x7f800000, v10, s2
                                        ; implicit-def: $vgpr10
	s_mov_b32 s2, exec_lo
	v_cmpx_le_f32_e32 0, v6
	s_xor_b32 s13, exec_lo, s2
	s_cbranch_execz .LBB172_256
; %bb.255:
	v_add_f32_e32 v6, v6, v13
	s_delay_alu instid0(VALU_DEP_1) | instskip(NEXT) | instid1(VALU_DEP_1)
	v_mul_f32_e32 v6, 0.5, v6
	v_mul_f32_e32 v10, 0x4f800000, v6
	v_cmp_gt_f32_e32 vcc_lo, 0xf800000, v6
	s_delay_alu instid0(VALU_DEP_2) | instskip(NEXT) | instid1(VALU_DEP_1)
	v_cndmask_b32_e32 v6, v6, v10, vcc_lo
	v_sqrt_f32_e32 v10, v6
	s_waitcnt_depctr 0xfff
	v_add_nc_u32_e32 v11, -1, v10
	v_add_nc_u32_e32 v13, 1, v10
	s_delay_alu instid0(VALU_DEP_2) | instskip(NEXT) | instid1(VALU_DEP_2)
	v_fma_f32 v14, -v11, v10, v6
	v_fma_f32 v15, -v13, v10, v6
	s_delay_alu instid0(VALU_DEP_2) | instskip(NEXT) | instid1(VALU_DEP_1)
	v_cmp_ge_f32_e64 s2, 0, v14
	v_cndmask_b32_e64 v10, v10, v11, s2
	s_delay_alu instid0(VALU_DEP_3) | instskip(NEXT) | instid1(VALU_DEP_1)
	v_cmp_lt_f32_e64 s2, 0, v15
	v_cndmask_b32_e64 v10, v10, v13, s2
	s_delay_alu instid0(VALU_DEP_1) | instskip(NEXT) | instid1(VALU_DEP_1)
	v_mul_f32_e32 v11, 0x37800000, v10
	v_cndmask_b32_e32 v10, v10, v11, vcc_lo
	v_cmp_class_f32_e64 vcc_lo, v6, 0x260
	s_delay_alu instid0(VALU_DEP_2) | instskip(NEXT) | instid1(VALU_DEP_1)
	v_cndmask_b32_e32 v10, v10, v6, vcc_lo
	v_add_f32_e32 v6, v10, v10
	s_delay_alu instid0(VALU_DEP_1) | instskip(NEXT) | instid1(VALU_DEP_1)
	v_div_scale_f32 v11, null, v6, v6, v7
	v_rcp_f32_e32 v13, v11
	s_waitcnt_depctr 0xfff
	v_fma_f32 v14, -v11, v13, 1.0
	s_delay_alu instid0(VALU_DEP_1) | instskip(SKIP_1) | instid1(VALU_DEP_1)
	v_fmac_f32_e32 v13, v14, v13
	v_div_scale_f32 v14, vcc_lo, v7, v6, v7
	v_mul_f32_e32 v15, v14, v13
	s_delay_alu instid0(VALU_DEP_1) | instskip(NEXT) | instid1(VALU_DEP_1)
	v_fma_f32 v16, -v11, v15, v14
	v_fmac_f32_e32 v15, v16, v13
	s_delay_alu instid0(VALU_DEP_1) | instskip(NEXT) | instid1(VALU_DEP_1)
	v_fma_f32 v11, -v11, v15, v14
	v_div_fmas_f32 v11, v11, v13, v15
                                        ; implicit-def: $vgpr13
	s_delay_alu instid0(VALU_DEP_1)
	v_div_fixup_f32 v11, v11, v6, v7
                                        ; implicit-def: $vgpr6
	s_and_not1_saveexec_b32 s13, s13
	s_cbranch_execz .LBB172_258
	s_branch .LBB172_257
.LBB172_256:
	s_and_not1_saveexec_b32 s13, s13
	s_cbranch_execz .LBB172_258
.LBB172_257:
	v_sub_f32_e32 v6, v13, v6
	s_delay_alu instid0(VALU_DEP_1) | instskip(NEXT) | instid1(VALU_DEP_1)
	v_mul_f32_e32 v6, 0.5, v6
	v_mul_f32_e32 v10, 0x4f800000, v6
	v_cmp_gt_f32_e32 vcc_lo, 0xf800000, v6
	s_delay_alu instid0(VALU_DEP_2) | instskip(NEXT) | instid1(VALU_DEP_1)
	v_cndmask_b32_e32 v6, v6, v10, vcc_lo
	v_sqrt_f32_e32 v10, v6
	s_waitcnt_depctr 0xfff
	v_add_nc_u32_e32 v11, -1, v10
	v_add_nc_u32_e32 v13, 1, v10
	s_delay_alu instid0(VALU_DEP_2) | instskip(NEXT) | instid1(VALU_DEP_2)
	v_fma_f32 v14, -v11, v10, v6
	v_fma_f32 v15, -v13, v10, v6
	s_delay_alu instid0(VALU_DEP_2) | instskip(NEXT) | instid1(VALU_DEP_1)
	v_cmp_ge_f32_e64 s2, 0, v14
	v_cndmask_b32_e64 v10, v10, v11, s2
	s_delay_alu instid0(VALU_DEP_3) | instskip(NEXT) | instid1(VALU_DEP_1)
	v_cmp_lt_f32_e64 s2, 0, v15
	v_cndmask_b32_e64 v10, v10, v13, s2
	s_delay_alu instid0(VALU_DEP_1) | instskip(NEXT) | instid1(VALU_DEP_1)
	v_mul_f32_e32 v11, 0x37800000, v10
	v_cndmask_b32_e32 v10, v10, v11, vcc_lo
	v_cmp_class_f32_e64 vcc_lo, v6, 0x260
	s_delay_alu instid0(VALU_DEP_2) | instskip(NEXT) | instid1(VALU_DEP_1)
	v_cndmask_b32_e32 v6, v10, v6, vcc_lo
	v_dual_add_f32 v11, v6, v6 :: v_dual_and_b32 v10, 0x7fffffff, v7
	s_delay_alu instid0(VALU_DEP_1) | instskip(SKIP_1) | instid1(VALU_DEP_2)
	v_div_scale_f32 v13, null, v11, v11, v10
	v_div_scale_f32 v10, vcc_lo, v10, v11, v10
	v_rcp_f32_e32 v14, v13
	s_waitcnt_depctr 0xfff
	v_fma_f32 v15, -v13, v14, 1.0
	s_delay_alu instid0(VALU_DEP_1) | instskip(NEXT) | instid1(VALU_DEP_1)
	v_fmac_f32_e32 v14, v15, v14
	v_mul_f32_e32 v15, v10, v14
	s_delay_alu instid0(VALU_DEP_1) | instskip(NEXT) | instid1(VALU_DEP_1)
	v_fma_f32 v16, -v13, v15, v10
	v_fmac_f32_e32 v15, v16, v14
	s_delay_alu instid0(VALU_DEP_1) | instskip(NEXT) | instid1(VALU_DEP_1)
	v_fma_f32 v10, -v13, v15, v10
	v_div_fmas_f32 v10, v10, v14, v15
	s_delay_alu instid0(VALU_DEP_1)
	v_div_fixup_f32 v10, v10, v11, |v7|
	v_bfi_b32 v11, 0x7fffffff, v6, v7
.LBB172_258:
	s_or_b32 exec_lo, exec_lo, s13
                                        ; implicit-def: $vgpr7
	s_and_saveexec_b32 s2, s1
	s_delay_alu instid0(SALU_CYCLE_1)
	s_xor_b32 s1, exec_lo, s2
	s_cbranch_execz .LBB172_260
; %bb.259:
	v_dual_mul_f32 v6, 0.5, v10 :: v_dual_mul_f32 v7, 0.5, v11
	s_delay_alu instid0(VALU_DEP_1) | instskip(NEXT) | instid1(VALU_DEP_2)
	v_cndmask_b32_e64 v6, v10, v6, s12
	v_cndmask_b32_e64 v7, v11, v7, s12
                                        ; implicit-def: $vgpr10
                                        ; implicit-def: $vgpr11
	s_and_not1_saveexec_b32 s1, s1
	s_cbranch_execnz .LBB172_261
	s_branch .LBB172_262
.LBB172_260:
	s_and_not1_saveexec_b32 s1, s1
.LBB172_261:
	v_dual_add_f32 v6, v10, v10 :: v_dual_add_f32 v7, v11, v11
.LBB172_262:
	s_or_b32 exec_lo, exec_lo, s1
.LBB172_263:
	s_and_not1_saveexec_b32 s1, s11
	s_cbranch_execz .LBB172_269
; %bb.264:
	s_delay_alu instid0(VALU_DEP_1)
	v_sub_f32_e32 v10, v7, v7
	s_mov_b32 s2, exec_lo
	v_cmpx_lt_i32_e32 -1, v6
	s_xor_b32 s2, exec_lo, s2
; %bb.265:
	s_delay_alu instid0(VALU_DEP_2)
	v_bfi_b32 v7, 0x7fffffff, v10, v7
                                        ; implicit-def: $vgpr10
; %bb.266:
	s_and_not1_saveexec_b32 s2, s2
; %bb.267:
	v_and_b32_e32 v10, 0x7fffffff, v10
	s_delay_alu instid0(VALU_DEP_2) | instskip(NEXT) | instid1(VALU_DEP_2)
	v_bfi_b32 v7, 0x7fffffff, v6, v7
	v_mov_b32_e32 v6, v10
; %bb.268:
	s_or_b32 exec_lo, exec_lo, s2
.LBB172_269:
	s_delay_alu instid0(SALU_CYCLE_1)
	s_or_b32 exec_lo, exec_lo, s1
.LBB172_270:
	s_and_not1_saveexec_b32 s1, s9
; %bb.271:
	v_sub_f32_e32 v7, v7, v7
	s_delay_alu instid0(VALU_DEP_1) | instskip(NEXT) | instid1(VALU_DEP_1)
	v_div_scale_f32 v10, vcc_lo, v7, v7, v7
	v_rcp_f32_e32 v11, v10
	s_waitcnt_depctr 0xfff
	v_fma_f32 v13, -v10, v11, 1.0
	s_delay_alu instid0(VALU_DEP_1) | instskip(NEXT) | instid1(VALU_DEP_1)
	v_fmac_f32_e32 v11, v13, v11
	v_mul_f32_e32 v13, v10, v11
	s_delay_alu instid0(VALU_DEP_1) | instskip(NEXT) | instid1(VALU_DEP_1)
	v_fma_f32 v14, -v10, v13, v10
	v_fmac_f32_e32 v13, v14, v11
	s_delay_alu instid0(VALU_DEP_1) | instskip(NEXT) | instid1(VALU_DEP_1)
	v_fma_f32 v10, -v10, v13, v10
	v_div_fmas_f32 v10, v10, v11, v13
	s_delay_alu instid0(VALU_DEP_1)
	v_div_fixup_f32 v7, v10, v7, v7
; %bb.272:
	s_or_b32 exec_lo, exec_lo, s1
	v_mov_b32_e32 v13, v6
.LBB172_273:
	s_or_b32 exec_lo, exec_lo, s7
.LBB172_274:
	s_delay_alu instid0(SALU_CYCLE_1) | instskip(NEXT) | instid1(VALU_DEP_1)
	s_or_b32 exec_lo, exec_lo, s6
	v_cmp_gt_f32_e32 vcc_lo, 0, v13
                                        ; implicit-def: $vgpr10
	s_mov_b32 s1, exec_lo
	v_cndmask_b32_e64 v6, v13, -v13, vcc_lo
	v_cmp_gt_f32_e32 vcc_lo, 0, v7
	v_cndmask_b32_e64 v14, v7, -v7, vcc_lo
	s_delay_alu instid0(VALU_DEP_1)
	v_cmpx_ge_f32_e32 v6, v14
	s_xor_b32 s2, exec_lo, s1
	s_cbranch_execz .LBB172_280
; %bb.275:
	v_cmp_neq_f32_e32 vcc_lo, 0, v13
	v_cmp_neq_f32_e64 s1, 0, v7
                                        ; implicit-def: $vgpr10
	s_delay_alu instid0(VALU_DEP_1) | instskip(NEXT) | instid1(SALU_CYCLE_1)
	s_or_b32 s1, vcc_lo, s1
	s_and_saveexec_b32 s6, s1
	s_delay_alu instid0(SALU_CYCLE_1)
	s_xor_b32 s1, exec_lo, s6
	s_cbranch_execz .LBB172_277
; %bb.276:
	v_div_scale_f32 v6, null, v13, v13, v7
	v_div_scale_f32 v14, vcc_lo, v7, v13, v7
	s_delay_alu instid0(VALU_DEP_2) | instskip(SKIP_2) | instid1(VALU_DEP_1)
	v_rcp_f32_e32 v10, v6
	s_waitcnt_depctr 0xfff
	v_fma_f32 v11, -v6, v10, 1.0
	v_fmac_f32_e32 v10, v11, v10
	s_delay_alu instid0(VALU_DEP_1) | instskip(NEXT) | instid1(VALU_DEP_1)
	v_mul_f32_e32 v11, v14, v10
	v_fma_f32 v15, -v6, v11, v14
	s_delay_alu instid0(VALU_DEP_1) | instskip(NEXT) | instid1(VALU_DEP_1)
	v_fmac_f32_e32 v11, v15, v10
	v_fma_f32 v6, -v6, v11, v14
	s_delay_alu instid0(VALU_DEP_1) | instskip(NEXT) | instid1(VALU_DEP_1)
	v_div_fmas_f32 v6, v6, v10, v11
	v_div_fixup_f32 v6, v6, v13, v7
	s_delay_alu instid0(VALU_DEP_1) | instskip(NEXT) | instid1(VALU_DEP_1)
	v_fmac_f32_e32 v13, v7, v6
	v_div_scale_f32 v7, null, v13, v13, 1.0
	v_div_scale_f32 v14, vcc_lo, 1.0, v13, 1.0
	s_delay_alu instid0(VALU_DEP_2) | instskip(SKIP_2) | instid1(VALU_DEP_1)
	v_rcp_f32_e32 v10, v7
	s_waitcnt_depctr 0xfff
	v_fma_f32 v11, -v7, v10, 1.0
	v_fmac_f32_e32 v10, v11, v10
	s_delay_alu instid0(VALU_DEP_1) | instskip(NEXT) | instid1(VALU_DEP_1)
	v_mul_f32_e32 v11, v14, v10
	v_fma_f32 v15, -v7, v11, v14
	s_delay_alu instid0(VALU_DEP_1) | instskip(NEXT) | instid1(VALU_DEP_1)
	v_fmac_f32_e32 v11, v15, v10
	v_fma_f32 v7, -v7, v11, v14
                                        ; implicit-def: $vgpr14
	s_delay_alu instid0(VALU_DEP_1) | instskip(SKIP_1) | instid1(VALU_DEP_2)
	v_div_fmas_f32 v7, v7, v10, v11
	v_fma_f32 v10, v6, 0, 1.0
	v_div_fixup_f32 v7, v7, v13, 1.0
	s_delay_alu instid0(VALU_DEP_1)
	v_mul_f32_e32 v10, v10, v7
	v_mul_f32_e64 v11, -v6, v7
                                        ; implicit-def: $vgpr6
.LBB172_277:
	s_and_not1_saveexec_b32 s6, s1
	s_cbranch_execz .LBB172_279
; %bb.278:
	v_div_scale_f32 v7, null, v6, v6, 1.0
	v_div_scale_f32 v10, null, v14, v14, 0
	v_div_scale_f32 v17, vcc_lo, 1.0, v6, 1.0
	s_delay_alu instid0(VALU_DEP_3) | instskip(NEXT) | instid1(VALU_DEP_2)
	v_rcp_f32_e32 v11, v7
	v_rcp_f32_e32 v13, v10
	s_waitcnt_depctr 0xfff
	v_fma_f32 v15, -v7, v11, 1.0
	v_fma_f32 v16, -v10, v13, 1.0
	s_delay_alu instid0(VALU_DEP_1) | instskip(NEXT) | instid1(VALU_DEP_3)
	v_fmac_f32_e32 v13, v16, v13
	v_fmac_f32_e32 v11, v15, v11
	v_div_scale_f32 v15, s1, 0, v14, 0
	s_delay_alu instid0(VALU_DEP_1) | instskip(NEXT) | instid1(VALU_DEP_1)
	v_mul_f32_e32 v18, v15, v13
	v_fma_f32 v20, -v10, v18, v15
	s_delay_alu instid0(VALU_DEP_1) | instskip(SKIP_1) | instid1(VALU_DEP_2)
	v_fmac_f32_e32 v18, v20, v13
	v_mul_f32_e32 v16, v17, v11
	v_fma_f32 v10, -v10, v18, v15
	s_delay_alu instid0(VALU_DEP_2) | instskip(NEXT) | instid1(VALU_DEP_1)
	v_fma_f32 v19, -v7, v16, v17
	v_fmac_f32_e32 v16, v19, v11
	s_delay_alu instid0(VALU_DEP_1) | instskip(NEXT) | instid1(VALU_DEP_1)
	v_fma_f32 v7, -v7, v16, v17
	v_div_fmas_f32 v7, v7, v11, v16
	s_mov_b32 vcc_lo, s1
	v_div_fmas_f32 v11, v10, v13, v18
	s_delay_alu instid0(VALU_DEP_2) | instskip(NEXT) | instid1(VALU_DEP_2)
	v_div_fixup_f32 v10, v7, v6, 1.0
	v_div_fixup_f32 v11, v11, v14, 0
.LBB172_279:
	s_or_b32 exec_lo, exec_lo, s6
                                        ; implicit-def: $vgpr7
                                        ; implicit-def: $vgpr13
.LBB172_280:
	s_and_not1_saveexec_b32 s1, s2
	s_cbranch_execz .LBB172_282
; %bb.281:
	v_div_scale_f32 v6, null, v7, v7, v13
	v_div_scale_f32 v14, vcc_lo, v13, v7, v13
	s_delay_alu instid0(VALU_DEP_2) | instskip(SKIP_2) | instid1(VALU_DEP_1)
	v_rcp_f32_e32 v10, v6
	s_waitcnt_depctr 0xfff
	v_fma_f32 v11, -v6, v10, 1.0
	v_fmac_f32_e32 v10, v11, v10
	s_delay_alu instid0(VALU_DEP_1) | instskip(NEXT) | instid1(VALU_DEP_1)
	v_mul_f32_e32 v11, v14, v10
	v_fma_f32 v15, -v6, v11, v14
	s_delay_alu instid0(VALU_DEP_1) | instskip(NEXT) | instid1(VALU_DEP_1)
	v_fmac_f32_e32 v11, v15, v10
	v_fma_f32 v6, -v6, v11, v14
	s_delay_alu instid0(VALU_DEP_1) | instskip(NEXT) | instid1(VALU_DEP_1)
	v_div_fmas_f32 v6, v6, v10, v11
	v_div_fixup_f32 v6, v6, v7, v13
	s_delay_alu instid0(VALU_DEP_1) | instskip(NEXT) | instid1(VALU_DEP_1)
	v_fmac_f32_e32 v7, v13, v6
	v_div_scale_f32 v10, null, v7, v7, 1.0
	v_div_scale_f32 v14, vcc_lo, 1.0, v7, 1.0
	s_delay_alu instid0(VALU_DEP_2) | instskip(SKIP_2) | instid1(VALU_DEP_1)
	v_rcp_f32_e32 v11, v10
	s_waitcnt_depctr 0xfff
	v_fma_f32 v13, -v10, v11, 1.0
	v_fmac_f32_e32 v11, v13, v11
	s_delay_alu instid0(VALU_DEP_1) | instskip(NEXT) | instid1(VALU_DEP_1)
	v_mul_f32_e32 v13, v14, v11
	v_fma_f32 v15, -v10, v13, v14
	s_delay_alu instid0(VALU_DEP_1) | instskip(NEXT) | instid1(VALU_DEP_1)
	v_fmac_f32_e32 v13, v15, v11
	v_fma_f32 v10, -v10, v13, v14
	s_delay_alu instid0(VALU_DEP_1) | instskip(SKIP_2) | instid1(VALU_DEP_3)
	v_div_fmas_f32 v10, v10, v11, v13
	v_add_f32_e32 v11, 0, v6
	v_fma_f32 v6, v6, 0, -1.0
	v_div_fixup_f32 v7, v10, v7, 1.0
	s_delay_alu instid0(VALU_DEP_1) | instskip(NEXT) | instid1(VALU_DEP_3)
	v_mul_f32_e32 v10, v11, v7
	v_mul_f32_e32 v11, v6, v7
.LBB172_282:
	s_or_b32 exec_lo, exec_lo, s1
.LBB172_283:
	s_delay_alu instid0(SALU_CYCLE_1) | instskip(SKIP_2) | instid1(VALU_DEP_2)
	s_or_b32 exec_lo, exec_lo, s3
	v_or_b32_e32 v7, 0x300, v0
	v_mov_b32_e32 v6, 0
	v_cmp_gt_i32_e32 vcc_lo, s10, v7
	v_mov_b32_e32 v7, 0
	s_and_saveexec_b32 s3, vcc_lo
	s_cbranch_execz .LBB172_296
; %bb.284:
	v_cmp_neq_f32_e32 vcc_lo, 0, v2
	v_cmp_neq_f32_e64 s1, 0, v3
	v_mov_b32_e32 v13, 0
	s_delay_alu instid0(VALU_DEP_2) | instskip(NEXT) | instid1(SALU_CYCLE_1)
	s_or_b32 s1, vcc_lo, s1
	s_and_saveexec_b32 s6, s1
	s_cbranch_execz .LBB172_318
; %bb.285:
	v_mov_b32_e32 v13, 0x7f800000
	s_mov_b32 s7, exec_lo
	v_cmpx_neq_f32_e64 0x7f800000, |v3|
	s_cbranch_execz .LBB172_317
; %bb.286:
	s_mov_b32 s1, exec_lo
	v_cmpx_o_f32_e32 v2, v2
	s_xor_b32 s9, exec_lo, s1
	s_cbranch_execz .LBB172_314
; %bb.287:
	s_mov_b32 s2, exec_lo
	v_cmpx_neq_f32_e64 0x7f800000, |v2|
	s_xor_b32 s11, exec_lo, s2
	s_cbranch_execz .LBB172_307
; %bb.288:
	v_max_f32_e64 v6, |v2|, |v2|
	v_max_f32_e64 v7, |v3|, |v3|
                                        ; implicit-def: $sgpr12
	s_delay_alu instid0(VALU_DEP_1) | instskip(NEXT) | instid1(VALU_DEP_1)
	v_max_f32_e32 v6, v7, v6
	v_cmp_nle_f32_e64 s1, 0x7ed413cb, v6
	s_delay_alu instid0(VALU_DEP_1) | instskip(NEXT) | instid1(SALU_CYCLE_1)
	s_and_saveexec_b32 s2, s1
	s_xor_b32 s2, exec_lo, s2
	s_cbranch_execz .LBB172_292
; %bb.289:
	v_cmp_ge_f32_e64 s12, 0x1000000, |v2|
	v_cmp_ge_f32_e64 s13, 0x1000000, |v3|
	s_delay_alu instid0(VALU_DEP_1)
	s_and_b32 s14, s13, s12
	s_mov_b32 s12, 0
	s_and_saveexec_b32 s13, s14
; %bb.290:
	v_dual_mul_f32 v2, 4.0, v2 :: v_dual_mul_f32 v3, 4.0, v3
	s_mov_b32 s12, exec_lo
; %bb.291:
	s_or_b32 exec_lo, exec_lo, s13
	s_delay_alu instid0(SALU_CYCLE_1)
	s_and_b32 s12, s12, exec_lo
.LBB172_292:
	s_and_not1_saveexec_b32 s2, s2
; %bb.293:
	v_dual_mul_f32 v2, 0x3e800000, v2 :: v_dual_mul_f32 v3, 0x3e800000, v3
	s_and_not1_b32 s12, s12, exec_lo
; %bb.294:
	s_or_b32 exec_lo, exec_lo, s2
	s_delay_alu instid0(VALU_DEP_1) | instskip(NEXT) | instid1(VALU_DEP_2)
	v_max_f32_e64 v6, |v3|, |v3|
	v_max_f32_e64 v7, |v2|, |v2|
	s_delay_alu instid0(VALU_DEP_1) | instskip(NEXT) | instid1(VALU_DEP_1)
	v_max_f32_e32 v13, v7, v6
	v_cvt_f64_f32_e32 v[6:7], v13
	v_cmp_neq_f32_e64 s2, 0x7f800000, v13
	s_delay_alu instid0(VALU_DEP_2) | instskip(NEXT) | instid1(VALU_DEP_1)
	v_frexp_exp_i32_f64_e32 v6, v[6:7]
	v_sub_nc_u32_e32 v7, 0, v6
	s_delay_alu instid0(VALU_DEP_1) | instskip(SKIP_1) | instid1(VALU_DEP_2)
	v_ldexp_f32 v14, |v3|, v7
	v_ldexp_f32 v7, |v2|, v7
	v_mul_f32_e32 v14, v14, v14
	s_delay_alu instid0(VALU_DEP_1) | instskip(NEXT) | instid1(VALU_DEP_1)
	v_fmac_f32_e32 v14, v7, v7
	v_sqrt_f32_e32 v7, v14
	s_waitcnt_depctr 0xfff
	v_ldexp_f32 v6, v7, v6
                                        ; implicit-def: $vgpr7
	s_delay_alu instid0(VALU_DEP_1)
	v_cndmask_b32_e64 v13, 0x7f800000, v6, s2
                                        ; implicit-def: $vgpr6
	s_mov_b32 s2, exec_lo
	v_cmpx_le_f32_e32 0, v2
	s_xor_b32 s13, exec_lo, s2
	s_cbranch_execz .LBB172_300
; %bb.295:
	v_add_f32_e32 v2, v2, v13
	s_delay_alu instid0(VALU_DEP_1) | instskip(NEXT) | instid1(VALU_DEP_1)
	v_mul_f32_e32 v2, 0.5, v2
	v_mul_f32_e32 v6, 0x4f800000, v2
	v_cmp_gt_f32_e32 vcc_lo, 0xf800000, v2
	s_delay_alu instid0(VALU_DEP_2) | instskip(NEXT) | instid1(VALU_DEP_1)
	v_cndmask_b32_e32 v2, v2, v6, vcc_lo
	v_sqrt_f32_e32 v6, v2
	s_waitcnt_depctr 0xfff
	v_add_nc_u32_e32 v7, -1, v6
	v_add_nc_u32_e32 v13, 1, v6
	s_delay_alu instid0(VALU_DEP_2) | instskip(NEXT) | instid1(VALU_DEP_2)
	v_fma_f32 v14, -v7, v6, v2
	v_fma_f32 v15, -v13, v6, v2
	s_delay_alu instid0(VALU_DEP_2) | instskip(NEXT) | instid1(VALU_DEP_1)
	v_cmp_ge_f32_e64 s2, 0, v14
	v_cndmask_b32_e64 v6, v6, v7, s2
	s_delay_alu instid0(VALU_DEP_3) | instskip(NEXT) | instid1(VALU_DEP_1)
	v_cmp_lt_f32_e64 s2, 0, v15
	v_cndmask_b32_e64 v6, v6, v13, s2
	s_delay_alu instid0(VALU_DEP_1) | instskip(NEXT) | instid1(VALU_DEP_1)
	v_mul_f32_e32 v7, 0x37800000, v6
	v_cndmask_b32_e32 v6, v6, v7, vcc_lo
	v_cmp_class_f32_e64 vcc_lo, v2, 0x260
	s_delay_alu instid0(VALU_DEP_2) | instskip(NEXT) | instid1(VALU_DEP_1)
	v_cndmask_b32_e32 v6, v6, v2, vcc_lo
	v_add_f32_e32 v2, v6, v6
	s_delay_alu instid0(VALU_DEP_1) | instskip(NEXT) | instid1(VALU_DEP_1)
	v_div_scale_f32 v7, null, v2, v2, v3
	v_rcp_f32_e32 v13, v7
	s_waitcnt_depctr 0xfff
	v_fma_f32 v14, -v7, v13, 1.0
	s_delay_alu instid0(VALU_DEP_1) | instskip(SKIP_1) | instid1(VALU_DEP_1)
	v_fmac_f32_e32 v13, v14, v13
	v_div_scale_f32 v14, vcc_lo, v3, v2, v3
	v_mul_f32_e32 v15, v14, v13
	s_delay_alu instid0(VALU_DEP_1) | instskip(NEXT) | instid1(VALU_DEP_1)
	v_fma_f32 v16, -v7, v15, v14
	v_fmac_f32_e32 v15, v16, v13
	s_delay_alu instid0(VALU_DEP_1) | instskip(NEXT) | instid1(VALU_DEP_1)
	v_fma_f32 v7, -v7, v15, v14
	v_div_fmas_f32 v7, v7, v13, v15
                                        ; implicit-def: $vgpr13
	s_delay_alu instid0(VALU_DEP_1)
	v_div_fixup_f32 v7, v7, v2, v3
                                        ; implicit-def: $vgpr2
	s_and_not1_saveexec_b32 s13, s13
	s_cbranch_execz .LBB172_302
	s_branch .LBB172_301
.LBB172_296:
	s_or_b32 exec_lo, exec_lo, s3
	s_and_saveexec_b32 s1, s0
	s_delay_alu instid0(SALU_CYCLE_1)
	s_xor_b32 s0, exec_lo, s1
	s_cbranch_execz .LBB172_327
.LBB172_297:
	v_mov_b32_e32 v2, 0
	s_delay_alu instid0(VALU_DEP_1) | instskip(NEXT) | instid1(VALU_DEP_1)
	v_lshlrev_b64 v[0:1], 3, v[1:2]
	v_add_co_u32 v2, vcc_lo, s4, v0
	s_delay_alu instid0(VALU_DEP_2) | instskip(SKIP_3) | instid1(SALU_CYCLE_1)
	v_add_co_ci_u32_e32 v3, vcc_lo, s5, v1, vcc_lo
	v_mov_b32_e32 v0, v12
	global_store_b64 v[2:3], v[4:5], off
	s_or_b32 exec_lo, exec_lo, s0
	s_mov_b32 s0, exec_lo
	v_cmpx_gt_i32_e64 s10, v0
	s_cbranch_execnz .LBB172_328
.LBB172_298:
	s_or_b32 exec_lo, exec_lo, s0
	s_delay_alu instid0(SALU_CYCLE_1)
	s_mov_b32 s0, exec_lo
	v_cmpx_gt_i32_e64 s10, v0
	s_cbranch_execz .LBB172_329
.LBB172_299:
	v_dual_mov_b32 v2, 0 :: v_dual_add_nc_u32 v1, s8, v0
	v_add_nc_u32_e32 v0, 0x100, v0
	s_delay_alu instid0(VALU_DEP_2) | instskip(NEXT) | instid1(VALU_DEP_1)
	v_lshlrev_b64 v[1:2], 3, v[1:2]
	v_add_co_u32 v1, vcc_lo, s4, v1
	s_delay_alu instid0(VALU_DEP_2) | instskip(SKIP_2) | instid1(SALU_CYCLE_1)
	v_add_co_ci_u32_e32 v2, vcc_lo, s5, v2, vcc_lo
	global_store_b64 v[1:2], v[10:11], off
	s_or_b32 exec_lo, exec_lo, s0
	s_mov_b32 s0, exec_lo
	v_cmpx_gt_i32_e64 s10, v0
	s_cbranch_execnz .LBB172_330
	s_branch .LBB172_331
.LBB172_300:
	s_and_not1_saveexec_b32 s13, s13
	s_cbranch_execz .LBB172_302
.LBB172_301:
	v_sub_f32_e32 v2, v13, v2
	s_delay_alu instid0(VALU_DEP_1) | instskip(NEXT) | instid1(VALU_DEP_1)
	v_mul_f32_e32 v2, 0.5, v2
	v_mul_f32_e32 v6, 0x4f800000, v2
	v_cmp_gt_f32_e32 vcc_lo, 0xf800000, v2
	s_delay_alu instid0(VALU_DEP_2) | instskip(NEXT) | instid1(VALU_DEP_1)
	v_cndmask_b32_e32 v2, v2, v6, vcc_lo
	v_sqrt_f32_e32 v6, v2
	s_waitcnt_depctr 0xfff
	v_add_nc_u32_e32 v7, -1, v6
	v_add_nc_u32_e32 v13, 1, v6
	s_delay_alu instid0(VALU_DEP_2) | instskip(NEXT) | instid1(VALU_DEP_2)
	v_fma_f32 v14, -v7, v6, v2
	v_fma_f32 v15, -v13, v6, v2
	s_delay_alu instid0(VALU_DEP_2) | instskip(NEXT) | instid1(VALU_DEP_1)
	v_cmp_ge_f32_e64 s2, 0, v14
	v_cndmask_b32_e64 v6, v6, v7, s2
	s_delay_alu instid0(VALU_DEP_3) | instskip(NEXT) | instid1(VALU_DEP_1)
	v_cmp_lt_f32_e64 s2, 0, v15
	v_cndmask_b32_e64 v6, v6, v13, s2
	s_delay_alu instid0(VALU_DEP_1) | instskip(NEXT) | instid1(VALU_DEP_1)
	v_mul_f32_e32 v7, 0x37800000, v6
	v_cndmask_b32_e32 v6, v6, v7, vcc_lo
	v_cmp_class_f32_e64 vcc_lo, v2, 0x260
	s_delay_alu instid0(VALU_DEP_2) | instskip(NEXT) | instid1(VALU_DEP_1)
	v_cndmask_b32_e32 v2, v6, v2, vcc_lo
	v_dual_add_f32 v7, v2, v2 :: v_dual_and_b32 v6, 0x7fffffff, v3
	s_delay_alu instid0(VALU_DEP_1) | instskip(SKIP_1) | instid1(VALU_DEP_2)
	v_div_scale_f32 v13, null, v7, v7, v6
	v_div_scale_f32 v6, vcc_lo, v6, v7, v6
	v_rcp_f32_e32 v14, v13
	s_waitcnt_depctr 0xfff
	v_fma_f32 v15, -v13, v14, 1.0
	s_delay_alu instid0(VALU_DEP_1) | instskip(NEXT) | instid1(VALU_DEP_1)
	v_fmac_f32_e32 v14, v15, v14
	v_mul_f32_e32 v15, v6, v14
	s_delay_alu instid0(VALU_DEP_1) | instskip(NEXT) | instid1(VALU_DEP_1)
	v_fma_f32 v16, -v13, v15, v6
	v_fmac_f32_e32 v15, v16, v14
	s_delay_alu instid0(VALU_DEP_1) | instskip(NEXT) | instid1(VALU_DEP_1)
	v_fma_f32 v6, -v13, v15, v6
	v_div_fmas_f32 v6, v6, v14, v15
	s_delay_alu instid0(VALU_DEP_1)
	v_div_fixup_f32 v6, v6, v7, |v3|
	v_bfi_b32 v7, 0x7fffffff, v2, v3
.LBB172_302:
	s_or_b32 exec_lo, exec_lo, s13
                                        ; implicit-def: $vgpr3
	s_and_saveexec_b32 s2, s1
	s_delay_alu instid0(SALU_CYCLE_1)
	s_xor_b32 s1, exec_lo, s2
	s_cbranch_execz .LBB172_304
; %bb.303:
	v_dual_mul_f32 v2, 0.5, v6 :: v_dual_mul_f32 v3, 0.5, v7
	s_delay_alu instid0(VALU_DEP_1) | instskip(NEXT) | instid1(VALU_DEP_2)
	v_cndmask_b32_e64 v2, v6, v2, s12
	v_cndmask_b32_e64 v3, v7, v3, s12
                                        ; implicit-def: $vgpr6
                                        ; implicit-def: $vgpr7
	s_and_not1_saveexec_b32 s1, s1
	s_cbranch_execnz .LBB172_305
	s_branch .LBB172_306
.LBB172_304:
	s_and_not1_saveexec_b32 s1, s1
.LBB172_305:
	v_dual_add_f32 v2, v6, v6 :: v_dual_add_f32 v3, v7, v7
.LBB172_306:
	s_or_b32 exec_lo, exec_lo, s1
.LBB172_307:
	s_and_not1_saveexec_b32 s1, s11
	s_cbranch_execz .LBB172_313
; %bb.308:
	s_delay_alu instid0(VALU_DEP_1)
	v_sub_f32_e32 v6, v3, v3
	s_mov_b32 s2, exec_lo
	v_cmpx_lt_i32_e32 -1, v2
	s_xor_b32 s2, exec_lo, s2
; %bb.309:
	s_delay_alu instid0(VALU_DEP_2)
	v_bfi_b32 v3, 0x7fffffff, v6, v3
                                        ; implicit-def: $vgpr6
; %bb.310:
	s_and_not1_saveexec_b32 s2, s2
; %bb.311:
	v_and_b32_e32 v6, 0x7fffffff, v6
	s_delay_alu instid0(VALU_DEP_2) | instskip(NEXT) | instid1(VALU_DEP_2)
	v_bfi_b32 v3, 0x7fffffff, v2, v3
	v_mov_b32_e32 v2, v6
; %bb.312:
	s_or_b32 exec_lo, exec_lo, s2
.LBB172_313:
	s_delay_alu instid0(SALU_CYCLE_1)
	s_or_b32 exec_lo, exec_lo, s1
.LBB172_314:
	s_and_not1_saveexec_b32 s1, s9
; %bb.315:
	v_sub_f32_e32 v3, v3, v3
	s_delay_alu instid0(VALU_DEP_1) | instskip(NEXT) | instid1(VALU_DEP_1)
	v_div_scale_f32 v6, vcc_lo, v3, v3, v3
	v_rcp_f32_e32 v7, v6
	s_waitcnt_depctr 0xfff
	v_fma_f32 v13, -v6, v7, 1.0
	s_delay_alu instid0(VALU_DEP_1) | instskip(NEXT) | instid1(VALU_DEP_1)
	v_fmac_f32_e32 v7, v13, v7
	v_mul_f32_e32 v13, v6, v7
	s_delay_alu instid0(VALU_DEP_1) | instskip(NEXT) | instid1(VALU_DEP_1)
	v_fma_f32 v14, -v6, v13, v6
	v_fmac_f32_e32 v13, v14, v7
	s_delay_alu instid0(VALU_DEP_1) | instskip(NEXT) | instid1(VALU_DEP_1)
	v_fma_f32 v6, -v6, v13, v6
	v_div_fmas_f32 v6, v6, v7, v13
	s_delay_alu instid0(VALU_DEP_1)
	v_div_fixup_f32 v3, v6, v3, v3
; %bb.316:
	s_or_b32 exec_lo, exec_lo, s1
	v_mov_b32_e32 v13, v2
.LBB172_317:
	s_or_b32 exec_lo, exec_lo, s7
.LBB172_318:
	s_delay_alu instid0(SALU_CYCLE_1) | instskip(NEXT) | instid1(VALU_DEP_1)
	s_or_b32 exec_lo, exec_lo, s6
	v_cmp_gt_f32_e32 vcc_lo, 0, v13
                                        ; implicit-def: $vgpr7
	s_mov_b32 s1, exec_lo
	v_cndmask_b32_e64 v2, v13, -v13, vcc_lo
	v_cmp_gt_f32_e32 vcc_lo, 0, v3
	v_cndmask_b32_e64 v14, v3, -v3, vcc_lo
	s_delay_alu instid0(VALU_DEP_1)
	v_cmpx_ge_f32_e32 v2, v14
	s_xor_b32 s2, exec_lo, s1
	s_cbranch_execz .LBB172_324
; %bb.319:
	v_cmp_neq_f32_e32 vcc_lo, 0, v13
	v_cmp_neq_f32_e64 s1, 0, v3
                                        ; implicit-def: $vgpr7
	s_delay_alu instid0(VALU_DEP_1) | instskip(NEXT) | instid1(SALU_CYCLE_1)
	s_or_b32 s1, vcc_lo, s1
	s_and_saveexec_b32 s6, s1
	s_delay_alu instid0(SALU_CYCLE_1)
	s_xor_b32 s1, exec_lo, s6
	s_cbranch_execz .LBB172_321
; %bb.320:
	v_div_scale_f32 v2, null, v13, v13, v3
	v_div_scale_f32 v14, vcc_lo, v3, v13, v3
	s_delay_alu instid0(VALU_DEP_2) | instskip(SKIP_2) | instid1(VALU_DEP_1)
	v_rcp_f32_e32 v6, v2
	s_waitcnt_depctr 0xfff
	v_fma_f32 v7, -v2, v6, 1.0
	v_fmac_f32_e32 v6, v7, v6
	s_delay_alu instid0(VALU_DEP_1) | instskip(NEXT) | instid1(VALU_DEP_1)
	v_mul_f32_e32 v7, v14, v6
	v_fma_f32 v15, -v2, v7, v14
	s_delay_alu instid0(VALU_DEP_1) | instskip(NEXT) | instid1(VALU_DEP_1)
	v_fmac_f32_e32 v7, v15, v6
	v_fma_f32 v2, -v2, v7, v14
	s_delay_alu instid0(VALU_DEP_1) | instskip(NEXT) | instid1(VALU_DEP_1)
	v_div_fmas_f32 v2, v2, v6, v7
	v_div_fixup_f32 v2, v2, v13, v3
	s_delay_alu instid0(VALU_DEP_1) | instskip(NEXT) | instid1(VALU_DEP_1)
	v_fmac_f32_e32 v13, v3, v2
	v_div_scale_f32 v3, null, v13, v13, 1.0
	v_div_scale_f32 v14, vcc_lo, 1.0, v13, 1.0
	s_delay_alu instid0(VALU_DEP_2) | instskip(SKIP_2) | instid1(VALU_DEP_1)
	v_rcp_f32_e32 v6, v3
	s_waitcnt_depctr 0xfff
	v_fma_f32 v7, -v3, v6, 1.0
	v_fmac_f32_e32 v6, v7, v6
	s_delay_alu instid0(VALU_DEP_1) | instskip(NEXT) | instid1(VALU_DEP_1)
	v_mul_f32_e32 v7, v14, v6
	v_fma_f32 v15, -v3, v7, v14
	s_delay_alu instid0(VALU_DEP_1) | instskip(NEXT) | instid1(VALU_DEP_1)
	v_fmac_f32_e32 v7, v15, v6
	v_fma_f32 v3, -v3, v7, v14
                                        ; implicit-def: $vgpr14
	s_delay_alu instid0(VALU_DEP_1) | instskip(SKIP_1) | instid1(VALU_DEP_2)
	v_div_fmas_f32 v3, v3, v6, v7
	v_fma_f32 v6, v2, 0, 1.0
	v_div_fixup_f32 v3, v3, v13, 1.0
	s_delay_alu instid0(VALU_DEP_1)
	v_mul_f32_e32 v6, v6, v3
	v_mul_f32_e64 v7, -v2, v3
                                        ; implicit-def: $vgpr2
.LBB172_321:
	s_and_not1_saveexec_b32 s6, s1
	s_cbranch_execz .LBB172_323
; %bb.322:
	v_div_scale_f32 v3, null, v2, v2, 1.0
	v_div_scale_f32 v6, null, v14, v14, 0
	v_div_scale_f32 v17, vcc_lo, 1.0, v2, 1.0
	s_delay_alu instid0(VALU_DEP_3) | instskip(NEXT) | instid1(VALU_DEP_2)
	v_rcp_f32_e32 v7, v3
	v_rcp_f32_e32 v13, v6
	s_waitcnt_depctr 0xfff
	v_fma_f32 v15, -v3, v7, 1.0
	v_fma_f32 v16, -v6, v13, 1.0
	s_delay_alu instid0(VALU_DEP_1) | instskip(NEXT) | instid1(VALU_DEP_3)
	v_fmac_f32_e32 v13, v16, v13
	v_fmac_f32_e32 v7, v15, v7
	v_div_scale_f32 v15, s1, 0, v14, 0
	s_delay_alu instid0(VALU_DEP_1) | instskip(NEXT) | instid1(VALU_DEP_1)
	v_mul_f32_e32 v18, v15, v13
	v_fma_f32 v20, -v6, v18, v15
	s_delay_alu instid0(VALU_DEP_1) | instskip(SKIP_1) | instid1(VALU_DEP_2)
	v_fmac_f32_e32 v18, v20, v13
	v_mul_f32_e32 v16, v17, v7
	v_fma_f32 v6, -v6, v18, v15
	s_delay_alu instid0(VALU_DEP_2) | instskip(NEXT) | instid1(VALU_DEP_1)
	v_fma_f32 v19, -v3, v16, v17
	v_fmac_f32_e32 v16, v19, v7
	s_delay_alu instid0(VALU_DEP_1) | instskip(NEXT) | instid1(VALU_DEP_1)
	v_fma_f32 v3, -v3, v16, v17
	v_div_fmas_f32 v3, v3, v7, v16
	s_mov_b32 vcc_lo, s1
	v_div_fmas_f32 v7, v6, v13, v18
	s_delay_alu instid0(VALU_DEP_2) | instskip(NEXT) | instid1(VALU_DEP_2)
	v_div_fixup_f32 v6, v3, v2, 1.0
	v_div_fixup_f32 v7, v7, v14, 0
.LBB172_323:
	s_or_b32 exec_lo, exec_lo, s6
                                        ; implicit-def: $vgpr3
                                        ; implicit-def: $vgpr13
.LBB172_324:
	s_and_not1_saveexec_b32 s1, s2
	s_cbranch_execz .LBB172_326
; %bb.325:
	v_div_scale_f32 v2, null, v3, v3, v13
	v_div_scale_f32 v14, vcc_lo, v13, v3, v13
	s_delay_alu instid0(VALU_DEP_2) | instskip(SKIP_2) | instid1(VALU_DEP_1)
	v_rcp_f32_e32 v6, v2
	s_waitcnt_depctr 0xfff
	v_fma_f32 v7, -v2, v6, 1.0
	v_fmac_f32_e32 v6, v7, v6
	s_delay_alu instid0(VALU_DEP_1) | instskip(NEXT) | instid1(VALU_DEP_1)
	v_mul_f32_e32 v7, v14, v6
	v_fma_f32 v15, -v2, v7, v14
	s_delay_alu instid0(VALU_DEP_1) | instskip(NEXT) | instid1(VALU_DEP_1)
	v_fmac_f32_e32 v7, v15, v6
	v_fma_f32 v2, -v2, v7, v14
	s_delay_alu instid0(VALU_DEP_1) | instskip(NEXT) | instid1(VALU_DEP_1)
	v_div_fmas_f32 v2, v2, v6, v7
	v_div_fixup_f32 v2, v2, v3, v13
	s_delay_alu instid0(VALU_DEP_1) | instskip(NEXT) | instid1(VALU_DEP_1)
	v_fmac_f32_e32 v3, v13, v2
	v_div_scale_f32 v6, null, v3, v3, 1.0
	v_div_scale_f32 v14, vcc_lo, 1.0, v3, 1.0
	s_delay_alu instid0(VALU_DEP_2) | instskip(SKIP_2) | instid1(VALU_DEP_1)
	v_rcp_f32_e32 v7, v6
	s_waitcnt_depctr 0xfff
	v_fma_f32 v13, -v6, v7, 1.0
	v_fmac_f32_e32 v7, v13, v7
	s_delay_alu instid0(VALU_DEP_1) | instskip(NEXT) | instid1(VALU_DEP_1)
	v_mul_f32_e32 v13, v14, v7
	v_fma_f32 v15, -v6, v13, v14
	s_delay_alu instid0(VALU_DEP_1) | instskip(NEXT) | instid1(VALU_DEP_1)
	v_fmac_f32_e32 v13, v15, v7
	v_fma_f32 v6, -v6, v13, v14
	s_delay_alu instid0(VALU_DEP_1) | instskip(SKIP_2) | instid1(VALU_DEP_3)
	v_div_fmas_f32 v6, v6, v7, v13
	v_add_f32_e32 v7, 0, v2
	v_fma_f32 v2, v2, 0, -1.0
	v_div_fixup_f32 v3, v6, v3, 1.0
	s_delay_alu instid0(VALU_DEP_1) | instskip(NEXT) | instid1(VALU_DEP_3)
	v_mul_f32_e32 v6, v7, v3
	v_mul_f32_e32 v7, v2, v3
.LBB172_326:
	s_or_b32 exec_lo, exec_lo, s1
	s_delay_alu instid0(SALU_CYCLE_1) | instskip(SKIP_1) | instid1(SALU_CYCLE_1)
	s_or_b32 exec_lo, exec_lo, s3
	s_and_saveexec_b32 s1, s0
	s_xor_b32 s0, exec_lo, s1
	s_cbranch_execnz .LBB172_297
.LBB172_327:
	s_or_b32 exec_lo, exec_lo, s0
	s_delay_alu instid0(SALU_CYCLE_1)
	s_mov_b32 s0, exec_lo
	v_cmpx_gt_i32_e64 s10, v0
	s_cbranch_execz .LBB172_298
.LBB172_328:
	v_dual_mov_b32 v2, 0 :: v_dual_add_nc_u32 v1, s8, v0
	v_add_nc_u32_e32 v0, 0x100, v0
	s_delay_alu instid0(VALU_DEP_2) | instskip(NEXT) | instid1(VALU_DEP_1)
	v_lshlrev_b64 v[1:2], 3, v[1:2]
	v_add_co_u32 v1, vcc_lo, s4, v1
	s_delay_alu instid0(VALU_DEP_2) | instskip(SKIP_2) | instid1(SALU_CYCLE_1)
	v_add_co_ci_u32_e32 v2, vcc_lo, s5, v2, vcc_lo
	global_store_b64 v[1:2], v[8:9], off
	s_or_b32 exec_lo, exec_lo, s0
	s_mov_b32 s0, exec_lo
	v_cmpx_gt_i32_e64 s10, v0
	s_cbranch_execnz .LBB172_299
.LBB172_329:
	s_or_b32 exec_lo, exec_lo, s0
	s_delay_alu instid0(SALU_CYCLE_1)
	s_mov_b32 s0, exec_lo
	v_cmpx_gt_i32_e64 s10, v0
	s_cbranch_execz .LBB172_331
.LBB172_330:
	v_dual_mov_b32 v1, 0 :: v_dual_add_nc_u32 v0, s8, v0
	s_delay_alu instid0(VALU_DEP_1) | instskip(NEXT) | instid1(VALU_DEP_1)
	v_lshlrev_b64 v[0:1], 3, v[0:1]
	v_add_co_u32 v0, vcc_lo, s4, v0
	s_delay_alu instid0(VALU_DEP_2)
	v_add_co_ci_u32_e32 v1, vcc_lo, s5, v1, vcc_lo
	global_store_b64 v[0:1], v[6:7], off
.LBB172_331:
	s_nop 0
	s_sendmsg sendmsg(MSG_DEALLOC_VGPRS)
	s_endpgm
	.section	.rodata,"a",@progbits
	.p2align	6, 0x0
	.amdhsa_kernel _ZN2at6native29vectorized_elementwise_kernelILi4EZZZNS0_17rsqrt_kernel_cudaERNS_18TensorIteratorBaseEENKUlvE_clEvENKUlvE0_clEvEUlN3c107complexIfEEE_St5arrayIPcLm2EEEEviT0_T1_
		.amdhsa_group_segment_fixed_size 0
		.amdhsa_private_segment_fixed_size 0
		.amdhsa_kernarg_size 24
		.amdhsa_user_sgpr_count 15
		.amdhsa_user_sgpr_dispatch_ptr 0
		.amdhsa_user_sgpr_queue_ptr 0
		.amdhsa_user_sgpr_kernarg_segment_ptr 1
		.amdhsa_user_sgpr_dispatch_id 0
		.amdhsa_user_sgpr_private_segment_size 0
		.amdhsa_wavefront_size32 1
		.amdhsa_uses_dynamic_stack 0
		.amdhsa_enable_private_segment 0
		.amdhsa_system_sgpr_workgroup_id_x 1
		.amdhsa_system_sgpr_workgroup_id_y 0
		.amdhsa_system_sgpr_workgroup_id_z 0
		.amdhsa_system_sgpr_workgroup_info 0
		.amdhsa_system_vgpr_workitem_id 0
		.amdhsa_next_free_vgpr 21
		.amdhsa_next_free_sgpr 17
		.amdhsa_reserve_vcc 1
		.amdhsa_float_round_mode_32 0
		.amdhsa_float_round_mode_16_64 0
		.amdhsa_float_denorm_mode_32 3
		.amdhsa_float_denorm_mode_16_64 3
		.amdhsa_dx10_clamp 1
		.amdhsa_ieee_mode 1
		.amdhsa_fp16_overflow 0
		.amdhsa_workgroup_processor_mode 1
		.amdhsa_memory_ordered 1
		.amdhsa_forward_progress 0
		.amdhsa_shared_vgpr_count 0
		.amdhsa_exception_fp_ieee_invalid_op 0
		.amdhsa_exception_fp_denorm_src 0
		.amdhsa_exception_fp_ieee_div_zero 0
		.amdhsa_exception_fp_ieee_overflow 0
		.amdhsa_exception_fp_ieee_underflow 0
		.amdhsa_exception_fp_ieee_inexact 0
		.amdhsa_exception_int_div_zero 0
	.end_amdhsa_kernel
	.section	.text._ZN2at6native29vectorized_elementwise_kernelILi4EZZZNS0_17rsqrt_kernel_cudaERNS_18TensorIteratorBaseEENKUlvE_clEvENKUlvE0_clEvEUlN3c107complexIfEEE_St5arrayIPcLm2EEEEviT0_T1_,"axG",@progbits,_ZN2at6native29vectorized_elementwise_kernelILi4EZZZNS0_17rsqrt_kernel_cudaERNS_18TensorIteratorBaseEENKUlvE_clEvENKUlvE0_clEvEUlN3c107complexIfEEE_St5arrayIPcLm2EEEEviT0_T1_,comdat
.Lfunc_end172:
	.size	_ZN2at6native29vectorized_elementwise_kernelILi4EZZZNS0_17rsqrt_kernel_cudaERNS_18TensorIteratorBaseEENKUlvE_clEvENKUlvE0_clEvEUlN3c107complexIfEEE_St5arrayIPcLm2EEEEviT0_T1_, .Lfunc_end172-_ZN2at6native29vectorized_elementwise_kernelILi4EZZZNS0_17rsqrt_kernel_cudaERNS_18TensorIteratorBaseEENKUlvE_clEvENKUlvE0_clEvEUlN3c107complexIfEEE_St5arrayIPcLm2EEEEviT0_T1_
                                        ; -- End function
	.section	.AMDGPU.csdata,"",@progbits
; Kernel info:
; codeLenInByte = 16288
; NumSgprs: 19
; NumVgprs: 21
; ScratchSize: 0
; MemoryBound: 0
; FloatMode: 240
; IeeeMode: 1
; LDSByteSize: 0 bytes/workgroup (compile time only)
; SGPRBlocks: 2
; VGPRBlocks: 2
; NumSGPRsForWavesPerEU: 19
; NumVGPRsForWavesPerEU: 21
; Occupancy: 16
; WaveLimiterHint : 0
; COMPUTE_PGM_RSRC2:SCRATCH_EN: 0
; COMPUTE_PGM_RSRC2:USER_SGPR: 15
; COMPUTE_PGM_RSRC2:TRAP_HANDLER: 0
; COMPUTE_PGM_RSRC2:TGID_X_EN: 1
; COMPUTE_PGM_RSRC2:TGID_Y_EN: 0
; COMPUTE_PGM_RSRC2:TGID_Z_EN: 0
; COMPUTE_PGM_RSRC2:TIDIG_COMP_CNT: 0
	.section	.text._ZN2at6native29vectorized_elementwise_kernelILi2EZZZNS0_17rsqrt_kernel_cudaERNS_18TensorIteratorBaseEENKUlvE_clEvENKUlvE0_clEvEUlN3c107complexIfEEE_St5arrayIPcLm2EEEEviT0_T1_,"axG",@progbits,_ZN2at6native29vectorized_elementwise_kernelILi2EZZZNS0_17rsqrt_kernel_cudaERNS_18TensorIteratorBaseEENKUlvE_clEvENKUlvE0_clEvEUlN3c107complexIfEEE_St5arrayIPcLm2EEEEviT0_T1_,comdat
	.globl	_ZN2at6native29vectorized_elementwise_kernelILi2EZZZNS0_17rsqrt_kernel_cudaERNS_18TensorIteratorBaseEENKUlvE_clEvENKUlvE0_clEvEUlN3c107complexIfEEE_St5arrayIPcLm2EEEEviT0_T1_ ; -- Begin function _ZN2at6native29vectorized_elementwise_kernelILi2EZZZNS0_17rsqrt_kernel_cudaERNS_18TensorIteratorBaseEENKUlvE_clEvENKUlvE0_clEvEUlN3c107complexIfEEE_St5arrayIPcLm2EEEEviT0_T1_
	.p2align	8
	.type	_ZN2at6native29vectorized_elementwise_kernelILi2EZZZNS0_17rsqrt_kernel_cudaERNS_18TensorIteratorBaseEENKUlvE_clEvENKUlvE0_clEvEUlN3c107complexIfEEE_St5arrayIPcLm2EEEEviT0_T1_,@function
_ZN2at6native29vectorized_elementwise_kernelILi2EZZZNS0_17rsqrt_kernel_cudaERNS_18TensorIteratorBaseEENKUlvE_clEvENKUlvE0_clEvEUlN3c107complexIfEEE_St5arrayIPcLm2EEEEviT0_T1_: ; @_ZN2at6native29vectorized_elementwise_kernelILi2EZZZNS0_17rsqrt_kernel_cudaERNS_18TensorIteratorBaseEENKUlvE_clEvENKUlvE0_clEvEUlN3c107complexIfEEE_St5arrayIPcLm2EEEEviT0_T1_
; %bb.0:
	s_clause 0x1
	s_load_b32 s2, s[0:1], 0x0
	s_load_b128 s[4:7], s[0:1], 0x8
	s_lshl_b32 s8, s15, 10
	s_mov_b32 s0, -1
	s_waitcnt lgkmcnt(0)
	s_sub_i32 s10, s2, s8
	s_delay_alu instid0(SALU_CYCLE_1)
	s_cmpk_gt_i32 s10, 0x3ff
	s_cbranch_scc0 .LBB173_154
; %bb.1:
	s_ashr_i32 s9, s8, 31
	v_lshlrev_b32_e32 v13, 4, v0
	s_lshl_b64 s[2:3], s[8:9], 3
	v_mov_b32_e32 v11, 0
	s_add_u32 s0, s6, s2
	s_addc_u32 s1, s7, s3
	v_add_co_u32 v1, s9, s0, v13
	s_delay_alu instid0(VALU_DEP_1)
	v_add_co_ci_u32_e64 v2, null, s1, 0, s9
	global_load_b128 v[6:9], v13, s[0:1]
	v_add_co_u32 v1, vcc_lo, 0x1000, v1
	v_add_co_ci_u32_e32 v2, vcc_lo, 0, v2, vcc_lo
	global_load_b128 v[1:4], v[1:2], off
	s_waitcnt vmcnt(1)
	v_cmp_neq_f32_e32 vcc_lo, 0, v6
	v_cmp_neq_f32_e64 s0, 0, v7
	v_mov_b32_e32 v10, v7
	s_delay_alu instid0(VALU_DEP_2) | instskip(NEXT) | instid1(SALU_CYCLE_1)
	s_or_b32 s0, vcc_lo, s0
	s_and_saveexec_b32 s9, s0
	s_cbranch_execz .LBB173_31
; %bb.2:
	v_dual_mov_b32 v11, 0x7f800000 :: v_dual_mov_b32 v10, v7
	s_mov_b32 s11, exec_lo
	v_cmpx_neq_f32_e64 0x7f800000, |v7|
	s_cbranch_execz .LBB173_30
; %bb.3:
                                        ; implicit-def: $vgpr10
                                        ; implicit-def: $vgpr11
	s_mov_b32 s0, exec_lo
	v_cmpx_o_f32_e32 v6, v6
	s_xor_b32 s12, exec_lo, s0
	s_cbranch_execz .LBB173_27
; %bb.4:
                                        ; implicit-def: $vgpr10
                                        ; implicit-def: $vgpr11
	s_mov_b32 s1, exec_lo
	v_cmpx_neq_f32_e64 0x7f800000, |v6|
	s_xor_b32 s13, exec_lo, s1
	s_cbranch_execz .LBB173_20
; %bb.5:
	v_max_f32_e64 v5, |v7|, |v7|
	v_max_f32_e64 v10, |v6|, |v6|
                                        ; implicit-def: $sgpr14
	s_delay_alu instid0(VALU_DEP_1) | instskip(NEXT) | instid1(VALU_DEP_1)
	v_max_f32_e32 v5, v10, v5
                                        ; implicit-def: $vgpr10
	v_cmp_nle_f32_e64 s0, 0x7ed413cb, v5
                                        ; implicit-def: $vgpr5
	s_delay_alu instid0(VALU_DEP_1) | instskip(NEXT) | instid1(SALU_CYCLE_1)
	s_and_saveexec_b32 s1, s0
	s_xor_b32 s1, exec_lo, s1
	s_cbranch_execz .LBB173_9
; %bb.6:
	v_cmp_ge_f32_e64 s14, 0x1000000, |v6|
	v_cmp_ge_f32_e64 s15, 0x1000000, |v7|
	v_dual_mov_b32 v10, v6 :: v_dual_mov_b32 v5, v7
	s_delay_alu instid0(VALU_DEP_2)
	s_and_b32 s16, s14, s15
	s_mov_b32 s14, 0
	s_and_saveexec_b32 s15, s16
; %bb.7:
	v_dual_mul_f32 v10, 4.0, v6 :: v_dual_mul_f32 v5, 4.0, v7
	s_mov_b32 s14, exec_lo
; %bb.8:
	s_or_b32 exec_lo, exec_lo, s15
	s_delay_alu instid0(SALU_CYCLE_1)
	s_and_b32 s14, s14, exec_lo
.LBB173_9:
	s_and_not1_saveexec_b32 s1, s1
; %bb.10:
	v_dual_mul_f32 v10, 0x3e800000, v6 :: v_dual_mul_f32 v5, 0x3e800000, v7
	s_and_not1_b32 s14, s14, exec_lo
; %bb.11:
	s_or_b32 exec_lo, exec_lo, s1
	s_delay_alu instid0(VALU_DEP_1) | instskip(NEXT) | instid1(VALU_DEP_2)
	v_max_f32_e64 v11, |v5|, |v5|
	v_max_f32_e64 v12, |v10|, |v10|
	s_delay_alu instid0(VALU_DEP_1) | instskip(NEXT) | instid1(VALU_DEP_1)
	v_max_f32_e32 v14, v12, v11
	v_cvt_f64_f32_e32 v[11:12], v14
	v_cmp_neq_f32_e64 s1, 0x7f800000, v14
                                        ; implicit-def: $vgpr14
	s_delay_alu instid0(VALU_DEP_2) | instskip(NEXT) | instid1(VALU_DEP_1)
	v_frexp_exp_i32_f64_e32 v11, v[11:12]
	v_sub_nc_u32_e32 v12, 0, v11
	s_delay_alu instid0(VALU_DEP_1) | instskip(SKIP_1) | instid1(VALU_DEP_2)
	v_ldexp_f32 v15, |v5|, v12
	v_ldexp_f32 v12, |v10|, v12
	v_mul_f32_e32 v15, v15, v15
	s_delay_alu instid0(VALU_DEP_1) | instskip(NEXT) | instid1(VALU_DEP_1)
	v_fmac_f32_e32 v15, v12, v12
	v_sqrt_f32_e32 v12, v15
	s_waitcnt_depctr 0xfff
	v_ldexp_f32 v11, v12, v11
                                        ; implicit-def: $vgpr12
	s_delay_alu instid0(VALU_DEP_1)
	v_cndmask_b32_e64 v11, 0x7f800000, v11, s1
	s_mov_b32 s1, exec_lo
	v_cmpx_le_f32_e32 0, v10
	s_xor_b32 s15, exec_lo, s1
	s_cbranch_execz .LBB173_13
; %bb.12:
	v_add_f32_e32 v10, v10, v11
	s_delay_alu instid0(VALU_DEP_1) | instskip(NEXT) | instid1(VALU_DEP_1)
	v_mul_f32_e32 v10, 0.5, v10
	v_mul_f32_e32 v11, 0x4f800000, v10
	v_cmp_gt_f32_e32 vcc_lo, 0xf800000, v10
	s_delay_alu instid0(VALU_DEP_2) | instskip(NEXT) | instid1(VALU_DEP_1)
	v_cndmask_b32_e32 v10, v10, v11, vcc_lo
	v_sqrt_f32_e32 v11, v10
	s_waitcnt_depctr 0xfff
	v_add_nc_u32_e32 v12, -1, v11
	v_add_nc_u32_e32 v14, 1, v11
	s_delay_alu instid0(VALU_DEP_2) | instskip(NEXT) | instid1(VALU_DEP_2)
	v_fma_f32 v15, -v12, v11, v10
	v_fma_f32 v16, -v14, v11, v10
	s_delay_alu instid0(VALU_DEP_2) | instskip(NEXT) | instid1(VALU_DEP_1)
	v_cmp_ge_f32_e64 s1, 0, v15
	v_cndmask_b32_e64 v11, v11, v12, s1
	s_delay_alu instid0(VALU_DEP_3) | instskip(NEXT) | instid1(VALU_DEP_1)
	v_cmp_lt_f32_e64 s1, 0, v16
	v_cndmask_b32_e64 v11, v11, v14, s1
	s_delay_alu instid0(VALU_DEP_1) | instskip(NEXT) | instid1(VALU_DEP_1)
	v_mul_f32_e32 v12, 0x37800000, v11
	v_cndmask_b32_e32 v11, v11, v12, vcc_lo
	v_cmp_class_f32_e64 vcc_lo, v10, 0x260
	s_delay_alu instid0(VALU_DEP_2) | instskip(NEXT) | instid1(VALU_DEP_1)
	v_cndmask_b32_e32 v12, v11, v10, vcc_lo
	v_add_f32_e32 v10, v12, v12
	s_delay_alu instid0(VALU_DEP_1) | instskip(NEXT) | instid1(VALU_DEP_1)
	v_div_scale_f32 v11, null, v10, v10, v5
	v_rcp_f32_e32 v14, v11
	s_waitcnt_depctr 0xfff
	v_fma_f32 v15, -v11, v14, 1.0
	s_delay_alu instid0(VALU_DEP_1) | instskip(SKIP_1) | instid1(VALU_DEP_1)
	v_fmac_f32_e32 v14, v15, v14
	v_div_scale_f32 v15, vcc_lo, v5, v10, v5
	v_mul_f32_e32 v16, v15, v14
	s_delay_alu instid0(VALU_DEP_1) | instskip(NEXT) | instid1(VALU_DEP_1)
	v_fma_f32 v17, -v11, v16, v15
	v_fmac_f32_e32 v16, v17, v14
	s_delay_alu instid0(VALU_DEP_1) | instskip(NEXT) | instid1(VALU_DEP_1)
	v_fma_f32 v11, -v11, v16, v15
	v_div_fmas_f32 v11, v11, v14, v16
	s_delay_alu instid0(VALU_DEP_1)
	v_div_fixup_f32 v14, v11, v10, v5
                                        ; implicit-def: $vgpr11
                                        ; implicit-def: $vgpr10
                                        ; implicit-def: $vgpr5
	s_and_not1_saveexec_b32 s15, s15
	s_cbranch_execz .LBB173_15
	s_branch .LBB173_14
.LBB173_13:
	s_and_not1_saveexec_b32 s15, s15
	s_cbranch_execz .LBB173_15
.LBB173_14:
	v_sub_f32_e32 v10, v11, v10
	s_delay_alu instid0(VALU_DEP_1) | instskip(NEXT) | instid1(VALU_DEP_1)
	v_mul_f32_e32 v10, 0.5, v10
	v_mul_f32_e32 v11, 0x4f800000, v10
	v_cmp_gt_f32_e32 vcc_lo, 0xf800000, v10
	s_delay_alu instid0(VALU_DEP_2) | instskip(NEXT) | instid1(VALU_DEP_1)
	v_cndmask_b32_e32 v10, v10, v11, vcc_lo
	v_sqrt_f32_e32 v11, v10
	s_waitcnt_depctr 0xfff
	v_add_nc_u32_e32 v12, -1, v11
	v_add_nc_u32_e32 v14, 1, v11
	s_delay_alu instid0(VALU_DEP_2) | instskip(NEXT) | instid1(VALU_DEP_2)
	v_fma_f32 v15, -v12, v11, v10
	v_fma_f32 v16, -v14, v11, v10
	s_delay_alu instid0(VALU_DEP_2) | instskip(NEXT) | instid1(VALU_DEP_1)
	v_cmp_ge_f32_e64 s1, 0, v15
	v_cndmask_b32_e64 v11, v11, v12, s1
	s_delay_alu instid0(VALU_DEP_3) | instskip(NEXT) | instid1(VALU_DEP_1)
	v_cmp_lt_f32_e64 s1, 0, v16
	v_cndmask_b32_e64 v11, v11, v14, s1
	s_delay_alu instid0(VALU_DEP_1) | instskip(NEXT) | instid1(VALU_DEP_1)
	v_mul_f32_e32 v12, 0x37800000, v11
	v_cndmask_b32_e32 v11, v11, v12, vcc_lo
	v_cmp_class_f32_e64 vcc_lo, v10, 0x260
	s_delay_alu instid0(VALU_DEP_2) | instskip(NEXT) | instid1(VALU_DEP_1)
	v_dual_cndmask_b32 v10, v11, v10 :: v_dual_and_b32 v11, 0x7fffffff, v5
	v_add_f32_e32 v12, v10, v10
	s_delay_alu instid0(VALU_DEP_1) | instskip(SKIP_1) | instid1(VALU_DEP_2)
	v_div_scale_f32 v14, null, v12, v12, v11
	v_div_scale_f32 v11, vcc_lo, v11, v12, v11
	v_rcp_f32_e32 v15, v14
	s_waitcnt_depctr 0xfff
	v_fma_f32 v16, -v14, v15, 1.0
	s_delay_alu instid0(VALU_DEP_1) | instskip(NEXT) | instid1(VALU_DEP_1)
	v_fmac_f32_e32 v15, v16, v15
	v_mul_f32_e32 v16, v11, v15
	s_delay_alu instid0(VALU_DEP_1) | instskip(NEXT) | instid1(VALU_DEP_1)
	v_fma_f32 v17, -v14, v16, v11
	v_fmac_f32_e32 v16, v17, v15
	s_delay_alu instid0(VALU_DEP_1) | instskip(SKIP_1) | instid1(VALU_DEP_2)
	v_fma_f32 v11, -v14, v16, v11
	v_bfi_b32 v14, 0x7fffffff, v10, v5
	v_div_fmas_f32 v11, v11, v15, v16
	s_delay_alu instid0(VALU_DEP_1)
	v_div_fixup_f32 v12, v11, v12, |v5|
.LBB173_15:
	s_or_b32 exec_lo, exec_lo, s15
                                        ; implicit-def: $vgpr10
                                        ; implicit-def: $vgpr11
	s_and_saveexec_b32 s1, s0
	s_delay_alu instid0(SALU_CYCLE_1)
	s_xor_b32 s0, exec_lo, s1
	s_cbranch_execz .LBB173_17
; %bb.16:
	v_dual_mul_f32 v5, 0.5, v12 :: v_dual_mul_f32 v10, 0.5, v14
	s_delay_alu instid0(VALU_DEP_1) | instskip(NEXT) | instid1(VALU_DEP_2)
	v_cndmask_b32_e64 v11, v12, v5, s14
	v_cndmask_b32_e64 v10, v14, v10, s14
                                        ; implicit-def: $vgpr12
                                        ; implicit-def: $vgpr14
	s_and_not1_saveexec_b32 s0, s0
	s_cbranch_execnz .LBB173_18
	s_branch .LBB173_19
.LBB173_17:
	s_and_not1_saveexec_b32 s0, s0
.LBB173_18:
	v_dual_add_f32 v11, v12, v12 :: v_dual_add_f32 v10, v14, v14
.LBB173_19:
	s_or_b32 exec_lo, exec_lo, s0
.LBB173_20:
	s_and_not1_saveexec_b32 s0, s13
	s_cbranch_execz .LBB173_26
; %bb.21:
	v_sub_f32_e32 v5, v7, v7
	s_mov_b32 s1, exec_lo
                                        ; implicit-def: $vgpr10
	v_cmpx_lt_i32_e32 -1, v6
	s_xor_b32 s1, exec_lo, s1
; %bb.22:
	s_delay_alu instid0(VALU_DEP_2)
	v_bfi_b32 v10, 0x7fffffff, v5, v7
                                        ; implicit-def: $vgpr5
; %bb.23:
	s_or_saveexec_b32 s1, s1
	v_mov_b32_e32 v11, v6
	s_xor_b32 exec_lo, exec_lo, s1
; %bb.24:
	v_and_b32_e32 v11, 0x7fffffff, v5
	v_bfi_b32 v10, 0x7fffffff, v6, v7
; %bb.25:
	s_or_b32 exec_lo, exec_lo, s1
.LBB173_26:
	s_delay_alu instid0(SALU_CYCLE_1)
	s_or_b32 exec_lo, exec_lo, s0
.LBB173_27:
	s_and_not1_saveexec_b32 s0, s12
	s_cbranch_execz .LBB173_29
; %bb.28:
	v_sub_f32_e32 v5, v7, v7
	s_delay_alu instid0(VALU_DEP_1) | instskip(NEXT) | instid1(VALU_DEP_1)
	v_div_scale_f32 v7, vcc_lo, v5, v5, v5
	v_rcp_f32_e32 v10, v7
	s_waitcnt_depctr 0xfff
	v_fma_f32 v11, -v7, v10, 1.0
	s_delay_alu instid0(VALU_DEP_1) | instskip(NEXT) | instid1(VALU_DEP_1)
	v_fmac_f32_e32 v10, v11, v10
	v_mul_f32_e32 v11, v7, v10
	s_delay_alu instid0(VALU_DEP_1) | instskip(NEXT) | instid1(VALU_DEP_1)
	v_fma_f32 v12, -v7, v11, v7
	v_fmac_f32_e32 v11, v12, v10
	s_delay_alu instid0(VALU_DEP_1) | instskip(NEXT) | instid1(VALU_DEP_1)
	v_fma_f32 v7, -v7, v11, v7
	v_div_fmas_f32 v7, v7, v10, v11
	v_mov_b32_e32 v11, v6
	s_delay_alu instid0(VALU_DEP_2)
	v_div_fixup_f32 v10, v7, v5, v5
.LBB173_29:
	s_or_b32 exec_lo, exec_lo, s0
.LBB173_30:
	s_delay_alu instid0(SALU_CYCLE_1)
	s_or_b32 exec_lo, exec_lo, s11
.LBB173_31:
	s_delay_alu instid0(SALU_CYCLE_1)
	s_or_b32 exec_lo, exec_lo, s9
	v_cmp_gt_f32_e32 vcc_lo, 0, v11
                                        ; implicit-def: $vgpr6
	s_mov_b32 s0, exec_lo
	v_cndmask_b32_e64 v7, v11, -v11, vcc_lo
	v_cmp_gt_f32_e32 vcc_lo, 0, v10
	v_cndmask_b32_e64 v12, v10, -v10, vcc_lo
	s_delay_alu instid0(VALU_DEP_1)
	v_cmpx_ge_f32_e32 v7, v12
	s_xor_b32 s1, exec_lo, s0
	s_cbranch_execz .LBB173_37
; %bb.32:
	v_cmp_neq_f32_e32 vcc_lo, 0, v11
	v_cmp_neq_f32_e64 s0, 0, v10
                                        ; implicit-def: $vgpr6
	s_delay_alu instid0(VALU_DEP_1) | instskip(NEXT) | instid1(SALU_CYCLE_1)
	s_or_b32 s0, vcc_lo, s0
	s_and_saveexec_b32 s9, s0
	s_delay_alu instid0(SALU_CYCLE_1)
	s_xor_b32 s0, exec_lo, s9
	s_cbranch_execz .LBB173_34
; %bb.33:
	v_div_scale_f32 v5, null, v11, v11, v10
	v_div_scale_f32 v12, vcc_lo, v10, v11, v10
	s_delay_alu instid0(VALU_DEP_2) | instskip(SKIP_2) | instid1(VALU_DEP_1)
	v_rcp_f32_e32 v6, v5
	s_waitcnt_depctr 0xfff
	v_fma_f32 v7, -v5, v6, 1.0
	v_fmac_f32_e32 v6, v7, v6
	s_delay_alu instid0(VALU_DEP_1) | instskip(NEXT) | instid1(VALU_DEP_1)
	v_mul_f32_e32 v7, v12, v6
	v_fma_f32 v14, -v5, v7, v12
	s_delay_alu instid0(VALU_DEP_1) | instskip(NEXT) | instid1(VALU_DEP_1)
	v_fmac_f32_e32 v7, v14, v6
	v_fma_f32 v5, -v5, v7, v12
	s_delay_alu instid0(VALU_DEP_1) | instskip(NEXT) | instid1(VALU_DEP_1)
	v_div_fmas_f32 v5, v5, v6, v7
	v_div_fixup_f32 v6, v5, v11, v10
	s_delay_alu instid0(VALU_DEP_1) | instskip(NEXT) | instid1(VALU_DEP_1)
	v_fmac_f32_e32 v11, v10, v6
	v_div_scale_f32 v5, null, v11, v11, 1.0
	v_div_scale_f32 v12, vcc_lo, 1.0, v11, 1.0
	s_delay_alu instid0(VALU_DEP_2) | instskip(SKIP_2) | instid1(VALU_DEP_1)
	v_rcp_f32_e32 v7, v5
	s_waitcnt_depctr 0xfff
	v_fma_f32 v10, -v5, v7, 1.0
	v_fmac_f32_e32 v7, v10, v7
	s_delay_alu instid0(VALU_DEP_1) | instskip(NEXT) | instid1(VALU_DEP_1)
	v_mul_f32_e32 v10, v12, v7
	v_fma_f32 v14, -v5, v10, v12
	s_delay_alu instid0(VALU_DEP_1) | instskip(NEXT) | instid1(VALU_DEP_1)
	v_fmac_f32_e32 v10, v14, v7
	v_fma_f32 v5, -v5, v10, v12
                                        ; implicit-def: $vgpr12
	s_delay_alu instid0(VALU_DEP_1) | instskip(SKIP_1) | instid1(VALU_DEP_2)
	v_div_fmas_f32 v5, v5, v7, v10
	v_fma_f32 v7, v6, 0, 1.0
	v_div_fixup_f32 v10, v5, v11, 1.0
	s_delay_alu instid0(VALU_DEP_1)
	v_mul_f32_e32 v5, v7, v10
	v_mul_f32_e64 v6, -v6, v10
                                        ; implicit-def: $vgpr7
.LBB173_34:
	s_and_not1_saveexec_b32 s9, s0
	s_cbranch_execz .LBB173_36
; %bb.35:
	v_div_scale_f32 v5, null, v7, v7, 1.0
	v_div_scale_f32 v6, null, v12, v12, 0
	v_div_scale_f32 v16, vcc_lo, 1.0, v7, 1.0
	s_delay_alu instid0(VALU_DEP_3) | instskip(NEXT) | instid1(VALU_DEP_2)
	v_rcp_f32_e32 v10, v5
	v_rcp_f32_e32 v11, v6
	s_waitcnt_depctr 0xfff
	v_fma_f32 v14, -v5, v10, 1.0
	v_fma_f32 v15, -v6, v11, 1.0
	s_delay_alu instid0(VALU_DEP_1) | instskip(SKIP_1) | instid1(VALU_DEP_2)
	v_dual_fmac_f32 v10, v14, v10 :: v_dual_fmac_f32 v11, v15, v11
	v_div_scale_f32 v14, s0, 0, v12, 0
	v_mul_f32_e32 v15, v16, v10
	s_delay_alu instid0(VALU_DEP_2) | instskip(NEXT) | instid1(VALU_DEP_2)
	v_mul_f32_e32 v17, v14, v11
	v_fma_f32 v18, -v5, v15, v16
	s_delay_alu instid0(VALU_DEP_2) | instskip(NEXT) | instid1(VALU_DEP_2)
	v_fma_f32 v19, -v6, v17, v14
	v_fmac_f32_e32 v15, v18, v10
	s_delay_alu instid0(VALU_DEP_2) | instskip(NEXT) | instid1(VALU_DEP_2)
	v_fmac_f32_e32 v17, v19, v11
	v_fma_f32 v5, -v5, v15, v16
	s_delay_alu instid0(VALU_DEP_2) | instskip(NEXT) | instid1(VALU_DEP_2)
	v_fma_f32 v6, -v6, v17, v14
	v_div_fmas_f32 v5, v5, v10, v15
	s_mov_b32 vcc_lo, s0
	s_delay_alu instid0(VALU_DEP_2) | instskip(NEXT) | instid1(VALU_DEP_2)
	v_div_fmas_f32 v6, v6, v11, v17
	v_div_fixup_f32 v5, v5, v7, 1.0
	s_delay_alu instid0(VALU_DEP_2)
	v_div_fixup_f32 v6, v6, v12, 0
.LBB173_36:
	s_or_b32 exec_lo, exec_lo, s9
                                        ; implicit-def: $vgpr10
                                        ; implicit-def: $vgpr11
.LBB173_37:
	s_and_not1_saveexec_b32 s0, s1
	s_cbranch_execz .LBB173_39
; %bb.38:
	v_div_scale_f32 v5, null, v10, v10, v11
	v_div_scale_f32 v12, vcc_lo, v11, v10, v11
	s_delay_alu instid0(VALU_DEP_2) | instskip(SKIP_2) | instid1(VALU_DEP_1)
	v_rcp_f32_e32 v6, v5
	s_waitcnt_depctr 0xfff
	v_fma_f32 v7, -v5, v6, 1.0
	v_fmac_f32_e32 v6, v7, v6
	s_delay_alu instid0(VALU_DEP_1) | instskip(NEXT) | instid1(VALU_DEP_1)
	v_mul_f32_e32 v7, v12, v6
	v_fma_f32 v14, -v5, v7, v12
	s_delay_alu instid0(VALU_DEP_1) | instskip(NEXT) | instid1(VALU_DEP_1)
	v_fmac_f32_e32 v7, v14, v6
	v_fma_f32 v5, -v5, v7, v12
	s_delay_alu instid0(VALU_DEP_1) | instskip(NEXT) | instid1(VALU_DEP_1)
	v_div_fmas_f32 v5, v5, v6, v7
	v_div_fixup_f32 v5, v5, v10, v11
	s_delay_alu instid0(VALU_DEP_1) | instskip(NEXT) | instid1(VALU_DEP_1)
	v_fmac_f32_e32 v10, v11, v5
	v_div_scale_f32 v6, null, v10, v10, 1.0
	v_div_scale_f32 v12, vcc_lo, 1.0, v10, 1.0
	s_delay_alu instid0(VALU_DEP_2) | instskip(SKIP_2) | instid1(VALU_DEP_1)
	v_rcp_f32_e32 v7, v6
	s_waitcnt_depctr 0xfff
	v_fma_f32 v11, -v6, v7, 1.0
	v_fmac_f32_e32 v7, v11, v7
	s_delay_alu instid0(VALU_DEP_1) | instskip(NEXT) | instid1(VALU_DEP_1)
	v_mul_f32_e32 v11, v12, v7
	v_fma_f32 v14, -v6, v11, v12
	s_delay_alu instid0(VALU_DEP_1) | instskip(NEXT) | instid1(VALU_DEP_1)
	v_fmac_f32_e32 v11, v14, v7
	v_fma_f32 v6, -v6, v11, v12
	s_delay_alu instid0(VALU_DEP_1) | instskip(SKIP_1) | instid1(VALU_DEP_2)
	v_div_fmas_f32 v6, v6, v7, v11
	v_add_f32_e32 v7, 0, v5
	v_div_fixup_f32 v6, v6, v10, 1.0
	v_fma_f32 v10, v5, 0, -1.0
	s_delay_alu instid0(VALU_DEP_2) | instskip(NEXT) | instid1(VALU_DEP_2)
	v_mul_f32_e32 v5, v7, v6
	v_mul_f32_e32 v6, v10, v6
.LBB173_39:
	s_or_b32 exec_lo, exec_lo, s0
	v_cmp_neq_f32_e32 vcc_lo, 0, v8
	v_cmp_neq_f32_e64 s0, 0, v9
	v_mov_b32_e32 v10, 0
	s_delay_alu instid0(VALU_DEP_2) | instskip(NEXT) | instid1(SALU_CYCLE_1)
	s_or_b32 s0, vcc_lo, s0
	s_and_saveexec_b32 s9, s0
	s_cbranch_execz .LBB173_69
; %bb.40:
	v_mov_b32_e32 v10, 0x7f800000
	s_mov_b32 s11, exec_lo
	v_cmpx_neq_f32_e64 0x7f800000, |v9|
	s_cbranch_execz .LBB173_68
; %bb.41:
	s_mov_b32 s0, exec_lo
	v_cmpx_o_f32_e32 v8, v8
	s_xor_b32 s12, exec_lo, s0
	s_cbranch_execz .LBB173_65
; %bb.42:
	s_mov_b32 s1, exec_lo
	v_cmpx_neq_f32_e64 0x7f800000, |v8|
	s_xor_b32 s13, exec_lo, s1
	s_cbranch_execz .LBB173_58
; %bb.43:
	v_max_f32_e64 v7, |v9|, |v9|
	v_max_f32_e64 v10, |v8|, |v8|
                                        ; implicit-def: $sgpr14
	s_delay_alu instid0(VALU_DEP_1) | instskip(NEXT) | instid1(VALU_DEP_1)
	v_max_f32_e32 v7, v10, v7
	v_cmp_nle_f32_e64 s0, 0x7ed413cb, v7
	s_delay_alu instid0(VALU_DEP_1) | instskip(NEXT) | instid1(SALU_CYCLE_1)
	s_and_saveexec_b32 s1, s0
	s_xor_b32 s1, exec_lo, s1
	s_cbranch_execz .LBB173_47
; %bb.44:
	v_cmp_ge_f32_e64 s14, 0x1000000, |v8|
	v_cmp_ge_f32_e64 s15, 0x1000000, |v9|
	s_delay_alu instid0(VALU_DEP_1)
	s_and_b32 s16, s14, s15
	s_mov_b32 s14, 0
	s_and_saveexec_b32 s15, s16
; %bb.45:
	v_dual_mul_f32 v8, 4.0, v8 :: v_dual_mul_f32 v9, 4.0, v9
	s_mov_b32 s14, exec_lo
; %bb.46:
	s_or_b32 exec_lo, exec_lo, s15
	s_delay_alu instid0(SALU_CYCLE_1)
	s_and_b32 s14, s14, exec_lo
.LBB173_47:
	s_and_not1_saveexec_b32 s1, s1
; %bb.48:
	v_dual_mul_f32 v8, 0x3e800000, v8 :: v_dual_mul_f32 v9, 0x3e800000, v9
	s_and_not1_b32 s14, s14, exec_lo
; %bb.49:
	s_or_b32 exec_lo, exec_lo, s1
	s_delay_alu instid0(VALU_DEP_1) | instskip(NEXT) | instid1(VALU_DEP_2)
	v_max_f32_e64 v7, |v9|, |v9|
	v_max_f32_e64 v10, |v8|, |v8|
	s_delay_alu instid0(VALU_DEP_1) | instskip(NEXT) | instid1(VALU_DEP_1)
	v_max_f32_e32 v7, v10, v7
	v_cvt_f64_f32_e32 v[10:11], v7
	s_delay_alu instid0(VALU_DEP_1) | instskip(NEXT) | instid1(VALU_DEP_1)
	v_frexp_exp_i32_f64_e32 v10, v[10:11]
	v_sub_nc_u32_e32 v11, 0, v10
	s_delay_alu instid0(VALU_DEP_1) | instskip(SKIP_1) | instid1(VALU_DEP_2)
	v_ldexp_f32 v12, |v9|, v11
	v_ldexp_f32 v11, |v8|, v11
	v_mul_f32_e32 v12, v12, v12
	v_cmp_neq_f32_e64 s1, 0x7f800000, v7
                                        ; implicit-def: $vgpr7
	s_delay_alu instid0(VALU_DEP_2) | instskip(NEXT) | instid1(VALU_DEP_1)
	v_fmac_f32_e32 v12, v11, v11
	v_sqrt_f32_e32 v11, v12
	s_waitcnt_depctr 0xfff
	v_ldexp_f32 v10, v11, v10
	s_delay_alu instid0(VALU_DEP_1)
	v_cndmask_b32_e64 v11, 0x7f800000, v10, s1
                                        ; implicit-def: $vgpr10
	s_mov_b32 s1, exec_lo
	v_cmpx_le_f32_e32 0, v8
	s_xor_b32 s15, exec_lo, s1
	s_cbranch_execz .LBB173_51
; %bb.50:
	v_add_f32_e32 v7, v8, v11
	s_delay_alu instid0(VALU_DEP_1) | instskip(NEXT) | instid1(VALU_DEP_1)
	v_mul_f32_e32 v7, 0.5, v7
	v_mul_f32_e32 v8, 0x4f800000, v7
	v_cmp_gt_f32_e32 vcc_lo, 0xf800000, v7
	s_delay_alu instid0(VALU_DEP_2) | instskip(NEXT) | instid1(VALU_DEP_1)
	v_cndmask_b32_e32 v7, v7, v8, vcc_lo
	v_sqrt_f32_e32 v8, v7
	s_waitcnt_depctr 0xfff
	v_add_nc_u32_e32 v10, -1, v8
	v_add_nc_u32_e32 v11, 1, v8
	s_delay_alu instid0(VALU_DEP_2) | instskip(NEXT) | instid1(VALU_DEP_2)
	v_fma_f32 v12, -v10, v8, v7
	v_fma_f32 v14, -v11, v8, v7
	s_delay_alu instid0(VALU_DEP_2) | instskip(NEXT) | instid1(VALU_DEP_1)
	v_cmp_ge_f32_e64 s1, 0, v12
	v_cndmask_b32_e64 v8, v8, v10, s1
	s_delay_alu instid0(VALU_DEP_3) | instskip(NEXT) | instid1(VALU_DEP_1)
	v_cmp_lt_f32_e64 s1, 0, v14
	v_cndmask_b32_e64 v8, v8, v11, s1
	s_delay_alu instid0(VALU_DEP_1) | instskip(NEXT) | instid1(VALU_DEP_1)
	v_mul_f32_e32 v10, 0x37800000, v8
	v_cndmask_b32_e32 v8, v8, v10, vcc_lo
	v_cmp_class_f32_e64 vcc_lo, v7, 0x260
	s_delay_alu instid0(VALU_DEP_2) | instskip(NEXT) | instid1(VALU_DEP_1)
	v_cndmask_b32_e32 v7, v8, v7, vcc_lo
	v_add_f32_e32 v8, v7, v7
	s_delay_alu instid0(VALU_DEP_1) | instskip(NEXT) | instid1(VALU_DEP_1)
	v_div_scale_f32 v10, null, v8, v8, v9
	v_rcp_f32_e32 v11, v10
	s_waitcnt_depctr 0xfff
	v_fma_f32 v12, -v10, v11, 1.0
	s_delay_alu instid0(VALU_DEP_1) | instskip(SKIP_1) | instid1(VALU_DEP_1)
	v_fmac_f32_e32 v11, v12, v11
	v_div_scale_f32 v12, vcc_lo, v9, v8, v9
	v_mul_f32_e32 v14, v12, v11
	s_delay_alu instid0(VALU_DEP_1) | instskip(NEXT) | instid1(VALU_DEP_1)
	v_fma_f32 v15, -v10, v14, v12
	v_fmac_f32_e32 v14, v15, v11
	s_delay_alu instid0(VALU_DEP_1) | instskip(NEXT) | instid1(VALU_DEP_1)
	v_fma_f32 v10, -v10, v14, v12
	v_div_fmas_f32 v10, v10, v11, v14
                                        ; implicit-def: $vgpr11
	s_delay_alu instid0(VALU_DEP_1)
	v_div_fixup_f32 v10, v10, v8, v9
                                        ; implicit-def: $vgpr8
	s_and_not1_saveexec_b32 s15, s15
	s_cbranch_execz .LBB173_53
	s_branch .LBB173_52
.LBB173_51:
	s_and_not1_saveexec_b32 s15, s15
	s_cbranch_execz .LBB173_53
.LBB173_52:
	v_sub_f32_e32 v7, v11, v8
	s_delay_alu instid0(VALU_DEP_1) | instskip(NEXT) | instid1(VALU_DEP_1)
	v_mul_f32_e32 v7, 0.5, v7
	v_mul_f32_e32 v8, 0x4f800000, v7
	v_cmp_gt_f32_e32 vcc_lo, 0xf800000, v7
	s_delay_alu instid0(VALU_DEP_2) | instskip(NEXT) | instid1(VALU_DEP_1)
	v_cndmask_b32_e32 v7, v7, v8, vcc_lo
	v_sqrt_f32_e32 v8, v7
	s_waitcnt_depctr 0xfff
	v_add_nc_u32_e32 v10, -1, v8
	v_add_nc_u32_e32 v11, 1, v8
	s_delay_alu instid0(VALU_DEP_2) | instskip(NEXT) | instid1(VALU_DEP_2)
	v_fma_f32 v12, -v10, v8, v7
	v_fma_f32 v14, -v11, v8, v7
	s_delay_alu instid0(VALU_DEP_2) | instskip(NEXT) | instid1(VALU_DEP_1)
	v_cmp_ge_f32_e64 s1, 0, v12
	v_cndmask_b32_e64 v8, v8, v10, s1
	s_delay_alu instid0(VALU_DEP_3) | instskip(NEXT) | instid1(VALU_DEP_1)
	v_cmp_lt_f32_e64 s1, 0, v14
	v_cndmask_b32_e64 v8, v8, v11, s1
	s_delay_alu instid0(VALU_DEP_1) | instskip(NEXT) | instid1(VALU_DEP_1)
	v_mul_f32_e32 v10, 0x37800000, v8
	v_cndmask_b32_e32 v8, v8, v10, vcc_lo
	v_cmp_class_f32_e64 vcc_lo, v7, 0x260
	s_delay_alu instid0(VALU_DEP_2) | instskip(NEXT) | instid1(VALU_DEP_1)
	v_dual_cndmask_b32 v8, v8, v7 :: v_dual_and_b32 v7, 0x7fffffff, v9
	v_add_f32_e32 v10, v8, v8
	s_delay_alu instid0(VALU_DEP_1) | instskip(SKIP_1) | instid1(VALU_DEP_2)
	v_div_scale_f32 v11, null, v10, v10, v7
	v_div_scale_f32 v7, vcc_lo, v7, v10, v7
	v_rcp_f32_e32 v12, v11
	s_waitcnt_depctr 0xfff
	v_fma_f32 v14, -v11, v12, 1.0
	s_delay_alu instid0(VALU_DEP_1) | instskip(NEXT) | instid1(VALU_DEP_1)
	v_fmac_f32_e32 v12, v14, v12
	v_mul_f32_e32 v14, v7, v12
	s_delay_alu instid0(VALU_DEP_1) | instskip(NEXT) | instid1(VALU_DEP_1)
	v_fma_f32 v15, -v11, v14, v7
	v_fmac_f32_e32 v14, v15, v12
	s_delay_alu instid0(VALU_DEP_1) | instskip(NEXT) | instid1(VALU_DEP_1)
	v_fma_f32 v7, -v11, v14, v7
	v_div_fmas_f32 v7, v7, v12, v14
	s_delay_alu instid0(VALU_DEP_1)
	v_div_fixup_f32 v7, v7, v10, |v9|
	v_bfi_b32 v10, 0x7fffffff, v8, v9
.LBB173_53:
	s_or_b32 exec_lo, exec_lo, s15
                                        ; implicit-def: $vgpr9
	s_and_saveexec_b32 s1, s0
	s_delay_alu instid0(SALU_CYCLE_1)
	s_xor_b32 s0, exec_lo, s1
	s_cbranch_execz .LBB173_55
; %bb.54:
	v_dual_mul_f32 v8, 0.5, v7 :: v_dual_mul_f32 v9, 0.5, v10
	s_delay_alu instid0(VALU_DEP_1) | instskip(NEXT) | instid1(VALU_DEP_2)
	v_cndmask_b32_e64 v8, v7, v8, s14
	v_cndmask_b32_e64 v9, v10, v9, s14
                                        ; implicit-def: $vgpr7
                                        ; implicit-def: $vgpr10
	s_and_not1_saveexec_b32 s0, s0
	s_cbranch_execnz .LBB173_56
	s_branch .LBB173_57
.LBB173_55:
	s_and_not1_saveexec_b32 s0, s0
.LBB173_56:
	v_dual_add_f32 v8, v7, v7 :: v_dual_add_f32 v9, v10, v10
.LBB173_57:
	s_or_b32 exec_lo, exec_lo, s0
.LBB173_58:
	s_and_not1_saveexec_b32 s0, s13
	s_cbranch_execz .LBB173_64
; %bb.59:
	s_delay_alu instid0(VALU_DEP_1)
	v_sub_f32_e32 v7, v9, v9
	s_mov_b32 s1, exec_lo
	v_cmpx_lt_i32_e32 -1, v8
	s_xor_b32 s1, exec_lo, s1
; %bb.60:
	s_delay_alu instid0(VALU_DEP_2)
	v_bfi_b32 v9, 0x7fffffff, v7, v9
                                        ; implicit-def: $vgpr7
; %bb.61:
	s_and_not1_saveexec_b32 s1, s1
; %bb.62:
	v_and_b32_e32 v7, 0x7fffffff, v7
	s_delay_alu instid0(VALU_DEP_2) | instskip(NEXT) | instid1(VALU_DEP_2)
	v_bfi_b32 v9, 0x7fffffff, v8, v9
	v_mov_b32_e32 v8, v7
; %bb.63:
	s_or_b32 exec_lo, exec_lo, s1
.LBB173_64:
	s_delay_alu instid0(SALU_CYCLE_1)
	s_or_b32 exec_lo, exec_lo, s0
.LBB173_65:
	s_and_not1_saveexec_b32 s0, s12
; %bb.66:
	v_sub_f32_e32 v7, v9, v9
	s_delay_alu instid0(VALU_DEP_1) | instskip(NEXT) | instid1(VALU_DEP_1)
	v_div_scale_f32 v9, vcc_lo, v7, v7, v7
	v_rcp_f32_e32 v10, v9
	s_waitcnt_depctr 0xfff
	v_fma_f32 v11, -v9, v10, 1.0
	s_delay_alu instid0(VALU_DEP_1) | instskip(NEXT) | instid1(VALU_DEP_1)
	v_fmac_f32_e32 v10, v11, v10
	v_mul_f32_e32 v11, v9, v10
	s_delay_alu instid0(VALU_DEP_1) | instskip(NEXT) | instid1(VALU_DEP_1)
	v_fma_f32 v12, -v9, v11, v9
	v_fmac_f32_e32 v11, v12, v10
	s_delay_alu instid0(VALU_DEP_1) | instskip(NEXT) | instid1(VALU_DEP_1)
	v_fma_f32 v9, -v9, v11, v9
	v_div_fmas_f32 v9, v9, v10, v11
	s_delay_alu instid0(VALU_DEP_1)
	v_div_fixup_f32 v9, v9, v7, v7
; %bb.67:
	s_or_b32 exec_lo, exec_lo, s0
	v_mov_b32_e32 v10, v8
.LBB173_68:
	s_or_b32 exec_lo, exec_lo, s11
.LBB173_69:
	s_delay_alu instid0(SALU_CYCLE_1) | instskip(NEXT) | instid1(VALU_DEP_1)
	s_or_b32 exec_lo, exec_lo, s9
	v_cmp_gt_f32_e32 vcc_lo, 0, v10
	s_mov_b32 s0, exec_lo
	v_cndmask_b32_e64 v11, v10, -v10, vcc_lo
	v_cmp_gt_f32_e32 vcc_lo, 0, v9
	v_cndmask_b32_e64 v12, v9, -v9, vcc_lo
	s_delay_alu instid0(VALU_DEP_1)
	v_cmpx_ge_f32_e32 v11, v12
	s_xor_b32 s1, exec_lo, s0
	s_cbranch_execz .LBB173_75
; %bb.70:
	v_cmp_neq_f32_e32 vcc_lo, 0, v10
	v_cmp_neq_f32_e64 s0, 0, v9
	s_delay_alu instid0(VALU_DEP_1) | instskip(NEXT) | instid1(SALU_CYCLE_1)
	s_or_b32 s0, vcc_lo, s0
	s_and_saveexec_b32 s9, s0
	s_delay_alu instid0(SALU_CYCLE_1)
	s_xor_b32 s0, exec_lo, s9
	s_cbranch_execz .LBB173_72
; %bb.71:
	v_div_scale_f32 v7, null, v10, v10, v9
	v_div_scale_f32 v12, vcc_lo, v9, v10, v9
	s_delay_alu instid0(VALU_DEP_2) | instskip(SKIP_2) | instid1(VALU_DEP_1)
	v_rcp_f32_e32 v8, v7
	s_waitcnt_depctr 0xfff
	v_fma_f32 v11, -v7, v8, 1.0
	v_fmac_f32_e32 v8, v11, v8
	s_delay_alu instid0(VALU_DEP_1) | instskip(NEXT) | instid1(VALU_DEP_1)
	v_mul_f32_e32 v11, v12, v8
	v_fma_f32 v14, -v7, v11, v12
	s_delay_alu instid0(VALU_DEP_1) | instskip(NEXT) | instid1(VALU_DEP_1)
	v_fmac_f32_e32 v11, v14, v8
	v_fma_f32 v7, -v7, v11, v12
	s_delay_alu instid0(VALU_DEP_1) | instskip(NEXT) | instid1(VALU_DEP_1)
	v_div_fmas_f32 v7, v7, v8, v11
	v_div_fixup_f32 v8, v7, v10, v9
	s_delay_alu instid0(VALU_DEP_1) | instskip(NEXT) | instid1(VALU_DEP_1)
	v_fmac_f32_e32 v10, v9, v8
	v_div_scale_f32 v7, null, v10, v10, 1.0
	s_delay_alu instid0(VALU_DEP_1) | instskip(SKIP_2) | instid1(VALU_DEP_1)
	v_rcp_f32_e32 v9, v7
	s_waitcnt_depctr 0xfff
	v_fma_f32 v11, -v7, v9, 1.0
	v_fmac_f32_e32 v9, v11, v9
	v_div_scale_f32 v12, vcc_lo, 1.0, v10, 1.0
	s_delay_alu instid0(VALU_DEP_1) | instskip(NEXT) | instid1(VALU_DEP_1)
	v_mul_f32_e32 v11, v12, v9
	v_fma_f32 v14, -v7, v11, v12
	s_delay_alu instid0(VALU_DEP_1) | instskip(NEXT) | instid1(VALU_DEP_1)
	v_fmac_f32_e32 v11, v14, v9
	v_fma_f32 v7, -v7, v11, v12
                                        ; implicit-def: $vgpr12
	s_delay_alu instid0(VALU_DEP_1) | instskip(SKIP_1) | instid1(VALU_DEP_2)
	v_div_fmas_f32 v7, v7, v9, v11
	v_fma_f32 v9, v8, 0, 1.0
                                        ; implicit-def: $vgpr11
	v_div_fixup_f32 v10, v7, v10, 1.0
	s_delay_alu instid0(VALU_DEP_1)
	v_mul_f32_e32 v7, v9, v10
	v_mul_f32_e64 v8, -v8, v10
.LBB173_72:
	s_and_not1_saveexec_b32 s9, s0
	s_cbranch_execz .LBB173_74
; %bb.73:
	v_div_scale_f32 v7, null, v11, v11, 1.0
	v_div_scale_f32 v8, null, v12, v12, 0
	v_div_scale_f32 v16, vcc_lo, 1.0, v11, 1.0
	s_delay_alu instid0(VALU_DEP_3) | instskip(NEXT) | instid1(VALU_DEP_2)
	v_rcp_f32_e32 v9, v7
	v_rcp_f32_e32 v10, v8
	s_waitcnt_depctr 0xfff
	v_fma_f32 v14, -v7, v9, 1.0
	v_fma_f32 v15, -v8, v10, 1.0
	s_delay_alu instid0(VALU_DEP_1) | instskip(SKIP_1) | instid1(VALU_DEP_2)
	v_dual_fmac_f32 v9, v14, v9 :: v_dual_fmac_f32 v10, v15, v10
	v_div_scale_f32 v14, s0, 0, v12, 0
	v_mul_f32_e32 v15, v16, v9
	s_delay_alu instid0(VALU_DEP_2) | instskip(NEXT) | instid1(VALU_DEP_2)
	v_mul_f32_e32 v17, v14, v10
	v_fma_f32 v18, -v7, v15, v16
	s_delay_alu instid0(VALU_DEP_2) | instskip(NEXT) | instid1(VALU_DEP_2)
	v_fma_f32 v19, -v8, v17, v14
	v_fmac_f32_e32 v15, v18, v9
	s_delay_alu instid0(VALU_DEP_2) | instskip(NEXT) | instid1(VALU_DEP_2)
	v_fmac_f32_e32 v17, v19, v10
	v_fma_f32 v7, -v7, v15, v16
	s_delay_alu instid0(VALU_DEP_2) | instskip(NEXT) | instid1(VALU_DEP_2)
	v_fma_f32 v8, -v8, v17, v14
	v_div_fmas_f32 v7, v7, v9, v15
	s_mov_b32 vcc_lo, s0
	s_delay_alu instid0(VALU_DEP_2) | instskip(NEXT) | instid1(VALU_DEP_2)
	v_div_fmas_f32 v8, v8, v10, v17
	v_div_fixup_f32 v7, v7, v11, 1.0
	s_delay_alu instid0(VALU_DEP_2)
	v_div_fixup_f32 v8, v8, v12, 0
.LBB173_74:
	s_or_b32 exec_lo, exec_lo, s9
                                        ; implicit-def: $vgpr9
                                        ; implicit-def: $vgpr10
.LBB173_75:
	s_and_not1_saveexec_b32 s0, s1
	s_cbranch_execz .LBB173_77
; %bb.76:
	v_div_scale_f32 v7, null, v9, v9, v10
	v_div_scale_f32 v12, vcc_lo, v10, v9, v10
	s_delay_alu instid0(VALU_DEP_2) | instskip(SKIP_2) | instid1(VALU_DEP_1)
	v_rcp_f32_e32 v8, v7
	s_waitcnt_depctr 0xfff
	v_fma_f32 v11, -v7, v8, 1.0
	v_fmac_f32_e32 v8, v11, v8
	s_delay_alu instid0(VALU_DEP_1) | instskip(NEXT) | instid1(VALU_DEP_1)
	v_mul_f32_e32 v11, v12, v8
	v_fma_f32 v14, -v7, v11, v12
	s_delay_alu instid0(VALU_DEP_1) | instskip(NEXT) | instid1(VALU_DEP_1)
	v_fmac_f32_e32 v11, v14, v8
	v_fma_f32 v7, -v7, v11, v12
	s_delay_alu instid0(VALU_DEP_1) | instskip(NEXT) | instid1(VALU_DEP_1)
	v_div_fmas_f32 v7, v7, v8, v11
	v_div_fixup_f32 v7, v7, v9, v10
	s_delay_alu instid0(VALU_DEP_1) | instskip(NEXT) | instid1(VALU_DEP_1)
	v_fmac_f32_e32 v9, v10, v7
	v_div_scale_f32 v8, null, v9, v9, 1.0
	v_div_scale_f32 v12, vcc_lo, 1.0, v9, 1.0
	s_delay_alu instid0(VALU_DEP_2) | instskip(SKIP_2) | instid1(VALU_DEP_1)
	v_rcp_f32_e32 v10, v8
	s_waitcnt_depctr 0xfff
	v_fma_f32 v11, -v8, v10, 1.0
	v_fmac_f32_e32 v10, v11, v10
	s_delay_alu instid0(VALU_DEP_1) | instskip(NEXT) | instid1(VALU_DEP_1)
	v_mul_f32_e32 v11, v12, v10
	v_fma_f32 v14, -v8, v11, v12
	s_delay_alu instid0(VALU_DEP_1) | instskip(NEXT) | instid1(VALU_DEP_1)
	v_fmac_f32_e32 v11, v14, v10
	v_fma_f32 v8, -v8, v11, v12
	s_delay_alu instid0(VALU_DEP_1) | instskip(SKIP_1) | instid1(VALU_DEP_2)
	v_div_fmas_f32 v8, v8, v10, v11
	v_add_f32_e32 v10, 0, v7
	v_div_fixup_f32 v8, v8, v9, 1.0
	v_fma_f32 v9, v7, 0, -1.0
	s_delay_alu instid0(VALU_DEP_2) | instskip(NEXT) | instid1(VALU_DEP_2)
	v_mul_f32_e32 v7, v10, v8
	v_mul_f32_e32 v8, v9, v8
.LBB173_77:
	s_or_b32 exec_lo, exec_lo, s0
	s_waitcnt vmcnt(0)
	v_cmp_neq_f32_e32 vcc_lo, 0, v1
	v_cmp_neq_f32_e64 s0, 0, v2
	v_dual_mov_b32 v12, 0 :: v_dual_mov_b32 v11, v2
	s_delay_alu instid0(VALU_DEP_2) | instskip(NEXT) | instid1(SALU_CYCLE_1)
	s_or_b32 s0, vcc_lo, s0
	s_and_saveexec_b32 s9, s0
	s_cbranch_execz .LBB173_107
; %bb.78:
	v_dual_mov_b32 v12, 0x7f800000 :: v_dual_mov_b32 v11, v2
	s_mov_b32 s11, exec_lo
	v_cmpx_neq_f32_e64 0x7f800000, |v2|
	s_cbranch_execz .LBB173_106
; %bb.79:
                                        ; implicit-def: $vgpr11
                                        ; implicit-def: $vgpr12
	s_mov_b32 s0, exec_lo
	v_cmpx_o_f32_e32 v1, v1
	s_xor_b32 s12, exec_lo, s0
	s_cbranch_execz .LBB173_103
; %bb.80:
                                        ; implicit-def: $vgpr11
                                        ; implicit-def: $vgpr12
	s_mov_b32 s1, exec_lo
	v_cmpx_neq_f32_e64 0x7f800000, |v1|
	s_xor_b32 s13, exec_lo, s1
	s_cbranch_execz .LBB173_96
; %bb.81:
	v_max_f32_e64 v9, |v2|, |v2|
	v_max_f32_e64 v10, |v1|, |v1|
                                        ; implicit-def: $sgpr14
	s_delay_alu instid0(VALU_DEP_1) | instskip(NEXT) | instid1(VALU_DEP_1)
	v_max_f32_e32 v9, v10, v9
                                        ; implicit-def: $vgpr10
	v_cmp_nle_f32_e64 s0, 0x7ed413cb, v9
                                        ; implicit-def: $vgpr9
	s_delay_alu instid0(VALU_DEP_1) | instskip(NEXT) | instid1(SALU_CYCLE_1)
	s_and_saveexec_b32 s1, s0
	s_xor_b32 s1, exec_lo, s1
	s_cbranch_execz .LBB173_85
; %bb.82:
	v_cmp_ge_f32_e64 s14, 0x1000000, |v1|
	v_cmp_ge_f32_e64 s15, 0x1000000, |v2|
	v_dual_mov_b32 v10, v1 :: v_dual_mov_b32 v9, v2
	s_delay_alu instid0(VALU_DEP_2)
	s_and_b32 s16, s14, s15
	s_mov_b32 s14, 0
	s_and_saveexec_b32 s15, s16
; %bb.83:
	v_dual_mul_f32 v10, 4.0, v1 :: v_dual_mul_f32 v9, 4.0, v2
	s_mov_b32 s14, exec_lo
; %bb.84:
	s_or_b32 exec_lo, exec_lo, s15
	s_delay_alu instid0(SALU_CYCLE_1)
	s_and_b32 s14, s14, exec_lo
.LBB173_85:
	s_and_not1_saveexec_b32 s1, s1
; %bb.86:
	v_dual_mul_f32 v10, 0x3e800000, v1 :: v_dual_mul_f32 v9, 0x3e800000, v2
	s_and_not1_b32 s14, s14, exec_lo
; %bb.87:
	s_or_b32 exec_lo, exec_lo, s1
	s_delay_alu instid0(VALU_DEP_1) | instskip(NEXT) | instid1(VALU_DEP_2)
	v_max_f32_e64 v11, |v9|, |v9|
	v_max_f32_e64 v12, |v10|, |v10|
	s_delay_alu instid0(VALU_DEP_1) | instskip(NEXT) | instid1(VALU_DEP_1)
	v_max_f32_e32 v14, v12, v11
	v_cvt_f64_f32_e32 v[11:12], v14
	v_cmp_neq_f32_e64 s1, 0x7f800000, v14
                                        ; implicit-def: $vgpr14
	s_delay_alu instid0(VALU_DEP_2) | instskip(NEXT) | instid1(VALU_DEP_1)
	v_frexp_exp_i32_f64_e32 v11, v[11:12]
	v_sub_nc_u32_e32 v12, 0, v11
	s_delay_alu instid0(VALU_DEP_1) | instskip(SKIP_1) | instid1(VALU_DEP_2)
	v_ldexp_f32 v15, |v9|, v12
	v_ldexp_f32 v12, |v10|, v12
	v_mul_f32_e32 v15, v15, v15
	s_delay_alu instid0(VALU_DEP_1) | instskip(NEXT) | instid1(VALU_DEP_1)
	v_fmac_f32_e32 v15, v12, v12
	v_sqrt_f32_e32 v12, v15
                                        ; implicit-def: $vgpr15
	s_waitcnt_depctr 0xfff
	v_ldexp_f32 v11, v12, v11
	s_delay_alu instid0(VALU_DEP_1)
	v_cndmask_b32_e64 v11, 0x7f800000, v11, s1
	s_mov_b32 s1, exec_lo
	v_cmpx_le_f32_e32 0, v10
	s_xor_b32 s15, exec_lo, s1
	s_cbranch_execz .LBB173_89
; %bb.88:
	v_add_f32_e32 v10, v10, v11
	s_delay_alu instid0(VALU_DEP_1) | instskip(NEXT) | instid1(VALU_DEP_1)
	v_mul_f32_e32 v10, 0.5, v10
	v_mul_f32_e32 v11, 0x4f800000, v10
	v_cmp_gt_f32_e32 vcc_lo, 0xf800000, v10
	s_delay_alu instid0(VALU_DEP_2) | instskip(NEXT) | instid1(VALU_DEP_1)
	v_cndmask_b32_e32 v10, v10, v11, vcc_lo
	v_sqrt_f32_e32 v11, v10
	s_waitcnt_depctr 0xfff
	v_add_nc_u32_e32 v12, -1, v11
	v_add_nc_u32_e32 v14, 1, v11
	s_delay_alu instid0(VALU_DEP_2) | instskip(NEXT) | instid1(VALU_DEP_2)
	v_fma_f32 v15, -v12, v11, v10
	v_fma_f32 v16, -v14, v11, v10
	s_delay_alu instid0(VALU_DEP_2) | instskip(NEXT) | instid1(VALU_DEP_1)
	v_cmp_ge_f32_e64 s1, 0, v15
	v_cndmask_b32_e64 v11, v11, v12, s1
	s_delay_alu instid0(VALU_DEP_3) | instskip(NEXT) | instid1(VALU_DEP_1)
	v_cmp_lt_f32_e64 s1, 0, v16
	v_cndmask_b32_e64 v11, v11, v14, s1
	s_delay_alu instid0(VALU_DEP_1) | instskip(NEXT) | instid1(VALU_DEP_1)
	v_mul_f32_e32 v12, 0x37800000, v11
	v_cndmask_b32_e32 v11, v11, v12, vcc_lo
	v_cmp_class_f32_e64 vcc_lo, v10, 0x260
	s_delay_alu instid0(VALU_DEP_2) | instskip(NEXT) | instid1(VALU_DEP_1)
	v_cndmask_b32_e32 v14, v11, v10, vcc_lo
	v_add_f32_e32 v10, v14, v14
	s_delay_alu instid0(VALU_DEP_1) | instskip(NEXT) | instid1(VALU_DEP_1)
	v_div_scale_f32 v11, null, v10, v10, v9
	v_rcp_f32_e32 v12, v11
	s_waitcnt_depctr 0xfff
	v_fma_f32 v15, -v11, v12, 1.0
	s_delay_alu instid0(VALU_DEP_1) | instskip(SKIP_1) | instid1(VALU_DEP_1)
	v_fmac_f32_e32 v12, v15, v12
	v_div_scale_f32 v15, vcc_lo, v9, v10, v9
	v_mul_f32_e32 v16, v15, v12
	s_delay_alu instid0(VALU_DEP_1) | instskip(NEXT) | instid1(VALU_DEP_1)
	v_fma_f32 v17, -v11, v16, v15
	v_fmac_f32_e32 v16, v17, v12
	s_delay_alu instid0(VALU_DEP_1) | instskip(NEXT) | instid1(VALU_DEP_1)
	v_fma_f32 v11, -v11, v16, v15
	v_div_fmas_f32 v11, v11, v12, v16
	s_delay_alu instid0(VALU_DEP_1)
	v_div_fixup_f32 v15, v11, v10, v9
                                        ; implicit-def: $vgpr11
                                        ; implicit-def: $vgpr10
                                        ; implicit-def: $vgpr9
	s_and_not1_saveexec_b32 s15, s15
	s_cbranch_execz .LBB173_91
	s_branch .LBB173_90
.LBB173_89:
	s_and_not1_saveexec_b32 s15, s15
	s_cbranch_execz .LBB173_91
.LBB173_90:
	v_sub_f32_e32 v10, v11, v10
	s_delay_alu instid0(VALU_DEP_1) | instskip(NEXT) | instid1(VALU_DEP_1)
	v_mul_f32_e32 v10, 0.5, v10
	v_mul_f32_e32 v11, 0x4f800000, v10
	v_cmp_gt_f32_e32 vcc_lo, 0xf800000, v10
	s_delay_alu instid0(VALU_DEP_2) | instskip(NEXT) | instid1(VALU_DEP_1)
	v_cndmask_b32_e32 v10, v10, v11, vcc_lo
	v_sqrt_f32_e32 v11, v10
	s_waitcnt_depctr 0xfff
	v_add_nc_u32_e32 v12, -1, v11
	v_add_nc_u32_e32 v14, 1, v11
	s_delay_alu instid0(VALU_DEP_2) | instskip(NEXT) | instid1(VALU_DEP_2)
	v_fma_f32 v15, -v12, v11, v10
	v_fma_f32 v16, -v14, v11, v10
	s_delay_alu instid0(VALU_DEP_2) | instskip(NEXT) | instid1(VALU_DEP_1)
	v_cmp_ge_f32_e64 s1, 0, v15
	v_cndmask_b32_e64 v11, v11, v12, s1
	s_delay_alu instid0(VALU_DEP_3) | instskip(NEXT) | instid1(VALU_DEP_1)
	v_cmp_lt_f32_e64 s1, 0, v16
	v_cndmask_b32_e64 v11, v11, v14, s1
	s_delay_alu instid0(VALU_DEP_1) | instskip(NEXT) | instid1(VALU_DEP_1)
	v_mul_f32_e32 v12, 0x37800000, v11
	v_cndmask_b32_e32 v11, v11, v12, vcc_lo
	v_cmp_class_f32_e64 vcc_lo, v10, 0x260
	s_delay_alu instid0(VALU_DEP_2) | instskip(NEXT) | instid1(VALU_DEP_1)
	v_dual_cndmask_b32 v10, v11, v10 :: v_dual_and_b32 v11, 0x7fffffff, v9
	v_add_f32_e32 v12, v10, v10
	s_delay_alu instid0(VALU_DEP_1) | instskip(SKIP_1) | instid1(VALU_DEP_2)
	v_div_scale_f32 v14, null, v12, v12, v11
	v_div_scale_f32 v11, vcc_lo, v11, v12, v11
	v_rcp_f32_e32 v15, v14
	s_waitcnt_depctr 0xfff
	v_fma_f32 v16, -v14, v15, 1.0
	s_delay_alu instid0(VALU_DEP_1) | instskip(NEXT) | instid1(VALU_DEP_1)
	v_fmac_f32_e32 v15, v16, v15
	v_mul_f32_e32 v16, v11, v15
	s_delay_alu instid0(VALU_DEP_1) | instskip(NEXT) | instid1(VALU_DEP_1)
	v_fma_f32 v17, -v14, v16, v11
	v_fmac_f32_e32 v16, v17, v15
	s_delay_alu instid0(VALU_DEP_1) | instskip(NEXT) | instid1(VALU_DEP_1)
	v_fma_f32 v11, -v14, v16, v11
	v_div_fmas_f32 v11, v11, v15, v16
	v_bfi_b32 v15, 0x7fffffff, v10, v9
	s_delay_alu instid0(VALU_DEP_2)
	v_div_fixup_f32 v14, v11, v12, |v9|
.LBB173_91:
	s_or_b32 exec_lo, exec_lo, s15
                                        ; implicit-def: $vgpr11
                                        ; implicit-def: $vgpr12
	s_and_saveexec_b32 s1, s0
	s_delay_alu instid0(SALU_CYCLE_1)
	s_xor_b32 s0, exec_lo, s1
	s_cbranch_execz .LBB173_93
; %bb.92:
	v_dual_mul_f32 v9, 0.5, v14 :: v_dual_mul_f32 v10, 0.5, v15
	s_delay_alu instid0(VALU_DEP_1) | instskip(NEXT) | instid1(VALU_DEP_2)
	v_cndmask_b32_e64 v12, v14, v9, s14
	v_cndmask_b32_e64 v11, v15, v10, s14
                                        ; implicit-def: $vgpr14
                                        ; implicit-def: $vgpr15
	s_and_not1_saveexec_b32 s0, s0
	s_cbranch_execnz .LBB173_94
	s_branch .LBB173_95
.LBB173_93:
	s_and_not1_saveexec_b32 s0, s0
.LBB173_94:
	v_dual_add_f32 v12, v14, v14 :: v_dual_add_f32 v11, v15, v15
.LBB173_95:
	s_or_b32 exec_lo, exec_lo, s0
.LBB173_96:
	s_and_not1_saveexec_b32 s0, s13
	s_cbranch_execz .LBB173_102
; %bb.97:
	v_sub_f32_e32 v9, v2, v2
	s_mov_b32 s1, exec_lo
                                        ; implicit-def: $vgpr11
	v_cmpx_lt_i32_e32 -1, v1
	s_xor_b32 s1, exec_lo, s1
; %bb.98:
	s_delay_alu instid0(VALU_DEP_2)
	v_bfi_b32 v11, 0x7fffffff, v9, v2
                                        ; implicit-def: $vgpr9
; %bb.99:
	s_or_saveexec_b32 s1, s1
	v_mov_b32_e32 v12, v1
	s_xor_b32 exec_lo, exec_lo, s1
; %bb.100:
	v_and_b32_e32 v12, 0x7fffffff, v9
	v_bfi_b32 v11, 0x7fffffff, v1, v2
; %bb.101:
	s_or_b32 exec_lo, exec_lo, s1
.LBB173_102:
	s_delay_alu instid0(SALU_CYCLE_1)
	s_or_b32 exec_lo, exec_lo, s0
.LBB173_103:
	s_and_not1_saveexec_b32 s0, s12
; %bb.104:
	v_sub_f32_e32 v2, v2, v2
	s_delay_alu instid0(VALU_DEP_1) | instskip(NEXT) | instid1(VALU_DEP_1)
	v_div_scale_f32 v9, vcc_lo, v2, v2, v2
	v_rcp_f32_e32 v10, v9
	s_waitcnt_depctr 0xfff
	v_fma_f32 v11, -v9, v10, 1.0
	s_delay_alu instid0(VALU_DEP_1) | instskip(NEXT) | instid1(VALU_DEP_1)
	v_fmac_f32_e32 v10, v11, v10
	v_mul_f32_e32 v11, v9, v10
	s_delay_alu instid0(VALU_DEP_1) | instskip(NEXT) | instid1(VALU_DEP_1)
	v_fma_f32 v12, -v9, v11, v9
	v_dual_fmac_f32 v11, v12, v10 :: v_dual_mov_b32 v12, v1
	s_delay_alu instid0(VALU_DEP_1) | instskip(NEXT) | instid1(VALU_DEP_1)
	v_fma_f32 v9, -v9, v11, v9
	v_div_fmas_f32 v9, v9, v10, v11
	s_delay_alu instid0(VALU_DEP_1)
	v_div_fixup_f32 v11, v9, v2, v2
; %bb.105:
	s_or_b32 exec_lo, exec_lo, s0
.LBB173_106:
	s_delay_alu instid0(SALU_CYCLE_1)
	s_or_b32 exec_lo, exec_lo, s11
.LBB173_107:
	s_delay_alu instid0(SALU_CYCLE_1)
	s_or_b32 exec_lo, exec_lo, s9
	v_cmp_gt_f32_e32 vcc_lo, 0, v12
                                        ; implicit-def: $vgpr10
	s_mov_b32 s0, exec_lo
	v_cndmask_b32_e64 v1, v12, -v12, vcc_lo
	v_cmp_gt_f32_e32 vcc_lo, 0, v11
	v_cndmask_b32_e64 v2, v11, -v11, vcc_lo
	s_delay_alu instid0(VALU_DEP_1)
	v_cmpx_ge_f32_e32 v1, v2
	s_xor_b32 s1, exec_lo, s0
	s_cbranch_execz .LBB173_113
; %bb.108:
	v_cmp_neq_f32_e32 vcc_lo, 0, v12
	v_cmp_neq_f32_e64 s0, 0, v11
                                        ; implicit-def: $vgpr10
	s_delay_alu instid0(VALU_DEP_1) | instskip(NEXT) | instid1(SALU_CYCLE_1)
	s_or_b32 s0, vcc_lo, s0
	s_and_saveexec_b32 s9, s0
	s_delay_alu instid0(SALU_CYCLE_1)
	s_xor_b32 s0, exec_lo, s9
	s_cbranch_execz .LBB173_110
; %bb.109:
	v_div_scale_f32 v1, null, v12, v12, v11
	v_div_scale_f32 v10, vcc_lo, v11, v12, v11
	s_delay_alu instid0(VALU_DEP_2) | instskip(SKIP_2) | instid1(VALU_DEP_1)
	v_rcp_f32_e32 v2, v1
	s_waitcnt_depctr 0xfff
	v_fma_f32 v9, -v1, v2, 1.0
	v_fmac_f32_e32 v2, v9, v2
	s_delay_alu instid0(VALU_DEP_1) | instskip(NEXT) | instid1(VALU_DEP_1)
	v_mul_f32_e32 v9, v10, v2
	v_fma_f32 v14, -v1, v9, v10
	s_delay_alu instid0(VALU_DEP_1) | instskip(NEXT) | instid1(VALU_DEP_1)
	v_fmac_f32_e32 v9, v14, v2
	v_fma_f32 v1, -v1, v9, v10
	s_delay_alu instid0(VALU_DEP_1) | instskip(NEXT) | instid1(VALU_DEP_1)
	v_div_fmas_f32 v1, v1, v2, v9
	v_div_fixup_f32 v1, v1, v12, v11
	s_delay_alu instid0(VALU_DEP_1) | instskip(NEXT) | instid1(VALU_DEP_1)
	v_fmac_f32_e32 v12, v11, v1
	v_div_scale_f32 v2, null, v12, v12, 1.0
	v_div_scale_f32 v11, vcc_lo, 1.0, v12, 1.0
	s_delay_alu instid0(VALU_DEP_2) | instskip(SKIP_2) | instid1(VALU_DEP_1)
	v_rcp_f32_e32 v9, v2
	s_waitcnt_depctr 0xfff
	v_fma_f32 v10, -v2, v9, 1.0
	v_fmac_f32_e32 v9, v10, v9
	s_delay_alu instid0(VALU_DEP_1) | instskip(NEXT) | instid1(VALU_DEP_1)
	v_mul_f32_e32 v10, v11, v9
	v_fma_f32 v14, -v2, v10, v11
	s_delay_alu instid0(VALU_DEP_1) | instskip(NEXT) | instid1(VALU_DEP_1)
	v_fmac_f32_e32 v10, v14, v9
	v_fma_f32 v2, -v2, v10, v11
	s_delay_alu instid0(VALU_DEP_1) | instskip(SKIP_1) | instid1(VALU_DEP_2)
	v_div_fmas_f32 v2, v2, v9, v10
	v_fma_f32 v9, v1, 0, 1.0
	v_div_fixup_f32 v2, v2, v12, 1.0
	s_delay_alu instid0(VALU_DEP_1)
	v_mul_f32_e32 v9, v9, v2
	v_mul_f32_e64 v10, -v1, v2
                                        ; implicit-def: $vgpr1
                                        ; implicit-def: $vgpr2
.LBB173_110:
	s_and_not1_saveexec_b32 s9, s0
	s_cbranch_execz .LBB173_112
; %bb.111:
	v_div_scale_f32 v9, null, v1, v1, 1.0
	v_div_scale_f32 v10, null, v2, v2, 0
	v_div_scale_f32 v16, vcc_lo, 1.0, v1, 1.0
	s_delay_alu instid0(VALU_DEP_3) | instskip(NEXT) | instid1(VALU_DEP_2)
	v_rcp_f32_e32 v11, v9
	v_rcp_f32_e32 v12, v10
	s_waitcnt_depctr 0xfff
	v_fma_f32 v14, -v9, v11, 1.0
	v_fma_f32 v15, -v10, v12, 1.0
	s_delay_alu instid0(VALU_DEP_1) | instskip(SKIP_1) | instid1(VALU_DEP_2)
	v_dual_fmac_f32 v11, v14, v11 :: v_dual_fmac_f32 v12, v15, v12
	v_div_scale_f32 v14, s0, 0, v2, 0
	v_mul_f32_e32 v15, v16, v11
	s_delay_alu instid0(VALU_DEP_2) | instskip(NEXT) | instid1(VALU_DEP_2)
	v_mul_f32_e32 v17, v14, v12
	v_fma_f32 v18, -v9, v15, v16
	s_delay_alu instid0(VALU_DEP_2) | instskip(NEXT) | instid1(VALU_DEP_2)
	v_fma_f32 v19, -v10, v17, v14
	v_fmac_f32_e32 v15, v18, v11
	s_delay_alu instid0(VALU_DEP_2) | instskip(NEXT) | instid1(VALU_DEP_2)
	v_fmac_f32_e32 v17, v19, v12
	v_fma_f32 v9, -v9, v15, v16
	s_delay_alu instid0(VALU_DEP_2) | instskip(NEXT) | instid1(VALU_DEP_2)
	v_fma_f32 v10, -v10, v17, v14
	v_div_fmas_f32 v9, v9, v11, v15
	s_mov_b32 vcc_lo, s0
	s_delay_alu instid0(VALU_DEP_2) | instskip(NEXT) | instid1(VALU_DEP_2)
	v_div_fmas_f32 v10, v10, v12, v17
	v_div_fixup_f32 v9, v9, v1, 1.0
	s_delay_alu instid0(VALU_DEP_2)
	v_div_fixup_f32 v10, v10, v2, 0
.LBB173_112:
	s_or_b32 exec_lo, exec_lo, s9
                                        ; implicit-def: $vgpr11
                                        ; implicit-def: $vgpr12
.LBB173_113:
	s_and_not1_saveexec_b32 s0, s1
	s_cbranch_execz .LBB173_115
; %bb.114:
	v_div_scale_f32 v1, null, v11, v11, v12
	v_div_scale_f32 v10, vcc_lo, v12, v11, v12
	s_delay_alu instid0(VALU_DEP_2) | instskip(SKIP_2) | instid1(VALU_DEP_1)
	v_rcp_f32_e32 v2, v1
	s_waitcnt_depctr 0xfff
	v_fma_f32 v9, -v1, v2, 1.0
	v_fmac_f32_e32 v2, v9, v2
	s_delay_alu instid0(VALU_DEP_1) | instskip(NEXT) | instid1(VALU_DEP_1)
	v_mul_f32_e32 v9, v10, v2
	v_fma_f32 v14, -v1, v9, v10
	s_delay_alu instid0(VALU_DEP_1) | instskip(NEXT) | instid1(VALU_DEP_1)
	v_fmac_f32_e32 v9, v14, v2
	v_fma_f32 v1, -v1, v9, v10
	s_delay_alu instid0(VALU_DEP_1) | instskip(NEXT) | instid1(VALU_DEP_1)
	v_div_fmas_f32 v1, v1, v2, v9
	v_div_fixup_f32 v1, v1, v11, v12
	s_delay_alu instid0(VALU_DEP_1) | instskip(NEXT) | instid1(VALU_DEP_1)
	v_fmac_f32_e32 v11, v12, v1
	v_div_scale_f32 v2, null, v11, v11, 1.0
	v_div_scale_f32 v12, vcc_lo, 1.0, v11, 1.0
	s_delay_alu instid0(VALU_DEP_2) | instskip(SKIP_2) | instid1(VALU_DEP_1)
	v_rcp_f32_e32 v9, v2
	s_waitcnt_depctr 0xfff
	v_fma_f32 v10, -v2, v9, 1.0
	v_fmac_f32_e32 v9, v10, v9
	s_delay_alu instid0(VALU_DEP_1) | instskip(NEXT) | instid1(VALU_DEP_1)
	v_mul_f32_e32 v10, v12, v9
	v_fma_f32 v14, -v2, v10, v12
	s_delay_alu instid0(VALU_DEP_1) | instskip(NEXT) | instid1(VALU_DEP_1)
	v_fmac_f32_e32 v10, v14, v9
	v_fma_f32 v2, -v2, v10, v12
	s_delay_alu instid0(VALU_DEP_1) | instskip(SKIP_2) | instid1(VALU_DEP_3)
	v_div_fmas_f32 v2, v2, v9, v10
	v_add_f32_e32 v9, 0, v1
	v_fma_f32 v1, v1, 0, -1.0
	v_div_fixup_f32 v2, v2, v11, 1.0
	s_delay_alu instid0(VALU_DEP_1) | instskip(NEXT) | instid1(VALU_DEP_3)
	v_mul_f32_e32 v9, v9, v2
	v_mul_f32_e32 v10, v1, v2
.LBB173_115:
	s_or_b32 exec_lo, exec_lo, s0
	v_cmp_neq_f32_e32 vcc_lo, 0, v3
	v_cmp_neq_f32_e64 s0, 0, v4
	v_mov_b32_e32 v1, 0
	s_delay_alu instid0(VALU_DEP_2) | instskip(NEXT) | instid1(SALU_CYCLE_1)
	s_or_b32 s0, vcc_lo, s0
	s_and_saveexec_b32 s9, s0
	s_cbranch_execz .LBB173_145
; %bb.116:
	v_mov_b32_e32 v1, 0x7f800000
	s_mov_b32 s11, exec_lo
	v_cmpx_neq_f32_e64 0x7f800000, |v4|
	s_cbranch_execz .LBB173_144
; %bb.117:
	s_mov_b32 s0, exec_lo
	v_cmpx_o_f32_e32 v3, v3
	s_xor_b32 s12, exec_lo, s0
	s_cbranch_execz .LBB173_141
; %bb.118:
	s_mov_b32 s1, exec_lo
	v_cmpx_neq_f32_e64 0x7f800000, |v3|
	s_xor_b32 s13, exec_lo, s1
	s_cbranch_execz .LBB173_134
; %bb.119:
	v_max_f32_e64 v1, |v4|, |v4|
	v_max_f32_e64 v2, |v3|, |v3|
                                        ; implicit-def: $sgpr14
	s_delay_alu instid0(VALU_DEP_1) | instskip(NEXT) | instid1(VALU_DEP_1)
	v_max_f32_e32 v1, v2, v1
	v_cmp_nle_f32_e64 s0, 0x7ed413cb, v1
	s_delay_alu instid0(VALU_DEP_1) | instskip(NEXT) | instid1(SALU_CYCLE_1)
	s_and_saveexec_b32 s1, s0
	s_xor_b32 s1, exec_lo, s1
	s_cbranch_execz .LBB173_123
; %bb.120:
	v_cmp_ge_f32_e64 s14, 0x1000000, |v3|
	v_cmp_ge_f32_e64 s15, 0x1000000, |v4|
	s_delay_alu instid0(VALU_DEP_1)
	s_and_b32 s16, s14, s15
	s_mov_b32 s14, 0
	s_and_saveexec_b32 s15, s16
; %bb.121:
	v_dual_mul_f32 v3, 4.0, v3 :: v_dual_mul_f32 v4, 4.0, v4
	s_mov_b32 s14, exec_lo
; %bb.122:
	s_or_b32 exec_lo, exec_lo, s15
	s_delay_alu instid0(SALU_CYCLE_1)
	s_and_b32 s14, s14, exec_lo
.LBB173_123:
	s_and_not1_saveexec_b32 s1, s1
; %bb.124:
	v_dual_mul_f32 v3, 0x3e800000, v3 :: v_dual_mul_f32 v4, 0x3e800000, v4
	s_and_not1_b32 s14, s14, exec_lo
; %bb.125:
	s_or_b32 exec_lo, exec_lo, s1
	s_delay_alu instid0(VALU_DEP_1) | instskip(NEXT) | instid1(VALU_DEP_2)
	v_max_f32_e64 v1, |v4|, |v4|
	v_max_f32_e64 v2, |v3|, |v3|
	s_delay_alu instid0(VALU_DEP_1) | instskip(NEXT) | instid1(VALU_DEP_1)
	v_max_f32_e32 v11, v2, v1
	v_cvt_f64_f32_e32 v[1:2], v11
	s_delay_alu instid0(VALU_DEP_1) | instskip(NEXT) | instid1(VALU_DEP_1)
	v_frexp_exp_i32_f64_e32 v1, v[1:2]
	v_sub_nc_u32_e32 v2, 0, v1
	s_delay_alu instid0(VALU_DEP_1) | instskip(SKIP_1) | instid1(VALU_DEP_2)
	v_ldexp_f32 v12, |v4|, v2
	v_ldexp_f32 v2, |v3|, v2
	v_mul_f32_e32 v12, v12, v12
	v_cmp_neq_f32_e64 s1, 0x7f800000, v11
	s_delay_alu instid0(VALU_DEP_2) | instskip(NEXT) | instid1(VALU_DEP_1)
	v_fmac_f32_e32 v12, v2, v2
	v_sqrt_f32_e32 v2, v12
	s_waitcnt_depctr 0xfff
	v_ldexp_f32 v1, v2, v1
                                        ; implicit-def: $vgpr2
	s_delay_alu instid0(VALU_DEP_1)
	v_cndmask_b32_e64 v11, 0x7f800000, v1, s1
                                        ; implicit-def: $vgpr1
	s_mov_b32 s1, exec_lo
	v_cmpx_le_f32_e32 0, v3
	s_xor_b32 s15, exec_lo, s1
	s_cbranch_execz .LBB173_127
; %bb.126:
	v_add_f32_e32 v1, v3, v11
	s_delay_alu instid0(VALU_DEP_1) | instskip(NEXT) | instid1(VALU_DEP_1)
	v_mul_f32_e32 v1, 0.5, v1
	v_mul_f32_e32 v2, 0x4f800000, v1
	v_cmp_gt_f32_e32 vcc_lo, 0xf800000, v1
	s_delay_alu instid0(VALU_DEP_2) | instskip(NEXT) | instid1(VALU_DEP_1)
	v_cndmask_b32_e32 v1, v1, v2, vcc_lo
	v_sqrt_f32_e32 v2, v1
	s_waitcnt_depctr 0xfff
	v_add_nc_u32_e32 v3, -1, v2
	v_add_nc_u32_e32 v11, 1, v2
	s_delay_alu instid0(VALU_DEP_2) | instskip(NEXT) | instid1(VALU_DEP_2)
	v_fma_f32 v12, -v3, v2, v1
	v_fma_f32 v14, -v11, v2, v1
	s_delay_alu instid0(VALU_DEP_2) | instskip(NEXT) | instid1(VALU_DEP_1)
	v_cmp_ge_f32_e64 s1, 0, v12
	v_cndmask_b32_e64 v2, v2, v3, s1
	s_delay_alu instid0(VALU_DEP_3) | instskip(NEXT) | instid1(VALU_DEP_1)
	v_cmp_lt_f32_e64 s1, 0, v14
	v_cndmask_b32_e64 v2, v2, v11, s1
	s_delay_alu instid0(VALU_DEP_1) | instskip(NEXT) | instid1(VALU_DEP_1)
	v_mul_f32_e32 v3, 0x37800000, v2
	v_cndmask_b32_e32 v2, v2, v3, vcc_lo
	v_cmp_class_f32_e64 vcc_lo, v1, 0x260
	s_delay_alu instid0(VALU_DEP_2) | instskip(NEXT) | instid1(VALU_DEP_1)
	v_cndmask_b32_e32 v1, v2, v1, vcc_lo
	v_add_f32_e32 v2, v1, v1
	s_delay_alu instid0(VALU_DEP_1) | instskip(NEXT) | instid1(VALU_DEP_1)
	v_div_scale_f32 v3, null, v2, v2, v4
	v_rcp_f32_e32 v11, v3
	s_waitcnt_depctr 0xfff
	v_fma_f32 v12, -v3, v11, 1.0
	s_delay_alu instid0(VALU_DEP_1) | instskip(SKIP_1) | instid1(VALU_DEP_1)
	v_fmac_f32_e32 v11, v12, v11
	v_div_scale_f32 v12, vcc_lo, v4, v2, v4
	v_mul_f32_e32 v14, v12, v11
	s_delay_alu instid0(VALU_DEP_1) | instskip(NEXT) | instid1(VALU_DEP_1)
	v_fma_f32 v15, -v3, v14, v12
	v_fmac_f32_e32 v14, v15, v11
	s_delay_alu instid0(VALU_DEP_1) | instskip(NEXT) | instid1(VALU_DEP_1)
	v_fma_f32 v3, -v3, v14, v12
	v_div_fmas_f32 v3, v3, v11, v14
                                        ; implicit-def: $vgpr11
	s_delay_alu instid0(VALU_DEP_1)
	v_div_fixup_f32 v2, v3, v2, v4
                                        ; implicit-def: $vgpr3
	s_and_not1_saveexec_b32 s15, s15
	s_cbranch_execz .LBB173_129
	s_branch .LBB173_128
.LBB173_127:
	s_and_not1_saveexec_b32 s15, s15
	s_cbranch_execz .LBB173_129
.LBB173_128:
	v_sub_f32_e32 v1, v11, v3
	s_delay_alu instid0(VALU_DEP_1) | instskip(NEXT) | instid1(VALU_DEP_1)
	v_mul_f32_e32 v1, 0.5, v1
	v_mul_f32_e32 v2, 0x4f800000, v1
	v_cmp_gt_f32_e32 vcc_lo, 0xf800000, v1
	s_delay_alu instid0(VALU_DEP_2) | instskip(NEXT) | instid1(VALU_DEP_1)
	v_cndmask_b32_e32 v1, v1, v2, vcc_lo
	v_sqrt_f32_e32 v2, v1
	s_waitcnt_depctr 0xfff
	v_add_nc_u32_e32 v3, -1, v2
	v_add_nc_u32_e32 v11, 1, v2
	s_delay_alu instid0(VALU_DEP_2) | instskip(NEXT) | instid1(VALU_DEP_2)
	v_fma_f32 v12, -v3, v2, v1
	v_fma_f32 v14, -v11, v2, v1
	s_delay_alu instid0(VALU_DEP_2) | instskip(NEXT) | instid1(VALU_DEP_1)
	v_cmp_ge_f32_e64 s1, 0, v12
	v_cndmask_b32_e64 v2, v2, v3, s1
	s_delay_alu instid0(VALU_DEP_3) | instskip(NEXT) | instid1(VALU_DEP_1)
	v_cmp_lt_f32_e64 s1, 0, v14
	v_cndmask_b32_e64 v2, v2, v11, s1
	s_delay_alu instid0(VALU_DEP_1) | instskip(NEXT) | instid1(VALU_DEP_1)
	v_mul_f32_e32 v3, 0x37800000, v2
	v_cndmask_b32_e32 v2, v2, v3, vcc_lo
	v_cmp_class_f32_e64 vcc_lo, v1, 0x260
	s_delay_alu instid0(VALU_DEP_2) | instskip(NEXT) | instid1(VALU_DEP_1)
	v_dual_cndmask_b32 v2, v2, v1 :: v_dual_and_b32 v1, 0x7fffffff, v4
	v_add_f32_e32 v3, v2, v2
	v_bfi_b32 v2, 0x7fffffff, v2, v4
	s_delay_alu instid0(VALU_DEP_2) | instskip(SKIP_1) | instid1(VALU_DEP_2)
	v_div_scale_f32 v11, null, v3, v3, v1
	v_div_scale_f32 v1, vcc_lo, v1, v3, v1
	v_rcp_f32_e32 v12, v11
	s_waitcnt_depctr 0xfff
	v_fma_f32 v14, -v11, v12, 1.0
	s_delay_alu instid0(VALU_DEP_1) | instskip(NEXT) | instid1(VALU_DEP_1)
	v_fmac_f32_e32 v12, v14, v12
	v_mul_f32_e32 v14, v1, v12
	s_delay_alu instid0(VALU_DEP_1) | instskip(NEXT) | instid1(VALU_DEP_1)
	v_fma_f32 v15, -v11, v14, v1
	v_fmac_f32_e32 v14, v15, v12
	s_delay_alu instid0(VALU_DEP_1) | instskip(NEXT) | instid1(VALU_DEP_1)
	v_fma_f32 v1, -v11, v14, v1
	v_div_fmas_f32 v1, v1, v12, v14
	s_delay_alu instid0(VALU_DEP_1)
	v_div_fixup_f32 v1, v1, v3, |v4|
.LBB173_129:
	s_or_b32 exec_lo, exec_lo, s15
                                        ; implicit-def: $vgpr4
	s_and_saveexec_b32 s1, s0
	s_delay_alu instid0(SALU_CYCLE_1)
	s_xor_b32 s0, exec_lo, s1
	s_cbranch_execz .LBB173_131
; %bb.130:
	v_dual_mul_f32 v3, 0.5, v1 :: v_dual_mul_f32 v4, 0.5, v2
	s_delay_alu instid0(VALU_DEP_1) | instskip(NEXT) | instid1(VALU_DEP_2)
	v_cndmask_b32_e64 v3, v1, v3, s14
	v_cndmask_b32_e64 v4, v2, v4, s14
                                        ; implicit-def: $vgpr1
                                        ; implicit-def: $vgpr2
	s_and_not1_saveexec_b32 s0, s0
	s_cbranch_execnz .LBB173_132
	s_branch .LBB173_133
.LBB173_131:
	s_and_not1_saveexec_b32 s0, s0
.LBB173_132:
	v_dual_add_f32 v3, v1, v1 :: v_dual_add_f32 v4, v2, v2
.LBB173_133:
	s_or_b32 exec_lo, exec_lo, s0
.LBB173_134:
	s_and_not1_saveexec_b32 s0, s13
	s_cbranch_execz .LBB173_140
; %bb.135:
	s_delay_alu instid0(VALU_DEP_1)
	v_sub_f32_e32 v1, v4, v4
	s_mov_b32 s1, exec_lo
	v_cmpx_lt_i32_e32 -1, v3
	s_xor_b32 s1, exec_lo, s1
; %bb.136:
	s_delay_alu instid0(VALU_DEP_2)
	v_bfi_b32 v4, 0x7fffffff, v1, v4
                                        ; implicit-def: $vgpr1
; %bb.137:
	s_and_not1_saveexec_b32 s1, s1
; %bb.138:
	v_and_b32_e32 v1, 0x7fffffff, v1
	s_delay_alu instid0(VALU_DEP_2) | instskip(NEXT) | instid1(VALU_DEP_2)
	v_bfi_b32 v4, 0x7fffffff, v3, v4
	v_mov_b32_e32 v3, v1
; %bb.139:
	s_or_b32 exec_lo, exec_lo, s1
.LBB173_140:
	s_delay_alu instid0(SALU_CYCLE_1)
	s_or_b32 exec_lo, exec_lo, s0
.LBB173_141:
	s_and_not1_saveexec_b32 s0, s12
; %bb.142:
	v_sub_f32_e32 v1, v4, v4
	s_delay_alu instid0(VALU_DEP_1) | instskip(NEXT) | instid1(VALU_DEP_1)
	v_div_scale_f32 v2, vcc_lo, v1, v1, v1
	v_rcp_f32_e32 v4, v2
	s_waitcnt_depctr 0xfff
	v_fma_f32 v11, -v2, v4, 1.0
	s_delay_alu instid0(VALU_DEP_1) | instskip(NEXT) | instid1(VALU_DEP_1)
	v_fmac_f32_e32 v4, v11, v4
	v_mul_f32_e32 v11, v2, v4
	s_delay_alu instid0(VALU_DEP_1) | instskip(NEXT) | instid1(VALU_DEP_1)
	v_fma_f32 v12, -v2, v11, v2
	v_fmac_f32_e32 v11, v12, v4
	s_delay_alu instid0(VALU_DEP_1) | instskip(NEXT) | instid1(VALU_DEP_1)
	v_fma_f32 v2, -v2, v11, v2
	v_div_fmas_f32 v2, v2, v4, v11
	s_delay_alu instid0(VALU_DEP_1)
	v_div_fixup_f32 v4, v2, v1, v1
; %bb.143:
	s_or_b32 exec_lo, exec_lo, s0
	v_mov_b32_e32 v1, v3
.LBB173_144:
	s_or_b32 exec_lo, exec_lo, s11
.LBB173_145:
	s_delay_alu instid0(SALU_CYCLE_1) | instskip(NEXT) | instid1(VALU_DEP_1)
	s_or_b32 exec_lo, exec_lo, s9
	v_cmp_gt_f32_e32 vcc_lo, 0, v1
	s_mov_b32 s0, exec_lo
	v_cndmask_b32_e64 v2, v1, -v1, vcc_lo
	v_cmp_gt_f32_e32 vcc_lo, 0, v4
	v_cndmask_b32_e64 v3, v4, -v4, vcc_lo
	s_delay_alu instid0(VALU_DEP_1)
	v_cmpx_ge_f32_e32 v2, v3
	s_xor_b32 s1, exec_lo, s0
	s_cbranch_execz .LBB173_151
; %bb.146:
	v_cmp_neq_f32_e32 vcc_lo, 0, v1
	v_cmp_neq_f32_e64 s0, 0, v4
	s_delay_alu instid0(VALU_DEP_1) | instskip(NEXT) | instid1(SALU_CYCLE_1)
	s_or_b32 s0, vcc_lo, s0
	s_and_saveexec_b32 s9, s0
	s_delay_alu instid0(SALU_CYCLE_1)
	s_xor_b32 s0, exec_lo, s9
	s_cbranch_execz .LBB173_148
; %bb.147:
	v_div_scale_f32 v2, null, v1, v1, v4
	v_div_scale_f32 v12, vcc_lo, v4, v1, v4
	s_delay_alu instid0(VALU_DEP_2) | instskip(SKIP_2) | instid1(VALU_DEP_1)
	v_rcp_f32_e32 v3, v2
	s_waitcnt_depctr 0xfff
	v_fma_f32 v11, -v2, v3, 1.0
	v_fmac_f32_e32 v3, v11, v3
	s_delay_alu instid0(VALU_DEP_1) | instskip(NEXT) | instid1(VALU_DEP_1)
	v_mul_f32_e32 v11, v12, v3
	v_fma_f32 v14, -v2, v11, v12
	s_delay_alu instid0(VALU_DEP_1) | instskip(NEXT) | instid1(VALU_DEP_1)
	v_fmac_f32_e32 v11, v14, v3
	v_fma_f32 v2, -v2, v11, v12
	s_delay_alu instid0(VALU_DEP_1) | instskip(NEXT) | instid1(VALU_DEP_1)
	v_div_fmas_f32 v2, v2, v3, v11
	v_div_fixup_f32 v2, v2, v1, v4
	s_delay_alu instid0(VALU_DEP_1) | instskip(NEXT) | instid1(VALU_DEP_1)
	v_fmac_f32_e32 v1, v4, v2
	v_div_scale_f32 v3, null, v1, v1, 1.0
	s_delay_alu instid0(VALU_DEP_1) | instskip(SKIP_2) | instid1(VALU_DEP_1)
	v_rcp_f32_e32 v4, v3
	s_waitcnt_depctr 0xfff
	v_fma_f32 v11, -v3, v4, 1.0
	v_fmac_f32_e32 v4, v11, v4
	v_div_scale_f32 v12, vcc_lo, 1.0, v1, 1.0
	s_delay_alu instid0(VALU_DEP_1) | instskip(NEXT) | instid1(VALU_DEP_1)
	v_mul_f32_e32 v11, v12, v4
	v_fma_f32 v14, -v3, v11, v12
	s_delay_alu instid0(VALU_DEP_1) | instskip(NEXT) | instid1(VALU_DEP_1)
	v_fmac_f32_e32 v11, v14, v4
	v_fma_f32 v3, -v3, v11, v12
	s_delay_alu instid0(VALU_DEP_1) | instskip(SKIP_1) | instid1(VALU_DEP_2)
	v_div_fmas_f32 v3, v3, v4, v11
	v_fma_f32 v4, v2, 0, 1.0
	v_div_fixup_f32 v1, v3, v1, 1.0
                                        ; implicit-def: $vgpr3
	s_delay_alu instid0(VALU_DEP_1)
	v_mul_f32_e32 v11, v4, v1
	v_mul_f32_e64 v12, -v2, v1
                                        ; implicit-def: $vgpr2
.LBB173_148:
	s_and_not1_saveexec_b32 s9, s0
	s_cbranch_execz .LBB173_150
; %bb.149:
	v_div_scale_f32 v1, null, v2, v2, 1.0
	v_div_scale_f32 v4, null, v3, v3, 0
	v_div_scale_f32 v16, vcc_lo, 1.0, v2, 1.0
	s_delay_alu instid0(VALU_DEP_3) | instskip(NEXT) | instid1(VALU_DEP_2)
	v_rcp_f32_e32 v11, v1
	v_rcp_f32_e32 v12, v4
	s_waitcnt_depctr 0xfff
	v_fma_f32 v14, -v1, v11, 1.0
	v_fma_f32 v15, -v4, v12, 1.0
	s_delay_alu instid0(VALU_DEP_1) | instskip(SKIP_1) | instid1(VALU_DEP_2)
	v_dual_fmac_f32 v11, v14, v11 :: v_dual_fmac_f32 v12, v15, v12
	v_div_scale_f32 v14, s0, 0, v3, 0
	v_mul_f32_e32 v15, v16, v11
	s_delay_alu instid0(VALU_DEP_2) | instskip(NEXT) | instid1(VALU_DEP_2)
	v_mul_f32_e32 v17, v14, v12
	v_fma_f32 v18, -v1, v15, v16
	s_delay_alu instid0(VALU_DEP_2) | instskip(NEXT) | instid1(VALU_DEP_2)
	v_fma_f32 v19, -v4, v17, v14
	v_fmac_f32_e32 v15, v18, v11
	s_delay_alu instid0(VALU_DEP_2) | instskip(NEXT) | instid1(VALU_DEP_2)
	v_fmac_f32_e32 v17, v19, v12
	v_fma_f32 v1, -v1, v15, v16
	s_delay_alu instid0(VALU_DEP_2) | instskip(NEXT) | instid1(VALU_DEP_2)
	v_fma_f32 v4, -v4, v17, v14
	v_div_fmas_f32 v1, v1, v11, v15
	s_mov_b32 vcc_lo, s0
	s_delay_alu instid0(VALU_DEP_2) | instskip(NEXT) | instid1(VALU_DEP_2)
	v_div_fmas_f32 v4, v4, v12, v17
	v_div_fixup_f32 v11, v1, v2, 1.0
	s_delay_alu instid0(VALU_DEP_2)
	v_div_fixup_f32 v12, v4, v3, 0
.LBB173_150:
	s_or_b32 exec_lo, exec_lo, s9
                                        ; implicit-def: $vgpr4
                                        ; implicit-def: $vgpr1
.LBB173_151:
	s_and_not1_saveexec_b32 s0, s1
	s_cbranch_execz .LBB173_153
; %bb.152:
	v_div_scale_f32 v2, null, v4, v4, v1
	v_div_scale_f32 v12, vcc_lo, v1, v4, v1
	s_delay_alu instid0(VALU_DEP_2) | instskip(SKIP_2) | instid1(VALU_DEP_1)
	v_rcp_f32_e32 v3, v2
	s_waitcnt_depctr 0xfff
	v_fma_f32 v11, -v2, v3, 1.0
	v_fmac_f32_e32 v3, v11, v3
	s_delay_alu instid0(VALU_DEP_1) | instskip(NEXT) | instid1(VALU_DEP_1)
	v_mul_f32_e32 v11, v12, v3
	v_fma_f32 v14, -v2, v11, v12
	s_delay_alu instid0(VALU_DEP_1) | instskip(NEXT) | instid1(VALU_DEP_1)
	v_fmac_f32_e32 v11, v14, v3
	v_fma_f32 v2, -v2, v11, v12
	s_delay_alu instid0(VALU_DEP_1) | instskip(NEXT) | instid1(VALU_DEP_1)
	v_div_fmas_f32 v2, v2, v3, v11
	v_div_fixup_f32 v2, v2, v4, v1
	s_delay_alu instid0(VALU_DEP_1) | instskip(NEXT) | instid1(VALU_DEP_1)
	v_fmac_f32_e32 v4, v1, v2
	v_div_scale_f32 v1, null, v4, v4, 1.0
	v_div_scale_f32 v12, vcc_lo, 1.0, v4, 1.0
	s_delay_alu instid0(VALU_DEP_2) | instskip(SKIP_2) | instid1(VALU_DEP_1)
	v_rcp_f32_e32 v3, v1
	s_waitcnt_depctr 0xfff
	v_fma_f32 v11, -v1, v3, 1.0
	v_fmac_f32_e32 v3, v11, v3
	s_delay_alu instid0(VALU_DEP_1) | instskip(NEXT) | instid1(VALU_DEP_1)
	v_mul_f32_e32 v11, v12, v3
	v_fma_f32 v14, -v1, v11, v12
	s_delay_alu instid0(VALU_DEP_1) | instskip(NEXT) | instid1(VALU_DEP_1)
	v_fmac_f32_e32 v11, v14, v3
	v_fma_f32 v1, -v1, v11, v12
	s_delay_alu instid0(VALU_DEP_1) | instskip(SKIP_2) | instid1(VALU_DEP_3)
	v_div_fmas_f32 v1, v1, v3, v11
	v_add_f32_e32 v3, 0, v2
	v_fma_f32 v2, v2, 0, -1.0
	v_div_fixup_f32 v1, v1, v4, 1.0
	s_delay_alu instid0(VALU_DEP_1) | instskip(NEXT) | instid1(VALU_DEP_4)
	v_mul_f32_e32 v12, v2, v1
	v_mul_f32_e32 v11, v3, v1
.LBB173_153:
	s_or_b32 exec_lo, exec_lo, s0
	s_add_u32 s2, s4, s2
	s_addc_u32 s3, s5, s3
	v_add_co_u32 v1, s0, s2, v13
	s_delay_alu instid0(VALU_DEP_1) | instskip(SKIP_1) | instid1(VALU_DEP_2)
	v_add_co_ci_u32_e64 v2, null, s3, 0, s0
	s_mov_b32 s0, 0
	v_add_co_u32 v1, vcc_lo, 0x1000, v1
	s_delay_alu instid0(VALU_DEP_2)
	v_add_co_ci_u32_e32 v2, vcc_lo, 0, v2, vcc_lo
	s_clause 0x1
	global_store_b128 v13, v[5:8], s[2:3]
	global_store_b128 v[1:2], v[9:12], off
.LBB173_154:
	s_and_b32 vcc_lo, exec_lo, s0
	s_cbranch_vccz .LBB173_331
; %bb.155:
	v_cmp_gt_i32_e64 s0, s10, v0
	v_dual_mov_b32 v11, 0 :: v_dual_mov_b32 v8, 0
	v_or_b32_e32 v1, s8, v0
	v_or_b32_e32 v12, 0x100, v0
	v_dual_mov_b32 v9, 0 :: v_dual_mov_b32 v4, v0
	s_and_saveexec_b32 s1, s0
	s_cbranch_execz .LBB173_157
; %bb.156:
	v_mov_b32_e32 v2, 0
	v_or_b32_e32 v4, 0x100, v0
	s_delay_alu instid0(VALU_DEP_2) | instskip(NEXT) | instid1(VALU_DEP_1)
	v_lshlrev_b64 v[2:3], 3, v[1:2]
	v_add_co_u32 v2, vcc_lo, s6, v2
	s_delay_alu instid0(VALU_DEP_2)
	v_add_co_ci_u32_e32 v3, vcc_lo, s7, v3, vcc_lo
	global_load_b64 v[8:9], v[2:3], off
.LBB173_157:
	s_or_b32 exec_lo, exec_lo, s1
	v_mov_b32_e32 v10, 0
	s_mov_b32 s1, exec_lo
	v_cmpx_gt_i32_e64 s10, v4
	s_cbranch_execz .LBB173_159
; %bb.158:
	v_dual_mov_b32 v3, 0 :: v_dual_add_nc_u32 v2, s8, v4
	v_add_nc_u32_e32 v4, 0x100, v4
	s_delay_alu instid0(VALU_DEP_2) | instskip(NEXT) | instid1(VALU_DEP_1)
	v_lshlrev_b64 v[2:3], 3, v[2:3]
	v_add_co_u32 v2, vcc_lo, s6, v2
	s_delay_alu instid0(VALU_DEP_2)
	v_add_co_ci_u32_e32 v3, vcc_lo, s7, v3, vcc_lo
	global_load_b64 v[10:11], v[2:3], off
.LBB173_159:
	s_or_b32 exec_lo, exec_lo, s1
	v_dual_mov_b32 v3, 0 :: v_dual_mov_b32 v6, 0
	v_mov_b32_e32 v7, 0
	s_mov_b32 s1, exec_lo
	v_cmpx_gt_i32_e64 s10, v4
	s_cbranch_execz .LBB173_161
; %bb.160:
	v_dual_mov_b32 v6, 0 :: v_dual_add_nc_u32 v5, s8, v4
	v_add_nc_u32_e32 v4, 0x100, v4
	s_delay_alu instid0(VALU_DEP_2) | instskip(NEXT) | instid1(VALU_DEP_1)
	v_lshlrev_b64 v[5:6], 3, v[5:6]
	v_add_co_u32 v5, vcc_lo, s6, v5
	s_delay_alu instid0(VALU_DEP_2)
	v_add_co_ci_u32_e32 v6, vcc_lo, s7, v6, vcc_lo
	global_load_b64 v[6:7], v[5:6], off
.LBB173_161:
	s_or_b32 exec_lo, exec_lo, s1
	v_mov_b32_e32 v2, 0
	s_mov_b32 s1, exec_lo
	v_cmpx_gt_i32_e64 s10, v4
	s_cbranch_execz .LBB173_163
; %bb.162:
	v_dual_mov_b32 v3, 0 :: v_dual_add_nc_u32 v2, s8, v4
	s_delay_alu instid0(VALU_DEP_1) | instskip(NEXT) | instid1(VALU_DEP_1)
	v_lshlrev_b64 v[2:3], 3, v[2:3]
	v_add_co_u32 v2, vcc_lo, s6, v2
	s_delay_alu instid0(VALU_DEP_2)
	v_add_co_ci_u32_e32 v3, vcc_lo, s7, v3, vcc_lo
	global_load_b64 v[2:3], v[2:3], off
.LBB173_163:
	s_or_b32 exec_lo, exec_lo, s1
	v_dual_mov_b32 v4, 0 :: v_dual_mov_b32 v5, 0
	s_and_saveexec_b32 s3, s0
	s_cbranch_execz .LBB173_203
; %bb.164:
	s_waitcnt vmcnt(0)
	v_cmp_neq_f32_e32 vcc_lo, 0, v8
	v_cmp_neq_f32_e64 s1, 0, v9
	v_mov_b32_e32 v13, 0
	s_delay_alu instid0(VALU_DEP_2) | instskip(NEXT) | instid1(SALU_CYCLE_1)
	s_or_b32 s1, vcc_lo, s1
	s_and_saveexec_b32 s6, s1
	s_cbranch_execz .LBB173_194
; %bb.165:
	v_mov_b32_e32 v13, 0x7f800000
	s_mov_b32 s7, exec_lo
	v_cmpx_neq_f32_e64 0x7f800000, |v9|
	s_cbranch_execz .LBB173_193
; %bb.166:
	s_mov_b32 s1, exec_lo
	v_cmpx_o_f32_e32 v8, v8
	s_xor_b32 s9, exec_lo, s1
	s_cbranch_execz .LBB173_190
; %bb.167:
	s_mov_b32 s2, exec_lo
	v_cmpx_neq_f32_e64 0x7f800000, |v8|
	s_xor_b32 s11, exec_lo, s2
	s_cbranch_execz .LBB173_183
; %bb.168:
	v_max_f32_e64 v4, |v8|, |v8|
	v_max_f32_e64 v5, |v9|, |v9|
                                        ; implicit-def: $sgpr12
	s_delay_alu instid0(VALU_DEP_1) | instskip(NEXT) | instid1(VALU_DEP_1)
	v_max_f32_e32 v4, v5, v4
	v_cmp_nle_f32_e64 s1, 0x7ed413cb, v4
	s_delay_alu instid0(VALU_DEP_1) | instskip(NEXT) | instid1(SALU_CYCLE_1)
	s_and_saveexec_b32 s2, s1
	s_xor_b32 s2, exec_lo, s2
	s_cbranch_execz .LBB173_172
; %bb.169:
	v_cmp_ge_f32_e64 s12, 0x1000000, |v8|
	v_cmp_ge_f32_e64 s13, 0x1000000, |v9|
	s_delay_alu instid0(VALU_DEP_1)
	s_and_b32 s14, s13, s12
	s_mov_b32 s12, 0
	s_and_saveexec_b32 s13, s14
; %bb.170:
	v_dual_mul_f32 v8, 4.0, v8 :: v_dual_mul_f32 v9, 4.0, v9
	s_mov_b32 s12, exec_lo
; %bb.171:
	s_or_b32 exec_lo, exec_lo, s13
	s_delay_alu instid0(SALU_CYCLE_1)
	s_and_b32 s12, s12, exec_lo
.LBB173_172:
	s_and_not1_saveexec_b32 s2, s2
; %bb.173:
	v_dual_mul_f32 v8, 0x3e800000, v8 :: v_dual_mul_f32 v9, 0x3e800000, v9
	s_and_not1_b32 s12, s12, exec_lo
; %bb.174:
	s_or_b32 exec_lo, exec_lo, s2
	s_delay_alu instid0(VALU_DEP_1) | instskip(NEXT) | instid1(VALU_DEP_2)
	v_max_f32_e64 v4, |v9|, |v9|
	v_max_f32_e64 v5, |v8|, |v8|
	s_delay_alu instid0(VALU_DEP_1) | instskip(NEXT) | instid1(VALU_DEP_1)
	v_max_f32_e32 v13, v5, v4
	v_cvt_f64_f32_e32 v[4:5], v13
	s_delay_alu instid0(VALU_DEP_1) | instskip(NEXT) | instid1(VALU_DEP_1)
	v_frexp_exp_i32_f64_e32 v4, v[4:5]
	v_sub_nc_u32_e32 v5, 0, v4
	s_delay_alu instid0(VALU_DEP_1) | instskip(SKIP_1) | instid1(VALU_DEP_2)
	v_ldexp_f32 v14, |v9|, v5
	v_ldexp_f32 v5, |v8|, v5
	v_mul_f32_e32 v14, v14, v14
	v_cmp_neq_f32_e64 s2, 0x7f800000, v13
	s_delay_alu instid0(VALU_DEP_2) | instskip(NEXT) | instid1(VALU_DEP_1)
	v_fmac_f32_e32 v14, v5, v5
	v_sqrt_f32_e32 v5, v14
	s_waitcnt_depctr 0xfff
	v_ldexp_f32 v4, v5, v4
                                        ; implicit-def: $vgpr5
	s_delay_alu instid0(VALU_DEP_1)
	v_cndmask_b32_e64 v13, 0x7f800000, v4, s2
                                        ; implicit-def: $vgpr4
	s_mov_b32 s2, exec_lo
	v_cmpx_le_f32_e32 0, v8
	s_xor_b32 s13, exec_lo, s2
	s_cbranch_execz .LBB173_176
; %bb.175:
	v_add_f32_e32 v4, v8, v13
	s_delay_alu instid0(VALU_DEP_1) | instskip(NEXT) | instid1(VALU_DEP_1)
	v_mul_f32_e32 v4, 0.5, v4
	v_mul_f32_e32 v5, 0x4f800000, v4
	v_cmp_gt_f32_e32 vcc_lo, 0xf800000, v4
	s_delay_alu instid0(VALU_DEP_2) | instskip(NEXT) | instid1(VALU_DEP_1)
	v_cndmask_b32_e32 v4, v4, v5, vcc_lo
	v_sqrt_f32_e32 v5, v4
	s_waitcnt_depctr 0xfff
	v_add_nc_u32_e32 v13, 1, v5
	v_add_nc_u32_e32 v8, -1, v5
	s_delay_alu instid0(VALU_DEP_2) | instskip(NEXT) | instid1(VALU_DEP_2)
	v_fma_f32 v15, -v13, v5, v4
	v_fma_f32 v14, -v8, v5, v4
	s_delay_alu instid0(VALU_DEP_1) | instskip(NEXT) | instid1(VALU_DEP_1)
	v_cmp_ge_f32_e64 s2, 0, v14
	v_cndmask_b32_e64 v5, v5, v8, s2
	s_delay_alu instid0(VALU_DEP_4) | instskip(NEXT) | instid1(VALU_DEP_1)
	v_cmp_lt_f32_e64 s2, 0, v15
	v_cndmask_b32_e64 v5, v5, v13, s2
	s_delay_alu instid0(VALU_DEP_1) | instskip(NEXT) | instid1(VALU_DEP_1)
	v_mul_f32_e32 v8, 0x37800000, v5
	v_cndmask_b32_e32 v5, v5, v8, vcc_lo
	v_cmp_class_f32_e64 vcc_lo, v4, 0x260
	s_delay_alu instid0(VALU_DEP_2) | instskip(NEXT) | instid1(VALU_DEP_1)
	v_cndmask_b32_e32 v4, v5, v4, vcc_lo
	v_add_f32_e32 v5, v4, v4
	s_delay_alu instid0(VALU_DEP_1) | instskip(NEXT) | instid1(VALU_DEP_1)
	v_div_scale_f32 v8, null, v5, v5, v9
	v_rcp_f32_e32 v13, v8
	s_waitcnt_depctr 0xfff
	v_fma_f32 v14, -v8, v13, 1.0
	s_delay_alu instid0(VALU_DEP_1) | instskip(SKIP_1) | instid1(VALU_DEP_1)
	v_fmac_f32_e32 v13, v14, v13
	v_div_scale_f32 v14, vcc_lo, v9, v5, v9
	v_mul_f32_e32 v15, v14, v13
	s_delay_alu instid0(VALU_DEP_1) | instskip(NEXT) | instid1(VALU_DEP_1)
	v_fma_f32 v16, -v8, v15, v14
	v_fmac_f32_e32 v15, v16, v13
	s_delay_alu instid0(VALU_DEP_1) | instskip(NEXT) | instid1(VALU_DEP_1)
	v_fma_f32 v8, -v8, v15, v14
	v_div_fmas_f32 v8, v8, v13, v15
                                        ; implicit-def: $vgpr13
	s_delay_alu instid0(VALU_DEP_1)
	v_div_fixup_f32 v5, v8, v5, v9
                                        ; implicit-def: $vgpr8
	s_and_not1_saveexec_b32 s13, s13
	s_cbranch_execz .LBB173_178
	s_branch .LBB173_177
.LBB173_176:
	s_and_not1_saveexec_b32 s13, s13
	s_cbranch_execz .LBB173_178
.LBB173_177:
	v_sub_f32_e32 v4, v13, v8
	s_delay_alu instid0(VALU_DEP_1) | instskip(NEXT) | instid1(VALU_DEP_1)
	v_mul_f32_e32 v4, 0.5, v4
	v_mul_f32_e32 v5, 0x4f800000, v4
	v_cmp_gt_f32_e32 vcc_lo, 0xf800000, v4
	s_delay_alu instid0(VALU_DEP_2) | instskip(NEXT) | instid1(VALU_DEP_1)
	v_cndmask_b32_e32 v4, v4, v5, vcc_lo
	v_sqrt_f32_e32 v5, v4
	s_waitcnt_depctr 0xfff
	v_add_nc_u32_e32 v8, -1, v5
	v_add_nc_u32_e32 v13, 1, v5
	s_delay_alu instid0(VALU_DEP_2) | instskip(NEXT) | instid1(VALU_DEP_2)
	v_fma_f32 v14, -v8, v5, v4
	v_fma_f32 v15, -v13, v5, v4
	s_delay_alu instid0(VALU_DEP_2) | instskip(NEXT) | instid1(VALU_DEP_1)
	v_cmp_ge_f32_e64 s2, 0, v14
	v_cndmask_b32_e64 v5, v5, v8, s2
	s_delay_alu instid0(VALU_DEP_3) | instskip(NEXT) | instid1(VALU_DEP_1)
	v_cmp_lt_f32_e64 s2, 0, v15
	v_cndmask_b32_e64 v5, v5, v13, s2
	s_delay_alu instid0(VALU_DEP_1) | instskip(NEXT) | instid1(VALU_DEP_1)
	v_mul_f32_e32 v8, 0x37800000, v5
	v_cndmask_b32_e32 v5, v5, v8, vcc_lo
	v_cmp_class_f32_e64 vcc_lo, v4, 0x260
	s_delay_alu instid0(VALU_DEP_2) | instskip(NEXT) | instid1(VALU_DEP_1)
	v_dual_cndmask_b32 v5, v5, v4 :: v_dual_and_b32 v4, 0x7fffffff, v9
	v_add_f32_e32 v8, v5, v5
	v_bfi_b32 v5, 0x7fffffff, v5, v9
	s_delay_alu instid0(VALU_DEP_2) | instskip(SKIP_1) | instid1(VALU_DEP_2)
	v_div_scale_f32 v13, null, v8, v8, v4
	v_div_scale_f32 v4, vcc_lo, v4, v8, v4
	v_rcp_f32_e32 v14, v13
	s_waitcnt_depctr 0xfff
	v_fma_f32 v15, -v13, v14, 1.0
	s_delay_alu instid0(VALU_DEP_1) | instskip(NEXT) | instid1(VALU_DEP_1)
	v_fmac_f32_e32 v14, v15, v14
	v_mul_f32_e32 v15, v4, v14
	s_delay_alu instid0(VALU_DEP_1) | instskip(NEXT) | instid1(VALU_DEP_1)
	v_fma_f32 v16, -v13, v15, v4
	v_fmac_f32_e32 v15, v16, v14
	s_delay_alu instid0(VALU_DEP_1) | instskip(NEXT) | instid1(VALU_DEP_1)
	v_fma_f32 v4, -v13, v15, v4
	v_div_fmas_f32 v4, v4, v14, v15
	s_delay_alu instid0(VALU_DEP_1)
	v_div_fixup_f32 v4, v4, v8, |v9|
.LBB173_178:
	s_or_b32 exec_lo, exec_lo, s13
                                        ; implicit-def: $vgpr9
	s_and_saveexec_b32 s2, s1
	s_delay_alu instid0(SALU_CYCLE_1)
	s_xor_b32 s1, exec_lo, s2
	s_cbranch_execz .LBB173_180
; %bb.179:
	v_dual_mul_f32 v8, 0.5, v4 :: v_dual_mul_f32 v9, 0.5, v5
	s_delay_alu instid0(VALU_DEP_1) | instskip(NEXT) | instid1(VALU_DEP_2)
	v_cndmask_b32_e64 v8, v4, v8, s12
	v_cndmask_b32_e64 v9, v5, v9, s12
                                        ; implicit-def: $vgpr4
                                        ; implicit-def: $vgpr5
	s_and_not1_saveexec_b32 s1, s1
	s_cbranch_execnz .LBB173_181
	s_branch .LBB173_182
.LBB173_180:
	s_and_not1_saveexec_b32 s1, s1
.LBB173_181:
	v_dual_add_f32 v8, v4, v4 :: v_dual_add_f32 v9, v5, v5
.LBB173_182:
	s_or_b32 exec_lo, exec_lo, s1
.LBB173_183:
	s_and_not1_saveexec_b32 s1, s11
	s_cbranch_execz .LBB173_189
; %bb.184:
	s_delay_alu instid0(VALU_DEP_1)
	v_sub_f32_e32 v4, v9, v9
	s_mov_b32 s2, exec_lo
	v_cmpx_lt_i32_e32 -1, v8
	s_xor_b32 s2, exec_lo, s2
; %bb.185:
	s_delay_alu instid0(VALU_DEP_2)
	v_bfi_b32 v9, 0x7fffffff, v4, v9
                                        ; implicit-def: $vgpr4
; %bb.186:
	s_and_not1_saveexec_b32 s2, s2
; %bb.187:
	v_and_b32_e32 v4, 0x7fffffff, v4
	s_delay_alu instid0(VALU_DEP_2) | instskip(NEXT) | instid1(VALU_DEP_2)
	v_bfi_b32 v9, 0x7fffffff, v8, v9
	v_mov_b32_e32 v8, v4
; %bb.188:
	s_or_b32 exec_lo, exec_lo, s2
.LBB173_189:
	s_delay_alu instid0(SALU_CYCLE_1)
	s_or_b32 exec_lo, exec_lo, s1
.LBB173_190:
	s_and_not1_saveexec_b32 s1, s9
; %bb.191:
	v_sub_f32_e32 v4, v9, v9
	s_delay_alu instid0(VALU_DEP_1) | instskip(NEXT) | instid1(VALU_DEP_1)
	v_div_scale_f32 v5, vcc_lo, v4, v4, v4
	v_rcp_f32_e32 v9, v5
	s_waitcnt_depctr 0xfff
	v_fma_f32 v13, -v5, v9, 1.0
	s_delay_alu instid0(VALU_DEP_1) | instskip(NEXT) | instid1(VALU_DEP_1)
	v_fmac_f32_e32 v9, v13, v9
	v_mul_f32_e32 v13, v5, v9
	s_delay_alu instid0(VALU_DEP_1) | instskip(NEXT) | instid1(VALU_DEP_1)
	v_fma_f32 v14, -v5, v13, v5
	v_fmac_f32_e32 v13, v14, v9
	s_delay_alu instid0(VALU_DEP_1) | instskip(NEXT) | instid1(VALU_DEP_1)
	v_fma_f32 v5, -v5, v13, v5
	v_div_fmas_f32 v5, v5, v9, v13
	s_delay_alu instid0(VALU_DEP_1)
	v_div_fixup_f32 v9, v5, v4, v4
; %bb.192:
	s_or_b32 exec_lo, exec_lo, s1
	v_mov_b32_e32 v13, v8
.LBB173_193:
	s_or_b32 exec_lo, exec_lo, s7
.LBB173_194:
	s_delay_alu instid0(SALU_CYCLE_1) | instskip(NEXT) | instid1(VALU_DEP_1)
	s_or_b32 exec_lo, exec_lo, s6
	v_cmp_gt_f32_e32 vcc_lo, 0, v13
                                        ; implicit-def: $vgpr4
	s_mov_b32 s1, exec_lo
	v_cndmask_b32_e64 v8, v13, -v13, vcc_lo
	v_cmp_gt_f32_e32 vcc_lo, 0, v9
	v_cndmask_b32_e64 v14, v9, -v9, vcc_lo
	s_delay_alu instid0(VALU_DEP_1)
	v_cmpx_ge_f32_e32 v8, v14
	s_xor_b32 s2, exec_lo, s1
	s_cbranch_execz .LBB173_200
; %bb.195:
	v_cmp_neq_f32_e32 vcc_lo, 0, v13
	v_cmp_neq_f32_e64 s1, 0, v9
                                        ; implicit-def: $vgpr4
	s_delay_alu instid0(VALU_DEP_1) | instskip(NEXT) | instid1(SALU_CYCLE_1)
	s_or_b32 s1, vcc_lo, s1
	s_and_saveexec_b32 s6, s1
	s_delay_alu instid0(SALU_CYCLE_1)
	s_xor_b32 s1, exec_lo, s6
	s_cbranch_execz .LBB173_197
; %bb.196:
	v_div_scale_f32 v4, null, v13, v13, v9
	v_div_scale_f32 v14, vcc_lo, v9, v13, v9
	s_delay_alu instid0(VALU_DEP_2) | instskip(SKIP_2) | instid1(VALU_DEP_1)
	v_rcp_f32_e32 v5, v4
	s_waitcnt_depctr 0xfff
	v_fma_f32 v8, -v4, v5, 1.0
	v_fmac_f32_e32 v5, v8, v5
	s_delay_alu instid0(VALU_DEP_1) | instskip(NEXT) | instid1(VALU_DEP_1)
	v_mul_f32_e32 v8, v14, v5
	v_fma_f32 v15, -v4, v8, v14
	s_delay_alu instid0(VALU_DEP_1) | instskip(NEXT) | instid1(VALU_DEP_1)
	v_fmac_f32_e32 v8, v15, v5
	v_fma_f32 v4, -v4, v8, v14
	s_delay_alu instid0(VALU_DEP_1) | instskip(NEXT) | instid1(VALU_DEP_1)
	v_div_fmas_f32 v4, v4, v5, v8
	v_div_fixup_f32 v5, v4, v13, v9
	s_delay_alu instid0(VALU_DEP_1) | instskip(NEXT) | instid1(VALU_DEP_1)
	v_fmac_f32_e32 v13, v9, v5
	v_div_scale_f32 v4, null, v13, v13, 1.0
	v_div_scale_f32 v14, vcc_lo, 1.0, v13, 1.0
	s_delay_alu instid0(VALU_DEP_2) | instskip(SKIP_2) | instid1(VALU_DEP_1)
	v_rcp_f32_e32 v8, v4
	s_waitcnt_depctr 0xfff
	v_fma_f32 v9, -v4, v8, 1.0
	v_fmac_f32_e32 v8, v9, v8
	s_delay_alu instid0(VALU_DEP_1) | instskip(NEXT) | instid1(VALU_DEP_1)
	v_mul_f32_e32 v9, v14, v8
	v_fma_f32 v15, -v4, v9, v14
	s_delay_alu instid0(VALU_DEP_1) | instskip(NEXT) | instid1(VALU_DEP_1)
	v_fmac_f32_e32 v9, v15, v8
	v_fma_f32 v4, -v4, v9, v14
                                        ; implicit-def: $vgpr14
	s_delay_alu instid0(VALU_DEP_1) | instskip(SKIP_1) | instid1(VALU_DEP_2)
	v_div_fmas_f32 v4, v4, v8, v9
	v_fma_f32 v8, v5, 0, 1.0
	v_div_fixup_f32 v9, v4, v13, 1.0
	s_delay_alu instid0(VALU_DEP_1)
	v_mul_f32_e32 v4, v8, v9
	v_mul_f32_e64 v5, -v5, v9
                                        ; implicit-def: $vgpr8
.LBB173_197:
	s_and_not1_saveexec_b32 s6, s1
	s_cbranch_execz .LBB173_199
; %bb.198:
	v_div_scale_f32 v4, null, v8, v8, 1.0
	v_div_scale_f32 v5, null, v14, v14, 0
	v_div_scale_f32 v17, vcc_lo, 1.0, v8, 1.0
	s_delay_alu instid0(VALU_DEP_3) | instskip(NEXT) | instid1(VALU_DEP_2)
	v_rcp_f32_e32 v9, v4
	v_rcp_f32_e32 v13, v5
	s_waitcnt_depctr 0xfff
	v_fma_f32 v15, -v4, v9, 1.0
	v_fma_f32 v16, -v5, v13, 1.0
	s_delay_alu instid0(VALU_DEP_2) | instskip(SKIP_1) | instid1(VALU_DEP_3)
	v_fmac_f32_e32 v9, v15, v9
	v_div_scale_f32 v15, s1, 0, v14, 0
	v_fmac_f32_e32 v13, v16, v13
	s_delay_alu instid0(VALU_DEP_3) | instskip(NEXT) | instid1(VALU_DEP_2)
	v_mul_f32_e32 v16, v17, v9
	v_mul_f32_e32 v18, v15, v13
	s_delay_alu instid0(VALU_DEP_2) | instskip(NEXT) | instid1(VALU_DEP_2)
	v_fma_f32 v19, -v4, v16, v17
	v_fma_f32 v20, -v5, v18, v15
	s_delay_alu instid0(VALU_DEP_2) | instskip(NEXT) | instid1(VALU_DEP_2)
	v_fmac_f32_e32 v16, v19, v9
	v_fmac_f32_e32 v18, v20, v13
	s_delay_alu instid0(VALU_DEP_2) | instskip(NEXT) | instid1(VALU_DEP_2)
	v_fma_f32 v4, -v4, v16, v17
	v_fma_f32 v5, -v5, v18, v15
	s_delay_alu instid0(VALU_DEP_2) | instskip(SKIP_1) | instid1(VALU_DEP_2)
	v_div_fmas_f32 v4, v4, v9, v16
	s_mov_b32 vcc_lo, s1
	v_div_fmas_f32 v5, v5, v13, v18
	s_delay_alu instid0(VALU_DEP_2) | instskip(NEXT) | instid1(VALU_DEP_2)
	v_div_fixup_f32 v4, v4, v8, 1.0
	v_div_fixup_f32 v5, v5, v14, 0
.LBB173_199:
	s_or_b32 exec_lo, exec_lo, s6
                                        ; implicit-def: $vgpr9
                                        ; implicit-def: $vgpr13
.LBB173_200:
	s_and_not1_saveexec_b32 s1, s2
	s_cbranch_execz .LBB173_202
; %bb.201:
	v_div_scale_f32 v4, null, v9, v9, v13
	v_div_scale_f32 v14, vcc_lo, v13, v9, v13
	s_delay_alu instid0(VALU_DEP_2) | instskip(SKIP_2) | instid1(VALU_DEP_1)
	v_rcp_f32_e32 v5, v4
	s_waitcnt_depctr 0xfff
	v_fma_f32 v8, -v4, v5, 1.0
	v_fmac_f32_e32 v5, v8, v5
	s_delay_alu instid0(VALU_DEP_1) | instskip(NEXT) | instid1(VALU_DEP_1)
	v_mul_f32_e32 v8, v14, v5
	v_fma_f32 v15, -v4, v8, v14
	s_delay_alu instid0(VALU_DEP_1) | instskip(NEXT) | instid1(VALU_DEP_1)
	v_fmac_f32_e32 v8, v15, v5
	v_fma_f32 v4, -v4, v8, v14
	s_delay_alu instid0(VALU_DEP_1) | instskip(NEXT) | instid1(VALU_DEP_1)
	v_div_fmas_f32 v4, v4, v5, v8
	v_div_fixup_f32 v4, v4, v9, v13
	s_delay_alu instid0(VALU_DEP_1) | instskip(NEXT) | instid1(VALU_DEP_1)
	v_fmac_f32_e32 v9, v13, v4
	v_div_scale_f32 v5, null, v9, v9, 1.0
	v_div_scale_f32 v14, vcc_lo, 1.0, v9, 1.0
	s_delay_alu instid0(VALU_DEP_2) | instskip(SKIP_2) | instid1(VALU_DEP_1)
	v_rcp_f32_e32 v8, v5
	s_waitcnt_depctr 0xfff
	v_fma_f32 v13, -v5, v8, 1.0
	v_fmac_f32_e32 v8, v13, v8
	s_delay_alu instid0(VALU_DEP_1) | instskip(NEXT) | instid1(VALU_DEP_1)
	v_mul_f32_e32 v13, v14, v8
	v_fma_f32 v15, -v5, v13, v14
	s_delay_alu instid0(VALU_DEP_1) | instskip(NEXT) | instid1(VALU_DEP_1)
	v_fmac_f32_e32 v13, v15, v8
	v_fma_f32 v5, -v5, v13, v14
	s_delay_alu instid0(VALU_DEP_1) | instskip(NEXT) | instid1(VALU_DEP_1)
	v_div_fmas_f32 v5, v5, v8, v13
	v_div_fixup_f32 v5, v5, v9, 1.0
	v_fma_f32 v9, v4, 0, -1.0
	v_add_f32_e32 v8, 0, v4
	s_delay_alu instid0(VALU_DEP_1) | instskip(NEXT) | instid1(VALU_DEP_3)
	v_mul_f32_e32 v4, v8, v5
	v_mul_f32_e32 v5, v9, v5
.LBB173_202:
	s_or_b32 exec_lo, exec_lo, s1
.LBB173_203:
	s_delay_alu instid0(SALU_CYCLE_1)
	s_or_b32 exec_lo, exec_lo, s3
	s_waitcnt vmcnt(0)
	v_dual_mov_b32 v8, 0 :: v_dual_mov_b32 v9, 0
	s_mov_b32 s3, exec_lo
	v_cmpx_gt_i32_e64 s10, v12
	s_cbranch_execz .LBB173_243
; %bb.204:
	v_cmp_neq_f32_e32 vcc_lo, 0, v10
	v_cmp_neq_f32_e64 s1, 0, v11
	v_mov_b32_e32 v13, 0
	s_delay_alu instid0(VALU_DEP_2) | instskip(NEXT) | instid1(SALU_CYCLE_1)
	s_or_b32 s1, vcc_lo, s1
	s_and_saveexec_b32 s6, s1
	s_cbranch_execz .LBB173_234
; %bb.205:
	v_mov_b32_e32 v13, 0x7f800000
	s_mov_b32 s7, exec_lo
	v_cmpx_neq_f32_e64 0x7f800000, |v11|
	s_cbranch_execz .LBB173_233
; %bb.206:
	s_mov_b32 s1, exec_lo
	v_cmpx_o_f32_e32 v10, v10
	s_xor_b32 s9, exec_lo, s1
	s_cbranch_execz .LBB173_230
; %bb.207:
	s_mov_b32 s2, exec_lo
	v_cmpx_neq_f32_e64 0x7f800000, |v10|
	s_xor_b32 s11, exec_lo, s2
	s_cbranch_execz .LBB173_223
; %bb.208:
	v_max_f32_e64 v8, |v10|, |v10|
	v_max_f32_e64 v9, |v11|, |v11|
                                        ; implicit-def: $sgpr12
	s_delay_alu instid0(VALU_DEP_1) | instskip(NEXT) | instid1(VALU_DEP_1)
	v_max_f32_e32 v8, v9, v8
	v_cmp_nle_f32_e64 s1, 0x7ed413cb, v8
	s_delay_alu instid0(VALU_DEP_1) | instskip(NEXT) | instid1(SALU_CYCLE_1)
	s_and_saveexec_b32 s2, s1
	s_xor_b32 s2, exec_lo, s2
	s_cbranch_execz .LBB173_212
; %bb.209:
	v_cmp_ge_f32_e64 s12, 0x1000000, |v10|
	v_cmp_ge_f32_e64 s13, 0x1000000, |v11|
	s_delay_alu instid0(VALU_DEP_1)
	s_and_b32 s14, s13, s12
	s_mov_b32 s12, 0
	s_and_saveexec_b32 s13, s14
; %bb.210:
	v_dual_mul_f32 v10, 4.0, v10 :: v_dual_mul_f32 v11, 4.0, v11
	s_mov_b32 s12, exec_lo
; %bb.211:
	s_or_b32 exec_lo, exec_lo, s13
	s_delay_alu instid0(SALU_CYCLE_1)
	s_and_b32 s12, s12, exec_lo
.LBB173_212:
	s_and_not1_saveexec_b32 s2, s2
; %bb.213:
	v_dual_mul_f32 v10, 0x3e800000, v10 :: v_dual_mul_f32 v11, 0x3e800000, v11
	s_and_not1_b32 s12, s12, exec_lo
; %bb.214:
	s_or_b32 exec_lo, exec_lo, s2
	s_delay_alu instid0(VALU_DEP_1) | instskip(NEXT) | instid1(VALU_DEP_2)
	v_max_f32_e64 v8, |v11|, |v11|
	v_max_f32_e64 v9, |v10|, |v10|
	s_delay_alu instid0(VALU_DEP_1) | instskip(NEXT) | instid1(VALU_DEP_1)
	v_max_f32_e32 v13, v9, v8
	v_cvt_f64_f32_e32 v[8:9], v13
	s_delay_alu instid0(VALU_DEP_1) | instskip(NEXT) | instid1(VALU_DEP_1)
	v_frexp_exp_i32_f64_e32 v8, v[8:9]
	v_sub_nc_u32_e32 v9, 0, v8
	s_delay_alu instid0(VALU_DEP_1) | instskip(SKIP_1) | instid1(VALU_DEP_2)
	v_ldexp_f32 v14, |v11|, v9
	v_ldexp_f32 v9, |v10|, v9
	v_mul_f32_e32 v14, v14, v14
	v_cmp_neq_f32_e64 s2, 0x7f800000, v13
	s_delay_alu instid0(VALU_DEP_2) | instskip(NEXT) | instid1(VALU_DEP_1)
	v_fmac_f32_e32 v14, v9, v9
	v_sqrt_f32_e32 v9, v14
	s_waitcnt_depctr 0xfff
	v_ldexp_f32 v8, v9, v8
                                        ; implicit-def: $vgpr9
	s_delay_alu instid0(VALU_DEP_1)
	v_cndmask_b32_e64 v13, 0x7f800000, v8, s2
                                        ; implicit-def: $vgpr8
	s_mov_b32 s2, exec_lo
	v_cmpx_le_f32_e32 0, v10
	s_xor_b32 s13, exec_lo, s2
	s_cbranch_execz .LBB173_216
; %bb.215:
	v_add_f32_e32 v8, v10, v13
	s_delay_alu instid0(VALU_DEP_1) | instskip(NEXT) | instid1(VALU_DEP_1)
	v_mul_f32_e32 v8, 0.5, v8
	v_mul_f32_e32 v9, 0x4f800000, v8
	v_cmp_gt_f32_e32 vcc_lo, 0xf800000, v8
	s_delay_alu instid0(VALU_DEP_2) | instskip(NEXT) | instid1(VALU_DEP_1)
	v_cndmask_b32_e32 v8, v8, v9, vcc_lo
	v_sqrt_f32_e32 v9, v8
	s_waitcnt_depctr 0xfff
	v_add_nc_u32_e32 v13, 1, v9
	v_add_nc_u32_e32 v10, -1, v9
	s_delay_alu instid0(VALU_DEP_2) | instskip(NEXT) | instid1(VALU_DEP_2)
	v_fma_f32 v15, -v13, v9, v8
	v_fma_f32 v14, -v10, v9, v8
	s_delay_alu instid0(VALU_DEP_1) | instskip(NEXT) | instid1(VALU_DEP_1)
	v_cmp_ge_f32_e64 s2, 0, v14
	v_cndmask_b32_e64 v9, v9, v10, s2
	s_delay_alu instid0(VALU_DEP_4) | instskip(NEXT) | instid1(VALU_DEP_1)
	v_cmp_lt_f32_e64 s2, 0, v15
	v_cndmask_b32_e64 v9, v9, v13, s2
	s_delay_alu instid0(VALU_DEP_1) | instskip(NEXT) | instid1(VALU_DEP_1)
	v_mul_f32_e32 v10, 0x37800000, v9
	v_cndmask_b32_e32 v9, v9, v10, vcc_lo
	v_cmp_class_f32_e64 vcc_lo, v8, 0x260
	s_delay_alu instid0(VALU_DEP_2) | instskip(NEXT) | instid1(VALU_DEP_1)
	v_cndmask_b32_e32 v8, v9, v8, vcc_lo
	v_add_f32_e32 v9, v8, v8
	s_delay_alu instid0(VALU_DEP_1) | instskip(NEXT) | instid1(VALU_DEP_1)
	v_div_scale_f32 v10, null, v9, v9, v11
	v_rcp_f32_e32 v13, v10
	s_waitcnt_depctr 0xfff
	v_fma_f32 v14, -v10, v13, 1.0
	s_delay_alu instid0(VALU_DEP_1) | instskip(SKIP_1) | instid1(VALU_DEP_1)
	v_fmac_f32_e32 v13, v14, v13
	v_div_scale_f32 v14, vcc_lo, v11, v9, v11
	v_mul_f32_e32 v15, v14, v13
	s_delay_alu instid0(VALU_DEP_1) | instskip(NEXT) | instid1(VALU_DEP_1)
	v_fma_f32 v16, -v10, v15, v14
	v_fmac_f32_e32 v15, v16, v13
	s_delay_alu instid0(VALU_DEP_1) | instskip(NEXT) | instid1(VALU_DEP_1)
	v_fma_f32 v10, -v10, v15, v14
	v_div_fmas_f32 v10, v10, v13, v15
                                        ; implicit-def: $vgpr13
	s_delay_alu instid0(VALU_DEP_1)
	v_div_fixup_f32 v9, v10, v9, v11
                                        ; implicit-def: $vgpr10
	s_and_not1_saveexec_b32 s13, s13
	s_cbranch_execz .LBB173_218
	s_branch .LBB173_217
.LBB173_216:
	s_and_not1_saveexec_b32 s13, s13
	s_cbranch_execz .LBB173_218
.LBB173_217:
	v_sub_f32_e32 v8, v13, v10
	s_delay_alu instid0(VALU_DEP_1) | instskip(NEXT) | instid1(VALU_DEP_1)
	v_mul_f32_e32 v8, 0.5, v8
	v_mul_f32_e32 v9, 0x4f800000, v8
	v_cmp_gt_f32_e32 vcc_lo, 0xf800000, v8
	s_delay_alu instid0(VALU_DEP_2) | instskip(NEXT) | instid1(VALU_DEP_1)
	v_cndmask_b32_e32 v8, v8, v9, vcc_lo
	v_sqrt_f32_e32 v9, v8
	s_waitcnt_depctr 0xfff
	v_add_nc_u32_e32 v10, -1, v9
	v_add_nc_u32_e32 v13, 1, v9
	s_delay_alu instid0(VALU_DEP_2) | instskip(NEXT) | instid1(VALU_DEP_2)
	v_fma_f32 v14, -v10, v9, v8
	v_fma_f32 v15, -v13, v9, v8
	s_delay_alu instid0(VALU_DEP_2) | instskip(NEXT) | instid1(VALU_DEP_1)
	v_cmp_ge_f32_e64 s2, 0, v14
	v_cndmask_b32_e64 v9, v9, v10, s2
	s_delay_alu instid0(VALU_DEP_3) | instskip(NEXT) | instid1(VALU_DEP_1)
	v_cmp_lt_f32_e64 s2, 0, v15
	v_cndmask_b32_e64 v9, v9, v13, s2
	s_delay_alu instid0(VALU_DEP_1) | instskip(NEXT) | instid1(VALU_DEP_1)
	v_mul_f32_e32 v10, 0x37800000, v9
	v_cndmask_b32_e32 v9, v9, v10, vcc_lo
	v_cmp_class_f32_e64 vcc_lo, v8, 0x260
	s_delay_alu instid0(VALU_DEP_2) | instskip(NEXT) | instid1(VALU_DEP_1)
	v_dual_cndmask_b32 v9, v9, v8 :: v_dual_and_b32 v8, 0x7fffffff, v11
	v_add_f32_e32 v10, v9, v9
	v_bfi_b32 v9, 0x7fffffff, v9, v11
	s_delay_alu instid0(VALU_DEP_2) | instskip(SKIP_1) | instid1(VALU_DEP_2)
	v_div_scale_f32 v13, null, v10, v10, v8
	v_div_scale_f32 v8, vcc_lo, v8, v10, v8
	v_rcp_f32_e32 v14, v13
	s_waitcnt_depctr 0xfff
	v_fma_f32 v15, -v13, v14, 1.0
	s_delay_alu instid0(VALU_DEP_1) | instskip(NEXT) | instid1(VALU_DEP_1)
	v_fmac_f32_e32 v14, v15, v14
	v_mul_f32_e32 v15, v8, v14
	s_delay_alu instid0(VALU_DEP_1) | instskip(NEXT) | instid1(VALU_DEP_1)
	v_fma_f32 v16, -v13, v15, v8
	v_fmac_f32_e32 v15, v16, v14
	s_delay_alu instid0(VALU_DEP_1) | instskip(NEXT) | instid1(VALU_DEP_1)
	v_fma_f32 v8, -v13, v15, v8
	v_div_fmas_f32 v8, v8, v14, v15
	s_delay_alu instid0(VALU_DEP_1)
	v_div_fixup_f32 v8, v8, v10, |v11|
.LBB173_218:
	s_or_b32 exec_lo, exec_lo, s13
                                        ; implicit-def: $vgpr11
	s_and_saveexec_b32 s2, s1
	s_delay_alu instid0(SALU_CYCLE_1)
	s_xor_b32 s1, exec_lo, s2
	s_cbranch_execz .LBB173_220
; %bb.219:
	v_dual_mul_f32 v10, 0.5, v8 :: v_dual_mul_f32 v11, 0.5, v9
	s_delay_alu instid0(VALU_DEP_1) | instskip(NEXT) | instid1(VALU_DEP_2)
	v_cndmask_b32_e64 v10, v8, v10, s12
	v_cndmask_b32_e64 v11, v9, v11, s12
                                        ; implicit-def: $vgpr8
                                        ; implicit-def: $vgpr9
	s_and_not1_saveexec_b32 s1, s1
	s_cbranch_execnz .LBB173_221
	s_branch .LBB173_222
.LBB173_220:
	s_and_not1_saveexec_b32 s1, s1
.LBB173_221:
	v_dual_add_f32 v10, v8, v8 :: v_dual_add_f32 v11, v9, v9
.LBB173_222:
	s_or_b32 exec_lo, exec_lo, s1
.LBB173_223:
	s_and_not1_saveexec_b32 s1, s11
	s_cbranch_execz .LBB173_229
; %bb.224:
	s_delay_alu instid0(VALU_DEP_1)
	v_sub_f32_e32 v8, v11, v11
	s_mov_b32 s2, exec_lo
	v_cmpx_lt_i32_e32 -1, v10
	s_xor_b32 s2, exec_lo, s2
; %bb.225:
	s_delay_alu instid0(VALU_DEP_2)
	v_bfi_b32 v11, 0x7fffffff, v8, v11
                                        ; implicit-def: $vgpr8
; %bb.226:
	s_and_not1_saveexec_b32 s2, s2
; %bb.227:
	v_and_b32_e32 v8, 0x7fffffff, v8
	s_delay_alu instid0(VALU_DEP_2) | instskip(NEXT) | instid1(VALU_DEP_2)
	v_bfi_b32 v11, 0x7fffffff, v10, v11
	v_mov_b32_e32 v10, v8
; %bb.228:
	s_or_b32 exec_lo, exec_lo, s2
.LBB173_229:
	s_delay_alu instid0(SALU_CYCLE_1)
	s_or_b32 exec_lo, exec_lo, s1
.LBB173_230:
	s_and_not1_saveexec_b32 s1, s9
; %bb.231:
	v_sub_f32_e32 v8, v11, v11
	s_delay_alu instid0(VALU_DEP_1) | instskip(NEXT) | instid1(VALU_DEP_1)
	v_div_scale_f32 v9, vcc_lo, v8, v8, v8
	v_rcp_f32_e32 v11, v9
	s_waitcnt_depctr 0xfff
	v_fma_f32 v13, -v9, v11, 1.0
	s_delay_alu instid0(VALU_DEP_1) | instskip(NEXT) | instid1(VALU_DEP_1)
	v_fmac_f32_e32 v11, v13, v11
	v_mul_f32_e32 v13, v9, v11
	s_delay_alu instid0(VALU_DEP_1) | instskip(NEXT) | instid1(VALU_DEP_1)
	v_fma_f32 v14, -v9, v13, v9
	v_fmac_f32_e32 v13, v14, v11
	s_delay_alu instid0(VALU_DEP_1) | instskip(NEXT) | instid1(VALU_DEP_1)
	v_fma_f32 v9, -v9, v13, v9
	v_div_fmas_f32 v9, v9, v11, v13
	s_delay_alu instid0(VALU_DEP_1)
	v_div_fixup_f32 v11, v9, v8, v8
; %bb.232:
	s_or_b32 exec_lo, exec_lo, s1
	v_mov_b32_e32 v13, v10
.LBB173_233:
	s_or_b32 exec_lo, exec_lo, s7
.LBB173_234:
	s_delay_alu instid0(SALU_CYCLE_1) | instskip(NEXT) | instid1(VALU_DEP_1)
	s_or_b32 exec_lo, exec_lo, s6
	v_cmp_gt_f32_e32 vcc_lo, 0, v13
                                        ; implicit-def: $vgpr8
	s_mov_b32 s1, exec_lo
	v_cndmask_b32_e64 v10, v13, -v13, vcc_lo
	v_cmp_gt_f32_e32 vcc_lo, 0, v11
	v_cndmask_b32_e64 v14, v11, -v11, vcc_lo
	s_delay_alu instid0(VALU_DEP_1)
	v_cmpx_ge_f32_e32 v10, v14
	s_xor_b32 s2, exec_lo, s1
	s_cbranch_execz .LBB173_240
; %bb.235:
	v_cmp_neq_f32_e32 vcc_lo, 0, v13
	v_cmp_neq_f32_e64 s1, 0, v11
                                        ; implicit-def: $vgpr8
	s_delay_alu instid0(VALU_DEP_1) | instskip(NEXT) | instid1(SALU_CYCLE_1)
	s_or_b32 s1, vcc_lo, s1
	s_and_saveexec_b32 s6, s1
	s_delay_alu instid0(SALU_CYCLE_1)
	s_xor_b32 s1, exec_lo, s6
	s_cbranch_execz .LBB173_237
; %bb.236:
	v_div_scale_f32 v8, null, v13, v13, v11
	v_div_scale_f32 v14, vcc_lo, v11, v13, v11
	s_delay_alu instid0(VALU_DEP_2) | instskip(SKIP_2) | instid1(VALU_DEP_1)
	v_rcp_f32_e32 v9, v8
	s_waitcnt_depctr 0xfff
	v_fma_f32 v10, -v8, v9, 1.0
	v_fmac_f32_e32 v9, v10, v9
	s_delay_alu instid0(VALU_DEP_1) | instskip(NEXT) | instid1(VALU_DEP_1)
	v_mul_f32_e32 v10, v14, v9
	v_fma_f32 v15, -v8, v10, v14
	s_delay_alu instid0(VALU_DEP_1) | instskip(NEXT) | instid1(VALU_DEP_1)
	v_fmac_f32_e32 v10, v15, v9
	v_fma_f32 v8, -v8, v10, v14
	s_delay_alu instid0(VALU_DEP_1) | instskip(NEXT) | instid1(VALU_DEP_1)
	v_div_fmas_f32 v8, v8, v9, v10
	v_div_fixup_f32 v9, v8, v13, v11
	s_delay_alu instid0(VALU_DEP_1) | instskip(NEXT) | instid1(VALU_DEP_1)
	v_fmac_f32_e32 v13, v11, v9
	v_div_scale_f32 v8, null, v13, v13, 1.0
	v_div_scale_f32 v14, vcc_lo, 1.0, v13, 1.0
	s_delay_alu instid0(VALU_DEP_2) | instskip(SKIP_2) | instid1(VALU_DEP_1)
	v_rcp_f32_e32 v10, v8
	s_waitcnt_depctr 0xfff
	v_fma_f32 v11, -v8, v10, 1.0
	v_fmac_f32_e32 v10, v11, v10
	s_delay_alu instid0(VALU_DEP_1) | instskip(NEXT) | instid1(VALU_DEP_1)
	v_mul_f32_e32 v11, v14, v10
	v_fma_f32 v15, -v8, v11, v14
	s_delay_alu instid0(VALU_DEP_1) | instskip(NEXT) | instid1(VALU_DEP_1)
	v_fmac_f32_e32 v11, v15, v10
	v_fma_f32 v8, -v8, v11, v14
                                        ; implicit-def: $vgpr14
	s_delay_alu instid0(VALU_DEP_1) | instskip(SKIP_1) | instid1(VALU_DEP_2)
	v_div_fmas_f32 v8, v8, v10, v11
	v_fma_f32 v10, v9, 0, 1.0
	v_div_fixup_f32 v11, v8, v13, 1.0
	s_delay_alu instid0(VALU_DEP_1)
	v_mul_f32_e32 v8, v10, v11
	v_mul_f32_e64 v9, -v9, v11
                                        ; implicit-def: $vgpr10
.LBB173_237:
	s_and_not1_saveexec_b32 s6, s1
	s_cbranch_execz .LBB173_239
; %bb.238:
	v_div_scale_f32 v8, null, v10, v10, 1.0
	v_div_scale_f32 v9, null, v14, v14, 0
	v_div_scale_f32 v17, vcc_lo, 1.0, v10, 1.0
	s_delay_alu instid0(VALU_DEP_3) | instskip(NEXT) | instid1(VALU_DEP_2)
	v_rcp_f32_e32 v11, v8
	v_rcp_f32_e32 v13, v9
	s_waitcnt_depctr 0xfff
	v_fma_f32 v15, -v8, v11, 1.0
	v_fma_f32 v16, -v9, v13, 1.0
	s_delay_alu instid0(VALU_DEP_1) | instskip(NEXT) | instid1(VALU_DEP_3)
	v_fmac_f32_e32 v13, v16, v13
	v_fmac_f32_e32 v11, v15, v11
	v_div_scale_f32 v15, s1, 0, v14, 0
	s_delay_alu instid0(VALU_DEP_1) | instskip(NEXT) | instid1(VALU_DEP_1)
	v_mul_f32_e32 v18, v15, v13
	v_fma_f32 v20, -v9, v18, v15
	s_delay_alu instid0(VALU_DEP_1) | instskip(SKIP_1) | instid1(VALU_DEP_2)
	v_fmac_f32_e32 v18, v20, v13
	v_mul_f32_e32 v16, v17, v11
	v_fma_f32 v9, -v9, v18, v15
	s_delay_alu instid0(VALU_DEP_2) | instskip(NEXT) | instid1(VALU_DEP_1)
	v_fma_f32 v19, -v8, v16, v17
	v_fmac_f32_e32 v16, v19, v11
	s_delay_alu instid0(VALU_DEP_1) | instskip(NEXT) | instid1(VALU_DEP_1)
	v_fma_f32 v8, -v8, v16, v17
	v_div_fmas_f32 v8, v8, v11, v16
	s_mov_b32 vcc_lo, s1
	v_div_fmas_f32 v9, v9, v13, v18
	s_delay_alu instid0(VALU_DEP_2) | instskip(NEXT) | instid1(VALU_DEP_2)
	v_div_fixup_f32 v8, v8, v10, 1.0
	v_div_fixup_f32 v9, v9, v14, 0
.LBB173_239:
	s_or_b32 exec_lo, exec_lo, s6
                                        ; implicit-def: $vgpr11
                                        ; implicit-def: $vgpr13
.LBB173_240:
	s_and_not1_saveexec_b32 s1, s2
	s_cbranch_execz .LBB173_242
; %bb.241:
	v_div_scale_f32 v8, null, v11, v11, v13
	v_div_scale_f32 v14, vcc_lo, v13, v11, v13
	s_delay_alu instid0(VALU_DEP_2) | instskip(SKIP_2) | instid1(VALU_DEP_1)
	v_rcp_f32_e32 v9, v8
	s_waitcnt_depctr 0xfff
	v_fma_f32 v10, -v8, v9, 1.0
	v_fmac_f32_e32 v9, v10, v9
	s_delay_alu instid0(VALU_DEP_1) | instskip(NEXT) | instid1(VALU_DEP_1)
	v_mul_f32_e32 v10, v14, v9
	v_fma_f32 v15, -v8, v10, v14
	s_delay_alu instid0(VALU_DEP_1) | instskip(NEXT) | instid1(VALU_DEP_1)
	v_fmac_f32_e32 v10, v15, v9
	v_fma_f32 v8, -v8, v10, v14
	s_delay_alu instid0(VALU_DEP_1) | instskip(NEXT) | instid1(VALU_DEP_1)
	v_div_fmas_f32 v8, v8, v9, v10
	v_div_fixup_f32 v8, v8, v11, v13
	s_delay_alu instid0(VALU_DEP_1) | instskip(NEXT) | instid1(VALU_DEP_1)
	v_fmac_f32_e32 v11, v13, v8
	v_div_scale_f32 v9, null, v11, v11, 1.0
	v_div_scale_f32 v14, vcc_lo, 1.0, v11, 1.0
	s_delay_alu instid0(VALU_DEP_2) | instskip(SKIP_2) | instid1(VALU_DEP_1)
	v_rcp_f32_e32 v10, v9
	s_waitcnt_depctr 0xfff
	v_fma_f32 v13, -v9, v10, 1.0
	v_fmac_f32_e32 v10, v13, v10
	s_delay_alu instid0(VALU_DEP_1) | instskip(NEXT) | instid1(VALU_DEP_1)
	v_mul_f32_e32 v13, v14, v10
	v_fma_f32 v15, -v9, v13, v14
	s_delay_alu instid0(VALU_DEP_1) | instskip(NEXT) | instid1(VALU_DEP_1)
	v_fmac_f32_e32 v13, v15, v10
	v_fma_f32 v9, -v9, v13, v14
	s_delay_alu instid0(VALU_DEP_1) | instskip(SKIP_1) | instid1(VALU_DEP_2)
	v_div_fmas_f32 v9, v9, v10, v13
	v_add_f32_e32 v10, 0, v8
	v_div_fixup_f32 v9, v9, v11, 1.0
	v_fma_f32 v11, v8, 0, -1.0
	s_delay_alu instid0(VALU_DEP_2) | instskip(NEXT) | instid1(VALU_DEP_2)
	v_mul_f32_e32 v8, v10, v9
	v_mul_f32_e32 v9, v11, v9
.LBB173_242:
	s_or_b32 exec_lo, exec_lo, s1
.LBB173_243:
	s_delay_alu instid0(SALU_CYCLE_1) | instskip(SKIP_2) | instid1(VALU_DEP_2)
	s_or_b32 exec_lo, exec_lo, s3
	v_or_b32_e32 v11, 0x200, v0
	v_mov_b32_e32 v10, 0
	v_cmp_gt_i32_e32 vcc_lo, s10, v11
	v_mov_b32_e32 v11, 0
	s_and_saveexec_b32 s3, vcc_lo
	s_cbranch_execz .LBB173_283
; %bb.244:
	v_cmp_neq_f32_e32 vcc_lo, 0, v6
	v_cmp_neq_f32_e64 s1, 0, v7
	v_mov_b32_e32 v13, 0
	s_delay_alu instid0(VALU_DEP_2) | instskip(NEXT) | instid1(SALU_CYCLE_1)
	s_or_b32 s1, vcc_lo, s1
	s_and_saveexec_b32 s6, s1
	s_cbranch_execz .LBB173_274
; %bb.245:
	v_mov_b32_e32 v13, 0x7f800000
	s_mov_b32 s7, exec_lo
	v_cmpx_neq_f32_e64 0x7f800000, |v7|
	s_cbranch_execz .LBB173_273
; %bb.246:
	s_mov_b32 s1, exec_lo
	v_cmpx_o_f32_e32 v6, v6
	s_xor_b32 s9, exec_lo, s1
	s_cbranch_execz .LBB173_270
; %bb.247:
	s_mov_b32 s2, exec_lo
	v_cmpx_neq_f32_e64 0x7f800000, |v6|
	s_xor_b32 s11, exec_lo, s2
	s_cbranch_execz .LBB173_263
; %bb.248:
	v_max_f32_e64 v10, |v6|, |v6|
	v_max_f32_e64 v11, |v7|, |v7|
                                        ; implicit-def: $sgpr12
	s_delay_alu instid0(VALU_DEP_1) | instskip(NEXT) | instid1(VALU_DEP_1)
	v_max_f32_e32 v10, v11, v10
	v_cmp_nle_f32_e64 s1, 0x7ed413cb, v10
	s_delay_alu instid0(VALU_DEP_1) | instskip(NEXT) | instid1(SALU_CYCLE_1)
	s_and_saveexec_b32 s2, s1
	s_xor_b32 s2, exec_lo, s2
	s_cbranch_execz .LBB173_252
; %bb.249:
	v_cmp_ge_f32_e64 s12, 0x1000000, |v6|
	v_cmp_ge_f32_e64 s13, 0x1000000, |v7|
	s_delay_alu instid0(VALU_DEP_1)
	s_and_b32 s14, s13, s12
	s_mov_b32 s12, 0
	s_and_saveexec_b32 s13, s14
; %bb.250:
	v_dual_mul_f32 v6, 4.0, v6 :: v_dual_mul_f32 v7, 4.0, v7
	s_mov_b32 s12, exec_lo
; %bb.251:
	s_or_b32 exec_lo, exec_lo, s13
	s_delay_alu instid0(SALU_CYCLE_1)
	s_and_b32 s12, s12, exec_lo
.LBB173_252:
	s_and_not1_saveexec_b32 s2, s2
; %bb.253:
	v_dual_mul_f32 v6, 0x3e800000, v6 :: v_dual_mul_f32 v7, 0x3e800000, v7
	s_and_not1_b32 s12, s12, exec_lo
; %bb.254:
	s_or_b32 exec_lo, exec_lo, s2
	s_delay_alu instid0(VALU_DEP_1) | instskip(NEXT) | instid1(VALU_DEP_2)
	v_max_f32_e64 v10, |v7|, |v7|
	v_max_f32_e64 v11, |v6|, |v6|
	s_delay_alu instid0(VALU_DEP_1) | instskip(NEXT) | instid1(VALU_DEP_1)
	v_max_f32_e32 v13, v11, v10
	v_cvt_f64_f32_e32 v[10:11], v13
	v_cmp_neq_f32_e64 s2, 0x7f800000, v13
	s_delay_alu instid0(VALU_DEP_2) | instskip(NEXT) | instid1(VALU_DEP_1)
	v_frexp_exp_i32_f64_e32 v10, v[10:11]
	v_sub_nc_u32_e32 v11, 0, v10
	s_delay_alu instid0(VALU_DEP_1) | instskip(SKIP_1) | instid1(VALU_DEP_2)
	v_ldexp_f32 v14, |v7|, v11
	v_ldexp_f32 v11, |v6|, v11
	v_mul_f32_e32 v14, v14, v14
	s_delay_alu instid0(VALU_DEP_1) | instskip(NEXT) | instid1(VALU_DEP_1)
	v_fmac_f32_e32 v14, v11, v11
	v_sqrt_f32_e32 v11, v14
	s_waitcnt_depctr 0xfff
	v_ldexp_f32 v10, v11, v10
                                        ; implicit-def: $vgpr11
	s_delay_alu instid0(VALU_DEP_1)
	v_cndmask_b32_e64 v13, 0x7f800000, v10, s2
                                        ; implicit-def: $vgpr10
	s_mov_b32 s2, exec_lo
	v_cmpx_le_f32_e32 0, v6
	s_xor_b32 s13, exec_lo, s2
	s_cbranch_execz .LBB173_256
; %bb.255:
	v_add_f32_e32 v6, v6, v13
	s_delay_alu instid0(VALU_DEP_1) | instskip(NEXT) | instid1(VALU_DEP_1)
	v_mul_f32_e32 v6, 0.5, v6
	v_mul_f32_e32 v10, 0x4f800000, v6
	v_cmp_gt_f32_e32 vcc_lo, 0xf800000, v6
	s_delay_alu instid0(VALU_DEP_2) | instskip(NEXT) | instid1(VALU_DEP_1)
	v_cndmask_b32_e32 v6, v6, v10, vcc_lo
	v_sqrt_f32_e32 v10, v6
	s_waitcnt_depctr 0xfff
	v_add_nc_u32_e32 v11, -1, v10
	v_add_nc_u32_e32 v13, 1, v10
	s_delay_alu instid0(VALU_DEP_2) | instskip(NEXT) | instid1(VALU_DEP_2)
	v_fma_f32 v14, -v11, v10, v6
	v_fma_f32 v15, -v13, v10, v6
	s_delay_alu instid0(VALU_DEP_2) | instskip(NEXT) | instid1(VALU_DEP_1)
	v_cmp_ge_f32_e64 s2, 0, v14
	v_cndmask_b32_e64 v10, v10, v11, s2
	s_delay_alu instid0(VALU_DEP_3) | instskip(NEXT) | instid1(VALU_DEP_1)
	v_cmp_lt_f32_e64 s2, 0, v15
	v_cndmask_b32_e64 v10, v10, v13, s2
	s_delay_alu instid0(VALU_DEP_1) | instskip(NEXT) | instid1(VALU_DEP_1)
	v_mul_f32_e32 v11, 0x37800000, v10
	v_cndmask_b32_e32 v10, v10, v11, vcc_lo
	v_cmp_class_f32_e64 vcc_lo, v6, 0x260
	s_delay_alu instid0(VALU_DEP_2) | instskip(NEXT) | instid1(VALU_DEP_1)
	v_cndmask_b32_e32 v10, v10, v6, vcc_lo
	v_add_f32_e32 v6, v10, v10
	s_delay_alu instid0(VALU_DEP_1) | instskip(NEXT) | instid1(VALU_DEP_1)
	v_div_scale_f32 v11, null, v6, v6, v7
	v_rcp_f32_e32 v13, v11
	s_waitcnt_depctr 0xfff
	v_fma_f32 v14, -v11, v13, 1.0
	s_delay_alu instid0(VALU_DEP_1) | instskip(SKIP_1) | instid1(VALU_DEP_1)
	v_fmac_f32_e32 v13, v14, v13
	v_div_scale_f32 v14, vcc_lo, v7, v6, v7
	v_mul_f32_e32 v15, v14, v13
	s_delay_alu instid0(VALU_DEP_1) | instskip(NEXT) | instid1(VALU_DEP_1)
	v_fma_f32 v16, -v11, v15, v14
	v_fmac_f32_e32 v15, v16, v13
	s_delay_alu instid0(VALU_DEP_1) | instskip(NEXT) | instid1(VALU_DEP_1)
	v_fma_f32 v11, -v11, v15, v14
	v_div_fmas_f32 v11, v11, v13, v15
                                        ; implicit-def: $vgpr13
	s_delay_alu instid0(VALU_DEP_1)
	v_div_fixup_f32 v11, v11, v6, v7
                                        ; implicit-def: $vgpr6
	s_and_not1_saveexec_b32 s13, s13
	s_cbranch_execz .LBB173_258
	s_branch .LBB173_257
.LBB173_256:
	s_and_not1_saveexec_b32 s13, s13
	s_cbranch_execz .LBB173_258
.LBB173_257:
	v_sub_f32_e32 v6, v13, v6
	s_delay_alu instid0(VALU_DEP_1) | instskip(NEXT) | instid1(VALU_DEP_1)
	v_mul_f32_e32 v6, 0.5, v6
	v_mul_f32_e32 v10, 0x4f800000, v6
	v_cmp_gt_f32_e32 vcc_lo, 0xf800000, v6
	s_delay_alu instid0(VALU_DEP_2) | instskip(NEXT) | instid1(VALU_DEP_1)
	v_cndmask_b32_e32 v6, v6, v10, vcc_lo
	v_sqrt_f32_e32 v10, v6
	s_waitcnt_depctr 0xfff
	v_add_nc_u32_e32 v11, -1, v10
	v_add_nc_u32_e32 v13, 1, v10
	s_delay_alu instid0(VALU_DEP_2) | instskip(NEXT) | instid1(VALU_DEP_2)
	v_fma_f32 v14, -v11, v10, v6
	v_fma_f32 v15, -v13, v10, v6
	s_delay_alu instid0(VALU_DEP_2) | instskip(NEXT) | instid1(VALU_DEP_1)
	v_cmp_ge_f32_e64 s2, 0, v14
	v_cndmask_b32_e64 v10, v10, v11, s2
	s_delay_alu instid0(VALU_DEP_3) | instskip(NEXT) | instid1(VALU_DEP_1)
	v_cmp_lt_f32_e64 s2, 0, v15
	v_cndmask_b32_e64 v10, v10, v13, s2
	s_delay_alu instid0(VALU_DEP_1) | instskip(NEXT) | instid1(VALU_DEP_1)
	v_mul_f32_e32 v11, 0x37800000, v10
	v_cndmask_b32_e32 v10, v10, v11, vcc_lo
	v_cmp_class_f32_e64 vcc_lo, v6, 0x260
	s_delay_alu instid0(VALU_DEP_2) | instskip(NEXT) | instid1(VALU_DEP_1)
	v_cndmask_b32_e32 v6, v10, v6, vcc_lo
	v_dual_add_f32 v11, v6, v6 :: v_dual_and_b32 v10, 0x7fffffff, v7
	s_delay_alu instid0(VALU_DEP_1) | instskip(SKIP_1) | instid1(VALU_DEP_2)
	v_div_scale_f32 v13, null, v11, v11, v10
	v_div_scale_f32 v10, vcc_lo, v10, v11, v10
	v_rcp_f32_e32 v14, v13
	s_waitcnt_depctr 0xfff
	v_fma_f32 v15, -v13, v14, 1.0
	s_delay_alu instid0(VALU_DEP_1) | instskip(NEXT) | instid1(VALU_DEP_1)
	v_fmac_f32_e32 v14, v15, v14
	v_mul_f32_e32 v15, v10, v14
	s_delay_alu instid0(VALU_DEP_1) | instskip(NEXT) | instid1(VALU_DEP_1)
	v_fma_f32 v16, -v13, v15, v10
	v_fmac_f32_e32 v15, v16, v14
	s_delay_alu instid0(VALU_DEP_1) | instskip(NEXT) | instid1(VALU_DEP_1)
	v_fma_f32 v10, -v13, v15, v10
	v_div_fmas_f32 v10, v10, v14, v15
	s_delay_alu instid0(VALU_DEP_1)
	v_div_fixup_f32 v10, v10, v11, |v7|
	v_bfi_b32 v11, 0x7fffffff, v6, v7
.LBB173_258:
	s_or_b32 exec_lo, exec_lo, s13
                                        ; implicit-def: $vgpr7
	s_and_saveexec_b32 s2, s1
	s_delay_alu instid0(SALU_CYCLE_1)
	s_xor_b32 s1, exec_lo, s2
	s_cbranch_execz .LBB173_260
; %bb.259:
	v_dual_mul_f32 v6, 0.5, v10 :: v_dual_mul_f32 v7, 0.5, v11
	s_delay_alu instid0(VALU_DEP_1) | instskip(NEXT) | instid1(VALU_DEP_2)
	v_cndmask_b32_e64 v6, v10, v6, s12
	v_cndmask_b32_e64 v7, v11, v7, s12
                                        ; implicit-def: $vgpr10
                                        ; implicit-def: $vgpr11
	s_and_not1_saveexec_b32 s1, s1
	s_cbranch_execnz .LBB173_261
	s_branch .LBB173_262
.LBB173_260:
	s_and_not1_saveexec_b32 s1, s1
.LBB173_261:
	v_dual_add_f32 v6, v10, v10 :: v_dual_add_f32 v7, v11, v11
.LBB173_262:
	s_or_b32 exec_lo, exec_lo, s1
.LBB173_263:
	s_and_not1_saveexec_b32 s1, s11
	s_cbranch_execz .LBB173_269
; %bb.264:
	s_delay_alu instid0(VALU_DEP_1)
	v_sub_f32_e32 v10, v7, v7
	s_mov_b32 s2, exec_lo
	v_cmpx_lt_i32_e32 -1, v6
	s_xor_b32 s2, exec_lo, s2
; %bb.265:
	s_delay_alu instid0(VALU_DEP_2)
	v_bfi_b32 v7, 0x7fffffff, v10, v7
                                        ; implicit-def: $vgpr10
; %bb.266:
	s_and_not1_saveexec_b32 s2, s2
; %bb.267:
	v_and_b32_e32 v10, 0x7fffffff, v10
	s_delay_alu instid0(VALU_DEP_2) | instskip(NEXT) | instid1(VALU_DEP_2)
	v_bfi_b32 v7, 0x7fffffff, v6, v7
	v_mov_b32_e32 v6, v10
; %bb.268:
	s_or_b32 exec_lo, exec_lo, s2
.LBB173_269:
	s_delay_alu instid0(SALU_CYCLE_1)
	s_or_b32 exec_lo, exec_lo, s1
.LBB173_270:
	s_and_not1_saveexec_b32 s1, s9
; %bb.271:
	v_sub_f32_e32 v7, v7, v7
	s_delay_alu instid0(VALU_DEP_1) | instskip(NEXT) | instid1(VALU_DEP_1)
	v_div_scale_f32 v10, vcc_lo, v7, v7, v7
	v_rcp_f32_e32 v11, v10
	s_waitcnt_depctr 0xfff
	v_fma_f32 v13, -v10, v11, 1.0
	s_delay_alu instid0(VALU_DEP_1) | instskip(NEXT) | instid1(VALU_DEP_1)
	v_fmac_f32_e32 v11, v13, v11
	v_mul_f32_e32 v13, v10, v11
	s_delay_alu instid0(VALU_DEP_1) | instskip(NEXT) | instid1(VALU_DEP_1)
	v_fma_f32 v14, -v10, v13, v10
	v_fmac_f32_e32 v13, v14, v11
	s_delay_alu instid0(VALU_DEP_1) | instskip(NEXT) | instid1(VALU_DEP_1)
	v_fma_f32 v10, -v10, v13, v10
	v_div_fmas_f32 v10, v10, v11, v13
	s_delay_alu instid0(VALU_DEP_1)
	v_div_fixup_f32 v7, v10, v7, v7
; %bb.272:
	s_or_b32 exec_lo, exec_lo, s1
	v_mov_b32_e32 v13, v6
.LBB173_273:
	s_or_b32 exec_lo, exec_lo, s7
.LBB173_274:
	s_delay_alu instid0(SALU_CYCLE_1) | instskip(NEXT) | instid1(VALU_DEP_1)
	s_or_b32 exec_lo, exec_lo, s6
	v_cmp_gt_f32_e32 vcc_lo, 0, v13
                                        ; implicit-def: $vgpr10
	s_mov_b32 s1, exec_lo
	v_cndmask_b32_e64 v6, v13, -v13, vcc_lo
	v_cmp_gt_f32_e32 vcc_lo, 0, v7
	v_cndmask_b32_e64 v14, v7, -v7, vcc_lo
	s_delay_alu instid0(VALU_DEP_1)
	v_cmpx_ge_f32_e32 v6, v14
	s_xor_b32 s2, exec_lo, s1
	s_cbranch_execz .LBB173_280
; %bb.275:
	v_cmp_neq_f32_e32 vcc_lo, 0, v13
	v_cmp_neq_f32_e64 s1, 0, v7
                                        ; implicit-def: $vgpr10
	s_delay_alu instid0(VALU_DEP_1) | instskip(NEXT) | instid1(SALU_CYCLE_1)
	s_or_b32 s1, vcc_lo, s1
	s_and_saveexec_b32 s6, s1
	s_delay_alu instid0(SALU_CYCLE_1)
	s_xor_b32 s1, exec_lo, s6
	s_cbranch_execz .LBB173_277
; %bb.276:
	v_div_scale_f32 v6, null, v13, v13, v7
	v_div_scale_f32 v14, vcc_lo, v7, v13, v7
	s_delay_alu instid0(VALU_DEP_2) | instskip(SKIP_2) | instid1(VALU_DEP_1)
	v_rcp_f32_e32 v10, v6
	s_waitcnt_depctr 0xfff
	v_fma_f32 v11, -v6, v10, 1.0
	v_fmac_f32_e32 v10, v11, v10
	s_delay_alu instid0(VALU_DEP_1) | instskip(NEXT) | instid1(VALU_DEP_1)
	v_mul_f32_e32 v11, v14, v10
	v_fma_f32 v15, -v6, v11, v14
	s_delay_alu instid0(VALU_DEP_1) | instskip(NEXT) | instid1(VALU_DEP_1)
	v_fmac_f32_e32 v11, v15, v10
	v_fma_f32 v6, -v6, v11, v14
	s_delay_alu instid0(VALU_DEP_1) | instskip(NEXT) | instid1(VALU_DEP_1)
	v_div_fmas_f32 v6, v6, v10, v11
	v_div_fixup_f32 v6, v6, v13, v7
	s_delay_alu instid0(VALU_DEP_1) | instskip(NEXT) | instid1(VALU_DEP_1)
	v_fmac_f32_e32 v13, v7, v6
	v_div_scale_f32 v7, null, v13, v13, 1.0
	v_div_scale_f32 v14, vcc_lo, 1.0, v13, 1.0
	s_delay_alu instid0(VALU_DEP_2) | instskip(SKIP_2) | instid1(VALU_DEP_1)
	v_rcp_f32_e32 v10, v7
	s_waitcnt_depctr 0xfff
	v_fma_f32 v11, -v7, v10, 1.0
	v_fmac_f32_e32 v10, v11, v10
	s_delay_alu instid0(VALU_DEP_1) | instskip(NEXT) | instid1(VALU_DEP_1)
	v_mul_f32_e32 v11, v14, v10
	v_fma_f32 v15, -v7, v11, v14
	s_delay_alu instid0(VALU_DEP_1) | instskip(NEXT) | instid1(VALU_DEP_1)
	v_fmac_f32_e32 v11, v15, v10
	v_fma_f32 v7, -v7, v11, v14
                                        ; implicit-def: $vgpr14
	s_delay_alu instid0(VALU_DEP_1) | instskip(SKIP_1) | instid1(VALU_DEP_2)
	v_div_fmas_f32 v7, v7, v10, v11
	v_fma_f32 v10, v6, 0, 1.0
	v_div_fixup_f32 v7, v7, v13, 1.0
	s_delay_alu instid0(VALU_DEP_1)
	v_mul_f32_e32 v10, v10, v7
	v_mul_f32_e64 v11, -v6, v7
                                        ; implicit-def: $vgpr6
.LBB173_277:
	s_and_not1_saveexec_b32 s6, s1
	s_cbranch_execz .LBB173_279
; %bb.278:
	v_div_scale_f32 v7, null, v6, v6, 1.0
	v_div_scale_f32 v10, null, v14, v14, 0
	v_div_scale_f32 v17, vcc_lo, 1.0, v6, 1.0
	s_delay_alu instid0(VALU_DEP_3) | instskip(NEXT) | instid1(VALU_DEP_2)
	v_rcp_f32_e32 v11, v7
	v_rcp_f32_e32 v13, v10
	s_waitcnt_depctr 0xfff
	v_fma_f32 v15, -v7, v11, 1.0
	v_fma_f32 v16, -v10, v13, 1.0
	s_delay_alu instid0(VALU_DEP_1) | instskip(NEXT) | instid1(VALU_DEP_3)
	v_fmac_f32_e32 v13, v16, v13
	v_fmac_f32_e32 v11, v15, v11
	v_div_scale_f32 v15, s1, 0, v14, 0
	s_delay_alu instid0(VALU_DEP_1) | instskip(NEXT) | instid1(VALU_DEP_1)
	v_mul_f32_e32 v18, v15, v13
	v_fma_f32 v20, -v10, v18, v15
	s_delay_alu instid0(VALU_DEP_1) | instskip(SKIP_1) | instid1(VALU_DEP_2)
	v_fmac_f32_e32 v18, v20, v13
	v_mul_f32_e32 v16, v17, v11
	v_fma_f32 v10, -v10, v18, v15
	s_delay_alu instid0(VALU_DEP_2) | instskip(NEXT) | instid1(VALU_DEP_1)
	v_fma_f32 v19, -v7, v16, v17
	v_fmac_f32_e32 v16, v19, v11
	s_delay_alu instid0(VALU_DEP_1) | instskip(NEXT) | instid1(VALU_DEP_1)
	v_fma_f32 v7, -v7, v16, v17
	v_div_fmas_f32 v7, v7, v11, v16
	s_mov_b32 vcc_lo, s1
	v_div_fmas_f32 v11, v10, v13, v18
	s_delay_alu instid0(VALU_DEP_2) | instskip(NEXT) | instid1(VALU_DEP_2)
	v_div_fixup_f32 v10, v7, v6, 1.0
	v_div_fixup_f32 v11, v11, v14, 0
.LBB173_279:
	s_or_b32 exec_lo, exec_lo, s6
                                        ; implicit-def: $vgpr7
                                        ; implicit-def: $vgpr13
.LBB173_280:
	s_and_not1_saveexec_b32 s1, s2
	s_cbranch_execz .LBB173_282
; %bb.281:
	v_div_scale_f32 v6, null, v7, v7, v13
	v_div_scale_f32 v14, vcc_lo, v13, v7, v13
	s_delay_alu instid0(VALU_DEP_2) | instskip(SKIP_2) | instid1(VALU_DEP_1)
	v_rcp_f32_e32 v10, v6
	s_waitcnt_depctr 0xfff
	v_fma_f32 v11, -v6, v10, 1.0
	v_fmac_f32_e32 v10, v11, v10
	s_delay_alu instid0(VALU_DEP_1) | instskip(NEXT) | instid1(VALU_DEP_1)
	v_mul_f32_e32 v11, v14, v10
	v_fma_f32 v15, -v6, v11, v14
	s_delay_alu instid0(VALU_DEP_1) | instskip(NEXT) | instid1(VALU_DEP_1)
	v_fmac_f32_e32 v11, v15, v10
	v_fma_f32 v6, -v6, v11, v14
	s_delay_alu instid0(VALU_DEP_1) | instskip(NEXT) | instid1(VALU_DEP_1)
	v_div_fmas_f32 v6, v6, v10, v11
	v_div_fixup_f32 v6, v6, v7, v13
	s_delay_alu instid0(VALU_DEP_1) | instskip(NEXT) | instid1(VALU_DEP_1)
	v_fmac_f32_e32 v7, v13, v6
	v_div_scale_f32 v10, null, v7, v7, 1.0
	v_div_scale_f32 v14, vcc_lo, 1.0, v7, 1.0
	s_delay_alu instid0(VALU_DEP_2) | instskip(SKIP_2) | instid1(VALU_DEP_1)
	v_rcp_f32_e32 v11, v10
	s_waitcnt_depctr 0xfff
	v_fma_f32 v13, -v10, v11, 1.0
	v_fmac_f32_e32 v11, v13, v11
	s_delay_alu instid0(VALU_DEP_1) | instskip(NEXT) | instid1(VALU_DEP_1)
	v_mul_f32_e32 v13, v14, v11
	v_fma_f32 v15, -v10, v13, v14
	s_delay_alu instid0(VALU_DEP_1) | instskip(NEXT) | instid1(VALU_DEP_1)
	v_fmac_f32_e32 v13, v15, v11
	v_fma_f32 v10, -v10, v13, v14
	s_delay_alu instid0(VALU_DEP_1) | instskip(SKIP_2) | instid1(VALU_DEP_3)
	v_div_fmas_f32 v10, v10, v11, v13
	v_add_f32_e32 v11, 0, v6
	v_fma_f32 v6, v6, 0, -1.0
	v_div_fixup_f32 v7, v10, v7, 1.0
	s_delay_alu instid0(VALU_DEP_1) | instskip(NEXT) | instid1(VALU_DEP_3)
	v_mul_f32_e32 v10, v11, v7
	v_mul_f32_e32 v11, v6, v7
.LBB173_282:
	s_or_b32 exec_lo, exec_lo, s1
.LBB173_283:
	s_delay_alu instid0(SALU_CYCLE_1) | instskip(SKIP_2) | instid1(VALU_DEP_2)
	s_or_b32 exec_lo, exec_lo, s3
	v_or_b32_e32 v7, 0x300, v0
	v_mov_b32_e32 v6, 0
	v_cmp_gt_i32_e32 vcc_lo, s10, v7
	v_mov_b32_e32 v7, 0
	s_and_saveexec_b32 s3, vcc_lo
	s_cbranch_execz .LBB173_296
; %bb.284:
	v_cmp_neq_f32_e32 vcc_lo, 0, v2
	v_cmp_neq_f32_e64 s1, 0, v3
	v_mov_b32_e32 v13, 0
	s_delay_alu instid0(VALU_DEP_2) | instskip(NEXT) | instid1(SALU_CYCLE_1)
	s_or_b32 s1, vcc_lo, s1
	s_and_saveexec_b32 s6, s1
	s_cbranch_execz .LBB173_318
; %bb.285:
	v_mov_b32_e32 v13, 0x7f800000
	s_mov_b32 s7, exec_lo
	v_cmpx_neq_f32_e64 0x7f800000, |v3|
	s_cbranch_execz .LBB173_317
; %bb.286:
	s_mov_b32 s1, exec_lo
	v_cmpx_o_f32_e32 v2, v2
	s_xor_b32 s9, exec_lo, s1
	s_cbranch_execz .LBB173_314
; %bb.287:
	s_mov_b32 s2, exec_lo
	v_cmpx_neq_f32_e64 0x7f800000, |v2|
	s_xor_b32 s11, exec_lo, s2
	s_cbranch_execz .LBB173_307
; %bb.288:
	v_max_f32_e64 v6, |v2|, |v2|
	v_max_f32_e64 v7, |v3|, |v3|
                                        ; implicit-def: $sgpr12
	s_delay_alu instid0(VALU_DEP_1) | instskip(NEXT) | instid1(VALU_DEP_1)
	v_max_f32_e32 v6, v7, v6
	v_cmp_nle_f32_e64 s1, 0x7ed413cb, v6
	s_delay_alu instid0(VALU_DEP_1) | instskip(NEXT) | instid1(SALU_CYCLE_1)
	s_and_saveexec_b32 s2, s1
	s_xor_b32 s2, exec_lo, s2
	s_cbranch_execz .LBB173_292
; %bb.289:
	v_cmp_ge_f32_e64 s12, 0x1000000, |v2|
	v_cmp_ge_f32_e64 s13, 0x1000000, |v3|
	s_delay_alu instid0(VALU_DEP_1)
	s_and_b32 s14, s13, s12
	s_mov_b32 s12, 0
	s_and_saveexec_b32 s13, s14
; %bb.290:
	v_dual_mul_f32 v2, 4.0, v2 :: v_dual_mul_f32 v3, 4.0, v3
	s_mov_b32 s12, exec_lo
; %bb.291:
	s_or_b32 exec_lo, exec_lo, s13
	s_delay_alu instid0(SALU_CYCLE_1)
	s_and_b32 s12, s12, exec_lo
.LBB173_292:
	s_and_not1_saveexec_b32 s2, s2
; %bb.293:
	v_dual_mul_f32 v2, 0x3e800000, v2 :: v_dual_mul_f32 v3, 0x3e800000, v3
	s_and_not1_b32 s12, s12, exec_lo
; %bb.294:
	s_or_b32 exec_lo, exec_lo, s2
	s_delay_alu instid0(VALU_DEP_1) | instskip(NEXT) | instid1(VALU_DEP_2)
	v_max_f32_e64 v6, |v3|, |v3|
	v_max_f32_e64 v7, |v2|, |v2|
	s_delay_alu instid0(VALU_DEP_1) | instskip(NEXT) | instid1(VALU_DEP_1)
	v_max_f32_e32 v13, v7, v6
	v_cvt_f64_f32_e32 v[6:7], v13
	v_cmp_neq_f32_e64 s2, 0x7f800000, v13
	s_delay_alu instid0(VALU_DEP_2) | instskip(NEXT) | instid1(VALU_DEP_1)
	v_frexp_exp_i32_f64_e32 v6, v[6:7]
	v_sub_nc_u32_e32 v7, 0, v6
	s_delay_alu instid0(VALU_DEP_1) | instskip(SKIP_1) | instid1(VALU_DEP_2)
	v_ldexp_f32 v14, |v3|, v7
	v_ldexp_f32 v7, |v2|, v7
	v_mul_f32_e32 v14, v14, v14
	s_delay_alu instid0(VALU_DEP_1) | instskip(NEXT) | instid1(VALU_DEP_1)
	v_fmac_f32_e32 v14, v7, v7
	v_sqrt_f32_e32 v7, v14
	s_waitcnt_depctr 0xfff
	v_ldexp_f32 v6, v7, v6
                                        ; implicit-def: $vgpr7
	s_delay_alu instid0(VALU_DEP_1)
	v_cndmask_b32_e64 v13, 0x7f800000, v6, s2
                                        ; implicit-def: $vgpr6
	s_mov_b32 s2, exec_lo
	v_cmpx_le_f32_e32 0, v2
	s_xor_b32 s13, exec_lo, s2
	s_cbranch_execz .LBB173_300
; %bb.295:
	v_add_f32_e32 v2, v2, v13
	s_delay_alu instid0(VALU_DEP_1) | instskip(NEXT) | instid1(VALU_DEP_1)
	v_mul_f32_e32 v2, 0.5, v2
	v_mul_f32_e32 v6, 0x4f800000, v2
	v_cmp_gt_f32_e32 vcc_lo, 0xf800000, v2
	s_delay_alu instid0(VALU_DEP_2) | instskip(NEXT) | instid1(VALU_DEP_1)
	v_cndmask_b32_e32 v2, v2, v6, vcc_lo
	v_sqrt_f32_e32 v6, v2
	s_waitcnt_depctr 0xfff
	v_add_nc_u32_e32 v7, -1, v6
	v_add_nc_u32_e32 v13, 1, v6
	s_delay_alu instid0(VALU_DEP_2) | instskip(NEXT) | instid1(VALU_DEP_2)
	v_fma_f32 v14, -v7, v6, v2
	v_fma_f32 v15, -v13, v6, v2
	s_delay_alu instid0(VALU_DEP_2) | instskip(NEXT) | instid1(VALU_DEP_1)
	v_cmp_ge_f32_e64 s2, 0, v14
	v_cndmask_b32_e64 v6, v6, v7, s2
	s_delay_alu instid0(VALU_DEP_3) | instskip(NEXT) | instid1(VALU_DEP_1)
	v_cmp_lt_f32_e64 s2, 0, v15
	v_cndmask_b32_e64 v6, v6, v13, s2
	s_delay_alu instid0(VALU_DEP_1) | instskip(NEXT) | instid1(VALU_DEP_1)
	v_mul_f32_e32 v7, 0x37800000, v6
	v_cndmask_b32_e32 v6, v6, v7, vcc_lo
	v_cmp_class_f32_e64 vcc_lo, v2, 0x260
	s_delay_alu instid0(VALU_DEP_2) | instskip(NEXT) | instid1(VALU_DEP_1)
	v_cndmask_b32_e32 v6, v6, v2, vcc_lo
	v_add_f32_e32 v2, v6, v6
	s_delay_alu instid0(VALU_DEP_1) | instskip(NEXT) | instid1(VALU_DEP_1)
	v_div_scale_f32 v7, null, v2, v2, v3
	v_rcp_f32_e32 v13, v7
	s_waitcnt_depctr 0xfff
	v_fma_f32 v14, -v7, v13, 1.0
	s_delay_alu instid0(VALU_DEP_1) | instskip(SKIP_1) | instid1(VALU_DEP_1)
	v_fmac_f32_e32 v13, v14, v13
	v_div_scale_f32 v14, vcc_lo, v3, v2, v3
	v_mul_f32_e32 v15, v14, v13
	s_delay_alu instid0(VALU_DEP_1) | instskip(NEXT) | instid1(VALU_DEP_1)
	v_fma_f32 v16, -v7, v15, v14
	v_fmac_f32_e32 v15, v16, v13
	s_delay_alu instid0(VALU_DEP_1) | instskip(NEXT) | instid1(VALU_DEP_1)
	v_fma_f32 v7, -v7, v15, v14
	v_div_fmas_f32 v7, v7, v13, v15
                                        ; implicit-def: $vgpr13
	s_delay_alu instid0(VALU_DEP_1)
	v_div_fixup_f32 v7, v7, v2, v3
                                        ; implicit-def: $vgpr2
	s_and_not1_saveexec_b32 s13, s13
	s_cbranch_execz .LBB173_302
	s_branch .LBB173_301
.LBB173_296:
	s_or_b32 exec_lo, exec_lo, s3
	s_and_saveexec_b32 s1, s0
	s_delay_alu instid0(SALU_CYCLE_1)
	s_xor_b32 s0, exec_lo, s1
	s_cbranch_execz .LBB173_327
.LBB173_297:
	v_mov_b32_e32 v2, 0
	s_delay_alu instid0(VALU_DEP_1) | instskip(NEXT) | instid1(VALU_DEP_1)
	v_lshlrev_b64 v[0:1], 3, v[1:2]
	v_add_co_u32 v2, vcc_lo, s4, v0
	s_delay_alu instid0(VALU_DEP_2) | instskip(SKIP_3) | instid1(SALU_CYCLE_1)
	v_add_co_ci_u32_e32 v3, vcc_lo, s5, v1, vcc_lo
	v_mov_b32_e32 v0, v12
	global_store_b64 v[2:3], v[4:5], off
	s_or_b32 exec_lo, exec_lo, s0
	s_mov_b32 s0, exec_lo
	v_cmpx_gt_i32_e64 s10, v0
	s_cbranch_execnz .LBB173_328
.LBB173_298:
	s_or_b32 exec_lo, exec_lo, s0
	s_delay_alu instid0(SALU_CYCLE_1)
	s_mov_b32 s0, exec_lo
	v_cmpx_gt_i32_e64 s10, v0
	s_cbranch_execz .LBB173_329
.LBB173_299:
	v_dual_mov_b32 v2, 0 :: v_dual_add_nc_u32 v1, s8, v0
	v_add_nc_u32_e32 v0, 0x100, v0
	s_delay_alu instid0(VALU_DEP_2) | instskip(NEXT) | instid1(VALU_DEP_1)
	v_lshlrev_b64 v[1:2], 3, v[1:2]
	v_add_co_u32 v1, vcc_lo, s4, v1
	s_delay_alu instid0(VALU_DEP_2) | instskip(SKIP_2) | instid1(SALU_CYCLE_1)
	v_add_co_ci_u32_e32 v2, vcc_lo, s5, v2, vcc_lo
	global_store_b64 v[1:2], v[10:11], off
	s_or_b32 exec_lo, exec_lo, s0
	s_mov_b32 s0, exec_lo
	v_cmpx_gt_i32_e64 s10, v0
	s_cbranch_execnz .LBB173_330
	s_branch .LBB173_331
.LBB173_300:
	s_and_not1_saveexec_b32 s13, s13
	s_cbranch_execz .LBB173_302
.LBB173_301:
	v_sub_f32_e32 v2, v13, v2
	s_delay_alu instid0(VALU_DEP_1) | instskip(NEXT) | instid1(VALU_DEP_1)
	v_mul_f32_e32 v2, 0.5, v2
	v_mul_f32_e32 v6, 0x4f800000, v2
	v_cmp_gt_f32_e32 vcc_lo, 0xf800000, v2
	s_delay_alu instid0(VALU_DEP_2) | instskip(NEXT) | instid1(VALU_DEP_1)
	v_cndmask_b32_e32 v2, v2, v6, vcc_lo
	v_sqrt_f32_e32 v6, v2
	s_waitcnt_depctr 0xfff
	v_add_nc_u32_e32 v7, -1, v6
	v_add_nc_u32_e32 v13, 1, v6
	s_delay_alu instid0(VALU_DEP_2) | instskip(NEXT) | instid1(VALU_DEP_2)
	v_fma_f32 v14, -v7, v6, v2
	v_fma_f32 v15, -v13, v6, v2
	s_delay_alu instid0(VALU_DEP_2) | instskip(NEXT) | instid1(VALU_DEP_1)
	v_cmp_ge_f32_e64 s2, 0, v14
	v_cndmask_b32_e64 v6, v6, v7, s2
	s_delay_alu instid0(VALU_DEP_3) | instskip(NEXT) | instid1(VALU_DEP_1)
	v_cmp_lt_f32_e64 s2, 0, v15
	v_cndmask_b32_e64 v6, v6, v13, s2
	s_delay_alu instid0(VALU_DEP_1) | instskip(NEXT) | instid1(VALU_DEP_1)
	v_mul_f32_e32 v7, 0x37800000, v6
	v_cndmask_b32_e32 v6, v6, v7, vcc_lo
	v_cmp_class_f32_e64 vcc_lo, v2, 0x260
	s_delay_alu instid0(VALU_DEP_2) | instskip(NEXT) | instid1(VALU_DEP_1)
	v_cndmask_b32_e32 v2, v6, v2, vcc_lo
	v_dual_add_f32 v7, v2, v2 :: v_dual_and_b32 v6, 0x7fffffff, v3
	s_delay_alu instid0(VALU_DEP_1) | instskip(SKIP_1) | instid1(VALU_DEP_2)
	v_div_scale_f32 v13, null, v7, v7, v6
	v_div_scale_f32 v6, vcc_lo, v6, v7, v6
	v_rcp_f32_e32 v14, v13
	s_waitcnt_depctr 0xfff
	v_fma_f32 v15, -v13, v14, 1.0
	s_delay_alu instid0(VALU_DEP_1) | instskip(NEXT) | instid1(VALU_DEP_1)
	v_fmac_f32_e32 v14, v15, v14
	v_mul_f32_e32 v15, v6, v14
	s_delay_alu instid0(VALU_DEP_1) | instskip(NEXT) | instid1(VALU_DEP_1)
	v_fma_f32 v16, -v13, v15, v6
	v_fmac_f32_e32 v15, v16, v14
	s_delay_alu instid0(VALU_DEP_1) | instskip(NEXT) | instid1(VALU_DEP_1)
	v_fma_f32 v6, -v13, v15, v6
	v_div_fmas_f32 v6, v6, v14, v15
	s_delay_alu instid0(VALU_DEP_1)
	v_div_fixup_f32 v6, v6, v7, |v3|
	v_bfi_b32 v7, 0x7fffffff, v2, v3
.LBB173_302:
	s_or_b32 exec_lo, exec_lo, s13
                                        ; implicit-def: $vgpr3
	s_and_saveexec_b32 s2, s1
	s_delay_alu instid0(SALU_CYCLE_1)
	s_xor_b32 s1, exec_lo, s2
	s_cbranch_execz .LBB173_304
; %bb.303:
	v_dual_mul_f32 v2, 0.5, v6 :: v_dual_mul_f32 v3, 0.5, v7
	s_delay_alu instid0(VALU_DEP_1) | instskip(NEXT) | instid1(VALU_DEP_2)
	v_cndmask_b32_e64 v2, v6, v2, s12
	v_cndmask_b32_e64 v3, v7, v3, s12
                                        ; implicit-def: $vgpr6
                                        ; implicit-def: $vgpr7
	s_and_not1_saveexec_b32 s1, s1
	s_cbranch_execnz .LBB173_305
	s_branch .LBB173_306
.LBB173_304:
	s_and_not1_saveexec_b32 s1, s1
.LBB173_305:
	v_dual_add_f32 v2, v6, v6 :: v_dual_add_f32 v3, v7, v7
.LBB173_306:
	s_or_b32 exec_lo, exec_lo, s1
.LBB173_307:
	s_and_not1_saveexec_b32 s1, s11
	s_cbranch_execz .LBB173_313
; %bb.308:
	s_delay_alu instid0(VALU_DEP_1)
	v_sub_f32_e32 v6, v3, v3
	s_mov_b32 s2, exec_lo
	v_cmpx_lt_i32_e32 -1, v2
	s_xor_b32 s2, exec_lo, s2
; %bb.309:
	s_delay_alu instid0(VALU_DEP_2)
	v_bfi_b32 v3, 0x7fffffff, v6, v3
                                        ; implicit-def: $vgpr6
; %bb.310:
	s_and_not1_saveexec_b32 s2, s2
; %bb.311:
	v_and_b32_e32 v6, 0x7fffffff, v6
	s_delay_alu instid0(VALU_DEP_2) | instskip(NEXT) | instid1(VALU_DEP_2)
	v_bfi_b32 v3, 0x7fffffff, v2, v3
	v_mov_b32_e32 v2, v6
; %bb.312:
	s_or_b32 exec_lo, exec_lo, s2
.LBB173_313:
	s_delay_alu instid0(SALU_CYCLE_1)
	s_or_b32 exec_lo, exec_lo, s1
.LBB173_314:
	s_and_not1_saveexec_b32 s1, s9
; %bb.315:
	v_sub_f32_e32 v3, v3, v3
	s_delay_alu instid0(VALU_DEP_1) | instskip(NEXT) | instid1(VALU_DEP_1)
	v_div_scale_f32 v6, vcc_lo, v3, v3, v3
	v_rcp_f32_e32 v7, v6
	s_waitcnt_depctr 0xfff
	v_fma_f32 v13, -v6, v7, 1.0
	s_delay_alu instid0(VALU_DEP_1) | instskip(NEXT) | instid1(VALU_DEP_1)
	v_fmac_f32_e32 v7, v13, v7
	v_mul_f32_e32 v13, v6, v7
	s_delay_alu instid0(VALU_DEP_1) | instskip(NEXT) | instid1(VALU_DEP_1)
	v_fma_f32 v14, -v6, v13, v6
	v_fmac_f32_e32 v13, v14, v7
	s_delay_alu instid0(VALU_DEP_1) | instskip(NEXT) | instid1(VALU_DEP_1)
	v_fma_f32 v6, -v6, v13, v6
	v_div_fmas_f32 v6, v6, v7, v13
	s_delay_alu instid0(VALU_DEP_1)
	v_div_fixup_f32 v3, v6, v3, v3
; %bb.316:
	s_or_b32 exec_lo, exec_lo, s1
	v_mov_b32_e32 v13, v2
.LBB173_317:
	s_or_b32 exec_lo, exec_lo, s7
.LBB173_318:
	s_delay_alu instid0(SALU_CYCLE_1) | instskip(NEXT) | instid1(VALU_DEP_1)
	s_or_b32 exec_lo, exec_lo, s6
	v_cmp_gt_f32_e32 vcc_lo, 0, v13
                                        ; implicit-def: $vgpr7
	s_mov_b32 s1, exec_lo
	v_cndmask_b32_e64 v2, v13, -v13, vcc_lo
	v_cmp_gt_f32_e32 vcc_lo, 0, v3
	v_cndmask_b32_e64 v14, v3, -v3, vcc_lo
	s_delay_alu instid0(VALU_DEP_1)
	v_cmpx_ge_f32_e32 v2, v14
	s_xor_b32 s2, exec_lo, s1
	s_cbranch_execz .LBB173_324
; %bb.319:
	v_cmp_neq_f32_e32 vcc_lo, 0, v13
	v_cmp_neq_f32_e64 s1, 0, v3
                                        ; implicit-def: $vgpr7
	s_delay_alu instid0(VALU_DEP_1) | instskip(NEXT) | instid1(SALU_CYCLE_1)
	s_or_b32 s1, vcc_lo, s1
	s_and_saveexec_b32 s6, s1
	s_delay_alu instid0(SALU_CYCLE_1)
	s_xor_b32 s1, exec_lo, s6
	s_cbranch_execz .LBB173_321
; %bb.320:
	v_div_scale_f32 v2, null, v13, v13, v3
	v_div_scale_f32 v14, vcc_lo, v3, v13, v3
	s_delay_alu instid0(VALU_DEP_2) | instskip(SKIP_2) | instid1(VALU_DEP_1)
	v_rcp_f32_e32 v6, v2
	s_waitcnt_depctr 0xfff
	v_fma_f32 v7, -v2, v6, 1.0
	v_fmac_f32_e32 v6, v7, v6
	s_delay_alu instid0(VALU_DEP_1) | instskip(NEXT) | instid1(VALU_DEP_1)
	v_mul_f32_e32 v7, v14, v6
	v_fma_f32 v15, -v2, v7, v14
	s_delay_alu instid0(VALU_DEP_1) | instskip(NEXT) | instid1(VALU_DEP_1)
	v_fmac_f32_e32 v7, v15, v6
	v_fma_f32 v2, -v2, v7, v14
	s_delay_alu instid0(VALU_DEP_1) | instskip(NEXT) | instid1(VALU_DEP_1)
	v_div_fmas_f32 v2, v2, v6, v7
	v_div_fixup_f32 v2, v2, v13, v3
	s_delay_alu instid0(VALU_DEP_1) | instskip(NEXT) | instid1(VALU_DEP_1)
	v_fmac_f32_e32 v13, v3, v2
	v_div_scale_f32 v3, null, v13, v13, 1.0
	v_div_scale_f32 v14, vcc_lo, 1.0, v13, 1.0
	s_delay_alu instid0(VALU_DEP_2) | instskip(SKIP_2) | instid1(VALU_DEP_1)
	v_rcp_f32_e32 v6, v3
	s_waitcnt_depctr 0xfff
	v_fma_f32 v7, -v3, v6, 1.0
	v_fmac_f32_e32 v6, v7, v6
	s_delay_alu instid0(VALU_DEP_1) | instskip(NEXT) | instid1(VALU_DEP_1)
	v_mul_f32_e32 v7, v14, v6
	v_fma_f32 v15, -v3, v7, v14
	s_delay_alu instid0(VALU_DEP_1) | instskip(NEXT) | instid1(VALU_DEP_1)
	v_fmac_f32_e32 v7, v15, v6
	v_fma_f32 v3, -v3, v7, v14
                                        ; implicit-def: $vgpr14
	s_delay_alu instid0(VALU_DEP_1) | instskip(SKIP_1) | instid1(VALU_DEP_2)
	v_div_fmas_f32 v3, v3, v6, v7
	v_fma_f32 v6, v2, 0, 1.0
	v_div_fixup_f32 v3, v3, v13, 1.0
	s_delay_alu instid0(VALU_DEP_1)
	v_mul_f32_e32 v6, v6, v3
	v_mul_f32_e64 v7, -v2, v3
                                        ; implicit-def: $vgpr2
.LBB173_321:
	s_and_not1_saveexec_b32 s6, s1
	s_cbranch_execz .LBB173_323
; %bb.322:
	v_div_scale_f32 v3, null, v2, v2, 1.0
	v_div_scale_f32 v6, null, v14, v14, 0
	v_div_scale_f32 v17, vcc_lo, 1.0, v2, 1.0
	s_delay_alu instid0(VALU_DEP_3) | instskip(NEXT) | instid1(VALU_DEP_2)
	v_rcp_f32_e32 v7, v3
	v_rcp_f32_e32 v13, v6
	s_waitcnt_depctr 0xfff
	v_fma_f32 v15, -v3, v7, 1.0
	v_fma_f32 v16, -v6, v13, 1.0
	s_delay_alu instid0(VALU_DEP_1) | instskip(NEXT) | instid1(VALU_DEP_3)
	v_fmac_f32_e32 v13, v16, v13
	v_fmac_f32_e32 v7, v15, v7
	v_div_scale_f32 v15, s1, 0, v14, 0
	s_delay_alu instid0(VALU_DEP_1) | instskip(NEXT) | instid1(VALU_DEP_1)
	v_mul_f32_e32 v18, v15, v13
	v_fma_f32 v20, -v6, v18, v15
	s_delay_alu instid0(VALU_DEP_1) | instskip(SKIP_1) | instid1(VALU_DEP_2)
	v_fmac_f32_e32 v18, v20, v13
	v_mul_f32_e32 v16, v17, v7
	v_fma_f32 v6, -v6, v18, v15
	s_delay_alu instid0(VALU_DEP_2) | instskip(NEXT) | instid1(VALU_DEP_1)
	v_fma_f32 v19, -v3, v16, v17
	v_fmac_f32_e32 v16, v19, v7
	s_delay_alu instid0(VALU_DEP_1) | instskip(NEXT) | instid1(VALU_DEP_1)
	v_fma_f32 v3, -v3, v16, v17
	v_div_fmas_f32 v3, v3, v7, v16
	s_mov_b32 vcc_lo, s1
	v_div_fmas_f32 v7, v6, v13, v18
	s_delay_alu instid0(VALU_DEP_2) | instskip(NEXT) | instid1(VALU_DEP_2)
	v_div_fixup_f32 v6, v3, v2, 1.0
	v_div_fixup_f32 v7, v7, v14, 0
.LBB173_323:
	s_or_b32 exec_lo, exec_lo, s6
                                        ; implicit-def: $vgpr3
                                        ; implicit-def: $vgpr13
.LBB173_324:
	s_and_not1_saveexec_b32 s1, s2
	s_cbranch_execz .LBB173_326
; %bb.325:
	v_div_scale_f32 v2, null, v3, v3, v13
	v_div_scale_f32 v14, vcc_lo, v13, v3, v13
	s_delay_alu instid0(VALU_DEP_2) | instskip(SKIP_2) | instid1(VALU_DEP_1)
	v_rcp_f32_e32 v6, v2
	s_waitcnt_depctr 0xfff
	v_fma_f32 v7, -v2, v6, 1.0
	v_fmac_f32_e32 v6, v7, v6
	s_delay_alu instid0(VALU_DEP_1) | instskip(NEXT) | instid1(VALU_DEP_1)
	v_mul_f32_e32 v7, v14, v6
	v_fma_f32 v15, -v2, v7, v14
	s_delay_alu instid0(VALU_DEP_1) | instskip(NEXT) | instid1(VALU_DEP_1)
	v_fmac_f32_e32 v7, v15, v6
	v_fma_f32 v2, -v2, v7, v14
	s_delay_alu instid0(VALU_DEP_1) | instskip(NEXT) | instid1(VALU_DEP_1)
	v_div_fmas_f32 v2, v2, v6, v7
	v_div_fixup_f32 v2, v2, v3, v13
	s_delay_alu instid0(VALU_DEP_1) | instskip(NEXT) | instid1(VALU_DEP_1)
	v_fmac_f32_e32 v3, v13, v2
	v_div_scale_f32 v6, null, v3, v3, 1.0
	v_div_scale_f32 v14, vcc_lo, 1.0, v3, 1.0
	s_delay_alu instid0(VALU_DEP_2) | instskip(SKIP_2) | instid1(VALU_DEP_1)
	v_rcp_f32_e32 v7, v6
	s_waitcnt_depctr 0xfff
	v_fma_f32 v13, -v6, v7, 1.0
	v_fmac_f32_e32 v7, v13, v7
	s_delay_alu instid0(VALU_DEP_1) | instskip(NEXT) | instid1(VALU_DEP_1)
	v_mul_f32_e32 v13, v14, v7
	v_fma_f32 v15, -v6, v13, v14
	s_delay_alu instid0(VALU_DEP_1) | instskip(NEXT) | instid1(VALU_DEP_1)
	v_fmac_f32_e32 v13, v15, v7
	v_fma_f32 v6, -v6, v13, v14
	s_delay_alu instid0(VALU_DEP_1) | instskip(SKIP_2) | instid1(VALU_DEP_3)
	v_div_fmas_f32 v6, v6, v7, v13
	v_add_f32_e32 v7, 0, v2
	v_fma_f32 v2, v2, 0, -1.0
	v_div_fixup_f32 v3, v6, v3, 1.0
	s_delay_alu instid0(VALU_DEP_1) | instskip(NEXT) | instid1(VALU_DEP_3)
	v_mul_f32_e32 v6, v7, v3
	v_mul_f32_e32 v7, v2, v3
.LBB173_326:
	s_or_b32 exec_lo, exec_lo, s1
	s_delay_alu instid0(SALU_CYCLE_1) | instskip(SKIP_1) | instid1(SALU_CYCLE_1)
	s_or_b32 exec_lo, exec_lo, s3
	s_and_saveexec_b32 s1, s0
	s_xor_b32 s0, exec_lo, s1
	s_cbranch_execnz .LBB173_297
.LBB173_327:
	s_or_b32 exec_lo, exec_lo, s0
	s_delay_alu instid0(SALU_CYCLE_1)
	s_mov_b32 s0, exec_lo
	v_cmpx_gt_i32_e64 s10, v0
	s_cbranch_execz .LBB173_298
.LBB173_328:
	v_dual_mov_b32 v2, 0 :: v_dual_add_nc_u32 v1, s8, v0
	v_add_nc_u32_e32 v0, 0x100, v0
	s_delay_alu instid0(VALU_DEP_2) | instskip(NEXT) | instid1(VALU_DEP_1)
	v_lshlrev_b64 v[1:2], 3, v[1:2]
	v_add_co_u32 v1, vcc_lo, s4, v1
	s_delay_alu instid0(VALU_DEP_2) | instskip(SKIP_2) | instid1(SALU_CYCLE_1)
	v_add_co_ci_u32_e32 v2, vcc_lo, s5, v2, vcc_lo
	global_store_b64 v[1:2], v[8:9], off
	s_or_b32 exec_lo, exec_lo, s0
	s_mov_b32 s0, exec_lo
	v_cmpx_gt_i32_e64 s10, v0
	s_cbranch_execnz .LBB173_299
.LBB173_329:
	s_or_b32 exec_lo, exec_lo, s0
	s_delay_alu instid0(SALU_CYCLE_1)
	s_mov_b32 s0, exec_lo
	v_cmpx_gt_i32_e64 s10, v0
	s_cbranch_execz .LBB173_331
.LBB173_330:
	v_dual_mov_b32 v1, 0 :: v_dual_add_nc_u32 v0, s8, v0
	s_delay_alu instid0(VALU_DEP_1) | instskip(NEXT) | instid1(VALU_DEP_1)
	v_lshlrev_b64 v[0:1], 3, v[0:1]
	v_add_co_u32 v0, vcc_lo, s4, v0
	s_delay_alu instid0(VALU_DEP_2)
	v_add_co_ci_u32_e32 v1, vcc_lo, s5, v1, vcc_lo
	global_store_b64 v[0:1], v[6:7], off
.LBB173_331:
	s_nop 0
	s_sendmsg sendmsg(MSG_DEALLOC_VGPRS)
	s_endpgm
	.section	.rodata,"a",@progbits
	.p2align	6, 0x0
	.amdhsa_kernel _ZN2at6native29vectorized_elementwise_kernelILi2EZZZNS0_17rsqrt_kernel_cudaERNS_18TensorIteratorBaseEENKUlvE_clEvENKUlvE0_clEvEUlN3c107complexIfEEE_St5arrayIPcLm2EEEEviT0_T1_
		.amdhsa_group_segment_fixed_size 0
		.amdhsa_private_segment_fixed_size 0
		.amdhsa_kernarg_size 24
		.amdhsa_user_sgpr_count 15
		.amdhsa_user_sgpr_dispatch_ptr 0
		.amdhsa_user_sgpr_queue_ptr 0
		.amdhsa_user_sgpr_kernarg_segment_ptr 1
		.amdhsa_user_sgpr_dispatch_id 0
		.amdhsa_user_sgpr_private_segment_size 0
		.amdhsa_wavefront_size32 1
		.amdhsa_uses_dynamic_stack 0
		.amdhsa_enable_private_segment 0
		.amdhsa_system_sgpr_workgroup_id_x 1
		.amdhsa_system_sgpr_workgroup_id_y 0
		.amdhsa_system_sgpr_workgroup_id_z 0
		.amdhsa_system_sgpr_workgroup_info 0
		.amdhsa_system_vgpr_workitem_id 0
		.amdhsa_next_free_vgpr 21
		.amdhsa_next_free_sgpr 17
		.amdhsa_reserve_vcc 1
		.amdhsa_float_round_mode_32 0
		.amdhsa_float_round_mode_16_64 0
		.amdhsa_float_denorm_mode_32 3
		.amdhsa_float_denorm_mode_16_64 3
		.amdhsa_dx10_clamp 1
		.amdhsa_ieee_mode 1
		.amdhsa_fp16_overflow 0
		.amdhsa_workgroup_processor_mode 1
		.amdhsa_memory_ordered 1
		.amdhsa_forward_progress 0
		.amdhsa_shared_vgpr_count 0
		.amdhsa_exception_fp_ieee_invalid_op 0
		.amdhsa_exception_fp_denorm_src 0
		.amdhsa_exception_fp_ieee_div_zero 0
		.amdhsa_exception_fp_ieee_overflow 0
		.amdhsa_exception_fp_ieee_underflow 0
		.amdhsa_exception_fp_ieee_inexact 0
		.amdhsa_exception_int_div_zero 0
	.end_amdhsa_kernel
	.section	.text._ZN2at6native29vectorized_elementwise_kernelILi2EZZZNS0_17rsqrt_kernel_cudaERNS_18TensorIteratorBaseEENKUlvE_clEvENKUlvE0_clEvEUlN3c107complexIfEEE_St5arrayIPcLm2EEEEviT0_T1_,"axG",@progbits,_ZN2at6native29vectorized_elementwise_kernelILi2EZZZNS0_17rsqrt_kernel_cudaERNS_18TensorIteratorBaseEENKUlvE_clEvENKUlvE0_clEvEUlN3c107complexIfEEE_St5arrayIPcLm2EEEEviT0_T1_,comdat
.Lfunc_end173:
	.size	_ZN2at6native29vectorized_elementwise_kernelILi2EZZZNS0_17rsqrt_kernel_cudaERNS_18TensorIteratorBaseEENKUlvE_clEvENKUlvE0_clEvEUlN3c107complexIfEEE_St5arrayIPcLm2EEEEviT0_T1_, .Lfunc_end173-_ZN2at6native29vectorized_elementwise_kernelILi2EZZZNS0_17rsqrt_kernel_cudaERNS_18TensorIteratorBaseEENKUlvE_clEvENKUlvE0_clEvEUlN3c107complexIfEEE_St5arrayIPcLm2EEEEviT0_T1_
                                        ; -- End function
	.section	.AMDGPU.csdata,"",@progbits
; Kernel info:
; codeLenInByte = 16360
; NumSgprs: 19
; NumVgprs: 21
; ScratchSize: 0
; MemoryBound: 0
; FloatMode: 240
; IeeeMode: 1
; LDSByteSize: 0 bytes/workgroup (compile time only)
; SGPRBlocks: 2
; VGPRBlocks: 2
; NumSGPRsForWavesPerEU: 19
; NumVGPRsForWavesPerEU: 21
; Occupancy: 16
; WaveLimiterHint : 1
; COMPUTE_PGM_RSRC2:SCRATCH_EN: 0
; COMPUTE_PGM_RSRC2:USER_SGPR: 15
; COMPUTE_PGM_RSRC2:TRAP_HANDLER: 0
; COMPUTE_PGM_RSRC2:TGID_X_EN: 1
; COMPUTE_PGM_RSRC2:TGID_Y_EN: 0
; COMPUTE_PGM_RSRC2:TGID_Z_EN: 0
; COMPUTE_PGM_RSRC2:TIDIG_COMP_CNT: 0
	.section	.text._ZN2at6native27unrolled_elementwise_kernelIZZZNS0_17rsqrt_kernel_cudaERNS_18TensorIteratorBaseEENKUlvE_clEvENKUlvE0_clEvEUlN3c107complexIfEEE_St5arrayIPcLm2EELi4E23TrivialOffsetCalculatorILi1EjESE_NS0_6memory15LoadWithoutCastENSF_16StoreWithoutCastEEEviT_T0_T2_T3_T4_T5_,"axG",@progbits,_ZN2at6native27unrolled_elementwise_kernelIZZZNS0_17rsqrt_kernel_cudaERNS_18TensorIteratorBaseEENKUlvE_clEvENKUlvE0_clEvEUlN3c107complexIfEEE_St5arrayIPcLm2EELi4E23TrivialOffsetCalculatorILi1EjESE_NS0_6memory15LoadWithoutCastENSF_16StoreWithoutCastEEEviT_T0_T2_T3_T4_T5_,comdat
	.globl	_ZN2at6native27unrolled_elementwise_kernelIZZZNS0_17rsqrt_kernel_cudaERNS_18TensorIteratorBaseEENKUlvE_clEvENKUlvE0_clEvEUlN3c107complexIfEEE_St5arrayIPcLm2EELi4E23TrivialOffsetCalculatorILi1EjESE_NS0_6memory15LoadWithoutCastENSF_16StoreWithoutCastEEEviT_T0_T2_T3_T4_T5_ ; -- Begin function _ZN2at6native27unrolled_elementwise_kernelIZZZNS0_17rsqrt_kernel_cudaERNS_18TensorIteratorBaseEENKUlvE_clEvENKUlvE0_clEvEUlN3c107complexIfEEE_St5arrayIPcLm2EELi4E23TrivialOffsetCalculatorILi1EjESE_NS0_6memory15LoadWithoutCastENSF_16StoreWithoutCastEEEviT_T0_T2_T3_T4_T5_
	.p2align	8
	.type	_ZN2at6native27unrolled_elementwise_kernelIZZZNS0_17rsqrt_kernel_cudaERNS_18TensorIteratorBaseEENKUlvE_clEvENKUlvE0_clEvEUlN3c107complexIfEEE_St5arrayIPcLm2EELi4E23TrivialOffsetCalculatorILi1EjESE_NS0_6memory15LoadWithoutCastENSF_16StoreWithoutCastEEEviT_T0_T2_T3_T4_T5_,@function
_ZN2at6native27unrolled_elementwise_kernelIZZZNS0_17rsqrt_kernel_cudaERNS_18TensorIteratorBaseEENKUlvE_clEvENKUlvE0_clEvEUlN3c107complexIfEEE_St5arrayIPcLm2EELi4E23TrivialOffsetCalculatorILi1EjESE_NS0_6memory15LoadWithoutCastENSF_16StoreWithoutCastEEEviT_T0_T2_T3_T4_T5_: ; @_ZN2at6native27unrolled_elementwise_kernelIZZZNS0_17rsqrt_kernel_cudaERNS_18TensorIteratorBaseEENKUlvE_clEvENKUlvE0_clEvEUlN3c107complexIfEEE_St5arrayIPcLm2EELi4E23TrivialOffsetCalculatorILi1EjESE_NS0_6memory15LoadWithoutCastENSF_16StoreWithoutCastEEEviT_T0_T2_T3_T4_T5_
; %bb.0:
	s_clause 0x1
	s_load_b32 s2, s[0:1], 0x0
	s_load_b128 s[4:7], s[0:1], 0x8
	s_lshl_b32 s3, s15, 10
	v_dual_mov_b32 v11, 0 :: v_dual_mov_b32 v8, 0
	v_dual_mov_b32 v9, 0 :: v_dual_mov_b32 v4, v0
	v_or_b32_e32 v1, s3, v0
	v_or_b32_e32 v12, 0x100, v0
	s_waitcnt lgkmcnt(0)
	s_sub_i32 s8, s2, s3
	s_delay_alu instid0(SALU_CYCLE_1) | instskip(NEXT) | instid1(VALU_DEP_1)
	v_cmp_gt_i32_e64 s0, s8, v0
	s_and_saveexec_b32 s1, s0
	s_cbranch_execz .LBB174_2
; %bb.1:
	v_mov_b32_e32 v2, 0
	v_or_b32_e32 v4, 0x100, v0
	s_delay_alu instid0(VALU_DEP_2) | instskip(NEXT) | instid1(VALU_DEP_1)
	v_lshlrev_b64 v[2:3], 3, v[1:2]
	v_add_co_u32 v2, vcc_lo, s6, v2
	s_delay_alu instid0(VALU_DEP_2)
	v_add_co_ci_u32_e32 v3, vcc_lo, s7, v3, vcc_lo
	global_load_b64 v[8:9], v[2:3], off
.LBB174_2:
	s_or_b32 exec_lo, exec_lo, s1
	v_mov_b32_e32 v10, 0
	s_mov_b32 s1, exec_lo
	v_cmpx_gt_i32_e64 s8, v4
	s_cbranch_execz .LBB174_4
; %bb.3:
	v_dual_mov_b32 v3, 0 :: v_dual_add_nc_u32 v2, s3, v4
	v_add_nc_u32_e32 v4, 0x100, v4
	s_delay_alu instid0(VALU_DEP_2) | instskip(NEXT) | instid1(VALU_DEP_1)
	v_lshlrev_b64 v[2:3], 3, v[2:3]
	v_add_co_u32 v2, vcc_lo, s6, v2
	s_delay_alu instid0(VALU_DEP_2)
	v_add_co_ci_u32_e32 v3, vcc_lo, s7, v3, vcc_lo
	global_load_b64 v[10:11], v[2:3], off
.LBB174_4:
	s_or_b32 exec_lo, exec_lo, s1
	v_dual_mov_b32 v3, 0 :: v_dual_mov_b32 v6, 0
	v_mov_b32_e32 v7, 0
	s_mov_b32 s1, exec_lo
	v_cmpx_gt_i32_e64 s8, v4
	s_cbranch_execz .LBB174_6
; %bb.5:
	v_dual_mov_b32 v6, 0 :: v_dual_add_nc_u32 v5, s3, v4
	v_add_nc_u32_e32 v4, 0x100, v4
	s_delay_alu instid0(VALU_DEP_2) | instskip(NEXT) | instid1(VALU_DEP_1)
	v_lshlrev_b64 v[5:6], 3, v[5:6]
	v_add_co_u32 v5, vcc_lo, s6, v5
	s_delay_alu instid0(VALU_DEP_2)
	v_add_co_ci_u32_e32 v6, vcc_lo, s7, v6, vcc_lo
	global_load_b64 v[6:7], v[5:6], off
.LBB174_6:
	s_or_b32 exec_lo, exec_lo, s1
	v_mov_b32_e32 v2, 0
	s_mov_b32 s1, exec_lo
	v_cmpx_gt_i32_e64 s8, v4
	s_cbranch_execz .LBB174_8
; %bb.7:
	v_dual_mov_b32 v3, 0 :: v_dual_add_nc_u32 v2, s3, v4
	s_delay_alu instid0(VALU_DEP_1) | instskip(NEXT) | instid1(VALU_DEP_1)
	v_lshlrev_b64 v[2:3], 3, v[2:3]
	v_add_co_u32 v2, vcc_lo, s6, v2
	s_delay_alu instid0(VALU_DEP_2)
	v_add_co_ci_u32_e32 v3, vcc_lo, s7, v3, vcc_lo
	global_load_b64 v[2:3], v[2:3], off
.LBB174_8:
	s_or_b32 exec_lo, exec_lo, s1
	v_dual_mov_b32 v4, 0 :: v_dual_mov_b32 v5, 0
	s_and_saveexec_b32 s6, s0
	s_cbranch_execz .LBB174_48
; %bb.9:
	s_waitcnt vmcnt(0)
	v_cmp_neq_f32_e32 vcc_lo, 0, v8
	v_cmp_neq_f32_e64 s1, 0, v9
	v_mov_b32_e32 v13, 0
	s_delay_alu instid0(VALU_DEP_2) | instskip(NEXT) | instid1(SALU_CYCLE_1)
	s_or_b32 s1, vcc_lo, s1
	s_and_saveexec_b32 s7, s1
	s_cbranch_execz .LBB174_39
; %bb.10:
	v_mov_b32_e32 v13, 0x7f800000
	s_mov_b32 s9, exec_lo
	v_cmpx_neq_f32_e64 0x7f800000, |v9|
	s_cbranch_execz .LBB174_38
; %bb.11:
	s_mov_b32 s1, exec_lo
	v_cmpx_o_f32_e32 v8, v8
	s_xor_b32 s10, exec_lo, s1
	s_cbranch_execz .LBB174_35
; %bb.12:
	s_mov_b32 s2, exec_lo
	v_cmpx_neq_f32_e64 0x7f800000, |v8|
	s_xor_b32 s11, exec_lo, s2
	s_cbranch_execz .LBB174_28
; %bb.13:
	v_max_f32_e64 v4, |v8|, |v8|
	v_max_f32_e64 v5, |v9|, |v9|
                                        ; implicit-def: $sgpr12
	s_delay_alu instid0(VALU_DEP_1) | instskip(NEXT) | instid1(VALU_DEP_1)
	v_max_f32_e32 v4, v5, v4
	v_cmp_nle_f32_e64 s1, 0x7ed413cb, v4
	s_delay_alu instid0(VALU_DEP_1) | instskip(NEXT) | instid1(SALU_CYCLE_1)
	s_and_saveexec_b32 s2, s1
	s_xor_b32 s2, exec_lo, s2
	s_cbranch_execz .LBB174_17
; %bb.14:
	v_cmp_ge_f32_e64 s12, 0x1000000, |v8|
	v_cmp_ge_f32_e64 s13, 0x1000000, |v9|
	s_delay_alu instid0(VALU_DEP_1)
	s_and_b32 s14, s13, s12
	s_mov_b32 s12, 0
	s_and_saveexec_b32 s13, s14
; %bb.15:
	v_dual_mul_f32 v9, 4.0, v9 :: v_dual_mul_f32 v8, 4.0, v8
	s_mov_b32 s12, exec_lo
; %bb.16:
	s_or_b32 exec_lo, exec_lo, s13
	s_delay_alu instid0(SALU_CYCLE_1)
	s_and_b32 s12, s12, exec_lo
.LBB174_17:
	s_and_not1_saveexec_b32 s2, s2
; %bb.18:
	v_dual_mul_f32 v8, 0x3e800000, v8 :: v_dual_mul_f32 v9, 0x3e800000, v9
	s_and_not1_b32 s12, s12, exec_lo
; %bb.19:
	s_or_b32 exec_lo, exec_lo, s2
	s_delay_alu instid0(VALU_DEP_1) | instskip(NEXT) | instid1(VALU_DEP_2)
	v_max_f32_e64 v4, |v9|, |v9|
	v_max_f32_e64 v5, |v8|, |v8|
	s_delay_alu instid0(VALU_DEP_1) | instskip(NEXT) | instid1(VALU_DEP_1)
	v_max_f32_e32 v13, v5, v4
	v_cvt_f64_f32_e32 v[4:5], v13
	s_delay_alu instid0(VALU_DEP_1) | instskip(NEXT) | instid1(VALU_DEP_1)
	v_frexp_exp_i32_f64_e32 v4, v[4:5]
	v_sub_nc_u32_e32 v5, 0, v4
	s_delay_alu instid0(VALU_DEP_1) | instskip(SKIP_1) | instid1(VALU_DEP_2)
	v_ldexp_f32 v14, |v9|, v5
	v_ldexp_f32 v5, |v8|, v5
	v_mul_f32_e32 v14, v14, v14
	v_cmp_neq_f32_e64 s2, 0x7f800000, v13
	s_delay_alu instid0(VALU_DEP_2) | instskip(NEXT) | instid1(VALU_DEP_1)
	v_fmac_f32_e32 v14, v5, v5
	v_sqrt_f32_e32 v5, v14
	s_waitcnt_depctr 0xfff
	v_ldexp_f32 v4, v5, v4
                                        ; implicit-def: $vgpr5
	s_delay_alu instid0(VALU_DEP_1)
	v_cndmask_b32_e64 v13, 0x7f800000, v4, s2
                                        ; implicit-def: $vgpr4
	s_mov_b32 s2, exec_lo
	v_cmpx_le_f32_e32 0, v8
	s_xor_b32 s13, exec_lo, s2
	s_cbranch_execz .LBB174_21
; %bb.20:
	v_add_f32_e32 v4, v8, v13
	s_delay_alu instid0(VALU_DEP_1) | instskip(NEXT) | instid1(VALU_DEP_1)
	v_mul_f32_e32 v4, 0.5, v4
	v_mul_f32_e32 v5, 0x4f800000, v4
	v_cmp_gt_f32_e32 vcc_lo, 0xf800000, v4
	s_delay_alu instid0(VALU_DEP_2) | instskip(NEXT) | instid1(VALU_DEP_1)
	v_cndmask_b32_e32 v4, v4, v5, vcc_lo
	v_sqrt_f32_e32 v5, v4
	s_waitcnt_depctr 0xfff
	v_add_nc_u32_e32 v13, 1, v5
	v_add_nc_u32_e32 v8, -1, v5
	s_delay_alu instid0(VALU_DEP_2) | instskip(NEXT) | instid1(VALU_DEP_2)
	v_fma_f32 v15, -v13, v5, v4
	v_fma_f32 v14, -v8, v5, v4
	s_delay_alu instid0(VALU_DEP_1) | instskip(NEXT) | instid1(VALU_DEP_1)
	v_cmp_ge_f32_e64 s2, 0, v14
	v_cndmask_b32_e64 v5, v5, v8, s2
	s_delay_alu instid0(VALU_DEP_4) | instskip(NEXT) | instid1(VALU_DEP_1)
	v_cmp_lt_f32_e64 s2, 0, v15
	v_cndmask_b32_e64 v5, v5, v13, s2
	s_delay_alu instid0(VALU_DEP_1) | instskip(NEXT) | instid1(VALU_DEP_1)
	v_mul_f32_e32 v8, 0x37800000, v5
	v_cndmask_b32_e32 v5, v5, v8, vcc_lo
	v_cmp_class_f32_e64 vcc_lo, v4, 0x260
	s_delay_alu instid0(VALU_DEP_2) | instskip(NEXT) | instid1(VALU_DEP_1)
	v_cndmask_b32_e32 v4, v5, v4, vcc_lo
	v_add_f32_e32 v5, v4, v4
	s_delay_alu instid0(VALU_DEP_1) | instskip(NEXT) | instid1(VALU_DEP_1)
	v_div_scale_f32 v8, null, v5, v5, v9
	v_rcp_f32_e32 v13, v8
	s_waitcnt_depctr 0xfff
	v_fma_f32 v14, -v8, v13, 1.0
	s_delay_alu instid0(VALU_DEP_1) | instskip(SKIP_1) | instid1(VALU_DEP_1)
	v_fmac_f32_e32 v13, v14, v13
	v_div_scale_f32 v14, vcc_lo, v9, v5, v9
	v_mul_f32_e32 v15, v14, v13
	s_delay_alu instid0(VALU_DEP_1) | instskip(NEXT) | instid1(VALU_DEP_1)
	v_fma_f32 v16, -v8, v15, v14
	v_fmac_f32_e32 v15, v16, v13
	s_delay_alu instid0(VALU_DEP_1) | instskip(NEXT) | instid1(VALU_DEP_1)
	v_fma_f32 v8, -v8, v15, v14
	v_div_fmas_f32 v8, v8, v13, v15
                                        ; implicit-def: $vgpr13
	s_delay_alu instid0(VALU_DEP_1)
	v_div_fixup_f32 v5, v8, v5, v9
                                        ; implicit-def: $vgpr8
	s_and_not1_saveexec_b32 s13, s13
	s_cbranch_execz .LBB174_23
	s_branch .LBB174_22
.LBB174_21:
	s_and_not1_saveexec_b32 s13, s13
	s_cbranch_execz .LBB174_23
.LBB174_22:
	v_sub_f32_e32 v4, v13, v8
	s_delay_alu instid0(VALU_DEP_1) | instskip(NEXT) | instid1(VALU_DEP_1)
	v_mul_f32_e32 v4, 0.5, v4
	v_mul_f32_e32 v5, 0x4f800000, v4
	v_cmp_gt_f32_e32 vcc_lo, 0xf800000, v4
	s_delay_alu instid0(VALU_DEP_2) | instskip(NEXT) | instid1(VALU_DEP_1)
	v_cndmask_b32_e32 v4, v4, v5, vcc_lo
	v_sqrt_f32_e32 v5, v4
	s_waitcnt_depctr 0xfff
	v_add_nc_u32_e32 v8, -1, v5
	v_add_nc_u32_e32 v13, 1, v5
	s_delay_alu instid0(VALU_DEP_2) | instskip(NEXT) | instid1(VALU_DEP_2)
	v_fma_f32 v14, -v8, v5, v4
	v_fma_f32 v15, -v13, v5, v4
	s_delay_alu instid0(VALU_DEP_2) | instskip(NEXT) | instid1(VALU_DEP_1)
	v_cmp_ge_f32_e64 s2, 0, v14
	v_cndmask_b32_e64 v5, v5, v8, s2
	s_delay_alu instid0(VALU_DEP_3) | instskip(NEXT) | instid1(VALU_DEP_1)
	v_cmp_lt_f32_e64 s2, 0, v15
	v_cndmask_b32_e64 v5, v5, v13, s2
	s_delay_alu instid0(VALU_DEP_1) | instskip(NEXT) | instid1(VALU_DEP_1)
	v_mul_f32_e32 v8, 0x37800000, v5
	v_cndmask_b32_e32 v5, v5, v8, vcc_lo
	v_cmp_class_f32_e64 vcc_lo, v4, 0x260
	s_delay_alu instid0(VALU_DEP_2) | instskip(NEXT) | instid1(VALU_DEP_1)
	v_dual_cndmask_b32 v5, v5, v4 :: v_dual_and_b32 v4, 0x7fffffff, v9
	v_add_f32_e32 v8, v5, v5
	v_bfi_b32 v5, 0x7fffffff, v5, v9
	s_delay_alu instid0(VALU_DEP_2) | instskip(SKIP_1) | instid1(VALU_DEP_2)
	v_div_scale_f32 v13, null, v8, v8, v4
	v_div_scale_f32 v4, vcc_lo, v4, v8, v4
	v_rcp_f32_e32 v14, v13
	s_waitcnt_depctr 0xfff
	v_fma_f32 v15, -v13, v14, 1.0
	s_delay_alu instid0(VALU_DEP_1) | instskip(NEXT) | instid1(VALU_DEP_1)
	v_fmac_f32_e32 v14, v15, v14
	v_mul_f32_e32 v15, v4, v14
	s_delay_alu instid0(VALU_DEP_1) | instskip(NEXT) | instid1(VALU_DEP_1)
	v_fma_f32 v16, -v13, v15, v4
	v_fmac_f32_e32 v15, v16, v14
	s_delay_alu instid0(VALU_DEP_1) | instskip(NEXT) | instid1(VALU_DEP_1)
	v_fma_f32 v4, -v13, v15, v4
	v_div_fmas_f32 v4, v4, v14, v15
	s_delay_alu instid0(VALU_DEP_1)
	v_div_fixup_f32 v4, v4, v8, |v9|
.LBB174_23:
	s_or_b32 exec_lo, exec_lo, s13
                                        ; implicit-def: $vgpr9
	s_and_saveexec_b32 s2, s1
	s_delay_alu instid0(SALU_CYCLE_1)
	s_xor_b32 s1, exec_lo, s2
	s_cbranch_execz .LBB174_25
; %bb.24:
	v_dual_mul_f32 v8, 0.5, v4 :: v_dual_mul_f32 v9, 0.5, v5
	s_delay_alu instid0(VALU_DEP_1) | instskip(NEXT) | instid1(VALU_DEP_2)
	v_cndmask_b32_e64 v8, v4, v8, s12
	v_cndmask_b32_e64 v9, v5, v9, s12
                                        ; implicit-def: $vgpr4
                                        ; implicit-def: $vgpr5
	s_and_not1_saveexec_b32 s1, s1
	s_cbranch_execnz .LBB174_26
	s_branch .LBB174_27
.LBB174_25:
	s_and_not1_saveexec_b32 s1, s1
.LBB174_26:
	v_dual_add_f32 v8, v4, v4 :: v_dual_add_f32 v9, v5, v5
.LBB174_27:
	s_or_b32 exec_lo, exec_lo, s1
.LBB174_28:
	s_and_not1_saveexec_b32 s1, s11
	s_cbranch_execz .LBB174_34
; %bb.29:
	s_delay_alu instid0(VALU_DEP_1)
	v_sub_f32_e32 v4, v9, v9
	s_mov_b32 s2, exec_lo
	v_cmpx_lt_i32_e32 -1, v8
	s_xor_b32 s2, exec_lo, s2
; %bb.30:
	s_delay_alu instid0(VALU_DEP_2)
	v_bfi_b32 v9, 0x7fffffff, v4, v9
                                        ; implicit-def: $vgpr4
; %bb.31:
	s_and_not1_saveexec_b32 s2, s2
; %bb.32:
	v_and_b32_e32 v4, 0x7fffffff, v4
	s_delay_alu instid0(VALU_DEP_2) | instskip(NEXT) | instid1(VALU_DEP_2)
	v_bfi_b32 v9, 0x7fffffff, v8, v9
	v_mov_b32_e32 v8, v4
; %bb.33:
	s_or_b32 exec_lo, exec_lo, s2
.LBB174_34:
	s_delay_alu instid0(SALU_CYCLE_1)
	s_or_b32 exec_lo, exec_lo, s1
.LBB174_35:
	s_and_not1_saveexec_b32 s1, s10
; %bb.36:
	v_sub_f32_e32 v4, v9, v9
	s_delay_alu instid0(VALU_DEP_1) | instskip(NEXT) | instid1(VALU_DEP_1)
	v_div_scale_f32 v5, vcc_lo, v4, v4, v4
	v_rcp_f32_e32 v9, v5
	s_waitcnt_depctr 0xfff
	v_fma_f32 v13, -v5, v9, 1.0
	s_delay_alu instid0(VALU_DEP_1) | instskip(NEXT) | instid1(VALU_DEP_1)
	v_fmac_f32_e32 v9, v13, v9
	v_mul_f32_e32 v13, v5, v9
	s_delay_alu instid0(VALU_DEP_1) | instskip(NEXT) | instid1(VALU_DEP_1)
	v_fma_f32 v14, -v5, v13, v5
	v_fmac_f32_e32 v13, v14, v9
	s_delay_alu instid0(VALU_DEP_1) | instskip(NEXT) | instid1(VALU_DEP_1)
	v_fma_f32 v5, -v5, v13, v5
	v_div_fmas_f32 v5, v5, v9, v13
	s_delay_alu instid0(VALU_DEP_1)
	v_div_fixup_f32 v9, v5, v4, v4
; %bb.37:
	s_or_b32 exec_lo, exec_lo, s1
	v_mov_b32_e32 v13, v8
.LBB174_38:
	s_or_b32 exec_lo, exec_lo, s9
.LBB174_39:
	s_delay_alu instid0(SALU_CYCLE_1) | instskip(NEXT) | instid1(VALU_DEP_1)
	s_or_b32 exec_lo, exec_lo, s7
	v_cmp_gt_f32_e32 vcc_lo, 0, v13
                                        ; implicit-def: $vgpr4
	s_mov_b32 s1, exec_lo
	v_cndmask_b32_e64 v8, v13, -v13, vcc_lo
	v_cmp_gt_f32_e32 vcc_lo, 0, v9
	v_cndmask_b32_e64 v14, v9, -v9, vcc_lo
	s_delay_alu instid0(VALU_DEP_1)
	v_cmpx_ge_f32_e32 v8, v14
	s_xor_b32 s2, exec_lo, s1
	s_cbranch_execz .LBB174_45
; %bb.40:
	v_cmp_neq_f32_e32 vcc_lo, 0, v13
	v_cmp_neq_f32_e64 s1, 0, v9
                                        ; implicit-def: $vgpr4
	s_delay_alu instid0(VALU_DEP_1) | instskip(NEXT) | instid1(SALU_CYCLE_1)
	s_or_b32 s1, vcc_lo, s1
	s_and_saveexec_b32 s7, s1
	s_delay_alu instid0(SALU_CYCLE_1)
	s_xor_b32 s1, exec_lo, s7
	s_cbranch_execz .LBB174_42
; %bb.41:
	v_div_scale_f32 v4, null, v13, v13, v9
	v_div_scale_f32 v14, vcc_lo, v9, v13, v9
	s_delay_alu instid0(VALU_DEP_2) | instskip(SKIP_2) | instid1(VALU_DEP_1)
	v_rcp_f32_e32 v5, v4
	s_waitcnt_depctr 0xfff
	v_fma_f32 v8, -v4, v5, 1.0
	v_fmac_f32_e32 v5, v8, v5
	s_delay_alu instid0(VALU_DEP_1) | instskip(NEXT) | instid1(VALU_DEP_1)
	v_mul_f32_e32 v8, v14, v5
	v_fma_f32 v15, -v4, v8, v14
	s_delay_alu instid0(VALU_DEP_1) | instskip(NEXT) | instid1(VALU_DEP_1)
	v_fmac_f32_e32 v8, v15, v5
	v_fma_f32 v4, -v4, v8, v14
	s_delay_alu instid0(VALU_DEP_1) | instskip(NEXT) | instid1(VALU_DEP_1)
	v_div_fmas_f32 v4, v4, v5, v8
	v_div_fixup_f32 v5, v4, v13, v9
	s_delay_alu instid0(VALU_DEP_1) | instskip(NEXT) | instid1(VALU_DEP_1)
	v_fmac_f32_e32 v13, v9, v5
	v_div_scale_f32 v4, null, v13, v13, 1.0
	v_div_scale_f32 v14, vcc_lo, 1.0, v13, 1.0
	s_delay_alu instid0(VALU_DEP_2) | instskip(SKIP_2) | instid1(VALU_DEP_1)
	v_rcp_f32_e32 v8, v4
	s_waitcnt_depctr 0xfff
	v_fma_f32 v9, -v4, v8, 1.0
	v_fmac_f32_e32 v8, v9, v8
	s_delay_alu instid0(VALU_DEP_1) | instskip(NEXT) | instid1(VALU_DEP_1)
	v_mul_f32_e32 v9, v14, v8
	v_fma_f32 v15, -v4, v9, v14
	s_delay_alu instid0(VALU_DEP_1) | instskip(NEXT) | instid1(VALU_DEP_1)
	v_fmac_f32_e32 v9, v15, v8
	v_fma_f32 v4, -v4, v9, v14
                                        ; implicit-def: $vgpr14
	s_delay_alu instid0(VALU_DEP_1) | instskip(SKIP_1) | instid1(VALU_DEP_2)
	v_div_fmas_f32 v4, v4, v8, v9
	v_fma_f32 v8, v5, 0, 1.0
	v_div_fixup_f32 v9, v4, v13, 1.0
	s_delay_alu instid0(VALU_DEP_1)
	v_mul_f32_e32 v4, v8, v9
	v_mul_f32_e64 v5, -v5, v9
                                        ; implicit-def: $vgpr8
.LBB174_42:
	s_and_not1_saveexec_b32 s7, s1
	s_cbranch_execz .LBB174_44
; %bb.43:
	v_div_scale_f32 v4, null, v8, v8, 1.0
	v_div_scale_f32 v5, null, v14, v14, 0
	v_div_scale_f32 v17, vcc_lo, 1.0, v8, 1.0
	s_delay_alu instid0(VALU_DEP_3) | instskip(NEXT) | instid1(VALU_DEP_2)
	v_rcp_f32_e32 v9, v4
	v_rcp_f32_e32 v13, v5
	s_waitcnt_depctr 0xfff
	v_fma_f32 v15, -v4, v9, 1.0
	v_fma_f32 v16, -v5, v13, 1.0
	s_delay_alu instid0(VALU_DEP_2) | instskip(SKIP_1) | instid1(VALU_DEP_3)
	v_fmac_f32_e32 v9, v15, v9
	v_div_scale_f32 v15, s1, 0, v14, 0
	v_fmac_f32_e32 v13, v16, v13
	s_delay_alu instid0(VALU_DEP_3) | instskip(NEXT) | instid1(VALU_DEP_2)
	v_mul_f32_e32 v16, v17, v9
	v_mul_f32_e32 v18, v15, v13
	s_delay_alu instid0(VALU_DEP_2) | instskip(NEXT) | instid1(VALU_DEP_2)
	v_fma_f32 v19, -v4, v16, v17
	v_fma_f32 v20, -v5, v18, v15
	s_delay_alu instid0(VALU_DEP_2) | instskip(NEXT) | instid1(VALU_DEP_2)
	v_fmac_f32_e32 v16, v19, v9
	v_fmac_f32_e32 v18, v20, v13
	s_delay_alu instid0(VALU_DEP_2) | instskip(NEXT) | instid1(VALU_DEP_2)
	v_fma_f32 v4, -v4, v16, v17
	v_fma_f32 v5, -v5, v18, v15
	s_delay_alu instid0(VALU_DEP_2) | instskip(SKIP_1) | instid1(VALU_DEP_2)
	v_div_fmas_f32 v4, v4, v9, v16
	s_mov_b32 vcc_lo, s1
	v_div_fmas_f32 v5, v5, v13, v18
	s_delay_alu instid0(VALU_DEP_2) | instskip(NEXT) | instid1(VALU_DEP_2)
	v_div_fixup_f32 v4, v4, v8, 1.0
	v_div_fixup_f32 v5, v5, v14, 0
.LBB174_44:
	s_or_b32 exec_lo, exec_lo, s7
                                        ; implicit-def: $vgpr9
                                        ; implicit-def: $vgpr13
.LBB174_45:
	s_and_not1_saveexec_b32 s1, s2
	s_cbranch_execz .LBB174_47
; %bb.46:
	v_div_scale_f32 v4, null, v9, v9, v13
	v_div_scale_f32 v14, vcc_lo, v13, v9, v13
	s_delay_alu instid0(VALU_DEP_2) | instskip(SKIP_2) | instid1(VALU_DEP_1)
	v_rcp_f32_e32 v5, v4
	s_waitcnt_depctr 0xfff
	v_fma_f32 v8, -v4, v5, 1.0
	v_fmac_f32_e32 v5, v8, v5
	s_delay_alu instid0(VALU_DEP_1) | instskip(NEXT) | instid1(VALU_DEP_1)
	v_mul_f32_e32 v8, v14, v5
	v_fma_f32 v15, -v4, v8, v14
	s_delay_alu instid0(VALU_DEP_1) | instskip(NEXT) | instid1(VALU_DEP_1)
	v_fmac_f32_e32 v8, v15, v5
	v_fma_f32 v4, -v4, v8, v14
	s_delay_alu instid0(VALU_DEP_1) | instskip(NEXT) | instid1(VALU_DEP_1)
	v_div_fmas_f32 v4, v4, v5, v8
	v_div_fixup_f32 v4, v4, v9, v13
	s_delay_alu instid0(VALU_DEP_1) | instskip(NEXT) | instid1(VALU_DEP_1)
	v_fmac_f32_e32 v9, v13, v4
	v_div_scale_f32 v5, null, v9, v9, 1.0
	v_div_scale_f32 v14, vcc_lo, 1.0, v9, 1.0
	s_delay_alu instid0(VALU_DEP_2) | instskip(SKIP_2) | instid1(VALU_DEP_1)
	v_rcp_f32_e32 v8, v5
	s_waitcnt_depctr 0xfff
	v_fma_f32 v13, -v5, v8, 1.0
	v_fmac_f32_e32 v8, v13, v8
	s_delay_alu instid0(VALU_DEP_1) | instskip(NEXT) | instid1(VALU_DEP_1)
	v_mul_f32_e32 v13, v14, v8
	v_fma_f32 v15, -v5, v13, v14
	s_delay_alu instid0(VALU_DEP_1) | instskip(NEXT) | instid1(VALU_DEP_1)
	v_fmac_f32_e32 v13, v15, v8
	v_fma_f32 v5, -v5, v13, v14
	s_delay_alu instid0(VALU_DEP_1) | instskip(NEXT) | instid1(VALU_DEP_1)
	v_div_fmas_f32 v5, v5, v8, v13
	v_div_fixup_f32 v5, v5, v9, 1.0
	v_fma_f32 v9, v4, 0, -1.0
	v_add_f32_e32 v8, 0, v4
	s_delay_alu instid0(VALU_DEP_1) | instskip(NEXT) | instid1(VALU_DEP_3)
	v_mul_f32_e32 v4, v8, v5
	v_mul_f32_e32 v5, v9, v5
.LBB174_47:
	s_or_b32 exec_lo, exec_lo, s1
.LBB174_48:
	s_delay_alu instid0(SALU_CYCLE_1)
	s_or_b32 exec_lo, exec_lo, s6
	s_waitcnt vmcnt(0)
	v_dual_mov_b32 v8, 0 :: v_dual_mov_b32 v9, 0
	s_mov_b32 s6, exec_lo
	v_cmpx_gt_i32_e64 s8, v12
	s_cbranch_execz .LBB174_88
; %bb.49:
	v_cmp_neq_f32_e32 vcc_lo, 0, v10
	v_cmp_neq_f32_e64 s1, 0, v11
	v_mov_b32_e32 v13, 0
	s_delay_alu instid0(VALU_DEP_2) | instskip(NEXT) | instid1(SALU_CYCLE_1)
	s_or_b32 s1, vcc_lo, s1
	s_and_saveexec_b32 s7, s1
	s_cbranch_execz .LBB174_79
; %bb.50:
	v_mov_b32_e32 v13, 0x7f800000
	s_mov_b32 s9, exec_lo
	v_cmpx_neq_f32_e64 0x7f800000, |v11|
	s_cbranch_execz .LBB174_78
; %bb.51:
	s_mov_b32 s1, exec_lo
	v_cmpx_o_f32_e32 v10, v10
	s_xor_b32 s10, exec_lo, s1
	s_cbranch_execz .LBB174_75
; %bb.52:
	s_mov_b32 s2, exec_lo
	v_cmpx_neq_f32_e64 0x7f800000, |v10|
	s_xor_b32 s11, exec_lo, s2
	s_cbranch_execz .LBB174_68
; %bb.53:
	v_max_f32_e64 v8, |v10|, |v10|
	v_max_f32_e64 v9, |v11|, |v11|
                                        ; implicit-def: $sgpr12
	s_delay_alu instid0(VALU_DEP_1) | instskip(NEXT) | instid1(VALU_DEP_1)
	v_max_f32_e32 v8, v9, v8
	v_cmp_nle_f32_e64 s1, 0x7ed413cb, v8
	s_delay_alu instid0(VALU_DEP_1) | instskip(NEXT) | instid1(SALU_CYCLE_1)
	s_and_saveexec_b32 s2, s1
	s_xor_b32 s2, exec_lo, s2
	s_cbranch_execz .LBB174_57
; %bb.54:
	v_cmp_ge_f32_e64 s12, 0x1000000, |v10|
	v_cmp_ge_f32_e64 s13, 0x1000000, |v11|
	s_delay_alu instid0(VALU_DEP_1)
	s_and_b32 s14, s13, s12
	s_mov_b32 s12, 0
	s_and_saveexec_b32 s13, s14
; %bb.55:
	v_dual_mul_f32 v11, 4.0, v11 :: v_dual_mul_f32 v10, 4.0, v10
	s_mov_b32 s12, exec_lo
; %bb.56:
	s_or_b32 exec_lo, exec_lo, s13
	s_delay_alu instid0(SALU_CYCLE_1)
	s_and_b32 s12, s12, exec_lo
.LBB174_57:
	s_and_not1_saveexec_b32 s2, s2
; %bb.58:
	v_dual_mul_f32 v10, 0x3e800000, v10 :: v_dual_mul_f32 v11, 0x3e800000, v11
	s_and_not1_b32 s12, s12, exec_lo
; %bb.59:
	s_or_b32 exec_lo, exec_lo, s2
	s_delay_alu instid0(VALU_DEP_1) | instskip(NEXT) | instid1(VALU_DEP_2)
	v_max_f32_e64 v8, |v11|, |v11|
	v_max_f32_e64 v9, |v10|, |v10|
	s_delay_alu instid0(VALU_DEP_1) | instskip(NEXT) | instid1(VALU_DEP_1)
	v_max_f32_e32 v13, v9, v8
	v_cvt_f64_f32_e32 v[8:9], v13
	s_delay_alu instid0(VALU_DEP_1) | instskip(NEXT) | instid1(VALU_DEP_1)
	v_frexp_exp_i32_f64_e32 v8, v[8:9]
	v_sub_nc_u32_e32 v9, 0, v8
	s_delay_alu instid0(VALU_DEP_1) | instskip(SKIP_1) | instid1(VALU_DEP_2)
	v_ldexp_f32 v14, |v11|, v9
	v_ldexp_f32 v9, |v10|, v9
	v_mul_f32_e32 v14, v14, v14
	v_cmp_neq_f32_e64 s2, 0x7f800000, v13
	s_delay_alu instid0(VALU_DEP_2) | instskip(NEXT) | instid1(VALU_DEP_1)
	v_fmac_f32_e32 v14, v9, v9
	v_sqrt_f32_e32 v9, v14
	s_waitcnt_depctr 0xfff
	v_ldexp_f32 v8, v9, v8
                                        ; implicit-def: $vgpr9
	s_delay_alu instid0(VALU_DEP_1)
	v_cndmask_b32_e64 v13, 0x7f800000, v8, s2
                                        ; implicit-def: $vgpr8
	s_mov_b32 s2, exec_lo
	v_cmpx_le_f32_e32 0, v10
	s_xor_b32 s13, exec_lo, s2
	s_cbranch_execz .LBB174_61
; %bb.60:
	v_add_f32_e32 v8, v10, v13
	s_delay_alu instid0(VALU_DEP_1) | instskip(NEXT) | instid1(VALU_DEP_1)
	v_mul_f32_e32 v8, 0.5, v8
	v_mul_f32_e32 v9, 0x4f800000, v8
	v_cmp_gt_f32_e32 vcc_lo, 0xf800000, v8
	s_delay_alu instid0(VALU_DEP_2) | instskip(NEXT) | instid1(VALU_DEP_1)
	v_cndmask_b32_e32 v8, v8, v9, vcc_lo
	v_sqrt_f32_e32 v9, v8
	s_waitcnt_depctr 0xfff
	v_add_nc_u32_e32 v13, 1, v9
	v_add_nc_u32_e32 v10, -1, v9
	s_delay_alu instid0(VALU_DEP_2) | instskip(NEXT) | instid1(VALU_DEP_2)
	v_fma_f32 v15, -v13, v9, v8
	v_fma_f32 v14, -v10, v9, v8
	s_delay_alu instid0(VALU_DEP_1) | instskip(NEXT) | instid1(VALU_DEP_1)
	v_cmp_ge_f32_e64 s2, 0, v14
	v_cndmask_b32_e64 v9, v9, v10, s2
	s_delay_alu instid0(VALU_DEP_4) | instskip(NEXT) | instid1(VALU_DEP_1)
	v_cmp_lt_f32_e64 s2, 0, v15
	v_cndmask_b32_e64 v9, v9, v13, s2
	s_delay_alu instid0(VALU_DEP_1) | instskip(NEXT) | instid1(VALU_DEP_1)
	v_mul_f32_e32 v10, 0x37800000, v9
	v_cndmask_b32_e32 v9, v9, v10, vcc_lo
	v_cmp_class_f32_e64 vcc_lo, v8, 0x260
	s_delay_alu instid0(VALU_DEP_2) | instskip(NEXT) | instid1(VALU_DEP_1)
	v_cndmask_b32_e32 v8, v9, v8, vcc_lo
	v_add_f32_e32 v9, v8, v8
	s_delay_alu instid0(VALU_DEP_1) | instskip(NEXT) | instid1(VALU_DEP_1)
	v_div_scale_f32 v10, null, v9, v9, v11
	v_rcp_f32_e32 v13, v10
	s_waitcnt_depctr 0xfff
	v_fma_f32 v14, -v10, v13, 1.0
	s_delay_alu instid0(VALU_DEP_1) | instskip(SKIP_1) | instid1(VALU_DEP_1)
	v_fmac_f32_e32 v13, v14, v13
	v_div_scale_f32 v14, vcc_lo, v11, v9, v11
	v_mul_f32_e32 v15, v14, v13
	s_delay_alu instid0(VALU_DEP_1) | instskip(NEXT) | instid1(VALU_DEP_1)
	v_fma_f32 v16, -v10, v15, v14
	v_fmac_f32_e32 v15, v16, v13
	s_delay_alu instid0(VALU_DEP_1) | instskip(NEXT) | instid1(VALU_DEP_1)
	v_fma_f32 v10, -v10, v15, v14
	v_div_fmas_f32 v10, v10, v13, v15
                                        ; implicit-def: $vgpr13
	s_delay_alu instid0(VALU_DEP_1)
	v_div_fixup_f32 v9, v10, v9, v11
                                        ; implicit-def: $vgpr10
	s_and_not1_saveexec_b32 s13, s13
	s_cbranch_execz .LBB174_63
	s_branch .LBB174_62
.LBB174_61:
	s_and_not1_saveexec_b32 s13, s13
	s_cbranch_execz .LBB174_63
.LBB174_62:
	v_sub_f32_e32 v8, v13, v10
	s_delay_alu instid0(VALU_DEP_1) | instskip(NEXT) | instid1(VALU_DEP_1)
	v_mul_f32_e32 v8, 0.5, v8
	v_mul_f32_e32 v9, 0x4f800000, v8
	v_cmp_gt_f32_e32 vcc_lo, 0xf800000, v8
	s_delay_alu instid0(VALU_DEP_2) | instskip(NEXT) | instid1(VALU_DEP_1)
	v_cndmask_b32_e32 v8, v8, v9, vcc_lo
	v_sqrt_f32_e32 v9, v8
	s_waitcnt_depctr 0xfff
	v_add_nc_u32_e32 v10, -1, v9
	v_add_nc_u32_e32 v13, 1, v9
	s_delay_alu instid0(VALU_DEP_2) | instskip(NEXT) | instid1(VALU_DEP_2)
	v_fma_f32 v14, -v10, v9, v8
	v_fma_f32 v15, -v13, v9, v8
	s_delay_alu instid0(VALU_DEP_2) | instskip(NEXT) | instid1(VALU_DEP_1)
	v_cmp_ge_f32_e64 s2, 0, v14
	v_cndmask_b32_e64 v9, v9, v10, s2
	s_delay_alu instid0(VALU_DEP_3) | instskip(NEXT) | instid1(VALU_DEP_1)
	v_cmp_lt_f32_e64 s2, 0, v15
	v_cndmask_b32_e64 v9, v9, v13, s2
	s_delay_alu instid0(VALU_DEP_1) | instskip(NEXT) | instid1(VALU_DEP_1)
	v_mul_f32_e32 v10, 0x37800000, v9
	v_cndmask_b32_e32 v9, v9, v10, vcc_lo
	v_cmp_class_f32_e64 vcc_lo, v8, 0x260
	s_delay_alu instid0(VALU_DEP_2) | instskip(NEXT) | instid1(VALU_DEP_1)
	v_dual_cndmask_b32 v9, v9, v8 :: v_dual_and_b32 v8, 0x7fffffff, v11
	v_add_f32_e32 v10, v9, v9
	v_bfi_b32 v9, 0x7fffffff, v9, v11
	s_delay_alu instid0(VALU_DEP_2) | instskip(SKIP_1) | instid1(VALU_DEP_2)
	v_div_scale_f32 v13, null, v10, v10, v8
	v_div_scale_f32 v8, vcc_lo, v8, v10, v8
	v_rcp_f32_e32 v14, v13
	s_waitcnt_depctr 0xfff
	v_fma_f32 v15, -v13, v14, 1.0
	s_delay_alu instid0(VALU_DEP_1) | instskip(NEXT) | instid1(VALU_DEP_1)
	v_fmac_f32_e32 v14, v15, v14
	v_mul_f32_e32 v15, v8, v14
	s_delay_alu instid0(VALU_DEP_1) | instskip(NEXT) | instid1(VALU_DEP_1)
	v_fma_f32 v16, -v13, v15, v8
	v_fmac_f32_e32 v15, v16, v14
	s_delay_alu instid0(VALU_DEP_1) | instskip(NEXT) | instid1(VALU_DEP_1)
	v_fma_f32 v8, -v13, v15, v8
	v_div_fmas_f32 v8, v8, v14, v15
	s_delay_alu instid0(VALU_DEP_1)
	v_div_fixup_f32 v8, v8, v10, |v11|
.LBB174_63:
	s_or_b32 exec_lo, exec_lo, s13
                                        ; implicit-def: $vgpr11
	s_and_saveexec_b32 s2, s1
	s_delay_alu instid0(SALU_CYCLE_1)
	s_xor_b32 s1, exec_lo, s2
	s_cbranch_execz .LBB174_65
; %bb.64:
	v_dual_mul_f32 v10, 0.5, v8 :: v_dual_mul_f32 v11, 0.5, v9
	s_delay_alu instid0(VALU_DEP_1) | instskip(NEXT) | instid1(VALU_DEP_2)
	v_cndmask_b32_e64 v10, v8, v10, s12
	v_cndmask_b32_e64 v11, v9, v11, s12
                                        ; implicit-def: $vgpr8
                                        ; implicit-def: $vgpr9
	s_and_not1_saveexec_b32 s1, s1
	s_cbranch_execnz .LBB174_66
	s_branch .LBB174_67
.LBB174_65:
	s_and_not1_saveexec_b32 s1, s1
.LBB174_66:
	v_dual_add_f32 v10, v8, v8 :: v_dual_add_f32 v11, v9, v9
.LBB174_67:
	s_or_b32 exec_lo, exec_lo, s1
.LBB174_68:
	s_and_not1_saveexec_b32 s1, s11
	s_cbranch_execz .LBB174_74
; %bb.69:
	s_delay_alu instid0(VALU_DEP_1)
	v_sub_f32_e32 v8, v11, v11
	s_mov_b32 s2, exec_lo
	v_cmpx_lt_i32_e32 -1, v10
	s_xor_b32 s2, exec_lo, s2
; %bb.70:
	s_delay_alu instid0(VALU_DEP_2)
	v_bfi_b32 v11, 0x7fffffff, v8, v11
                                        ; implicit-def: $vgpr8
; %bb.71:
	s_and_not1_saveexec_b32 s2, s2
; %bb.72:
	v_and_b32_e32 v8, 0x7fffffff, v8
	s_delay_alu instid0(VALU_DEP_2) | instskip(NEXT) | instid1(VALU_DEP_2)
	v_bfi_b32 v11, 0x7fffffff, v10, v11
	v_mov_b32_e32 v10, v8
; %bb.73:
	s_or_b32 exec_lo, exec_lo, s2
.LBB174_74:
	s_delay_alu instid0(SALU_CYCLE_1)
	s_or_b32 exec_lo, exec_lo, s1
.LBB174_75:
	s_and_not1_saveexec_b32 s1, s10
; %bb.76:
	v_sub_f32_e32 v8, v11, v11
	s_delay_alu instid0(VALU_DEP_1) | instskip(NEXT) | instid1(VALU_DEP_1)
	v_div_scale_f32 v9, vcc_lo, v8, v8, v8
	v_rcp_f32_e32 v11, v9
	s_waitcnt_depctr 0xfff
	v_fma_f32 v13, -v9, v11, 1.0
	s_delay_alu instid0(VALU_DEP_1) | instskip(NEXT) | instid1(VALU_DEP_1)
	v_fmac_f32_e32 v11, v13, v11
	v_mul_f32_e32 v13, v9, v11
	s_delay_alu instid0(VALU_DEP_1) | instskip(NEXT) | instid1(VALU_DEP_1)
	v_fma_f32 v14, -v9, v13, v9
	v_fmac_f32_e32 v13, v14, v11
	s_delay_alu instid0(VALU_DEP_1) | instskip(NEXT) | instid1(VALU_DEP_1)
	v_fma_f32 v9, -v9, v13, v9
	v_div_fmas_f32 v9, v9, v11, v13
	s_delay_alu instid0(VALU_DEP_1)
	v_div_fixup_f32 v11, v9, v8, v8
; %bb.77:
	s_or_b32 exec_lo, exec_lo, s1
	v_mov_b32_e32 v13, v10
.LBB174_78:
	s_or_b32 exec_lo, exec_lo, s9
.LBB174_79:
	s_delay_alu instid0(SALU_CYCLE_1) | instskip(NEXT) | instid1(VALU_DEP_1)
	s_or_b32 exec_lo, exec_lo, s7
	v_cmp_gt_f32_e32 vcc_lo, 0, v13
                                        ; implicit-def: $vgpr8
	s_mov_b32 s1, exec_lo
	v_cndmask_b32_e64 v10, v13, -v13, vcc_lo
	v_cmp_gt_f32_e32 vcc_lo, 0, v11
	v_cndmask_b32_e64 v14, v11, -v11, vcc_lo
	s_delay_alu instid0(VALU_DEP_1)
	v_cmpx_ge_f32_e32 v10, v14
	s_xor_b32 s2, exec_lo, s1
	s_cbranch_execz .LBB174_85
; %bb.80:
	v_cmp_neq_f32_e32 vcc_lo, 0, v13
	v_cmp_neq_f32_e64 s1, 0, v11
                                        ; implicit-def: $vgpr8
	s_delay_alu instid0(VALU_DEP_1) | instskip(NEXT) | instid1(SALU_CYCLE_1)
	s_or_b32 s1, vcc_lo, s1
	s_and_saveexec_b32 s7, s1
	s_delay_alu instid0(SALU_CYCLE_1)
	s_xor_b32 s1, exec_lo, s7
	s_cbranch_execz .LBB174_82
; %bb.81:
	v_div_scale_f32 v8, null, v13, v13, v11
	v_div_scale_f32 v14, vcc_lo, v11, v13, v11
	s_delay_alu instid0(VALU_DEP_2) | instskip(SKIP_2) | instid1(VALU_DEP_1)
	v_rcp_f32_e32 v9, v8
	s_waitcnt_depctr 0xfff
	v_fma_f32 v10, -v8, v9, 1.0
	v_fmac_f32_e32 v9, v10, v9
	s_delay_alu instid0(VALU_DEP_1) | instskip(NEXT) | instid1(VALU_DEP_1)
	v_mul_f32_e32 v10, v14, v9
	v_fma_f32 v15, -v8, v10, v14
	s_delay_alu instid0(VALU_DEP_1) | instskip(NEXT) | instid1(VALU_DEP_1)
	v_fmac_f32_e32 v10, v15, v9
	v_fma_f32 v8, -v8, v10, v14
	s_delay_alu instid0(VALU_DEP_1) | instskip(NEXT) | instid1(VALU_DEP_1)
	v_div_fmas_f32 v8, v8, v9, v10
	v_div_fixup_f32 v9, v8, v13, v11
	s_delay_alu instid0(VALU_DEP_1) | instskip(NEXT) | instid1(VALU_DEP_1)
	v_fmac_f32_e32 v13, v11, v9
	v_div_scale_f32 v8, null, v13, v13, 1.0
	v_div_scale_f32 v14, vcc_lo, 1.0, v13, 1.0
	s_delay_alu instid0(VALU_DEP_2) | instskip(SKIP_2) | instid1(VALU_DEP_1)
	v_rcp_f32_e32 v10, v8
	s_waitcnt_depctr 0xfff
	v_fma_f32 v11, -v8, v10, 1.0
	v_fmac_f32_e32 v10, v11, v10
	s_delay_alu instid0(VALU_DEP_1) | instskip(NEXT) | instid1(VALU_DEP_1)
	v_mul_f32_e32 v11, v14, v10
	v_fma_f32 v15, -v8, v11, v14
	s_delay_alu instid0(VALU_DEP_1) | instskip(NEXT) | instid1(VALU_DEP_1)
	v_fmac_f32_e32 v11, v15, v10
	v_fma_f32 v8, -v8, v11, v14
                                        ; implicit-def: $vgpr14
	s_delay_alu instid0(VALU_DEP_1) | instskip(SKIP_1) | instid1(VALU_DEP_2)
	v_div_fmas_f32 v8, v8, v10, v11
	v_fma_f32 v10, v9, 0, 1.0
	v_div_fixup_f32 v11, v8, v13, 1.0
	s_delay_alu instid0(VALU_DEP_1)
	v_mul_f32_e32 v8, v10, v11
	v_mul_f32_e64 v9, -v9, v11
                                        ; implicit-def: $vgpr10
.LBB174_82:
	s_and_not1_saveexec_b32 s7, s1
	s_cbranch_execz .LBB174_84
; %bb.83:
	v_div_scale_f32 v8, null, v10, v10, 1.0
	v_div_scale_f32 v9, null, v14, v14, 0
	v_div_scale_f32 v17, vcc_lo, 1.0, v10, 1.0
	s_delay_alu instid0(VALU_DEP_3) | instskip(NEXT) | instid1(VALU_DEP_2)
	v_rcp_f32_e32 v11, v8
	v_rcp_f32_e32 v13, v9
	s_waitcnt_depctr 0xfff
	v_fma_f32 v15, -v8, v11, 1.0
	v_fma_f32 v16, -v9, v13, 1.0
	s_delay_alu instid0(VALU_DEP_1) | instskip(NEXT) | instid1(VALU_DEP_3)
	v_fmac_f32_e32 v13, v16, v13
	v_fmac_f32_e32 v11, v15, v11
	v_div_scale_f32 v15, s1, 0, v14, 0
	s_delay_alu instid0(VALU_DEP_1) | instskip(NEXT) | instid1(VALU_DEP_1)
	v_mul_f32_e32 v18, v15, v13
	v_fma_f32 v20, -v9, v18, v15
	s_delay_alu instid0(VALU_DEP_1) | instskip(SKIP_1) | instid1(VALU_DEP_2)
	v_fmac_f32_e32 v18, v20, v13
	v_mul_f32_e32 v16, v17, v11
	v_fma_f32 v9, -v9, v18, v15
	s_delay_alu instid0(VALU_DEP_2) | instskip(NEXT) | instid1(VALU_DEP_1)
	v_fma_f32 v19, -v8, v16, v17
	v_fmac_f32_e32 v16, v19, v11
	s_delay_alu instid0(VALU_DEP_1) | instskip(NEXT) | instid1(VALU_DEP_1)
	v_fma_f32 v8, -v8, v16, v17
	v_div_fmas_f32 v8, v8, v11, v16
	s_mov_b32 vcc_lo, s1
	v_div_fmas_f32 v9, v9, v13, v18
	s_delay_alu instid0(VALU_DEP_2) | instskip(NEXT) | instid1(VALU_DEP_2)
	v_div_fixup_f32 v8, v8, v10, 1.0
	v_div_fixup_f32 v9, v9, v14, 0
.LBB174_84:
	s_or_b32 exec_lo, exec_lo, s7
                                        ; implicit-def: $vgpr11
                                        ; implicit-def: $vgpr13
.LBB174_85:
	s_and_not1_saveexec_b32 s1, s2
	s_cbranch_execz .LBB174_87
; %bb.86:
	v_div_scale_f32 v8, null, v11, v11, v13
	v_div_scale_f32 v14, vcc_lo, v13, v11, v13
	s_delay_alu instid0(VALU_DEP_2) | instskip(SKIP_2) | instid1(VALU_DEP_1)
	v_rcp_f32_e32 v9, v8
	s_waitcnt_depctr 0xfff
	v_fma_f32 v10, -v8, v9, 1.0
	v_fmac_f32_e32 v9, v10, v9
	s_delay_alu instid0(VALU_DEP_1) | instskip(NEXT) | instid1(VALU_DEP_1)
	v_mul_f32_e32 v10, v14, v9
	v_fma_f32 v15, -v8, v10, v14
	s_delay_alu instid0(VALU_DEP_1) | instskip(NEXT) | instid1(VALU_DEP_1)
	v_fmac_f32_e32 v10, v15, v9
	v_fma_f32 v8, -v8, v10, v14
	s_delay_alu instid0(VALU_DEP_1) | instskip(NEXT) | instid1(VALU_DEP_1)
	v_div_fmas_f32 v8, v8, v9, v10
	v_div_fixup_f32 v8, v8, v11, v13
	s_delay_alu instid0(VALU_DEP_1) | instskip(NEXT) | instid1(VALU_DEP_1)
	v_fmac_f32_e32 v11, v13, v8
	v_div_scale_f32 v9, null, v11, v11, 1.0
	v_div_scale_f32 v14, vcc_lo, 1.0, v11, 1.0
	s_delay_alu instid0(VALU_DEP_2) | instskip(SKIP_2) | instid1(VALU_DEP_1)
	v_rcp_f32_e32 v10, v9
	s_waitcnt_depctr 0xfff
	v_fma_f32 v13, -v9, v10, 1.0
	v_fmac_f32_e32 v10, v13, v10
	s_delay_alu instid0(VALU_DEP_1) | instskip(NEXT) | instid1(VALU_DEP_1)
	v_mul_f32_e32 v13, v14, v10
	v_fma_f32 v15, -v9, v13, v14
	s_delay_alu instid0(VALU_DEP_1) | instskip(NEXT) | instid1(VALU_DEP_1)
	v_fmac_f32_e32 v13, v15, v10
	v_fma_f32 v9, -v9, v13, v14
	s_delay_alu instid0(VALU_DEP_1) | instskip(SKIP_1) | instid1(VALU_DEP_2)
	v_div_fmas_f32 v9, v9, v10, v13
	v_add_f32_e32 v10, 0, v8
	v_div_fixup_f32 v9, v9, v11, 1.0
	v_fma_f32 v11, v8, 0, -1.0
	s_delay_alu instid0(VALU_DEP_2) | instskip(NEXT) | instid1(VALU_DEP_2)
	v_mul_f32_e32 v8, v10, v9
	v_mul_f32_e32 v9, v11, v9
.LBB174_87:
	s_or_b32 exec_lo, exec_lo, s1
.LBB174_88:
	s_delay_alu instid0(SALU_CYCLE_1) | instskip(SKIP_2) | instid1(VALU_DEP_2)
	s_or_b32 exec_lo, exec_lo, s6
	v_or_b32_e32 v11, 0x200, v0
	v_mov_b32_e32 v10, 0
	v_cmp_gt_i32_e32 vcc_lo, s8, v11
	v_mov_b32_e32 v11, 0
	s_and_saveexec_b32 s6, vcc_lo
	s_cbranch_execz .LBB174_128
; %bb.89:
	v_cmp_neq_f32_e32 vcc_lo, 0, v6
	v_cmp_neq_f32_e64 s1, 0, v7
	v_mov_b32_e32 v13, 0
	s_delay_alu instid0(VALU_DEP_2) | instskip(NEXT) | instid1(SALU_CYCLE_1)
	s_or_b32 s1, vcc_lo, s1
	s_and_saveexec_b32 s7, s1
	s_cbranch_execz .LBB174_119
; %bb.90:
	v_mov_b32_e32 v13, 0x7f800000
	s_mov_b32 s9, exec_lo
	v_cmpx_neq_f32_e64 0x7f800000, |v7|
	s_cbranch_execz .LBB174_118
; %bb.91:
	s_mov_b32 s1, exec_lo
	v_cmpx_o_f32_e32 v6, v6
	s_xor_b32 s10, exec_lo, s1
	s_cbranch_execz .LBB174_115
; %bb.92:
	s_mov_b32 s2, exec_lo
	v_cmpx_neq_f32_e64 0x7f800000, |v6|
	s_xor_b32 s11, exec_lo, s2
	s_cbranch_execz .LBB174_108
; %bb.93:
	v_max_f32_e64 v10, |v6|, |v6|
	v_max_f32_e64 v11, |v7|, |v7|
                                        ; implicit-def: $sgpr12
	s_delay_alu instid0(VALU_DEP_1) | instskip(NEXT) | instid1(VALU_DEP_1)
	v_max_f32_e32 v10, v11, v10
	v_cmp_nle_f32_e64 s1, 0x7ed413cb, v10
	s_delay_alu instid0(VALU_DEP_1) | instskip(NEXT) | instid1(SALU_CYCLE_1)
	s_and_saveexec_b32 s2, s1
	s_xor_b32 s2, exec_lo, s2
	s_cbranch_execz .LBB174_97
; %bb.94:
	v_cmp_ge_f32_e64 s12, 0x1000000, |v6|
	v_cmp_ge_f32_e64 s13, 0x1000000, |v7|
	s_delay_alu instid0(VALU_DEP_1)
	s_and_b32 s14, s13, s12
	s_mov_b32 s12, 0
	s_and_saveexec_b32 s13, s14
; %bb.95:
	v_dual_mul_f32 v7, 4.0, v7 :: v_dual_mul_f32 v6, 4.0, v6
	s_mov_b32 s12, exec_lo
; %bb.96:
	s_or_b32 exec_lo, exec_lo, s13
	s_delay_alu instid0(SALU_CYCLE_1)
	s_and_b32 s12, s12, exec_lo
.LBB174_97:
	s_and_not1_saveexec_b32 s2, s2
; %bb.98:
	v_dual_mul_f32 v6, 0x3e800000, v6 :: v_dual_mul_f32 v7, 0x3e800000, v7
	s_and_not1_b32 s12, s12, exec_lo
; %bb.99:
	s_or_b32 exec_lo, exec_lo, s2
	s_delay_alu instid0(VALU_DEP_1) | instskip(NEXT) | instid1(VALU_DEP_2)
	v_max_f32_e64 v10, |v7|, |v7|
	v_max_f32_e64 v11, |v6|, |v6|
	s_delay_alu instid0(VALU_DEP_1) | instskip(NEXT) | instid1(VALU_DEP_1)
	v_max_f32_e32 v13, v11, v10
	v_cvt_f64_f32_e32 v[10:11], v13
	v_cmp_neq_f32_e64 s2, 0x7f800000, v13
	s_delay_alu instid0(VALU_DEP_2) | instskip(NEXT) | instid1(VALU_DEP_1)
	v_frexp_exp_i32_f64_e32 v10, v[10:11]
	v_sub_nc_u32_e32 v11, 0, v10
	s_delay_alu instid0(VALU_DEP_1) | instskip(SKIP_1) | instid1(VALU_DEP_2)
	v_ldexp_f32 v14, |v7|, v11
	v_ldexp_f32 v11, |v6|, v11
	v_mul_f32_e32 v14, v14, v14
	s_delay_alu instid0(VALU_DEP_1) | instskip(NEXT) | instid1(VALU_DEP_1)
	v_fmac_f32_e32 v14, v11, v11
	v_sqrt_f32_e32 v11, v14
	s_waitcnt_depctr 0xfff
	v_ldexp_f32 v10, v11, v10
                                        ; implicit-def: $vgpr11
	s_delay_alu instid0(VALU_DEP_1)
	v_cndmask_b32_e64 v13, 0x7f800000, v10, s2
                                        ; implicit-def: $vgpr10
	s_mov_b32 s2, exec_lo
	v_cmpx_le_f32_e32 0, v6
	s_xor_b32 s13, exec_lo, s2
	s_cbranch_execz .LBB174_101
; %bb.100:
	v_add_f32_e32 v6, v6, v13
	s_delay_alu instid0(VALU_DEP_1) | instskip(NEXT) | instid1(VALU_DEP_1)
	v_mul_f32_e32 v6, 0.5, v6
	v_mul_f32_e32 v10, 0x4f800000, v6
	v_cmp_gt_f32_e32 vcc_lo, 0xf800000, v6
	s_delay_alu instid0(VALU_DEP_2) | instskip(NEXT) | instid1(VALU_DEP_1)
	v_cndmask_b32_e32 v6, v6, v10, vcc_lo
	v_sqrt_f32_e32 v10, v6
	s_waitcnt_depctr 0xfff
	v_add_nc_u32_e32 v11, -1, v10
	v_add_nc_u32_e32 v13, 1, v10
	s_delay_alu instid0(VALU_DEP_2) | instskip(NEXT) | instid1(VALU_DEP_2)
	v_fma_f32 v14, -v11, v10, v6
	v_fma_f32 v15, -v13, v10, v6
	s_delay_alu instid0(VALU_DEP_2) | instskip(NEXT) | instid1(VALU_DEP_1)
	v_cmp_ge_f32_e64 s2, 0, v14
	v_cndmask_b32_e64 v10, v10, v11, s2
	s_delay_alu instid0(VALU_DEP_3) | instskip(NEXT) | instid1(VALU_DEP_1)
	v_cmp_lt_f32_e64 s2, 0, v15
	v_cndmask_b32_e64 v10, v10, v13, s2
	s_delay_alu instid0(VALU_DEP_1) | instskip(NEXT) | instid1(VALU_DEP_1)
	v_mul_f32_e32 v11, 0x37800000, v10
	v_cndmask_b32_e32 v10, v10, v11, vcc_lo
	v_cmp_class_f32_e64 vcc_lo, v6, 0x260
	s_delay_alu instid0(VALU_DEP_2) | instskip(NEXT) | instid1(VALU_DEP_1)
	v_cndmask_b32_e32 v10, v10, v6, vcc_lo
	v_add_f32_e32 v6, v10, v10
	s_delay_alu instid0(VALU_DEP_1) | instskip(NEXT) | instid1(VALU_DEP_1)
	v_div_scale_f32 v11, null, v6, v6, v7
	v_rcp_f32_e32 v13, v11
	s_waitcnt_depctr 0xfff
	v_fma_f32 v14, -v11, v13, 1.0
	s_delay_alu instid0(VALU_DEP_1) | instskip(SKIP_1) | instid1(VALU_DEP_1)
	v_fmac_f32_e32 v13, v14, v13
	v_div_scale_f32 v14, vcc_lo, v7, v6, v7
	v_mul_f32_e32 v15, v14, v13
	s_delay_alu instid0(VALU_DEP_1) | instskip(NEXT) | instid1(VALU_DEP_1)
	v_fma_f32 v16, -v11, v15, v14
	v_fmac_f32_e32 v15, v16, v13
	s_delay_alu instid0(VALU_DEP_1) | instskip(NEXT) | instid1(VALU_DEP_1)
	v_fma_f32 v11, -v11, v15, v14
	v_div_fmas_f32 v11, v11, v13, v15
                                        ; implicit-def: $vgpr13
	s_delay_alu instid0(VALU_DEP_1)
	v_div_fixup_f32 v11, v11, v6, v7
                                        ; implicit-def: $vgpr6
	s_and_not1_saveexec_b32 s13, s13
	s_cbranch_execz .LBB174_103
	s_branch .LBB174_102
.LBB174_101:
	s_and_not1_saveexec_b32 s13, s13
	s_cbranch_execz .LBB174_103
.LBB174_102:
	v_sub_f32_e32 v6, v13, v6
	s_delay_alu instid0(VALU_DEP_1) | instskip(NEXT) | instid1(VALU_DEP_1)
	v_mul_f32_e32 v6, 0.5, v6
	v_mul_f32_e32 v10, 0x4f800000, v6
	v_cmp_gt_f32_e32 vcc_lo, 0xf800000, v6
	s_delay_alu instid0(VALU_DEP_2) | instskip(NEXT) | instid1(VALU_DEP_1)
	v_cndmask_b32_e32 v6, v6, v10, vcc_lo
	v_sqrt_f32_e32 v10, v6
	s_waitcnt_depctr 0xfff
	v_add_nc_u32_e32 v11, -1, v10
	v_add_nc_u32_e32 v13, 1, v10
	s_delay_alu instid0(VALU_DEP_2) | instskip(NEXT) | instid1(VALU_DEP_2)
	v_fma_f32 v14, -v11, v10, v6
	v_fma_f32 v15, -v13, v10, v6
	s_delay_alu instid0(VALU_DEP_2) | instskip(NEXT) | instid1(VALU_DEP_1)
	v_cmp_ge_f32_e64 s2, 0, v14
	v_cndmask_b32_e64 v10, v10, v11, s2
	s_delay_alu instid0(VALU_DEP_3) | instskip(NEXT) | instid1(VALU_DEP_1)
	v_cmp_lt_f32_e64 s2, 0, v15
	v_cndmask_b32_e64 v10, v10, v13, s2
	s_delay_alu instid0(VALU_DEP_1) | instskip(NEXT) | instid1(VALU_DEP_1)
	v_mul_f32_e32 v11, 0x37800000, v10
	v_cndmask_b32_e32 v10, v10, v11, vcc_lo
	v_cmp_class_f32_e64 vcc_lo, v6, 0x260
	s_delay_alu instid0(VALU_DEP_2) | instskip(NEXT) | instid1(VALU_DEP_1)
	v_cndmask_b32_e32 v6, v10, v6, vcc_lo
	v_dual_add_f32 v11, v6, v6 :: v_dual_and_b32 v10, 0x7fffffff, v7
	s_delay_alu instid0(VALU_DEP_1) | instskip(SKIP_1) | instid1(VALU_DEP_2)
	v_div_scale_f32 v13, null, v11, v11, v10
	v_div_scale_f32 v10, vcc_lo, v10, v11, v10
	v_rcp_f32_e32 v14, v13
	s_waitcnt_depctr 0xfff
	v_fma_f32 v15, -v13, v14, 1.0
	s_delay_alu instid0(VALU_DEP_1) | instskip(NEXT) | instid1(VALU_DEP_1)
	v_fmac_f32_e32 v14, v15, v14
	v_mul_f32_e32 v15, v10, v14
	s_delay_alu instid0(VALU_DEP_1) | instskip(NEXT) | instid1(VALU_DEP_1)
	v_fma_f32 v16, -v13, v15, v10
	v_fmac_f32_e32 v15, v16, v14
	s_delay_alu instid0(VALU_DEP_1) | instskip(NEXT) | instid1(VALU_DEP_1)
	v_fma_f32 v10, -v13, v15, v10
	v_div_fmas_f32 v10, v10, v14, v15
	s_delay_alu instid0(VALU_DEP_1)
	v_div_fixup_f32 v10, v10, v11, |v7|
	v_bfi_b32 v11, 0x7fffffff, v6, v7
.LBB174_103:
	s_or_b32 exec_lo, exec_lo, s13
                                        ; implicit-def: $vgpr7
	s_and_saveexec_b32 s2, s1
	s_delay_alu instid0(SALU_CYCLE_1)
	s_xor_b32 s1, exec_lo, s2
	s_cbranch_execz .LBB174_105
; %bb.104:
	v_dual_mul_f32 v6, 0.5, v10 :: v_dual_mul_f32 v7, 0.5, v11
	s_delay_alu instid0(VALU_DEP_1) | instskip(NEXT) | instid1(VALU_DEP_2)
	v_cndmask_b32_e64 v6, v10, v6, s12
	v_cndmask_b32_e64 v7, v11, v7, s12
                                        ; implicit-def: $vgpr10
                                        ; implicit-def: $vgpr11
	s_and_not1_saveexec_b32 s1, s1
	s_cbranch_execnz .LBB174_106
	s_branch .LBB174_107
.LBB174_105:
	s_and_not1_saveexec_b32 s1, s1
.LBB174_106:
	v_dual_add_f32 v6, v10, v10 :: v_dual_add_f32 v7, v11, v11
.LBB174_107:
	s_or_b32 exec_lo, exec_lo, s1
.LBB174_108:
	s_and_not1_saveexec_b32 s1, s11
	s_cbranch_execz .LBB174_114
; %bb.109:
	s_delay_alu instid0(VALU_DEP_1)
	v_sub_f32_e32 v10, v7, v7
	s_mov_b32 s2, exec_lo
	v_cmpx_lt_i32_e32 -1, v6
	s_xor_b32 s2, exec_lo, s2
; %bb.110:
	s_delay_alu instid0(VALU_DEP_2)
	v_bfi_b32 v7, 0x7fffffff, v10, v7
                                        ; implicit-def: $vgpr10
; %bb.111:
	s_and_not1_saveexec_b32 s2, s2
; %bb.112:
	v_and_b32_e32 v10, 0x7fffffff, v10
	s_delay_alu instid0(VALU_DEP_2) | instskip(NEXT) | instid1(VALU_DEP_2)
	v_bfi_b32 v7, 0x7fffffff, v6, v7
	v_mov_b32_e32 v6, v10
; %bb.113:
	s_or_b32 exec_lo, exec_lo, s2
.LBB174_114:
	s_delay_alu instid0(SALU_CYCLE_1)
	s_or_b32 exec_lo, exec_lo, s1
.LBB174_115:
	s_and_not1_saveexec_b32 s1, s10
; %bb.116:
	v_sub_f32_e32 v7, v7, v7
	s_delay_alu instid0(VALU_DEP_1) | instskip(NEXT) | instid1(VALU_DEP_1)
	v_div_scale_f32 v10, vcc_lo, v7, v7, v7
	v_rcp_f32_e32 v11, v10
	s_waitcnt_depctr 0xfff
	v_fma_f32 v13, -v10, v11, 1.0
	s_delay_alu instid0(VALU_DEP_1) | instskip(NEXT) | instid1(VALU_DEP_1)
	v_fmac_f32_e32 v11, v13, v11
	v_mul_f32_e32 v13, v10, v11
	s_delay_alu instid0(VALU_DEP_1) | instskip(NEXT) | instid1(VALU_DEP_1)
	v_fma_f32 v14, -v10, v13, v10
	v_fmac_f32_e32 v13, v14, v11
	s_delay_alu instid0(VALU_DEP_1) | instskip(NEXT) | instid1(VALU_DEP_1)
	v_fma_f32 v10, -v10, v13, v10
	v_div_fmas_f32 v10, v10, v11, v13
	s_delay_alu instid0(VALU_DEP_1)
	v_div_fixup_f32 v7, v10, v7, v7
; %bb.117:
	s_or_b32 exec_lo, exec_lo, s1
	v_mov_b32_e32 v13, v6
.LBB174_118:
	s_or_b32 exec_lo, exec_lo, s9
.LBB174_119:
	s_delay_alu instid0(SALU_CYCLE_1) | instskip(NEXT) | instid1(VALU_DEP_1)
	s_or_b32 exec_lo, exec_lo, s7
	v_cmp_gt_f32_e32 vcc_lo, 0, v13
                                        ; implicit-def: $vgpr10
	s_mov_b32 s1, exec_lo
	v_cndmask_b32_e64 v6, v13, -v13, vcc_lo
	v_cmp_gt_f32_e32 vcc_lo, 0, v7
	v_cndmask_b32_e64 v14, v7, -v7, vcc_lo
	s_delay_alu instid0(VALU_DEP_1)
	v_cmpx_ge_f32_e32 v6, v14
	s_xor_b32 s2, exec_lo, s1
	s_cbranch_execz .LBB174_125
; %bb.120:
	v_cmp_neq_f32_e32 vcc_lo, 0, v13
	v_cmp_neq_f32_e64 s1, 0, v7
                                        ; implicit-def: $vgpr10
	s_delay_alu instid0(VALU_DEP_1) | instskip(NEXT) | instid1(SALU_CYCLE_1)
	s_or_b32 s1, vcc_lo, s1
	s_and_saveexec_b32 s7, s1
	s_delay_alu instid0(SALU_CYCLE_1)
	s_xor_b32 s1, exec_lo, s7
	s_cbranch_execz .LBB174_122
; %bb.121:
	v_div_scale_f32 v6, null, v13, v13, v7
	v_div_scale_f32 v14, vcc_lo, v7, v13, v7
	s_delay_alu instid0(VALU_DEP_2) | instskip(SKIP_2) | instid1(VALU_DEP_1)
	v_rcp_f32_e32 v10, v6
	s_waitcnt_depctr 0xfff
	v_fma_f32 v11, -v6, v10, 1.0
	v_fmac_f32_e32 v10, v11, v10
	s_delay_alu instid0(VALU_DEP_1) | instskip(NEXT) | instid1(VALU_DEP_1)
	v_mul_f32_e32 v11, v14, v10
	v_fma_f32 v15, -v6, v11, v14
	s_delay_alu instid0(VALU_DEP_1) | instskip(NEXT) | instid1(VALU_DEP_1)
	v_fmac_f32_e32 v11, v15, v10
	v_fma_f32 v6, -v6, v11, v14
	s_delay_alu instid0(VALU_DEP_1) | instskip(NEXT) | instid1(VALU_DEP_1)
	v_div_fmas_f32 v6, v6, v10, v11
	v_div_fixup_f32 v6, v6, v13, v7
	s_delay_alu instid0(VALU_DEP_1) | instskip(NEXT) | instid1(VALU_DEP_1)
	v_fmac_f32_e32 v13, v7, v6
	v_div_scale_f32 v7, null, v13, v13, 1.0
	v_div_scale_f32 v14, vcc_lo, 1.0, v13, 1.0
	s_delay_alu instid0(VALU_DEP_2) | instskip(SKIP_2) | instid1(VALU_DEP_1)
	v_rcp_f32_e32 v10, v7
	s_waitcnt_depctr 0xfff
	v_fma_f32 v11, -v7, v10, 1.0
	v_fmac_f32_e32 v10, v11, v10
	s_delay_alu instid0(VALU_DEP_1) | instskip(NEXT) | instid1(VALU_DEP_1)
	v_mul_f32_e32 v11, v14, v10
	v_fma_f32 v15, -v7, v11, v14
	s_delay_alu instid0(VALU_DEP_1) | instskip(NEXT) | instid1(VALU_DEP_1)
	v_fmac_f32_e32 v11, v15, v10
	v_fma_f32 v7, -v7, v11, v14
                                        ; implicit-def: $vgpr14
	s_delay_alu instid0(VALU_DEP_1) | instskip(SKIP_1) | instid1(VALU_DEP_2)
	v_div_fmas_f32 v7, v7, v10, v11
	v_fma_f32 v10, v6, 0, 1.0
	v_div_fixup_f32 v7, v7, v13, 1.0
	s_delay_alu instid0(VALU_DEP_1)
	v_mul_f32_e32 v10, v10, v7
	v_mul_f32_e64 v11, -v6, v7
                                        ; implicit-def: $vgpr6
.LBB174_122:
	s_and_not1_saveexec_b32 s7, s1
	s_cbranch_execz .LBB174_124
; %bb.123:
	v_div_scale_f32 v7, null, v6, v6, 1.0
	v_div_scale_f32 v10, null, v14, v14, 0
	v_div_scale_f32 v17, vcc_lo, 1.0, v6, 1.0
	s_delay_alu instid0(VALU_DEP_3) | instskip(NEXT) | instid1(VALU_DEP_2)
	v_rcp_f32_e32 v11, v7
	v_rcp_f32_e32 v13, v10
	s_waitcnt_depctr 0xfff
	v_fma_f32 v15, -v7, v11, 1.0
	v_fma_f32 v16, -v10, v13, 1.0
	s_delay_alu instid0(VALU_DEP_1) | instskip(NEXT) | instid1(VALU_DEP_3)
	v_fmac_f32_e32 v13, v16, v13
	v_fmac_f32_e32 v11, v15, v11
	v_div_scale_f32 v15, s1, 0, v14, 0
	s_delay_alu instid0(VALU_DEP_1) | instskip(NEXT) | instid1(VALU_DEP_1)
	v_mul_f32_e32 v18, v15, v13
	v_fma_f32 v20, -v10, v18, v15
	s_delay_alu instid0(VALU_DEP_1) | instskip(SKIP_1) | instid1(VALU_DEP_2)
	v_fmac_f32_e32 v18, v20, v13
	v_mul_f32_e32 v16, v17, v11
	v_fma_f32 v10, -v10, v18, v15
	s_delay_alu instid0(VALU_DEP_2) | instskip(NEXT) | instid1(VALU_DEP_1)
	v_fma_f32 v19, -v7, v16, v17
	v_fmac_f32_e32 v16, v19, v11
	s_delay_alu instid0(VALU_DEP_1) | instskip(NEXT) | instid1(VALU_DEP_1)
	v_fma_f32 v7, -v7, v16, v17
	v_div_fmas_f32 v7, v7, v11, v16
	s_mov_b32 vcc_lo, s1
	v_div_fmas_f32 v11, v10, v13, v18
	s_delay_alu instid0(VALU_DEP_2) | instskip(NEXT) | instid1(VALU_DEP_2)
	v_div_fixup_f32 v10, v7, v6, 1.0
	v_div_fixup_f32 v11, v11, v14, 0
.LBB174_124:
	s_or_b32 exec_lo, exec_lo, s7
                                        ; implicit-def: $vgpr7
                                        ; implicit-def: $vgpr13
.LBB174_125:
	s_and_not1_saveexec_b32 s1, s2
	s_cbranch_execz .LBB174_127
; %bb.126:
	v_div_scale_f32 v6, null, v7, v7, v13
	v_div_scale_f32 v14, vcc_lo, v13, v7, v13
	s_delay_alu instid0(VALU_DEP_2) | instskip(SKIP_2) | instid1(VALU_DEP_1)
	v_rcp_f32_e32 v10, v6
	s_waitcnt_depctr 0xfff
	v_fma_f32 v11, -v6, v10, 1.0
	v_fmac_f32_e32 v10, v11, v10
	s_delay_alu instid0(VALU_DEP_1) | instskip(NEXT) | instid1(VALU_DEP_1)
	v_mul_f32_e32 v11, v14, v10
	v_fma_f32 v15, -v6, v11, v14
	s_delay_alu instid0(VALU_DEP_1) | instskip(NEXT) | instid1(VALU_DEP_1)
	v_fmac_f32_e32 v11, v15, v10
	v_fma_f32 v6, -v6, v11, v14
	s_delay_alu instid0(VALU_DEP_1) | instskip(NEXT) | instid1(VALU_DEP_1)
	v_div_fmas_f32 v6, v6, v10, v11
	v_div_fixup_f32 v6, v6, v7, v13
	s_delay_alu instid0(VALU_DEP_1) | instskip(NEXT) | instid1(VALU_DEP_1)
	v_fmac_f32_e32 v7, v13, v6
	v_div_scale_f32 v10, null, v7, v7, 1.0
	v_div_scale_f32 v14, vcc_lo, 1.0, v7, 1.0
	s_delay_alu instid0(VALU_DEP_2) | instskip(SKIP_2) | instid1(VALU_DEP_1)
	v_rcp_f32_e32 v11, v10
	s_waitcnt_depctr 0xfff
	v_fma_f32 v13, -v10, v11, 1.0
	v_fmac_f32_e32 v11, v13, v11
	s_delay_alu instid0(VALU_DEP_1) | instskip(NEXT) | instid1(VALU_DEP_1)
	v_mul_f32_e32 v13, v14, v11
	v_fma_f32 v15, -v10, v13, v14
	s_delay_alu instid0(VALU_DEP_1) | instskip(NEXT) | instid1(VALU_DEP_1)
	v_fmac_f32_e32 v13, v15, v11
	v_fma_f32 v10, -v10, v13, v14
	s_delay_alu instid0(VALU_DEP_1) | instskip(SKIP_2) | instid1(VALU_DEP_3)
	v_div_fmas_f32 v10, v10, v11, v13
	v_add_f32_e32 v11, 0, v6
	v_fma_f32 v6, v6, 0, -1.0
	v_div_fixup_f32 v7, v10, v7, 1.0
	s_delay_alu instid0(VALU_DEP_1) | instskip(NEXT) | instid1(VALU_DEP_3)
	v_mul_f32_e32 v10, v11, v7
	v_mul_f32_e32 v11, v6, v7
.LBB174_127:
	s_or_b32 exec_lo, exec_lo, s1
.LBB174_128:
	s_delay_alu instid0(SALU_CYCLE_1) | instskip(SKIP_2) | instid1(VALU_DEP_2)
	s_or_b32 exec_lo, exec_lo, s6
	v_or_b32_e32 v7, 0x300, v0
	v_mov_b32_e32 v6, 0
	v_cmp_gt_i32_e32 vcc_lo, s8, v7
	v_mov_b32_e32 v7, 0
	s_and_saveexec_b32 s6, vcc_lo
	s_cbranch_execz .LBB174_141
; %bb.129:
	v_cmp_neq_f32_e32 vcc_lo, 0, v2
	v_cmp_neq_f32_e64 s1, 0, v3
	v_mov_b32_e32 v13, 0
	s_delay_alu instid0(VALU_DEP_2) | instskip(NEXT) | instid1(SALU_CYCLE_1)
	s_or_b32 s1, vcc_lo, s1
	s_and_saveexec_b32 s7, s1
	s_cbranch_execz .LBB174_164
; %bb.130:
	v_mov_b32_e32 v13, 0x7f800000
	s_mov_b32 s9, exec_lo
	v_cmpx_neq_f32_e64 0x7f800000, |v3|
	s_cbranch_execz .LBB174_163
; %bb.131:
	s_mov_b32 s1, exec_lo
	v_cmpx_o_f32_e32 v2, v2
	s_xor_b32 s10, exec_lo, s1
	s_cbranch_execz .LBB174_160
; %bb.132:
	s_mov_b32 s2, exec_lo
	v_cmpx_neq_f32_e64 0x7f800000, |v2|
	s_xor_b32 s11, exec_lo, s2
	s_cbranch_execz .LBB174_153
; %bb.133:
	v_max_f32_e64 v6, |v2|, |v2|
	v_max_f32_e64 v7, |v3|, |v3|
                                        ; implicit-def: $sgpr12
	s_delay_alu instid0(VALU_DEP_1) | instskip(NEXT) | instid1(VALU_DEP_1)
	v_max_f32_e32 v6, v7, v6
	v_cmp_nle_f32_e64 s1, 0x7ed413cb, v6
	s_delay_alu instid0(VALU_DEP_1) | instskip(NEXT) | instid1(SALU_CYCLE_1)
	s_and_saveexec_b32 s2, s1
	s_xor_b32 s2, exec_lo, s2
	s_cbranch_execz .LBB174_137
; %bb.134:
	v_cmp_ge_f32_e64 s12, 0x1000000, |v2|
	v_cmp_ge_f32_e64 s13, 0x1000000, |v3|
	s_delay_alu instid0(VALU_DEP_1)
	s_and_b32 s14, s13, s12
	s_mov_b32 s12, 0
	s_and_saveexec_b32 s13, s14
; %bb.135:
	v_dual_mul_f32 v3, 4.0, v3 :: v_dual_mul_f32 v2, 4.0, v2
	s_mov_b32 s12, exec_lo
; %bb.136:
	s_or_b32 exec_lo, exec_lo, s13
	s_delay_alu instid0(SALU_CYCLE_1)
	s_and_b32 s12, s12, exec_lo
.LBB174_137:
	s_and_not1_saveexec_b32 s2, s2
; %bb.138:
	v_dual_mul_f32 v2, 0x3e800000, v2 :: v_dual_mul_f32 v3, 0x3e800000, v3
	s_and_not1_b32 s12, s12, exec_lo
; %bb.139:
	s_or_b32 exec_lo, exec_lo, s2
	s_delay_alu instid0(VALU_DEP_1) | instskip(NEXT) | instid1(VALU_DEP_2)
	v_max_f32_e64 v6, |v3|, |v3|
	v_max_f32_e64 v7, |v2|, |v2|
	s_delay_alu instid0(VALU_DEP_1) | instskip(NEXT) | instid1(VALU_DEP_1)
	v_max_f32_e32 v13, v7, v6
	v_cvt_f64_f32_e32 v[6:7], v13
	v_cmp_neq_f32_e64 s2, 0x7f800000, v13
	s_delay_alu instid0(VALU_DEP_2) | instskip(NEXT) | instid1(VALU_DEP_1)
	v_frexp_exp_i32_f64_e32 v6, v[6:7]
	v_sub_nc_u32_e32 v7, 0, v6
	s_delay_alu instid0(VALU_DEP_1) | instskip(SKIP_1) | instid1(VALU_DEP_2)
	v_ldexp_f32 v14, |v3|, v7
	v_ldexp_f32 v7, |v2|, v7
	v_mul_f32_e32 v14, v14, v14
	s_delay_alu instid0(VALU_DEP_1) | instskip(NEXT) | instid1(VALU_DEP_1)
	v_fmac_f32_e32 v14, v7, v7
	v_sqrt_f32_e32 v7, v14
	s_waitcnt_depctr 0xfff
	v_ldexp_f32 v6, v7, v6
                                        ; implicit-def: $vgpr7
	s_delay_alu instid0(VALU_DEP_1)
	v_cndmask_b32_e64 v13, 0x7f800000, v6, s2
                                        ; implicit-def: $vgpr6
	s_mov_b32 s2, exec_lo
	v_cmpx_le_f32_e32 0, v2
	s_xor_b32 s13, exec_lo, s2
	s_cbranch_execz .LBB174_146
; %bb.140:
	v_add_f32_e32 v2, v2, v13
	s_delay_alu instid0(VALU_DEP_1) | instskip(NEXT) | instid1(VALU_DEP_1)
	v_mul_f32_e32 v2, 0.5, v2
	v_mul_f32_e32 v6, 0x4f800000, v2
	v_cmp_gt_f32_e32 vcc_lo, 0xf800000, v2
	s_delay_alu instid0(VALU_DEP_2) | instskip(NEXT) | instid1(VALU_DEP_1)
	v_cndmask_b32_e32 v2, v2, v6, vcc_lo
	v_sqrt_f32_e32 v6, v2
	s_waitcnt_depctr 0xfff
	v_add_nc_u32_e32 v7, -1, v6
	v_add_nc_u32_e32 v13, 1, v6
	s_delay_alu instid0(VALU_DEP_2) | instskip(NEXT) | instid1(VALU_DEP_2)
	v_fma_f32 v14, -v7, v6, v2
	v_fma_f32 v15, -v13, v6, v2
	s_delay_alu instid0(VALU_DEP_2) | instskip(NEXT) | instid1(VALU_DEP_1)
	v_cmp_ge_f32_e64 s2, 0, v14
	v_cndmask_b32_e64 v6, v6, v7, s2
	s_delay_alu instid0(VALU_DEP_3) | instskip(NEXT) | instid1(VALU_DEP_1)
	v_cmp_lt_f32_e64 s2, 0, v15
	v_cndmask_b32_e64 v6, v6, v13, s2
	s_delay_alu instid0(VALU_DEP_1) | instskip(NEXT) | instid1(VALU_DEP_1)
	v_mul_f32_e32 v7, 0x37800000, v6
	v_cndmask_b32_e32 v6, v6, v7, vcc_lo
	v_cmp_class_f32_e64 vcc_lo, v2, 0x260
	s_delay_alu instid0(VALU_DEP_2) | instskip(NEXT) | instid1(VALU_DEP_1)
	v_cndmask_b32_e32 v6, v6, v2, vcc_lo
	v_add_f32_e32 v2, v6, v6
	s_delay_alu instid0(VALU_DEP_1) | instskip(NEXT) | instid1(VALU_DEP_1)
	v_div_scale_f32 v7, null, v2, v2, v3
	v_rcp_f32_e32 v13, v7
	s_waitcnt_depctr 0xfff
	v_fma_f32 v14, -v7, v13, 1.0
	s_delay_alu instid0(VALU_DEP_1) | instskip(SKIP_1) | instid1(VALU_DEP_1)
	v_fmac_f32_e32 v13, v14, v13
	v_div_scale_f32 v14, vcc_lo, v3, v2, v3
	v_mul_f32_e32 v15, v14, v13
	s_delay_alu instid0(VALU_DEP_1) | instskip(NEXT) | instid1(VALU_DEP_1)
	v_fma_f32 v16, -v7, v15, v14
	v_fmac_f32_e32 v15, v16, v13
	s_delay_alu instid0(VALU_DEP_1) | instskip(NEXT) | instid1(VALU_DEP_1)
	v_fma_f32 v7, -v7, v15, v14
	v_div_fmas_f32 v7, v7, v13, v15
                                        ; implicit-def: $vgpr13
	s_delay_alu instid0(VALU_DEP_1)
	v_div_fixup_f32 v7, v7, v2, v3
                                        ; implicit-def: $vgpr2
	s_and_not1_saveexec_b32 s13, s13
	s_cbranch_execz .LBB174_148
	s_branch .LBB174_147
.LBB174_141:
	s_or_b32 exec_lo, exec_lo, s6
	s_and_saveexec_b32 s1, s0
	s_delay_alu instid0(SALU_CYCLE_1)
	s_xor_b32 s0, exec_lo, s1
	s_cbranch_execz .LBB174_173
.LBB174_142:
	v_mov_b32_e32 v2, 0
	s_delay_alu instid0(VALU_DEP_1) | instskip(NEXT) | instid1(VALU_DEP_1)
	v_lshlrev_b64 v[0:1], 3, v[1:2]
	v_add_co_u32 v2, vcc_lo, s4, v0
	s_delay_alu instid0(VALU_DEP_2) | instskip(SKIP_3) | instid1(SALU_CYCLE_1)
	v_add_co_ci_u32_e32 v3, vcc_lo, s5, v1, vcc_lo
	v_mov_b32_e32 v0, v12
	global_store_b64 v[2:3], v[4:5], off
	s_or_b32 exec_lo, exec_lo, s0
	s_mov_b32 s0, exec_lo
	v_cmpx_gt_i32_e64 s8, v0
	s_cbranch_execnz .LBB174_174
.LBB174_143:
	s_or_b32 exec_lo, exec_lo, s0
	s_delay_alu instid0(SALU_CYCLE_1)
	s_mov_b32 s0, exec_lo
	v_cmpx_gt_i32_e64 s8, v0
	s_cbranch_execz .LBB174_175
.LBB174_144:
	v_dual_mov_b32 v2, 0 :: v_dual_add_nc_u32 v1, s3, v0
	v_add_nc_u32_e32 v0, 0x100, v0
	s_delay_alu instid0(VALU_DEP_2) | instskip(NEXT) | instid1(VALU_DEP_1)
	v_lshlrev_b64 v[1:2], 3, v[1:2]
	v_add_co_u32 v1, vcc_lo, s4, v1
	s_delay_alu instid0(VALU_DEP_2) | instskip(SKIP_2) | instid1(SALU_CYCLE_1)
	v_add_co_ci_u32_e32 v2, vcc_lo, s5, v2, vcc_lo
	global_store_b64 v[1:2], v[10:11], off
	s_or_b32 exec_lo, exec_lo, s0
	s_mov_b32 s0, exec_lo
	v_cmpx_gt_i32_e64 s8, v0
	s_cbranch_execnz .LBB174_176
.LBB174_145:
	s_nop 0
	s_sendmsg sendmsg(MSG_DEALLOC_VGPRS)
	s_endpgm
.LBB174_146:
	s_and_not1_saveexec_b32 s13, s13
	s_cbranch_execz .LBB174_148
.LBB174_147:
	v_sub_f32_e32 v2, v13, v2
	s_delay_alu instid0(VALU_DEP_1) | instskip(NEXT) | instid1(VALU_DEP_1)
	v_mul_f32_e32 v2, 0.5, v2
	v_mul_f32_e32 v6, 0x4f800000, v2
	v_cmp_gt_f32_e32 vcc_lo, 0xf800000, v2
	s_delay_alu instid0(VALU_DEP_2) | instskip(NEXT) | instid1(VALU_DEP_1)
	v_cndmask_b32_e32 v2, v2, v6, vcc_lo
	v_sqrt_f32_e32 v6, v2
	s_waitcnt_depctr 0xfff
	v_add_nc_u32_e32 v7, -1, v6
	v_add_nc_u32_e32 v13, 1, v6
	s_delay_alu instid0(VALU_DEP_2) | instskip(NEXT) | instid1(VALU_DEP_2)
	v_fma_f32 v14, -v7, v6, v2
	v_fma_f32 v15, -v13, v6, v2
	s_delay_alu instid0(VALU_DEP_2) | instskip(NEXT) | instid1(VALU_DEP_1)
	v_cmp_ge_f32_e64 s2, 0, v14
	v_cndmask_b32_e64 v6, v6, v7, s2
	s_delay_alu instid0(VALU_DEP_3) | instskip(NEXT) | instid1(VALU_DEP_1)
	v_cmp_lt_f32_e64 s2, 0, v15
	v_cndmask_b32_e64 v6, v6, v13, s2
	s_delay_alu instid0(VALU_DEP_1) | instskip(NEXT) | instid1(VALU_DEP_1)
	v_mul_f32_e32 v7, 0x37800000, v6
	v_cndmask_b32_e32 v6, v6, v7, vcc_lo
	v_cmp_class_f32_e64 vcc_lo, v2, 0x260
	s_delay_alu instid0(VALU_DEP_2) | instskip(NEXT) | instid1(VALU_DEP_1)
	v_cndmask_b32_e32 v2, v6, v2, vcc_lo
	v_dual_add_f32 v7, v2, v2 :: v_dual_and_b32 v6, 0x7fffffff, v3
	s_delay_alu instid0(VALU_DEP_1) | instskip(SKIP_1) | instid1(VALU_DEP_2)
	v_div_scale_f32 v13, null, v7, v7, v6
	v_div_scale_f32 v6, vcc_lo, v6, v7, v6
	v_rcp_f32_e32 v14, v13
	s_waitcnt_depctr 0xfff
	v_fma_f32 v15, -v13, v14, 1.0
	s_delay_alu instid0(VALU_DEP_1) | instskip(NEXT) | instid1(VALU_DEP_1)
	v_fmac_f32_e32 v14, v15, v14
	v_mul_f32_e32 v15, v6, v14
	s_delay_alu instid0(VALU_DEP_1) | instskip(NEXT) | instid1(VALU_DEP_1)
	v_fma_f32 v16, -v13, v15, v6
	v_fmac_f32_e32 v15, v16, v14
	s_delay_alu instid0(VALU_DEP_1) | instskip(NEXT) | instid1(VALU_DEP_1)
	v_fma_f32 v6, -v13, v15, v6
	v_div_fmas_f32 v6, v6, v14, v15
	s_delay_alu instid0(VALU_DEP_1)
	v_div_fixup_f32 v6, v6, v7, |v3|
	v_bfi_b32 v7, 0x7fffffff, v2, v3
.LBB174_148:
	s_or_b32 exec_lo, exec_lo, s13
                                        ; implicit-def: $vgpr3
	s_and_saveexec_b32 s2, s1
	s_delay_alu instid0(SALU_CYCLE_1)
	s_xor_b32 s1, exec_lo, s2
	s_cbranch_execz .LBB174_150
; %bb.149:
	v_dual_mul_f32 v2, 0.5, v6 :: v_dual_mul_f32 v3, 0.5, v7
	s_delay_alu instid0(VALU_DEP_1) | instskip(NEXT) | instid1(VALU_DEP_2)
	v_cndmask_b32_e64 v2, v6, v2, s12
	v_cndmask_b32_e64 v3, v7, v3, s12
                                        ; implicit-def: $vgpr6
                                        ; implicit-def: $vgpr7
	s_and_not1_saveexec_b32 s1, s1
	s_cbranch_execnz .LBB174_151
	s_branch .LBB174_152
.LBB174_150:
	s_and_not1_saveexec_b32 s1, s1
.LBB174_151:
	v_dual_add_f32 v2, v6, v6 :: v_dual_add_f32 v3, v7, v7
.LBB174_152:
	s_or_b32 exec_lo, exec_lo, s1
.LBB174_153:
	s_and_not1_saveexec_b32 s1, s11
	s_cbranch_execz .LBB174_159
; %bb.154:
	s_delay_alu instid0(VALU_DEP_1)
	v_sub_f32_e32 v6, v3, v3
	s_mov_b32 s2, exec_lo
	v_cmpx_lt_i32_e32 -1, v2
	s_xor_b32 s2, exec_lo, s2
; %bb.155:
	s_delay_alu instid0(VALU_DEP_2)
	v_bfi_b32 v3, 0x7fffffff, v6, v3
                                        ; implicit-def: $vgpr6
; %bb.156:
	s_and_not1_saveexec_b32 s2, s2
; %bb.157:
	v_and_b32_e32 v6, 0x7fffffff, v6
	s_delay_alu instid0(VALU_DEP_2) | instskip(NEXT) | instid1(VALU_DEP_2)
	v_bfi_b32 v3, 0x7fffffff, v2, v3
	v_mov_b32_e32 v2, v6
; %bb.158:
	s_or_b32 exec_lo, exec_lo, s2
.LBB174_159:
	s_delay_alu instid0(SALU_CYCLE_1)
	s_or_b32 exec_lo, exec_lo, s1
.LBB174_160:
	s_and_not1_saveexec_b32 s1, s10
; %bb.161:
	v_sub_f32_e32 v3, v3, v3
	s_delay_alu instid0(VALU_DEP_1) | instskip(NEXT) | instid1(VALU_DEP_1)
	v_div_scale_f32 v6, vcc_lo, v3, v3, v3
	v_rcp_f32_e32 v7, v6
	s_waitcnt_depctr 0xfff
	v_fma_f32 v13, -v6, v7, 1.0
	s_delay_alu instid0(VALU_DEP_1) | instskip(NEXT) | instid1(VALU_DEP_1)
	v_fmac_f32_e32 v7, v13, v7
	v_mul_f32_e32 v13, v6, v7
	s_delay_alu instid0(VALU_DEP_1) | instskip(NEXT) | instid1(VALU_DEP_1)
	v_fma_f32 v14, -v6, v13, v6
	v_fmac_f32_e32 v13, v14, v7
	s_delay_alu instid0(VALU_DEP_1) | instskip(NEXT) | instid1(VALU_DEP_1)
	v_fma_f32 v6, -v6, v13, v6
	v_div_fmas_f32 v6, v6, v7, v13
	s_delay_alu instid0(VALU_DEP_1)
	v_div_fixup_f32 v3, v6, v3, v3
; %bb.162:
	s_or_b32 exec_lo, exec_lo, s1
	v_mov_b32_e32 v13, v2
.LBB174_163:
	s_or_b32 exec_lo, exec_lo, s9
.LBB174_164:
	s_delay_alu instid0(SALU_CYCLE_1) | instskip(NEXT) | instid1(VALU_DEP_1)
	s_or_b32 exec_lo, exec_lo, s7
	v_cmp_gt_f32_e32 vcc_lo, 0, v13
                                        ; implicit-def: $vgpr7
	s_mov_b32 s1, exec_lo
	v_cndmask_b32_e64 v2, v13, -v13, vcc_lo
	v_cmp_gt_f32_e32 vcc_lo, 0, v3
	v_cndmask_b32_e64 v14, v3, -v3, vcc_lo
	s_delay_alu instid0(VALU_DEP_1)
	v_cmpx_ge_f32_e32 v2, v14
	s_xor_b32 s2, exec_lo, s1
	s_cbranch_execz .LBB174_170
; %bb.165:
	v_cmp_neq_f32_e32 vcc_lo, 0, v13
	v_cmp_neq_f32_e64 s1, 0, v3
                                        ; implicit-def: $vgpr7
	s_delay_alu instid0(VALU_DEP_1) | instskip(NEXT) | instid1(SALU_CYCLE_1)
	s_or_b32 s1, vcc_lo, s1
	s_and_saveexec_b32 s7, s1
	s_delay_alu instid0(SALU_CYCLE_1)
	s_xor_b32 s1, exec_lo, s7
	s_cbranch_execz .LBB174_167
; %bb.166:
	v_div_scale_f32 v2, null, v13, v13, v3
	v_div_scale_f32 v14, vcc_lo, v3, v13, v3
	s_delay_alu instid0(VALU_DEP_2) | instskip(SKIP_2) | instid1(VALU_DEP_1)
	v_rcp_f32_e32 v6, v2
	s_waitcnt_depctr 0xfff
	v_fma_f32 v7, -v2, v6, 1.0
	v_fmac_f32_e32 v6, v7, v6
	s_delay_alu instid0(VALU_DEP_1) | instskip(NEXT) | instid1(VALU_DEP_1)
	v_mul_f32_e32 v7, v14, v6
	v_fma_f32 v15, -v2, v7, v14
	s_delay_alu instid0(VALU_DEP_1) | instskip(NEXT) | instid1(VALU_DEP_1)
	v_fmac_f32_e32 v7, v15, v6
	v_fma_f32 v2, -v2, v7, v14
	s_delay_alu instid0(VALU_DEP_1) | instskip(NEXT) | instid1(VALU_DEP_1)
	v_div_fmas_f32 v2, v2, v6, v7
	v_div_fixup_f32 v2, v2, v13, v3
	s_delay_alu instid0(VALU_DEP_1) | instskip(NEXT) | instid1(VALU_DEP_1)
	v_fmac_f32_e32 v13, v3, v2
	v_div_scale_f32 v3, null, v13, v13, 1.0
	v_div_scale_f32 v14, vcc_lo, 1.0, v13, 1.0
	s_delay_alu instid0(VALU_DEP_2) | instskip(SKIP_2) | instid1(VALU_DEP_1)
	v_rcp_f32_e32 v6, v3
	s_waitcnt_depctr 0xfff
	v_fma_f32 v7, -v3, v6, 1.0
	v_fmac_f32_e32 v6, v7, v6
	s_delay_alu instid0(VALU_DEP_1) | instskip(NEXT) | instid1(VALU_DEP_1)
	v_mul_f32_e32 v7, v14, v6
	v_fma_f32 v15, -v3, v7, v14
	s_delay_alu instid0(VALU_DEP_1) | instskip(NEXT) | instid1(VALU_DEP_1)
	v_fmac_f32_e32 v7, v15, v6
	v_fma_f32 v3, -v3, v7, v14
                                        ; implicit-def: $vgpr14
	s_delay_alu instid0(VALU_DEP_1) | instskip(SKIP_1) | instid1(VALU_DEP_2)
	v_div_fmas_f32 v3, v3, v6, v7
	v_fma_f32 v6, v2, 0, 1.0
	v_div_fixup_f32 v3, v3, v13, 1.0
	s_delay_alu instid0(VALU_DEP_1)
	v_mul_f32_e32 v6, v6, v3
	v_mul_f32_e64 v7, -v2, v3
                                        ; implicit-def: $vgpr2
.LBB174_167:
	s_and_not1_saveexec_b32 s7, s1
	s_cbranch_execz .LBB174_169
; %bb.168:
	v_div_scale_f32 v3, null, v2, v2, 1.0
	v_div_scale_f32 v6, null, v14, v14, 0
	v_div_scale_f32 v17, vcc_lo, 1.0, v2, 1.0
	s_delay_alu instid0(VALU_DEP_3) | instskip(NEXT) | instid1(VALU_DEP_2)
	v_rcp_f32_e32 v7, v3
	v_rcp_f32_e32 v13, v6
	s_waitcnt_depctr 0xfff
	v_fma_f32 v15, -v3, v7, 1.0
	v_fma_f32 v16, -v6, v13, 1.0
	s_delay_alu instid0(VALU_DEP_1) | instskip(NEXT) | instid1(VALU_DEP_3)
	v_fmac_f32_e32 v13, v16, v13
	v_fmac_f32_e32 v7, v15, v7
	v_div_scale_f32 v15, s1, 0, v14, 0
	s_delay_alu instid0(VALU_DEP_1) | instskip(NEXT) | instid1(VALU_DEP_1)
	v_mul_f32_e32 v18, v15, v13
	v_fma_f32 v20, -v6, v18, v15
	s_delay_alu instid0(VALU_DEP_1) | instskip(SKIP_1) | instid1(VALU_DEP_2)
	v_fmac_f32_e32 v18, v20, v13
	v_mul_f32_e32 v16, v17, v7
	v_fma_f32 v6, -v6, v18, v15
	s_delay_alu instid0(VALU_DEP_2) | instskip(NEXT) | instid1(VALU_DEP_1)
	v_fma_f32 v19, -v3, v16, v17
	v_fmac_f32_e32 v16, v19, v7
	s_delay_alu instid0(VALU_DEP_1) | instskip(NEXT) | instid1(VALU_DEP_1)
	v_fma_f32 v3, -v3, v16, v17
	v_div_fmas_f32 v3, v3, v7, v16
	s_mov_b32 vcc_lo, s1
	v_div_fmas_f32 v7, v6, v13, v18
	s_delay_alu instid0(VALU_DEP_2) | instskip(NEXT) | instid1(VALU_DEP_2)
	v_div_fixup_f32 v6, v3, v2, 1.0
	v_div_fixup_f32 v7, v7, v14, 0
.LBB174_169:
	s_or_b32 exec_lo, exec_lo, s7
                                        ; implicit-def: $vgpr3
                                        ; implicit-def: $vgpr13
.LBB174_170:
	s_and_not1_saveexec_b32 s1, s2
	s_cbranch_execz .LBB174_172
; %bb.171:
	v_div_scale_f32 v2, null, v3, v3, v13
	v_div_scale_f32 v14, vcc_lo, v13, v3, v13
	s_delay_alu instid0(VALU_DEP_2) | instskip(SKIP_2) | instid1(VALU_DEP_1)
	v_rcp_f32_e32 v6, v2
	s_waitcnt_depctr 0xfff
	v_fma_f32 v7, -v2, v6, 1.0
	v_fmac_f32_e32 v6, v7, v6
	s_delay_alu instid0(VALU_DEP_1) | instskip(NEXT) | instid1(VALU_DEP_1)
	v_mul_f32_e32 v7, v14, v6
	v_fma_f32 v15, -v2, v7, v14
	s_delay_alu instid0(VALU_DEP_1) | instskip(NEXT) | instid1(VALU_DEP_1)
	v_fmac_f32_e32 v7, v15, v6
	v_fma_f32 v2, -v2, v7, v14
	s_delay_alu instid0(VALU_DEP_1) | instskip(NEXT) | instid1(VALU_DEP_1)
	v_div_fmas_f32 v2, v2, v6, v7
	v_div_fixup_f32 v2, v2, v3, v13
	s_delay_alu instid0(VALU_DEP_1) | instskip(NEXT) | instid1(VALU_DEP_1)
	v_fmac_f32_e32 v3, v13, v2
	v_div_scale_f32 v6, null, v3, v3, 1.0
	v_div_scale_f32 v14, vcc_lo, 1.0, v3, 1.0
	s_delay_alu instid0(VALU_DEP_2) | instskip(SKIP_2) | instid1(VALU_DEP_1)
	v_rcp_f32_e32 v7, v6
	s_waitcnt_depctr 0xfff
	v_fma_f32 v13, -v6, v7, 1.0
	v_fmac_f32_e32 v7, v13, v7
	s_delay_alu instid0(VALU_DEP_1) | instskip(NEXT) | instid1(VALU_DEP_1)
	v_mul_f32_e32 v13, v14, v7
	v_fma_f32 v15, -v6, v13, v14
	s_delay_alu instid0(VALU_DEP_1) | instskip(NEXT) | instid1(VALU_DEP_1)
	v_fmac_f32_e32 v13, v15, v7
	v_fma_f32 v6, -v6, v13, v14
	s_delay_alu instid0(VALU_DEP_1) | instskip(SKIP_2) | instid1(VALU_DEP_3)
	v_div_fmas_f32 v6, v6, v7, v13
	v_add_f32_e32 v7, 0, v2
	v_fma_f32 v2, v2, 0, -1.0
	v_div_fixup_f32 v3, v6, v3, 1.0
	s_delay_alu instid0(VALU_DEP_1) | instskip(NEXT) | instid1(VALU_DEP_3)
	v_mul_f32_e32 v6, v7, v3
	v_mul_f32_e32 v7, v2, v3
.LBB174_172:
	s_or_b32 exec_lo, exec_lo, s1
	s_delay_alu instid0(SALU_CYCLE_1) | instskip(SKIP_1) | instid1(SALU_CYCLE_1)
	s_or_b32 exec_lo, exec_lo, s6
	s_and_saveexec_b32 s1, s0
	s_xor_b32 s0, exec_lo, s1
	s_cbranch_execnz .LBB174_142
.LBB174_173:
	s_or_b32 exec_lo, exec_lo, s0
	s_delay_alu instid0(SALU_CYCLE_1)
	s_mov_b32 s0, exec_lo
	v_cmpx_gt_i32_e64 s8, v0
	s_cbranch_execz .LBB174_143
.LBB174_174:
	v_dual_mov_b32 v2, 0 :: v_dual_add_nc_u32 v1, s3, v0
	v_add_nc_u32_e32 v0, 0x100, v0
	s_delay_alu instid0(VALU_DEP_2) | instskip(NEXT) | instid1(VALU_DEP_1)
	v_lshlrev_b64 v[1:2], 3, v[1:2]
	v_add_co_u32 v1, vcc_lo, s4, v1
	s_delay_alu instid0(VALU_DEP_2) | instskip(SKIP_2) | instid1(SALU_CYCLE_1)
	v_add_co_ci_u32_e32 v2, vcc_lo, s5, v2, vcc_lo
	global_store_b64 v[1:2], v[8:9], off
	s_or_b32 exec_lo, exec_lo, s0
	s_mov_b32 s0, exec_lo
	v_cmpx_gt_i32_e64 s8, v0
	s_cbranch_execnz .LBB174_144
.LBB174_175:
	s_or_b32 exec_lo, exec_lo, s0
	s_delay_alu instid0(SALU_CYCLE_1)
	s_mov_b32 s0, exec_lo
	v_cmpx_gt_i32_e64 s8, v0
	s_cbranch_execz .LBB174_145
.LBB174_176:
	v_dual_mov_b32 v1, 0 :: v_dual_add_nc_u32 v0, s3, v0
	s_delay_alu instid0(VALU_DEP_1) | instskip(NEXT) | instid1(VALU_DEP_1)
	v_lshlrev_b64 v[0:1], 3, v[0:1]
	v_add_co_u32 v0, vcc_lo, s4, v0
	s_delay_alu instid0(VALU_DEP_2)
	v_add_co_ci_u32_e32 v1, vcc_lo, s5, v1, vcc_lo
	global_store_b64 v[0:1], v[6:7], off
	s_nop 0
	s_sendmsg sendmsg(MSG_DEALLOC_VGPRS)
	s_endpgm
	.section	.rodata,"a",@progbits
	.p2align	6, 0x0
	.amdhsa_kernel _ZN2at6native27unrolled_elementwise_kernelIZZZNS0_17rsqrt_kernel_cudaERNS_18TensorIteratorBaseEENKUlvE_clEvENKUlvE0_clEvEUlN3c107complexIfEEE_St5arrayIPcLm2EELi4E23TrivialOffsetCalculatorILi1EjESE_NS0_6memory15LoadWithoutCastENSF_16StoreWithoutCastEEEviT_T0_T2_T3_T4_T5_
		.amdhsa_group_segment_fixed_size 0
		.amdhsa_private_segment_fixed_size 0
		.amdhsa_kernarg_size 28
		.amdhsa_user_sgpr_count 15
		.amdhsa_user_sgpr_dispatch_ptr 0
		.amdhsa_user_sgpr_queue_ptr 0
		.amdhsa_user_sgpr_kernarg_segment_ptr 1
		.amdhsa_user_sgpr_dispatch_id 0
		.amdhsa_user_sgpr_private_segment_size 0
		.amdhsa_wavefront_size32 1
		.amdhsa_uses_dynamic_stack 0
		.amdhsa_enable_private_segment 0
		.amdhsa_system_sgpr_workgroup_id_x 1
		.amdhsa_system_sgpr_workgroup_id_y 0
		.amdhsa_system_sgpr_workgroup_id_z 0
		.amdhsa_system_sgpr_workgroup_info 0
		.amdhsa_system_vgpr_workitem_id 0
		.amdhsa_next_free_vgpr 21
		.amdhsa_next_free_sgpr 16
		.amdhsa_reserve_vcc 1
		.amdhsa_float_round_mode_32 0
		.amdhsa_float_round_mode_16_64 0
		.amdhsa_float_denorm_mode_32 3
		.amdhsa_float_denorm_mode_16_64 3
		.amdhsa_dx10_clamp 1
		.amdhsa_ieee_mode 1
		.amdhsa_fp16_overflow 0
		.amdhsa_workgroup_processor_mode 1
		.amdhsa_memory_ordered 1
		.amdhsa_forward_progress 0
		.amdhsa_shared_vgpr_count 0
		.amdhsa_exception_fp_ieee_invalid_op 0
		.amdhsa_exception_fp_denorm_src 0
		.amdhsa_exception_fp_ieee_div_zero 0
		.amdhsa_exception_fp_ieee_overflow 0
		.amdhsa_exception_fp_ieee_underflow 0
		.amdhsa_exception_fp_ieee_inexact 0
		.amdhsa_exception_int_div_zero 0
	.end_amdhsa_kernel
	.section	.text._ZN2at6native27unrolled_elementwise_kernelIZZZNS0_17rsqrt_kernel_cudaERNS_18TensorIteratorBaseEENKUlvE_clEvENKUlvE0_clEvEUlN3c107complexIfEEE_St5arrayIPcLm2EELi4E23TrivialOffsetCalculatorILi1EjESE_NS0_6memory15LoadWithoutCastENSF_16StoreWithoutCastEEEviT_T0_T2_T3_T4_T5_,"axG",@progbits,_ZN2at6native27unrolled_elementwise_kernelIZZZNS0_17rsqrt_kernel_cudaERNS_18TensorIteratorBaseEENKUlvE_clEvENKUlvE0_clEvEUlN3c107complexIfEEE_St5arrayIPcLm2EELi4E23TrivialOffsetCalculatorILi1EjESE_NS0_6memory15LoadWithoutCastENSF_16StoreWithoutCastEEEviT_T0_T2_T3_T4_T5_,comdat
.Lfunc_end174:
	.size	_ZN2at6native27unrolled_elementwise_kernelIZZZNS0_17rsqrt_kernel_cudaERNS_18TensorIteratorBaseEENKUlvE_clEvENKUlvE0_clEvEUlN3c107complexIfEEE_St5arrayIPcLm2EELi4E23TrivialOffsetCalculatorILi1EjESE_NS0_6memory15LoadWithoutCastENSF_16StoreWithoutCastEEEviT_T0_T2_T3_T4_T5_, .Lfunc_end174-_ZN2at6native27unrolled_elementwise_kernelIZZZNS0_17rsqrt_kernel_cudaERNS_18TensorIteratorBaseEENKUlvE_clEvENKUlvE0_clEvEUlN3c107complexIfEEE_St5arrayIPcLm2EELi4E23TrivialOffsetCalculatorILi1EjESE_NS0_6memory15LoadWithoutCastENSF_16StoreWithoutCastEEEviT_T0_T2_T3_T4_T5_
                                        ; -- End function
	.section	.AMDGPU.csdata,"",@progbits
; Kernel info:
; codeLenInByte = 8512
; NumSgprs: 18
; NumVgprs: 21
; ScratchSize: 0
; MemoryBound: 0
; FloatMode: 240
; IeeeMode: 1
; LDSByteSize: 0 bytes/workgroup (compile time only)
; SGPRBlocks: 2
; VGPRBlocks: 2
; NumSGPRsForWavesPerEU: 18
; NumVGPRsForWavesPerEU: 21
; Occupancy: 16
; WaveLimiterHint : 0
; COMPUTE_PGM_RSRC2:SCRATCH_EN: 0
; COMPUTE_PGM_RSRC2:USER_SGPR: 15
; COMPUTE_PGM_RSRC2:TRAP_HANDLER: 0
; COMPUTE_PGM_RSRC2:TGID_X_EN: 1
; COMPUTE_PGM_RSRC2:TGID_Y_EN: 0
; COMPUTE_PGM_RSRC2:TGID_Z_EN: 0
; COMPUTE_PGM_RSRC2:TIDIG_COMP_CNT: 0
	.section	.text._ZN2at6native32elementwise_kernel_manual_unrollILi128ELi4EZNS0_22gpu_kernel_impl_nocastIZZZNS0_17rsqrt_kernel_cudaERNS_18TensorIteratorBaseEENKUlvE_clEvENKUlvE0_clEvEUlN3c107complexIfEEE_EEvS4_RKT_EUlibE_EEviT1_,"axG",@progbits,_ZN2at6native32elementwise_kernel_manual_unrollILi128ELi4EZNS0_22gpu_kernel_impl_nocastIZZZNS0_17rsqrt_kernel_cudaERNS_18TensorIteratorBaseEENKUlvE_clEvENKUlvE0_clEvEUlN3c107complexIfEEE_EEvS4_RKT_EUlibE_EEviT1_,comdat
	.globl	_ZN2at6native32elementwise_kernel_manual_unrollILi128ELi4EZNS0_22gpu_kernel_impl_nocastIZZZNS0_17rsqrt_kernel_cudaERNS_18TensorIteratorBaseEENKUlvE_clEvENKUlvE0_clEvEUlN3c107complexIfEEE_EEvS4_RKT_EUlibE_EEviT1_ ; -- Begin function _ZN2at6native32elementwise_kernel_manual_unrollILi128ELi4EZNS0_22gpu_kernel_impl_nocastIZZZNS0_17rsqrt_kernel_cudaERNS_18TensorIteratorBaseEENKUlvE_clEvENKUlvE0_clEvEUlN3c107complexIfEEE_EEvS4_RKT_EUlibE_EEviT1_
	.p2align	8
	.type	_ZN2at6native32elementwise_kernel_manual_unrollILi128ELi4EZNS0_22gpu_kernel_impl_nocastIZZZNS0_17rsqrt_kernel_cudaERNS_18TensorIteratorBaseEENKUlvE_clEvENKUlvE0_clEvEUlN3c107complexIfEEE_EEvS4_RKT_EUlibE_EEviT1_,@function
_ZN2at6native32elementwise_kernel_manual_unrollILi128ELi4EZNS0_22gpu_kernel_impl_nocastIZZZNS0_17rsqrt_kernel_cudaERNS_18TensorIteratorBaseEENKUlvE_clEvENKUlvE0_clEvEUlN3c107complexIfEEE_EEvS4_RKT_EUlibE_EEviT1_: ; @_ZN2at6native32elementwise_kernel_manual_unrollILi128ELi4EZNS0_22gpu_kernel_impl_nocastIZZZNS0_17rsqrt_kernel_cudaERNS_18TensorIteratorBaseEENKUlvE_clEvENKUlvE0_clEvEUlN3c107complexIfEEE_EEvS4_RKT_EUlibE_EEviT1_
; %bb.0:
	s_clause 0x1
	s_load_b32 s22, s[0:1], 0x8
	s_load_b32 s27, s[0:1], 0x0
	v_lshl_or_b32 v6, s15, 9, v0
	s_or_b32 s0, s0, 8
	s_mov_b32 s8, 0
                                        ; implicit-def: $vgpr4
                                        ; implicit-def: $vgpr12_vgpr13
	s_mov_b32 s2, exec_lo
	s_delay_alu instid0(VALU_DEP_1) | instskip(SKIP_2) | instid1(SALU_CYCLE_1)
	v_or_b32_e32 v9, 0x180, v6
	s_waitcnt lgkmcnt(0)
	s_add_i32 s23, s22, -1
	s_cmp_gt_u32 s23, 1
	s_cselect_b32 s24, -1, 0
	v_cmpx_le_i32_e64 s27, v9
	s_xor_b32 s25, exec_lo, s2
	s_cbranch_execz .LBB175_7
; %bb.1:
	s_clause 0x3
	s_load_b128 s[12:15], s[0:1], 0x4
	s_load_b64 s[16:17], s[0:1], 0x14
	s_load_b128 s[8:11], s[0:1], 0xc4
	s_load_b128 s[4:7], s[0:1], 0x148
	s_cmp_lg_u32 s22, 0
	s_mov_b32 s30, exec_lo
	s_cselect_b32 s29, -1, 0
	s_add_u32 s18, s0, 0xc4
	s_addc_u32 s19, s1, 0
	s_min_u32 s28, s23, 15
	s_cmp_gt_u32 s22, 1
	s_cselect_b32 s26, -1, 0
	v_cmpx_gt_i32_e64 s27, v6
	s_cbranch_execz .LBB175_14
; %bb.2:
	s_and_not1_b32 vcc_lo, exec_lo, s24
	s_cbranch_vccnz .LBB175_21
; %bb.3:
	v_dual_mov_b32 v0, 0 :: v_dual_mov_b32 v1, 0
	s_and_not1_b32 vcc_lo, exec_lo, s29
	s_mov_b32 s31, 0
	s_cbranch_vccnz .LBB175_84
; %bb.4:
	v_mov_b32_e32 v0, 0
	s_add_i32 s34, s28, 1
	s_cmp_eq_u32 s23, 2
	s_mov_b32 s33, 0
	s_cbranch_scc1 .LBB175_80
; %bb.5:
	v_dual_mov_b32 v1, 0 :: v_dual_mov_b32 v0, 0
	v_mov_b32_e32 v2, v6
	s_and_b32 s33, s34, 28
	s_mov_b32 s35, 0
	s_mov_b64 s[2:3], s[18:19]
	s_mov_b64 s[20:21], s[0:1]
.LBB175_6:                              ; =>This Inner Loop Header: Depth=1
	s_clause 0x1
	s_load_b256 s[36:43], s[20:21], 0x4
	s_load_b128 s[52:55], s[20:21], 0x24
	s_load_b256 s[44:51], s[2:3], 0x0
	s_add_u32 s20, s20, 48
	s_addc_u32 s21, s21, 0
	s_add_i32 s35, s35, 4
	s_add_u32 s2, s2, 32
	s_addc_u32 s3, s3, 0
	s_cmp_lg_u32 s33, s35
	s_waitcnt lgkmcnt(0)
	v_mul_hi_u32 v3, s37, v2
	s_delay_alu instid0(VALU_DEP_1) | instskip(NEXT) | instid1(VALU_DEP_1)
	v_add_nc_u32_e32 v3, v2, v3
	v_lshrrev_b32_e32 v3, s38, v3
	s_delay_alu instid0(VALU_DEP_1) | instskip(SKIP_1) | instid1(VALU_DEP_2)
	v_mul_hi_u32 v4, s40, v3
	v_mul_lo_u32 v7, v3, s36
	v_add_nc_u32_e32 v4, v3, v4
	s_delay_alu instid0(VALU_DEP_2) | instskip(NEXT) | instid1(VALU_DEP_2)
	v_sub_nc_u32_e32 v2, v2, v7
	v_lshrrev_b32_e32 v4, s41, v4
	s_delay_alu instid0(VALU_DEP_2) | instskip(SKIP_1) | instid1(VALU_DEP_3)
	v_mul_lo_u32 v7, v2, s44
	v_mul_lo_u32 v9, v2, s45
	v_mul_hi_u32 v5, s43, v4
	s_delay_alu instid0(VALU_DEP_1) | instskip(NEXT) | instid1(VALU_DEP_1)
	v_add_nc_u32_e32 v5, v4, v5
	v_lshrrev_b32_e32 v5, s52, v5
	s_delay_alu instid0(VALU_DEP_1) | instskip(SKIP_1) | instid1(VALU_DEP_2)
	v_mul_hi_u32 v8, s54, v5
	v_mul_lo_u32 v10, v5, s42
	v_add_nc_u32_e32 v2, v5, v8
	v_mul_lo_u32 v8, v4, s39
	s_delay_alu instid0(VALU_DEP_3) | instskip(NEXT) | instid1(VALU_DEP_3)
	v_sub_nc_u32_e32 v4, v4, v10
	v_lshrrev_b32_e32 v2, s55, v2
	s_delay_alu instid0(VALU_DEP_2) | instskip(SKIP_2) | instid1(VALU_DEP_4)
	v_mul_lo_u32 v10, v4, s48
	v_mul_lo_u32 v4, v4, s49
	v_sub_nc_u32_e32 v3, v3, v8
	v_mul_lo_u32 v11, v2, s53
	s_delay_alu instid0(VALU_DEP_2) | instskip(SKIP_1) | instid1(VALU_DEP_3)
	v_mul_lo_u32 v8, v3, s46
	v_mul_lo_u32 v3, v3, s47
	v_sub_nc_u32_e32 v5, v5, v11
	s_delay_alu instid0(VALU_DEP_3) | instskip(NEXT) | instid1(VALU_DEP_2)
	v_add3_u32 v0, v7, v0, v8
	v_mul_lo_u32 v11, v5, s50
	v_mul_lo_u32 v5, v5, s51
	v_add3_u32 v1, v9, v1, v3
	s_delay_alu instid0(VALU_DEP_3) | instskip(NEXT) | instid1(VALU_DEP_2)
	v_add3_u32 v0, v10, v0, v11
	v_add3_u32 v1, v4, v1, v5
	s_cbranch_scc1 .LBB175_6
	s_branch .LBB175_81
.LBB175_7:
	s_and_not1_saveexec_b32 s9, s25
	s_cbranch_execz .LBB175_421
.LBB175_8:
	v_cndmask_b32_e64 v3, 0, 1, s24
	s_and_not1_b32 vcc_lo, exec_lo, s24
	s_cbranch_vccnz .LBB175_20
; %bb.9:
	v_dual_mov_b32 v0, 0 :: v_dual_mov_b32 v5, 0
	s_cmp_lg_u32 s22, 0
	s_mov_b32 s6, 0
	s_cbranch_scc0 .LBB175_26
; %bb.10:
	s_min_u32 s7, s23, 15
	v_mov_b32_e32 v0, 0
	s_add_i32 s7, s7, 1
	s_cmp_eq_u32 s23, 2
	s_mov_b32 s10, 0
	s_cbranch_scc1 .LBB175_23
; %bb.11:
	v_dual_mov_b32 v5, 0 :: v_dual_mov_b32 v0, 0
	v_mov_b32_e32 v1, v6
	s_add_u32 s2, s0, 0xc4
	s_addc_u32 s3, s1, 0
	s_and_b32 s10, s7, 28
	s_mov_b32 s11, 0
	s_mov_b64 s[4:5], s[0:1]
.LBB175_12:                             ; =>This Inner Loop Header: Depth=1
	s_clause 0x1
	s_load_b256 s[12:19], s[4:5], 0x4
	s_load_b128 s[36:39], s[4:5], 0x24
	s_load_b256 s[24:31], s[2:3], 0x0
	s_add_u32 s4, s4, 48
	s_addc_u32 s5, s5, 0
	s_add_i32 s11, s11, 4
	s_add_u32 s2, s2, 32
	s_addc_u32 s3, s3, 0
	s_cmp_lg_u32 s10, s11
	s_waitcnt lgkmcnt(0)
	v_mul_hi_u32 v2, s13, v1
	s_delay_alu instid0(VALU_DEP_1) | instskip(NEXT) | instid1(VALU_DEP_1)
	v_add_nc_u32_e32 v2, v1, v2
	v_lshrrev_b32_e32 v2, s14, v2
	s_delay_alu instid0(VALU_DEP_1) | instskip(SKIP_1) | instid1(VALU_DEP_2)
	v_mul_hi_u32 v4, s16, v2
	v_mul_lo_u32 v8, v2, s12
	v_add_nc_u32_e32 v4, v2, v4
	s_delay_alu instid0(VALU_DEP_2) | instskip(NEXT) | instid1(VALU_DEP_2)
	v_sub_nc_u32_e32 v1, v1, v8
	v_lshrrev_b32_e32 v4, s17, v4
	s_delay_alu instid0(VALU_DEP_2) | instskip(SKIP_1) | instid1(VALU_DEP_3)
	v_mul_lo_u32 v8, v1, s24
	v_mul_lo_u32 v11, v1, s25
	v_mul_hi_u32 v7, s19, v4
	s_delay_alu instid0(VALU_DEP_1) | instskip(NEXT) | instid1(VALU_DEP_1)
	v_add_nc_u32_e32 v7, v4, v7
	v_lshrrev_b32_e32 v7, s36, v7
	s_delay_alu instid0(VALU_DEP_1) | instskip(SKIP_1) | instid1(VALU_DEP_2)
	v_mul_hi_u32 v10, s38, v7
	v_mul_lo_u32 v12, v7, s18
	v_add_nc_u32_e32 v1, v7, v10
	v_mul_lo_u32 v10, v4, s15
	s_delay_alu instid0(VALU_DEP_3) | instskip(NEXT) | instid1(VALU_DEP_3)
	v_sub_nc_u32_e32 v4, v4, v12
	v_lshrrev_b32_e32 v1, s39, v1
	s_delay_alu instid0(VALU_DEP_2) | instskip(SKIP_2) | instid1(VALU_DEP_4)
	v_mul_lo_u32 v12, v4, s28
	v_mul_lo_u32 v4, v4, s29
	v_sub_nc_u32_e32 v2, v2, v10
	v_mul_lo_u32 v13, v1, s37
	s_delay_alu instid0(VALU_DEP_2) | instskip(SKIP_1) | instid1(VALU_DEP_3)
	v_mul_lo_u32 v10, v2, s26
	v_mul_lo_u32 v2, v2, s27
	v_sub_nc_u32_e32 v7, v7, v13
	s_delay_alu instid0(VALU_DEP_3) | instskip(NEXT) | instid1(VALU_DEP_2)
	v_add3_u32 v0, v8, v0, v10
	v_mul_lo_u32 v13, v7, s30
	v_mul_lo_u32 v7, v7, s31
	v_add3_u32 v2, v11, v5, v2
	s_delay_alu instid0(VALU_DEP_3) | instskip(NEXT) | instid1(VALU_DEP_2)
	v_add3_u32 v0, v12, v0, v13
	v_add3_u32 v5, v4, v2, v7
	s_cbranch_scc1 .LBB175_12
; %bb.13:
	s_and_b32 s7, s7, 3
	s_delay_alu instid0(SALU_CYCLE_1)
	s_cmp_eq_u32 s7, 0
	s_cbranch_scc0 .LBB175_24
	s_branch .LBB175_26
.LBB175_14:
	s_or_b32 exec_lo, exec_lo, s30
	s_delay_alu instid0(SALU_CYCLE_1)
	s_mov_b32 s30, exec_lo
	v_cmpx_gt_i32_e64 s27, v6
	s_cbranch_execz .LBB175_291
.LBB175_15:
	s_and_not1_b32 vcc_lo, exec_lo, s24
	s_cbranch_vccnz .LBB175_22
; %bb.16:
	v_dual_mov_b32 v0, 0 :: v_dual_mov_b32 v1, 0
	s_and_not1_b32 vcc_lo, exec_lo, s29
	s_mov_b32 s31, 0
	s_cbranch_vccnz .LBB175_103
; %bb.17:
	v_mov_b32_e32 v0, 0
	s_add_i32 s34, s28, 1
	s_cmp_eq_u32 s23, 2
	s_mov_b32 s33, 0
	s_cbranch_scc1 .LBB175_99
; %bb.18:
	v_dual_mov_b32 v1, 0 :: v_dual_mov_b32 v0, 0
	v_mov_b32_e32 v2, v6
	s_and_b32 s33, s34, 28
	s_mov_b32 s35, 0
	s_mov_b64 s[2:3], s[18:19]
	s_mov_b64 s[20:21], s[0:1]
.LBB175_19:                             ; =>This Inner Loop Header: Depth=1
	s_clause 0x1
	s_load_b256 s[36:43], s[20:21], 0x4
	s_load_b128 s[52:55], s[20:21], 0x24
	s_load_b256 s[44:51], s[2:3], 0x0
	s_add_u32 s20, s20, 48
	s_addc_u32 s21, s21, 0
	s_add_i32 s35, s35, 4
	s_add_u32 s2, s2, 32
	s_addc_u32 s3, s3, 0
	s_cmp_eq_u32 s33, s35
	s_waitcnt lgkmcnt(0)
	v_mul_hi_u32 v3, s37, v2
	s_delay_alu instid0(VALU_DEP_1) | instskip(NEXT) | instid1(VALU_DEP_1)
	v_add_nc_u32_e32 v3, v2, v3
	v_lshrrev_b32_e32 v3, s38, v3
	s_delay_alu instid0(VALU_DEP_1) | instskip(SKIP_1) | instid1(VALU_DEP_2)
	v_mul_hi_u32 v4, s40, v3
	v_mul_lo_u32 v7, v3, s36
	v_add_nc_u32_e32 v4, v3, v4
	s_delay_alu instid0(VALU_DEP_2) | instskip(NEXT) | instid1(VALU_DEP_2)
	v_sub_nc_u32_e32 v2, v2, v7
	v_lshrrev_b32_e32 v4, s41, v4
	s_delay_alu instid0(VALU_DEP_2) | instskip(SKIP_1) | instid1(VALU_DEP_3)
	v_mul_lo_u32 v7, v2, s44
	v_mul_lo_u32 v9, v2, s45
	v_mul_hi_u32 v5, s43, v4
	s_delay_alu instid0(VALU_DEP_1) | instskip(NEXT) | instid1(VALU_DEP_1)
	v_add_nc_u32_e32 v5, v4, v5
	v_lshrrev_b32_e32 v5, s52, v5
	s_delay_alu instid0(VALU_DEP_1) | instskip(SKIP_1) | instid1(VALU_DEP_2)
	v_mul_hi_u32 v8, s54, v5
	v_mul_lo_u32 v10, v5, s42
	v_add_nc_u32_e32 v2, v5, v8
	v_mul_lo_u32 v8, v4, s39
	s_delay_alu instid0(VALU_DEP_3) | instskip(NEXT) | instid1(VALU_DEP_3)
	v_sub_nc_u32_e32 v4, v4, v10
	v_lshrrev_b32_e32 v2, s55, v2
	s_delay_alu instid0(VALU_DEP_2) | instskip(SKIP_2) | instid1(VALU_DEP_4)
	v_mul_lo_u32 v10, v4, s48
	v_mul_lo_u32 v4, v4, s49
	v_sub_nc_u32_e32 v3, v3, v8
	v_mul_lo_u32 v11, v2, s53
	s_delay_alu instid0(VALU_DEP_2) | instskip(SKIP_1) | instid1(VALU_DEP_3)
	v_mul_lo_u32 v8, v3, s46
	v_mul_lo_u32 v3, v3, s47
	v_sub_nc_u32_e32 v5, v5, v11
	s_delay_alu instid0(VALU_DEP_3) | instskip(NEXT) | instid1(VALU_DEP_2)
	v_add3_u32 v0, v7, v0, v8
	v_mul_lo_u32 v11, v5, s50
	v_mul_lo_u32 v5, v5, s51
	v_add3_u32 v1, v9, v1, v3
	s_delay_alu instid0(VALU_DEP_3) | instskip(NEXT) | instid1(VALU_DEP_2)
	v_add3_u32 v0, v10, v0, v11
	v_add3_u32 v1, v4, v1, v5
	s_cbranch_scc0 .LBB175_19
	s_branch .LBB175_100
.LBB175_20:
	s_mov_b32 s6, -1
                                        ; implicit-def: $vgpr0
                                        ; implicit-def: $vgpr5
	s_branch .LBB175_26
.LBB175_21:
	s_mov_b32 s31, -1
                                        ; implicit-def: $vgpr0
                                        ; implicit-def: $vgpr1
	s_branch .LBB175_84
.LBB175_22:
	s_mov_b32 s31, -1
                                        ; implicit-def: $vgpr0
                                        ; implicit-def: $vgpr1
	s_branch .LBB175_103
.LBB175_23:
	v_mov_b32_e32 v1, v6
	v_mov_b32_e32 v5, 0
	s_and_b32 s7, s7, 3
	s_delay_alu instid0(SALU_CYCLE_1)
	s_cmp_eq_u32 s7, 0
	s_cbranch_scc1 .LBB175_26
.LBB175_24:
	s_lshl_b32 s2, s10, 3
	s_mul_i32 s4, s10, 12
	s_add_u32 s2, s2, s0
	s_addc_u32 s3, 0, s1
	s_add_u32 s2, s2, 0xc4
	s_addc_u32 s3, s3, 0
	;; [unrolled: 2-line block ×3, first 2 shown]
	.p2align	6
.LBB175_25:                             ; =>This Inner Loop Header: Depth=1
	s_clause 0x1
	s_load_b64 s[10:11], s[4:5], 0x4
	s_load_b32 s14, s[4:5], 0xc
	s_load_b64 s[12:13], s[2:3], 0x0
	s_add_u32 s4, s4, 12
	s_addc_u32 s5, s5, 0
	s_add_u32 s2, s2, 8
	s_addc_u32 s3, s3, 0
	s_add_i32 s7, s7, -1
	s_delay_alu instid0(SALU_CYCLE_1) | instskip(SKIP_2) | instid1(VALU_DEP_1)
	s_cmp_lg_u32 s7, 0
	s_waitcnt lgkmcnt(0)
	v_mul_hi_u32 v2, s11, v1
	v_add_nc_u32_e32 v2, v1, v2
	s_delay_alu instid0(VALU_DEP_1) | instskip(NEXT) | instid1(VALU_DEP_1)
	v_lshrrev_b32_e32 v2, s14, v2
	v_mul_lo_u32 v4, v2, s10
	s_delay_alu instid0(VALU_DEP_1) | instskip(NEXT) | instid1(VALU_DEP_1)
	v_sub_nc_u32_e32 v1, v1, v4
	v_mad_u64_u32 v[7:8], null, v1, s12, v[0:1]
	v_mad_u64_u32 v[10:11], null, v1, s13, v[5:6]
	s_delay_alu instid0(VALU_DEP_2) | instskip(NEXT) | instid1(VALU_DEP_2)
	v_dual_mov_b32 v1, v2 :: v_dual_mov_b32 v0, v7
	v_mov_b32_e32 v5, v10
	s_cbranch_scc1 .LBB175_25
.LBB175_26:
	s_and_not1_b32 vcc_lo, exec_lo, s6
	s_cbranch_vccnz .LBB175_29
; %bb.27:
	s_clause 0x1
	s_load_b128 s[4:7], s[0:1], 0x4
	s_load_b64 s[2:3], s[0:1], 0xc4
	s_cmp_lt_u32 s22, 2
	s_waitcnt lgkmcnt(0)
	v_mul_hi_u32 v0, s5, v6
	s_delay_alu instid0(VALU_DEP_1) | instskip(NEXT) | instid1(VALU_DEP_1)
	v_add_nc_u32_e32 v0, v6, v0
	v_lshrrev_b32_e32 v1, s6, v0
	s_delay_alu instid0(VALU_DEP_1) | instskip(NEXT) | instid1(VALU_DEP_1)
	v_mul_lo_u32 v0, v1, s4
	v_sub_nc_u32_e32 v2, v6, v0
	s_delay_alu instid0(VALU_DEP_1)
	v_mul_lo_u32 v0, v2, s2
	v_mul_lo_u32 v5, v2, s3
	s_cbranch_scc1 .LBB175_29
; %bb.28:
	s_clause 0x1
	s_load_b128 s[4:7], s[0:1], 0x10
	s_load_b64 s[2:3], s[0:1], 0xcc
	s_waitcnt lgkmcnt(0)
	v_mul_hi_u32 v2, s5, v1
	s_delay_alu instid0(VALU_DEP_1) | instskip(NEXT) | instid1(VALU_DEP_1)
	v_add_nc_u32_e32 v2, v1, v2
	v_lshrrev_b32_e32 v2, s6, v2
	s_delay_alu instid0(VALU_DEP_1) | instskip(NEXT) | instid1(VALU_DEP_1)
	v_mul_lo_u32 v2, v2, s4
	v_sub_nc_u32_e32 v4, v1, v2
	s_delay_alu instid0(VALU_DEP_1) | instskip(SKIP_1) | instid1(VALU_DEP_1)
	v_mad_u64_u32 v[1:2], null, v4, s2, v[0:1]
	v_mad_u64_u32 v[7:8], null, v4, s3, v[5:6]
	v_dual_mov_b32 v0, v1 :: v_dual_mov_b32 v5, v7
.LBB175_29:
	v_cmp_ne_u32_e32 vcc_lo, 1, v3
	v_add_nc_u32_e32 v2, 0x80, v6
	s_cbranch_vccnz .LBB175_35
; %bb.30:
	v_dual_mov_b32 v1, 0 :: v_dual_mov_b32 v8, 0
	s_cmp_lg_u32 s22, 0
	s_mov_b32 s6, 0
	s_cbranch_scc0 .LBB175_39
; %bb.31:
	s_min_u32 s7, s23, 15
	v_mov_b32_e32 v1, 0
	s_add_i32 s7, s7, 1
	s_cmp_eq_u32 s23, 2
	s_mov_b32 s10, 0
	s_cbranch_scc1 .LBB175_36
; %bb.32:
	v_dual_mov_b32 v8, 0 :: v_dual_mov_b32 v1, 0
	v_mov_b32_e32 v4, v2
	s_add_u32 s2, s0, 0xc4
	s_addc_u32 s3, s1, 0
	s_and_b32 s10, s7, 28
	s_mov_b32 s11, 0
	s_mov_b64 s[4:5], s[0:1]
.LBB175_33:                             ; =>This Inner Loop Header: Depth=1
	s_clause 0x1
	s_load_b256 s[12:19], s[4:5], 0x4
	s_load_b128 s[36:39], s[4:5], 0x24
	s_load_b256 s[24:31], s[2:3], 0x0
	s_add_u32 s4, s4, 48
	s_addc_u32 s5, s5, 0
	s_add_i32 s11, s11, 4
	s_add_u32 s2, s2, 32
	s_addc_u32 s3, s3, 0
	s_cmp_lg_u32 s10, s11
	s_waitcnt lgkmcnt(0)
	v_mul_hi_u32 v7, s13, v4
	s_delay_alu instid0(VALU_DEP_1) | instskip(NEXT) | instid1(VALU_DEP_1)
	v_add_nc_u32_e32 v7, v4, v7
	v_lshrrev_b32_e32 v7, s14, v7
	s_delay_alu instid0(VALU_DEP_1) | instskip(SKIP_1) | instid1(VALU_DEP_2)
	v_mul_hi_u32 v10, s16, v7
	v_mul_lo_u32 v12, v7, s12
	v_add_nc_u32_e32 v10, v7, v10
	s_delay_alu instid0(VALU_DEP_2) | instskip(NEXT) | instid1(VALU_DEP_2)
	v_sub_nc_u32_e32 v4, v4, v12
	v_lshrrev_b32_e32 v10, s17, v10
	s_delay_alu instid0(VALU_DEP_2) | instskip(SKIP_1) | instid1(VALU_DEP_3)
	v_mul_lo_u32 v12, v4, s24
	v_mul_lo_u32 v14, v4, s25
	v_mul_hi_u32 v11, s19, v10
	s_delay_alu instid0(VALU_DEP_1) | instskip(NEXT) | instid1(VALU_DEP_1)
	v_add_nc_u32_e32 v11, v10, v11
	v_lshrrev_b32_e32 v11, s36, v11
	s_delay_alu instid0(VALU_DEP_1) | instskip(SKIP_1) | instid1(VALU_DEP_2)
	v_mul_hi_u32 v13, s38, v11
	v_mul_lo_u32 v15, v11, s18
	v_add_nc_u32_e32 v4, v11, v13
	v_mul_lo_u32 v13, v10, s15
	s_delay_alu instid0(VALU_DEP_3) | instskip(NEXT) | instid1(VALU_DEP_3)
	v_sub_nc_u32_e32 v10, v10, v15
	v_lshrrev_b32_e32 v4, s39, v4
	s_delay_alu instid0(VALU_DEP_2) | instskip(SKIP_2) | instid1(VALU_DEP_4)
	v_mul_lo_u32 v15, v10, s28
	v_mul_lo_u32 v10, v10, s29
	v_sub_nc_u32_e32 v7, v7, v13
	v_mul_lo_u32 v16, v4, s37
	s_delay_alu instid0(VALU_DEP_2) | instskip(SKIP_1) | instid1(VALU_DEP_3)
	v_mul_lo_u32 v13, v7, s26
	v_mul_lo_u32 v7, v7, s27
	v_sub_nc_u32_e32 v11, v11, v16
	s_delay_alu instid0(VALU_DEP_3) | instskip(NEXT) | instid1(VALU_DEP_2)
	v_add3_u32 v1, v12, v1, v13
	v_mul_lo_u32 v16, v11, s30
	v_mul_lo_u32 v11, v11, s31
	v_add3_u32 v7, v14, v8, v7
	s_delay_alu instid0(VALU_DEP_3) | instskip(NEXT) | instid1(VALU_DEP_2)
	v_add3_u32 v1, v15, v1, v16
	v_add3_u32 v8, v10, v7, v11
	s_cbranch_scc1 .LBB175_33
; %bb.34:
	s_and_b32 s7, s7, 3
	s_delay_alu instid0(SALU_CYCLE_1)
	s_cmp_eq_u32 s7, 0
	s_cbranch_scc0 .LBB175_37
	s_branch .LBB175_39
.LBB175_35:
	s_mov_b32 s6, -1
                                        ; implicit-def: $vgpr1
                                        ; implicit-def: $vgpr8
	s_branch .LBB175_39
.LBB175_36:
	v_mov_b32_e32 v4, v2
	v_mov_b32_e32 v8, 0
	s_and_b32 s7, s7, 3
	s_delay_alu instid0(SALU_CYCLE_1)
	s_cmp_eq_u32 s7, 0
	s_cbranch_scc1 .LBB175_39
.LBB175_37:
	s_lshl_b32 s2, s10, 3
	s_mul_i32 s4, s10, 12
	s_add_u32 s2, s2, s0
	s_addc_u32 s3, 0, s1
	s_add_u32 s2, s2, 0xc4
	s_addc_u32 s3, s3, 0
	;; [unrolled: 2-line block ×3, first 2 shown]
	.p2align	6
.LBB175_38:                             ; =>This Inner Loop Header: Depth=1
	s_clause 0x1
	s_load_b64 s[10:11], s[4:5], 0x4
	s_load_b32 s14, s[4:5], 0xc
	s_load_b64 s[12:13], s[2:3], 0x0
	s_add_u32 s4, s4, 12
	s_addc_u32 s5, s5, 0
	s_add_u32 s2, s2, 8
	s_addc_u32 s3, s3, 0
	s_add_i32 s7, s7, -1
	s_delay_alu instid0(SALU_CYCLE_1) | instskip(SKIP_2) | instid1(VALU_DEP_1)
	s_cmp_lg_u32 s7, 0
	s_waitcnt lgkmcnt(0)
	v_mul_hi_u32 v7, s11, v4
	v_add_nc_u32_e32 v7, v4, v7
	s_delay_alu instid0(VALU_DEP_1) | instskip(NEXT) | instid1(VALU_DEP_1)
	v_lshrrev_b32_e32 v7, s14, v7
	v_mul_lo_u32 v10, v7, s10
	s_delay_alu instid0(VALU_DEP_1) | instskip(NEXT) | instid1(VALU_DEP_1)
	v_sub_nc_u32_e32 v4, v4, v10
	v_mad_u64_u32 v[10:11], null, v4, s12, v[1:2]
	v_mad_u64_u32 v[11:12], null, v4, s13, v[8:9]
	s_delay_alu instid0(VALU_DEP_2) | instskip(NEXT) | instid1(VALU_DEP_2)
	v_dual_mov_b32 v4, v7 :: v_dual_mov_b32 v1, v10
	v_mov_b32_e32 v8, v11
	s_cbranch_scc1 .LBB175_38
.LBB175_39:
	s_and_not1_b32 vcc_lo, exec_lo, s6
	s_cbranch_vccnz .LBB175_42
; %bb.40:
	s_clause 0x1
	s_load_b128 s[4:7], s[0:1], 0x4
	s_load_b64 s[2:3], s[0:1], 0xc4
	s_cmp_lt_u32 s22, 2
	s_waitcnt lgkmcnt(0)
	v_mul_hi_u32 v1, s5, v2
	s_delay_alu instid0(VALU_DEP_1) | instskip(NEXT) | instid1(VALU_DEP_1)
	v_add_nc_u32_e32 v1, v2, v1
	v_lshrrev_b32_e32 v4, s6, v1
	s_delay_alu instid0(VALU_DEP_1) | instskip(NEXT) | instid1(VALU_DEP_1)
	v_mul_lo_u32 v1, v4, s4
	v_sub_nc_u32_e32 v2, v2, v1
	s_delay_alu instid0(VALU_DEP_1)
	v_mul_lo_u32 v1, v2, s2
	v_mul_lo_u32 v8, v2, s3
	s_cbranch_scc1 .LBB175_42
; %bb.41:
	s_clause 0x1
	s_load_b128 s[4:7], s[0:1], 0x10
	s_load_b64 s[2:3], s[0:1], 0xcc
	s_waitcnt lgkmcnt(0)
	v_mul_hi_u32 v2, s5, v4
	s_delay_alu instid0(VALU_DEP_1) | instskip(NEXT) | instid1(VALU_DEP_1)
	v_add_nc_u32_e32 v2, v4, v2
	v_lshrrev_b32_e32 v2, s6, v2
	s_delay_alu instid0(VALU_DEP_1) | instskip(NEXT) | instid1(VALU_DEP_1)
	v_mul_lo_u32 v2, v2, s4
	v_sub_nc_u32_e32 v2, v4, v2
	s_delay_alu instid0(VALU_DEP_1) | instskip(SKIP_1) | instid1(VALU_DEP_1)
	v_mad_u64_u32 v[10:11], null, v2, s2, v[1:2]
	v_mad_u64_u32 v[11:12], null, v2, s3, v[8:9]
	v_dual_mov_b32 v1, v10 :: v_dual_mov_b32 v8, v11
.LBB175_42:
	v_cmp_ne_u32_e32 vcc_lo, 1, v3
	v_add_nc_u32_e32 v4, 0x100, v6
	s_cbranch_vccnz .LBB175_48
; %bb.43:
	v_dual_mov_b32 v2, 0 :: v_dual_mov_b32 v7, 0
	s_cmp_lg_u32 s22, 0
	s_mov_b32 s6, 0
	s_cbranch_scc0 .LBB175_52
; %bb.44:
	s_min_u32 s7, s23, 15
	v_mov_b32_e32 v2, 0
	s_add_i32 s7, s7, 1
	s_cmp_eq_u32 s23, 2
	s_mov_b32 s10, 0
	s_cbranch_scc1 .LBB175_49
; %bb.45:
	v_dual_mov_b32 v7, 0 :: v_dual_mov_b32 v2, 0
	v_mov_b32_e32 v6, v4
	s_add_u32 s2, s0, 0xc4
	s_addc_u32 s3, s1, 0
	s_and_b32 s10, s7, 28
	s_mov_b32 s11, 0
	s_mov_b64 s[4:5], s[0:1]
.LBB175_46:                             ; =>This Inner Loop Header: Depth=1
	s_clause 0x1
	s_load_b256 s[12:19], s[4:5], 0x4
	s_load_b128 s[36:39], s[4:5], 0x24
	s_load_b256 s[24:31], s[2:3], 0x0
	s_add_u32 s4, s4, 48
	s_addc_u32 s5, s5, 0
	s_add_i32 s11, s11, 4
	s_add_u32 s2, s2, 32
	s_addc_u32 s3, s3, 0
	s_cmp_lg_u32 s10, s11
	s_waitcnt lgkmcnt(0)
	v_mul_hi_u32 v10, s13, v6
	s_delay_alu instid0(VALU_DEP_1) | instskip(NEXT) | instid1(VALU_DEP_1)
	v_add_nc_u32_e32 v10, v6, v10
	v_lshrrev_b32_e32 v10, s14, v10
	s_delay_alu instid0(VALU_DEP_1) | instskip(SKIP_1) | instid1(VALU_DEP_2)
	v_mul_hi_u32 v11, s16, v10
	v_mul_lo_u32 v13, v10, s12
	v_add_nc_u32_e32 v11, v10, v11
	s_delay_alu instid0(VALU_DEP_2) | instskip(NEXT) | instid1(VALU_DEP_2)
	v_sub_nc_u32_e32 v6, v6, v13
	v_lshrrev_b32_e32 v11, s17, v11
	s_delay_alu instid0(VALU_DEP_2) | instskip(SKIP_1) | instid1(VALU_DEP_3)
	v_mul_lo_u32 v13, v6, s24
	v_mul_lo_u32 v15, v6, s25
	v_mul_hi_u32 v12, s19, v11
	s_delay_alu instid0(VALU_DEP_1) | instskip(NEXT) | instid1(VALU_DEP_1)
	v_add_nc_u32_e32 v12, v11, v12
	v_lshrrev_b32_e32 v12, s36, v12
	s_delay_alu instid0(VALU_DEP_1) | instskip(SKIP_1) | instid1(VALU_DEP_2)
	v_mul_hi_u32 v14, s38, v12
	v_mul_lo_u32 v16, v12, s18
	v_add_nc_u32_e32 v6, v12, v14
	v_mul_lo_u32 v14, v11, s15
	s_delay_alu instid0(VALU_DEP_3) | instskip(NEXT) | instid1(VALU_DEP_3)
	v_sub_nc_u32_e32 v11, v11, v16
	v_lshrrev_b32_e32 v6, s39, v6
	s_delay_alu instid0(VALU_DEP_2) | instskip(SKIP_2) | instid1(VALU_DEP_4)
	v_mul_lo_u32 v16, v11, s28
	v_mul_lo_u32 v11, v11, s29
	v_sub_nc_u32_e32 v10, v10, v14
	v_mul_lo_u32 v17, v6, s37
	s_delay_alu instid0(VALU_DEP_2) | instskip(SKIP_1) | instid1(VALU_DEP_3)
	v_mul_lo_u32 v14, v10, s26
	v_mul_lo_u32 v10, v10, s27
	v_sub_nc_u32_e32 v12, v12, v17
	s_delay_alu instid0(VALU_DEP_3) | instskip(NEXT) | instid1(VALU_DEP_2)
	v_add3_u32 v2, v13, v2, v14
	v_mul_lo_u32 v17, v12, s30
	v_mul_lo_u32 v12, v12, s31
	v_add3_u32 v7, v15, v7, v10
	s_delay_alu instid0(VALU_DEP_3) | instskip(NEXT) | instid1(VALU_DEP_2)
	v_add3_u32 v2, v16, v2, v17
	v_add3_u32 v7, v11, v7, v12
	s_cbranch_scc1 .LBB175_46
; %bb.47:
	s_and_b32 s7, s7, 3
	s_delay_alu instid0(SALU_CYCLE_1)
	s_cmp_eq_u32 s7, 0
	s_cbranch_scc0 .LBB175_50
	s_branch .LBB175_52
.LBB175_48:
	s_mov_b32 s6, -1
                                        ; implicit-def: $vgpr2
                                        ; implicit-def: $vgpr7
	s_branch .LBB175_52
.LBB175_49:
	v_dual_mov_b32 v6, v4 :: v_dual_mov_b32 v7, 0
	s_and_b32 s7, s7, 3
	s_delay_alu instid0(SALU_CYCLE_1)
	s_cmp_eq_u32 s7, 0
	s_cbranch_scc1 .LBB175_52
.LBB175_50:
	s_lshl_b32 s2, s10, 3
	s_mul_i32 s4, s10, 12
	s_add_u32 s2, s2, s0
	s_addc_u32 s3, 0, s1
	s_add_u32 s2, s2, 0xc4
	s_addc_u32 s3, s3, 0
	;; [unrolled: 2-line block ×3, first 2 shown]
	.p2align	6
.LBB175_51:                             ; =>This Inner Loop Header: Depth=1
	s_clause 0x1
	s_load_b64 s[10:11], s[4:5], 0x4
	s_load_b32 s14, s[4:5], 0xc
	s_load_b64 s[12:13], s[2:3], 0x0
	s_add_u32 s4, s4, 12
	s_addc_u32 s5, s5, 0
	s_add_u32 s2, s2, 8
	s_addc_u32 s3, s3, 0
	s_add_i32 s7, s7, -1
	s_delay_alu instid0(SALU_CYCLE_1) | instskip(SKIP_2) | instid1(VALU_DEP_1)
	s_cmp_lg_u32 s7, 0
	s_waitcnt lgkmcnt(0)
	v_mul_hi_u32 v10, s11, v6
	v_add_nc_u32_e32 v10, v6, v10
	s_delay_alu instid0(VALU_DEP_1) | instskip(NEXT) | instid1(VALU_DEP_1)
	v_lshrrev_b32_e32 v13, s14, v10
	v_mul_lo_u32 v10, v13, s10
	s_delay_alu instid0(VALU_DEP_1) | instskip(NEXT) | instid1(VALU_DEP_1)
	v_sub_nc_u32_e32 v6, v6, v10
	v_mad_u64_u32 v[10:11], null, v6, s12, v[2:3]
	v_mad_u64_u32 v[11:12], null, v6, s13, v[7:8]
	v_mov_b32_e32 v6, v13
	s_delay_alu instid0(VALU_DEP_2)
	v_dual_mov_b32 v2, v10 :: v_dual_mov_b32 v7, v11
	s_cbranch_scc1 .LBB175_51
.LBB175_52:
	s_and_not1_b32 vcc_lo, exec_lo, s6
	s_cbranch_vccnz .LBB175_55
; %bb.53:
	s_clause 0x1
	s_load_b128 s[4:7], s[0:1], 0x4
	s_load_b64 s[2:3], s[0:1], 0xc4
	s_cmp_lt_u32 s22, 2
	s_waitcnt lgkmcnt(0)
	v_mul_hi_u32 v2, s5, v4
	s_delay_alu instid0(VALU_DEP_1) | instskip(NEXT) | instid1(VALU_DEP_1)
	v_add_nc_u32_e32 v2, v4, v2
	v_lshrrev_b32_e32 v6, s6, v2
	s_delay_alu instid0(VALU_DEP_1) | instskip(NEXT) | instid1(VALU_DEP_1)
	v_mul_lo_u32 v2, v6, s4
	v_sub_nc_u32_e32 v4, v4, v2
	s_delay_alu instid0(VALU_DEP_1)
	v_mul_lo_u32 v2, v4, s2
	v_mul_lo_u32 v7, v4, s3
	s_cbranch_scc1 .LBB175_55
; %bb.54:
	s_clause 0x1
	s_load_b128 s[4:7], s[0:1], 0x10
	s_load_b64 s[2:3], s[0:1], 0xcc
	s_waitcnt lgkmcnt(0)
	v_mul_hi_u32 v4, s5, v6
	s_delay_alu instid0(VALU_DEP_1) | instskip(NEXT) | instid1(VALU_DEP_1)
	v_add_nc_u32_e32 v4, v6, v4
	v_lshrrev_b32_e32 v4, s6, v4
	s_delay_alu instid0(VALU_DEP_1) | instskip(NEXT) | instid1(VALU_DEP_1)
	v_mul_lo_u32 v4, v4, s4
	v_sub_nc_u32_e32 v4, v6, v4
	s_delay_alu instid0(VALU_DEP_1) | instskip(SKIP_1) | instid1(VALU_DEP_1)
	v_mad_u64_u32 v[10:11], null, v4, s2, v[2:3]
	v_mad_u64_u32 v[11:12], null, v4, s3, v[7:8]
	v_dual_mov_b32 v2, v10 :: v_dual_mov_b32 v7, v11
.LBB175_55:
	v_cmp_ne_u32_e32 vcc_lo, 1, v3
	s_cbranch_vccnz .LBB175_61
; %bb.56:
	v_dual_mov_b32 v3, 0 :: v_dual_mov_b32 v4, 0
	s_cmp_lg_u32 s22, 0
	s_mov_b32 s6, 0
	s_cbranch_scc0 .LBB175_65
; %bb.57:
	s_min_u32 s7, s23, 15
	v_mov_b32_e32 v3, 0
	s_add_i32 s7, s7, 1
	s_cmp_eq_u32 s23, 2
	s_mov_b32 s10, 0
	s_cbranch_scc1 .LBB175_62
; %bb.58:
	v_dual_mov_b32 v4, 0 :: v_dual_mov_b32 v3, 0
	v_mov_b32_e32 v6, v9
	s_add_u32 s2, s0, 0xc4
	s_addc_u32 s3, s1, 0
	s_and_b32 s10, s7, 28
	s_mov_b32 s11, 0
	s_mov_b64 s[4:5], s[0:1]
.LBB175_59:                             ; =>This Inner Loop Header: Depth=1
	s_clause 0x1
	s_load_b256 s[12:19], s[4:5], 0x4
	s_load_b128 s[36:39], s[4:5], 0x24
	s_load_b256 s[24:31], s[2:3], 0x0
	s_add_u32 s4, s4, 48
	s_addc_u32 s5, s5, 0
	s_add_i32 s11, s11, 4
	s_add_u32 s2, s2, 32
	s_addc_u32 s3, s3, 0
	s_cmp_lg_u32 s10, s11
	s_waitcnt lgkmcnt(0)
	v_mul_hi_u32 v10, s13, v6
	s_delay_alu instid0(VALU_DEP_1) | instskip(NEXT) | instid1(VALU_DEP_1)
	v_add_nc_u32_e32 v10, v6, v10
	v_lshrrev_b32_e32 v10, s14, v10
	s_delay_alu instid0(VALU_DEP_1) | instskip(SKIP_1) | instid1(VALU_DEP_2)
	v_mul_hi_u32 v11, s16, v10
	v_mul_lo_u32 v13, v10, s12
	v_add_nc_u32_e32 v11, v10, v11
	s_delay_alu instid0(VALU_DEP_2) | instskip(NEXT) | instid1(VALU_DEP_2)
	v_sub_nc_u32_e32 v6, v6, v13
	v_lshrrev_b32_e32 v11, s17, v11
	s_delay_alu instid0(VALU_DEP_2) | instskip(SKIP_1) | instid1(VALU_DEP_3)
	v_mul_lo_u32 v13, v6, s24
	v_mul_lo_u32 v15, v6, s25
	v_mul_hi_u32 v12, s19, v11
	s_delay_alu instid0(VALU_DEP_1) | instskip(NEXT) | instid1(VALU_DEP_1)
	v_add_nc_u32_e32 v12, v11, v12
	v_lshrrev_b32_e32 v12, s36, v12
	s_delay_alu instid0(VALU_DEP_1) | instskip(SKIP_1) | instid1(VALU_DEP_2)
	v_mul_hi_u32 v14, s38, v12
	v_mul_lo_u32 v16, v12, s18
	v_add_nc_u32_e32 v6, v12, v14
	v_mul_lo_u32 v14, v11, s15
	s_delay_alu instid0(VALU_DEP_3) | instskip(NEXT) | instid1(VALU_DEP_3)
	v_sub_nc_u32_e32 v11, v11, v16
	v_lshrrev_b32_e32 v6, s39, v6
	s_delay_alu instid0(VALU_DEP_2) | instskip(SKIP_2) | instid1(VALU_DEP_4)
	v_mul_lo_u32 v16, v11, s28
	v_mul_lo_u32 v11, v11, s29
	v_sub_nc_u32_e32 v10, v10, v14
	v_mul_lo_u32 v17, v6, s37
	s_delay_alu instid0(VALU_DEP_2) | instskip(SKIP_1) | instid1(VALU_DEP_3)
	v_mul_lo_u32 v14, v10, s26
	v_mul_lo_u32 v10, v10, s27
	v_sub_nc_u32_e32 v12, v12, v17
	s_delay_alu instid0(VALU_DEP_3) | instskip(NEXT) | instid1(VALU_DEP_2)
	v_add3_u32 v3, v13, v3, v14
	v_mul_lo_u32 v17, v12, s30
	v_mul_lo_u32 v12, v12, s31
	v_add3_u32 v4, v15, v4, v10
	s_delay_alu instid0(VALU_DEP_3) | instskip(NEXT) | instid1(VALU_DEP_2)
	v_add3_u32 v3, v16, v3, v17
	v_add3_u32 v4, v11, v4, v12
	s_cbranch_scc1 .LBB175_59
; %bb.60:
	s_and_b32 s7, s7, 3
	s_delay_alu instid0(SALU_CYCLE_1)
	s_cmp_eq_u32 s7, 0
	s_cbranch_scc0 .LBB175_63
	s_branch .LBB175_65
.LBB175_61:
	s_mov_b32 s6, -1
                                        ; implicit-def: $vgpr3
                                        ; implicit-def: $vgpr4
	s_branch .LBB175_65
.LBB175_62:
	v_mov_b32_e32 v6, v9
	v_mov_b32_e32 v4, 0
	s_and_b32 s7, s7, 3
	s_delay_alu instid0(SALU_CYCLE_1)
	s_cmp_eq_u32 s7, 0
	s_cbranch_scc1 .LBB175_65
.LBB175_63:
	s_lshl_b32 s2, s10, 3
	s_mul_i32 s4, s10, 12
	s_add_u32 s2, s2, s0
	s_addc_u32 s3, 0, s1
	s_add_u32 s2, s2, 0xc4
	s_addc_u32 s3, s3, 0
	;; [unrolled: 2-line block ×3, first 2 shown]
	.p2align	6
.LBB175_64:                             ; =>This Inner Loop Header: Depth=1
	s_clause 0x1
	s_load_b64 s[10:11], s[4:5], 0x4
	s_load_b32 s14, s[4:5], 0xc
	s_load_b64 s[12:13], s[2:3], 0x0
	s_add_u32 s4, s4, 12
	s_addc_u32 s5, s5, 0
	s_add_u32 s2, s2, 8
	s_addc_u32 s3, s3, 0
	s_add_i32 s7, s7, -1
	s_delay_alu instid0(SALU_CYCLE_1) | instskip(SKIP_2) | instid1(VALU_DEP_1)
	s_cmp_lg_u32 s7, 0
	s_waitcnt lgkmcnt(0)
	v_mul_hi_u32 v10, s11, v6
	v_add_nc_u32_e32 v10, v6, v10
	s_delay_alu instid0(VALU_DEP_1) | instskip(NEXT) | instid1(VALU_DEP_1)
	v_lshrrev_b32_e32 v13, s14, v10
	v_mul_lo_u32 v10, v13, s10
	s_delay_alu instid0(VALU_DEP_1) | instskip(NEXT) | instid1(VALU_DEP_1)
	v_sub_nc_u32_e32 v6, v6, v10
	v_mad_u64_u32 v[10:11], null, v6, s12, v[3:4]
	v_mad_u64_u32 v[11:12], null, v6, s13, v[4:5]
	s_delay_alu instid0(VALU_DEP_2) | instskip(NEXT) | instid1(VALU_DEP_2)
	v_dual_mov_b32 v6, v13 :: v_dual_mov_b32 v3, v10
	v_mov_b32_e32 v4, v11
	s_cbranch_scc1 .LBB175_64
.LBB175_65:
	s_and_not1_b32 vcc_lo, exec_lo, s6
	s_cbranch_vccnz .LBB175_68
; %bb.66:
	s_clause 0x1
	s_load_b128 s[4:7], s[0:1], 0x4
	s_load_b64 s[2:3], s[0:1], 0xc4
	s_cmp_lt_u32 s22, 2
	s_waitcnt lgkmcnt(0)
	v_mul_hi_u32 v3, s5, v9
	s_delay_alu instid0(VALU_DEP_1) | instskip(NEXT) | instid1(VALU_DEP_1)
	v_add_nc_u32_e32 v3, v9, v3
	v_lshrrev_b32_e32 v6, s6, v3
	s_delay_alu instid0(VALU_DEP_1) | instskip(NEXT) | instid1(VALU_DEP_1)
	v_mul_lo_u32 v3, v6, s4
	v_sub_nc_u32_e32 v4, v9, v3
	s_delay_alu instid0(VALU_DEP_1)
	v_mul_lo_u32 v3, v4, s2
	v_mul_lo_u32 v4, v4, s3
	s_cbranch_scc1 .LBB175_68
; %bb.67:
	s_clause 0x1
	s_load_b128 s[4:7], s[0:1], 0x10
	s_load_b64 s[2:3], s[0:1], 0xcc
	s_waitcnt lgkmcnt(0)
	v_mul_hi_u32 v9, s5, v6
	s_delay_alu instid0(VALU_DEP_1) | instskip(NEXT) | instid1(VALU_DEP_1)
	v_add_nc_u32_e32 v9, v6, v9
	v_lshrrev_b32_e32 v9, s6, v9
	s_delay_alu instid0(VALU_DEP_1) | instskip(NEXT) | instid1(VALU_DEP_1)
	v_mul_lo_u32 v9, v9, s4
	v_sub_nc_u32_e32 v6, v6, v9
	s_delay_alu instid0(VALU_DEP_1) | instskip(SKIP_1) | instid1(VALU_DEP_1)
	v_mad_u64_u32 v[9:10], null, v6, s2, v[3:4]
	v_mad_u64_u32 v[10:11], null, v6, s3, v[4:5]
	v_dual_mov_b32 v3, v9 :: v_dual_mov_b32 v4, v10
.LBB175_68:
	s_load_b128 s[4:7], s[0:1], 0x148
	v_mov_b32_e32 v11, 0
	s_waitcnt lgkmcnt(0)
	global_load_b64 v[9:10], v5, s[6:7]
	s_waitcnt vmcnt(0)
	v_cmp_neq_f32_e32 vcc_lo, 0, v9
	v_cmp_neq_f32_e64 s0, 0, v10
	s_delay_alu instid0(VALU_DEP_1) | instskip(NEXT) | instid1(SALU_CYCLE_1)
	s_or_b32 s0, vcc_lo, s0
	s_and_saveexec_b32 s2, s0
	s_cbranch_execz .LBB175_136
; %bb.69:
	v_mov_b32_e32 v11, 0x7f800000
	s_mov_b32 s3, exec_lo
	v_cmpx_neq_f32_e64 0x7f800000, |v10|
	s_cbranch_execz .LBB175_135
; %bb.70:
	s_mov_b32 s0, exec_lo
	v_cmpx_o_f32_e32 v9, v9
	s_xor_b32 s10, exec_lo, s0
	s_cbranch_execz .LBB175_132
; %bb.71:
	s_mov_b32 s1, exec_lo
	v_cmpx_neq_f32_e64 0x7f800000, |v9|
	s_xor_b32 s11, exec_lo, s1
	s_cbranch_execz .LBB175_125
; %bb.72:
	v_max_f32_e64 v5, |v10|, |v10|
	v_max_f32_e64 v6, |v9|, |v9|
                                        ; implicit-def: $sgpr12
	s_delay_alu instid0(VALU_DEP_1) | instskip(NEXT) | instid1(VALU_DEP_1)
	v_max_f32_e32 v5, v6, v5
	v_cmp_nle_f32_e64 s0, 0x7ed413cb, v5
	s_delay_alu instid0(VALU_DEP_1) | instskip(NEXT) | instid1(SALU_CYCLE_1)
	s_and_saveexec_b32 s1, s0
	s_xor_b32 s1, exec_lo, s1
	s_cbranch_execz .LBB175_76
; %bb.73:
	v_cmp_ge_f32_e64 s12, 0x1000000, |v9|
	v_cmp_ge_f32_e64 s13, 0x1000000, |v10|
	s_delay_alu instid0(VALU_DEP_1)
	s_and_b32 s14, s12, s13
	s_mov_b32 s12, 0
	s_and_saveexec_b32 s13, s14
; %bb.74:
	v_dual_mul_f32 v10, 4.0, v10 :: v_dual_mul_f32 v9, 4.0, v9
	s_mov_b32 s12, exec_lo
; %bb.75:
	s_or_b32 exec_lo, exec_lo, s13
	s_delay_alu instid0(SALU_CYCLE_1)
	s_and_b32 s12, s12, exec_lo
.LBB175_76:
	s_and_not1_saveexec_b32 s1, s1
; %bb.77:
	v_dual_mul_f32 v9, 0x3e800000, v9 :: v_dual_mul_f32 v10, 0x3e800000, v10
	s_and_not1_b32 s12, s12, exec_lo
; %bb.78:
	s_or_b32 exec_lo, exec_lo, s1
	s_delay_alu instid0(VALU_DEP_1) | instskip(NEXT) | instid1(VALU_DEP_2)
	v_max_f32_e64 v5, |v10|, |v10|
	v_max_f32_e64 v6, |v9|, |v9|
	s_delay_alu instid0(VALU_DEP_1) | instskip(NEXT) | instid1(VALU_DEP_1)
	v_max_f32_e32 v11, v6, v5
	v_cvt_f64_f32_e32 v[5:6], v11
	s_delay_alu instid0(VALU_DEP_1) | instskip(NEXT) | instid1(VALU_DEP_1)
	v_frexp_exp_i32_f64_e32 v5, v[5:6]
	v_sub_nc_u32_e32 v6, 0, v5
	s_delay_alu instid0(VALU_DEP_1) | instskip(SKIP_1) | instid1(VALU_DEP_2)
	v_ldexp_f32 v12, |v10|, v6
	v_ldexp_f32 v6, |v9|, v6
	v_mul_f32_e32 v12, v12, v12
	v_cmp_neq_f32_e64 s1, 0x7f800000, v11
	s_delay_alu instid0(VALU_DEP_2) | instskip(NEXT) | instid1(VALU_DEP_1)
	v_fmac_f32_e32 v12, v6, v6
	v_sqrt_f32_e32 v6, v12
	s_waitcnt_depctr 0xfff
	v_ldexp_f32 v5, v6, v5
                                        ; implicit-def: $vgpr6
	s_delay_alu instid0(VALU_DEP_1)
	v_cndmask_b32_e64 v11, 0x7f800000, v5, s1
                                        ; implicit-def: $vgpr5
	s_mov_b32 s1, exec_lo
	v_cmpx_le_f32_e32 0, v9
	s_xor_b32 s13, exec_lo, s1
	s_cbranch_execz .LBB175_118
; %bb.79:
	v_add_f32_e32 v5, v9, v11
	s_delay_alu instid0(VALU_DEP_1) | instskip(NEXT) | instid1(VALU_DEP_1)
	v_mul_f32_e32 v5, 0.5, v5
	v_mul_f32_e32 v6, 0x4f800000, v5
	v_cmp_gt_f32_e32 vcc_lo, 0xf800000, v5
	s_delay_alu instid0(VALU_DEP_2) | instskip(NEXT) | instid1(VALU_DEP_1)
	v_cndmask_b32_e32 v5, v5, v6, vcc_lo
	v_sqrt_f32_e32 v6, v5
	s_waitcnt_depctr 0xfff
	v_add_nc_u32_e32 v9, -1, v6
	v_add_nc_u32_e32 v11, 1, v6
	s_delay_alu instid0(VALU_DEP_2) | instskip(NEXT) | instid1(VALU_DEP_2)
	v_fma_f32 v12, -v9, v6, v5
	v_fma_f32 v13, -v11, v6, v5
	s_delay_alu instid0(VALU_DEP_2) | instskip(NEXT) | instid1(VALU_DEP_1)
	v_cmp_ge_f32_e64 s1, 0, v12
	v_cndmask_b32_e64 v6, v6, v9, s1
	s_delay_alu instid0(VALU_DEP_3) | instskip(NEXT) | instid1(VALU_DEP_1)
	v_cmp_lt_f32_e64 s1, 0, v13
	v_cndmask_b32_e64 v6, v6, v11, s1
	s_delay_alu instid0(VALU_DEP_1) | instskip(NEXT) | instid1(VALU_DEP_1)
	v_mul_f32_e32 v9, 0x37800000, v6
	v_cndmask_b32_e32 v6, v6, v9, vcc_lo
	v_cmp_class_f32_e64 vcc_lo, v5, 0x260
	s_delay_alu instid0(VALU_DEP_2) | instskip(NEXT) | instid1(VALU_DEP_1)
	v_cndmask_b32_e32 v5, v6, v5, vcc_lo
	v_add_f32_e32 v6, v5, v5
	s_delay_alu instid0(VALU_DEP_1) | instskip(NEXT) | instid1(VALU_DEP_1)
	v_div_scale_f32 v9, null, v6, v6, v10
	v_rcp_f32_e32 v11, v9
	s_waitcnt_depctr 0xfff
	v_fma_f32 v12, -v9, v11, 1.0
	s_delay_alu instid0(VALU_DEP_1) | instskip(SKIP_1) | instid1(VALU_DEP_1)
	v_fmac_f32_e32 v11, v12, v11
	v_div_scale_f32 v12, vcc_lo, v10, v6, v10
	v_mul_f32_e32 v13, v12, v11
	s_delay_alu instid0(VALU_DEP_1) | instskip(NEXT) | instid1(VALU_DEP_1)
	v_fma_f32 v14, -v9, v13, v12
	v_fmac_f32_e32 v13, v14, v11
	s_delay_alu instid0(VALU_DEP_1) | instskip(NEXT) | instid1(VALU_DEP_1)
	v_fma_f32 v9, -v9, v13, v12
	v_div_fmas_f32 v9, v9, v11, v13
                                        ; implicit-def: $vgpr11
	s_delay_alu instid0(VALU_DEP_1)
	v_div_fixup_f32 v6, v9, v6, v10
                                        ; implicit-def: $vgpr9
	s_and_not1_saveexec_b32 s13, s13
	s_cbranch_execz .LBB175_120
	s_branch .LBB175_119
.LBB175_80:
	v_dual_mov_b32 v2, v6 :: v_dual_mov_b32 v1, 0
.LBB175_81:
	s_and_b32 s34, s34, 3
	s_delay_alu instid0(SALU_CYCLE_1)
	s_cmp_eq_u32 s34, 0
	s_cbranch_scc1 .LBB175_84
; %bb.82:
	s_lshl_b32 s2, s33, 3
	s_mul_i32 s20, s33, 12
	s_add_u32 s2, s2, s0
	s_addc_u32 s3, s1, 0
	s_add_u32 s2, s2, 0xc4
	s_addc_u32 s3, s3, 0
	;; [unrolled: 2-line block ×3, first 2 shown]
	.p2align	6
.LBB175_83:                             ; =>This Inner Loop Header: Depth=1
	s_clause 0x1
	s_load_b64 s[36:37], s[20:21], 0x4
	s_load_b32 s33, s[20:21], 0xc
	s_load_b64 s[38:39], s[2:3], 0x0
	s_add_u32 s20, s20, 12
	s_addc_u32 s21, s21, 0
	s_add_u32 s2, s2, 8
	s_addc_u32 s3, s3, 0
	s_add_i32 s34, s34, -1
	s_delay_alu instid0(SALU_CYCLE_1) | instskip(SKIP_2) | instid1(VALU_DEP_1)
	s_cmp_lg_u32 s34, 0
	s_waitcnt lgkmcnt(0)
	v_mul_hi_u32 v3, s37, v2
	v_add_nc_u32_e32 v3, v2, v3
	s_delay_alu instid0(VALU_DEP_1) | instskip(NEXT) | instid1(VALU_DEP_1)
	v_lshrrev_b32_e32 v7, s33, v3
	v_mul_lo_u32 v3, v7, s36
	s_delay_alu instid0(VALU_DEP_1) | instskip(NEXT) | instid1(VALU_DEP_1)
	v_sub_nc_u32_e32 v2, v2, v3
	v_mad_u64_u32 v[3:4], null, v2, s38, v[0:1]
	v_mad_u64_u32 v[4:5], null, v2, s39, v[1:2]
	v_mov_b32_e32 v2, v7
	s_delay_alu instid0(VALU_DEP_2)
	v_dual_mov_b32 v0, v3 :: v_dual_mov_b32 v1, v4
	s_cbranch_scc1 .LBB175_83
.LBB175_84:
	s_and_not1_b32 vcc_lo, exec_lo, s31
	s_cbranch_vccnz .LBB175_87
; %bb.85:
	s_waitcnt lgkmcnt(0)
	v_mul_hi_u32 v0, s13, v6
	s_and_not1_b32 vcc_lo, exec_lo, s26
	s_delay_alu instid0(VALU_DEP_1) | instskip(NEXT) | instid1(VALU_DEP_1)
	v_add_nc_u32_e32 v0, v6, v0
	v_lshrrev_b32_e32 v2, s14, v0
	s_delay_alu instid0(VALU_DEP_1) | instskip(NEXT) | instid1(VALU_DEP_1)
	v_mul_lo_u32 v0, v2, s12
	v_sub_nc_u32_e32 v1, v6, v0
	s_delay_alu instid0(VALU_DEP_1)
	v_mul_lo_u32 v0, v1, s8
	v_mul_lo_u32 v1, v1, s9
	s_cbranch_vccnz .LBB175_87
; %bb.86:
	v_mul_hi_u32 v3, s16, v2
	s_delay_alu instid0(VALU_DEP_1) | instskip(NEXT) | instid1(VALU_DEP_1)
	v_add_nc_u32_e32 v3, v2, v3
	v_lshrrev_b32_e32 v3, s17, v3
	s_delay_alu instid0(VALU_DEP_1) | instskip(NEXT) | instid1(VALU_DEP_1)
	v_mul_lo_u32 v3, v3, s15
	v_sub_nc_u32_e32 v5, v2, v3
	s_delay_alu instid0(VALU_DEP_1) | instskip(NEXT) | instid1(VALU_DEP_1)
	v_mad_u64_u32 v[2:3], null, v5, s10, v[0:1]
	v_mad_u64_u32 v[3:4], null, v5, s11, v[1:2]
	s_delay_alu instid0(VALU_DEP_1)
	v_dual_mov_b32 v0, v2 :: v_dual_mov_b32 v1, v3
.LBB175_87:
	s_waitcnt lgkmcnt(0)
	global_load_b64 v[1:2], v1, s[6:7]
	v_mov_b32_e32 v5, 0
	s_waitcnt vmcnt(0)
	v_cmp_neq_f32_e32 vcc_lo, 0, v1
	v_cmp_neq_f32_e64 s2, 0, v2
	s_delay_alu instid0(VALU_DEP_1) | instskip(NEXT) | instid1(SALU_CYCLE_1)
	s_or_b32 s2, vcc_lo, s2
	s_and_saveexec_b32 s20, s2
	s_cbranch_execz .LBB175_282
; %bb.88:
	v_mov_b32_e32 v5, 0x7f800000
	s_mov_b32 s21, exec_lo
	v_cmpx_neq_f32_e64 0x7f800000, |v2|
	s_cbranch_execz .LBB175_281
; %bb.89:
	s_mov_b32 s2, exec_lo
	v_cmpx_o_f32_e32 v1, v1
	s_xor_b32 s31, exec_lo, s2
	s_cbranch_execz .LBB175_278
; %bb.90:
	s_mov_b32 s3, exec_lo
	v_cmpx_neq_f32_e64 0x7f800000, |v1|
	s_xor_b32 s33, exec_lo, s3
	s_cbranch_execz .LBB175_271
; %bb.91:
	v_max_f32_e64 v3, |v2|, |v2|
	v_max_f32_e64 v4, |v1|, |v1|
                                        ; implicit-def: $sgpr34
	s_delay_alu instid0(VALU_DEP_1) | instskip(NEXT) | instid1(VALU_DEP_1)
	v_max_f32_e32 v3, v4, v3
	v_cmp_nle_f32_e64 s2, 0x7ed413cb, v3
	s_delay_alu instid0(VALU_DEP_1) | instskip(NEXT) | instid1(SALU_CYCLE_1)
	s_and_saveexec_b32 s3, s2
	s_xor_b32 s3, exec_lo, s3
	s_cbranch_execz .LBB175_95
; %bb.92:
	v_cmp_ge_f32_e64 s34, 0x1000000, |v1|
	v_cmp_ge_f32_e64 s35, 0x1000000, |v2|
	s_delay_alu instid0(VALU_DEP_1)
	s_and_b32 s36, s34, s35
	s_mov_b32 s34, 0
	s_and_saveexec_b32 s35, s36
; %bb.93:
	v_dual_mul_f32 v2, 4.0, v2 :: v_dual_mul_f32 v1, 4.0, v1
	s_mov_b32 s34, exec_lo
; %bb.94:
	s_or_b32 exec_lo, exec_lo, s35
	s_delay_alu instid0(SALU_CYCLE_1)
	s_and_b32 s34, s34, exec_lo
.LBB175_95:
	s_and_not1_saveexec_b32 s3, s3
; %bb.96:
	v_dual_mul_f32 v1, 0x3e800000, v1 :: v_dual_mul_f32 v2, 0x3e800000, v2
	s_and_not1_b32 s34, s34, exec_lo
; %bb.97:
	s_or_b32 exec_lo, exec_lo, s3
	s_delay_alu instid0(VALU_DEP_1) | instskip(NEXT) | instid1(VALU_DEP_2)
	v_max_f32_e64 v3, |v2|, |v2|
	v_max_f32_e64 v4, |v1|, |v1|
	s_delay_alu instid0(VALU_DEP_1) | instskip(NEXT) | instid1(VALU_DEP_1)
	v_max_f32_e32 v5, v4, v3
	v_cvt_f64_f32_e32 v[3:4], v5
	v_cmp_neq_f32_e64 s3, 0x7f800000, v5
	s_delay_alu instid0(VALU_DEP_2) | instskip(NEXT) | instid1(VALU_DEP_1)
	v_frexp_exp_i32_f64_e32 v3, v[3:4]
	v_sub_nc_u32_e32 v4, 0, v3
	s_delay_alu instid0(VALU_DEP_1) | instskip(SKIP_1) | instid1(VALU_DEP_2)
	v_ldexp_f32 v7, |v2|, v4
	v_ldexp_f32 v4, |v1|, v4
	v_mul_f32_e32 v7, v7, v7
	s_delay_alu instid0(VALU_DEP_1) | instskip(NEXT) | instid1(VALU_DEP_1)
	v_fmac_f32_e32 v7, v4, v4
	v_sqrt_f32_e32 v4, v7
	s_waitcnt_depctr 0xfff
	v_ldexp_f32 v3, v4, v3
                                        ; implicit-def: $vgpr4
	s_delay_alu instid0(VALU_DEP_1)
	v_cndmask_b32_e64 v5, 0x7f800000, v3, s3
                                        ; implicit-def: $vgpr3
	s_mov_b32 s3, exec_lo
	v_cmpx_le_f32_e32 0, v1
	s_xor_b32 s35, exec_lo, s3
	s_cbranch_execz .LBB175_260
; %bb.98:
	v_add_f32_e32 v1, v1, v5
	s_delay_alu instid0(VALU_DEP_1) | instskip(NEXT) | instid1(VALU_DEP_1)
	v_mul_f32_e32 v1, 0.5, v1
	v_mul_f32_e32 v3, 0x4f800000, v1
	v_cmp_gt_f32_e32 vcc_lo, 0xf800000, v1
	s_delay_alu instid0(VALU_DEP_2) | instskip(NEXT) | instid1(VALU_DEP_1)
	v_cndmask_b32_e32 v1, v1, v3, vcc_lo
	v_sqrt_f32_e32 v3, v1
	s_waitcnt_depctr 0xfff
	v_add_nc_u32_e32 v4, -1, v3
	v_add_nc_u32_e32 v5, 1, v3
	s_delay_alu instid0(VALU_DEP_2) | instskip(NEXT) | instid1(VALU_DEP_2)
	v_fma_f32 v7, -v4, v3, v1
	v_fma_f32 v8, -v5, v3, v1
	s_delay_alu instid0(VALU_DEP_2) | instskip(NEXT) | instid1(VALU_DEP_1)
	v_cmp_ge_f32_e64 s3, 0, v7
	v_cndmask_b32_e64 v3, v3, v4, s3
	s_delay_alu instid0(VALU_DEP_3) | instskip(NEXT) | instid1(VALU_DEP_1)
	v_cmp_lt_f32_e64 s3, 0, v8
	v_cndmask_b32_e64 v3, v3, v5, s3
	s_delay_alu instid0(VALU_DEP_1) | instskip(NEXT) | instid1(VALU_DEP_1)
	v_mul_f32_e32 v4, 0x37800000, v3
	v_cndmask_b32_e32 v3, v3, v4, vcc_lo
	v_cmp_class_f32_e64 vcc_lo, v1, 0x260
	s_delay_alu instid0(VALU_DEP_2) | instskip(NEXT) | instid1(VALU_DEP_1)
	v_cndmask_b32_e32 v3, v3, v1, vcc_lo
	v_add_f32_e32 v1, v3, v3
	s_delay_alu instid0(VALU_DEP_1) | instskip(NEXT) | instid1(VALU_DEP_1)
	v_div_scale_f32 v4, null, v1, v1, v2
	v_rcp_f32_e32 v5, v4
	s_waitcnt_depctr 0xfff
	v_fma_f32 v7, -v4, v5, 1.0
	s_delay_alu instid0(VALU_DEP_1) | instskip(SKIP_1) | instid1(VALU_DEP_1)
	v_fmac_f32_e32 v5, v7, v5
	v_div_scale_f32 v7, vcc_lo, v2, v1, v2
	v_mul_f32_e32 v8, v7, v5
	s_delay_alu instid0(VALU_DEP_1) | instskip(NEXT) | instid1(VALU_DEP_1)
	v_fma_f32 v9, -v4, v8, v7
	v_fmac_f32_e32 v8, v9, v5
	s_delay_alu instid0(VALU_DEP_1) | instskip(NEXT) | instid1(VALU_DEP_1)
	v_fma_f32 v4, -v4, v8, v7
	v_div_fmas_f32 v4, v4, v5, v8
                                        ; implicit-def: $vgpr5
	s_delay_alu instid0(VALU_DEP_1)
	v_div_fixup_f32 v4, v4, v1, v2
                                        ; implicit-def: $vgpr1
	s_and_not1_saveexec_b32 s35, s35
	s_cbranch_execz .LBB175_262
	s_branch .LBB175_261
.LBB175_99:
	v_dual_mov_b32 v2, v6 :: v_dual_mov_b32 v1, 0
.LBB175_100:
	s_and_b32 s34, s34, 3
	s_delay_alu instid0(SALU_CYCLE_1)
	s_cmp_eq_u32 s34, 0
	s_cbranch_scc1 .LBB175_103
; %bb.101:
	s_lshl_b32 s2, s33, 3
	s_mul_i32 s20, s33, 12
	s_add_u32 s2, s2, s0
	s_addc_u32 s3, s1, 0
	s_add_u32 s2, s2, 0xc4
	s_addc_u32 s3, s3, 0
	;; [unrolled: 2-line block ×3, first 2 shown]
	.p2align	6
.LBB175_102:                            ; =>This Inner Loop Header: Depth=1
	s_clause 0x1
	s_load_b64 s[36:37], s[20:21], 0x4
	s_load_b32 s33, s[20:21], 0xc
	s_load_b64 s[38:39], s[2:3], 0x0
	s_add_u32 s20, s20, 12
	s_addc_u32 s21, s21, 0
	s_add_u32 s2, s2, 8
	s_addc_u32 s3, s3, 0
	s_add_i32 s34, s34, -1
	s_delay_alu instid0(SALU_CYCLE_1) | instskip(SKIP_2) | instid1(VALU_DEP_1)
	s_cmp_lg_u32 s34, 0
	s_waitcnt lgkmcnt(0)
	v_mul_hi_u32 v3, s37, v2
	v_add_nc_u32_e32 v3, v2, v3
	s_delay_alu instid0(VALU_DEP_1) | instskip(NEXT) | instid1(VALU_DEP_1)
	v_lshrrev_b32_e32 v7, s33, v3
	v_mul_lo_u32 v3, v7, s36
	s_delay_alu instid0(VALU_DEP_1) | instskip(NEXT) | instid1(VALU_DEP_1)
	v_sub_nc_u32_e32 v2, v2, v3
	v_mad_u64_u32 v[3:4], null, v2, s38, v[0:1]
	v_mad_u64_u32 v[4:5], null, v2, s39, v[1:2]
	v_mov_b32_e32 v2, v7
	s_delay_alu instid0(VALU_DEP_2)
	v_dual_mov_b32 v0, v3 :: v_dual_mov_b32 v1, v4
	s_cbranch_scc1 .LBB175_102
.LBB175_103:
	s_and_not1_b32 vcc_lo, exec_lo, s31
	s_cbranch_vccnz .LBB175_106
; %bb.104:
	s_waitcnt lgkmcnt(0)
	v_mul_hi_u32 v0, s13, v6
	s_and_not1_b32 vcc_lo, exec_lo, s26
	s_delay_alu instid0(VALU_DEP_1) | instskip(NEXT) | instid1(VALU_DEP_1)
	v_add_nc_u32_e32 v0, v6, v0
	v_lshrrev_b32_e32 v2, s14, v0
	s_delay_alu instid0(VALU_DEP_1) | instskip(NEXT) | instid1(VALU_DEP_1)
	v_mul_lo_u32 v0, v2, s12
	v_sub_nc_u32_e32 v1, v6, v0
	s_delay_alu instid0(VALU_DEP_1)
	v_mul_lo_u32 v0, v1, s8
	v_mul_lo_u32 v1, v1, s9
	s_cbranch_vccnz .LBB175_106
; %bb.105:
	v_mul_hi_u32 v3, s16, v2
	s_delay_alu instid0(VALU_DEP_1) | instskip(NEXT) | instid1(VALU_DEP_1)
	v_add_nc_u32_e32 v3, v2, v3
	v_lshrrev_b32_e32 v3, s17, v3
	s_delay_alu instid0(VALU_DEP_1) | instskip(NEXT) | instid1(VALU_DEP_1)
	v_mul_lo_u32 v3, v3, s15
	v_sub_nc_u32_e32 v5, v2, v3
	s_delay_alu instid0(VALU_DEP_1) | instskip(NEXT) | instid1(VALU_DEP_1)
	v_mad_u64_u32 v[2:3], null, v5, s10, v[0:1]
	v_mad_u64_u32 v[3:4], null, v5, s11, v[1:2]
	s_delay_alu instid0(VALU_DEP_1)
	v_dual_mov_b32 v0, v2 :: v_dual_mov_b32 v1, v3
.LBB175_106:
	s_waitcnt lgkmcnt(0)
	global_load_b64 v[1:2], v1, s[6:7]
	v_mov_b32_e32 v5, 0
	s_waitcnt vmcnt(0)
	v_cmp_neq_f32_e32 vcc_lo, 0, v1
	v_cmp_neq_f32_e64 s2, 0, v2
	s_delay_alu instid0(VALU_DEP_1) | instskip(NEXT) | instid1(SALU_CYCLE_1)
	s_or_b32 s2, vcc_lo, s2
	s_and_saveexec_b32 s20, s2
	s_cbranch_execz .LBB175_306
; %bb.107:
	v_mov_b32_e32 v5, 0x7f800000
	s_mov_b32 s21, exec_lo
	v_cmpx_neq_f32_e64 0x7f800000, |v2|
	s_cbranch_execz .LBB175_305
; %bb.108:
	s_mov_b32 s2, exec_lo
	v_cmpx_o_f32_e32 v1, v1
	s_xor_b32 s31, exec_lo, s2
	s_cbranch_execz .LBB175_302
; %bb.109:
	s_mov_b32 s3, exec_lo
	v_cmpx_neq_f32_e64 0x7f800000, |v1|
	s_xor_b32 s33, exec_lo, s3
	s_cbranch_execz .LBB175_295
; %bb.110:
	v_max_f32_e64 v3, |v2|, |v2|
	v_max_f32_e64 v4, |v1|, |v1|
                                        ; implicit-def: $sgpr34
	s_delay_alu instid0(VALU_DEP_1) | instskip(NEXT) | instid1(VALU_DEP_1)
	v_max_f32_e32 v3, v4, v3
	v_cmp_nle_f32_e64 s2, 0x7ed413cb, v3
	s_delay_alu instid0(VALU_DEP_1) | instskip(NEXT) | instid1(SALU_CYCLE_1)
	s_and_saveexec_b32 s3, s2
	s_xor_b32 s3, exec_lo, s3
	s_cbranch_execz .LBB175_114
; %bb.111:
	v_cmp_ge_f32_e64 s34, 0x1000000, |v1|
	v_cmp_ge_f32_e64 s35, 0x1000000, |v2|
	s_delay_alu instid0(VALU_DEP_1)
	s_and_b32 s36, s34, s35
	s_mov_b32 s34, 0
	s_and_saveexec_b32 s35, s36
; %bb.112:
	v_dual_mul_f32 v2, 4.0, v2 :: v_dual_mul_f32 v1, 4.0, v1
	s_mov_b32 s34, exec_lo
; %bb.113:
	s_or_b32 exec_lo, exec_lo, s35
	s_delay_alu instid0(SALU_CYCLE_1)
	s_and_b32 s34, s34, exec_lo
.LBB175_114:
	s_and_not1_saveexec_b32 s3, s3
; %bb.115:
	v_dual_mul_f32 v1, 0x3e800000, v1 :: v_dual_mul_f32 v2, 0x3e800000, v2
	s_and_not1_b32 s34, s34, exec_lo
; %bb.116:
	s_or_b32 exec_lo, exec_lo, s3
	s_delay_alu instid0(VALU_DEP_1) | instskip(NEXT) | instid1(VALU_DEP_2)
	v_max_f32_e64 v3, |v2|, |v2|
	v_max_f32_e64 v4, |v1|, |v1|
	s_delay_alu instid0(VALU_DEP_1) | instskip(NEXT) | instid1(VALU_DEP_1)
	v_max_f32_e32 v5, v4, v3
	v_cvt_f64_f32_e32 v[3:4], v5
	v_cmp_neq_f32_e64 s3, 0x7f800000, v5
	s_delay_alu instid0(VALU_DEP_2) | instskip(NEXT) | instid1(VALU_DEP_1)
	v_frexp_exp_i32_f64_e32 v3, v[3:4]
	v_sub_nc_u32_e32 v4, 0, v3
	s_delay_alu instid0(VALU_DEP_1) | instskip(SKIP_1) | instid1(VALU_DEP_2)
	v_ldexp_f32 v7, |v2|, v4
	v_ldexp_f32 v4, |v1|, v4
	v_mul_f32_e32 v7, v7, v7
	s_delay_alu instid0(VALU_DEP_1) | instskip(NEXT) | instid1(VALU_DEP_1)
	v_fmac_f32_e32 v7, v4, v4
	v_sqrt_f32_e32 v4, v7
	s_waitcnt_depctr 0xfff
	v_ldexp_f32 v3, v4, v3
                                        ; implicit-def: $vgpr4
	s_delay_alu instid0(VALU_DEP_1)
	v_cndmask_b32_e64 v5, 0x7f800000, v3, s3
                                        ; implicit-def: $vgpr3
	s_mov_b32 s3, exec_lo
	v_cmpx_le_f32_e32 0, v1
	s_xor_b32 s35, exec_lo, s3
	s_cbranch_execz .LBB175_264
; %bb.117:
	v_add_f32_e32 v1, v1, v5
	s_delay_alu instid0(VALU_DEP_1) | instskip(NEXT) | instid1(VALU_DEP_1)
	v_mul_f32_e32 v1, 0.5, v1
	v_mul_f32_e32 v3, 0x4f800000, v1
	v_cmp_gt_f32_e32 vcc_lo, 0xf800000, v1
	s_delay_alu instid0(VALU_DEP_2) | instskip(NEXT) | instid1(VALU_DEP_1)
	v_cndmask_b32_e32 v1, v1, v3, vcc_lo
	v_sqrt_f32_e32 v3, v1
	s_waitcnt_depctr 0xfff
	v_add_nc_u32_e32 v4, -1, v3
	v_add_nc_u32_e32 v5, 1, v3
	s_delay_alu instid0(VALU_DEP_2) | instskip(NEXT) | instid1(VALU_DEP_2)
	v_fma_f32 v7, -v4, v3, v1
	v_fma_f32 v8, -v5, v3, v1
	s_delay_alu instid0(VALU_DEP_2) | instskip(NEXT) | instid1(VALU_DEP_1)
	v_cmp_ge_f32_e64 s3, 0, v7
	v_cndmask_b32_e64 v3, v3, v4, s3
	s_delay_alu instid0(VALU_DEP_3) | instskip(NEXT) | instid1(VALU_DEP_1)
	v_cmp_lt_f32_e64 s3, 0, v8
	v_cndmask_b32_e64 v3, v3, v5, s3
	s_delay_alu instid0(VALU_DEP_1) | instskip(NEXT) | instid1(VALU_DEP_1)
	v_mul_f32_e32 v4, 0x37800000, v3
	v_cndmask_b32_e32 v3, v3, v4, vcc_lo
	v_cmp_class_f32_e64 vcc_lo, v1, 0x260
	s_delay_alu instid0(VALU_DEP_2) | instskip(NEXT) | instid1(VALU_DEP_1)
	v_cndmask_b32_e32 v3, v3, v1, vcc_lo
	v_add_f32_e32 v1, v3, v3
	s_delay_alu instid0(VALU_DEP_1) | instskip(NEXT) | instid1(VALU_DEP_1)
	v_div_scale_f32 v4, null, v1, v1, v2
	v_rcp_f32_e32 v5, v4
	s_waitcnt_depctr 0xfff
	v_fma_f32 v7, -v4, v5, 1.0
	s_delay_alu instid0(VALU_DEP_1) | instskip(SKIP_1) | instid1(VALU_DEP_1)
	v_fmac_f32_e32 v5, v7, v5
	v_div_scale_f32 v7, vcc_lo, v2, v1, v2
	v_mul_f32_e32 v8, v7, v5
	s_delay_alu instid0(VALU_DEP_1) | instskip(NEXT) | instid1(VALU_DEP_1)
	v_fma_f32 v9, -v4, v8, v7
	v_fmac_f32_e32 v8, v9, v5
	s_delay_alu instid0(VALU_DEP_1) | instskip(NEXT) | instid1(VALU_DEP_1)
	v_fma_f32 v4, -v4, v8, v7
	v_div_fmas_f32 v4, v4, v5, v8
                                        ; implicit-def: $vgpr5
	s_delay_alu instid0(VALU_DEP_1)
	v_div_fixup_f32 v4, v4, v1, v2
                                        ; implicit-def: $vgpr1
	s_and_not1_saveexec_b32 s35, s35
	s_cbranch_execz .LBB175_266
	s_branch .LBB175_265
.LBB175_118:
	s_and_not1_saveexec_b32 s13, s13
	s_cbranch_execz .LBB175_120
.LBB175_119:
	v_sub_f32_e32 v5, v11, v9
	s_delay_alu instid0(VALU_DEP_1) | instskip(NEXT) | instid1(VALU_DEP_1)
	v_mul_f32_e32 v5, 0.5, v5
	v_mul_f32_e32 v6, 0x4f800000, v5
	v_cmp_gt_f32_e32 vcc_lo, 0xf800000, v5
	s_delay_alu instid0(VALU_DEP_2) | instskip(NEXT) | instid1(VALU_DEP_1)
	v_cndmask_b32_e32 v5, v5, v6, vcc_lo
	v_sqrt_f32_e32 v6, v5
	s_waitcnt_depctr 0xfff
	v_add_nc_u32_e32 v9, -1, v6
	v_add_nc_u32_e32 v11, 1, v6
	s_delay_alu instid0(VALU_DEP_2) | instskip(NEXT) | instid1(VALU_DEP_2)
	v_fma_f32 v12, -v9, v6, v5
	v_fma_f32 v13, -v11, v6, v5
	s_delay_alu instid0(VALU_DEP_2) | instskip(NEXT) | instid1(VALU_DEP_1)
	v_cmp_ge_f32_e64 s1, 0, v12
	v_cndmask_b32_e64 v6, v6, v9, s1
	s_delay_alu instid0(VALU_DEP_3) | instskip(NEXT) | instid1(VALU_DEP_1)
	v_cmp_lt_f32_e64 s1, 0, v13
	v_cndmask_b32_e64 v6, v6, v11, s1
	s_delay_alu instid0(VALU_DEP_1) | instskip(NEXT) | instid1(VALU_DEP_1)
	v_mul_f32_e32 v9, 0x37800000, v6
	v_cndmask_b32_e32 v6, v6, v9, vcc_lo
	v_cmp_class_f32_e64 vcc_lo, v5, 0x260
	s_delay_alu instid0(VALU_DEP_2) | instskip(NEXT) | instid1(VALU_DEP_1)
	v_dual_cndmask_b32 v6, v6, v5 :: v_dual_and_b32 v5, 0x7fffffff, v10
	v_add_f32_e32 v9, v6, v6
	v_bfi_b32 v6, 0x7fffffff, v6, v10
	s_delay_alu instid0(VALU_DEP_2) | instskip(SKIP_1) | instid1(VALU_DEP_2)
	v_div_scale_f32 v11, null, v9, v9, v5
	v_div_scale_f32 v5, vcc_lo, v5, v9, v5
	v_rcp_f32_e32 v12, v11
	s_waitcnt_depctr 0xfff
	v_fma_f32 v13, -v11, v12, 1.0
	s_delay_alu instid0(VALU_DEP_1) | instskip(NEXT) | instid1(VALU_DEP_1)
	v_fmac_f32_e32 v12, v13, v12
	v_mul_f32_e32 v13, v5, v12
	s_delay_alu instid0(VALU_DEP_1) | instskip(NEXT) | instid1(VALU_DEP_1)
	v_fma_f32 v14, -v11, v13, v5
	v_fmac_f32_e32 v13, v14, v12
	s_delay_alu instid0(VALU_DEP_1) | instskip(NEXT) | instid1(VALU_DEP_1)
	v_fma_f32 v5, -v11, v13, v5
	v_div_fmas_f32 v5, v5, v12, v13
	s_delay_alu instid0(VALU_DEP_1)
	v_div_fixup_f32 v5, v5, v9, |v10|
.LBB175_120:
	s_or_b32 exec_lo, exec_lo, s13
                                        ; implicit-def: $vgpr10
	s_and_saveexec_b32 s1, s0
	s_delay_alu instid0(SALU_CYCLE_1)
	s_xor_b32 s0, exec_lo, s1
	s_cbranch_execz .LBB175_122
; %bb.121:
	v_dual_mul_f32 v9, 0.5, v5 :: v_dual_mul_f32 v10, 0.5, v6
	s_delay_alu instid0(VALU_DEP_1) | instskip(NEXT) | instid1(VALU_DEP_2)
	v_cndmask_b32_e64 v9, v5, v9, s12
	v_cndmask_b32_e64 v10, v6, v10, s12
                                        ; implicit-def: $vgpr5
                                        ; implicit-def: $vgpr6
	s_and_not1_saveexec_b32 s0, s0
	s_cbranch_execnz .LBB175_123
	s_branch .LBB175_124
.LBB175_122:
	s_and_not1_saveexec_b32 s0, s0
.LBB175_123:
	v_dual_add_f32 v9, v5, v5 :: v_dual_add_f32 v10, v6, v6
.LBB175_124:
	s_or_b32 exec_lo, exec_lo, s0
.LBB175_125:
	s_and_not1_saveexec_b32 s0, s11
	s_cbranch_execz .LBB175_131
; %bb.126:
	s_delay_alu instid0(VALU_DEP_1)
	v_sub_f32_e32 v5, v10, v10
	s_mov_b32 s1, exec_lo
	v_cmpx_lt_i32_e32 -1, v9
	s_xor_b32 s1, exec_lo, s1
; %bb.127:
	s_delay_alu instid0(VALU_DEP_2)
	v_bfi_b32 v10, 0x7fffffff, v5, v10
                                        ; implicit-def: $vgpr5
; %bb.128:
	s_and_not1_saveexec_b32 s1, s1
; %bb.129:
	v_and_b32_e32 v5, 0x7fffffff, v5
	s_delay_alu instid0(VALU_DEP_2) | instskip(NEXT) | instid1(VALU_DEP_2)
	v_bfi_b32 v10, 0x7fffffff, v9, v10
	v_mov_b32_e32 v9, v5
; %bb.130:
	s_or_b32 exec_lo, exec_lo, s1
.LBB175_131:
	s_delay_alu instid0(SALU_CYCLE_1)
	s_or_b32 exec_lo, exec_lo, s0
.LBB175_132:
	s_and_not1_saveexec_b32 s0, s10
; %bb.133:
	v_sub_f32_e32 v5, v10, v10
	s_delay_alu instid0(VALU_DEP_1) | instskip(NEXT) | instid1(VALU_DEP_1)
	v_div_scale_f32 v6, vcc_lo, v5, v5, v5
	v_rcp_f32_e32 v10, v6
	s_waitcnt_depctr 0xfff
	v_fma_f32 v11, -v6, v10, 1.0
	s_delay_alu instid0(VALU_DEP_1) | instskip(NEXT) | instid1(VALU_DEP_1)
	v_fmac_f32_e32 v10, v11, v10
	v_mul_f32_e32 v11, v6, v10
	s_delay_alu instid0(VALU_DEP_1) | instskip(NEXT) | instid1(VALU_DEP_1)
	v_fma_f32 v12, -v6, v11, v6
	v_fmac_f32_e32 v11, v12, v10
	s_delay_alu instid0(VALU_DEP_1) | instskip(NEXT) | instid1(VALU_DEP_1)
	v_fma_f32 v6, -v6, v11, v6
	v_div_fmas_f32 v6, v6, v10, v11
	s_delay_alu instid0(VALU_DEP_1)
	v_div_fixup_f32 v10, v6, v5, v5
; %bb.134:
	s_or_b32 exec_lo, exec_lo, s0
	v_mov_b32_e32 v11, v9
.LBB175_135:
	s_or_b32 exec_lo, exec_lo, s3
.LBB175_136:
	s_delay_alu instid0(SALU_CYCLE_1) | instskip(NEXT) | instid1(VALU_DEP_1)
	s_or_b32 exec_lo, exec_lo, s2
	v_cmp_gt_f32_e32 vcc_lo, 0, v11
                                        ; implicit-def: $vgpr6
	s_mov_b32 s0, exec_lo
	v_cndmask_b32_e64 v9, v11, -v11, vcc_lo
	v_cmp_gt_f32_e32 vcc_lo, 0, v10
	v_cndmask_b32_e64 v12, v10, -v10, vcc_lo
	s_delay_alu instid0(VALU_DEP_1)
	v_cmpx_ge_f32_e32 v9, v12
	s_xor_b32 s1, exec_lo, s0
	s_cbranch_execz .LBB175_142
; %bb.137:
	v_cmp_neq_f32_e32 vcc_lo, 0, v11
	v_cmp_neq_f32_e64 s0, 0, v10
                                        ; implicit-def: $vgpr6
	s_delay_alu instid0(VALU_DEP_1) | instskip(NEXT) | instid1(SALU_CYCLE_1)
	s_or_b32 s0, vcc_lo, s0
	s_and_saveexec_b32 s2, s0
	s_delay_alu instid0(SALU_CYCLE_1)
	s_xor_b32 s0, exec_lo, s2
	s_cbranch_execz .LBB175_139
; %bb.138:
	v_div_scale_f32 v5, null, v11, v11, v10
	v_div_scale_f32 v12, vcc_lo, v10, v11, v10
	s_delay_alu instid0(VALU_DEP_2) | instskip(SKIP_2) | instid1(VALU_DEP_1)
	v_rcp_f32_e32 v6, v5
	s_waitcnt_depctr 0xfff
	v_fma_f32 v9, -v5, v6, 1.0
	v_fmac_f32_e32 v6, v9, v6
	s_delay_alu instid0(VALU_DEP_1) | instskip(NEXT) | instid1(VALU_DEP_1)
	v_mul_f32_e32 v9, v12, v6
	v_fma_f32 v13, -v5, v9, v12
	s_delay_alu instid0(VALU_DEP_1) | instskip(NEXT) | instid1(VALU_DEP_1)
	v_fmac_f32_e32 v9, v13, v6
	v_fma_f32 v5, -v5, v9, v12
	s_delay_alu instid0(VALU_DEP_1) | instskip(NEXT) | instid1(VALU_DEP_1)
	v_div_fmas_f32 v5, v5, v6, v9
	v_div_fixup_f32 v6, v5, v11, v10
	s_delay_alu instid0(VALU_DEP_1) | instskip(NEXT) | instid1(VALU_DEP_1)
	v_fmac_f32_e32 v11, v10, v6
	v_div_scale_f32 v5, null, v11, v11, 1.0
	v_div_scale_f32 v12, vcc_lo, 1.0, v11, 1.0
	s_delay_alu instid0(VALU_DEP_2) | instskip(SKIP_2) | instid1(VALU_DEP_1)
	v_rcp_f32_e32 v9, v5
	s_waitcnt_depctr 0xfff
	v_fma_f32 v10, -v5, v9, 1.0
	v_fmac_f32_e32 v9, v10, v9
	s_delay_alu instid0(VALU_DEP_1) | instskip(NEXT) | instid1(VALU_DEP_1)
	v_mul_f32_e32 v10, v12, v9
	v_fma_f32 v13, -v5, v10, v12
	s_delay_alu instid0(VALU_DEP_1) | instskip(NEXT) | instid1(VALU_DEP_1)
	v_fmac_f32_e32 v10, v13, v9
	v_fma_f32 v5, -v5, v10, v12
                                        ; implicit-def: $vgpr12
	s_delay_alu instid0(VALU_DEP_1) | instskip(SKIP_1) | instid1(VALU_DEP_2)
	v_div_fmas_f32 v5, v5, v9, v10
	v_fma_f32 v9, v6, 0, 1.0
	v_div_fixup_f32 v10, v5, v11, 1.0
	s_delay_alu instid0(VALU_DEP_1)
	v_mul_f32_e32 v5, v9, v10
	v_mul_f32_e64 v6, -v6, v10
                                        ; implicit-def: $vgpr9
.LBB175_139:
	s_and_not1_saveexec_b32 s2, s0
	s_cbranch_execz .LBB175_141
; %bb.140:
	v_div_scale_f32 v5, null, v9, v9, 1.0
	v_div_scale_f32 v6, null, v12, v12, 0
	v_div_scale_f32 v15, vcc_lo, 1.0, v9, 1.0
	s_delay_alu instid0(VALU_DEP_3) | instskip(NEXT) | instid1(VALU_DEP_2)
	v_rcp_f32_e32 v10, v5
	v_rcp_f32_e32 v11, v6
	s_waitcnt_depctr 0xfff
	v_fma_f32 v13, -v5, v10, 1.0
	v_fma_f32 v14, -v6, v11, 1.0
	s_delay_alu instid0(VALU_DEP_1) | instskip(SKIP_1) | instid1(VALU_DEP_2)
	v_dual_fmac_f32 v10, v13, v10 :: v_dual_fmac_f32 v11, v14, v11
	v_div_scale_f32 v13, s0, 0, v12, 0
	v_mul_f32_e32 v14, v15, v10
	s_delay_alu instid0(VALU_DEP_2) | instskip(NEXT) | instid1(VALU_DEP_2)
	v_mul_f32_e32 v16, v13, v11
	v_fma_f32 v17, -v5, v14, v15
	s_delay_alu instid0(VALU_DEP_2) | instskip(NEXT) | instid1(VALU_DEP_2)
	v_fma_f32 v18, -v6, v16, v13
	v_fmac_f32_e32 v14, v17, v10
	s_delay_alu instid0(VALU_DEP_2) | instskip(NEXT) | instid1(VALU_DEP_2)
	v_fmac_f32_e32 v16, v18, v11
	v_fma_f32 v5, -v5, v14, v15
	s_delay_alu instid0(VALU_DEP_2) | instskip(NEXT) | instid1(VALU_DEP_2)
	v_fma_f32 v6, -v6, v16, v13
	v_div_fmas_f32 v5, v5, v10, v14
	s_mov_b32 vcc_lo, s0
	s_delay_alu instid0(VALU_DEP_2) | instskip(NEXT) | instid1(VALU_DEP_2)
	v_div_fmas_f32 v6, v6, v11, v16
	v_div_fixup_f32 v5, v5, v9, 1.0
	s_delay_alu instid0(VALU_DEP_2)
	v_div_fixup_f32 v6, v6, v12, 0
.LBB175_141:
	s_or_b32 exec_lo, exec_lo, s2
                                        ; implicit-def: $vgpr10
                                        ; implicit-def: $vgpr11
.LBB175_142:
	s_and_not1_saveexec_b32 s0, s1
	s_cbranch_execz .LBB175_144
; %bb.143:
	v_div_scale_f32 v5, null, v10, v10, v11
	v_div_scale_f32 v12, vcc_lo, v11, v10, v11
	s_delay_alu instid0(VALU_DEP_2) | instskip(SKIP_2) | instid1(VALU_DEP_1)
	v_rcp_f32_e32 v6, v5
	s_waitcnt_depctr 0xfff
	v_fma_f32 v9, -v5, v6, 1.0
	v_fmac_f32_e32 v6, v9, v6
	s_delay_alu instid0(VALU_DEP_1) | instskip(NEXT) | instid1(VALU_DEP_1)
	v_mul_f32_e32 v9, v12, v6
	v_fma_f32 v13, -v5, v9, v12
	s_delay_alu instid0(VALU_DEP_1) | instskip(NEXT) | instid1(VALU_DEP_1)
	v_fmac_f32_e32 v9, v13, v6
	v_fma_f32 v5, -v5, v9, v12
	s_delay_alu instid0(VALU_DEP_1) | instskip(NEXT) | instid1(VALU_DEP_1)
	v_div_fmas_f32 v5, v5, v6, v9
	v_div_fixup_f32 v5, v5, v10, v11
	s_delay_alu instid0(VALU_DEP_1) | instskip(NEXT) | instid1(VALU_DEP_1)
	v_fmac_f32_e32 v10, v11, v5
	v_div_scale_f32 v6, null, v10, v10, 1.0
	v_div_scale_f32 v12, vcc_lo, 1.0, v10, 1.0
	s_delay_alu instid0(VALU_DEP_2) | instskip(SKIP_2) | instid1(VALU_DEP_1)
	v_rcp_f32_e32 v9, v6
	s_waitcnt_depctr 0xfff
	v_fma_f32 v11, -v6, v9, 1.0
	v_fmac_f32_e32 v9, v11, v9
	s_delay_alu instid0(VALU_DEP_1) | instskip(NEXT) | instid1(VALU_DEP_1)
	v_mul_f32_e32 v11, v12, v9
	v_fma_f32 v13, -v6, v11, v12
	s_delay_alu instid0(VALU_DEP_1) | instskip(NEXT) | instid1(VALU_DEP_1)
	v_fmac_f32_e32 v11, v13, v9
	v_fma_f32 v6, -v6, v11, v12
	s_delay_alu instid0(VALU_DEP_1) | instskip(SKIP_1) | instid1(VALU_DEP_2)
	v_div_fmas_f32 v6, v6, v9, v11
	v_add_f32_e32 v9, 0, v5
	v_div_fixup_f32 v6, v6, v10, 1.0
	v_fma_f32 v10, v5, 0, -1.0
	s_delay_alu instid0(VALU_DEP_2) | instskip(NEXT) | instid1(VALU_DEP_2)
	v_mul_f32_e32 v5, v9, v6
	v_mul_f32_e32 v6, v10, v6
.LBB175_144:
	s_or_b32 exec_lo, exec_lo, s0
	global_load_b64 v[9:10], v8, s[6:7]
	v_mov_b32_e32 v11, 0
	s_waitcnt vmcnt(0)
	v_cmp_neq_f32_e32 vcc_lo, 0, v9
	v_cmp_neq_f32_e64 s0, 0, v10
	s_delay_alu instid0(VALU_DEP_1) | instskip(NEXT) | instid1(SALU_CYCLE_1)
	s_or_b32 s0, vcc_lo, s0
	s_and_saveexec_b32 s2, s0
	s_cbranch_execz .LBB175_174
; %bb.145:
	v_mov_b32_e32 v11, 0x7f800000
	s_mov_b32 s3, exec_lo
	v_cmpx_neq_f32_e64 0x7f800000, |v10|
	s_cbranch_execz .LBB175_173
; %bb.146:
	s_mov_b32 s0, exec_lo
	v_cmpx_o_f32_e32 v9, v9
	s_xor_b32 s10, exec_lo, s0
	s_cbranch_execz .LBB175_170
; %bb.147:
	s_mov_b32 s1, exec_lo
	v_cmpx_neq_f32_e64 0x7f800000, |v9|
	s_xor_b32 s11, exec_lo, s1
	s_cbranch_execz .LBB175_163
; %bb.148:
	v_max_f32_e64 v8, |v10|, |v10|
	v_max_f32_e64 v11, |v9|, |v9|
                                        ; implicit-def: $sgpr12
	s_delay_alu instid0(VALU_DEP_1) | instskip(NEXT) | instid1(VALU_DEP_1)
	v_max_f32_e32 v8, v11, v8
	v_cmp_nle_f32_e64 s0, 0x7ed413cb, v8
	s_delay_alu instid0(VALU_DEP_1) | instskip(NEXT) | instid1(SALU_CYCLE_1)
	s_and_saveexec_b32 s1, s0
	s_xor_b32 s1, exec_lo, s1
	s_cbranch_execz .LBB175_152
; %bb.149:
	v_cmp_ge_f32_e64 s12, 0x1000000, |v9|
	v_cmp_ge_f32_e64 s13, 0x1000000, |v10|
	s_delay_alu instid0(VALU_DEP_1)
	s_and_b32 s14, s12, s13
	s_mov_b32 s12, 0
	s_and_saveexec_b32 s13, s14
; %bb.150:
	v_dual_mul_f32 v10, 4.0, v10 :: v_dual_mul_f32 v9, 4.0, v9
	s_mov_b32 s12, exec_lo
; %bb.151:
	s_or_b32 exec_lo, exec_lo, s13
	s_delay_alu instid0(SALU_CYCLE_1)
	s_and_b32 s12, s12, exec_lo
.LBB175_152:
	s_and_not1_saveexec_b32 s1, s1
; %bb.153:
	v_dual_mul_f32 v9, 0x3e800000, v9 :: v_dual_mul_f32 v10, 0x3e800000, v10
	s_and_not1_b32 s12, s12, exec_lo
; %bb.154:
	s_or_b32 exec_lo, exec_lo, s1
	s_delay_alu instid0(VALU_DEP_1) | instskip(NEXT) | instid1(VALU_DEP_2)
	v_max_f32_e64 v8, |v10|, |v10|
	v_max_f32_e64 v11, |v9|, |v9|
	s_delay_alu instid0(VALU_DEP_1) | instskip(NEXT) | instid1(VALU_DEP_1)
	v_max_f32_e32 v8, v11, v8
	v_cvt_f64_f32_e32 v[11:12], v8
	s_delay_alu instid0(VALU_DEP_1) | instskip(NEXT) | instid1(VALU_DEP_1)
	v_frexp_exp_i32_f64_e32 v11, v[11:12]
	v_sub_nc_u32_e32 v12, 0, v11
	s_delay_alu instid0(VALU_DEP_1) | instskip(SKIP_1) | instid1(VALU_DEP_2)
	v_ldexp_f32 v13, |v10|, v12
	v_ldexp_f32 v12, |v9|, v12
	v_mul_f32_e32 v13, v13, v13
	v_cmp_neq_f32_e64 s1, 0x7f800000, v8
                                        ; implicit-def: $vgpr8
	s_delay_alu instid0(VALU_DEP_2) | instskip(NEXT) | instid1(VALU_DEP_1)
	v_fmac_f32_e32 v13, v12, v12
	v_sqrt_f32_e32 v12, v13
	s_waitcnt_depctr 0xfff
	v_ldexp_f32 v11, v12, v11
	s_delay_alu instid0(VALU_DEP_1)
	v_cndmask_b32_e64 v12, 0x7f800000, v11, s1
                                        ; implicit-def: $vgpr11
	s_mov_b32 s1, exec_lo
	v_cmpx_le_f32_e32 0, v9
	s_xor_b32 s13, exec_lo, s1
	s_cbranch_execz .LBB175_156
; %bb.155:
	v_add_f32_e32 v8, v9, v12
	s_delay_alu instid0(VALU_DEP_1) | instskip(NEXT) | instid1(VALU_DEP_1)
	v_mul_f32_e32 v8, 0.5, v8
	v_mul_f32_e32 v9, 0x4f800000, v8
	v_cmp_gt_f32_e32 vcc_lo, 0xf800000, v8
	s_delay_alu instid0(VALU_DEP_2) | instskip(NEXT) | instid1(VALU_DEP_1)
	v_cndmask_b32_e32 v8, v8, v9, vcc_lo
	v_sqrt_f32_e32 v9, v8
	s_waitcnt_depctr 0xfff
	v_add_nc_u32_e32 v11, -1, v9
	v_add_nc_u32_e32 v12, 1, v9
	s_delay_alu instid0(VALU_DEP_2) | instskip(NEXT) | instid1(VALU_DEP_2)
	v_fma_f32 v13, -v11, v9, v8
	v_fma_f32 v14, -v12, v9, v8
	s_delay_alu instid0(VALU_DEP_2) | instskip(NEXT) | instid1(VALU_DEP_1)
	v_cmp_ge_f32_e64 s1, 0, v13
	v_cndmask_b32_e64 v9, v9, v11, s1
	s_delay_alu instid0(VALU_DEP_3) | instskip(NEXT) | instid1(VALU_DEP_1)
	v_cmp_lt_f32_e64 s1, 0, v14
	v_cndmask_b32_e64 v9, v9, v12, s1
	s_delay_alu instid0(VALU_DEP_1) | instskip(NEXT) | instid1(VALU_DEP_1)
	v_mul_f32_e32 v11, 0x37800000, v9
	v_cndmask_b32_e32 v9, v9, v11, vcc_lo
	v_cmp_class_f32_e64 vcc_lo, v8, 0x260
	s_delay_alu instid0(VALU_DEP_2) | instskip(NEXT) | instid1(VALU_DEP_1)
	v_cndmask_b32_e32 v8, v9, v8, vcc_lo
	v_add_f32_e32 v9, v8, v8
	s_delay_alu instid0(VALU_DEP_1) | instskip(NEXT) | instid1(VALU_DEP_1)
	v_div_scale_f32 v11, null, v9, v9, v10
	v_rcp_f32_e32 v12, v11
	s_waitcnt_depctr 0xfff
	v_fma_f32 v13, -v11, v12, 1.0
	s_delay_alu instid0(VALU_DEP_1) | instskip(SKIP_1) | instid1(VALU_DEP_1)
	v_fmac_f32_e32 v12, v13, v12
	v_div_scale_f32 v13, vcc_lo, v10, v9, v10
	v_mul_f32_e32 v14, v13, v12
	s_delay_alu instid0(VALU_DEP_1) | instskip(NEXT) | instid1(VALU_DEP_1)
	v_fma_f32 v15, -v11, v14, v13
	v_fmac_f32_e32 v14, v15, v12
	s_delay_alu instid0(VALU_DEP_1) | instskip(NEXT) | instid1(VALU_DEP_1)
	v_fma_f32 v11, -v11, v14, v13
	v_div_fmas_f32 v11, v11, v12, v14
                                        ; implicit-def: $vgpr12
	s_delay_alu instid0(VALU_DEP_1)
	v_div_fixup_f32 v11, v11, v9, v10
                                        ; implicit-def: $vgpr9
	s_and_not1_saveexec_b32 s13, s13
	s_cbranch_execz .LBB175_158
	s_branch .LBB175_157
.LBB175_156:
	s_and_not1_saveexec_b32 s13, s13
	s_cbranch_execz .LBB175_158
.LBB175_157:
	v_sub_f32_e32 v8, v12, v9
	s_delay_alu instid0(VALU_DEP_1) | instskip(NEXT) | instid1(VALU_DEP_1)
	v_mul_f32_e32 v8, 0.5, v8
	v_mul_f32_e32 v9, 0x4f800000, v8
	v_cmp_gt_f32_e32 vcc_lo, 0xf800000, v8
	s_delay_alu instid0(VALU_DEP_2) | instskip(NEXT) | instid1(VALU_DEP_1)
	v_cndmask_b32_e32 v8, v8, v9, vcc_lo
	v_sqrt_f32_e32 v9, v8
	s_waitcnt_depctr 0xfff
	v_add_nc_u32_e32 v11, -1, v9
	v_add_nc_u32_e32 v12, 1, v9
	s_delay_alu instid0(VALU_DEP_2) | instskip(NEXT) | instid1(VALU_DEP_2)
	v_fma_f32 v13, -v11, v9, v8
	v_fma_f32 v14, -v12, v9, v8
	s_delay_alu instid0(VALU_DEP_2) | instskip(NEXT) | instid1(VALU_DEP_1)
	v_cmp_ge_f32_e64 s1, 0, v13
	v_cndmask_b32_e64 v9, v9, v11, s1
	s_delay_alu instid0(VALU_DEP_3) | instskip(NEXT) | instid1(VALU_DEP_1)
	v_cmp_lt_f32_e64 s1, 0, v14
	v_cndmask_b32_e64 v9, v9, v12, s1
	s_delay_alu instid0(VALU_DEP_1) | instskip(NEXT) | instid1(VALU_DEP_1)
	v_mul_f32_e32 v11, 0x37800000, v9
	v_cndmask_b32_e32 v9, v9, v11, vcc_lo
	v_cmp_class_f32_e64 vcc_lo, v8, 0x260
	s_delay_alu instid0(VALU_DEP_2) | instskip(NEXT) | instid1(VALU_DEP_1)
	v_dual_cndmask_b32 v9, v9, v8 :: v_dual_and_b32 v8, 0x7fffffff, v10
	v_add_f32_e32 v11, v9, v9
	s_delay_alu instid0(VALU_DEP_1) | instskip(SKIP_1) | instid1(VALU_DEP_2)
	v_div_scale_f32 v12, null, v11, v11, v8
	v_div_scale_f32 v8, vcc_lo, v8, v11, v8
	v_rcp_f32_e32 v13, v12
	s_waitcnt_depctr 0xfff
	v_fma_f32 v14, -v12, v13, 1.0
	s_delay_alu instid0(VALU_DEP_1) | instskip(NEXT) | instid1(VALU_DEP_1)
	v_fmac_f32_e32 v13, v14, v13
	v_mul_f32_e32 v14, v8, v13
	s_delay_alu instid0(VALU_DEP_1) | instskip(NEXT) | instid1(VALU_DEP_1)
	v_fma_f32 v15, -v12, v14, v8
	v_fmac_f32_e32 v14, v15, v13
	s_delay_alu instid0(VALU_DEP_1) | instskip(NEXT) | instid1(VALU_DEP_1)
	v_fma_f32 v8, -v12, v14, v8
	v_div_fmas_f32 v8, v8, v13, v14
	s_delay_alu instid0(VALU_DEP_1)
	v_div_fixup_f32 v8, v8, v11, |v10|
	v_bfi_b32 v11, 0x7fffffff, v9, v10
.LBB175_158:
	s_or_b32 exec_lo, exec_lo, s13
                                        ; implicit-def: $vgpr10
	s_and_saveexec_b32 s1, s0
	s_delay_alu instid0(SALU_CYCLE_1)
	s_xor_b32 s0, exec_lo, s1
	s_cbranch_execz .LBB175_160
; %bb.159:
	v_dual_mul_f32 v9, 0.5, v8 :: v_dual_mul_f32 v10, 0.5, v11
	s_delay_alu instid0(VALU_DEP_1) | instskip(NEXT) | instid1(VALU_DEP_2)
	v_cndmask_b32_e64 v9, v8, v9, s12
	v_cndmask_b32_e64 v10, v11, v10, s12
                                        ; implicit-def: $vgpr8
                                        ; implicit-def: $vgpr11
	s_and_not1_saveexec_b32 s0, s0
	s_cbranch_execnz .LBB175_161
	s_branch .LBB175_162
.LBB175_160:
	s_and_not1_saveexec_b32 s0, s0
.LBB175_161:
	v_dual_add_f32 v9, v8, v8 :: v_dual_add_f32 v10, v11, v11
.LBB175_162:
	s_or_b32 exec_lo, exec_lo, s0
.LBB175_163:
	s_and_not1_saveexec_b32 s0, s11
	s_cbranch_execz .LBB175_169
; %bb.164:
	s_delay_alu instid0(VALU_DEP_1)
	v_sub_f32_e32 v8, v10, v10
	s_mov_b32 s1, exec_lo
	v_cmpx_lt_i32_e32 -1, v9
	s_xor_b32 s1, exec_lo, s1
; %bb.165:
	s_delay_alu instid0(VALU_DEP_2)
	v_bfi_b32 v10, 0x7fffffff, v8, v10
                                        ; implicit-def: $vgpr8
; %bb.166:
	s_and_not1_saveexec_b32 s1, s1
; %bb.167:
	v_and_b32_e32 v8, 0x7fffffff, v8
	s_delay_alu instid0(VALU_DEP_2) | instskip(NEXT) | instid1(VALU_DEP_2)
	v_bfi_b32 v10, 0x7fffffff, v9, v10
	v_mov_b32_e32 v9, v8
; %bb.168:
	s_or_b32 exec_lo, exec_lo, s1
.LBB175_169:
	s_delay_alu instid0(SALU_CYCLE_1)
	s_or_b32 exec_lo, exec_lo, s0
.LBB175_170:
	s_and_not1_saveexec_b32 s0, s10
; %bb.171:
	v_sub_f32_e32 v8, v10, v10
	s_delay_alu instid0(VALU_DEP_1) | instskip(NEXT) | instid1(VALU_DEP_1)
	v_div_scale_f32 v10, vcc_lo, v8, v8, v8
	v_rcp_f32_e32 v11, v10
	s_waitcnt_depctr 0xfff
	v_fma_f32 v12, -v10, v11, 1.0
	s_delay_alu instid0(VALU_DEP_1) | instskip(NEXT) | instid1(VALU_DEP_1)
	v_fmac_f32_e32 v11, v12, v11
	v_mul_f32_e32 v12, v10, v11
	s_delay_alu instid0(VALU_DEP_1) | instskip(NEXT) | instid1(VALU_DEP_1)
	v_fma_f32 v13, -v10, v12, v10
	v_fmac_f32_e32 v12, v13, v11
	s_delay_alu instid0(VALU_DEP_1) | instskip(NEXT) | instid1(VALU_DEP_1)
	v_fma_f32 v10, -v10, v12, v10
	v_div_fmas_f32 v10, v10, v11, v12
	s_delay_alu instid0(VALU_DEP_1)
	v_div_fixup_f32 v10, v10, v8, v8
; %bb.172:
	s_or_b32 exec_lo, exec_lo, s0
	v_mov_b32_e32 v11, v9
.LBB175_173:
	s_or_b32 exec_lo, exec_lo, s3
.LBB175_174:
	s_delay_alu instid0(SALU_CYCLE_1) | instskip(NEXT) | instid1(VALU_DEP_1)
	s_or_b32 exec_lo, exec_lo, s2
	v_cmp_gt_f32_e32 vcc_lo, 0, v11
                                        ; implicit-def: $vgpr9
	s_mov_b32 s0, exec_lo
	v_cndmask_b32_e64 v12, v11, -v11, vcc_lo
	v_cmp_gt_f32_e32 vcc_lo, 0, v10
	v_cndmask_b32_e64 v13, v10, -v10, vcc_lo
	s_delay_alu instid0(VALU_DEP_1)
	v_cmpx_ge_f32_e32 v12, v13
	s_xor_b32 s1, exec_lo, s0
	s_cbranch_execz .LBB175_180
; %bb.175:
	v_cmp_neq_f32_e32 vcc_lo, 0, v11
	v_cmp_neq_f32_e64 s0, 0, v10
                                        ; implicit-def: $vgpr9
	s_delay_alu instid0(VALU_DEP_1) | instskip(NEXT) | instid1(SALU_CYCLE_1)
	s_or_b32 s0, vcc_lo, s0
	s_and_saveexec_b32 s2, s0
	s_delay_alu instid0(SALU_CYCLE_1)
	s_xor_b32 s0, exec_lo, s2
	s_cbranch_execz .LBB175_177
; %bb.176:
	v_div_scale_f32 v8, null, v11, v11, v10
	v_div_scale_f32 v13, vcc_lo, v10, v11, v10
	s_delay_alu instid0(VALU_DEP_2) | instskip(SKIP_2) | instid1(VALU_DEP_1)
	v_rcp_f32_e32 v9, v8
	s_waitcnt_depctr 0xfff
	v_fma_f32 v12, -v8, v9, 1.0
	v_fmac_f32_e32 v9, v12, v9
	s_delay_alu instid0(VALU_DEP_1) | instskip(NEXT) | instid1(VALU_DEP_1)
	v_mul_f32_e32 v12, v13, v9
	v_fma_f32 v14, -v8, v12, v13
	s_delay_alu instid0(VALU_DEP_1) | instskip(NEXT) | instid1(VALU_DEP_1)
	v_fmac_f32_e32 v12, v14, v9
	v_fma_f32 v8, -v8, v12, v13
	s_delay_alu instid0(VALU_DEP_1) | instskip(NEXT) | instid1(VALU_DEP_1)
	v_div_fmas_f32 v8, v8, v9, v12
	v_div_fixup_f32 v9, v8, v11, v10
	s_delay_alu instid0(VALU_DEP_1) | instskip(NEXT) | instid1(VALU_DEP_1)
	v_fmac_f32_e32 v11, v10, v9
	v_div_scale_f32 v8, null, v11, v11, 1.0
	s_delay_alu instid0(VALU_DEP_1) | instskip(SKIP_2) | instid1(VALU_DEP_1)
	v_rcp_f32_e32 v10, v8
	s_waitcnt_depctr 0xfff
	v_fma_f32 v12, -v8, v10, 1.0
	v_fmac_f32_e32 v10, v12, v10
	v_div_scale_f32 v13, vcc_lo, 1.0, v11, 1.0
	s_delay_alu instid0(VALU_DEP_1) | instskip(NEXT) | instid1(VALU_DEP_1)
	v_mul_f32_e32 v12, v13, v10
	v_fma_f32 v14, -v8, v12, v13
	s_delay_alu instid0(VALU_DEP_1) | instskip(NEXT) | instid1(VALU_DEP_1)
	v_fmac_f32_e32 v12, v14, v10
	v_fma_f32 v8, -v8, v12, v13
                                        ; implicit-def: $vgpr13
	s_delay_alu instid0(VALU_DEP_1) | instskip(SKIP_1) | instid1(VALU_DEP_2)
	v_div_fmas_f32 v8, v8, v10, v12
	v_fma_f32 v10, v9, 0, 1.0
                                        ; implicit-def: $vgpr12
	v_div_fixup_f32 v11, v8, v11, 1.0
	s_delay_alu instid0(VALU_DEP_1)
	v_mul_f32_e32 v8, v10, v11
	v_mul_f32_e64 v9, -v9, v11
.LBB175_177:
	s_and_not1_saveexec_b32 s2, s0
	s_cbranch_execz .LBB175_179
; %bb.178:
	v_div_scale_f32 v8, null, v12, v12, 1.0
	v_div_scale_f32 v9, null, v13, v13, 0
	v_div_scale_f32 v16, vcc_lo, 1.0, v12, 1.0
	s_delay_alu instid0(VALU_DEP_3) | instskip(NEXT) | instid1(VALU_DEP_2)
	v_rcp_f32_e32 v10, v8
	v_rcp_f32_e32 v11, v9
	s_waitcnt_depctr 0xfff
	v_fma_f32 v14, -v8, v10, 1.0
	v_fma_f32 v15, -v9, v11, 1.0
	s_delay_alu instid0(VALU_DEP_1) | instskip(SKIP_1) | instid1(VALU_DEP_2)
	v_dual_fmac_f32 v10, v14, v10 :: v_dual_fmac_f32 v11, v15, v11
	v_div_scale_f32 v14, s0, 0, v13, 0
	v_mul_f32_e32 v15, v16, v10
	s_delay_alu instid0(VALU_DEP_2) | instskip(NEXT) | instid1(VALU_DEP_2)
	v_mul_f32_e32 v17, v14, v11
	v_fma_f32 v18, -v8, v15, v16
	s_delay_alu instid0(VALU_DEP_2) | instskip(NEXT) | instid1(VALU_DEP_2)
	v_fma_f32 v19, -v9, v17, v14
	v_fmac_f32_e32 v15, v18, v10
	s_delay_alu instid0(VALU_DEP_2) | instskip(NEXT) | instid1(VALU_DEP_2)
	v_fmac_f32_e32 v17, v19, v11
	v_fma_f32 v8, -v8, v15, v16
	s_delay_alu instid0(VALU_DEP_2) | instskip(NEXT) | instid1(VALU_DEP_2)
	v_fma_f32 v9, -v9, v17, v14
	v_div_fmas_f32 v8, v8, v10, v15
	s_mov_b32 vcc_lo, s0
	s_delay_alu instid0(VALU_DEP_2) | instskip(NEXT) | instid1(VALU_DEP_2)
	v_div_fmas_f32 v9, v9, v11, v17
	v_div_fixup_f32 v8, v8, v12, 1.0
	s_delay_alu instid0(VALU_DEP_2)
	v_div_fixup_f32 v9, v9, v13, 0
.LBB175_179:
	s_or_b32 exec_lo, exec_lo, s2
                                        ; implicit-def: $vgpr10
                                        ; implicit-def: $vgpr11
.LBB175_180:
	s_and_not1_saveexec_b32 s0, s1
	s_cbranch_execz .LBB175_182
; %bb.181:
	v_div_scale_f32 v8, null, v10, v10, v11
	v_div_scale_f32 v13, vcc_lo, v11, v10, v11
	s_delay_alu instid0(VALU_DEP_2) | instskip(SKIP_2) | instid1(VALU_DEP_1)
	v_rcp_f32_e32 v9, v8
	s_waitcnt_depctr 0xfff
	v_fma_f32 v12, -v8, v9, 1.0
	v_fmac_f32_e32 v9, v12, v9
	s_delay_alu instid0(VALU_DEP_1) | instskip(NEXT) | instid1(VALU_DEP_1)
	v_mul_f32_e32 v12, v13, v9
	v_fma_f32 v14, -v8, v12, v13
	s_delay_alu instid0(VALU_DEP_1) | instskip(NEXT) | instid1(VALU_DEP_1)
	v_fmac_f32_e32 v12, v14, v9
	v_fma_f32 v8, -v8, v12, v13
	s_delay_alu instid0(VALU_DEP_1) | instskip(NEXT) | instid1(VALU_DEP_1)
	v_div_fmas_f32 v8, v8, v9, v12
	v_div_fixup_f32 v8, v8, v10, v11
	s_delay_alu instid0(VALU_DEP_1) | instskip(NEXT) | instid1(VALU_DEP_1)
	v_fmac_f32_e32 v10, v11, v8
	v_div_scale_f32 v9, null, v10, v10, 1.0
	v_div_scale_f32 v13, vcc_lo, 1.0, v10, 1.0
	s_delay_alu instid0(VALU_DEP_2) | instskip(SKIP_2) | instid1(VALU_DEP_1)
	v_rcp_f32_e32 v11, v9
	s_waitcnt_depctr 0xfff
	v_fma_f32 v12, -v9, v11, 1.0
	v_fmac_f32_e32 v11, v12, v11
	s_delay_alu instid0(VALU_DEP_1) | instskip(NEXT) | instid1(VALU_DEP_1)
	v_mul_f32_e32 v12, v13, v11
	v_fma_f32 v14, -v9, v12, v13
	s_delay_alu instid0(VALU_DEP_1) | instskip(NEXT) | instid1(VALU_DEP_1)
	v_fmac_f32_e32 v12, v14, v11
	v_fma_f32 v9, -v9, v12, v13
	s_delay_alu instid0(VALU_DEP_1) | instskip(SKIP_1) | instid1(VALU_DEP_2)
	v_div_fmas_f32 v9, v9, v11, v12
	v_add_f32_e32 v11, 0, v8
	v_div_fixup_f32 v9, v9, v10, 1.0
	v_fma_f32 v10, v8, 0, -1.0
	s_delay_alu instid0(VALU_DEP_2) | instskip(NEXT) | instid1(VALU_DEP_2)
	v_mul_f32_e32 v8, v11, v9
	v_mul_f32_e32 v9, v10, v9
.LBB175_182:
	s_or_b32 exec_lo, exec_lo, s0
	global_load_b64 v[11:12], v7, s[6:7]
	v_mov_b32_e32 v7, 0
	s_waitcnt vmcnt(0)
	v_cmp_neq_f32_e32 vcc_lo, 0, v11
	v_cmp_neq_f32_e64 s0, 0, v12
	s_delay_alu instid0(VALU_DEP_1) | instskip(NEXT) | instid1(SALU_CYCLE_1)
	s_or_b32 s0, vcc_lo, s0
	s_and_saveexec_b32 s2, s0
	s_cbranch_execz .LBB175_212
; %bb.183:
	v_mov_b32_e32 v7, 0x7f800000
	s_mov_b32 s3, exec_lo
	v_cmpx_neq_f32_e64 0x7f800000, |v12|
	s_cbranch_execz .LBB175_211
; %bb.184:
	s_mov_b32 s0, exec_lo
	v_cmpx_o_f32_e32 v11, v11
	s_xor_b32 s10, exec_lo, s0
	s_cbranch_execz .LBB175_208
; %bb.185:
	s_mov_b32 s1, exec_lo
	v_cmpx_neq_f32_e64 0x7f800000, |v11|
	s_xor_b32 s11, exec_lo, s1
	s_cbranch_execz .LBB175_201
; %bb.186:
	v_max_f32_e64 v7, |v12|, |v12|
	v_max_f32_e64 v10, |v11|, |v11|
                                        ; implicit-def: $sgpr12
	s_delay_alu instid0(VALU_DEP_1) | instskip(NEXT) | instid1(VALU_DEP_1)
	v_max_f32_e32 v7, v10, v7
	v_cmp_nle_f32_e64 s0, 0x7ed413cb, v7
	s_delay_alu instid0(VALU_DEP_1) | instskip(NEXT) | instid1(SALU_CYCLE_1)
	s_and_saveexec_b32 s1, s0
	s_xor_b32 s1, exec_lo, s1
	s_cbranch_execz .LBB175_190
; %bb.187:
	v_cmp_ge_f32_e64 s12, 0x1000000, |v11|
	v_cmp_ge_f32_e64 s13, 0x1000000, |v12|
	s_delay_alu instid0(VALU_DEP_1)
	s_and_b32 s14, s12, s13
	s_mov_b32 s12, 0
	s_and_saveexec_b32 s13, s14
; %bb.188:
	v_dual_mul_f32 v12, 4.0, v12 :: v_dual_mul_f32 v11, 4.0, v11
	s_mov_b32 s12, exec_lo
; %bb.189:
	s_or_b32 exec_lo, exec_lo, s13
	s_delay_alu instid0(SALU_CYCLE_1)
	s_and_b32 s12, s12, exec_lo
.LBB175_190:
	s_and_not1_saveexec_b32 s1, s1
; %bb.191:
	v_dual_mul_f32 v11, 0x3e800000, v11 :: v_dual_mul_f32 v12, 0x3e800000, v12
	s_and_not1_b32 s12, s12, exec_lo
; %bb.192:
	s_or_b32 exec_lo, exec_lo, s1
	s_delay_alu instid0(VALU_DEP_1) | instskip(NEXT) | instid1(VALU_DEP_2)
	v_max_f32_e64 v7, |v12|, |v12|
	v_max_f32_e64 v10, |v11|, |v11|
	s_delay_alu instid0(VALU_DEP_1) | instskip(NEXT) | instid1(VALU_DEP_1)
	v_max_f32_e32 v7, v10, v7
	v_cvt_f64_f32_e32 v[13:14], v7
	s_delay_alu instid0(VALU_DEP_1) | instskip(NEXT) | instid1(VALU_DEP_1)
	v_frexp_exp_i32_f64_e32 v10, v[13:14]
	v_sub_nc_u32_e32 v13, 0, v10
	s_delay_alu instid0(VALU_DEP_1) | instskip(SKIP_1) | instid1(VALU_DEP_2)
	v_ldexp_f32 v14, |v12|, v13
	v_ldexp_f32 v13, |v11|, v13
	v_mul_f32_e32 v14, v14, v14
	s_delay_alu instid0(VALU_DEP_1) | instskip(SKIP_1) | instid1(VALU_DEP_2)
	v_fmac_f32_e32 v14, v13, v13
	v_cmp_neq_f32_e64 s1, 0x7f800000, v7
                                        ; implicit-def: $vgpr7
	v_sqrt_f32_e32 v13, v14
	s_waitcnt_depctr 0xfff
	v_ldexp_f32 v10, v13, v10
	s_delay_alu instid0(VALU_DEP_1)
	v_cndmask_b32_e64 v13, 0x7f800000, v10, s1
                                        ; implicit-def: $vgpr10
	s_mov_b32 s1, exec_lo
	v_cmpx_le_f32_e32 0, v11
	s_xor_b32 s13, exec_lo, s1
	s_cbranch_execz .LBB175_194
; %bb.193:
	v_add_f32_e32 v7, v11, v13
	s_delay_alu instid0(VALU_DEP_1) | instskip(NEXT) | instid1(VALU_DEP_1)
	v_mul_f32_e32 v7, 0.5, v7
	v_mul_f32_e32 v10, 0x4f800000, v7
	v_cmp_gt_f32_e32 vcc_lo, 0xf800000, v7
	s_delay_alu instid0(VALU_DEP_2) | instskip(NEXT) | instid1(VALU_DEP_1)
	v_cndmask_b32_e32 v7, v7, v10, vcc_lo
	v_sqrt_f32_e32 v10, v7
	s_waitcnt_depctr 0xfff
	v_add_nc_u32_e32 v11, -1, v10
	v_add_nc_u32_e32 v13, 1, v10
	s_delay_alu instid0(VALU_DEP_2) | instskip(NEXT) | instid1(VALU_DEP_2)
	v_fma_f32 v14, -v11, v10, v7
	v_fma_f32 v15, -v13, v10, v7
	s_delay_alu instid0(VALU_DEP_2) | instskip(NEXT) | instid1(VALU_DEP_1)
	v_cmp_ge_f32_e64 s1, 0, v14
	v_cndmask_b32_e64 v10, v10, v11, s1
	s_delay_alu instid0(VALU_DEP_3) | instskip(NEXT) | instid1(VALU_DEP_1)
	v_cmp_lt_f32_e64 s1, 0, v15
	v_cndmask_b32_e64 v10, v10, v13, s1
	s_delay_alu instid0(VALU_DEP_1) | instskip(NEXT) | instid1(VALU_DEP_1)
	v_mul_f32_e32 v11, 0x37800000, v10
	v_cndmask_b32_e32 v10, v10, v11, vcc_lo
	v_cmp_class_f32_e64 vcc_lo, v7, 0x260
	s_delay_alu instid0(VALU_DEP_2) | instskip(NEXT) | instid1(VALU_DEP_1)
	v_cndmask_b32_e32 v7, v10, v7, vcc_lo
	v_add_f32_e32 v10, v7, v7
	s_delay_alu instid0(VALU_DEP_1) | instskip(NEXT) | instid1(VALU_DEP_1)
	v_div_scale_f32 v11, null, v10, v10, v12
	v_rcp_f32_e32 v13, v11
	s_waitcnt_depctr 0xfff
	v_fma_f32 v14, -v11, v13, 1.0
	s_delay_alu instid0(VALU_DEP_1) | instskip(SKIP_1) | instid1(VALU_DEP_1)
	v_fmac_f32_e32 v13, v14, v13
	v_div_scale_f32 v14, vcc_lo, v12, v10, v12
	v_mul_f32_e32 v15, v14, v13
	s_delay_alu instid0(VALU_DEP_1) | instskip(NEXT) | instid1(VALU_DEP_1)
	v_fma_f32 v16, -v11, v15, v14
	v_fmac_f32_e32 v15, v16, v13
	s_delay_alu instid0(VALU_DEP_1) | instskip(NEXT) | instid1(VALU_DEP_1)
	v_fma_f32 v11, -v11, v15, v14
	v_div_fmas_f32 v11, v11, v13, v15
                                        ; implicit-def: $vgpr13
	s_delay_alu instid0(VALU_DEP_1)
	v_div_fixup_f32 v10, v11, v10, v12
                                        ; implicit-def: $vgpr11
	s_and_not1_saveexec_b32 s13, s13
	s_cbranch_execz .LBB175_196
	s_branch .LBB175_195
.LBB175_194:
	s_and_not1_saveexec_b32 s13, s13
	s_cbranch_execz .LBB175_196
.LBB175_195:
	v_sub_f32_e32 v7, v13, v11
	s_delay_alu instid0(VALU_DEP_1) | instskip(NEXT) | instid1(VALU_DEP_1)
	v_mul_f32_e32 v7, 0.5, v7
	v_mul_f32_e32 v10, 0x4f800000, v7
	v_cmp_gt_f32_e32 vcc_lo, 0xf800000, v7
	s_delay_alu instid0(VALU_DEP_2) | instskip(NEXT) | instid1(VALU_DEP_1)
	v_cndmask_b32_e32 v7, v7, v10, vcc_lo
	v_sqrt_f32_e32 v10, v7
	s_waitcnt_depctr 0xfff
	v_add_nc_u32_e32 v11, -1, v10
	v_add_nc_u32_e32 v13, 1, v10
	s_delay_alu instid0(VALU_DEP_2) | instskip(NEXT) | instid1(VALU_DEP_2)
	v_fma_f32 v14, -v11, v10, v7
	v_fma_f32 v15, -v13, v10, v7
	s_delay_alu instid0(VALU_DEP_2) | instskip(NEXT) | instid1(VALU_DEP_1)
	v_cmp_ge_f32_e64 s1, 0, v14
	v_cndmask_b32_e64 v10, v10, v11, s1
	s_delay_alu instid0(VALU_DEP_3) | instskip(NEXT) | instid1(VALU_DEP_1)
	v_cmp_lt_f32_e64 s1, 0, v15
	v_cndmask_b32_e64 v10, v10, v13, s1
	s_delay_alu instid0(VALU_DEP_1) | instskip(NEXT) | instid1(VALU_DEP_1)
	v_mul_f32_e32 v11, 0x37800000, v10
	v_cndmask_b32_e32 v10, v10, v11, vcc_lo
	v_cmp_class_f32_e64 vcc_lo, v7, 0x260
	s_delay_alu instid0(VALU_DEP_2) | instskip(NEXT) | instid1(VALU_DEP_1)
	v_dual_cndmask_b32 v10, v10, v7 :: v_dual_and_b32 v7, 0x7fffffff, v12
	v_add_f32_e32 v11, v10, v10
	v_bfi_b32 v10, 0x7fffffff, v10, v12
	s_delay_alu instid0(VALU_DEP_2) | instskip(SKIP_1) | instid1(VALU_DEP_2)
	v_div_scale_f32 v13, null, v11, v11, v7
	v_div_scale_f32 v7, vcc_lo, v7, v11, v7
	v_rcp_f32_e32 v14, v13
	s_waitcnt_depctr 0xfff
	v_fma_f32 v15, -v13, v14, 1.0
	s_delay_alu instid0(VALU_DEP_1) | instskip(NEXT) | instid1(VALU_DEP_1)
	v_fmac_f32_e32 v14, v15, v14
	v_mul_f32_e32 v15, v7, v14
	s_delay_alu instid0(VALU_DEP_1) | instskip(NEXT) | instid1(VALU_DEP_1)
	v_fma_f32 v16, -v13, v15, v7
	v_fmac_f32_e32 v15, v16, v14
	s_delay_alu instid0(VALU_DEP_1) | instskip(NEXT) | instid1(VALU_DEP_1)
	v_fma_f32 v7, -v13, v15, v7
	v_div_fmas_f32 v7, v7, v14, v15
	s_delay_alu instid0(VALU_DEP_1)
	v_div_fixup_f32 v7, v7, v11, |v12|
.LBB175_196:
	s_or_b32 exec_lo, exec_lo, s13
                                        ; implicit-def: $vgpr12
	s_and_saveexec_b32 s1, s0
	s_delay_alu instid0(SALU_CYCLE_1)
	s_xor_b32 s0, exec_lo, s1
	s_cbranch_execz .LBB175_198
; %bb.197:
	v_dual_mul_f32 v11, 0.5, v7 :: v_dual_mul_f32 v12, 0.5, v10
	s_delay_alu instid0(VALU_DEP_1) | instskip(NEXT) | instid1(VALU_DEP_2)
	v_cndmask_b32_e64 v11, v7, v11, s12
	v_cndmask_b32_e64 v12, v10, v12, s12
                                        ; implicit-def: $vgpr7
                                        ; implicit-def: $vgpr10
	s_and_not1_saveexec_b32 s0, s0
	s_cbranch_execnz .LBB175_199
	s_branch .LBB175_200
.LBB175_198:
	s_and_not1_saveexec_b32 s0, s0
.LBB175_199:
	v_dual_add_f32 v11, v7, v7 :: v_dual_add_f32 v12, v10, v10
.LBB175_200:
	s_or_b32 exec_lo, exec_lo, s0
.LBB175_201:
	s_and_not1_saveexec_b32 s0, s11
	s_cbranch_execz .LBB175_207
; %bb.202:
	s_delay_alu instid0(VALU_DEP_1)
	v_sub_f32_e32 v7, v12, v12
	s_mov_b32 s1, exec_lo
	v_cmpx_lt_i32_e32 -1, v11
	s_xor_b32 s1, exec_lo, s1
; %bb.203:
	s_delay_alu instid0(VALU_DEP_2)
	v_bfi_b32 v12, 0x7fffffff, v7, v12
                                        ; implicit-def: $vgpr7
; %bb.204:
	s_and_not1_saveexec_b32 s1, s1
; %bb.205:
	v_and_b32_e32 v7, 0x7fffffff, v7
	s_delay_alu instid0(VALU_DEP_2) | instskip(NEXT) | instid1(VALU_DEP_2)
	v_bfi_b32 v12, 0x7fffffff, v11, v12
	v_mov_b32_e32 v11, v7
; %bb.206:
	s_or_b32 exec_lo, exec_lo, s1
.LBB175_207:
	s_delay_alu instid0(SALU_CYCLE_1)
	s_or_b32 exec_lo, exec_lo, s0
.LBB175_208:
	s_and_not1_saveexec_b32 s0, s10
; %bb.209:
	v_sub_f32_e32 v7, v12, v12
	s_delay_alu instid0(VALU_DEP_1) | instskip(NEXT) | instid1(VALU_DEP_1)
	v_div_scale_f32 v10, vcc_lo, v7, v7, v7
	v_rcp_f32_e32 v12, v10
	s_waitcnt_depctr 0xfff
	v_fma_f32 v13, -v10, v12, 1.0
	s_delay_alu instid0(VALU_DEP_1) | instskip(NEXT) | instid1(VALU_DEP_1)
	v_fmac_f32_e32 v12, v13, v12
	v_mul_f32_e32 v13, v10, v12
	s_delay_alu instid0(VALU_DEP_1) | instskip(NEXT) | instid1(VALU_DEP_1)
	v_fma_f32 v14, -v10, v13, v10
	v_fmac_f32_e32 v13, v14, v12
	s_delay_alu instid0(VALU_DEP_1) | instskip(NEXT) | instid1(VALU_DEP_1)
	v_fma_f32 v10, -v10, v13, v10
	v_div_fmas_f32 v10, v10, v12, v13
	s_delay_alu instid0(VALU_DEP_1)
	v_div_fixup_f32 v12, v10, v7, v7
; %bb.210:
	s_or_b32 exec_lo, exec_lo, s0
	v_mov_b32_e32 v7, v11
.LBB175_211:
	s_or_b32 exec_lo, exec_lo, s3
.LBB175_212:
	s_delay_alu instid0(SALU_CYCLE_1) | instskip(NEXT) | instid1(VALU_DEP_1)
	s_or_b32 exec_lo, exec_lo, s2
	v_cmp_gt_f32_e32 vcc_lo, 0, v7
                                        ; implicit-def: $vgpr11
	s_mov_b32 s0, exec_lo
	v_cndmask_b32_e64 v13, v7, -v7, vcc_lo
	v_cmp_gt_f32_e32 vcc_lo, 0, v12
	v_cndmask_b32_e64 v14, v12, -v12, vcc_lo
	s_delay_alu instid0(VALU_DEP_1)
	v_cmpx_ge_f32_e32 v13, v14
	s_xor_b32 s1, exec_lo, s0
	s_cbranch_execz .LBB175_218
; %bb.213:
	v_cmp_neq_f32_e32 vcc_lo, 0, v7
	v_cmp_neq_f32_e64 s0, 0, v12
                                        ; implicit-def: $vgpr11
	s_delay_alu instid0(VALU_DEP_1) | instskip(NEXT) | instid1(SALU_CYCLE_1)
	s_or_b32 s0, vcc_lo, s0
	s_and_saveexec_b32 s2, s0
	s_delay_alu instid0(SALU_CYCLE_1)
	s_xor_b32 s0, exec_lo, s2
	s_cbranch_execz .LBB175_215
; %bb.214:
	v_div_scale_f32 v10, null, v7, v7, v12
	v_div_scale_f32 v14, vcc_lo, v12, v7, v12
	s_delay_alu instid0(VALU_DEP_2) | instskip(SKIP_2) | instid1(VALU_DEP_1)
	v_rcp_f32_e32 v11, v10
	s_waitcnt_depctr 0xfff
	v_fma_f32 v13, -v10, v11, 1.0
	v_fmac_f32_e32 v11, v13, v11
	s_delay_alu instid0(VALU_DEP_1) | instskip(NEXT) | instid1(VALU_DEP_1)
	v_mul_f32_e32 v13, v14, v11
	v_fma_f32 v15, -v10, v13, v14
	s_delay_alu instid0(VALU_DEP_1) | instskip(NEXT) | instid1(VALU_DEP_1)
	v_fmac_f32_e32 v13, v15, v11
	v_fma_f32 v10, -v10, v13, v14
	s_delay_alu instid0(VALU_DEP_1) | instskip(NEXT) | instid1(VALU_DEP_1)
	v_div_fmas_f32 v10, v10, v11, v13
	v_div_fixup_f32 v11, v10, v7, v12
	s_delay_alu instid0(VALU_DEP_1) | instskip(NEXT) | instid1(VALU_DEP_1)
	v_fmac_f32_e32 v7, v12, v11
	v_div_scale_f32 v10, null, v7, v7, 1.0
	s_delay_alu instid0(VALU_DEP_1) | instskip(SKIP_2) | instid1(VALU_DEP_1)
	v_rcp_f32_e32 v12, v10
	s_waitcnt_depctr 0xfff
	v_fma_f32 v13, -v10, v12, 1.0
	v_fmac_f32_e32 v12, v13, v12
	v_div_scale_f32 v14, vcc_lo, 1.0, v7, 1.0
	s_delay_alu instid0(VALU_DEP_1) | instskip(NEXT) | instid1(VALU_DEP_1)
	v_mul_f32_e32 v13, v14, v12
	v_fma_f32 v15, -v10, v13, v14
	s_delay_alu instid0(VALU_DEP_1) | instskip(NEXT) | instid1(VALU_DEP_1)
	v_fmac_f32_e32 v13, v15, v12
	v_fma_f32 v10, -v10, v13, v14
                                        ; implicit-def: $vgpr14
	s_delay_alu instid0(VALU_DEP_1) | instskip(SKIP_1) | instid1(VALU_DEP_2)
	v_div_fmas_f32 v10, v10, v12, v13
	v_fma_f32 v12, v11, 0, 1.0
                                        ; implicit-def: $vgpr13
	v_div_fixup_f32 v7, v10, v7, 1.0
	s_delay_alu instid0(VALU_DEP_1)
	v_mul_f32_e32 v10, v12, v7
	v_mul_f32_e64 v11, -v11, v7
.LBB175_215:
	s_and_not1_saveexec_b32 s2, s0
	s_cbranch_execz .LBB175_217
; %bb.216:
	v_div_scale_f32 v7, null, v13, v13, 1.0
	v_div_scale_f32 v10, null, v14, v14, 0
	v_div_scale_f32 v17, vcc_lo, 1.0, v13, 1.0
	s_delay_alu instid0(VALU_DEP_3) | instskip(NEXT) | instid1(VALU_DEP_2)
	v_rcp_f32_e32 v11, v7
	v_rcp_f32_e32 v12, v10
	s_waitcnt_depctr 0xfff
	v_fma_f32 v15, -v7, v11, 1.0
	v_fma_f32 v16, -v10, v12, 1.0
	s_delay_alu instid0(VALU_DEP_1) | instskip(SKIP_1) | instid1(VALU_DEP_2)
	v_dual_fmac_f32 v11, v15, v11 :: v_dual_fmac_f32 v12, v16, v12
	v_div_scale_f32 v15, s0, 0, v14, 0
	v_mul_f32_e32 v16, v17, v11
	s_delay_alu instid0(VALU_DEP_2) | instskip(NEXT) | instid1(VALU_DEP_2)
	v_mul_f32_e32 v18, v15, v12
	v_fma_f32 v19, -v7, v16, v17
	s_delay_alu instid0(VALU_DEP_2) | instskip(NEXT) | instid1(VALU_DEP_2)
	v_fma_f32 v20, -v10, v18, v15
	v_fmac_f32_e32 v16, v19, v11
	s_delay_alu instid0(VALU_DEP_2) | instskip(NEXT) | instid1(VALU_DEP_2)
	v_fmac_f32_e32 v18, v20, v12
	v_fma_f32 v7, -v7, v16, v17
	s_delay_alu instid0(VALU_DEP_2) | instskip(NEXT) | instid1(VALU_DEP_2)
	v_fma_f32 v10, -v10, v18, v15
	v_div_fmas_f32 v7, v7, v11, v16
	s_mov_b32 vcc_lo, s0
	s_delay_alu instid0(VALU_DEP_2) | instskip(NEXT) | instid1(VALU_DEP_2)
	v_div_fmas_f32 v11, v10, v12, v18
	v_div_fixup_f32 v10, v7, v13, 1.0
	s_delay_alu instid0(VALU_DEP_2)
	v_div_fixup_f32 v11, v11, v14, 0
.LBB175_217:
	s_or_b32 exec_lo, exec_lo, s2
                                        ; implicit-def: $vgpr12
                                        ; implicit-def: $vgpr7
.LBB175_218:
	s_and_not1_saveexec_b32 s0, s1
	s_cbranch_execz .LBB175_220
; %bb.219:
	v_div_scale_f32 v10, null, v12, v12, v7
	v_div_scale_f32 v14, vcc_lo, v7, v12, v7
	s_delay_alu instid0(VALU_DEP_2) | instskip(SKIP_2) | instid1(VALU_DEP_1)
	v_rcp_f32_e32 v11, v10
	s_waitcnt_depctr 0xfff
	v_fma_f32 v13, -v10, v11, 1.0
	v_fmac_f32_e32 v11, v13, v11
	s_delay_alu instid0(VALU_DEP_1) | instskip(NEXT) | instid1(VALU_DEP_1)
	v_mul_f32_e32 v13, v14, v11
	v_fma_f32 v15, -v10, v13, v14
	s_delay_alu instid0(VALU_DEP_1) | instskip(NEXT) | instid1(VALU_DEP_1)
	v_fmac_f32_e32 v13, v15, v11
	v_fma_f32 v10, -v10, v13, v14
	s_delay_alu instid0(VALU_DEP_1) | instskip(NEXT) | instid1(VALU_DEP_1)
	v_div_fmas_f32 v10, v10, v11, v13
	v_div_fixup_f32 v10, v10, v12, v7
	s_delay_alu instid0(VALU_DEP_1) | instskip(NEXT) | instid1(VALU_DEP_1)
	v_fmac_f32_e32 v12, v7, v10
	v_div_scale_f32 v7, null, v12, v12, 1.0
	v_div_scale_f32 v14, vcc_lo, 1.0, v12, 1.0
	s_delay_alu instid0(VALU_DEP_2) | instskip(SKIP_2) | instid1(VALU_DEP_1)
	v_rcp_f32_e32 v11, v7
	s_waitcnt_depctr 0xfff
	v_fma_f32 v13, -v7, v11, 1.0
	v_fmac_f32_e32 v11, v13, v11
	s_delay_alu instid0(VALU_DEP_1) | instskip(NEXT) | instid1(VALU_DEP_1)
	v_mul_f32_e32 v13, v14, v11
	v_fma_f32 v15, -v7, v13, v14
	s_delay_alu instid0(VALU_DEP_1) | instskip(NEXT) | instid1(VALU_DEP_1)
	v_fmac_f32_e32 v13, v15, v11
	v_fma_f32 v7, -v7, v13, v14
	s_delay_alu instid0(VALU_DEP_1) | instskip(SKIP_1) | instid1(VALU_DEP_2)
	v_div_fmas_f32 v7, v7, v11, v13
	v_add_f32_e32 v11, 0, v10
	v_div_fixup_f32 v7, v7, v12, 1.0
	v_fma_f32 v12, v10, 0, -1.0
	s_delay_alu instid0(VALU_DEP_2) | instskip(NEXT) | instid1(VALU_DEP_2)
	v_mul_f32_e32 v10, v11, v7
	v_mul_f32_e32 v11, v12, v7
.LBB175_220:
	s_or_b32 exec_lo, exec_lo, s0
	global_load_b64 v[12:13], v4, s[6:7]
	v_mov_b32_e32 v7, 0
	s_waitcnt vmcnt(0)
	v_cmp_neq_f32_e32 vcc_lo, 0, v12
	v_cmp_neq_f32_e64 s0, 0, v13
	s_delay_alu instid0(VALU_DEP_1) | instskip(NEXT) | instid1(SALU_CYCLE_1)
	s_or_b32 s0, vcc_lo, s0
	s_and_saveexec_b32 s2, s0
	s_cbranch_execz .LBB175_250
; %bb.221:
	v_mov_b32_e32 v7, 0x7f800000
	s_mov_b32 s3, exec_lo
	v_cmpx_neq_f32_e64 0x7f800000, |v13|
	s_cbranch_execz .LBB175_249
; %bb.222:
	s_mov_b32 s0, exec_lo
	v_cmpx_o_f32_e32 v12, v12
	s_xor_b32 s6, exec_lo, s0
	s_cbranch_execz .LBB175_246
; %bb.223:
	s_mov_b32 s1, exec_lo
	v_cmpx_neq_f32_e64 0x7f800000, |v12|
	s_xor_b32 s7, exec_lo, s1
	s_cbranch_execz .LBB175_239
; %bb.224:
	v_max_f32_e64 v4, |v13|, |v13|
	v_max_f32_e64 v7, |v12|, |v12|
                                        ; implicit-def: $sgpr10
	s_delay_alu instid0(VALU_DEP_1) | instskip(NEXT) | instid1(VALU_DEP_1)
	v_max_f32_e32 v4, v7, v4
	v_cmp_nle_f32_e64 s0, 0x7ed413cb, v4
	s_delay_alu instid0(VALU_DEP_1) | instskip(NEXT) | instid1(SALU_CYCLE_1)
	s_and_saveexec_b32 s1, s0
	s_xor_b32 s1, exec_lo, s1
	s_cbranch_execz .LBB175_228
; %bb.225:
	v_cmp_ge_f32_e64 s10, 0x1000000, |v12|
	v_cmp_ge_f32_e64 s11, 0x1000000, |v13|
	s_delay_alu instid0(VALU_DEP_1)
	s_and_b32 s12, s10, s11
	s_mov_b32 s10, 0
	s_and_saveexec_b32 s11, s12
; %bb.226:
	v_dual_mul_f32 v13, 4.0, v13 :: v_dual_mul_f32 v12, 4.0, v12
	s_mov_b32 s10, exec_lo
; %bb.227:
	s_or_b32 exec_lo, exec_lo, s11
	s_delay_alu instid0(SALU_CYCLE_1)
	s_and_b32 s10, s10, exec_lo
.LBB175_228:
	s_and_not1_saveexec_b32 s1, s1
; %bb.229:
	v_dual_mul_f32 v12, 0x3e800000, v12 :: v_dual_mul_f32 v13, 0x3e800000, v13
	s_and_not1_b32 s10, s10, exec_lo
; %bb.230:
	s_or_b32 exec_lo, exec_lo, s1
	s_delay_alu instid0(VALU_DEP_1) | instskip(NEXT) | instid1(VALU_DEP_2)
	v_max_f32_e64 v4, |v13|, |v13|
	v_max_f32_e64 v7, |v12|, |v12|
	s_delay_alu instid0(VALU_DEP_1) | instskip(NEXT) | instid1(VALU_DEP_1)
	v_max_f32_e32 v4, v7, v4
	v_cvt_f64_f32_e32 v[14:15], v4
	s_delay_alu instid0(VALU_DEP_1) | instskip(NEXT) | instid1(VALU_DEP_1)
	v_frexp_exp_i32_f64_e32 v7, v[14:15]
	v_sub_nc_u32_e32 v14, 0, v7
	s_delay_alu instid0(VALU_DEP_1) | instskip(SKIP_1) | instid1(VALU_DEP_2)
	v_ldexp_f32 v15, |v13|, v14
	v_ldexp_f32 v14, |v12|, v14
	v_mul_f32_e32 v15, v15, v15
	s_delay_alu instid0(VALU_DEP_1) | instskip(SKIP_1) | instid1(VALU_DEP_2)
	v_fmac_f32_e32 v15, v14, v14
	v_cmp_neq_f32_e64 s1, 0x7f800000, v4
                                        ; implicit-def: $vgpr4
	v_sqrt_f32_e32 v14, v15
	s_waitcnt_depctr 0xfff
	v_ldexp_f32 v7, v14, v7
	s_delay_alu instid0(VALU_DEP_1)
	v_cndmask_b32_e64 v14, 0x7f800000, v7, s1
                                        ; implicit-def: $vgpr7
	s_mov_b32 s1, exec_lo
	v_cmpx_le_f32_e32 0, v12
	s_xor_b32 s11, exec_lo, s1
	s_cbranch_execz .LBB175_232
; %bb.231:
	v_add_f32_e32 v4, v12, v14
	s_delay_alu instid0(VALU_DEP_1) | instskip(NEXT) | instid1(VALU_DEP_1)
	v_mul_f32_e32 v4, 0.5, v4
	v_mul_f32_e32 v7, 0x4f800000, v4
	v_cmp_gt_f32_e32 vcc_lo, 0xf800000, v4
	s_delay_alu instid0(VALU_DEP_2) | instskip(NEXT) | instid1(VALU_DEP_1)
	v_cndmask_b32_e32 v4, v4, v7, vcc_lo
	v_sqrt_f32_e32 v7, v4
	s_waitcnt_depctr 0xfff
	v_add_nc_u32_e32 v12, -1, v7
	v_add_nc_u32_e32 v14, 1, v7
	s_delay_alu instid0(VALU_DEP_2) | instskip(NEXT) | instid1(VALU_DEP_2)
	v_fma_f32 v15, -v12, v7, v4
	v_fma_f32 v16, -v14, v7, v4
	s_delay_alu instid0(VALU_DEP_2) | instskip(NEXT) | instid1(VALU_DEP_1)
	v_cmp_ge_f32_e64 s1, 0, v15
	v_cndmask_b32_e64 v7, v7, v12, s1
	s_delay_alu instid0(VALU_DEP_3) | instskip(NEXT) | instid1(VALU_DEP_1)
	v_cmp_lt_f32_e64 s1, 0, v16
	v_cndmask_b32_e64 v7, v7, v14, s1
	s_delay_alu instid0(VALU_DEP_1) | instskip(NEXT) | instid1(VALU_DEP_1)
	v_mul_f32_e32 v12, 0x37800000, v7
	v_cndmask_b32_e32 v7, v7, v12, vcc_lo
	v_cmp_class_f32_e64 vcc_lo, v4, 0x260
	s_delay_alu instid0(VALU_DEP_2) | instskip(NEXT) | instid1(VALU_DEP_1)
	v_cndmask_b32_e32 v4, v7, v4, vcc_lo
	v_add_f32_e32 v7, v4, v4
	s_delay_alu instid0(VALU_DEP_1) | instskip(NEXT) | instid1(VALU_DEP_1)
	v_div_scale_f32 v12, null, v7, v7, v13
	v_rcp_f32_e32 v14, v12
	s_waitcnt_depctr 0xfff
	v_fma_f32 v15, -v12, v14, 1.0
	s_delay_alu instid0(VALU_DEP_1) | instskip(SKIP_1) | instid1(VALU_DEP_1)
	v_fmac_f32_e32 v14, v15, v14
	v_div_scale_f32 v15, vcc_lo, v13, v7, v13
	v_mul_f32_e32 v16, v15, v14
	s_delay_alu instid0(VALU_DEP_1) | instskip(NEXT) | instid1(VALU_DEP_1)
	v_fma_f32 v17, -v12, v16, v15
	v_fmac_f32_e32 v16, v17, v14
	s_delay_alu instid0(VALU_DEP_1) | instskip(NEXT) | instid1(VALU_DEP_1)
	v_fma_f32 v12, -v12, v16, v15
	v_div_fmas_f32 v12, v12, v14, v16
                                        ; implicit-def: $vgpr14
	s_delay_alu instid0(VALU_DEP_1)
	v_div_fixup_f32 v7, v12, v7, v13
                                        ; implicit-def: $vgpr12
	s_and_not1_saveexec_b32 s11, s11
	s_cbranch_execz .LBB175_234
	s_branch .LBB175_233
.LBB175_232:
	s_and_not1_saveexec_b32 s11, s11
	s_cbranch_execz .LBB175_234
.LBB175_233:
	v_sub_f32_e32 v4, v14, v12
	s_delay_alu instid0(VALU_DEP_1) | instskip(NEXT) | instid1(VALU_DEP_1)
	v_mul_f32_e32 v4, 0.5, v4
	v_mul_f32_e32 v7, 0x4f800000, v4
	v_cmp_gt_f32_e32 vcc_lo, 0xf800000, v4
	s_delay_alu instid0(VALU_DEP_2) | instskip(NEXT) | instid1(VALU_DEP_1)
	v_cndmask_b32_e32 v4, v4, v7, vcc_lo
	v_sqrt_f32_e32 v7, v4
	s_waitcnt_depctr 0xfff
	v_add_nc_u32_e32 v12, -1, v7
	v_add_nc_u32_e32 v14, 1, v7
	s_delay_alu instid0(VALU_DEP_2) | instskip(NEXT) | instid1(VALU_DEP_2)
	v_fma_f32 v15, -v12, v7, v4
	v_fma_f32 v16, -v14, v7, v4
	s_delay_alu instid0(VALU_DEP_2) | instskip(NEXT) | instid1(VALU_DEP_1)
	v_cmp_ge_f32_e64 s1, 0, v15
	v_cndmask_b32_e64 v7, v7, v12, s1
	s_delay_alu instid0(VALU_DEP_3) | instskip(NEXT) | instid1(VALU_DEP_1)
	v_cmp_lt_f32_e64 s1, 0, v16
	v_cndmask_b32_e64 v7, v7, v14, s1
	s_delay_alu instid0(VALU_DEP_1) | instskip(NEXT) | instid1(VALU_DEP_1)
	v_mul_f32_e32 v12, 0x37800000, v7
	v_cndmask_b32_e32 v7, v7, v12, vcc_lo
	v_cmp_class_f32_e64 vcc_lo, v4, 0x260
	s_delay_alu instid0(VALU_DEP_2) | instskip(NEXT) | instid1(VALU_DEP_1)
	v_dual_cndmask_b32 v7, v7, v4 :: v_dual_and_b32 v4, 0x7fffffff, v13
	v_add_f32_e32 v12, v7, v7
	v_bfi_b32 v7, 0x7fffffff, v7, v13
	s_delay_alu instid0(VALU_DEP_2) | instskip(SKIP_1) | instid1(VALU_DEP_2)
	v_div_scale_f32 v14, null, v12, v12, v4
	v_div_scale_f32 v4, vcc_lo, v4, v12, v4
	v_rcp_f32_e32 v15, v14
	s_waitcnt_depctr 0xfff
	v_fma_f32 v16, -v14, v15, 1.0
	s_delay_alu instid0(VALU_DEP_1) | instskip(NEXT) | instid1(VALU_DEP_1)
	v_fmac_f32_e32 v15, v16, v15
	v_mul_f32_e32 v16, v4, v15
	s_delay_alu instid0(VALU_DEP_1) | instskip(NEXT) | instid1(VALU_DEP_1)
	v_fma_f32 v17, -v14, v16, v4
	v_fmac_f32_e32 v16, v17, v15
	s_delay_alu instid0(VALU_DEP_1) | instskip(NEXT) | instid1(VALU_DEP_1)
	v_fma_f32 v4, -v14, v16, v4
	v_div_fmas_f32 v4, v4, v15, v16
	s_delay_alu instid0(VALU_DEP_1)
	v_div_fixup_f32 v4, v4, v12, |v13|
.LBB175_234:
	s_or_b32 exec_lo, exec_lo, s11
                                        ; implicit-def: $vgpr13
	s_and_saveexec_b32 s1, s0
	s_delay_alu instid0(SALU_CYCLE_1)
	s_xor_b32 s0, exec_lo, s1
	s_cbranch_execz .LBB175_236
; %bb.235:
	v_dual_mul_f32 v12, 0.5, v4 :: v_dual_mul_f32 v13, 0.5, v7
	s_delay_alu instid0(VALU_DEP_1) | instskip(NEXT) | instid1(VALU_DEP_2)
	v_cndmask_b32_e64 v12, v4, v12, s10
	v_cndmask_b32_e64 v13, v7, v13, s10
                                        ; implicit-def: $vgpr4
                                        ; implicit-def: $vgpr7
	s_and_not1_saveexec_b32 s0, s0
	s_cbranch_execnz .LBB175_237
	s_branch .LBB175_238
.LBB175_236:
	s_and_not1_saveexec_b32 s0, s0
.LBB175_237:
	v_dual_add_f32 v12, v4, v4 :: v_dual_add_f32 v13, v7, v7
.LBB175_238:
	s_or_b32 exec_lo, exec_lo, s0
.LBB175_239:
	s_and_not1_saveexec_b32 s0, s7
	s_cbranch_execz .LBB175_245
; %bb.240:
	s_delay_alu instid0(VALU_DEP_1)
	v_sub_f32_e32 v4, v13, v13
	s_mov_b32 s1, exec_lo
	v_cmpx_lt_i32_e32 -1, v12
	s_xor_b32 s1, exec_lo, s1
; %bb.241:
	s_delay_alu instid0(VALU_DEP_2)
	v_bfi_b32 v13, 0x7fffffff, v4, v13
                                        ; implicit-def: $vgpr4
; %bb.242:
	s_and_not1_saveexec_b32 s1, s1
; %bb.243:
	v_and_b32_e32 v4, 0x7fffffff, v4
	s_delay_alu instid0(VALU_DEP_2) | instskip(NEXT) | instid1(VALU_DEP_2)
	v_bfi_b32 v13, 0x7fffffff, v12, v13
	v_mov_b32_e32 v12, v4
; %bb.244:
	s_or_b32 exec_lo, exec_lo, s1
.LBB175_245:
	s_delay_alu instid0(SALU_CYCLE_1)
	s_or_b32 exec_lo, exec_lo, s0
.LBB175_246:
	s_and_not1_saveexec_b32 s0, s6
; %bb.247:
	v_sub_f32_e32 v4, v13, v13
	s_delay_alu instid0(VALU_DEP_1) | instskip(NEXT) | instid1(VALU_DEP_1)
	v_div_scale_f32 v7, vcc_lo, v4, v4, v4
	v_rcp_f32_e32 v13, v7
	s_waitcnt_depctr 0xfff
	v_fma_f32 v14, -v7, v13, 1.0
	s_delay_alu instid0(VALU_DEP_1) | instskip(NEXT) | instid1(VALU_DEP_1)
	v_fmac_f32_e32 v13, v14, v13
	v_mul_f32_e32 v14, v7, v13
	s_delay_alu instid0(VALU_DEP_1) | instskip(NEXT) | instid1(VALU_DEP_1)
	v_fma_f32 v15, -v7, v14, v7
	v_fmac_f32_e32 v14, v15, v13
	s_delay_alu instid0(VALU_DEP_1) | instskip(NEXT) | instid1(VALU_DEP_1)
	v_fma_f32 v7, -v7, v14, v7
	v_div_fmas_f32 v7, v7, v13, v14
	s_delay_alu instid0(VALU_DEP_1)
	v_div_fixup_f32 v13, v7, v4, v4
; %bb.248:
	s_or_b32 exec_lo, exec_lo, s0
	v_mov_b32_e32 v7, v12
.LBB175_249:
	s_or_b32 exec_lo, exec_lo, s3
.LBB175_250:
	s_delay_alu instid0(SALU_CYCLE_1) | instskip(NEXT) | instid1(VALU_DEP_1)
	s_or_b32 exec_lo, exec_lo, s2
	v_cmp_gt_f32_e32 vcc_lo, 0, v7
                                        ; implicit-def: $vgpr4
                                        ; implicit-def: $vgpr14
	s_mov_b32 s0, exec_lo
	v_cndmask_b32_e64 v12, v7, -v7, vcc_lo
	v_cmp_gt_f32_e32 vcc_lo, 0, v13
	v_cndmask_b32_e64 v15, v13, -v13, vcc_lo
	s_delay_alu instid0(VALU_DEP_1)
	v_cmpx_ge_f32_e32 v12, v15
	s_xor_b32 s1, exec_lo, s0
	s_cbranch_execz .LBB175_256
; %bb.251:
	v_cmp_neq_f32_e32 vcc_lo, 0, v7
	v_cmp_neq_f32_e64 s0, 0, v13
                                        ; implicit-def: $vgpr4
                                        ; implicit-def: $vgpr14
	s_delay_alu instid0(VALU_DEP_1) | instskip(NEXT) | instid1(SALU_CYCLE_1)
	s_or_b32 s0, vcc_lo, s0
	s_and_saveexec_b32 s2, s0
	s_delay_alu instid0(SALU_CYCLE_1)
	s_xor_b32 s0, exec_lo, s2
	s_cbranch_execz .LBB175_253
; %bb.252:
	v_div_scale_f32 v4, null, v7, v7, v13
	v_div_scale_f32 v15, vcc_lo, v13, v7, v13
	s_delay_alu instid0(VALU_DEP_2) | instskip(SKIP_2) | instid1(VALU_DEP_1)
	v_rcp_f32_e32 v12, v4
	s_waitcnt_depctr 0xfff
	v_fma_f32 v14, -v4, v12, 1.0
	v_fmac_f32_e32 v12, v14, v12
	s_delay_alu instid0(VALU_DEP_1) | instskip(NEXT) | instid1(VALU_DEP_1)
	v_mul_f32_e32 v14, v15, v12
	v_fma_f32 v16, -v4, v14, v15
	s_delay_alu instid0(VALU_DEP_1) | instskip(NEXT) | instid1(VALU_DEP_1)
	v_fmac_f32_e32 v14, v16, v12
	v_fma_f32 v4, -v4, v14, v15
	s_delay_alu instid0(VALU_DEP_1) | instskip(NEXT) | instid1(VALU_DEP_1)
	v_div_fmas_f32 v4, v4, v12, v14
	v_div_fixup_f32 v4, v4, v7, v13
	s_delay_alu instid0(VALU_DEP_1) | instskip(NEXT) | instid1(VALU_DEP_1)
	v_fmac_f32_e32 v7, v13, v4
	v_div_scale_f32 v12, null, v7, v7, 1.0
	v_div_scale_f32 v15, vcc_lo, 1.0, v7, 1.0
	s_delay_alu instid0(VALU_DEP_2) | instskip(SKIP_2) | instid1(VALU_DEP_1)
	v_rcp_f32_e32 v13, v12
	s_waitcnt_depctr 0xfff
	v_fma_f32 v14, -v12, v13, 1.0
	v_fmac_f32_e32 v13, v14, v13
	s_delay_alu instid0(VALU_DEP_1) | instskip(NEXT) | instid1(VALU_DEP_1)
	v_mul_f32_e32 v14, v15, v13
	v_fma_f32 v16, -v12, v14, v15
	s_delay_alu instid0(VALU_DEP_1) | instskip(NEXT) | instid1(VALU_DEP_1)
	v_fmac_f32_e32 v14, v16, v13
	v_fma_f32 v12, -v12, v14, v15
                                        ; implicit-def: $vgpr15
	s_delay_alu instid0(VALU_DEP_1) | instskip(SKIP_1) | instid1(VALU_DEP_2)
	v_div_fmas_f32 v12, v12, v13, v14
	v_fma_f32 v13, v4, 0, 1.0
	v_div_fixup_f32 v7, v12, v7, 1.0
                                        ; implicit-def: $vgpr12
	s_delay_alu instid0(VALU_DEP_1)
	v_mul_f32_e32 v14, v13, v7
	v_mul_f32_e64 v4, -v4, v7
.LBB175_253:
	s_and_not1_saveexec_b32 s2, s0
	s_cbranch_execz .LBB175_255
; %bb.254:
	v_div_scale_f32 v4, null, v12, v12, 1.0
	v_div_scale_f32 v7, null, v15, v15, 0
	v_div_scale_f32 v18, vcc_lo, 1.0, v12, 1.0
	s_delay_alu instid0(VALU_DEP_3) | instskip(NEXT) | instid1(VALU_DEP_2)
	v_rcp_f32_e32 v13, v4
	v_rcp_f32_e32 v14, v7
	s_waitcnt_depctr 0xfff
	v_fma_f32 v16, -v4, v13, 1.0
	v_fma_f32 v17, -v7, v14, 1.0
	s_delay_alu instid0(VALU_DEP_1) | instskip(SKIP_1) | instid1(VALU_DEP_2)
	v_dual_fmac_f32 v13, v16, v13 :: v_dual_fmac_f32 v14, v17, v14
	v_div_scale_f32 v16, s0, 0, v15, 0
	v_mul_f32_e32 v17, v18, v13
	s_delay_alu instid0(VALU_DEP_2) | instskip(NEXT) | instid1(VALU_DEP_2)
	v_mul_f32_e32 v19, v16, v14
	v_fma_f32 v20, -v4, v17, v18
	s_delay_alu instid0(VALU_DEP_2) | instskip(NEXT) | instid1(VALU_DEP_2)
	v_fma_f32 v21, -v7, v19, v16
	v_fmac_f32_e32 v17, v20, v13
	s_delay_alu instid0(VALU_DEP_2) | instskip(NEXT) | instid1(VALU_DEP_2)
	v_fmac_f32_e32 v19, v21, v14
	v_fma_f32 v4, -v4, v17, v18
	s_delay_alu instid0(VALU_DEP_2) | instskip(NEXT) | instid1(VALU_DEP_2)
	v_fma_f32 v7, -v7, v19, v16
	v_div_fmas_f32 v4, v4, v13, v17
	s_mov_b32 vcc_lo, s0
	s_delay_alu instid0(VALU_DEP_2) | instskip(NEXT) | instid1(VALU_DEP_2)
	v_div_fmas_f32 v7, v7, v14, v19
	v_div_fixup_f32 v14, v4, v12, 1.0
	s_delay_alu instid0(VALU_DEP_2)
	v_div_fixup_f32 v4, v7, v15, 0
.LBB175_255:
	s_or_b32 exec_lo, exec_lo, s2
                                        ; implicit-def: $vgpr13
                                        ; implicit-def: $vgpr7
.LBB175_256:
	s_and_not1_saveexec_b32 s0, s1
	s_cbranch_execz .LBB175_258
; %bb.257:
	v_div_scale_f32 v4, null, v13, v13, v7
	v_div_scale_f32 v15, vcc_lo, v7, v13, v7
	s_delay_alu instid0(VALU_DEP_2) | instskip(SKIP_2) | instid1(VALU_DEP_1)
	v_rcp_f32_e32 v12, v4
	s_waitcnt_depctr 0xfff
	v_fma_f32 v14, -v4, v12, 1.0
	v_fmac_f32_e32 v12, v14, v12
	s_delay_alu instid0(VALU_DEP_1) | instskip(NEXT) | instid1(VALU_DEP_1)
	v_mul_f32_e32 v14, v15, v12
	v_fma_f32 v16, -v4, v14, v15
	s_delay_alu instid0(VALU_DEP_1) | instskip(NEXT) | instid1(VALU_DEP_1)
	v_fmac_f32_e32 v14, v16, v12
	v_fma_f32 v4, -v4, v14, v15
	s_delay_alu instid0(VALU_DEP_1) | instskip(NEXT) | instid1(VALU_DEP_1)
	v_div_fmas_f32 v4, v4, v12, v14
	v_div_fixup_f32 v4, v4, v13, v7
	s_delay_alu instid0(VALU_DEP_1) | instskip(NEXT) | instid1(VALU_DEP_1)
	v_fmac_f32_e32 v13, v7, v4
	v_div_scale_f32 v7, null, v13, v13, 1.0
	v_div_scale_f32 v15, vcc_lo, 1.0, v13, 1.0
	s_delay_alu instid0(VALU_DEP_2) | instskip(SKIP_2) | instid1(VALU_DEP_1)
	v_rcp_f32_e32 v12, v7
	s_waitcnt_depctr 0xfff
	v_fma_f32 v14, -v7, v12, 1.0
	v_fmac_f32_e32 v12, v14, v12
	s_delay_alu instid0(VALU_DEP_1) | instskip(NEXT) | instid1(VALU_DEP_1)
	v_mul_f32_e32 v14, v15, v12
	v_fma_f32 v16, -v7, v14, v15
	s_delay_alu instid0(VALU_DEP_1) | instskip(NEXT) | instid1(VALU_DEP_1)
	v_fmac_f32_e32 v14, v16, v12
	v_fma_f32 v7, -v7, v14, v15
	s_delay_alu instid0(VALU_DEP_1) | instskip(SKIP_2) | instid1(VALU_DEP_3)
	v_div_fmas_f32 v7, v7, v12, v14
	v_add_f32_e32 v12, 0, v4
	v_fma_f32 v4, v4, 0, -1.0
	v_div_fixup_f32 v7, v7, v13, 1.0
	s_delay_alu instid0(VALU_DEP_1) | instskip(NEXT) | instid1(VALU_DEP_3)
	v_mul_f32_e32 v14, v12, v7
	v_mul_f32_e32 v4, v4, v7
.LBB175_258:
	s_or_b32 exec_lo, exec_lo, s0
	v_add_co_u32 v12, s0, s4, v3
	s_delay_alu instid0(VALU_DEP_1)
	v_add_co_ci_u32_e64 v13, null, s5, 0, s0
	s_or_b32 s8, s8, exec_lo
	s_clause 0x3
	global_store_b64 v0, v[5:6], s[4:5]
	global_store_b64 v1, v[8:9], s[4:5]
	;; [unrolled: 1-line block ×3, first 2 shown]
	global_store_b32 v3, v14, s[4:5]
	s_or_b32 exec_lo, exec_lo, s9
	s_and_saveexec_b32 s0, s8
	s_cbranch_execnz .LBB175_422
.LBB175_259:
	s_nop 0
	s_sendmsg sendmsg(MSG_DEALLOC_VGPRS)
	s_endpgm
.LBB175_260:
	s_and_not1_saveexec_b32 s35, s35
	s_cbranch_execz .LBB175_262
.LBB175_261:
	v_sub_f32_e32 v1, v5, v1
	s_delay_alu instid0(VALU_DEP_1) | instskip(NEXT) | instid1(VALU_DEP_1)
	v_mul_f32_e32 v1, 0.5, v1
	v_mul_f32_e32 v3, 0x4f800000, v1
	v_cmp_gt_f32_e32 vcc_lo, 0xf800000, v1
	s_delay_alu instid0(VALU_DEP_2) | instskip(NEXT) | instid1(VALU_DEP_1)
	v_cndmask_b32_e32 v1, v1, v3, vcc_lo
	v_sqrt_f32_e32 v3, v1
	s_waitcnt_depctr 0xfff
	v_add_nc_u32_e32 v4, -1, v3
	v_add_nc_u32_e32 v5, 1, v3
	s_delay_alu instid0(VALU_DEP_2) | instskip(NEXT) | instid1(VALU_DEP_2)
	v_fma_f32 v7, -v4, v3, v1
	v_fma_f32 v8, -v5, v3, v1
	s_delay_alu instid0(VALU_DEP_2) | instskip(NEXT) | instid1(VALU_DEP_1)
	v_cmp_ge_f32_e64 s3, 0, v7
	v_cndmask_b32_e64 v3, v3, v4, s3
	s_delay_alu instid0(VALU_DEP_3) | instskip(NEXT) | instid1(VALU_DEP_1)
	v_cmp_lt_f32_e64 s3, 0, v8
	v_cndmask_b32_e64 v3, v3, v5, s3
	s_delay_alu instid0(VALU_DEP_1) | instskip(NEXT) | instid1(VALU_DEP_1)
	v_mul_f32_e32 v4, 0x37800000, v3
	v_cndmask_b32_e32 v3, v3, v4, vcc_lo
	v_cmp_class_f32_e64 vcc_lo, v1, 0x260
	s_delay_alu instid0(VALU_DEP_2) | instskip(NEXT) | instid1(VALU_DEP_1)
	v_cndmask_b32_e32 v1, v3, v1, vcc_lo
	v_dual_add_f32 v4, v1, v1 :: v_dual_and_b32 v3, 0x7fffffff, v2
	s_delay_alu instid0(VALU_DEP_1) | instskip(SKIP_1) | instid1(VALU_DEP_2)
	v_div_scale_f32 v5, null, v4, v4, v3
	v_div_scale_f32 v3, vcc_lo, v3, v4, v3
	v_rcp_f32_e32 v7, v5
	s_waitcnt_depctr 0xfff
	v_fma_f32 v8, -v5, v7, 1.0
	s_delay_alu instid0(VALU_DEP_1) | instskip(NEXT) | instid1(VALU_DEP_1)
	v_fmac_f32_e32 v7, v8, v7
	v_mul_f32_e32 v8, v3, v7
	s_delay_alu instid0(VALU_DEP_1) | instskip(NEXT) | instid1(VALU_DEP_1)
	v_fma_f32 v9, -v5, v8, v3
	v_fmac_f32_e32 v8, v9, v7
	s_delay_alu instid0(VALU_DEP_1) | instskip(NEXT) | instid1(VALU_DEP_1)
	v_fma_f32 v3, -v5, v8, v3
	v_div_fmas_f32 v3, v3, v7, v8
	s_delay_alu instid0(VALU_DEP_1)
	v_div_fixup_f32 v3, v3, v4, |v2|
	v_bfi_b32 v4, 0x7fffffff, v1, v2
.LBB175_262:
	s_or_b32 exec_lo, exec_lo, s35
                                        ; implicit-def: $vgpr2
	s_and_saveexec_b32 s3, s2
	s_delay_alu instid0(SALU_CYCLE_1)
	s_xor_b32 s2, exec_lo, s3
	s_cbranch_execz .LBB175_268
; %bb.263:
	v_dual_mul_f32 v1, 0.5, v3 :: v_dual_mul_f32 v2, 0.5, v4
	s_delay_alu instid0(VALU_DEP_1) | instskip(NEXT) | instid1(VALU_DEP_2)
	v_cndmask_b32_e64 v1, v3, v1, s34
	v_cndmask_b32_e64 v2, v4, v2, s34
                                        ; implicit-def: $vgpr3
                                        ; implicit-def: $vgpr4
	s_and_not1_saveexec_b32 s2, s2
	s_cbranch_execnz .LBB175_269
	s_branch .LBB175_270
.LBB175_264:
	s_and_not1_saveexec_b32 s35, s35
	s_cbranch_execz .LBB175_266
.LBB175_265:
	v_sub_f32_e32 v1, v5, v1
	s_delay_alu instid0(VALU_DEP_1) | instskip(NEXT) | instid1(VALU_DEP_1)
	v_mul_f32_e32 v1, 0.5, v1
	v_mul_f32_e32 v3, 0x4f800000, v1
	v_cmp_gt_f32_e32 vcc_lo, 0xf800000, v1
	s_delay_alu instid0(VALU_DEP_2) | instskip(NEXT) | instid1(VALU_DEP_1)
	v_cndmask_b32_e32 v1, v1, v3, vcc_lo
	v_sqrt_f32_e32 v3, v1
	s_waitcnt_depctr 0xfff
	v_add_nc_u32_e32 v4, -1, v3
	v_add_nc_u32_e32 v5, 1, v3
	s_delay_alu instid0(VALU_DEP_2) | instskip(NEXT) | instid1(VALU_DEP_2)
	v_fma_f32 v7, -v4, v3, v1
	v_fma_f32 v8, -v5, v3, v1
	s_delay_alu instid0(VALU_DEP_2) | instskip(NEXT) | instid1(VALU_DEP_1)
	v_cmp_ge_f32_e64 s3, 0, v7
	v_cndmask_b32_e64 v3, v3, v4, s3
	s_delay_alu instid0(VALU_DEP_3) | instskip(NEXT) | instid1(VALU_DEP_1)
	v_cmp_lt_f32_e64 s3, 0, v8
	v_cndmask_b32_e64 v3, v3, v5, s3
	s_delay_alu instid0(VALU_DEP_1) | instskip(NEXT) | instid1(VALU_DEP_1)
	v_mul_f32_e32 v4, 0x37800000, v3
	v_cndmask_b32_e32 v3, v3, v4, vcc_lo
	v_cmp_class_f32_e64 vcc_lo, v1, 0x260
	s_delay_alu instid0(VALU_DEP_2) | instskip(NEXT) | instid1(VALU_DEP_1)
	v_cndmask_b32_e32 v1, v3, v1, vcc_lo
	v_dual_add_f32 v4, v1, v1 :: v_dual_and_b32 v3, 0x7fffffff, v2
	s_delay_alu instid0(VALU_DEP_1) | instskip(SKIP_1) | instid1(VALU_DEP_2)
	v_div_scale_f32 v5, null, v4, v4, v3
	v_div_scale_f32 v3, vcc_lo, v3, v4, v3
	v_rcp_f32_e32 v7, v5
	s_waitcnt_depctr 0xfff
	v_fma_f32 v8, -v5, v7, 1.0
	s_delay_alu instid0(VALU_DEP_1) | instskip(NEXT) | instid1(VALU_DEP_1)
	v_fmac_f32_e32 v7, v8, v7
	v_mul_f32_e32 v8, v3, v7
	s_delay_alu instid0(VALU_DEP_1) | instskip(NEXT) | instid1(VALU_DEP_1)
	v_fma_f32 v9, -v5, v8, v3
	v_fmac_f32_e32 v8, v9, v7
	s_delay_alu instid0(VALU_DEP_1) | instskip(NEXT) | instid1(VALU_DEP_1)
	v_fma_f32 v3, -v5, v8, v3
	v_div_fmas_f32 v3, v3, v7, v8
	s_delay_alu instid0(VALU_DEP_1)
	v_div_fixup_f32 v3, v3, v4, |v2|
	v_bfi_b32 v4, 0x7fffffff, v1, v2
.LBB175_266:
	s_or_b32 exec_lo, exec_lo, s35
                                        ; implicit-def: $vgpr2
	s_and_saveexec_b32 s3, s2
	s_delay_alu instid0(SALU_CYCLE_1)
	s_xor_b32 s2, exec_lo, s3
	s_cbranch_execz .LBB175_292
; %bb.267:
	v_dual_mul_f32 v1, 0.5, v3 :: v_dual_mul_f32 v2, 0.5, v4
	s_delay_alu instid0(VALU_DEP_1) | instskip(NEXT) | instid1(VALU_DEP_2)
	v_cndmask_b32_e64 v1, v3, v1, s34
	v_cndmask_b32_e64 v2, v4, v2, s34
                                        ; implicit-def: $vgpr3
                                        ; implicit-def: $vgpr4
	s_and_not1_saveexec_b32 s2, s2
	s_cbranch_execnz .LBB175_293
	s_branch .LBB175_294
.LBB175_268:
	s_and_not1_saveexec_b32 s2, s2
.LBB175_269:
	v_dual_add_f32 v1, v3, v3 :: v_dual_add_f32 v2, v4, v4
.LBB175_270:
	s_or_b32 exec_lo, exec_lo, s2
.LBB175_271:
	s_and_not1_saveexec_b32 s2, s33
	s_cbranch_execz .LBB175_277
; %bb.272:
	s_delay_alu instid0(VALU_DEP_1)
	v_sub_f32_e32 v3, v2, v2
	s_mov_b32 s3, exec_lo
	v_cmpx_lt_i32_e32 -1, v1
	s_xor_b32 s3, exec_lo, s3
; %bb.273:
	s_delay_alu instid0(VALU_DEP_2)
	v_bfi_b32 v2, 0x7fffffff, v3, v2
                                        ; implicit-def: $vgpr3
; %bb.274:
	s_and_not1_saveexec_b32 s3, s3
; %bb.275:
	v_and_b32_e32 v3, 0x7fffffff, v3
	s_delay_alu instid0(VALU_DEP_2) | instskip(NEXT) | instid1(VALU_DEP_2)
	v_bfi_b32 v2, 0x7fffffff, v1, v2
	v_mov_b32_e32 v1, v3
; %bb.276:
	s_or_b32 exec_lo, exec_lo, s3
.LBB175_277:
	s_delay_alu instid0(SALU_CYCLE_1)
	s_or_b32 exec_lo, exec_lo, s2
.LBB175_278:
	s_and_not1_saveexec_b32 s2, s31
; %bb.279:
	v_sub_f32_e32 v2, v2, v2
	s_delay_alu instid0(VALU_DEP_1) | instskip(NEXT) | instid1(VALU_DEP_1)
	v_div_scale_f32 v3, vcc_lo, v2, v2, v2
	v_rcp_f32_e32 v4, v3
	s_waitcnt_depctr 0xfff
	v_fma_f32 v5, -v3, v4, 1.0
	s_delay_alu instid0(VALU_DEP_1) | instskip(NEXT) | instid1(VALU_DEP_1)
	v_fmac_f32_e32 v4, v5, v4
	v_mul_f32_e32 v5, v3, v4
	s_delay_alu instid0(VALU_DEP_1) | instskip(NEXT) | instid1(VALU_DEP_1)
	v_fma_f32 v7, -v3, v5, v3
	v_fmac_f32_e32 v5, v7, v4
	s_delay_alu instid0(VALU_DEP_1) | instskip(NEXT) | instid1(VALU_DEP_1)
	v_fma_f32 v3, -v3, v5, v3
	v_div_fmas_f32 v3, v3, v4, v5
	s_delay_alu instid0(VALU_DEP_1)
	v_div_fixup_f32 v2, v3, v2, v2
; %bb.280:
	s_or_b32 exec_lo, exec_lo, s2
	v_mov_b32_e32 v5, v1
.LBB175_281:
	s_or_b32 exec_lo, exec_lo, s21
.LBB175_282:
	s_delay_alu instid0(SALU_CYCLE_1) | instskip(NEXT) | instid1(VALU_DEP_1)
	s_or_b32 exec_lo, exec_lo, s20
	v_cmp_gt_f32_e32 vcc_lo, 0, v5
                                        ; implicit-def: $vgpr4
	s_mov_b32 s2, exec_lo
	v_cndmask_b32_e64 v1, v5, -v5, vcc_lo
	v_cmp_gt_f32_e32 vcc_lo, 0, v2
	v_cndmask_b32_e64 v7, v2, -v2, vcc_lo
	s_delay_alu instid0(VALU_DEP_1)
	v_cmpx_ge_f32_e32 v1, v7
	s_xor_b32 s3, exec_lo, s2
	s_cbranch_execz .LBB175_288
; %bb.283:
	v_cmp_neq_f32_e32 vcc_lo, 0, v5
	v_cmp_neq_f32_e64 s2, 0, v2
                                        ; implicit-def: $vgpr4
	s_delay_alu instid0(VALU_DEP_1) | instskip(NEXT) | instid1(SALU_CYCLE_1)
	s_or_b32 s2, vcc_lo, s2
	s_and_saveexec_b32 s20, s2
	s_delay_alu instid0(SALU_CYCLE_1)
	s_xor_b32 s2, exec_lo, s20
	s_cbranch_execz .LBB175_285
; %bb.284:
	v_div_scale_f32 v1, null, v5, v5, v2
	v_div_scale_f32 v7, vcc_lo, v2, v5, v2
	s_delay_alu instid0(VALU_DEP_2) | instskip(SKIP_2) | instid1(VALU_DEP_1)
	v_rcp_f32_e32 v3, v1
	s_waitcnt_depctr 0xfff
	v_fma_f32 v4, -v1, v3, 1.0
	v_fmac_f32_e32 v3, v4, v3
	s_delay_alu instid0(VALU_DEP_1) | instskip(NEXT) | instid1(VALU_DEP_1)
	v_mul_f32_e32 v4, v7, v3
	v_fma_f32 v8, -v1, v4, v7
	s_delay_alu instid0(VALU_DEP_1) | instskip(NEXT) | instid1(VALU_DEP_1)
	v_fmac_f32_e32 v4, v8, v3
	v_fma_f32 v1, -v1, v4, v7
	s_delay_alu instid0(VALU_DEP_1) | instskip(NEXT) | instid1(VALU_DEP_1)
	v_div_fmas_f32 v1, v1, v3, v4
	v_div_fixup_f32 v1, v1, v5, v2
	s_delay_alu instid0(VALU_DEP_1) | instskip(NEXT) | instid1(VALU_DEP_1)
	v_fmac_f32_e32 v5, v2, v1
	v_div_scale_f32 v2, null, v5, v5, 1.0
	v_div_scale_f32 v7, vcc_lo, 1.0, v5, 1.0
	s_delay_alu instid0(VALU_DEP_2) | instskip(SKIP_2) | instid1(VALU_DEP_1)
	v_rcp_f32_e32 v3, v2
	s_waitcnt_depctr 0xfff
	v_fma_f32 v4, -v2, v3, 1.0
	v_fmac_f32_e32 v3, v4, v3
	s_delay_alu instid0(VALU_DEP_1) | instskip(NEXT) | instid1(VALU_DEP_1)
	v_mul_f32_e32 v4, v7, v3
	v_fma_f32 v8, -v2, v4, v7
	s_delay_alu instid0(VALU_DEP_1) | instskip(NEXT) | instid1(VALU_DEP_1)
	v_fmac_f32_e32 v4, v8, v3
	v_fma_f32 v2, -v2, v4, v7
                                        ; implicit-def: $vgpr7
	s_delay_alu instid0(VALU_DEP_1) | instskip(SKIP_1) | instid1(VALU_DEP_2)
	v_div_fmas_f32 v2, v2, v3, v4
	v_fma_f32 v3, v1, 0, 1.0
	v_div_fixup_f32 v2, v2, v5, 1.0
	s_delay_alu instid0(VALU_DEP_1)
	v_mul_f32_e32 v3, v3, v2
	v_mul_f32_e64 v4, -v1, v2
                                        ; implicit-def: $vgpr1
.LBB175_285:
	s_and_not1_saveexec_b32 s20, s2
	s_cbranch_execz .LBB175_287
; %bb.286:
	v_div_scale_f32 v2, null, v1, v1, 1.0
	v_div_scale_f32 v3, null, v7, v7, 0
	v_div_scale_f32 v10, vcc_lo, 1.0, v1, 1.0
	s_delay_alu instid0(VALU_DEP_3) | instskip(NEXT) | instid1(VALU_DEP_2)
	v_rcp_f32_e32 v4, v2
	v_rcp_f32_e32 v5, v3
	s_waitcnt_depctr 0xfff
	v_fma_f32 v8, -v2, v4, 1.0
	v_fma_f32 v9, -v3, v5, 1.0
	s_delay_alu instid0(VALU_DEP_1) | instskip(SKIP_1) | instid1(VALU_DEP_2)
	v_dual_fmac_f32 v4, v8, v4 :: v_dual_fmac_f32 v5, v9, v5
	v_div_scale_f32 v8, s2, 0, v7, 0
	v_mul_f32_e32 v9, v10, v4
	s_delay_alu instid0(VALU_DEP_2) | instskip(NEXT) | instid1(VALU_DEP_2)
	v_mul_f32_e32 v11, v8, v5
	v_fma_f32 v12, -v2, v9, v10
	s_delay_alu instid0(VALU_DEP_2) | instskip(NEXT) | instid1(VALU_DEP_2)
	v_fma_f32 v13, -v3, v11, v8
	v_fmac_f32_e32 v9, v12, v4
	s_delay_alu instid0(VALU_DEP_2) | instskip(NEXT) | instid1(VALU_DEP_2)
	v_fmac_f32_e32 v11, v13, v5
	v_fma_f32 v2, -v2, v9, v10
	s_delay_alu instid0(VALU_DEP_2) | instskip(NEXT) | instid1(VALU_DEP_2)
	v_fma_f32 v3, -v3, v11, v8
	v_div_fmas_f32 v2, v2, v4, v9
	s_mov_b32 vcc_lo, s2
	s_delay_alu instid0(VALU_DEP_2) | instskip(NEXT) | instid1(VALU_DEP_2)
	v_div_fmas_f32 v4, v3, v5, v11
	v_div_fixup_f32 v3, v2, v1, 1.0
	s_delay_alu instid0(VALU_DEP_2)
	v_div_fixup_f32 v4, v4, v7, 0
.LBB175_287:
	s_or_b32 exec_lo, exec_lo, s20
                                        ; implicit-def: $vgpr2
                                        ; implicit-def: $vgpr5
.LBB175_288:
	s_and_not1_saveexec_b32 s2, s3
	s_cbranch_execz .LBB175_290
; %bb.289:
	v_div_scale_f32 v1, null, v2, v2, v5
	v_div_scale_f32 v7, vcc_lo, v5, v2, v5
	s_delay_alu instid0(VALU_DEP_2) | instskip(SKIP_2) | instid1(VALU_DEP_1)
	v_rcp_f32_e32 v3, v1
	s_waitcnt_depctr 0xfff
	v_fma_f32 v4, -v1, v3, 1.0
	v_fmac_f32_e32 v3, v4, v3
	s_delay_alu instid0(VALU_DEP_1) | instskip(NEXT) | instid1(VALU_DEP_1)
	v_mul_f32_e32 v4, v7, v3
	v_fma_f32 v8, -v1, v4, v7
	s_delay_alu instid0(VALU_DEP_1) | instskip(NEXT) | instid1(VALU_DEP_1)
	v_fmac_f32_e32 v4, v8, v3
	v_fma_f32 v1, -v1, v4, v7
	s_delay_alu instid0(VALU_DEP_1) | instskip(NEXT) | instid1(VALU_DEP_1)
	v_div_fmas_f32 v1, v1, v3, v4
	v_div_fixup_f32 v1, v1, v2, v5
	s_delay_alu instid0(VALU_DEP_1) | instskip(NEXT) | instid1(VALU_DEP_1)
	v_fmac_f32_e32 v2, v5, v1
	v_div_scale_f32 v3, null, v2, v2, 1.0
	v_div_scale_f32 v7, vcc_lo, 1.0, v2, 1.0
	s_delay_alu instid0(VALU_DEP_2) | instskip(SKIP_2) | instid1(VALU_DEP_1)
	v_rcp_f32_e32 v4, v3
	s_waitcnt_depctr 0xfff
	v_fma_f32 v5, -v3, v4, 1.0
	v_fmac_f32_e32 v4, v5, v4
	s_delay_alu instid0(VALU_DEP_1) | instskip(NEXT) | instid1(VALU_DEP_1)
	v_mul_f32_e32 v5, v7, v4
	v_fma_f32 v8, -v3, v5, v7
	s_delay_alu instid0(VALU_DEP_1) | instskip(NEXT) | instid1(VALU_DEP_1)
	v_fmac_f32_e32 v5, v8, v4
	v_fma_f32 v3, -v3, v5, v7
	s_delay_alu instid0(VALU_DEP_1) | instskip(SKIP_2) | instid1(VALU_DEP_3)
	v_div_fmas_f32 v3, v3, v4, v5
	v_add_f32_e32 v4, 0, v1
	v_fma_f32 v1, v1, 0, -1.0
	v_div_fixup_f32 v2, v3, v2, 1.0
	s_delay_alu instid0(VALU_DEP_1) | instskip(NEXT) | instid1(VALU_DEP_3)
	v_mul_f32_e32 v3, v4, v2
	v_mul_f32_e32 v4, v1, v2
.LBB175_290:
	s_or_b32 exec_lo, exec_lo, s2
	v_add_nc_u32_e32 v6, 0x80, v6
	global_store_b64 v0, v[3:4], s[4:5]
	s_or_b32 exec_lo, exec_lo, s30
	s_delay_alu instid0(SALU_CYCLE_1)
	s_mov_b32 s30, exec_lo
	v_cmpx_gt_i32_e64 s27, v6
	s_cbranch_execnz .LBB175_15
.LBB175_291:
	s_or_b32 exec_lo, exec_lo, s30
	s_delay_alu instid0(SALU_CYCLE_1)
	s_mov_b32 s30, exec_lo
	v_cmpx_gt_i32_e64 s27, v6
	s_cbranch_execnz .LBB175_315
	s_branch .LBB175_367
.LBB175_292:
	s_and_not1_saveexec_b32 s2, s2
.LBB175_293:
	v_dual_add_f32 v1, v3, v3 :: v_dual_add_f32 v2, v4, v4
.LBB175_294:
	s_or_b32 exec_lo, exec_lo, s2
.LBB175_295:
	s_and_not1_saveexec_b32 s2, s33
	s_cbranch_execz .LBB175_301
; %bb.296:
	s_delay_alu instid0(VALU_DEP_1)
	v_sub_f32_e32 v3, v2, v2
	s_mov_b32 s3, exec_lo
	v_cmpx_lt_i32_e32 -1, v1
	s_xor_b32 s3, exec_lo, s3
; %bb.297:
	s_delay_alu instid0(VALU_DEP_2)
	v_bfi_b32 v2, 0x7fffffff, v3, v2
                                        ; implicit-def: $vgpr3
; %bb.298:
	s_and_not1_saveexec_b32 s3, s3
; %bb.299:
	v_and_b32_e32 v3, 0x7fffffff, v3
	s_delay_alu instid0(VALU_DEP_2) | instskip(NEXT) | instid1(VALU_DEP_2)
	v_bfi_b32 v2, 0x7fffffff, v1, v2
	v_mov_b32_e32 v1, v3
; %bb.300:
	s_or_b32 exec_lo, exec_lo, s3
.LBB175_301:
	s_delay_alu instid0(SALU_CYCLE_1)
	s_or_b32 exec_lo, exec_lo, s2
.LBB175_302:
	s_and_not1_saveexec_b32 s2, s31
; %bb.303:
	v_sub_f32_e32 v2, v2, v2
	s_delay_alu instid0(VALU_DEP_1) | instskip(NEXT) | instid1(VALU_DEP_1)
	v_div_scale_f32 v3, vcc_lo, v2, v2, v2
	v_rcp_f32_e32 v4, v3
	s_waitcnt_depctr 0xfff
	v_fma_f32 v5, -v3, v4, 1.0
	s_delay_alu instid0(VALU_DEP_1) | instskip(NEXT) | instid1(VALU_DEP_1)
	v_fmac_f32_e32 v4, v5, v4
	v_mul_f32_e32 v5, v3, v4
	s_delay_alu instid0(VALU_DEP_1) | instskip(NEXT) | instid1(VALU_DEP_1)
	v_fma_f32 v7, -v3, v5, v3
	v_fmac_f32_e32 v5, v7, v4
	s_delay_alu instid0(VALU_DEP_1) | instskip(NEXT) | instid1(VALU_DEP_1)
	v_fma_f32 v3, -v3, v5, v3
	v_div_fmas_f32 v3, v3, v4, v5
	s_delay_alu instid0(VALU_DEP_1)
	v_div_fixup_f32 v2, v3, v2, v2
; %bb.304:
	s_or_b32 exec_lo, exec_lo, s2
	v_mov_b32_e32 v5, v1
.LBB175_305:
	s_or_b32 exec_lo, exec_lo, s21
.LBB175_306:
	s_delay_alu instid0(SALU_CYCLE_1) | instskip(NEXT) | instid1(VALU_DEP_1)
	s_or_b32 exec_lo, exec_lo, s20
	v_cmp_gt_f32_e32 vcc_lo, 0, v5
                                        ; implicit-def: $vgpr4
	s_mov_b32 s2, exec_lo
	v_cndmask_b32_e64 v1, v5, -v5, vcc_lo
	v_cmp_gt_f32_e32 vcc_lo, 0, v2
	v_cndmask_b32_e64 v7, v2, -v2, vcc_lo
	s_delay_alu instid0(VALU_DEP_1)
	v_cmpx_ge_f32_e32 v1, v7
	s_xor_b32 s3, exec_lo, s2
	s_cbranch_execz .LBB175_312
; %bb.307:
	v_cmp_neq_f32_e32 vcc_lo, 0, v5
	v_cmp_neq_f32_e64 s2, 0, v2
                                        ; implicit-def: $vgpr4
	s_delay_alu instid0(VALU_DEP_1) | instskip(NEXT) | instid1(SALU_CYCLE_1)
	s_or_b32 s2, vcc_lo, s2
	s_and_saveexec_b32 s20, s2
	s_delay_alu instid0(SALU_CYCLE_1)
	s_xor_b32 s2, exec_lo, s20
	s_cbranch_execz .LBB175_309
; %bb.308:
	v_div_scale_f32 v1, null, v5, v5, v2
	v_div_scale_f32 v7, vcc_lo, v2, v5, v2
	s_delay_alu instid0(VALU_DEP_2) | instskip(SKIP_2) | instid1(VALU_DEP_1)
	v_rcp_f32_e32 v3, v1
	s_waitcnt_depctr 0xfff
	v_fma_f32 v4, -v1, v3, 1.0
	v_fmac_f32_e32 v3, v4, v3
	s_delay_alu instid0(VALU_DEP_1) | instskip(NEXT) | instid1(VALU_DEP_1)
	v_mul_f32_e32 v4, v7, v3
	v_fma_f32 v8, -v1, v4, v7
	s_delay_alu instid0(VALU_DEP_1) | instskip(NEXT) | instid1(VALU_DEP_1)
	v_fmac_f32_e32 v4, v8, v3
	v_fma_f32 v1, -v1, v4, v7
	s_delay_alu instid0(VALU_DEP_1) | instskip(NEXT) | instid1(VALU_DEP_1)
	v_div_fmas_f32 v1, v1, v3, v4
	v_div_fixup_f32 v1, v1, v5, v2
	s_delay_alu instid0(VALU_DEP_1) | instskip(NEXT) | instid1(VALU_DEP_1)
	v_fmac_f32_e32 v5, v2, v1
	v_div_scale_f32 v2, null, v5, v5, 1.0
	v_div_scale_f32 v7, vcc_lo, 1.0, v5, 1.0
	s_delay_alu instid0(VALU_DEP_2) | instskip(SKIP_2) | instid1(VALU_DEP_1)
	v_rcp_f32_e32 v3, v2
	s_waitcnt_depctr 0xfff
	v_fma_f32 v4, -v2, v3, 1.0
	v_fmac_f32_e32 v3, v4, v3
	s_delay_alu instid0(VALU_DEP_1) | instskip(NEXT) | instid1(VALU_DEP_1)
	v_mul_f32_e32 v4, v7, v3
	v_fma_f32 v8, -v2, v4, v7
	s_delay_alu instid0(VALU_DEP_1) | instskip(NEXT) | instid1(VALU_DEP_1)
	v_fmac_f32_e32 v4, v8, v3
	v_fma_f32 v2, -v2, v4, v7
                                        ; implicit-def: $vgpr7
	s_delay_alu instid0(VALU_DEP_1) | instskip(SKIP_1) | instid1(VALU_DEP_2)
	v_div_fmas_f32 v2, v2, v3, v4
	v_fma_f32 v3, v1, 0, 1.0
	v_div_fixup_f32 v2, v2, v5, 1.0
	s_delay_alu instid0(VALU_DEP_1)
	v_mul_f32_e32 v3, v3, v2
	v_mul_f32_e64 v4, -v1, v2
                                        ; implicit-def: $vgpr1
.LBB175_309:
	s_and_not1_saveexec_b32 s20, s2
	s_cbranch_execz .LBB175_311
; %bb.310:
	v_div_scale_f32 v2, null, v1, v1, 1.0
	v_div_scale_f32 v3, null, v7, v7, 0
	v_div_scale_f32 v10, vcc_lo, 1.0, v1, 1.0
	s_delay_alu instid0(VALU_DEP_3) | instskip(NEXT) | instid1(VALU_DEP_2)
	v_rcp_f32_e32 v4, v2
	v_rcp_f32_e32 v5, v3
	s_waitcnt_depctr 0xfff
	v_fma_f32 v8, -v2, v4, 1.0
	v_fma_f32 v9, -v3, v5, 1.0
	s_delay_alu instid0(VALU_DEP_1) | instskip(SKIP_1) | instid1(VALU_DEP_2)
	v_dual_fmac_f32 v4, v8, v4 :: v_dual_fmac_f32 v5, v9, v5
	v_div_scale_f32 v8, s2, 0, v7, 0
	v_mul_f32_e32 v9, v10, v4
	s_delay_alu instid0(VALU_DEP_2) | instskip(NEXT) | instid1(VALU_DEP_2)
	v_mul_f32_e32 v11, v8, v5
	v_fma_f32 v12, -v2, v9, v10
	s_delay_alu instid0(VALU_DEP_2) | instskip(NEXT) | instid1(VALU_DEP_2)
	v_fma_f32 v13, -v3, v11, v8
	v_fmac_f32_e32 v9, v12, v4
	s_delay_alu instid0(VALU_DEP_2) | instskip(NEXT) | instid1(VALU_DEP_2)
	v_fmac_f32_e32 v11, v13, v5
	v_fma_f32 v2, -v2, v9, v10
	s_delay_alu instid0(VALU_DEP_2) | instskip(NEXT) | instid1(VALU_DEP_2)
	v_fma_f32 v3, -v3, v11, v8
	v_div_fmas_f32 v2, v2, v4, v9
	s_mov_b32 vcc_lo, s2
	s_delay_alu instid0(VALU_DEP_2) | instskip(NEXT) | instid1(VALU_DEP_2)
	v_div_fmas_f32 v4, v3, v5, v11
	v_div_fixup_f32 v3, v2, v1, 1.0
	s_delay_alu instid0(VALU_DEP_2)
	v_div_fixup_f32 v4, v4, v7, 0
.LBB175_311:
	s_or_b32 exec_lo, exec_lo, s20
                                        ; implicit-def: $vgpr2
                                        ; implicit-def: $vgpr5
.LBB175_312:
	s_and_not1_saveexec_b32 s2, s3
	s_cbranch_execz .LBB175_314
; %bb.313:
	v_div_scale_f32 v1, null, v2, v2, v5
	v_div_scale_f32 v7, vcc_lo, v5, v2, v5
	s_delay_alu instid0(VALU_DEP_2) | instskip(SKIP_2) | instid1(VALU_DEP_1)
	v_rcp_f32_e32 v3, v1
	s_waitcnt_depctr 0xfff
	v_fma_f32 v4, -v1, v3, 1.0
	v_fmac_f32_e32 v3, v4, v3
	s_delay_alu instid0(VALU_DEP_1) | instskip(NEXT) | instid1(VALU_DEP_1)
	v_mul_f32_e32 v4, v7, v3
	v_fma_f32 v8, -v1, v4, v7
	s_delay_alu instid0(VALU_DEP_1) | instskip(NEXT) | instid1(VALU_DEP_1)
	v_fmac_f32_e32 v4, v8, v3
	v_fma_f32 v1, -v1, v4, v7
	s_delay_alu instid0(VALU_DEP_1) | instskip(NEXT) | instid1(VALU_DEP_1)
	v_div_fmas_f32 v1, v1, v3, v4
	v_div_fixup_f32 v1, v1, v2, v5
	s_delay_alu instid0(VALU_DEP_1) | instskip(NEXT) | instid1(VALU_DEP_1)
	v_fmac_f32_e32 v2, v5, v1
	v_div_scale_f32 v3, null, v2, v2, 1.0
	v_div_scale_f32 v7, vcc_lo, 1.0, v2, 1.0
	s_delay_alu instid0(VALU_DEP_2) | instskip(SKIP_2) | instid1(VALU_DEP_1)
	v_rcp_f32_e32 v4, v3
	s_waitcnt_depctr 0xfff
	v_fma_f32 v5, -v3, v4, 1.0
	v_fmac_f32_e32 v4, v5, v4
	s_delay_alu instid0(VALU_DEP_1) | instskip(NEXT) | instid1(VALU_DEP_1)
	v_mul_f32_e32 v5, v7, v4
	v_fma_f32 v8, -v3, v5, v7
	s_delay_alu instid0(VALU_DEP_1) | instskip(NEXT) | instid1(VALU_DEP_1)
	v_fmac_f32_e32 v5, v8, v4
	v_fma_f32 v3, -v3, v5, v7
	s_delay_alu instid0(VALU_DEP_1) | instskip(SKIP_2) | instid1(VALU_DEP_3)
	v_div_fmas_f32 v3, v3, v4, v5
	v_add_f32_e32 v4, 0, v1
	v_fma_f32 v1, v1, 0, -1.0
	v_div_fixup_f32 v2, v3, v2, 1.0
	s_delay_alu instid0(VALU_DEP_1) | instskip(NEXT) | instid1(VALU_DEP_3)
	v_mul_f32_e32 v3, v4, v2
	v_mul_f32_e32 v4, v1, v2
.LBB175_314:
	s_or_b32 exec_lo, exec_lo, s2
	v_add_nc_u32_e32 v6, 0x80, v6
	global_store_b64 v0, v[3:4], s[4:5]
	s_or_b32 exec_lo, exec_lo, s30
	s_delay_alu instid0(SALU_CYCLE_1)
	s_mov_b32 s30, exec_lo
	v_cmpx_gt_i32_e64 s27, v6
	s_cbranch_execz .LBB175_367
.LBB175_315:
	s_and_not1_b32 vcc_lo, exec_lo, s24
	s_cbranch_vccnz .LBB175_320
; %bb.316:
	v_dual_mov_b32 v0, 0 :: v_dual_mov_b32 v1, 0
	s_and_not1_b32 vcc_lo, exec_lo, s29
	s_mov_b32 s31, 0
	s_cbranch_vccnz .LBB175_325
; %bb.317:
	v_mov_b32_e32 v0, 0
	s_add_i32 s34, s28, 1
	s_cmp_eq_u32 s23, 2
	s_mov_b32 s33, 0
	s_cbranch_scc1 .LBB175_321
; %bb.318:
	v_dual_mov_b32 v1, 0 :: v_dual_mov_b32 v0, 0
	v_mov_b32_e32 v2, v6
	s_and_b32 s33, s34, 28
	s_mov_b32 s35, 0
	s_mov_b64 s[2:3], s[18:19]
	s_mov_b64 s[20:21], s[0:1]
.LBB175_319:                            ; =>This Inner Loop Header: Depth=1
	s_clause 0x1
	s_load_b256 s[36:43], s[20:21], 0x4
	s_load_b128 s[52:55], s[20:21], 0x24
	s_load_b256 s[44:51], s[2:3], 0x0
	s_add_u32 s20, s20, 48
	s_addc_u32 s21, s21, 0
	s_add_i32 s35, s35, 4
	s_add_u32 s2, s2, 32
	s_addc_u32 s3, s3, 0
	s_cmp_eq_u32 s33, s35
	s_waitcnt lgkmcnt(0)
	v_mul_hi_u32 v3, s37, v2
	s_delay_alu instid0(VALU_DEP_1) | instskip(NEXT) | instid1(VALU_DEP_1)
	v_add_nc_u32_e32 v3, v2, v3
	v_lshrrev_b32_e32 v3, s38, v3
	s_delay_alu instid0(VALU_DEP_1) | instskip(SKIP_1) | instid1(VALU_DEP_2)
	v_mul_hi_u32 v4, s40, v3
	v_mul_lo_u32 v7, v3, s36
	v_add_nc_u32_e32 v4, v3, v4
	s_delay_alu instid0(VALU_DEP_2) | instskip(NEXT) | instid1(VALU_DEP_2)
	v_sub_nc_u32_e32 v2, v2, v7
	v_lshrrev_b32_e32 v4, s41, v4
	s_delay_alu instid0(VALU_DEP_2) | instskip(SKIP_1) | instid1(VALU_DEP_3)
	v_mul_lo_u32 v7, v2, s44
	v_mul_lo_u32 v9, v2, s45
	v_mul_hi_u32 v5, s43, v4
	s_delay_alu instid0(VALU_DEP_1) | instskip(NEXT) | instid1(VALU_DEP_1)
	v_add_nc_u32_e32 v5, v4, v5
	v_lshrrev_b32_e32 v5, s52, v5
	s_delay_alu instid0(VALU_DEP_1) | instskip(SKIP_1) | instid1(VALU_DEP_2)
	v_mul_hi_u32 v8, s54, v5
	v_mul_lo_u32 v10, v5, s42
	v_add_nc_u32_e32 v2, v5, v8
	v_mul_lo_u32 v8, v4, s39
	s_delay_alu instid0(VALU_DEP_3) | instskip(NEXT) | instid1(VALU_DEP_3)
	v_sub_nc_u32_e32 v4, v4, v10
	v_lshrrev_b32_e32 v2, s55, v2
	s_delay_alu instid0(VALU_DEP_2) | instskip(SKIP_2) | instid1(VALU_DEP_4)
	v_mul_lo_u32 v10, v4, s48
	v_mul_lo_u32 v4, v4, s49
	v_sub_nc_u32_e32 v3, v3, v8
	v_mul_lo_u32 v11, v2, s53
	s_delay_alu instid0(VALU_DEP_2) | instskip(SKIP_1) | instid1(VALU_DEP_3)
	v_mul_lo_u32 v8, v3, s46
	v_mul_lo_u32 v3, v3, s47
	v_sub_nc_u32_e32 v5, v5, v11
	s_delay_alu instid0(VALU_DEP_3) | instskip(NEXT) | instid1(VALU_DEP_2)
	v_add3_u32 v0, v7, v0, v8
	v_mul_lo_u32 v11, v5, s50
	v_mul_lo_u32 v5, v5, s51
	v_add3_u32 v1, v9, v1, v3
	s_delay_alu instid0(VALU_DEP_3) | instskip(NEXT) | instid1(VALU_DEP_2)
	v_add3_u32 v0, v10, v0, v11
	v_add3_u32 v1, v4, v1, v5
	s_cbranch_scc0 .LBB175_319
	s_branch .LBB175_322
.LBB175_320:
	s_mov_b32 s31, -1
                                        ; implicit-def: $vgpr0
                                        ; implicit-def: $vgpr1
	s_branch .LBB175_325
.LBB175_321:
	v_dual_mov_b32 v2, v6 :: v_dual_mov_b32 v1, 0
.LBB175_322:
	s_and_b32 s34, s34, 3
	s_delay_alu instid0(SALU_CYCLE_1)
	s_cmp_eq_u32 s34, 0
	s_cbranch_scc1 .LBB175_325
; %bb.323:
	s_lshl_b32 s2, s33, 3
	s_mul_i32 s20, s33, 12
	s_add_u32 s2, s2, s0
	s_addc_u32 s3, s1, 0
	s_add_u32 s2, s2, 0xc4
	s_addc_u32 s3, s3, 0
	s_add_u32 s20, s0, s20
	s_addc_u32 s21, s1, 0
	.p2align	6
.LBB175_324:                            ; =>This Inner Loop Header: Depth=1
	s_clause 0x1
	s_load_b64 s[36:37], s[20:21], 0x4
	s_load_b32 s33, s[20:21], 0xc
	s_load_b64 s[38:39], s[2:3], 0x0
	s_add_u32 s20, s20, 12
	s_addc_u32 s21, s21, 0
	s_add_u32 s2, s2, 8
	s_addc_u32 s3, s3, 0
	s_add_i32 s34, s34, -1
	s_delay_alu instid0(SALU_CYCLE_1) | instskip(SKIP_2) | instid1(VALU_DEP_1)
	s_cmp_lg_u32 s34, 0
	s_waitcnt lgkmcnt(0)
	v_mul_hi_u32 v3, s37, v2
	v_add_nc_u32_e32 v3, v2, v3
	s_delay_alu instid0(VALU_DEP_1) | instskip(NEXT) | instid1(VALU_DEP_1)
	v_lshrrev_b32_e32 v7, s33, v3
	v_mul_lo_u32 v3, v7, s36
	s_delay_alu instid0(VALU_DEP_1) | instskip(NEXT) | instid1(VALU_DEP_1)
	v_sub_nc_u32_e32 v2, v2, v3
	v_mad_u64_u32 v[3:4], null, v2, s38, v[0:1]
	v_mad_u64_u32 v[4:5], null, v2, s39, v[1:2]
	v_mov_b32_e32 v2, v7
	s_delay_alu instid0(VALU_DEP_2)
	v_dual_mov_b32 v0, v3 :: v_dual_mov_b32 v1, v4
	s_cbranch_scc1 .LBB175_324
.LBB175_325:
	s_and_not1_b32 vcc_lo, exec_lo, s31
	s_cbranch_vccnz .LBB175_328
; %bb.326:
	s_waitcnt lgkmcnt(0)
	v_mul_hi_u32 v0, s13, v6
	s_and_not1_b32 vcc_lo, exec_lo, s26
	s_delay_alu instid0(VALU_DEP_1) | instskip(NEXT) | instid1(VALU_DEP_1)
	v_add_nc_u32_e32 v0, v6, v0
	v_lshrrev_b32_e32 v2, s14, v0
	s_delay_alu instid0(VALU_DEP_1) | instskip(NEXT) | instid1(VALU_DEP_1)
	v_mul_lo_u32 v0, v2, s12
	v_sub_nc_u32_e32 v1, v6, v0
	s_delay_alu instid0(VALU_DEP_1)
	v_mul_lo_u32 v0, v1, s8
	v_mul_lo_u32 v1, v1, s9
	s_cbranch_vccnz .LBB175_328
; %bb.327:
	v_mul_hi_u32 v3, s16, v2
	s_delay_alu instid0(VALU_DEP_1) | instskip(NEXT) | instid1(VALU_DEP_1)
	v_add_nc_u32_e32 v3, v2, v3
	v_lshrrev_b32_e32 v3, s17, v3
	s_delay_alu instid0(VALU_DEP_1) | instskip(NEXT) | instid1(VALU_DEP_1)
	v_mul_lo_u32 v3, v3, s15
	v_sub_nc_u32_e32 v5, v2, v3
	s_delay_alu instid0(VALU_DEP_1) | instskip(NEXT) | instid1(VALU_DEP_1)
	v_mad_u64_u32 v[2:3], null, v5, s10, v[0:1]
	v_mad_u64_u32 v[3:4], null, v5, s11, v[1:2]
	s_delay_alu instid0(VALU_DEP_1)
	v_dual_mov_b32 v0, v2 :: v_dual_mov_b32 v1, v3
.LBB175_328:
	s_waitcnt lgkmcnt(0)
	global_load_b64 v[1:2], v1, s[6:7]
	v_mov_b32_e32 v5, 0
	s_waitcnt vmcnt(0)
	v_cmp_neq_f32_e32 vcc_lo, 0, v1
	v_cmp_neq_f32_e64 s2, 0, v2
	s_delay_alu instid0(VALU_DEP_1) | instskip(NEXT) | instid1(SALU_CYCLE_1)
	s_or_b32 s2, vcc_lo, s2
	s_and_saveexec_b32 s20, s2
	s_cbranch_execz .LBB175_358
; %bb.329:
	v_mov_b32_e32 v5, 0x7f800000
	s_mov_b32 s21, exec_lo
	v_cmpx_neq_f32_e64 0x7f800000, |v2|
	s_cbranch_execz .LBB175_357
; %bb.330:
	s_mov_b32 s2, exec_lo
	v_cmpx_o_f32_e32 v1, v1
	s_xor_b32 s31, exec_lo, s2
	s_cbranch_execz .LBB175_354
; %bb.331:
	s_mov_b32 s3, exec_lo
	v_cmpx_neq_f32_e64 0x7f800000, |v1|
	s_xor_b32 s33, exec_lo, s3
	s_cbranch_execz .LBB175_347
; %bb.332:
	v_max_f32_e64 v3, |v2|, |v2|
	v_max_f32_e64 v4, |v1|, |v1|
                                        ; implicit-def: $sgpr34
	s_delay_alu instid0(VALU_DEP_1) | instskip(NEXT) | instid1(VALU_DEP_1)
	v_max_f32_e32 v3, v4, v3
	v_cmp_nle_f32_e64 s2, 0x7ed413cb, v3
	s_delay_alu instid0(VALU_DEP_1) | instskip(NEXT) | instid1(SALU_CYCLE_1)
	s_and_saveexec_b32 s3, s2
	s_xor_b32 s3, exec_lo, s3
	s_cbranch_execz .LBB175_336
; %bb.333:
	v_cmp_ge_f32_e64 s34, 0x1000000, |v1|
	v_cmp_ge_f32_e64 s35, 0x1000000, |v2|
	s_delay_alu instid0(VALU_DEP_1)
	s_and_b32 s36, s34, s35
	s_mov_b32 s34, 0
	s_and_saveexec_b32 s35, s36
; %bb.334:
	v_dual_mul_f32 v2, 4.0, v2 :: v_dual_mul_f32 v1, 4.0, v1
	s_mov_b32 s34, exec_lo
; %bb.335:
	s_or_b32 exec_lo, exec_lo, s35
	s_delay_alu instid0(SALU_CYCLE_1)
	s_and_b32 s34, s34, exec_lo
.LBB175_336:
	s_and_not1_saveexec_b32 s3, s3
; %bb.337:
	v_dual_mul_f32 v1, 0x3e800000, v1 :: v_dual_mul_f32 v2, 0x3e800000, v2
	s_and_not1_b32 s34, s34, exec_lo
; %bb.338:
	s_or_b32 exec_lo, exec_lo, s3
	s_delay_alu instid0(VALU_DEP_1) | instskip(NEXT) | instid1(VALU_DEP_2)
	v_max_f32_e64 v3, |v2|, |v2|
	v_max_f32_e64 v4, |v1|, |v1|
	s_delay_alu instid0(VALU_DEP_1) | instskip(NEXT) | instid1(VALU_DEP_1)
	v_max_f32_e32 v5, v4, v3
	v_cvt_f64_f32_e32 v[3:4], v5
	v_cmp_neq_f32_e64 s3, 0x7f800000, v5
	s_delay_alu instid0(VALU_DEP_2) | instskip(NEXT) | instid1(VALU_DEP_1)
	v_frexp_exp_i32_f64_e32 v3, v[3:4]
	v_sub_nc_u32_e32 v4, 0, v3
	s_delay_alu instid0(VALU_DEP_1) | instskip(SKIP_1) | instid1(VALU_DEP_2)
	v_ldexp_f32 v7, |v2|, v4
	v_ldexp_f32 v4, |v1|, v4
	v_mul_f32_e32 v7, v7, v7
	s_delay_alu instid0(VALU_DEP_1) | instskip(NEXT) | instid1(VALU_DEP_1)
	v_fmac_f32_e32 v7, v4, v4
	v_sqrt_f32_e32 v4, v7
	s_waitcnt_depctr 0xfff
	v_ldexp_f32 v3, v4, v3
                                        ; implicit-def: $vgpr4
	s_delay_alu instid0(VALU_DEP_1)
	v_cndmask_b32_e64 v5, 0x7f800000, v3, s3
                                        ; implicit-def: $vgpr3
	s_mov_b32 s3, exec_lo
	v_cmpx_le_f32_e32 0, v1
	s_xor_b32 s35, exec_lo, s3
	s_cbranch_execz .LBB175_340
; %bb.339:
	v_add_f32_e32 v1, v1, v5
	s_delay_alu instid0(VALU_DEP_1) | instskip(NEXT) | instid1(VALU_DEP_1)
	v_mul_f32_e32 v1, 0.5, v1
	v_mul_f32_e32 v3, 0x4f800000, v1
	v_cmp_gt_f32_e32 vcc_lo, 0xf800000, v1
	s_delay_alu instid0(VALU_DEP_2) | instskip(NEXT) | instid1(VALU_DEP_1)
	v_cndmask_b32_e32 v1, v1, v3, vcc_lo
	v_sqrt_f32_e32 v3, v1
	s_waitcnt_depctr 0xfff
	v_add_nc_u32_e32 v4, -1, v3
	v_add_nc_u32_e32 v5, 1, v3
	s_delay_alu instid0(VALU_DEP_2) | instskip(NEXT) | instid1(VALU_DEP_2)
	v_fma_f32 v7, -v4, v3, v1
	v_fma_f32 v8, -v5, v3, v1
	s_delay_alu instid0(VALU_DEP_2) | instskip(NEXT) | instid1(VALU_DEP_1)
	v_cmp_ge_f32_e64 s3, 0, v7
	v_cndmask_b32_e64 v3, v3, v4, s3
	s_delay_alu instid0(VALU_DEP_3) | instskip(NEXT) | instid1(VALU_DEP_1)
	v_cmp_lt_f32_e64 s3, 0, v8
	v_cndmask_b32_e64 v3, v3, v5, s3
	s_delay_alu instid0(VALU_DEP_1) | instskip(NEXT) | instid1(VALU_DEP_1)
	v_mul_f32_e32 v4, 0x37800000, v3
	v_cndmask_b32_e32 v3, v3, v4, vcc_lo
	v_cmp_class_f32_e64 vcc_lo, v1, 0x260
	s_delay_alu instid0(VALU_DEP_2) | instskip(NEXT) | instid1(VALU_DEP_1)
	v_cndmask_b32_e32 v3, v3, v1, vcc_lo
	v_add_f32_e32 v1, v3, v3
	s_delay_alu instid0(VALU_DEP_1) | instskip(NEXT) | instid1(VALU_DEP_1)
	v_div_scale_f32 v4, null, v1, v1, v2
	v_rcp_f32_e32 v5, v4
	s_waitcnt_depctr 0xfff
	v_fma_f32 v7, -v4, v5, 1.0
	s_delay_alu instid0(VALU_DEP_1) | instskip(SKIP_1) | instid1(VALU_DEP_1)
	v_fmac_f32_e32 v5, v7, v5
	v_div_scale_f32 v7, vcc_lo, v2, v1, v2
	v_mul_f32_e32 v8, v7, v5
	s_delay_alu instid0(VALU_DEP_1) | instskip(NEXT) | instid1(VALU_DEP_1)
	v_fma_f32 v9, -v4, v8, v7
	v_fmac_f32_e32 v8, v9, v5
	s_delay_alu instid0(VALU_DEP_1) | instskip(NEXT) | instid1(VALU_DEP_1)
	v_fma_f32 v4, -v4, v8, v7
	v_div_fmas_f32 v4, v4, v5, v8
                                        ; implicit-def: $vgpr5
	s_delay_alu instid0(VALU_DEP_1)
	v_div_fixup_f32 v4, v4, v1, v2
                                        ; implicit-def: $vgpr1
	s_and_not1_saveexec_b32 s35, s35
	s_cbranch_execz .LBB175_342
	s_branch .LBB175_341
.LBB175_340:
	s_and_not1_saveexec_b32 s35, s35
	s_cbranch_execz .LBB175_342
.LBB175_341:
	v_sub_f32_e32 v1, v5, v1
	s_delay_alu instid0(VALU_DEP_1) | instskip(NEXT) | instid1(VALU_DEP_1)
	v_mul_f32_e32 v1, 0.5, v1
	v_mul_f32_e32 v3, 0x4f800000, v1
	v_cmp_gt_f32_e32 vcc_lo, 0xf800000, v1
	s_delay_alu instid0(VALU_DEP_2) | instskip(NEXT) | instid1(VALU_DEP_1)
	v_cndmask_b32_e32 v1, v1, v3, vcc_lo
	v_sqrt_f32_e32 v3, v1
	s_waitcnt_depctr 0xfff
	v_add_nc_u32_e32 v4, -1, v3
	v_add_nc_u32_e32 v5, 1, v3
	s_delay_alu instid0(VALU_DEP_2) | instskip(NEXT) | instid1(VALU_DEP_2)
	v_fma_f32 v7, -v4, v3, v1
	v_fma_f32 v8, -v5, v3, v1
	s_delay_alu instid0(VALU_DEP_2) | instskip(NEXT) | instid1(VALU_DEP_1)
	v_cmp_ge_f32_e64 s3, 0, v7
	v_cndmask_b32_e64 v3, v3, v4, s3
	s_delay_alu instid0(VALU_DEP_3) | instskip(NEXT) | instid1(VALU_DEP_1)
	v_cmp_lt_f32_e64 s3, 0, v8
	v_cndmask_b32_e64 v3, v3, v5, s3
	s_delay_alu instid0(VALU_DEP_1) | instskip(NEXT) | instid1(VALU_DEP_1)
	v_mul_f32_e32 v4, 0x37800000, v3
	v_cndmask_b32_e32 v3, v3, v4, vcc_lo
	v_cmp_class_f32_e64 vcc_lo, v1, 0x260
	s_delay_alu instid0(VALU_DEP_2) | instskip(NEXT) | instid1(VALU_DEP_1)
	v_cndmask_b32_e32 v1, v3, v1, vcc_lo
	v_dual_add_f32 v4, v1, v1 :: v_dual_and_b32 v3, 0x7fffffff, v2
	s_delay_alu instid0(VALU_DEP_1) | instskip(SKIP_1) | instid1(VALU_DEP_2)
	v_div_scale_f32 v5, null, v4, v4, v3
	v_div_scale_f32 v3, vcc_lo, v3, v4, v3
	v_rcp_f32_e32 v7, v5
	s_waitcnt_depctr 0xfff
	v_fma_f32 v8, -v5, v7, 1.0
	s_delay_alu instid0(VALU_DEP_1) | instskip(NEXT) | instid1(VALU_DEP_1)
	v_fmac_f32_e32 v7, v8, v7
	v_mul_f32_e32 v8, v3, v7
	s_delay_alu instid0(VALU_DEP_1) | instskip(NEXT) | instid1(VALU_DEP_1)
	v_fma_f32 v9, -v5, v8, v3
	v_fmac_f32_e32 v8, v9, v7
	s_delay_alu instid0(VALU_DEP_1) | instskip(NEXT) | instid1(VALU_DEP_1)
	v_fma_f32 v3, -v5, v8, v3
	v_div_fmas_f32 v3, v3, v7, v8
	s_delay_alu instid0(VALU_DEP_1)
	v_div_fixup_f32 v3, v3, v4, |v2|
	v_bfi_b32 v4, 0x7fffffff, v1, v2
.LBB175_342:
	s_or_b32 exec_lo, exec_lo, s35
                                        ; implicit-def: $vgpr2
	s_and_saveexec_b32 s3, s2
	s_delay_alu instid0(SALU_CYCLE_1)
	s_xor_b32 s2, exec_lo, s3
	s_cbranch_execz .LBB175_344
; %bb.343:
	v_dual_mul_f32 v1, 0.5, v3 :: v_dual_mul_f32 v2, 0.5, v4
	s_delay_alu instid0(VALU_DEP_1) | instskip(NEXT) | instid1(VALU_DEP_2)
	v_cndmask_b32_e64 v1, v3, v1, s34
	v_cndmask_b32_e64 v2, v4, v2, s34
                                        ; implicit-def: $vgpr3
                                        ; implicit-def: $vgpr4
	s_and_not1_saveexec_b32 s2, s2
	s_cbranch_execnz .LBB175_345
	s_branch .LBB175_346
.LBB175_344:
	s_and_not1_saveexec_b32 s2, s2
.LBB175_345:
	v_dual_add_f32 v1, v3, v3 :: v_dual_add_f32 v2, v4, v4
.LBB175_346:
	s_or_b32 exec_lo, exec_lo, s2
.LBB175_347:
	s_and_not1_saveexec_b32 s2, s33
	s_cbranch_execz .LBB175_353
; %bb.348:
	s_delay_alu instid0(VALU_DEP_1)
	v_sub_f32_e32 v3, v2, v2
	s_mov_b32 s3, exec_lo
	v_cmpx_lt_i32_e32 -1, v1
	s_xor_b32 s3, exec_lo, s3
; %bb.349:
	s_delay_alu instid0(VALU_DEP_2)
	v_bfi_b32 v2, 0x7fffffff, v3, v2
                                        ; implicit-def: $vgpr3
; %bb.350:
	s_and_not1_saveexec_b32 s3, s3
; %bb.351:
	v_and_b32_e32 v3, 0x7fffffff, v3
	s_delay_alu instid0(VALU_DEP_2) | instskip(NEXT) | instid1(VALU_DEP_2)
	v_bfi_b32 v2, 0x7fffffff, v1, v2
	v_mov_b32_e32 v1, v3
; %bb.352:
	s_or_b32 exec_lo, exec_lo, s3
.LBB175_353:
	s_delay_alu instid0(SALU_CYCLE_1)
	s_or_b32 exec_lo, exec_lo, s2
.LBB175_354:
	s_and_not1_saveexec_b32 s2, s31
; %bb.355:
	v_sub_f32_e32 v2, v2, v2
	s_delay_alu instid0(VALU_DEP_1) | instskip(NEXT) | instid1(VALU_DEP_1)
	v_div_scale_f32 v3, vcc_lo, v2, v2, v2
	v_rcp_f32_e32 v4, v3
	s_waitcnt_depctr 0xfff
	v_fma_f32 v5, -v3, v4, 1.0
	s_delay_alu instid0(VALU_DEP_1) | instskip(NEXT) | instid1(VALU_DEP_1)
	v_fmac_f32_e32 v4, v5, v4
	v_mul_f32_e32 v5, v3, v4
	s_delay_alu instid0(VALU_DEP_1) | instskip(NEXT) | instid1(VALU_DEP_1)
	v_fma_f32 v7, -v3, v5, v3
	v_fmac_f32_e32 v5, v7, v4
	s_delay_alu instid0(VALU_DEP_1) | instskip(NEXT) | instid1(VALU_DEP_1)
	v_fma_f32 v3, -v3, v5, v3
	v_div_fmas_f32 v3, v3, v4, v5
	s_delay_alu instid0(VALU_DEP_1)
	v_div_fixup_f32 v2, v3, v2, v2
; %bb.356:
	s_or_b32 exec_lo, exec_lo, s2
	v_mov_b32_e32 v5, v1
.LBB175_357:
	s_or_b32 exec_lo, exec_lo, s21
.LBB175_358:
	s_delay_alu instid0(SALU_CYCLE_1) | instskip(NEXT) | instid1(VALU_DEP_1)
	s_or_b32 exec_lo, exec_lo, s20
	v_cmp_gt_f32_e32 vcc_lo, 0, v5
                                        ; implicit-def: $vgpr4
	s_mov_b32 s2, exec_lo
	v_cndmask_b32_e64 v1, v5, -v5, vcc_lo
	v_cmp_gt_f32_e32 vcc_lo, 0, v2
	v_cndmask_b32_e64 v7, v2, -v2, vcc_lo
	s_delay_alu instid0(VALU_DEP_1)
	v_cmpx_ge_f32_e32 v1, v7
	s_xor_b32 s3, exec_lo, s2
	s_cbranch_execz .LBB175_364
; %bb.359:
	v_cmp_neq_f32_e32 vcc_lo, 0, v5
	v_cmp_neq_f32_e64 s2, 0, v2
                                        ; implicit-def: $vgpr4
	s_delay_alu instid0(VALU_DEP_1) | instskip(NEXT) | instid1(SALU_CYCLE_1)
	s_or_b32 s2, vcc_lo, s2
	s_and_saveexec_b32 s20, s2
	s_delay_alu instid0(SALU_CYCLE_1)
	s_xor_b32 s2, exec_lo, s20
	s_cbranch_execz .LBB175_361
; %bb.360:
	v_div_scale_f32 v1, null, v5, v5, v2
	v_div_scale_f32 v7, vcc_lo, v2, v5, v2
	s_delay_alu instid0(VALU_DEP_2) | instskip(SKIP_2) | instid1(VALU_DEP_1)
	v_rcp_f32_e32 v3, v1
	s_waitcnt_depctr 0xfff
	v_fma_f32 v4, -v1, v3, 1.0
	v_fmac_f32_e32 v3, v4, v3
	s_delay_alu instid0(VALU_DEP_1) | instskip(NEXT) | instid1(VALU_DEP_1)
	v_mul_f32_e32 v4, v7, v3
	v_fma_f32 v8, -v1, v4, v7
	s_delay_alu instid0(VALU_DEP_1) | instskip(NEXT) | instid1(VALU_DEP_1)
	v_fmac_f32_e32 v4, v8, v3
	v_fma_f32 v1, -v1, v4, v7
	s_delay_alu instid0(VALU_DEP_1) | instskip(NEXT) | instid1(VALU_DEP_1)
	v_div_fmas_f32 v1, v1, v3, v4
	v_div_fixup_f32 v1, v1, v5, v2
	s_delay_alu instid0(VALU_DEP_1) | instskip(NEXT) | instid1(VALU_DEP_1)
	v_fmac_f32_e32 v5, v2, v1
	v_div_scale_f32 v2, null, v5, v5, 1.0
	v_div_scale_f32 v7, vcc_lo, 1.0, v5, 1.0
	s_delay_alu instid0(VALU_DEP_2) | instskip(SKIP_2) | instid1(VALU_DEP_1)
	v_rcp_f32_e32 v3, v2
	s_waitcnt_depctr 0xfff
	v_fma_f32 v4, -v2, v3, 1.0
	v_fmac_f32_e32 v3, v4, v3
	s_delay_alu instid0(VALU_DEP_1) | instskip(NEXT) | instid1(VALU_DEP_1)
	v_mul_f32_e32 v4, v7, v3
	v_fma_f32 v8, -v2, v4, v7
	s_delay_alu instid0(VALU_DEP_1) | instskip(NEXT) | instid1(VALU_DEP_1)
	v_fmac_f32_e32 v4, v8, v3
	v_fma_f32 v2, -v2, v4, v7
                                        ; implicit-def: $vgpr7
	s_delay_alu instid0(VALU_DEP_1) | instskip(SKIP_1) | instid1(VALU_DEP_2)
	v_div_fmas_f32 v2, v2, v3, v4
	v_fma_f32 v3, v1, 0, 1.0
	v_div_fixup_f32 v2, v2, v5, 1.0
	s_delay_alu instid0(VALU_DEP_1)
	v_mul_f32_e32 v3, v3, v2
	v_mul_f32_e64 v4, -v1, v2
                                        ; implicit-def: $vgpr1
.LBB175_361:
	s_and_not1_saveexec_b32 s20, s2
	s_cbranch_execz .LBB175_363
; %bb.362:
	v_div_scale_f32 v2, null, v1, v1, 1.0
	v_div_scale_f32 v3, null, v7, v7, 0
	v_div_scale_f32 v10, vcc_lo, 1.0, v1, 1.0
	s_delay_alu instid0(VALU_DEP_3) | instskip(NEXT) | instid1(VALU_DEP_2)
	v_rcp_f32_e32 v4, v2
	v_rcp_f32_e32 v5, v3
	s_waitcnt_depctr 0xfff
	v_fma_f32 v8, -v2, v4, 1.0
	v_fma_f32 v9, -v3, v5, 1.0
	s_delay_alu instid0(VALU_DEP_1) | instskip(SKIP_1) | instid1(VALU_DEP_2)
	v_dual_fmac_f32 v4, v8, v4 :: v_dual_fmac_f32 v5, v9, v5
	v_div_scale_f32 v8, s2, 0, v7, 0
	v_mul_f32_e32 v9, v10, v4
	s_delay_alu instid0(VALU_DEP_2) | instskip(NEXT) | instid1(VALU_DEP_2)
	v_mul_f32_e32 v11, v8, v5
	v_fma_f32 v12, -v2, v9, v10
	s_delay_alu instid0(VALU_DEP_2) | instskip(NEXT) | instid1(VALU_DEP_2)
	v_fma_f32 v13, -v3, v11, v8
	v_fmac_f32_e32 v9, v12, v4
	s_delay_alu instid0(VALU_DEP_2) | instskip(NEXT) | instid1(VALU_DEP_2)
	v_fmac_f32_e32 v11, v13, v5
	v_fma_f32 v2, -v2, v9, v10
	s_delay_alu instid0(VALU_DEP_2) | instskip(NEXT) | instid1(VALU_DEP_2)
	v_fma_f32 v3, -v3, v11, v8
	v_div_fmas_f32 v2, v2, v4, v9
	s_mov_b32 vcc_lo, s2
	s_delay_alu instid0(VALU_DEP_2) | instskip(NEXT) | instid1(VALU_DEP_2)
	v_div_fmas_f32 v4, v3, v5, v11
	v_div_fixup_f32 v3, v2, v1, 1.0
	s_delay_alu instid0(VALU_DEP_2)
	v_div_fixup_f32 v4, v4, v7, 0
.LBB175_363:
	s_or_b32 exec_lo, exec_lo, s20
                                        ; implicit-def: $vgpr2
                                        ; implicit-def: $vgpr5
.LBB175_364:
	s_and_not1_saveexec_b32 s2, s3
	s_cbranch_execz .LBB175_366
; %bb.365:
	v_div_scale_f32 v1, null, v2, v2, v5
	v_div_scale_f32 v7, vcc_lo, v5, v2, v5
	s_delay_alu instid0(VALU_DEP_2) | instskip(SKIP_2) | instid1(VALU_DEP_1)
	v_rcp_f32_e32 v3, v1
	s_waitcnt_depctr 0xfff
	v_fma_f32 v4, -v1, v3, 1.0
	v_fmac_f32_e32 v3, v4, v3
	s_delay_alu instid0(VALU_DEP_1) | instskip(NEXT) | instid1(VALU_DEP_1)
	v_mul_f32_e32 v4, v7, v3
	v_fma_f32 v8, -v1, v4, v7
	s_delay_alu instid0(VALU_DEP_1) | instskip(NEXT) | instid1(VALU_DEP_1)
	v_fmac_f32_e32 v4, v8, v3
	v_fma_f32 v1, -v1, v4, v7
	s_delay_alu instid0(VALU_DEP_1) | instskip(NEXT) | instid1(VALU_DEP_1)
	v_div_fmas_f32 v1, v1, v3, v4
	v_div_fixup_f32 v1, v1, v2, v5
	s_delay_alu instid0(VALU_DEP_1) | instskip(NEXT) | instid1(VALU_DEP_1)
	v_fmac_f32_e32 v2, v5, v1
	v_div_scale_f32 v3, null, v2, v2, 1.0
	v_div_scale_f32 v7, vcc_lo, 1.0, v2, 1.0
	s_delay_alu instid0(VALU_DEP_2) | instskip(SKIP_2) | instid1(VALU_DEP_1)
	v_rcp_f32_e32 v4, v3
	s_waitcnt_depctr 0xfff
	v_fma_f32 v5, -v3, v4, 1.0
	v_fmac_f32_e32 v4, v5, v4
	s_delay_alu instid0(VALU_DEP_1) | instskip(NEXT) | instid1(VALU_DEP_1)
	v_mul_f32_e32 v5, v7, v4
	v_fma_f32 v8, -v3, v5, v7
	s_delay_alu instid0(VALU_DEP_1) | instskip(NEXT) | instid1(VALU_DEP_1)
	v_fmac_f32_e32 v5, v8, v4
	v_fma_f32 v3, -v3, v5, v7
	s_delay_alu instid0(VALU_DEP_1) | instskip(SKIP_2) | instid1(VALU_DEP_3)
	v_div_fmas_f32 v3, v3, v4, v5
	v_add_f32_e32 v4, 0, v1
	v_fma_f32 v1, v1, 0, -1.0
	v_div_fixup_f32 v2, v3, v2, 1.0
	s_delay_alu instid0(VALU_DEP_1) | instskip(NEXT) | instid1(VALU_DEP_3)
	v_mul_f32_e32 v3, v4, v2
	v_mul_f32_e32 v4, v1, v2
.LBB175_366:
	s_or_b32 exec_lo, exec_lo, s2
	v_add_nc_u32_e32 v6, 0x80, v6
	global_store_b64 v0, v[3:4], s[4:5]
.LBB175_367:
	s_or_b32 exec_lo, exec_lo, s30
	s_mov_b32 s2, 0
	s_mov_b32 s20, exec_lo
                                        ; implicit-def: $vgpr4
                                        ; implicit-def: $vgpr12_vgpr13
	v_cmpx_gt_i32_e64 s27, v6
	s_cbranch_execz .LBB175_420
; %bb.368:
	s_and_not1_b32 vcc_lo, exec_lo, s24
	s_cbranch_vccnz .LBB175_373
; %bb.369:
	v_dual_mov_b32 v0, 0 :: v_dual_mov_b32 v1, 0
	s_and_not1_b32 vcc_lo, exec_lo, s29
	s_mov_b32 s21, 0
	s_cbranch_vccnz .LBB175_378
; %bb.370:
	v_mov_b32_e32 v0, 0
	s_add_i32 s28, s28, 1
	s_cmp_eq_u32 s23, 2
	s_mov_b32 s27, 0
	s_cbranch_scc1 .LBB175_374
; %bb.371:
	v_dual_mov_b32 v1, 0 :: v_dual_mov_b32 v0, 0
	v_mov_b32_e32 v2, v6
	s_and_b32 s27, s28, 28
	s_mov_b32 s29, 0
	s_mov_b64 s[2:3], s[0:1]
.LBB175_372:                            ; =>This Inner Loop Header: Depth=1
	s_clause 0x1
	s_load_b256 s[36:43], s[2:3], 0x4
	s_load_b128 s[52:55], s[2:3], 0x24
	s_load_b256 s[44:51], s[18:19], 0x0
	s_add_u32 s2, s2, 48
	s_addc_u32 s3, s3, 0
	s_add_i32 s29, s29, 4
	s_add_u32 s18, s18, 32
	s_addc_u32 s19, s19, 0
	s_cmp_eq_u32 s27, s29
	s_waitcnt lgkmcnt(0)
	v_mul_hi_u32 v3, s37, v2
	s_delay_alu instid0(VALU_DEP_1) | instskip(NEXT) | instid1(VALU_DEP_1)
	v_add_nc_u32_e32 v3, v2, v3
	v_lshrrev_b32_e32 v3, s38, v3
	s_delay_alu instid0(VALU_DEP_1) | instskip(SKIP_1) | instid1(VALU_DEP_2)
	v_mul_hi_u32 v4, s40, v3
	v_mul_lo_u32 v7, v3, s36
	v_add_nc_u32_e32 v4, v3, v4
	s_delay_alu instid0(VALU_DEP_2) | instskip(NEXT) | instid1(VALU_DEP_2)
	v_sub_nc_u32_e32 v2, v2, v7
	v_lshrrev_b32_e32 v4, s41, v4
	s_delay_alu instid0(VALU_DEP_2) | instskip(SKIP_1) | instid1(VALU_DEP_3)
	v_mul_lo_u32 v7, v2, s44
	v_mul_lo_u32 v9, v2, s45
	v_mul_hi_u32 v5, s43, v4
	s_delay_alu instid0(VALU_DEP_1) | instskip(NEXT) | instid1(VALU_DEP_1)
	v_add_nc_u32_e32 v5, v4, v5
	v_lshrrev_b32_e32 v5, s52, v5
	s_delay_alu instid0(VALU_DEP_1) | instskip(SKIP_1) | instid1(VALU_DEP_2)
	v_mul_hi_u32 v8, s54, v5
	v_mul_lo_u32 v10, v5, s42
	v_add_nc_u32_e32 v2, v5, v8
	v_mul_lo_u32 v8, v4, s39
	s_delay_alu instid0(VALU_DEP_3) | instskip(NEXT) | instid1(VALU_DEP_3)
	v_sub_nc_u32_e32 v4, v4, v10
	v_lshrrev_b32_e32 v2, s55, v2
	s_delay_alu instid0(VALU_DEP_2) | instskip(SKIP_2) | instid1(VALU_DEP_4)
	v_mul_lo_u32 v10, v4, s48
	v_mul_lo_u32 v4, v4, s49
	v_sub_nc_u32_e32 v3, v3, v8
	v_mul_lo_u32 v11, v2, s53
	s_delay_alu instid0(VALU_DEP_2) | instskip(SKIP_1) | instid1(VALU_DEP_3)
	v_mul_lo_u32 v8, v3, s46
	v_mul_lo_u32 v3, v3, s47
	v_sub_nc_u32_e32 v5, v5, v11
	s_delay_alu instid0(VALU_DEP_3) | instskip(NEXT) | instid1(VALU_DEP_2)
	v_add3_u32 v0, v7, v0, v8
	v_mul_lo_u32 v11, v5, s50
	v_mul_lo_u32 v5, v5, s51
	v_add3_u32 v1, v9, v1, v3
	s_delay_alu instid0(VALU_DEP_3) | instskip(NEXT) | instid1(VALU_DEP_2)
	v_add3_u32 v0, v10, v0, v11
	v_add3_u32 v1, v4, v1, v5
	s_cbranch_scc0 .LBB175_372
	s_branch .LBB175_375
.LBB175_373:
	s_mov_b32 s21, -1
                                        ; implicit-def: $vgpr0
                                        ; implicit-def: $vgpr1
	s_branch .LBB175_378
.LBB175_374:
	v_dual_mov_b32 v2, v6 :: v_dual_mov_b32 v1, 0
.LBB175_375:
	s_and_b32 s28, s28, 3
	s_delay_alu instid0(SALU_CYCLE_1)
	s_cmp_eq_u32 s28, 0
	s_cbranch_scc1 .LBB175_378
; %bb.376:
	s_lshl_b32 s2, s27, 3
	s_mul_i32 s18, s27, 12
	s_add_u32 s2, s2, s0
	s_addc_u32 s3, s1, 0
	s_add_u32 s2, s2, 0xc4
	s_addc_u32 s3, s3, 0
	;; [unrolled: 2-line block ×3, first 2 shown]
	.p2align	6
.LBB175_377:                            ; =>This Inner Loop Header: Depth=1
	s_clause 0x1
	s_load_b64 s[30:31], s[18:19], 0x4
	s_load_b32 s27, s[18:19], 0xc
	s_load_b64 s[34:35], s[2:3], 0x0
	s_add_u32 s18, s18, 12
	s_addc_u32 s19, s19, 0
	s_add_u32 s2, s2, 8
	s_addc_u32 s3, s3, 0
	s_add_i32 s28, s28, -1
	s_delay_alu instid0(SALU_CYCLE_1) | instskip(SKIP_2) | instid1(VALU_DEP_1)
	s_cmp_lg_u32 s28, 0
	s_waitcnt lgkmcnt(0)
	v_mul_hi_u32 v3, s31, v2
	v_add_nc_u32_e32 v3, v2, v3
	s_delay_alu instid0(VALU_DEP_1) | instskip(NEXT) | instid1(VALU_DEP_1)
	v_lshrrev_b32_e32 v7, s27, v3
	v_mul_lo_u32 v3, v7, s30
	s_delay_alu instid0(VALU_DEP_1) | instskip(NEXT) | instid1(VALU_DEP_1)
	v_sub_nc_u32_e32 v2, v2, v3
	v_mad_u64_u32 v[3:4], null, v2, s34, v[0:1]
	v_mad_u64_u32 v[4:5], null, v2, s35, v[1:2]
	v_mov_b32_e32 v2, v7
	s_delay_alu instid0(VALU_DEP_2)
	v_dual_mov_b32 v0, v3 :: v_dual_mov_b32 v1, v4
	s_cbranch_scc1 .LBB175_377
.LBB175_378:
	s_and_not1_b32 vcc_lo, exec_lo, s21
	s_cbranch_vccnz .LBB175_381
; %bb.379:
	s_waitcnt lgkmcnt(0)
	v_mul_hi_u32 v0, s13, v6
	s_and_not1_b32 vcc_lo, exec_lo, s26
	s_delay_alu instid0(VALU_DEP_1) | instskip(NEXT) | instid1(VALU_DEP_1)
	v_add_nc_u32_e32 v0, v6, v0
	v_lshrrev_b32_e32 v2, s14, v0
	s_delay_alu instid0(VALU_DEP_1) | instskip(NEXT) | instid1(VALU_DEP_1)
	v_mul_lo_u32 v0, v2, s12
	v_sub_nc_u32_e32 v1, v6, v0
	s_delay_alu instid0(VALU_DEP_1)
	v_mul_lo_u32 v0, v1, s8
	v_mul_lo_u32 v1, v1, s9
	s_cbranch_vccnz .LBB175_381
; %bb.380:
	v_mul_hi_u32 v3, s16, v2
	s_delay_alu instid0(VALU_DEP_1) | instskip(NEXT) | instid1(VALU_DEP_1)
	v_add_nc_u32_e32 v3, v2, v3
	v_lshrrev_b32_e32 v3, s17, v3
	s_delay_alu instid0(VALU_DEP_1) | instskip(NEXT) | instid1(VALU_DEP_1)
	v_mul_lo_u32 v3, v3, s15
	v_sub_nc_u32_e32 v5, v2, v3
	s_delay_alu instid0(VALU_DEP_1) | instskip(NEXT) | instid1(VALU_DEP_1)
	v_mad_u64_u32 v[2:3], null, v5, s10, v[0:1]
	v_mad_u64_u32 v[3:4], null, v5, s11, v[1:2]
	s_delay_alu instid0(VALU_DEP_1)
	v_dual_mov_b32 v0, v2 :: v_dual_mov_b32 v1, v3
.LBB175_381:
	s_waitcnt lgkmcnt(0)
	global_load_b64 v[1:2], v1, s[6:7]
	v_mov_b32_e32 v3, 0
	s_waitcnt vmcnt(0)
	v_cmp_neq_f32_e32 vcc_lo, 0, v1
	v_cmp_neq_f32_e64 s2, 0, v2
	s_delay_alu instid0(VALU_DEP_1) | instskip(NEXT) | instid1(SALU_CYCLE_1)
	s_or_b32 s2, vcc_lo, s2
	s_and_saveexec_b32 s6, s2
	s_cbranch_execz .LBB175_411
; %bb.382:
	v_mov_b32_e32 v3, 0x7f800000
	s_mov_b32 s7, exec_lo
	v_cmpx_neq_f32_e64 0x7f800000, |v2|
	s_cbranch_execz .LBB175_410
; %bb.383:
	s_mov_b32 s2, exec_lo
	v_cmpx_o_f32_e32 v1, v1
	s_xor_b32 s8, exec_lo, s2
	s_cbranch_execz .LBB175_407
; %bb.384:
	s_mov_b32 s3, exec_lo
	v_cmpx_neq_f32_e64 0x7f800000, |v1|
	s_xor_b32 s9, exec_lo, s3
	s_cbranch_execz .LBB175_400
; %bb.385:
	v_max_f32_e64 v3, |v2|, |v2|
	v_max_f32_e64 v4, |v1|, |v1|
                                        ; implicit-def: $sgpr10
	s_delay_alu instid0(VALU_DEP_1) | instskip(NEXT) | instid1(VALU_DEP_1)
	v_max_f32_e32 v3, v4, v3
	v_cmp_nle_f32_e64 s2, 0x7ed413cb, v3
	s_delay_alu instid0(VALU_DEP_1) | instskip(NEXT) | instid1(SALU_CYCLE_1)
	s_and_saveexec_b32 s3, s2
	s_xor_b32 s3, exec_lo, s3
	s_cbranch_execz .LBB175_389
; %bb.386:
	v_cmp_ge_f32_e64 s10, 0x1000000, |v1|
	v_cmp_ge_f32_e64 s11, 0x1000000, |v2|
	s_delay_alu instid0(VALU_DEP_1)
	s_and_b32 s12, s10, s11
	s_mov_b32 s10, 0
	s_and_saveexec_b32 s11, s12
; %bb.387:
	v_dual_mul_f32 v2, 4.0, v2 :: v_dual_mul_f32 v1, 4.0, v1
	s_mov_b32 s10, exec_lo
; %bb.388:
	s_or_b32 exec_lo, exec_lo, s11
	s_delay_alu instid0(SALU_CYCLE_1)
	s_and_b32 s10, s10, exec_lo
.LBB175_389:
	s_and_not1_saveexec_b32 s3, s3
; %bb.390:
	v_dual_mul_f32 v1, 0x3e800000, v1 :: v_dual_mul_f32 v2, 0x3e800000, v2
	s_and_not1_b32 s10, s10, exec_lo
; %bb.391:
	s_or_b32 exec_lo, exec_lo, s3
	s_delay_alu instid0(VALU_DEP_1) | instskip(NEXT) | instid1(VALU_DEP_2)
	v_max_f32_e64 v3, |v2|, |v2|
	v_max_f32_e64 v4, |v1|, |v1|
	s_delay_alu instid0(VALU_DEP_1) | instskip(NEXT) | instid1(VALU_DEP_1)
	v_max_f32_e32 v5, v4, v3
	v_cvt_f64_f32_e32 v[3:4], v5
	s_delay_alu instid0(VALU_DEP_1) | instskip(NEXT) | instid1(VALU_DEP_1)
	v_frexp_exp_i32_f64_e32 v3, v[3:4]
	v_sub_nc_u32_e32 v4, 0, v3
	s_delay_alu instid0(VALU_DEP_1) | instskip(SKIP_1) | instid1(VALU_DEP_2)
	v_ldexp_f32 v6, |v2|, v4
	v_ldexp_f32 v4, |v1|, v4
	v_mul_f32_e32 v6, v6, v6
	v_cmp_neq_f32_e64 s3, 0x7f800000, v5
	s_delay_alu instid0(VALU_DEP_2) | instskip(NEXT) | instid1(VALU_DEP_1)
	v_fmac_f32_e32 v6, v4, v4
	v_sqrt_f32_e32 v4, v6
	s_waitcnt_depctr 0xfff
	v_ldexp_f32 v3, v4, v3
                                        ; implicit-def: $vgpr4
	s_delay_alu instid0(VALU_DEP_1)
	v_cndmask_b32_e64 v5, 0x7f800000, v3, s3
                                        ; implicit-def: $vgpr3
	s_mov_b32 s3, exec_lo
	v_cmpx_le_f32_e32 0, v1
	s_xor_b32 s11, exec_lo, s3
	s_cbranch_execz .LBB175_393
; %bb.392:
	v_add_f32_e32 v1, v1, v5
	s_delay_alu instid0(VALU_DEP_1) | instskip(NEXT) | instid1(VALU_DEP_1)
	v_mul_f32_e32 v1, 0.5, v1
	v_mul_f32_e32 v3, 0x4f800000, v1
	v_cmp_gt_f32_e32 vcc_lo, 0xf800000, v1
	s_delay_alu instid0(VALU_DEP_2) | instskip(NEXT) | instid1(VALU_DEP_1)
	v_cndmask_b32_e32 v1, v1, v3, vcc_lo
	v_sqrt_f32_e32 v3, v1
	s_waitcnt_depctr 0xfff
	v_add_nc_u32_e32 v4, -1, v3
	v_add_nc_u32_e32 v5, 1, v3
	s_delay_alu instid0(VALU_DEP_2) | instskip(NEXT) | instid1(VALU_DEP_2)
	v_fma_f32 v6, -v4, v3, v1
	v_fma_f32 v7, -v5, v3, v1
	s_delay_alu instid0(VALU_DEP_2) | instskip(NEXT) | instid1(VALU_DEP_1)
	v_cmp_ge_f32_e64 s3, 0, v6
	v_cndmask_b32_e64 v3, v3, v4, s3
	s_delay_alu instid0(VALU_DEP_3) | instskip(NEXT) | instid1(VALU_DEP_1)
	v_cmp_lt_f32_e64 s3, 0, v7
	v_cndmask_b32_e64 v3, v3, v5, s3
	s_delay_alu instid0(VALU_DEP_1) | instskip(NEXT) | instid1(VALU_DEP_1)
	v_mul_f32_e32 v4, 0x37800000, v3
	v_cndmask_b32_e32 v3, v3, v4, vcc_lo
	v_cmp_class_f32_e64 vcc_lo, v1, 0x260
	s_delay_alu instid0(VALU_DEP_2) | instskip(NEXT) | instid1(VALU_DEP_1)
	v_cndmask_b32_e32 v3, v3, v1, vcc_lo
	v_add_f32_e32 v1, v3, v3
	s_delay_alu instid0(VALU_DEP_1) | instskip(NEXT) | instid1(VALU_DEP_1)
	v_div_scale_f32 v4, null, v1, v1, v2
	v_rcp_f32_e32 v5, v4
	s_waitcnt_depctr 0xfff
	v_fma_f32 v6, -v4, v5, 1.0
	s_delay_alu instid0(VALU_DEP_1) | instskip(SKIP_1) | instid1(VALU_DEP_1)
	v_fmac_f32_e32 v5, v6, v5
	v_div_scale_f32 v6, vcc_lo, v2, v1, v2
	v_mul_f32_e32 v7, v6, v5
	s_delay_alu instid0(VALU_DEP_1) | instskip(NEXT) | instid1(VALU_DEP_1)
	v_fma_f32 v8, -v4, v7, v6
	v_fmac_f32_e32 v7, v8, v5
	s_delay_alu instid0(VALU_DEP_1) | instskip(NEXT) | instid1(VALU_DEP_1)
	v_fma_f32 v4, -v4, v7, v6
	v_div_fmas_f32 v4, v4, v5, v7
                                        ; implicit-def: $vgpr5
	s_delay_alu instid0(VALU_DEP_1)
	v_div_fixup_f32 v4, v4, v1, v2
                                        ; implicit-def: $vgpr1
	s_and_not1_saveexec_b32 s11, s11
	s_cbranch_execz .LBB175_395
	s_branch .LBB175_394
.LBB175_393:
	s_and_not1_saveexec_b32 s11, s11
	s_cbranch_execz .LBB175_395
.LBB175_394:
	v_sub_f32_e32 v1, v5, v1
	s_delay_alu instid0(VALU_DEP_1) | instskip(NEXT) | instid1(VALU_DEP_1)
	v_mul_f32_e32 v1, 0.5, v1
	v_mul_f32_e32 v3, 0x4f800000, v1
	v_cmp_gt_f32_e32 vcc_lo, 0xf800000, v1
	s_delay_alu instid0(VALU_DEP_2) | instskip(NEXT) | instid1(VALU_DEP_1)
	v_cndmask_b32_e32 v1, v1, v3, vcc_lo
	v_sqrt_f32_e32 v3, v1
	s_waitcnt_depctr 0xfff
	v_add_nc_u32_e32 v4, -1, v3
	v_add_nc_u32_e32 v5, 1, v3
	s_delay_alu instid0(VALU_DEP_2) | instskip(NEXT) | instid1(VALU_DEP_2)
	v_fma_f32 v6, -v4, v3, v1
	v_fma_f32 v7, -v5, v3, v1
	s_delay_alu instid0(VALU_DEP_2) | instskip(NEXT) | instid1(VALU_DEP_1)
	v_cmp_ge_f32_e64 s3, 0, v6
	v_cndmask_b32_e64 v3, v3, v4, s3
	s_delay_alu instid0(VALU_DEP_3) | instskip(NEXT) | instid1(VALU_DEP_1)
	v_cmp_lt_f32_e64 s3, 0, v7
	v_cndmask_b32_e64 v3, v3, v5, s3
	s_delay_alu instid0(VALU_DEP_1) | instskip(NEXT) | instid1(VALU_DEP_1)
	v_mul_f32_e32 v4, 0x37800000, v3
	v_cndmask_b32_e32 v3, v3, v4, vcc_lo
	v_cmp_class_f32_e64 vcc_lo, v1, 0x260
	s_delay_alu instid0(VALU_DEP_2) | instskip(NEXT) | instid1(VALU_DEP_1)
	v_cndmask_b32_e32 v1, v3, v1, vcc_lo
	v_dual_add_f32 v4, v1, v1 :: v_dual_and_b32 v3, 0x7fffffff, v2
	s_delay_alu instid0(VALU_DEP_1) | instskip(SKIP_1) | instid1(VALU_DEP_2)
	v_div_scale_f32 v5, null, v4, v4, v3
	v_div_scale_f32 v3, vcc_lo, v3, v4, v3
	v_rcp_f32_e32 v6, v5
	s_waitcnt_depctr 0xfff
	v_fma_f32 v7, -v5, v6, 1.0
	s_delay_alu instid0(VALU_DEP_1) | instskip(NEXT) | instid1(VALU_DEP_1)
	v_fmac_f32_e32 v6, v7, v6
	v_mul_f32_e32 v7, v3, v6
	s_delay_alu instid0(VALU_DEP_1) | instskip(NEXT) | instid1(VALU_DEP_1)
	v_fma_f32 v8, -v5, v7, v3
	v_fmac_f32_e32 v7, v8, v6
	s_delay_alu instid0(VALU_DEP_1) | instskip(NEXT) | instid1(VALU_DEP_1)
	v_fma_f32 v3, -v5, v7, v3
	v_div_fmas_f32 v3, v3, v6, v7
	s_delay_alu instid0(VALU_DEP_1)
	v_div_fixup_f32 v3, v3, v4, |v2|
	v_bfi_b32 v4, 0x7fffffff, v1, v2
.LBB175_395:
	s_or_b32 exec_lo, exec_lo, s11
                                        ; implicit-def: $vgpr2
	s_and_saveexec_b32 s3, s2
	s_delay_alu instid0(SALU_CYCLE_1)
	s_xor_b32 s2, exec_lo, s3
	s_cbranch_execz .LBB175_397
; %bb.396:
	v_dual_mul_f32 v1, 0.5, v3 :: v_dual_mul_f32 v2, 0.5, v4
	s_delay_alu instid0(VALU_DEP_1) | instskip(NEXT) | instid1(VALU_DEP_2)
	v_cndmask_b32_e64 v1, v3, v1, s10
	v_cndmask_b32_e64 v2, v4, v2, s10
                                        ; implicit-def: $vgpr3
                                        ; implicit-def: $vgpr4
	s_and_not1_saveexec_b32 s2, s2
	s_cbranch_execnz .LBB175_398
	s_branch .LBB175_399
.LBB175_397:
	s_and_not1_saveexec_b32 s2, s2
.LBB175_398:
	v_dual_add_f32 v1, v3, v3 :: v_dual_add_f32 v2, v4, v4
.LBB175_399:
	s_or_b32 exec_lo, exec_lo, s2
.LBB175_400:
	s_and_not1_saveexec_b32 s2, s9
	s_cbranch_execz .LBB175_406
; %bb.401:
	s_delay_alu instid0(VALU_DEP_1)
	v_sub_f32_e32 v3, v2, v2
	s_mov_b32 s3, exec_lo
	v_cmpx_lt_i32_e32 -1, v1
	s_xor_b32 s3, exec_lo, s3
; %bb.402:
	s_delay_alu instid0(VALU_DEP_2)
	v_bfi_b32 v2, 0x7fffffff, v3, v2
                                        ; implicit-def: $vgpr3
; %bb.403:
	s_and_not1_saveexec_b32 s3, s3
; %bb.404:
	v_and_b32_e32 v3, 0x7fffffff, v3
	s_delay_alu instid0(VALU_DEP_2) | instskip(NEXT) | instid1(VALU_DEP_2)
	v_bfi_b32 v2, 0x7fffffff, v1, v2
	v_mov_b32_e32 v1, v3
; %bb.405:
	s_or_b32 exec_lo, exec_lo, s3
.LBB175_406:
	s_delay_alu instid0(SALU_CYCLE_1)
	s_or_b32 exec_lo, exec_lo, s2
.LBB175_407:
	s_and_not1_saveexec_b32 s2, s8
; %bb.408:
	v_sub_f32_e32 v2, v2, v2
	s_delay_alu instid0(VALU_DEP_1) | instskip(NEXT) | instid1(VALU_DEP_1)
	v_div_scale_f32 v3, vcc_lo, v2, v2, v2
	v_rcp_f32_e32 v4, v3
	s_waitcnt_depctr 0xfff
	v_fma_f32 v5, -v3, v4, 1.0
	s_delay_alu instid0(VALU_DEP_1) | instskip(NEXT) | instid1(VALU_DEP_1)
	v_fmac_f32_e32 v4, v5, v4
	v_mul_f32_e32 v5, v3, v4
	s_delay_alu instid0(VALU_DEP_1) | instskip(NEXT) | instid1(VALU_DEP_1)
	v_fma_f32 v6, -v3, v5, v3
	v_fmac_f32_e32 v5, v6, v4
	s_delay_alu instid0(VALU_DEP_1) | instskip(NEXT) | instid1(VALU_DEP_1)
	v_fma_f32 v3, -v3, v5, v3
	v_div_fmas_f32 v3, v3, v4, v5
	s_delay_alu instid0(VALU_DEP_1)
	v_div_fixup_f32 v2, v3, v2, v2
; %bb.409:
	s_or_b32 exec_lo, exec_lo, s2
	v_mov_b32_e32 v3, v1
.LBB175_410:
	s_or_b32 exec_lo, exec_lo, s7
.LBB175_411:
	s_delay_alu instid0(SALU_CYCLE_1) | instskip(NEXT) | instid1(VALU_DEP_1)
	s_or_b32 exec_lo, exec_lo, s6
	v_cmp_gt_f32_e32 vcc_lo, 0, v3
                                        ; implicit-def: $vgpr4
                                        ; implicit-def: $vgpr6
	s_mov_b32 s2, exec_lo
	v_cndmask_b32_e64 v1, v3, -v3, vcc_lo
	v_cmp_gt_f32_e32 vcc_lo, 0, v2
	v_cndmask_b32_e64 v5, v2, -v2, vcc_lo
	s_delay_alu instid0(VALU_DEP_1)
	v_cmpx_ge_f32_e32 v1, v5
	s_xor_b32 s3, exec_lo, s2
	s_cbranch_execz .LBB175_417
; %bb.412:
	v_cmp_neq_f32_e32 vcc_lo, 0, v3
	v_cmp_neq_f32_e64 s2, 0, v2
                                        ; implicit-def: $vgpr4
                                        ; implicit-def: $vgpr6
	s_delay_alu instid0(VALU_DEP_1) | instskip(NEXT) | instid1(SALU_CYCLE_1)
	s_or_b32 s2, vcc_lo, s2
	s_and_saveexec_b32 s6, s2
	s_delay_alu instid0(SALU_CYCLE_1)
	s_xor_b32 s2, exec_lo, s6
	s_cbranch_execz .LBB175_414
; %bb.413:
	v_div_scale_f32 v1, null, v3, v3, v2
	v_div_scale_f32 v6, vcc_lo, v2, v3, v2
	s_delay_alu instid0(VALU_DEP_2) | instskip(SKIP_2) | instid1(VALU_DEP_1)
	v_rcp_f32_e32 v4, v1
	s_waitcnt_depctr 0xfff
	v_fma_f32 v5, -v1, v4, 1.0
	v_fmac_f32_e32 v4, v5, v4
	s_delay_alu instid0(VALU_DEP_1) | instskip(NEXT) | instid1(VALU_DEP_1)
	v_mul_f32_e32 v5, v6, v4
	v_fma_f32 v7, -v1, v5, v6
	s_delay_alu instid0(VALU_DEP_1) | instskip(NEXT) | instid1(VALU_DEP_1)
	v_fmac_f32_e32 v5, v7, v4
	v_fma_f32 v1, -v1, v5, v6
	s_delay_alu instid0(VALU_DEP_1) | instskip(NEXT) | instid1(VALU_DEP_1)
	v_div_fmas_f32 v1, v1, v4, v5
	v_div_fixup_f32 v1, v1, v3, v2
	s_delay_alu instid0(VALU_DEP_1) | instskip(NEXT) | instid1(VALU_DEP_1)
	v_fmac_f32_e32 v3, v2, v1
	v_div_scale_f32 v2, null, v3, v3, 1.0
	v_div_scale_f32 v6, vcc_lo, 1.0, v3, 1.0
	s_delay_alu instid0(VALU_DEP_2) | instskip(SKIP_2) | instid1(VALU_DEP_1)
	v_rcp_f32_e32 v4, v2
	s_waitcnt_depctr 0xfff
	v_fma_f32 v5, -v2, v4, 1.0
	v_fmac_f32_e32 v4, v5, v4
	s_delay_alu instid0(VALU_DEP_1) | instskip(NEXT) | instid1(VALU_DEP_1)
	v_mul_f32_e32 v5, v6, v4
	v_fma_f32 v7, -v2, v5, v6
	s_delay_alu instid0(VALU_DEP_1) | instskip(NEXT) | instid1(VALU_DEP_1)
	v_fmac_f32_e32 v5, v7, v4
	v_fma_f32 v2, -v2, v5, v6
	s_delay_alu instid0(VALU_DEP_1) | instskip(SKIP_1) | instid1(VALU_DEP_2)
	v_div_fmas_f32 v2, v2, v4, v5
	v_fma_f32 v4, v1, 0, 1.0
                                        ; implicit-def: $vgpr5
	v_div_fixup_f32 v2, v2, v3, 1.0
	s_delay_alu instid0(VALU_DEP_1)
	v_mul_f32_e32 v6, v4, v2
	v_mul_f32_e64 v4, -v1, v2
                                        ; implicit-def: $vgpr1
.LBB175_414:
	s_and_not1_saveexec_b32 s6, s2
	s_cbranch_execz .LBB175_416
; %bb.415:
	v_div_scale_f32 v2, null, v1, v1, 1.0
	v_div_scale_f32 v3, null, v5, v5, 0
	v_div_scale_f32 v9, vcc_lo, 1.0, v1, 1.0
	s_delay_alu instid0(VALU_DEP_3) | instskip(NEXT) | instid1(VALU_DEP_2)
	v_rcp_f32_e32 v4, v2
	v_rcp_f32_e32 v6, v3
	s_waitcnt_depctr 0xfff
	v_fma_f32 v7, -v2, v4, 1.0
	v_fma_f32 v8, -v3, v6, 1.0
	s_delay_alu instid0(VALU_DEP_2) | instskip(SKIP_1) | instid1(VALU_DEP_3)
	v_fmac_f32_e32 v4, v7, v4
	v_div_scale_f32 v7, s2, 0, v5, 0
	v_fmac_f32_e32 v6, v8, v6
	s_delay_alu instid0(VALU_DEP_3) | instskip(NEXT) | instid1(VALU_DEP_2)
	v_mul_f32_e32 v8, v9, v4
	v_mul_f32_e32 v10, v7, v6
	s_delay_alu instid0(VALU_DEP_2) | instskip(NEXT) | instid1(VALU_DEP_2)
	v_fma_f32 v11, -v2, v8, v9
	v_fma_f32 v12, -v3, v10, v7
	s_delay_alu instid0(VALU_DEP_2) | instskip(NEXT) | instid1(VALU_DEP_2)
	v_fmac_f32_e32 v8, v11, v4
	v_fmac_f32_e32 v10, v12, v6
	s_delay_alu instid0(VALU_DEP_2) | instskip(NEXT) | instid1(VALU_DEP_2)
	v_fma_f32 v2, -v2, v8, v9
	v_fma_f32 v3, -v3, v10, v7
	s_delay_alu instid0(VALU_DEP_2) | instskip(SKIP_1) | instid1(VALU_DEP_2)
	v_div_fmas_f32 v2, v2, v4, v8
	s_mov_b32 vcc_lo, s2
	v_div_fmas_f32 v3, v3, v6, v10
	s_delay_alu instid0(VALU_DEP_2) | instskip(NEXT) | instid1(VALU_DEP_2)
	v_div_fixup_f32 v6, v2, v1, 1.0
	v_div_fixup_f32 v4, v3, v5, 0
.LBB175_416:
	s_or_b32 exec_lo, exec_lo, s6
                                        ; implicit-def: $vgpr2
                                        ; implicit-def: $vgpr3
.LBB175_417:
	s_and_not1_saveexec_b32 s2, s3
	s_cbranch_execz .LBB175_419
; %bb.418:
	v_div_scale_f32 v1, null, v2, v2, v3
	v_div_scale_f32 v6, vcc_lo, v3, v2, v3
	s_delay_alu instid0(VALU_DEP_2) | instskip(SKIP_2) | instid1(VALU_DEP_1)
	v_rcp_f32_e32 v4, v1
	s_waitcnt_depctr 0xfff
	v_fma_f32 v5, -v1, v4, 1.0
	v_fmac_f32_e32 v4, v5, v4
	s_delay_alu instid0(VALU_DEP_1) | instskip(NEXT) | instid1(VALU_DEP_1)
	v_mul_f32_e32 v5, v6, v4
	v_fma_f32 v7, -v1, v5, v6
	s_delay_alu instid0(VALU_DEP_1) | instskip(NEXT) | instid1(VALU_DEP_1)
	v_fmac_f32_e32 v5, v7, v4
	v_fma_f32 v1, -v1, v5, v6
	s_delay_alu instid0(VALU_DEP_1) | instskip(NEXT) | instid1(VALU_DEP_1)
	v_div_fmas_f32 v1, v1, v4, v5
	v_div_fixup_f32 v1, v1, v2, v3
	s_delay_alu instid0(VALU_DEP_1) | instskip(NEXT) | instid1(VALU_DEP_1)
	v_fmac_f32_e32 v2, v3, v1
	v_div_scale_f32 v3, null, v2, v2, 1.0
	v_div_scale_f32 v6, vcc_lo, 1.0, v2, 1.0
	s_delay_alu instid0(VALU_DEP_2) | instskip(SKIP_2) | instid1(VALU_DEP_1)
	v_rcp_f32_e32 v4, v3
	s_waitcnt_depctr 0xfff
	v_fma_f32 v5, -v3, v4, 1.0
	v_fmac_f32_e32 v4, v5, v4
	s_delay_alu instid0(VALU_DEP_1) | instskip(NEXT) | instid1(VALU_DEP_1)
	v_mul_f32_e32 v5, v6, v4
	v_fma_f32 v7, -v3, v5, v6
	s_delay_alu instid0(VALU_DEP_1) | instskip(NEXT) | instid1(VALU_DEP_1)
	v_fmac_f32_e32 v5, v7, v4
	v_fma_f32 v3, -v3, v5, v6
	s_delay_alu instid0(VALU_DEP_1) | instskip(SKIP_2) | instid1(VALU_DEP_3)
	v_div_fmas_f32 v3, v3, v4, v5
	v_add_f32_e32 v4, 0, v1
	v_fma_f32 v1, v1, 0, -1.0
	v_div_fixup_f32 v2, v3, v2, 1.0
	s_delay_alu instid0(VALU_DEP_1) | instskip(NEXT) | instid1(VALU_DEP_3)
	v_mul_f32_e32 v6, v4, v2
	v_mul_f32_e32 v4, v1, v2
.LBB175_419:
	s_or_b32 exec_lo, exec_lo, s2
	v_add_co_u32 v12, s3, s4, v0
	s_delay_alu instid0(VALU_DEP_1)
	v_add_co_ci_u32_e64 v13, null, s5, 0, s3
	s_mov_b32 s2, exec_lo
	global_store_b32 v0, v6, s[4:5]
.LBB175_420:
	s_or_b32 exec_lo, exec_lo, s20
	s_waitcnt lgkmcnt(0)
	s_and_b32 s8, s2, exec_lo
                                        ; implicit-def: $vgpr9
                                        ; implicit-def: $vgpr6
	s_and_not1_saveexec_b32 s9, s25
	s_cbranch_execnz .LBB175_8
.LBB175_421:
	s_or_b32 exec_lo, exec_lo, s9
	s_and_saveexec_b32 s0, s8
	s_cbranch_execz .LBB175_259
.LBB175_422:
	global_store_b32 v[12:13], v4, off offset:4
	s_nop 0
	s_sendmsg sendmsg(MSG_DEALLOC_VGPRS)
	s_endpgm
	.section	.rodata,"a",@progbits
	.p2align	6, 0x0
	.amdhsa_kernel _ZN2at6native32elementwise_kernel_manual_unrollILi128ELi4EZNS0_22gpu_kernel_impl_nocastIZZZNS0_17rsqrt_kernel_cudaERNS_18TensorIteratorBaseEENKUlvE_clEvENKUlvE0_clEvEUlN3c107complexIfEEE_EEvS4_RKT_EUlibE_EEviT1_
		.amdhsa_group_segment_fixed_size 0
		.amdhsa_private_segment_fixed_size 0
		.amdhsa_kernarg_size 360
		.amdhsa_user_sgpr_count 15
		.amdhsa_user_sgpr_dispatch_ptr 0
		.amdhsa_user_sgpr_queue_ptr 0
		.amdhsa_user_sgpr_kernarg_segment_ptr 1
		.amdhsa_user_sgpr_dispatch_id 0
		.amdhsa_user_sgpr_private_segment_size 0
		.amdhsa_wavefront_size32 1
		.amdhsa_uses_dynamic_stack 0
		.amdhsa_enable_private_segment 0
		.amdhsa_system_sgpr_workgroup_id_x 1
		.amdhsa_system_sgpr_workgroup_id_y 0
		.amdhsa_system_sgpr_workgroup_id_z 0
		.amdhsa_system_sgpr_workgroup_info 0
		.amdhsa_system_vgpr_workitem_id 0
		.amdhsa_next_free_vgpr 22
		.amdhsa_next_free_sgpr 56
		.amdhsa_reserve_vcc 1
		.amdhsa_float_round_mode_32 0
		.amdhsa_float_round_mode_16_64 0
		.amdhsa_float_denorm_mode_32 3
		.amdhsa_float_denorm_mode_16_64 3
		.amdhsa_dx10_clamp 1
		.amdhsa_ieee_mode 1
		.amdhsa_fp16_overflow 0
		.amdhsa_workgroup_processor_mode 1
		.amdhsa_memory_ordered 1
		.amdhsa_forward_progress 0
		.amdhsa_shared_vgpr_count 0
		.amdhsa_exception_fp_ieee_invalid_op 0
		.amdhsa_exception_fp_denorm_src 0
		.amdhsa_exception_fp_ieee_div_zero 0
		.amdhsa_exception_fp_ieee_overflow 0
		.amdhsa_exception_fp_ieee_underflow 0
		.amdhsa_exception_fp_ieee_inexact 0
		.amdhsa_exception_int_div_zero 0
	.end_amdhsa_kernel
	.section	.text._ZN2at6native32elementwise_kernel_manual_unrollILi128ELi4EZNS0_22gpu_kernel_impl_nocastIZZZNS0_17rsqrt_kernel_cudaERNS_18TensorIteratorBaseEENKUlvE_clEvENKUlvE0_clEvEUlN3c107complexIfEEE_EEvS4_RKT_EUlibE_EEviT1_,"axG",@progbits,_ZN2at6native32elementwise_kernel_manual_unrollILi128ELi4EZNS0_22gpu_kernel_impl_nocastIZZZNS0_17rsqrt_kernel_cudaERNS_18TensorIteratorBaseEENKUlvE_clEvENKUlvE0_clEvEUlN3c107complexIfEEE_EEvS4_RKT_EUlibE_EEviT1_,comdat
.Lfunc_end175:
	.size	_ZN2at6native32elementwise_kernel_manual_unrollILi128ELi4EZNS0_22gpu_kernel_impl_nocastIZZZNS0_17rsqrt_kernel_cudaERNS_18TensorIteratorBaseEENKUlvE_clEvENKUlvE0_clEvEUlN3c107complexIfEEE_EEvS4_RKT_EUlibE_EEviT1_, .Lfunc_end175-_ZN2at6native32elementwise_kernel_manual_unrollILi128ELi4EZNS0_22gpu_kernel_impl_nocastIZZZNS0_17rsqrt_kernel_cudaERNS_18TensorIteratorBaseEENKUlvE_clEvENKUlvE0_clEvEUlN3c107complexIfEEE_EEvS4_RKT_EUlibE_EEviT1_
                                        ; -- End function
	.section	.AMDGPU.csdata,"",@progbits
; Kernel info:
; codeLenInByte = 22116
; NumSgprs: 58
; NumVgprs: 22
; ScratchSize: 0
; MemoryBound: 0
; FloatMode: 240
; IeeeMode: 1
; LDSByteSize: 0 bytes/workgroup (compile time only)
; SGPRBlocks: 7
; VGPRBlocks: 2
; NumSGPRsForWavesPerEU: 58
; NumVGPRsForWavesPerEU: 22
; Occupancy: 16
; WaveLimiterHint : 1
; COMPUTE_PGM_RSRC2:SCRATCH_EN: 0
; COMPUTE_PGM_RSRC2:USER_SGPR: 15
; COMPUTE_PGM_RSRC2:TRAP_HANDLER: 0
; COMPUTE_PGM_RSRC2:TGID_X_EN: 1
; COMPUTE_PGM_RSRC2:TGID_Y_EN: 0
; COMPUTE_PGM_RSRC2:TGID_Z_EN: 0
; COMPUTE_PGM_RSRC2:TIDIG_COMP_CNT: 0
	.section	.text._ZN2at6native32elementwise_kernel_manual_unrollILi128ELi4EZNS0_15gpu_kernel_implIZZZNS0_17rsqrt_kernel_cudaERNS_18TensorIteratorBaseEENKUlvE_clEvENKUlvE0_clEvEUlN3c107complexIfEEE_EEvS4_RKT_EUlibE_EEviT1_,"axG",@progbits,_ZN2at6native32elementwise_kernel_manual_unrollILi128ELi4EZNS0_15gpu_kernel_implIZZZNS0_17rsqrt_kernel_cudaERNS_18TensorIteratorBaseEENKUlvE_clEvENKUlvE0_clEvEUlN3c107complexIfEEE_EEvS4_RKT_EUlibE_EEviT1_,comdat
	.globl	_ZN2at6native32elementwise_kernel_manual_unrollILi128ELi4EZNS0_15gpu_kernel_implIZZZNS0_17rsqrt_kernel_cudaERNS_18TensorIteratorBaseEENKUlvE_clEvENKUlvE0_clEvEUlN3c107complexIfEEE_EEvS4_RKT_EUlibE_EEviT1_ ; -- Begin function _ZN2at6native32elementwise_kernel_manual_unrollILi128ELi4EZNS0_15gpu_kernel_implIZZZNS0_17rsqrt_kernel_cudaERNS_18TensorIteratorBaseEENKUlvE_clEvENKUlvE0_clEvEUlN3c107complexIfEEE_EEvS4_RKT_EUlibE_EEviT1_
	.p2align	8
	.type	_ZN2at6native32elementwise_kernel_manual_unrollILi128ELi4EZNS0_15gpu_kernel_implIZZZNS0_17rsqrt_kernel_cudaERNS_18TensorIteratorBaseEENKUlvE_clEvENKUlvE0_clEvEUlN3c107complexIfEEE_EEvS4_RKT_EUlibE_EEviT1_,@function
_ZN2at6native32elementwise_kernel_manual_unrollILi128ELi4EZNS0_15gpu_kernel_implIZZZNS0_17rsqrt_kernel_cudaERNS_18TensorIteratorBaseEENKUlvE_clEvENKUlvE0_clEvEUlN3c107complexIfEEE_EEvS4_RKT_EUlibE_EEviT1_: ; @_ZN2at6native32elementwise_kernel_manual_unrollILi128ELi4EZNS0_15gpu_kernel_implIZZZNS0_17rsqrt_kernel_cudaERNS_18TensorIteratorBaseEENKUlvE_clEvENKUlvE0_clEvEUlN3c107complexIfEEE_EEvS4_RKT_EUlibE_EEviT1_
; %bb.0:
	v_mov_b32_e32 v1, 0
	s_clause 0x2
	s_load_b32 s11, s[0:1], 0x0
	s_load_b64 s[2:3], s[0:1], 0x18
	s_load_b128 s[4:7], s[0:1], 0x8
	v_lshl_or_b32 v12, s15, 9, v0
	s_mov_b32 s8, 0
	s_mov_b32 s10, 0
	global_load_u16 v11, v1, s[0:1] offset:33
	s_mov_b32 s0, exec_lo
	v_or_b32_e32 v0, 0x180, v12
	s_waitcnt vmcnt(0)
	v_lshrrev_b16 v13, 8, v11
	s_waitcnt lgkmcnt(0)
	s_delay_alu instid0(VALU_DEP_2)
	v_cmpx_le_i32_e64 s11, v0
	s_xor_b32 s9, exec_lo, s0
	s_cbranch_execz .LBB176_1204
; %bb.1:
	s_mov_b32 s1, -1
	s_mov_b32 s14, 0
	s_mov_b32 s12, 0
	s_mov_b32 s13, exec_lo
	v_cmpx_gt_i32_e64 s11, v12
	s_cbranch_execz .LBB176_294
; %bb.2:
	v_mul_lo_u32 v0, v12, s3
	v_cmp_gt_i16_e32 vcc_lo, 11, v13
	s_delay_alu instid0(VALU_DEP_2) | instskip(SKIP_1) | instid1(VALU_DEP_1)
	v_ashrrev_i32_e32 v1, 31, v0
	v_add_co_u32 v2, s0, s6, v0
	v_add_co_ci_u32_e64 v3, s0, s7, v1, s0
	s_cbranch_vccnz .LBB176_9
; %bb.3:
	v_cmp_lt_i16_e32 vcc_lo, 25, v13
	s_cbranch_vccz .LBB176_23
; %bb.4:
	v_cmp_lt_i16_e32 vcc_lo, 28, v13
	s_cbranch_vccz .LBB176_24
; %bb.5:
	v_cmp_lt_i16_e32 vcc_lo, 43, v13
	s_cbranch_vccz .LBB176_25
; %bb.6:
	v_cmp_lt_i16_e32 vcc_lo, 45, v13
                                        ; implicit-def: $vgpr0
	s_cbranch_vccz .LBB176_65
; %bb.7:
	v_cmp_eq_u16_e32 vcc_lo, 46, v13
	s_mov_b32 s1, 0
	s_cbranch_vccz .LBB176_64
; %bb.8:
	global_load_b32 v0, v[2:3], off
	s_mov_b32 s0, -1
	s_waitcnt vmcnt(0)
	v_and_b32_e32 v1, 0xffff0000, v0
	v_lshlrev_b32_e32 v0, 16, v0
	s_branch .LBB176_66
.LBB176_9:
	s_mov_b32 s0, 0
                                        ; implicit-def: $vgpr1
	s_and_b32 vcc_lo, exec_lo, s1
	s_cbranch_vccnz .LBB176_242
.LBB176_10:
	s_and_not1_b32 vcc_lo, exec_lo, s0
	s_cbranch_vccnz .LBB176_291
.LBB176_11:
	s_waitcnt vmcnt(0)
	s_delay_alu instid0(VALU_DEP_2) | instskip(NEXT) | instid1(VALU_DEP_2)
	v_cmp_neq_f32_e32 vcc_lo, 0, v0
	v_cmp_neq_f32_e64 s0, 0, v1
	v_mov_b32_e32 v4, 0
	s_delay_alu instid0(VALU_DEP_2) | instskip(NEXT) | instid1(SALU_CYCLE_1)
	s_or_b32 s0, vcc_lo, s0
	s_and_saveexec_b32 s10, s0
	s_cbranch_execz .LBB176_44
; %bb.12:
	v_mov_b32_e32 v4, 0x7f800000
	s_mov_b32 s15, exec_lo
	v_cmpx_neq_f32_e64 0x7f800000, |v1|
	s_cbranch_execz .LBB176_43
; %bb.13:
	s_mov_b32 s0, exec_lo
	v_cmpx_o_f32_e32 v0, v0
	s_xor_b32 s16, exec_lo, s0
	s_cbranch_execz .LBB176_40
; %bb.14:
	s_mov_b32 s1, exec_lo
	v_cmpx_neq_f32_e64 0x7f800000, |v0|
	s_xor_b32 s17, exec_lo, s1
	s_cbranch_execz .LBB176_33
; %bb.15:
	v_max_f32_e64 v2, |v1|, |v1|
	v_max_f32_e64 v3, |v0|, |v0|
                                        ; implicit-def: $sgpr18
	s_delay_alu instid0(VALU_DEP_1) | instskip(NEXT) | instid1(VALU_DEP_1)
	v_max_f32_e32 v2, v3, v2
	v_cmp_nle_f32_e64 s0, 0x7ed413cb, v2
	s_delay_alu instid0(VALU_DEP_1) | instskip(NEXT) | instid1(SALU_CYCLE_1)
	s_and_saveexec_b32 s1, s0
	s_xor_b32 s1, exec_lo, s1
	s_cbranch_execz .LBB176_19
; %bb.16:
	v_cmp_ge_f32_e64 s18, 0x1000000, |v0|
	v_cmp_ge_f32_e64 s19, 0x1000000, |v1|
	s_delay_alu instid0(VALU_DEP_1)
	s_and_b32 s20, s18, s19
	s_mov_b32 s18, 0
	s_and_saveexec_b32 s19, s20
; %bb.17:
	v_dual_mul_f32 v1, 4.0, v1 :: v_dual_mul_f32 v0, 4.0, v0
	s_mov_b32 s18, exec_lo
; %bb.18:
	s_or_b32 exec_lo, exec_lo, s19
	s_delay_alu instid0(SALU_CYCLE_1)
	s_and_b32 s18, s18, exec_lo
.LBB176_19:
	s_and_not1_saveexec_b32 s1, s1
; %bb.20:
	v_dual_mul_f32 v0, 0x3e800000, v0 :: v_dual_mul_f32 v1, 0x3e800000, v1
	s_and_not1_b32 s18, s18, exec_lo
; %bb.21:
	s_or_b32 exec_lo, exec_lo, s1
	s_delay_alu instid0(VALU_DEP_1) | instskip(NEXT) | instid1(VALU_DEP_2)
	v_max_f32_e64 v2, |v1|, |v1|
	v_max_f32_e64 v3, |v0|, |v0|
	s_delay_alu instid0(VALU_DEP_1) | instskip(NEXT) | instid1(VALU_DEP_1)
	v_max_f32_e32 v4, v3, v2
	v_cvt_f64_f32_e32 v[2:3], v4
	s_delay_alu instid0(VALU_DEP_1) | instskip(NEXT) | instid1(VALU_DEP_1)
	v_frexp_exp_i32_f64_e32 v2, v[2:3]
	v_sub_nc_u32_e32 v3, 0, v2
	s_delay_alu instid0(VALU_DEP_1) | instskip(SKIP_1) | instid1(VALU_DEP_2)
	v_ldexp_f32 v5, |v1|, v3
	v_ldexp_f32 v3, |v0|, v3
	v_mul_f32_e32 v5, v5, v5
	v_cmp_neq_f32_e64 s1, 0x7f800000, v4
	s_delay_alu instid0(VALU_DEP_2) | instskip(NEXT) | instid1(VALU_DEP_1)
	v_fmac_f32_e32 v5, v3, v3
	v_sqrt_f32_e32 v3, v5
	s_waitcnt_depctr 0xfff
	v_ldexp_f32 v2, v3, v2
                                        ; implicit-def: $vgpr3
	s_delay_alu instid0(VALU_DEP_1)
	v_cndmask_b32_e64 v4, 0x7f800000, v2, s1
                                        ; implicit-def: $vgpr2
	s_mov_b32 s1, exec_lo
	v_cmpx_le_f32_e32 0, v0
	s_xor_b32 s19, exec_lo, s1
	s_cbranch_execz .LBB176_26
; %bb.22:
	v_add_f32_e32 v0, v0, v4
	s_delay_alu instid0(VALU_DEP_1) | instskip(NEXT) | instid1(VALU_DEP_1)
	v_mul_f32_e32 v0, 0.5, v0
	v_mul_f32_e32 v2, 0x4f800000, v0
	v_cmp_gt_f32_e32 vcc_lo, 0xf800000, v0
	s_delay_alu instid0(VALU_DEP_2) | instskip(NEXT) | instid1(VALU_DEP_1)
	v_cndmask_b32_e32 v0, v0, v2, vcc_lo
	v_sqrt_f32_e32 v2, v0
	s_waitcnt_depctr 0xfff
	v_add_nc_u32_e32 v3, -1, v2
	v_add_nc_u32_e32 v4, 1, v2
	s_delay_alu instid0(VALU_DEP_2) | instskip(NEXT) | instid1(VALU_DEP_2)
	v_fma_f32 v5, -v3, v2, v0
	v_fma_f32 v6, -v4, v2, v0
	s_delay_alu instid0(VALU_DEP_2) | instskip(NEXT) | instid1(VALU_DEP_1)
	v_cmp_ge_f32_e64 s1, 0, v5
	v_cndmask_b32_e64 v2, v2, v3, s1
	s_delay_alu instid0(VALU_DEP_3) | instskip(NEXT) | instid1(VALU_DEP_1)
	v_cmp_lt_f32_e64 s1, 0, v6
	v_cndmask_b32_e64 v2, v2, v4, s1
	s_delay_alu instid0(VALU_DEP_1) | instskip(NEXT) | instid1(VALU_DEP_1)
	v_mul_f32_e32 v3, 0x37800000, v2
	v_cndmask_b32_e32 v2, v2, v3, vcc_lo
	v_cmp_class_f32_e64 vcc_lo, v0, 0x260
	s_delay_alu instid0(VALU_DEP_2) | instskip(NEXT) | instid1(VALU_DEP_1)
	v_cndmask_b32_e32 v2, v2, v0, vcc_lo
	v_add_f32_e32 v0, v2, v2
	s_delay_alu instid0(VALU_DEP_1) | instskip(NEXT) | instid1(VALU_DEP_1)
	v_div_scale_f32 v3, null, v0, v0, v1
	v_rcp_f32_e32 v4, v3
	s_waitcnt_depctr 0xfff
	v_fma_f32 v5, -v3, v4, 1.0
	s_delay_alu instid0(VALU_DEP_1) | instskip(SKIP_1) | instid1(VALU_DEP_1)
	v_fmac_f32_e32 v4, v5, v4
	v_div_scale_f32 v5, vcc_lo, v1, v0, v1
	v_mul_f32_e32 v6, v5, v4
	s_delay_alu instid0(VALU_DEP_1) | instskip(NEXT) | instid1(VALU_DEP_1)
	v_fma_f32 v7, -v3, v6, v5
	v_fmac_f32_e32 v6, v7, v4
	s_delay_alu instid0(VALU_DEP_1) | instskip(NEXT) | instid1(VALU_DEP_1)
	v_fma_f32 v3, -v3, v6, v5
	v_div_fmas_f32 v3, v3, v4, v6
                                        ; implicit-def: $vgpr4
	s_delay_alu instid0(VALU_DEP_1)
	v_div_fixup_f32 v3, v3, v0, v1
                                        ; implicit-def: $vgpr0
	s_and_not1_saveexec_b32 s19, s19
	s_cbranch_execz .LBB176_28
	s_branch .LBB176_27
.LBB176_23:
	s_mov_b32 s0, 0
                                        ; implicit-def: $vgpr1
	s_and_b32 vcc_lo, exec_lo, s1
	s_cbranch_vccnz .LBB176_208
	s_branch .LBB176_241
.LBB176_24:
	s_mov_b32 s0, 0
                                        ; implicit-def: $vgpr1
	s_branch .LBB176_187
.LBB176_25:
	s_mov_b32 s0, 0
                                        ; implicit-def: $vgpr1
	s_branch .LBB176_181
.LBB176_26:
	s_and_not1_saveexec_b32 s19, s19
	s_cbranch_execz .LBB176_28
.LBB176_27:
	v_sub_f32_e32 v0, v4, v0
	s_delay_alu instid0(VALU_DEP_1) | instskip(NEXT) | instid1(VALU_DEP_1)
	v_mul_f32_e32 v0, 0.5, v0
	v_mul_f32_e32 v2, 0x4f800000, v0
	v_cmp_gt_f32_e32 vcc_lo, 0xf800000, v0
	s_delay_alu instid0(VALU_DEP_2) | instskip(NEXT) | instid1(VALU_DEP_1)
	v_cndmask_b32_e32 v0, v0, v2, vcc_lo
	v_sqrt_f32_e32 v2, v0
	s_waitcnt_depctr 0xfff
	v_add_nc_u32_e32 v3, -1, v2
	v_add_nc_u32_e32 v4, 1, v2
	s_delay_alu instid0(VALU_DEP_2) | instskip(NEXT) | instid1(VALU_DEP_2)
	v_fma_f32 v5, -v3, v2, v0
	v_fma_f32 v6, -v4, v2, v0
	s_delay_alu instid0(VALU_DEP_2) | instskip(NEXT) | instid1(VALU_DEP_1)
	v_cmp_ge_f32_e64 s1, 0, v5
	v_cndmask_b32_e64 v2, v2, v3, s1
	s_delay_alu instid0(VALU_DEP_3) | instskip(NEXT) | instid1(VALU_DEP_1)
	v_cmp_lt_f32_e64 s1, 0, v6
	v_cndmask_b32_e64 v2, v2, v4, s1
	s_delay_alu instid0(VALU_DEP_1) | instskip(NEXT) | instid1(VALU_DEP_1)
	v_mul_f32_e32 v3, 0x37800000, v2
	v_cndmask_b32_e32 v2, v2, v3, vcc_lo
	v_cmp_class_f32_e64 vcc_lo, v0, 0x260
	s_delay_alu instid0(VALU_DEP_2) | instskip(NEXT) | instid1(VALU_DEP_1)
	v_cndmask_b32_e32 v0, v2, v0, vcc_lo
	v_dual_add_f32 v3, v0, v0 :: v_dual_and_b32 v2, 0x7fffffff, v1
	s_delay_alu instid0(VALU_DEP_1) | instskip(SKIP_1) | instid1(VALU_DEP_2)
	v_div_scale_f32 v4, null, v3, v3, v2
	v_div_scale_f32 v2, vcc_lo, v2, v3, v2
	v_rcp_f32_e32 v5, v4
	s_waitcnt_depctr 0xfff
	v_fma_f32 v6, -v4, v5, 1.0
	s_delay_alu instid0(VALU_DEP_1) | instskip(NEXT) | instid1(VALU_DEP_1)
	v_fmac_f32_e32 v5, v6, v5
	v_mul_f32_e32 v6, v2, v5
	s_delay_alu instid0(VALU_DEP_1) | instskip(NEXT) | instid1(VALU_DEP_1)
	v_fma_f32 v7, -v4, v6, v2
	v_fmac_f32_e32 v6, v7, v5
	s_delay_alu instid0(VALU_DEP_1) | instskip(NEXT) | instid1(VALU_DEP_1)
	v_fma_f32 v2, -v4, v6, v2
	v_div_fmas_f32 v2, v2, v5, v6
	s_delay_alu instid0(VALU_DEP_1)
	v_div_fixup_f32 v2, v2, v3, |v1|
	v_bfi_b32 v3, 0x7fffffff, v0, v1
.LBB176_28:
	s_or_b32 exec_lo, exec_lo, s19
                                        ; implicit-def: $vgpr1
	s_and_saveexec_b32 s1, s0
	s_delay_alu instid0(SALU_CYCLE_1)
	s_xor_b32 s0, exec_lo, s1
	s_cbranch_execz .LBB176_30
; %bb.29:
	v_dual_mul_f32 v0, 0.5, v2 :: v_dual_mul_f32 v1, 0.5, v3
	s_delay_alu instid0(VALU_DEP_1) | instskip(NEXT) | instid1(VALU_DEP_2)
	v_cndmask_b32_e64 v0, v2, v0, s18
	v_cndmask_b32_e64 v1, v3, v1, s18
                                        ; implicit-def: $vgpr2
                                        ; implicit-def: $vgpr3
	s_and_not1_saveexec_b32 s0, s0
	s_cbranch_execnz .LBB176_31
	s_branch .LBB176_32
.LBB176_30:
	s_and_not1_saveexec_b32 s0, s0
.LBB176_31:
	v_dual_add_f32 v0, v2, v2 :: v_dual_add_f32 v1, v3, v3
.LBB176_32:
	s_or_b32 exec_lo, exec_lo, s0
.LBB176_33:
	s_and_not1_saveexec_b32 s0, s17
	s_cbranch_execz .LBB176_39
; %bb.34:
	s_delay_alu instid0(VALU_DEP_1)
	v_sub_f32_e32 v2, v1, v1
	s_mov_b32 s1, exec_lo
	v_cmpx_lt_i32_e32 -1, v0
	s_xor_b32 s1, exec_lo, s1
; %bb.35:
	s_delay_alu instid0(VALU_DEP_2)
	v_bfi_b32 v1, 0x7fffffff, v2, v1
                                        ; implicit-def: $vgpr2
; %bb.36:
	s_and_not1_saveexec_b32 s1, s1
; %bb.37:
	v_and_b32_e32 v2, 0x7fffffff, v2
	s_delay_alu instid0(VALU_DEP_2) | instskip(NEXT) | instid1(VALU_DEP_2)
	v_bfi_b32 v1, 0x7fffffff, v0, v1
	v_mov_b32_e32 v0, v2
; %bb.38:
	s_or_b32 exec_lo, exec_lo, s1
.LBB176_39:
	s_delay_alu instid0(SALU_CYCLE_1)
	s_or_b32 exec_lo, exec_lo, s0
.LBB176_40:
	s_and_not1_saveexec_b32 s0, s16
; %bb.41:
	v_sub_f32_e32 v1, v1, v1
	s_delay_alu instid0(VALU_DEP_1) | instskip(NEXT) | instid1(VALU_DEP_1)
	v_div_scale_f32 v2, vcc_lo, v1, v1, v1
	v_rcp_f32_e32 v3, v2
	s_waitcnt_depctr 0xfff
	v_fma_f32 v4, -v2, v3, 1.0
	s_delay_alu instid0(VALU_DEP_1) | instskip(NEXT) | instid1(VALU_DEP_1)
	v_fmac_f32_e32 v3, v4, v3
	v_mul_f32_e32 v4, v2, v3
	s_delay_alu instid0(VALU_DEP_1) | instskip(NEXT) | instid1(VALU_DEP_1)
	v_fma_f32 v5, -v2, v4, v2
	v_fmac_f32_e32 v4, v5, v3
	s_delay_alu instid0(VALU_DEP_1) | instskip(NEXT) | instid1(VALU_DEP_1)
	v_fma_f32 v2, -v2, v4, v2
	v_div_fmas_f32 v2, v2, v3, v4
	s_delay_alu instid0(VALU_DEP_1)
	v_div_fixup_f32 v1, v2, v1, v1
; %bb.42:
	s_or_b32 exec_lo, exec_lo, s0
	v_mov_b32_e32 v4, v0
.LBB176_43:
	s_or_b32 exec_lo, exec_lo, s15
.LBB176_44:
	s_delay_alu instid0(SALU_CYCLE_1) | instskip(NEXT) | instid1(VALU_DEP_1)
	s_or_b32 exec_lo, exec_lo, s10
	v_cmp_gt_f32_e32 vcc_lo, 0, v4
                                        ; implicit-def: $vgpr3
	s_mov_b32 s0, exec_lo
	v_cndmask_b32_e64 v0, v4, -v4, vcc_lo
	v_cmp_gt_f32_e32 vcc_lo, 0, v1
	v_cndmask_b32_e64 v5, v1, -v1, vcc_lo
	s_delay_alu instid0(VALU_DEP_1)
	v_cmpx_ge_f32_e32 v0, v5
	s_xor_b32 s1, exec_lo, s0
	s_cbranch_execz .LBB176_50
; %bb.45:
	v_cmp_neq_f32_e32 vcc_lo, 0, v4
	v_cmp_neq_f32_e64 s0, 0, v1
                                        ; implicit-def: $vgpr3
	s_delay_alu instid0(VALU_DEP_1) | instskip(NEXT) | instid1(SALU_CYCLE_1)
	s_or_b32 s0, vcc_lo, s0
	s_and_saveexec_b32 s10, s0
	s_delay_alu instid0(SALU_CYCLE_1)
	s_xor_b32 s0, exec_lo, s10
	s_cbranch_execz .LBB176_47
; %bb.46:
	v_div_scale_f32 v0, null, v4, v4, v1
	v_div_scale_f32 v5, vcc_lo, v1, v4, v1
	s_delay_alu instid0(VALU_DEP_2) | instskip(SKIP_2) | instid1(VALU_DEP_1)
	v_rcp_f32_e32 v2, v0
	s_waitcnt_depctr 0xfff
	v_fma_f32 v3, -v0, v2, 1.0
	v_fmac_f32_e32 v2, v3, v2
	s_delay_alu instid0(VALU_DEP_1) | instskip(NEXT) | instid1(VALU_DEP_1)
	v_mul_f32_e32 v3, v5, v2
	v_fma_f32 v6, -v0, v3, v5
	s_delay_alu instid0(VALU_DEP_1) | instskip(NEXT) | instid1(VALU_DEP_1)
	v_fmac_f32_e32 v3, v6, v2
	v_fma_f32 v0, -v0, v3, v5
	s_delay_alu instid0(VALU_DEP_1) | instskip(NEXT) | instid1(VALU_DEP_1)
	v_div_fmas_f32 v0, v0, v2, v3
	v_div_fixup_f32 v0, v0, v4, v1
	s_delay_alu instid0(VALU_DEP_1) | instskip(NEXT) | instid1(VALU_DEP_1)
	v_fmac_f32_e32 v4, v1, v0
	v_div_scale_f32 v1, null, v4, v4, 1.0
	v_div_scale_f32 v5, vcc_lo, 1.0, v4, 1.0
	s_delay_alu instid0(VALU_DEP_2) | instskip(SKIP_2) | instid1(VALU_DEP_1)
	v_rcp_f32_e32 v2, v1
	s_waitcnt_depctr 0xfff
	v_fma_f32 v3, -v1, v2, 1.0
	v_fmac_f32_e32 v2, v3, v2
	s_delay_alu instid0(VALU_DEP_1) | instskip(NEXT) | instid1(VALU_DEP_1)
	v_mul_f32_e32 v3, v5, v2
	v_fma_f32 v6, -v1, v3, v5
	s_delay_alu instid0(VALU_DEP_1) | instskip(NEXT) | instid1(VALU_DEP_1)
	v_fmac_f32_e32 v3, v6, v2
	v_fma_f32 v1, -v1, v3, v5
                                        ; implicit-def: $vgpr5
	s_delay_alu instid0(VALU_DEP_1) | instskip(SKIP_1) | instid1(VALU_DEP_2)
	v_div_fmas_f32 v1, v1, v2, v3
	v_fma_f32 v2, v0, 0, 1.0
	v_div_fixup_f32 v1, v1, v4, 1.0
	s_delay_alu instid0(VALU_DEP_1)
	v_mul_f32_e32 v2, v2, v1
	v_mul_f32_e64 v3, -v0, v1
                                        ; implicit-def: $vgpr0
.LBB176_47:
	s_and_not1_saveexec_b32 s10, s0
	s_cbranch_execz .LBB176_49
; %bb.48:
	v_div_scale_f32 v1, null, v0, v0, 1.0
	v_div_scale_f32 v2, null, v5, v5, 0
	v_div_scale_f32 v8, vcc_lo, 1.0, v0, 1.0
	s_delay_alu instid0(VALU_DEP_3) | instskip(NEXT) | instid1(VALU_DEP_2)
	v_rcp_f32_e32 v3, v1
	v_rcp_f32_e32 v4, v2
	s_waitcnt_depctr 0xfff
	v_fma_f32 v6, -v1, v3, 1.0
	v_fma_f32 v7, -v2, v4, 1.0
	s_delay_alu instid0(VALU_DEP_1) | instskip(SKIP_1) | instid1(VALU_DEP_2)
	v_dual_fmac_f32 v3, v6, v3 :: v_dual_fmac_f32 v4, v7, v4
	v_div_scale_f32 v6, s0, 0, v5, 0
	v_mul_f32_e32 v7, v8, v3
	s_delay_alu instid0(VALU_DEP_2) | instskip(NEXT) | instid1(VALU_DEP_2)
	v_mul_f32_e32 v9, v6, v4
	v_fma_f32 v10, -v1, v7, v8
	s_delay_alu instid0(VALU_DEP_2) | instskip(NEXT) | instid1(VALU_DEP_2)
	v_fma_f32 v14, -v2, v9, v6
	v_fmac_f32_e32 v7, v10, v3
	s_delay_alu instid0(VALU_DEP_2) | instskip(NEXT) | instid1(VALU_DEP_2)
	v_fmac_f32_e32 v9, v14, v4
	v_fma_f32 v1, -v1, v7, v8
	s_delay_alu instid0(VALU_DEP_2) | instskip(NEXT) | instid1(VALU_DEP_2)
	v_fma_f32 v2, -v2, v9, v6
	v_div_fmas_f32 v1, v1, v3, v7
	s_mov_b32 vcc_lo, s0
	s_delay_alu instid0(VALU_DEP_2) | instskip(NEXT) | instid1(VALU_DEP_2)
	v_div_fmas_f32 v3, v2, v4, v9
	v_div_fixup_f32 v2, v1, v0, 1.0
	s_delay_alu instid0(VALU_DEP_2)
	v_div_fixup_f32 v3, v3, v5, 0
.LBB176_49:
	s_or_b32 exec_lo, exec_lo, s10
                                        ; implicit-def: $vgpr1
                                        ; implicit-def: $vgpr4
.LBB176_50:
	s_and_not1_saveexec_b32 s0, s1
	s_cbranch_execz .LBB176_52
; %bb.51:
	v_div_scale_f32 v0, null, v1, v1, v4
	v_div_scale_f32 v5, vcc_lo, v4, v1, v4
	s_delay_alu instid0(VALU_DEP_2) | instskip(SKIP_2) | instid1(VALU_DEP_1)
	v_rcp_f32_e32 v2, v0
	s_waitcnt_depctr 0xfff
	v_fma_f32 v3, -v0, v2, 1.0
	v_fmac_f32_e32 v2, v3, v2
	s_delay_alu instid0(VALU_DEP_1) | instskip(NEXT) | instid1(VALU_DEP_1)
	v_mul_f32_e32 v3, v5, v2
	v_fma_f32 v6, -v0, v3, v5
	s_delay_alu instid0(VALU_DEP_1) | instskip(NEXT) | instid1(VALU_DEP_1)
	v_fmac_f32_e32 v3, v6, v2
	v_fma_f32 v0, -v0, v3, v5
	s_delay_alu instid0(VALU_DEP_1) | instskip(NEXT) | instid1(VALU_DEP_1)
	v_div_fmas_f32 v0, v0, v2, v3
	v_div_fixup_f32 v0, v0, v1, v4
	s_delay_alu instid0(VALU_DEP_1) | instskip(NEXT) | instid1(VALU_DEP_1)
	v_fmac_f32_e32 v1, v4, v0
	v_div_scale_f32 v2, null, v1, v1, 1.0
	v_div_scale_f32 v5, vcc_lo, 1.0, v1, 1.0
	s_delay_alu instid0(VALU_DEP_2) | instskip(SKIP_2) | instid1(VALU_DEP_1)
	v_rcp_f32_e32 v3, v2
	s_waitcnt_depctr 0xfff
	v_fma_f32 v4, -v2, v3, 1.0
	v_fmac_f32_e32 v3, v4, v3
	s_delay_alu instid0(VALU_DEP_1) | instskip(NEXT) | instid1(VALU_DEP_1)
	v_mul_f32_e32 v4, v5, v3
	v_fma_f32 v6, -v2, v4, v5
	s_delay_alu instid0(VALU_DEP_1) | instskip(NEXT) | instid1(VALU_DEP_1)
	v_fmac_f32_e32 v4, v6, v3
	v_fma_f32 v2, -v2, v4, v5
	s_delay_alu instid0(VALU_DEP_1) | instskip(SKIP_2) | instid1(VALU_DEP_3)
	v_div_fmas_f32 v2, v2, v3, v4
	v_add_f32_e32 v3, 0, v0
	v_fma_f32 v0, v0, 0, -1.0
	v_div_fixup_f32 v1, v2, v1, 1.0
	s_delay_alu instid0(VALU_DEP_1) | instskip(NEXT) | instid1(VALU_DEP_3)
	v_mul_f32_e32 v2, v3, v1
	v_mul_f32_e32 v3, v0, v1
.LBB176_52:
	s_or_b32 exec_lo, exec_lo, s0
	v_mul_lo_u32 v0, v12, s2
	v_and_b32_e32 v4, 0xff, v11
	s_delay_alu instid0(VALU_DEP_1) | instskip(NEXT) | instid1(VALU_DEP_3)
	v_cmp_gt_i16_e32 vcc_lo, 11, v4
	v_ashrrev_i32_e32 v1, 31, v0
	v_add_co_u32 v0, s0, s4, v0
	s_delay_alu instid0(VALU_DEP_1)
	v_add_co_ci_u32_e64 v1, s0, s5, v1, s0
	s_cbranch_vccnz .LBB176_59
; %bb.53:
	v_cmp_lt_i16_e32 vcc_lo, 25, v4
	s_cbranch_vccz .LBB176_61
; %bb.54:
	v_cmp_lt_i16_e32 vcc_lo, 28, v4
	s_cbranch_vccz .LBB176_62
	;; [unrolled: 3-line block ×4, first 2 shown]
; %bb.57:
	v_cmp_eq_u16_e32 vcc_lo, 46, v4
	s_mov_b32 s10, 0
	s_mov_b32 s0, -1
	s_mov_b32 s1, 0
	s_cbranch_vccz .LBB176_70
; %bb.58:
	v_bfe_u32 v5, v3, 16, 1
	v_bfe_u32 v6, v2, 16, 1
	v_cmp_o_f32_e32 vcc_lo, v3, v3
	s_mov_b32 s1, -1
	s_mov_b32 s0, 0
	v_add3_u32 v5, v3, v5, 0x7fff
	v_add3_u32 v6, v2, v6, 0x7fff
	s_delay_alu instid0(VALU_DEP_2) | instskip(NEXT) | instid1(VALU_DEP_2)
	v_and_b32_e32 v5, 0xffff0000, v5
	v_lshrrev_b32_e32 v6, 16, v6
	s_delay_alu instid0(VALU_DEP_2) | instskip(SKIP_1) | instid1(VALU_DEP_3)
	v_cndmask_b32_e32 v5, 0x7fc00000, v5, vcc_lo
	v_cmp_o_f32_e32 vcc_lo, v2, v2
	v_cndmask_b32_e32 v6, 0x7fc0, v6, vcc_lo
	s_delay_alu instid0(VALU_DEP_1)
	v_or_b32_e32 v5, v5, v6
	global_store_b32 v[0:1], v5, off
	s_branch .LBB176_70
.LBB176_59:
	s_mov_b32 s0, 0
	s_mov_b32 s1, 0
	s_cbranch_execnz .LBB176_139
.LBB176_60:
	s_and_not1_b32 vcc_lo, exec_lo, s1
	s_cbranch_vccnz .LBB176_292
	s_branch .LBB176_177
.LBB176_61:
	s_mov_b32 s10, -1
	s_mov_b32 s0, 0
	s_mov_b32 s1, 0
	s_branch .LBB176_97
.LBB176_62:
	s_mov_b32 s10, -1
	s_mov_b32 s0, 0
	s_mov_b32 s1, 0
	s_branch .LBB176_80
.LBB176_63:
	s_mov_b32 s10, -1
	s_mov_b32 s0, 0
	s_mov_b32 s1, 0
	s_branch .LBB176_76
.LBB176_64:
	s_mov_b32 s12, -1
.LBB176_65:
	s_mov_b32 s0, 0
                                        ; implicit-def: $vgpr1
.LBB176_66:
	s_and_b32 vcc_lo, exec_lo, s1
	s_cbranch_vccz .LBB176_180
; %bb.67:
	v_cmp_eq_u16_e32 vcc_lo, 44, v13
	s_cbranch_vccz .LBB176_178
; %bb.68:
	global_load_u8 v0, v[2:3], off
	s_mov_b32 s12, 0
	s_mov_b32 s0, -1
	s_waitcnt vmcnt(0)
	v_lshlrev_b32_e32 v1, 23, v0
	v_cmp_ne_u32_e32 vcc_lo, 0xff, v0
	s_delay_alu instid0(VALU_DEP_2) | instskip(SKIP_1) | instid1(VALU_DEP_2)
	v_cndmask_b32_e32 v1, 0x7f800001, v1, vcc_lo
	v_cmp_ne_u32_e32 vcc_lo, 0, v0
	v_cndmask_b32_e32 v0, 0x400000, v1, vcc_lo
	s_branch .LBB176_179
.LBB176_69:
	s_mov_b32 s10, -1
	s_mov_b32 s0, 0
	s_mov_b32 s1, 0
.LBB176_70:
	s_and_b32 vcc_lo, exec_lo, s10
	s_cbranch_vccz .LBB176_75
; %bb.71:
	v_cmp_eq_u16_e32 vcc_lo, 44, v4
	s_mov_b32 s0, -1
	s_cbranch_vccz .LBB176_75
; %bb.72:
	v_bfe_u32 v6, v2, 23, 8
	v_mov_b32_e32 v5, 0xff
	s_mov_b32 s1, exec_lo
	s_delay_alu instid0(VALU_DEP_2)
	v_cmpx_ne_u32_e32 0xff, v6
; %bb.73:
	v_and_b32_e32 v5, 0x400000, v2
	v_and_or_b32 v6, 0x3fffff, v2, v6
	s_delay_alu instid0(VALU_DEP_2) | instskip(NEXT) | instid1(VALU_DEP_2)
	v_cmp_ne_u32_e32 vcc_lo, 0, v5
	v_cmp_ne_u32_e64 s0, 0, v6
	v_lshrrev_b32_e32 v5, 23, v2
	s_delay_alu instid0(VALU_DEP_2) | instskip(NEXT) | instid1(SALU_CYCLE_1)
	s_and_b32 s0, vcc_lo, s0
	v_cndmask_b32_e64 v6, 0, 1, s0
	s_delay_alu instid0(VALU_DEP_1)
	v_add_nc_u32_e32 v5, v5, v6
; %bb.74:
	s_or_b32 exec_lo, exec_lo, s1
	s_mov_b32 s1, -1
	s_mov_b32 s0, 0
	global_store_b8 v[0:1], v5, off
.LBB176_75:
	s_mov_b32 s10, 0
.LBB176_76:
	s_delay_alu instid0(SALU_CYCLE_1)
	s_and_b32 vcc_lo, exec_lo, s10
	s_cbranch_vccz .LBB176_79
; %bb.77:
	v_cmp_eq_u16_e32 vcc_lo, 29, v4
	s_mov_b32 s0, -1
	s_cbranch_vccz .LBB176_79
; %bb.78:
	v_trunc_f32_e32 v5, v2
	s_mov_b32 s1, -1
	s_mov_b32 s0, 0
	s_mov_b32 s10, 0
	s_delay_alu instid0(VALU_DEP_1) | instskip(NEXT) | instid1(VALU_DEP_1)
	v_mul_f32_e32 v6, 0x2f800000, v5
	v_floor_f32_e32 v6, v6
	s_delay_alu instid0(VALU_DEP_1) | instskip(SKIP_1) | instid1(VALU_DEP_2)
	v_fmamk_f32 v5, v6, 0xcf800000, v5
	v_cvt_u32_f32_e32 v6, v6
	v_cvt_u32_f32_e32 v5, v5
	global_store_b64 v[0:1], v[5:6], off
	s_branch .LBB176_80
.LBB176_79:
	s_mov_b32 s10, 0
.LBB176_80:
	s_delay_alu instid0(SALU_CYCLE_1)
	s_and_b32 vcc_lo, exec_lo, s10
	s_cbranch_vccz .LBB176_96
; %bb.81:
	v_cmp_gt_i16_e32 vcc_lo, 27, v4
	s_mov_b32 s1, -1
	s_cbranch_vccnz .LBB176_87
; %bb.82:
	v_cmp_lt_i16_e32 vcc_lo, 27, v4
	s_cbranch_vccz .LBB176_84
; %bb.83:
	v_cvt_u32_f32_e32 v5, v2
	s_mov_b32 s1, 0
	global_store_b32 v[0:1], v5, off
.LBB176_84:
	s_and_not1_b32 vcc_lo, exec_lo, s1
	s_cbranch_vccnz .LBB176_86
; %bb.85:
	v_cvt_u32_f32_e32 v5, v2
	global_store_b16 v[0:1], v5, off
.LBB176_86:
	s_mov_b32 s1, 0
.LBB176_87:
	s_delay_alu instid0(SALU_CYCLE_1)
	s_and_not1_b32 vcc_lo, exec_lo, s1
	s_cbranch_vccnz .LBB176_95
; %bb.88:
	v_and_b32_e32 v5, 0x7fffffff, v2
	v_mov_b32_e32 v6, 0x80
	s_mov_b32 s1, exec_lo
	s_delay_alu instid0(VALU_DEP_2)
	v_cmpx_gt_u32_e32 0x43800000, v5
	s_cbranch_execz .LBB176_94
; %bb.89:
	v_cmp_lt_u32_e32 vcc_lo, 0x3bffffff, v5
	s_mov_b32 s10, 0
                                        ; implicit-def: $vgpr5
	s_and_saveexec_b32 s15, vcc_lo
	s_delay_alu instid0(SALU_CYCLE_1)
	s_xor_b32 s15, exec_lo, s15
	s_cbranch_execz .LBB176_320
; %bb.90:
	v_bfe_u32 v5, v2, 20, 1
	s_mov_b32 s10, exec_lo
	s_delay_alu instid0(VALU_DEP_1) | instskip(NEXT) | instid1(VALU_DEP_1)
	v_add3_u32 v5, v2, v5, 0x487ffff
	v_lshrrev_b32_e32 v5, 20, v5
	s_or_saveexec_b32 s15, s15
                                        ; implicit-def: $sgpr16
	s_delay_alu instid0(SALU_CYCLE_1)
	s_xor_b32 exec_lo, exec_lo, s15
	s_cbranch_execnz .LBB176_321
.LBB176_91:
	s_or_b32 exec_lo, exec_lo, s15
	v_mov_b32_e32 v6, s16
	s_and_saveexec_b32 s15, s10
.LBB176_92:
	v_lshrrev_b32_e32 v6, 24, v2
	s_delay_alu instid0(VALU_DEP_1)
	v_and_or_b32 v6, 0x80, v6, v5
.LBB176_93:
	s_or_b32 exec_lo, exec_lo, s15
.LBB176_94:
	s_delay_alu instid0(SALU_CYCLE_1)
	s_or_b32 exec_lo, exec_lo, s1
	global_store_b8 v[0:1], v6, off
.LBB176_95:
	s_mov_b32 s1, -1
.LBB176_96:
	s_mov_b32 s10, 0
.LBB176_97:
	s_delay_alu instid0(SALU_CYCLE_1)
	s_and_b32 vcc_lo, exec_lo, s10
	s_cbranch_vccz .LBB176_138
; %bb.98:
	v_cmp_lt_i16_e32 vcc_lo, 22, v4
	s_mov_b32 s10, -1
	s_cbranch_vccz .LBB176_130
; %bb.99:
	v_cmp_gt_i16_e32 vcc_lo, 24, v4
	s_mov_b32 s1, -1
	s_cbranch_vccnz .LBB176_119
; %bb.100:
	v_cmp_lt_i16_e32 vcc_lo, 24, v4
	s_cbranch_vccz .LBB176_108
; %bb.101:
	v_and_b32_e32 v5, 0x7fffffff, v2
	v_mov_b32_e32 v6, 0x80
	s_mov_b32 s1, exec_lo
	s_delay_alu instid0(VALU_DEP_2)
	v_cmpx_gt_u32_e32 0x47800000, v5
	s_cbranch_execz .LBB176_107
; %bb.102:
	v_cmp_lt_u32_e32 vcc_lo, 0x37ffffff, v5
	s_mov_b32 s10, 0
                                        ; implicit-def: $vgpr5
	s_and_saveexec_b32 s15, vcc_lo
	s_delay_alu instid0(SALU_CYCLE_1)
	s_xor_b32 s15, exec_lo, s15
	s_cbranch_execz .LBB176_360
; %bb.103:
	v_bfe_u32 v5, v2, 21, 1
	s_mov_b32 s10, exec_lo
	s_delay_alu instid0(VALU_DEP_1) | instskip(NEXT) | instid1(VALU_DEP_1)
	v_add3_u32 v5, v2, v5, 0x88fffff
	v_lshrrev_b32_e32 v5, 21, v5
	s_or_saveexec_b32 s15, s15
                                        ; implicit-def: $sgpr16
	s_delay_alu instid0(SALU_CYCLE_1)
	s_xor_b32 exec_lo, exec_lo, s15
	s_cbranch_execnz .LBB176_361
.LBB176_104:
	s_or_b32 exec_lo, exec_lo, s15
	v_mov_b32_e32 v6, s16
	s_and_saveexec_b32 s15, s10
.LBB176_105:
	v_lshrrev_b32_e32 v6, 24, v2
	s_delay_alu instid0(VALU_DEP_1)
	v_and_or_b32 v6, 0x80, v6, v5
.LBB176_106:
	s_or_b32 exec_lo, exec_lo, s15
.LBB176_107:
	s_delay_alu instid0(SALU_CYCLE_1)
	s_or_b32 exec_lo, exec_lo, s1
	s_mov_b32 s1, 0
	global_store_b8 v[0:1], v6, off
.LBB176_108:
	s_and_b32 vcc_lo, exec_lo, s1
	s_cbranch_vccz .LBB176_118
; %bb.109:
	v_and_b32_e32 v6, 0x7fffffff, v2
	s_mov_b32 s1, exec_lo
                                        ; implicit-def: $vgpr5
	s_delay_alu instid0(VALU_DEP_1)
	v_cmpx_gt_u32_e32 0x43f00000, v6
	s_xor_b32 s1, exec_lo, s1
	s_cbranch_execz .LBB176_115
; %bb.110:
	s_mov_b32 s10, exec_lo
                                        ; implicit-def: $vgpr5
	v_cmpx_lt_u32_e32 0x3c7fffff, v6
	s_xor_b32 s10, exec_lo, s10
; %bb.111:
	v_bfe_u32 v5, v2, 20, 1
	s_delay_alu instid0(VALU_DEP_1) | instskip(NEXT) | instid1(VALU_DEP_1)
	v_add3_u32 v5, v2, v5, 0x407ffff
	v_and_b32_e32 v6, 0xff00000, v5
	v_lshrrev_b32_e32 v5, 20, v5
	s_delay_alu instid0(VALU_DEP_2) | instskip(NEXT) | instid1(VALU_DEP_2)
	v_cmp_ne_u32_e32 vcc_lo, 0x7f00000, v6
	v_cndmask_b32_e32 v5, 0x7e, v5, vcc_lo
; %bb.112:
	s_and_not1_saveexec_b32 s10, s10
; %bb.113:
	v_add_f32_e64 v5, 0x46800000, |v2|
; %bb.114:
	s_or_b32 exec_lo, exec_lo, s10
                                        ; implicit-def: $vgpr6
.LBB176_115:
	s_and_not1_saveexec_b32 s1, s1
; %bb.116:
	v_mov_b32_e32 v5, 0x7f
	v_cmp_lt_u32_e32 vcc_lo, 0x7f800000, v6
	s_delay_alu instid0(VALU_DEP_2)
	v_cndmask_b32_e32 v5, 0x7e, v5, vcc_lo
; %bb.117:
	s_or_b32 exec_lo, exec_lo, s1
	v_lshrrev_b32_e32 v6, 24, v2
	s_delay_alu instid0(VALU_DEP_1)
	v_and_or_b32 v5, 0x80, v6, v5
	global_store_b8 v[0:1], v5, off
.LBB176_118:
	s_mov_b32 s1, 0
.LBB176_119:
	s_delay_alu instid0(SALU_CYCLE_1)
	s_and_not1_b32 vcc_lo, exec_lo, s1
	s_cbranch_vccnz .LBB176_129
; %bb.120:
	v_and_b32_e32 v6, 0x7fffffff, v2
	s_mov_b32 s1, exec_lo
                                        ; implicit-def: $vgpr5
	s_delay_alu instid0(VALU_DEP_1)
	v_cmpx_gt_u32_e32 0x47800000, v6
	s_xor_b32 s1, exec_lo, s1
	s_cbranch_execz .LBB176_126
; %bb.121:
	s_mov_b32 s10, exec_lo
                                        ; implicit-def: $vgpr5
	v_cmpx_lt_u32_e32 0x387fffff, v6
	s_xor_b32 s10, exec_lo, s10
; %bb.122:
	v_bfe_u32 v5, v2, 21, 1
	s_delay_alu instid0(VALU_DEP_1) | instskip(NEXT) | instid1(VALU_DEP_1)
	v_add3_u32 v5, v2, v5, 0x80fffff
	v_lshrrev_b32_e32 v5, 21, v5
; %bb.123:
	s_and_not1_saveexec_b32 s10, s10
; %bb.124:
	v_add_f32_e64 v5, 0x43000000, |v2|
; %bb.125:
	s_or_b32 exec_lo, exec_lo, s10
                                        ; implicit-def: $vgpr6
.LBB176_126:
	s_and_not1_saveexec_b32 s1, s1
; %bb.127:
	v_mov_b32_e32 v5, 0x7f
	v_cmp_lt_u32_e32 vcc_lo, 0x7f800000, v6
	s_delay_alu instid0(VALU_DEP_2)
	v_cndmask_b32_e32 v5, 0x7c, v5, vcc_lo
; %bb.128:
	s_or_b32 exec_lo, exec_lo, s1
	v_lshrrev_b32_e32 v6, 24, v2
	s_delay_alu instid0(VALU_DEP_1)
	v_and_or_b32 v5, 0x80, v6, v5
	global_store_b8 v[0:1], v5, off
.LBB176_129:
	s_mov_b32 s10, 0
	s_mov_b32 s1, -1
.LBB176_130:
	s_and_not1_b32 vcc_lo, exec_lo, s10
	s_cbranch_vccnz .LBB176_138
; %bb.131:
	v_cmp_lt_i16_e32 vcc_lo, 14, v4
	s_mov_b32 s10, -1
	s_cbranch_vccz .LBB176_135
; %bb.132:
	v_cmp_eq_u16_e32 vcc_lo, 15, v4
	s_mov_b32 s0, -1
	s_cbranch_vccz .LBB176_134
; %bb.133:
	v_bfe_u32 v5, v2, 16, 1
	v_cmp_o_f32_e32 vcc_lo, v2, v2
	s_mov_b32 s1, -1
	s_mov_b32 s0, 0
	s_delay_alu instid0(VALU_DEP_2) | instskip(NEXT) | instid1(VALU_DEP_1)
	v_add3_u32 v5, v2, v5, 0x7fff
	v_lshrrev_b32_e32 v5, 16, v5
	s_delay_alu instid0(VALU_DEP_1)
	v_cndmask_b32_e32 v5, 0x7fc0, v5, vcc_lo
	global_store_b16 v[0:1], v5, off
.LBB176_134:
	s_mov_b32 s10, 0
.LBB176_135:
	s_delay_alu instid0(SALU_CYCLE_1)
	s_and_b32 vcc_lo, exec_lo, s10
	s_cbranch_vccz .LBB176_138
; %bb.136:
	v_cmp_eq_u16_e32 vcc_lo, 11, v4
	s_mov_b32 s0, -1
	s_cbranch_vccz .LBB176_138
; %bb.137:
	v_cmp_neq_f32_e32 vcc_lo, 0, v2
	v_cmp_neq_f32_e64 s0, 0, v3
	s_mov_b32 s1, -1
	s_delay_alu instid0(VALU_DEP_1) | instskip(NEXT) | instid1(SALU_CYCLE_1)
	s_or_b32 s0, vcc_lo, s0
	v_cndmask_b32_e64 v5, 0, 1, s0
	s_mov_b32 s0, 0
	global_store_b8 v[0:1], v5, off
.LBB176_138:
	s_branch .LBB176_60
.LBB176_139:
	v_cmp_gt_i16_e32 vcc_lo, 5, v4
	s_mov_b32 s1, -1
	s_cbranch_vccnz .LBB176_160
; %bb.140:
	v_cmp_gt_i16_e32 vcc_lo, 8, v4
	s_cbranch_vccnz .LBB176_150
; %bb.141:
	v_cmp_gt_i16_e32 vcc_lo, 9, v4
	s_cbranch_vccnz .LBB176_147
; %bb.142:
	v_cmp_lt_i16_e32 vcc_lo, 9, v4
	s_cbranch_vccz .LBB176_144
; %bb.143:
	v_cvt_f64_f32_e32 v[5:6], v2
	v_cvt_f64_f32_e32 v[7:8], v3
	s_mov_b32 s1, 0
	global_store_b128 v[0:1], v[5:8], off
.LBB176_144:
	s_and_not1_b32 vcc_lo, exec_lo, s1
	s_cbranch_vccnz .LBB176_146
; %bb.145:
	global_store_b64 v[0:1], v[2:3], off
.LBB176_146:
	s_mov_b32 s1, 0
.LBB176_147:
	s_delay_alu instid0(SALU_CYCLE_1)
	s_and_not1_b32 vcc_lo, exec_lo, s1
	s_cbranch_vccnz .LBB176_149
; %bb.148:
	v_cvt_f16_f32_e32 v3, v3
	v_cvt_f16_f32_e32 v5, v2
	s_delay_alu instid0(VALU_DEP_2) | instskip(NEXT) | instid1(VALU_DEP_2)
	v_lshlrev_b32_e32 v3, 16, v3
	v_and_b32_e32 v5, 0xffff, v5
	s_delay_alu instid0(VALU_DEP_1)
	v_or_b32_e32 v3, v3, v5
	global_store_b32 v[0:1], v3, off
.LBB176_149:
	s_mov_b32 s1, 0
.LBB176_150:
	s_delay_alu instid0(SALU_CYCLE_1)
	s_and_not1_b32 vcc_lo, exec_lo, s1
	s_cbranch_vccnz .LBB176_159
; %bb.151:
	v_cmp_gt_i16_e32 vcc_lo, 6, v4
	s_mov_b32 s1, -1
	s_cbranch_vccnz .LBB176_157
; %bb.152:
	v_cmp_lt_i16_e32 vcc_lo, 6, v4
	s_cbranch_vccz .LBB176_154
; %bb.153:
	v_cvt_f64_f32_e32 v[5:6], v2
	s_mov_b32 s1, 0
	global_store_b64 v[0:1], v[5:6], off
.LBB176_154:
	s_and_not1_b32 vcc_lo, exec_lo, s1
	s_cbranch_vccnz .LBB176_156
; %bb.155:
	global_store_b32 v[0:1], v2, off
.LBB176_156:
	s_mov_b32 s1, 0
.LBB176_157:
	s_delay_alu instid0(SALU_CYCLE_1)
	s_and_not1_b32 vcc_lo, exec_lo, s1
	s_cbranch_vccnz .LBB176_159
; %bb.158:
	v_cvt_f16_f32_e32 v3, v2
	global_store_b16 v[0:1], v3, off
.LBB176_159:
	s_mov_b32 s1, 0
.LBB176_160:
	s_delay_alu instid0(SALU_CYCLE_1)
	s_and_not1_b32 vcc_lo, exec_lo, s1
	s_cbranch_vccnz .LBB176_176
; %bb.161:
	v_cmp_gt_i16_e32 vcc_lo, 2, v4
	s_mov_b32 s1, -1
	s_cbranch_vccnz .LBB176_171
; %bb.162:
	v_cmp_gt_i16_e32 vcc_lo, 3, v4
	s_cbranch_vccnz .LBB176_168
; %bb.163:
	v_cmp_lt_i16_e32 vcc_lo, 3, v4
	s_cbranch_vccz .LBB176_165
; %bb.164:
	v_trunc_f32_e32 v3, v2
	s_mov_b32 s1, 0
	s_delay_alu instid0(VALU_DEP_1) | instskip(NEXT) | instid1(VALU_DEP_1)
	v_mul_f32_e64 v5, 0x2f800000, |v3|
	v_floor_f32_e32 v5, v5
	s_delay_alu instid0(VALU_DEP_1) | instskip(SKIP_2) | instid1(VALU_DEP_3)
	v_fma_f32 v6, 0xcf800000, v5, |v3|
	v_ashrrev_i32_e32 v3, 31, v3
	v_cvt_u32_f32_e32 v5, v5
	v_cvt_u32_f32_e32 v6, v6
	s_delay_alu instid0(VALU_DEP_2) | instskip(NEXT) | instid1(VALU_DEP_2)
	v_xor_b32_e32 v7, v5, v3
	v_xor_b32_e32 v6, v6, v3
	s_delay_alu instid0(VALU_DEP_1) | instskip(NEXT) | instid1(VALU_DEP_3)
	v_sub_co_u32 v5, vcc_lo, v6, v3
	v_sub_co_ci_u32_e32 v6, vcc_lo, v7, v3, vcc_lo
	global_store_b64 v[0:1], v[5:6], off
.LBB176_165:
	s_and_not1_b32 vcc_lo, exec_lo, s1
	s_cbranch_vccnz .LBB176_167
; %bb.166:
	v_cvt_i32_f32_e32 v3, v2
	global_store_b32 v[0:1], v3, off
.LBB176_167:
	s_mov_b32 s1, 0
.LBB176_168:
	s_delay_alu instid0(SALU_CYCLE_1)
	s_and_not1_b32 vcc_lo, exec_lo, s1
	s_cbranch_vccnz .LBB176_170
; %bb.169:
	v_cvt_i32_f32_e32 v3, v2
	global_store_b16 v[0:1], v3, off
.LBB176_170:
	s_mov_b32 s1, 0
.LBB176_171:
	s_delay_alu instid0(SALU_CYCLE_1)
	s_and_not1_b32 vcc_lo, exec_lo, s1
	s_cbranch_vccnz .LBB176_176
; %bb.172:
	v_cmp_lt_i16_e32 vcc_lo, 0, v4
	s_mov_b32 s1, -1
	s_cbranch_vccz .LBB176_174
; %bb.173:
	v_cvt_i32_f32_e32 v3, v2
	s_mov_b32 s1, 0
	global_store_b8 v[0:1], v3, off
.LBB176_174:
	s_and_not1_b32 vcc_lo, exec_lo, s1
	s_cbranch_vccnz .LBB176_176
; %bb.175:
	v_trunc_f32_e32 v2, v2
	s_delay_alu instid0(VALU_DEP_1) | instskip(NEXT) | instid1(VALU_DEP_1)
	v_mul_f32_e64 v3, 0x2f800000, |v2|
	v_floor_f32_e32 v3, v3
	s_delay_alu instid0(VALU_DEP_1) | instskip(SKIP_1) | instid1(VALU_DEP_2)
	v_fma_f32 v3, 0xcf800000, v3, |v2|
	v_ashrrev_i32_e32 v2, 31, v2
	v_cvt_u32_f32_e32 v3, v3
	s_delay_alu instid0(VALU_DEP_1) | instskip(NEXT) | instid1(VALU_DEP_1)
	v_xor_b32_e32 v3, v3, v2
	v_sub_nc_u32_e32 v2, v3, v2
	global_store_b8 v[0:1], v2, off
.LBB176_176:
.LBB176_177:
	v_add_nc_u32_e32 v12, 0x80, v12
	s_mov_b32 s1, -1
	s_branch .LBB176_293
.LBB176_178:
	s_mov_b32 s12, -1
                                        ; implicit-def: $vgpr0
.LBB176_179:
	s_delay_alu instid0(SALU_CYCLE_1)
	v_mov_b32_e32 v1, s12
.LBB176_180:
	s_mov_b32 s1, 0
.LBB176_181:
	s_delay_alu instid0(SALU_CYCLE_1)
	s_and_b32 vcc_lo, exec_lo, s1
	s_cbranch_vccz .LBB176_186
; %bb.182:
	v_cmp_eq_u16_e32 vcc_lo, 29, v13
	s_cbranch_vccz .LBB176_184
; %bb.183:
	global_load_b64 v[0:1], v[2:3], off
	s_mov_b32 s0, -1
	s_mov_b32 s12, 0
	s_mov_b32 s1, 0
	s_waitcnt vmcnt(0)
	v_clz_i32_u32_e32 v4, v1
	s_delay_alu instid0(VALU_DEP_1) | instskip(NEXT) | instid1(VALU_DEP_1)
	v_min_u32_e32 v4, 32, v4
	v_lshlrev_b64 v[0:1], v4, v[0:1]
	s_delay_alu instid0(VALU_DEP_1) | instskip(NEXT) | instid1(VALU_DEP_1)
	v_min_u32_e32 v0, 1, v0
	v_or_b32_e32 v0, v1, v0
	v_sub_nc_u32_e32 v1, 32, v4
	s_delay_alu instid0(VALU_DEP_2) | instskip(NEXT) | instid1(VALU_DEP_1)
	v_cvt_f32_u32_e32 v0, v0
	v_ldexp_f32 v0, v0, v1
	s_branch .LBB176_185
.LBB176_184:
	s_mov_b32 s12, -1
                                        ; implicit-def: $sgpr1
                                        ; implicit-def: $vgpr0
.LBB176_185:
	v_mov_b32_e32 v1, s1
.LBB176_186:
	s_mov_b32 s1, 0
.LBB176_187:
	s_delay_alu instid0(SALU_CYCLE_1)
	s_and_b32 vcc_lo, exec_lo, s1
	s_cbranch_vccz .LBB176_207
; %bb.188:
	v_cmp_gt_i16_e32 vcc_lo, 27, v13
	s_cbranch_vccnz .LBB176_191
; %bb.189:
	v_cmp_lt_i16_e32 vcc_lo, 27, v13
	s_cbranch_vccz .LBB176_192
; %bb.190:
	global_load_b32 v0, v[2:3], off
	s_mov_b32 s1, 0
	s_mov_b32 s0, 0
	s_waitcnt vmcnt(0)
	v_cvt_f32_u32_e32 v0, v0
	s_branch .LBB176_193
.LBB176_191:
	s_mov_b32 s1, -1
                                        ; implicit-def: $sgpr0
                                        ; implicit-def: $vgpr0
	s_branch .LBB176_196
.LBB176_192:
	s_mov_b32 s1, -1
                                        ; implicit-def: $sgpr0
                                        ; implicit-def: $vgpr0
.LBB176_193:
	s_delay_alu instid0(SALU_CYCLE_1)
	s_and_not1_b32 vcc_lo, exec_lo, s1
	s_cbranch_vccnz .LBB176_195
; %bb.194:
	global_load_u16 v0, v[2:3], off
	s_mov_b32 s0, 0
	s_waitcnt vmcnt(0)
	v_cvt_f32_u32_e32 v0, v0
.LBB176_195:
	s_mov_b32 s1, 0
.LBB176_196:
	v_mov_b32_e32 v1, s0
	s_and_not1_b32 vcc_lo, exec_lo, s1
	s_cbranch_vccnz .LBB176_206
; %bb.197:
	global_load_u8 v4, v[2:3], off
	s_mov_b32 s0, 0
	s_mov_b32 s15, exec_lo
                                        ; implicit-def: $sgpr10
                                        ; implicit-def: $sgpr1
	s_waitcnt vmcnt(0)
	v_cmpx_lt_i16_e32 0x7f, v4
	s_xor_b32 s15, exec_lo, s15
	s_cbranch_execz .LBB176_201
; %bb.198:
	s_mov_b32 s0, -1
	s_mov_b32 s16, exec_lo
                                        ; implicit-def: $sgpr10
                                        ; implicit-def: $sgpr1
	v_cmpx_eq_u16_e32 0x80, v4
; %bb.199:
	s_mov_b32 s1, 0x7f800001
	s_mov_b32 s10, 0
	s_xor_b32 s0, exec_lo, -1
; %bb.200:
	s_or_b32 exec_lo, exec_lo, s16
	s_delay_alu instid0(SALU_CYCLE_1)
	s_and_b32 s0, s0, exec_lo
.LBB176_201:
	s_or_saveexec_b32 s15, s15
	v_dual_mov_b32 v1, s10 :: v_dual_mov_b32 v0, s1
	s_xor_b32 exec_lo, exec_lo, s15
; %bb.202:
	v_mov_b32_e32 v1, 0
	v_cmp_ne_u16_e32 vcc_lo, 0, v4
	s_and_not1_b32 s0, s0, exec_lo
	s_delay_alu instid0(VALU_DEP_2) | instskip(SKIP_1) | instid1(SALU_CYCLE_1)
	v_mov_b32_e32 v0, v1
	s_and_b32 s1, vcc_lo, exec_lo
	s_or_b32 s0, s0, s1
; %bb.203:
	s_or_b32 exec_lo, exec_lo, s15
	s_and_saveexec_b32 s1, s0
	s_cbranch_execz .LBB176_205
; %bb.204:
	v_and_b32_e32 v0, 0xffff, v4
	v_lshlrev_b32_e32 v4, 24, v4
	s_delay_alu instid0(VALU_DEP_2) | instskip(NEXT) | instid1(VALU_DEP_2)
	v_and_b32_e32 v1, 7, v0
	v_and_b32_e32 v4, 0x80000000, v4
	s_delay_alu instid0(VALU_DEP_2) | instskip(NEXT) | instid1(VALU_DEP_1)
	v_clz_i32_u32_e32 v5, v1
	v_min_u32_e32 v5, 32, v5
	s_delay_alu instid0(VALU_DEP_1) | instskip(SKIP_1) | instid1(VALU_DEP_2)
	v_subrev_nc_u32_e32 v6, 28, v5
	v_sub_nc_u32_e32 v5, 29, v5
	v_lshlrev_b32_e32 v6, v6, v0
	v_bfe_u32 v0, v0, 3, 4
	s_delay_alu instid0(VALU_DEP_2) | instskip(NEXT) | instid1(VALU_DEP_2)
	v_and_b32_e32 v6, 7, v6
	v_cmp_eq_u32_e32 vcc_lo, 0, v0
	s_delay_alu instid0(VALU_DEP_2) | instskip(NEXT) | instid1(VALU_DEP_1)
	v_dual_cndmask_b32 v0, v0, v5 :: v_dual_cndmask_b32 v1, v1, v6
	v_lshl_add_u32 v0, v0, 23, 0x3b800000
	s_delay_alu instid0(VALU_DEP_2) | instskip(NEXT) | instid1(VALU_DEP_1)
	v_lshlrev_b32_e32 v1, 20, v1
	v_or3_b32 v0, v4, v0, v1
	v_mov_b32_e32 v1, 0
.LBB176_205:
	s_or_b32 exec_lo, exec_lo, s1
.LBB176_206:
	s_mov_b32 s0, -1
.LBB176_207:
	s_branch .LBB176_241
.LBB176_208:
	v_cmp_lt_i16_e32 vcc_lo, 22, v13
	s_cbranch_vccz .LBB176_220
; %bb.209:
	v_cmp_gt_i16_e32 vcc_lo, 24, v13
	s_cbranch_vccnz .LBB176_221
; %bb.210:
	v_cmp_lt_i16_e32 vcc_lo, 24, v13
	s_cbranch_vccz .LBB176_222
; %bb.211:
	global_load_u8 v4, v[2:3], off
	s_mov_b32 s0, 0
	s_mov_b32 s15, exec_lo
                                        ; implicit-def: $sgpr10
                                        ; implicit-def: $sgpr1
	s_waitcnt vmcnt(0)
	v_cmpx_lt_i16_e32 0x7f, v4
	s_xor_b32 s15, exec_lo, s15
	s_cbranch_execz .LBB176_215
; %bb.212:
	s_mov_b32 s0, -1
	s_mov_b32 s16, exec_lo
                                        ; implicit-def: $sgpr10
                                        ; implicit-def: $sgpr1
	v_cmpx_eq_u16_e32 0x80, v4
; %bb.213:
	s_mov_b32 s1, 0x7f800001
	s_mov_b32 s10, 0
	s_xor_b32 s0, exec_lo, -1
; %bb.214:
	s_or_b32 exec_lo, exec_lo, s16
	s_delay_alu instid0(SALU_CYCLE_1)
	s_and_b32 s0, s0, exec_lo
.LBB176_215:
	s_or_saveexec_b32 s15, s15
	v_dual_mov_b32 v1, s10 :: v_dual_mov_b32 v0, s1
	s_xor_b32 exec_lo, exec_lo, s15
; %bb.216:
	v_mov_b32_e32 v1, 0
	v_cmp_ne_u16_e32 vcc_lo, 0, v4
	s_and_not1_b32 s0, s0, exec_lo
	s_delay_alu instid0(VALU_DEP_2) | instskip(SKIP_1) | instid1(SALU_CYCLE_1)
	v_mov_b32_e32 v0, v1
	s_and_b32 s1, vcc_lo, exec_lo
	s_or_b32 s0, s0, s1
; %bb.217:
	s_or_b32 exec_lo, exec_lo, s15
	s_and_saveexec_b32 s1, s0
	s_cbranch_execz .LBB176_219
; %bb.218:
	v_and_b32_e32 v0, 0xffff, v4
	v_lshlrev_b32_e32 v4, 24, v4
	s_delay_alu instid0(VALU_DEP_2) | instskip(NEXT) | instid1(VALU_DEP_2)
	v_and_b32_e32 v1, 3, v0
	v_and_b32_e32 v4, 0x80000000, v4
	s_delay_alu instid0(VALU_DEP_2) | instskip(NEXT) | instid1(VALU_DEP_1)
	v_clz_i32_u32_e32 v5, v1
	v_min_u32_e32 v5, 32, v5
	s_delay_alu instid0(VALU_DEP_1) | instskip(SKIP_1) | instid1(VALU_DEP_2)
	v_subrev_nc_u32_e32 v6, 29, v5
	v_sub_nc_u32_e32 v5, 30, v5
	v_lshlrev_b32_e32 v6, v6, v0
	v_bfe_u32 v0, v0, 2, 5
	s_delay_alu instid0(VALU_DEP_2) | instskip(NEXT) | instid1(VALU_DEP_2)
	v_and_b32_e32 v6, 3, v6
	v_cmp_eq_u32_e32 vcc_lo, 0, v0
	s_delay_alu instid0(VALU_DEP_2) | instskip(NEXT) | instid1(VALU_DEP_1)
	v_dual_cndmask_b32 v0, v0, v5 :: v_dual_cndmask_b32 v1, v1, v6
	v_lshl_add_u32 v0, v0, 23, 0x37800000
	s_delay_alu instid0(VALU_DEP_2) | instskip(NEXT) | instid1(VALU_DEP_1)
	v_lshlrev_b32_e32 v1, 21, v1
	v_or3_b32 v0, v4, v0, v1
	v_mov_b32_e32 v1, 0
.LBB176_219:
	s_or_b32 exec_lo, exec_lo, s1
	s_mov_b32 s0, 0
	s_branch .LBB176_223
.LBB176_220:
	s_mov_b32 s1, -1
                                        ; implicit-def: $vgpr1
	s_branch .LBB176_229
.LBB176_221:
	s_mov_b32 s0, -1
                                        ; implicit-def: $vgpr1
	s_branch .LBB176_226
.LBB176_222:
	s_mov_b32 s0, -1
                                        ; implicit-def: $vgpr1
.LBB176_223:
	s_delay_alu instid0(SALU_CYCLE_1)
	s_and_b32 vcc_lo, exec_lo, s0
	s_cbranch_vccz .LBB176_225
; %bb.224:
	global_load_u8 v0, v[2:3], off
	s_waitcnt vmcnt(0)
	v_lshlrev_b32_e32 v0, 24, v0
	s_delay_alu instid0(VALU_DEP_1) | instskip(NEXT) | instid1(VALU_DEP_1)
	v_and_b32_e32 v1, 0x7f000000, v0
	v_clz_i32_u32_e32 v4, v1
	v_cmp_ne_u32_e32 vcc_lo, 0, v1
	v_add_nc_u32_e32 v6, 0x1000000, v1
	s_delay_alu instid0(VALU_DEP_3) | instskip(NEXT) | instid1(VALU_DEP_1)
	v_min_u32_e32 v4, 32, v4
	v_sub_nc_u32_e64 v4, v4, 4 clamp
	s_delay_alu instid0(VALU_DEP_1) | instskip(SKIP_1) | instid1(VALU_DEP_2)
	v_lshlrev_b32_e32 v5, v4, v1
	v_lshlrev_b32_e32 v4, 23, v4
	v_lshrrev_b32_e32 v5, 4, v5
	s_delay_alu instid0(VALU_DEP_1) | instskip(SKIP_1) | instid1(VALU_DEP_2)
	v_sub_nc_u32_e32 v4, v5, v4
	v_ashrrev_i32_e32 v5, 8, v6
	v_add_nc_u32_e32 v4, 0x3c000000, v4
	s_delay_alu instid0(VALU_DEP_1) | instskip(NEXT) | instid1(VALU_DEP_1)
	v_and_or_b32 v4, 0x7f800000, v5, v4
	v_cndmask_b32_e32 v1, 0, v4, vcc_lo
	s_delay_alu instid0(VALU_DEP_1)
	v_and_or_b32 v0, 0x80000000, v0, v1
	v_mov_b32_e32 v1, 0
.LBB176_225:
	s_mov_b32 s0, 0
.LBB176_226:
	s_delay_alu instid0(SALU_CYCLE_1)
	s_and_not1_b32 vcc_lo, exec_lo, s0
	s_cbranch_vccnz .LBB176_228
; %bb.227:
	global_load_u8 v0, v[2:3], off
	s_waitcnt vmcnt(0)
	v_lshlrev_b32_e32 v1, 25, v0
	v_lshlrev_b16 v0, 8, v0
	s_delay_alu instid0(VALU_DEP_2) | instskip(NEXT) | instid1(VALU_DEP_2)
	v_lshrrev_b32_e32 v4, 4, v1
	v_and_or_b32 v5, 0x7f00, v0, 0.5
	v_cmp_gt_u32_e32 vcc_lo, 0x8000000, v1
	v_bfe_i32 v0, v0, 0, 16
	s_delay_alu instid0(VALU_DEP_4) | instskip(NEXT) | instid1(VALU_DEP_1)
	v_or_b32_e32 v4, 0x70000000, v4
	v_dual_add_f32 v5, -0.5, v5 :: v_dual_mul_f32 v4, 0x7800000, v4
	s_delay_alu instid0(VALU_DEP_1) | instskip(NEXT) | instid1(VALU_DEP_1)
	v_cndmask_b32_e32 v1, v4, v5, vcc_lo
	v_and_or_b32 v0, 0x80000000, v0, v1
	v_mov_b32_e32 v1, 0
.LBB176_228:
	s_mov_b32 s1, 0
	s_mov_b32 s0, -1
.LBB176_229:
	s_and_not1_b32 vcc_lo, exec_lo, s1
	s_cbranch_vccnz .LBB176_241
; %bb.230:
	v_cmp_lt_i16_e32 vcc_lo, 14, v13
	s_cbranch_vccz .LBB176_233
; %bb.231:
	v_cmp_eq_u16_e32 vcc_lo, 15, v13
	s_cbranch_vccz .LBB176_234
; %bb.232:
	global_load_u16 v0, v[2:3], off
	s_mov_b32 s0, -1
	s_mov_b32 s12, 0
	s_mov_b32 s1, 0
	s_waitcnt vmcnt(0)
	v_lshlrev_b32_e32 v0, 16, v0
	s_branch .LBB176_235
.LBB176_233:
	s_mov_b32 s10, -1
                                        ; implicit-def: $sgpr1
                                        ; implicit-def: $vgpr0
	s_branch .LBB176_236
.LBB176_234:
	s_mov_b32 s12, -1
                                        ; implicit-def: $sgpr1
                                        ; implicit-def: $vgpr0
.LBB176_235:
	s_mov_b32 s10, 0
.LBB176_236:
	s_delay_alu instid0(SALU_CYCLE_1)
	s_and_b32 vcc_lo, exec_lo, s10
	s_cbranch_vccz .LBB176_240
; %bb.237:
	v_cmp_eq_u16_e32 vcc_lo, 11, v13
	s_cbranch_vccz .LBB176_239
; %bb.238:
	global_load_u8 v0, v[2:3], off
	s_mov_b32 s1, 0
	s_mov_b32 s0, -1
	s_mov_b32 s12, 0
	s_waitcnt vmcnt(0)
	v_cmp_ne_u16_e32 vcc_lo, 0, v0
	v_cndmask_b32_e64 v0, 0, 1.0, vcc_lo
	s_branch .LBB176_240
.LBB176_239:
	s_mov_b32 s12, -1
                                        ; implicit-def: $sgpr1
                                        ; implicit-def: $vgpr0
.LBB176_240:
	v_mov_b32_e32 v1, s1
.LBB176_241:
	s_branch .LBB176_10
.LBB176_242:
	v_cmp_gt_i16_e32 vcc_lo, 5, v13
	s_cbranch_vccnz .LBB176_247
; %bb.243:
	v_cmp_gt_i16_e32 vcc_lo, 8, v13
	s_cbranch_vccnz .LBB176_248
; %bb.244:
	;; [unrolled: 3-line block ×3, first 2 shown]
	v_cmp_lt_i16_e32 vcc_lo, 9, v13
	s_cbranch_vccz .LBB176_250
; %bb.246:
	global_load_b128 v[4:7], v[2:3], off
	s_mov_b32 s0, 0
	s_waitcnt vmcnt(0)
	v_cvt_f32_f64_e32 v0, v[4:5]
	v_cvt_f32_f64_e32 v1, v[6:7]
	s_branch .LBB176_251
.LBB176_247:
                                        ; implicit-def: $vgpr1
	s_branch .LBB176_270
.LBB176_248:
	s_mov_b32 s0, -1
                                        ; implicit-def: $vgpr1
	s_branch .LBB176_257
.LBB176_249:
	s_mov_b32 s0, -1
                                        ; implicit-def: $vgpr1
	s_branch .LBB176_254
.LBB176_250:
	s_mov_b32 s0, -1
                                        ; implicit-def: $vgpr1
.LBB176_251:
	s_delay_alu instid0(SALU_CYCLE_1)
	s_and_not1_b32 vcc_lo, exec_lo, s0
	s_cbranch_vccnz .LBB176_253
; %bb.252:
	global_load_b64 v[0:1], v[2:3], off
.LBB176_253:
	s_mov_b32 s0, 0
.LBB176_254:
	s_delay_alu instid0(SALU_CYCLE_1)
	s_and_not1_b32 vcc_lo, exec_lo, s0
	s_cbranch_vccnz .LBB176_256
; %bb.255:
	global_load_b32 v0, v[2:3], off
	s_waitcnt vmcnt(0)
	v_lshrrev_b32_e32 v1, 16, v0
	v_cvt_f32_f16_e32 v0, v0
	s_delay_alu instid0(VALU_DEP_2)
	v_cvt_f32_f16_e32 v1, v1
.LBB176_256:
	s_mov_b32 s0, 0
.LBB176_257:
	s_delay_alu instid0(SALU_CYCLE_1)
	s_and_not1_b32 vcc_lo, exec_lo, s0
	s_cbranch_vccnz .LBB176_269
; %bb.258:
	v_cmp_gt_i16_e32 vcc_lo, 6, v13
	s_cbranch_vccnz .LBB176_261
; %bb.259:
	v_cmp_lt_i16_e32 vcc_lo, 6, v13
	s_cbranch_vccz .LBB176_262
; %bb.260:
	global_load_b64 v[0:1], v[2:3], off
	s_mov_b32 s1, 0
	s_mov_b32 s0, 0
	s_waitcnt vmcnt(0)
	v_cvt_f32_f64_e32 v0, v[0:1]
	s_branch .LBB176_263
.LBB176_261:
	s_mov_b32 s1, -1
                                        ; implicit-def: $sgpr0
                                        ; implicit-def: $vgpr0
	s_branch .LBB176_266
.LBB176_262:
	s_mov_b32 s1, -1
                                        ; implicit-def: $sgpr0
                                        ; implicit-def: $vgpr0
.LBB176_263:
	s_delay_alu instid0(SALU_CYCLE_1)
	s_and_not1_b32 vcc_lo, exec_lo, s1
	s_cbranch_vccnz .LBB176_265
; %bb.264:
	global_load_b32 v0, v[2:3], off
	s_mov_b32 s0, 0
.LBB176_265:
	s_mov_b32 s1, 0
.LBB176_266:
	s_delay_alu instid0(SALU_CYCLE_1)
	s_and_not1_b32 vcc_lo, exec_lo, s1
	s_cbranch_vccnz .LBB176_268
; %bb.267:
	global_load_u16 v0, v[2:3], off
	s_mov_b32 s0, 0
	s_waitcnt vmcnt(0)
	v_cvt_f32_f16_e32 v0, v0
.LBB176_268:
	s_waitcnt vmcnt(0)
	v_mov_b32_e32 v1, s0
.LBB176_269:
	s_cbranch_execnz .LBB176_290
.LBB176_270:
	v_cmp_gt_i16_e32 vcc_lo, 2, v13
	s_cbranch_vccnz .LBB176_274
; %bb.271:
	v_cmp_gt_i16_e32 vcc_lo, 3, v13
	s_cbranch_vccnz .LBB176_275
; %bb.272:
	v_cmp_lt_i16_e32 vcc_lo, 3, v13
	s_cbranch_vccz .LBB176_276
; %bb.273:
	global_load_b64 v[0:1], v[2:3], off
	s_mov_b32 s1, 0
	s_mov_b32 s0, 0
	s_waitcnt vmcnt(0)
	v_xor_b32_e32 v4, v0, v1
	v_cls_i32_e32 v5, v1
	s_delay_alu instid0(VALU_DEP_2) | instskip(NEXT) | instid1(VALU_DEP_2)
	v_ashrrev_i32_e32 v4, 31, v4
	v_add_nc_u32_e32 v5, -1, v5
	s_delay_alu instid0(VALU_DEP_2) | instskip(NEXT) | instid1(VALU_DEP_1)
	v_add_nc_u32_e32 v4, 32, v4
	v_min_u32_e32 v4, v5, v4
	s_delay_alu instid0(VALU_DEP_1) | instskip(NEXT) | instid1(VALU_DEP_1)
	v_lshlrev_b64 v[0:1], v4, v[0:1]
	v_min_u32_e32 v0, 1, v0
	s_delay_alu instid0(VALU_DEP_1) | instskip(SKIP_1) | instid1(VALU_DEP_2)
	v_or_b32_e32 v0, v1, v0
	v_sub_nc_u32_e32 v1, 32, v4
	v_cvt_f32_i32_e32 v0, v0
	s_delay_alu instid0(VALU_DEP_1)
	v_ldexp_f32 v0, v0, v1
	s_branch .LBB176_277
.LBB176_274:
	s_mov_b32 s1, -1
                                        ; implicit-def: $sgpr0
                                        ; implicit-def: $vgpr0
	s_branch .LBB176_283
.LBB176_275:
	s_mov_b32 s1, -1
                                        ; implicit-def: $sgpr0
                                        ; implicit-def: $vgpr0
	s_branch .LBB176_280
.LBB176_276:
	s_mov_b32 s1, -1
                                        ; implicit-def: $sgpr0
                                        ; implicit-def: $vgpr0
.LBB176_277:
	s_delay_alu instid0(SALU_CYCLE_1)
	s_and_not1_b32 vcc_lo, exec_lo, s1
	s_cbranch_vccnz .LBB176_279
; %bb.278:
	global_load_b32 v0, v[2:3], off
	s_mov_b32 s0, 0
	s_waitcnt vmcnt(0)
	v_cvt_f32_i32_e32 v0, v0
.LBB176_279:
	s_mov_b32 s1, 0
.LBB176_280:
	s_delay_alu instid0(SALU_CYCLE_1)
	s_and_not1_b32 vcc_lo, exec_lo, s1
	s_cbranch_vccnz .LBB176_282
; %bb.281:
	global_load_i16 v0, v[2:3], off
	s_mov_b32 s0, 0
	s_waitcnt vmcnt(0)
	v_cvt_f32_i32_e32 v0, v0
.LBB176_282:
	s_mov_b32 s1, 0
.LBB176_283:
	s_delay_alu instid0(SALU_CYCLE_1)
	s_and_not1_b32 vcc_lo, exec_lo, s1
	s_cbranch_vccnz .LBB176_289
; %bb.284:
	v_cmp_lt_i16_e32 vcc_lo, 0, v13
	s_mov_b32 s1, 0
	s_cbranch_vccz .LBB176_286
; %bb.285:
	global_load_i8 v0, v[2:3], off
	s_mov_b32 s0, 0
	s_waitcnt vmcnt(0)
	v_cvt_f32_i32_e32 v0, v0
	s_branch .LBB176_287
.LBB176_286:
	s_mov_b32 s1, -1
                                        ; implicit-def: $sgpr0
                                        ; implicit-def: $vgpr0
.LBB176_287:
	s_delay_alu instid0(SALU_CYCLE_1)
	s_and_not1_b32 vcc_lo, exec_lo, s1
	s_cbranch_vccnz .LBB176_289
; %bb.288:
	global_load_u8 v0, v[2:3], off
	s_mov_b32 s0, 0
	s_waitcnt vmcnt(0)
	v_cvt_f32_ubyte0_e32 v0, v0
.LBB176_289:
	s_waitcnt vmcnt(0)
	v_mov_b32_e32 v1, s0
.LBB176_290:
	s_branch .LBB176_11
.LBB176_291:
	s_mov_b32 s0, 0
.LBB176_292:
	s_mov_b32 s1, 0
                                        ; implicit-def: $vgpr12
.LBB176_293:
	s_and_b32 s10, s0, exec_lo
	s_and_b32 s12, s12, exec_lo
	s_or_not1_b32 s1, s1, exec_lo
.LBB176_294:
	s_or_b32 exec_lo, exec_lo, s13
	s_mov_b32 s15, 0
	s_mov_b32 s0, 0
                                        ; implicit-def: $vgpr2_vgpr3
                                        ; implicit-def: $vgpr1
	s_and_saveexec_b32 s13, s1
	s_cbranch_execz .LBB176_991
; %bb.295:
	s_mov_b32 s18, -1
	s_mov_b32 s14, s12
	s_mov_b32 s15, s10
	s_mov_b32 s16, exec_lo
	v_cmpx_gt_i32_e64 s11, v12
	s_cbranch_execz .LBB176_597
; %bb.296:
	s_waitcnt vmcnt(0)
	v_mul_lo_u32 v0, v12, s3
	v_cmp_gt_i16_e32 vcc_lo, 11, v13
	s_delay_alu instid0(VALU_DEP_2) | instskip(SKIP_1) | instid1(VALU_DEP_1)
	v_ashrrev_i32_e32 v1, 31, v0
	v_add_co_u32 v2, s0, s6, v0
	v_add_co_ci_u32_e64 v3, s0, s7, v1, s0
	s_cbranch_vccnz .LBB176_303
; %bb.297:
	v_cmp_lt_i16_e32 vcc_lo, 25, v13
	s_cbranch_vccz .LBB176_317
; %bb.298:
	v_cmp_lt_i16_e32 vcc_lo, 28, v13
	s_cbranch_vccz .LBB176_318
	;; [unrolled: 3-line block ×4, first 2 shown]
; %bb.301:
	v_cmp_eq_u16_e32 vcc_lo, 46, v13
	s_mov_b32 s1, 0
	s_cbranch_vccz .LBB176_362
; %bb.302:
	global_load_b32 v0, v[2:3], off
	s_mov_b32 s0, -1
	s_mov_b32 s14, 0
	s_waitcnt vmcnt(0)
	v_and_b32_e32 v1, 0xffff0000, v0
	v_lshlrev_b32_e32 v0, 16, v0
	s_branch .LBB176_364
.LBB176_303:
	s_mov_b32 s0, 0
	s_mov_b32 s14, s12
                                        ; implicit-def: $vgpr1
	s_cbranch_execnz .LBB176_544
.LBB176_304:
	s_and_not1_b32 vcc_lo, exec_lo, s0
	s_cbranch_vccnz .LBB176_594
.LBB176_305:
	s_waitcnt vmcnt(0)
	s_delay_alu instid0(VALU_DEP_2) | instskip(NEXT) | instid1(VALU_DEP_2)
	v_cmp_neq_f32_e32 vcc_lo, 0, v0
	v_cmp_neq_f32_e64 s0, 0, v1
	v_mov_b32_e32 v4, 0
	s_delay_alu instid0(VALU_DEP_2) | instskip(NEXT) | instid1(SALU_CYCLE_1)
	s_or_b32 s0, vcc_lo, s0
	s_and_saveexec_b32 s15, s0
	s_cbranch_execz .LBB176_341
; %bb.306:
	v_mov_b32_e32 v4, 0x7f800000
	s_mov_b32 s17, exec_lo
	v_cmpx_neq_f32_e64 0x7f800000, |v1|
	s_cbranch_execz .LBB176_340
; %bb.307:
	s_mov_b32 s0, exec_lo
	v_cmpx_o_f32_e32 v0, v0
	s_xor_b32 s18, exec_lo, s0
	s_cbranch_execz .LBB176_337
; %bb.308:
	s_mov_b32 s1, exec_lo
	v_cmpx_neq_f32_e64 0x7f800000, |v0|
	s_xor_b32 s19, exec_lo, s1
	s_cbranch_execz .LBB176_330
; %bb.309:
	v_max_f32_e64 v2, |v1|, |v1|
	v_max_f32_e64 v3, |v0|, |v0|
                                        ; implicit-def: $sgpr20
	s_delay_alu instid0(VALU_DEP_1) | instskip(NEXT) | instid1(VALU_DEP_1)
	v_max_f32_e32 v2, v3, v2
	v_cmp_nle_f32_e64 s0, 0x7ed413cb, v2
	s_delay_alu instid0(VALU_DEP_1) | instskip(NEXT) | instid1(SALU_CYCLE_1)
	s_and_saveexec_b32 s1, s0
	s_xor_b32 s1, exec_lo, s1
	s_cbranch_execz .LBB176_313
; %bb.310:
	v_cmp_ge_f32_e64 s20, 0x1000000, |v0|
	v_cmp_ge_f32_e64 s21, 0x1000000, |v1|
	s_delay_alu instid0(VALU_DEP_1)
	s_and_b32 s22, s20, s21
	s_mov_b32 s20, 0
	s_and_saveexec_b32 s21, s22
; %bb.311:
	v_dual_mul_f32 v1, 4.0, v1 :: v_dual_mul_f32 v0, 4.0, v0
	s_mov_b32 s20, exec_lo
; %bb.312:
	s_or_b32 exec_lo, exec_lo, s21
	s_delay_alu instid0(SALU_CYCLE_1)
	s_and_b32 s20, s20, exec_lo
.LBB176_313:
	s_and_not1_saveexec_b32 s1, s1
; %bb.314:
	v_dual_mul_f32 v0, 0x3e800000, v0 :: v_dual_mul_f32 v1, 0x3e800000, v1
	s_and_not1_b32 s20, s20, exec_lo
; %bb.315:
	s_or_b32 exec_lo, exec_lo, s1
	s_delay_alu instid0(VALU_DEP_1) | instskip(NEXT) | instid1(VALU_DEP_2)
	v_max_f32_e64 v2, |v1|, |v1|
	v_max_f32_e64 v3, |v0|, |v0|
	s_delay_alu instid0(VALU_DEP_1) | instskip(NEXT) | instid1(VALU_DEP_1)
	v_max_f32_e32 v4, v3, v2
	v_cvt_f64_f32_e32 v[2:3], v4
	s_delay_alu instid0(VALU_DEP_1) | instskip(NEXT) | instid1(VALU_DEP_1)
	v_frexp_exp_i32_f64_e32 v2, v[2:3]
	v_sub_nc_u32_e32 v3, 0, v2
	s_delay_alu instid0(VALU_DEP_1) | instskip(SKIP_1) | instid1(VALU_DEP_2)
	v_ldexp_f32 v5, |v1|, v3
	v_ldexp_f32 v3, |v0|, v3
	v_mul_f32_e32 v5, v5, v5
	v_cmp_neq_f32_e64 s1, 0x7f800000, v4
	s_delay_alu instid0(VALU_DEP_2) | instskip(NEXT) | instid1(VALU_DEP_1)
	v_fmac_f32_e32 v5, v3, v3
	v_sqrt_f32_e32 v3, v5
	s_waitcnt_depctr 0xfff
	v_ldexp_f32 v2, v3, v2
                                        ; implicit-def: $vgpr3
	s_delay_alu instid0(VALU_DEP_1)
	v_cndmask_b32_e64 v4, 0x7f800000, v2, s1
                                        ; implicit-def: $vgpr2
	s_mov_b32 s1, exec_lo
	v_cmpx_le_f32_e32 0, v0
	s_xor_b32 s21, exec_lo, s1
	s_cbranch_execz .LBB176_323
; %bb.316:
	v_add_f32_e32 v0, v0, v4
	s_delay_alu instid0(VALU_DEP_1) | instskip(NEXT) | instid1(VALU_DEP_1)
	v_mul_f32_e32 v0, 0.5, v0
	v_mul_f32_e32 v2, 0x4f800000, v0
	v_cmp_gt_f32_e32 vcc_lo, 0xf800000, v0
	s_delay_alu instid0(VALU_DEP_2) | instskip(NEXT) | instid1(VALU_DEP_1)
	v_cndmask_b32_e32 v0, v0, v2, vcc_lo
	v_sqrt_f32_e32 v2, v0
	s_waitcnt_depctr 0xfff
	v_add_nc_u32_e32 v3, -1, v2
	v_add_nc_u32_e32 v4, 1, v2
	s_delay_alu instid0(VALU_DEP_2) | instskip(NEXT) | instid1(VALU_DEP_2)
	v_fma_f32 v5, -v3, v2, v0
	v_fma_f32 v6, -v4, v2, v0
	s_delay_alu instid0(VALU_DEP_2) | instskip(NEXT) | instid1(VALU_DEP_1)
	v_cmp_ge_f32_e64 s1, 0, v5
	v_cndmask_b32_e64 v2, v2, v3, s1
	s_delay_alu instid0(VALU_DEP_3) | instskip(NEXT) | instid1(VALU_DEP_1)
	v_cmp_lt_f32_e64 s1, 0, v6
	v_cndmask_b32_e64 v2, v2, v4, s1
	s_delay_alu instid0(VALU_DEP_1) | instskip(NEXT) | instid1(VALU_DEP_1)
	v_mul_f32_e32 v3, 0x37800000, v2
	v_cndmask_b32_e32 v2, v2, v3, vcc_lo
	v_cmp_class_f32_e64 vcc_lo, v0, 0x260
	s_delay_alu instid0(VALU_DEP_2) | instskip(NEXT) | instid1(VALU_DEP_1)
	v_cndmask_b32_e32 v2, v2, v0, vcc_lo
	v_add_f32_e32 v0, v2, v2
	s_delay_alu instid0(VALU_DEP_1) | instskip(NEXT) | instid1(VALU_DEP_1)
	v_div_scale_f32 v3, null, v0, v0, v1
	v_rcp_f32_e32 v4, v3
	s_waitcnt_depctr 0xfff
	v_fma_f32 v5, -v3, v4, 1.0
	s_delay_alu instid0(VALU_DEP_1) | instskip(SKIP_1) | instid1(VALU_DEP_1)
	v_fmac_f32_e32 v4, v5, v4
	v_div_scale_f32 v5, vcc_lo, v1, v0, v1
	v_mul_f32_e32 v6, v5, v4
	s_delay_alu instid0(VALU_DEP_1) | instskip(NEXT) | instid1(VALU_DEP_1)
	v_fma_f32 v7, -v3, v6, v5
	v_fmac_f32_e32 v6, v7, v4
	s_delay_alu instid0(VALU_DEP_1) | instskip(NEXT) | instid1(VALU_DEP_1)
	v_fma_f32 v3, -v3, v6, v5
	v_div_fmas_f32 v3, v3, v4, v6
                                        ; implicit-def: $vgpr4
	s_delay_alu instid0(VALU_DEP_1)
	v_div_fixup_f32 v3, v3, v0, v1
                                        ; implicit-def: $vgpr0
	s_and_not1_saveexec_b32 s21, s21
	s_cbranch_execz .LBB176_325
	s_branch .LBB176_324
.LBB176_317:
	s_mov_b32 s1, -1
	s_mov_b32 s0, 0
	s_mov_b32 s14, s12
                                        ; implicit-def: $vgpr1
	s_branch .LBB176_509
.LBB176_318:
	s_mov_b32 s1, -1
	s_mov_b32 s0, 0
	s_mov_b32 s14, s12
                                        ; implicit-def: $vgpr1
	s_branch .LBB176_488
.LBB176_319:
	s_mov_b32 s1, -1
	s_mov_b32 s0, 0
	s_mov_b32 s14, s12
                                        ; implicit-def: $vgpr1
	s_branch .LBB176_482
.LBB176_320:
	s_or_saveexec_b32 s15, s15
                                        ; implicit-def: $sgpr16
	s_delay_alu instid0(SALU_CYCLE_1)
	s_xor_b32 exec_lo, exec_lo, s15
	s_cbranch_execz .LBB176_91
.LBB176_321:
	v_add_f32_e64 v5, 0x46000000, |v2|
	s_and_not1_b32 s10, s10, exec_lo
	s_mov_b32 s16, 0
	s_delay_alu instid0(VALU_DEP_1) | instskip(NEXT) | instid1(VALU_DEP_1)
	v_and_b32_e32 v5, 0xff, v5
	v_cmp_ne_u32_e32 vcc_lo, 0, v5
	s_and_b32 s17, vcc_lo, exec_lo
	s_delay_alu instid0(SALU_CYCLE_1)
	s_or_b32 s10, s10, s17
	s_or_b32 exec_lo, exec_lo, s15
	v_mov_b32_e32 v6, s16
	s_and_saveexec_b32 s15, s10
	s_cbranch_execnz .LBB176_92
	s_branch .LBB176_93
.LBB176_322:
	s_mov_b32 s1, -1
	s_mov_b32 s0, 0
	s_mov_b32 s14, s12
	s_branch .LBB176_363
.LBB176_323:
	s_and_not1_saveexec_b32 s21, s21
	s_cbranch_execz .LBB176_325
.LBB176_324:
	v_sub_f32_e32 v0, v4, v0
	s_delay_alu instid0(VALU_DEP_1) | instskip(NEXT) | instid1(VALU_DEP_1)
	v_mul_f32_e32 v0, 0.5, v0
	v_mul_f32_e32 v2, 0x4f800000, v0
	v_cmp_gt_f32_e32 vcc_lo, 0xf800000, v0
	s_delay_alu instid0(VALU_DEP_2) | instskip(NEXT) | instid1(VALU_DEP_1)
	v_cndmask_b32_e32 v0, v0, v2, vcc_lo
	v_sqrt_f32_e32 v2, v0
	s_waitcnt_depctr 0xfff
	v_add_nc_u32_e32 v3, -1, v2
	v_add_nc_u32_e32 v4, 1, v2
	s_delay_alu instid0(VALU_DEP_2) | instskip(NEXT) | instid1(VALU_DEP_2)
	v_fma_f32 v5, -v3, v2, v0
	v_fma_f32 v6, -v4, v2, v0
	s_delay_alu instid0(VALU_DEP_2) | instskip(NEXT) | instid1(VALU_DEP_1)
	v_cmp_ge_f32_e64 s1, 0, v5
	v_cndmask_b32_e64 v2, v2, v3, s1
	s_delay_alu instid0(VALU_DEP_3) | instskip(NEXT) | instid1(VALU_DEP_1)
	v_cmp_lt_f32_e64 s1, 0, v6
	v_cndmask_b32_e64 v2, v2, v4, s1
	s_delay_alu instid0(VALU_DEP_1) | instskip(NEXT) | instid1(VALU_DEP_1)
	v_mul_f32_e32 v3, 0x37800000, v2
	v_cndmask_b32_e32 v2, v2, v3, vcc_lo
	v_cmp_class_f32_e64 vcc_lo, v0, 0x260
	s_delay_alu instid0(VALU_DEP_2) | instskip(NEXT) | instid1(VALU_DEP_1)
	v_cndmask_b32_e32 v0, v2, v0, vcc_lo
	v_dual_add_f32 v3, v0, v0 :: v_dual_and_b32 v2, 0x7fffffff, v1
	s_delay_alu instid0(VALU_DEP_1) | instskip(SKIP_1) | instid1(VALU_DEP_2)
	v_div_scale_f32 v4, null, v3, v3, v2
	v_div_scale_f32 v2, vcc_lo, v2, v3, v2
	v_rcp_f32_e32 v5, v4
	s_waitcnt_depctr 0xfff
	v_fma_f32 v6, -v4, v5, 1.0
	s_delay_alu instid0(VALU_DEP_1) | instskip(NEXT) | instid1(VALU_DEP_1)
	v_fmac_f32_e32 v5, v6, v5
	v_mul_f32_e32 v6, v2, v5
	s_delay_alu instid0(VALU_DEP_1) | instskip(NEXT) | instid1(VALU_DEP_1)
	v_fma_f32 v7, -v4, v6, v2
	v_fmac_f32_e32 v6, v7, v5
	s_delay_alu instid0(VALU_DEP_1) | instskip(NEXT) | instid1(VALU_DEP_1)
	v_fma_f32 v2, -v4, v6, v2
	v_div_fmas_f32 v2, v2, v5, v6
	s_delay_alu instid0(VALU_DEP_1)
	v_div_fixup_f32 v2, v2, v3, |v1|
	v_bfi_b32 v3, 0x7fffffff, v0, v1
.LBB176_325:
	s_or_b32 exec_lo, exec_lo, s21
                                        ; implicit-def: $vgpr1
	s_and_saveexec_b32 s1, s0
	s_delay_alu instid0(SALU_CYCLE_1)
	s_xor_b32 s0, exec_lo, s1
	s_cbranch_execz .LBB176_327
; %bb.326:
	v_dual_mul_f32 v0, 0.5, v2 :: v_dual_mul_f32 v1, 0.5, v3
	s_delay_alu instid0(VALU_DEP_1) | instskip(NEXT) | instid1(VALU_DEP_2)
	v_cndmask_b32_e64 v0, v2, v0, s20
	v_cndmask_b32_e64 v1, v3, v1, s20
                                        ; implicit-def: $vgpr2
                                        ; implicit-def: $vgpr3
	s_and_not1_saveexec_b32 s0, s0
	s_cbranch_execnz .LBB176_328
	s_branch .LBB176_329
.LBB176_327:
	s_and_not1_saveexec_b32 s0, s0
.LBB176_328:
	v_dual_add_f32 v0, v2, v2 :: v_dual_add_f32 v1, v3, v3
.LBB176_329:
	s_or_b32 exec_lo, exec_lo, s0
.LBB176_330:
	s_and_not1_saveexec_b32 s0, s19
	s_cbranch_execz .LBB176_336
; %bb.331:
	s_delay_alu instid0(VALU_DEP_1)
	v_sub_f32_e32 v2, v1, v1
	s_mov_b32 s1, exec_lo
	v_cmpx_lt_i32_e32 -1, v0
	s_xor_b32 s1, exec_lo, s1
; %bb.332:
	s_delay_alu instid0(VALU_DEP_2)
	v_bfi_b32 v1, 0x7fffffff, v2, v1
                                        ; implicit-def: $vgpr2
; %bb.333:
	s_and_not1_saveexec_b32 s1, s1
; %bb.334:
	v_and_b32_e32 v2, 0x7fffffff, v2
	s_delay_alu instid0(VALU_DEP_2) | instskip(NEXT) | instid1(VALU_DEP_2)
	v_bfi_b32 v1, 0x7fffffff, v0, v1
	v_mov_b32_e32 v0, v2
; %bb.335:
	s_or_b32 exec_lo, exec_lo, s1
.LBB176_336:
	s_delay_alu instid0(SALU_CYCLE_1)
	s_or_b32 exec_lo, exec_lo, s0
.LBB176_337:
	s_and_not1_saveexec_b32 s0, s18
; %bb.338:
	v_sub_f32_e32 v1, v1, v1
	s_delay_alu instid0(VALU_DEP_1) | instskip(NEXT) | instid1(VALU_DEP_1)
	v_div_scale_f32 v2, vcc_lo, v1, v1, v1
	v_rcp_f32_e32 v3, v2
	s_waitcnt_depctr 0xfff
	v_fma_f32 v4, -v2, v3, 1.0
	s_delay_alu instid0(VALU_DEP_1) | instskip(NEXT) | instid1(VALU_DEP_1)
	v_fmac_f32_e32 v3, v4, v3
	v_mul_f32_e32 v4, v2, v3
	s_delay_alu instid0(VALU_DEP_1) | instskip(NEXT) | instid1(VALU_DEP_1)
	v_fma_f32 v5, -v2, v4, v2
	v_fmac_f32_e32 v4, v5, v3
	s_delay_alu instid0(VALU_DEP_1) | instskip(NEXT) | instid1(VALU_DEP_1)
	v_fma_f32 v2, -v2, v4, v2
	v_div_fmas_f32 v2, v2, v3, v4
	s_delay_alu instid0(VALU_DEP_1)
	v_div_fixup_f32 v1, v2, v1, v1
; %bb.339:
	s_or_b32 exec_lo, exec_lo, s0
	v_mov_b32_e32 v4, v0
.LBB176_340:
	s_or_b32 exec_lo, exec_lo, s17
.LBB176_341:
	s_delay_alu instid0(SALU_CYCLE_1) | instskip(NEXT) | instid1(VALU_DEP_1)
	s_or_b32 exec_lo, exec_lo, s15
	v_cmp_gt_f32_e32 vcc_lo, 0, v4
                                        ; implicit-def: $vgpr3
	s_mov_b32 s0, exec_lo
	v_cndmask_b32_e64 v0, v4, -v4, vcc_lo
	v_cmp_gt_f32_e32 vcc_lo, 0, v1
	v_cndmask_b32_e64 v5, v1, -v1, vcc_lo
	s_delay_alu instid0(VALU_DEP_1)
	v_cmpx_ge_f32_e32 v0, v5
	s_xor_b32 s1, exec_lo, s0
	s_cbranch_execz .LBB176_347
; %bb.342:
	v_cmp_neq_f32_e32 vcc_lo, 0, v4
	v_cmp_neq_f32_e64 s0, 0, v1
                                        ; implicit-def: $vgpr3
	s_delay_alu instid0(VALU_DEP_1) | instskip(NEXT) | instid1(SALU_CYCLE_1)
	s_or_b32 s0, vcc_lo, s0
	s_and_saveexec_b32 s15, s0
	s_delay_alu instid0(SALU_CYCLE_1)
	s_xor_b32 s0, exec_lo, s15
	s_cbranch_execz .LBB176_344
; %bb.343:
	v_div_scale_f32 v0, null, v4, v4, v1
	v_div_scale_f32 v5, vcc_lo, v1, v4, v1
	s_delay_alu instid0(VALU_DEP_2) | instskip(SKIP_2) | instid1(VALU_DEP_1)
	v_rcp_f32_e32 v2, v0
	s_waitcnt_depctr 0xfff
	v_fma_f32 v3, -v0, v2, 1.0
	v_fmac_f32_e32 v2, v3, v2
	s_delay_alu instid0(VALU_DEP_1) | instskip(NEXT) | instid1(VALU_DEP_1)
	v_mul_f32_e32 v3, v5, v2
	v_fma_f32 v6, -v0, v3, v5
	s_delay_alu instid0(VALU_DEP_1) | instskip(NEXT) | instid1(VALU_DEP_1)
	v_fmac_f32_e32 v3, v6, v2
	v_fma_f32 v0, -v0, v3, v5
	s_delay_alu instid0(VALU_DEP_1) | instskip(NEXT) | instid1(VALU_DEP_1)
	v_div_fmas_f32 v0, v0, v2, v3
	v_div_fixup_f32 v0, v0, v4, v1
	s_delay_alu instid0(VALU_DEP_1) | instskip(NEXT) | instid1(VALU_DEP_1)
	v_fmac_f32_e32 v4, v1, v0
	v_div_scale_f32 v1, null, v4, v4, 1.0
	v_div_scale_f32 v5, vcc_lo, 1.0, v4, 1.0
	s_delay_alu instid0(VALU_DEP_2) | instskip(SKIP_2) | instid1(VALU_DEP_1)
	v_rcp_f32_e32 v2, v1
	s_waitcnt_depctr 0xfff
	v_fma_f32 v3, -v1, v2, 1.0
	v_fmac_f32_e32 v2, v3, v2
	s_delay_alu instid0(VALU_DEP_1) | instskip(NEXT) | instid1(VALU_DEP_1)
	v_mul_f32_e32 v3, v5, v2
	v_fma_f32 v6, -v1, v3, v5
	s_delay_alu instid0(VALU_DEP_1) | instskip(NEXT) | instid1(VALU_DEP_1)
	v_fmac_f32_e32 v3, v6, v2
	v_fma_f32 v1, -v1, v3, v5
                                        ; implicit-def: $vgpr5
	s_delay_alu instid0(VALU_DEP_1) | instskip(SKIP_1) | instid1(VALU_DEP_2)
	v_div_fmas_f32 v1, v1, v2, v3
	v_fma_f32 v2, v0, 0, 1.0
	v_div_fixup_f32 v1, v1, v4, 1.0
	s_delay_alu instid0(VALU_DEP_1)
	v_mul_f32_e32 v2, v2, v1
	v_mul_f32_e64 v3, -v0, v1
                                        ; implicit-def: $vgpr0
.LBB176_344:
	s_and_not1_saveexec_b32 s15, s0
	s_cbranch_execz .LBB176_346
; %bb.345:
	v_div_scale_f32 v1, null, v0, v0, 1.0
	v_div_scale_f32 v2, null, v5, v5, 0
	v_div_scale_f32 v8, vcc_lo, 1.0, v0, 1.0
	s_delay_alu instid0(VALU_DEP_3) | instskip(NEXT) | instid1(VALU_DEP_2)
	v_rcp_f32_e32 v3, v1
	v_rcp_f32_e32 v4, v2
	s_waitcnt_depctr 0xfff
	v_fma_f32 v6, -v1, v3, 1.0
	v_fma_f32 v7, -v2, v4, 1.0
	s_delay_alu instid0(VALU_DEP_1) | instskip(SKIP_1) | instid1(VALU_DEP_2)
	v_dual_fmac_f32 v3, v6, v3 :: v_dual_fmac_f32 v4, v7, v4
	v_div_scale_f32 v6, s0, 0, v5, 0
	v_mul_f32_e32 v7, v8, v3
	s_delay_alu instid0(VALU_DEP_2) | instskip(NEXT) | instid1(VALU_DEP_2)
	v_mul_f32_e32 v9, v6, v4
	v_fma_f32 v10, -v1, v7, v8
	s_delay_alu instid0(VALU_DEP_2) | instskip(NEXT) | instid1(VALU_DEP_2)
	v_fma_f32 v14, -v2, v9, v6
	v_fmac_f32_e32 v7, v10, v3
	s_delay_alu instid0(VALU_DEP_2) | instskip(NEXT) | instid1(VALU_DEP_2)
	v_fmac_f32_e32 v9, v14, v4
	v_fma_f32 v1, -v1, v7, v8
	s_delay_alu instid0(VALU_DEP_2) | instskip(NEXT) | instid1(VALU_DEP_2)
	v_fma_f32 v2, -v2, v9, v6
	v_div_fmas_f32 v1, v1, v3, v7
	s_mov_b32 vcc_lo, s0
	s_delay_alu instid0(VALU_DEP_2) | instskip(NEXT) | instid1(VALU_DEP_2)
	v_div_fmas_f32 v3, v2, v4, v9
	v_div_fixup_f32 v2, v1, v0, 1.0
	s_delay_alu instid0(VALU_DEP_2)
	v_div_fixup_f32 v3, v3, v5, 0
.LBB176_346:
	s_or_b32 exec_lo, exec_lo, s15
                                        ; implicit-def: $vgpr1
                                        ; implicit-def: $vgpr4
.LBB176_347:
	s_and_not1_saveexec_b32 s0, s1
	s_cbranch_execz .LBB176_349
; %bb.348:
	v_div_scale_f32 v0, null, v1, v1, v4
	v_div_scale_f32 v5, vcc_lo, v4, v1, v4
	s_delay_alu instid0(VALU_DEP_2) | instskip(SKIP_2) | instid1(VALU_DEP_1)
	v_rcp_f32_e32 v2, v0
	s_waitcnt_depctr 0xfff
	v_fma_f32 v3, -v0, v2, 1.0
	v_fmac_f32_e32 v2, v3, v2
	s_delay_alu instid0(VALU_DEP_1) | instskip(NEXT) | instid1(VALU_DEP_1)
	v_mul_f32_e32 v3, v5, v2
	v_fma_f32 v6, -v0, v3, v5
	s_delay_alu instid0(VALU_DEP_1) | instskip(NEXT) | instid1(VALU_DEP_1)
	v_fmac_f32_e32 v3, v6, v2
	v_fma_f32 v0, -v0, v3, v5
	s_delay_alu instid0(VALU_DEP_1) | instskip(NEXT) | instid1(VALU_DEP_1)
	v_div_fmas_f32 v0, v0, v2, v3
	v_div_fixup_f32 v0, v0, v1, v4
	s_delay_alu instid0(VALU_DEP_1) | instskip(NEXT) | instid1(VALU_DEP_1)
	v_fmac_f32_e32 v1, v4, v0
	v_div_scale_f32 v2, null, v1, v1, 1.0
	v_div_scale_f32 v5, vcc_lo, 1.0, v1, 1.0
	s_delay_alu instid0(VALU_DEP_2) | instskip(SKIP_2) | instid1(VALU_DEP_1)
	v_rcp_f32_e32 v3, v2
	s_waitcnt_depctr 0xfff
	v_fma_f32 v4, -v2, v3, 1.0
	v_fmac_f32_e32 v3, v4, v3
	s_delay_alu instid0(VALU_DEP_1) | instskip(NEXT) | instid1(VALU_DEP_1)
	v_mul_f32_e32 v4, v5, v3
	v_fma_f32 v6, -v2, v4, v5
	s_delay_alu instid0(VALU_DEP_1) | instskip(NEXT) | instid1(VALU_DEP_1)
	v_fmac_f32_e32 v4, v6, v3
	v_fma_f32 v2, -v2, v4, v5
	s_delay_alu instid0(VALU_DEP_1) | instskip(SKIP_2) | instid1(VALU_DEP_3)
	v_div_fmas_f32 v2, v2, v3, v4
	v_add_f32_e32 v3, 0, v0
	v_fma_f32 v0, v0, 0, -1.0
	v_div_fixup_f32 v1, v2, v1, 1.0
	s_delay_alu instid0(VALU_DEP_1) | instskip(NEXT) | instid1(VALU_DEP_3)
	v_mul_f32_e32 v2, v3, v1
	v_mul_f32_e32 v3, v0, v1
.LBB176_349:
	s_or_b32 exec_lo, exec_lo, s0
	v_mul_lo_u32 v0, v12, s2
	v_and_b32_e32 v4, 0xff, v11
	s_delay_alu instid0(VALU_DEP_1) | instskip(NEXT) | instid1(VALU_DEP_3)
	v_cmp_gt_i16_e32 vcc_lo, 11, v4
	v_ashrrev_i32_e32 v1, 31, v0
	v_add_co_u32 v0, s0, s4, v0
	s_delay_alu instid0(VALU_DEP_1)
	v_add_co_ci_u32_e64 v1, s0, s5, v1, s0
	s_cbranch_vccnz .LBB176_356
; %bb.350:
	v_cmp_lt_i16_e32 vcc_lo, 25, v4
	s_cbranch_vccz .LBB176_357
; %bb.351:
	v_cmp_lt_i16_e32 vcc_lo, 28, v4
	s_cbranch_vccz .LBB176_358
	;; [unrolled: 3-line block ×4, first 2 shown]
; %bb.354:
	v_cmp_eq_u16_e32 vcc_lo, 46, v4
	s_mov_b32 s15, 0
	s_mov_b32 s0, -1
	s_mov_b32 s1, 0
	s_cbranch_vccz .LBB176_368
; %bb.355:
	v_bfe_u32 v5, v3, 16, 1
	v_bfe_u32 v6, v2, 16, 1
	v_cmp_o_f32_e32 vcc_lo, v3, v3
	s_mov_b32 s1, -1
	s_mov_b32 s0, 0
	v_add3_u32 v5, v3, v5, 0x7fff
	v_add3_u32 v6, v2, v6, 0x7fff
	s_delay_alu instid0(VALU_DEP_2) | instskip(NEXT) | instid1(VALU_DEP_2)
	v_and_b32_e32 v5, 0xffff0000, v5
	v_lshrrev_b32_e32 v6, 16, v6
	s_delay_alu instid0(VALU_DEP_2) | instskip(SKIP_1) | instid1(VALU_DEP_3)
	v_cndmask_b32_e32 v5, 0x7fc00000, v5, vcc_lo
	v_cmp_o_f32_e32 vcc_lo, v2, v2
	v_cndmask_b32_e32 v6, 0x7fc0, v6, vcc_lo
	s_delay_alu instid0(VALU_DEP_1)
	v_or_b32_e32 v5, v5, v6
	global_store_b32 v[0:1], v5, off
	s_branch .LBB176_368
.LBB176_356:
	s_mov_b32 s15, -1
	s_mov_b32 s1, 0
	s_mov_b32 s0, s10
	s_branch .LBB176_437
.LBB176_357:
	s_mov_b32 s15, -1
	s_mov_b32 s1, 0
	s_mov_b32 s0, s10
	s_branch .LBB176_395
.LBB176_358:
	s_mov_b32 s15, -1
	s_mov_b32 s1, 0
	s_mov_b32 s0, s10
	s_branch .LBB176_378
.LBB176_359:
	s_mov_b32 s15, -1
	s_mov_b32 s1, 0
	s_mov_b32 s0, s10
	s_branch .LBB176_374
.LBB176_360:
	s_or_saveexec_b32 s15, s15
                                        ; implicit-def: $sgpr16
	s_delay_alu instid0(SALU_CYCLE_1)
	s_xor_b32 exec_lo, exec_lo, s15
	s_cbranch_execz .LBB176_104
.LBB176_361:
	v_add_f32_e64 v5, 0x42800000, |v2|
	s_and_not1_b32 s10, s10, exec_lo
	s_mov_b32 s16, 0
	s_delay_alu instid0(VALU_DEP_1) | instskip(NEXT) | instid1(VALU_DEP_1)
	v_and_b32_e32 v5, 0xff, v5
	v_cmp_ne_u32_e32 vcc_lo, 0, v5
	s_and_b32 s17, vcc_lo, exec_lo
	s_delay_alu instid0(SALU_CYCLE_1)
	s_or_b32 s10, s10, s17
	s_or_b32 exec_lo, exec_lo, s15
	v_mov_b32_e32 v6, s16
	s_and_saveexec_b32 s15, s10
	s_cbranch_execnz .LBB176_105
	s_branch .LBB176_106
.LBB176_362:
	s_mov_b32 s14, -1
	s_mov_b32 s0, 0
.LBB176_363:
                                        ; implicit-def: $vgpr1
.LBB176_364:
	s_and_b32 vcc_lo, exec_lo, s1
	s_cbranch_vccz .LBB176_481
; %bb.365:
	v_cmp_eq_u16_e32 vcc_lo, 44, v13
	s_cbranch_vccz .LBB176_479
; %bb.366:
	global_load_u8 v0, v[2:3], off
	s_mov_b32 s14, 0
	s_mov_b32 s0, -1
	s_waitcnt vmcnt(0)
	v_lshlrev_b32_e32 v1, 23, v0
	v_cmp_ne_u32_e32 vcc_lo, 0xff, v0
	s_delay_alu instid0(VALU_DEP_2) | instskip(SKIP_1) | instid1(VALU_DEP_2)
	v_cndmask_b32_e32 v1, 0x7f800001, v1, vcc_lo
	v_cmp_ne_u32_e32 vcc_lo, 0, v0
	v_cndmask_b32_e32 v0, 0x400000, v1, vcc_lo
	s_branch .LBB176_480
.LBB176_367:
	s_mov_b32 s15, -1
	s_mov_b32 s1, 0
	s_mov_b32 s0, s10
.LBB176_368:
	s_and_b32 vcc_lo, exec_lo, s15
	s_cbranch_vccz .LBB176_373
; %bb.369:
	v_cmp_eq_u16_e32 vcc_lo, 44, v4
	s_mov_b32 s0, -1
	s_cbranch_vccz .LBB176_373
; %bb.370:
	v_bfe_u32 v6, v2, 23, 8
	v_mov_b32_e32 v5, 0xff
	s_mov_b32 s1, exec_lo
	s_delay_alu instid0(VALU_DEP_2)
	v_cmpx_ne_u32_e32 0xff, v6
; %bb.371:
	v_and_b32_e32 v5, 0x400000, v2
	v_and_or_b32 v6, 0x3fffff, v2, v6
	s_delay_alu instid0(VALU_DEP_2) | instskip(NEXT) | instid1(VALU_DEP_2)
	v_cmp_ne_u32_e32 vcc_lo, 0, v5
	v_cmp_ne_u32_e64 s0, 0, v6
	v_lshrrev_b32_e32 v5, 23, v2
	s_delay_alu instid0(VALU_DEP_2) | instskip(NEXT) | instid1(SALU_CYCLE_1)
	s_and_b32 s0, vcc_lo, s0
	v_cndmask_b32_e64 v6, 0, 1, s0
	s_delay_alu instid0(VALU_DEP_1)
	v_add_nc_u32_e32 v5, v5, v6
; %bb.372:
	s_or_b32 exec_lo, exec_lo, s1
	s_mov_b32 s1, -1
	s_mov_b32 s0, 0
	global_store_b8 v[0:1], v5, off
.LBB176_373:
	s_mov_b32 s15, 0
.LBB176_374:
	s_delay_alu instid0(SALU_CYCLE_1)
	s_and_b32 vcc_lo, exec_lo, s15
	s_cbranch_vccz .LBB176_377
; %bb.375:
	v_cmp_eq_u16_e32 vcc_lo, 29, v4
	s_mov_b32 s0, -1
	s_cbranch_vccz .LBB176_377
; %bb.376:
	v_trunc_f32_e32 v5, v2
	s_mov_b32 s1, -1
	s_mov_b32 s0, 0
	s_mov_b32 s15, 0
	s_delay_alu instid0(VALU_DEP_1) | instskip(NEXT) | instid1(VALU_DEP_1)
	v_mul_f32_e32 v6, 0x2f800000, v5
	v_floor_f32_e32 v6, v6
	s_delay_alu instid0(VALU_DEP_1) | instskip(SKIP_1) | instid1(VALU_DEP_2)
	v_fmamk_f32 v5, v6, 0xcf800000, v5
	v_cvt_u32_f32_e32 v6, v6
	v_cvt_u32_f32_e32 v5, v5
	global_store_b64 v[0:1], v[5:6], off
	s_branch .LBB176_378
.LBB176_377:
	s_mov_b32 s15, 0
.LBB176_378:
	s_delay_alu instid0(SALU_CYCLE_1)
	s_and_b32 vcc_lo, exec_lo, s15
	s_cbranch_vccz .LBB176_394
; %bb.379:
	v_cmp_gt_i16_e32 vcc_lo, 27, v4
	s_mov_b32 s1, -1
	s_cbranch_vccnz .LBB176_385
; %bb.380:
	v_cmp_lt_i16_e32 vcc_lo, 27, v4
	s_cbranch_vccz .LBB176_382
; %bb.381:
	v_cvt_u32_f32_e32 v5, v2
	s_mov_b32 s1, 0
	global_store_b32 v[0:1], v5, off
.LBB176_382:
	s_and_not1_b32 vcc_lo, exec_lo, s1
	s_cbranch_vccnz .LBB176_384
; %bb.383:
	v_cvt_u32_f32_e32 v5, v2
	global_store_b16 v[0:1], v5, off
.LBB176_384:
	s_mov_b32 s1, 0
.LBB176_385:
	s_delay_alu instid0(SALU_CYCLE_1)
	s_and_not1_b32 vcc_lo, exec_lo, s1
	s_cbranch_vccnz .LBB176_393
; %bb.386:
	v_and_b32_e32 v5, 0x7fffffff, v2
	v_mov_b32_e32 v6, 0x80
	s_mov_b32 s1, exec_lo
	s_delay_alu instid0(VALU_DEP_2)
	v_cmpx_gt_u32_e32 0x43800000, v5
	s_cbranch_execz .LBB176_392
; %bb.387:
	v_cmp_lt_u32_e32 vcc_lo, 0x3bffffff, v5
	s_mov_b32 s15, 0
                                        ; implicit-def: $vgpr5
	s_and_saveexec_b32 s17, vcc_lo
	s_delay_alu instid0(SALU_CYCLE_1)
	s_xor_b32 s17, exec_lo, s17
	s_cbranch_execz .LBB176_610
; %bb.388:
	v_bfe_u32 v5, v2, 20, 1
	s_mov_b32 s15, exec_lo
	s_delay_alu instid0(VALU_DEP_1) | instskip(NEXT) | instid1(VALU_DEP_1)
	v_add3_u32 v5, v2, v5, 0x487ffff
	v_lshrrev_b32_e32 v5, 20, v5
	s_or_saveexec_b32 s17, s17
                                        ; implicit-def: $sgpr18
	s_delay_alu instid0(SALU_CYCLE_1)
	s_xor_b32 exec_lo, exec_lo, s17
	s_cbranch_execnz .LBB176_611
.LBB176_389:
	s_or_b32 exec_lo, exec_lo, s17
	v_mov_b32_e32 v6, s18
	s_and_saveexec_b32 s17, s15
.LBB176_390:
	v_lshrrev_b32_e32 v6, 24, v2
	s_delay_alu instid0(VALU_DEP_1)
	v_and_or_b32 v6, 0x80, v6, v5
.LBB176_391:
	s_or_b32 exec_lo, exec_lo, s17
.LBB176_392:
	s_delay_alu instid0(SALU_CYCLE_1)
	s_or_b32 exec_lo, exec_lo, s1
	global_store_b8 v[0:1], v6, off
.LBB176_393:
	s_mov_b32 s1, -1
.LBB176_394:
	s_mov_b32 s15, 0
.LBB176_395:
	s_delay_alu instid0(SALU_CYCLE_1)
	s_and_b32 vcc_lo, exec_lo, s15
	s_cbranch_vccz .LBB176_436
; %bb.396:
	v_cmp_lt_i16_e32 vcc_lo, 22, v4
	s_mov_b32 s15, -1
	s_cbranch_vccz .LBB176_428
; %bb.397:
	v_cmp_gt_i16_e32 vcc_lo, 24, v4
	s_mov_b32 s1, -1
	s_cbranch_vccnz .LBB176_417
; %bb.398:
	v_cmp_lt_i16_e32 vcc_lo, 24, v4
	s_cbranch_vccz .LBB176_406
; %bb.399:
	v_and_b32_e32 v5, 0x7fffffff, v2
	v_mov_b32_e32 v6, 0x80
	s_mov_b32 s1, exec_lo
	s_delay_alu instid0(VALU_DEP_2)
	v_cmpx_gt_u32_e32 0x47800000, v5
	s_cbranch_execz .LBB176_405
; %bb.400:
	v_cmp_lt_u32_e32 vcc_lo, 0x37ffffff, v5
	s_mov_b32 s15, 0
                                        ; implicit-def: $vgpr5
	s_and_saveexec_b32 s17, vcc_lo
	s_delay_alu instid0(SALU_CYCLE_1)
	s_xor_b32 s17, exec_lo, s17
	s_cbranch_execz .LBB176_613
; %bb.401:
	v_bfe_u32 v5, v2, 21, 1
	s_mov_b32 s15, exec_lo
	s_delay_alu instid0(VALU_DEP_1) | instskip(NEXT) | instid1(VALU_DEP_1)
	v_add3_u32 v5, v2, v5, 0x88fffff
	v_lshrrev_b32_e32 v5, 21, v5
	s_or_saveexec_b32 s17, s17
                                        ; implicit-def: $sgpr18
	s_delay_alu instid0(SALU_CYCLE_1)
	s_xor_b32 exec_lo, exec_lo, s17
	s_cbranch_execnz .LBB176_614
.LBB176_402:
	s_or_b32 exec_lo, exec_lo, s17
	v_mov_b32_e32 v6, s18
	s_and_saveexec_b32 s17, s15
.LBB176_403:
	v_lshrrev_b32_e32 v6, 24, v2
	s_delay_alu instid0(VALU_DEP_1)
	v_and_or_b32 v6, 0x80, v6, v5
.LBB176_404:
	s_or_b32 exec_lo, exec_lo, s17
.LBB176_405:
	s_delay_alu instid0(SALU_CYCLE_1)
	s_or_b32 exec_lo, exec_lo, s1
	s_mov_b32 s1, 0
	global_store_b8 v[0:1], v6, off
.LBB176_406:
	s_and_b32 vcc_lo, exec_lo, s1
	s_cbranch_vccz .LBB176_416
; %bb.407:
	v_and_b32_e32 v6, 0x7fffffff, v2
	s_mov_b32 s1, exec_lo
                                        ; implicit-def: $vgpr5
	s_delay_alu instid0(VALU_DEP_1)
	v_cmpx_gt_u32_e32 0x43f00000, v6
	s_xor_b32 s1, exec_lo, s1
	s_cbranch_execz .LBB176_413
; %bb.408:
	s_mov_b32 s15, exec_lo
                                        ; implicit-def: $vgpr5
	v_cmpx_lt_u32_e32 0x3c7fffff, v6
	s_xor_b32 s15, exec_lo, s15
; %bb.409:
	v_bfe_u32 v5, v2, 20, 1
	s_delay_alu instid0(VALU_DEP_1) | instskip(NEXT) | instid1(VALU_DEP_1)
	v_add3_u32 v5, v2, v5, 0x407ffff
	v_and_b32_e32 v6, 0xff00000, v5
	v_lshrrev_b32_e32 v5, 20, v5
	s_delay_alu instid0(VALU_DEP_2) | instskip(NEXT) | instid1(VALU_DEP_2)
	v_cmp_ne_u32_e32 vcc_lo, 0x7f00000, v6
	v_cndmask_b32_e32 v5, 0x7e, v5, vcc_lo
; %bb.410:
	s_and_not1_saveexec_b32 s15, s15
; %bb.411:
	v_add_f32_e64 v5, 0x46800000, |v2|
; %bb.412:
	s_or_b32 exec_lo, exec_lo, s15
                                        ; implicit-def: $vgpr6
.LBB176_413:
	s_and_not1_saveexec_b32 s1, s1
; %bb.414:
	v_mov_b32_e32 v5, 0x7f
	v_cmp_lt_u32_e32 vcc_lo, 0x7f800000, v6
	s_delay_alu instid0(VALU_DEP_2)
	v_cndmask_b32_e32 v5, 0x7e, v5, vcc_lo
; %bb.415:
	s_or_b32 exec_lo, exec_lo, s1
	v_lshrrev_b32_e32 v6, 24, v2
	s_delay_alu instid0(VALU_DEP_1)
	v_and_or_b32 v5, 0x80, v6, v5
	global_store_b8 v[0:1], v5, off
.LBB176_416:
	s_mov_b32 s1, 0
.LBB176_417:
	s_delay_alu instid0(SALU_CYCLE_1)
	s_and_not1_b32 vcc_lo, exec_lo, s1
	s_cbranch_vccnz .LBB176_427
; %bb.418:
	v_and_b32_e32 v6, 0x7fffffff, v2
	s_mov_b32 s1, exec_lo
                                        ; implicit-def: $vgpr5
	s_delay_alu instid0(VALU_DEP_1)
	v_cmpx_gt_u32_e32 0x47800000, v6
	s_xor_b32 s1, exec_lo, s1
	s_cbranch_execz .LBB176_424
; %bb.419:
	s_mov_b32 s15, exec_lo
                                        ; implicit-def: $vgpr5
	v_cmpx_lt_u32_e32 0x387fffff, v6
	s_xor_b32 s15, exec_lo, s15
; %bb.420:
	v_bfe_u32 v5, v2, 21, 1
	s_delay_alu instid0(VALU_DEP_1) | instskip(NEXT) | instid1(VALU_DEP_1)
	v_add3_u32 v5, v2, v5, 0x80fffff
	v_lshrrev_b32_e32 v5, 21, v5
; %bb.421:
	s_and_not1_saveexec_b32 s15, s15
; %bb.422:
	v_add_f32_e64 v5, 0x43000000, |v2|
; %bb.423:
	s_or_b32 exec_lo, exec_lo, s15
                                        ; implicit-def: $vgpr6
.LBB176_424:
	s_and_not1_saveexec_b32 s1, s1
; %bb.425:
	v_mov_b32_e32 v5, 0x7f
	v_cmp_lt_u32_e32 vcc_lo, 0x7f800000, v6
	s_delay_alu instid0(VALU_DEP_2)
	v_cndmask_b32_e32 v5, 0x7c, v5, vcc_lo
; %bb.426:
	s_or_b32 exec_lo, exec_lo, s1
	v_lshrrev_b32_e32 v6, 24, v2
	s_delay_alu instid0(VALU_DEP_1)
	v_and_or_b32 v5, 0x80, v6, v5
	global_store_b8 v[0:1], v5, off
.LBB176_427:
	s_mov_b32 s15, 0
	s_mov_b32 s1, -1
.LBB176_428:
	s_and_not1_b32 vcc_lo, exec_lo, s15
	s_cbranch_vccnz .LBB176_436
; %bb.429:
	v_cmp_lt_i16_e32 vcc_lo, 14, v4
	s_mov_b32 s15, -1
	s_cbranch_vccz .LBB176_433
; %bb.430:
	v_cmp_eq_u16_e32 vcc_lo, 15, v4
	s_mov_b32 s0, -1
	s_cbranch_vccz .LBB176_432
; %bb.431:
	v_bfe_u32 v5, v2, 16, 1
	v_cmp_o_f32_e32 vcc_lo, v2, v2
	s_mov_b32 s1, -1
	s_mov_b32 s0, 0
	s_delay_alu instid0(VALU_DEP_2) | instskip(NEXT) | instid1(VALU_DEP_1)
	v_add3_u32 v5, v2, v5, 0x7fff
	v_lshrrev_b32_e32 v5, 16, v5
	s_delay_alu instid0(VALU_DEP_1)
	v_cndmask_b32_e32 v5, 0x7fc0, v5, vcc_lo
	global_store_b16 v[0:1], v5, off
.LBB176_432:
	s_mov_b32 s15, 0
.LBB176_433:
	s_delay_alu instid0(SALU_CYCLE_1)
	s_and_b32 vcc_lo, exec_lo, s15
	s_cbranch_vccz .LBB176_436
; %bb.434:
	v_cmp_eq_u16_e32 vcc_lo, 11, v4
	s_mov_b32 s0, -1
	s_cbranch_vccz .LBB176_436
; %bb.435:
	v_cmp_neq_f32_e32 vcc_lo, 0, v2
	v_cmp_neq_f32_e64 s0, 0, v3
	s_mov_b32 s1, -1
	s_delay_alu instid0(VALU_DEP_1) | instskip(NEXT) | instid1(SALU_CYCLE_1)
	s_or_b32 s0, vcc_lo, s0
	v_cndmask_b32_e64 v5, 0, 1, s0
	s_mov_b32 s0, 0
	global_store_b8 v[0:1], v5, off
.LBB176_436:
	s_mov_b32 s15, 0
.LBB176_437:
	s_delay_alu instid0(SALU_CYCLE_1)
	s_and_b32 vcc_lo, exec_lo, s15
	s_cbranch_vccz .LBB176_476
; %bb.438:
	v_cmp_gt_i16_e32 vcc_lo, 5, v4
	s_mov_b32 s1, -1
	s_cbranch_vccnz .LBB176_459
; %bb.439:
	v_cmp_gt_i16_e32 vcc_lo, 8, v4
	s_cbranch_vccnz .LBB176_449
; %bb.440:
	v_cmp_gt_i16_e32 vcc_lo, 9, v4
	s_cbranch_vccnz .LBB176_446
; %bb.441:
	v_cmp_lt_i16_e32 vcc_lo, 9, v4
	s_cbranch_vccz .LBB176_443
; %bb.442:
	v_cvt_f64_f32_e32 v[5:6], v2
	v_cvt_f64_f32_e32 v[7:8], v3
	s_mov_b32 s1, 0
	global_store_b128 v[0:1], v[5:8], off
.LBB176_443:
	s_and_not1_b32 vcc_lo, exec_lo, s1
	s_cbranch_vccnz .LBB176_445
; %bb.444:
	global_store_b64 v[0:1], v[2:3], off
.LBB176_445:
	s_mov_b32 s1, 0
.LBB176_446:
	s_delay_alu instid0(SALU_CYCLE_1)
	s_and_not1_b32 vcc_lo, exec_lo, s1
	s_cbranch_vccnz .LBB176_448
; %bb.447:
	v_cvt_f16_f32_e32 v3, v3
	v_cvt_f16_f32_e32 v5, v2
	s_delay_alu instid0(VALU_DEP_2) | instskip(NEXT) | instid1(VALU_DEP_2)
	v_lshlrev_b32_e32 v3, 16, v3
	v_and_b32_e32 v5, 0xffff, v5
	s_delay_alu instid0(VALU_DEP_1)
	v_or_b32_e32 v3, v3, v5
	global_store_b32 v[0:1], v3, off
.LBB176_448:
	s_mov_b32 s1, 0
.LBB176_449:
	s_delay_alu instid0(SALU_CYCLE_1)
	s_and_not1_b32 vcc_lo, exec_lo, s1
	s_cbranch_vccnz .LBB176_458
; %bb.450:
	v_cmp_gt_i16_e32 vcc_lo, 6, v4
	s_mov_b32 s1, -1
	s_cbranch_vccnz .LBB176_456
; %bb.451:
	v_cmp_lt_i16_e32 vcc_lo, 6, v4
	s_cbranch_vccz .LBB176_453
; %bb.452:
	v_cvt_f64_f32_e32 v[5:6], v2
	s_mov_b32 s1, 0
	global_store_b64 v[0:1], v[5:6], off
.LBB176_453:
	s_and_not1_b32 vcc_lo, exec_lo, s1
	s_cbranch_vccnz .LBB176_455
; %bb.454:
	global_store_b32 v[0:1], v2, off
.LBB176_455:
	s_mov_b32 s1, 0
.LBB176_456:
	s_delay_alu instid0(SALU_CYCLE_1)
	s_and_not1_b32 vcc_lo, exec_lo, s1
	s_cbranch_vccnz .LBB176_458
; %bb.457:
	v_cvt_f16_f32_e32 v3, v2
	global_store_b16 v[0:1], v3, off
.LBB176_458:
	s_mov_b32 s1, 0
.LBB176_459:
	s_delay_alu instid0(SALU_CYCLE_1)
	s_and_not1_b32 vcc_lo, exec_lo, s1
	s_cbranch_vccnz .LBB176_475
; %bb.460:
	v_cmp_gt_i16_e32 vcc_lo, 2, v4
	s_mov_b32 s1, -1
	s_cbranch_vccnz .LBB176_470
; %bb.461:
	v_cmp_gt_i16_e32 vcc_lo, 3, v4
	s_cbranch_vccnz .LBB176_467
; %bb.462:
	v_cmp_lt_i16_e32 vcc_lo, 3, v4
	s_cbranch_vccz .LBB176_464
; %bb.463:
	v_trunc_f32_e32 v3, v2
	s_mov_b32 s1, 0
	s_delay_alu instid0(VALU_DEP_1) | instskip(NEXT) | instid1(VALU_DEP_1)
	v_mul_f32_e64 v5, 0x2f800000, |v3|
	v_floor_f32_e32 v5, v5
	s_delay_alu instid0(VALU_DEP_1) | instskip(SKIP_2) | instid1(VALU_DEP_3)
	v_fma_f32 v6, 0xcf800000, v5, |v3|
	v_ashrrev_i32_e32 v3, 31, v3
	v_cvt_u32_f32_e32 v5, v5
	v_cvt_u32_f32_e32 v6, v6
	s_delay_alu instid0(VALU_DEP_2) | instskip(NEXT) | instid1(VALU_DEP_2)
	v_xor_b32_e32 v7, v5, v3
	v_xor_b32_e32 v6, v6, v3
	s_delay_alu instid0(VALU_DEP_1) | instskip(NEXT) | instid1(VALU_DEP_3)
	v_sub_co_u32 v5, vcc_lo, v6, v3
	v_sub_co_ci_u32_e32 v6, vcc_lo, v7, v3, vcc_lo
	global_store_b64 v[0:1], v[5:6], off
.LBB176_464:
	s_and_not1_b32 vcc_lo, exec_lo, s1
	s_cbranch_vccnz .LBB176_466
; %bb.465:
	v_cvt_i32_f32_e32 v3, v2
	global_store_b32 v[0:1], v3, off
.LBB176_466:
	s_mov_b32 s1, 0
.LBB176_467:
	s_delay_alu instid0(SALU_CYCLE_1)
	s_and_not1_b32 vcc_lo, exec_lo, s1
	s_cbranch_vccnz .LBB176_469
; %bb.468:
	v_cvt_i32_f32_e32 v3, v2
	global_store_b16 v[0:1], v3, off
.LBB176_469:
	s_mov_b32 s1, 0
.LBB176_470:
	s_delay_alu instid0(SALU_CYCLE_1)
	s_and_not1_b32 vcc_lo, exec_lo, s1
	s_cbranch_vccnz .LBB176_475
; %bb.471:
	v_cmp_lt_i16_e32 vcc_lo, 0, v4
	s_mov_b32 s1, -1
	s_cbranch_vccz .LBB176_473
; %bb.472:
	v_cvt_i32_f32_e32 v3, v2
	s_mov_b32 s1, 0
	global_store_b8 v[0:1], v3, off
.LBB176_473:
	s_and_not1_b32 vcc_lo, exec_lo, s1
	s_cbranch_vccnz .LBB176_475
; %bb.474:
	v_trunc_f32_e32 v2, v2
	s_delay_alu instid0(VALU_DEP_1) | instskip(NEXT) | instid1(VALU_DEP_1)
	v_mul_f32_e64 v3, 0x2f800000, |v2|
	v_floor_f32_e32 v3, v3
	s_delay_alu instid0(VALU_DEP_1) | instskip(SKIP_1) | instid1(VALU_DEP_2)
	v_fma_f32 v3, 0xcf800000, v3, |v2|
	v_ashrrev_i32_e32 v2, 31, v2
	v_cvt_u32_f32_e32 v3, v3
	s_delay_alu instid0(VALU_DEP_1) | instskip(NEXT) | instid1(VALU_DEP_1)
	v_xor_b32_e32 v3, v3, v2
	v_sub_nc_u32_e32 v2, v3, v2
	global_store_b8 v[0:1], v2, off
.LBB176_475:
	s_mov_b32 s1, -1
.LBB176_476:
	s_delay_alu instid0(SALU_CYCLE_1)
	s_and_not1_b32 vcc_lo, exec_lo, s1
	s_cbranch_vccnz .LBB176_478
; %bb.477:
	v_add_nc_u32_e32 v12, 0x80, v12
	s_mov_b32 s1, -1
	s_branch .LBB176_596
.LBB176_478:
	s_mov_b32 s1, 0
	s_branch .LBB176_595
.LBB176_479:
	s_mov_b32 s14, -1
                                        ; implicit-def: $vgpr0
.LBB176_480:
	s_delay_alu instid0(SALU_CYCLE_1)
	v_mov_b32_e32 v1, s14
.LBB176_481:
	s_mov_b32 s1, 0
.LBB176_482:
	s_delay_alu instid0(SALU_CYCLE_1)
	s_and_b32 vcc_lo, exec_lo, s1
	s_cbranch_vccz .LBB176_487
; %bb.483:
	v_cmp_eq_u16_e32 vcc_lo, 29, v13
	s_cbranch_vccz .LBB176_485
; %bb.484:
	global_load_b64 v[0:1], v[2:3], off
	s_mov_b32 s0, -1
	s_mov_b32 s14, 0
	s_mov_b32 s1, 0
	s_waitcnt vmcnt(0)
	v_clz_i32_u32_e32 v4, v1
	s_delay_alu instid0(VALU_DEP_1) | instskip(NEXT) | instid1(VALU_DEP_1)
	v_min_u32_e32 v4, 32, v4
	v_lshlrev_b64 v[0:1], v4, v[0:1]
	s_delay_alu instid0(VALU_DEP_1) | instskip(NEXT) | instid1(VALU_DEP_1)
	v_min_u32_e32 v0, 1, v0
	v_or_b32_e32 v0, v1, v0
	v_sub_nc_u32_e32 v1, 32, v4
	s_delay_alu instid0(VALU_DEP_2) | instskip(NEXT) | instid1(VALU_DEP_1)
	v_cvt_f32_u32_e32 v0, v0
	v_ldexp_f32 v0, v0, v1
	s_branch .LBB176_486
.LBB176_485:
	s_mov_b32 s14, -1
                                        ; implicit-def: $sgpr1
                                        ; implicit-def: $vgpr0
.LBB176_486:
	v_mov_b32_e32 v1, s1
.LBB176_487:
	s_mov_b32 s1, 0
.LBB176_488:
	s_delay_alu instid0(SALU_CYCLE_1)
	s_and_b32 vcc_lo, exec_lo, s1
	s_cbranch_vccz .LBB176_508
; %bb.489:
	v_cmp_gt_i16_e32 vcc_lo, 27, v13
	s_cbranch_vccnz .LBB176_492
; %bb.490:
	v_cmp_lt_i16_e32 vcc_lo, 27, v13
	s_cbranch_vccz .LBB176_493
; %bb.491:
	global_load_b32 v0, v[2:3], off
	s_mov_b32 s1, 0
	s_mov_b32 s0, 0
	s_waitcnt vmcnt(0)
	v_cvt_f32_u32_e32 v0, v0
	s_branch .LBB176_494
.LBB176_492:
	s_mov_b32 s1, -1
                                        ; implicit-def: $sgpr0
                                        ; implicit-def: $vgpr0
	s_branch .LBB176_497
.LBB176_493:
	s_mov_b32 s1, -1
                                        ; implicit-def: $sgpr0
                                        ; implicit-def: $vgpr0
.LBB176_494:
	s_delay_alu instid0(SALU_CYCLE_1)
	s_and_not1_b32 vcc_lo, exec_lo, s1
	s_cbranch_vccnz .LBB176_496
; %bb.495:
	global_load_u16 v0, v[2:3], off
	s_mov_b32 s0, 0
	s_waitcnt vmcnt(0)
	v_cvt_f32_u32_e32 v0, v0
.LBB176_496:
	s_mov_b32 s1, 0
.LBB176_497:
	v_mov_b32_e32 v1, s0
	s_and_not1_b32 vcc_lo, exec_lo, s1
	s_cbranch_vccnz .LBB176_507
; %bb.498:
	global_load_u8 v4, v[2:3], off
	s_mov_b32 s0, 0
	s_mov_b32 s17, exec_lo
                                        ; implicit-def: $sgpr15
                                        ; implicit-def: $sgpr1
	s_waitcnt vmcnt(0)
	v_cmpx_lt_i16_e32 0x7f, v4
	s_xor_b32 s17, exec_lo, s17
	s_cbranch_execz .LBB176_502
; %bb.499:
	s_mov_b32 s0, -1
	s_mov_b32 s18, exec_lo
                                        ; implicit-def: $sgpr15
                                        ; implicit-def: $sgpr1
	v_cmpx_eq_u16_e32 0x80, v4
; %bb.500:
	s_mov_b32 s1, 0x7f800001
	s_mov_b32 s15, 0
	s_xor_b32 s0, exec_lo, -1
; %bb.501:
	s_or_b32 exec_lo, exec_lo, s18
	s_delay_alu instid0(SALU_CYCLE_1)
	s_and_b32 s0, s0, exec_lo
.LBB176_502:
	s_or_saveexec_b32 s17, s17
	v_dual_mov_b32 v1, s15 :: v_dual_mov_b32 v0, s1
	s_xor_b32 exec_lo, exec_lo, s17
; %bb.503:
	v_cmp_ne_u16_e32 vcc_lo, 0, v4
	v_dual_mov_b32 v1, 0 :: v_dual_mov_b32 v0, 0
	s_and_not1_b32 s0, s0, exec_lo
	s_and_b32 s1, vcc_lo, exec_lo
	s_delay_alu instid0(SALU_CYCLE_1)
	s_or_b32 s0, s0, s1
; %bb.504:
	s_or_b32 exec_lo, exec_lo, s17
	s_and_saveexec_b32 s1, s0
	s_cbranch_execz .LBB176_506
; %bb.505:
	v_and_b32_e32 v0, 0xffff, v4
	v_lshlrev_b32_e32 v4, 24, v4
	s_delay_alu instid0(VALU_DEP_2) | instskip(NEXT) | instid1(VALU_DEP_2)
	v_and_b32_e32 v1, 7, v0
	v_and_b32_e32 v4, 0x80000000, v4
	s_delay_alu instid0(VALU_DEP_2) | instskip(NEXT) | instid1(VALU_DEP_1)
	v_clz_i32_u32_e32 v5, v1
	v_min_u32_e32 v5, 32, v5
	s_delay_alu instid0(VALU_DEP_1) | instskip(SKIP_1) | instid1(VALU_DEP_2)
	v_subrev_nc_u32_e32 v6, 28, v5
	v_sub_nc_u32_e32 v5, 29, v5
	v_lshlrev_b32_e32 v6, v6, v0
	v_bfe_u32 v0, v0, 3, 4
	s_delay_alu instid0(VALU_DEP_2) | instskip(NEXT) | instid1(VALU_DEP_2)
	v_and_b32_e32 v6, 7, v6
	v_cmp_eq_u32_e32 vcc_lo, 0, v0
	s_delay_alu instid0(VALU_DEP_2) | instskip(NEXT) | instid1(VALU_DEP_1)
	v_dual_cndmask_b32 v0, v0, v5 :: v_dual_cndmask_b32 v1, v1, v6
	v_lshl_add_u32 v0, v0, 23, 0x3b800000
	s_delay_alu instid0(VALU_DEP_2) | instskip(NEXT) | instid1(VALU_DEP_1)
	v_lshlrev_b32_e32 v1, 20, v1
	v_or3_b32 v0, v4, v0, v1
	v_mov_b32_e32 v1, 0
.LBB176_506:
	s_or_b32 exec_lo, exec_lo, s1
.LBB176_507:
	s_mov_b32 s0, -1
.LBB176_508:
	s_mov_b32 s1, 0
.LBB176_509:
	s_delay_alu instid0(SALU_CYCLE_1)
	s_and_b32 vcc_lo, exec_lo, s1
	s_cbranch_vccz .LBB176_543
; %bb.510:
	v_cmp_lt_i16_e32 vcc_lo, 22, v13
	s_cbranch_vccz .LBB176_522
; %bb.511:
	v_cmp_gt_i16_e32 vcc_lo, 24, v13
	s_cbranch_vccnz .LBB176_523
; %bb.512:
	v_cmp_lt_i16_e32 vcc_lo, 24, v13
	s_cbranch_vccz .LBB176_524
; %bb.513:
	global_load_u8 v4, v[2:3], off
	s_mov_b32 s0, 0
	s_mov_b32 s17, exec_lo
                                        ; implicit-def: $sgpr15
                                        ; implicit-def: $sgpr1
	s_waitcnt vmcnt(0)
	v_cmpx_lt_i16_e32 0x7f, v4
	s_xor_b32 s17, exec_lo, s17
	s_cbranch_execz .LBB176_517
; %bb.514:
	s_mov_b32 s0, -1
	s_mov_b32 s18, exec_lo
                                        ; implicit-def: $sgpr15
                                        ; implicit-def: $sgpr1
	v_cmpx_eq_u16_e32 0x80, v4
; %bb.515:
	s_mov_b32 s1, 0x7f800001
	s_mov_b32 s15, 0
	s_xor_b32 s0, exec_lo, -1
; %bb.516:
	s_or_b32 exec_lo, exec_lo, s18
	s_delay_alu instid0(SALU_CYCLE_1)
	s_and_b32 s0, s0, exec_lo
.LBB176_517:
	s_or_saveexec_b32 s17, s17
	v_dual_mov_b32 v1, s15 :: v_dual_mov_b32 v0, s1
	s_xor_b32 exec_lo, exec_lo, s17
; %bb.518:
	v_cmp_ne_u16_e32 vcc_lo, 0, v4
	v_dual_mov_b32 v1, 0 :: v_dual_mov_b32 v0, 0
	s_and_not1_b32 s0, s0, exec_lo
	s_and_b32 s1, vcc_lo, exec_lo
	s_delay_alu instid0(SALU_CYCLE_1)
	s_or_b32 s0, s0, s1
; %bb.519:
	s_or_b32 exec_lo, exec_lo, s17
	s_and_saveexec_b32 s1, s0
	s_cbranch_execz .LBB176_521
; %bb.520:
	v_and_b32_e32 v0, 0xffff, v4
	v_lshlrev_b32_e32 v4, 24, v4
	s_delay_alu instid0(VALU_DEP_2) | instskip(NEXT) | instid1(VALU_DEP_2)
	v_and_b32_e32 v1, 3, v0
	v_and_b32_e32 v4, 0x80000000, v4
	s_delay_alu instid0(VALU_DEP_2) | instskip(NEXT) | instid1(VALU_DEP_1)
	v_clz_i32_u32_e32 v5, v1
	v_min_u32_e32 v5, 32, v5
	s_delay_alu instid0(VALU_DEP_1) | instskip(SKIP_1) | instid1(VALU_DEP_2)
	v_subrev_nc_u32_e32 v6, 29, v5
	v_sub_nc_u32_e32 v5, 30, v5
	v_lshlrev_b32_e32 v6, v6, v0
	v_bfe_u32 v0, v0, 2, 5
	s_delay_alu instid0(VALU_DEP_2) | instskip(NEXT) | instid1(VALU_DEP_2)
	v_and_b32_e32 v6, 3, v6
	v_cmp_eq_u32_e32 vcc_lo, 0, v0
	s_delay_alu instid0(VALU_DEP_2) | instskip(NEXT) | instid1(VALU_DEP_1)
	v_dual_cndmask_b32 v0, v0, v5 :: v_dual_cndmask_b32 v1, v1, v6
	v_lshl_add_u32 v0, v0, 23, 0x37800000
	s_delay_alu instid0(VALU_DEP_2) | instskip(NEXT) | instid1(VALU_DEP_1)
	v_lshlrev_b32_e32 v1, 21, v1
	v_or3_b32 v0, v4, v0, v1
	v_mov_b32_e32 v1, 0
.LBB176_521:
	s_or_b32 exec_lo, exec_lo, s1
	s_mov_b32 s0, 0
	s_branch .LBB176_525
.LBB176_522:
	s_mov_b32 s1, -1
                                        ; implicit-def: $vgpr1
	s_branch .LBB176_531
.LBB176_523:
	s_mov_b32 s0, -1
                                        ; implicit-def: $vgpr1
	s_branch .LBB176_528
.LBB176_524:
	s_mov_b32 s0, -1
                                        ; implicit-def: $vgpr1
.LBB176_525:
	s_delay_alu instid0(SALU_CYCLE_1)
	s_and_b32 vcc_lo, exec_lo, s0
	s_cbranch_vccz .LBB176_527
; %bb.526:
	global_load_u8 v0, v[2:3], off
	s_waitcnt vmcnt(0)
	v_lshlrev_b32_e32 v0, 24, v0
	s_delay_alu instid0(VALU_DEP_1) | instskip(NEXT) | instid1(VALU_DEP_1)
	v_and_b32_e32 v1, 0x7f000000, v0
	v_clz_i32_u32_e32 v4, v1
	v_cmp_ne_u32_e32 vcc_lo, 0, v1
	v_add_nc_u32_e32 v6, 0x1000000, v1
	s_delay_alu instid0(VALU_DEP_3) | instskip(NEXT) | instid1(VALU_DEP_1)
	v_min_u32_e32 v4, 32, v4
	v_sub_nc_u32_e64 v4, v4, 4 clamp
	s_delay_alu instid0(VALU_DEP_1) | instskip(SKIP_1) | instid1(VALU_DEP_2)
	v_lshlrev_b32_e32 v5, v4, v1
	v_lshlrev_b32_e32 v4, 23, v4
	v_lshrrev_b32_e32 v5, 4, v5
	s_delay_alu instid0(VALU_DEP_1) | instskip(SKIP_1) | instid1(VALU_DEP_2)
	v_sub_nc_u32_e32 v4, v5, v4
	v_ashrrev_i32_e32 v5, 8, v6
	v_add_nc_u32_e32 v4, 0x3c000000, v4
	s_delay_alu instid0(VALU_DEP_1) | instskip(NEXT) | instid1(VALU_DEP_1)
	v_and_or_b32 v4, 0x7f800000, v5, v4
	v_cndmask_b32_e32 v1, 0, v4, vcc_lo
	s_delay_alu instid0(VALU_DEP_1)
	v_and_or_b32 v0, 0x80000000, v0, v1
	v_mov_b32_e32 v1, 0
.LBB176_527:
	s_mov_b32 s0, 0
.LBB176_528:
	s_delay_alu instid0(SALU_CYCLE_1)
	s_and_not1_b32 vcc_lo, exec_lo, s0
	s_cbranch_vccnz .LBB176_530
; %bb.529:
	global_load_u8 v0, v[2:3], off
	s_waitcnt vmcnt(0)
	v_lshlrev_b32_e32 v1, 25, v0
	v_lshlrev_b16 v0, 8, v0
	s_delay_alu instid0(VALU_DEP_2) | instskip(NEXT) | instid1(VALU_DEP_2)
	v_lshrrev_b32_e32 v4, 4, v1
	v_and_or_b32 v5, 0x7f00, v0, 0.5
	v_cmp_gt_u32_e32 vcc_lo, 0x8000000, v1
	v_bfe_i32 v0, v0, 0, 16
	s_delay_alu instid0(VALU_DEP_4) | instskip(NEXT) | instid1(VALU_DEP_1)
	v_or_b32_e32 v4, 0x70000000, v4
	v_dual_add_f32 v5, -0.5, v5 :: v_dual_mul_f32 v4, 0x7800000, v4
	s_delay_alu instid0(VALU_DEP_1) | instskip(NEXT) | instid1(VALU_DEP_1)
	v_cndmask_b32_e32 v1, v4, v5, vcc_lo
	v_and_or_b32 v0, 0x80000000, v0, v1
	v_mov_b32_e32 v1, 0
.LBB176_530:
	s_mov_b32 s1, 0
	s_mov_b32 s0, -1
.LBB176_531:
	s_and_not1_b32 vcc_lo, exec_lo, s1
	s_cbranch_vccnz .LBB176_543
; %bb.532:
	v_cmp_lt_i16_e32 vcc_lo, 14, v13
	s_cbranch_vccz .LBB176_535
; %bb.533:
	v_cmp_eq_u16_e32 vcc_lo, 15, v13
	s_cbranch_vccz .LBB176_536
; %bb.534:
	global_load_u16 v0, v[2:3], off
	s_mov_b32 s0, -1
	s_mov_b32 s14, 0
	s_mov_b32 s1, 0
	s_waitcnt vmcnt(0)
	v_lshlrev_b32_e32 v0, 16, v0
	s_branch .LBB176_537
.LBB176_535:
	s_mov_b32 s15, -1
                                        ; implicit-def: $sgpr1
                                        ; implicit-def: $vgpr0
	s_branch .LBB176_538
.LBB176_536:
	s_mov_b32 s14, -1
                                        ; implicit-def: $sgpr1
                                        ; implicit-def: $vgpr0
.LBB176_537:
	s_mov_b32 s15, 0
.LBB176_538:
	s_delay_alu instid0(SALU_CYCLE_1)
	s_and_b32 vcc_lo, exec_lo, s15
	s_cbranch_vccz .LBB176_542
; %bb.539:
	v_cmp_eq_u16_e32 vcc_lo, 11, v13
	s_cbranch_vccz .LBB176_541
; %bb.540:
	global_load_u8 v0, v[2:3], off
	s_mov_b32 s1, 0
	s_mov_b32 s0, -1
	s_mov_b32 s14, 0
	s_waitcnt vmcnt(0)
	v_cmp_ne_u16_e32 vcc_lo, 0, v0
	v_cndmask_b32_e64 v0, 0, 1.0, vcc_lo
	s_branch .LBB176_542
.LBB176_541:
	s_mov_b32 s14, -1
                                        ; implicit-def: $sgpr1
                                        ; implicit-def: $vgpr0
.LBB176_542:
	v_mov_b32_e32 v1, s1
.LBB176_543:
	s_branch .LBB176_304
.LBB176_544:
	v_cmp_gt_i16_e32 vcc_lo, 5, v13
	s_cbranch_vccnz .LBB176_549
; %bb.545:
	v_cmp_gt_i16_e32 vcc_lo, 8, v13
	s_cbranch_vccnz .LBB176_550
; %bb.546:
	;; [unrolled: 3-line block ×3, first 2 shown]
	v_cmp_lt_i16_e32 vcc_lo, 9, v13
	s_cbranch_vccz .LBB176_552
; %bb.548:
	global_load_b128 v[4:7], v[2:3], off
	s_mov_b32 s0, 0
	s_waitcnt vmcnt(0)
	v_cvt_f32_f64_e32 v0, v[4:5]
	v_cvt_f32_f64_e32 v1, v[6:7]
	s_branch .LBB176_553
.LBB176_549:
	s_mov_b32 s0, -1
                                        ; implicit-def: $vgpr1
	s_branch .LBB176_572
.LBB176_550:
	s_mov_b32 s0, -1
                                        ; implicit-def: $vgpr1
	s_branch .LBB176_559
.LBB176_551:
	s_mov_b32 s0, -1
                                        ; implicit-def: $vgpr1
	s_branch .LBB176_556
.LBB176_552:
	s_mov_b32 s0, -1
                                        ; implicit-def: $vgpr1
.LBB176_553:
	s_delay_alu instid0(SALU_CYCLE_1)
	s_and_not1_b32 vcc_lo, exec_lo, s0
	s_cbranch_vccnz .LBB176_555
; %bb.554:
	global_load_b64 v[0:1], v[2:3], off
.LBB176_555:
	s_mov_b32 s0, 0
.LBB176_556:
	s_delay_alu instid0(SALU_CYCLE_1)
	s_and_not1_b32 vcc_lo, exec_lo, s0
	s_cbranch_vccnz .LBB176_558
; %bb.557:
	global_load_b32 v0, v[2:3], off
	s_waitcnt vmcnt(0)
	v_lshrrev_b32_e32 v1, 16, v0
	v_cvt_f32_f16_e32 v0, v0
	s_delay_alu instid0(VALU_DEP_2)
	v_cvt_f32_f16_e32 v1, v1
.LBB176_558:
	s_mov_b32 s0, 0
.LBB176_559:
	s_delay_alu instid0(SALU_CYCLE_1)
	s_and_not1_b32 vcc_lo, exec_lo, s0
	s_cbranch_vccnz .LBB176_571
; %bb.560:
	v_cmp_gt_i16_e32 vcc_lo, 6, v13
	s_cbranch_vccnz .LBB176_563
; %bb.561:
	v_cmp_lt_i16_e32 vcc_lo, 6, v13
	s_cbranch_vccz .LBB176_564
; %bb.562:
	global_load_b64 v[0:1], v[2:3], off
	s_mov_b32 s1, 0
	s_mov_b32 s0, 0
	s_waitcnt vmcnt(0)
	v_cvt_f32_f64_e32 v0, v[0:1]
	s_branch .LBB176_565
.LBB176_563:
	s_mov_b32 s1, -1
                                        ; implicit-def: $sgpr0
                                        ; implicit-def: $vgpr0
	s_branch .LBB176_568
.LBB176_564:
	s_mov_b32 s1, -1
                                        ; implicit-def: $sgpr0
                                        ; implicit-def: $vgpr0
.LBB176_565:
	s_delay_alu instid0(SALU_CYCLE_1)
	s_and_not1_b32 vcc_lo, exec_lo, s1
	s_cbranch_vccnz .LBB176_567
; %bb.566:
	global_load_b32 v0, v[2:3], off
	s_mov_b32 s0, 0
.LBB176_567:
	s_mov_b32 s1, 0
.LBB176_568:
	s_delay_alu instid0(SALU_CYCLE_1)
	s_and_not1_b32 vcc_lo, exec_lo, s1
	s_cbranch_vccnz .LBB176_570
; %bb.569:
	global_load_u16 v0, v[2:3], off
	s_mov_b32 s0, 0
	s_waitcnt vmcnt(0)
	v_cvt_f32_f16_e32 v0, v0
.LBB176_570:
	s_waitcnt vmcnt(0)
	v_mov_b32_e32 v1, s0
.LBB176_571:
	s_mov_b32 s0, 0
.LBB176_572:
	s_delay_alu instid0(SALU_CYCLE_1)
	s_and_not1_b32 vcc_lo, exec_lo, s0
	s_cbranch_vccnz .LBB176_593
; %bb.573:
	v_cmp_gt_i16_e32 vcc_lo, 2, v13
	s_cbranch_vccnz .LBB176_577
; %bb.574:
	v_cmp_gt_i16_e32 vcc_lo, 3, v13
	s_cbranch_vccnz .LBB176_578
; %bb.575:
	v_cmp_lt_i16_e32 vcc_lo, 3, v13
	s_cbranch_vccz .LBB176_579
; %bb.576:
	global_load_b64 v[0:1], v[2:3], off
	s_mov_b32 s1, 0
	s_mov_b32 s0, 0
	s_waitcnt vmcnt(0)
	v_xor_b32_e32 v4, v0, v1
	v_cls_i32_e32 v5, v1
	s_delay_alu instid0(VALU_DEP_2) | instskip(NEXT) | instid1(VALU_DEP_2)
	v_ashrrev_i32_e32 v4, 31, v4
	v_add_nc_u32_e32 v5, -1, v5
	s_delay_alu instid0(VALU_DEP_2) | instskip(NEXT) | instid1(VALU_DEP_1)
	v_add_nc_u32_e32 v4, 32, v4
	v_min_u32_e32 v4, v5, v4
	s_delay_alu instid0(VALU_DEP_1) | instskip(NEXT) | instid1(VALU_DEP_1)
	v_lshlrev_b64 v[0:1], v4, v[0:1]
	v_min_u32_e32 v0, 1, v0
	s_delay_alu instid0(VALU_DEP_1) | instskip(SKIP_1) | instid1(VALU_DEP_2)
	v_or_b32_e32 v0, v1, v0
	v_sub_nc_u32_e32 v1, 32, v4
	v_cvt_f32_i32_e32 v0, v0
	s_delay_alu instid0(VALU_DEP_1)
	v_ldexp_f32 v0, v0, v1
	s_branch .LBB176_580
.LBB176_577:
	s_mov_b32 s1, -1
                                        ; implicit-def: $sgpr0
                                        ; implicit-def: $vgpr0
	s_branch .LBB176_586
.LBB176_578:
	s_mov_b32 s1, -1
                                        ; implicit-def: $sgpr0
                                        ; implicit-def: $vgpr0
	s_branch .LBB176_583
.LBB176_579:
	s_mov_b32 s1, -1
                                        ; implicit-def: $sgpr0
                                        ; implicit-def: $vgpr0
.LBB176_580:
	s_delay_alu instid0(SALU_CYCLE_1)
	s_and_not1_b32 vcc_lo, exec_lo, s1
	s_cbranch_vccnz .LBB176_582
; %bb.581:
	global_load_b32 v0, v[2:3], off
	s_mov_b32 s0, 0
	s_waitcnt vmcnt(0)
	v_cvt_f32_i32_e32 v0, v0
.LBB176_582:
	s_mov_b32 s1, 0
.LBB176_583:
	s_delay_alu instid0(SALU_CYCLE_1)
	s_and_not1_b32 vcc_lo, exec_lo, s1
	s_cbranch_vccnz .LBB176_585
; %bb.584:
	global_load_i16 v0, v[2:3], off
	s_mov_b32 s0, 0
	s_waitcnt vmcnt(0)
	v_cvt_f32_i32_e32 v0, v0
.LBB176_585:
	s_mov_b32 s1, 0
.LBB176_586:
	s_delay_alu instid0(SALU_CYCLE_1)
	s_and_not1_b32 vcc_lo, exec_lo, s1
	s_cbranch_vccnz .LBB176_592
; %bb.587:
	v_cmp_lt_i16_e32 vcc_lo, 0, v13
	s_mov_b32 s1, 0
	s_cbranch_vccz .LBB176_589
; %bb.588:
	global_load_i8 v0, v[2:3], off
	s_mov_b32 s0, 0
	s_waitcnt vmcnt(0)
	v_cvt_f32_i32_e32 v0, v0
	s_branch .LBB176_590
.LBB176_589:
	s_mov_b32 s1, -1
                                        ; implicit-def: $sgpr0
                                        ; implicit-def: $vgpr0
.LBB176_590:
	s_delay_alu instid0(SALU_CYCLE_1)
	s_and_not1_b32 vcc_lo, exec_lo, s1
	s_cbranch_vccnz .LBB176_592
; %bb.591:
	global_load_u8 v0, v[2:3], off
	s_mov_b32 s0, 0
	s_waitcnt vmcnt(0)
	v_cvt_f32_ubyte0_e32 v0, v0
.LBB176_592:
	s_waitcnt vmcnt(0)
	v_mov_b32_e32 v1, s0
.LBB176_593:
	s_branch .LBB176_305
.LBB176_594:
	s_mov_b32 s1, 0
	s_mov_b32 s0, s10
.LBB176_595:
                                        ; implicit-def: $vgpr12
.LBB176_596:
	s_and_not1_b32 s15, s10, exec_lo
	s_and_b32 s0, s0, exec_lo
	s_and_not1_b32 s17, s12, exec_lo
	s_and_b32 s14, s14, exec_lo
	s_or_b32 s15, s15, s0
	s_or_b32 s14, s17, s14
	s_or_not1_b32 s18, s1, exec_lo
.LBB176_597:
	s_or_b32 exec_lo, exec_lo, s16
	s_mov_b32 s1, 0
	s_mov_b32 s17, 0
	;; [unrolled: 1-line block ×3, first 2 shown]
                                        ; implicit-def: $vgpr2_vgpr3
                                        ; implicit-def: $vgpr1
	s_and_saveexec_b32 s16, s18
	s_cbranch_execz .LBB176_990
; %bb.598:
	s_mov_b32 s0, -1
	s_mov_b32 s1, s14
	s_mov_b32 s18, s15
	s_mov_b32 s17, exec_lo
	v_cmpx_gt_i32_e64 s11, v12
	s_cbranch_execz .LBB176_901
; %bb.599:
	s_waitcnt vmcnt(0)
	v_mul_lo_u32 v0, v12, s3
	v_cmp_gt_i16_e32 vcc_lo, 11, v13
	s_delay_alu instid0(VALU_DEP_2) | instskip(SKIP_1) | instid1(VALU_DEP_1)
	v_ashrrev_i32_e32 v1, 31, v0
	v_add_co_u32 v2, s0, s6, v0
	v_add_co_ci_u32_e64 v3, s0, s7, v1, s0
	s_cbranch_vccnz .LBB176_606
; %bb.600:
	v_cmp_lt_i16_e32 vcc_lo, 25, v13
	s_cbranch_vccz .LBB176_607
; %bb.601:
	v_cmp_lt_i16_e32 vcc_lo, 28, v13
	s_cbranch_vccz .LBB176_608
	;; [unrolled: 3-line block ×4, first 2 shown]
; %bb.604:
	v_cmp_eq_u16_e32 vcc_lo, 46, v13
	s_mov_b32 s1, 0
	s_cbranch_vccz .LBB176_615
; %bb.605:
	global_load_b32 v0, v[2:3], off
	s_mov_b32 s0, -1
	s_mov_b32 s18, 0
	s_waitcnt vmcnt(0)
	v_and_b32_e32 v1, 0xffff0000, v0
	v_lshlrev_b32_e32 v0, 16, v0
	s_branch .LBB176_617
.LBB176_606:
	s_mov_b32 s1, -1
	s_mov_b32 s0, 0
	s_mov_b32 s18, s14
                                        ; implicit-def: $vgpr1
	s_branch .LBB176_685
.LBB176_607:
	s_mov_b32 s1, -1
	s_mov_b32 s0, 0
	s_mov_b32 s18, s14
                                        ; implicit-def: $vgpr1
	s_branch .LBB176_650
.LBB176_608:
	s_mov_b32 s1, -1
	s_mov_b32 s0, 0
	s_mov_b32 s18, s14
                                        ; implicit-def: $vgpr1
	s_branch .LBB176_629
.LBB176_609:
	s_mov_b32 s1, -1
	s_mov_b32 s0, 0
	s_mov_b32 s18, s14
                                        ; implicit-def: $vgpr1
	s_branch .LBB176_623
.LBB176_610:
	s_or_saveexec_b32 s17, s17
                                        ; implicit-def: $sgpr18
	s_delay_alu instid0(SALU_CYCLE_1)
	s_xor_b32 exec_lo, exec_lo, s17
	s_cbranch_execz .LBB176_389
.LBB176_611:
	v_add_f32_e64 v5, 0x46000000, |v2|
	s_and_not1_b32 s15, s15, exec_lo
	s_mov_b32 s18, 0
	s_delay_alu instid0(VALU_DEP_1) | instskip(NEXT) | instid1(VALU_DEP_1)
	v_and_b32_e32 v5, 0xff, v5
	v_cmp_ne_u32_e32 vcc_lo, 0, v5
	s_and_b32 s19, vcc_lo, exec_lo
	s_delay_alu instid0(SALU_CYCLE_1)
	s_or_b32 s15, s15, s19
	s_or_b32 exec_lo, exec_lo, s17
	v_mov_b32_e32 v6, s18
	s_and_saveexec_b32 s17, s15
	s_cbranch_execnz .LBB176_390
	s_branch .LBB176_391
.LBB176_612:
	s_mov_b32 s1, -1
	s_mov_b32 s0, 0
	s_mov_b32 s18, s14
	s_branch .LBB176_616
.LBB176_613:
	s_or_saveexec_b32 s17, s17
                                        ; implicit-def: $sgpr18
	s_delay_alu instid0(SALU_CYCLE_1)
	s_xor_b32 exec_lo, exec_lo, s17
	s_cbranch_execz .LBB176_402
.LBB176_614:
	v_add_f32_e64 v5, 0x42800000, |v2|
	s_and_not1_b32 s15, s15, exec_lo
	s_mov_b32 s18, 0
	s_delay_alu instid0(VALU_DEP_1) | instskip(NEXT) | instid1(VALU_DEP_1)
	v_and_b32_e32 v5, 0xff, v5
	v_cmp_ne_u32_e32 vcc_lo, 0, v5
	s_and_b32 s19, vcc_lo, exec_lo
	s_delay_alu instid0(SALU_CYCLE_1)
	s_or_b32 s15, s15, s19
	s_or_b32 exec_lo, exec_lo, s17
	v_mov_b32_e32 v6, s18
	s_and_saveexec_b32 s17, s15
	s_cbranch_execnz .LBB176_403
	s_branch .LBB176_404
.LBB176_615:
	s_mov_b32 s18, -1
	s_mov_b32 s0, 0
.LBB176_616:
                                        ; implicit-def: $vgpr1
.LBB176_617:
	s_and_b32 vcc_lo, exec_lo, s1
	s_cbranch_vccz .LBB176_622
; %bb.618:
	v_cmp_eq_u16_e32 vcc_lo, 44, v13
	s_cbranch_vccz .LBB176_620
; %bb.619:
	global_load_u8 v0, v[2:3], off
	s_mov_b32 s18, 0
	s_mov_b32 s0, -1
	s_waitcnt vmcnt(0)
	v_lshlrev_b32_e32 v1, 23, v0
	v_cmp_ne_u32_e32 vcc_lo, 0xff, v0
	s_delay_alu instid0(VALU_DEP_2) | instskip(SKIP_1) | instid1(VALU_DEP_2)
	v_cndmask_b32_e32 v1, 0x7f800001, v1, vcc_lo
	v_cmp_ne_u32_e32 vcc_lo, 0, v0
	v_cndmask_b32_e32 v0, 0x400000, v1, vcc_lo
	s_branch .LBB176_621
.LBB176_620:
	s_mov_b32 s18, -1
                                        ; implicit-def: $vgpr0
.LBB176_621:
	s_delay_alu instid0(SALU_CYCLE_1)
	v_mov_b32_e32 v1, s18
.LBB176_622:
	s_mov_b32 s1, 0
.LBB176_623:
	s_delay_alu instid0(SALU_CYCLE_1)
	s_and_b32 vcc_lo, exec_lo, s1
	s_cbranch_vccz .LBB176_628
; %bb.624:
	v_cmp_eq_u16_e32 vcc_lo, 29, v13
	s_cbranch_vccz .LBB176_626
; %bb.625:
	global_load_b64 v[0:1], v[2:3], off
	s_mov_b32 s0, -1
	s_mov_b32 s18, 0
	s_mov_b32 s1, 0
	s_waitcnt vmcnt(0)
	v_clz_i32_u32_e32 v4, v1
	s_delay_alu instid0(VALU_DEP_1) | instskip(NEXT) | instid1(VALU_DEP_1)
	v_min_u32_e32 v4, 32, v4
	v_lshlrev_b64 v[0:1], v4, v[0:1]
	s_delay_alu instid0(VALU_DEP_1) | instskip(NEXT) | instid1(VALU_DEP_1)
	v_min_u32_e32 v0, 1, v0
	v_or_b32_e32 v0, v1, v0
	v_sub_nc_u32_e32 v1, 32, v4
	s_delay_alu instid0(VALU_DEP_2) | instskip(NEXT) | instid1(VALU_DEP_1)
	v_cvt_f32_u32_e32 v0, v0
	v_ldexp_f32 v0, v0, v1
	s_branch .LBB176_627
.LBB176_626:
	s_mov_b32 s18, -1
                                        ; implicit-def: $sgpr1
                                        ; implicit-def: $vgpr0
.LBB176_627:
	v_mov_b32_e32 v1, s1
.LBB176_628:
	s_mov_b32 s1, 0
.LBB176_629:
	s_delay_alu instid0(SALU_CYCLE_1)
	s_and_b32 vcc_lo, exec_lo, s1
	s_cbranch_vccz .LBB176_649
; %bb.630:
	v_cmp_gt_i16_e32 vcc_lo, 27, v13
	s_cbranch_vccnz .LBB176_633
; %bb.631:
	v_cmp_lt_i16_e32 vcc_lo, 27, v13
	s_cbranch_vccz .LBB176_634
; %bb.632:
	global_load_b32 v0, v[2:3], off
	s_mov_b32 s1, 0
	s_mov_b32 s0, 0
	s_waitcnt vmcnt(0)
	v_cvt_f32_u32_e32 v0, v0
	s_branch .LBB176_635
.LBB176_633:
	s_mov_b32 s1, -1
                                        ; implicit-def: $sgpr0
                                        ; implicit-def: $vgpr0
	s_branch .LBB176_638
.LBB176_634:
	s_mov_b32 s1, -1
                                        ; implicit-def: $sgpr0
                                        ; implicit-def: $vgpr0
.LBB176_635:
	s_delay_alu instid0(SALU_CYCLE_1)
	s_and_not1_b32 vcc_lo, exec_lo, s1
	s_cbranch_vccnz .LBB176_637
; %bb.636:
	global_load_u16 v0, v[2:3], off
	s_mov_b32 s0, 0
	s_waitcnt vmcnt(0)
	v_cvt_f32_u32_e32 v0, v0
.LBB176_637:
	s_mov_b32 s1, 0
.LBB176_638:
	v_mov_b32_e32 v1, s0
	s_and_not1_b32 vcc_lo, exec_lo, s1
	s_cbranch_vccnz .LBB176_648
; %bb.639:
	global_load_u8 v4, v[2:3], off
	s_mov_b32 s0, 0
	s_mov_b32 s20, exec_lo
                                        ; implicit-def: $sgpr19
                                        ; implicit-def: $sgpr1
	s_waitcnt vmcnt(0)
	v_cmpx_lt_i16_e32 0x7f, v4
	s_xor_b32 s20, exec_lo, s20
	s_cbranch_execz .LBB176_643
; %bb.640:
	s_mov_b32 s0, -1
	s_mov_b32 s21, exec_lo
                                        ; implicit-def: $sgpr19
                                        ; implicit-def: $sgpr1
	v_cmpx_eq_u16_e32 0x80, v4
; %bb.641:
	s_mov_b32 s1, 0x7f800001
	s_mov_b32 s19, 0
	s_xor_b32 s0, exec_lo, -1
; %bb.642:
	s_or_b32 exec_lo, exec_lo, s21
	s_delay_alu instid0(SALU_CYCLE_1)
	s_and_b32 s0, s0, exec_lo
.LBB176_643:
	s_or_saveexec_b32 s20, s20
	v_dual_mov_b32 v1, s19 :: v_dual_mov_b32 v0, s1
	s_xor_b32 exec_lo, exec_lo, s20
; %bb.644:
	v_cmp_ne_u16_e32 vcc_lo, 0, v4
	v_dual_mov_b32 v1, 0 :: v_dual_mov_b32 v0, 0
	s_and_not1_b32 s0, s0, exec_lo
	s_and_b32 s1, vcc_lo, exec_lo
	s_delay_alu instid0(SALU_CYCLE_1)
	s_or_b32 s0, s0, s1
; %bb.645:
	s_or_b32 exec_lo, exec_lo, s20
	s_and_saveexec_b32 s1, s0
	s_cbranch_execz .LBB176_647
; %bb.646:
	v_and_b32_e32 v0, 0xffff, v4
	v_lshlrev_b32_e32 v4, 24, v4
	s_delay_alu instid0(VALU_DEP_2) | instskip(NEXT) | instid1(VALU_DEP_2)
	v_and_b32_e32 v1, 7, v0
	v_and_b32_e32 v4, 0x80000000, v4
	s_delay_alu instid0(VALU_DEP_2) | instskip(NEXT) | instid1(VALU_DEP_1)
	v_clz_i32_u32_e32 v5, v1
	v_min_u32_e32 v5, 32, v5
	s_delay_alu instid0(VALU_DEP_1) | instskip(SKIP_1) | instid1(VALU_DEP_2)
	v_subrev_nc_u32_e32 v6, 28, v5
	v_sub_nc_u32_e32 v5, 29, v5
	v_lshlrev_b32_e32 v6, v6, v0
	v_bfe_u32 v0, v0, 3, 4
	s_delay_alu instid0(VALU_DEP_2) | instskip(NEXT) | instid1(VALU_DEP_2)
	v_and_b32_e32 v6, 7, v6
	v_cmp_eq_u32_e32 vcc_lo, 0, v0
	s_delay_alu instid0(VALU_DEP_2) | instskip(NEXT) | instid1(VALU_DEP_1)
	v_dual_cndmask_b32 v0, v0, v5 :: v_dual_cndmask_b32 v1, v1, v6
	v_lshl_add_u32 v0, v0, 23, 0x3b800000
	s_delay_alu instid0(VALU_DEP_2) | instskip(NEXT) | instid1(VALU_DEP_1)
	v_lshlrev_b32_e32 v1, 20, v1
	v_or3_b32 v0, v4, v0, v1
	v_mov_b32_e32 v1, 0
.LBB176_647:
	s_or_b32 exec_lo, exec_lo, s1
.LBB176_648:
	s_mov_b32 s0, -1
.LBB176_649:
	s_mov_b32 s1, 0
.LBB176_650:
	s_delay_alu instid0(SALU_CYCLE_1)
	s_and_b32 vcc_lo, exec_lo, s1
	s_cbranch_vccz .LBB176_684
; %bb.651:
	v_cmp_lt_i16_e32 vcc_lo, 22, v13
	s_cbranch_vccz .LBB176_663
; %bb.652:
	v_cmp_gt_i16_e32 vcc_lo, 24, v13
	s_cbranch_vccnz .LBB176_664
; %bb.653:
	v_cmp_lt_i16_e32 vcc_lo, 24, v13
	s_cbranch_vccz .LBB176_665
; %bb.654:
	global_load_u8 v4, v[2:3], off
	s_mov_b32 s0, 0
	s_mov_b32 s20, exec_lo
                                        ; implicit-def: $sgpr19
                                        ; implicit-def: $sgpr1
	s_waitcnt vmcnt(0)
	v_cmpx_lt_i16_e32 0x7f, v4
	s_xor_b32 s20, exec_lo, s20
	s_cbranch_execz .LBB176_658
; %bb.655:
	s_mov_b32 s0, -1
	s_mov_b32 s21, exec_lo
                                        ; implicit-def: $sgpr19
                                        ; implicit-def: $sgpr1
	v_cmpx_eq_u16_e32 0x80, v4
; %bb.656:
	s_mov_b32 s1, 0x7f800001
	s_mov_b32 s19, 0
	s_xor_b32 s0, exec_lo, -1
; %bb.657:
	s_or_b32 exec_lo, exec_lo, s21
	s_delay_alu instid0(SALU_CYCLE_1)
	s_and_b32 s0, s0, exec_lo
.LBB176_658:
	s_or_saveexec_b32 s20, s20
	v_dual_mov_b32 v1, s19 :: v_dual_mov_b32 v0, s1
	s_xor_b32 exec_lo, exec_lo, s20
; %bb.659:
	v_cmp_ne_u16_e32 vcc_lo, 0, v4
	v_dual_mov_b32 v1, 0 :: v_dual_mov_b32 v0, 0
	s_and_not1_b32 s0, s0, exec_lo
	s_and_b32 s1, vcc_lo, exec_lo
	s_delay_alu instid0(SALU_CYCLE_1)
	s_or_b32 s0, s0, s1
; %bb.660:
	s_or_b32 exec_lo, exec_lo, s20
	s_and_saveexec_b32 s1, s0
	s_cbranch_execz .LBB176_662
; %bb.661:
	v_and_b32_e32 v0, 0xffff, v4
	v_lshlrev_b32_e32 v4, 24, v4
	s_delay_alu instid0(VALU_DEP_2) | instskip(NEXT) | instid1(VALU_DEP_2)
	v_and_b32_e32 v1, 3, v0
	v_and_b32_e32 v4, 0x80000000, v4
	s_delay_alu instid0(VALU_DEP_2) | instskip(NEXT) | instid1(VALU_DEP_1)
	v_clz_i32_u32_e32 v5, v1
	v_min_u32_e32 v5, 32, v5
	s_delay_alu instid0(VALU_DEP_1) | instskip(SKIP_1) | instid1(VALU_DEP_2)
	v_subrev_nc_u32_e32 v6, 29, v5
	v_sub_nc_u32_e32 v5, 30, v5
	v_lshlrev_b32_e32 v6, v6, v0
	v_bfe_u32 v0, v0, 2, 5
	s_delay_alu instid0(VALU_DEP_2) | instskip(NEXT) | instid1(VALU_DEP_2)
	v_and_b32_e32 v6, 3, v6
	v_cmp_eq_u32_e32 vcc_lo, 0, v0
	s_delay_alu instid0(VALU_DEP_2) | instskip(NEXT) | instid1(VALU_DEP_1)
	v_dual_cndmask_b32 v0, v0, v5 :: v_dual_cndmask_b32 v1, v1, v6
	v_lshl_add_u32 v0, v0, 23, 0x37800000
	s_delay_alu instid0(VALU_DEP_2) | instskip(NEXT) | instid1(VALU_DEP_1)
	v_lshlrev_b32_e32 v1, 21, v1
	v_or3_b32 v0, v4, v0, v1
	v_mov_b32_e32 v1, 0
.LBB176_662:
	s_or_b32 exec_lo, exec_lo, s1
	s_mov_b32 s0, 0
	s_branch .LBB176_666
.LBB176_663:
	s_mov_b32 s1, -1
                                        ; implicit-def: $vgpr1
	s_branch .LBB176_672
.LBB176_664:
	s_mov_b32 s0, -1
                                        ; implicit-def: $vgpr1
	s_branch .LBB176_669
.LBB176_665:
	s_mov_b32 s0, -1
                                        ; implicit-def: $vgpr1
.LBB176_666:
	s_delay_alu instid0(SALU_CYCLE_1)
	s_and_b32 vcc_lo, exec_lo, s0
	s_cbranch_vccz .LBB176_668
; %bb.667:
	global_load_u8 v0, v[2:3], off
	s_waitcnt vmcnt(0)
	v_lshlrev_b32_e32 v0, 24, v0
	s_delay_alu instid0(VALU_DEP_1) | instskip(NEXT) | instid1(VALU_DEP_1)
	v_and_b32_e32 v1, 0x7f000000, v0
	v_clz_i32_u32_e32 v4, v1
	v_cmp_ne_u32_e32 vcc_lo, 0, v1
	v_add_nc_u32_e32 v6, 0x1000000, v1
	s_delay_alu instid0(VALU_DEP_3) | instskip(NEXT) | instid1(VALU_DEP_1)
	v_min_u32_e32 v4, 32, v4
	v_sub_nc_u32_e64 v4, v4, 4 clamp
	s_delay_alu instid0(VALU_DEP_1) | instskip(SKIP_1) | instid1(VALU_DEP_2)
	v_lshlrev_b32_e32 v5, v4, v1
	v_lshlrev_b32_e32 v4, 23, v4
	v_lshrrev_b32_e32 v5, 4, v5
	s_delay_alu instid0(VALU_DEP_1) | instskip(SKIP_1) | instid1(VALU_DEP_2)
	v_sub_nc_u32_e32 v4, v5, v4
	v_ashrrev_i32_e32 v5, 8, v6
	v_add_nc_u32_e32 v4, 0x3c000000, v4
	s_delay_alu instid0(VALU_DEP_1) | instskip(NEXT) | instid1(VALU_DEP_1)
	v_and_or_b32 v4, 0x7f800000, v5, v4
	v_cndmask_b32_e32 v1, 0, v4, vcc_lo
	s_delay_alu instid0(VALU_DEP_1)
	v_and_or_b32 v0, 0x80000000, v0, v1
	v_mov_b32_e32 v1, 0
.LBB176_668:
	s_mov_b32 s0, 0
.LBB176_669:
	s_delay_alu instid0(SALU_CYCLE_1)
	s_and_not1_b32 vcc_lo, exec_lo, s0
	s_cbranch_vccnz .LBB176_671
; %bb.670:
	global_load_u8 v0, v[2:3], off
	s_waitcnt vmcnt(0)
	v_lshlrev_b32_e32 v1, 25, v0
	v_lshlrev_b16 v0, 8, v0
	s_delay_alu instid0(VALU_DEP_2) | instskip(NEXT) | instid1(VALU_DEP_2)
	v_lshrrev_b32_e32 v4, 4, v1
	v_and_or_b32 v5, 0x7f00, v0, 0.5
	v_cmp_gt_u32_e32 vcc_lo, 0x8000000, v1
	v_bfe_i32 v0, v0, 0, 16
	s_delay_alu instid0(VALU_DEP_4) | instskip(NEXT) | instid1(VALU_DEP_1)
	v_or_b32_e32 v4, 0x70000000, v4
	v_dual_add_f32 v5, -0.5, v5 :: v_dual_mul_f32 v4, 0x7800000, v4
	s_delay_alu instid0(VALU_DEP_1) | instskip(NEXT) | instid1(VALU_DEP_1)
	v_cndmask_b32_e32 v1, v4, v5, vcc_lo
	v_and_or_b32 v0, 0x80000000, v0, v1
	v_mov_b32_e32 v1, 0
.LBB176_671:
	s_mov_b32 s1, 0
	s_mov_b32 s0, -1
.LBB176_672:
	s_and_not1_b32 vcc_lo, exec_lo, s1
	s_cbranch_vccnz .LBB176_684
; %bb.673:
	v_cmp_lt_i16_e32 vcc_lo, 14, v13
	s_cbranch_vccz .LBB176_676
; %bb.674:
	v_cmp_eq_u16_e32 vcc_lo, 15, v13
	s_cbranch_vccz .LBB176_677
; %bb.675:
	global_load_u16 v0, v[2:3], off
	s_mov_b32 s0, -1
	s_mov_b32 s18, 0
	s_mov_b32 s1, 0
	s_waitcnt vmcnt(0)
	v_lshlrev_b32_e32 v0, 16, v0
	s_branch .LBB176_678
.LBB176_676:
	s_mov_b32 s19, -1
                                        ; implicit-def: $sgpr1
                                        ; implicit-def: $vgpr0
	s_branch .LBB176_679
.LBB176_677:
	s_mov_b32 s18, -1
                                        ; implicit-def: $sgpr1
                                        ; implicit-def: $vgpr0
.LBB176_678:
	s_mov_b32 s19, 0
.LBB176_679:
	s_delay_alu instid0(SALU_CYCLE_1)
	s_and_b32 vcc_lo, exec_lo, s19
	s_cbranch_vccz .LBB176_683
; %bb.680:
	v_cmp_eq_u16_e32 vcc_lo, 11, v13
	s_cbranch_vccz .LBB176_682
; %bb.681:
	global_load_u8 v0, v[2:3], off
	s_mov_b32 s1, 0
	s_mov_b32 s0, -1
	s_mov_b32 s18, 0
	s_waitcnt vmcnt(0)
	v_cmp_ne_u16_e32 vcc_lo, 0, v0
	v_cndmask_b32_e64 v0, 0, 1.0, vcc_lo
	s_branch .LBB176_683
.LBB176_682:
	s_mov_b32 s18, -1
                                        ; implicit-def: $sgpr1
                                        ; implicit-def: $vgpr0
.LBB176_683:
	v_mov_b32_e32 v1, s1
.LBB176_684:
	s_mov_b32 s1, 0
.LBB176_685:
	s_delay_alu instid0(SALU_CYCLE_1)
	s_and_b32 vcc_lo, exec_lo, s1
	s_cbranch_vccz .LBB176_736
; %bb.686:
	v_cmp_gt_i16_e32 vcc_lo, 5, v13
	s_cbranch_vccnz .LBB176_691
; %bb.687:
	v_cmp_gt_i16_e32 vcc_lo, 8, v13
	s_cbranch_vccnz .LBB176_692
	;; [unrolled: 3-line block ×3, first 2 shown]
; %bb.689:
	v_cmp_lt_i16_e32 vcc_lo, 9, v13
	s_cbranch_vccz .LBB176_694
; %bb.690:
	global_load_b128 v[4:7], v[2:3], off
	s_mov_b32 s0, 0
	s_waitcnt vmcnt(0)
	v_cvt_f32_f64_e32 v0, v[4:5]
	v_cvt_f32_f64_e32 v1, v[6:7]
	s_branch .LBB176_695
.LBB176_691:
	s_mov_b32 s0, -1
                                        ; implicit-def: $vgpr1
	s_branch .LBB176_714
.LBB176_692:
	s_mov_b32 s0, -1
                                        ; implicit-def: $vgpr1
	s_branch .LBB176_701
.LBB176_693:
	s_mov_b32 s0, -1
                                        ; implicit-def: $vgpr1
	s_branch .LBB176_698
.LBB176_694:
	s_mov_b32 s0, -1
                                        ; implicit-def: $vgpr1
.LBB176_695:
	s_delay_alu instid0(SALU_CYCLE_1)
	s_and_not1_b32 vcc_lo, exec_lo, s0
	s_cbranch_vccnz .LBB176_697
; %bb.696:
	global_load_b64 v[0:1], v[2:3], off
.LBB176_697:
	s_mov_b32 s0, 0
.LBB176_698:
	s_delay_alu instid0(SALU_CYCLE_1)
	s_and_not1_b32 vcc_lo, exec_lo, s0
	s_cbranch_vccnz .LBB176_700
; %bb.699:
	global_load_b32 v0, v[2:3], off
	s_waitcnt vmcnt(0)
	v_lshrrev_b32_e32 v1, 16, v0
	v_cvt_f32_f16_e32 v0, v0
	s_delay_alu instid0(VALU_DEP_2)
	v_cvt_f32_f16_e32 v1, v1
.LBB176_700:
	s_mov_b32 s0, 0
.LBB176_701:
	s_delay_alu instid0(SALU_CYCLE_1)
	s_and_not1_b32 vcc_lo, exec_lo, s0
	s_cbranch_vccnz .LBB176_713
; %bb.702:
	v_cmp_gt_i16_e32 vcc_lo, 6, v13
	s_cbranch_vccnz .LBB176_705
; %bb.703:
	v_cmp_lt_i16_e32 vcc_lo, 6, v13
	s_cbranch_vccz .LBB176_706
; %bb.704:
	global_load_b64 v[0:1], v[2:3], off
	s_mov_b32 s1, 0
	s_mov_b32 s0, 0
	s_waitcnt vmcnt(0)
	v_cvt_f32_f64_e32 v0, v[0:1]
	s_branch .LBB176_707
.LBB176_705:
	s_mov_b32 s1, -1
                                        ; implicit-def: $sgpr0
                                        ; implicit-def: $vgpr0
	s_branch .LBB176_710
.LBB176_706:
	s_mov_b32 s1, -1
                                        ; implicit-def: $sgpr0
                                        ; implicit-def: $vgpr0
.LBB176_707:
	s_delay_alu instid0(SALU_CYCLE_1)
	s_and_not1_b32 vcc_lo, exec_lo, s1
	s_cbranch_vccnz .LBB176_709
; %bb.708:
	global_load_b32 v0, v[2:3], off
	s_mov_b32 s0, 0
.LBB176_709:
	s_mov_b32 s1, 0
.LBB176_710:
	s_delay_alu instid0(SALU_CYCLE_1)
	s_and_not1_b32 vcc_lo, exec_lo, s1
	s_cbranch_vccnz .LBB176_712
; %bb.711:
	global_load_u16 v0, v[2:3], off
	s_mov_b32 s0, 0
	s_waitcnt vmcnt(0)
	v_cvt_f32_f16_e32 v0, v0
.LBB176_712:
	s_waitcnt vmcnt(0)
	v_mov_b32_e32 v1, s0
.LBB176_713:
	s_mov_b32 s0, 0
.LBB176_714:
	s_delay_alu instid0(SALU_CYCLE_1)
	s_and_not1_b32 vcc_lo, exec_lo, s0
	s_cbranch_vccnz .LBB176_735
; %bb.715:
	v_cmp_gt_i16_e32 vcc_lo, 2, v13
	s_cbranch_vccnz .LBB176_719
; %bb.716:
	v_cmp_gt_i16_e32 vcc_lo, 3, v13
	s_cbranch_vccnz .LBB176_720
; %bb.717:
	v_cmp_lt_i16_e32 vcc_lo, 3, v13
	s_cbranch_vccz .LBB176_721
; %bb.718:
	global_load_b64 v[0:1], v[2:3], off
	s_mov_b32 s1, 0
	s_mov_b32 s0, 0
	s_waitcnt vmcnt(0)
	v_xor_b32_e32 v4, v0, v1
	v_cls_i32_e32 v5, v1
	s_delay_alu instid0(VALU_DEP_2) | instskip(NEXT) | instid1(VALU_DEP_2)
	v_ashrrev_i32_e32 v4, 31, v4
	v_add_nc_u32_e32 v5, -1, v5
	s_delay_alu instid0(VALU_DEP_2) | instskip(NEXT) | instid1(VALU_DEP_1)
	v_add_nc_u32_e32 v4, 32, v4
	v_min_u32_e32 v4, v5, v4
	s_delay_alu instid0(VALU_DEP_1) | instskip(NEXT) | instid1(VALU_DEP_1)
	v_lshlrev_b64 v[0:1], v4, v[0:1]
	v_min_u32_e32 v0, 1, v0
	s_delay_alu instid0(VALU_DEP_1) | instskip(SKIP_1) | instid1(VALU_DEP_2)
	v_or_b32_e32 v0, v1, v0
	v_sub_nc_u32_e32 v1, 32, v4
	v_cvt_f32_i32_e32 v0, v0
	s_delay_alu instid0(VALU_DEP_1)
	v_ldexp_f32 v0, v0, v1
	s_branch .LBB176_722
.LBB176_719:
	s_mov_b32 s1, -1
                                        ; implicit-def: $sgpr0
                                        ; implicit-def: $vgpr0
	s_branch .LBB176_728
.LBB176_720:
	s_mov_b32 s1, -1
                                        ; implicit-def: $sgpr0
                                        ; implicit-def: $vgpr0
	s_branch .LBB176_725
.LBB176_721:
	s_mov_b32 s1, -1
                                        ; implicit-def: $sgpr0
                                        ; implicit-def: $vgpr0
.LBB176_722:
	s_delay_alu instid0(SALU_CYCLE_1)
	s_and_not1_b32 vcc_lo, exec_lo, s1
	s_cbranch_vccnz .LBB176_724
; %bb.723:
	global_load_b32 v0, v[2:3], off
	s_mov_b32 s0, 0
	s_waitcnt vmcnt(0)
	v_cvt_f32_i32_e32 v0, v0
.LBB176_724:
	s_mov_b32 s1, 0
.LBB176_725:
	s_delay_alu instid0(SALU_CYCLE_1)
	s_and_not1_b32 vcc_lo, exec_lo, s1
	s_cbranch_vccnz .LBB176_727
; %bb.726:
	global_load_i16 v0, v[2:3], off
	s_mov_b32 s0, 0
	s_waitcnt vmcnt(0)
	v_cvt_f32_i32_e32 v0, v0
.LBB176_727:
	s_mov_b32 s1, 0
.LBB176_728:
	s_delay_alu instid0(SALU_CYCLE_1)
	s_and_not1_b32 vcc_lo, exec_lo, s1
	s_cbranch_vccnz .LBB176_734
; %bb.729:
	v_cmp_lt_i16_e32 vcc_lo, 0, v13
	s_mov_b32 s1, 0
	s_cbranch_vccz .LBB176_731
; %bb.730:
	global_load_i8 v0, v[2:3], off
	s_mov_b32 s0, 0
	s_waitcnt vmcnt(0)
	v_cvt_f32_i32_e32 v0, v0
	s_branch .LBB176_732
.LBB176_731:
	s_mov_b32 s1, -1
                                        ; implicit-def: $sgpr0
                                        ; implicit-def: $vgpr0
.LBB176_732:
	s_delay_alu instid0(SALU_CYCLE_1)
	s_and_not1_b32 vcc_lo, exec_lo, s1
	s_cbranch_vccnz .LBB176_734
; %bb.733:
	global_load_u8 v0, v[2:3], off
	s_mov_b32 s0, 0
	s_waitcnt vmcnt(0)
	v_cvt_f32_ubyte0_e32 v0, v0
.LBB176_734:
	s_waitcnt vmcnt(0)
	v_mov_b32_e32 v1, s0
.LBB176_735:
	s_mov_b32 s0, -1
.LBB176_736:
	s_delay_alu instid0(SALU_CYCLE_1)
	s_and_not1_b32 vcc_lo, exec_lo, s0
	s_cbranch_vccnz .LBB176_749
; %bb.737:
	s_waitcnt vmcnt(0)
	s_delay_alu instid0(VALU_DEP_2) | instskip(NEXT) | instid1(VALU_DEP_2)
	v_cmp_neq_f32_e32 vcc_lo, 0, v0
	v_cmp_neq_f32_e64 s0, 0, v1
	v_mov_b32_e32 v4, 0
	s_delay_alu instid0(VALU_DEP_2) | instskip(NEXT) | instid1(SALU_CYCLE_1)
	s_or_b32 s0, vcc_lo, s0
	s_and_saveexec_b32 s19, s0
	s_cbranch_execz .LBB176_768
; %bb.738:
	v_mov_b32_e32 v4, 0x7f800000
	s_mov_b32 s20, exec_lo
	v_cmpx_neq_f32_e64 0x7f800000, |v1|
	s_cbranch_execz .LBB176_767
; %bb.739:
	s_mov_b32 s0, exec_lo
	v_cmpx_o_f32_e32 v0, v0
	s_xor_b32 s21, exec_lo, s0
	s_cbranch_execz .LBB176_764
; %bb.740:
	s_mov_b32 s1, exec_lo
	v_cmpx_neq_f32_e64 0x7f800000, |v0|
	s_xor_b32 s22, exec_lo, s1
	s_cbranch_execz .LBB176_757
; %bb.741:
	v_max_f32_e64 v2, |v1|, |v1|
	v_max_f32_e64 v3, |v0|, |v0|
                                        ; implicit-def: $sgpr23
	s_delay_alu instid0(VALU_DEP_1) | instskip(NEXT) | instid1(VALU_DEP_1)
	v_max_f32_e32 v2, v3, v2
	v_cmp_nle_f32_e64 s0, 0x7ed413cb, v2
	s_delay_alu instid0(VALU_DEP_1) | instskip(NEXT) | instid1(SALU_CYCLE_1)
	s_and_saveexec_b32 s1, s0
	s_xor_b32 s1, exec_lo, s1
	s_cbranch_execz .LBB176_745
; %bb.742:
	v_cmp_ge_f32_e64 s23, 0x1000000, |v0|
	v_cmp_ge_f32_e64 s24, 0x1000000, |v1|
	s_delay_alu instid0(VALU_DEP_1)
	s_and_b32 s25, s23, s24
	s_mov_b32 s23, 0
	s_and_saveexec_b32 s24, s25
; %bb.743:
	v_dual_mul_f32 v1, 4.0, v1 :: v_dual_mul_f32 v0, 4.0, v0
	s_mov_b32 s23, exec_lo
; %bb.744:
	s_or_b32 exec_lo, exec_lo, s24
	s_delay_alu instid0(SALU_CYCLE_1)
	s_and_b32 s23, s23, exec_lo
.LBB176_745:
	s_and_not1_saveexec_b32 s1, s1
; %bb.746:
	v_dual_mul_f32 v0, 0x3e800000, v0 :: v_dual_mul_f32 v1, 0x3e800000, v1
	s_and_not1_b32 s23, s23, exec_lo
; %bb.747:
	s_or_b32 exec_lo, exec_lo, s1
	s_delay_alu instid0(VALU_DEP_1) | instskip(NEXT) | instid1(VALU_DEP_2)
	v_max_f32_e64 v2, |v1|, |v1|
	v_max_f32_e64 v3, |v0|, |v0|
	s_delay_alu instid0(VALU_DEP_1) | instskip(NEXT) | instid1(VALU_DEP_1)
	v_max_f32_e32 v4, v3, v2
	v_cvt_f64_f32_e32 v[2:3], v4
	s_delay_alu instid0(VALU_DEP_1) | instskip(NEXT) | instid1(VALU_DEP_1)
	v_frexp_exp_i32_f64_e32 v2, v[2:3]
	v_sub_nc_u32_e32 v3, 0, v2
	s_delay_alu instid0(VALU_DEP_1) | instskip(SKIP_1) | instid1(VALU_DEP_2)
	v_ldexp_f32 v5, |v1|, v3
	v_ldexp_f32 v3, |v0|, v3
	v_mul_f32_e32 v5, v5, v5
	v_cmp_neq_f32_e64 s1, 0x7f800000, v4
	s_delay_alu instid0(VALU_DEP_2) | instskip(NEXT) | instid1(VALU_DEP_1)
	v_fmac_f32_e32 v5, v3, v3
	v_sqrt_f32_e32 v3, v5
	s_waitcnt_depctr 0xfff
	v_ldexp_f32 v2, v3, v2
                                        ; implicit-def: $vgpr3
	s_delay_alu instid0(VALU_DEP_1)
	v_cndmask_b32_e64 v4, 0x7f800000, v2, s1
                                        ; implicit-def: $vgpr2
	s_mov_b32 s1, exec_lo
	v_cmpx_le_f32_e32 0, v0
	s_xor_b32 s24, exec_lo, s1
	s_cbranch_execz .LBB176_750
; %bb.748:
	v_add_f32_e32 v0, v0, v4
	s_delay_alu instid0(VALU_DEP_1) | instskip(NEXT) | instid1(VALU_DEP_1)
	v_mul_f32_e32 v0, 0.5, v0
	v_mul_f32_e32 v2, 0x4f800000, v0
	v_cmp_gt_f32_e32 vcc_lo, 0xf800000, v0
	s_delay_alu instid0(VALU_DEP_2) | instskip(NEXT) | instid1(VALU_DEP_1)
	v_cndmask_b32_e32 v0, v0, v2, vcc_lo
	v_sqrt_f32_e32 v2, v0
	s_waitcnt_depctr 0xfff
	v_add_nc_u32_e32 v3, -1, v2
	v_add_nc_u32_e32 v4, 1, v2
	s_delay_alu instid0(VALU_DEP_2) | instskip(NEXT) | instid1(VALU_DEP_2)
	v_fma_f32 v5, -v3, v2, v0
	v_fma_f32 v6, -v4, v2, v0
	s_delay_alu instid0(VALU_DEP_2) | instskip(NEXT) | instid1(VALU_DEP_1)
	v_cmp_ge_f32_e64 s1, 0, v5
	v_cndmask_b32_e64 v2, v2, v3, s1
	s_delay_alu instid0(VALU_DEP_3) | instskip(NEXT) | instid1(VALU_DEP_1)
	v_cmp_lt_f32_e64 s1, 0, v6
	v_cndmask_b32_e64 v2, v2, v4, s1
	s_delay_alu instid0(VALU_DEP_1) | instskip(NEXT) | instid1(VALU_DEP_1)
	v_mul_f32_e32 v3, 0x37800000, v2
	v_cndmask_b32_e32 v2, v2, v3, vcc_lo
	v_cmp_class_f32_e64 vcc_lo, v0, 0x260
	s_delay_alu instid0(VALU_DEP_2) | instskip(NEXT) | instid1(VALU_DEP_1)
	v_cndmask_b32_e32 v2, v2, v0, vcc_lo
	v_add_f32_e32 v0, v2, v2
	s_delay_alu instid0(VALU_DEP_1) | instskip(NEXT) | instid1(VALU_DEP_1)
	v_div_scale_f32 v3, null, v0, v0, v1
	v_rcp_f32_e32 v4, v3
	s_waitcnt_depctr 0xfff
	v_fma_f32 v5, -v3, v4, 1.0
	s_delay_alu instid0(VALU_DEP_1) | instskip(SKIP_1) | instid1(VALU_DEP_1)
	v_fmac_f32_e32 v4, v5, v4
	v_div_scale_f32 v5, vcc_lo, v1, v0, v1
	v_mul_f32_e32 v6, v5, v4
	s_delay_alu instid0(VALU_DEP_1) | instskip(NEXT) | instid1(VALU_DEP_1)
	v_fma_f32 v7, -v3, v6, v5
	v_fmac_f32_e32 v6, v7, v4
	s_delay_alu instid0(VALU_DEP_1) | instskip(NEXT) | instid1(VALU_DEP_1)
	v_fma_f32 v3, -v3, v6, v5
	v_div_fmas_f32 v3, v3, v4, v6
                                        ; implicit-def: $vgpr4
	s_delay_alu instid0(VALU_DEP_1)
	v_div_fixup_f32 v3, v3, v0, v1
                                        ; implicit-def: $vgpr0
	s_and_not1_saveexec_b32 s24, s24
	s_cbranch_execz .LBB176_752
	s_branch .LBB176_751
.LBB176_749:
	s_mov_b32 s19, 0
	s_mov_b32 s0, s15
	s_branch .LBB176_899
.LBB176_750:
	s_and_not1_saveexec_b32 s24, s24
	s_cbranch_execz .LBB176_752
.LBB176_751:
	v_sub_f32_e32 v0, v4, v0
	s_delay_alu instid0(VALU_DEP_1) | instskip(NEXT) | instid1(VALU_DEP_1)
	v_mul_f32_e32 v0, 0.5, v0
	v_mul_f32_e32 v2, 0x4f800000, v0
	v_cmp_gt_f32_e32 vcc_lo, 0xf800000, v0
	s_delay_alu instid0(VALU_DEP_2) | instskip(NEXT) | instid1(VALU_DEP_1)
	v_cndmask_b32_e32 v0, v0, v2, vcc_lo
	v_sqrt_f32_e32 v2, v0
	s_waitcnt_depctr 0xfff
	v_add_nc_u32_e32 v3, -1, v2
	v_add_nc_u32_e32 v4, 1, v2
	s_delay_alu instid0(VALU_DEP_2) | instskip(NEXT) | instid1(VALU_DEP_2)
	v_fma_f32 v5, -v3, v2, v0
	v_fma_f32 v6, -v4, v2, v0
	s_delay_alu instid0(VALU_DEP_2) | instskip(NEXT) | instid1(VALU_DEP_1)
	v_cmp_ge_f32_e64 s1, 0, v5
	v_cndmask_b32_e64 v2, v2, v3, s1
	s_delay_alu instid0(VALU_DEP_3) | instskip(NEXT) | instid1(VALU_DEP_1)
	v_cmp_lt_f32_e64 s1, 0, v6
	v_cndmask_b32_e64 v2, v2, v4, s1
	s_delay_alu instid0(VALU_DEP_1) | instskip(NEXT) | instid1(VALU_DEP_1)
	v_mul_f32_e32 v3, 0x37800000, v2
	v_cndmask_b32_e32 v2, v2, v3, vcc_lo
	v_cmp_class_f32_e64 vcc_lo, v0, 0x260
	s_delay_alu instid0(VALU_DEP_2) | instskip(NEXT) | instid1(VALU_DEP_1)
	v_cndmask_b32_e32 v0, v2, v0, vcc_lo
	v_dual_add_f32 v3, v0, v0 :: v_dual_and_b32 v2, 0x7fffffff, v1
	s_delay_alu instid0(VALU_DEP_1) | instskip(SKIP_1) | instid1(VALU_DEP_2)
	v_div_scale_f32 v4, null, v3, v3, v2
	v_div_scale_f32 v2, vcc_lo, v2, v3, v2
	v_rcp_f32_e32 v5, v4
	s_waitcnt_depctr 0xfff
	v_fma_f32 v6, -v4, v5, 1.0
	s_delay_alu instid0(VALU_DEP_1) | instskip(NEXT) | instid1(VALU_DEP_1)
	v_fmac_f32_e32 v5, v6, v5
	v_mul_f32_e32 v6, v2, v5
	s_delay_alu instid0(VALU_DEP_1) | instskip(NEXT) | instid1(VALU_DEP_1)
	v_fma_f32 v7, -v4, v6, v2
	v_fmac_f32_e32 v6, v7, v5
	s_delay_alu instid0(VALU_DEP_1) | instskip(NEXT) | instid1(VALU_DEP_1)
	v_fma_f32 v2, -v4, v6, v2
	v_div_fmas_f32 v2, v2, v5, v6
	s_delay_alu instid0(VALU_DEP_1)
	v_div_fixup_f32 v2, v2, v3, |v1|
	v_bfi_b32 v3, 0x7fffffff, v0, v1
.LBB176_752:
	s_or_b32 exec_lo, exec_lo, s24
                                        ; implicit-def: $vgpr1
	s_and_saveexec_b32 s1, s0
	s_delay_alu instid0(SALU_CYCLE_1)
	s_xor_b32 s0, exec_lo, s1
	s_cbranch_execz .LBB176_754
; %bb.753:
	v_dual_mul_f32 v0, 0.5, v2 :: v_dual_mul_f32 v1, 0.5, v3
	s_delay_alu instid0(VALU_DEP_1) | instskip(NEXT) | instid1(VALU_DEP_2)
	v_cndmask_b32_e64 v0, v2, v0, s23
	v_cndmask_b32_e64 v1, v3, v1, s23
                                        ; implicit-def: $vgpr2
                                        ; implicit-def: $vgpr3
	s_and_not1_saveexec_b32 s0, s0
	s_cbranch_execnz .LBB176_755
	s_branch .LBB176_756
.LBB176_754:
	s_and_not1_saveexec_b32 s0, s0
.LBB176_755:
	v_dual_add_f32 v0, v2, v2 :: v_dual_add_f32 v1, v3, v3
.LBB176_756:
	s_or_b32 exec_lo, exec_lo, s0
.LBB176_757:
	s_and_not1_saveexec_b32 s0, s22
	s_cbranch_execz .LBB176_763
; %bb.758:
	s_delay_alu instid0(VALU_DEP_1)
	v_sub_f32_e32 v2, v1, v1
	s_mov_b32 s1, exec_lo
	v_cmpx_lt_i32_e32 -1, v0
	s_xor_b32 s1, exec_lo, s1
; %bb.759:
	s_delay_alu instid0(VALU_DEP_2)
	v_bfi_b32 v1, 0x7fffffff, v2, v1
                                        ; implicit-def: $vgpr2
; %bb.760:
	s_and_not1_saveexec_b32 s1, s1
; %bb.761:
	v_and_b32_e32 v2, 0x7fffffff, v2
	s_delay_alu instid0(VALU_DEP_2) | instskip(NEXT) | instid1(VALU_DEP_2)
	v_bfi_b32 v1, 0x7fffffff, v0, v1
	v_mov_b32_e32 v0, v2
; %bb.762:
	s_or_b32 exec_lo, exec_lo, s1
.LBB176_763:
	s_delay_alu instid0(SALU_CYCLE_1)
	s_or_b32 exec_lo, exec_lo, s0
.LBB176_764:
	s_and_not1_saveexec_b32 s0, s21
; %bb.765:
	v_sub_f32_e32 v1, v1, v1
	s_delay_alu instid0(VALU_DEP_1) | instskip(NEXT) | instid1(VALU_DEP_1)
	v_div_scale_f32 v2, vcc_lo, v1, v1, v1
	v_rcp_f32_e32 v3, v2
	s_waitcnt_depctr 0xfff
	v_fma_f32 v4, -v2, v3, 1.0
	s_delay_alu instid0(VALU_DEP_1) | instskip(NEXT) | instid1(VALU_DEP_1)
	v_fmac_f32_e32 v3, v4, v3
	v_mul_f32_e32 v4, v2, v3
	s_delay_alu instid0(VALU_DEP_1) | instskip(NEXT) | instid1(VALU_DEP_1)
	v_fma_f32 v5, -v2, v4, v2
	v_fmac_f32_e32 v4, v5, v3
	s_delay_alu instid0(VALU_DEP_1) | instskip(NEXT) | instid1(VALU_DEP_1)
	v_fma_f32 v2, -v2, v4, v2
	v_div_fmas_f32 v2, v2, v3, v4
	s_delay_alu instid0(VALU_DEP_1)
	v_div_fixup_f32 v1, v2, v1, v1
; %bb.766:
	s_or_b32 exec_lo, exec_lo, s0
	v_mov_b32_e32 v4, v0
.LBB176_767:
	s_or_b32 exec_lo, exec_lo, s20
.LBB176_768:
	s_delay_alu instid0(SALU_CYCLE_1) | instskip(NEXT) | instid1(VALU_DEP_1)
	s_or_b32 exec_lo, exec_lo, s19
	v_cmp_gt_f32_e32 vcc_lo, 0, v4
                                        ; implicit-def: $vgpr3
	s_mov_b32 s0, exec_lo
	v_cndmask_b32_e64 v0, v4, -v4, vcc_lo
	v_cmp_gt_f32_e32 vcc_lo, 0, v1
	v_cndmask_b32_e64 v5, v1, -v1, vcc_lo
	s_delay_alu instid0(VALU_DEP_1)
	v_cmpx_ge_f32_e32 v0, v5
	s_xor_b32 s1, exec_lo, s0
	s_cbranch_execz .LBB176_774
; %bb.769:
	v_cmp_neq_f32_e32 vcc_lo, 0, v4
	v_cmp_neq_f32_e64 s0, 0, v1
                                        ; implicit-def: $vgpr3
	s_delay_alu instid0(VALU_DEP_1) | instskip(NEXT) | instid1(SALU_CYCLE_1)
	s_or_b32 s0, vcc_lo, s0
	s_and_saveexec_b32 s19, s0
	s_delay_alu instid0(SALU_CYCLE_1)
	s_xor_b32 s0, exec_lo, s19
	s_cbranch_execz .LBB176_771
; %bb.770:
	v_div_scale_f32 v0, null, v4, v4, v1
	v_div_scale_f32 v5, vcc_lo, v1, v4, v1
	s_delay_alu instid0(VALU_DEP_2) | instskip(SKIP_2) | instid1(VALU_DEP_1)
	v_rcp_f32_e32 v2, v0
	s_waitcnt_depctr 0xfff
	v_fma_f32 v3, -v0, v2, 1.0
	v_fmac_f32_e32 v2, v3, v2
	s_delay_alu instid0(VALU_DEP_1) | instskip(NEXT) | instid1(VALU_DEP_1)
	v_mul_f32_e32 v3, v5, v2
	v_fma_f32 v6, -v0, v3, v5
	s_delay_alu instid0(VALU_DEP_1) | instskip(NEXT) | instid1(VALU_DEP_1)
	v_fmac_f32_e32 v3, v6, v2
	v_fma_f32 v0, -v0, v3, v5
	s_delay_alu instid0(VALU_DEP_1) | instskip(NEXT) | instid1(VALU_DEP_1)
	v_div_fmas_f32 v0, v0, v2, v3
	v_div_fixup_f32 v0, v0, v4, v1
	s_delay_alu instid0(VALU_DEP_1) | instskip(NEXT) | instid1(VALU_DEP_1)
	v_fmac_f32_e32 v4, v1, v0
	v_div_scale_f32 v1, null, v4, v4, 1.0
	v_div_scale_f32 v5, vcc_lo, 1.0, v4, 1.0
	s_delay_alu instid0(VALU_DEP_2) | instskip(SKIP_2) | instid1(VALU_DEP_1)
	v_rcp_f32_e32 v2, v1
	s_waitcnt_depctr 0xfff
	v_fma_f32 v3, -v1, v2, 1.0
	v_fmac_f32_e32 v2, v3, v2
	s_delay_alu instid0(VALU_DEP_1) | instskip(NEXT) | instid1(VALU_DEP_1)
	v_mul_f32_e32 v3, v5, v2
	v_fma_f32 v6, -v1, v3, v5
	s_delay_alu instid0(VALU_DEP_1) | instskip(NEXT) | instid1(VALU_DEP_1)
	v_fmac_f32_e32 v3, v6, v2
	v_fma_f32 v1, -v1, v3, v5
                                        ; implicit-def: $vgpr5
	s_delay_alu instid0(VALU_DEP_1) | instskip(SKIP_1) | instid1(VALU_DEP_2)
	v_div_fmas_f32 v1, v1, v2, v3
	v_fma_f32 v2, v0, 0, 1.0
	v_div_fixup_f32 v1, v1, v4, 1.0
	s_delay_alu instid0(VALU_DEP_1)
	v_mul_f32_e32 v2, v2, v1
	v_mul_f32_e64 v3, -v0, v1
                                        ; implicit-def: $vgpr0
.LBB176_771:
	s_and_not1_saveexec_b32 s19, s0
	s_cbranch_execz .LBB176_773
; %bb.772:
	v_div_scale_f32 v1, null, v0, v0, 1.0
	v_div_scale_f32 v2, null, v5, v5, 0
	v_div_scale_f32 v8, vcc_lo, 1.0, v0, 1.0
	s_delay_alu instid0(VALU_DEP_3) | instskip(NEXT) | instid1(VALU_DEP_2)
	v_rcp_f32_e32 v3, v1
	v_rcp_f32_e32 v4, v2
	s_waitcnt_depctr 0xfff
	v_fma_f32 v6, -v1, v3, 1.0
	v_fma_f32 v7, -v2, v4, 1.0
	s_delay_alu instid0(VALU_DEP_1) | instskip(SKIP_1) | instid1(VALU_DEP_2)
	v_dual_fmac_f32 v3, v6, v3 :: v_dual_fmac_f32 v4, v7, v4
	v_div_scale_f32 v6, s0, 0, v5, 0
	v_mul_f32_e32 v7, v8, v3
	s_delay_alu instid0(VALU_DEP_2) | instskip(NEXT) | instid1(VALU_DEP_2)
	v_mul_f32_e32 v9, v6, v4
	v_fma_f32 v10, -v1, v7, v8
	s_delay_alu instid0(VALU_DEP_2) | instskip(NEXT) | instid1(VALU_DEP_2)
	v_fma_f32 v14, -v2, v9, v6
	v_fmac_f32_e32 v7, v10, v3
	s_delay_alu instid0(VALU_DEP_2) | instskip(NEXT) | instid1(VALU_DEP_2)
	v_fmac_f32_e32 v9, v14, v4
	v_fma_f32 v1, -v1, v7, v8
	s_delay_alu instid0(VALU_DEP_2) | instskip(NEXT) | instid1(VALU_DEP_2)
	v_fma_f32 v2, -v2, v9, v6
	v_div_fmas_f32 v1, v1, v3, v7
	s_mov_b32 vcc_lo, s0
	s_delay_alu instid0(VALU_DEP_2) | instskip(NEXT) | instid1(VALU_DEP_2)
	v_div_fmas_f32 v3, v2, v4, v9
	v_div_fixup_f32 v2, v1, v0, 1.0
	s_delay_alu instid0(VALU_DEP_2)
	v_div_fixup_f32 v3, v3, v5, 0
.LBB176_773:
	s_or_b32 exec_lo, exec_lo, s19
                                        ; implicit-def: $vgpr1
                                        ; implicit-def: $vgpr4
.LBB176_774:
	s_and_not1_saveexec_b32 s0, s1
	s_cbranch_execz .LBB176_776
; %bb.775:
	v_div_scale_f32 v0, null, v1, v1, v4
	v_div_scale_f32 v5, vcc_lo, v4, v1, v4
	s_delay_alu instid0(VALU_DEP_2) | instskip(SKIP_2) | instid1(VALU_DEP_1)
	v_rcp_f32_e32 v2, v0
	s_waitcnt_depctr 0xfff
	v_fma_f32 v3, -v0, v2, 1.0
	v_fmac_f32_e32 v2, v3, v2
	s_delay_alu instid0(VALU_DEP_1) | instskip(NEXT) | instid1(VALU_DEP_1)
	v_mul_f32_e32 v3, v5, v2
	v_fma_f32 v6, -v0, v3, v5
	s_delay_alu instid0(VALU_DEP_1) | instskip(NEXT) | instid1(VALU_DEP_1)
	v_fmac_f32_e32 v3, v6, v2
	v_fma_f32 v0, -v0, v3, v5
	s_delay_alu instid0(VALU_DEP_1) | instskip(NEXT) | instid1(VALU_DEP_1)
	v_div_fmas_f32 v0, v0, v2, v3
	v_div_fixup_f32 v0, v0, v1, v4
	s_delay_alu instid0(VALU_DEP_1) | instskip(NEXT) | instid1(VALU_DEP_1)
	v_fmac_f32_e32 v1, v4, v0
	v_div_scale_f32 v2, null, v1, v1, 1.0
	v_div_scale_f32 v5, vcc_lo, 1.0, v1, 1.0
	s_delay_alu instid0(VALU_DEP_2) | instskip(SKIP_2) | instid1(VALU_DEP_1)
	v_rcp_f32_e32 v3, v2
	s_waitcnt_depctr 0xfff
	v_fma_f32 v4, -v2, v3, 1.0
	v_fmac_f32_e32 v3, v4, v3
	s_delay_alu instid0(VALU_DEP_1) | instskip(NEXT) | instid1(VALU_DEP_1)
	v_mul_f32_e32 v4, v5, v3
	v_fma_f32 v6, -v2, v4, v5
	s_delay_alu instid0(VALU_DEP_1) | instskip(NEXT) | instid1(VALU_DEP_1)
	v_fmac_f32_e32 v4, v6, v3
	v_fma_f32 v2, -v2, v4, v5
	s_delay_alu instid0(VALU_DEP_1) | instskip(SKIP_2) | instid1(VALU_DEP_3)
	v_div_fmas_f32 v2, v2, v3, v4
	v_add_f32_e32 v3, 0, v0
	v_fma_f32 v0, v0, 0, -1.0
	v_div_fixup_f32 v1, v2, v1, 1.0
	s_delay_alu instid0(VALU_DEP_1) | instskip(NEXT) | instid1(VALU_DEP_3)
	v_mul_f32_e32 v2, v3, v1
	v_mul_f32_e32 v3, v0, v1
.LBB176_776:
	s_or_b32 exec_lo, exec_lo, s0
	v_mul_lo_u32 v0, v12, s2
	v_and_b32_e32 v4, 0xff, v11
	s_delay_alu instid0(VALU_DEP_1) | instskip(NEXT) | instid1(VALU_DEP_3)
	v_cmp_gt_i16_e32 vcc_lo, 11, v4
	v_ashrrev_i32_e32 v1, 31, v0
	v_add_co_u32 v0, s0, s4, v0
	s_delay_alu instid0(VALU_DEP_1)
	v_add_co_ci_u32_e64 v1, s0, s5, v1, s0
	s_cbranch_vccnz .LBB176_783
; %bb.777:
	v_cmp_lt_i16_e32 vcc_lo, 25, v4
	s_cbranch_vccz .LBB176_784
; %bb.778:
	v_cmp_lt_i16_e32 vcc_lo, 28, v4
	s_cbranch_vccz .LBB176_785
	;; [unrolled: 3-line block ×4, first 2 shown]
; %bb.781:
	v_cmp_eq_u16_e32 vcc_lo, 46, v4
	s_mov_b32 s19, 0
	s_mov_b32 s0, -1
	s_mov_b32 s1, 0
	s_cbranch_vccz .LBB176_788
; %bb.782:
	v_bfe_u32 v5, v3, 16, 1
	v_bfe_u32 v6, v2, 16, 1
	v_cmp_o_f32_e32 vcc_lo, v3, v3
	s_mov_b32 s1, -1
	s_mov_b32 s0, 0
	v_add3_u32 v5, v3, v5, 0x7fff
	v_add3_u32 v6, v2, v6, 0x7fff
	s_delay_alu instid0(VALU_DEP_2) | instskip(NEXT) | instid1(VALU_DEP_2)
	v_and_b32_e32 v5, 0xffff0000, v5
	v_lshrrev_b32_e32 v6, 16, v6
	s_delay_alu instid0(VALU_DEP_2) | instskip(SKIP_1) | instid1(VALU_DEP_3)
	v_cndmask_b32_e32 v5, 0x7fc00000, v5, vcc_lo
	v_cmp_o_f32_e32 vcc_lo, v2, v2
	v_cndmask_b32_e32 v6, 0x7fc0, v6, vcc_lo
	s_delay_alu instid0(VALU_DEP_1)
	v_or_b32_e32 v5, v5, v6
	global_store_b32 v[0:1], v5, off
	s_branch .LBB176_788
.LBB176_783:
	s_mov_b32 s19, -1
	s_mov_b32 s1, 0
	s_mov_b32 s0, s15
	s_branch .LBB176_857
.LBB176_784:
	s_mov_b32 s19, -1
	s_mov_b32 s1, 0
	s_mov_b32 s0, s15
	s_branch .LBB176_815
.LBB176_785:
	s_mov_b32 s19, -1
	s_mov_b32 s1, 0
	s_mov_b32 s0, s15
	s_branch .LBB176_798
.LBB176_786:
	s_mov_b32 s19, -1
	s_mov_b32 s1, 0
	s_mov_b32 s0, s15
	s_branch .LBB176_794
.LBB176_787:
	s_mov_b32 s19, -1
	s_mov_b32 s1, 0
	s_mov_b32 s0, s15
.LBB176_788:
	s_and_b32 vcc_lo, exec_lo, s19
	s_cbranch_vccz .LBB176_793
; %bb.789:
	v_cmp_eq_u16_e32 vcc_lo, 44, v4
	s_mov_b32 s0, -1
	s_cbranch_vccz .LBB176_793
; %bb.790:
	v_bfe_u32 v6, v2, 23, 8
	v_mov_b32_e32 v5, 0xff
	s_mov_b32 s1, exec_lo
	s_delay_alu instid0(VALU_DEP_2)
	v_cmpx_ne_u32_e32 0xff, v6
; %bb.791:
	v_and_b32_e32 v5, 0x400000, v2
	v_and_or_b32 v6, 0x3fffff, v2, v6
	s_delay_alu instid0(VALU_DEP_2) | instskip(NEXT) | instid1(VALU_DEP_2)
	v_cmp_ne_u32_e32 vcc_lo, 0, v5
	v_cmp_ne_u32_e64 s0, 0, v6
	v_lshrrev_b32_e32 v5, 23, v2
	s_delay_alu instid0(VALU_DEP_2) | instskip(NEXT) | instid1(SALU_CYCLE_1)
	s_and_b32 s0, vcc_lo, s0
	v_cndmask_b32_e64 v6, 0, 1, s0
	s_delay_alu instid0(VALU_DEP_1)
	v_add_nc_u32_e32 v5, v5, v6
; %bb.792:
	s_or_b32 exec_lo, exec_lo, s1
	s_mov_b32 s1, -1
	s_mov_b32 s0, 0
	global_store_b8 v[0:1], v5, off
.LBB176_793:
	s_mov_b32 s19, 0
.LBB176_794:
	s_delay_alu instid0(SALU_CYCLE_1)
	s_and_b32 vcc_lo, exec_lo, s19
	s_cbranch_vccz .LBB176_797
; %bb.795:
	v_cmp_eq_u16_e32 vcc_lo, 29, v4
	s_mov_b32 s0, -1
	s_cbranch_vccz .LBB176_797
; %bb.796:
	v_trunc_f32_e32 v5, v2
	s_mov_b32 s1, -1
	s_mov_b32 s0, 0
	s_mov_b32 s19, 0
	s_delay_alu instid0(VALU_DEP_1) | instskip(NEXT) | instid1(VALU_DEP_1)
	v_mul_f32_e32 v6, 0x2f800000, v5
	v_floor_f32_e32 v6, v6
	s_delay_alu instid0(VALU_DEP_1) | instskip(SKIP_1) | instid1(VALU_DEP_2)
	v_fmamk_f32 v5, v6, 0xcf800000, v5
	v_cvt_u32_f32_e32 v6, v6
	v_cvt_u32_f32_e32 v5, v5
	global_store_b64 v[0:1], v[5:6], off
	s_branch .LBB176_798
.LBB176_797:
	s_mov_b32 s19, 0
.LBB176_798:
	s_delay_alu instid0(SALU_CYCLE_1)
	s_and_b32 vcc_lo, exec_lo, s19
	s_cbranch_vccz .LBB176_814
; %bb.799:
	v_cmp_gt_i16_e32 vcc_lo, 27, v4
	s_mov_b32 s1, -1
	s_cbranch_vccnz .LBB176_805
; %bb.800:
	v_cmp_lt_i16_e32 vcc_lo, 27, v4
	s_cbranch_vccz .LBB176_802
; %bb.801:
	v_cvt_u32_f32_e32 v5, v2
	s_mov_b32 s1, 0
	global_store_b32 v[0:1], v5, off
.LBB176_802:
	s_and_not1_b32 vcc_lo, exec_lo, s1
	s_cbranch_vccnz .LBB176_804
; %bb.803:
	v_cvt_u32_f32_e32 v5, v2
	global_store_b16 v[0:1], v5, off
.LBB176_804:
	s_mov_b32 s1, 0
.LBB176_805:
	s_delay_alu instid0(SALU_CYCLE_1)
	s_and_not1_b32 vcc_lo, exec_lo, s1
	s_cbranch_vccnz .LBB176_813
; %bb.806:
	v_and_b32_e32 v5, 0x7fffffff, v2
	v_mov_b32_e32 v6, 0x80
	s_mov_b32 s1, exec_lo
	s_delay_alu instid0(VALU_DEP_2)
	v_cmpx_gt_u32_e32 0x43800000, v5
	s_cbranch_execz .LBB176_812
; %bb.807:
	v_cmp_lt_u32_e32 vcc_lo, 0x3bffffff, v5
	s_mov_b32 s19, 0
                                        ; implicit-def: $vgpr5
	s_and_saveexec_b32 s20, vcc_lo
	s_delay_alu instid0(SALU_CYCLE_1)
	s_xor_b32 s20, exec_lo, s20
	s_cbranch_execz .LBB176_914
; %bb.808:
	v_bfe_u32 v5, v2, 20, 1
	s_mov_b32 s19, exec_lo
	s_delay_alu instid0(VALU_DEP_1) | instskip(NEXT) | instid1(VALU_DEP_1)
	v_add3_u32 v5, v2, v5, 0x487ffff
	v_lshrrev_b32_e32 v5, 20, v5
	s_or_saveexec_b32 s20, s20
                                        ; implicit-def: $sgpr21
	s_delay_alu instid0(SALU_CYCLE_1)
	s_xor_b32 exec_lo, exec_lo, s20
	s_cbranch_execnz .LBB176_915
.LBB176_809:
	s_or_b32 exec_lo, exec_lo, s20
	v_mov_b32_e32 v6, s21
	s_and_saveexec_b32 s20, s19
.LBB176_810:
	v_lshrrev_b32_e32 v6, 24, v2
	s_delay_alu instid0(VALU_DEP_1)
	v_and_or_b32 v6, 0x80, v6, v5
.LBB176_811:
	s_or_b32 exec_lo, exec_lo, s20
.LBB176_812:
	s_delay_alu instid0(SALU_CYCLE_1)
	s_or_b32 exec_lo, exec_lo, s1
	global_store_b8 v[0:1], v6, off
.LBB176_813:
	s_mov_b32 s1, -1
.LBB176_814:
	s_mov_b32 s19, 0
.LBB176_815:
	s_delay_alu instid0(SALU_CYCLE_1)
	s_and_b32 vcc_lo, exec_lo, s19
	s_cbranch_vccz .LBB176_856
; %bb.816:
	v_cmp_lt_i16_e32 vcc_lo, 22, v4
	s_mov_b32 s19, -1
	s_cbranch_vccz .LBB176_848
; %bb.817:
	v_cmp_gt_i16_e32 vcc_lo, 24, v4
	s_mov_b32 s1, -1
	s_cbranch_vccnz .LBB176_837
; %bb.818:
	v_cmp_lt_i16_e32 vcc_lo, 24, v4
	s_cbranch_vccz .LBB176_826
; %bb.819:
	v_and_b32_e32 v5, 0x7fffffff, v2
	v_mov_b32_e32 v6, 0x80
	s_mov_b32 s1, exec_lo
	s_delay_alu instid0(VALU_DEP_2)
	v_cmpx_gt_u32_e32 0x47800000, v5
	s_cbranch_execz .LBB176_825
; %bb.820:
	v_cmp_lt_u32_e32 vcc_lo, 0x37ffffff, v5
	s_mov_b32 s19, 0
                                        ; implicit-def: $vgpr5
	s_and_saveexec_b32 s20, vcc_lo
	s_delay_alu instid0(SALU_CYCLE_1)
	s_xor_b32 s20, exec_lo, s20
	s_cbranch_execz .LBB176_917
; %bb.821:
	v_bfe_u32 v5, v2, 21, 1
	s_mov_b32 s19, exec_lo
	s_delay_alu instid0(VALU_DEP_1) | instskip(NEXT) | instid1(VALU_DEP_1)
	v_add3_u32 v5, v2, v5, 0x88fffff
	v_lshrrev_b32_e32 v5, 21, v5
	s_or_saveexec_b32 s20, s20
                                        ; implicit-def: $sgpr21
	s_delay_alu instid0(SALU_CYCLE_1)
	s_xor_b32 exec_lo, exec_lo, s20
	s_cbranch_execnz .LBB176_918
.LBB176_822:
	s_or_b32 exec_lo, exec_lo, s20
	v_mov_b32_e32 v6, s21
	s_and_saveexec_b32 s20, s19
.LBB176_823:
	v_lshrrev_b32_e32 v6, 24, v2
	s_delay_alu instid0(VALU_DEP_1)
	v_and_or_b32 v6, 0x80, v6, v5
.LBB176_824:
	s_or_b32 exec_lo, exec_lo, s20
.LBB176_825:
	s_delay_alu instid0(SALU_CYCLE_1)
	s_or_b32 exec_lo, exec_lo, s1
	s_mov_b32 s1, 0
	global_store_b8 v[0:1], v6, off
.LBB176_826:
	s_and_b32 vcc_lo, exec_lo, s1
	s_cbranch_vccz .LBB176_836
; %bb.827:
	v_and_b32_e32 v6, 0x7fffffff, v2
	s_mov_b32 s1, exec_lo
                                        ; implicit-def: $vgpr5
	s_delay_alu instid0(VALU_DEP_1)
	v_cmpx_gt_u32_e32 0x43f00000, v6
	s_xor_b32 s1, exec_lo, s1
	s_cbranch_execz .LBB176_833
; %bb.828:
	s_mov_b32 s19, exec_lo
                                        ; implicit-def: $vgpr5
	v_cmpx_lt_u32_e32 0x3c7fffff, v6
	s_xor_b32 s19, exec_lo, s19
; %bb.829:
	v_bfe_u32 v5, v2, 20, 1
	s_delay_alu instid0(VALU_DEP_1) | instskip(NEXT) | instid1(VALU_DEP_1)
	v_add3_u32 v5, v2, v5, 0x407ffff
	v_and_b32_e32 v6, 0xff00000, v5
	v_lshrrev_b32_e32 v5, 20, v5
	s_delay_alu instid0(VALU_DEP_2) | instskip(NEXT) | instid1(VALU_DEP_2)
	v_cmp_ne_u32_e32 vcc_lo, 0x7f00000, v6
	v_cndmask_b32_e32 v5, 0x7e, v5, vcc_lo
; %bb.830:
	s_and_not1_saveexec_b32 s19, s19
; %bb.831:
	v_add_f32_e64 v5, 0x46800000, |v2|
; %bb.832:
	s_or_b32 exec_lo, exec_lo, s19
                                        ; implicit-def: $vgpr6
.LBB176_833:
	s_and_not1_saveexec_b32 s1, s1
; %bb.834:
	v_mov_b32_e32 v5, 0x7f
	v_cmp_lt_u32_e32 vcc_lo, 0x7f800000, v6
	s_delay_alu instid0(VALU_DEP_2)
	v_cndmask_b32_e32 v5, 0x7e, v5, vcc_lo
; %bb.835:
	s_or_b32 exec_lo, exec_lo, s1
	v_lshrrev_b32_e32 v6, 24, v2
	s_delay_alu instid0(VALU_DEP_1)
	v_and_or_b32 v5, 0x80, v6, v5
	global_store_b8 v[0:1], v5, off
.LBB176_836:
	s_mov_b32 s1, 0
.LBB176_837:
	s_delay_alu instid0(SALU_CYCLE_1)
	s_and_not1_b32 vcc_lo, exec_lo, s1
	s_cbranch_vccnz .LBB176_847
; %bb.838:
	v_and_b32_e32 v6, 0x7fffffff, v2
	s_mov_b32 s1, exec_lo
                                        ; implicit-def: $vgpr5
	s_delay_alu instid0(VALU_DEP_1)
	v_cmpx_gt_u32_e32 0x47800000, v6
	s_xor_b32 s1, exec_lo, s1
	s_cbranch_execz .LBB176_844
; %bb.839:
	s_mov_b32 s19, exec_lo
                                        ; implicit-def: $vgpr5
	v_cmpx_lt_u32_e32 0x387fffff, v6
	s_xor_b32 s19, exec_lo, s19
; %bb.840:
	v_bfe_u32 v5, v2, 21, 1
	s_delay_alu instid0(VALU_DEP_1) | instskip(NEXT) | instid1(VALU_DEP_1)
	v_add3_u32 v5, v2, v5, 0x80fffff
	v_lshrrev_b32_e32 v5, 21, v5
; %bb.841:
	s_and_not1_saveexec_b32 s19, s19
; %bb.842:
	v_add_f32_e64 v5, 0x43000000, |v2|
; %bb.843:
	s_or_b32 exec_lo, exec_lo, s19
                                        ; implicit-def: $vgpr6
.LBB176_844:
	s_and_not1_saveexec_b32 s1, s1
; %bb.845:
	v_mov_b32_e32 v5, 0x7f
	v_cmp_lt_u32_e32 vcc_lo, 0x7f800000, v6
	s_delay_alu instid0(VALU_DEP_2)
	v_cndmask_b32_e32 v5, 0x7c, v5, vcc_lo
; %bb.846:
	s_or_b32 exec_lo, exec_lo, s1
	v_lshrrev_b32_e32 v6, 24, v2
	s_delay_alu instid0(VALU_DEP_1)
	v_and_or_b32 v5, 0x80, v6, v5
	global_store_b8 v[0:1], v5, off
.LBB176_847:
	s_mov_b32 s19, 0
	s_mov_b32 s1, -1
.LBB176_848:
	s_and_not1_b32 vcc_lo, exec_lo, s19
	s_cbranch_vccnz .LBB176_856
; %bb.849:
	v_cmp_lt_i16_e32 vcc_lo, 14, v4
	s_mov_b32 s19, -1
	s_cbranch_vccz .LBB176_853
; %bb.850:
	v_cmp_eq_u16_e32 vcc_lo, 15, v4
	s_mov_b32 s0, -1
	s_cbranch_vccz .LBB176_852
; %bb.851:
	v_bfe_u32 v5, v2, 16, 1
	v_cmp_o_f32_e32 vcc_lo, v2, v2
	s_mov_b32 s1, -1
	s_mov_b32 s0, 0
	s_delay_alu instid0(VALU_DEP_2) | instskip(NEXT) | instid1(VALU_DEP_1)
	v_add3_u32 v5, v2, v5, 0x7fff
	v_lshrrev_b32_e32 v5, 16, v5
	s_delay_alu instid0(VALU_DEP_1)
	v_cndmask_b32_e32 v5, 0x7fc0, v5, vcc_lo
	global_store_b16 v[0:1], v5, off
.LBB176_852:
	s_mov_b32 s19, 0
.LBB176_853:
	s_delay_alu instid0(SALU_CYCLE_1)
	s_and_b32 vcc_lo, exec_lo, s19
	s_cbranch_vccz .LBB176_856
; %bb.854:
	v_cmp_eq_u16_e32 vcc_lo, 11, v4
	s_mov_b32 s0, -1
	s_cbranch_vccz .LBB176_856
; %bb.855:
	v_cmp_neq_f32_e32 vcc_lo, 0, v2
	v_cmp_neq_f32_e64 s0, 0, v3
	s_mov_b32 s1, -1
	s_delay_alu instid0(VALU_DEP_1) | instskip(NEXT) | instid1(SALU_CYCLE_1)
	s_or_b32 s0, vcc_lo, s0
	v_cndmask_b32_e64 v5, 0, 1, s0
	s_mov_b32 s0, 0
	global_store_b8 v[0:1], v5, off
.LBB176_856:
	s_mov_b32 s19, 0
.LBB176_857:
	s_delay_alu instid0(SALU_CYCLE_1)
	s_and_b32 vcc_lo, exec_lo, s19
	s_cbranch_vccz .LBB176_896
; %bb.858:
	v_cmp_gt_i16_e32 vcc_lo, 5, v4
	s_mov_b32 s1, -1
	s_cbranch_vccnz .LBB176_879
; %bb.859:
	v_cmp_gt_i16_e32 vcc_lo, 8, v4
	s_cbranch_vccnz .LBB176_869
; %bb.860:
	v_cmp_gt_i16_e32 vcc_lo, 9, v4
	s_cbranch_vccnz .LBB176_866
; %bb.861:
	v_cmp_lt_i16_e32 vcc_lo, 9, v4
	s_cbranch_vccz .LBB176_863
; %bb.862:
	v_cvt_f64_f32_e32 v[5:6], v2
	v_cvt_f64_f32_e32 v[7:8], v3
	s_mov_b32 s1, 0
	global_store_b128 v[0:1], v[5:8], off
.LBB176_863:
	s_and_not1_b32 vcc_lo, exec_lo, s1
	s_cbranch_vccnz .LBB176_865
; %bb.864:
	global_store_b64 v[0:1], v[2:3], off
.LBB176_865:
	s_mov_b32 s1, 0
.LBB176_866:
	s_delay_alu instid0(SALU_CYCLE_1)
	s_and_not1_b32 vcc_lo, exec_lo, s1
	s_cbranch_vccnz .LBB176_868
; %bb.867:
	v_cvt_f16_f32_e32 v3, v3
	v_cvt_f16_f32_e32 v5, v2
	s_delay_alu instid0(VALU_DEP_2) | instskip(NEXT) | instid1(VALU_DEP_2)
	v_lshlrev_b32_e32 v3, 16, v3
	v_and_b32_e32 v5, 0xffff, v5
	s_delay_alu instid0(VALU_DEP_1)
	v_or_b32_e32 v3, v3, v5
	global_store_b32 v[0:1], v3, off
.LBB176_868:
	s_mov_b32 s1, 0
.LBB176_869:
	s_delay_alu instid0(SALU_CYCLE_1)
	s_and_not1_b32 vcc_lo, exec_lo, s1
	s_cbranch_vccnz .LBB176_878
; %bb.870:
	v_cmp_gt_i16_e32 vcc_lo, 6, v4
	s_mov_b32 s1, -1
	s_cbranch_vccnz .LBB176_876
; %bb.871:
	v_cmp_lt_i16_e32 vcc_lo, 6, v4
	s_cbranch_vccz .LBB176_873
; %bb.872:
	v_cvt_f64_f32_e32 v[5:6], v2
	s_mov_b32 s1, 0
	global_store_b64 v[0:1], v[5:6], off
.LBB176_873:
	s_and_not1_b32 vcc_lo, exec_lo, s1
	s_cbranch_vccnz .LBB176_875
; %bb.874:
	global_store_b32 v[0:1], v2, off
.LBB176_875:
	s_mov_b32 s1, 0
.LBB176_876:
	s_delay_alu instid0(SALU_CYCLE_1)
	s_and_not1_b32 vcc_lo, exec_lo, s1
	s_cbranch_vccnz .LBB176_878
; %bb.877:
	v_cvt_f16_f32_e32 v3, v2
	global_store_b16 v[0:1], v3, off
.LBB176_878:
	s_mov_b32 s1, 0
.LBB176_879:
	s_delay_alu instid0(SALU_CYCLE_1)
	s_and_not1_b32 vcc_lo, exec_lo, s1
	s_cbranch_vccnz .LBB176_895
; %bb.880:
	v_cmp_gt_i16_e32 vcc_lo, 2, v4
	s_mov_b32 s1, -1
	s_cbranch_vccnz .LBB176_890
; %bb.881:
	v_cmp_gt_i16_e32 vcc_lo, 3, v4
	s_cbranch_vccnz .LBB176_887
; %bb.882:
	v_cmp_lt_i16_e32 vcc_lo, 3, v4
	s_cbranch_vccz .LBB176_884
; %bb.883:
	v_trunc_f32_e32 v3, v2
	s_mov_b32 s1, 0
	s_delay_alu instid0(VALU_DEP_1) | instskip(NEXT) | instid1(VALU_DEP_1)
	v_mul_f32_e64 v5, 0x2f800000, |v3|
	v_floor_f32_e32 v5, v5
	s_delay_alu instid0(VALU_DEP_1) | instskip(SKIP_2) | instid1(VALU_DEP_3)
	v_fma_f32 v6, 0xcf800000, v5, |v3|
	v_ashrrev_i32_e32 v3, 31, v3
	v_cvt_u32_f32_e32 v5, v5
	v_cvt_u32_f32_e32 v6, v6
	s_delay_alu instid0(VALU_DEP_2) | instskip(NEXT) | instid1(VALU_DEP_2)
	v_xor_b32_e32 v7, v5, v3
	v_xor_b32_e32 v6, v6, v3
	s_delay_alu instid0(VALU_DEP_1) | instskip(NEXT) | instid1(VALU_DEP_3)
	v_sub_co_u32 v5, vcc_lo, v6, v3
	v_sub_co_ci_u32_e32 v6, vcc_lo, v7, v3, vcc_lo
	global_store_b64 v[0:1], v[5:6], off
.LBB176_884:
	s_and_not1_b32 vcc_lo, exec_lo, s1
	s_cbranch_vccnz .LBB176_886
; %bb.885:
	v_cvt_i32_f32_e32 v3, v2
	global_store_b32 v[0:1], v3, off
.LBB176_886:
	s_mov_b32 s1, 0
.LBB176_887:
	s_delay_alu instid0(SALU_CYCLE_1)
	s_and_not1_b32 vcc_lo, exec_lo, s1
	s_cbranch_vccnz .LBB176_889
; %bb.888:
	v_cvt_i32_f32_e32 v3, v2
	global_store_b16 v[0:1], v3, off
.LBB176_889:
	s_mov_b32 s1, 0
.LBB176_890:
	s_delay_alu instid0(SALU_CYCLE_1)
	s_and_not1_b32 vcc_lo, exec_lo, s1
	s_cbranch_vccnz .LBB176_895
; %bb.891:
	v_cmp_lt_i16_e32 vcc_lo, 0, v4
	s_mov_b32 s1, -1
	s_cbranch_vccz .LBB176_893
; %bb.892:
	v_cvt_i32_f32_e32 v3, v2
	s_mov_b32 s1, 0
	global_store_b8 v[0:1], v3, off
.LBB176_893:
	s_and_not1_b32 vcc_lo, exec_lo, s1
	s_cbranch_vccnz .LBB176_895
; %bb.894:
	v_trunc_f32_e32 v2, v2
	s_delay_alu instid0(VALU_DEP_1) | instskip(NEXT) | instid1(VALU_DEP_1)
	v_mul_f32_e64 v3, 0x2f800000, |v2|
	v_floor_f32_e32 v3, v3
	s_delay_alu instid0(VALU_DEP_1) | instskip(SKIP_1) | instid1(VALU_DEP_2)
	v_fma_f32 v3, 0xcf800000, v3, |v2|
	v_ashrrev_i32_e32 v2, 31, v2
	v_cvt_u32_f32_e32 v3, v3
	s_delay_alu instid0(VALU_DEP_1) | instskip(NEXT) | instid1(VALU_DEP_1)
	v_xor_b32_e32 v3, v3, v2
	v_sub_nc_u32_e32 v2, v3, v2
	global_store_b8 v[0:1], v2, off
.LBB176_895:
	s_mov_b32 s1, -1
.LBB176_896:
	s_delay_alu instid0(SALU_CYCLE_1)
	s_and_not1_b32 vcc_lo, exec_lo, s1
	s_cbranch_vccnz .LBB176_898
; %bb.897:
	v_add_nc_u32_e32 v12, 0x80, v12
	s_mov_b32 s19, -1
	s_branch .LBB176_900
.LBB176_898:
	s_mov_b32 s19, 0
.LBB176_899:
                                        ; implicit-def: $vgpr12
.LBB176_900:
	s_and_not1_b32 s1, s15, exec_lo
	s_and_b32 s0, s0, exec_lo
	s_and_not1_b32 s20, s14, exec_lo
	s_and_b32 s21, s18, exec_lo
	s_or_b32 s18, s1, s0
	s_or_b32 s1, s20, s21
	s_or_not1_b32 s0, s19, exec_lo
.LBB176_901:
	s_or_b32 exec_lo, exec_lo, s17
	s_mov_b32 s19, 0
	s_mov_b32 s20, 0
	s_mov_b32 s21, 0
                                        ; implicit-def: $vgpr2_vgpr3
                                        ; implicit-def: $vgpr1
	s_and_saveexec_b32 s17, s0
	s_cbranch_execz .LBB176_989
; %bb.902:
	v_cmp_gt_i32_e32 vcc_lo, s11, v12
	s_mov_b32 s0, 0
	s_mov_b32 s19, s1
                                        ; implicit-def: $vgpr2_vgpr3
                                        ; implicit-def: $vgpr1
	s_and_saveexec_b32 s11, vcc_lo
	s_cbranch_execz .LBB176_988
; %bb.903:
	s_waitcnt vmcnt(0)
	v_mul_lo_u32 v0, v12, s3
	v_cmp_gt_i16_e32 vcc_lo, 11, v13
	s_delay_alu instid0(VALU_DEP_2) | instskip(SKIP_1) | instid1(VALU_DEP_1)
	v_ashrrev_i32_e32 v1, 31, v0
	v_add_co_u32 v2, s0, s6, v0
	v_add_co_ci_u32_e64 v3, s0, s7, v1, s0
	s_cbranch_vccnz .LBB176_910
; %bb.904:
	v_cmp_lt_i16_e32 vcc_lo, 25, v13
	s_mov_b32 s19, 0
	s_cbranch_vccz .LBB176_911
; %bb.905:
	v_cmp_lt_i16_e32 vcc_lo, 28, v13
	s_cbranch_vccz .LBB176_912
; %bb.906:
	v_cmp_lt_i16_e32 vcc_lo, 43, v13
	;; [unrolled: 3-line block ×3, first 2 shown]
	s_cbranch_vccz .LBB176_916
; %bb.908:
	v_cmp_eq_u16_e32 vcc_lo, 46, v13
	s_cbranch_vccz .LBB176_919
; %bb.909:
	global_load_b32 v0, v[2:3], off
	s_mov_b32 s0, 0
	s_mov_b32 s20, -1
	s_waitcnt vmcnt(0)
	v_and_b32_e32 v1, 0xffff0000, v0
	v_lshlrev_b32_e32 v0, 16, v0
	s_branch .LBB176_921
.LBB176_910:
	s_mov_b32 s22, -1
	s_mov_b32 s19, 0
	s_mov_b32 s0, s1
                                        ; implicit-def: $vgpr1
	s_branch .LBB176_987
.LBB176_911:
	s_mov_b32 s21, -1
	s_mov_b32 s0, s1
                                        ; implicit-def: $vgpr1
	s_branch .LBB176_954
.LBB176_912:
	s_mov_b32 s21, -1
	s_mov_b32 s0, s1
                                        ; implicit-def: $vgpr1
	s_branch .LBB176_933
.LBB176_913:
	s_mov_b32 s21, -1
	s_mov_b32 s0, s1
                                        ; implicit-def: $vgpr1
	s_branch .LBB176_927
.LBB176_914:
	s_or_saveexec_b32 s20, s20
                                        ; implicit-def: $sgpr21
	s_delay_alu instid0(SALU_CYCLE_1)
	s_xor_b32 exec_lo, exec_lo, s20
	s_cbranch_execz .LBB176_809
.LBB176_915:
	v_add_f32_e64 v5, 0x46000000, |v2|
	s_and_not1_b32 s19, s19, exec_lo
	s_mov_b32 s21, 0
	s_delay_alu instid0(VALU_DEP_1) | instskip(NEXT) | instid1(VALU_DEP_1)
	v_and_b32_e32 v5, 0xff, v5
	v_cmp_ne_u32_e32 vcc_lo, 0, v5
	s_and_b32 s22, vcc_lo, exec_lo
	s_delay_alu instid0(SALU_CYCLE_1)
	s_or_b32 s19, s19, s22
	s_or_b32 exec_lo, exec_lo, s20
	v_mov_b32_e32 v6, s21
	s_and_saveexec_b32 s20, s19
	s_cbranch_execnz .LBB176_810
	s_branch .LBB176_811
.LBB176_916:
	s_mov_b32 s21, -1
	s_mov_b32 s0, s1
	s_branch .LBB176_920
.LBB176_917:
	s_or_saveexec_b32 s20, s20
                                        ; implicit-def: $sgpr21
	s_delay_alu instid0(SALU_CYCLE_1)
	s_xor_b32 exec_lo, exec_lo, s20
	s_cbranch_execz .LBB176_822
.LBB176_918:
	v_add_f32_e64 v5, 0x42800000, |v2|
	s_and_not1_b32 s19, s19, exec_lo
	s_mov_b32 s21, 0
	s_delay_alu instid0(VALU_DEP_1) | instskip(NEXT) | instid1(VALU_DEP_1)
	v_and_b32_e32 v5, 0xff, v5
	v_cmp_ne_u32_e32 vcc_lo, 0, v5
	s_and_b32 s22, vcc_lo, exec_lo
	s_delay_alu instid0(SALU_CYCLE_1)
	s_or_b32 s19, s19, s22
	s_or_b32 exec_lo, exec_lo, s20
	v_mov_b32_e32 v6, s21
	s_and_saveexec_b32 s20, s19
	s_cbranch_execnz .LBB176_823
	s_branch .LBB176_824
.LBB176_919:
	s_mov_b32 s0, -1
.LBB176_920:
                                        ; implicit-def: $vgpr1
.LBB176_921:
	s_and_b32 vcc_lo, exec_lo, s21
	s_cbranch_vccz .LBB176_926
; %bb.922:
	v_cmp_eq_u16_e32 vcc_lo, 44, v13
	s_cbranch_vccz .LBB176_924
; %bb.923:
	global_load_u8 v0, v[2:3], off
	s_mov_b32 s0, 0
	s_mov_b32 s20, -1
	s_waitcnt vmcnt(0)
	v_lshlrev_b32_e32 v1, 23, v0
	v_cmp_ne_u32_e32 vcc_lo, 0xff, v0
	s_delay_alu instid0(VALU_DEP_2) | instskip(SKIP_1) | instid1(VALU_DEP_2)
	v_cndmask_b32_e32 v1, 0x7f800001, v1, vcc_lo
	v_cmp_ne_u32_e32 vcc_lo, 0, v0
	v_cndmask_b32_e32 v0, 0x400000, v1, vcc_lo
	s_branch .LBB176_925
.LBB176_924:
	s_mov_b32 s0, -1
                                        ; implicit-def: $vgpr0
.LBB176_925:
	s_delay_alu instid0(SALU_CYCLE_1)
	v_mov_b32_e32 v1, s0
.LBB176_926:
	s_mov_b32 s21, 0
.LBB176_927:
	s_delay_alu instid0(SALU_CYCLE_1)
	s_and_b32 vcc_lo, exec_lo, s21
	s_cbranch_vccz .LBB176_932
; %bb.928:
	v_cmp_eq_u16_e32 vcc_lo, 29, v13
	s_cbranch_vccz .LBB176_930
; %bb.929:
	global_load_b64 v[0:1], v[2:3], off
	s_mov_b32 s0, 0
	s_mov_b32 s20, -1
	s_mov_b32 s21, 0
	s_waitcnt vmcnt(0)
	v_clz_i32_u32_e32 v4, v1
	s_delay_alu instid0(VALU_DEP_1) | instskip(NEXT) | instid1(VALU_DEP_1)
	v_min_u32_e32 v4, 32, v4
	v_lshlrev_b64 v[0:1], v4, v[0:1]
	s_delay_alu instid0(VALU_DEP_1) | instskip(NEXT) | instid1(VALU_DEP_1)
	v_min_u32_e32 v0, 1, v0
	v_or_b32_e32 v0, v1, v0
	v_sub_nc_u32_e32 v1, 32, v4
	s_delay_alu instid0(VALU_DEP_2) | instskip(NEXT) | instid1(VALU_DEP_1)
	v_cvt_f32_u32_e32 v0, v0
	v_ldexp_f32 v0, v0, v1
	s_branch .LBB176_931
.LBB176_930:
	s_mov_b32 s0, -1
                                        ; implicit-def: $sgpr21
                                        ; implicit-def: $vgpr0
.LBB176_931:
	v_mov_b32_e32 v1, s21
.LBB176_932:
	s_mov_b32 s21, 0
.LBB176_933:
	s_delay_alu instid0(SALU_CYCLE_1)
	s_and_b32 vcc_lo, exec_lo, s21
	s_cbranch_vccz .LBB176_953
; %bb.934:
	v_cmp_gt_i16_e32 vcc_lo, 27, v13
	s_cbranch_vccnz .LBB176_937
; %bb.935:
	v_cmp_lt_i16_e32 vcc_lo, 27, v13
	s_cbranch_vccz .LBB176_938
; %bb.936:
	global_load_b32 v0, v[2:3], off
	s_mov_b32 s21, 0
	s_mov_b32 s20, 0
	s_waitcnt vmcnt(0)
	v_cvt_f32_u32_e32 v0, v0
	s_branch .LBB176_939
.LBB176_937:
	s_mov_b32 s21, -1
                                        ; implicit-def: $sgpr20
                                        ; implicit-def: $vgpr0
	s_branch .LBB176_942
.LBB176_938:
	s_mov_b32 s21, -1
                                        ; implicit-def: $sgpr20
                                        ; implicit-def: $vgpr0
.LBB176_939:
	s_delay_alu instid0(SALU_CYCLE_1)
	s_and_not1_b32 vcc_lo, exec_lo, s21
	s_cbranch_vccnz .LBB176_941
; %bb.940:
	global_load_u16 v0, v[2:3], off
	s_mov_b32 s20, 0
	s_waitcnt vmcnt(0)
	v_cvt_f32_u32_e32 v0, v0
.LBB176_941:
	s_mov_b32 s21, 0
.LBB176_942:
	v_mov_b32_e32 v1, s20
	s_and_not1_b32 vcc_lo, exec_lo, s21
	s_cbranch_vccnz .LBB176_952
; %bb.943:
	global_load_u8 v4, v[2:3], off
	s_mov_b32 s20, 0
	s_mov_b32 s23, exec_lo
                                        ; implicit-def: $sgpr22
                                        ; implicit-def: $sgpr21
	s_waitcnt vmcnt(0)
	v_cmpx_lt_i16_e32 0x7f, v4
	s_xor_b32 s23, exec_lo, s23
	s_cbranch_execz .LBB176_947
; %bb.944:
	s_mov_b32 s20, -1
	s_mov_b32 s24, exec_lo
                                        ; implicit-def: $sgpr22
                                        ; implicit-def: $sgpr21
	v_cmpx_eq_u16_e32 0x80, v4
; %bb.945:
	s_mov_b32 s21, 0x7f800001
	s_mov_b32 s22, 0
	s_xor_b32 s20, exec_lo, -1
; %bb.946:
	s_or_b32 exec_lo, exec_lo, s24
	s_delay_alu instid0(SALU_CYCLE_1)
	s_and_b32 s20, s20, exec_lo
.LBB176_947:
	s_or_saveexec_b32 s23, s23
	v_dual_mov_b32 v1, s22 :: v_dual_mov_b32 v0, s21
	s_xor_b32 exec_lo, exec_lo, s23
; %bb.948:
	v_cmp_ne_u16_e32 vcc_lo, 0, v4
	v_dual_mov_b32 v1, 0 :: v_dual_mov_b32 v0, 0
	s_and_not1_b32 s20, s20, exec_lo
	s_and_b32 s21, vcc_lo, exec_lo
	s_delay_alu instid0(SALU_CYCLE_1)
	s_or_b32 s20, s20, s21
; %bb.949:
	s_or_b32 exec_lo, exec_lo, s23
	s_and_saveexec_b32 s21, s20
	s_cbranch_execz .LBB176_951
; %bb.950:
	v_and_b32_e32 v0, 0xffff, v4
	v_lshlrev_b32_e32 v4, 24, v4
	s_delay_alu instid0(VALU_DEP_2) | instskip(NEXT) | instid1(VALU_DEP_2)
	v_and_b32_e32 v1, 7, v0
	v_and_b32_e32 v4, 0x80000000, v4
	s_delay_alu instid0(VALU_DEP_2) | instskip(NEXT) | instid1(VALU_DEP_1)
	v_clz_i32_u32_e32 v5, v1
	v_min_u32_e32 v5, 32, v5
	s_delay_alu instid0(VALU_DEP_1) | instskip(SKIP_1) | instid1(VALU_DEP_2)
	v_subrev_nc_u32_e32 v6, 28, v5
	v_sub_nc_u32_e32 v5, 29, v5
	v_lshlrev_b32_e32 v6, v6, v0
	v_bfe_u32 v0, v0, 3, 4
	s_delay_alu instid0(VALU_DEP_2) | instskip(NEXT) | instid1(VALU_DEP_2)
	v_and_b32_e32 v6, 7, v6
	v_cmp_eq_u32_e32 vcc_lo, 0, v0
	s_delay_alu instid0(VALU_DEP_2) | instskip(NEXT) | instid1(VALU_DEP_1)
	v_dual_cndmask_b32 v0, v0, v5 :: v_dual_cndmask_b32 v1, v1, v6
	v_lshl_add_u32 v0, v0, 23, 0x3b800000
	s_delay_alu instid0(VALU_DEP_2) | instskip(NEXT) | instid1(VALU_DEP_1)
	v_lshlrev_b32_e32 v1, 20, v1
	v_or3_b32 v0, v4, v0, v1
	v_mov_b32_e32 v1, 0
.LBB176_951:
	s_or_b32 exec_lo, exec_lo, s21
.LBB176_952:
	s_mov_b32 s20, -1
.LBB176_953:
	s_mov_b32 s21, 0
.LBB176_954:
	s_delay_alu instid0(SALU_CYCLE_1)
	s_and_b32 vcc_lo, exec_lo, s21
	s_cbranch_vccz .LBB176_986
; %bb.955:
	v_cmp_lt_i16_e32 vcc_lo, 22, v13
	s_cbranch_vccz .LBB176_967
; %bb.956:
	v_cmp_gt_i16_e32 vcc_lo, 24, v13
	s_cbranch_vccnz .LBB176_968
; %bb.957:
	v_cmp_lt_i16_e32 vcc_lo, 24, v13
	s_cbranch_vccz .LBB176_969
; %bb.958:
	global_load_u8 v4, v[2:3], off
	s_mov_b32 s22, exec_lo
                                        ; implicit-def: $sgpr21
                                        ; implicit-def: $sgpr20
	s_waitcnt vmcnt(0)
	v_cmpx_lt_i16_e32 0x7f, v4
	s_xor_b32 s22, exec_lo, s22
	s_cbranch_execz .LBB176_962
; %bb.959:
	s_mov_b32 s19, -1
	s_mov_b32 s23, exec_lo
                                        ; implicit-def: $sgpr21
                                        ; implicit-def: $sgpr20
	v_cmpx_eq_u16_e32 0x80, v4
; %bb.960:
	s_mov_b32 s20, 0x7f800001
	s_mov_b32 s21, 0
	s_xor_b32 s19, exec_lo, -1
; %bb.961:
	s_or_b32 exec_lo, exec_lo, s23
	s_delay_alu instid0(SALU_CYCLE_1)
	s_and_b32 s19, s19, exec_lo
.LBB176_962:
	s_or_saveexec_b32 s22, s22
	v_dual_mov_b32 v1, s21 :: v_dual_mov_b32 v0, s20
	s_xor_b32 exec_lo, exec_lo, s22
; %bb.963:
	v_cmp_ne_u16_e32 vcc_lo, 0, v4
	v_dual_mov_b32 v1, 0 :: v_dual_mov_b32 v0, 0
	s_and_not1_b32 s19, s19, exec_lo
	s_and_b32 s20, vcc_lo, exec_lo
	s_delay_alu instid0(SALU_CYCLE_1)
	s_or_b32 s19, s19, s20
; %bb.964:
	s_or_b32 exec_lo, exec_lo, s22
	s_and_saveexec_b32 s20, s19
	s_cbranch_execz .LBB176_966
; %bb.965:
	v_and_b32_e32 v0, 0xffff, v4
	v_lshlrev_b32_e32 v4, 24, v4
	s_delay_alu instid0(VALU_DEP_2) | instskip(NEXT) | instid1(VALU_DEP_2)
	v_and_b32_e32 v1, 3, v0
	v_and_b32_e32 v4, 0x80000000, v4
	s_delay_alu instid0(VALU_DEP_2) | instskip(NEXT) | instid1(VALU_DEP_1)
	v_clz_i32_u32_e32 v5, v1
	v_min_u32_e32 v5, 32, v5
	s_delay_alu instid0(VALU_DEP_1) | instskip(SKIP_1) | instid1(VALU_DEP_2)
	v_subrev_nc_u32_e32 v6, 29, v5
	v_sub_nc_u32_e32 v5, 30, v5
	v_lshlrev_b32_e32 v6, v6, v0
	v_bfe_u32 v0, v0, 2, 5
	s_delay_alu instid0(VALU_DEP_2) | instskip(NEXT) | instid1(VALU_DEP_2)
	v_and_b32_e32 v6, 3, v6
	v_cmp_eq_u32_e32 vcc_lo, 0, v0
	s_delay_alu instid0(VALU_DEP_2) | instskip(NEXT) | instid1(VALU_DEP_1)
	v_dual_cndmask_b32 v0, v0, v5 :: v_dual_cndmask_b32 v1, v1, v6
	v_lshl_add_u32 v0, v0, 23, 0x37800000
	s_delay_alu instid0(VALU_DEP_2) | instskip(NEXT) | instid1(VALU_DEP_1)
	v_lshlrev_b32_e32 v1, 21, v1
	v_or3_b32 v0, v4, v0, v1
	v_mov_b32_e32 v1, 0
.LBB176_966:
	s_or_b32 exec_lo, exec_lo, s20
	s_mov_b32 s19, 0
	s_branch .LBB176_970
.LBB176_967:
	s_mov_b32 s19, -1
                                        ; implicit-def: $vgpr1
	s_branch .LBB176_976
.LBB176_968:
	s_mov_b32 s19, -1
                                        ; implicit-def: $vgpr1
	s_branch .LBB176_973
.LBB176_969:
	s_mov_b32 s19, -1
                                        ; implicit-def: $vgpr1
.LBB176_970:
	s_delay_alu instid0(SALU_CYCLE_1)
	s_and_b32 vcc_lo, exec_lo, s19
	s_cbranch_vccz .LBB176_972
; %bb.971:
	global_load_u8 v0, v[2:3], off
	s_waitcnt vmcnt(0)
	v_lshlrev_b32_e32 v0, 24, v0
	s_delay_alu instid0(VALU_DEP_1) | instskip(NEXT) | instid1(VALU_DEP_1)
	v_and_b32_e32 v1, 0x7f000000, v0
	v_clz_i32_u32_e32 v4, v1
	v_cmp_ne_u32_e32 vcc_lo, 0, v1
	v_add_nc_u32_e32 v6, 0x1000000, v1
	s_delay_alu instid0(VALU_DEP_3) | instskip(NEXT) | instid1(VALU_DEP_1)
	v_min_u32_e32 v4, 32, v4
	v_sub_nc_u32_e64 v4, v4, 4 clamp
	s_delay_alu instid0(VALU_DEP_1) | instskip(SKIP_1) | instid1(VALU_DEP_2)
	v_lshlrev_b32_e32 v5, v4, v1
	v_lshlrev_b32_e32 v4, 23, v4
	v_lshrrev_b32_e32 v5, 4, v5
	s_delay_alu instid0(VALU_DEP_1) | instskip(SKIP_1) | instid1(VALU_DEP_2)
	v_sub_nc_u32_e32 v4, v5, v4
	v_ashrrev_i32_e32 v5, 8, v6
	v_add_nc_u32_e32 v4, 0x3c000000, v4
	s_delay_alu instid0(VALU_DEP_1) | instskip(NEXT) | instid1(VALU_DEP_1)
	v_and_or_b32 v4, 0x7f800000, v5, v4
	v_cndmask_b32_e32 v1, 0, v4, vcc_lo
	s_delay_alu instid0(VALU_DEP_1)
	v_and_or_b32 v0, 0x80000000, v0, v1
	v_mov_b32_e32 v1, 0
.LBB176_972:
	s_mov_b32 s19, 0
.LBB176_973:
	s_delay_alu instid0(SALU_CYCLE_1)
	s_and_not1_b32 vcc_lo, exec_lo, s19
	s_cbranch_vccnz .LBB176_975
; %bb.974:
	global_load_u8 v0, v[2:3], off
	s_waitcnt vmcnt(0)
	v_lshlrev_b32_e32 v1, 25, v0
	v_lshlrev_b16 v0, 8, v0
	s_delay_alu instid0(VALU_DEP_2) | instskip(NEXT) | instid1(VALU_DEP_2)
	v_lshrrev_b32_e32 v4, 4, v1
	v_and_or_b32 v5, 0x7f00, v0, 0.5
	v_cmp_gt_u32_e32 vcc_lo, 0x8000000, v1
	v_bfe_i32 v0, v0, 0, 16
	s_delay_alu instid0(VALU_DEP_4) | instskip(NEXT) | instid1(VALU_DEP_1)
	v_or_b32_e32 v4, 0x70000000, v4
	v_dual_add_f32 v5, -0.5, v5 :: v_dual_mul_f32 v4, 0x7800000, v4
	s_delay_alu instid0(VALU_DEP_1) | instskip(NEXT) | instid1(VALU_DEP_1)
	v_cndmask_b32_e32 v1, v4, v5, vcc_lo
	v_and_or_b32 v0, 0x80000000, v0, v1
	v_mov_b32_e32 v1, 0
.LBB176_975:
	s_mov_b32 s19, 0
	s_mov_b32 s20, -1
.LBB176_976:
	s_and_not1_b32 vcc_lo, exec_lo, s19
	s_mov_b32 s19, 0
	s_cbranch_vccnz .LBB176_986
; %bb.977:
	v_cmp_lt_i16_e32 vcc_lo, 14, v13
	s_cbranch_vccz .LBB176_980
; %bb.978:
	v_cmp_eq_u16_e32 vcc_lo, 15, v13
	s_cbranch_vccz .LBB176_981
; %bb.979:
	global_load_u16 v0, v[2:3], off
	s_mov_b32 s0, 0
	s_mov_b32 s20, -1
	s_mov_b32 s21, 0
	s_waitcnt vmcnt(0)
	v_lshlrev_b32_e32 v0, 16, v0
	s_branch .LBB176_983
.LBB176_980:
	s_mov_b32 s19, -1
	s_branch .LBB176_982
.LBB176_981:
	s_mov_b32 s0, -1
.LBB176_982:
                                        ; implicit-def: $sgpr21
                                        ; implicit-def: $vgpr0
.LBB176_983:
	s_and_b32 vcc_lo, exec_lo, s19
	s_mov_b32 s19, 0
	s_cbranch_vccz .LBB176_985
; %bb.984:
	v_cmp_ne_u16_e32 vcc_lo, 11, v13
	s_and_not1_b32 s0, s0, exec_lo
	s_mov_b32 s19, -1
                                        ; implicit-def: $vgpr0
	s_and_b32 s21, vcc_lo, exec_lo
	s_delay_alu instid0(SALU_CYCLE_1)
	s_or_b32 s0, s0, s21
                                        ; implicit-def: $sgpr21
.LBB176_985:
	v_mov_b32_e32 v1, s21
.LBB176_986:
	s_mov_b32 s22, 0
.LBB176_987:
	s_and_b32 s21, s20, exec_lo
	s_and_b32 s20, s22, exec_lo
	s_and_not1_b32 s22, s1, exec_lo
	s_and_b32 s23, s0, exec_lo
	s_and_b32 s0, s19, exec_lo
	s_or_b32 s19, s22, s23
.LBB176_988:
	s_or_b32 exec_lo, exec_lo, s11
	s_delay_alu instid0(SALU_CYCLE_1)
	s_and_not1_b32 s1, s1, exec_lo
	s_and_b32 s11, s19, exec_lo
	s_and_b32 s21, s21, exec_lo
	;; [unrolled: 1-line block ×4, first 2 shown]
	s_or_b32 s1, s1, s11
.LBB176_989:
	s_or_b32 exec_lo, exec_lo, s17
	s_delay_alu instid0(SALU_CYCLE_1)
	s_and_not1_b32 s0, s15, exec_lo
	s_and_b32 s11, s18, exec_lo
	s_and_b32 s17, s20, exec_lo
	s_or_b32 s15, s0, s11
	s_and_not1_b32 s11, s14, exec_lo
	s_and_b32 s14, s1, exec_lo
	s_and_b32 s0, s21, exec_lo
	;; [unrolled: 1-line block ×3, first 2 shown]
	s_or_b32 s14, s11, s14
.LBB176_990:
	s_or_b32 exec_lo, exec_lo, s16
	s_delay_alu instid0(SALU_CYCLE_1)
	s_and_not1_b32 s10, s10, exec_lo
	s_and_b32 s11, s15, exec_lo
	s_and_b32 s0, s0, exec_lo
	s_or_b32 s10, s10, s11
	s_and_not1_b32 s11, s12, exec_lo
	s_and_b32 s12, s14, exec_lo
	s_and_b32 s15, s17, exec_lo
	s_and_b32 s14, s1, exec_lo
	s_or_b32 s12, s11, s12
.LBB176_991:
	s_or_b32 exec_lo, exec_lo, s13
	s_mov_b32 s11, 0
	s_and_saveexec_b32 s1, s12
	s_cbranch_execnz .LBB176_1003
; %bb.992:
	s_or_b32 exec_lo, exec_lo, s1
	s_and_saveexec_b32 s1, s14
	s_delay_alu instid0(SALU_CYCLE_1)
	s_xor_b32 s1, exec_lo, s1
	s_cbranch_execz .LBB176_994
.LBB176_993:
	global_load_u8 v0, v[2:3], off
	s_waitcnt vmcnt(1)
	v_mov_b32_e32 v1, 0
	s_or_b32 s0, s0, exec_lo
	s_waitcnt vmcnt(0)
	v_cmp_ne_u16_e32 vcc_lo, 0, v0
	v_cndmask_b32_e64 v0, 0, 1.0, vcc_lo
.LBB176_994:
	s_or_b32 exec_lo, exec_lo, s1
	s_and_saveexec_b32 s1, s15
	s_cbranch_execz .LBB176_1044
; %bb.995:
	v_cmp_gt_i16_e32 vcc_lo, 5, v13
	s_cbranch_vccnz .LBB176_1000
; %bb.996:
	v_cmp_gt_i16_e32 vcc_lo, 8, v13
	s_cbranch_vccnz .LBB176_1001
; %bb.997:
	v_cmp_gt_i16_e32 vcc_lo, 9, v13
	s_cbranch_vccnz .LBB176_1002
; %bb.998:
	v_cmp_lt_i16_e32 vcc_lo, 9, v13
	s_cbranch_vccz .LBB176_1005
; %bb.999:
	global_load_b128 v[4:7], v[2:3], off
	s_mov_b32 s12, 0
	s_waitcnt vmcnt(0)
	v_cvt_f32_f64_e32 v0, v[4:5]
	v_cvt_f32_f64_e32 v1, v[6:7]
	s_branch .LBB176_1006
.LBB176_1000:
                                        ; implicit-def: $vgpr1
	s_branch .LBB176_1024
.LBB176_1001:
                                        ; implicit-def: $vgpr1
	s_branch .LBB176_1012
.LBB176_1002:
	s_mov_b32 s12, -1
                                        ; implicit-def: $vgpr1
	s_branch .LBB176_1009
.LBB176_1003:
	s_cbranch_execnz .LBB176_1091
; %bb.1004:
	s_mov_b32 s11, exec_lo
	s_and_not1_b32 s14, s14, exec_lo
                                        ; implicit-def: $vgpr1
	s_or_b32 exec_lo, exec_lo, s1
	s_and_saveexec_b32 s1, s14
	s_delay_alu instid0(SALU_CYCLE_1)
	s_xor_b32 s1, exec_lo, s1
	s_cbranch_execnz .LBB176_993
	s_branch .LBB176_994
.LBB176_1005:
	s_mov_b32 s12, -1
                                        ; implicit-def: $vgpr1
.LBB176_1006:
	s_delay_alu instid0(SALU_CYCLE_1)
	s_and_not1_b32 vcc_lo, exec_lo, s12
	s_cbranch_vccnz .LBB176_1008
; %bb.1007:
	global_load_b64 v[0:1], v[2:3], off
.LBB176_1008:
	s_mov_b32 s12, 0
.LBB176_1009:
	s_delay_alu instid0(SALU_CYCLE_1)
	s_and_not1_b32 vcc_lo, exec_lo, s12
	s_cbranch_vccnz .LBB176_1011
; %bb.1010:
	global_load_b32 v0, v[2:3], off
	s_waitcnt vmcnt(0)
	v_lshrrev_b32_e32 v1, 16, v0
	v_cvt_f32_f16_e32 v0, v0
	s_delay_alu instid0(VALU_DEP_2)
	v_cvt_f32_f16_e32 v1, v1
.LBB176_1011:
	s_cbranch_execnz .LBB176_1023
.LBB176_1012:
	v_cmp_gt_i16_e32 vcc_lo, 6, v13
	s_cbranch_vccnz .LBB176_1015
; %bb.1013:
	v_cmp_lt_i16_e32 vcc_lo, 6, v13
	s_cbranch_vccz .LBB176_1016
; %bb.1014:
	global_load_b64 v[0:1], v[2:3], off
	s_mov_b32 s13, 0
	s_mov_b32 s12, 0
	s_waitcnt vmcnt(0)
	v_cvt_f32_f64_e32 v0, v[0:1]
	s_branch .LBB176_1017
.LBB176_1015:
	s_mov_b32 s13, -1
                                        ; implicit-def: $sgpr12
                                        ; implicit-def: $vgpr0
	s_branch .LBB176_1020
.LBB176_1016:
	s_mov_b32 s13, -1
                                        ; implicit-def: $sgpr12
                                        ; implicit-def: $vgpr0
.LBB176_1017:
	s_delay_alu instid0(SALU_CYCLE_1)
	s_and_not1_b32 vcc_lo, exec_lo, s13
	s_cbranch_vccnz .LBB176_1019
; %bb.1018:
	global_load_b32 v0, v[2:3], off
	s_mov_b32 s12, 0
.LBB176_1019:
	s_mov_b32 s13, 0
.LBB176_1020:
	s_delay_alu instid0(SALU_CYCLE_1)
	s_and_not1_b32 vcc_lo, exec_lo, s13
	s_cbranch_vccnz .LBB176_1022
; %bb.1021:
	global_load_u16 v0, v[2:3], off
	s_mov_b32 s12, 0
	s_waitcnt vmcnt(0)
	v_cvt_f32_f16_e32 v0, v0
.LBB176_1022:
	s_waitcnt vmcnt(0)
	v_mov_b32_e32 v1, s12
.LBB176_1023:
	s_cbranch_execnz .LBB176_1043
.LBB176_1024:
	v_cmp_gt_i16_e32 vcc_lo, 2, v13
	s_cbranch_vccnz .LBB176_1028
; %bb.1025:
	v_cmp_gt_i16_e32 vcc_lo, 3, v13
	s_cbranch_vccnz .LBB176_1029
; %bb.1026:
	v_cmp_lt_i16_e32 vcc_lo, 3, v13
	s_cbranch_vccz .LBB176_1030
; %bb.1027:
	global_load_b64 v[0:1], v[2:3], off
	s_mov_b32 s13, 0
	s_mov_b32 s12, 0
	s_waitcnt vmcnt(0)
	v_xor_b32_e32 v4, v0, v1
	v_cls_i32_e32 v5, v1
	s_delay_alu instid0(VALU_DEP_2) | instskip(NEXT) | instid1(VALU_DEP_2)
	v_ashrrev_i32_e32 v4, 31, v4
	v_add_nc_u32_e32 v5, -1, v5
	s_delay_alu instid0(VALU_DEP_2) | instskip(NEXT) | instid1(VALU_DEP_1)
	v_add_nc_u32_e32 v4, 32, v4
	v_min_u32_e32 v4, v5, v4
	s_delay_alu instid0(VALU_DEP_1) | instskip(NEXT) | instid1(VALU_DEP_1)
	v_lshlrev_b64 v[0:1], v4, v[0:1]
	v_min_u32_e32 v0, 1, v0
	s_delay_alu instid0(VALU_DEP_1) | instskip(SKIP_1) | instid1(VALU_DEP_2)
	v_or_b32_e32 v0, v1, v0
	v_sub_nc_u32_e32 v1, 32, v4
	v_cvt_f32_i32_e32 v0, v0
	s_delay_alu instid0(VALU_DEP_1)
	v_ldexp_f32 v0, v0, v1
	s_branch .LBB176_1031
.LBB176_1028:
                                        ; implicit-def: $sgpr12
                                        ; implicit-def: $vgpr0
	s_branch .LBB176_1037
.LBB176_1029:
	s_mov_b32 s13, -1
                                        ; implicit-def: $sgpr12
                                        ; implicit-def: $vgpr0
	s_branch .LBB176_1034
.LBB176_1030:
	s_mov_b32 s13, -1
                                        ; implicit-def: $sgpr12
                                        ; implicit-def: $vgpr0
.LBB176_1031:
	s_delay_alu instid0(SALU_CYCLE_1)
	s_and_not1_b32 vcc_lo, exec_lo, s13
	s_cbranch_vccnz .LBB176_1033
; %bb.1032:
	global_load_b32 v0, v[2:3], off
	s_mov_b32 s12, 0
	s_waitcnt vmcnt(0)
	v_cvt_f32_i32_e32 v0, v0
.LBB176_1033:
	s_mov_b32 s13, 0
.LBB176_1034:
	s_delay_alu instid0(SALU_CYCLE_1)
	s_and_not1_b32 vcc_lo, exec_lo, s13
	s_cbranch_vccnz .LBB176_1036
; %bb.1035:
	global_load_i16 v0, v[2:3], off
	s_mov_b32 s12, 0
	s_waitcnt vmcnt(0)
	v_cvt_f32_i32_e32 v0, v0
.LBB176_1036:
	s_cbranch_execnz .LBB176_1042
.LBB176_1037:
	v_cmp_lt_i16_e32 vcc_lo, 0, v13
	s_mov_b32 s13, 0
	s_cbranch_vccz .LBB176_1039
; %bb.1038:
	global_load_i8 v0, v[2:3], off
	s_mov_b32 s12, 0
	s_waitcnt vmcnt(0)
	v_cvt_f32_i32_e32 v0, v0
	s_branch .LBB176_1040
.LBB176_1039:
	s_mov_b32 s13, -1
                                        ; implicit-def: $sgpr12
                                        ; implicit-def: $vgpr0
.LBB176_1040:
	s_delay_alu instid0(SALU_CYCLE_1)
	s_and_not1_b32 vcc_lo, exec_lo, s13
	s_cbranch_vccnz .LBB176_1042
; %bb.1041:
	global_load_u8 v0, v[2:3], off
	s_mov_b32 s12, 0
	s_waitcnt vmcnt(0)
	v_cvt_f32_ubyte0_e32 v0, v0
.LBB176_1042:
	s_waitcnt vmcnt(0)
	v_mov_b32_e32 v1, s12
.LBB176_1043:
	s_or_b32 s0, s0, exec_lo
.LBB176_1044:
	s_or_b32 exec_lo, exec_lo, s1
	s_mov_b32 s13, 0
	s_mov_b32 s1, 0
                                        ; implicit-def: $vgpr6
                                        ; implicit-def: $vgpr4_vgpr5
                                        ; implicit-def: $vgpr3
	s_and_saveexec_b32 s12, s0
	s_cbranch_execz .LBB176_1162
; %bb.1045:
	s_waitcnt vmcnt(0)
	s_delay_alu instid0(VALU_DEP_1) | instskip(NEXT) | instid1(VALU_DEP_2)
	v_cmp_neq_f32_e32 vcc_lo, 0, v0
	v_cmp_neq_f32_e64 s0, 0, v1
	v_mov_b32_e32 v4, 0
	s_delay_alu instid0(VALU_DEP_2) | instskip(NEXT) | instid1(SALU_CYCLE_1)
	s_or_b32 s0, vcc_lo, s0
	s_and_saveexec_b32 s13, s0
	s_cbranch_execz .LBB176_1075
; %bb.1046:
	v_mov_b32_e32 v4, 0x7f800000
	s_mov_b32 s14, exec_lo
	v_cmpx_neq_f32_e64 0x7f800000, |v1|
	s_cbranch_execz .LBB176_1074
; %bb.1047:
	s_mov_b32 s0, exec_lo
	v_cmpx_o_f32_e32 v0, v0
	s_xor_b32 s15, exec_lo, s0
	s_cbranch_execz .LBB176_1071
; %bb.1048:
	s_mov_b32 s1, exec_lo
	v_cmpx_neq_f32_e64 0x7f800000, |v0|
	s_xor_b32 s16, exec_lo, s1
	s_cbranch_execz .LBB176_1064
; %bb.1049:
	v_max_f32_e64 v2, |v1|, |v1|
	v_max_f32_e64 v3, |v0|, |v0|
                                        ; implicit-def: $sgpr17
	s_delay_alu instid0(VALU_DEP_1) | instskip(NEXT) | instid1(VALU_DEP_1)
	v_max_f32_e32 v2, v3, v2
	v_cmp_nle_f32_e64 s0, 0x7ed413cb, v2
	s_delay_alu instid0(VALU_DEP_1) | instskip(NEXT) | instid1(SALU_CYCLE_1)
	s_and_saveexec_b32 s1, s0
	s_xor_b32 s1, exec_lo, s1
	s_cbranch_execz .LBB176_1053
; %bb.1050:
	v_cmp_ge_f32_e64 s17, 0x1000000, |v0|
	v_cmp_ge_f32_e64 s18, 0x1000000, |v1|
	s_delay_alu instid0(VALU_DEP_1)
	s_and_b32 s19, s17, s18
	s_mov_b32 s17, 0
	s_and_saveexec_b32 s18, s19
; %bb.1051:
	v_dual_mul_f32 v1, 4.0, v1 :: v_dual_mul_f32 v0, 4.0, v0
	s_mov_b32 s17, exec_lo
; %bb.1052:
	s_or_b32 exec_lo, exec_lo, s18
	s_delay_alu instid0(SALU_CYCLE_1)
	s_and_b32 s17, s17, exec_lo
.LBB176_1053:
	s_and_not1_saveexec_b32 s1, s1
; %bb.1054:
	v_dual_mul_f32 v0, 0x3e800000, v0 :: v_dual_mul_f32 v1, 0x3e800000, v1
	s_and_not1_b32 s17, s17, exec_lo
; %bb.1055:
	s_or_b32 exec_lo, exec_lo, s1
	s_delay_alu instid0(VALU_DEP_1) | instskip(NEXT) | instid1(VALU_DEP_2)
	v_max_f32_e64 v2, |v1|, |v1|
	v_max_f32_e64 v3, |v0|, |v0|
	s_delay_alu instid0(VALU_DEP_1) | instskip(NEXT) | instid1(VALU_DEP_1)
	v_max_f32_e32 v4, v3, v2
	v_cvt_f64_f32_e32 v[2:3], v4
	s_delay_alu instid0(VALU_DEP_1) | instskip(NEXT) | instid1(VALU_DEP_1)
	v_frexp_exp_i32_f64_e32 v2, v[2:3]
	v_sub_nc_u32_e32 v3, 0, v2
	s_delay_alu instid0(VALU_DEP_1) | instskip(SKIP_1) | instid1(VALU_DEP_2)
	v_ldexp_f32 v5, |v1|, v3
	v_ldexp_f32 v3, |v0|, v3
	v_mul_f32_e32 v5, v5, v5
	v_cmp_neq_f32_e64 s1, 0x7f800000, v4
	s_delay_alu instid0(VALU_DEP_2) | instskip(NEXT) | instid1(VALU_DEP_1)
	v_fmac_f32_e32 v5, v3, v3
	v_sqrt_f32_e32 v3, v5
	s_waitcnt_depctr 0xfff
	v_ldexp_f32 v2, v3, v2
                                        ; implicit-def: $vgpr3
	s_delay_alu instid0(VALU_DEP_1)
	v_cndmask_b32_e64 v4, 0x7f800000, v2, s1
                                        ; implicit-def: $vgpr2
	s_mov_b32 s1, exec_lo
	v_cmpx_le_f32_e32 0, v0
	s_xor_b32 s18, exec_lo, s1
	s_cbranch_execz .LBB176_1057
; %bb.1056:
	v_add_f32_e32 v0, v0, v4
	s_delay_alu instid0(VALU_DEP_1) | instskip(NEXT) | instid1(VALU_DEP_1)
	v_mul_f32_e32 v0, 0.5, v0
	v_mul_f32_e32 v2, 0x4f800000, v0
	v_cmp_gt_f32_e32 vcc_lo, 0xf800000, v0
	s_delay_alu instid0(VALU_DEP_2) | instskip(NEXT) | instid1(VALU_DEP_1)
	v_cndmask_b32_e32 v0, v0, v2, vcc_lo
	v_sqrt_f32_e32 v2, v0
	s_waitcnt_depctr 0xfff
	v_add_nc_u32_e32 v3, -1, v2
	v_add_nc_u32_e32 v4, 1, v2
	s_delay_alu instid0(VALU_DEP_2) | instskip(NEXT) | instid1(VALU_DEP_2)
	v_fma_f32 v5, -v3, v2, v0
	v_fma_f32 v6, -v4, v2, v0
	s_delay_alu instid0(VALU_DEP_2) | instskip(NEXT) | instid1(VALU_DEP_1)
	v_cmp_ge_f32_e64 s1, 0, v5
	v_cndmask_b32_e64 v2, v2, v3, s1
	s_delay_alu instid0(VALU_DEP_3) | instskip(NEXT) | instid1(VALU_DEP_1)
	v_cmp_lt_f32_e64 s1, 0, v6
	v_cndmask_b32_e64 v2, v2, v4, s1
	s_delay_alu instid0(VALU_DEP_1) | instskip(NEXT) | instid1(VALU_DEP_1)
	v_mul_f32_e32 v3, 0x37800000, v2
	v_cndmask_b32_e32 v2, v2, v3, vcc_lo
	v_cmp_class_f32_e64 vcc_lo, v0, 0x260
	s_delay_alu instid0(VALU_DEP_2) | instskip(NEXT) | instid1(VALU_DEP_1)
	v_cndmask_b32_e32 v2, v2, v0, vcc_lo
	v_add_f32_e32 v0, v2, v2
	s_delay_alu instid0(VALU_DEP_1) | instskip(NEXT) | instid1(VALU_DEP_1)
	v_div_scale_f32 v3, null, v0, v0, v1
	v_rcp_f32_e32 v4, v3
	s_waitcnt_depctr 0xfff
	v_fma_f32 v5, -v3, v4, 1.0
	s_delay_alu instid0(VALU_DEP_1) | instskip(SKIP_1) | instid1(VALU_DEP_1)
	v_fmac_f32_e32 v4, v5, v4
	v_div_scale_f32 v5, vcc_lo, v1, v0, v1
	v_mul_f32_e32 v6, v5, v4
	s_delay_alu instid0(VALU_DEP_1) | instskip(NEXT) | instid1(VALU_DEP_1)
	v_fma_f32 v7, -v3, v6, v5
	v_fmac_f32_e32 v6, v7, v4
	s_delay_alu instid0(VALU_DEP_1) | instskip(NEXT) | instid1(VALU_DEP_1)
	v_fma_f32 v3, -v3, v6, v5
	v_div_fmas_f32 v3, v3, v4, v6
                                        ; implicit-def: $vgpr4
	s_delay_alu instid0(VALU_DEP_1)
	v_div_fixup_f32 v3, v3, v0, v1
                                        ; implicit-def: $vgpr0
	s_and_not1_saveexec_b32 s18, s18
	s_cbranch_execz .LBB176_1059
	s_branch .LBB176_1058
.LBB176_1057:
	s_and_not1_saveexec_b32 s18, s18
	s_cbranch_execz .LBB176_1059
.LBB176_1058:
	v_sub_f32_e32 v0, v4, v0
	s_delay_alu instid0(VALU_DEP_1) | instskip(NEXT) | instid1(VALU_DEP_1)
	v_mul_f32_e32 v0, 0.5, v0
	v_mul_f32_e32 v2, 0x4f800000, v0
	v_cmp_gt_f32_e32 vcc_lo, 0xf800000, v0
	s_delay_alu instid0(VALU_DEP_2) | instskip(NEXT) | instid1(VALU_DEP_1)
	v_cndmask_b32_e32 v0, v0, v2, vcc_lo
	v_sqrt_f32_e32 v2, v0
	s_waitcnt_depctr 0xfff
	v_add_nc_u32_e32 v3, -1, v2
	v_add_nc_u32_e32 v4, 1, v2
	s_delay_alu instid0(VALU_DEP_2) | instskip(NEXT) | instid1(VALU_DEP_2)
	v_fma_f32 v5, -v3, v2, v0
	v_fma_f32 v6, -v4, v2, v0
	s_delay_alu instid0(VALU_DEP_2) | instskip(NEXT) | instid1(VALU_DEP_1)
	v_cmp_ge_f32_e64 s1, 0, v5
	v_cndmask_b32_e64 v2, v2, v3, s1
	s_delay_alu instid0(VALU_DEP_3) | instskip(NEXT) | instid1(VALU_DEP_1)
	v_cmp_lt_f32_e64 s1, 0, v6
	v_cndmask_b32_e64 v2, v2, v4, s1
	s_delay_alu instid0(VALU_DEP_1) | instskip(NEXT) | instid1(VALU_DEP_1)
	v_mul_f32_e32 v3, 0x37800000, v2
	v_cndmask_b32_e32 v2, v2, v3, vcc_lo
	v_cmp_class_f32_e64 vcc_lo, v0, 0x260
	s_delay_alu instid0(VALU_DEP_2) | instskip(NEXT) | instid1(VALU_DEP_1)
	v_cndmask_b32_e32 v0, v2, v0, vcc_lo
	v_dual_add_f32 v3, v0, v0 :: v_dual_and_b32 v2, 0x7fffffff, v1
	s_delay_alu instid0(VALU_DEP_1) | instskip(SKIP_1) | instid1(VALU_DEP_2)
	v_div_scale_f32 v4, null, v3, v3, v2
	v_div_scale_f32 v2, vcc_lo, v2, v3, v2
	v_rcp_f32_e32 v5, v4
	s_waitcnt_depctr 0xfff
	v_fma_f32 v6, -v4, v5, 1.0
	s_delay_alu instid0(VALU_DEP_1) | instskip(NEXT) | instid1(VALU_DEP_1)
	v_fmac_f32_e32 v5, v6, v5
	v_mul_f32_e32 v6, v2, v5
	s_delay_alu instid0(VALU_DEP_1) | instskip(NEXT) | instid1(VALU_DEP_1)
	v_fma_f32 v7, -v4, v6, v2
	v_fmac_f32_e32 v6, v7, v5
	s_delay_alu instid0(VALU_DEP_1) | instskip(NEXT) | instid1(VALU_DEP_1)
	v_fma_f32 v2, -v4, v6, v2
	v_div_fmas_f32 v2, v2, v5, v6
	s_delay_alu instid0(VALU_DEP_1)
	v_div_fixup_f32 v2, v2, v3, |v1|
	v_bfi_b32 v3, 0x7fffffff, v0, v1
.LBB176_1059:
	s_or_b32 exec_lo, exec_lo, s18
                                        ; implicit-def: $vgpr1
	s_and_saveexec_b32 s1, s0
	s_delay_alu instid0(SALU_CYCLE_1)
	s_xor_b32 s0, exec_lo, s1
	s_cbranch_execz .LBB176_1061
; %bb.1060:
	v_dual_mul_f32 v0, 0.5, v2 :: v_dual_mul_f32 v1, 0.5, v3
	s_delay_alu instid0(VALU_DEP_1) | instskip(NEXT) | instid1(VALU_DEP_2)
	v_cndmask_b32_e64 v0, v2, v0, s17
	v_cndmask_b32_e64 v1, v3, v1, s17
                                        ; implicit-def: $vgpr2
                                        ; implicit-def: $vgpr3
	s_and_not1_saveexec_b32 s0, s0
	s_cbranch_execnz .LBB176_1062
	s_branch .LBB176_1063
.LBB176_1061:
	s_and_not1_saveexec_b32 s0, s0
.LBB176_1062:
	v_dual_add_f32 v0, v2, v2 :: v_dual_add_f32 v1, v3, v3
.LBB176_1063:
	s_or_b32 exec_lo, exec_lo, s0
.LBB176_1064:
	s_and_not1_saveexec_b32 s0, s16
	s_cbranch_execz .LBB176_1070
; %bb.1065:
	s_delay_alu instid0(VALU_DEP_1)
	v_sub_f32_e32 v2, v1, v1
	s_mov_b32 s1, exec_lo
	v_cmpx_lt_i32_e32 -1, v0
	s_xor_b32 s1, exec_lo, s1
; %bb.1066:
	s_delay_alu instid0(VALU_DEP_2)
	v_bfi_b32 v1, 0x7fffffff, v2, v1
                                        ; implicit-def: $vgpr2
; %bb.1067:
	s_and_not1_saveexec_b32 s1, s1
; %bb.1068:
	v_and_b32_e32 v2, 0x7fffffff, v2
	s_delay_alu instid0(VALU_DEP_2) | instskip(NEXT) | instid1(VALU_DEP_2)
	v_bfi_b32 v1, 0x7fffffff, v0, v1
	v_mov_b32_e32 v0, v2
; %bb.1069:
	s_or_b32 exec_lo, exec_lo, s1
.LBB176_1070:
	s_delay_alu instid0(SALU_CYCLE_1)
	s_or_b32 exec_lo, exec_lo, s0
.LBB176_1071:
	s_and_not1_saveexec_b32 s0, s15
; %bb.1072:
	v_sub_f32_e32 v1, v1, v1
	s_delay_alu instid0(VALU_DEP_1) | instskip(NEXT) | instid1(VALU_DEP_1)
	v_div_scale_f32 v2, vcc_lo, v1, v1, v1
	v_rcp_f32_e32 v3, v2
	s_waitcnt_depctr 0xfff
	v_fma_f32 v4, -v2, v3, 1.0
	s_delay_alu instid0(VALU_DEP_1) | instskip(NEXT) | instid1(VALU_DEP_1)
	v_fmac_f32_e32 v3, v4, v3
	v_mul_f32_e32 v4, v2, v3
	s_delay_alu instid0(VALU_DEP_1) | instskip(NEXT) | instid1(VALU_DEP_1)
	v_fma_f32 v5, -v2, v4, v2
	v_fmac_f32_e32 v4, v5, v3
	s_delay_alu instid0(VALU_DEP_1) | instskip(NEXT) | instid1(VALU_DEP_1)
	v_fma_f32 v2, -v2, v4, v2
	v_div_fmas_f32 v2, v2, v3, v4
	s_delay_alu instid0(VALU_DEP_1)
	v_div_fixup_f32 v1, v2, v1, v1
; %bb.1073:
	s_or_b32 exec_lo, exec_lo, s0
	v_mov_b32_e32 v4, v0
.LBB176_1074:
	s_or_b32 exec_lo, exec_lo, s14
.LBB176_1075:
	s_delay_alu instid0(SALU_CYCLE_1) | instskip(NEXT) | instid1(VALU_DEP_1)
	s_or_b32 exec_lo, exec_lo, s13
	v_cmp_gt_f32_e32 vcc_lo, 0, v4
                                        ; implicit-def: $vgpr3
	s_mov_b32 s0, exec_lo
	v_cndmask_b32_e64 v0, v4, -v4, vcc_lo
	v_cmp_gt_f32_e32 vcc_lo, 0, v1
	v_cndmask_b32_e64 v5, v1, -v1, vcc_lo
	s_delay_alu instid0(VALU_DEP_1)
	v_cmpx_ge_f32_e32 v0, v5
	s_xor_b32 s1, exec_lo, s0
	s_cbranch_execz .LBB176_1081
; %bb.1076:
	v_cmp_neq_f32_e32 vcc_lo, 0, v4
	v_cmp_neq_f32_e64 s0, 0, v1
                                        ; implicit-def: $vgpr3
	s_delay_alu instid0(VALU_DEP_1) | instskip(NEXT) | instid1(SALU_CYCLE_1)
	s_or_b32 s0, vcc_lo, s0
	s_and_saveexec_b32 s13, s0
	s_delay_alu instid0(SALU_CYCLE_1)
	s_xor_b32 s0, exec_lo, s13
	s_cbranch_execz .LBB176_1078
; %bb.1077:
	v_div_scale_f32 v0, null, v4, v4, v1
	v_div_scale_f32 v5, vcc_lo, v1, v4, v1
	s_delay_alu instid0(VALU_DEP_2) | instskip(SKIP_2) | instid1(VALU_DEP_1)
	v_rcp_f32_e32 v2, v0
	s_waitcnt_depctr 0xfff
	v_fma_f32 v3, -v0, v2, 1.0
	v_fmac_f32_e32 v2, v3, v2
	s_delay_alu instid0(VALU_DEP_1) | instskip(NEXT) | instid1(VALU_DEP_1)
	v_mul_f32_e32 v3, v5, v2
	v_fma_f32 v6, -v0, v3, v5
	s_delay_alu instid0(VALU_DEP_1) | instskip(NEXT) | instid1(VALU_DEP_1)
	v_fmac_f32_e32 v3, v6, v2
	v_fma_f32 v0, -v0, v3, v5
	s_delay_alu instid0(VALU_DEP_1) | instskip(NEXT) | instid1(VALU_DEP_1)
	v_div_fmas_f32 v0, v0, v2, v3
	v_div_fixup_f32 v0, v0, v4, v1
	s_delay_alu instid0(VALU_DEP_1) | instskip(NEXT) | instid1(VALU_DEP_1)
	v_fmac_f32_e32 v4, v1, v0
	v_div_scale_f32 v1, null, v4, v4, 1.0
	v_div_scale_f32 v5, vcc_lo, 1.0, v4, 1.0
	s_delay_alu instid0(VALU_DEP_2) | instskip(SKIP_2) | instid1(VALU_DEP_1)
	v_rcp_f32_e32 v2, v1
	s_waitcnt_depctr 0xfff
	v_fma_f32 v3, -v1, v2, 1.0
	v_fmac_f32_e32 v2, v3, v2
	s_delay_alu instid0(VALU_DEP_1) | instskip(NEXT) | instid1(VALU_DEP_1)
	v_mul_f32_e32 v3, v5, v2
	v_fma_f32 v6, -v1, v3, v5
	s_delay_alu instid0(VALU_DEP_1) | instskip(NEXT) | instid1(VALU_DEP_1)
	v_fmac_f32_e32 v3, v6, v2
	v_fma_f32 v1, -v1, v3, v5
                                        ; implicit-def: $vgpr5
	s_delay_alu instid0(VALU_DEP_1) | instskip(SKIP_1) | instid1(VALU_DEP_2)
	v_div_fmas_f32 v1, v1, v2, v3
	v_fma_f32 v2, v0, 0, 1.0
	v_div_fixup_f32 v1, v1, v4, 1.0
	s_delay_alu instid0(VALU_DEP_1)
	v_mul_f32_e32 v2, v2, v1
	v_mul_f32_e64 v3, -v0, v1
                                        ; implicit-def: $vgpr0
.LBB176_1078:
	s_and_not1_saveexec_b32 s13, s0
	s_cbranch_execz .LBB176_1080
; %bb.1079:
	v_div_scale_f32 v1, null, v0, v0, 1.0
	v_div_scale_f32 v2, null, v5, v5, 0
	v_div_scale_f32 v8, vcc_lo, 1.0, v0, 1.0
	s_delay_alu instid0(VALU_DEP_3) | instskip(NEXT) | instid1(VALU_DEP_2)
	v_rcp_f32_e32 v3, v1
	v_rcp_f32_e32 v4, v2
	s_waitcnt_depctr 0xfff
	v_fma_f32 v6, -v1, v3, 1.0
	v_fma_f32 v7, -v2, v4, 1.0
	s_delay_alu instid0(VALU_DEP_1) | instskip(SKIP_1) | instid1(VALU_DEP_2)
	v_dual_fmac_f32 v3, v6, v3 :: v_dual_fmac_f32 v4, v7, v4
	v_div_scale_f32 v6, s0, 0, v5, 0
	v_mul_f32_e32 v7, v8, v3
	s_delay_alu instid0(VALU_DEP_2) | instskip(NEXT) | instid1(VALU_DEP_2)
	v_mul_f32_e32 v9, v6, v4
	v_fma_f32 v10, -v1, v7, v8
	s_delay_alu instid0(VALU_DEP_2) | instskip(NEXT) | instid1(VALU_DEP_2)
	v_fma_f32 v13, -v2, v9, v6
	v_fmac_f32_e32 v7, v10, v3
	s_delay_alu instid0(VALU_DEP_2) | instskip(NEXT) | instid1(VALU_DEP_2)
	v_fmac_f32_e32 v9, v13, v4
	v_fma_f32 v1, -v1, v7, v8
	s_delay_alu instid0(VALU_DEP_2) | instskip(NEXT) | instid1(VALU_DEP_2)
	v_fma_f32 v2, -v2, v9, v6
	v_div_fmas_f32 v1, v1, v3, v7
	s_mov_b32 vcc_lo, s0
	s_delay_alu instid0(VALU_DEP_2) | instskip(NEXT) | instid1(VALU_DEP_2)
	v_div_fmas_f32 v3, v2, v4, v9
	v_div_fixup_f32 v2, v1, v0, 1.0
	s_delay_alu instid0(VALU_DEP_2)
	v_div_fixup_f32 v3, v3, v5, 0
.LBB176_1080:
	s_or_b32 exec_lo, exec_lo, s13
                                        ; implicit-def: $vgpr1
                                        ; implicit-def: $vgpr4
.LBB176_1081:
	s_and_not1_saveexec_b32 s0, s1
	s_cbranch_execz .LBB176_1083
; %bb.1082:
	v_div_scale_f32 v0, null, v1, v1, v4
	v_div_scale_f32 v5, vcc_lo, v4, v1, v4
	s_delay_alu instid0(VALU_DEP_2) | instskip(SKIP_2) | instid1(VALU_DEP_1)
	v_rcp_f32_e32 v2, v0
	s_waitcnt_depctr 0xfff
	v_fma_f32 v3, -v0, v2, 1.0
	v_fmac_f32_e32 v2, v3, v2
	s_delay_alu instid0(VALU_DEP_1) | instskip(NEXT) | instid1(VALU_DEP_1)
	v_mul_f32_e32 v3, v5, v2
	v_fma_f32 v6, -v0, v3, v5
	s_delay_alu instid0(VALU_DEP_1) | instskip(NEXT) | instid1(VALU_DEP_1)
	v_fmac_f32_e32 v3, v6, v2
	v_fma_f32 v0, -v0, v3, v5
	s_delay_alu instid0(VALU_DEP_1) | instskip(NEXT) | instid1(VALU_DEP_1)
	v_div_fmas_f32 v0, v0, v2, v3
	v_div_fixup_f32 v0, v0, v1, v4
	s_delay_alu instid0(VALU_DEP_1) | instskip(NEXT) | instid1(VALU_DEP_1)
	v_fmac_f32_e32 v1, v4, v0
	v_div_scale_f32 v2, null, v1, v1, 1.0
	v_div_scale_f32 v5, vcc_lo, 1.0, v1, 1.0
	s_delay_alu instid0(VALU_DEP_2) | instskip(SKIP_2) | instid1(VALU_DEP_1)
	v_rcp_f32_e32 v3, v2
	s_waitcnt_depctr 0xfff
	v_fma_f32 v4, -v2, v3, 1.0
	v_fmac_f32_e32 v3, v4, v3
	s_delay_alu instid0(VALU_DEP_1) | instskip(NEXT) | instid1(VALU_DEP_1)
	v_mul_f32_e32 v4, v5, v3
	v_fma_f32 v6, -v2, v4, v5
	s_delay_alu instid0(VALU_DEP_1) | instskip(NEXT) | instid1(VALU_DEP_1)
	v_fmac_f32_e32 v4, v6, v3
	v_fma_f32 v2, -v2, v4, v5
	s_delay_alu instid0(VALU_DEP_1) | instskip(SKIP_2) | instid1(VALU_DEP_3)
	v_div_fmas_f32 v2, v2, v3, v4
	v_add_f32_e32 v3, 0, v0
	v_fma_f32 v0, v0, 0, -1.0
	v_div_fixup_f32 v1, v2, v1, 1.0
	s_delay_alu instid0(VALU_DEP_1) | instskip(NEXT) | instid1(VALU_DEP_3)
	v_mul_f32_e32 v2, v3, v1
	v_mul_f32_e32 v3, v0, v1
.LBB176_1083:
	s_or_b32 exec_lo, exec_lo, s0
	v_mul_lo_u32 v0, v12, s2
	v_and_b32_e32 v6, 0xff, v11
	s_delay_alu instid0(VALU_DEP_1) | instskip(NEXT) | instid1(VALU_DEP_3)
	v_cmp_gt_i16_e32 vcc_lo, 11, v6
	v_ashrrev_i32_e32 v1, 31, v0
	v_add_co_u32 v4, s0, s4, v0
	s_delay_alu instid0(VALU_DEP_1)
	v_add_co_ci_u32_e64 v5, s0, s5, v1, s0
	s_cbranch_vccnz .LBB176_1090
; %bb.1084:
	v_cmp_lt_i16_e32 vcc_lo, 25, v6
	s_mov_b32 s1, -1
	s_mov_b32 s0, s10
	s_cbranch_vccz .LBB176_1120
; %bb.1085:
	v_cmp_lt_i16_e32 vcc_lo, 28, v6
	s_mov_b32 s0, s10
	s_cbranch_vccz .LBB176_1104
; %bb.1086:
	v_cmp_lt_i16_e32 vcc_lo, 43, v6
	;; [unrolled: 4-line block ×3, first 2 shown]
	s_mov_b32 s0, s10
	s_cbranch_vccz .LBB176_1094
; %bb.1088:
	v_cmp_eq_u16_e32 vcc_lo, 46, v6
	s_mov_b32 s0, -1
	s_cbranch_vccz .LBB176_1093
; %bb.1089:
	v_bfe_u32 v0, v3, 16, 1
	v_bfe_u32 v1, v2, 16, 1
	v_cmp_o_f32_e32 vcc_lo, v3, v3
	s_mov_b32 s0, 0
	s_mov_b32 s1, 0
	v_add3_u32 v0, v3, v0, 0x7fff
	v_add3_u32 v1, v2, v1, 0x7fff
	s_delay_alu instid0(VALU_DEP_2) | instskip(NEXT) | instid1(VALU_DEP_2)
	v_and_b32_e32 v0, 0xffff0000, v0
	v_lshrrev_b32_e32 v1, 16, v1
	s_delay_alu instid0(VALU_DEP_2) | instskip(SKIP_1) | instid1(VALU_DEP_3)
	v_cndmask_b32_e32 v0, 0x7fc00000, v0, vcc_lo
	v_cmp_o_f32_e32 vcc_lo, v2, v2
	v_cndmask_b32_e32 v1, 0x7fc0, v1, vcc_lo
	s_delay_alu instid0(VALU_DEP_1)
	v_or_b32_e32 v0, v0, v1
	global_store_b32 v[4:5], v0, off
	s_branch .LBB176_1094
.LBB176_1090:
	s_mov_b32 s13, 0
	s_mov_b32 s1, -1
	s_mov_b32 s0, s10
	s_branch .LBB176_1161
.LBB176_1091:
	s_trap 2
	s_sendmsg_rtn_b32 s0, sendmsg(MSG_RTN_GET_DOORBELL)
	s_mov_b32 ttmp2, m0
	s_waitcnt lgkmcnt(0)
	s_and_b32 s0, s0, 0x3ff
	s_delay_alu instid0(SALU_CYCLE_1) | instskip(NEXT) | instid1(SALU_CYCLE_1)
	s_bitset1_b32 s0, 10
	s_mov_b32 m0, s0
	s_sendmsg sendmsg(MSG_INTERRUPT)
	s_mov_b32 m0, ttmp2
.LBB176_1092:                           ; =>This Inner Loop Header: Depth=1
	s_sethalt 5
	s_branch .LBB176_1092
.LBB176_1093:
	s_mov_b32 s1, 0
.LBB176_1094:
	s_delay_alu instid0(SALU_CYCLE_1)
	s_and_b32 vcc_lo, exec_lo, s1
	s_cbranch_vccz .LBB176_1099
; %bb.1095:
	v_cmp_eq_u16_e32 vcc_lo, 44, v6
	s_mov_b32 s0, -1
	s_cbranch_vccz .LBB176_1099
; %bb.1096:
	v_bfe_u32 v1, v2, 23, 8
	v_mov_b32_e32 v0, 0xff
	s_mov_b32 s1, exec_lo
	s_delay_alu instid0(VALU_DEP_2)
	v_cmpx_ne_u32_e32 0xff, v1
; %bb.1097:
	v_and_b32_e32 v0, 0x400000, v2
	v_and_or_b32 v1, 0x3fffff, v2, v1
	s_delay_alu instid0(VALU_DEP_2) | instskip(NEXT) | instid1(VALU_DEP_2)
	v_cmp_ne_u32_e32 vcc_lo, 0, v0
	v_cmp_ne_u32_e64 s0, 0, v1
	v_lshrrev_b32_e32 v0, 23, v2
	s_delay_alu instid0(VALU_DEP_2) | instskip(NEXT) | instid1(SALU_CYCLE_1)
	s_and_b32 s0, vcc_lo, s0
	v_cndmask_b32_e64 v1, 0, 1, s0
	s_delay_alu instid0(VALU_DEP_1)
	v_add_nc_u32_e32 v0, v0, v1
; %bb.1098:
	s_or_b32 exec_lo, exec_lo, s1
	s_mov_b32 s0, 0
	global_store_b8 v[4:5], v0, off
.LBB176_1099:
	s_mov_b32 s1, 0
.LBB176_1100:
	s_delay_alu instid0(SALU_CYCLE_1)
	s_and_b32 vcc_lo, exec_lo, s1
	s_cbranch_vccz .LBB176_1103
; %bb.1101:
	v_cmp_eq_u16_e32 vcc_lo, 29, v6
	s_mov_b32 s0, -1
	s_cbranch_vccz .LBB176_1103
; %bb.1102:
	v_trunc_f32_e32 v0, v2
	s_mov_b32 s0, 0
	s_mov_b32 s1, 0
	s_delay_alu instid0(VALU_DEP_1) | instskip(NEXT) | instid1(VALU_DEP_1)
	v_mul_f32_e32 v1, 0x2f800000, v0
	v_floor_f32_e32 v1, v1
	s_delay_alu instid0(VALU_DEP_1) | instskip(SKIP_1) | instid1(VALU_DEP_2)
	v_fmamk_f32 v0, v1, 0xcf800000, v0
	v_cvt_u32_f32_e32 v1, v1
	v_cvt_u32_f32_e32 v0, v0
	global_store_b64 v[4:5], v[0:1], off
	s_branch .LBB176_1104
.LBB176_1103:
	s_mov_b32 s1, 0
.LBB176_1104:
	s_delay_alu instid0(SALU_CYCLE_1)
	s_and_b32 vcc_lo, exec_lo, s1
	s_cbranch_vccz .LBB176_1119
; %bb.1105:
	v_cmp_gt_i16_e32 vcc_lo, 27, v6
	s_mov_b32 s1, -1
	s_cbranch_vccnz .LBB176_1111
; %bb.1106:
	v_cmp_lt_i16_e32 vcc_lo, 27, v6
	v_cvt_u32_f32_e32 v0, v2
	s_cbranch_vccz .LBB176_1108
; %bb.1107:
	s_mov_b32 s1, 0
	global_store_b32 v[4:5], v0, off
.LBB176_1108:
	s_and_not1_b32 vcc_lo, exec_lo, s1
	s_cbranch_vccnz .LBB176_1110
; %bb.1109:
	global_store_b16 v[4:5], v0, off
.LBB176_1110:
	s_mov_b32 s1, 0
.LBB176_1111:
	s_delay_alu instid0(SALU_CYCLE_1)
	s_and_not1_b32 vcc_lo, exec_lo, s1
	s_cbranch_vccnz .LBB176_1119
; %bb.1112:
	v_and_b32_e32 v0, 0x7fffffff, v2
	v_mov_b32_e32 v1, 0x80
	s_mov_b32 s1, exec_lo
	s_delay_alu instid0(VALU_DEP_2)
	v_cmpx_gt_u32_e32 0x43800000, v0
	s_cbranch_execz .LBB176_1118
; %bb.1113:
	v_cmp_lt_u32_e32 vcc_lo, 0x3bffffff, v0
	s_mov_b32 s13, 0
                                        ; implicit-def: $vgpr0
	s_and_saveexec_b32 s14, vcc_lo
	s_delay_alu instid0(SALU_CYCLE_1)
	s_xor_b32 s14, exec_lo, s14
	s_cbranch_execz .LBB176_1397
; %bb.1114:
	v_bfe_u32 v0, v2, 20, 1
	s_mov_b32 s13, exec_lo
	s_delay_alu instid0(VALU_DEP_1) | instskip(NEXT) | instid1(VALU_DEP_1)
	v_add3_u32 v0, v2, v0, 0x487ffff
	v_lshrrev_b32_e32 v0, 20, v0
	s_or_saveexec_b32 s14, s14
                                        ; implicit-def: $sgpr15
	s_delay_alu instid0(SALU_CYCLE_1)
	s_xor_b32 exec_lo, exec_lo, s14
	s_cbranch_execnz .LBB176_1398
.LBB176_1115:
	s_or_b32 exec_lo, exec_lo, s14
	v_mov_b32_e32 v1, s15
	s_and_saveexec_b32 s14, s13
.LBB176_1116:
	v_lshrrev_b32_e32 v1, 24, v2
	s_delay_alu instid0(VALU_DEP_1)
	v_and_or_b32 v1, 0x80, v1, v0
.LBB176_1117:
	s_or_b32 exec_lo, exec_lo, s14
.LBB176_1118:
	s_delay_alu instid0(SALU_CYCLE_1)
	s_or_b32 exec_lo, exec_lo, s1
	global_store_b8 v[4:5], v1, off
.LBB176_1119:
	s_mov_b32 s1, 0
.LBB176_1120:
	s_delay_alu instid0(SALU_CYCLE_1)
	s_and_b32 vcc_lo, exec_lo, s1
	s_mov_b32 s1, 0
	s_cbranch_vccz .LBB176_1160
; %bb.1121:
	v_cmp_lt_i16_e32 vcc_lo, 22, v6
	s_mov_b32 s13, -1
	s_cbranch_vccz .LBB176_1153
; %bb.1122:
	v_cmp_gt_i16_e32 vcc_lo, 24, v6
	s_cbranch_vccnz .LBB176_1142
; %bb.1123:
	v_cmp_lt_i16_e32 vcc_lo, 24, v6
	s_cbranch_vccz .LBB176_1131
; %bb.1124:
	v_and_b32_e32 v0, 0x7fffffff, v2
	v_mov_b32_e32 v1, 0x80
	s_mov_b32 s13, exec_lo
	s_delay_alu instid0(VALU_DEP_2)
	v_cmpx_gt_u32_e32 0x47800000, v0
	s_cbranch_execz .LBB176_1130
; %bb.1125:
	v_cmp_lt_u32_e32 vcc_lo, 0x37ffffff, v0
	s_mov_b32 s14, 0
                                        ; implicit-def: $vgpr0
	s_and_saveexec_b32 s15, vcc_lo
	s_delay_alu instid0(SALU_CYCLE_1)
	s_xor_b32 s15, exec_lo, s15
	s_cbranch_execz .LBB176_1442
; %bb.1126:
	v_bfe_u32 v0, v2, 21, 1
	s_mov_b32 s14, exec_lo
	s_delay_alu instid0(VALU_DEP_1) | instskip(NEXT) | instid1(VALU_DEP_1)
	v_add3_u32 v0, v2, v0, 0x88fffff
	v_lshrrev_b32_e32 v0, 21, v0
	s_or_saveexec_b32 s15, s15
                                        ; implicit-def: $sgpr16
	s_delay_alu instid0(SALU_CYCLE_1)
	s_xor_b32 exec_lo, exec_lo, s15
	s_cbranch_execnz .LBB176_1443
.LBB176_1127:
	s_or_b32 exec_lo, exec_lo, s15
	v_mov_b32_e32 v1, s16
	s_and_saveexec_b32 s15, s14
.LBB176_1128:
	v_lshrrev_b32_e32 v1, 24, v2
	s_delay_alu instid0(VALU_DEP_1)
	v_and_or_b32 v1, 0x80, v1, v0
.LBB176_1129:
	s_or_b32 exec_lo, exec_lo, s15
.LBB176_1130:
	s_delay_alu instid0(SALU_CYCLE_1)
	s_or_b32 exec_lo, exec_lo, s13
	s_mov_b32 s13, 0
	global_store_b8 v[4:5], v1, off
.LBB176_1131:
	s_and_b32 vcc_lo, exec_lo, s13
	s_cbranch_vccz .LBB176_1141
; %bb.1132:
	v_and_b32_e32 v1, 0x7fffffff, v2
	s_mov_b32 s13, exec_lo
                                        ; implicit-def: $vgpr0
	s_delay_alu instid0(VALU_DEP_1)
	v_cmpx_gt_u32_e32 0x43f00000, v1
	s_xor_b32 s13, exec_lo, s13
	s_cbranch_execz .LBB176_1138
; %bb.1133:
	s_mov_b32 s14, exec_lo
                                        ; implicit-def: $vgpr0
	v_cmpx_lt_u32_e32 0x3c7fffff, v1
	s_xor_b32 s14, exec_lo, s14
; %bb.1134:
	v_bfe_u32 v0, v2, 20, 1
	s_delay_alu instid0(VALU_DEP_1) | instskip(NEXT) | instid1(VALU_DEP_1)
	v_add3_u32 v0, v2, v0, 0x407ffff
	v_and_b32_e32 v1, 0xff00000, v0
	v_lshrrev_b32_e32 v0, 20, v0
	s_delay_alu instid0(VALU_DEP_2) | instskip(NEXT) | instid1(VALU_DEP_2)
	v_cmp_ne_u32_e32 vcc_lo, 0x7f00000, v1
	v_cndmask_b32_e32 v0, 0x7e, v0, vcc_lo
; %bb.1135:
	s_and_not1_saveexec_b32 s14, s14
; %bb.1136:
	v_add_f32_e64 v0, 0x46800000, |v2|
; %bb.1137:
	s_or_b32 exec_lo, exec_lo, s14
                                        ; implicit-def: $vgpr1
.LBB176_1138:
	s_and_not1_saveexec_b32 s13, s13
; %bb.1139:
	v_mov_b32_e32 v0, 0x7f
	v_cmp_lt_u32_e32 vcc_lo, 0x7f800000, v1
	s_delay_alu instid0(VALU_DEP_2)
	v_cndmask_b32_e32 v0, 0x7e, v0, vcc_lo
; %bb.1140:
	s_or_b32 exec_lo, exec_lo, s13
	v_lshrrev_b32_e32 v1, 24, v2
	s_delay_alu instid0(VALU_DEP_1)
	v_and_or_b32 v0, 0x80, v1, v0
	global_store_b8 v[4:5], v0, off
.LBB176_1141:
	s_mov_b32 s13, 0
.LBB176_1142:
	s_delay_alu instid0(SALU_CYCLE_1)
	s_and_not1_b32 vcc_lo, exec_lo, s13
	s_cbranch_vccnz .LBB176_1152
; %bb.1143:
	v_and_b32_e32 v1, 0x7fffffff, v2
	s_mov_b32 s13, exec_lo
                                        ; implicit-def: $vgpr0
	s_delay_alu instid0(VALU_DEP_1)
	v_cmpx_gt_u32_e32 0x47800000, v1
	s_xor_b32 s13, exec_lo, s13
	s_cbranch_execz .LBB176_1149
; %bb.1144:
	s_mov_b32 s14, exec_lo
                                        ; implicit-def: $vgpr0
	v_cmpx_lt_u32_e32 0x387fffff, v1
	s_xor_b32 s14, exec_lo, s14
; %bb.1145:
	v_bfe_u32 v0, v2, 21, 1
	s_delay_alu instid0(VALU_DEP_1) | instskip(NEXT) | instid1(VALU_DEP_1)
	v_add3_u32 v0, v2, v0, 0x80fffff
	v_lshrrev_b32_e32 v0, 21, v0
; %bb.1146:
	s_and_not1_saveexec_b32 s14, s14
; %bb.1147:
	v_add_f32_e64 v0, 0x43000000, |v2|
; %bb.1148:
	s_or_b32 exec_lo, exec_lo, s14
                                        ; implicit-def: $vgpr1
.LBB176_1149:
	s_and_not1_saveexec_b32 s13, s13
; %bb.1150:
	v_mov_b32_e32 v0, 0x7f
	v_cmp_lt_u32_e32 vcc_lo, 0x7f800000, v1
	s_delay_alu instid0(VALU_DEP_2)
	v_cndmask_b32_e32 v0, 0x7c, v0, vcc_lo
; %bb.1151:
	s_or_b32 exec_lo, exec_lo, s13
	v_lshrrev_b32_e32 v1, 24, v2
	s_delay_alu instid0(VALU_DEP_1)
	v_and_or_b32 v0, 0x80, v1, v0
	global_store_b8 v[4:5], v0, off
.LBB176_1152:
	s_mov_b32 s13, 0
.LBB176_1153:
	s_delay_alu instid0(SALU_CYCLE_1)
	s_and_not1_b32 vcc_lo, exec_lo, s13
	s_mov_b32 s13, 0
	s_cbranch_vccnz .LBB176_1161
; %bb.1154:
	v_cmp_lt_i16_e32 vcc_lo, 14, v6
	s_mov_b32 s13, -1
	s_cbranch_vccz .LBB176_1158
; %bb.1155:
	v_cmp_eq_u16_e32 vcc_lo, 15, v6
	s_mov_b32 s0, -1
	s_cbranch_vccz .LBB176_1157
; %bb.1156:
	v_bfe_u32 v0, v2, 16, 1
	v_cmp_o_f32_e32 vcc_lo, v2, v2
	s_mov_b32 s0, 0
	s_delay_alu instid0(VALU_DEP_2) | instskip(NEXT) | instid1(VALU_DEP_1)
	v_add3_u32 v0, v2, v0, 0x7fff
	v_lshrrev_b32_e32 v0, 16, v0
	s_delay_alu instid0(VALU_DEP_1)
	v_cndmask_b32_e32 v0, 0x7fc0, v0, vcc_lo
	global_store_b16 v[4:5], v0, off
.LBB176_1157:
	s_mov_b32 s13, 0
.LBB176_1158:
	s_delay_alu instid0(SALU_CYCLE_1)
	s_and_b32 vcc_lo, exec_lo, s13
	s_mov_b32 s13, 0
	s_cbranch_vccz .LBB176_1161
; %bb.1159:
	v_cmp_ne_u16_e32 vcc_lo, 11, v6
	s_and_not1_b32 s0, s0, exec_lo
	s_mov_b32 s13, -1
	s_and_b32 s14, vcc_lo, exec_lo
	s_delay_alu instid0(SALU_CYCLE_1)
	s_or_b32 s0, s0, s14
	s_branch .LBB176_1161
.LBB176_1160:
	s_mov_b32 s13, 0
.LBB176_1161:
	s_and_not1_b32 s10, s10, exec_lo
	s_and_b32 s0, s0, exec_lo
	s_and_b32 s1, s1, exec_lo
	;; [unrolled: 1-line block ×3, first 2 shown]
	s_or_b32 s10, s10, s0
.LBB176_1162:
	s_or_b32 exec_lo, exec_lo, s12
	s_and_saveexec_b32 s0, s10
	s_cbranch_execnz .LBB176_1225
; %bb.1163:
	s_or_b32 exec_lo, exec_lo, s0
	s_and_saveexec_b32 s0, s13
	s_delay_alu instid0(SALU_CYCLE_1)
	s_xor_b32 s10, exec_lo, s0
	s_cbranch_execz .LBB176_1165
.LBB176_1164:
	v_cmp_neq_f32_e32 vcc_lo, 0, v2
	v_cmp_neq_f32_e64 s0, 0, v3
	s_delay_alu instid0(VALU_DEP_1)
	s_or_b32 s0, vcc_lo, s0
	s_waitcnt vmcnt(0)
	v_cndmask_b32_e64 v0, 0, 1, s0
	global_store_b8 v[4:5], v0, off
.LBB176_1165:
	s_or_b32 exec_lo, exec_lo, s10
	s_and_saveexec_b32 s0, s1
	s_delay_alu instid0(SALU_CYCLE_1)
	s_xor_b32 s0, exec_lo, s0
	s_cbranch_execz .LBB176_1203
; %bb.1166:
	v_cmp_gt_i16_e32 vcc_lo, 5, v6
	s_mov_b32 s1, -1
	s_cbranch_vccnz .LBB176_1187
; %bb.1167:
	v_cmp_gt_i16_e32 vcc_lo, 8, v6
	s_cbranch_vccnz .LBB176_1177
; %bb.1168:
	v_cmp_gt_i16_e32 vcc_lo, 9, v6
	s_cbranch_vccnz .LBB176_1174
; %bb.1169:
	v_cmp_lt_i16_e32 vcc_lo, 9, v6
	s_cbranch_vccz .LBB176_1171
; %bb.1170:
	v_cvt_f64_f32_e32 v[7:8], v2
	v_cvt_f64_f32_e32 v[9:10], v3
	s_mov_b32 s1, 0
	global_store_b128 v[4:5], v[7:10], off
.LBB176_1171:
	s_and_not1_b32 vcc_lo, exec_lo, s1
	s_cbranch_vccnz .LBB176_1173
; %bb.1172:
	global_store_b64 v[4:5], v[2:3], off
.LBB176_1173:
	s_mov_b32 s1, 0
.LBB176_1174:
	s_delay_alu instid0(SALU_CYCLE_1)
	s_and_not1_b32 vcc_lo, exec_lo, s1
	s_cbranch_vccnz .LBB176_1176
; %bb.1175:
	s_waitcnt vmcnt(0)
	v_cvt_f16_f32_e32 v0, v3
	v_cvt_f16_f32_e32 v1, v2
	s_delay_alu instid0(VALU_DEP_2) | instskip(NEXT) | instid1(VALU_DEP_2)
	v_lshlrev_b32_e32 v0, 16, v0
	v_and_b32_e32 v1, 0xffff, v1
	s_delay_alu instid0(VALU_DEP_1)
	v_or_b32_e32 v0, v0, v1
	global_store_b32 v[4:5], v0, off
.LBB176_1176:
	s_mov_b32 s1, 0
.LBB176_1177:
	s_delay_alu instid0(SALU_CYCLE_1)
	s_and_not1_b32 vcc_lo, exec_lo, s1
	s_cbranch_vccnz .LBB176_1186
; %bb.1178:
	v_cmp_gt_i16_e32 vcc_lo, 6, v6
	s_mov_b32 s1, -1
	s_cbranch_vccnz .LBB176_1184
; %bb.1179:
	v_cmp_lt_i16_e32 vcc_lo, 6, v6
	s_cbranch_vccz .LBB176_1181
; %bb.1180:
	s_waitcnt vmcnt(0)
	v_cvt_f64_f32_e32 v[0:1], v2
	s_mov_b32 s1, 0
	global_store_b64 v[4:5], v[0:1], off
.LBB176_1181:
	s_and_not1_b32 vcc_lo, exec_lo, s1
	s_cbranch_vccnz .LBB176_1183
; %bb.1182:
	global_store_b32 v[4:5], v2, off
.LBB176_1183:
	s_mov_b32 s1, 0
.LBB176_1184:
	s_delay_alu instid0(SALU_CYCLE_1)
	s_and_not1_b32 vcc_lo, exec_lo, s1
	s_cbranch_vccnz .LBB176_1186
; %bb.1185:
	s_waitcnt vmcnt(0)
	v_cvt_f16_f32_e32 v0, v2
	global_store_b16 v[4:5], v0, off
.LBB176_1186:
	s_mov_b32 s1, 0
.LBB176_1187:
	s_delay_alu instid0(SALU_CYCLE_1)
	s_and_not1_b32 vcc_lo, exec_lo, s1
	s_cbranch_vccnz .LBB176_1203
; %bb.1188:
	v_cmp_gt_i16_e32 vcc_lo, 2, v6
	s_mov_b32 s1, -1
	s_cbranch_vccnz .LBB176_1198
; %bb.1189:
	v_cmp_gt_i16_e32 vcc_lo, 3, v6
	s_cbranch_vccnz .LBB176_1195
; %bb.1190:
	v_cmp_lt_i16_e32 vcc_lo, 3, v6
	s_cbranch_vccz .LBB176_1192
; %bb.1191:
	s_waitcnt vmcnt(0)
	v_trunc_f32_e32 v0, v2
	s_mov_b32 s1, 0
	s_delay_alu instid0(VALU_DEP_1) | instskip(SKIP_1) | instid1(VALU_DEP_2)
	v_mul_f32_e64 v1, 0x2f800000, |v0|
	v_ashrrev_i32_e32 v7, 31, v0
	v_floor_f32_e32 v1, v1
	s_delay_alu instid0(VALU_DEP_1) | instskip(SKIP_1) | instid1(VALU_DEP_2)
	v_fma_f32 v3, 0xcf800000, v1, |v0|
	v_cvt_u32_f32_e32 v1, v1
	v_cvt_u32_f32_e32 v0, v3
	s_delay_alu instid0(VALU_DEP_2) | instskip(NEXT) | instid1(VALU_DEP_2)
	v_xor_b32_e32 v1, v1, v7
	v_xor_b32_e32 v0, v0, v7
	s_delay_alu instid0(VALU_DEP_1) | instskip(NEXT) | instid1(VALU_DEP_3)
	v_sub_co_u32 v0, vcc_lo, v0, v7
	v_sub_co_ci_u32_e32 v1, vcc_lo, v1, v7, vcc_lo
	global_store_b64 v[4:5], v[0:1], off
.LBB176_1192:
	s_and_not1_b32 vcc_lo, exec_lo, s1
	s_cbranch_vccnz .LBB176_1194
; %bb.1193:
	s_waitcnt vmcnt(0)
	v_cvt_i32_f32_e32 v0, v2
	global_store_b32 v[4:5], v0, off
.LBB176_1194:
	s_mov_b32 s1, 0
.LBB176_1195:
	s_delay_alu instid0(SALU_CYCLE_1)
	s_and_not1_b32 vcc_lo, exec_lo, s1
	s_cbranch_vccnz .LBB176_1197
; %bb.1196:
	s_waitcnt vmcnt(0)
	v_cvt_i32_f32_e32 v0, v2
	global_store_b16 v[4:5], v0, off
.LBB176_1197:
	s_mov_b32 s1, 0
.LBB176_1198:
	s_delay_alu instid0(SALU_CYCLE_1)
	s_and_not1_b32 vcc_lo, exec_lo, s1
	s_cbranch_vccnz .LBB176_1203
; %bb.1199:
	v_cmp_lt_i16_e32 vcc_lo, 0, v6
	s_mov_b32 s1, -1
	s_cbranch_vccz .LBB176_1201
; %bb.1200:
	s_waitcnt vmcnt(0)
	v_cvt_i32_f32_e32 v0, v2
	s_mov_b32 s1, 0
	global_store_b8 v[4:5], v0, off
.LBB176_1201:
	s_and_not1_b32 vcc_lo, exec_lo, s1
	s_cbranch_vccnz .LBB176_1203
; %bb.1202:
	s_waitcnt vmcnt(0)
	v_trunc_f32_e32 v0, v2
	s_delay_alu instid0(VALU_DEP_1) | instskip(NEXT) | instid1(VALU_DEP_1)
	v_mul_f32_e64 v1, 0x2f800000, |v0|
	v_floor_f32_e32 v1, v1
	s_delay_alu instid0(VALU_DEP_1) | instskip(SKIP_1) | instid1(VALU_DEP_2)
	v_fma_f32 v1, 0xcf800000, v1, |v0|
	v_ashrrev_i32_e32 v0, 31, v0
	v_cvt_u32_f32_e32 v1, v1
	s_delay_alu instid0(VALU_DEP_1) | instskip(NEXT) | instid1(VALU_DEP_1)
	v_xor_b32_e32 v1, v1, v0
	v_sub_nc_u32_e32 v0, v1, v0
	global_store_b8 v[4:5], v0, off
.LBB176_1203:
	s_or_b32 exec_lo, exec_lo, s0
	s_delay_alu instid0(SALU_CYCLE_1)
	s_and_b32 s10, s11, exec_lo
                                        ; implicit-def: $vgpr12
                                        ; implicit-def: $vgpr13
                                        ; implicit-def: $vgpr11
.LBB176_1204:
	s_or_saveexec_b32 s9, s9
	s_mov_b32 s11, 0
                                        ; implicit-def: $vgpr10
                                        ; implicit-def: $vgpr0_vgpr1
                                        ; implicit-def: $vgpr7
	s_xor_b32 exec_lo, exec_lo, s9
	s_cbranch_execz .LBB176_1882
; %bb.1205:
	v_mul_lo_u32 v5, s3, v12
	v_cmp_gt_i16_e32 vcc_lo, 11, v13
	s_and_b32 vcc_lo, exec_lo, vcc_lo
	s_waitcnt vmcnt(0)
	s_delay_alu instid0(VALU_DEP_2) | instskip(SKIP_1) | instid1(VALU_DEP_1)
	v_ashrrev_i32_e32 v0, 31, v5
	v_add_co_u32 v3, s0, s6, v5
	v_add_co_ci_u32_e64 v4, s0, s7, v0, s0
	s_cbranch_vccnz .LBB176_1212
; %bb.1206:
	v_cmp_lt_i16_e32 vcc_lo, 25, v13
	s_mov_b32 s1, 0
	s_cbranch_vccz .LBB176_1218
; %bb.1207:
	v_cmp_lt_i16_e32 vcc_lo, 28, v13
	s_cbranch_vccz .LBB176_1221
; %bb.1208:
	v_cmp_lt_i16_e32 vcc_lo, 43, v13
	;; [unrolled: 3-line block ×3, first 2 shown]
	s_cbranch_vccz .LBB176_1227
; %bb.1210:
	v_cmp_eq_u16_e32 vcc_lo, 46, v13
	s_cbranch_vccz .LBB176_1268
; %bb.1211:
	global_load_b32 v0, v[3:4], off
	s_mov_b32 s0, 0
	s_mov_b32 s11, -1
	s_waitcnt vmcnt(0)
	v_and_b32_e32 v2, 0xffff0000, v0
	v_lshlrev_b32_e32 v1, 16, v0
	s_branch .LBB176_1270
.LBB176_1212:
	s_mov_b32 s8, s10
                                        ; implicit-def: $vgpr2
	s_cbranch_execz .LBB176_1336
; %bb.1213:
	v_cmp_gt_i16_e32 vcc_lo, 5, v13
	s_cbranch_vccnz .LBB176_1219
; %bb.1214:
	v_cmp_gt_i16_e32 vcc_lo, 8, v13
	s_cbranch_vccnz .LBB176_1222
	;; [unrolled: 3-line block ×3, first 2 shown]
; %bb.1216:
	v_cmp_lt_i16_e32 vcc_lo, 9, v13
	s_cbranch_vccz .LBB176_1228
; %bb.1217:
	global_load_b128 v[6:9], v[3:4], off
	s_mov_b32 s0, 0
	s_waitcnt vmcnt(0)
	v_cvt_f32_f64_e32 v1, v[6:7]
	v_cvt_f32_f64_e32 v2, v[8:9]
	s_branch .LBB176_1229
.LBB176_1218:
	s_mov_b32 s0, 0
                                        ; implicit-def: $vgpr2
	s_cbranch_execnz .LBB176_1302
	s_branch .LBB176_1332
.LBB176_1219:
                                        ; implicit-def: $vgpr2
	s_branch .LBB176_1247
.LBB176_1220:
                                        ; implicit-def: $vgpr6
	s_branch .LBB176_1337
.LBB176_1221:
	s_mov_b32 s0, 0
                                        ; implicit-def: $vgpr2
	s_cbranch_execnz .LBB176_1282
	s_branch .LBB176_1301
.LBB176_1222:
                                        ; implicit-def: $vgpr2
	s_branch .LBB176_1235
.LBB176_1223:
	s_mov_b32 s8, -1
	s_mov_b32 s0, 0
                                        ; implicit-def: $vgpr2
	s_branch .LBB176_1276
.LBB176_1224:
	s_mov_b32 s0, -1
                                        ; implicit-def: $vgpr2
	s_branch .LBB176_1232
.LBB176_1225:
	s_cbranch_execnz .LBB176_1266
; %bb.1226:
	s_or_b32 s11, s11, exec_lo
	s_and_not1_b32 s13, s13, exec_lo
	s_or_b32 exec_lo, exec_lo, s0
	s_and_saveexec_b32 s0, s13
	s_delay_alu instid0(SALU_CYCLE_1)
	s_xor_b32 s10, exec_lo, s0
	s_cbranch_execnz .LBB176_1164
	s_branch .LBB176_1165
.LBB176_1227:
	s_mov_b32 s8, -1
	s_mov_b32 s0, 0
	s_branch .LBB176_1269
.LBB176_1228:
	s_mov_b32 s0, -1
                                        ; implicit-def: $vgpr2
.LBB176_1229:
	s_delay_alu instid0(SALU_CYCLE_1)
	s_and_not1_b32 vcc_lo, exec_lo, s0
	s_cbranch_vccnz .LBB176_1231
; %bb.1230:
	global_load_b64 v[1:2], v[3:4], off
.LBB176_1231:
	s_mov_b32 s0, 0
.LBB176_1232:
	s_delay_alu instid0(SALU_CYCLE_1)
	s_and_not1_b32 vcc_lo, exec_lo, s0
	s_cbranch_vccnz .LBB176_1234
; %bb.1233:
	global_load_b32 v0, v[3:4], off
	s_waitcnt vmcnt(0)
	v_lshrrev_b32_e32 v2, 16, v0
	v_cvt_f32_f16_e32 v1, v0
	s_delay_alu instid0(VALU_DEP_2)
	v_cvt_f32_f16_e32 v2, v2
.LBB176_1234:
	s_cbranch_execnz .LBB176_1246
.LBB176_1235:
	v_cmp_gt_i16_e32 vcc_lo, 6, v13
	s_cbranch_vccnz .LBB176_1238
; %bb.1236:
	v_cmp_lt_i16_e32 vcc_lo, 6, v13
	s_cbranch_vccz .LBB176_1239
; %bb.1237:
	global_load_b64 v[0:1], v[3:4], off
	s_mov_b32 s1, 0
	s_mov_b32 s0, 0
	s_waitcnt vmcnt(0)
	v_cvt_f32_f64_e32 v1, v[0:1]
	s_branch .LBB176_1240
.LBB176_1238:
	s_mov_b32 s1, -1
                                        ; implicit-def: $sgpr0
                                        ; implicit-def: $vgpr1
	s_branch .LBB176_1243
.LBB176_1239:
	s_mov_b32 s1, -1
                                        ; implicit-def: $sgpr0
                                        ; implicit-def: $vgpr1
.LBB176_1240:
	s_delay_alu instid0(SALU_CYCLE_1)
	s_and_not1_b32 vcc_lo, exec_lo, s1
	s_cbranch_vccnz .LBB176_1242
; %bb.1241:
	global_load_b32 v1, v[3:4], off
	s_mov_b32 s0, 0
.LBB176_1242:
	s_mov_b32 s1, 0
.LBB176_1243:
	s_delay_alu instid0(SALU_CYCLE_1)
	s_and_not1_b32 vcc_lo, exec_lo, s1
	s_cbranch_vccnz .LBB176_1245
; %bb.1244:
	global_load_u16 v0, v[3:4], off
	s_mov_b32 s0, 0
	s_waitcnt vmcnt(0)
	v_cvt_f32_f16_e32 v1, v0
.LBB176_1245:
	s_waitcnt vmcnt(0)
	v_mov_b32_e32 v2, s0
.LBB176_1246:
	s_cbranch_execnz .LBB176_1220
.LBB176_1247:
	v_cmp_gt_i16_e32 vcc_lo, 2, v13
	s_cbranch_vccnz .LBB176_1251
; %bb.1248:
	v_cmp_gt_i16_e32 vcc_lo, 3, v13
	s_cbranch_vccnz .LBB176_1252
; %bb.1249:
	v_cmp_lt_i16_e32 vcc_lo, 3, v13
	s_cbranch_vccz .LBB176_1253
; %bb.1250:
	global_load_b64 v[0:1], v[3:4], off
	s_mov_b32 s1, 0
	s_mov_b32 s0, 0
	s_waitcnt vmcnt(0)
	v_xor_b32_e32 v2, v0, v1
	v_cls_i32_e32 v6, v1
	s_delay_alu instid0(VALU_DEP_2) | instskip(NEXT) | instid1(VALU_DEP_2)
	v_ashrrev_i32_e32 v2, 31, v2
	v_add_nc_u32_e32 v6, -1, v6
	s_delay_alu instid0(VALU_DEP_2) | instskip(NEXT) | instid1(VALU_DEP_1)
	v_add_nc_u32_e32 v2, 32, v2
	v_min_u32_e32 v2, v6, v2
	s_delay_alu instid0(VALU_DEP_1) | instskip(NEXT) | instid1(VALU_DEP_1)
	v_lshlrev_b64 v[0:1], v2, v[0:1]
	v_min_u32_e32 v0, 1, v0
	s_delay_alu instid0(VALU_DEP_1) | instskip(SKIP_1) | instid1(VALU_DEP_2)
	v_or_b32_e32 v0, v1, v0
	v_sub_nc_u32_e32 v1, 32, v2
	v_cvt_f32_i32_e32 v0, v0
	s_delay_alu instid0(VALU_DEP_1)
	v_ldexp_f32 v1, v0, v1
	s_branch .LBB176_1254
.LBB176_1251:
                                        ; implicit-def: $sgpr0
                                        ; implicit-def: $vgpr1
	s_branch .LBB176_1260
.LBB176_1252:
	s_mov_b32 s1, -1
                                        ; implicit-def: $sgpr0
                                        ; implicit-def: $vgpr1
	s_branch .LBB176_1257
.LBB176_1253:
	s_mov_b32 s1, -1
                                        ; implicit-def: $sgpr0
                                        ; implicit-def: $vgpr1
.LBB176_1254:
	s_delay_alu instid0(SALU_CYCLE_1)
	s_and_not1_b32 vcc_lo, exec_lo, s1
	s_cbranch_vccnz .LBB176_1256
; %bb.1255:
	global_load_b32 v0, v[3:4], off
	s_mov_b32 s0, 0
	s_waitcnt vmcnt(0)
	v_cvt_f32_i32_e32 v1, v0
.LBB176_1256:
	s_mov_b32 s1, 0
.LBB176_1257:
	s_delay_alu instid0(SALU_CYCLE_1)
	s_and_not1_b32 vcc_lo, exec_lo, s1
	s_cbranch_vccnz .LBB176_1259
; %bb.1258:
	global_load_i16 v0, v[3:4], off
	s_mov_b32 s0, 0
	s_waitcnt vmcnt(0)
	v_cvt_f32_i32_e32 v1, v0
.LBB176_1259:
	s_cbranch_execnz .LBB176_1265
.LBB176_1260:
	v_cmp_lt_i16_e32 vcc_lo, 0, v13
	s_mov_b32 s1, 0
	s_cbranch_vccz .LBB176_1262
; %bb.1261:
	global_load_i8 v0, v[3:4], off
	s_mov_b32 s0, 0
	s_waitcnt vmcnt(0)
	v_cvt_f32_i32_e32 v1, v0
	s_branch .LBB176_1263
.LBB176_1262:
	s_mov_b32 s1, -1
                                        ; implicit-def: $sgpr0
                                        ; implicit-def: $vgpr1
.LBB176_1263:
	s_delay_alu instid0(SALU_CYCLE_1)
	s_and_not1_b32 vcc_lo, exec_lo, s1
	s_cbranch_vccnz .LBB176_1265
; %bb.1264:
	global_load_u8 v0, v[3:4], off
	s_mov_b32 s0, 0
	s_waitcnt vmcnt(0)
	v_cvt_f32_ubyte0_e32 v1, v0
.LBB176_1265:
	s_waitcnt vmcnt(0)
	v_mov_b32_e32 v2, s0
                                        ; implicit-def: $vgpr6
	s_branch .LBB176_1337
.LBB176_1266:
	s_trap 2
	s_sendmsg_rtn_b32 s0, sendmsg(MSG_RTN_GET_DOORBELL)
	s_mov_b32 ttmp2, m0
	s_waitcnt lgkmcnt(0)
	s_and_b32 s0, s0, 0x3ff
	s_delay_alu instid0(SALU_CYCLE_1) | instskip(NEXT) | instid1(SALU_CYCLE_1)
	s_bitset1_b32 s0, 10
	s_mov_b32 m0, s0
	s_sendmsg sendmsg(MSG_INTERRUPT)
	s_mov_b32 m0, ttmp2
.LBB176_1267:                           ; =>This Inner Loop Header: Depth=1
	s_sethalt 5
	s_branch .LBB176_1267
.LBB176_1268:
	s_mov_b32 s0, -1
.LBB176_1269:
                                        ; implicit-def: $vgpr2
.LBB176_1270:
	s_and_b32 vcc_lo, exec_lo, s8
	s_cbranch_vccz .LBB176_1275
; %bb.1271:
	v_cmp_eq_u16_e32 vcc_lo, 44, v13
	s_cbranch_vccz .LBB176_1273
; %bb.1272:
	global_load_u8 v0, v[3:4], off
	s_mov_b32 s0, 0
	s_mov_b32 s11, -1
	s_waitcnt vmcnt(0)
	v_lshlrev_b32_e32 v1, 23, v0
	v_cmp_ne_u32_e32 vcc_lo, 0xff, v0
	s_delay_alu instid0(VALU_DEP_2) | instskip(SKIP_1) | instid1(VALU_DEP_2)
	v_cndmask_b32_e32 v1, 0x7f800001, v1, vcc_lo
	v_cmp_ne_u32_e32 vcc_lo, 0, v0
	v_cndmask_b32_e32 v1, 0x400000, v1, vcc_lo
	s_branch .LBB176_1274
.LBB176_1273:
	s_mov_b32 s0, -1
                                        ; implicit-def: $vgpr1
.LBB176_1274:
	s_delay_alu instid0(SALU_CYCLE_1)
	v_mov_b32_e32 v2, s0
.LBB176_1275:
	s_mov_b32 s8, 0
.LBB176_1276:
	s_delay_alu instid0(SALU_CYCLE_1)
	s_and_b32 vcc_lo, exec_lo, s8
	s_cbranch_vccz .LBB176_1281
; %bb.1277:
	v_cmp_eq_u16_e32 vcc_lo, 29, v13
	s_cbranch_vccz .LBB176_1279
; %bb.1278:
	global_load_b64 v[0:1], v[3:4], off
	s_mov_b32 s0, 0
	s_mov_b32 s11, -1
	s_mov_b32 s8, 0
	s_waitcnt vmcnt(0)
	v_clz_i32_u32_e32 v2, v1
	s_delay_alu instid0(VALU_DEP_1) | instskip(NEXT) | instid1(VALU_DEP_1)
	v_min_u32_e32 v2, 32, v2
	v_lshlrev_b64 v[0:1], v2, v[0:1]
	s_delay_alu instid0(VALU_DEP_1) | instskip(NEXT) | instid1(VALU_DEP_1)
	v_min_u32_e32 v0, 1, v0
	v_or_b32_e32 v0, v1, v0
	v_sub_nc_u32_e32 v1, 32, v2
	s_delay_alu instid0(VALU_DEP_2) | instskip(NEXT) | instid1(VALU_DEP_1)
	v_cvt_f32_u32_e32 v0, v0
	v_ldexp_f32 v1, v0, v1
	s_branch .LBB176_1280
.LBB176_1279:
	s_mov_b32 s0, -1
                                        ; implicit-def: $sgpr8
                                        ; implicit-def: $vgpr1
.LBB176_1280:
	v_mov_b32_e32 v2, s8
.LBB176_1281:
	s_branch .LBB176_1301
.LBB176_1282:
	v_cmp_gt_i16_e32 vcc_lo, 27, v13
	s_cbranch_vccnz .LBB176_1285
; %bb.1283:
	v_cmp_lt_i16_e32 vcc_lo, 27, v13
	s_cbranch_vccz .LBB176_1286
; %bb.1284:
	global_load_b32 v0, v[3:4], off
	s_mov_b32 s11, 0
	s_mov_b32 s8, 0
	s_waitcnt vmcnt(0)
	v_cvt_f32_u32_e32 v1, v0
	s_branch .LBB176_1287
.LBB176_1285:
	s_mov_b32 s11, -1
                                        ; implicit-def: $sgpr8
                                        ; implicit-def: $vgpr1
	s_branch .LBB176_1290
.LBB176_1286:
	s_mov_b32 s11, -1
                                        ; implicit-def: $sgpr8
                                        ; implicit-def: $vgpr1
.LBB176_1287:
	s_delay_alu instid0(SALU_CYCLE_1)
	s_and_not1_b32 vcc_lo, exec_lo, s11
	s_cbranch_vccnz .LBB176_1289
; %bb.1288:
	global_load_u16 v0, v[3:4], off
	s_mov_b32 s8, 0
	s_waitcnt vmcnt(0)
	v_cvt_f32_u32_e32 v1, v0
.LBB176_1289:
	s_mov_b32 s11, 0
.LBB176_1290:
	v_mov_b32_e32 v2, s8
	s_and_not1_b32 vcc_lo, exec_lo, s11
	s_cbranch_vccnz .LBB176_1300
; %bb.1291:
	global_load_u8 v0, v[3:4], off
	s_mov_b32 s8, 0
	s_mov_b32 s13, exec_lo
                                        ; implicit-def: $sgpr12
                                        ; implicit-def: $sgpr11
	s_waitcnt vmcnt(0)
	v_cmpx_lt_i16_e32 0x7f, v0
	s_xor_b32 s13, exec_lo, s13
	s_cbranch_execz .LBB176_1295
; %bb.1292:
	s_mov_b32 s8, -1
	s_mov_b32 s14, exec_lo
                                        ; implicit-def: $sgpr12
                                        ; implicit-def: $sgpr11
	v_cmpx_eq_u16_e32 0x80, v0
; %bb.1293:
	s_mov_b32 s11, 0x7f800001
	s_mov_b32 s12, 0
	s_xor_b32 s8, exec_lo, -1
; %bb.1294:
	s_or_b32 exec_lo, exec_lo, s14
	s_delay_alu instid0(SALU_CYCLE_1)
	s_and_b32 s8, s8, exec_lo
.LBB176_1295:
	s_or_saveexec_b32 s13, s13
	v_dual_mov_b32 v2, s12 :: v_dual_mov_b32 v1, s11
	s_xor_b32 exec_lo, exec_lo, s13
; %bb.1296:
	v_mov_b32_e32 v2, 0
	v_cmp_ne_u16_e32 vcc_lo, 0, v0
	s_and_not1_b32 s8, s8, exec_lo
	s_delay_alu instid0(VALU_DEP_2) | instskip(SKIP_1) | instid1(SALU_CYCLE_1)
	v_mov_b32_e32 v1, v2
	s_and_b32 s11, vcc_lo, exec_lo
	s_or_b32 s8, s8, s11
; %bb.1297:
	s_or_b32 exec_lo, exec_lo, s13
	s_and_saveexec_b32 s11, s8
	s_cbranch_execz .LBB176_1299
; %bb.1298:
	v_and_b32_e32 v1, 0xffff, v0
	v_lshlrev_b32_e32 v0, 24, v0
	s_delay_alu instid0(VALU_DEP_2) | instskip(NEXT) | instid1(VALU_DEP_2)
	v_and_b32_e32 v2, 7, v1
	v_and_b32_e32 v0, 0x80000000, v0
	s_delay_alu instid0(VALU_DEP_2) | instskip(NEXT) | instid1(VALU_DEP_1)
	v_clz_i32_u32_e32 v6, v2
	v_min_u32_e32 v6, 32, v6
	s_delay_alu instid0(VALU_DEP_1) | instskip(SKIP_1) | instid1(VALU_DEP_2)
	v_subrev_nc_u32_e32 v7, 28, v6
	v_sub_nc_u32_e32 v6, 29, v6
	v_lshlrev_b32_e32 v7, v7, v1
	v_bfe_u32 v1, v1, 3, 4
	s_delay_alu instid0(VALU_DEP_2) | instskip(NEXT) | instid1(VALU_DEP_2)
	v_and_b32_e32 v7, 7, v7
	v_cmp_eq_u32_e32 vcc_lo, 0, v1
	s_delay_alu instid0(VALU_DEP_2) | instskip(NEXT) | instid1(VALU_DEP_1)
	v_dual_cndmask_b32 v1, v1, v6 :: v_dual_cndmask_b32 v2, v2, v7
	v_lshl_add_u32 v1, v1, 23, 0x3b800000
	s_delay_alu instid0(VALU_DEP_2) | instskip(NEXT) | instid1(VALU_DEP_1)
	v_lshlrev_b32_e32 v2, 20, v2
	v_or3_b32 v1, v0, v1, v2
	v_mov_b32_e32 v2, 0
.LBB176_1299:
	s_or_b32 exec_lo, exec_lo, s11
.LBB176_1300:
	s_mov_b32 s11, -1
.LBB176_1301:
	s_branch .LBB176_1332
.LBB176_1302:
	v_cmp_lt_i16_e32 vcc_lo, 22, v13
	s_cbranch_vccz .LBB176_1314
; %bb.1303:
	v_cmp_gt_i16_e32 vcc_lo, 24, v13
	s_cbranch_vccnz .LBB176_1315
; %bb.1304:
	v_cmp_lt_i16_e32 vcc_lo, 24, v13
	s_cbranch_vccz .LBB176_1316
; %bb.1305:
	global_load_u8 v0, v[3:4], off
	s_mov_b32 s12, exec_lo
                                        ; implicit-def: $sgpr11
                                        ; implicit-def: $sgpr8
	s_waitcnt vmcnt(0)
	v_cmpx_lt_i16_e32 0x7f, v0
	s_xor_b32 s12, exec_lo, s12
	s_cbranch_execz .LBB176_1309
; %bb.1306:
	s_mov_b32 s1, -1
	s_mov_b32 s13, exec_lo
                                        ; implicit-def: $sgpr11
                                        ; implicit-def: $sgpr8
	v_cmpx_eq_u16_e32 0x80, v0
; %bb.1307:
	s_mov_b32 s8, 0x7f800001
	s_mov_b32 s11, 0
	s_xor_b32 s1, exec_lo, -1
; %bb.1308:
	s_or_b32 exec_lo, exec_lo, s13
	s_delay_alu instid0(SALU_CYCLE_1)
	s_and_b32 s1, s1, exec_lo
.LBB176_1309:
	s_or_saveexec_b32 s12, s12
	v_dual_mov_b32 v2, s11 :: v_dual_mov_b32 v1, s8
	s_xor_b32 exec_lo, exec_lo, s12
; %bb.1310:
	v_mov_b32_e32 v2, 0
	v_cmp_ne_u16_e32 vcc_lo, 0, v0
	s_and_not1_b32 s1, s1, exec_lo
	s_delay_alu instid0(VALU_DEP_2) | instskip(SKIP_1) | instid1(SALU_CYCLE_1)
	v_mov_b32_e32 v1, v2
	s_and_b32 s8, vcc_lo, exec_lo
	s_or_b32 s1, s1, s8
; %bb.1311:
	s_or_b32 exec_lo, exec_lo, s12
	s_and_saveexec_b32 s8, s1
	s_cbranch_execz .LBB176_1313
; %bb.1312:
	v_and_b32_e32 v1, 0xffff, v0
	v_lshlrev_b32_e32 v0, 24, v0
	s_delay_alu instid0(VALU_DEP_2) | instskip(NEXT) | instid1(VALU_DEP_2)
	v_and_b32_e32 v2, 3, v1
	v_and_b32_e32 v0, 0x80000000, v0
	s_delay_alu instid0(VALU_DEP_2) | instskip(NEXT) | instid1(VALU_DEP_1)
	v_clz_i32_u32_e32 v6, v2
	v_min_u32_e32 v6, 32, v6
	s_delay_alu instid0(VALU_DEP_1) | instskip(SKIP_1) | instid1(VALU_DEP_2)
	v_subrev_nc_u32_e32 v7, 29, v6
	v_sub_nc_u32_e32 v6, 30, v6
	v_lshlrev_b32_e32 v7, v7, v1
	v_bfe_u32 v1, v1, 2, 5
	s_delay_alu instid0(VALU_DEP_2) | instskip(NEXT) | instid1(VALU_DEP_2)
	v_and_b32_e32 v7, 3, v7
	v_cmp_eq_u32_e32 vcc_lo, 0, v1
	s_delay_alu instid0(VALU_DEP_2) | instskip(NEXT) | instid1(VALU_DEP_1)
	v_dual_cndmask_b32 v1, v1, v6 :: v_dual_cndmask_b32 v2, v2, v7
	v_lshl_add_u32 v1, v1, 23, 0x37800000
	s_delay_alu instid0(VALU_DEP_2) | instskip(NEXT) | instid1(VALU_DEP_1)
	v_lshlrev_b32_e32 v2, 21, v2
	v_or3_b32 v1, v0, v1, v2
	v_mov_b32_e32 v2, 0
.LBB176_1313:
	s_or_b32 exec_lo, exec_lo, s8
	s_mov_b32 s1, 0
	s_branch .LBB176_1317
.LBB176_1314:
                                        ; implicit-def: $vgpr2
	s_mov_b32 s1, 0
	s_branch .LBB176_1323
.LBB176_1315:
	s_mov_b32 s1, -1
                                        ; implicit-def: $vgpr2
	s_branch .LBB176_1320
.LBB176_1316:
	s_mov_b32 s1, -1
                                        ; implicit-def: $vgpr2
.LBB176_1317:
	s_delay_alu instid0(SALU_CYCLE_1)
	s_and_b32 vcc_lo, exec_lo, s1
	s_cbranch_vccz .LBB176_1319
; %bb.1318:
	global_load_u8 v0, v[3:4], off
	s_waitcnt vmcnt(0)
	v_lshlrev_b32_e32 v0, 24, v0
	s_delay_alu instid0(VALU_DEP_1) | instskip(NEXT) | instid1(VALU_DEP_1)
	v_and_b32_e32 v1, 0x7f000000, v0
	v_clz_i32_u32_e32 v2, v1
	v_add_nc_u32_e32 v7, 0x1000000, v1
	v_cmp_ne_u32_e32 vcc_lo, 0, v1
	s_delay_alu instid0(VALU_DEP_3) | instskip(NEXT) | instid1(VALU_DEP_1)
	v_min_u32_e32 v2, 32, v2
	v_sub_nc_u32_e64 v2, v2, 4 clamp
	s_delay_alu instid0(VALU_DEP_1) | instskip(SKIP_1) | instid1(VALU_DEP_2)
	v_lshlrev_b32_e32 v6, v2, v1
	v_lshlrev_b32_e32 v2, 23, v2
	v_lshrrev_b32_e32 v6, 4, v6
	s_delay_alu instid0(VALU_DEP_1) | instskip(SKIP_1) | instid1(VALU_DEP_2)
	v_sub_nc_u32_e32 v2, v6, v2
	v_ashrrev_i32_e32 v6, 8, v7
	v_add_nc_u32_e32 v2, 0x3c000000, v2
	s_delay_alu instid0(VALU_DEP_1) | instskip(NEXT) | instid1(VALU_DEP_1)
	v_and_or_b32 v2, 0x7f800000, v6, v2
	v_dual_cndmask_b32 v1, 0, v2 :: v_dual_mov_b32 v2, 0
	s_delay_alu instid0(VALU_DEP_1)
	v_and_or_b32 v1, 0x80000000, v0, v1
.LBB176_1319:
	s_mov_b32 s1, 0
.LBB176_1320:
	s_delay_alu instid0(SALU_CYCLE_1)
	s_and_not1_b32 vcc_lo, exec_lo, s1
	s_cbranch_vccnz .LBB176_1322
; %bb.1321:
	global_load_u8 v0, v[3:4], off
	s_waitcnt vmcnt(0)
	v_lshlrev_b32_e32 v1, 25, v0
	v_lshlrev_b16 v0, 8, v0
	s_delay_alu instid0(VALU_DEP_1) | instskip(SKIP_1) | instid1(VALU_DEP_2)
	v_and_or_b32 v6, 0x7f00, v0, 0.5
	v_bfe_i32 v0, v0, 0, 16
	v_add_f32_e32 v6, -0.5, v6
	v_lshrrev_b32_e32 v2, 4, v1
	v_cmp_gt_u32_e32 vcc_lo, 0x8000000, v1
	s_delay_alu instid0(VALU_DEP_2) | instskip(NEXT) | instid1(VALU_DEP_1)
	v_or_b32_e32 v2, 0x70000000, v2
	v_mul_f32_e32 v2, 0x7800000, v2
	s_delay_alu instid0(VALU_DEP_1) | instskip(NEXT) | instid1(VALU_DEP_1)
	v_dual_cndmask_b32 v1, v2, v6 :: v_dual_mov_b32 v2, 0
	v_and_or_b32 v1, 0x80000000, v0, v1
.LBB176_1322:
	s_mov_b32 s11, -1
	s_mov_b32 s1, 0
	s_cbranch_execnz .LBB176_1332
.LBB176_1323:
	v_cmp_lt_i16_e32 vcc_lo, 14, v13
	s_cbranch_vccz .LBB176_1326
; %bb.1324:
	v_cmp_eq_u16_e32 vcc_lo, 15, v13
	s_cbranch_vccz .LBB176_1327
; %bb.1325:
	global_load_u16 v0, v[3:4], off
	s_mov_b32 s0, 0
	s_mov_b32 s11, -1
	s_mov_b32 s8, 0
	s_waitcnt vmcnt(0)
	v_lshlrev_b32_e32 v1, 16, v0
	s_branch .LBB176_1329
.LBB176_1326:
	s_mov_b32 s1, -1
	s_branch .LBB176_1328
.LBB176_1327:
	s_mov_b32 s0, -1
.LBB176_1328:
                                        ; implicit-def: $sgpr8
                                        ; implicit-def: $vgpr1
.LBB176_1329:
	s_and_b32 vcc_lo, exec_lo, s1
	s_mov_b32 s1, 0
	s_cbranch_vccz .LBB176_1331
; %bb.1330:
	v_cmp_ne_u16_e64 s0, 11, v13
	s_mov_b32 s1, -1
                                        ; implicit-def: $sgpr8
                                        ; implicit-def: $vgpr1
.LBB176_1331:
	v_mov_b32_e32 v2, s8
.LBB176_1332:
	s_delay_alu instid0(VALU_DEP_2)
	s_and_b32 vcc_lo, exec_lo, s0
	s_mov_b32 s8, s10
	s_cbranch_vccnz .LBB176_1395
; %bb.1333:
	s_and_not1_b32 vcc_lo, exec_lo, s1
	s_cbranch_vccnz .LBB176_1335
.LBB176_1334:
	global_load_u8 v0, v[3:4], off
	v_mov_b32_e32 v2, 0
	s_mov_b32 s11, -1
	s_waitcnt vmcnt(0)
	v_cmp_ne_u16_e32 vcc_lo, 0, v0
	v_cndmask_b32_e64 v1, 0, 1.0, vcc_lo
.LBB176_1335:
.LBB176_1336:
	s_and_not1_b32 vcc_lo, exec_lo, s11
                                        ; implicit-def: $vgpr6
	s_cbranch_vccnz .LBB176_1880
.LBB176_1337:
	s_waitcnt vmcnt(0)
	s_delay_alu instid0(VALU_DEP_1) | instskip(NEXT) | instid1(VALU_DEP_2)
	v_cmp_neq_f32_e32 vcc_lo, 0, v1
	v_cmp_neq_f32_e64 s0, 0, v2
	v_mov_b32_e32 v3, 0
	s_delay_alu instid0(VALU_DEP_2) | instskip(NEXT) | instid1(SALU_CYCLE_1)
	s_or_b32 s0, vcc_lo, s0
	s_and_saveexec_b32 s11, s0
	s_cbranch_execz .LBB176_1367
; %bb.1338:
	v_mov_b32_e32 v3, 0x7f800000
	s_mov_b32 s12, exec_lo
	v_cmpx_neq_f32_e64 0x7f800000, |v2|
	s_cbranch_execz .LBB176_1366
; %bb.1339:
	s_mov_b32 s0, exec_lo
	v_cmpx_o_f32_e32 v1, v1
	s_xor_b32 s13, exec_lo, s0
	s_cbranch_execz .LBB176_1363
; %bb.1340:
	s_mov_b32 s1, exec_lo
	v_cmpx_neq_f32_e64 0x7f800000, |v1|
	s_xor_b32 s14, exec_lo, s1
	s_cbranch_execz .LBB176_1356
; %bb.1341:
	v_max_f32_e64 v0, |v2|, |v2|
	v_max_f32_e64 v3, |v1|, |v1|
                                        ; implicit-def: $sgpr15
	s_delay_alu instid0(VALU_DEP_1) | instskip(NEXT) | instid1(VALU_DEP_1)
	v_max_f32_e32 v0, v3, v0
	v_cmp_nle_f32_e64 s0, 0x7ed413cb, v0
	s_delay_alu instid0(VALU_DEP_1) | instskip(NEXT) | instid1(SALU_CYCLE_1)
	s_and_saveexec_b32 s1, s0
	s_xor_b32 s1, exec_lo, s1
	s_cbranch_execz .LBB176_1345
; %bb.1342:
	v_cmp_ge_f32_e64 s15, 0x1000000, |v1|
	v_cmp_ge_f32_e64 s16, 0x1000000, |v2|
	s_delay_alu instid0(VALU_DEP_1)
	s_and_b32 s17, s15, s16
	s_mov_b32 s15, 0
	s_and_saveexec_b32 s16, s17
; %bb.1343:
	v_dual_mul_f32 v2, 4.0, v2 :: v_dual_mul_f32 v1, 4.0, v1
	s_mov_b32 s15, exec_lo
; %bb.1344:
	s_or_b32 exec_lo, exec_lo, s16
	s_delay_alu instid0(SALU_CYCLE_1)
	s_and_b32 s15, s15, exec_lo
.LBB176_1345:
	s_and_not1_saveexec_b32 s1, s1
; %bb.1346:
	v_dual_mul_f32 v1, 0x3e800000, v1 :: v_dual_mul_f32 v2, 0x3e800000, v2
	s_and_not1_b32 s15, s15, exec_lo
; %bb.1347:
	s_or_b32 exec_lo, exec_lo, s1
	s_delay_alu instid0(VALU_DEP_1) | instskip(NEXT) | instid1(VALU_DEP_2)
	v_max_f32_e64 v0, |v2|, |v2|
	v_max_f32_e64 v3, |v1|, |v1|
	s_delay_alu instid0(VALU_DEP_1) | instskip(NEXT) | instid1(VALU_DEP_1)
	v_max_f32_e32 v0, v3, v0
	v_cvt_f64_f32_e32 v[3:4], v0
	v_cmp_neq_f32_e64 s1, 0x7f800000, v0
                                        ; implicit-def: $vgpr0
	s_delay_alu instid0(VALU_DEP_2) | instskip(NEXT) | instid1(VALU_DEP_1)
	v_frexp_exp_i32_f64_e32 v3, v[3:4]
	v_sub_nc_u32_e32 v4, 0, v3
	s_delay_alu instid0(VALU_DEP_1) | instskip(SKIP_1) | instid1(VALU_DEP_2)
	v_ldexp_f32 v6, |v2|, v4
	v_ldexp_f32 v4, |v1|, v4
	v_mul_f32_e32 v6, v6, v6
	s_delay_alu instid0(VALU_DEP_1) | instskip(NEXT) | instid1(VALU_DEP_1)
	v_fmac_f32_e32 v6, v4, v4
	v_sqrt_f32_e32 v4, v6
	s_waitcnt_depctr 0xfff
	v_ldexp_f32 v3, v4, v3
	s_delay_alu instid0(VALU_DEP_1)
	v_cndmask_b32_e64 v4, 0x7f800000, v3, s1
                                        ; implicit-def: $vgpr3
	s_mov_b32 s1, exec_lo
	v_cmpx_le_f32_e32 0, v1
	s_xor_b32 s16, exec_lo, s1
	s_cbranch_execz .LBB176_1349
; %bb.1348:
	v_add_f32_e32 v0, v1, v4
	s_delay_alu instid0(VALU_DEP_1) | instskip(NEXT) | instid1(VALU_DEP_1)
	v_mul_f32_e32 v0, 0.5, v0
	v_mul_f32_e32 v1, 0x4f800000, v0
	v_cmp_gt_f32_e32 vcc_lo, 0xf800000, v0
	s_delay_alu instid0(VALU_DEP_2) | instskip(NEXT) | instid1(VALU_DEP_1)
	v_cndmask_b32_e32 v0, v0, v1, vcc_lo
	v_sqrt_f32_e32 v1, v0
	s_waitcnt_depctr 0xfff
	v_add_nc_u32_e32 v3, -1, v1
	v_add_nc_u32_e32 v4, 1, v1
	s_delay_alu instid0(VALU_DEP_2) | instskip(NEXT) | instid1(VALU_DEP_2)
	v_fma_f32 v6, -v3, v1, v0
	v_fma_f32 v7, -v4, v1, v0
	s_delay_alu instid0(VALU_DEP_2) | instskip(NEXT) | instid1(VALU_DEP_1)
	v_cmp_ge_f32_e64 s1, 0, v6
	v_cndmask_b32_e64 v1, v1, v3, s1
	s_delay_alu instid0(VALU_DEP_3) | instskip(NEXT) | instid1(VALU_DEP_1)
	v_cmp_lt_f32_e64 s1, 0, v7
	v_cndmask_b32_e64 v1, v1, v4, s1
	s_delay_alu instid0(VALU_DEP_1) | instskip(NEXT) | instid1(VALU_DEP_1)
	v_mul_f32_e32 v3, 0x37800000, v1
	v_cndmask_b32_e32 v1, v1, v3, vcc_lo
	v_cmp_class_f32_e64 vcc_lo, v0, 0x260
	s_delay_alu instid0(VALU_DEP_2) | instskip(NEXT) | instid1(VALU_DEP_1)
	v_cndmask_b32_e32 v0, v1, v0, vcc_lo
	v_add_f32_e32 v1, v0, v0
	s_delay_alu instid0(VALU_DEP_1) | instskip(NEXT) | instid1(VALU_DEP_1)
	v_div_scale_f32 v3, null, v1, v1, v2
	v_rcp_f32_e32 v4, v3
	s_waitcnt_depctr 0xfff
	v_fma_f32 v6, -v3, v4, 1.0
	s_delay_alu instid0(VALU_DEP_1) | instskip(SKIP_1) | instid1(VALU_DEP_1)
	v_fmac_f32_e32 v4, v6, v4
	v_div_scale_f32 v6, vcc_lo, v2, v1, v2
	v_mul_f32_e32 v7, v6, v4
	s_delay_alu instid0(VALU_DEP_1) | instskip(NEXT) | instid1(VALU_DEP_1)
	v_fma_f32 v8, -v3, v7, v6
	v_fmac_f32_e32 v7, v8, v4
	s_delay_alu instid0(VALU_DEP_1) | instskip(NEXT) | instid1(VALU_DEP_1)
	v_fma_f32 v3, -v3, v7, v6
	v_div_fmas_f32 v3, v3, v4, v7
                                        ; implicit-def: $vgpr4
	s_delay_alu instid0(VALU_DEP_1)
	v_div_fixup_f32 v3, v3, v1, v2
                                        ; implicit-def: $vgpr1
	s_and_not1_saveexec_b32 s16, s16
	s_cbranch_execz .LBB176_1351
	s_branch .LBB176_1350
.LBB176_1349:
	s_and_not1_saveexec_b32 s16, s16
	s_cbranch_execz .LBB176_1351
.LBB176_1350:
	v_sub_f32_e32 v0, v4, v1
	s_delay_alu instid0(VALU_DEP_1) | instskip(NEXT) | instid1(VALU_DEP_1)
	v_mul_f32_e32 v0, 0.5, v0
	v_mul_f32_e32 v1, 0x4f800000, v0
	v_cmp_gt_f32_e32 vcc_lo, 0xf800000, v0
	s_delay_alu instid0(VALU_DEP_2) | instskip(NEXT) | instid1(VALU_DEP_1)
	v_cndmask_b32_e32 v0, v0, v1, vcc_lo
	v_sqrt_f32_e32 v1, v0
	s_waitcnt_depctr 0xfff
	v_add_nc_u32_e32 v3, -1, v1
	v_add_nc_u32_e32 v4, 1, v1
	s_delay_alu instid0(VALU_DEP_2) | instskip(NEXT) | instid1(VALU_DEP_2)
	v_fma_f32 v6, -v3, v1, v0
	v_fma_f32 v7, -v4, v1, v0
	s_delay_alu instid0(VALU_DEP_2) | instskip(NEXT) | instid1(VALU_DEP_1)
	v_cmp_ge_f32_e64 s1, 0, v6
	v_cndmask_b32_e64 v1, v1, v3, s1
	s_delay_alu instid0(VALU_DEP_3) | instskip(NEXT) | instid1(VALU_DEP_1)
	v_cmp_lt_f32_e64 s1, 0, v7
	v_cndmask_b32_e64 v1, v1, v4, s1
	s_delay_alu instid0(VALU_DEP_1) | instskip(NEXT) | instid1(VALU_DEP_1)
	v_mul_f32_e32 v3, 0x37800000, v1
	v_cndmask_b32_e32 v1, v1, v3, vcc_lo
	v_cmp_class_f32_e64 vcc_lo, v0, 0x260
	s_delay_alu instid0(VALU_DEP_2) | instskip(NEXT) | instid1(VALU_DEP_1)
	v_dual_cndmask_b32 v1, v1, v0 :: v_dual_and_b32 v0, 0x7fffffff, v2
	v_add_f32_e32 v3, v1, v1
	s_delay_alu instid0(VALU_DEP_1) | instskip(SKIP_1) | instid1(VALU_DEP_2)
	v_div_scale_f32 v4, null, v3, v3, v0
	v_div_scale_f32 v0, vcc_lo, v0, v3, v0
	v_rcp_f32_e32 v6, v4
	s_waitcnt_depctr 0xfff
	v_fma_f32 v7, -v4, v6, 1.0
	s_delay_alu instid0(VALU_DEP_1) | instskip(NEXT) | instid1(VALU_DEP_1)
	v_fmac_f32_e32 v6, v7, v6
	v_mul_f32_e32 v7, v0, v6
	s_delay_alu instid0(VALU_DEP_1) | instskip(NEXT) | instid1(VALU_DEP_1)
	v_fma_f32 v8, -v4, v7, v0
	v_fmac_f32_e32 v7, v8, v6
	s_delay_alu instid0(VALU_DEP_1) | instskip(NEXT) | instid1(VALU_DEP_1)
	v_fma_f32 v0, -v4, v7, v0
	v_div_fmas_f32 v0, v0, v6, v7
	s_delay_alu instid0(VALU_DEP_1)
	v_div_fixup_f32 v0, v0, v3, |v2|
	v_bfi_b32 v3, 0x7fffffff, v1, v2
.LBB176_1351:
	s_or_b32 exec_lo, exec_lo, s16
                                        ; implicit-def: $vgpr2
	s_and_saveexec_b32 s1, s0
	s_delay_alu instid0(SALU_CYCLE_1)
	s_xor_b32 s0, exec_lo, s1
	s_cbranch_execz .LBB176_1353
; %bb.1352:
	v_dual_mul_f32 v1, 0.5, v0 :: v_dual_mul_f32 v2, 0.5, v3
	s_delay_alu instid0(VALU_DEP_1) | instskip(NEXT) | instid1(VALU_DEP_2)
	v_cndmask_b32_e64 v1, v0, v1, s15
	v_cndmask_b32_e64 v2, v3, v2, s15
                                        ; implicit-def: $vgpr0
                                        ; implicit-def: $vgpr3
	s_and_not1_saveexec_b32 s0, s0
	s_cbranch_execnz .LBB176_1354
	s_branch .LBB176_1355
.LBB176_1353:
	s_and_not1_saveexec_b32 s0, s0
.LBB176_1354:
	v_dual_add_f32 v1, v0, v0 :: v_dual_add_f32 v2, v3, v3
.LBB176_1355:
	s_or_b32 exec_lo, exec_lo, s0
.LBB176_1356:
	s_and_not1_saveexec_b32 s0, s14
	s_cbranch_execz .LBB176_1362
; %bb.1357:
	s_delay_alu instid0(VALU_DEP_1)
	v_sub_f32_e32 v0, v2, v2
	s_mov_b32 s1, exec_lo
	v_cmpx_lt_i32_e32 -1, v1
	s_xor_b32 s1, exec_lo, s1
; %bb.1358:
	s_delay_alu instid0(VALU_DEP_2)
	v_bfi_b32 v2, 0x7fffffff, v0, v2
                                        ; implicit-def: $vgpr0
; %bb.1359:
	s_and_not1_saveexec_b32 s1, s1
; %bb.1360:
	v_and_b32_e32 v0, 0x7fffffff, v0
	s_delay_alu instid0(VALU_DEP_2) | instskip(NEXT) | instid1(VALU_DEP_2)
	v_bfi_b32 v2, 0x7fffffff, v1, v2
	v_mov_b32_e32 v1, v0
; %bb.1361:
	s_or_b32 exec_lo, exec_lo, s1
.LBB176_1362:
	s_delay_alu instid0(SALU_CYCLE_1)
	s_or_b32 exec_lo, exec_lo, s0
.LBB176_1363:
	s_and_not1_saveexec_b32 s0, s13
; %bb.1364:
	v_sub_f32_e32 v0, v2, v2
	s_delay_alu instid0(VALU_DEP_1) | instskip(NEXT) | instid1(VALU_DEP_1)
	v_div_scale_f32 v2, vcc_lo, v0, v0, v0
	v_rcp_f32_e32 v3, v2
	s_waitcnt_depctr 0xfff
	v_fma_f32 v4, -v2, v3, 1.0
	s_delay_alu instid0(VALU_DEP_1) | instskip(NEXT) | instid1(VALU_DEP_1)
	v_fmac_f32_e32 v3, v4, v3
	v_mul_f32_e32 v4, v2, v3
	s_delay_alu instid0(VALU_DEP_1) | instskip(NEXT) | instid1(VALU_DEP_1)
	v_fma_f32 v6, -v2, v4, v2
	v_fmac_f32_e32 v4, v6, v3
	s_delay_alu instid0(VALU_DEP_1) | instskip(NEXT) | instid1(VALU_DEP_1)
	v_fma_f32 v2, -v2, v4, v2
	v_div_fmas_f32 v2, v2, v3, v4
	s_delay_alu instid0(VALU_DEP_1)
	v_div_fixup_f32 v2, v2, v0, v0
; %bb.1365:
	s_or_b32 exec_lo, exec_lo, s0
	v_mov_b32_e32 v3, v1
.LBB176_1366:
	s_or_b32 exec_lo, exec_lo, s12
.LBB176_1367:
	s_delay_alu instid0(SALU_CYCLE_1) | instskip(NEXT) | instid1(VALU_DEP_1)
	s_or_b32 exec_lo, exec_lo, s11
	v_cmp_gt_f32_e32 vcc_lo, 0, v3
                                        ; implicit-def: $vgpr1
	s_mov_b32 s0, exec_lo
	v_cndmask_b32_e64 v4, v3, -v3, vcc_lo
	v_cmp_gt_f32_e32 vcc_lo, 0, v2
	v_cndmask_b32_e64 v6, v2, -v2, vcc_lo
	s_delay_alu instid0(VALU_DEP_1)
	v_cmpx_ge_f32_e32 v4, v6
	s_xor_b32 s1, exec_lo, s0
	s_cbranch_execz .LBB176_1373
; %bb.1368:
	v_cmp_neq_f32_e32 vcc_lo, 0, v3
	v_cmp_neq_f32_e64 s0, 0, v2
                                        ; implicit-def: $vgpr1
	s_delay_alu instid0(VALU_DEP_1) | instskip(NEXT) | instid1(SALU_CYCLE_1)
	s_or_b32 s0, vcc_lo, s0
	s_and_saveexec_b32 s11, s0
	s_delay_alu instid0(SALU_CYCLE_1)
	s_xor_b32 s0, exec_lo, s11
	s_cbranch_execz .LBB176_1370
; %bb.1369:
	v_div_scale_f32 v0, null, v3, v3, v2
	v_div_scale_f32 v6, vcc_lo, v2, v3, v2
	s_delay_alu instid0(VALU_DEP_2) | instskip(SKIP_2) | instid1(VALU_DEP_1)
	v_rcp_f32_e32 v1, v0
	s_waitcnt_depctr 0xfff
	v_fma_f32 v4, -v0, v1, 1.0
	v_fmac_f32_e32 v1, v4, v1
	s_delay_alu instid0(VALU_DEP_1) | instskip(NEXT) | instid1(VALU_DEP_1)
	v_mul_f32_e32 v4, v6, v1
	v_fma_f32 v7, -v0, v4, v6
	s_delay_alu instid0(VALU_DEP_1) | instskip(NEXT) | instid1(VALU_DEP_1)
	v_fmac_f32_e32 v4, v7, v1
	v_fma_f32 v0, -v0, v4, v6
	s_delay_alu instid0(VALU_DEP_1) | instskip(NEXT) | instid1(VALU_DEP_1)
	v_div_fmas_f32 v0, v0, v1, v4
	v_div_fixup_f32 v1, v0, v3, v2
	s_delay_alu instid0(VALU_DEP_1) | instskip(NEXT) | instid1(VALU_DEP_1)
	v_fmac_f32_e32 v3, v2, v1
	v_div_scale_f32 v0, null, v3, v3, 1.0
	s_delay_alu instid0(VALU_DEP_1) | instskip(SKIP_2) | instid1(VALU_DEP_1)
	v_rcp_f32_e32 v2, v0
	s_waitcnt_depctr 0xfff
	v_fma_f32 v4, -v0, v2, 1.0
	v_fmac_f32_e32 v2, v4, v2
	v_div_scale_f32 v6, vcc_lo, 1.0, v3, 1.0
	s_delay_alu instid0(VALU_DEP_1) | instskip(NEXT) | instid1(VALU_DEP_1)
	v_mul_f32_e32 v4, v6, v2
	v_fma_f32 v7, -v0, v4, v6
	s_delay_alu instid0(VALU_DEP_1) | instskip(NEXT) | instid1(VALU_DEP_1)
	v_fmac_f32_e32 v4, v7, v2
	v_fma_f32 v0, -v0, v4, v6
                                        ; implicit-def: $vgpr6
	s_delay_alu instid0(VALU_DEP_1) | instskip(SKIP_1) | instid1(VALU_DEP_2)
	v_div_fmas_f32 v0, v0, v2, v4
	v_fma_f32 v2, v1, 0, 1.0
                                        ; implicit-def: $vgpr4
	v_div_fixup_f32 v3, v0, v3, 1.0
	s_delay_alu instid0(VALU_DEP_1)
	v_mul_f32_e32 v0, v2, v3
	v_mul_f32_e64 v1, -v1, v3
.LBB176_1370:
	s_and_not1_saveexec_b32 s11, s0
	s_cbranch_execz .LBB176_1372
; %bb.1371:
	v_div_scale_f32 v0, null, v4, v4, 1.0
	v_div_scale_f32 v1, null, v6, v6, 0
	v_div_scale_f32 v9, vcc_lo, 1.0, v4, 1.0
	s_delay_alu instid0(VALU_DEP_3) | instskip(NEXT) | instid1(VALU_DEP_2)
	v_rcp_f32_e32 v2, v0
	v_rcp_f32_e32 v3, v1
	s_waitcnt_depctr 0xfff
	v_fma_f32 v7, -v0, v2, 1.0
	v_fma_f32 v8, -v1, v3, 1.0
	s_delay_alu instid0(VALU_DEP_1) | instskip(SKIP_1) | instid1(VALU_DEP_2)
	v_dual_fmac_f32 v2, v7, v2 :: v_dual_fmac_f32 v3, v8, v3
	v_div_scale_f32 v7, s0, 0, v6, 0
	v_mul_f32_e32 v8, v9, v2
	s_delay_alu instid0(VALU_DEP_2) | instskip(NEXT) | instid1(VALU_DEP_2)
	v_mul_f32_e32 v10, v7, v3
	v_fma_f32 v14, -v0, v8, v9
	s_delay_alu instid0(VALU_DEP_2) | instskip(NEXT) | instid1(VALU_DEP_2)
	v_fma_f32 v15, -v1, v10, v7
	v_fmac_f32_e32 v8, v14, v2
	s_delay_alu instid0(VALU_DEP_2) | instskip(NEXT) | instid1(VALU_DEP_2)
	v_fmac_f32_e32 v10, v15, v3
	v_fma_f32 v0, -v0, v8, v9
	s_delay_alu instid0(VALU_DEP_2) | instskip(NEXT) | instid1(VALU_DEP_2)
	v_fma_f32 v1, -v1, v10, v7
	v_div_fmas_f32 v0, v0, v2, v8
	s_mov_b32 vcc_lo, s0
	s_delay_alu instid0(VALU_DEP_2) | instskip(NEXT) | instid1(VALU_DEP_2)
	v_div_fmas_f32 v1, v1, v3, v10
	v_div_fixup_f32 v0, v0, v4, 1.0
	s_delay_alu instid0(VALU_DEP_2)
	v_div_fixup_f32 v1, v1, v6, 0
.LBB176_1372:
	s_or_b32 exec_lo, exec_lo, s11
                                        ; implicit-def: $vgpr2
                                        ; implicit-def: $vgpr3
.LBB176_1373:
	s_and_not1_saveexec_b32 s0, s1
	s_cbranch_execz .LBB176_1375
; %bb.1374:
	v_div_scale_f32 v0, null, v2, v2, v3
	v_div_scale_f32 v6, vcc_lo, v3, v2, v3
	s_delay_alu instid0(VALU_DEP_2) | instskip(SKIP_2) | instid1(VALU_DEP_1)
	v_rcp_f32_e32 v1, v0
	s_waitcnt_depctr 0xfff
	v_fma_f32 v4, -v0, v1, 1.0
	v_fmac_f32_e32 v1, v4, v1
	s_delay_alu instid0(VALU_DEP_1) | instskip(NEXT) | instid1(VALU_DEP_1)
	v_mul_f32_e32 v4, v6, v1
	v_fma_f32 v7, -v0, v4, v6
	s_delay_alu instid0(VALU_DEP_1) | instskip(NEXT) | instid1(VALU_DEP_1)
	v_fmac_f32_e32 v4, v7, v1
	v_fma_f32 v0, -v0, v4, v6
	s_delay_alu instid0(VALU_DEP_1) | instskip(NEXT) | instid1(VALU_DEP_1)
	v_div_fmas_f32 v0, v0, v1, v4
	v_div_fixup_f32 v0, v0, v2, v3
	s_delay_alu instid0(VALU_DEP_1) | instskip(NEXT) | instid1(VALU_DEP_1)
	v_fmac_f32_e32 v2, v3, v0
	v_div_scale_f32 v1, null, v2, v2, 1.0
	v_div_scale_f32 v6, vcc_lo, 1.0, v2, 1.0
	s_delay_alu instid0(VALU_DEP_2) | instskip(SKIP_2) | instid1(VALU_DEP_1)
	v_rcp_f32_e32 v3, v1
	s_waitcnt_depctr 0xfff
	v_fma_f32 v4, -v1, v3, 1.0
	v_fmac_f32_e32 v3, v4, v3
	s_delay_alu instid0(VALU_DEP_1) | instskip(NEXT) | instid1(VALU_DEP_1)
	v_mul_f32_e32 v4, v6, v3
	v_fma_f32 v7, -v1, v4, v6
	s_delay_alu instid0(VALU_DEP_1) | instskip(NEXT) | instid1(VALU_DEP_1)
	v_fmac_f32_e32 v4, v7, v3
	v_fma_f32 v1, -v1, v4, v6
	s_delay_alu instid0(VALU_DEP_1) | instskip(SKIP_1) | instid1(VALU_DEP_2)
	v_div_fmas_f32 v1, v1, v3, v4
	v_add_f32_e32 v3, 0, v0
	v_div_fixup_f32 v1, v1, v2, 1.0
	v_fma_f32 v2, v0, 0, -1.0
	s_delay_alu instid0(VALU_DEP_2) | instskip(NEXT) | instid1(VALU_DEP_2)
	v_mul_f32_e32 v0, v3, v1
	v_mul_f32_e32 v1, v2, v1
.LBB176_1375:
	s_or_b32 exec_lo, exec_lo, s0
	s_lshl_b32 s3, s3, 7
	v_cmp_gt_i16_e32 vcc_lo, 11, v13
	v_add_nc_u32_e32 v7, s3, v5
	s_delay_alu instid0(VALU_DEP_1) | instskip(SKIP_1) | instid1(VALU_DEP_1)
	v_ashrrev_i32_e32 v2, 31, v7
	v_add_co_u32 v5, s0, s6, v7
	v_add_co_ci_u32_e64 v6, s0, s7, v2, s0
	s_cbranch_vccnz .LBB176_1382
; %bb.1376:
	v_cmp_lt_i16_e32 vcc_lo, 25, v13
	s_mov_b32 s1, 0
	s_cbranch_vccz .LBB176_1388
; %bb.1377:
	v_cmp_lt_i16_e32 vcc_lo, 28, v13
	s_cbranch_vccz .LBB176_1391
; %bb.1378:
	v_cmp_lt_i16_e32 vcc_lo, 43, v13
	;; [unrolled: 3-line block ×3, first 2 shown]
	s_cbranch_vccz .LBB176_1399
; %bb.1380:
	v_cmp_eq_u16_e32 vcc_lo, 46, v13
	s_mov_b32 s12, 0
	s_cbranch_vccz .LBB176_1444
; %bb.1381:
	global_load_b32 v2, v[5:6], off
	s_mov_b32 s0, 0
	s_mov_b32 s11, -1
	s_waitcnt vmcnt(0)
	v_and_b32_e32 v4, 0xffff0000, v2
	v_lshlrev_b32_e32 v3, 16, v2
	s_branch .LBB176_1446
.LBB176_1382:
	s_mov_b32 s11, 0
                                        ; implicit-def: $vgpr4
	s_cbranch_execz .LBB176_1514
; %bb.1383:
	v_cmp_gt_i16_e32 vcc_lo, 5, v13
	s_cbranch_vccnz .LBB176_1389
; %bb.1384:
	v_cmp_gt_i16_e32 vcc_lo, 8, v13
	s_cbranch_vccnz .LBB176_1392
	;; [unrolled: 3-line block ×3, first 2 shown]
; %bb.1386:
	v_cmp_lt_i16_e32 vcc_lo, 9, v13
	s_cbranch_vccz .LBB176_1400
; %bb.1387:
	global_load_b128 v[14:17], v[5:6], off
	s_mov_b32 s0, 0
	s_waitcnt vmcnt(0)
	v_cvt_f32_f64_e32 v3, v[14:15]
	v_cvt_f32_f64_e32 v4, v[16:17]
	s_branch .LBB176_1401
.LBB176_1388:
	s_mov_b32 s11, 0
	s_mov_b32 s0, 0
                                        ; implicit-def: $vgpr4
	s_cbranch_execnz .LBB176_1479
	s_branch .LBB176_1510
.LBB176_1389:
                                        ; implicit-def: $vgpr4
	s_branch .LBB176_1420
.LBB176_1390:
	s_branch .LBB176_1515
.LBB176_1391:
	s_mov_b32 s12, -1
	s_mov_b32 s11, 0
	s_mov_b32 s0, 0
                                        ; implicit-def: $vgpr4
	s_branch .LBB176_1458
.LBB176_1392:
	s_mov_b32 s0, -1
                                        ; implicit-def: $vgpr4
	s_branch .LBB176_1407
.LBB176_1393:
	s_mov_b32 s12, -1
	s_mov_b32 s11, 0
	s_mov_b32 s0, 0
                                        ; implicit-def: $vgpr4
	s_branch .LBB176_1452
.LBB176_1394:
	s_mov_b32 s0, -1
                                        ; implicit-def: $vgpr4
	s_branch .LBB176_1404
.LBB176_1395:
	s_cbranch_execnz .LBB176_1440
; %bb.1396:
	s_or_b32 s8, s10, exec_lo
                                        ; implicit-def: $vgpr2
	s_cbranch_execz .LBB176_1334
	s_branch .LBB176_1335
.LBB176_1397:
	s_or_saveexec_b32 s14, s14
                                        ; implicit-def: $sgpr15
	s_delay_alu instid0(SALU_CYCLE_1)
	s_xor_b32 exec_lo, exec_lo, s14
	s_cbranch_execz .LBB176_1115
.LBB176_1398:
	v_add_f32_e64 v0, 0x46000000, |v2|
	s_and_not1_b32 s13, s13, exec_lo
	s_mov_b32 s15, 0
	s_delay_alu instid0(VALU_DEP_1) | instskip(NEXT) | instid1(VALU_DEP_1)
	v_and_b32_e32 v0, 0xff, v0
	v_cmp_ne_u32_e32 vcc_lo, 0, v0
	s_and_b32 s16, vcc_lo, exec_lo
	s_delay_alu instid0(SALU_CYCLE_1)
	s_or_b32 s13, s13, s16
	s_or_b32 exec_lo, exec_lo, s14
	v_mov_b32_e32 v1, s15
	s_and_saveexec_b32 s14, s13
	s_cbranch_execnz .LBB176_1116
	s_branch .LBB176_1117
.LBB176_1399:
	s_mov_b32 s12, -1
	s_mov_b32 s11, 0
	s_mov_b32 s0, 0
	s_branch .LBB176_1445
.LBB176_1400:
	s_mov_b32 s0, -1
                                        ; implicit-def: $vgpr4
.LBB176_1401:
	s_delay_alu instid0(SALU_CYCLE_1)
	s_and_not1_b32 vcc_lo, exec_lo, s0
	s_cbranch_vccnz .LBB176_1403
; %bb.1402:
	global_load_b64 v[3:4], v[5:6], off
.LBB176_1403:
	s_mov_b32 s0, 0
.LBB176_1404:
	s_delay_alu instid0(SALU_CYCLE_1)
	s_and_not1_b32 vcc_lo, exec_lo, s0
	s_cbranch_vccnz .LBB176_1406
; %bb.1405:
	global_load_b32 v2, v[5:6], off
	s_waitcnt vmcnt(0)
	v_lshrrev_b32_e32 v4, 16, v2
	v_cvt_f32_f16_e32 v3, v2
	s_delay_alu instid0(VALU_DEP_2)
	v_cvt_f32_f16_e32 v4, v4
.LBB176_1406:
	s_mov_b32 s0, 0
.LBB176_1407:
	s_delay_alu instid0(SALU_CYCLE_1)
	s_and_not1_b32 vcc_lo, exec_lo, s0
	s_cbranch_vccnz .LBB176_1419
; %bb.1408:
	v_cmp_gt_i16_e32 vcc_lo, 6, v13
	s_cbranch_vccnz .LBB176_1411
; %bb.1409:
	v_cmp_lt_i16_e32 vcc_lo, 6, v13
	s_cbranch_vccz .LBB176_1412
; %bb.1410:
	global_load_b64 v[2:3], v[5:6], off
	s_mov_b32 s1, 0
	s_mov_b32 s0, 0
	s_waitcnt vmcnt(0)
	v_cvt_f32_f64_e32 v3, v[2:3]
	s_branch .LBB176_1413
.LBB176_1411:
	s_mov_b32 s1, -1
                                        ; implicit-def: $sgpr0
                                        ; implicit-def: $vgpr3
	s_branch .LBB176_1416
.LBB176_1412:
	s_mov_b32 s1, -1
                                        ; implicit-def: $sgpr0
                                        ; implicit-def: $vgpr3
.LBB176_1413:
	s_delay_alu instid0(SALU_CYCLE_1)
	s_and_not1_b32 vcc_lo, exec_lo, s1
	s_cbranch_vccnz .LBB176_1415
; %bb.1414:
	global_load_b32 v3, v[5:6], off
	s_mov_b32 s0, 0
.LBB176_1415:
	s_mov_b32 s1, 0
.LBB176_1416:
	s_delay_alu instid0(SALU_CYCLE_1)
	s_and_not1_b32 vcc_lo, exec_lo, s1
	s_cbranch_vccnz .LBB176_1418
; %bb.1417:
	global_load_u16 v2, v[5:6], off
	s_mov_b32 s0, 0
	s_waitcnt vmcnt(0)
	v_cvt_f32_f16_e32 v3, v2
.LBB176_1418:
	s_waitcnt vmcnt(0)
	v_mov_b32_e32 v4, s0
.LBB176_1419:
	s_cbranch_execnz .LBB176_1390
.LBB176_1420:
	v_cmp_gt_i16_e32 vcc_lo, 2, v13
	s_cbranch_vccnz .LBB176_1424
; %bb.1421:
	v_cmp_gt_i16_e32 vcc_lo, 3, v13
	s_cbranch_vccnz .LBB176_1425
; %bb.1422:
	v_cmp_lt_i16_e32 vcc_lo, 3, v13
	s_cbranch_vccz .LBB176_1426
; %bb.1423:
	global_load_b64 v[2:3], v[5:6], off
	s_mov_b32 s1, 0
	s_mov_b32 s0, 0
	s_waitcnt vmcnt(0)
	v_xor_b32_e32 v4, v2, v3
	v_cls_i32_e32 v8, v3
	s_delay_alu instid0(VALU_DEP_2) | instskip(NEXT) | instid1(VALU_DEP_2)
	v_ashrrev_i32_e32 v4, 31, v4
	v_add_nc_u32_e32 v8, -1, v8
	s_delay_alu instid0(VALU_DEP_2) | instskip(NEXT) | instid1(VALU_DEP_1)
	v_add_nc_u32_e32 v4, 32, v4
	v_min_u32_e32 v4, v8, v4
	s_delay_alu instid0(VALU_DEP_1) | instskip(NEXT) | instid1(VALU_DEP_1)
	v_lshlrev_b64 v[2:3], v4, v[2:3]
	v_min_u32_e32 v2, 1, v2
	s_delay_alu instid0(VALU_DEP_1) | instskip(SKIP_1) | instid1(VALU_DEP_2)
	v_or_b32_e32 v2, v3, v2
	v_sub_nc_u32_e32 v3, 32, v4
	v_cvt_f32_i32_e32 v2, v2
	s_delay_alu instid0(VALU_DEP_1)
	v_ldexp_f32 v3, v2, v3
	s_branch .LBB176_1427
.LBB176_1424:
	s_mov_b32 s1, -1
                                        ; implicit-def: $sgpr0
                                        ; implicit-def: $vgpr3
	s_branch .LBB176_1433
.LBB176_1425:
	s_mov_b32 s1, -1
                                        ; implicit-def: $sgpr0
                                        ; implicit-def: $vgpr3
	s_branch .LBB176_1430
.LBB176_1426:
	s_mov_b32 s1, -1
                                        ; implicit-def: $sgpr0
                                        ; implicit-def: $vgpr3
.LBB176_1427:
	s_delay_alu instid0(SALU_CYCLE_1)
	s_and_not1_b32 vcc_lo, exec_lo, s1
	s_cbranch_vccnz .LBB176_1429
; %bb.1428:
	global_load_b32 v2, v[5:6], off
	s_mov_b32 s0, 0
	s_waitcnt vmcnt(0)
	v_cvt_f32_i32_e32 v3, v2
.LBB176_1429:
	s_mov_b32 s1, 0
.LBB176_1430:
	s_delay_alu instid0(SALU_CYCLE_1)
	s_and_not1_b32 vcc_lo, exec_lo, s1
	s_cbranch_vccnz .LBB176_1432
; %bb.1431:
	global_load_i16 v2, v[5:6], off
	s_mov_b32 s0, 0
	s_waitcnt vmcnt(0)
	v_cvt_f32_i32_e32 v3, v2
.LBB176_1432:
	s_mov_b32 s1, 0
.LBB176_1433:
	s_delay_alu instid0(SALU_CYCLE_1)
	s_and_not1_b32 vcc_lo, exec_lo, s1
	s_cbranch_vccnz .LBB176_1439
; %bb.1434:
	v_cmp_lt_i16_e32 vcc_lo, 0, v13
	s_mov_b32 s1, 0
	s_cbranch_vccz .LBB176_1436
; %bb.1435:
	global_load_i8 v2, v[5:6], off
	s_mov_b32 s0, 0
	s_waitcnt vmcnt(0)
	v_cvt_f32_i32_e32 v3, v2
	s_branch .LBB176_1437
.LBB176_1436:
	s_mov_b32 s1, -1
                                        ; implicit-def: $sgpr0
                                        ; implicit-def: $vgpr3
.LBB176_1437:
	s_delay_alu instid0(SALU_CYCLE_1)
	s_and_not1_b32 vcc_lo, exec_lo, s1
	s_cbranch_vccnz .LBB176_1439
; %bb.1438:
	global_load_u8 v2, v[5:6], off
	s_mov_b32 s0, 0
	s_waitcnt vmcnt(0)
	v_cvt_f32_ubyte0_e32 v3, v2
.LBB176_1439:
	s_waitcnt vmcnt(0)
	v_mov_b32_e32 v4, s0
	s_branch .LBB176_1515
.LBB176_1440:
	s_trap 2
	s_sendmsg_rtn_b32 s0, sendmsg(MSG_RTN_GET_DOORBELL)
	s_mov_b32 ttmp2, m0
	s_waitcnt lgkmcnt(0)
	s_and_b32 s0, s0, 0x3ff
	s_delay_alu instid0(SALU_CYCLE_1) | instskip(NEXT) | instid1(SALU_CYCLE_1)
	s_bitset1_b32 s0, 10
	s_mov_b32 m0, s0
	s_sendmsg sendmsg(MSG_INTERRUPT)
	s_mov_b32 m0, ttmp2
.LBB176_1441:                           ; =>This Inner Loop Header: Depth=1
	s_sethalt 5
	s_branch .LBB176_1441
.LBB176_1442:
	s_or_saveexec_b32 s15, s15
                                        ; implicit-def: $sgpr16
	s_delay_alu instid0(SALU_CYCLE_1)
	s_xor_b32 exec_lo, exec_lo, s15
	s_cbranch_execz .LBB176_1127
.LBB176_1443:
	v_add_f32_e64 v0, 0x42800000, |v2|
	s_and_not1_b32 s14, s14, exec_lo
	s_mov_b32 s16, 0
	s_delay_alu instid0(VALU_DEP_1) | instskip(NEXT) | instid1(VALU_DEP_1)
	v_and_b32_e32 v0, 0xff, v0
	v_cmp_ne_u32_e32 vcc_lo, 0, v0
	s_and_b32 s17, vcc_lo, exec_lo
	s_delay_alu instid0(SALU_CYCLE_1)
	s_or_b32 s14, s14, s17
	s_or_b32 exec_lo, exec_lo, s15
	v_mov_b32_e32 v1, s16
	s_and_saveexec_b32 s15, s14
	s_cbranch_execnz .LBB176_1128
	s_branch .LBB176_1129
.LBB176_1444:
	s_mov_b32 s0, -1
	s_mov_b32 s11, 0
.LBB176_1445:
                                        ; implicit-def: $vgpr4
.LBB176_1446:
	s_and_b32 vcc_lo, exec_lo, s12
	s_cbranch_vccz .LBB176_1451
; %bb.1447:
	v_cmp_eq_u16_e32 vcc_lo, 44, v13
	s_cbranch_vccz .LBB176_1449
; %bb.1448:
	global_load_u8 v2, v[5:6], off
	s_mov_b32 s0, 0
	s_mov_b32 s11, -1
	s_waitcnt vmcnt(0)
	v_lshlrev_b32_e32 v3, 23, v2
	v_cmp_ne_u32_e32 vcc_lo, 0xff, v2
	s_delay_alu instid0(VALU_DEP_2) | instskip(SKIP_1) | instid1(VALU_DEP_2)
	v_cndmask_b32_e32 v3, 0x7f800001, v3, vcc_lo
	v_cmp_ne_u32_e32 vcc_lo, 0, v2
	v_cndmask_b32_e32 v3, 0x400000, v3, vcc_lo
	s_branch .LBB176_1450
.LBB176_1449:
	s_mov_b32 s0, -1
                                        ; implicit-def: $vgpr3
.LBB176_1450:
	s_delay_alu instid0(SALU_CYCLE_1)
	v_mov_b32_e32 v4, s0
.LBB176_1451:
	s_mov_b32 s12, 0
.LBB176_1452:
	s_delay_alu instid0(SALU_CYCLE_1)
	s_and_b32 vcc_lo, exec_lo, s12
	s_cbranch_vccz .LBB176_1457
; %bb.1453:
	v_cmp_eq_u16_e32 vcc_lo, 29, v13
	s_cbranch_vccz .LBB176_1455
; %bb.1454:
	global_load_b64 v[2:3], v[5:6], off
	s_mov_b32 s0, 0
	s_mov_b32 s11, -1
	s_mov_b32 s12, 0
	s_waitcnt vmcnt(0)
	v_clz_i32_u32_e32 v4, v3
	s_delay_alu instid0(VALU_DEP_1) | instskip(NEXT) | instid1(VALU_DEP_1)
	v_min_u32_e32 v4, 32, v4
	v_lshlrev_b64 v[2:3], v4, v[2:3]
	s_delay_alu instid0(VALU_DEP_1) | instskip(NEXT) | instid1(VALU_DEP_1)
	v_min_u32_e32 v2, 1, v2
	v_or_b32_e32 v2, v3, v2
	v_sub_nc_u32_e32 v3, 32, v4
	s_delay_alu instid0(VALU_DEP_2) | instskip(NEXT) | instid1(VALU_DEP_1)
	v_cvt_f32_u32_e32 v2, v2
	v_ldexp_f32 v3, v2, v3
	s_branch .LBB176_1456
.LBB176_1455:
	s_mov_b32 s0, -1
                                        ; implicit-def: $sgpr12
                                        ; implicit-def: $vgpr3
.LBB176_1456:
	v_mov_b32_e32 v4, s12
.LBB176_1457:
	s_mov_b32 s12, 0
.LBB176_1458:
	s_delay_alu instid0(SALU_CYCLE_1)
	s_and_b32 vcc_lo, exec_lo, s12
	s_cbranch_vccz .LBB176_1478
; %bb.1459:
	v_cmp_gt_i16_e32 vcc_lo, 27, v13
	s_cbranch_vccnz .LBB176_1462
; %bb.1460:
	v_cmp_lt_i16_e32 vcc_lo, 27, v13
	s_cbranch_vccz .LBB176_1463
; %bb.1461:
	global_load_b32 v2, v[5:6], off
	s_mov_b32 s12, 0
	s_mov_b32 s11, 0
	s_waitcnt vmcnt(0)
	v_cvt_f32_u32_e32 v3, v2
	s_branch .LBB176_1464
.LBB176_1462:
	s_mov_b32 s12, -1
                                        ; implicit-def: $sgpr11
                                        ; implicit-def: $vgpr3
	s_branch .LBB176_1467
.LBB176_1463:
	s_mov_b32 s12, -1
                                        ; implicit-def: $sgpr11
                                        ; implicit-def: $vgpr3
.LBB176_1464:
	s_delay_alu instid0(SALU_CYCLE_1)
	s_and_not1_b32 vcc_lo, exec_lo, s12
	s_cbranch_vccnz .LBB176_1466
; %bb.1465:
	global_load_u16 v2, v[5:6], off
	s_mov_b32 s11, 0
	s_waitcnt vmcnt(0)
	v_cvt_f32_u32_e32 v3, v2
.LBB176_1466:
	s_mov_b32 s12, 0
.LBB176_1467:
	v_mov_b32_e32 v4, s11
	s_and_not1_b32 vcc_lo, exec_lo, s12
	s_cbranch_vccnz .LBB176_1477
; %bb.1468:
	global_load_u8 v2, v[5:6], off
	s_mov_b32 s11, 0
	s_mov_b32 s14, exec_lo
                                        ; implicit-def: $sgpr13
                                        ; implicit-def: $sgpr12
	s_waitcnt vmcnt(0)
	v_cmpx_lt_i16_e32 0x7f, v2
	s_xor_b32 s14, exec_lo, s14
	s_cbranch_execz .LBB176_1472
; %bb.1469:
	s_mov_b32 s11, -1
	s_mov_b32 s15, exec_lo
                                        ; implicit-def: $sgpr13
                                        ; implicit-def: $sgpr12
	v_cmpx_eq_u16_e32 0x80, v2
; %bb.1470:
	s_mov_b32 s12, 0x7f800001
	s_mov_b32 s13, 0
	s_xor_b32 s11, exec_lo, -1
; %bb.1471:
	s_or_b32 exec_lo, exec_lo, s15
	s_delay_alu instid0(SALU_CYCLE_1)
	s_and_b32 s11, s11, exec_lo
.LBB176_1472:
	s_or_saveexec_b32 s14, s14
	v_dual_mov_b32 v4, s13 :: v_dual_mov_b32 v3, s12
	s_xor_b32 exec_lo, exec_lo, s14
; %bb.1473:
	v_mov_b32_e32 v4, 0
	v_cmp_ne_u16_e32 vcc_lo, 0, v2
	s_and_not1_b32 s11, s11, exec_lo
	s_delay_alu instid0(VALU_DEP_2) | instskip(SKIP_1) | instid1(SALU_CYCLE_1)
	v_mov_b32_e32 v3, v4
	s_and_b32 s12, vcc_lo, exec_lo
	s_or_b32 s11, s11, s12
; %bb.1474:
	s_or_b32 exec_lo, exec_lo, s14
	s_and_saveexec_b32 s12, s11
	s_cbranch_execz .LBB176_1476
; %bb.1475:
	v_and_b32_e32 v3, 0xffff, v2
	v_lshlrev_b32_e32 v2, 24, v2
	s_delay_alu instid0(VALU_DEP_2) | instskip(NEXT) | instid1(VALU_DEP_2)
	v_and_b32_e32 v4, 7, v3
	v_and_b32_e32 v2, 0x80000000, v2
	s_delay_alu instid0(VALU_DEP_2) | instskip(NEXT) | instid1(VALU_DEP_1)
	v_clz_i32_u32_e32 v8, v4
	v_min_u32_e32 v8, 32, v8
	s_delay_alu instid0(VALU_DEP_1) | instskip(SKIP_1) | instid1(VALU_DEP_2)
	v_subrev_nc_u32_e32 v9, 28, v8
	v_sub_nc_u32_e32 v8, 29, v8
	v_lshlrev_b32_e32 v9, v9, v3
	v_bfe_u32 v3, v3, 3, 4
	s_delay_alu instid0(VALU_DEP_2) | instskip(NEXT) | instid1(VALU_DEP_2)
	v_and_b32_e32 v9, 7, v9
	v_cmp_eq_u32_e32 vcc_lo, 0, v3
	s_delay_alu instid0(VALU_DEP_2) | instskip(NEXT) | instid1(VALU_DEP_1)
	v_dual_cndmask_b32 v3, v3, v8 :: v_dual_cndmask_b32 v4, v4, v9
	v_lshl_add_u32 v3, v3, 23, 0x3b800000
	s_delay_alu instid0(VALU_DEP_2) | instskip(NEXT) | instid1(VALU_DEP_1)
	v_lshlrev_b32_e32 v4, 20, v4
	v_or3_b32 v3, v2, v3, v4
	v_mov_b32_e32 v4, 0
.LBB176_1476:
	s_or_b32 exec_lo, exec_lo, s12
.LBB176_1477:
	s_mov_b32 s11, -1
.LBB176_1478:
	s_branch .LBB176_1510
.LBB176_1479:
	v_cmp_lt_i16_e32 vcc_lo, 22, v13
	s_cbranch_vccz .LBB176_1491
; %bb.1480:
	v_cmp_gt_i16_e32 vcc_lo, 24, v13
	s_cbranch_vccnz .LBB176_1492
; %bb.1481:
	v_cmp_lt_i16_e32 vcc_lo, 24, v13
	s_cbranch_vccz .LBB176_1493
; %bb.1482:
	global_load_u8 v2, v[5:6], off
	s_mov_b32 s13, exec_lo
                                        ; implicit-def: $sgpr12
                                        ; implicit-def: $sgpr11
	s_waitcnt vmcnt(0)
	v_cmpx_lt_i16_e32 0x7f, v2
	s_xor_b32 s13, exec_lo, s13
	s_cbranch_execz .LBB176_1486
; %bb.1483:
	s_mov_b32 s1, -1
	s_mov_b32 s14, exec_lo
                                        ; implicit-def: $sgpr12
                                        ; implicit-def: $sgpr11
	v_cmpx_eq_u16_e32 0x80, v2
; %bb.1484:
	s_mov_b32 s11, 0x7f800001
	s_mov_b32 s12, 0
	s_xor_b32 s1, exec_lo, -1
; %bb.1485:
	s_or_b32 exec_lo, exec_lo, s14
	s_delay_alu instid0(SALU_CYCLE_1)
	s_and_b32 s1, s1, exec_lo
.LBB176_1486:
	s_or_saveexec_b32 s13, s13
	v_dual_mov_b32 v4, s12 :: v_dual_mov_b32 v3, s11
	s_xor_b32 exec_lo, exec_lo, s13
; %bb.1487:
	v_mov_b32_e32 v4, 0
	v_cmp_ne_u16_e32 vcc_lo, 0, v2
	s_and_not1_b32 s1, s1, exec_lo
	s_delay_alu instid0(VALU_DEP_2) | instskip(SKIP_1) | instid1(SALU_CYCLE_1)
	v_mov_b32_e32 v3, v4
	s_and_b32 s11, vcc_lo, exec_lo
	s_or_b32 s1, s1, s11
; %bb.1488:
	s_or_b32 exec_lo, exec_lo, s13
	s_and_saveexec_b32 s11, s1
	s_cbranch_execz .LBB176_1490
; %bb.1489:
	v_and_b32_e32 v3, 0xffff, v2
	v_lshlrev_b32_e32 v2, 24, v2
	s_delay_alu instid0(VALU_DEP_2) | instskip(NEXT) | instid1(VALU_DEP_2)
	v_and_b32_e32 v4, 3, v3
	v_and_b32_e32 v2, 0x80000000, v2
	s_delay_alu instid0(VALU_DEP_2) | instskip(NEXT) | instid1(VALU_DEP_1)
	v_clz_i32_u32_e32 v8, v4
	v_min_u32_e32 v8, 32, v8
	s_delay_alu instid0(VALU_DEP_1) | instskip(SKIP_1) | instid1(VALU_DEP_2)
	v_subrev_nc_u32_e32 v9, 29, v8
	v_sub_nc_u32_e32 v8, 30, v8
	v_lshlrev_b32_e32 v9, v9, v3
	v_bfe_u32 v3, v3, 2, 5
	s_delay_alu instid0(VALU_DEP_2) | instskip(NEXT) | instid1(VALU_DEP_2)
	v_and_b32_e32 v9, 3, v9
	v_cmp_eq_u32_e32 vcc_lo, 0, v3
	s_delay_alu instid0(VALU_DEP_2) | instskip(NEXT) | instid1(VALU_DEP_1)
	v_dual_cndmask_b32 v3, v3, v8 :: v_dual_cndmask_b32 v4, v4, v9
	v_lshl_add_u32 v3, v3, 23, 0x37800000
	s_delay_alu instid0(VALU_DEP_2) | instskip(NEXT) | instid1(VALU_DEP_1)
	v_lshlrev_b32_e32 v4, 21, v4
	v_or3_b32 v3, v2, v3, v4
	v_mov_b32_e32 v4, 0
.LBB176_1490:
	s_or_b32 exec_lo, exec_lo, s11
	s_mov_b32 s1, 0
	s_branch .LBB176_1494
.LBB176_1491:
	s_mov_b32 s1, -1
                                        ; implicit-def: $vgpr4
	s_branch .LBB176_1500
.LBB176_1492:
	s_mov_b32 s1, -1
                                        ; implicit-def: $vgpr4
	s_branch .LBB176_1497
.LBB176_1493:
	s_mov_b32 s1, -1
                                        ; implicit-def: $vgpr4
.LBB176_1494:
	s_delay_alu instid0(SALU_CYCLE_1)
	s_and_b32 vcc_lo, exec_lo, s1
	s_cbranch_vccz .LBB176_1496
; %bb.1495:
	global_load_u8 v2, v[5:6], off
	s_waitcnt vmcnt(0)
	v_lshlrev_b32_e32 v2, 24, v2
	s_delay_alu instid0(VALU_DEP_1) | instskip(NEXT) | instid1(VALU_DEP_1)
	v_and_b32_e32 v3, 0x7f000000, v2
	v_clz_i32_u32_e32 v4, v3
	v_add_nc_u32_e32 v9, 0x1000000, v3
	v_cmp_ne_u32_e32 vcc_lo, 0, v3
	s_delay_alu instid0(VALU_DEP_3) | instskip(NEXT) | instid1(VALU_DEP_1)
	v_min_u32_e32 v4, 32, v4
	v_sub_nc_u32_e64 v4, v4, 4 clamp
	s_delay_alu instid0(VALU_DEP_1) | instskip(SKIP_1) | instid1(VALU_DEP_2)
	v_lshlrev_b32_e32 v8, v4, v3
	v_lshlrev_b32_e32 v4, 23, v4
	v_lshrrev_b32_e32 v8, 4, v8
	s_delay_alu instid0(VALU_DEP_1) | instskip(SKIP_1) | instid1(VALU_DEP_2)
	v_sub_nc_u32_e32 v4, v8, v4
	v_ashrrev_i32_e32 v8, 8, v9
	v_add_nc_u32_e32 v4, 0x3c000000, v4
	s_delay_alu instid0(VALU_DEP_1) | instskip(NEXT) | instid1(VALU_DEP_1)
	v_and_or_b32 v4, 0x7f800000, v8, v4
	v_dual_cndmask_b32 v3, 0, v4 :: v_dual_mov_b32 v4, 0
	s_delay_alu instid0(VALU_DEP_1)
	v_and_or_b32 v3, 0x80000000, v2, v3
.LBB176_1496:
	s_mov_b32 s1, 0
.LBB176_1497:
	s_delay_alu instid0(SALU_CYCLE_1)
	s_and_not1_b32 vcc_lo, exec_lo, s1
	s_cbranch_vccnz .LBB176_1499
; %bb.1498:
	global_load_u8 v2, v[5:6], off
	s_waitcnt vmcnt(0)
	v_lshlrev_b32_e32 v3, 25, v2
	v_lshlrev_b16 v2, 8, v2
	s_delay_alu instid0(VALU_DEP_1) | instskip(SKIP_1) | instid1(VALU_DEP_2)
	v_and_or_b32 v8, 0x7f00, v2, 0.5
	v_bfe_i32 v2, v2, 0, 16
	v_add_f32_e32 v8, -0.5, v8
	v_lshrrev_b32_e32 v4, 4, v3
	v_cmp_gt_u32_e32 vcc_lo, 0x8000000, v3
	s_delay_alu instid0(VALU_DEP_2) | instskip(NEXT) | instid1(VALU_DEP_1)
	v_or_b32_e32 v4, 0x70000000, v4
	v_mul_f32_e32 v4, 0x7800000, v4
	s_delay_alu instid0(VALU_DEP_1) | instskip(NEXT) | instid1(VALU_DEP_1)
	v_dual_cndmask_b32 v3, v4, v8 :: v_dual_mov_b32 v4, 0
	v_and_or_b32 v3, 0x80000000, v2, v3
.LBB176_1499:
	s_mov_b32 s1, 0
	s_mov_b32 s11, -1
.LBB176_1500:
	s_and_not1_b32 vcc_lo, exec_lo, s1
	s_mov_b32 s1, 0
	s_cbranch_vccnz .LBB176_1510
; %bb.1501:
	v_cmp_lt_i16_e32 vcc_lo, 14, v13
	s_cbranch_vccz .LBB176_1504
; %bb.1502:
	v_cmp_eq_u16_e32 vcc_lo, 15, v13
	s_cbranch_vccz .LBB176_1505
; %bb.1503:
	global_load_u16 v2, v[5:6], off
	s_mov_b32 s0, 0
	s_mov_b32 s11, -1
	s_mov_b32 s12, 0
	s_waitcnt vmcnt(0)
	v_lshlrev_b32_e32 v3, 16, v2
	s_branch .LBB176_1507
.LBB176_1504:
	s_mov_b32 s1, -1
	s_branch .LBB176_1506
.LBB176_1505:
	s_mov_b32 s0, -1
.LBB176_1506:
                                        ; implicit-def: $sgpr12
                                        ; implicit-def: $vgpr3
.LBB176_1507:
	s_and_b32 vcc_lo, exec_lo, s1
	s_mov_b32 s1, 0
	s_cbranch_vccz .LBB176_1509
; %bb.1508:
	v_cmp_ne_u16_e64 s0, 11, v13
	s_mov_b32 s1, -1
                                        ; implicit-def: $sgpr12
                                        ; implicit-def: $vgpr3
.LBB176_1509:
	v_mov_b32_e32 v4, s12
.LBB176_1510:
	s_delay_alu instid0(VALU_DEP_2)
	s_and_b32 vcc_lo, exec_lo, s0
	s_cbranch_vccnz .LBB176_1572
; %bb.1511:
	s_and_not1_b32 vcc_lo, exec_lo, s1
	s_cbranch_vccnz .LBB176_1513
.LBB176_1512:
	global_load_u8 v2, v[5:6], off
	v_mov_b32_e32 v4, 0
	s_mov_b32 s11, -1
	s_waitcnt vmcnt(0)
	v_cmp_ne_u16_e32 vcc_lo, 0, v2
	v_cndmask_b32_e64 v3, 0, 1.0, vcc_lo
.LBB176_1513:
.LBB176_1514:
	s_and_not1_b32 vcc_lo, exec_lo, s11
	s_cbranch_vccnz .LBB176_1880
.LBB176_1515:
	s_waitcnt vmcnt(0)
	s_delay_alu instid0(VALU_DEP_1) | instskip(NEXT) | instid1(VALU_DEP_2)
	v_cmp_neq_f32_e32 vcc_lo, 0, v3
	v_cmp_neq_f32_e64 s0, 0, v4
	v_mov_b32_e32 v5, 0
	s_delay_alu instid0(VALU_DEP_2) | instskip(NEXT) | instid1(SALU_CYCLE_1)
	s_or_b32 s0, vcc_lo, s0
	s_and_saveexec_b32 s11, s0
	s_cbranch_execz .LBB176_1545
; %bb.1516:
	v_mov_b32_e32 v5, 0x7f800000
	s_mov_b32 s12, exec_lo
	v_cmpx_neq_f32_e64 0x7f800000, |v4|
	s_cbranch_execz .LBB176_1544
; %bb.1517:
	s_mov_b32 s0, exec_lo
	v_cmpx_o_f32_e32 v3, v3
	s_xor_b32 s13, exec_lo, s0
	s_cbranch_execz .LBB176_1541
; %bb.1518:
	s_mov_b32 s1, exec_lo
	v_cmpx_neq_f32_e64 0x7f800000, |v3|
	s_xor_b32 s14, exec_lo, s1
	s_cbranch_execz .LBB176_1534
; %bb.1519:
	v_max_f32_e64 v2, |v4|, |v4|
	v_max_f32_e64 v5, |v3|, |v3|
                                        ; implicit-def: $sgpr15
	s_delay_alu instid0(VALU_DEP_1) | instskip(NEXT) | instid1(VALU_DEP_1)
	v_max_f32_e32 v2, v5, v2
	v_cmp_nle_f32_e64 s0, 0x7ed413cb, v2
	s_delay_alu instid0(VALU_DEP_1) | instskip(NEXT) | instid1(SALU_CYCLE_1)
	s_and_saveexec_b32 s1, s0
	s_xor_b32 s1, exec_lo, s1
	s_cbranch_execz .LBB176_1523
; %bb.1520:
	v_cmp_ge_f32_e64 s15, 0x1000000, |v3|
	v_cmp_ge_f32_e64 s16, 0x1000000, |v4|
	s_delay_alu instid0(VALU_DEP_1)
	s_and_b32 s17, s15, s16
	s_mov_b32 s15, 0
	s_and_saveexec_b32 s16, s17
; %bb.1521:
	v_dual_mul_f32 v4, 4.0, v4 :: v_dual_mul_f32 v3, 4.0, v3
	s_mov_b32 s15, exec_lo
; %bb.1522:
	s_or_b32 exec_lo, exec_lo, s16
	s_delay_alu instid0(SALU_CYCLE_1)
	s_and_b32 s15, s15, exec_lo
.LBB176_1523:
	s_and_not1_saveexec_b32 s1, s1
; %bb.1524:
	v_dual_mul_f32 v3, 0x3e800000, v3 :: v_dual_mul_f32 v4, 0x3e800000, v4
	s_and_not1_b32 s15, s15, exec_lo
; %bb.1525:
	s_or_b32 exec_lo, exec_lo, s1
	s_delay_alu instid0(VALU_DEP_1) | instskip(NEXT) | instid1(VALU_DEP_2)
	v_max_f32_e64 v2, |v4|, |v4|
	v_max_f32_e64 v5, |v3|, |v3|
	s_delay_alu instid0(VALU_DEP_1) | instskip(NEXT) | instid1(VALU_DEP_1)
	v_max_f32_e32 v2, v5, v2
	v_cvt_f64_f32_e32 v[5:6], v2
	v_cmp_neq_f32_e64 s1, 0x7f800000, v2
                                        ; implicit-def: $vgpr2
	s_delay_alu instid0(VALU_DEP_2) | instskip(NEXT) | instid1(VALU_DEP_1)
	v_frexp_exp_i32_f64_e32 v5, v[5:6]
	v_sub_nc_u32_e32 v6, 0, v5
	s_delay_alu instid0(VALU_DEP_1) | instskip(SKIP_1) | instid1(VALU_DEP_2)
	v_ldexp_f32 v8, |v4|, v6
	v_ldexp_f32 v6, |v3|, v6
	v_mul_f32_e32 v8, v8, v8
	s_delay_alu instid0(VALU_DEP_1) | instskip(NEXT) | instid1(VALU_DEP_1)
	v_fmac_f32_e32 v8, v6, v6
	v_sqrt_f32_e32 v6, v8
	s_waitcnt_depctr 0xfff
	v_ldexp_f32 v5, v6, v5
	s_delay_alu instid0(VALU_DEP_1)
	v_cndmask_b32_e64 v6, 0x7f800000, v5, s1
                                        ; implicit-def: $vgpr5
	s_mov_b32 s1, exec_lo
	v_cmpx_le_f32_e32 0, v3
	s_xor_b32 s16, exec_lo, s1
	s_cbranch_execz .LBB176_1527
; %bb.1526:
	v_add_f32_e32 v2, v3, v6
	s_delay_alu instid0(VALU_DEP_1) | instskip(NEXT) | instid1(VALU_DEP_1)
	v_mul_f32_e32 v2, 0.5, v2
	v_mul_f32_e32 v3, 0x4f800000, v2
	v_cmp_gt_f32_e32 vcc_lo, 0xf800000, v2
	s_delay_alu instid0(VALU_DEP_2) | instskip(NEXT) | instid1(VALU_DEP_1)
	v_cndmask_b32_e32 v2, v2, v3, vcc_lo
	v_sqrt_f32_e32 v3, v2
	s_waitcnt_depctr 0xfff
	v_add_nc_u32_e32 v5, -1, v3
	v_add_nc_u32_e32 v6, 1, v3
	s_delay_alu instid0(VALU_DEP_2) | instskip(NEXT) | instid1(VALU_DEP_2)
	v_fma_f32 v8, -v5, v3, v2
	v_fma_f32 v9, -v6, v3, v2
	s_delay_alu instid0(VALU_DEP_2) | instskip(NEXT) | instid1(VALU_DEP_1)
	v_cmp_ge_f32_e64 s1, 0, v8
	v_cndmask_b32_e64 v3, v3, v5, s1
	s_delay_alu instid0(VALU_DEP_3) | instskip(NEXT) | instid1(VALU_DEP_1)
	v_cmp_lt_f32_e64 s1, 0, v9
	v_cndmask_b32_e64 v3, v3, v6, s1
	s_delay_alu instid0(VALU_DEP_1) | instskip(NEXT) | instid1(VALU_DEP_1)
	v_mul_f32_e32 v5, 0x37800000, v3
	v_cndmask_b32_e32 v3, v3, v5, vcc_lo
	v_cmp_class_f32_e64 vcc_lo, v2, 0x260
	s_delay_alu instid0(VALU_DEP_2) | instskip(NEXT) | instid1(VALU_DEP_1)
	v_cndmask_b32_e32 v2, v3, v2, vcc_lo
	v_add_f32_e32 v3, v2, v2
	s_delay_alu instid0(VALU_DEP_1) | instskip(NEXT) | instid1(VALU_DEP_1)
	v_div_scale_f32 v5, null, v3, v3, v4
	v_rcp_f32_e32 v6, v5
	s_waitcnt_depctr 0xfff
	v_fma_f32 v8, -v5, v6, 1.0
	s_delay_alu instid0(VALU_DEP_1) | instskip(SKIP_1) | instid1(VALU_DEP_1)
	v_fmac_f32_e32 v6, v8, v6
	v_div_scale_f32 v8, vcc_lo, v4, v3, v4
	v_mul_f32_e32 v9, v8, v6
	s_delay_alu instid0(VALU_DEP_1) | instskip(NEXT) | instid1(VALU_DEP_1)
	v_fma_f32 v10, -v5, v9, v8
	v_fmac_f32_e32 v9, v10, v6
	s_delay_alu instid0(VALU_DEP_1) | instskip(NEXT) | instid1(VALU_DEP_1)
	v_fma_f32 v5, -v5, v9, v8
	v_div_fmas_f32 v5, v5, v6, v9
                                        ; implicit-def: $vgpr6
	s_delay_alu instid0(VALU_DEP_1)
	v_div_fixup_f32 v5, v5, v3, v4
                                        ; implicit-def: $vgpr3
	s_and_not1_saveexec_b32 s16, s16
	s_cbranch_execz .LBB176_1529
	s_branch .LBB176_1528
.LBB176_1527:
	s_and_not1_saveexec_b32 s16, s16
	s_cbranch_execz .LBB176_1529
.LBB176_1528:
	v_sub_f32_e32 v2, v6, v3
	s_delay_alu instid0(VALU_DEP_1) | instskip(NEXT) | instid1(VALU_DEP_1)
	v_mul_f32_e32 v2, 0.5, v2
	v_mul_f32_e32 v3, 0x4f800000, v2
	v_cmp_gt_f32_e32 vcc_lo, 0xf800000, v2
	s_delay_alu instid0(VALU_DEP_2) | instskip(NEXT) | instid1(VALU_DEP_1)
	v_cndmask_b32_e32 v2, v2, v3, vcc_lo
	v_sqrt_f32_e32 v3, v2
	s_waitcnt_depctr 0xfff
	v_add_nc_u32_e32 v5, -1, v3
	v_add_nc_u32_e32 v6, 1, v3
	s_delay_alu instid0(VALU_DEP_2) | instskip(NEXT) | instid1(VALU_DEP_2)
	v_fma_f32 v8, -v5, v3, v2
	v_fma_f32 v9, -v6, v3, v2
	s_delay_alu instid0(VALU_DEP_2) | instskip(NEXT) | instid1(VALU_DEP_1)
	v_cmp_ge_f32_e64 s1, 0, v8
	v_cndmask_b32_e64 v3, v3, v5, s1
	s_delay_alu instid0(VALU_DEP_3) | instskip(NEXT) | instid1(VALU_DEP_1)
	v_cmp_lt_f32_e64 s1, 0, v9
	v_cndmask_b32_e64 v3, v3, v6, s1
	s_delay_alu instid0(VALU_DEP_1) | instskip(NEXT) | instid1(VALU_DEP_1)
	v_mul_f32_e32 v5, 0x37800000, v3
	v_cndmask_b32_e32 v3, v3, v5, vcc_lo
	v_cmp_class_f32_e64 vcc_lo, v2, 0x260
	s_delay_alu instid0(VALU_DEP_2) | instskip(NEXT) | instid1(VALU_DEP_1)
	v_dual_cndmask_b32 v3, v3, v2 :: v_dual_and_b32 v2, 0x7fffffff, v4
	v_add_f32_e32 v5, v3, v3
	s_delay_alu instid0(VALU_DEP_1) | instskip(SKIP_1) | instid1(VALU_DEP_2)
	v_div_scale_f32 v6, null, v5, v5, v2
	v_div_scale_f32 v2, vcc_lo, v2, v5, v2
	v_rcp_f32_e32 v8, v6
	s_waitcnt_depctr 0xfff
	v_fma_f32 v9, -v6, v8, 1.0
	s_delay_alu instid0(VALU_DEP_1) | instskip(NEXT) | instid1(VALU_DEP_1)
	v_fmac_f32_e32 v8, v9, v8
	v_mul_f32_e32 v9, v2, v8
	s_delay_alu instid0(VALU_DEP_1) | instskip(NEXT) | instid1(VALU_DEP_1)
	v_fma_f32 v10, -v6, v9, v2
	v_fmac_f32_e32 v9, v10, v8
	s_delay_alu instid0(VALU_DEP_1) | instskip(NEXT) | instid1(VALU_DEP_1)
	v_fma_f32 v2, -v6, v9, v2
	v_div_fmas_f32 v2, v2, v8, v9
	s_delay_alu instid0(VALU_DEP_1)
	v_div_fixup_f32 v2, v2, v5, |v4|
	v_bfi_b32 v5, 0x7fffffff, v3, v4
.LBB176_1529:
	s_or_b32 exec_lo, exec_lo, s16
                                        ; implicit-def: $vgpr4
	s_and_saveexec_b32 s1, s0
	s_delay_alu instid0(SALU_CYCLE_1)
	s_xor_b32 s0, exec_lo, s1
	s_cbranch_execz .LBB176_1531
; %bb.1530:
	v_dual_mul_f32 v3, 0.5, v2 :: v_dual_mul_f32 v4, 0.5, v5
	s_delay_alu instid0(VALU_DEP_1) | instskip(NEXT) | instid1(VALU_DEP_2)
	v_cndmask_b32_e64 v3, v2, v3, s15
	v_cndmask_b32_e64 v4, v5, v4, s15
                                        ; implicit-def: $vgpr2
                                        ; implicit-def: $vgpr5
	s_and_not1_saveexec_b32 s0, s0
	s_cbranch_execnz .LBB176_1532
	s_branch .LBB176_1533
.LBB176_1531:
	s_and_not1_saveexec_b32 s0, s0
.LBB176_1532:
	v_dual_add_f32 v3, v2, v2 :: v_dual_add_f32 v4, v5, v5
.LBB176_1533:
	s_or_b32 exec_lo, exec_lo, s0
.LBB176_1534:
	s_and_not1_saveexec_b32 s0, s14
	s_cbranch_execz .LBB176_1540
; %bb.1535:
	s_delay_alu instid0(VALU_DEP_1)
	v_sub_f32_e32 v2, v4, v4
	s_mov_b32 s1, exec_lo
	v_cmpx_lt_i32_e32 -1, v3
	s_xor_b32 s1, exec_lo, s1
; %bb.1536:
	s_delay_alu instid0(VALU_DEP_2)
	v_bfi_b32 v4, 0x7fffffff, v2, v4
                                        ; implicit-def: $vgpr2
; %bb.1537:
	s_and_not1_saveexec_b32 s1, s1
; %bb.1538:
	v_and_b32_e32 v2, 0x7fffffff, v2
	s_delay_alu instid0(VALU_DEP_2) | instskip(NEXT) | instid1(VALU_DEP_2)
	v_bfi_b32 v4, 0x7fffffff, v3, v4
	v_mov_b32_e32 v3, v2
; %bb.1539:
	s_or_b32 exec_lo, exec_lo, s1
.LBB176_1540:
	s_delay_alu instid0(SALU_CYCLE_1)
	s_or_b32 exec_lo, exec_lo, s0
.LBB176_1541:
	s_and_not1_saveexec_b32 s0, s13
; %bb.1542:
	v_sub_f32_e32 v2, v4, v4
	s_delay_alu instid0(VALU_DEP_1) | instskip(NEXT) | instid1(VALU_DEP_1)
	v_div_scale_f32 v4, vcc_lo, v2, v2, v2
	v_rcp_f32_e32 v5, v4
	s_waitcnt_depctr 0xfff
	v_fma_f32 v6, -v4, v5, 1.0
	s_delay_alu instid0(VALU_DEP_1) | instskip(NEXT) | instid1(VALU_DEP_1)
	v_fmac_f32_e32 v5, v6, v5
	v_mul_f32_e32 v6, v4, v5
	s_delay_alu instid0(VALU_DEP_1) | instskip(NEXT) | instid1(VALU_DEP_1)
	v_fma_f32 v8, -v4, v6, v4
	v_fmac_f32_e32 v6, v8, v5
	s_delay_alu instid0(VALU_DEP_1) | instskip(NEXT) | instid1(VALU_DEP_1)
	v_fma_f32 v4, -v4, v6, v4
	v_div_fmas_f32 v4, v4, v5, v6
	s_delay_alu instid0(VALU_DEP_1)
	v_div_fixup_f32 v4, v4, v2, v2
; %bb.1543:
	s_or_b32 exec_lo, exec_lo, s0
	v_mov_b32_e32 v5, v3
.LBB176_1544:
	s_or_b32 exec_lo, exec_lo, s12
.LBB176_1545:
	s_delay_alu instid0(SALU_CYCLE_1) | instskip(NEXT) | instid1(VALU_DEP_1)
	s_or_b32 exec_lo, exec_lo, s11
	v_cmp_gt_f32_e32 vcc_lo, 0, v5
                                        ; implicit-def: $vgpr3
	s_mov_b32 s0, exec_lo
	v_cndmask_b32_e64 v6, v5, -v5, vcc_lo
	v_cmp_gt_f32_e32 vcc_lo, 0, v4
	v_cndmask_b32_e64 v8, v4, -v4, vcc_lo
	s_delay_alu instid0(VALU_DEP_1)
	v_cmpx_ge_f32_e32 v6, v8
	s_xor_b32 s1, exec_lo, s0
	s_cbranch_execz .LBB176_1551
; %bb.1546:
	v_cmp_neq_f32_e32 vcc_lo, 0, v5
	v_cmp_neq_f32_e64 s0, 0, v4
                                        ; implicit-def: $vgpr3
	s_delay_alu instid0(VALU_DEP_1) | instskip(NEXT) | instid1(SALU_CYCLE_1)
	s_or_b32 s0, vcc_lo, s0
	s_and_saveexec_b32 s11, s0
	s_delay_alu instid0(SALU_CYCLE_1)
	s_xor_b32 s0, exec_lo, s11
	s_cbranch_execz .LBB176_1548
; %bb.1547:
	v_div_scale_f32 v2, null, v5, v5, v4
	v_div_scale_f32 v8, vcc_lo, v4, v5, v4
	s_delay_alu instid0(VALU_DEP_2) | instskip(SKIP_2) | instid1(VALU_DEP_1)
	v_rcp_f32_e32 v3, v2
	s_waitcnt_depctr 0xfff
	v_fma_f32 v6, -v2, v3, 1.0
	v_fmac_f32_e32 v3, v6, v3
	s_delay_alu instid0(VALU_DEP_1) | instskip(NEXT) | instid1(VALU_DEP_1)
	v_mul_f32_e32 v6, v8, v3
	v_fma_f32 v9, -v2, v6, v8
	s_delay_alu instid0(VALU_DEP_1) | instskip(NEXT) | instid1(VALU_DEP_1)
	v_fmac_f32_e32 v6, v9, v3
	v_fma_f32 v2, -v2, v6, v8
	s_delay_alu instid0(VALU_DEP_1) | instskip(NEXT) | instid1(VALU_DEP_1)
	v_div_fmas_f32 v2, v2, v3, v6
	v_div_fixup_f32 v3, v2, v5, v4
	s_delay_alu instid0(VALU_DEP_1) | instskip(NEXT) | instid1(VALU_DEP_1)
	v_fmac_f32_e32 v5, v4, v3
	v_div_scale_f32 v2, null, v5, v5, 1.0
	s_delay_alu instid0(VALU_DEP_1) | instskip(SKIP_2) | instid1(VALU_DEP_1)
	v_rcp_f32_e32 v4, v2
	s_waitcnt_depctr 0xfff
	v_fma_f32 v6, -v2, v4, 1.0
	v_fmac_f32_e32 v4, v6, v4
	v_div_scale_f32 v8, vcc_lo, 1.0, v5, 1.0
	s_delay_alu instid0(VALU_DEP_1) | instskip(NEXT) | instid1(VALU_DEP_1)
	v_mul_f32_e32 v6, v8, v4
	v_fma_f32 v9, -v2, v6, v8
	s_delay_alu instid0(VALU_DEP_1) | instskip(NEXT) | instid1(VALU_DEP_1)
	v_fmac_f32_e32 v6, v9, v4
	v_fma_f32 v2, -v2, v6, v8
                                        ; implicit-def: $vgpr8
	s_delay_alu instid0(VALU_DEP_1) | instskip(SKIP_1) | instid1(VALU_DEP_2)
	v_div_fmas_f32 v2, v2, v4, v6
	v_fma_f32 v4, v3, 0, 1.0
                                        ; implicit-def: $vgpr6
	v_div_fixup_f32 v5, v2, v5, 1.0
	s_delay_alu instid0(VALU_DEP_1)
	v_mul_f32_e32 v2, v4, v5
	v_mul_f32_e64 v3, -v3, v5
.LBB176_1548:
	s_and_not1_saveexec_b32 s11, s0
	s_cbranch_execz .LBB176_1550
; %bb.1549:
	v_div_scale_f32 v2, null, v6, v6, 1.0
	v_div_scale_f32 v3, null, v8, v8, 0
	v_div_scale_f32 v14, vcc_lo, 1.0, v6, 1.0
	s_delay_alu instid0(VALU_DEP_3) | instskip(NEXT) | instid1(VALU_DEP_2)
	v_rcp_f32_e32 v4, v2
	v_rcp_f32_e32 v5, v3
	s_waitcnt_depctr 0xfff
	v_fma_f32 v9, -v2, v4, 1.0
	v_fma_f32 v10, -v3, v5, 1.0
	s_delay_alu instid0(VALU_DEP_1) | instskip(SKIP_1) | instid1(VALU_DEP_1)
	v_dual_fmac_f32 v4, v9, v4 :: v_dual_fmac_f32 v5, v10, v5
	v_div_scale_f32 v9, s0, 0, v8, 0
	v_dual_mul_f32 v10, v14, v4 :: v_dual_mul_f32 v15, v9, v5
	s_delay_alu instid0(VALU_DEP_1) | instskip(NEXT) | instid1(VALU_DEP_2)
	v_fma_f32 v16, -v2, v10, v14
	v_fma_f32 v17, -v3, v15, v9
	s_delay_alu instid0(VALU_DEP_1) | instskip(NEXT) | instid1(VALU_DEP_1)
	v_dual_fmac_f32 v10, v16, v4 :: v_dual_fmac_f32 v15, v17, v5
	v_fma_f32 v2, -v2, v10, v14
	s_delay_alu instid0(VALU_DEP_2) | instskip(NEXT) | instid1(VALU_DEP_2)
	v_fma_f32 v3, -v3, v15, v9
	v_div_fmas_f32 v2, v2, v4, v10
	s_mov_b32 vcc_lo, s0
	s_delay_alu instid0(VALU_DEP_2) | instskip(NEXT) | instid1(VALU_DEP_2)
	v_div_fmas_f32 v3, v3, v5, v15
	v_div_fixup_f32 v2, v2, v6, 1.0
	s_delay_alu instid0(VALU_DEP_2)
	v_div_fixup_f32 v3, v3, v8, 0
.LBB176_1550:
	s_or_b32 exec_lo, exec_lo, s11
                                        ; implicit-def: $vgpr4
                                        ; implicit-def: $vgpr5
.LBB176_1551:
	s_and_not1_saveexec_b32 s0, s1
	s_cbranch_execz .LBB176_1553
; %bb.1552:
	v_div_scale_f32 v2, null, v4, v4, v5
	v_div_scale_f32 v8, vcc_lo, v5, v4, v5
	s_delay_alu instid0(VALU_DEP_2) | instskip(SKIP_2) | instid1(VALU_DEP_1)
	v_rcp_f32_e32 v3, v2
	s_waitcnt_depctr 0xfff
	v_fma_f32 v6, -v2, v3, 1.0
	v_fmac_f32_e32 v3, v6, v3
	s_delay_alu instid0(VALU_DEP_1) | instskip(NEXT) | instid1(VALU_DEP_1)
	v_mul_f32_e32 v6, v8, v3
	v_fma_f32 v9, -v2, v6, v8
	s_delay_alu instid0(VALU_DEP_1) | instskip(NEXT) | instid1(VALU_DEP_1)
	v_fmac_f32_e32 v6, v9, v3
	v_fma_f32 v2, -v2, v6, v8
	s_delay_alu instid0(VALU_DEP_1) | instskip(NEXT) | instid1(VALU_DEP_1)
	v_div_fmas_f32 v2, v2, v3, v6
	v_div_fixup_f32 v2, v2, v4, v5
	s_delay_alu instid0(VALU_DEP_1) | instskip(NEXT) | instid1(VALU_DEP_1)
	v_fmac_f32_e32 v4, v5, v2
	v_div_scale_f32 v3, null, v4, v4, 1.0
	v_div_scale_f32 v8, vcc_lo, 1.0, v4, 1.0
	s_delay_alu instid0(VALU_DEP_2) | instskip(SKIP_2) | instid1(VALU_DEP_1)
	v_rcp_f32_e32 v5, v3
	s_waitcnt_depctr 0xfff
	v_fma_f32 v6, -v3, v5, 1.0
	v_fmac_f32_e32 v5, v6, v5
	s_delay_alu instid0(VALU_DEP_1) | instskip(NEXT) | instid1(VALU_DEP_1)
	v_mul_f32_e32 v6, v8, v5
	v_fma_f32 v9, -v3, v6, v8
	s_delay_alu instid0(VALU_DEP_1) | instskip(NEXT) | instid1(VALU_DEP_1)
	v_fmac_f32_e32 v6, v9, v5
	v_fma_f32 v3, -v3, v6, v8
	s_delay_alu instid0(VALU_DEP_1) | instskip(SKIP_1) | instid1(VALU_DEP_2)
	v_div_fmas_f32 v3, v3, v5, v6
	v_add_f32_e32 v5, 0, v2
	v_div_fixup_f32 v3, v3, v4, 1.0
	v_fma_f32 v4, v2, 0, -1.0
	s_delay_alu instid0(VALU_DEP_2) | instskip(NEXT) | instid1(VALU_DEP_2)
	v_mul_f32_e32 v2, v5, v3
	v_mul_f32_e32 v3, v4, v3
.LBB176_1553:
	s_or_b32 exec_lo, exec_lo, s0
	v_add_nc_u32_e32 v9, s3, v7
	v_cmp_gt_i16_e32 vcc_lo, 11, v13
	s_delay_alu instid0(VALU_DEP_2) | instskip(SKIP_1) | instid1(VALU_DEP_1)
	v_ashrrev_i32_e32 v4, 31, v9
	v_add_co_u32 v7, s0, s6, v9
	v_add_co_ci_u32_e64 v8, s0, s7, v4, s0
	s_cbranch_vccnz .LBB176_1560
; %bb.1554:
	v_cmp_lt_i16_e32 vcc_lo, 25, v13
	s_mov_b32 s1, 0
	s_cbranch_vccz .LBB176_1566
; %bb.1555:
	v_cmp_lt_i16_e32 vcc_lo, 28, v13
	s_cbranch_vccz .LBB176_1568
; %bb.1556:
	v_cmp_lt_i16_e32 vcc_lo, 43, v13
	;; [unrolled: 3-line block ×3, first 2 shown]
	s_cbranch_vccz .LBB176_1574
; %bb.1558:
	v_cmp_eq_u16_e32 vcc_lo, 46, v13
	s_mov_b32 s12, 0
	s_cbranch_vccz .LBB176_1619
; %bb.1559:
	global_load_b32 v4, v[7:8], off
	s_mov_b32 s0, 0
	s_mov_b32 s11, -1
	s_waitcnt vmcnt(0)
	v_and_b32_e32 v6, 0xffff0000, v4
	v_lshlrev_b32_e32 v5, 16, v4
	s_branch .LBB176_1621
.LBB176_1560:
	s_mov_b32 s11, 0
                                        ; implicit-def: $vgpr6
	s_cbranch_execz .LBB176_1690
; %bb.1561:
	v_cmp_gt_i16_e32 vcc_lo, 5, v13
	s_cbranch_vccnz .LBB176_1567
; %bb.1562:
	v_cmp_gt_i16_e32 vcc_lo, 8, v13
	s_cbranch_vccnz .LBB176_1569
	;; [unrolled: 3-line block ×3, first 2 shown]
; %bb.1564:
	v_cmp_lt_i16_e32 vcc_lo, 9, v13
	s_cbranch_vccz .LBB176_1575
; %bb.1565:
	global_load_b128 v[14:17], v[7:8], off
	s_mov_b32 s0, 0
	s_waitcnt vmcnt(0)
	v_cvt_f32_f64_e32 v5, v[14:15]
	v_cvt_f32_f64_e32 v6, v[16:17]
	s_branch .LBB176_1576
.LBB176_1566:
	s_mov_b32 s12, -1
	s_mov_b32 s11, 0
	s_mov_b32 s0, 0
                                        ; implicit-def: $vgpr6
	s_branch .LBB176_1654
.LBB176_1567:
	s_mov_b32 s0, -1
                                        ; implicit-def: $vgpr6
	s_branch .LBB176_1595
.LBB176_1568:
	s_mov_b32 s12, -1
	s_mov_b32 s11, 0
	s_mov_b32 s0, 0
                                        ; implicit-def: $vgpr6
	s_branch .LBB176_1633
.LBB176_1569:
	s_mov_b32 s0, -1
                                        ; implicit-def: $vgpr6
	s_branch .LBB176_1582
.LBB176_1570:
	s_mov_b32 s12, -1
	s_mov_b32 s11, 0
	s_mov_b32 s0, 0
                                        ; implicit-def: $vgpr6
	s_branch .LBB176_1627
.LBB176_1571:
	s_mov_b32 s0, -1
                                        ; implicit-def: $vgpr6
	s_branch .LBB176_1579
.LBB176_1572:
	s_cbranch_execnz .LBB176_1617
; %bb.1573:
	s_or_b32 s8, s8, exec_lo
                                        ; implicit-def: $vgpr4
	s_cbranch_execz .LBB176_1512
	s_branch .LBB176_1513
.LBB176_1574:
	s_mov_b32 s12, -1
	s_mov_b32 s11, 0
	s_mov_b32 s0, 0
	s_branch .LBB176_1620
.LBB176_1575:
	s_mov_b32 s0, -1
                                        ; implicit-def: $vgpr6
.LBB176_1576:
	s_delay_alu instid0(SALU_CYCLE_1)
	s_and_not1_b32 vcc_lo, exec_lo, s0
	s_cbranch_vccnz .LBB176_1578
; %bb.1577:
	global_load_b64 v[5:6], v[7:8], off
.LBB176_1578:
	s_mov_b32 s0, 0
.LBB176_1579:
	s_delay_alu instid0(SALU_CYCLE_1)
	s_and_not1_b32 vcc_lo, exec_lo, s0
	s_cbranch_vccnz .LBB176_1581
; %bb.1580:
	global_load_b32 v4, v[7:8], off
	s_waitcnt vmcnt(0)
	v_lshrrev_b32_e32 v6, 16, v4
	v_cvt_f32_f16_e32 v5, v4
	s_delay_alu instid0(VALU_DEP_2)
	v_cvt_f32_f16_e32 v6, v6
.LBB176_1581:
	s_mov_b32 s0, 0
.LBB176_1582:
	s_delay_alu instid0(SALU_CYCLE_1)
	s_and_not1_b32 vcc_lo, exec_lo, s0
	s_cbranch_vccnz .LBB176_1594
; %bb.1583:
	v_cmp_gt_i16_e32 vcc_lo, 6, v13
	s_cbranch_vccnz .LBB176_1586
; %bb.1584:
	v_cmp_lt_i16_e32 vcc_lo, 6, v13
	s_cbranch_vccz .LBB176_1587
; %bb.1585:
	global_load_b64 v[4:5], v[7:8], off
	s_mov_b32 s1, 0
	s_mov_b32 s0, 0
	s_waitcnt vmcnt(0)
	v_cvt_f32_f64_e32 v5, v[4:5]
	s_branch .LBB176_1588
.LBB176_1586:
	s_mov_b32 s1, -1
                                        ; implicit-def: $sgpr0
                                        ; implicit-def: $vgpr5
	s_branch .LBB176_1591
.LBB176_1587:
	s_mov_b32 s1, -1
                                        ; implicit-def: $sgpr0
                                        ; implicit-def: $vgpr5
.LBB176_1588:
	s_delay_alu instid0(SALU_CYCLE_1)
	s_and_not1_b32 vcc_lo, exec_lo, s1
	s_cbranch_vccnz .LBB176_1590
; %bb.1589:
	global_load_b32 v5, v[7:8], off
	s_mov_b32 s0, 0
.LBB176_1590:
	s_mov_b32 s1, 0
.LBB176_1591:
	s_delay_alu instid0(SALU_CYCLE_1)
	s_and_not1_b32 vcc_lo, exec_lo, s1
	s_cbranch_vccnz .LBB176_1593
; %bb.1592:
	global_load_u16 v4, v[7:8], off
	s_mov_b32 s0, 0
	s_waitcnt vmcnt(0)
	v_cvt_f32_f16_e32 v5, v4
.LBB176_1593:
	s_waitcnt vmcnt(0)
	v_mov_b32_e32 v6, s0
.LBB176_1594:
	s_mov_b32 s0, 0
.LBB176_1595:
	s_delay_alu instid0(SALU_CYCLE_1)
	s_and_not1_b32 vcc_lo, exec_lo, s0
	s_cbranch_vccnz .LBB176_1616
; %bb.1596:
	v_cmp_gt_i16_e32 vcc_lo, 2, v13
	s_cbranch_vccnz .LBB176_1600
; %bb.1597:
	v_cmp_gt_i16_e32 vcc_lo, 3, v13
	s_cbranch_vccnz .LBB176_1601
; %bb.1598:
	v_cmp_lt_i16_e32 vcc_lo, 3, v13
	s_cbranch_vccz .LBB176_1602
; %bb.1599:
	global_load_b64 v[4:5], v[7:8], off
	s_mov_b32 s1, 0
	s_mov_b32 s0, 0
	s_waitcnt vmcnt(0)
	v_xor_b32_e32 v6, v4, v5
	v_cls_i32_e32 v10, v5
	s_delay_alu instid0(VALU_DEP_2) | instskip(NEXT) | instid1(VALU_DEP_2)
	v_ashrrev_i32_e32 v6, 31, v6
	v_add_nc_u32_e32 v10, -1, v10
	s_delay_alu instid0(VALU_DEP_2) | instskip(NEXT) | instid1(VALU_DEP_1)
	v_add_nc_u32_e32 v6, 32, v6
	v_min_u32_e32 v6, v10, v6
	s_delay_alu instid0(VALU_DEP_1) | instskip(NEXT) | instid1(VALU_DEP_1)
	v_lshlrev_b64 v[4:5], v6, v[4:5]
	v_min_u32_e32 v4, 1, v4
	s_delay_alu instid0(VALU_DEP_1) | instskip(SKIP_1) | instid1(VALU_DEP_2)
	v_or_b32_e32 v4, v5, v4
	v_sub_nc_u32_e32 v5, 32, v6
	v_cvt_f32_i32_e32 v4, v4
	s_delay_alu instid0(VALU_DEP_1)
	v_ldexp_f32 v5, v4, v5
	s_branch .LBB176_1603
.LBB176_1600:
	s_mov_b32 s1, -1
                                        ; implicit-def: $sgpr0
                                        ; implicit-def: $vgpr5
	s_branch .LBB176_1609
.LBB176_1601:
	s_mov_b32 s1, -1
                                        ; implicit-def: $sgpr0
                                        ; implicit-def: $vgpr5
	s_branch .LBB176_1606
.LBB176_1602:
	s_mov_b32 s1, -1
                                        ; implicit-def: $sgpr0
                                        ; implicit-def: $vgpr5
.LBB176_1603:
	s_delay_alu instid0(SALU_CYCLE_1)
	s_and_not1_b32 vcc_lo, exec_lo, s1
	s_cbranch_vccnz .LBB176_1605
; %bb.1604:
	global_load_b32 v4, v[7:8], off
	s_mov_b32 s0, 0
	s_waitcnt vmcnt(0)
	v_cvt_f32_i32_e32 v5, v4
.LBB176_1605:
	s_mov_b32 s1, 0
.LBB176_1606:
	s_delay_alu instid0(SALU_CYCLE_1)
	s_and_not1_b32 vcc_lo, exec_lo, s1
	s_cbranch_vccnz .LBB176_1608
; %bb.1607:
	global_load_i16 v4, v[7:8], off
	s_mov_b32 s0, 0
	s_waitcnt vmcnt(0)
	v_cvt_f32_i32_e32 v5, v4
.LBB176_1608:
	s_mov_b32 s1, 0
.LBB176_1609:
	s_delay_alu instid0(SALU_CYCLE_1)
	s_and_not1_b32 vcc_lo, exec_lo, s1
	s_cbranch_vccnz .LBB176_1615
; %bb.1610:
	v_cmp_lt_i16_e32 vcc_lo, 0, v13
	s_mov_b32 s1, 0
	s_cbranch_vccz .LBB176_1612
; %bb.1611:
	global_load_i8 v4, v[7:8], off
	s_mov_b32 s0, 0
	s_waitcnt vmcnt(0)
	v_cvt_f32_i32_e32 v5, v4
	s_branch .LBB176_1613
.LBB176_1612:
	s_mov_b32 s1, -1
                                        ; implicit-def: $sgpr0
                                        ; implicit-def: $vgpr5
.LBB176_1613:
	s_delay_alu instid0(SALU_CYCLE_1)
	s_and_not1_b32 vcc_lo, exec_lo, s1
	s_cbranch_vccnz .LBB176_1615
; %bb.1614:
	global_load_u8 v4, v[7:8], off
	s_mov_b32 s0, 0
	s_waitcnt vmcnt(0)
	v_cvt_f32_ubyte0_e32 v5, v4
.LBB176_1615:
	s_waitcnt vmcnt(0)
	v_mov_b32_e32 v6, s0
.LBB176_1616:
	s_branch .LBB176_1691
.LBB176_1617:
	s_trap 2
	s_sendmsg_rtn_b32 s0, sendmsg(MSG_RTN_GET_DOORBELL)
	s_mov_b32 ttmp2, m0
	s_waitcnt lgkmcnt(0)
	s_and_b32 s0, s0, 0x3ff
	s_delay_alu instid0(SALU_CYCLE_1) | instskip(NEXT) | instid1(SALU_CYCLE_1)
	s_bitset1_b32 s0, 10
	s_mov_b32 m0, s0
	s_sendmsg sendmsg(MSG_INTERRUPT)
	s_mov_b32 m0, ttmp2
.LBB176_1618:                           ; =>This Inner Loop Header: Depth=1
	s_sethalt 5
	s_branch .LBB176_1618
.LBB176_1619:
	s_mov_b32 s0, -1
	s_mov_b32 s11, 0
.LBB176_1620:
                                        ; implicit-def: $vgpr6
.LBB176_1621:
	s_and_b32 vcc_lo, exec_lo, s12
	s_cbranch_vccz .LBB176_1626
; %bb.1622:
	v_cmp_eq_u16_e32 vcc_lo, 44, v13
	s_cbranch_vccz .LBB176_1624
; %bb.1623:
	global_load_u8 v4, v[7:8], off
	s_mov_b32 s0, 0
	s_mov_b32 s11, -1
	s_waitcnt vmcnt(0)
	v_lshlrev_b32_e32 v5, 23, v4
	v_cmp_ne_u32_e32 vcc_lo, 0xff, v4
	s_delay_alu instid0(VALU_DEP_2) | instskip(SKIP_1) | instid1(VALU_DEP_2)
	v_cndmask_b32_e32 v5, 0x7f800001, v5, vcc_lo
	v_cmp_ne_u32_e32 vcc_lo, 0, v4
	v_cndmask_b32_e32 v5, 0x400000, v5, vcc_lo
	s_branch .LBB176_1625
.LBB176_1624:
	s_mov_b32 s0, -1
                                        ; implicit-def: $vgpr5
.LBB176_1625:
	s_delay_alu instid0(SALU_CYCLE_1)
	v_mov_b32_e32 v6, s0
.LBB176_1626:
	s_mov_b32 s12, 0
.LBB176_1627:
	s_delay_alu instid0(SALU_CYCLE_1)
	s_and_b32 vcc_lo, exec_lo, s12
	s_cbranch_vccz .LBB176_1632
; %bb.1628:
	v_cmp_eq_u16_e32 vcc_lo, 29, v13
	s_cbranch_vccz .LBB176_1630
; %bb.1629:
	global_load_b64 v[4:5], v[7:8], off
	s_mov_b32 s0, 0
	s_mov_b32 s11, -1
	s_mov_b32 s12, 0
	s_waitcnt vmcnt(0)
	v_clz_i32_u32_e32 v6, v5
	s_delay_alu instid0(VALU_DEP_1) | instskip(NEXT) | instid1(VALU_DEP_1)
	v_min_u32_e32 v6, 32, v6
	v_lshlrev_b64 v[4:5], v6, v[4:5]
	s_delay_alu instid0(VALU_DEP_1) | instskip(NEXT) | instid1(VALU_DEP_1)
	v_min_u32_e32 v4, 1, v4
	v_or_b32_e32 v4, v5, v4
	v_sub_nc_u32_e32 v5, 32, v6
	s_delay_alu instid0(VALU_DEP_2) | instskip(NEXT) | instid1(VALU_DEP_1)
	v_cvt_f32_u32_e32 v4, v4
	v_ldexp_f32 v5, v4, v5
	s_branch .LBB176_1631
.LBB176_1630:
	s_mov_b32 s0, -1
                                        ; implicit-def: $sgpr12
                                        ; implicit-def: $vgpr5
.LBB176_1631:
	v_mov_b32_e32 v6, s12
.LBB176_1632:
	s_mov_b32 s12, 0
.LBB176_1633:
	s_delay_alu instid0(SALU_CYCLE_1)
	s_and_b32 vcc_lo, exec_lo, s12
	s_cbranch_vccz .LBB176_1653
; %bb.1634:
	v_cmp_gt_i16_e32 vcc_lo, 27, v13
	s_cbranch_vccnz .LBB176_1637
; %bb.1635:
	v_cmp_lt_i16_e32 vcc_lo, 27, v13
	s_cbranch_vccz .LBB176_1638
; %bb.1636:
	global_load_b32 v4, v[7:8], off
	s_mov_b32 s12, 0
	s_mov_b32 s11, 0
	s_waitcnt vmcnt(0)
	v_cvt_f32_u32_e32 v5, v4
	s_branch .LBB176_1639
.LBB176_1637:
	s_mov_b32 s12, -1
                                        ; implicit-def: $sgpr11
                                        ; implicit-def: $vgpr5
	s_branch .LBB176_1642
.LBB176_1638:
	s_mov_b32 s12, -1
                                        ; implicit-def: $sgpr11
                                        ; implicit-def: $vgpr5
.LBB176_1639:
	s_delay_alu instid0(SALU_CYCLE_1)
	s_and_not1_b32 vcc_lo, exec_lo, s12
	s_cbranch_vccnz .LBB176_1641
; %bb.1640:
	global_load_u16 v4, v[7:8], off
	s_mov_b32 s11, 0
	s_waitcnt vmcnt(0)
	v_cvt_f32_u32_e32 v5, v4
.LBB176_1641:
	s_mov_b32 s12, 0
.LBB176_1642:
	v_mov_b32_e32 v6, s11
	s_and_not1_b32 vcc_lo, exec_lo, s12
	s_cbranch_vccnz .LBB176_1652
; %bb.1643:
	global_load_u8 v4, v[7:8], off
	s_mov_b32 s11, 0
	s_mov_b32 s14, exec_lo
                                        ; implicit-def: $sgpr13
                                        ; implicit-def: $sgpr12
	s_waitcnt vmcnt(0)
	v_cmpx_lt_i16_e32 0x7f, v4
	s_xor_b32 s14, exec_lo, s14
	s_cbranch_execz .LBB176_1647
; %bb.1644:
	s_mov_b32 s11, -1
	s_mov_b32 s15, exec_lo
                                        ; implicit-def: $sgpr13
                                        ; implicit-def: $sgpr12
	v_cmpx_eq_u16_e32 0x80, v4
; %bb.1645:
	s_mov_b32 s12, 0x7f800001
	s_mov_b32 s13, 0
	s_xor_b32 s11, exec_lo, -1
; %bb.1646:
	s_or_b32 exec_lo, exec_lo, s15
	s_delay_alu instid0(SALU_CYCLE_1)
	s_and_b32 s11, s11, exec_lo
.LBB176_1647:
	s_or_saveexec_b32 s14, s14
	v_dual_mov_b32 v6, s13 :: v_dual_mov_b32 v5, s12
	s_xor_b32 exec_lo, exec_lo, s14
; %bb.1648:
	v_mov_b32_e32 v6, 0
	v_cmp_ne_u16_e32 vcc_lo, 0, v4
	s_and_not1_b32 s11, s11, exec_lo
	s_delay_alu instid0(VALU_DEP_2) | instskip(SKIP_1) | instid1(SALU_CYCLE_1)
	v_mov_b32_e32 v5, v6
	s_and_b32 s12, vcc_lo, exec_lo
	s_or_b32 s11, s11, s12
; %bb.1649:
	s_or_b32 exec_lo, exec_lo, s14
	s_and_saveexec_b32 s12, s11
	s_cbranch_execz .LBB176_1651
; %bb.1650:
	v_and_b32_e32 v5, 0xffff, v4
	v_lshlrev_b32_e32 v4, 24, v4
	s_delay_alu instid0(VALU_DEP_2) | instskip(NEXT) | instid1(VALU_DEP_2)
	v_and_b32_e32 v6, 7, v5
	v_and_b32_e32 v4, 0x80000000, v4
	s_delay_alu instid0(VALU_DEP_2) | instskip(NEXT) | instid1(VALU_DEP_1)
	v_clz_i32_u32_e32 v10, v6
	v_min_u32_e32 v10, 32, v10
	s_delay_alu instid0(VALU_DEP_1) | instskip(SKIP_1) | instid1(VALU_DEP_2)
	v_subrev_nc_u32_e32 v14, 28, v10
	v_sub_nc_u32_e32 v10, 29, v10
	v_lshlrev_b32_e32 v14, v14, v5
	v_bfe_u32 v5, v5, 3, 4
	s_delay_alu instid0(VALU_DEP_2) | instskip(NEXT) | instid1(VALU_DEP_2)
	v_and_b32_e32 v14, 7, v14
	v_cmp_eq_u32_e32 vcc_lo, 0, v5
	v_cndmask_b32_e32 v5, v5, v10, vcc_lo
	s_delay_alu instid0(VALU_DEP_3) | instskip(NEXT) | instid1(VALU_DEP_2)
	v_cndmask_b32_e32 v6, v6, v14, vcc_lo
	v_lshl_add_u32 v5, v5, 23, 0x3b800000
	s_delay_alu instid0(VALU_DEP_2) | instskip(NEXT) | instid1(VALU_DEP_1)
	v_lshlrev_b32_e32 v6, 20, v6
	v_or3_b32 v5, v4, v5, v6
	v_mov_b32_e32 v6, 0
.LBB176_1651:
	s_or_b32 exec_lo, exec_lo, s12
.LBB176_1652:
	s_mov_b32 s11, -1
.LBB176_1653:
	s_mov_b32 s12, 0
.LBB176_1654:
	s_delay_alu instid0(SALU_CYCLE_1)
	s_and_b32 vcc_lo, exec_lo, s12
	s_cbranch_vccz .LBB176_1686
; %bb.1655:
	v_cmp_lt_i16_e32 vcc_lo, 22, v13
	s_cbranch_vccz .LBB176_1667
; %bb.1656:
	v_cmp_gt_i16_e32 vcc_lo, 24, v13
	s_cbranch_vccnz .LBB176_1668
; %bb.1657:
	v_cmp_lt_i16_e32 vcc_lo, 24, v13
	s_cbranch_vccz .LBB176_1669
; %bb.1658:
	global_load_u8 v4, v[7:8], off
	s_mov_b32 s13, exec_lo
                                        ; implicit-def: $sgpr12
                                        ; implicit-def: $sgpr11
	s_waitcnt vmcnt(0)
	v_cmpx_lt_i16_e32 0x7f, v4
	s_xor_b32 s13, exec_lo, s13
	s_cbranch_execz .LBB176_1662
; %bb.1659:
	s_mov_b32 s1, -1
	s_mov_b32 s14, exec_lo
                                        ; implicit-def: $sgpr12
                                        ; implicit-def: $sgpr11
	v_cmpx_eq_u16_e32 0x80, v4
; %bb.1660:
	s_mov_b32 s11, 0x7f800001
	s_mov_b32 s12, 0
	s_xor_b32 s1, exec_lo, -1
; %bb.1661:
	s_or_b32 exec_lo, exec_lo, s14
	s_delay_alu instid0(SALU_CYCLE_1)
	s_and_b32 s1, s1, exec_lo
.LBB176_1662:
	s_or_saveexec_b32 s13, s13
	v_dual_mov_b32 v6, s12 :: v_dual_mov_b32 v5, s11
	s_xor_b32 exec_lo, exec_lo, s13
; %bb.1663:
	v_mov_b32_e32 v6, 0
	v_cmp_ne_u16_e32 vcc_lo, 0, v4
	s_and_not1_b32 s1, s1, exec_lo
	s_delay_alu instid0(VALU_DEP_2) | instskip(SKIP_1) | instid1(SALU_CYCLE_1)
	v_mov_b32_e32 v5, v6
	s_and_b32 s11, vcc_lo, exec_lo
	s_or_b32 s1, s1, s11
; %bb.1664:
	s_or_b32 exec_lo, exec_lo, s13
	s_and_saveexec_b32 s11, s1
	s_cbranch_execz .LBB176_1666
; %bb.1665:
	v_and_b32_e32 v5, 0xffff, v4
	v_lshlrev_b32_e32 v4, 24, v4
	s_delay_alu instid0(VALU_DEP_2) | instskip(NEXT) | instid1(VALU_DEP_2)
	v_and_b32_e32 v6, 3, v5
	v_and_b32_e32 v4, 0x80000000, v4
	s_delay_alu instid0(VALU_DEP_2) | instskip(NEXT) | instid1(VALU_DEP_1)
	v_clz_i32_u32_e32 v10, v6
	v_min_u32_e32 v10, 32, v10
	s_delay_alu instid0(VALU_DEP_1) | instskip(SKIP_1) | instid1(VALU_DEP_2)
	v_subrev_nc_u32_e32 v14, 29, v10
	v_sub_nc_u32_e32 v10, 30, v10
	v_lshlrev_b32_e32 v14, v14, v5
	v_bfe_u32 v5, v5, 2, 5
	s_delay_alu instid0(VALU_DEP_2) | instskip(NEXT) | instid1(VALU_DEP_2)
	v_and_b32_e32 v14, 3, v14
	v_cmp_eq_u32_e32 vcc_lo, 0, v5
	v_cndmask_b32_e32 v5, v5, v10, vcc_lo
	s_delay_alu instid0(VALU_DEP_3) | instskip(NEXT) | instid1(VALU_DEP_2)
	v_cndmask_b32_e32 v6, v6, v14, vcc_lo
	v_lshl_add_u32 v5, v5, 23, 0x37800000
	s_delay_alu instid0(VALU_DEP_2) | instskip(NEXT) | instid1(VALU_DEP_1)
	v_lshlrev_b32_e32 v6, 21, v6
	v_or3_b32 v5, v4, v5, v6
	v_mov_b32_e32 v6, 0
.LBB176_1666:
	s_or_b32 exec_lo, exec_lo, s11
	s_mov_b32 s1, 0
	s_branch .LBB176_1670
.LBB176_1667:
	s_mov_b32 s1, -1
                                        ; implicit-def: $vgpr6
	s_branch .LBB176_1676
.LBB176_1668:
	s_mov_b32 s1, -1
                                        ; implicit-def: $vgpr6
	s_branch .LBB176_1673
.LBB176_1669:
	s_mov_b32 s1, -1
                                        ; implicit-def: $vgpr6
.LBB176_1670:
	s_delay_alu instid0(SALU_CYCLE_1)
	s_and_b32 vcc_lo, exec_lo, s1
	s_cbranch_vccz .LBB176_1672
; %bb.1671:
	global_load_u8 v4, v[7:8], off
	s_waitcnt vmcnt(0)
	v_lshlrev_b32_e32 v4, 24, v4
	s_delay_alu instid0(VALU_DEP_1) | instskip(NEXT) | instid1(VALU_DEP_1)
	v_and_b32_e32 v5, 0x7f000000, v4
	v_clz_i32_u32_e32 v6, v5
	v_add_nc_u32_e32 v14, 0x1000000, v5
	v_cmp_ne_u32_e32 vcc_lo, 0, v5
	s_delay_alu instid0(VALU_DEP_3) | instskip(NEXT) | instid1(VALU_DEP_1)
	v_min_u32_e32 v6, 32, v6
	v_sub_nc_u32_e64 v6, v6, 4 clamp
	s_delay_alu instid0(VALU_DEP_1) | instskip(SKIP_1) | instid1(VALU_DEP_2)
	v_lshlrev_b32_e32 v10, v6, v5
	v_lshlrev_b32_e32 v6, 23, v6
	v_lshrrev_b32_e32 v10, 4, v10
	s_delay_alu instid0(VALU_DEP_1) | instskip(SKIP_1) | instid1(VALU_DEP_2)
	v_sub_nc_u32_e32 v6, v10, v6
	v_ashrrev_i32_e32 v10, 8, v14
	v_add_nc_u32_e32 v6, 0x3c000000, v6
	s_delay_alu instid0(VALU_DEP_1) | instskip(NEXT) | instid1(VALU_DEP_1)
	v_and_or_b32 v6, 0x7f800000, v10, v6
	v_dual_cndmask_b32 v5, 0, v6 :: v_dual_mov_b32 v6, 0
	s_delay_alu instid0(VALU_DEP_1)
	v_and_or_b32 v5, 0x80000000, v4, v5
.LBB176_1672:
	s_mov_b32 s1, 0
.LBB176_1673:
	s_delay_alu instid0(SALU_CYCLE_1)
	s_and_not1_b32 vcc_lo, exec_lo, s1
	s_cbranch_vccnz .LBB176_1675
; %bb.1674:
	global_load_u8 v4, v[7:8], off
	s_waitcnt vmcnt(0)
	v_lshlrev_b32_e32 v5, 25, v4
	v_lshlrev_b16 v4, 8, v4
	s_delay_alu instid0(VALU_DEP_1) | instskip(SKIP_1) | instid1(VALU_DEP_2)
	v_and_or_b32 v10, 0x7f00, v4, 0.5
	v_bfe_i32 v4, v4, 0, 16
	v_add_f32_e32 v10, -0.5, v10
	v_lshrrev_b32_e32 v6, 4, v5
	v_cmp_gt_u32_e32 vcc_lo, 0x8000000, v5
	s_delay_alu instid0(VALU_DEP_2) | instskip(NEXT) | instid1(VALU_DEP_1)
	v_or_b32_e32 v6, 0x70000000, v6
	v_mul_f32_e32 v6, 0x7800000, v6
	s_delay_alu instid0(VALU_DEP_1) | instskip(NEXT) | instid1(VALU_DEP_1)
	v_dual_cndmask_b32 v5, v6, v10 :: v_dual_mov_b32 v6, 0
	v_and_or_b32 v5, 0x80000000, v4, v5
.LBB176_1675:
	s_mov_b32 s1, 0
	s_mov_b32 s11, -1
.LBB176_1676:
	s_and_not1_b32 vcc_lo, exec_lo, s1
	s_mov_b32 s1, 0
	s_cbranch_vccnz .LBB176_1686
; %bb.1677:
	v_cmp_lt_i16_e32 vcc_lo, 14, v13
	s_cbranch_vccz .LBB176_1680
; %bb.1678:
	v_cmp_eq_u16_e32 vcc_lo, 15, v13
	s_cbranch_vccz .LBB176_1681
; %bb.1679:
	global_load_u16 v4, v[7:8], off
	s_mov_b32 s0, 0
	s_mov_b32 s11, -1
	s_mov_b32 s12, 0
	s_waitcnt vmcnt(0)
	v_lshlrev_b32_e32 v5, 16, v4
	s_branch .LBB176_1683
.LBB176_1680:
	s_mov_b32 s1, -1
	s_branch .LBB176_1682
.LBB176_1681:
	s_mov_b32 s0, -1
.LBB176_1682:
                                        ; implicit-def: $sgpr12
                                        ; implicit-def: $vgpr5
.LBB176_1683:
	s_and_b32 vcc_lo, exec_lo, s1
	s_mov_b32 s1, 0
	s_cbranch_vccz .LBB176_1685
; %bb.1684:
	v_cmp_ne_u16_e64 s0, 11, v13
	s_mov_b32 s1, -1
                                        ; implicit-def: $sgpr12
                                        ; implicit-def: $vgpr5
.LBB176_1685:
	v_mov_b32_e32 v6, s12
.LBB176_1686:
	s_delay_alu instid0(VALU_DEP_2)
	s_and_b32 vcc_lo, exec_lo, s0
	s_cbranch_vccnz .LBB176_1740
; %bb.1687:
	s_and_not1_b32 vcc_lo, exec_lo, s1
	s_cbranch_vccnz .LBB176_1689
.LBB176_1688:
	global_load_u8 v4, v[7:8], off
	v_mov_b32_e32 v6, 0
	s_mov_b32 s11, -1
	s_waitcnt vmcnt(0)
	v_cmp_ne_u16_e32 vcc_lo, 0, v4
	v_cndmask_b32_e64 v5, 0, 1.0, vcc_lo
.LBB176_1689:
.LBB176_1690:
	s_and_not1_b32 vcc_lo, exec_lo, s11
	s_cbranch_vccnz .LBB176_1880
.LBB176_1691:
	s_waitcnt vmcnt(0)
	s_delay_alu instid0(VALU_DEP_1) | instskip(NEXT) | instid1(VALU_DEP_2)
	v_cmp_neq_f32_e32 vcc_lo, 0, v5
	v_cmp_neq_f32_e64 s0, 0, v6
	v_mov_b32_e32 v7, 0
	s_delay_alu instid0(VALU_DEP_2) | instskip(NEXT) | instid1(SALU_CYCLE_1)
	s_or_b32 s0, vcc_lo, s0
	s_and_saveexec_b32 s11, s0
	s_cbranch_execz .LBB176_1721
; %bb.1692:
	v_mov_b32_e32 v7, 0x7f800000
	s_mov_b32 s12, exec_lo
	v_cmpx_neq_f32_e64 0x7f800000, |v6|
	s_cbranch_execz .LBB176_1720
; %bb.1693:
	s_mov_b32 s0, exec_lo
	v_cmpx_o_f32_e32 v5, v5
	s_xor_b32 s13, exec_lo, s0
	s_cbranch_execz .LBB176_1717
; %bb.1694:
	s_mov_b32 s1, exec_lo
	v_cmpx_neq_f32_e64 0x7f800000, |v5|
	s_xor_b32 s14, exec_lo, s1
	s_cbranch_execz .LBB176_1710
; %bb.1695:
	v_max_f32_e64 v4, |v6|, |v6|
	v_max_f32_e64 v7, |v5|, |v5|
                                        ; implicit-def: $sgpr15
	s_delay_alu instid0(VALU_DEP_1) | instskip(NEXT) | instid1(VALU_DEP_1)
	v_max_f32_e32 v4, v7, v4
	v_cmp_nle_f32_e64 s0, 0x7ed413cb, v4
	s_delay_alu instid0(VALU_DEP_1) | instskip(NEXT) | instid1(SALU_CYCLE_1)
	s_and_saveexec_b32 s1, s0
	s_xor_b32 s1, exec_lo, s1
	s_cbranch_execz .LBB176_1699
; %bb.1696:
	v_cmp_ge_f32_e64 s15, 0x1000000, |v5|
	v_cmp_ge_f32_e64 s16, 0x1000000, |v6|
	s_delay_alu instid0(VALU_DEP_1)
	s_and_b32 s17, s15, s16
	s_mov_b32 s15, 0
	s_and_saveexec_b32 s16, s17
; %bb.1697:
	v_dual_mul_f32 v6, 4.0, v6 :: v_dual_mul_f32 v5, 4.0, v5
	s_mov_b32 s15, exec_lo
; %bb.1698:
	s_or_b32 exec_lo, exec_lo, s16
	s_delay_alu instid0(SALU_CYCLE_1)
	s_and_b32 s15, s15, exec_lo
.LBB176_1699:
	s_and_not1_saveexec_b32 s1, s1
; %bb.1700:
	v_dual_mul_f32 v5, 0x3e800000, v5 :: v_dual_mul_f32 v6, 0x3e800000, v6
	s_and_not1_b32 s15, s15, exec_lo
; %bb.1701:
	s_or_b32 exec_lo, exec_lo, s1
	s_delay_alu instid0(VALU_DEP_1) | instskip(NEXT) | instid1(VALU_DEP_2)
	v_max_f32_e64 v4, |v6|, |v6|
	v_max_f32_e64 v7, |v5|, |v5|
	s_delay_alu instid0(VALU_DEP_1) | instskip(NEXT) | instid1(VALU_DEP_1)
	v_max_f32_e32 v4, v7, v4
	v_cvt_f64_f32_e32 v[7:8], v4
	v_cmp_neq_f32_e64 s1, 0x7f800000, v4
                                        ; implicit-def: $vgpr4
	s_delay_alu instid0(VALU_DEP_2) | instskip(NEXT) | instid1(VALU_DEP_1)
	v_frexp_exp_i32_f64_e32 v7, v[7:8]
	v_sub_nc_u32_e32 v8, 0, v7
	s_delay_alu instid0(VALU_DEP_1) | instskip(SKIP_1) | instid1(VALU_DEP_2)
	v_ldexp_f32 v10, |v6|, v8
	v_ldexp_f32 v8, |v5|, v8
	v_mul_f32_e32 v10, v10, v10
	s_delay_alu instid0(VALU_DEP_1) | instskip(NEXT) | instid1(VALU_DEP_1)
	v_fmac_f32_e32 v10, v8, v8
	v_sqrt_f32_e32 v8, v10
	s_waitcnt_depctr 0xfff
	v_ldexp_f32 v7, v8, v7
	s_delay_alu instid0(VALU_DEP_1)
	v_cndmask_b32_e64 v8, 0x7f800000, v7, s1
                                        ; implicit-def: $vgpr7
	s_mov_b32 s1, exec_lo
	v_cmpx_le_f32_e32 0, v5
	s_xor_b32 s16, exec_lo, s1
	s_cbranch_execz .LBB176_1703
; %bb.1702:
	v_add_f32_e32 v4, v5, v8
	s_delay_alu instid0(VALU_DEP_1) | instskip(NEXT) | instid1(VALU_DEP_1)
	v_mul_f32_e32 v4, 0.5, v4
	v_mul_f32_e32 v5, 0x4f800000, v4
	v_cmp_gt_f32_e32 vcc_lo, 0xf800000, v4
	s_delay_alu instid0(VALU_DEP_2) | instskip(NEXT) | instid1(VALU_DEP_1)
	v_cndmask_b32_e32 v4, v4, v5, vcc_lo
	v_sqrt_f32_e32 v5, v4
	s_waitcnt_depctr 0xfff
	v_add_nc_u32_e32 v7, -1, v5
	v_add_nc_u32_e32 v8, 1, v5
	s_delay_alu instid0(VALU_DEP_2) | instskip(NEXT) | instid1(VALU_DEP_2)
	v_fma_f32 v10, -v7, v5, v4
	v_fma_f32 v14, -v8, v5, v4
	s_delay_alu instid0(VALU_DEP_2) | instskip(NEXT) | instid1(VALU_DEP_1)
	v_cmp_ge_f32_e64 s1, 0, v10
	v_cndmask_b32_e64 v5, v5, v7, s1
	s_delay_alu instid0(VALU_DEP_3) | instskip(NEXT) | instid1(VALU_DEP_1)
	v_cmp_lt_f32_e64 s1, 0, v14
	v_cndmask_b32_e64 v5, v5, v8, s1
	s_delay_alu instid0(VALU_DEP_1) | instskip(NEXT) | instid1(VALU_DEP_1)
	v_mul_f32_e32 v7, 0x37800000, v5
	v_cndmask_b32_e32 v5, v5, v7, vcc_lo
	v_cmp_class_f32_e64 vcc_lo, v4, 0x260
	s_delay_alu instid0(VALU_DEP_2) | instskip(NEXT) | instid1(VALU_DEP_1)
	v_cndmask_b32_e32 v4, v5, v4, vcc_lo
	v_add_f32_e32 v5, v4, v4
	s_delay_alu instid0(VALU_DEP_1) | instskip(NEXT) | instid1(VALU_DEP_1)
	v_div_scale_f32 v7, null, v5, v5, v6
	v_rcp_f32_e32 v8, v7
	s_waitcnt_depctr 0xfff
	v_fma_f32 v10, -v7, v8, 1.0
	s_delay_alu instid0(VALU_DEP_1) | instskip(SKIP_1) | instid1(VALU_DEP_1)
	v_fmac_f32_e32 v8, v10, v8
	v_div_scale_f32 v10, vcc_lo, v6, v5, v6
	v_mul_f32_e32 v14, v10, v8
	s_delay_alu instid0(VALU_DEP_1) | instskip(NEXT) | instid1(VALU_DEP_1)
	v_fma_f32 v15, -v7, v14, v10
	v_fmac_f32_e32 v14, v15, v8
	s_delay_alu instid0(VALU_DEP_1) | instskip(NEXT) | instid1(VALU_DEP_1)
	v_fma_f32 v7, -v7, v14, v10
	v_div_fmas_f32 v7, v7, v8, v14
                                        ; implicit-def: $vgpr8
	s_delay_alu instid0(VALU_DEP_1)
	v_div_fixup_f32 v7, v7, v5, v6
                                        ; implicit-def: $vgpr5
	s_and_not1_saveexec_b32 s16, s16
	s_cbranch_execz .LBB176_1705
	s_branch .LBB176_1704
.LBB176_1703:
	s_and_not1_saveexec_b32 s16, s16
	s_cbranch_execz .LBB176_1705
.LBB176_1704:
	v_sub_f32_e32 v4, v8, v5
	s_delay_alu instid0(VALU_DEP_1) | instskip(NEXT) | instid1(VALU_DEP_1)
	v_mul_f32_e32 v4, 0.5, v4
	v_mul_f32_e32 v5, 0x4f800000, v4
	v_cmp_gt_f32_e32 vcc_lo, 0xf800000, v4
	s_delay_alu instid0(VALU_DEP_2) | instskip(NEXT) | instid1(VALU_DEP_1)
	v_cndmask_b32_e32 v4, v4, v5, vcc_lo
	v_sqrt_f32_e32 v5, v4
	s_waitcnt_depctr 0xfff
	v_add_nc_u32_e32 v7, -1, v5
	v_add_nc_u32_e32 v8, 1, v5
	s_delay_alu instid0(VALU_DEP_2) | instskip(NEXT) | instid1(VALU_DEP_2)
	v_fma_f32 v10, -v7, v5, v4
	v_fma_f32 v14, -v8, v5, v4
	s_delay_alu instid0(VALU_DEP_2) | instskip(NEXT) | instid1(VALU_DEP_1)
	v_cmp_ge_f32_e64 s1, 0, v10
	v_cndmask_b32_e64 v5, v5, v7, s1
	s_delay_alu instid0(VALU_DEP_3) | instskip(NEXT) | instid1(VALU_DEP_1)
	v_cmp_lt_f32_e64 s1, 0, v14
	v_cndmask_b32_e64 v5, v5, v8, s1
	s_delay_alu instid0(VALU_DEP_1) | instskip(NEXT) | instid1(VALU_DEP_1)
	v_mul_f32_e32 v7, 0x37800000, v5
	v_cndmask_b32_e32 v5, v5, v7, vcc_lo
	v_cmp_class_f32_e64 vcc_lo, v4, 0x260
	s_delay_alu instid0(VALU_DEP_2) | instskip(NEXT) | instid1(VALU_DEP_1)
	v_dual_cndmask_b32 v5, v5, v4 :: v_dual_and_b32 v4, 0x7fffffff, v6
	v_add_f32_e32 v7, v5, v5
	s_delay_alu instid0(VALU_DEP_1) | instskip(SKIP_1) | instid1(VALU_DEP_2)
	v_div_scale_f32 v8, null, v7, v7, v4
	v_div_scale_f32 v4, vcc_lo, v4, v7, v4
	v_rcp_f32_e32 v10, v8
	s_waitcnt_depctr 0xfff
	v_fma_f32 v14, -v8, v10, 1.0
	s_delay_alu instid0(VALU_DEP_1) | instskip(NEXT) | instid1(VALU_DEP_1)
	v_fmac_f32_e32 v10, v14, v10
	v_mul_f32_e32 v14, v4, v10
	s_delay_alu instid0(VALU_DEP_1) | instskip(NEXT) | instid1(VALU_DEP_1)
	v_fma_f32 v15, -v8, v14, v4
	v_fmac_f32_e32 v14, v15, v10
	s_delay_alu instid0(VALU_DEP_1) | instskip(NEXT) | instid1(VALU_DEP_1)
	v_fma_f32 v4, -v8, v14, v4
	v_div_fmas_f32 v4, v4, v10, v14
	s_delay_alu instid0(VALU_DEP_1)
	v_div_fixup_f32 v4, v4, v7, |v6|
	v_bfi_b32 v7, 0x7fffffff, v5, v6
.LBB176_1705:
	s_or_b32 exec_lo, exec_lo, s16
                                        ; implicit-def: $vgpr6
	s_and_saveexec_b32 s1, s0
	s_delay_alu instid0(SALU_CYCLE_1)
	s_xor_b32 s0, exec_lo, s1
	s_cbranch_execz .LBB176_1707
; %bb.1706:
	v_dual_mul_f32 v5, 0.5, v4 :: v_dual_mul_f32 v6, 0.5, v7
	s_delay_alu instid0(VALU_DEP_1) | instskip(NEXT) | instid1(VALU_DEP_2)
	v_cndmask_b32_e64 v5, v4, v5, s15
	v_cndmask_b32_e64 v6, v7, v6, s15
                                        ; implicit-def: $vgpr4
                                        ; implicit-def: $vgpr7
	s_and_not1_saveexec_b32 s0, s0
	s_cbranch_execnz .LBB176_1708
	s_branch .LBB176_1709
.LBB176_1707:
	s_and_not1_saveexec_b32 s0, s0
.LBB176_1708:
	v_dual_add_f32 v5, v4, v4 :: v_dual_add_f32 v6, v7, v7
.LBB176_1709:
	s_or_b32 exec_lo, exec_lo, s0
.LBB176_1710:
	s_and_not1_saveexec_b32 s0, s14
	s_cbranch_execz .LBB176_1716
; %bb.1711:
	s_delay_alu instid0(VALU_DEP_1)
	v_sub_f32_e32 v4, v6, v6
	s_mov_b32 s1, exec_lo
	v_cmpx_lt_i32_e32 -1, v5
	s_xor_b32 s1, exec_lo, s1
; %bb.1712:
	s_delay_alu instid0(VALU_DEP_2)
	v_bfi_b32 v6, 0x7fffffff, v4, v6
                                        ; implicit-def: $vgpr4
; %bb.1713:
	s_and_not1_saveexec_b32 s1, s1
; %bb.1714:
	v_and_b32_e32 v4, 0x7fffffff, v4
	s_delay_alu instid0(VALU_DEP_2) | instskip(NEXT) | instid1(VALU_DEP_2)
	v_bfi_b32 v6, 0x7fffffff, v5, v6
	v_mov_b32_e32 v5, v4
; %bb.1715:
	s_or_b32 exec_lo, exec_lo, s1
.LBB176_1716:
	s_delay_alu instid0(SALU_CYCLE_1)
	s_or_b32 exec_lo, exec_lo, s0
.LBB176_1717:
	s_and_not1_saveexec_b32 s0, s13
; %bb.1718:
	v_sub_f32_e32 v4, v6, v6
	s_delay_alu instid0(VALU_DEP_1) | instskip(NEXT) | instid1(VALU_DEP_1)
	v_div_scale_f32 v6, vcc_lo, v4, v4, v4
	v_rcp_f32_e32 v7, v6
	s_waitcnt_depctr 0xfff
	v_fma_f32 v8, -v6, v7, 1.0
	s_delay_alu instid0(VALU_DEP_1) | instskip(NEXT) | instid1(VALU_DEP_1)
	v_fmac_f32_e32 v7, v8, v7
	v_mul_f32_e32 v8, v6, v7
	s_delay_alu instid0(VALU_DEP_1) | instskip(NEXT) | instid1(VALU_DEP_1)
	v_fma_f32 v10, -v6, v8, v6
	v_fmac_f32_e32 v8, v10, v7
	s_delay_alu instid0(VALU_DEP_1) | instskip(NEXT) | instid1(VALU_DEP_1)
	v_fma_f32 v6, -v6, v8, v6
	v_div_fmas_f32 v6, v6, v7, v8
	s_delay_alu instid0(VALU_DEP_1)
	v_div_fixup_f32 v6, v6, v4, v4
; %bb.1719:
	s_or_b32 exec_lo, exec_lo, s0
	v_mov_b32_e32 v7, v5
.LBB176_1720:
	s_or_b32 exec_lo, exec_lo, s12
.LBB176_1721:
	s_delay_alu instid0(SALU_CYCLE_1) | instskip(NEXT) | instid1(VALU_DEP_1)
	s_or_b32 exec_lo, exec_lo, s11
	v_cmp_gt_f32_e32 vcc_lo, 0, v7
                                        ; implicit-def: $vgpr5
	s_mov_b32 s0, exec_lo
	v_cndmask_b32_e64 v8, v7, -v7, vcc_lo
	v_cmp_gt_f32_e32 vcc_lo, 0, v6
	v_cndmask_b32_e64 v10, v6, -v6, vcc_lo
	s_delay_alu instid0(VALU_DEP_1)
	v_cmpx_ge_f32_e32 v8, v10
	s_xor_b32 s1, exec_lo, s0
	s_cbranch_execz .LBB176_1727
; %bb.1722:
	v_cmp_neq_f32_e32 vcc_lo, 0, v7
	v_cmp_neq_f32_e64 s0, 0, v6
                                        ; implicit-def: $vgpr5
	s_delay_alu instid0(VALU_DEP_1) | instskip(NEXT) | instid1(SALU_CYCLE_1)
	s_or_b32 s0, vcc_lo, s0
	s_and_saveexec_b32 s11, s0
	s_delay_alu instid0(SALU_CYCLE_1)
	s_xor_b32 s0, exec_lo, s11
	s_cbranch_execz .LBB176_1724
; %bb.1723:
	v_div_scale_f32 v4, null, v7, v7, v6
	v_div_scale_f32 v10, vcc_lo, v6, v7, v6
	s_delay_alu instid0(VALU_DEP_2) | instskip(SKIP_2) | instid1(VALU_DEP_1)
	v_rcp_f32_e32 v5, v4
	s_waitcnt_depctr 0xfff
	v_fma_f32 v8, -v4, v5, 1.0
	v_fmac_f32_e32 v5, v8, v5
	s_delay_alu instid0(VALU_DEP_1) | instskip(NEXT) | instid1(VALU_DEP_1)
	v_mul_f32_e32 v8, v10, v5
	v_fma_f32 v14, -v4, v8, v10
	s_delay_alu instid0(VALU_DEP_1) | instskip(NEXT) | instid1(VALU_DEP_1)
	v_fmac_f32_e32 v8, v14, v5
	v_fma_f32 v4, -v4, v8, v10
	s_delay_alu instid0(VALU_DEP_1) | instskip(NEXT) | instid1(VALU_DEP_1)
	v_div_fmas_f32 v4, v4, v5, v8
	v_div_fixup_f32 v5, v4, v7, v6
	s_delay_alu instid0(VALU_DEP_1) | instskip(NEXT) | instid1(VALU_DEP_1)
	v_fmac_f32_e32 v7, v6, v5
	v_div_scale_f32 v4, null, v7, v7, 1.0
	s_delay_alu instid0(VALU_DEP_1) | instskip(SKIP_2) | instid1(VALU_DEP_1)
	v_rcp_f32_e32 v6, v4
	s_waitcnt_depctr 0xfff
	v_fma_f32 v8, -v4, v6, 1.0
	v_fmac_f32_e32 v6, v8, v6
	v_div_scale_f32 v10, vcc_lo, 1.0, v7, 1.0
	s_delay_alu instid0(VALU_DEP_1) | instskip(NEXT) | instid1(VALU_DEP_1)
	v_mul_f32_e32 v8, v10, v6
	v_fma_f32 v14, -v4, v8, v10
	s_delay_alu instid0(VALU_DEP_1) | instskip(NEXT) | instid1(VALU_DEP_1)
	v_fmac_f32_e32 v8, v14, v6
	v_fma_f32 v4, -v4, v8, v10
                                        ; implicit-def: $vgpr10
	s_delay_alu instid0(VALU_DEP_1) | instskip(SKIP_1) | instid1(VALU_DEP_2)
	v_div_fmas_f32 v4, v4, v6, v8
	v_fma_f32 v6, v5, 0, 1.0
                                        ; implicit-def: $vgpr8
	v_div_fixup_f32 v7, v4, v7, 1.0
	s_delay_alu instid0(VALU_DEP_1)
	v_mul_f32_e32 v4, v6, v7
	v_mul_f32_e64 v5, -v5, v7
.LBB176_1724:
	s_and_not1_saveexec_b32 s11, s0
	s_cbranch_execz .LBB176_1726
; %bb.1725:
	v_div_scale_f32 v4, null, v8, v8, 1.0
	v_div_scale_f32 v5, null, v10, v10, 0
	v_div_scale_f32 v16, vcc_lo, 1.0, v8, 1.0
	s_delay_alu instid0(VALU_DEP_3) | instskip(NEXT) | instid1(VALU_DEP_2)
	v_rcp_f32_e32 v6, v4
	v_rcp_f32_e32 v7, v5
	s_waitcnt_depctr 0xfff
	v_fma_f32 v14, -v4, v6, 1.0
	v_fma_f32 v15, -v5, v7, 1.0
	s_delay_alu instid0(VALU_DEP_1) | instskip(SKIP_1) | instid1(VALU_DEP_2)
	v_dual_fmac_f32 v6, v14, v6 :: v_dual_fmac_f32 v7, v15, v7
	v_div_scale_f32 v14, s0, 0, v10, 0
	v_mul_f32_e32 v15, v16, v6
	s_delay_alu instid0(VALU_DEP_2) | instskip(NEXT) | instid1(VALU_DEP_2)
	v_mul_f32_e32 v17, v14, v7
	v_fma_f32 v18, -v4, v15, v16
	s_delay_alu instid0(VALU_DEP_2) | instskip(NEXT) | instid1(VALU_DEP_2)
	v_fma_f32 v19, -v5, v17, v14
	v_fmac_f32_e32 v15, v18, v6
	s_delay_alu instid0(VALU_DEP_2) | instskip(NEXT) | instid1(VALU_DEP_2)
	v_fmac_f32_e32 v17, v19, v7
	v_fma_f32 v4, -v4, v15, v16
	s_delay_alu instid0(VALU_DEP_2) | instskip(NEXT) | instid1(VALU_DEP_2)
	v_fma_f32 v5, -v5, v17, v14
	v_div_fmas_f32 v4, v4, v6, v15
	s_mov_b32 vcc_lo, s0
	s_delay_alu instid0(VALU_DEP_2) | instskip(NEXT) | instid1(VALU_DEP_2)
	v_div_fmas_f32 v5, v5, v7, v17
	v_div_fixup_f32 v4, v4, v8, 1.0
	s_delay_alu instid0(VALU_DEP_2)
	v_div_fixup_f32 v5, v5, v10, 0
.LBB176_1726:
	s_or_b32 exec_lo, exec_lo, s11
                                        ; implicit-def: $vgpr6
                                        ; implicit-def: $vgpr7
.LBB176_1727:
	s_and_not1_saveexec_b32 s0, s1
	s_cbranch_execz .LBB176_1729
; %bb.1728:
	v_div_scale_f32 v4, null, v6, v6, v7
	v_div_scale_f32 v10, vcc_lo, v7, v6, v7
	s_delay_alu instid0(VALU_DEP_2) | instskip(SKIP_2) | instid1(VALU_DEP_1)
	v_rcp_f32_e32 v5, v4
	s_waitcnt_depctr 0xfff
	v_fma_f32 v8, -v4, v5, 1.0
	v_fmac_f32_e32 v5, v8, v5
	s_delay_alu instid0(VALU_DEP_1) | instskip(NEXT) | instid1(VALU_DEP_1)
	v_mul_f32_e32 v8, v10, v5
	v_fma_f32 v14, -v4, v8, v10
	s_delay_alu instid0(VALU_DEP_1) | instskip(NEXT) | instid1(VALU_DEP_1)
	v_fmac_f32_e32 v8, v14, v5
	v_fma_f32 v4, -v4, v8, v10
	s_delay_alu instid0(VALU_DEP_1) | instskip(NEXT) | instid1(VALU_DEP_1)
	v_div_fmas_f32 v4, v4, v5, v8
	v_div_fixup_f32 v4, v4, v6, v7
	s_delay_alu instid0(VALU_DEP_1) | instskip(NEXT) | instid1(VALU_DEP_1)
	v_fmac_f32_e32 v6, v7, v4
	v_div_scale_f32 v5, null, v6, v6, 1.0
	v_div_scale_f32 v10, vcc_lo, 1.0, v6, 1.0
	s_delay_alu instid0(VALU_DEP_2) | instskip(SKIP_2) | instid1(VALU_DEP_1)
	v_rcp_f32_e32 v7, v5
	s_waitcnt_depctr 0xfff
	v_fma_f32 v8, -v5, v7, 1.0
	v_fmac_f32_e32 v7, v8, v7
	s_delay_alu instid0(VALU_DEP_1) | instskip(NEXT) | instid1(VALU_DEP_1)
	v_mul_f32_e32 v8, v10, v7
	v_fma_f32 v14, -v5, v8, v10
	s_delay_alu instid0(VALU_DEP_1) | instskip(NEXT) | instid1(VALU_DEP_1)
	v_fmac_f32_e32 v8, v14, v7
	v_fma_f32 v5, -v5, v8, v10
	s_delay_alu instid0(VALU_DEP_1) | instskip(SKIP_1) | instid1(VALU_DEP_2)
	v_div_fmas_f32 v5, v5, v7, v8
	v_add_f32_e32 v7, 0, v4
	v_div_fixup_f32 v5, v5, v6, 1.0
	v_fma_f32 v6, v4, 0, -1.0
	s_delay_alu instid0(VALU_DEP_2) | instskip(NEXT) | instid1(VALU_DEP_2)
	v_mul_f32_e32 v4, v7, v5
	v_mul_f32_e32 v5, v6, v5
.LBB176_1729:
	s_or_b32 exec_lo, exec_lo, s0
	v_add_nc_u32_e32 v6, s3, v9
	v_cmp_gt_i16_e32 vcc_lo, 11, v13
	s_delay_alu instid0(VALU_DEP_2) | instskip(SKIP_1) | instid1(VALU_DEP_1)
	v_ashrrev_i32_e32 v7, 31, v6
	v_add_co_u32 v9, s0, s6, v6
	v_add_co_ci_u32_e64 v10, s0, s7, v7, s0
	s_cbranch_vccnz .LBB176_1736
; %bb.1730:
	v_cmp_lt_i16_e32 vcc_lo, 25, v13
	s_mov_b32 s1, 0
	s_cbranch_vccz .LBB176_1737
; %bb.1731:
	v_cmp_lt_i16_e32 vcc_lo, 28, v13
	s_cbranch_vccz .LBB176_1738
; %bb.1732:
	v_cmp_lt_i16_e32 vcc_lo, 43, v13
	;; [unrolled: 3-line block ×3, first 2 shown]
	s_cbranch_vccz .LBB176_1742
; %bb.1734:
	v_cmp_eq_u16_e32 vcc_lo, 46, v13
	s_mov_b32 s6, 0
	s_cbranch_vccz .LBB176_1745
; %bb.1735:
	global_load_b32 v6, v[9:10], off
	s_mov_b32 s0, 0
	s_mov_b32 s3, -1
	s_waitcnt vmcnt(0)
	v_and_b32_e32 v8, 0xffff0000, v6
	v_lshlrev_b32_e32 v7, 16, v6
	s_branch .LBB176_1747
.LBB176_1736:
	s_mov_b32 s0, -1
	s_mov_b32 s3, 0
                                        ; implicit-def: $vgpr8
	s_branch .LBB176_1816
.LBB176_1737:
	s_mov_b32 s6, -1
	s_mov_b32 s3, 0
	s_mov_b32 s0, 0
                                        ; implicit-def: $vgpr8
	s_branch .LBB176_1780
.LBB176_1738:
	s_mov_b32 s6, -1
	s_mov_b32 s3, 0
	s_mov_b32 s0, 0
                                        ; implicit-def: $vgpr8
	s_branch .LBB176_1759
.LBB176_1739:
	s_mov_b32 s6, -1
	s_mov_b32 s3, 0
	s_mov_b32 s0, 0
                                        ; implicit-def: $vgpr8
	s_branch .LBB176_1753
.LBB176_1740:
	s_cbranch_execnz .LBB176_1743
; %bb.1741:
	s_or_b32 s8, s8, exec_lo
                                        ; implicit-def: $vgpr6
	s_cbranch_execz .LBB176_1688
	s_branch .LBB176_1689
.LBB176_1742:
	s_mov_b32 s6, -1
	s_mov_b32 s3, 0
	s_mov_b32 s0, 0
	s_branch .LBB176_1746
.LBB176_1743:
	s_trap 2
	s_sendmsg_rtn_b32 s0, sendmsg(MSG_RTN_GET_DOORBELL)
	s_mov_b32 ttmp2, m0
	s_waitcnt lgkmcnt(0)
	s_and_b32 s0, s0, 0x3ff
	s_delay_alu instid0(SALU_CYCLE_1) | instskip(NEXT) | instid1(SALU_CYCLE_1)
	s_bitset1_b32 s0, 10
	s_mov_b32 m0, s0
	s_sendmsg sendmsg(MSG_INTERRUPT)
	s_mov_b32 m0, ttmp2
.LBB176_1744:                           ; =>This Inner Loop Header: Depth=1
	s_sethalt 5
	s_branch .LBB176_1744
.LBB176_1745:
	s_mov_b32 s0, -1
	s_mov_b32 s3, 0
.LBB176_1746:
                                        ; implicit-def: $vgpr8
.LBB176_1747:
	s_and_b32 vcc_lo, exec_lo, s6
	s_cbranch_vccz .LBB176_1752
; %bb.1748:
	v_cmp_eq_u16_e32 vcc_lo, 44, v13
	s_cbranch_vccz .LBB176_1750
; %bb.1749:
	global_load_u8 v6, v[9:10], off
	s_mov_b32 s0, 0
	s_mov_b32 s3, -1
	s_waitcnt vmcnt(0)
	v_lshlrev_b32_e32 v7, 23, v6
	v_cmp_ne_u32_e32 vcc_lo, 0xff, v6
	s_delay_alu instid0(VALU_DEP_2) | instskip(SKIP_1) | instid1(VALU_DEP_2)
	v_cndmask_b32_e32 v7, 0x7f800001, v7, vcc_lo
	v_cmp_ne_u32_e32 vcc_lo, 0, v6
	v_cndmask_b32_e32 v7, 0x400000, v7, vcc_lo
	s_branch .LBB176_1751
.LBB176_1750:
	s_mov_b32 s0, -1
                                        ; implicit-def: $vgpr7
.LBB176_1751:
	s_delay_alu instid0(SALU_CYCLE_1)
	v_mov_b32_e32 v8, s0
.LBB176_1752:
	s_mov_b32 s6, 0
.LBB176_1753:
	s_delay_alu instid0(SALU_CYCLE_1)
	s_and_b32 vcc_lo, exec_lo, s6
	s_cbranch_vccz .LBB176_1758
; %bb.1754:
	v_cmp_eq_u16_e32 vcc_lo, 29, v13
	s_cbranch_vccz .LBB176_1756
; %bb.1755:
	global_load_b64 v[6:7], v[9:10], off
	s_mov_b32 s0, 0
	s_mov_b32 s3, -1
	s_mov_b32 s6, 0
	s_waitcnt vmcnt(0)
	v_clz_i32_u32_e32 v8, v7
	s_delay_alu instid0(VALU_DEP_1) | instskip(NEXT) | instid1(VALU_DEP_1)
	v_min_u32_e32 v8, 32, v8
	v_lshlrev_b64 v[6:7], v8, v[6:7]
	s_delay_alu instid0(VALU_DEP_1) | instskip(NEXT) | instid1(VALU_DEP_1)
	v_min_u32_e32 v6, 1, v6
	v_or_b32_e32 v6, v7, v6
	v_sub_nc_u32_e32 v7, 32, v8
	s_delay_alu instid0(VALU_DEP_2) | instskip(NEXT) | instid1(VALU_DEP_1)
	v_cvt_f32_u32_e32 v6, v6
	v_ldexp_f32 v7, v6, v7
	s_branch .LBB176_1757
.LBB176_1756:
	s_mov_b32 s0, -1
                                        ; implicit-def: $sgpr6
                                        ; implicit-def: $vgpr7
.LBB176_1757:
	v_mov_b32_e32 v8, s6
.LBB176_1758:
	s_mov_b32 s6, 0
.LBB176_1759:
	s_delay_alu instid0(SALU_CYCLE_1)
	s_and_b32 vcc_lo, exec_lo, s6
	s_cbranch_vccz .LBB176_1779
; %bb.1760:
	v_cmp_gt_i16_e32 vcc_lo, 27, v13
	s_cbranch_vccnz .LBB176_1763
; %bb.1761:
	v_cmp_lt_i16_e32 vcc_lo, 27, v13
	s_cbranch_vccz .LBB176_1764
; %bb.1762:
	global_load_b32 v6, v[9:10], off
	s_mov_b32 s6, 0
	s_mov_b32 s3, 0
	s_waitcnt vmcnt(0)
	v_cvt_f32_u32_e32 v7, v6
	s_branch .LBB176_1765
.LBB176_1763:
	s_mov_b32 s6, -1
                                        ; implicit-def: $sgpr3
                                        ; implicit-def: $vgpr7
	s_branch .LBB176_1768
.LBB176_1764:
	s_mov_b32 s6, -1
                                        ; implicit-def: $sgpr3
                                        ; implicit-def: $vgpr7
.LBB176_1765:
	s_delay_alu instid0(SALU_CYCLE_1)
	s_and_not1_b32 vcc_lo, exec_lo, s6
	s_cbranch_vccnz .LBB176_1767
; %bb.1766:
	global_load_u16 v6, v[9:10], off
	s_mov_b32 s3, 0
	s_waitcnt vmcnt(0)
	v_cvt_f32_u32_e32 v7, v6
.LBB176_1767:
	s_mov_b32 s6, 0
.LBB176_1768:
	v_mov_b32_e32 v8, s3
	s_and_not1_b32 vcc_lo, exec_lo, s6
	s_cbranch_vccnz .LBB176_1778
; %bb.1769:
	global_load_u8 v6, v[9:10], off
	s_mov_b32 s3, 0
	s_mov_b32 s11, exec_lo
                                        ; implicit-def: $sgpr7
                                        ; implicit-def: $sgpr6
	s_waitcnt vmcnt(0)
	v_cmpx_lt_i16_e32 0x7f, v6
	s_xor_b32 s11, exec_lo, s11
	s_cbranch_execz .LBB176_1773
; %bb.1770:
	s_mov_b32 s3, -1
	s_mov_b32 s12, exec_lo
                                        ; implicit-def: $sgpr7
                                        ; implicit-def: $sgpr6
	v_cmpx_eq_u16_e32 0x80, v6
; %bb.1771:
	s_mov_b32 s6, 0x7f800001
	s_mov_b32 s7, 0
	s_xor_b32 s3, exec_lo, -1
; %bb.1772:
	s_or_b32 exec_lo, exec_lo, s12
	s_delay_alu instid0(SALU_CYCLE_1)
	s_and_b32 s3, s3, exec_lo
.LBB176_1773:
	s_or_saveexec_b32 s11, s11
	v_dual_mov_b32 v8, s7 :: v_dual_mov_b32 v7, s6
	s_xor_b32 exec_lo, exec_lo, s11
; %bb.1774:
	v_mov_b32_e32 v8, 0
	v_cmp_ne_u16_e32 vcc_lo, 0, v6
	s_and_not1_b32 s3, s3, exec_lo
	s_delay_alu instid0(VALU_DEP_2) | instskip(SKIP_1) | instid1(SALU_CYCLE_1)
	v_mov_b32_e32 v7, v8
	s_and_b32 s6, vcc_lo, exec_lo
	s_or_b32 s3, s3, s6
; %bb.1775:
	s_or_b32 exec_lo, exec_lo, s11
	s_and_saveexec_b32 s6, s3
	s_cbranch_execz .LBB176_1777
; %bb.1776:
	v_and_b32_e32 v7, 0xffff, v6
	v_lshlrev_b32_e32 v6, 24, v6
	s_delay_alu instid0(VALU_DEP_2) | instskip(NEXT) | instid1(VALU_DEP_2)
	v_and_b32_e32 v8, 7, v7
	v_and_b32_e32 v6, 0x80000000, v6
	s_delay_alu instid0(VALU_DEP_2) | instskip(NEXT) | instid1(VALU_DEP_1)
	v_clz_i32_u32_e32 v14, v8
	v_min_u32_e32 v14, 32, v14
	s_delay_alu instid0(VALU_DEP_1) | instskip(SKIP_1) | instid1(VALU_DEP_2)
	v_subrev_nc_u32_e32 v15, 28, v14
	v_sub_nc_u32_e32 v14, 29, v14
	v_lshlrev_b32_e32 v15, v15, v7
	v_bfe_u32 v7, v7, 3, 4
	s_delay_alu instid0(VALU_DEP_2) | instskip(NEXT) | instid1(VALU_DEP_2)
	v_and_b32_e32 v15, 7, v15
	v_cmp_eq_u32_e32 vcc_lo, 0, v7
	s_delay_alu instid0(VALU_DEP_2) | instskip(NEXT) | instid1(VALU_DEP_1)
	v_dual_cndmask_b32 v7, v7, v14 :: v_dual_cndmask_b32 v8, v8, v15
	v_lshl_add_u32 v7, v7, 23, 0x3b800000
	s_delay_alu instid0(VALU_DEP_2) | instskip(NEXT) | instid1(VALU_DEP_1)
	v_lshlrev_b32_e32 v8, 20, v8
	v_or3_b32 v7, v6, v7, v8
	v_mov_b32_e32 v8, 0
.LBB176_1777:
	s_or_b32 exec_lo, exec_lo, s6
.LBB176_1778:
	s_mov_b32 s3, -1
.LBB176_1779:
	s_mov_b32 s6, 0
.LBB176_1780:
	s_delay_alu instid0(SALU_CYCLE_1)
	s_and_b32 vcc_lo, exec_lo, s6
	s_cbranch_vccz .LBB176_1812
; %bb.1781:
	v_cmp_lt_i16_e32 vcc_lo, 22, v13
	s_cbranch_vccz .LBB176_1793
; %bb.1782:
	v_cmp_gt_i16_e32 vcc_lo, 24, v13
	s_cbranch_vccnz .LBB176_1794
; %bb.1783:
	v_cmp_lt_i16_e32 vcc_lo, 24, v13
	s_cbranch_vccz .LBB176_1795
; %bb.1784:
	global_load_u8 v6, v[9:10], off
	s_mov_b32 s7, exec_lo
                                        ; implicit-def: $sgpr6
                                        ; implicit-def: $sgpr3
	s_waitcnt vmcnt(0)
	v_cmpx_lt_i16_e32 0x7f, v6
	s_xor_b32 s7, exec_lo, s7
	s_cbranch_execz .LBB176_1788
; %bb.1785:
	s_mov_b32 s1, -1
	s_mov_b32 s11, exec_lo
                                        ; implicit-def: $sgpr6
                                        ; implicit-def: $sgpr3
	v_cmpx_eq_u16_e32 0x80, v6
; %bb.1786:
	s_mov_b32 s3, 0x7f800001
	s_mov_b32 s6, 0
	s_xor_b32 s1, exec_lo, -1
; %bb.1787:
	s_or_b32 exec_lo, exec_lo, s11
	s_delay_alu instid0(SALU_CYCLE_1)
	s_and_b32 s1, s1, exec_lo
.LBB176_1788:
	s_or_saveexec_b32 s7, s7
	v_dual_mov_b32 v8, s6 :: v_dual_mov_b32 v7, s3
	s_xor_b32 exec_lo, exec_lo, s7
; %bb.1789:
	v_mov_b32_e32 v8, 0
	v_cmp_ne_u16_e32 vcc_lo, 0, v6
	s_and_not1_b32 s1, s1, exec_lo
	s_delay_alu instid0(VALU_DEP_2) | instskip(SKIP_1) | instid1(SALU_CYCLE_1)
	v_mov_b32_e32 v7, v8
	s_and_b32 s3, vcc_lo, exec_lo
	s_or_b32 s1, s1, s3
; %bb.1790:
	s_or_b32 exec_lo, exec_lo, s7
	s_and_saveexec_b32 s3, s1
	s_cbranch_execz .LBB176_1792
; %bb.1791:
	v_and_b32_e32 v7, 0xffff, v6
	v_lshlrev_b32_e32 v6, 24, v6
	s_delay_alu instid0(VALU_DEP_2) | instskip(NEXT) | instid1(VALU_DEP_2)
	v_and_b32_e32 v8, 3, v7
	v_and_b32_e32 v6, 0x80000000, v6
	s_delay_alu instid0(VALU_DEP_2) | instskip(NEXT) | instid1(VALU_DEP_1)
	v_clz_i32_u32_e32 v14, v8
	v_min_u32_e32 v14, 32, v14
	s_delay_alu instid0(VALU_DEP_1) | instskip(SKIP_1) | instid1(VALU_DEP_2)
	v_subrev_nc_u32_e32 v15, 29, v14
	v_sub_nc_u32_e32 v14, 30, v14
	v_lshlrev_b32_e32 v15, v15, v7
	v_bfe_u32 v7, v7, 2, 5
	s_delay_alu instid0(VALU_DEP_2) | instskip(NEXT) | instid1(VALU_DEP_2)
	v_and_b32_e32 v15, 3, v15
	v_cmp_eq_u32_e32 vcc_lo, 0, v7
	s_delay_alu instid0(VALU_DEP_2) | instskip(NEXT) | instid1(VALU_DEP_1)
	v_dual_cndmask_b32 v7, v7, v14 :: v_dual_cndmask_b32 v8, v8, v15
	v_lshl_add_u32 v7, v7, 23, 0x37800000
	s_delay_alu instid0(VALU_DEP_2) | instskip(NEXT) | instid1(VALU_DEP_1)
	v_lshlrev_b32_e32 v8, 21, v8
	v_or3_b32 v7, v6, v7, v8
	v_mov_b32_e32 v8, 0
.LBB176_1792:
	s_or_b32 exec_lo, exec_lo, s3
	s_mov_b32 s1, 0
	s_branch .LBB176_1796
.LBB176_1793:
	s_mov_b32 s1, -1
                                        ; implicit-def: $vgpr8
	s_branch .LBB176_1802
.LBB176_1794:
	s_mov_b32 s1, -1
                                        ; implicit-def: $vgpr8
	s_branch .LBB176_1799
.LBB176_1795:
	s_mov_b32 s1, -1
                                        ; implicit-def: $vgpr8
.LBB176_1796:
	s_delay_alu instid0(SALU_CYCLE_1)
	s_and_b32 vcc_lo, exec_lo, s1
	s_cbranch_vccz .LBB176_1798
; %bb.1797:
	global_load_u8 v6, v[9:10], off
	s_waitcnt vmcnt(0)
	v_lshlrev_b32_e32 v6, 24, v6
	s_delay_alu instid0(VALU_DEP_1) | instskip(NEXT) | instid1(VALU_DEP_1)
	v_and_b32_e32 v7, 0x7f000000, v6
	v_clz_i32_u32_e32 v8, v7
	v_add_nc_u32_e32 v15, 0x1000000, v7
	v_cmp_ne_u32_e32 vcc_lo, 0, v7
	s_delay_alu instid0(VALU_DEP_3) | instskip(NEXT) | instid1(VALU_DEP_1)
	v_min_u32_e32 v8, 32, v8
	v_sub_nc_u32_e64 v8, v8, 4 clamp
	s_delay_alu instid0(VALU_DEP_1) | instskip(SKIP_1) | instid1(VALU_DEP_2)
	v_lshlrev_b32_e32 v14, v8, v7
	v_lshlrev_b32_e32 v8, 23, v8
	v_lshrrev_b32_e32 v14, 4, v14
	s_delay_alu instid0(VALU_DEP_1) | instskip(SKIP_1) | instid1(VALU_DEP_2)
	v_sub_nc_u32_e32 v8, v14, v8
	v_ashrrev_i32_e32 v14, 8, v15
	v_add_nc_u32_e32 v8, 0x3c000000, v8
	s_delay_alu instid0(VALU_DEP_1) | instskip(NEXT) | instid1(VALU_DEP_1)
	v_and_or_b32 v8, 0x7f800000, v14, v8
	v_dual_cndmask_b32 v7, 0, v8 :: v_dual_mov_b32 v8, 0
	s_delay_alu instid0(VALU_DEP_1)
	v_and_or_b32 v7, 0x80000000, v6, v7
.LBB176_1798:
	s_mov_b32 s1, 0
.LBB176_1799:
	s_delay_alu instid0(SALU_CYCLE_1)
	s_and_not1_b32 vcc_lo, exec_lo, s1
	s_cbranch_vccnz .LBB176_1801
; %bb.1800:
	global_load_u8 v6, v[9:10], off
	s_waitcnt vmcnt(0)
	v_lshlrev_b32_e32 v7, 25, v6
	v_lshlrev_b16 v6, 8, v6
	s_delay_alu instid0(VALU_DEP_2) | instskip(NEXT) | instid1(VALU_DEP_2)
	v_lshrrev_b32_e32 v8, 4, v7
	v_and_or_b32 v14, 0x7f00, v6, 0.5
	v_bfe_i32 v6, v6, 0, 16
	s_delay_alu instid0(VALU_DEP_3) | instskip(NEXT) | instid1(VALU_DEP_3)
	v_or_b32_e32 v8, 0x70000000, v8
	v_add_f32_e32 v14, -0.5, v14
	s_delay_alu instid0(VALU_DEP_2) | instskip(SKIP_1) | instid1(VALU_DEP_2)
	v_mul_f32_e32 v8, 0x7800000, v8
	v_cmp_gt_u32_e32 vcc_lo, 0x8000000, v7
	v_dual_cndmask_b32 v7, v8, v14 :: v_dual_mov_b32 v8, 0
	s_delay_alu instid0(VALU_DEP_1)
	v_and_or_b32 v7, 0x80000000, v6, v7
.LBB176_1801:
	s_mov_b32 s1, 0
	s_mov_b32 s3, -1
.LBB176_1802:
	s_and_not1_b32 vcc_lo, exec_lo, s1
	s_mov_b32 s1, 0
	s_cbranch_vccnz .LBB176_1812
; %bb.1803:
	v_cmp_lt_i16_e32 vcc_lo, 14, v13
	s_cbranch_vccz .LBB176_1806
; %bb.1804:
	v_cmp_eq_u16_e32 vcc_lo, 15, v13
	s_cbranch_vccz .LBB176_1807
; %bb.1805:
	global_load_u16 v6, v[9:10], off
	s_mov_b32 s0, 0
	s_mov_b32 s3, -1
	s_mov_b32 s6, 0
	s_waitcnt vmcnt(0)
	v_lshlrev_b32_e32 v7, 16, v6
	s_branch .LBB176_1809
.LBB176_1806:
	s_mov_b32 s1, -1
	s_branch .LBB176_1808
.LBB176_1807:
	s_mov_b32 s0, -1
.LBB176_1808:
                                        ; implicit-def: $sgpr6
                                        ; implicit-def: $vgpr7
.LBB176_1809:
	s_and_b32 vcc_lo, exec_lo, s1
	s_mov_b32 s1, 0
	s_cbranch_vccz .LBB176_1811
; %bb.1810:
	v_cmp_ne_u16_e64 s0, 11, v13
	s_mov_b32 s1, -1
                                        ; implicit-def: $sgpr6
                                        ; implicit-def: $vgpr7
.LBB176_1811:
	v_mov_b32_e32 v8, s6
.LBB176_1812:
	s_delay_alu instid0(VALU_DEP_2)
	s_and_b32 vcc_lo, exec_lo, s0
	s_cbranch_vccnz .LBB176_2386
; %bb.1813:
	s_and_not1_b32 vcc_lo, exec_lo, s1
	s_cbranch_vccnz .LBB176_1815
.LBB176_1814:
	global_load_u8 v6, v[9:10], off
	v_mov_b32_e32 v8, 0
	s_mov_b32 s3, -1
	s_waitcnt vmcnt(0)
	v_cmp_ne_u16_e32 vcc_lo, 0, v6
	v_cndmask_b32_e64 v7, 0, 1.0, vcc_lo
.LBB176_1815:
	s_mov_b32 s0, 0
.LBB176_1816:
	s_delay_alu instid0(SALU_CYCLE_1)
	s_and_b32 vcc_lo, exec_lo, s0
	s_cbranch_vccz .LBB176_1867
; %bb.1817:
	v_cmp_gt_i16_e32 vcc_lo, 5, v13
	s_cbranch_vccnz .LBB176_1822
; %bb.1818:
	v_cmp_gt_i16_e32 vcc_lo, 8, v13
	s_cbranch_vccnz .LBB176_1823
	;; [unrolled: 3-line block ×3, first 2 shown]
; %bb.1820:
	v_cmp_lt_i16_e32 vcc_lo, 9, v13
	s_cbranch_vccz .LBB176_1825
; %bb.1821:
	global_load_b128 v[14:17], v[9:10], off
	s_mov_b32 s0, 0
	s_waitcnt vmcnt(0)
	v_cvt_f32_f64_e32 v7, v[14:15]
	v_cvt_f32_f64_e32 v8, v[16:17]
	s_branch .LBB176_1826
.LBB176_1822:
	s_mov_b32 s0, -1
                                        ; implicit-def: $vgpr8
	s_branch .LBB176_1845
.LBB176_1823:
	s_mov_b32 s0, -1
                                        ; implicit-def: $vgpr8
	s_branch .LBB176_1832
.LBB176_1824:
	s_mov_b32 s0, -1
                                        ; implicit-def: $vgpr8
	s_branch .LBB176_1829
.LBB176_1825:
	s_mov_b32 s0, -1
                                        ; implicit-def: $vgpr8
.LBB176_1826:
	s_delay_alu instid0(SALU_CYCLE_1)
	s_and_not1_b32 vcc_lo, exec_lo, s0
	s_cbranch_vccnz .LBB176_1828
; %bb.1827:
	global_load_b64 v[7:8], v[9:10], off
.LBB176_1828:
	s_mov_b32 s0, 0
.LBB176_1829:
	s_delay_alu instid0(SALU_CYCLE_1)
	s_and_not1_b32 vcc_lo, exec_lo, s0
	s_cbranch_vccnz .LBB176_1831
; %bb.1830:
	global_load_b32 v6, v[9:10], off
	s_waitcnt vmcnt(0)
	v_lshrrev_b32_e32 v8, 16, v6
	v_cvt_f32_f16_e32 v7, v6
	s_delay_alu instid0(VALU_DEP_2)
	v_cvt_f32_f16_e32 v8, v8
.LBB176_1831:
	s_mov_b32 s0, 0
.LBB176_1832:
	s_delay_alu instid0(SALU_CYCLE_1)
	s_and_not1_b32 vcc_lo, exec_lo, s0
	s_cbranch_vccnz .LBB176_1844
; %bb.1833:
	v_cmp_gt_i16_e32 vcc_lo, 6, v13
	s_cbranch_vccnz .LBB176_1836
; %bb.1834:
	v_cmp_lt_i16_e32 vcc_lo, 6, v13
	s_cbranch_vccz .LBB176_1837
; %bb.1835:
	global_load_b64 v[6:7], v[9:10], off
	s_mov_b32 s1, 0
	s_mov_b32 s0, 0
	s_waitcnt vmcnt(0)
	v_cvt_f32_f64_e32 v7, v[6:7]
	s_branch .LBB176_1838
.LBB176_1836:
	s_mov_b32 s1, -1
                                        ; implicit-def: $sgpr0
                                        ; implicit-def: $vgpr7
	s_branch .LBB176_1841
.LBB176_1837:
	s_mov_b32 s1, -1
                                        ; implicit-def: $sgpr0
                                        ; implicit-def: $vgpr7
.LBB176_1838:
	s_delay_alu instid0(SALU_CYCLE_1)
	s_and_not1_b32 vcc_lo, exec_lo, s1
	s_cbranch_vccnz .LBB176_1840
; %bb.1839:
	global_load_b32 v7, v[9:10], off
	s_mov_b32 s0, 0
.LBB176_1840:
	s_mov_b32 s1, 0
.LBB176_1841:
	s_delay_alu instid0(SALU_CYCLE_1)
	s_and_not1_b32 vcc_lo, exec_lo, s1
	s_cbranch_vccnz .LBB176_1843
; %bb.1842:
	global_load_u16 v6, v[9:10], off
	s_mov_b32 s0, 0
	s_waitcnt vmcnt(0)
	v_cvt_f32_f16_e32 v7, v6
.LBB176_1843:
	s_waitcnt vmcnt(0)
	v_mov_b32_e32 v8, s0
.LBB176_1844:
	s_mov_b32 s0, 0
.LBB176_1845:
	s_delay_alu instid0(SALU_CYCLE_1)
	s_and_not1_b32 vcc_lo, exec_lo, s0
	s_cbranch_vccnz .LBB176_1866
; %bb.1846:
	v_cmp_gt_i16_e32 vcc_lo, 2, v13
	s_cbranch_vccnz .LBB176_1850
; %bb.1847:
	v_cmp_gt_i16_e32 vcc_lo, 3, v13
	s_cbranch_vccnz .LBB176_1851
; %bb.1848:
	v_cmp_lt_i16_e32 vcc_lo, 3, v13
	s_cbranch_vccz .LBB176_1852
; %bb.1849:
	global_load_b64 v[6:7], v[9:10], off
	s_mov_b32 s1, 0
	s_mov_b32 s0, 0
	s_waitcnt vmcnt(0)
	v_xor_b32_e32 v8, v6, v7
	v_cls_i32_e32 v14, v7
	s_delay_alu instid0(VALU_DEP_2) | instskip(NEXT) | instid1(VALU_DEP_2)
	v_ashrrev_i32_e32 v8, 31, v8
	v_add_nc_u32_e32 v14, -1, v14
	s_delay_alu instid0(VALU_DEP_2) | instskip(NEXT) | instid1(VALU_DEP_1)
	v_add_nc_u32_e32 v8, 32, v8
	v_min_u32_e32 v8, v14, v8
	s_delay_alu instid0(VALU_DEP_1) | instskip(NEXT) | instid1(VALU_DEP_1)
	v_lshlrev_b64 v[6:7], v8, v[6:7]
	v_min_u32_e32 v6, 1, v6
	s_delay_alu instid0(VALU_DEP_1) | instskip(SKIP_1) | instid1(VALU_DEP_2)
	v_or_b32_e32 v6, v7, v6
	v_sub_nc_u32_e32 v7, 32, v8
	v_cvt_f32_i32_e32 v6, v6
	s_delay_alu instid0(VALU_DEP_1)
	v_ldexp_f32 v7, v6, v7
	s_branch .LBB176_1853
.LBB176_1850:
	s_mov_b32 s1, -1
                                        ; implicit-def: $sgpr0
                                        ; implicit-def: $vgpr7
	s_branch .LBB176_1859
.LBB176_1851:
	s_mov_b32 s1, -1
                                        ; implicit-def: $sgpr0
                                        ; implicit-def: $vgpr7
	s_branch .LBB176_1856
.LBB176_1852:
	s_mov_b32 s1, -1
                                        ; implicit-def: $sgpr0
                                        ; implicit-def: $vgpr7
.LBB176_1853:
	s_delay_alu instid0(SALU_CYCLE_1)
	s_and_not1_b32 vcc_lo, exec_lo, s1
	s_cbranch_vccnz .LBB176_1855
; %bb.1854:
	global_load_b32 v6, v[9:10], off
	s_mov_b32 s0, 0
	s_waitcnt vmcnt(0)
	v_cvt_f32_i32_e32 v7, v6
.LBB176_1855:
	s_mov_b32 s1, 0
.LBB176_1856:
	s_delay_alu instid0(SALU_CYCLE_1)
	s_and_not1_b32 vcc_lo, exec_lo, s1
	s_cbranch_vccnz .LBB176_1858
; %bb.1857:
	global_load_i16 v6, v[9:10], off
	s_mov_b32 s0, 0
	s_waitcnt vmcnt(0)
	v_cvt_f32_i32_e32 v7, v6
.LBB176_1858:
	s_mov_b32 s1, 0
.LBB176_1859:
	s_delay_alu instid0(SALU_CYCLE_1)
	s_and_not1_b32 vcc_lo, exec_lo, s1
	s_cbranch_vccnz .LBB176_1865
; %bb.1860:
	v_cmp_lt_i16_e32 vcc_lo, 0, v13
	s_mov_b32 s1, 0
	s_cbranch_vccz .LBB176_1862
; %bb.1861:
	global_load_i8 v6, v[9:10], off
	s_mov_b32 s0, 0
	s_waitcnt vmcnt(0)
	v_cvt_f32_i32_e32 v7, v6
	s_branch .LBB176_1863
.LBB176_1862:
	s_mov_b32 s1, -1
                                        ; implicit-def: $sgpr0
                                        ; implicit-def: $vgpr7
.LBB176_1863:
	s_delay_alu instid0(SALU_CYCLE_1)
	s_and_not1_b32 vcc_lo, exec_lo, s1
	s_cbranch_vccnz .LBB176_1865
; %bb.1864:
	global_load_u8 v6, v[9:10], off
	s_mov_b32 s0, 0
	s_waitcnt vmcnt(0)
	v_cvt_f32_ubyte0_e32 v7, v6
.LBB176_1865:
	s_waitcnt vmcnt(0)
	v_mov_b32_e32 v8, s0
.LBB176_1866:
	s_mov_b32 s3, -1
.LBB176_1867:
	s_delay_alu instid0(SALU_CYCLE_1)
	s_and_not1_b32 vcc_lo, exec_lo, s3
	s_cbranch_vccnz .LBB176_1880
; %bb.1868:
	s_waitcnt vmcnt(0)
	s_delay_alu instid0(VALU_DEP_1) | instskip(NEXT) | instid1(VALU_DEP_2)
	v_cmp_neq_f32_e32 vcc_lo, 0, v7
	v_cmp_neq_f32_e64 s0, 0, v8
	v_mov_b32_e32 v9, 0
	s_delay_alu instid0(VALU_DEP_2) | instskip(NEXT) | instid1(SALU_CYCLE_1)
	s_or_b32 s0, vcc_lo, s0
	s_and_saveexec_b32 s3, s0
	s_cbranch_execz .LBB176_1943
; %bb.1869:
	v_mov_b32_e32 v9, 0x7f800000
	s_mov_b32 s6, exec_lo
	v_cmpx_neq_f32_e64 0x7f800000, |v8|
	s_cbranch_execz .LBB176_1942
; %bb.1870:
	s_mov_b32 s0, exec_lo
	v_cmpx_o_f32_e32 v7, v7
	s_xor_b32 s7, exec_lo, s0
	s_cbranch_execz .LBB176_1939
; %bb.1871:
	s_mov_b32 s1, exec_lo
	v_cmpx_neq_f32_e64 0x7f800000, |v7|
	s_xor_b32 s11, exec_lo, s1
	s_cbranch_execz .LBB176_1932
; %bb.1872:
	v_max_f32_e64 v6, |v8|, |v8|
	v_max_f32_e64 v9, |v7|, |v7|
                                        ; implicit-def: $sgpr12
	s_delay_alu instid0(VALU_DEP_1) | instskip(NEXT) | instid1(VALU_DEP_1)
	v_max_f32_e32 v6, v9, v6
	v_cmp_nle_f32_e64 s0, 0x7ed413cb, v6
	s_delay_alu instid0(VALU_DEP_1) | instskip(NEXT) | instid1(SALU_CYCLE_1)
	s_and_saveexec_b32 s1, s0
	s_xor_b32 s1, exec_lo, s1
	s_cbranch_execz .LBB176_1876
; %bb.1873:
	v_cmp_ge_f32_e64 s12, 0x1000000, |v7|
	v_cmp_ge_f32_e64 s13, 0x1000000, |v8|
	s_delay_alu instid0(VALU_DEP_1)
	s_and_b32 s14, s12, s13
	s_mov_b32 s12, 0
	s_and_saveexec_b32 s13, s14
; %bb.1874:
	v_dual_mul_f32 v8, 4.0, v8 :: v_dual_mul_f32 v7, 4.0, v7
	s_mov_b32 s12, exec_lo
; %bb.1875:
	s_or_b32 exec_lo, exec_lo, s13
	s_delay_alu instid0(SALU_CYCLE_1)
	s_and_b32 s12, s12, exec_lo
.LBB176_1876:
	s_and_not1_saveexec_b32 s1, s1
; %bb.1877:
	v_dual_mul_f32 v7, 0x3e800000, v7 :: v_dual_mul_f32 v8, 0x3e800000, v8
	s_and_not1_b32 s12, s12, exec_lo
; %bb.1878:
	s_or_b32 exec_lo, exec_lo, s1
	s_delay_alu instid0(VALU_DEP_1) | instskip(NEXT) | instid1(VALU_DEP_2)
	v_max_f32_e64 v6, |v8|, |v8|
	v_max_f32_e64 v9, |v7|, |v7|
	s_delay_alu instid0(VALU_DEP_1) | instskip(NEXT) | instid1(VALU_DEP_1)
	v_max_f32_e32 v6, v9, v6
	v_cvt_f64_f32_e32 v[9:10], v6
	v_cmp_neq_f32_e64 s1, 0x7f800000, v6
                                        ; implicit-def: $vgpr6
	s_delay_alu instid0(VALU_DEP_2) | instskip(NEXT) | instid1(VALU_DEP_1)
	v_frexp_exp_i32_f64_e32 v9, v[9:10]
	v_sub_nc_u32_e32 v10, 0, v9
	s_delay_alu instid0(VALU_DEP_1) | instskip(SKIP_1) | instid1(VALU_DEP_2)
	v_ldexp_f32 v13, |v8|, v10
	v_ldexp_f32 v10, |v7|, v10
	v_mul_f32_e32 v13, v13, v13
	s_delay_alu instid0(VALU_DEP_1) | instskip(NEXT) | instid1(VALU_DEP_1)
	v_fmac_f32_e32 v13, v10, v10
	v_sqrt_f32_e32 v10, v13
	s_waitcnt_depctr 0xfff
	v_ldexp_f32 v9, v10, v9
	s_delay_alu instid0(VALU_DEP_1)
	v_cndmask_b32_e64 v10, 0x7f800000, v9, s1
                                        ; implicit-def: $vgpr9
	s_mov_b32 s1, exec_lo
	v_cmpx_le_f32_e32 0, v7
	s_xor_b32 s13, exec_lo, s1
	s_cbranch_execz .LBB176_1925
; %bb.1879:
	v_add_f32_e32 v6, v7, v10
	s_delay_alu instid0(VALU_DEP_1) | instskip(NEXT) | instid1(VALU_DEP_1)
	v_mul_f32_e32 v6, 0.5, v6
	v_mul_f32_e32 v7, 0x4f800000, v6
	v_cmp_gt_f32_e32 vcc_lo, 0xf800000, v6
	s_delay_alu instid0(VALU_DEP_2) | instskip(NEXT) | instid1(VALU_DEP_1)
	v_cndmask_b32_e32 v6, v6, v7, vcc_lo
	v_sqrt_f32_e32 v7, v6
	s_waitcnt_depctr 0xfff
	v_add_nc_u32_e32 v9, -1, v7
	v_add_nc_u32_e32 v10, 1, v7
	s_delay_alu instid0(VALU_DEP_2) | instskip(NEXT) | instid1(VALU_DEP_2)
	v_fma_f32 v13, -v9, v7, v6
	v_fma_f32 v14, -v10, v7, v6
	s_delay_alu instid0(VALU_DEP_2) | instskip(NEXT) | instid1(VALU_DEP_1)
	v_cmp_ge_f32_e64 s1, 0, v13
	v_cndmask_b32_e64 v7, v7, v9, s1
	s_delay_alu instid0(VALU_DEP_3) | instskip(NEXT) | instid1(VALU_DEP_1)
	v_cmp_lt_f32_e64 s1, 0, v14
	v_cndmask_b32_e64 v7, v7, v10, s1
	s_delay_alu instid0(VALU_DEP_1) | instskip(NEXT) | instid1(VALU_DEP_1)
	v_mul_f32_e32 v9, 0x37800000, v7
	v_cndmask_b32_e32 v7, v7, v9, vcc_lo
	v_cmp_class_f32_e64 vcc_lo, v6, 0x260
	s_delay_alu instid0(VALU_DEP_2) | instskip(NEXT) | instid1(VALU_DEP_1)
	v_cndmask_b32_e32 v6, v7, v6, vcc_lo
	v_add_f32_e32 v7, v6, v6
	s_delay_alu instid0(VALU_DEP_1) | instskip(NEXT) | instid1(VALU_DEP_1)
	v_div_scale_f32 v9, null, v7, v7, v8
	v_rcp_f32_e32 v10, v9
	s_waitcnt_depctr 0xfff
	v_fma_f32 v13, -v9, v10, 1.0
	s_delay_alu instid0(VALU_DEP_1) | instskip(SKIP_1) | instid1(VALU_DEP_1)
	v_fmac_f32_e32 v10, v13, v10
	v_div_scale_f32 v13, vcc_lo, v8, v7, v8
	v_mul_f32_e32 v14, v13, v10
	s_delay_alu instid0(VALU_DEP_1) | instskip(NEXT) | instid1(VALU_DEP_1)
	v_fma_f32 v15, -v9, v14, v13
	v_fmac_f32_e32 v14, v15, v10
	s_delay_alu instid0(VALU_DEP_1) | instskip(NEXT) | instid1(VALU_DEP_1)
	v_fma_f32 v9, -v9, v14, v13
	v_div_fmas_f32 v9, v9, v10, v14
                                        ; implicit-def: $vgpr10
	s_delay_alu instid0(VALU_DEP_1)
	v_div_fixup_f32 v9, v9, v7, v8
                                        ; implicit-def: $vgpr7
	s_and_not1_saveexec_b32 s13, s13
	s_cbranch_execz .LBB176_1927
	s_branch .LBB176_1926
.LBB176_1880:
	s_mov_b32 s0, 0
	s_mov_b32 s1, 0
                                        ; implicit-def: $vgpr10
                                        ; implicit-def: $vgpr0_vgpr1
                                        ; implicit-def: $vgpr7
.LBB176_1881:
	s_and_b32 s11, s0, exec_lo
	s_and_not1_b32 s0, s10, exec_lo
	s_and_b32 s2, s8, exec_lo
	s_and_b32 s8, s1, exec_lo
	s_or_b32 s10, s0, s2
.LBB176_1882:
	s_or_b32 exec_lo, exec_lo, s9
	s_and_saveexec_b32 s0, s10
	s_cbranch_execz .LBB176_1885
; %bb.1883:
	; divergent unreachable
	s_or_b32 exec_lo, exec_lo, s0
	s_and_saveexec_b32 s0, s8
	s_delay_alu instid0(SALU_CYCLE_1)
	s_xor_b32 s1, exec_lo, s0
	s_cbranch_execnz .LBB176_1886
.LBB176_1884:
	s_or_b32 exec_lo, exec_lo, s1
	s_and_saveexec_b32 s0, s11
	s_cbranch_execnz .LBB176_1887
	s_branch .LBB176_1924
.LBB176_1885:
	s_or_b32 exec_lo, exec_lo, s0
	s_and_saveexec_b32 s0, s8
	s_delay_alu instid0(SALU_CYCLE_1)
	s_xor_b32 s1, exec_lo, s0
	s_cbranch_execz .LBB176_1884
.LBB176_1886:
	s_waitcnt vmcnt(0)
	v_cmp_neq_f32_e32 vcc_lo, 0, v6
	s_delay_alu instid0(VALU_DEP_2) | instskip(NEXT) | instid1(VALU_DEP_1)
	v_cmp_neq_f32_e64 s0, 0, v7
	s_or_b32 s0, vcc_lo, s0
	s_delay_alu instid0(SALU_CYCLE_1)
	v_cndmask_b32_e64 v2, 0, 1, s0
	global_store_b8 v[0:1], v2, off
	s_or_b32 exec_lo, exec_lo, s1
	s_and_saveexec_b32 s0, s11
	s_cbranch_execz .LBB176_1924
.LBB176_1887:
	v_cmp_gt_i16_e32 vcc_lo, 5, v10
	s_mov_b32 s0, -1
	s_cbranch_vccnz .LBB176_1908
; %bb.1888:
	v_cmp_gt_i16_e32 vcc_lo, 8, v10
	s_cbranch_vccnz .LBB176_1898
; %bb.1889:
	v_cmp_gt_i16_e32 vcc_lo, 9, v10
	s_cbranch_vccnz .LBB176_1895
; %bb.1890:
	v_cmp_lt_i16_e32 vcc_lo, 9, v10
	s_cbranch_vccz .LBB176_1892
; %bb.1891:
	s_waitcnt vmcnt(0)
	v_cvt_f64_f32_e32 v[2:3], v6
	v_cvt_f64_f32_e32 v[4:5], v7
	s_mov_b32 s0, 0
	global_store_b128 v[0:1], v[2:5], off
.LBB176_1892:
	s_and_not1_b32 vcc_lo, exec_lo, s0
	s_cbranch_vccnz .LBB176_1894
; %bb.1893:
	s_waitcnt vmcnt(0)
	global_store_b64 v[0:1], v[6:7], off
.LBB176_1894:
	s_mov_b32 s0, 0
.LBB176_1895:
	s_delay_alu instid0(SALU_CYCLE_1)
	s_and_not1_b32 vcc_lo, exec_lo, s0
	s_cbranch_vccnz .LBB176_1897
; %bb.1896:
	s_waitcnt vmcnt(0)
	v_cvt_f16_f32_e32 v2, v7
	v_cvt_f16_f32_e32 v3, v6
	s_delay_alu instid0(VALU_DEP_2) | instskip(NEXT) | instid1(VALU_DEP_2)
	v_lshlrev_b32_e32 v2, 16, v2
	v_and_b32_e32 v3, 0xffff, v3
	s_delay_alu instid0(VALU_DEP_1)
	v_or_b32_e32 v2, v2, v3
	global_store_b32 v[0:1], v2, off
.LBB176_1897:
	s_mov_b32 s0, 0
.LBB176_1898:
	s_delay_alu instid0(SALU_CYCLE_1)
	s_and_not1_b32 vcc_lo, exec_lo, s0
	s_cbranch_vccnz .LBB176_1907
; %bb.1899:
	v_cmp_gt_i16_e32 vcc_lo, 6, v10
	s_mov_b32 s0, -1
	s_cbranch_vccnz .LBB176_1905
; %bb.1900:
	v_cmp_lt_i16_e32 vcc_lo, 6, v10
	s_cbranch_vccz .LBB176_1902
; %bb.1901:
	s_waitcnt vmcnt(0)
	v_cvt_f64_f32_e32 v[2:3], v6
	s_mov_b32 s0, 0
	global_store_b64 v[0:1], v[2:3], off
.LBB176_1902:
	s_and_not1_b32 vcc_lo, exec_lo, s0
	s_cbranch_vccnz .LBB176_1904
; %bb.1903:
	s_waitcnt vmcnt(0)
	global_store_b32 v[0:1], v6, off
.LBB176_1904:
	s_mov_b32 s0, 0
.LBB176_1905:
	s_delay_alu instid0(SALU_CYCLE_1)
	s_and_not1_b32 vcc_lo, exec_lo, s0
	s_cbranch_vccnz .LBB176_1907
; %bb.1906:
	s_waitcnt vmcnt(0)
	v_cvt_f16_f32_e32 v2, v6
	global_store_b16 v[0:1], v2, off
.LBB176_1907:
	s_mov_b32 s0, 0
.LBB176_1908:
	s_delay_alu instid0(SALU_CYCLE_1)
	s_and_not1_b32 vcc_lo, exec_lo, s0
	s_cbranch_vccnz .LBB176_1924
; %bb.1909:
	v_cmp_gt_i16_e32 vcc_lo, 2, v10
	s_mov_b32 s0, -1
	s_cbranch_vccnz .LBB176_1919
; %bb.1910:
	v_cmp_gt_i16_e32 vcc_lo, 3, v10
	s_cbranch_vccnz .LBB176_1916
; %bb.1911:
	v_cmp_lt_i16_e32 vcc_lo, 3, v10
	s_cbranch_vccz .LBB176_1913
; %bb.1912:
	s_waitcnt vmcnt(0)
	v_trunc_f32_e32 v2, v6
	s_mov_b32 s0, 0
	s_delay_alu instid0(VALU_DEP_1) | instskip(SKIP_1) | instid1(VALU_DEP_2)
	v_mul_f32_e64 v3, 0x2f800000, |v2|
	v_ashrrev_i32_e32 v5, 31, v2
	v_floor_f32_e32 v3, v3
	s_delay_alu instid0(VALU_DEP_1) | instskip(SKIP_1) | instid1(VALU_DEP_2)
	v_fma_f32 v4, 0xcf800000, v3, |v2|
	v_cvt_u32_f32_e32 v3, v3
	v_cvt_u32_f32_e32 v2, v4
	s_delay_alu instid0(VALU_DEP_2) | instskip(NEXT) | instid1(VALU_DEP_2)
	v_xor_b32_e32 v3, v3, v5
	v_xor_b32_e32 v2, v2, v5
	s_delay_alu instid0(VALU_DEP_1) | instskip(NEXT) | instid1(VALU_DEP_3)
	v_sub_co_u32 v2, vcc_lo, v2, v5
	v_sub_co_ci_u32_e32 v3, vcc_lo, v3, v5, vcc_lo
	global_store_b64 v[0:1], v[2:3], off
.LBB176_1913:
	s_and_not1_b32 vcc_lo, exec_lo, s0
	s_cbranch_vccnz .LBB176_1915
; %bb.1914:
	s_waitcnt vmcnt(0)
	v_cvt_i32_f32_e32 v2, v6
	global_store_b32 v[0:1], v2, off
.LBB176_1915:
	s_mov_b32 s0, 0
.LBB176_1916:
	s_delay_alu instid0(SALU_CYCLE_1)
	s_and_not1_b32 vcc_lo, exec_lo, s0
	s_cbranch_vccnz .LBB176_1918
; %bb.1917:
	s_waitcnt vmcnt(0)
	v_cvt_i32_f32_e32 v2, v6
	global_store_b16 v[0:1], v2, off
.LBB176_1918:
	s_mov_b32 s0, 0
.LBB176_1919:
	s_delay_alu instid0(SALU_CYCLE_1)
	s_and_not1_b32 vcc_lo, exec_lo, s0
	s_cbranch_vccnz .LBB176_1924
; %bb.1920:
	v_cmp_lt_i16_e32 vcc_lo, 0, v10
	s_mov_b32 s0, -1
	s_cbranch_vccz .LBB176_1922
; %bb.1921:
	s_waitcnt vmcnt(0)
	v_cvt_i32_f32_e32 v2, v6
	s_mov_b32 s0, 0
	global_store_b8 v[0:1], v2, off
.LBB176_1922:
	s_and_not1_b32 vcc_lo, exec_lo, s0
	s_cbranch_vccnz .LBB176_1924
; %bb.1923:
	s_waitcnt vmcnt(0)
	v_trunc_f32_e32 v2, v6
	s_delay_alu instid0(VALU_DEP_1) | instskip(NEXT) | instid1(VALU_DEP_1)
	v_mul_f32_e64 v3, 0x2f800000, |v2|
	v_floor_f32_e32 v3, v3
	s_delay_alu instid0(VALU_DEP_1) | instskip(SKIP_1) | instid1(VALU_DEP_2)
	v_fma_f32 v3, 0xcf800000, v3, |v2|
	v_ashrrev_i32_e32 v2, 31, v2
	v_cvt_u32_f32_e32 v3, v3
	s_delay_alu instid0(VALU_DEP_1) | instskip(NEXT) | instid1(VALU_DEP_1)
	v_xor_b32_e32 v3, v3, v2
	v_sub_nc_u32_e32 v2, v3, v2
	global_store_b8 v[0:1], v2, off
	s_nop 0
	s_sendmsg sendmsg(MSG_DEALLOC_VGPRS)
	s_endpgm
.LBB176_1924:
	s_nop 0
	s_sendmsg sendmsg(MSG_DEALLOC_VGPRS)
	s_endpgm
.LBB176_1925:
	s_and_not1_saveexec_b32 s13, s13
	s_cbranch_execz .LBB176_1927
.LBB176_1926:
	v_sub_f32_e32 v6, v10, v7
	s_delay_alu instid0(VALU_DEP_1) | instskip(NEXT) | instid1(VALU_DEP_1)
	v_mul_f32_e32 v6, 0.5, v6
	v_mul_f32_e32 v7, 0x4f800000, v6
	v_cmp_gt_f32_e32 vcc_lo, 0xf800000, v6
	s_delay_alu instid0(VALU_DEP_2) | instskip(NEXT) | instid1(VALU_DEP_1)
	v_cndmask_b32_e32 v6, v6, v7, vcc_lo
	v_sqrt_f32_e32 v7, v6
	s_waitcnt_depctr 0xfff
	v_add_nc_u32_e32 v9, -1, v7
	v_add_nc_u32_e32 v10, 1, v7
	s_delay_alu instid0(VALU_DEP_2) | instskip(NEXT) | instid1(VALU_DEP_2)
	v_fma_f32 v13, -v9, v7, v6
	v_fma_f32 v14, -v10, v7, v6
	s_delay_alu instid0(VALU_DEP_2) | instskip(NEXT) | instid1(VALU_DEP_1)
	v_cmp_ge_f32_e64 s1, 0, v13
	v_cndmask_b32_e64 v7, v7, v9, s1
	s_delay_alu instid0(VALU_DEP_3) | instskip(NEXT) | instid1(VALU_DEP_1)
	v_cmp_lt_f32_e64 s1, 0, v14
	v_cndmask_b32_e64 v7, v7, v10, s1
	s_delay_alu instid0(VALU_DEP_1) | instskip(NEXT) | instid1(VALU_DEP_1)
	v_mul_f32_e32 v9, 0x37800000, v7
	v_cndmask_b32_e32 v7, v7, v9, vcc_lo
	v_cmp_class_f32_e64 vcc_lo, v6, 0x260
	s_delay_alu instid0(VALU_DEP_2) | instskip(NEXT) | instid1(VALU_DEP_1)
	v_dual_cndmask_b32 v7, v7, v6 :: v_dual_and_b32 v6, 0x7fffffff, v8
	v_add_f32_e32 v9, v7, v7
	s_delay_alu instid0(VALU_DEP_1) | instskip(SKIP_1) | instid1(VALU_DEP_2)
	v_div_scale_f32 v10, null, v9, v9, v6
	v_div_scale_f32 v6, vcc_lo, v6, v9, v6
	v_rcp_f32_e32 v13, v10
	s_waitcnt_depctr 0xfff
	v_fma_f32 v14, -v10, v13, 1.0
	s_delay_alu instid0(VALU_DEP_1) | instskip(NEXT) | instid1(VALU_DEP_1)
	v_fmac_f32_e32 v13, v14, v13
	v_mul_f32_e32 v14, v6, v13
	s_delay_alu instid0(VALU_DEP_1) | instskip(NEXT) | instid1(VALU_DEP_1)
	v_fma_f32 v15, -v10, v14, v6
	v_fmac_f32_e32 v14, v15, v13
	s_delay_alu instid0(VALU_DEP_1) | instskip(NEXT) | instid1(VALU_DEP_1)
	v_fma_f32 v6, -v10, v14, v6
	v_div_fmas_f32 v6, v6, v13, v14
	s_delay_alu instid0(VALU_DEP_1)
	v_div_fixup_f32 v6, v6, v9, |v8|
	v_bfi_b32 v9, 0x7fffffff, v7, v8
.LBB176_1927:
	s_or_b32 exec_lo, exec_lo, s13
                                        ; implicit-def: $vgpr8
	s_and_saveexec_b32 s1, s0
	s_delay_alu instid0(SALU_CYCLE_1)
	s_xor_b32 s0, exec_lo, s1
	s_cbranch_execz .LBB176_1929
; %bb.1928:
	v_dual_mul_f32 v7, 0.5, v6 :: v_dual_mul_f32 v8, 0.5, v9
	s_delay_alu instid0(VALU_DEP_1) | instskip(NEXT) | instid1(VALU_DEP_2)
	v_cndmask_b32_e64 v7, v6, v7, s12
	v_cndmask_b32_e64 v8, v9, v8, s12
                                        ; implicit-def: $vgpr6
                                        ; implicit-def: $vgpr9
	s_and_not1_saveexec_b32 s0, s0
	s_cbranch_execnz .LBB176_1930
	s_branch .LBB176_1931
.LBB176_1929:
	s_and_not1_saveexec_b32 s0, s0
.LBB176_1930:
	v_dual_add_f32 v7, v6, v6 :: v_dual_add_f32 v8, v9, v9
.LBB176_1931:
	s_or_b32 exec_lo, exec_lo, s0
.LBB176_1932:
	s_and_not1_saveexec_b32 s0, s11
	s_cbranch_execz .LBB176_1938
; %bb.1933:
	s_delay_alu instid0(VALU_DEP_1)
	v_sub_f32_e32 v6, v8, v8
	s_mov_b32 s1, exec_lo
	v_cmpx_lt_i32_e32 -1, v7
	s_xor_b32 s1, exec_lo, s1
; %bb.1934:
	s_delay_alu instid0(VALU_DEP_2)
	v_bfi_b32 v8, 0x7fffffff, v6, v8
                                        ; implicit-def: $vgpr6
; %bb.1935:
	s_and_not1_saveexec_b32 s1, s1
; %bb.1936:
	v_and_b32_e32 v6, 0x7fffffff, v6
	s_delay_alu instid0(VALU_DEP_2) | instskip(NEXT) | instid1(VALU_DEP_2)
	v_bfi_b32 v8, 0x7fffffff, v7, v8
	v_mov_b32_e32 v7, v6
; %bb.1937:
	s_or_b32 exec_lo, exec_lo, s1
.LBB176_1938:
	s_delay_alu instid0(SALU_CYCLE_1)
	s_or_b32 exec_lo, exec_lo, s0
.LBB176_1939:
	s_and_not1_saveexec_b32 s0, s7
; %bb.1940:
	v_sub_f32_e32 v6, v8, v8
	s_delay_alu instid0(VALU_DEP_1) | instskip(NEXT) | instid1(VALU_DEP_1)
	v_div_scale_f32 v8, vcc_lo, v6, v6, v6
	v_rcp_f32_e32 v9, v8
	s_waitcnt_depctr 0xfff
	v_fma_f32 v10, -v8, v9, 1.0
	s_delay_alu instid0(VALU_DEP_1) | instskip(NEXT) | instid1(VALU_DEP_1)
	v_fmac_f32_e32 v9, v10, v9
	v_mul_f32_e32 v10, v8, v9
	s_delay_alu instid0(VALU_DEP_1) | instskip(NEXT) | instid1(VALU_DEP_1)
	v_fma_f32 v13, -v8, v10, v8
	v_fmac_f32_e32 v10, v13, v9
	s_delay_alu instid0(VALU_DEP_1) | instskip(NEXT) | instid1(VALU_DEP_1)
	v_fma_f32 v8, -v8, v10, v8
	v_div_fmas_f32 v8, v8, v9, v10
	s_delay_alu instid0(VALU_DEP_1)
	v_div_fixup_f32 v8, v8, v6, v6
; %bb.1941:
	s_or_b32 exec_lo, exec_lo, s0
	v_mov_b32_e32 v9, v7
.LBB176_1942:
	s_or_b32 exec_lo, exec_lo, s6
.LBB176_1943:
	s_delay_alu instid0(SALU_CYCLE_1) | instskip(NEXT) | instid1(VALU_DEP_1)
	s_or_b32 exec_lo, exec_lo, s3
	v_cmp_gt_f32_e32 vcc_lo, 0, v9
                                        ; implicit-def: $vgpr7
	s_mov_b32 s0, exec_lo
	v_cndmask_b32_e64 v10, v9, -v9, vcc_lo
	v_cmp_gt_f32_e32 vcc_lo, 0, v8
	v_cndmask_b32_e64 v13, v8, -v8, vcc_lo
	s_delay_alu instid0(VALU_DEP_1)
	v_cmpx_ge_f32_e32 v10, v13
	s_xor_b32 s1, exec_lo, s0
	s_cbranch_execz .LBB176_1949
; %bb.1944:
	v_cmp_neq_f32_e32 vcc_lo, 0, v9
	v_cmp_neq_f32_e64 s0, 0, v8
                                        ; implicit-def: $vgpr7
	s_delay_alu instid0(VALU_DEP_1) | instskip(NEXT) | instid1(SALU_CYCLE_1)
	s_or_b32 s0, vcc_lo, s0
	s_and_saveexec_b32 s3, s0
	s_delay_alu instid0(SALU_CYCLE_1)
	s_xor_b32 s0, exec_lo, s3
	s_cbranch_execz .LBB176_1946
; %bb.1945:
	v_div_scale_f32 v6, null, v9, v9, v8
	v_div_scale_f32 v13, vcc_lo, v8, v9, v8
	s_delay_alu instid0(VALU_DEP_2) | instskip(SKIP_2) | instid1(VALU_DEP_1)
	v_rcp_f32_e32 v7, v6
	s_waitcnt_depctr 0xfff
	v_fma_f32 v10, -v6, v7, 1.0
	v_fmac_f32_e32 v7, v10, v7
	s_delay_alu instid0(VALU_DEP_1) | instskip(NEXT) | instid1(VALU_DEP_1)
	v_mul_f32_e32 v10, v13, v7
	v_fma_f32 v14, -v6, v10, v13
	s_delay_alu instid0(VALU_DEP_1) | instskip(NEXT) | instid1(VALU_DEP_1)
	v_fmac_f32_e32 v10, v14, v7
	v_fma_f32 v6, -v6, v10, v13
	s_delay_alu instid0(VALU_DEP_1) | instskip(NEXT) | instid1(VALU_DEP_1)
	v_div_fmas_f32 v6, v6, v7, v10
	v_div_fixup_f32 v7, v6, v9, v8
	s_delay_alu instid0(VALU_DEP_1) | instskip(NEXT) | instid1(VALU_DEP_1)
	v_fmac_f32_e32 v9, v8, v7
	v_div_scale_f32 v6, null, v9, v9, 1.0
	s_delay_alu instid0(VALU_DEP_1) | instskip(SKIP_2) | instid1(VALU_DEP_1)
	v_rcp_f32_e32 v8, v6
	s_waitcnt_depctr 0xfff
	v_fma_f32 v10, -v6, v8, 1.0
	v_fmac_f32_e32 v8, v10, v8
	v_div_scale_f32 v13, vcc_lo, 1.0, v9, 1.0
	s_delay_alu instid0(VALU_DEP_1) | instskip(NEXT) | instid1(VALU_DEP_1)
	v_mul_f32_e32 v10, v13, v8
	v_fma_f32 v14, -v6, v10, v13
	s_delay_alu instid0(VALU_DEP_1) | instskip(NEXT) | instid1(VALU_DEP_1)
	v_fmac_f32_e32 v10, v14, v8
	v_fma_f32 v6, -v6, v10, v13
                                        ; implicit-def: $vgpr13
	s_delay_alu instid0(VALU_DEP_1) | instskip(SKIP_1) | instid1(VALU_DEP_2)
	v_div_fmas_f32 v6, v6, v8, v10
	v_fma_f32 v8, v7, 0, 1.0
                                        ; implicit-def: $vgpr10
	v_div_fixup_f32 v9, v6, v9, 1.0
	s_delay_alu instid0(VALU_DEP_1)
	v_mul_f32_e32 v6, v8, v9
	v_mul_f32_e64 v7, -v7, v9
.LBB176_1946:
	s_and_not1_saveexec_b32 s3, s0
	s_cbranch_execz .LBB176_1948
; %bb.1947:
	v_div_scale_f32 v6, null, v10, v10, 1.0
	v_div_scale_f32 v7, null, v13, v13, 0
	v_div_scale_f32 v16, vcc_lo, 1.0, v10, 1.0
	s_delay_alu instid0(VALU_DEP_3) | instskip(NEXT) | instid1(VALU_DEP_2)
	v_rcp_f32_e32 v8, v6
	v_rcp_f32_e32 v9, v7
	s_waitcnt_depctr 0xfff
	v_fma_f32 v14, -v6, v8, 1.0
	v_fma_f32 v15, -v7, v9, 1.0
	s_delay_alu instid0(VALU_DEP_1) | instskip(SKIP_1) | instid1(VALU_DEP_2)
	v_dual_fmac_f32 v8, v14, v8 :: v_dual_fmac_f32 v9, v15, v9
	v_div_scale_f32 v14, s0, 0, v13, 0
	v_mul_f32_e32 v15, v16, v8
	s_delay_alu instid0(VALU_DEP_2) | instskip(NEXT) | instid1(VALU_DEP_2)
	v_mul_f32_e32 v17, v14, v9
	v_fma_f32 v18, -v6, v15, v16
	s_delay_alu instid0(VALU_DEP_2) | instskip(NEXT) | instid1(VALU_DEP_2)
	v_fma_f32 v19, -v7, v17, v14
	v_fmac_f32_e32 v15, v18, v8
	s_delay_alu instid0(VALU_DEP_2) | instskip(NEXT) | instid1(VALU_DEP_2)
	v_fmac_f32_e32 v17, v19, v9
	v_fma_f32 v6, -v6, v15, v16
	s_delay_alu instid0(VALU_DEP_2) | instskip(NEXT) | instid1(VALU_DEP_2)
	v_fma_f32 v7, -v7, v17, v14
	v_div_fmas_f32 v6, v6, v8, v15
	s_mov_b32 vcc_lo, s0
	s_delay_alu instid0(VALU_DEP_2) | instskip(NEXT) | instid1(VALU_DEP_2)
	v_div_fmas_f32 v7, v7, v9, v17
	v_div_fixup_f32 v6, v6, v10, 1.0
	s_delay_alu instid0(VALU_DEP_2)
	v_div_fixup_f32 v7, v7, v13, 0
.LBB176_1948:
	s_or_b32 exec_lo, exec_lo, s3
                                        ; implicit-def: $vgpr8
                                        ; implicit-def: $vgpr9
.LBB176_1949:
	s_and_not1_saveexec_b32 s0, s1
	s_cbranch_execz .LBB176_1951
; %bb.1950:
	v_div_scale_f32 v6, null, v8, v8, v9
	v_div_scale_f32 v13, vcc_lo, v9, v8, v9
	s_delay_alu instid0(VALU_DEP_2) | instskip(SKIP_2) | instid1(VALU_DEP_1)
	v_rcp_f32_e32 v7, v6
	s_waitcnt_depctr 0xfff
	v_fma_f32 v10, -v6, v7, 1.0
	v_fmac_f32_e32 v7, v10, v7
	s_delay_alu instid0(VALU_DEP_1) | instskip(NEXT) | instid1(VALU_DEP_1)
	v_mul_f32_e32 v10, v13, v7
	v_fma_f32 v14, -v6, v10, v13
	s_delay_alu instid0(VALU_DEP_1) | instskip(NEXT) | instid1(VALU_DEP_1)
	v_fmac_f32_e32 v10, v14, v7
	v_fma_f32 v6, -v6, v10, v13
	s_delay_alu instid0(VALU_DEP_1) | instskip(NEXT) | instid1(VALU_DEP_1)
	v_div_fmas_f32 v6, v6, v7, v10
	v_div_fixup_f32 v6, v6, v8, v9
	s_delay_alu instid0(VALU_DEP_1) | instskip(NEXT) | instid1(VALU_DEP_1)
	v_fmac_f32_e32 v8, v9, v6
	v_div_scale_f32 v7, null, v8, v8, 1.0
	v_div_scale_f32 v13, vcc_lo, 1.0, v8, 1.0
	s_delay_alu instid0(VALU_DEP_2) | instskip(SKIP_2) | instid1(VALU_DEP_1)
	v_rcp_f32_e32 v9, v7
	s_waitcnt_depctr 0xfff
	v_fma_f32 v10, -v7, v9, 1.0
	v_fmac_f32_e32 v9, v10, v9
	s_delay_alu instid0(VALU_DEP_1) | instskip(NEXT) | instid1(VALU_DEP_1)
	v_mul_f32_e32 v10, v13, v9
	v_fma_f32 v14, -v7, v10, v13
	s_delay_alu instid0(VALU_DEP_1) | instskip(NEXT) | instid1(VALU_DEP_1)
	v_fmac_f32_e32 v10, v14, v9
	v_fma_f32 v7, -v7, v10, v13
	s_delay_alu instid0(VALU_DEP_1) | instskip(SKIP_1) | instid1(VALU_DEP_2)
	v_div_fmas_f32 v7, v7, v9, v10
	v_add_f32_e32 v9, 0, v6
	v_div_fixup_f32 v7, v7, v8, 1.0
	v_fma_f32 v8, v6, 0, -1.0
	s_delay_alu instid0(VALU_DEP_2) | instskip(NEXT) | instid1(VALU_DEP_2)
	v_mul_f32_e32 v6, v9, v7
	v_mul_f32_e32 v7, v8, v7
.LBB176_1951:
	s_or_b32 exec_lo, exec_lo, s0
	v_mul_lo_u32 v12, s2, v12
	v_and_b32_e32 v10, 0xff, v11
	s_delay_alu instid0(VALU_DEP_1) | instskip(NEXT) | instid1(VALU_DEP_3)
	v_cmp_gt_i16_e32 vcc_lo, 11, v10
	v_ashrrev_i32_e32 v9, 31, v12
	v_add_co_u32 v8, s0, s4, v12
	s_delay_alu instid0(VALU_DEP_1)
	v_add_co_ci_u32_e64 v9, s0, s5, v9, s0
	s_cbranch_vccnz .LBB176_2029
; %bb.1952:
	v_cmp_lt_i16_e32 vcc_lo, 25, v10
	s_mov_b32 s6, -1
	s_mov_b32 s1, 0
	s_mov_b32 s3, 0
	s_mov_b32 s0, 0
	s_cbranch_vccz .LBB176_1985
; %bb.1953:
	v_cmp_lt_i16_e32 vcc_lo, 28, v10
	s_cbranch_vccz .LBB176_1968
; %bb.1954:
	v_cmp_lt_i16_e32 vcc_lo, 43, v10
	;; [unrolled: 3-line block ×3, first 2 shown]
	s_cbranch_vccz .LBB176_1958
; %bb.1956:
	v_cmp_eq_u16_e32 vcc_lo, 46, v10
	s_mov_b32 s0, -1
	s_mov_b32 s6, 0
	s_cbranch_vccz .LBB176_1958
; %bb.1957:
	v_bfe_u32 v11, v1, 16, 1
	v_bfe_u32 v13, v0, 16, 1
	v_cmp_o_f32_e32 vcc_lo, v1, v1
	s_mov_b32 s0, 0
	s_mov_b32 s3, -1
	v_add3_u32 v11, v1, v11, 0x7fff
	v_add3_u32 v13, v0, v13, 0x7fff
	s_delay_alu instid0(VALU_DEP_2) | instskip(NEXT) | instid1(VALU_DEP_2)
	v_and_b32_e32 v11, 0xffff0000, v11
	v_lshrrev_b32_e32 v13, 16, v13
	s_delay_alu instid0(VALU_DEP_2) | instskip(SKIP_1) | instid1(VALU_DEP_3)
	v_cndmask_b32_e32 v11, 0x7fc00000, v11, vcc_lo
	v_cmp_o_f32_e32 vcc_lo, v0, v0
	v_cndmask_b32_e32 v13, 0x7fc0, v13, vcc_lo
	s_delay_alu instid0(VALU_DEP_1)
	v_or_b32_e32 v11, v11, v13
	global_store_b32 v[8:9], v11, off
.LBB176_1958:
	s_and_b32 vcc_lo, exec_lo, s6
	s_cbranch_vccz .LBB176_1963
; %bb.1959:
	v_cmp_eq_u16_e32 vcc_lo, 44, v10
	s_mov_b32 s0, -1
	s_cbranch_vccz .LBB176_1963
; %bb.1960:
	v_bfe_u32 v13, v0, 23, 8
	v_mov_b32_e32 v11, 0xff
	s_mov_b32 s3, exec_lo
	s_delay_alu instid0(VALU_DEP_2)
	v_cmpx_ne_u32_e32 0xff, v13
; %bb.1961:
	v_and_b32_e32 v11, 0x400000, v0
	v_and_or_b32 v13, 0x3fffff, v0, v13
	s_delay_alu instid0(VALU_DEP_2) | instskip(NEXT) | instid1(VALU_DEP_2)
	v_cmp_ne_u32_e32 vcc_lo, 0, v11
	v_cmp_ne_u32_e64 s0, 0, v13
	v_lshrrev_b32_e32 v11, 23, v0
	s_delay_alu instid0(VALU_DEP_2) | instskip(NEXT) | instid1(SALU_CYCLE_1)
	s_and_b32 s0, vcc_lo, s0
	v_cndmask_b32_e64 v13, 0, 1, s0
	s_delay_alu instid0(VALU_DEP_1)
	v_add_nc_u32_e32 v11, v11, v13
; %bb.1962:
	s_or_b32 exec_lo, exec_lo, s3
	s_mov_b32 s0, 0
	s_mov_b32 s3, -1
	global_store_b8 v[8:9], v11, off
.LBB176_1963:
	s_mov_b32 s6, 0
.LBB176_1964:
	s_delay_alu instid0(SALU_CYCLE_1)
	s_and_b32 vcc_lo, exec_lo, s6
	s_cbranch_vccz .LBB176_1967
; %bb.1965:
	v_cmp_eq_u16_e32 vcc_lo, 29, v10
	s_mov_b32 s0, -1
	s_cbranch_vccz .LBB176_1967
; %bb.1966:
	v_trunc_f32_e32 v11, v0
	s_mov_b32 s0, 0
	s_mov_b32 s3, -1
	s_delay_alu instid0(VALU_DEP_1) | instskip(NEXT) | instid1(VALU_DEP_1)
	v_mul_f32_e32 v13, 0x2f800000, v11
	v_floor_f32_e32 v13, v13
	s_delay_alu instid0(VALU_DEP_1) | instskip(SKIP_1) | instid1(VALU_DEP_2)
	v_fmamk_f32 v11, v13, 0xcf800000, v11
	v_cvt_u32_f32_e32 v14, v13
	v_cvt_u32_f32_e32 v13, v11
	global_store_b64 v[8:9], v[13:14], off
.LBB176_1967:
	s_mov_b32 s6, 0
.LBB176_1968:
	s_delay_alu instid0(SALU_CYCLE_1)
	s_and_b32 vcc_lo, exec_lo, s6
	s_cbranch_vccz .LBB176_1984
; %bb.1969:
	v_cmp_gt_i16_e32 vcc_lo, 27, v10
	s_mov_b32 s3, -1
	s_cbranch_vccnz .LBB176_1975
; %bb.1970:
	v_cmp_lt_i16_e32 vcc_lo, 27, v10
	v_cvt_u32_f32_e32 v11, v0
	s_cbranch_vccz .LBB176_1972
; %bb.1971:
	s_mov_b32 s3, 0
	global_store_b32 v[8:9], v11, off
.LBB176_1972:
	s_and_not1_b32 vcc_lo, exec_lo, s3
	s_cbranch_vccnz .LBB176_1974
; %bb.1973:
	global_store_b16 v[8:9], v11, off
.LBB176_1974:
	s_mov_b32 s3, 0
.LBB176_1975:
	s_delay_alu instid0(SALU_CYCLE_1)
	s_and_not1_b32 vcc_lo, exec_lo, s3
	s_cbranch_vccnz .LBB176_1983
; %bb.1976:
	v_and_b32_e32 v11, 0x7fffffff, v0
	v_mov_b32_e32 v13, 0x80
	s_mov_b32 s3, exec_lo
	s_delay_alu instid0(VALU_DEP_2)
	v_cmpx_gt_u32_e32 0x43800000, v11
	s_cbranch_execz .LBB176_1982
; %bb.1977:
	v_cmp_lt_u32_e32 vcc_lo, 0x3bffffff, v11
	s_mov_b32 s6, 0
                                        ; implicit-def: $vgpr11
	s_and_saveexec_b32 s7, vcc_lo
	s_delay_alu instid0(SALU_CYCLE_1)
	s_xor_b32 s7, exec_lo, s7
	s_cbranch_execz .LBB176_2388
; %bb.1978:
	v_bfe_u32 v11, v0, 20, 1
	s_mov_b32 s6, exec_lo
	s_delay_alu instid0(VALU_DEP_1) | instskip(NEXT) | instid1(VALU_DEP_1)
	v_add3_u32 v11, v0, v11, 0x487ffff
	v_lshrrev_b32_e32 v11, 20, v11
	s_or_saveexec_b32 s7, s7
                                        ; implicit-def: $sgpr11
	s_delay_alu instid0(SALU_CYCLE_1)
	s_xor_b32 exec_lo, exec_lo, s7
	s_cbranch_execnz .LBB176_2389
.LBB176_1979:
	s_or_b32 exec_lo, exec_lo, s7
	v_mov_b32_e32 v13, s11
	s_and_saveexec_b32 s7, s6
.LBB176_1980:
	v_lshrrev_b32_e32 v13, 24, v0
	s_delay_alu instid0(VALU_DEP_1)
	v_and_or_b32 v13, 0x80, v13, v11
.LBB176_1981:
	s_or_b32 exec_lo, exec_lo, s7
.LBB176_1982:
	s_delay_alu instid0(SALU_CYCLE_1)
	s_or_b32 exec_lo, exec_lo, s3
	global_store_b8 v[8:9], v13, off
.LBB176_1983:
	s_mov_b32 s3, -1
.LBB176_1984:
	s_mov_b32 s6, 0
.LBB176_1985:
	s_delay_alu instid0(SALU_CYCLE_1)
	s_and_b32 vcc_lo, exec_lo, s6
	s_cbranch_vccz .LBB176_2025
; %bb.1986:
	v_cmp_lt_i16_e32 vcc_lo, 22, v10
	s_mov_b32 s1, -1
	s_cbranch_vccz .LBB176_2018
; %bb.1987:
	v_cmp_gt_i16_e32 vcc_lo, 24, v10
	s_cbranch_vccnz .LBB176_2007
; %bb.1988:
	v_cmp_lt_i16_e32 vcc_lo, 24, v10
	s_cbranch_vccz .LBB176_1996
; %bb.1989:
	v_and_b32_e32 v11, 0x7fffffff, v0
	v_mov_b32_e32 v13, 0x80
	s_mov_b32 s1, exec_lo
	s_delay_alu instid0(VALU_DEP_2)
	v_cmpx_gt_u32_e32 0x47800000, v11
	s_cbranch_execz .LBB176_1995
; %bb.1990:
	v_cmp_lt_u32_e32 vcc_lo, 0x37ffffff, v11
	s_mov_b32 s3, 0
                                        ; implicit-def: $vgpr11
	s_and_saveexec_b32 s6, vcc_lo
	s_delay_alu instid0(SALU_CYCLE_1)
	s_xor_b32 s6, exec_lo, s6
	s_cbranch_execz .LBB176_2394
; %bb.1991:
	v_bfe_u32 v11, v0, 21, 1
	s_mov_b32 s3, exec_lo
	s_delay_alu instid0(VALU_DEP_1) | instskip(NEXT) | instid1(VALU_DEP_1)
	v_add3_u32 v11, v0, v11, 0x88fffff
	v_lshrrev_b32_e32 v11, 21, v11
	s_or_saveexec_b32 s6, s6
                                        ; implicit-def: $sgpr7
	s_delay_alu instid0(SALU_CYCLE_1)
	s_xor_b32 exec_lo, exec_lo, s6
	s_cbranch_execnz .LBB176_2395
.LBB176_1992:
	s_or_b32 exec_lo, exec_lo, s6
	v_mov_b32_e32 v13, s7
	s_and_saveexec_b32 s6, s3
.LBB176_1993:
	v_lshrrev_b32_e32 v13, 24, v0
	s_delay_alu instid0(VALU_DEP_1)
	v_and_or_b32 v13, 0x80, v13, v11
.LBB176_1994:
	s_or_b32 exec_lo, exec_lo, s6
.LBB176_1995:
	s_delay_alu instid0(SALU_CYCLE_1)
	s_or_b32 exec_lo, exec_lo, s1
	s_mov_b32 s1, 0
	global_store_b8 v[8:9], v13, off
.LBB176_1996:
	s_and_b32 vcc_lo, exec_lo, s1
	s_cbranch_vccz .LBB176_2006
; %bb.1997:
	v_and_b32_e32 v13, 0x7fffffff, v0
	s_mov_b32 s1, exec_lo
                                        ; implicit-def: $vgpr11
	s_delay_alu instid0(VALU_DEP_1)
	v_cmpx_gt_u32_e32 0x43f00000, v13
	s_xor_b32 s1, exec_lo, s1
	s_cbranch_execz .LBB176_2003
; %bb.1998:
	s_mov_b32 s3, exec_lo
                                        ; implicit-def: $vgpr11
	v_cmpx_lt_u32_e32 0x3c7fffff, v13
	s_xor_b32 s3, exec_lo, s3
; %bb.1999:
	v_bfe_u32 v11, v0, 20, 1
	s_delay_alu instid0(VALU_DEP_1) | instskip(NEXT) | instid1(VALU_DEP_1)
	v_add3_u32 v11, v0, v11, 0x407ffff
	v_and_b32_e32 v13, 0xff00000, v11
	v_lshrrev_b32_e32 v11, 20, v11
	s_delay_alu instid0(VALU_DEP_2) | instskip(NEXT) | instid1(VALU_DEP_2)
	v_cmp_ne_u32_e32 vcc_lo, 0x7f00000, v13
	v_cndmask_b32_e32 v11, 0x7e, v11, vcc_lo
; %bb.2000:
	s_and_not1_saveexec_b32 s3, s3
; %bb.2001:
	v_add_f32_e64 v11, 0x46800000, |v0|
; %bb.2002:
	s_or_b32 exec_lo, exec_lo, s3
                                        ; implicit-def: $vgpr13
.LBB176_2003:
	s_and_not1_saveexec_b32 s1, s1
; %bb.2004:
	v_mov_b32_e32 v11, 0x7f
	v_cmp_lt_u32_e32 vcc_lo, 0x7f800000, v13
	s_delay_alu instid0(VALU_DEP_2)
	v_cndmask_b32_e32 v11, 0x7e, v11, vcc_lo
; %bb.2005:
	s_or_b32 exec_lo, exec_lo, s1
	v_lshrrev_b32_e32 v13, 24, v0
	s_delay_alu instid0(VALU_DEP_1)
	v_and_or_b32 v11, 0x80, v13, v11
	global_store_b8 v[8:9], v11, off
.LBB176_2006:
	s_mov_b32 s1, 0
.LBB176_2007:
	s_delay_alu instid0(SALU_CYCLE_1)
	s_and_not1_b32 vcc_lo, exec_lo, s1
	s_cbranch_vccnz .LBB176_2017
; %bb.2008:
	v_and_b32_e32 v13, 0x7fffffff, v0
	s_mov_b32 s1, exec_lo
                                        ; implicit-def: $vgpr11
	s_delay_alu instid0(VALU_DEP_1)
	v_cmpx_gt_u32_e32 0x47800000, v13
	s_xor_b32 s1, exec_lo, s1
	s_cbranch_execz .LBB176_2014
; %bb.2009:
	s_mov_b32 s3, exec_lo
                                        ; implicit-def: $vgpr11
	v_cmpx_lt_u32_e32 0x387fffff, v13
	s_xor_b32 s3, exec_lo, s3
; %bb.2010:
	v_bfe_u32 v11, v0, 21, 1
	s_delay_alu instid0(VALU_DEP_1) | instskip(NEXT) | instid1(VALU_DEP_1)
	v_add3_u32 v11, v0, v11, 0x80fffff
	v_lshrrev_b32_e32 v11, 21, v11
; %bb.2011:
	s_and_not1_saveexec_b32 s3, s3
; %bb.2012:
	v_add_f32_e64 v11, 0x43000000, |v0|
; %bb.2013:
	s_or_b32 exec_lo, exec_lo, s3
                                        ; implicit-def: $vgpr13
.LBB176_2014:
	s_and_not1_saveexec_b32 s1, s1
; %bb.2015:
	v_mov_b32_e32 v11, 0x7f
	v_cmp_lt_u32_e32 vcc_lo, 0x7f800000, v13
	s_delay_alu instid0(VALU_DEP_2)
	v_cndmask_b32_e32 v11, 0x7c, v11, vcc_lo
; %bb.2016:
	s_or_b32 exec_lo, exec_lo, s1
	v_lshrrev_b32_e32 v13, 24, v0
	s_delay_alu instid0(VALU_DEP_1)
	v_and_or_b32 v11, 0x80, v13, v11
	global_store_b8 v[8:9], v11, off
.LBB176_2017:
	s_mov_b32 s1, 0
	s_mov_b32 s3, -1
.LBB176_2018:
	s_and_not1_b32 vcc_lo, exec_lo, s1
	s_mov_b32 s1, 0
	s_cbranch_vccnz .LBB176_2025
; %bb.2019:
	v_cmp_lt_i16_e32 vcc_lo, 14, v10
	s_mov_b32 s1, -1
	s_cbranch_vccz .LBB176_2023
; %bb.2020:
	v_cmp_eq_u16_e32 vcc_lo, 15, v10
	s_mov_b32 s0, -1
	s_cbranch_vccz .LBB176_2022
; %bb.2021:
	v_bfe_u32 v11, v0, 16, 1
	v_cmp_o_f32_e32 vcc_lo, v0, v0
	s_mov_b32 s0, 0
	s_mov_b32 s3, -1
	s_delay_alu instid0(VALU_DEP_2) | instskip(NEXT) | instid1(VALU_DEP_1)
	v_add3_u32 v11, v0, v11, 0x7fff
	v_lshrrev_b32_e32 v11, 16, v11
	s_delay_alu instid0(VALU_DEP_1)
	v_cndmask_b32_e32 v11, 0x7fc0, v11, vcc_lo
	global_store_b16 v[8:9], v11, off
.LBB176_2022:
	s_mov_b32 s1, 0
.LBB176_2023:
	s_delay_alu instid0(SALU_CYCLE_1)
	s_and_b32 vcc_lo, exec_lo, s1
	s_mov_b32 s1, 0
	s_cbranch_vccz .LBB176_2025
; %bb.2024:
	v_cmp_ne_u16_e64 s0, 11, v10
	s_mov_b32 s1, -1
.LBB176_2025:
	s_delay_alu instid0(VALU_DEP_1)
	s_and_b32 vcc_lo, exec_lo, s0
	s_cbranch_vccnz .LBB176_2392
; %bb.2026:
	s_and_not1_b32 vcc_lo, exec_lo, s1
	s_cbranch_vccnz .LBB176_2028
.LBB176_2027:
	v_cmp_neq_f32_e32 vcc_lo, 0, v0
	v_cmp_neq_f32_e64 s0, 0, v1
	s_mov_b32 s3, -1
	s_delay_alu instid0(VALU_DEP_1) | instskip(NEXT) | instid1(SALU_CYCLE_1)
	s_or_b32 s0, vcc_lo, s0
	v_cndmask_b32_e64 v11, 0, 1, s0
	global_store_b8 v[8:9], v11, off
.LBB176_2028:
	s_mov_b32 s0, 0
	s_branch .LBB176_2030
.LBB176_2029:
	s_mov_b32 s0, -1
	s_mov_b32 s3, 0
.LBB176_2030:
	s_and_b32 vcc_lo, exec_lo, s0
	s_cbranch_vccz .LBB176_2069
; %bb.2031:
	v_cmp_gt_i16_e32 vcc_lo, 5, v10
	s_mov_b32 s0, -1
	s_cbranch_vccnz .LBB176_2052
; %bb.2032:
	v_cmp_gt_i16_e32 vcc_lo, 8, v10
	s_cbranch_vccnz .LBB176_2042
; %bb.2033:
	v_cmp_gt_i16_e32 vcc_lo, 9, v10
	s_cbranch_vccnz .LBB176_2039
; %bb.2034:
	v_cmp_lt_i16_e32 vcc_lo, 9, v10
	s_cbranch_vccz .LBB176_2036
; %bb.2035:
	v_cvt_f64_f32_e32 v[13:14], v0
	v_cvt_f64_f32_e32 v[15:16], v1
	s_mov_b32 s0, 0
	global_store_b128 v[8:9], v[13:16], off
.LBB176_2036:
	s_and_not1_b32 vcc_lo, exec_lo, s0
	s_cbranch_vccnz .LBB176_2038
; %bb.2037:
	global_store_b64 v[8:9], v[0:1], off
.LBB176_2038:
	s_mov_b32 s0, 0
.LBB176_2039:
	s_delay_alu instid0(SALU_CYCLE_1)
	s_and_not1_b32 vcc_lo, exec_lo, s0
	s_cbranch_vccnz .LBB176_2041
; %bb.2040:
	v_cvt_f16_f32_e32 v1, v1
	v_cvt_f16_f32_e32 v11, v0
	s_delay_alu instid0(VALU_DEP_2) | instskip(NEXT) | instid1(VALU_DEP_2)
	v_lshlrev_b32_e32 v1, 16, v1
	v_and_b32_e32 v11, 0xffff, v11
	s_delay_alu instid0(VALU_DEP_1)
	v_or_b32_e32 v1, v1, v11
	global_store_b32 v[8:9], v1, off
.LBB176_2041:
	s_mov_b32 s0, 0
.LBB176_2042:
	s_delay_alu instid0(SALU_CYCLE_1)
	s_and_not1_b32 vcc_lo, exec_lo, s0
	s_cbranch_vccnz .LBB176_2051
; %bb.2043:
	v_cmp_gt_i16_e32 vcc_lo, 6, v10
	s_mov_b32 s0, -1
	s_cbranch_vccnz .LBB176_2049
; %bb.2044:
	v_cmp_lt_i16_e32 vcc_lo, 6, v10
	s_cbranch_vccz .LBB176_2046
; %bb.2045:
	v_cvt_f64_f32_e32 v[13:14], v0
	s_mov_b32 s0, 0
	global_store_b64 v[8:9], v[13:14], off
.LBB176_2046:
	s_and_not1_b32 vcc_lo, exec_lo, s0
	s_cbranch_vccnz .LBB176_2048
; %bb.2047:
	global_store_b32 v[8:9], v0, off
.LBB176_2048:
	s_mov_b32 s0, 0
.LBB176_2049:
	s_delay_alu instid0(SALU_CYCLE_1)
	s_and_not1_b32 vcc_lo, exec_lo, s0
	s_cbranch_vccnz .LBB176_2051
; %bb.2050:
	v_cvt_f16_f32_e32 v1, v0
	global_store_b16 v[8:9], v1, off
.LBB176_2051:
	s_mov_b32 s0, 0
.LBB176_2052:
	s_delay_alu instid0(SALU_CYCLE_1)
	s_and_not1_b32 vcc_lo, exec_lo, s0
	s_cbranch_vccnz .LBB176_2068
; %bb.2053:
	v_cmp_gt_i16_e32 vcc_lo, 2, v10
	s_mov_b32 s0, -1
	s_cbranch_vccnz .LBB176_2063
; %bb.2054:
	v_cmp_gt_i16_e32 vcc_lo, 3, v10
	s_cbranch_vccnz .LBB176_2060
; %bb.2055:
	v_cmp_lt_i16_e32 vcc_lo, 3, v10
	s_cbranch_vccz .LBB176_2057
; %bb.2056:
	v_trunc_f32_e32 v1, v0
	s_mov_b32 s0, 0
	s_delay_alu instid0(VALU_DEP_1) | instskip(NEXT) | instid1(VALU_DEP_1)
	v_mul_f32_e64 v11, 0x2f800000, |v1|
	v_floor_f32_e32 v11, v11
	s_delay_alu instid0(VALU_DEP_1) | instskip(SKIP_2) | instid1(VALU_DEP_3)
	v_fma_f32 v13, 0xcf800000, v11, |v1|
	v_ashrrev_i32_e32 v1, 31, v1
	v_cvt_u32_f32_e32 v11, v11
	v_cvt_u32_f32_e32 v13, v13
	s_delay_alu instid0(VALU_DEP_2) | instskip(NEXT) | instid1(VALU_DEP_2)
	v_xor_b32_e32 v11, v11, v1
	v_xor_b32_e32 v13, v13, v1
	s_delay_alu instid0(VALU_DEP_1) | instskip(NEXT) | instid1(VALU_DEP_3)
	v_sub_co_u32 v13, vcc_lo, v13, v1
	v_sub_co_ci_u32_e32 v14, vcc_lo, v11, v1, vcc_lo
	global_store_b64 v[8:9], v[13:14], off
.LBB176_2057:
	s_and_not1_b32 vcc_lo, exec_lo, s0
	s_cbranch_vccnz .LBB176_2059
; %bb.2058:
	v_cvt_i32_f32_e32 v1, v0
	global_store_b32 v[8:9], v1, off
.LBB176_2059:
	s_mov_b32 s0, 0
.LBB176_2060:
	s_delay_alu instid0(SALU_CYCLE_1)
	s_and_not1_b32 vcc_lo, exec_lo, s0
	s_cbranch_vccnz .LBB176_2062
; %bb.2061:
	v_cvt_i32_f32_e32 v1, v0
	global_store_b16 v[8:9], v1, off
.LBB176_2062:
	s_mov_b32 s0, 0
.LBB176_2063:
	s_delay_alu instid0(SALU_CYCLE_1)
	s_and_not1_b32 vcc_lo, exec_lo, s0
	s_cbranch_vccnz .LBB176_2068
; %bb.2064:
	v_cmp_lt_i16_e32 vcc_lo, 0, v10
	s_mov_b32 s0, -1
	s_cbranch_vccz .LBB176_2066
; %bb.2065:
	v_cvt_i32_f32_e32 v1, v0
	s_mov_b32 s0, 0
	global_store_b8 v[8:9], v1, off
.LBB176_2066:
	s_and_not1_b32 vcc_lo, exec_lo, s0
	s_cbranch_vccnz .LBB176_2068
; %bb.2067:
	v_trunc_f32_e32 v0, v0
	s_delay_alu instid0(VALU_DEP_1) | instskip(NEXT) | instid1(VALU_DEP_1)
	v_mul_f32_e64 v1, 0x2f800000, |v0|
	v_floor_f32_e32 v1, v1
	s_delay_alu instid0(VALU_DEP_1) | instskip(SKIP_1) | instid1(VALU_DEP_2)
	v_fma_f32 v1, 0xcf800000, v1, |v0|
	v_ashrrev_i32_e32 v0, 31, v0
	v_cvt_u32_f32_e32 v1, v1
	s_delay_alu instid0(VALU_DEP_1) | instskip(NEXT) | instid1(VALU_DEP_1)
	v_xor_b32_e32 v1, v1, v0
	v_sub_nc_u32_e32 v0, v1, v0
	global_store_b8 v[8:9], v0, off
.LBB176_2068:
	s_mov_b32 s3, -1
.LBB176_2069:
	s_delay_alu instid0(SALU_CYCLE_1)
	s_and_not1_b32 vcc_lo, exec_lo, s3
	s_cbranch_vccnz .LBB176_2384
; %bb.2070:
	s_lshl_b32 s1, s2, 7
	v_cmp_gt_i16_e32 vcc_lo, 11, v10
	v_add_nc_u32_e32 v8, s1, v12
	s_delay_alu instid0(VALU_DEP_1) | instskip(SKIP_1) | instid1(VALU_DEP_1)
	v_ashrrev_i32_e32 v1, 31, v8
	v_add_co_u32 v0, s0, s4, v8
	v_add_co_ci_u32_e64 v1, s0, s5, v1, s0
	s_cbranch_vccnz .LBB176_2148
; %bb.2071:
	v_cmp_lt_i16_e32 vcc_lo, 25, v10
	s_mov_b32 s6, -1
	s_mov_b32 s2, 0
	s_mov_b32 s3, 0
	;; [unrolled: 1-line block ×3, first 2 shown]
	s_cbranch_vccz .LBB176_2104
; %bb.2072:
	v_cmp_lt_i16_e32 vcc_lo, 28, v10
	s_cbranch_vccz .LBB176_2087
; %bb.2073:
	v_cmp_lt_i16_e32 vcc_lo, 43, v10
	;; [unrolled: 3-line block ×3, first 2 shown]
	s_cbranch_vccz .LBB176_2077
; %bb.2075:
	v_cmp_eq_u16_e32 vcc_lo, 46, v10
	s_mov_b32 s0, -1
	s_mov_b32 s6, 0
	s_cbranch_vccz .LBB176_2077
; %bb.2076:
	v_bfe_u32 v9, v3, 16, 1
	v_bfe_u32 v11, v2, 16, 1
	v_cmp_o_f32_e32 vcc_lo, v3, v3
	s_mov_b32 s0, 0
	s_mov_b32 s3, -1
	v_add3_u32 v9, v3, v9, 0x7fff
	v_add3_u32 v11, v2, v11, 0x7fff
	s_delay_alu instid0(VALU_DEP_2) | instskip(NEXT) | instid1(VALU_DEP_2)
	v_and_b32_e32 v9, 0xffff0000, v9
	v_lshrrev_b32_e32 v11, 16, v11
	s_delay_alu instid0(VALU_DEP_2) | instskip(SKIP_1) | instid1(VALU_DEP_3)
	v_cndmask_b32_e32 v9, 0x7fc00000, v9, vcc_lo
	v_cmp_o_f32_e32 vcc_lo, v2, v2
	v_cndmask_b32_e32 v11, 0x7fc0, v11, vcc_lo
	s_delay_alu instid0(VALU_DEP_1)
	v_or_b32_e32 v9, v9, v11
	global_store_b32 v[0:1], v9, off
.LBB176_2077:
	s_and_b32 vcc_lo, exec_lo, s6
	s_cbranch_vccz .LBB176_2082
; %bb.2078:
	v_cmp_eq_u16_e32 vcc_lo, 44, v10
	s_mov_b32 s0, -1
	s_cbranch_vccz .LBB176_2082
; %bb.2079:
	v_bfe_u32 v11, v2, 23, 8
	v_mov_b32_e32 v9, 0xff
	s_mov_b32 s3, exec_lo
	s_delay_alu instid0(VALU_DEP_2)
	v_cmpx_ne_u32_e32 0xff, v11
; %bb.2080:
	v_and_b32_e32 v9, 0x400000, v2
	v_and_or_b32 v11, 0x3fffff, v2, v11
	s_delay_alu instid0(VALU_DEP_2) | instskip(NEXT) | instid1(VALU_DEP_2)
	v_cmp_ne_u32_e32 vcc_lo, 0, v9
	v_cmp_ne_u32_e64 s0, 0, v11
	v_lshrrev_b32_e32 v9, 23, v2
	s_delay_alu instid0(VALU_DEP_2) | instskip(NEXT) | instid1(SALU_CYCLE_1)
	s_and_b32 s0, vcc_lo, s0
	v_cndmask_b32_e64 v11, 0, 1, s0
	s_delay_alu instid0(VALU_DEP_1)
	v_add_nc_u32_e32 v9, v9, v11
; %bb.2081:
	s_or_b32 exec_lo, exec_lo, s3
	s_mov_b32 s0, 0
	s_mov_b32 s3, -1
	global_store_b8 v[0:1], v9, off
.LBB176_2082:
	s_mov_b32 s6, 0
.LBB176_2083:
	s_delay_alu instid0(SALU_CYCLE_1)
	s_and_b32 vcc_lo, exec_lo, s6
	s_cbranch_vccz .LBB176_2086
; %bb.2084:
	v_cmp_eq_u16_e32 vcc_lo, 29, v10
	s_mov_b32 s0, -1
	s_cbranch_vccz .LBB176_2086
; %bb.2085:
	v_trunc_f32_e32 v9, v2
	s_mov_b32 s0, 0
	s_mov_b32 s3, -1
	s_delay_alu instid0(VALU_DEP_1) | instskip(NEXT) | instid1(VALU_DEP_1)
	v_mul_f32_e32 v11, 0x2f800000, v9
	v_floor_f32_e32 v11, v11
	s_delay_alu instid0(VALU_DEP_1) | instskip(SKIP_1) | instid1(VALU_DEP_2)
	v_fmamk_f32 v9, v11, 0xcf800000, v9
	v_cvt_u32_f32_e32 v12, v11
	v_cvt_u32_f32_e32 v11, v9
	global_store_b64 v[0:1], v[11:12], off
.LBB176_2086:
	s_mov_b32 s6, 0
.LBB176_2087:
	s_delay_alu instid0(SALU_CYCLE_1)
	s_and_b32 vcc_lo, exec_lo, s6
	s_cbranch_vccz .LBB176_2103
; %bb.2088:
	v_cmp_gt_i16_e32 vcc_lo, 27, v10
	s_mov_b32 s3, -1
	s_cbranch_vccnz .LBB176_2094
; %bb.2089:
	v_cmp_lt_i16_e32 vcc_lo, 27, v10
	v_cvt_u32_f32_e32 v9, v2
	s_cbranch_vccz .LBB176_2091
; %bb.2090:
	s_mov_b32 s3, 0
	global_store_b32 v[0:1], v9, off
.LBB176_2091:
	s_and_not1_b32 vcc_lo, exec_lo, s3
	s_cbranch_vccnz .LBB176_2093
; %bb.2092:
	global_store_b16 v[0:1], v9, off
.LBB176_2093:
	s_mov_b32 s3, 0
.LBB176_2094:
	s_delay_alu instid0(SALU_CYCLE_1)
	s_and_not1_b32 vcc_lo, exec_lo, s3
	s_cbranch_vccnz .LBB176_2102
; %bb.2095:
	v_and_b32_e32 v9, 0x7fffffff, v2
	v_mov_b32_e32 v11, 0x80
	s_mov_b32 s3, exec_lo
	s_delay_alu instid0(VALU_DEP_2)
	v_cmpx_gt_u32_e32 0x43800000, v9
	s_cbranch_execz .LBB176_2101
; %bb.2096:
	v_cmp_lt_u32_e32 vcc_lo, 0x3bffffff, v9
	s_mov_b32 s6, 0
                                        ; implicit-def: $vgpr9
	s_and_saveexec_b32 s7, vcc_lo
	s_delay_alu instid0(SALU_CYCLE_1)
	s_xor_b32 s7, exec_lo, s7
	s_cbranch_execz .LBB176_2396
; %bb.2097:
	v_bfe_u32 v9, v2, 20, 1
	s_mov_b32 s6, exec_lo
	s_delay_alu instid0(VALU_DEP_1) | instskip(NEXT) | instid1(VALU_DEP_1)
	v_add3_u32 v9, v2, v9, 0x487ffff
	v_lshrrev_b32_e32 v9, 20, v9
	s_or_saveexec_b32 s7, s7
                                        ; implicit-def: $sgpr11
	s_delay_alu instid0(SALU_CYCLE_1)
	s_xor_b32 exec_lo, exec_lo, s7
	s_cbranch_execnz .LBB176_2397
.LBB176_2098:
	s_or_b32 exec_lo, exec_lo, s7
	v_mov_b32_e32 v11, s11
	s_and_saveexec_b32 s7, s6
.LBB176_2099:
	v_lshrrev_b32_e32 v11, 24, v2
	s_delay_alu instid0(VALU_DEP_1)
	v_and_or_b32 v11, 0x80, v11, v9
.LBB176_2100:
	s_or_b32 exec_lo, exec_lo, s7
.LBB176_2101:
	s_delay_alu instid0(SALU_CYCLE_1)
	s_or_b32 exec_lo, exec_lo, s3
	global_store_b8 v[0:1], v11, off
.LBB176_2102:
	s_mov_b32 s3, -1
.LBB176_2103:
	s_mov_b32 s6, 0
.LBB176_2104:
	s_delay_alu instid0(SALU_CYCLE_1)
	s_and_b32 vcc_lo, exec_lo, s6
	s_cbranch_vccz .LBB176_2144
; %bb.2105:
	v_cmp_lt_i16_e32 vcc_lo, 22, v10
	s_mov_b32 s2, -1
	s_cbranch_vccz .LBB176_2137
; %bb.2106:
	v_cmp_gt_i16_e32 vcc_lo, 24, v10
	s_cbranch_vccnz .LBB176_2126
; %bb.2107:
	v_cmp_lt_i16_e32 vcc_lo, 24, v10
	s_cbranch_vccz .LBB176_2115
; %bb.2108:
	v_and_b32_e32 v9, 0x7fffffff, v2
	v_mov_b32_e32 v11, 0x80
	s_mov_b32 s2, exec_lo
	s_delay_alu instid0(VALU_DEP_2)
	v_cmpx_gt_u32_e32 0x47800000, v9
	s_cbranch_execz .LBB176_2114
; %bb.2109:
	v_cmp_lt_u32_e32 vcc_lo, 0x37ffffff, v9
	s_mov_b32 s3, 0
                                        ; implicit-def: $vgpr9
	s_and_saveexec_b32 s6, vcc_lo
	s_delay_alu instid0(SALU_CYCLE_1)
	s_xor_b32 s6, exec_lo, s6
	s_cbranch_execz .LBB176_2402
; %bb.2110:
	v_bfe_u32 v9, v2, 21, 1
	s_mov_b32 s3, exec_lo
	s_delay_alu instid0(VALU_DEP_1) | instskip(NEXT) | instid1(VALU_DEP_1)
	v_add3_u32 v9, v2, v9, 0x88fffff
	v_lshrrev_b32_e32 v9, 21, v9
	s_or_saveexec_b32 s6, s6
                                        ; implicit-def: $sgpr7
	s_delay_alu instid0(SALU_CYCLE_1)
	s_xor_b32 exec_lo, exec_lo, s6
	s_cbranch_execnz .LBB176_2403
.LBB176_2111:
	s_or_b32 exec_lo, exec_lo, s6
	v_mov_b32_e32 v11, s7
	s_and_saveexec_b32 s6, s3
.LBB176_2112:
	v_lshrrev_b32_e32 v11, 24, v2
	s_delay_alu instid0(VALU_DEP_1)
	v_and_or_b32 v11, 0x80, v11, v9
.LBB176_2113:
	s_or_b32 exec_lo, exec_lo, s6
.LBB176_2114:
	s_delay_alu instid0(SALU_CYCLE_1)
	s_or_b32 exec_lo, exec_lo, s2
	s_mov_b32 s2, 0
	global_store_b8 v[0:1], v11, off
.LBB176_2115:
	s_and_b32 vcc_lo, exec_lo, s2
	s_cbranch_vccz .LBB176_2125
; %bb.2116:
	v_and_b32_e32 v11, 0x7fffffff, v2
	s_mov_b32 s2, exec_lo
                                        ; implicit-def: $vgpr9
	s_delay_alu instid0(VALU_DEP_1)
	v_cmpx_gt_u32_e32 0x43f00000, v11
	s_xor_b32 s2, exec_lo, s2
	s_cbranch_execz .LBB176_2122
; %bb.2117:
	s_mov_b32 s3, exec_lo
                                        ; implicit-def: $vgpr9
	v_cmpx_lt_u32_e32 0x3c7fffff, v11
	s_xor_b32 s3, exec_lo, s3
; %bb.2118:
	v_bfe_u32 v9, v2, 20, 1
	s_delay_alu instid0(VALU_DEP_1) | instskip(NEXT) | instid1(VALU_DEP_1)
	v_add3_u32 v9, v2, v9, 0x407ffff
	v_and_b32_e32 v11, 0xff00000, v9
	v_lshrrev_b32_e32 v9, 20, v9
	s_delay_alu instid0(VALU_DEP_2) | instskip(NEXT) | instid1(VALU_DEP_2)
	v_cmp_ne_u32_e32 vcc_lo, 0x7f00000, v11
	v_cndmask_b32_e32 v9, 0x7e, v9, vcc_lo
; %bb.2119:
	s_and_not1_saveexec_b32 s3, s3
; %bb.2120:
	v_add_f32_e64 v9, 0x46800000, |v2|
; %bb.2121:
	s_or_b32 exec_lo, exec_lo, s3
                                        ; implicit-def: $vgpr11
.LBB176_2122:
	s_and_not1_saveexec_b32 s2, s2
; %bb.2123:
	v_mov_b32_e32 v9, 0x7f
	v_cmp_lt_u32_e32 vcc_lo, 0x7f800000, v11
	s_delay_alu instid0(VALU_DEP_2)
	v_cndmask_b32_e32 v9, 0x7e, v9, vcc_lo
; %bb.2124:
	s_or_b32 exec_lo, exec_lo, s2
	v_lshrrev_b32_e32 v11, 24, v2
	s_delay_alu instid0(VALU_DEP_1)
	v_and_or_b32 v9, 0x80, v11, v9
	global_store_b8 v[0:1], v9, off
.LBB176_2125:
	s_mov_b32 s2, 0
.LBB176_2126:
	s_delay_alu instid0(SALU_CYCLE_1)
	s_and_not1_b32 vcc_lo, exec_lo, s2
	s_cbranch_vccnz .LBB176_2136
; %bb.2127:
	v_and_b32_e32 v11, 0x7fffffff, v2
	s_mov_b32 s2, exec_lo
                                        ; implicit-def: $vgpr9
	s_delay_alu instid0(VALU_DEP_1)
	v_cmpx_gt_u32_e32 0x47800000, v11
	s_xor_b32 s2, exec_lo, s2
	s_cbranch_execz .LBB176_2133
; %bb.2128:
	s_mov_b32 s3, exec_lo
                                        ; implicit-def: $vgpr9
	v_cmpx_lt_u32_e32 0x387fffff, v11
	s_xor_b32 s3, exec_lo, s3
; %bb.2129:
	v_bfe_u32 v9, v2, 21, 1
	s_delay_alu instid0(VALU_DEP_1) | instskip(NEXT) | instid1(VALU_DEP_1)
	v_add3_u32 v9, v2, v9, 0x80fffff
	v_lshrrev_b32_e32 v9, 21, v9
; %bb.2130:
	s_and_not1_saveexec_b32 s3, s3
; %bb.2131:
	v_add_f32_e64 v9, 0x43000000, |v2|
; %bb.2132:
	s_or_b32 exec_lo, exec_lo, s3
                                        ; implicit-def: $vgpr11
.LBB176_2133:
	s_and_not1_saveexec_b32 s2, s2
; %bb.2134:
	v_mov_b32_e32 v9, 0x7f
	v_cmp_lt_u32_e32 vcc_lo, 0x7f800000, v11
	s_delay_alu instid0(VALU_DEP_2)
	v_cndmask_b32_e32 v9, 0x7c, v9, vcc_lo
; %bb.2135:
	s_or_b32 exec_lo, exec_lo, s2
	v_lshrrev_b32_e32 v11, 24, v2
	s_delay_alu instid0(VALU_DEP_1)
	v_and_or_b32 v9, 0x80, v11, v9
	global_store_b8 v[0:1], v9, off
.LBB176_2136:
	s_mov_b32 s2, 0
	s_mov_b32 s3, -1
.LBB176_2137:
	s_and_not1_b32 vcc_lo, exec_lo, s2
	s_mov_b32 s2, 0
	s_cbranch_vccnz .LBB176_2144
; %bb.2138:
	v_cmp_lt_i16_e32 vcc_lo, 14, v10
	s_mov_b32 s2, -1
	s_cbranch_vccz .LBB176_2142
; %bb.2139:
	v_cmp_eq_u16_e32 vcc_lo, 15, v10
	s_mov_b32 s0, -1
	s_cbranch_vccz .LBB176_2141
; %bb.2140:
	v_bfe_u32 v9, v2, 16, 1
	v_cmp_o_f32_e32 vcc_lo, v2, v2
	s_mov_b32 s0, 0
	s_mov_b32 s3, -1
	s_delay_alu instid0(VALU_DEP_2) | instskip(NEXT) | instid1(VALU_DEP_1)
	v_add3_u32 v9, v2, v9, 0x7fff
	v_lshrrev_b32_e32 v9, 16, v9
	s_delay_alu instid0(VALU_DEP_1)
	v_cndmask_b32_e32 v9, 0x7fc0, v9, vcc_lo
	global_store_b16 v[0:1], v9, off
.LBB176_2141:
	s_mov_b32 s2, 0
.LBB176_2142:
	s_delay_alu instid0(SALU_CYCLE_1)
	s_and_b32 vcc_lo, exec_lo, s2
	s_mov_b32 s2, 0
	s_cbranch_vccz .LBB176_2144
; %bb.2143:
	v_cmp_ne_u16_e64 s0, 11, v10
	s_mov_b32 s2, -1
.LBB176_2144:
	s_delay_alu instid0(VALU_DEP_1)
	s_and_b32 vcc_lo, exec_lo, s0
	s_cbranch_vccnz .LBB176_2400
; %bb.2145:
	s_and_not1_b32 vcc_lo, exec_lo, s2
	s_cbranch_vccnz .LBB176_2147
.LBB176_2146:
	v_cmp_neq_f32_e32 vcc_lo, 0, v2
	v_cmp_neq_f32_e64 s0, 0, v3
	s_mov_b32 s3, -1
	s_delay_alu instid0(VALU_DEP_1) | instskip(NEXT) | instid1(SALU_CYCLE_1)
	s_or_b32 s0, vcc_lo, s0
	v_cndmask_b32_e64 v9, 0, 1, s0
	global_store_b8 v[0:1], v9, off
.LBB176_2147:
	s_mov_b32 s0, 0
	s_branch .LBB176_2149
.LBB176_2148:
	s_mov_b32 s0, -1
	s_mov_b32 s3, 0
.LBB176_2149:
	s_and_b32 vcc_lo, exec_lo, s0
	s_cbranch_vccz .LBB176_2188
; %bb.2150:
	v_cmp_gt_i16_e32 vcc_lo, 5, v10
	s_mov_b32 s0, -1
	s_cbranch_vccnz .LBB176_2171
; %bb.2151:
	v_cmp_gt_i16_e32 vcc_lo, 8, v10
	s_cbranch_vccnz .LBB176_2161
; %bb.2152:
	v_cmp_gt_i16_e32 vcc_lo, 9, v10
	s_cbranch_vccnz .LBB176_2158
; %bb.2153:
	v_cmp_lt_i16_e32 vcc_lo, 9, v10
	s_cbranch_vccz .LBB176_2155
; %bb.2154:
	v_cvt_f64_f32_e32 v[11:12], v2
	v_cvt_f64_f32_e32 v[13:14], v3
	s_mov_b32 s0, 0
	global_store_b128 v[0:1], v[11:14], off
.LBB176_2155:
	s_and_not1_b32 vcc_lo, exec_lo, s0
	s_cbranch_vccnz .LBB176_2157
; %bb.2156:
	global_store_b64 v[0:1], v[2:3], off
.LBB176_2157:
	s_mov_b32 s0, 0
.LBB176_2158:
	s_delay_alu instid0(SALU_CYCLE_1)
	s_and_not1_b32 vcc_lo, exec_lo, s0
	s_cbranch_vccnz .LBB176_2160
; %bb.2159:
	v_cvt_f16_f32_e32 v3, v3
	v_cvt_f16_f32_e32 v9, v2
	s_delay_alu instid0(VALU_DEP_2) | instskip(NEXT) | instid1(VALU_DEP_2)
	v_lshlrev_b32_e32 v3, 16, v3
	v_and_b32_e32 v9, 0xffff, v9
	s_delay_alu instid0(VALU_DEP_1)
	v_or_b32_e32 v3, v3, v9
	global_store_b32 v[0:1], v3, off
.LBB176_2160:
	s_mov_b32 s0, 0
.LBB176_2161:
	s_delay_alu instid0(SALU_CYCLE_1)
	s_and_not1_b32 vcc_lo, exec_lo, s0
	s_cbranch_vccnz .LBB176_2170
; %bb.2162:
	v_cmp_gt_i16_e32 vcc_lo, 6, v10
	s_mov_b32 s0, -1
	s_cbranch_vccnz .LBB176_2168
; %bb.2163:
	v_cmp_lt_i16_e32 vcc_lo, 6, v10
	s_cbranch_vccz .LBB176_2165
; %bb.2164:
	v_cvt_f64_f32_e32 v[11:12], v2
	s_mov_b32 s0, 0
	global_store_b64 v[0:1], v[11:12], off
.LBB176_2165:
	s_and_not1_b32 vcc_lo, exec_lo, s0
	s_cbranch_vccnz .LBB176_2167
; %bb.2166:
	global_store_b32 v[0:1], v2, off
.LBB176_2167:
	s_mov_b32 s0, 0
.LBB176_2168:
	s_delay_alu instid0(SALU_CYCLE_1)
	s_and_not1_b32 vcc_lo, exec_lo, s0
	s_cbranch_vccnz .LBB176_2170
; %bb.2169:
	v_cvt_f16_f32_e32 v3, v2
	global_store_b16 v[0:1], v3, off
.LBB176_2170:
	s_mov_b32 s0, 0
.LBB176_2171:
	s_delay_alu instid0(SALU_CYCLE_1)
	s_and_not1_b32 vcc_lo, exec_lo, s0
	s_cbranch_vccnz .LBB176_2187
; %bb.2172:
	v_cmp_gt_i16_e32 vcc_lo, 2, v10
	s_mov_b32 s0, -1
	s_cbranch_vccnz .LBB176_2182
; %bb.2173:
	v_cmp_gt_i16_e32 vcc_lo, 3, v10
	s_cbranch_vccnz .LBB176_2179
; %bb.2174:
	v_cmp_lt_i16_e32 vcc_lo, 3, v10
	s_cbranch_vccz .LBB176_2176
; %bb.2175:
	v_trunc_f32_e32 v3, v2
	s_mov_b32 s0, 0
	s_delay_alu instid0(VALU_DEP_1) | instskip(NEXT) | instid1(VALU_DEP_1)
	v_mul_f32_e64 v9, 0x2f800000, |v3|
	v_floor_f32_e32 v9, v9
	s_delay_alu instid0(VALU_DEP_1) | instskip(SKIP_2) | instid1(VALU_DEP_3)
	v_fma_f32 v11, 0xcf800000, v9, |v3|
	v_ashrrev_i32_e32 v3, 31, v3
	v_cvt_u32_f32_e32 v9, v9
	v_cvt_u32_f32_e32 v11, v11
	s_delay_alu instid0(VALU_DEP_2) | instskip(NEXT) | instid1(VALU_DEP_2)
	v_xor_b32_e32 v9, v9, v3
	v_xor_b32_e32 v11, v11, v3
	s_delay_alu instid0(VALU_DEP_1) | instskip(NEXT) | instid1(VALU_DEP_3)
	v_sub_co_u32 v11, vcc_lo, v11, v3
	v_sub_co_ci_u32_e32 v12, vcc_lo, v9, v3, vcc_lo
	global_store_b64 v[0:1], v[11:12], off
.LBB176_2176:
	s_and_not1_b32 vcc_lo, exec_lo, s0
	s_cbranch_vccnz .LBB176_2178
; %bb.2177:
	v_cvt_i32_f32_e32 v3, v2
	global_store_b32 v[0:1], v3, off
.LBB176_2178:
	s_mov_b32 s0, 0
.LBB176_2179:
	s_delay_alu instid0(SALU_CYCLE_1)
	s_and_not1_b32 vcc_lo, exec_lo, s0
	s_cbranch_vccnz .LBB176_2181
; %bb.2180:
	v_cvt_i32_f32_e32 v3, v2
	global_store_b16 v[0:1], v3, off
.LBB176_2181:
	s_mov_b32 s0, 0
.LBB176_2182:
	s_delay_alu instid0(SALU_CYCLE_1)
	s_and_not1_b32 vcc_lo, exec_lo, s0
	s_cbranch_vccnz .LBB176_2187
; %bb.2183:
	v_cmp_lt_i16_e32 vcc_lo, 0, v10
	s_mov_b32 s0, -1
	s_cbranch_vccz .LBB176_2185
; %bb.2184:
	v_cvt_i32_f32_e32 v3, v2
	s_mov_b32 s0, 0
	global_store_b8 v[0:1], v3, off
.LBB176_2185:
	s_and_not1_b32 vcc_lo, exec_lo, s0
	s_cbranch_vccnz .LBB176_2187
; %bb.2186:
	v_trunc_f32_e32 v2, v2
	s_delay_alu instid0(VALU_DEP_1) | instskip(NEXT) | instid1(VALU_DEP_1)
	v_mul_f32_e64 v3, 0x2f800000, |v2|
	v_floor_f32_e32 v3, v3
	s_delay_alu instid0(VALU_DEP_1) | instskip(SKIP_1) | instid1(VALU_DEP_2)
	v_fma_f32 v3, 0xcf800000, v3, |v2|
	v_ashrrev_i32_e32 v2, 31, v2
	v_cvt_u32_f32_e32 v3, v3
	s_delay_alu instid0(VALU_DEP_1) | instskip(NEXT) | instid1(VALU_DEP_1)
	v_xor_b32_e32 v3, v3, v2
	v_sub_nc_u32_e32 v2, v3, v2
	global_store_b8 v[0:1], v2, off
.LBB176_2187:
	s_mov_b32 s3, -1
.LBB176_2188:
	s_delay_alu instid0(SALU_CYCLE_1)
	s_and_not1_b32 vcc_lo, exec_lo, s3
	s_cbranch_vccnz .LBB176_2384
; %bb.2189:
	v_add_nc_u32_e32 v2, s1, v8
	v_cmp_gt_i16_e32 vcc_lo, 11, v10
	s_delay_alu instid0(VALU_DEP_2) | instskip(SKIP_1) | instid1(VALU_DEP_1)
	v_ashrrev_i32_e32 v1, 31, v2
	v_add_co_u32 v0, s0, s4, v2
	v_add_co_ci_u32_e64 v1, s0, s5, v1, s0
	s_cbranch_vccnz .LBB176_2267
; %bb.2190:
	v_cmp_lt_i16_e32 vcc_lo, 25, v10
	s_mov_b32 s6, -1
	s_mov_b32 s2, 0
	s_mov_b32 s3, 0
	;; [unrolled: 1-line block ×3, first 2 shown]
	s_cbranch_vccz .LBB176_2223
; %bb.2191:
	v_cmp_lt_i16_e32 vcc_lo, 28, v10
	s_cbranch_vccz .LBB176_2206
; %bb.2192:
	v_cmp_lt_i16_e32 vcc_lo, 43, v10
	;; [unrolled: 3-line block ×3, first 2 shown]
	s_cbranch_vccz .LBB176_2196
; %bb.2194:
	v_cmp_eq_u16_e32 vcc_lo, 46, v10
	s_mov_b32 s0, -1
	s_mov_b32 s6, 0
	s_cbranch_vccz .LBB176_2196
; %bb.2195:
	v_bfe_u32 v3, v5, 16, 1
	v_bfe_u32 v8, v4, 16, 1
	v_cmp_o_f32_e32 vcc_lo, v5, v5
	s_mov_b32 s0, 0
	s_mov_b32 s3, -1
	v_add3_u32 v3, v5, v3, 0x7fff
	v_add3_u32 v8, v4, v8, 0x7fff
	s_delay_alu instid0(VALU_DEP_2) | instskip(NEXT) | instid1(VALU_DEP_2)
	v_and_b32_e32 v3, 0xffff0000, v3
	v_lshrrev_b32_e32 v8, 16, v8
	s_delay_alu instid0(VALU_DEP_2) | instskip(SKIP_1) | instid1(VALU_DEP_3)
	v_cndmask_b32_e32 v3, 0x7fc00000, v3, vcc_lo
	v_cmp_o_f32_e32 vcc_lo, v4, v4
	v_cndmask_b32_e32 v8, 0x7fc0, v8, vcc_lo
	s_delay_alu instid0(VALU_DEP_1)
	v_or_b32_e32 v3, v3, v8
	global_store_b32 v[0:1], v3, off
.LBB176_2196:
	s_and_b32 vcc_lo, exec_lo, s6
	s_cbranch_vccz .LBB176_2201
; %bb.2197:
	v_cmp_eq_u16_e32 vcc_lo, 44, v10
	s_mov_b32 s0, -1
	s_cbranch_vccz .LBB176_2201
; %bb.2198:
	v_bfe_u32 v8, v4, 23, 8
	v_mov_b32_e32 v3, 0xff
	s_mov_b32 s3, exec_lo
	s_delay_alu instid0(VALU_DEP_2)
	v_cmpx_ne_u32_e32 0xff, v8
; %bb.2199:
	v_and_b32_e32 v3, 0x400000, v4
	v_and_or_b32 v8, 0x3fffff, v4, v8
	s_delay_alu instid0(VALU_DEP_2) | instskip(NEXT) | instid1(VALU_DEP_2)
	v_cmp_ne_u32_e32 vcc_lo, 0, v3
	v_cmp_ne_u32_e64 s0, 0, v8
	v_lshrrev_b32_e32 v3, 23, v4
	s_delay_alu instid0(VALU_DEP_2) | instskip(NEXT) | instid1(SALU_CYCLE_1)
	s_and_b32 s0, vcc_lo, s0
	v_cndmask_b32_e64 v8, 0, 1, s0
	s_delay_alu instid0(VALU_DEP_1)
	v_add_nc_u32_e32 v3, v3, v8
; %bb.2200:
	s_or_b32 exec_lo, exec_lo, s3
	s_mov_b32 s0, 0
	s_mov_b32 s3, -1
	global_store_b8 v[0:1], v3, off
.LBB176_2201:
	s_mov_b32 s6, 0
.LBB176_2202:
	s_delay_alu instid0(SALU_CYCLE_1)
	s_and_b32 vcc_lo, exec_lo, s6
	s_cbranch_vccz .LBB176_2205
; %bb.2203:
	v_cmp_eq_u16_e32 vcc_lo, 29, v10
	s_mov_b32 s0, -1
	s_cbranch_vccz .LBB176_2205
; %bb.2204:
	v_trunc_f32_e32 v3, v4
	s_mov_b32 s0, 0
	s_mov_b32 s3, -1
	s_delay_alu instid0(VALU_DEP_1) | instskip(NEXT) | instid1(VALU_DEP_1)
	v_mul_f32_e32 v8, 0x2f800000, v3
	v_floor_f32_e32 v8, v8
	s_delay_alu instid0(VALU_DEP_1) | instskip(SKIP_1) | instid1(VALU_DEP_2)
	v_fmamk_f32 v3, v8, 0xcf800000, v3
	v_cvt_u32_f32_e32 v9, v8
	v_cvt_u32_f32_e32 v8, v3
	global_store_b64 v[0:1], v[8:9], off
.LBB176_2205:
	s_mov_b32 s6, 0
.LBB176_2206:
	s_delay_alu instid0(SALU_CYCLE_1)
	s_and_b32 vcc_lo, exec_lo, s6
	s_cbranch_vccz .LBB176_2222
; %bb.2207:
	v_cmp_gt_i16_e32 vcc_lo, 27, v10
	s_mov_b32 s3, -1
	s_cbranch_vccnz .LBB176_2213
; %bb.2208:
	v_cmp_lt_i16_e32 vcc_lo, 27, v10
	v_cvt_u32_f32_e32 v3, v4
	s_cbranch_vccz .LBB176_2210
; %bb.2209:
	s_mov_b32 s3, 0
	global_store_b32 v[0:1], v3, off
.LBB176_2210:
	s_and_not1_b32 vcc_lo, exec_lo, s3
	s_cbranch_vccnz .LBB176_2212
; %bb.2211:
	global_store_b16 v[0:1], v3, off
.LBB176_2212:
	s_mov_b32 s3, 0
.LBB176_2213:
	s_delay_alu instid0(SALU_CYCLE_1)
	s_and_not1_b32 vcc_lo, exec_lo, s3
	s_cbranch_vccnz .LBB176_2221
; %bb.2214:
	v_and_b32_e32 v3, 0x7fffffff, v4
	v_mov_b32_e32 v8, 0x80
	s_mov_b32 s3, exec_lo
	s_delay_alu instid0(VALU_DEP_2)
	v_cmpx_gt_u32_e32 0x43800000, v3
	s_cbranch_execz .LBB176_2220
; %bb.2215:
	v_cmp_lt_u32_e32 vcc_lo, 0x3bffffff, v3
	s_mov_b32 s6, 0
                                        ; implicit-def: $vgpr3
	s_and_saveexec_b32 s7, vcc_lo
	s_delay_alu instid0(SALU_CYCLE_1)
	s_xor_b32 s7, exec_lo, s7
	s_cbranch_execz .LBB176_2404
; %bb.2216:
	v_bfe_u32 v3, v4, 20, 1
	s_mov_b32 s6, exec_lo
	s_delay_alu instid0(VALU_DEP_1) | instskip(NEXT) | instid1(VALU_DEP_1)
	v_add3_u32 v3, v4, v3, 0x487ffff
	v_lshrrev_b32_e32 v3, 20, v3
	s_or_saveexec_b32 s7, s7
                                        ; implicit-def: $sgpr11
	s_delay_alu instid0(SALU_CYCLE_1)
	s_xor_b32 exec_lo, exec_lo, s7
	s_cbranch_execnz .LBB176_2405
.LBB176_2217:
	s_or_b32 exec_lo, exec_lo, s7
	v_mov_b32_e32 v8, s11
	s_and_saveexec_b32 s7, s6
.LBB176_2218:
	v_lshrrev_b32_e32 v8, 24, v4
	s_delay_alu instid0(VALU_DEP_1)
	v_and_or_b32 v8, 0x80, v8, v3
.LBB176_2219:
	s_or_b32 exec_lo, exec_lo, s7
.LBB176_2220:
	s_delay_alu instid0(SALU_CYCLE_1)
	s_or_b32 exec_lo, exec_lo, s3
	global_store_b8 v[0:1], v8, off
.LBB176_2221:
	s_mov_b32 s3, -1
.LBB176_2222:
	s_mov_b32 s6, 0
.LBB176_2223:
	s_delay_alu instid0(SALU_CYCLE_1)
	s_and_b32 vcc_lo, exec_lo, s6
	s_cbranch_vccz .LBB176_2263
; %bb.2224:
	v_cmp_lt_i16_e32 vcc_lo, 22, v10
	s_mov_b32 s2, -1
	s_cbranch_vccz .LBB176_2256
; %bb.2225:
	v_cmp_gt_i16_e32 vcc_lo, 24, v10
	s_cbranch_vccnz .LBB176_2245
; %bb.2226:
	v_cmp_lt_i16_e32 vcc_lo, 24, v10
	s_cbranch_vccz .LBB176_2234
; %bb.2227:
	v_and_b32_e32 v3, 0x7fffffff, v4
	v_mov_b32_e32 v8, 0x80
	s_mov_b32 s2, exec_lo
	s_delay_alu instid0(VALU_DEP_2)
	v_cmpx_gt_u32_e32 0x47800000, v3
	s_cbranch_execz .LBB176_2233
; %bb.2228:
	v_cmp_lt_u32_e32 vcc_lo, 0x37ffffff, v3
	s_mov_b32 s3, 0
                                        ; implicit-def: $vgpr3
	s_and_saveexec_b32 s6, vcc_lo
	s_delay_alu instid0(SALU_CYCLE_1)
	s_xor_b32 s6, exec_lo, s6
	s_cbranch_execz .LBB176_2410
; %bb.2229:
	v_bfe_u32 v3, v4, 21, 1
	s_mov_b32 s3, exec_lo
	s_delay_alu instid0(VALU_DEP_1) | instskip(NEXT) | instid1(VALU_DEP_1)
	v_add3_u32 v3, v4, v3, 0x88fffff
	v_lshrrev_b32_e32 v3, 21, v3
	s_or_saveexec_b32 s6, s6
                                        ; implicit-def: $sgpr7
	s_delay_alu instid0(SALU_CYCLE_1)
	s_xor_b32 exec_lo, exec_lo, s6
	s_cbranch_execnz .LBB176_2411
.LBB176_2230:
	s_or_b32 exec_lo, exec_lo, s6
	v_mov_b32_e32 v8, s7
	s_and_saveexec_b32 s6, s3
.LBB176_2231:
	v_lshrrev_b32_e32 v8, 24, v4
	s_delay_alu instid0(VALU_DEP_1)
	v_and_or_b32 v8, 0x80, v8, v3
.LBB176_2232:
	s_or_b32 exec_lo, exec_lo, s6
.LBB176_2233:
	s_delay_alu instid0(SALU_CYCLE_1)
	s_or_b32 exec_lo, exec_lo, s2
	s_mov_b32 s2, 0
	global_store_b8 v[0:1], v8, off
.LBB176_2234:
	s_and_b32 vcc_lo, exec_lo, s2
	s_cbranch_vccz .LBB176_2244
; %bb.2235:
	v_and_b32_e32 v8, 0x7fffffff, v4
	s_mov_b32 s2, exec_lo
                                        ; implicit-def: $vgpr3
	s_delay_alu instid0(VALU_DEP_1)
	v_cmpx_gt_u32_e32 0x43f00000, v8
	s_xor_b32 s2, exec_lo, s2
	s_cbranch_execz .LBB176_2241
; %bb.2236:
	s_mov_b32 s3, exec_lo
                                        ; implicit-def: $vgpr3
	v_cmpx_lt_u32_e32 0x3c7fffff, v8
	s_xor_b32 s3, exec_lo, s3
; %bb.2237:
	v_bfe_u32 v3, v4, 20, 1
	s_delay_alu instid0(VALU_DEP_1) | instskip(NEXT) | instid1(VALU_DEP_1)
	v_add3_u32 v3, v4, v3, 0x407ffff
	v_and_b32_e32 v8, 0xff00000, v3
	v_lshrrev_b32_e32 v3, 20, v3
	s_delay_alu instid0(VALU_DEP_2) | instskip(NEXT) | instid1(VALU_DEP_2)
	v_cmp_ne_u32_e32 vcc_lo, 0x7f00000, v8
	v_cndmask_b32_e32 v3, 0x7e, v3, vcc_lo
; %bb.2238:
	s_and_not1_saveexec_b32 s3, s3
; %bb.2239:
	v_add_f32_e64 v3, 0x46800000, |v4|
; %bb.2240:
	s_or_b32 exec_lo, exec_lo, s3
                                        ; implicit-def: $vgpr8
.LBB176_2241:
	s_and_not1_saveexec_b32 s2, s2
; %bb.2242:
	v_mov_b32_e32 v3, 0x7f
	v_cmp_lt_u32_e32 vcc_lo, 0x7f800000, v8
	s_delay_alu instid0(VALU_DEP_2)
	v_cndmask_b32_e32 v3, 0x7e, v3, vcc_lo
; %bb.2243:
	s_or_b32 exec_lo, exec_lo, s2
	v_lshrrev_b32_e32 v8, 24, v4
	s_delay_alu instid0(VALU_DEP_1)
	v_and_or_b32 v3, 0x80, v8, v3
	global_store_b8 v[0:1], v3, off
.LBB176_2244:
	s_mov_b32 s2, 0
.LBB176_2245:
	s_delay_alu instid0(SALU_CYCLE_1)
	s_and_not1_b32 vcc_lo, exec_lo, s2
	s_cbranch_vccnz .LBB176_2255
; %bb.2246:
	v_and_b32_e32 v8, 0x7fffffff, v4
	s_mov_b32 s2, exec_lo
                                        ; implicit-def: $vgpr3
	s_delay_alu instid0(VALU_DEP_1)
	v_cmpx_gt_u32_e32 0x47800000, v8
	s_xor_b32 s2, exec_lo, s2
	s_cbranch_execz .LBB176_2252
; %bb.2247:
	s_mov_b32 s3, exec_lo
                                        ; implicit-def: $vgpr3
	v_cmpx_lt_u32_e32 0x387fffff, v8
	s_xor_b32 s3, exec_lo, s3
; %bb.2248:
	v_bfe_u32 v3, v4, 21, 1
	s_delay_alu instid0(VALU_DEP_1) | instskip(NEXT) | instid1(VALU_DEP_1)
	v_add3_u32 v3, v4, v3, 0x80fffff
	v_lshrrev_b32_e32 v3, 21, v3
; %bb.2249:
	s_and_not1_saveexec_b32 s3, s3
; %bb.2250:
	v_add_f32_e64 v3, 0x43000000, |v4|
; %bb.2251:
	s_or_b32 exec_lo, exec_lo, s3
                                        ; implicit-def: $vgpr8
.LBB176_2252:
	s_and_not1_saveexec_b32 s2, s2
; %bb.2253:
	v_mov_b32_e32 v3, 0x7f
	v_cmp_lt_u32_e32 vcc_lo, 0x7f800000, v8
	s_delay_alu instid0(VALU_DEP_2)
	v_cndmask_b32_e32 v3, 0x7c, v3, vcc_lo
; %bb.2254:
	s_or_b32 exec_lo, exec_lo, s2
	v_lshrrev_b32_e32 v8, 24, v4
	s_delay_alu instid0(VALU_DEP_1)
	v_and_or_b32 v3, 0x80, v8, v3
	global_store_b8 v[0:1], v3, off
.LBB176_2255:
	s_mov_b32 s2, 0
	s_mov_b32 s3, -1
.LBB176_2256:
	s_and_not1_b32 vcc_lo, exec_lo, s2
	s_mov_b32 s2, 0
	s_cbranch_vccnz .LBB176_2263
; %bb.2257:
	v_cmp_lt_i16_e32 vcc_lo, 14, v10
	s_mov_b32 s2, -1
	s_cbranch_vccz .LBB176_2261
; %bb.2258:
	v_cmp_eq_u16_e32 vcc_lo, 15, v10
	s_mov_b32 s0, -1
	s_cbranch_vccz .LBB176_2260
; %bb.2259:
	v_bfe_u32 v3, v4, 16, 1
	v_cmp_o_f32_e32 vcc_lo, v4, v4
	s_mov_b32 s0, 0
	s_mov_b32 s3, -1
	s_delay_alu instid0(VALU_DEP_2) | instskip(NEXT) | instid1(VALU_DEP_1)
	v_add3_u32 v3, v4, v3, 0x7fff
	v_lshrrev_b32_e32 v3, 16, v3
	s_delay_alu instid0(VALU_DEP_1)
	v_cndmask_b32_e32 v3, 0x7fc0, v3, vcc_lo
	global_store_b16 v[0:1], v3, off
.LBB176_2260:
	s_mov_b32 s2, 0
.LBB176_2261:
	s_delay_alu instid0(SALU_CYCLE_1)
	s_and_b32 vcc_lo, exec_lo, s2
	s_mov_b32 s2, 0
	s_cbranch_vccz .LBB176_2263
; %bb.2262:
	v_cmp_ne_u16_e64 s0, 11, v10
	s_mov_b32 s2, -1
.LBB176_2263:
	s_delay_alu instid0(VALU_DEP_1)
	s_and_b32 vcc_lo, exec_lo, s0
	s_cbranch_vccnz .LBB176_2408
; %bb.2264:
	s_and_not1_b32 vcc_lo, exec_lo, s2
	s_cbranch_vccnz .LBB176_2266
.LBB176_2265:
	v_cmp_neq_f32_e32 vcc_lo, 0, v4
	v_cmp_neq_f32_e64 s0, 0, v5
	s_mov_b32 s3, -1
	s_delay_alu instid0(VALU_DEP_1) | instskip(NEXT) | instid1(SALU_CYCLE_1)
	s_or_b32 s0, vcc_lo, s0
	v_cndmask_b32_e64 v3, 0, 1, s0
	global_store_b8 v[0:1], v3, off
.LBB176_2266:
	s_mov_b32 s0, 0
	s_branch .LBB176_2268
.LBB176_2267:
	s_mov_b32 s0, -1
	s_mov_b32 s3, 0
.LBB176_2268:
	s_and_b32 vcc_lo, exec_lo, s0
	s_cbranch_vccz .LBB176_2307
; %bb.2269:
	v_cmp_gt_i16_e32 vcc_lo, 5, v10
	s_mov_b32 s0, -1
	s_cbranch_vccnz .LBB176_2290
; %bb.2270:
	v_cmp_gt_i16_e32 vcc_lo, 8, v10
	s_cbranch_vccnz .LBB176_2280
; %bb.2271:
	v_cmp_gt_i16_e32 vcc_lo, 9, v10
	s_cbranch_vccnz .LBB176_2277
; %bb.2272:
	v_cmp_lt_i16_e32 vcc_lo, 9, v10
	s_cbranch_vccz .LBB176_2274
; %bb.2273:
	v_cvt_f64_f32_e32 v[11:12], v4
	v_cvt_f64_f32_e32 v[13:14], v5
	s_mov_b32 s0, 0
	global_store_b128 v[0:1], v[11:14], off
.LBB176_2274:
	s_and_not1_b32 vcc_lo, exec_lo, s0
	s_cbranch_vccnz .LBB176_2276
; %bb.2275:
	global_store_b64 v[0:1], v[4:5], off
.LBB176_2276:
	s_mov_b32 s0, 0
.LBB176_2277:
	s_delay_alu instid0(SALU_CYCLE_1)
	s_and_not1_b32 vcc_lo, exec_lo, s0
	s_cbranch_vccnz .LBB176_2279
; %bb.2278:
	v_cvt_f16_f32_e32 v3, v5
	v_cvt_f16_f32_e32 v5, v4
	s_delay_alu instid0(VALU_DEP_2) | instskip(NEXT) | instid1(VALU_DEP_2)
	v_lshlrev_b32_e32 v3, 16, v3
	v_and_b32_e32 v5, 0xffff, v5
	s_delay_alu instid0(VALU_DEP_1)
	v_or_b32_e32 v3, v3, v5
	global_store_b32 v[0:1], v3, off
.LBB176_2279:
	s_mov_b32 s0, 0
.LBB176_2280:
	s_delay_alu instid0(SALU_CYCLE_1)
	s_and_not1_b32 vcc_lo, exec_lo, s0
	s_cbranch_vccnz .LBB176_2289
; %bb.2281:
	v_cmp_gt_i16_e32 vcc_lo, 6, v10
	s_mov_b32 s0, -1
	s_cbranch_vccnz .LBB176_2287
; %bb.2282:
	v_cmp_lt_i16_e32 vcc_lo, 6, v10
	s_cbranch_vccz .LBB176_2284
; %bb.2283:
	v_cvt_f64_f32_e32 v[8:9], v4
	s_mov_b32 s0, 0
	global_store_b64 v[0:1], v[8:9], off
.LBB176_2284:
	s_and_not1_b32 vcc_lo, exec_lo, s0
	s_cbranch_vccnz .LBB176_2286
; %bb.2285:
	global_store_b32 v[0:1], v4, off
.LBB176_2286:
	s_mov_b32 s0, 0
.LBB176_2287:
	s_delay_alu instid0(SALU_CYCLE_1)
	s_and_not1_b32 vcc_lo, exec_lo, s0
	s_cbranch_vccnz .LBB176_2289
; %bb.2288:
	v_cvt_f16_f32_e32 v3, v4
	global_store_b16 v[0:1], v3, off
.LBB176_2289:
	s_mov_b32 s0, 0
.LBB176_2290:
	s_delay_alu instid0(SALU_CYCLE_1)
	s_and_not1_b32 vcc_lo, exec_lo, s0
	s_cbranch_vccnz .LBB176_2306
; %bb.2291:
	v_cmp_gt_i16_e32 vcc_lo, 2, v10
	s_mov_b32 s0, -1
	s_cbranch_vccnz .LBB176_2301
; %bb.2292:
	v_cmp_gt_i16_e32 vcc_lo, 3, v10
	s_cbranch_vccnz .LBB176_2298
; %bb.2293:
	v_cmp_lt_i16_e32 vcc_lo, 3, v10
	s_cbranch_vccz .LBB176_2295
; %bb.2294:
	v_trunc_f32_e32 v3, v4
	s_mov_b32 s0, 0
	s_delay_alu instid0(VALU_DEP_1) | instskip(NEXT) | instid1(VALU_DEP_1)
	v_mul_f32_e64 v5, 0x2f800000, |v3|
	v_floor_f32_e32 v5, v5
	s_delay_alu instid0(VALU_DEP_1) | instskip(SKIP_2) | instid1(VALU_DEP_3)
	v_fma_f32 v8, 0xcf800000, v5, |v3|
	v_ashrrev_i32_e32 v3, 31, v3
	v_cvt_u32_f32_e32 v5, v5
	v_cvt_u32_f32_e32 v8, v8
	s_delay_alu instid0(VALU_DEP_2) | instskip(NEXT) | instid1(VALU_DEP_2)
	v_xor_b32_e32 v5, v5, v3
	v_xor_b32_e32 v8, v8, v3
	s_delay_alu instid0(VALU_DEP_1) | instskip(NEXT) | instid1(VALU_DEP_3)
	v_sub_co_u32 v8, vcc_lo, v8, v3
	v_sub_co_ci_u32_e32 v9, vcc_lo, v5, v3, vcc_lo
	global_store_b64 v[0:1], v[8:9], off
.LBB176_2295:
	s_and_not1_b32 vcc_lo, exec_lo, s0
	s_cbranch_vccnz .LBB176_2297
; %bb.2296:
	v_cvt_i32_f32_e32 v3, v4
	global_store_b32 v[0:1], v3, off
.LBB176_2297:
	s_mov_b32 s0, 0
.LBB176_2298:
	s_delay_alu instid0(SALU_CYCLE_1)
	s_and_not1_b32 vcc_lo, exec_lo, s0
	s_cbranch_vccnz .LBB176_2300
; %bb.2299:
	v_cvt_i32_f32_e32 v3, v4
	global_store_b16 v[0:1], v3, off
.LBB176_2300:
	s_mov_b32 s0, 0
.LBB176_2301:
	s_delay_alu instid0(SALU_CYCLE_1)
	s_and_not1_b32 vcc_lo, exec_lo, s0
	s_cbranch_vccnz .LBB176_2306
; %bb.2302:
	v_cmp_lt_i16_e32 vcc_lo, 0, v10
	s_mov_b32 s0, -1
	s_cbranch_vccz .LBB176_2304
; %bb.2303:
	v_cvt_i32_f32_e32 v3, v4
	s_mov_b32 s0, 0
	global_store_b8 v[0:1], v3, off
.LBB176_2304:
	s_and_not1_b32 vcc_lo, exec_lo, s0
	s_cbranch_vccnz .LBB176_2306
; %bb.2305:
	v_trunc_f32_e32 v3, v4
	s_delay_alu instid0(VALU_DEP_1) | instskip(NEXT) | instid1(VALU_DEP_1)
	v_mul_f32_e64 v4, 0x2f800000, |v3|
	v_floor_f32_e32 v4, v4
	s_delay_alu instid0(VALU_DEP_1) | instskip(SKIP_1) | instid1(VALU_DEP_2)
	v_fma_f32 v4, 0xcf800000, v4, |v3|
	v_ashrrev_i32_e32 v3, 31, v3
	v_cvt_u32_f32_e32 v4, v4
	s_delay_alu instid0(VALU_DEP_1) | instskip(NEXT) | instid1(VALU_DEP_1)
	v_xor_b32_e32 v4, v4, v3
	v_sub_nc_u32_e32 v3, v4, v3
	global_store_b8 v[0:1], v3, off
.LBB176_2306:
	s_mov_b32 s3, -1
.LBB176_2307:
	s_delay_alu instid0(SALU_CYCLE_1)
	s_and_not1_b32 vcc_lo, exec_lo, s3
	s_cbranch_vccnz .LBB176_2384
; %bb.2308:
	v_add_nc_u32_e32 v0, s1, v2
	v_cmp_gt_i16_e32 vcc_lo, 11, v10
	s_delay_alu instid0(VALU_DEP_2) | instskip(SKIP_1) | instid1(VALU_DEP_1)
	v_ashrrev_i32_e32 v1, 31, v0
	v_add_co_u32 v0, s0, s4, v0
	v_add_co_ci_u32_e64 v1, s0, s5, v1, s0
	s_cbranch_vccnz .LBB176_2385
; %bb.2309:
	v_cmp_lt_i16_e32 vcc_lo, 25, v10
	s_mov_b32 s2, -1
	s_mov_b32 s1, 0
	s_mov_b32 s0, 0
	s_cbranch_vccz .LBB176_2342
; %bb.2310:
	v_cmp_lt_i16_e32 vcc_lo, 28, v10
	s_cbranch_vccz .LBB176_2326
; %bb.2311:
	v_cmp_lt_i16_e32 vcc_lo, 43, v10
	;; [unrolled: 3-line block ×3, first 2 shown]
	s_cbranch_vccz .LBB176_2316
; %bb.2313:
	v_cmp_eq_u16_e32 vcc_lo, 46, v10
	s_mov_b32 s0, -1
	s_cbranch_vccz .LBB176_2315
; %bb.2314:
	v_bfe_u32 v2, v7, 16, 1
	v_bfe_u32 v3, v6, 16, 1
	v_cmp_o_f32_e32 vcc_lo, v7, v7
	s_mov_b32 s0, 0
	s_delay_alu instid0(VALU_DEP_3) | instskip(NEXT) | instid1(VALU_DEP_3)
	v_add3_u32 v2, v7, v2, 0x7fff
	v_add3_u32 v3, v6, v3, 0x7fff
	s_delay_alu instid0(VALU_DEP_2) | instskip(NEXT) | instid1(VALU_DEP_2)
	v_and_b32_e32 v2, 0xffff0000, v2
	v_lshrrev_b32_e32 v3, 16, v3
	s_delay_alu instid0(VALU_DEP_2) | instskip(SKIP_1) | instid1(VALU_DEP_3)
	v_cndmask_b32_e32 v2, 0x7fc00000, v2, vcc_lo
	v_cmp_o_f32_e32 vcc_lo, v6, v6
	v_cndmask_b32_e32 v3, 0x7fc0, v3, vcc_lo
	s_delay_alu instid0(VALU_DEP_1)
	v_or_b32_e32 v2, v2, v3
	global_store_b32 v[0:1], v2, off
.LBB176_2315:
	s_mov_b32 s2, 0
.LBB176_2316:
	s_delay_alu instid0(SALU_CYCLE_1)
	s_and_b32 vcc_lo, exec_lo, s2
	s_cbranch_vccz .LBB176_2321
; %bb.2317:
	v_cmp_eq_u16_e32 vcc_lo, 44, v10
	s_mov_b32 s0, -1
	s_cbranch_vccz .LBB176_2321
; %bb.2318:
	v_bfe_u32 v3, v6, 23, 8
	v_mov_b32_e32 v2, 0xff
	s_mov_b32 s2, exec_lo
	s_delay_alu instid0(VALU_DEP_2)
	v_cmpx_ne_u32_e32 0xff, v3
; %bb.2319:
	v_and_b32_e32 v2, 0x400000, v6
	v_and_or_b32 v3, 0x3fffff, v6, v3
	s_delay_alu instid0(VALU_DEP_2) | instskip(NEXT) | instid1(VALU_DEP_2)
	v_cmp_ne_u32_e32 vcc_lo, 0, v2
	v_cmp_ne_u32_e64 s0, 0, v3
	v_lshrrev_b32_e32 v2, 23, v6
	s_delay_alu instid0(VALU_DEP_2) | instskip(NEXT) | instid1(SALU_CYCLE_1)
	s_and_b32 s0, vcc_lo, s0
	v_cndmask_b32_e64 v3, 0, 1, s0
	s_delay_alu instid0(VALU_DEP_1)
	v_add_nc_u32_e32 v2, v2, v3
; %bb.2320:
	s_or_b32 exec_lo, exec_lo, s2
	s_mov_b32 s0, 0
	global_store_b8 v[0:1], v2, off
.LBB176_2321:
	s_mov_b32 s2, 0
.LBB176_2322:
	s_delay_alu instid0(SALU_CYCLE_1)
	s_and_b32 vcc_lo, exec_lo, s2
	s_cbranch_vccz .LBB176_2325
; %bb.2323:
	v_cmp_eq_u16_e32 vcc_lo, 29, v10
	s_mov_b32 s0, -1
	s_cbranch_vccz .LBB176_2325
; %bb.2324:
	v_trunc_f32_e32 v2, v6
	s_mov_b32 s0, 0
	s_delay_alu instid0(VALU_DEP_1) | instskip(NEXT) | instid1(VALU_DEP_1)
	v_mul_f32_e32 v3, 0x2f800000, v2
	v_floor_f32_e32 v3, v3
	s_delay_alu instid0(VALU_DEP_1) | instskip(SKIP_1) | instid1(VALU_DEP_2)
	v_fmamk_f32 v2, v3, 0xcf800000, v2
	v_cvt_u32_f32_e32 v3, v3
	v_cvt_u32_f32_e32 v2, v2
	global_store_b64 v[0:1], v[2:3], off
.LBB176_2325:
	s_mov_b32 s2, 0
.LBB176_2326:
	s_delay_alu instid0(SALU_CYCLE_1)
	s_and_b32 vcc_lo, exec_lo, s2
	s_cbranch_vccz .LBB176_2341
; %bb.2327:
	v_cmp_gt_i16_e32 vcc_lo, 27, v10
	s_mov_b32 s2, -1
	s_cbranch_vccnz .LBB176_2333
; %bb.2328:
	v_cmp_lt_i16_e32 vcc_lo, 27, v10
	v_cvt_u32_f32_e32 v2, v6
	s_cbranch_vccz .LBB176_2330
; %bb.2329:
	s_mov_b32 s2, 0
	global_store_b32 v[0:1], v2, off
.LBB176_2330:
	s_and_not1_b32 vcc_lo, exec_lo, s2
	s_cbranch_vccnz .LBB176_2332
; %bb.2331:
	global_store_b16 v[0:1], v2, off
.LBB176_2332:
	s_mov_b32 s2, 0
.LBB176_2333:
	s_delay_alu instid0(SALU_CYCLE_1)
	s_and_not1_b32 vcc_lo, exec_lo, s2
	s_cbranch_vccnz .LBB176_2341
; %bb.2334:
	v_and_b32_e32 v2, 0x7fffffff, v6
	v_mov_b32_e32 v3, 0x80
	s_mov_b32 s2, exec_lo
	s_delay_alu instid0(VALU_DEP_2)
	v_cmpx_gt_u32_e32 0x43800000, v2
	s_cbranch_execz .LBB176_2340
; %bb.2335:
	v_cmp_lt_u32_e32 vcc_lo, 0x3bffffff, v2
	s_mov_b32 s3, 0
                                        ; implicit-def: $vgpr2
	s_and_saveexec_b32 s4, vcc_lo
	s_delay_alu instid0(SALU_CYCLE_1)
	s_xor_b32 s4, exec_lo, s4
	s_cbranch_execz .LBB176_2412
; %bb.2336:
	v_bfe_u32 v2, v6, 20, 1
	s_mov_b32 s3, exec_lo
	s_delay_alu instid0(VALU_DEP_1) | instskip(NEXT) | instid1(VALU_DEP_1)
	v_add3_u32 v2, v6, v2, 0x487ffff
	v_lshrrev_b32_e32 v2, 20, v2
	s_or_saveexec_b32 s4, s4
                                        ; implicit-def: $sgpr5
	s_delay_alu instid0(SALU_CYCLE_1)
	s_xor_b32 exec_lo, exec_lo, s4
	s_cbranch_execnz .LBB176_2413
.LBB176_2337:
	s_or_b32 exec_lo, exec_lo, s4
	v_mov_b32_e32 v3, s5
	s_and_saveexec_b32 s4, s3
.LBB176_2338:
	v_lshrrev_b32_e32 v3, 24, v6
	s_delay_alu instid0(VALU_DEP_1)
	v_and_or_b32 v3, 0x80, v3, v2
.LBB176_2339:
	s_or_b32 exec_lo, exec_lo, s4
.LBB176_2340:
	s_delay_alu instid0(SALU_CYCLE_1)
	s_or_b32 exec_lo, exec_lo, s2
	global_store_b8 v[0:1], v3, off
.LBB176_2341:
	s_mov_b32 s2, 0
.LBB176_2342:
	s_delay_alu instid0(SALU_CYCLE_1)
	s_and_b32 vcc_lo, exec_lo, s2
	s_cbranch_vccz .LBB176_2382
; %bb.2343:
	v_cmp_lt_i16_e32 vcc_lo, 22, v10
	s_mov_b32 s1, -1
	s_cbranch_vccz .LBB176_2375
; %bb.2344:
	v_cmp_gt_i16_e32 vcc_lo, 24, v10
	s_cbranch_vccnz .LBB176_2364
; %bb.2345:
	v_cmp_lt_i16_e32 vcc_lo, 24, v10
	s_cbranch_vccz .LBB176_2353
; %bb.2346:
	v_and_b32_e32 v2, 0x7fffffff, v6
	v_mov_b32_e32 v3, 0x80
	s_mov_b32 s1, exec_lo
	s_delay_alu instid0(VALU_DEP_2)
	v_cmpx_gt_u32_e32 0x47800000, v2
	s_cbranch_execz .LBB176_2352
; %bb.2347:
	v_cmp_lt_u32_e32 vcc_lo, 0x37ffffff, v2
	s_mov_b32 s2, 0
                                        ; implicit-def: $vgpr2
	s_and_saveexec_b32 s3, vcc_lo
	s_delay_alu instid0(SALU_CYCLE_1)
	s_xor_b32 s3, exec_lo, s3
	s_cbranch_execz .LBB176_2418
; %bb.2348:
	v_bfe_u32 v2, v6, 21, 1
	s_mov_b32 s2, exec_lo
	s_delay_alu instid0(VALU_DEP_1) | instskip(NEXT) | instid1(VALU_DEP_1)
	v_add3_u32 v2, v6, v2, 0x88fffff
	v_lshrrev_b32_e32 v2, 21, v2
	s_or_saveexec_b32 s3, s3
                                        ; implicit-def: $sgpr4
	s_delay_alu instid0(SALU_CYCLE_1)
	s_xor_b32 exec_lo, exec_lo, s3
	s_cbranch_execnz .LBB176_2419
.LBB176_2349:
	s_or_b32 exec_lo, exec_lo, s3
	v_mov_b32_e32 v3, s4
	s_and_saveexec_b32 s3, s2
.LBB176_2350:
	v_lshrrev_b32_e32 v3, 24, v6
	s_delay_alu instid0(VALU_DEP_1)
	v_and_or_b32 v3, 0x80, v3, v2
.LBB176_2351:
	s_or_b32 exec_lo, exec_lo, s3
.LBB176_2352:
	s_delay_alu instid0(SALU_CYCLE_1)
	s_or_b32 exec_lo, exec_lo, s1
	s_mov_b32 s1, 0
	global_store_b8 v[0:1], v3, off
.LBB176_2353:
	s_and_b32 vcc_lo, exec_lo, s1
	s_cbranch_vccz .LBB176_2363
; %bb.2354:
	v_and_b32_e32 v3, 0x7fffffff, v6
	s_mov_b32 s1, exec_lo
                                        ; implicit-def: $vgpr2
	s_delay_alu instid0(VALU_DEP_1)
	v_cmpx_gt_u32_e32 0x43f00000, v3
	s_xor_b32 s1, exec_lo, s1
	s_cbranch_execz .LBB176_2360
; %bb.2355:
	s_mov_b32 s2, exec_lo
                                        ; implicit-def: $vgpr2
	v_cmpx_lt_u32_e32 0x3c7fffff, v3
	s_xor_b32 s2, exec_lo, s2
; %bb.2356:
	v_bfe_u32 v2, v6, 20, 1
	s_delay_alu instid0(VALU_DEP_1) | instskip(NEXT) | instid1(VALU_DEP_1)
	v_add3_u32 v2, v6, v2, 0x407ffff
	v_and_b32_e32 v3, 0xff00000, v2
	v_lshrrev_b32_e32 v2, 20, v2
	s_delay_alu instid0(VALU_DEP_2) | instskip(NEXT) | instid1(VALU_DEP_2)
	v_cmp_ne_u32_e32 vcc_lo, 0x7f00000, v3
	v_cndmask_b32_e32 v2, 0x7e, v2, vcc_lo
; %bb.2357:
	s_and_not1_saveexec_b32 s2, s2
; %bb.2358:
	v_add_f32_e64 v2, 0x46800000, |v6|
; %bb.2359:
	s_or_b32 exec_lo, exec_lo, s2
                                        ; implicit-def: $vgpr3
.LBB176_2360:
	s_and_not1_saveexec_b32 s1, s1
; %bb.2361:
	v_mov_b32_e32 v2, 0x7f
	v_cmp_lt_u32_e32 vcc_lo, 0x7f800000, v3
	s_delay_alu instid0(VALU_DEP_2)
	v_cndmask_b32_e32 v2, 0x7e, v2, vcc_lo
; %bb.2362:
	s_or_b32 exec_lo, exec_lo, s1
	v_lshrrev_b32_e32 v3, 24, v6
	s_delay_alu instid0(VALU_DEP_1)
	v_and_or_b32 v2, 0x80, v3, v2
	global_store_b8 v[0:1], v2, off
.LBB176_2363:
	s_mov_b32 s1, 0
.LBB176_2364:
	s_delay_alu instid0(SALU_CYCLE_1)
	s_and_not1_b32 vcc_lo, exec_lo, s1
	s_cbranch_vccnz .LBB176_2374
; %bb.2365:
	v_and_b32_e32 v3, 0x7fffffff, v6
	s_mov_b32 s1, exec_lo
                                        ; implicit-def: $vgpr2
	s_delay_alu instid0(VALU_DEP_1)
	v_cmpx_gt_u32_e32 0x47800000, v3
	s_xor_b32 s1, exec_lo, s1
	s_cbranch_execz .LBB176_2371
; %bb.2366:
	s_mov_b32 s2, exec_lo
                                        ; implicit-def: $vgpr2
	v_cmpx_lt_u32_e32 0x387fffff, v3
	s_xor_b32 s2, exec_lo, s2
; %bb.2367:
	v_bfe_u32 v2, v6, 21, 1
	s_delay_alu instid0(VALU_DEP_1) | instskip(NEXT) | instid1(VALU_DEP_1)
	v_add3_u32 v2, v6, v2, 0x80fffff
	v_lshrrev_b32_e32 v2, 21, v2
; %bb.2368:
	s_and_not1_saveexec_b32 s2, s2
; %bb.2369:
	v_add_f32_e64 v2, 0x43000000, |v6|
; %bb.2370:
	s_or_b32 exec_lo, exec_lo, s2
                                        ; implicit-def: $vgpr3
.LBB176_2371:
	s_and_not1_saveexec_b32 s1, s1
; %bb.2372:
	v_mov_b32_e32 v2, 0x7f
	v_cmp_lt_u32_e32 vcc_lo, 0x7f800000, v3
	s_delay_alu instid0(VALU_DEP_2)
	v_cndmask_b32_e32 v2, 0x7c, v2, vcc_lo
; %bb.2373:
	s_or_b32 exec_lo, exec_lo, s1
	v_lshrrev_b32_e32 v3, 24, v6
	s_delay_alu instid0(VALU_DEP_1)
	v_and_or_b32 v2, 0x80, v3, v2
	global_store_b8 v[0:1], v2, off
.LBB176_2374:
	s_mov_b32 s1, 0
.LBB176_2375:
	s_delay_alu instid0(SALU_CYCLE_1)
	s_and_not1_b32 vcc_lo, exec_lo, s1
	s_mov_b32 s1, 0
	s_cbranch_vccnz .LBB176_2382
; %bb.2376:
	v_cmp_lt_i16_e32 vcc_lo, 14, v10
	s_mov_b32 s1, -1
	s_cbranch_vccz .LBB176_2380
; %bb.2377:
	v_cmp_eq_u16_e32 vcc_lo, 15, v10
	s_mov_b32 s0, -1
	s_cbranch_vccz .LBB176_2379
; %bb.2378:
	v_bfe_u32 v2, v6, 16, 1
	v_cmp_o_f32_e32 vcc_lo, v6, v6
	s_mov_b32 s0, 0
	s_delay_alu instid0(VALU_DEP_2) | instskip(NEXT) | instid1(VALU_DEP_1)
	v_add3_u32 v2, v6, v2, 0x7fff
	v_lshrrev_b32_e32 v2, 16, v2
	s_delay_alu instid0(VALU_DEP_1)
	v_cndmask_b32_e32 v2, 0x7fc0, v2, vcc_lo
	global_store_b16 v[0:1], v2, off
.LBB176_2379:
	s_mov_b32 s1, 0
.LBB176_2380:
	s_delay_alu instid0(SALU_CYCLE_1)
	s_and_b32 vcc_lo, exec_lo, s1
	s_mov_b32 s1, 0
	s_cbranch_vccz .LBB176_2382
; %bb.2381:
	v_cmp_ne_u16_e64 s0, 11, v10
	s_mov_b32 s1, -1
.LBB176_2382:
	s_delay_alu instid0(VALU_DEP_1)
	s_and_b32 vcc_lo, exec_lo, s0
	s_cbranch_vccnz .LBB176_2416
.LBB176_2383:
	s_mov_b32 s0, 0
	s_branch .LBB176_1881
.LBB176_2384:
	s_mov_b32 s0, 0
	s_mov_b32 s1, 0
                                        ; implicit-def: $vgpr10
                                        ; implicit-def: $vgpr0_vgpr1
	s_branch .LBB176_1881
.LBB176_2385:
	s_mov_b32 s1, 0
	s_mov_b32 s0, -1
	s_branch .LBB176_1881
.LBB176_2386:
	s_cbranch_execnz .LBB176_2390
; %bb.2387:
	s_or_b32 s8, s8, exec_lo
                                        ; implicit-def: $vgpr8
	s_cbranch_execz .LBB176_1814
	s_branch .LBB176_1815
.LBB176_2388:
	s_or_saveexec_b32 s7, s7
                                        ; implicit-def: $sgpr11
	s_delay_alu instid0(SALU_CYCLE_1)
	s_xor_b32 exec_lo, exec_lo, s7
	s_cbranch_execz .LBB176_1979
.LBB176_2389:
	v_add_f32_e64 v11, 0x46000000, |v0|
	s_and_not1_b32 s6, s6, exec_lo
	s_mov_b32 s11, 0
	s_delay_alu instid0(VALU_DEP_1) | instskip(NEXT) | instid1(VALU_DEP_1)
	v_and_b32_e32 v11, 0xff, v11
	v_cmp_ne_u32_e32 vcc_lo, 0, v11
	s_and_b32 s12, vcc_lo, exec_lo
	s_delay_alu instid0(SALU_CYCLE_1)
	s_or_b32 s6, s6, s12
	s_or_b32 exec_lo, exec_lo, s7
	v_mov_b32_e32 v13, s11
	s_and_saveexec_b32 s7, s6
	s_cbranch_execnz .LBB176_1980
	s_branch .LBB176_1981
.LBB176_2390:
	s_trap 2
	s_sendmsg_rtn_b32 s0, sendmsg(MSG_RTN_GET_DOORBELL)
	s_mov_b32 ttmp2, m0
	s_waitcnt lgkmcnt(0)
	s_and_b32 s0, s0, 0x3ff
	s_delay_alu instid0(SALU_CYCLE_1) | instskip(NEXT) | instid1(SALU_CYCLE_1)
	s_bitset1_b32 s0, 10
	s_mov_b32 m0, s0
	s_sendmsg sendmsg(MSG_INTERRUPT)
	s_mov_b32 m0, ttmp2
.LBB176_2391:                           ; =>This Inner Loop Header: Depth=1
	s_sethalt 5
	s_branch .LBB176_2391
.LBB176_2392:
	s_cbranch_execnz .LBB176_2398
; %bb.2393:
	s_or_b32 s8, s8, exec_lo
	s_cbranch_execz .LBB176_2027
	s_branch .LBB176_2028
.LBB176_2394:
	s_or_saveexec_b32 s6, s6
                                        ; implicit-def: $sgpr7
	s_delay_alu instid0(SALU_CYCLE_1)
	s_xor_b32 exec_lo, exec_lo, s6
	s_cbranch_execz .LBB176_1992
.LBB176_2395:
	v_add_f32_e64 v11, 0x42800000, |v0|
	s_and_not1_b32 s3, s3, exec_lo
	s_mov_b32 s7, 0
	s_delay_alu instid0(VALU_DEP_1) | instskip(NEXT) | instid1(VALU_DEP_1)
	v_and_b32_e32 v11, 0xff, v11
	v_cmp_ne_u32_e32 vcc_lo, 0, v11
	s_and_b32 s11, vcc_lo, exec_lo
	s_delay_alu instid0(SALU_CYCLE_1)
	s_or_b32 s3, s3, s11
	s_or_b32 exec_lo, exec_lo, s6
	v_mov_b32_e32 v13, s7
	s_and_saveexec_b32 s6, s3
	s_cbranch_execnz .LBB176_1993
	s_branch .LBB176_1994
.LBB176_2396:
	s_or_saveexec_b32 s7, s7
                                        ; implicit-def: $sgpr11
	s_delay_alu instid0(SALU_CYCLE_1)
	s_xor_b32 exec_lo, exec_lo, s7
	s_cbranch_execz .LBB176_2098
.LBB176_2397:
	v_add_f32_e64 v9, 0x46000000, |v2|
	s_and_not1_b32 s6, s6, exec_lo
	s_mov_b32 s11, 0
	s_delay_alu instid0(VALU_DEP_1) | instskip(NEXT) | instid1(VALU_DEP_1)
	v_and_b32_e32 v9, 0xff, v9
	v_cmp_ne_u32_e32 vcc_lo, 0, v9
	s_and_b32 s12, vcc_lo, exec_lo
	s_delay_alu instid0(SALU_CYCLE_1)
	s_or_b32 s6, s6, s12
	s_or_b32 exec_lo, exec_lo, s7
	v_mov_b32_e32 v11, s11
	s_and_saveexec_b32 s7, s6
	s_cbranch_execnz .LBB176_2099
	s_branch .LBB176_2100
.LBB176_2398:
	s_trap 2
	s_sendmsg_rtn_b32 s0, sendmsg(MSG_RTN_GET_DOORBELL)
	s_mov_b32 ttmp2, m0
	s_waitcnt lgkmcnt(0)
	s_and_b32 s0, s0, 0x3ff
	s_delay_alu instid0(SALU_CYCLE_1) | instskip(NEXT) | instid1(SALU_CYCLE_1)
	s_bitset1_b32 s0, 10
	s_mov_b32 m0, s0
	s_sendmsg sendmsg(MSG_INTERRUPT)
	s_mov_b32 m0, ttmp2
.LBB176_2399:                           ; =>This Inner Loop Header: Depth=1
	s_sethalt 5
	s_branch .LBB176_2399
.LBB176_2400:
	s_cbranch_execnz .LBB176_2406
; %bb.2401:
	s_or_b32 s8, s8, exec_lo
	s_cbranch_execz .LBB176_2146
	s_branch .LBB176_2147
.LBB176_2402:
	s_or_saveexec_b32 s6, s6
                                        ; implicit-def: $sgpr7
	s_delay_alu instid0(SALU_CYCLE_1)
	s_xor_b32 exec_lo, exec_lo, s6
	s_cbranch_execz .LBB176_2111
.LBB176_2403:
	v_add_f32_e64 v9, 0x42800000, |v2|
	s_and_not1_b32 s3, s3, exec_lo
	s_mov_b32 s7, 0
	s_delay_alu instid0(VALU_DEP_1) | instskip(NEXT) | instid1(VALU_DEP_1)
	v_and_b32_e32 v9, 0xff, v9
	v_cmp_ne_u32_e32 vcc_lo, 0, v9
	s_and_b32 s11, vcc_lo, exec_lo
	s_delay_alu instid0(SALU_CYCLE_1)
	s_or_b32 s3, s3, s11
	s_or_b32 exec_lo, exec_lo, s6
	v_mov_b32_e32 v11, s7
	s_and_saveexec_b32 s6, s3
	s_cbranch_execnz .LBB176_2112
	s_branch .LBB176_2113
.LBB176_2404:
	s_or_saveexec_b32 s7, s7
                                        ; implicit-def: $sgpr11
	s_delay_alu instid0(SALU_CYCLE_1)
	s_xor_b32 exec_lo, exec_lo, s7
	s_cbranch_execz .LBB176_2217
.LBB176_2405:
	v_add_f32_e64 v3, 0x46000000, |v4|
	s_and_not1_b32 s6, s6, exec_lo
	s_mov_b32 s11, 0
	s_delay_alu instid0(VALU_DEP_1) | instskip(NEXT) | instid1(VALU_DEP_1)
	v_and_b32_e32 v3, 0xff, v3
	v_cmp_ne_u32_e32 vcc_lo, 0, v3
	s_and_b32 s12, vcc_lo, exec_lo
	s_delay_alu instid0(SALU_CYCLE_1)
	s_or_b32 s6, s6, s12
	s_or_b32 exec_lo, exec_lo, s7
	v_mov_b32_e32 v8, s11
	s_and_saveexec_b32 s7, s6
	s_cbranch_execnz .LBB176_2218
	s_branch .LBB176_2219
.LBB176_2406:
	s_trap 2
	s_sendmsg_rtn_b32 s0, sendmsg(MSG_RTN_GET_DOORBELL)
	s_mov_b32 ttmp2, m0
	s_waitcnt lgkmcnt(0)
	s_and_b32 s0, s0, 0x3ff
	s_delay_alu instid0(SALU_CYCLE_1) | instskip(NEXT) | instid1(SALU_CYCLE_1)
	s_bitset1_b32 s0, 10
	s_mov_b32 m0, s0
	s_sendmsg sendmsg(MSG_INTERRUPT)
	s_mov_b32 m0, ttmp2
.LBB176_2407:                           ; =>This Inner Loop Header: Depth=1
	s_sethalt 5
	s_branch .LBB176_2407
.LBB176_2408:
	s_cbranch_execnz .LBB176_2414
; %bb.2409:
	s_or_b32 s8, s8, exec_lo
	s_cbranch_execz .LBB176_2265
	s_branch .LBB176_2266
.LBB176_2410:
	s_or_saveexec_b32 s6, s6
                                        ; implicit-def: $sgpr7
	s_delay_alu instid0(SALU_CYCLE_1)
	s_xor_b32 exec_lo, exec_lo, s6
	s_cbranch_execz .LBB176_2230
.LBB176_2411:
	v_add_f32_e64 v3, 0x42800000, |v4|
	s_and_not1_b32 s3, s3, exec_lo
	s_mov_b32 s7, 0
	s_delay_alu instid0(VALU_DEP_1) | instskip(NEXT) | instid1(VALU_DEP_1)
	v_and_b32_e32 v3, 0xff, v3
	v_cmp_ne_u32_e32 vcc_lo, 0, v3
	s_and_b32 s11, vcc_lo, exec_lo
	s_delay_alu instid0(SALU_CYCLE_1)
	s_or_b32 s3, s3, s11
	s_or_b32 exec_lo, exec_lo, s6
	v_mov_b32_e32 v8, s7
	s_and_saveexec_b32 s6, s3
	s_cbranch_execnz .LBB176_2231
	s_branch .LBB176_2232
.LBB176_2412:
	s_or_saveexec_b32 s4, s4
                                        ; implicit-def: $sgpr5
	s_delay_alu instid0(SALU_CYCLE_1)
	s_xor_b32 exec_lo, exec_lo, s4
	s_cbranch_execz .LBB176_2337
.LBB176_2413:
	v_add_f32_e64 v2, 0x46000000, |v6|
	s_and_not1_b32 s3, s3, exec_lo
	s_mov_b32 s5, 0
	s_delay_alu instid0(VALU_DEP_1) | instskip(NEXT) | instid1(VALU_DEP_1)
	v_and_b32_e32 v2, 0xff, v2
	v_cmp_ne_u32_e32 vcc_lo, 0, v2
	s_and_b32 s6, vcc_lo, exec_lo
	s_delay_alu instid0(SALU_CYCLE_1)
	s_or_b32 s3, s3, s6
	s_or_b32 exec_lo, exec_lo, s4
	v_mov_b32_e32 v3, s5
	s_and_saveexec_b32 s4, s3
	s_cbranch_execnz .LBB176_2338
	s_branch .LBB176_2339
.LBB176_2414:
	s_trap 2
	s_sendmsg_rtn_b32 s0, sendmsg(MSG_RTN_GET_DOORBELL)
	s_mov_b32 ttmp2, m0
	s_waitcnt lgkmcnt(0)
	s_and_b32 s0, s0, 0x3ff
	s_delay_alu instid0(SALU_CYCLE_1) | instskip(NEXT) | instid1(SALU_CYCLE_1)
	s_bitset1_b32 s0, 10
	s_mov_b32 m0, s0
	s_sendmsg sendmsg(MSG_INTERRUPT)
	s_mov_b32 m0, ttmp2
.LBB176_2415:                           ; =>This Inner Loop Header: Depth=1
	s_sethalt 5
	s_branch .LBB176_2415
.LBB176_2416:
	s_cbranch_execnz .LBB176_2420
; %bb.2417:
	s_mov_b32 s1, 0
	s_or_b32 s8, s8, exec_lo
	s_branch .LBB176_2383
.LBB176_2418:
	s_or_saveexec_b32 s3, s3
                                        ; implicit-def: $sgpr4
	s_delay_alu instid0(SALU_CYCLE_1)
	s_xor_b32 exec_lo, exec_lo, s3
	s_cbranch_execz .LBB176_2349
.LBB176_2419:
	v_add_f32_e64 v2, 0x42800000, |v6|
	s_and_not1_b32 s2, s2, exec_lo
	s_mov_b32 s4, 0
	s_delay_alu instid0(VALU_DEP_1) | instskip(NEXT) | instid1(VALU_DEP_1)
	v_and_b32_e32 v2, 0xff, v2
	v_cmp_ne_u32_e32 vcc_lo, 0, v2
	s_and_b32 s5, vcc_lo, exec_lo
	s_delay_alu instid0(SALU_CYCLE_1)
	s_or_b32 s2, s2, s5
	s_or_b32 exec_lo, exec_lo, s3
	v_mov_b32_e32 v3, s4
	s_and_saveexec_b32 s3, s2
	s_cbranch_execnz .LBB176_2350
	s_branch .LBB176_2351
.LBB176_2420:
	s_trap 2
	s_sendmsg_rtn_b32 s0, sendmsg(MSG_RTN_GET_DOORBELL)
	s_mov_b32 ttmp2, m0
	s_waitcnt lgkmcnt(0)
	s_and_b32 s0, s0, 0x3ff
	s_delay_alu instid0(SALU_CYCLE_1) | instskip(NEXT) | instid1(SALU_CYCLE_1)
	s_bitset1_b32 s0, 10
	s_mov_b32 m0, s0
	s_sendmsg sendmsg(MSG_INTERRUPT)
	s_mov_b32 m0, ttmp2
.LBB176_2421:                           ; =>This Inner Loop Header: Depth=1
	s_sethalt 5
	s_branch .LBB176_2421
	.section	.rodata,"a",@progbits
	.p2align	6, 0x0
	.amdhsa_kernel _ZN2at6native32elementwise_kernel_manual_unrollILi128ELi4EZNS0_15gpu_kernel_implIZZZNS0_17rsqrt_kernel_cudaERNS_18TensorIteratorBaseEENKUlvE_clEvENKUlvE0_clEvEUlN3c107complexIfEEE_EEvS4_RKT_EUlibE_EEviT1_
		.amdhsa_group_segment_fixed_size 0
		.amdhsa_private_segment_fixed_size 0
		.amdhsa_kernarg_size 40
		.amdhsa_user_sgpr_count 15
		.amdhsa_user_sgpr_dispatch_ptr 0
		.amdhsa_user_sgpr_queue_ptr 0
		.amdhsa_user_sgpr_kernarg_segment_ptr 1
		.amdhsa_user_sgpr_dispatch_id 0
		.amdhsa_user_sgpr_private_segment_size 0
		.amdhsa_wavefront_size32 1
		.amdhsa_uses_dynamic_stack 0
		.amdhsa_enable_private_segment 0
		.amdhsa_system_sgpr_workgroup_id_x 1
		.amdhsa_system_sgpr_workgroup_id_y 0
		.amdhsa_system_sgpr_workgroup_id_z 0
		.amdhsa_system_sgpr_workgroup_info 0
		.amdhsa_system_vgpr_workitem_id 0
		.amdhsa_next_free_vgpr 20
		.amdhsa_next_free_sgpr 26
		.amdhsa_reserve_vcc 1
		.amdhsa_float_round_mode_32 0
		.amdhsa_float_round_mode_16_64 0
		.amdhsa_float_denorm_mode_32 3
		.amdhsa_float_denorm_mode_16_64 3
		.amdhsa_dx10_clamp 1
		.amdhsa_ieee_mode 1
		.amdhsa_fp16_overflow 0
		.amdhsa_workgroup_processor_mode 1
		.amdhsa_memory_ordered 1
		.amdhsa_forward_progress 0
		.amdhsa_shared_vgpr_count 0
		.amdhsa_exception_fp_ieee_invalid_op 0
		.amdhsa_exception_fp_denorm_src 0
		.amdhsa_exception_fp_ieee_div_zero 0
		.amdhsa_exception_fp_ieee_overflow 0
		.amdhsa_exception_fp_ieee_underflow 0
		.amdhsa_exception_fp_ieee_inexact 0
		.amdhsa_exception_int_div_zero 0
	.end_amdhsa_kernel
	.section	.text._ZN2at6native32elementwise_kernel_manual_unrollILi128ELi4EZNS0_15gpu_kernel_implIZZZNS0_17rsqrt_kernel_cudaERNS_18TensorIteratorBaseEENKUlvE_clEvENKUlvE0_clEvEUlN3c107complexIfEEE_EEvS4_RKT_EUlibE_EEviT1_,"axG",@progbits,_ZN2at6native32elementwise_kernel_manual_unrollILi128ELi4EZNS0_15gpu_kernel_implIZZZNS0_17rsqrt_kernel_cudaERNS_18TensorIteratorBaseEENKUlvE_clEvENKUlvE0_clEvEUlN3c107complexIfEEE_EEvS4_RKT_EUlibE_EEviT1_,comdat
.Lfunc_end176:
	.size	_ZN2at6native32elementwise_kernel_manual_unrollILi128ELi4EZNS0_15gpu_kernel_implIZZZNS0_17rsqrt_kernel_cudaERNS_18TensorIteratorBaseEENKUlvE_clEvENKUlvE0_clEvEUlN3c107complexIfEEE_EEvS4_RKT_EUlibE_EEviT1_, .Lfunc_end176-_ZN2at6native32elementwise_kernel_manual_unrollILi128ELi4EZNS0_15gpu_kernel_implIZZZNS0_17rsqrt_kernel_cudaERNS_18TensorIteratorBaseEENKUlvE_clEvENKUlvE0_clEvEUlN3c107complexIfEEE_EEvS4_RKT_EUlibE_EEviT1_
                                        ; -- End function
	.section	.AMDGPU.csdata,"",@progbits
; Kernel info:
; codeLenInByte = 51940
; NumSgprs: 28
; NumVgprs: 20
; ScratchSize: 0
; MemoryBound: 1
; FloatMode: 240
; IeeeMode: 1
; LDSByteSize: 0 bytes/workgroup (compile time only)
; SGPRBlocks: 3
; VGPRBlocks: 2
; NumSGPRsForWavesPerEU: 28
; NumVGPRsForWavesPerEU: 20
; Occupancy: 16
; WaveLimiterHint : 0
; COMPUTE_PGM_RSRC2:SCRATCH_EN: 0
; COMPUTE_PGM_RSRC2:USER_SGPR: 15
; COMPUTE_PGM_RSRC2:TRAP_HANDLER: 0
; COMPUTE_PGM_RSRC2:TGID_X_EN: 1
; COMPUTE_PGM_RSRC2:TGID_Y_EN: 0
; COMPUTE_PGM_RSRC2:TGID_Z_EN: 0
; COMPUTE_PGM_RSRC2:TIDIG_COMP_CNT: 0
	.section	.text._ZN2at6native32elementwise_kernel_manual_unrollILi128ELi4EZNS0_15gpu_kernel_implIZZZNS0_17rsqrt_kernel_cudaERNS_18TensorIteratorBaseEENKUlvE_clEvENKUlvE0_clEvEUlN3c107complexIfEEE_EEvS4_RKT_EUlibE0_EEviT1_,"axG",@progbits,_ZN2at6native32elementwise_kernel_manual_unrollILi128ELi4EZNS0_15gpu_kernel_implIZZZNS0_17rsqrt_kernel_cudaERNS_18TensorIteratorBaseEENKUlvE_clEvENKUlvE0_clEvEUlN3c107complexIfEEE_EEvS4_RKT_EUlibE0_EEviT1_,comdat
	.globl	_ZN2at6native32elementwise_kernel_manual_unrollILi128ELi4EZNS0_15gpu_kernel_implIZZZNS0_17rsqrt_kernel_cudaERNS_18TensorIteratorBaseEENKUlvE_clEvENKUlvE0_clEvEUlN3c107complexIfEEE_EEvS4_RKT_EUlibE0_EEviT1_ ; -- Begin function _ZN2at6native32elementwise_kernel_manual_unrollILi128ELi4EZNS0_15gpu_kernel_implIZZZNS0_17rsqrt_kernel_cudaERNS_18TensorIteratorBaseEENKUlvE_clEvENKUlvE0_clEvEUlN3c107complexIfEEE_EEvS4_RKT_EUlibE0_EEviT1_
	.p2align	8
	.type	_ZN2at6native32elementwise_kernel_manual_unrollILi128ELi4EZNS0_15gpu_kernel_implIZZZNS0_17rsqrt_kernel_cudaERNS_18TensorIteratorBaseEENKUlvE_clEvENKUlvE0_clEvEUlN3c107complexIfEEE_EEvS4_RKT_EUlibE0_EEviT1_,@function
_ZN2at6native32elementwise_kernel_manual_unrollILi128ELi4EZNS0_15gpu_kernel_implIZZZNS0_17rsqrt_kernel_cudaERNS_18TensorIteratorBaseEENKUlvE_clEvENKUlvE0_clEvEUlN3c107complexIfEEE_EEvS4_RKT_EUlibE0_EEviT1_: ; @_ZN2at6native32elementwise_kernel_manual_unrollILi128ELi4EZNS0_15gpu_kernel_implIZZZNS0_17rsqrt_kernel_cudaERNS_18TensorIteratorBaseEENKUlvE_clEvENKUlvE0_clEvEUlN3c107complexIfEEE_EEvS4_RKT_EUlibE0_EEviT1_
; %bb.0:
	s_clause 0x1
	s_load_b32 s24, s[0:1], 0x8
	s_load_b32 s30, s[0:1], 0x0
	v_lshl_or_b32 v8, s15, 9, v0
	s_or_b32 s16, s0, 8
	s_mov_b32 s3, -1
	s_mov_b32 s26, 0
	s_mov_b32 s17, s1
	v_or_b32_e32 v5, 0x180, v8
	s_mov_b32 s8, 0
	s_mov_b32 s2, exec_lo
	s_waitcnt lgkmcnt(0)
	s_add_i32 s25, s24, -1
	s_delay_alu instid0(SALU_CYCLE_1)
	s_cmp_gt_u32 s25, 1
	s_cselect_b32 s27, -1, 0
	v_cmpx_le_i32_e64 s30, v5
	s_xor_b32 s28, exec_lo, s2
	s_cbranch_execz .LBB177_1248
; %bb.1:
	v_mov_b32_e32 v0, 0
	s_clause 0x3
	s_load_b128 s[12:15], s[16:17], 0x4
	s_load_b64 s[18:19], s[16:17], 0x14
	s_load_b128 s[8:11], s[16:17], 0xc4
	s_load_b128 s[4:7], s[16:17], 0x148
	s_cmp_lg_u32 s24, 0
	s_mov_b32 s37, 0
	s_cselect_b32 s33, -1, 0
	global_load_u16 v7, v0, s[16:17] offset:345
	s_add_u32 s20, s16, 0xc4
	s_addc_u32 s21, s17, 0
	s_min_u32 s31, s25, 15
	s_cmp_gt_u32 s24, 1
	s_mov_b32 s35, 0
	s_cselect_b32 s29, -1, 0
	s_mov_b32 s34, 0
	s_mov_b32 s36, exec_lo
	s_waitcnt vmcnt(0)
	v_lshrrev_b16 v5, 8, v7
	v_cmpx_gt_i32_e64 s30, v8
	s_cbranch_execz .LBB177_306
; %bb.2:
	s_and_not1_b32 vcc_lo, exec_lo, s27
	s_cbranch_vccnz .LBB177_7
; %bb.3:
	v_dual_mov_b32 v0, 0 :: v_dual_mov_b32 v1, 0
	s_and_not1_b32 vcc_lo, exec_lo, s33
	s_cbranch_vccnz .LBB177_12
; %bb.4:
	v_mov_b32_e32 v0, 0
	s_add_i32 s38, s31, 1
	s_cmp_eq_u32 s25, 2
	s_cbranch_scc1 .LBB177_8
; %bb.5:
	v_dual_mov_b32 v1, 0 :: v_dual_mov_b32 v0, 0
	v_mov_b32_e32 v2, v8
	s_and_b32 s35, s38, 28
	s_mov_b32 s39, 0
	s_mov_b64 s[2:3], s[20:21]
	s_mov_b64 s[22:23], s[16:17]
.LBB177_6:                              ; =>This Inner Loop Header: Depth=1
	s_clause 0x1
	s_load_b256 s[40:47], s[22:23], 0x4
	s_load_b128 s[56:59], s[22:23], 0x24
	s_load_b256 s[48:55], s[2:3], 0x0
	s_add_u32 s22, s22, 48
	s_addc_u32 s23, s23, 0
	s_add_i32 s39, s39, 4
	s_add_u32 s2, s2, 32
	s_addc_u32 s3, s3, 0
	s_cmp_lg_u32 s35, s39
	s_waitcnt lgkmcnt(0)
	v_mul_hi_u32 v3, s41, v2
	s_delay_alu instid0(VALU_DEP_1) | instskip(NEXT) | instid1(VALU_DEP_1)
	v_add_nc_u32_e32 v3, v2, v3
	v_lshrrev_b32_e32 v3, s42, v3
	s_delay_alu instid0(VALU_DEP_1) | instskip(SKIP_1) | instid1(VALU_DEP_2)
	v_mul_hi_u32 v4, s44, v3
	v_mul_lo_u32 v9, v3, s40
	v_add_nc_u32_e32 v4, v3, v4
	s_delay_alu instid0(VALU_DEP_2) | instskip(NEXT) | instid1(VALU_DEP_2)
	v_sub_nc_u32_e32 v2, v2, v9
	v_lshrrev_b32_e32 v4, s45, v4
	s_delay_alu instid0(VALU_DEP_2) | instskip(SKIP_1) | instid1(VALU_DEP_3)
	v_mul_lo_u32 v9, v2, s48
	v_mul_lo_u32 v11, v2, s49
	v_mul_hi_u32 v6, s47, v4
	s_delay_alu instid0(VALU_DEP_1) | instskip(NEXT) | instid1(VALU_DEP_1)
	v_add_nc_u32_e32 v6, v4, v6
	v_lshrrev_b32_e32 v6, s56, v6
	s_delay_alu instid0(VALU_DEP_1) | instskip(SKIP_1) | instid1(VALU_DEP_2)
	v_mul_hi_u32 v10, s58, v6
	v_mul_lo_u32 v12, v6, s46
	v_add_nc_u32_e32 v2, v6, v10
	v_mul_lo_u32 v10, v4, s43
	s_delay_alu instid0(VALU_DEP_3) | instskip(NEXT) | instid1(VALU_DEP_3)
	v_sub_nc_u32_e32 v4, v4, v12
	v_lshrrev_b32_e32 v2, s59, v2
	s_delay_alu instid0(VALU_DEP_2) | instskip(SKIP_2) | instid1(VALU_DEP_4)
	v_mul_lo_u32 v12, v4, s52
	v_mul_lo_u32 v4, v4, s53
	v_sub_nc_u32_e32 v3, v3, v10
	v_mul_lo_u32 v13, v2, s57
	s_delay_alu instid0(VALU_DEP_2) | instskip(SKIP_1) | instid1(VALU_DEP_3)
	v_mul_lo_u32 v10, v3, s50
	v_mul_lo_u32 v3, v3, s51
	v_sub_nc_u32_e32 v6, v6, v13
	s_delay_alu instid0(VALU_DEP_3) | instskip(NEXT) | instid1(VALU_DEP_2)
	v_add3_u32 v0, v9, v0, v10
	v_mul_lo_u32 v13, v6, s54
	v_mul_lo_u32 v6, v6, s55
	v_add3_u32 v1, v11, v1, v3
	s_delay_alu instid0(VALU_DEP_3) | instskip(NEXT) | instid1(VALU_DEP_2)
	v_add3_u32 v0, v12, v0, v13
	v_add3_u32 v1, v4, v1, v6
	s_cbranch_scc1 .LBB177_6
	s_branch .LBB177_9
.LBB177_7:
	s_mov_b32 s34, -1
                                        ; implicit-def: $vgpr0
                                        ; implicit-def: $vgpr1
	s_branch .LBB177_12
.LBB177_8:
	v_dual_mov_b32 v2, v8 :: v_dual_mov_b32 v1, 0
.LBB177_9:
	s_and_b32 s38, s38, 3
	s_delay_alu instid0(SALU_CYCLE_1)
	s_cmp_eq_u32 s38, 0
	s_cbranch_scc1 .LBB177_12
; %bb.10:
	s_lshl_b32 s2, s35, 3
	s_mul_i32 s22, s35, 12
	s_add_u32 s2, s2, s16
	s_addc_u32 s3, s17, 0
	s_add_u32 s2, s2, 0xc4
	s_addc_u32 s3, s3, 0
	;; [unrolled: 2-line block ×3, first 2 shown]
	.p2align	6
.LBB177_11:                             ; =>This Inner Loop Header: Depth=1
	s_clause 0x1
	s_load_b64 s[40:41], s[22:23], 0x4
	s_load_b32 s35, s[22:23], 0xc
	s_load_b64 s[42:43], s[2:3], 0x0
	s_add_u32 s22, s22, 12
	s_addc_u32 s23, s23, 0
	s_add_u32 s2, s2, 8
	s_addc_u32 s3, s3, 0
	s_add_i32 s38, s38, -1
	s_delay_alu instid0(SALU_CYCLE_1) | instskip(SKIP_2) | instid1(VALU_DEP_1)
	s_cmp_lg_u32 s38, 0
	s_waitcnt lgkmcnt(0)
	v_mul_hi_u32 v3, s41, v2
	v_add_nc_u32_e32 v3, v2, v3
	s_delay_alu instid0(VALU_DEP_1) | instskip(NEXT) | instid1(VALU_DEP_1)
	v_lshrrev_b32_e32 v6, s35, v3
	v_mul_lo_u32 v3, v6, s40
	s_delay_alu instid0(VALU_DEP_1) | instskip(NEXT) | instid1(VALU_DEP_1)
	v_sub_nc_u32_e32 v2, v2, v3
	v_mad_u64_u32 v[3:4], null, v2, s42, v[0:1]
	v_mad_u64_u32 v[9:10], null, v2, s43, v[1:2]
	v_mov_b32_e32 v2, v6
	s_delay_alu instid0(VALU_DEP_2)
	v_dual_mov_b32 v0, v3 :: v_dual_mov_b32 v1, v9
	s_cbranch_scc1 .LBB177_11
.LBB177_12:
	s_and_not1_b32 vcc_lo, exec_lo, s34
	s_cbranch_vccnz .LBB177_15
; %bb.13:
	s_waitcnt lgkmcnt(0)
	v_mul_hi_u32 v0, s13, v8
	s_and_not1_b32 vcc_lo, exec_lo, s29
	s_delay_alu instid0(VALU_DEP_1) | instskip(NEXT) | instid1(VALU_DEP_1)
	v_add_nc_u32_e32 v0, v8, v0
	v_lshrrev_b32_e32 v2, s14, v0
	s_delay_alu instid0(VALU_DEP_1) | instskip(NEXT) | instid1(VALU_DEP_1)
	v_mul_lo_u32 v0, v2, s12
	v_sub_nc_u32_e32 v1, v8, v0
	s_delay_alu instid0(VALU_DEP_1)
	v_mul_lo_u32 v0, v1, s8
	v_mul_lo_u32 v1, v1, s9
	s_cbranch_vccnz .LBB177_15
; %bb.14:
	v_mul_hi_u32 v3, s18, v2
	s_delay_alu instid0(VALU_DEP_1) | instskip(NEXT) | instid1(VALU_DEP_1)
	v_add_nc_u32_e32 v3, v2, v3
	v_lshrrev_b32_e32 v3, s19, v3
	s_delay_alu instid0(VALU_DEP_1) | instskip(NEXT) | instid1(VALU_DEP_1)
	v_mul_lo_u32 v3, v3, s15
	v_sub_nc_u32_e32 v6, v2, v3
	s_delay_alu instid0(VALU_DEP_1) | instskip(NEXT) | instid1(VALU_DEP_1)
	v_mad_u64_u32 v[2:3], null, v6, s10, v[0:1]
	v_mad_u64_u32 v[3:4], null, v6, s11, v[1:2]
	s_delay_alu instid0(VALU_DEP_1)
	v_dual_mov_b32 v0, v2 :: v_dual_mov_b32 v1, v3
.LBB177_15:
	v_cmp_gt_i16_e32 vcc_lo, 11, v5
	s_waitcnt lgkmcnt(0)
	s_delay_alu instid0(VALU_DEP_2) | instskip(NEXT) | instid1(VALU_DEP_1)
	v_add_co_u32 v3, s2, s6, v1
	v_add_co_ci_u32_e64 v4, null, s7, 0, s2
	s_mov_b32 s22, 0
	s_cbranch_vccnz .LBB177_22
; %bb.16:
	v_cmp_lt_i16_e32 vcc_lo, 25, v5
	s_cbranch_vccz .LBB177_36
; %bb.17:
	v_cmp_lt_i16_e32 vcc_lo, 28, v5
	s_cbranch_vccz .LBB177_37
	;; [unrolled: 3-line block ×4, first 2 shown]
; %bb.20:
	v_cmp_eq_u16_e32 vcc_lo, 46, v5
	s_mov_b32 s3, 0
	s_cbranch_vccz .LBB177_183
; %bb.21:
	global_load_b32 v1, v[3:4], off
	s_mov_b32 s2, -1
	s_waitcnt vmcnt(0)
	v_and_b32_e32 v2, 0xffff0000, v1
	v_lshlrev_b32_e32 v1, 16, v1
	s_branch .LBB177_185
.LBB177_22:
	s_mov_b32 s2, 0
                                        ; implicit-def: $vgpr2
	s_cbranch_execnz .LBB177_254
.LBB177_23:
	s_and_not1_b32 vcc_lo, exec_lo, s2
	s_cbranch_vccnz .LBB177_303
.LBB177_24:
	s_waitcnt vmcnt(0)
	s_delay_alu instid0(VALU_DEP_2) | instskip(NEXT) | instid1(VALU_DEP_2)
	v_cmp_neq_f32_e32 vcc_lo, 0, v1
	v_cmp_neq_f32_e64 s2, 0, v2
	v_mov_b32_e32 v6, 0
	s_delay_alu instid0(VALU_DEP_2) | instskip(NEXT) | instid1(SALU_CYCLE_1)
	s_or_b32 s2, vcc_lo, s2
	s_and_saveexec_b32 s23, s2
	s_cbranch_execz .LBB177_58
; %bb.25:
	v_mov_b32_e32 v6, 0x7f800000
	s_mov_b32 s34, exec_lo
	v_cmpx_neq_f32_e64 0x7f800000, |v2|
	s_cbranch_execz .LBB177_57
; %bb.26:
	s_mov_b32 s2, exec_lo
	v_cmpx_o_f32_e32 v1, v1
	s_xor_b32 s35, exec_lo, s2
	s_cbranch_execz .LBB177_54
; %bb.27:
	s_mov_b32 s3, exec_lo
	v_cmpx_neq_f32_e64 0x7f800000, |v1|
	s_xor_b32 s38, exec_lo, s3
	s_cbranch_execz .LBB177_47
; %bb.28:
	v_max_f32_e64 v3, |v2|, |v2|
	v_max_f32_e64 v4, |v1|, |v1|
                                        ; implicit-def: $sgpr39
	s_delay_alu instid0(VALU_DEP_1) | instskip(NEXT) | instid1(VALU_DEP_1)
	v_max_f32_e32 v3, v4, v3
	v_cmp_nle_f32_e64 s2, 0x7ed413cb, v3
	s_delay_alu instid0(VALU_DEP_1) | instskip(NEXT) | instid1(SALU_CYCLE_1)
	s_and_saveexec_b32 s3, s2
	s_xor_b32 s3, exec_lo, s3
	s_cbranch_execz .LBB177_32
; %bb.29:
	v_cmp_ge_f32_e64 s39, 0x1000000, |v1|
	v_cmp_ge_f32_e64 s40, 0x1000000, |v2|
	s_delay_alu instid0(VALU_DEP_1)
	s_and_b32 s41, s39, s40
	s_mov_b32 s39, 0
	s_and_saveexec_b32 s40, s41
; %bb.30:
	v_dual_mul_f32 v2, 4.0, v2 :: v_dual_mul_f32 v1, 4.0, v1
	s_mov_b32 s39, exec_lo
; %bb.31:
	s_or_b32 exec_lo, exec_lo, s40
	s_delay_alu instid0(SALU_CYCLE_1)
	s_and_b32 s39, s39, exec_lo
.LBB177_32:
	s_and_not1_saveexec_b32 s3, s3
; %bb.33:
	v_dual_mul_f32 v1, 0x3e800000, v1 :: v_dual_mul_f32 v2, 0x3e800000, v2
	s_and_not1_b32 s39, s39, exec_lo
; %bb.34:
	s_or_b32 exec_lo, exec_lo, s3
	s_delay_alu instid0(VALU_DEP_1) | instskip(NEXT) | instid1(VALU_DEP_2)
	v_max_f32_e64 v3, |v2|, |v2|
	v_max_f32_e64 v4, |v1|, |v1|
	s_delay_alu instid0(VALU_DEP_1) | instskip(NEXT) | instid1(VALU_DEP_1)
	v_max_f32_e32 v6, v4, v3
	v_cvt_f64_f32_e32 v[3:4], v6
	s_delay_alu instid0(VALU_DEP_1) | instskip(NEXT) | instid1(VALU_DEP_1)
	v_frexp_exp_i32_f64_e32 v3, v[3:4]
	v_sub_nc_u32_e32 v4, 0, v3
	s_delay_alu instid0(VALU_DEP_1) | instskip(SKIP_1) | instid1(VALU_DEP_2)
	v_ldexp_f32 v9, |v2|, v4
	v_ldexp_f32 v4, |v1|, v4
	v_mul_f32_e32 v9, v9, v9
	v_cmp_neq_f32_e64 s3, 0x7f800000, v6
	s_delay_alu instid0(VALU_DEP_2) | instskip(NEXT) | instid1(VALU_DEP_1)
	v_fmac_f32_e32 v9, v4, v4
	v_sqrt_f32_e32 v4, v9
	s_waitcnt_depctr 0xfff
	v_ldexp_f32 v3, v4, v3
                                        ; implicit-def: $vgpr4
	s_delay_alu instid0(VALU_DEP_1)
	v_cndmask_b32_e64 v6, 0x7f800000, v3, s3
                                        ; implicit-def: $vgpr3
	s_mov_b32 s3, exec_lo
	v_cmpx_le_f32_e32 0, v1
	s_xor_b32 s40, exec_lo, s3
	s_cbranch_execz .LBB177_40
; %bb.35:
	v_add_f32_e32 v1, v1, v6
	s_delay_alu instid0(VALU_DEP_1) | instskip(NEXT) | instid1(VALU_DEP_1)
	v_mul_f32_e32 v1, 0.5, v1
	v_mul_f32_e32 v3, 0x4f800000, v1
	v_cmp_gt_f32_e32 vcc_lo, 0xf800000, v1
	s_delay_alu instid0(VALU_DEP_2) | instskip(NEXT) | instid1(VALU_DEP_1)
	v_cndmask_b32_e32 v1, v1, v3, vcc_lo
	v_sqrt_f32_e32 v3, v1
	s_waitcnt_depctr 0xfff
	v_add_nc_u32_e32 v4, -1, v3
	v_add_nc_u32_e32 v6, 1, v3
	s_delay_alu instid0(VALU_DEP_2) | instskip(NEXT) | instid1(VALU_DEP_2)
	v_fma_f32 v9, -v4, v3, v1
	v_fma_f32 v10, -v6, v3, v1
	s_delay_alu instid0(VALU_DEP_2) | instskip(NEXT) | instid1(VALU_DEP_1)
	v_cmp_ge_f32_e64 s3, 0, v9
	v_cndmask_b32_e64 v3, v3, v4, s3
	s_delay_alu instid0(VALU_DEP_3) | instskip(NEXT) | instid1(VALU_DEP_1)
	v_cmp_lt_f32_e64 s3, 0, v10
	v_cndmask_b32_e64 v3, v3, v6, s3
	s_delay_alu instid0(VALU_DEP_1) | instskip(NEXT) | instid1(VALU_DEP_1)
	v_mul_f32_e32 v4, 0x37800000, v3
	v_cndmask_b32_e32 v3, v3, v4, vcc_lo
	v_cmp_class_f32_e64 vcc_lo, v1, 0x260
	s_delay_alu instid0(VALU_DEP_2) | instskip(NEXT) | instid1(VALU_DEP_1)
	v_cndmask_b32_e32 v3, v3, v1, vcc_lo
	v_add_f32_e32 v1, v3, v3
	s_delay_alu instid0(VALU_DEP_1) | instskip(NEXT) | instid1(VALU_DEP_1)
	v_div_scale_f32 v4, null, v1, v1, v2
	v_rcp_f32_e32 v6, v4
	s_waitcnt_depctr 0xfff
	v_fma_f32 v9, -v4, v6, 1.0
	s_delay_alu instid0(VALU_DEP_1) | instskip(SKIP_1) | instid1(VALU_DEP_1)
	v_fmac_f32_e32 v6, v9, v6
	v_div_scale_f32 v9, vcc_lo, v2, v1, v2
	v_mul_f32_e32 v10, v9, v6
	s_delay_alu instid0(VALU_DEP_1) | instskip(NEXT) | instid1(VALU_DEP_1)
	v_fma_f32 v11, -v4, v10, v9
	v_fmac_f32_e32 v10, v11, v6
	s_delay_alu instid0(VALU_DEP_1) | instskip(NEXT) | instid1(VALU_DEP_1)
	v_fma_f32 v4, -v4, v10, v9
	v_div_fmas_f32 v4, v4, v6, v10
                                        ; implicit-def: $vgpr6
	s_delay_alu instid0(VALU_DEP_1)
	v_div_fixup_f32 v4, v4, v1, v2
                                        ; implicit-def: $vgpr1
	s_and_not1_saveexec_b32 s40, s40
	s_cbranch_execz .LBB177_42
	s_branch .LBB177_41
.LBB177_36:
	s_mov_b32 s2, 0
                                        ; implicit-def: $vgpr2
	s_cbranch_execnz .LBB177_220
	s_branch .LBB177_253
.LBB177_37:
	s_mov_b32 s3, -1
	s_mov_b32 s2, 0
                                        ; implicit-def: $vgpr2
	s_branch .LBB177_199
.LBB177_38:
	s_mov_b32 s3, -1
	s_mov_b32 s2, 0
                                        ; implicit-def: $vgpr2
	s_branch .LBB177_193
.LBB177_39:
	s_mov_b32 s3, -1
	s_branch .LBB177_184
.LBB177_40:
	s_and_not1_saveexec_b32 s40, s40
	s_cbranch_execz .LBB177_42
.LBB177_41:
	v_sub_f32_e32 v1, v6, v1
	s_delay_alu instid0(VALU_DEP_1) | instskip(NEXT) | instid1(VALU_DEP_1)
	v_mul_f32_e32 v1, 0.5, v1
	v_mul_f32_e32 v3, 0x4f800000, v1
	v_cmp_gt_f32_e32 vcc_lo, 0xf800000, v1
	s_delay_alu instid0(VALU_DEP_2) | instskip(NEXT) | instid1(VALU_DEP_1)
	v_cndmask_b32_e32 v1, v1, v3, vcc_lo
	v_sqrt_f32_e32 v3, v1
	s_waitcnt_depctr 0xfff
	v_add_nc_u32_e32 v4, -1, v3
	v_add_nc_u32_e32 v6, 1, v3
	s_delay_alu instid0(VALU_DEP_2) | instskip(NEXT) | instid1(VALU_DEP_2)
	v_fma_f32 v9, -v4, v3, v1
	v_fma_f32 v10, -v6, v3, v1
	s_delay_alu instid0(VALU_DEP_2) | instskip(NEXT) | instid1(VALU_DEP_1)
	v_cmp_ge_f32_e64 s3, 0, v9
	v_cndmask_b32_e64 v3, v3, v4, s3
	s_delay_alu instid0(VALU_DEP_3) | instskip(NEXT) | instid1(VALU_DEP_1)
	v_cmp_lt_f32_e64 s3, 0, v10
	v_cndmask_b32_e64 v3, v3, v6, s3
	s_delay_alu instid0(VALU_DEP_1) | instskip(NEXT) | instid1(VALU_DEP_1)
	v_mul_f32_e32 v4, 0x37800000, v3
	v_cndmask_b32_e32 v3, v3, v4, vcc_lo
	v_cmp_class_f32_e64 vcc_lo, v1, 0x260
	s_delay_alu instid0(VALU_DEP_2) | instskip(NEXT) | instid1(VALU_DEP_1)
	v_cndmask_b32_e32 v1, v3, v1, vcc_lo
	v_dual_add_f32 v4, v1, v1 :: v_dual_and_b32 v3, 0x7fffffff, v2
	s_delay_alu instid0(VALU_DEP_1) | instskip(SKIP_1) | instid1(VALU_DEP_2)
	v_div_scale_f32 v6, null, v4, v4, v3
	v_div_scale_f32 v3, vcc_lo, v3, v4, v3
	v_rcp_f32_e32 v9, v6
	s_waitcnt_depctr 0xfff
	v_fma_f32 v10, -v6, v9, 1.0
	s_delay_alu instid0(VALU_DEP_1) | instskip(NEXT) | instid1(VALU_DEP_1)
	v_fmac_f32_e32 v9, v10, v9
	v_mul_f32_e32 v10, v3, v9
	s_delay_alu instid0(VALU_DEP_1) | instskip(NEXT) | instid1(VALU_DEP_1)
	v_fma_f32 v11, -v6, v10, v3
	v_fmac_f32_e32 v10, v11, v9
	s_delay_alu instid0(VALU_DEP_1) | instskip(NEXT) | instid1(VALU_DEP_1)
	v_fma_f32 v3, -v6, v10, v3
	v_div_fmas_f32 v3, v3, v9, v10
	s_delay_alu instid0(VALU_DEP_1)
	v_div_fixup_f32 v3, v3, v4, |v2|
	v_bfi_b32 v4, 0x7fffffff, v1, v2
.LBB177_42:
	s_or_b32 exec_lo, exec_lo, s40
                                        ; implicit-def: $vgpr2
	s_and_saveexec_b32 s3, s2
	s_delay_alu instid0(SALU_CYCLE_1)
	s_xor_b32 s2, exec_lo, s3
	s_cbranch_execz .LBB177_44
; %bb.43:
	v_dual_mul_f32 v1, 0.5, v3 :: v_dual_mul_f32 v2, 0.5, v4
	s_delay_alu instid0(VALU_DEP_1) | instskip(NEXT) | instid1(VALU_DEP_2)
	v_cndmask_b32_e64 v1, v3, v1, s39
	v_cndmask_b32_e64 v2, v4, v2, s39
                                        ; implicit-def: $vgpr3
                                        ; implicit-def: $vgpr4
	s_and_not1_saveexec_b32 s2, s2
	s_cbranch_execnz .LBB177_45
	s_branch .LBB177_46
.LBB177_44:
	s_and_not1_saveexec_b32 s2, s2
.LBB177_45:
	v_dual_add_f32 v1, v3, v3 :: v_dual_add_f32 v2, v4, v4
.LBB177_46:
	s_or_b32 exec_lo, exec_lo, s2
.LBB177_47:
	s_and_not1_saveexec_b32 s2, s38
	s_cbranch_execz .LBB177_53
; %bb.48:
	s_delay_alu instid0(VALU_DEP_1)
	v_sub_f32_e32 v3, v2, v2
	s_mov_b32 s3, exec_lo
	v_cmpx_lt_i32_e32 -1, v1
	s_xor_b32 s3, exec_lo, s3
; %bb.49:
	s_delay_alu instid0(VALU_DEP_2)
	v_bfi_b32 v2, 0x7fffffff, v3, v2
                                        ; implicit-def: $vgpr3
; %bb.50:
	s_and_not1_saveexec_b32 s3, s3
; %bb.51:
	v_and_b32_e32 v3, 0x7fffffff, v3
	s_delay_alu instid0(VALU_DEP_2) | instskip(NEXT) | instid1(VALU_DEP_2)
	v_bfi_b32 v2, 0x7fffffff, v1, v2
	v_mov_b32_e32 v1, v3
; %bb.52:
	s_or_b32 exec_lo, exec_lo, s3
.LBB177_53:
	s_delay_alu instid0(SALU_CYCLE_1)
	s_or_b32 exec_lo, exec_lo, s2
.LBB177_54:
	s_and_not1_saveexec_b32 s2, s35
; %bb.55:
	v_sub_f32_e32 v2, v2, v2
	s_delay_alu instid0(VALU_DEP_1) | instskip(NEXT) | instid1(VALU_DEP_1)
	v_div_scale_f32 v3, vcc_lo, v2, v2, v2
	v_rcp_f32_e32 v4, v3
	s_waitcnt_depctr 0xfff
	v_fma_f32 v6, -v3, v4, 1.0
	s_delay_alu instid0(VALU_DEP_1) | instskip(NEXT) | instid1(VALU_DEP_1)
	v_fmac_f32_e32 v4, v6, v4
	v_mul_f32_e32 v6, v3, v4
	s_delay_alu instid0(VALU_DEP_1) | instskip(NEXT) | instid1(VALU_DEP_1)
	v_fma_f32 v9, -v3, v6, v3
	v_fmac_f32_e32 v6, v9, v4
	s_delay_alu instid0(VALU_DEP_1) | instskip(NEXT) | instid1(VALU_DEP_1)
	v_fma_f32 v3, -v3, v6, v3
	v_div_fmas_f32 v3, v3, v4, v6
	s_delay_alu instid0(VALU_DEP_1)
	v_div_fixup_f32 v2, v3, v2, v2
; %bb.56:
	s_or_b32 exec_lo, exec_lo, s2
	v_mov_b32_e32 v6, v1
.LBB177_57:
	s_or_b32 exec_lo, exec_lo, s34
.LBB177_58:
	s_delay_alu instid0(SALU_CYCLE_1) | instskip(NEXT) | instid1(VALU_DEP_1)
	s_or_b32 exec_lo, exec_lo, s23
	v_cmp_gt_f32_e32 vcc_lo, 0, v6
                                        ; implicit-def: $vgpr4
	s_mov_b32 s2, exec_lo
	v_cndmask_b32_e64 v1, v6, -v6, vcc_lo
	v_cmp_gt_f32_e32 vcc_lo, 0, v2
	v_cndmask_b32_e64 v9, v2, -v2, vcc_lo
	s_delay_alu instid0(VALU_DEP_1)
	v_cmpx_ge_f32_e32 v1, v9
	s_xor_b32 s3, exec_lo, s2
	s_cbranch_execz .LBB177_64
; %bb.59:
	v_cmp_neq_f32_e32 vcc_lo, 0, v6
	v_cmp_neq_f32_e64 s2, 0, v2
                                        ; implicit-def: $vgpr4
	s_delay_alu instid0(VALU_DEP_1) | instskip(NEXT) | instid1(SALU_CYCLE_1)
	s_or_b32 s2, vcc_lo, s2
	s_and_saveexec_b32 s23, s2
	s_delay_alu instid0(SALU_CYCLE_1)
	s_xor_b32 s2, exec_lo, s23
	s_cbranch_execz .LBB177_61
; %bb.60:
	v_div_scale_f32 v1, null, v6, v6, v2
	v_div_scale_f32 v9, vcc_lo, v2, v6, v2
	s_delay_alu instid0(VALU_DEP_2) | instskip(SKIP_2) | instid1(VALU_DEP_1)
	v_rcp_f32_e32 v3, v1
	s_waitcnt_depctr 0xfff
	v_fma_f32 v4, -v1, v3, 1.0
	v_fmac_f32_e32 v3, v4, v3
	s_delay_alu instid0(VALU_DEP_1) | instskip(NEXT) | instid1(VALU_DEP_1)
	v_mul_f32_e32 v4, v9, v3
	v_fma_f32 v10, -v1, v4, v9
	s_delay_alu instid0(VALU_DEP_1) | instskip(NEXT) | instid1(VALU_DEP_1)
	v_fmac_f32_e32 v4, v10, v3
	v_fma_f32 v1, -v1, v4, v9
	s_delay_alu instid0(VALU_DEP_1) | instskip(NEXT) | instid1(VALU_DEP_1)
	v_div_fmas_f32 v1, v1, v3, v4
	v_div_fixup_f32 v1, v1, v6, v2
	s_delay_alu instid0(VALU_DEP_1) | instskip(NEXT) | instid1(VALU_DEP_1)
	v_fmac_f32_e32 v6, v2, v1
	v_div_scale_f32 v2, null, v6, v6, 1.0
	v_div_scale_f32 v9, vcc_lo, 1.0, v6, 1.0
	s_delay_alu instid0(VALU_DEP_2) | instskip(SKIP_2) | instid1(VALU_DEP_1)
	v_rcp_f32_e32 v3, v2
	s_waitcnt_depctr 0xfff
	v_fma_f32 v4, -v2, v3, 1.0
	v_fmac_f32_e32 v3, v4, v3
	s_delay_alu instid0(VALU_DEP_1) | instskip(NEXT) | instid1(VALU_DEP_1)
	v_mul_f32_e32 v4, v9, v3
	v_fma_f32 v10, -v2, v4, v9
	s_delay_alu instid0(VALU_DEP_1) | instskip(NEXT) | instid1(VALU_DEP_1)
	v_fmac_f32_e32 v4, v10, v3
	v_fma_f32 v2, -v2, v4, v9
                                        ; implicit-def: $vgpr9
	s_delay_alu instid0(VALU_DEP_1) | instskip(SKIP_1) | instid1(VALU_DEP_2)
	v_div_fmas_f32 v2, v2, v3, v4
	v_fma_f32 v3, v1, 0, 1.0
	v_div_fixup_f32 v2, v2, v6, 1.0
	s_delay_alu instid0(VALU_DEP_1)
	v_mul_f32_e32 v3, v3, v2
	v_mul_f32_e64 v4, -v1, v2
                                        ; implicit-def: $vgpr1
.LBB177_61:
	s_and_not1_saveexec_b32 s23, s2
	s_cbranch_execz .LBB177_63
; %bb.62:
	v_div_scale_f32 v2, null, v1, v1, 1.0
	v_div_scale_f32 v3, null, v9, v9, 0
	v_div_scale_f32 v12, vcc_lo, 1.0, v1, 1.0
	s_delay_alu instid0(VALU_DEP_3) | instskip(NEXT) | instid1(VALU_DEP_2)
	v_rcp_f32_e32 v4, v2
	v_rcp_f32_e32 v6, v3
	s_waitcnt_depctr 0xfff
	v_fma_f32 v10, -v2, v4, 1.0
	v_fma_f32 v11, -v3, v6, 1.0
	s_delay_alu instid0(VALU_DEP_1) | instskip(NEXT) | instid1(VALU_DEP_3)
	v_fmac_f32_e32 v6, v11, v6
	v_fmac_f32_e32 v4, v10, v4
	v_div_scale_f32 v10, s2, 0, v9, 0
	s_delay_alu instid0(VALU_DEP_1) | instskip(NEXT) | instid1(VALU_DEP_1)
	v_mul_f32_e32 v13, v10, v6
	v_fma_f32 v15, -v3, v13, v10
	s_delay_alu instid0(VALU_DEP_1) | instskip(SKIP_1) | instid1(VALU_DEP_2)
	v_fmac_f32_e32 v13, v15, v6
	v_mul_f32_e32 v11, v12, v4
	v_fma_f32 v3, -v3, v13, v10
	s_delay_alu instid0(VALU_DEP_2) | instskip(NEXT) | instid1(VALU_DEP_1)
	v_fma_f32 v14, -v2, v11, v12
	v_fmac_f32_e32 v11, v14, v4
	s_delay_alu instid0(VALU_DEP_1) | instskip(NEXT) | instid1(VALU_DEP_1)
	v_fma_f32 v2, -v2, v11, v12
	v_div_fmas_f32 v2, v2, v4, v11
	s_mov_b32 vcc_lo, s2
	v_div_fmas_f32 v4, v3, v6, v13
	s_delay_alu instid0(VALU_DEP_2) | instskip(NEXT) | instid1(VALU_DEP_2)
	v_div_fixup_f32 v3, v2, v1, 1.0
	v_div_fixup_f32 v4, v4, v9, 0
.LBB177_63:
	s_or_b32 exec_lo, exec_lo, s23
                                        ; implicit-def: $vgpr2
                                        ; implicit-def: $vgpr6
.LBB177_64:
	s_and_not1_saveexec_b32 s2, s3
	s_cbranch_execz .LBB177_66
; %bb.65:
	v_div_scale_f32 v1, null, v2, v2, v6
	v_div_scale_f32 v9, vcc_lo, v6, v2, v6
	s_delay_alu instid0(VALU_DEP_2) | instskip(SKIP_2) | instid1(VALU_DEP_1)
	v_rcp_f32_e32 v3, v1
	s_waitcnt_depctr 0xfff
	v_fma_f32 v4, -v1, v3, 1.0
	v_fmac_f32_e32 v3, v4, v3
	s_delay_alu instid0(VALU_DEP_1) | instskip(NEXT) | instid1(VALU_DEP_1)
	v_mul_f32_e32 v4, v9, v3
	v_fma_f32 v10, -v1, v4, v9
	s_delay_alu instid0(VALU_DEP_1) | instskip(NEXT) | instid1(VALU_DEP_1)
	v_fmac_f32_e32 v4, v10, v3
	v_fma_f32 v1, -v1, v4, v9
	s_delay_alu instid0(VALU_DEP_1) | instskip(NEXT) | instid1(VALU_DEP_1)
	v_div_fmas_f32 v1, v1, v3, v4
	v_div_fixup_f32 v1, v1, v2, v6
	s_delay_alu instid0(VALU_DEP_1) | instskip(NEXT) | instid1(VALU_DEP_1)
	v_fmac_f32_e32 v2, v6, v1
	v_div_scale_f32 v3, null, v2, v2, 1.0
	v_div_scale_f32 v9, vcc_lo, 1.0, v2, 1.0
	s_delay_alu instid0(VALU_DEP_2) | instskip(SKIP_2) | instid1(VALU_DEP_1)
	v_rcp_f32_e32 v4, v3
	s_waitcnt_depctr 0xfff
	v_fma_f32 v6, -v3, v4, 1.0
	v_fmac_f32_e32 v4, v6, v4
	s_delay_alu instid0(VALU_DEP_1) | instskip(NEXT) | instid1(VALU_DEP_1)
	v_mul_f32_e32 v6, v9, v4
	v_fma_f32 v10, -v3, v6, v9
	s_delay_alu instid0(VALU_DEP_1) | instskip(NEXT) | instid1(VALU_DEP_1)
	v_fmac_f32_e32 v6, v10, v4
	v_fma_f32 v3, -v3, v6, v9
	s_delay_alu instid0(VALU_DEP_1) | instskip(SKIP_2) | instid1(VALU_DEP_3)
	v_div_fmas_f32 v3, v3, v4, v6
	v_add_f32_e32 v4, 0, v1
	v_fma_f32 v1, v1, 0, -1.0
	v_div_fixup_f32 v2, v3, v2, 1.0
	s_delay_alu instid0(VALU_DEP_1) | instskip(NEXT) | instid1(VALU_DEP_3)
	v_mul_f32_e32 v3, v4, v2
	v_mul_f32_e32 v4, v1, v2
.LBB177_66:
	s_or_b32 exec_lo, exec_lo, s2
	v_and_b32_e32 v2, 0xff, v7
	v_add_co_u32 v0, s3, s4, v0
	s_delay_alu instid0(VALU_DEP_1) | instskip(NEXT) | instid1(VALU_DEP_3)
	v_add_co_ci_u32_e64 v1, null, s5, 0, s3
	v_cmp_gt_i16_e32 vcc_lo, 11, v2
	s_mov_b32 s2, 0
	s_mov_b32 s23, -1
	s_mov_b32 s3, 0
	s_cbranch_vccnz .LBB177_143
; %bb.67:
	v_cmp_lt_i16_e32 vcc_lo, 25, v2
	s_cbranch_vccz .LBB177_100
; %bb.68:
	v_cmp_lt_i16_e32 vcc_lo, 28, v2
	s_cbranch_vccz .LBB177_83
	;; [unrolled: 3-line block ×4, first 2 shown]
; %bb.71:
	v_cmp_eq_u16_e32 vcc_lo, 46, v2
	s_mov_b32 s23, 0
	s_mov_b32 s2, -1
	s_cbranch_vccz .LBB177_73
; %bb.72:
	v_bfe_u32 v6, v4, 16, 1
	v_bfe_u32 v9, v3, 16, 1
	v_cmp_o_f32_e32 vcc_lo, v4, v4
	s_mov_b32 s3, -1
	s_mov_b32 s2, 0
	v_add3_u32 v6, v4, v6, 0x7fff
	v_add3_u32 v9, v3, v9, 0x7fff
	s_delay_alu instid0(VALU_DEP_2) | instskip(NEXT) | instid1(VALU_DEP_2)
	v_and_b32_e32 v6, 0xffff0000, v6
	v_lshrrev_b32_e32 v9, 16, v9
	s_delay_alu instid0(VALU_DEP_2) | instskip(SKIP_1) | instid1(VALU_DEP_3)
	v_cndmask_b32_e32 v6, 0x7fc00000, v6, vcc_lo
	v_cmp_o_f32_e32 vcc_lo, v3, v3
	v_cndmask_b32_e32 v9, 0x7fc0, v9, vcc_lo
	s_delay_alu instid0(VALU_DEP_1)
	v_or_b32_e32 v6, v6, v9
	global_store_b32 v[0:1], v6, off
.LBB177_73:
	s_and_b32 vcc_lo, exec_lo, s23
	s_cbranch_vccz .LBB177_78
; %bb.74:
	v_cmp_eq_u16_e32 vcc_lo, 44, v2
	s_mov_b32 s2, -1
	s_cbranch_vccz .LBB177_78
; %bb.75:
	v_bfe_u32 v9, v3, 23, 8
	v_mov_b32_e32 v6, 0xff
	s_mov_b32 s3, exec_lo
	s_delay_alu instid0(VALU_DEP_2)
	v_cmpx_ne_u32_e32 0xff, v9
; %bb.76:
	v_and_b32_e32 v6, 0x400000, v3
	v_and_or_b32 v9, 0x3fffff, v3, v9
	s_delay_alu instid0(VALU_DEP_2) | instskip(NEXT) | instid1(VALU_DEP_2)
	v_cmp_ne_u32_e32 vcc_lo, 0, v6
	v_cmp_ne_u32_e64 s2, 0, v9
	v_lshrrev_b32_e32 v6, 23, v3
	s_delay_alu instid0(VALU_DEP_2) | instskip(NEXT) | instid1(SALU_CYCLE_1)
	s_and_b32 s2, vcc_lo, s2
	v_cndmask_b32_e64 v9, 0, 1, s2
	s_delay_alu instid0(VALU_DEP_1)
	v_add_nc_u32_e32 v6, v6, v9
; %bb.77:
	s_or_b32 exec_lo, exec_lo, s3
	s_mov_b32 s3, -1
	s_mov_b32 s2, 0
	global_store_b8 v[0:1], v6, off
.LBB177_78:
	s_mov_b32 s23, 0
.LBB177_79:
	s_delay_alu instid0(SALU_CYCLE_1)
	s_and_b32 vcc_lo, exec_lo, s23
	s_cbranch_vccz .LBB177_82
; %bb.80:
	v_cmp_eq_u16_e32 vcc_lo, 29, v2
	s_mov_b32 s2, -1
	s_cbranch_vccz .LBB177_82
; %bb.81:
	v_trunc_f32_e32 v6, v3
	s_mov_b32 s3, -1
	s_mov_b32 s2, 0
	s_delay_alu instid0(VALU_DEP_1) | instskip(NEXT) | instid1(VALU_DEP_1)
	v_mul_f32_e32 v9, 0x2f800000, v6
	v_floor_f32_e32 v9, v9
	s_delay_alu instid0(VALU_DEP_1) | instskip(SKIP_1) | instid1(VALU_DEP_2)
	v_fmamk_f32 v6, v9, 0xcf800000, v6
	v_cvt_u32_f32_e32 v10, v9
	v_cvt_u32_f32_e32 v9, v6
	global_store_b64 v[0:1], v[9:10], off
.LBB177_82:
	s_mov_b32 s23, 0
.LBB177_83:
	s_delay_alu instid0(SALU_CYCLE_1)
	s_and_b32 vcc_lo, exec_lo, s23
	s_cbranch_vccz .LBB177_99
; %bb.84:
	v_cmp_gt_i16_e32 vcc_lo, 27, v2
	s_mov_b32 s3, -1
	s_cbranch_vccnz .LBB177_90
; %bb.85:
	v_cmp_lt_i16_e32 vcc_lo, 27, v2
	s_cbranch_vccz .LBB177_87
; %bb.86:
	v_cvt_u32_f32_e32 v6, v3
	s_mov_b32 s3, 0
	global_store_b32 v[0:1], v6, off
.LBB177_87:
	s_and_not1_b32 vcc_lo, exec_lo, s3
	s_cbranch_vccnz .LBB177_89
; %bb.88:
	v_cvt_u32_f32_e32 v6, v3
	global_store_b16 v[0:1], v6, off
.LBB177_89:
	s_mov_b32 s3, 0
.LBB177_90:
	s_delay_alu instid0(SALU_CYCLE_1)
	s_and_not1_b32 vcc_lo, exec_lo, s3
	s_cbranch_vccnz .LBB177_98
; %bb.91:
	v_and_b32_e32 v6, 0x7fffffff, v3
	v_mov_b32_e32 v9, 0x80
	s_mov_b32 s3, exec_lo
	s_delay_alu instid0(VALU_DEP_2)
	v_cmpx_gt_u32_e32 0x43800000, v6
	s_cbranch_execz .LBB177_97
; %bb.92:
	v_cmp_lt_u32_e32 vcc_lo, 0x3bffffff, v6
	s_mov_b32 s23, 0
                                        ; implicit-def: $vgpr6
	s_and_saveexec_b32 s34, vcc_lo
	s_delay_alu instid0(SALU_CYCLE_1)
	s_xor_b32 s34, exec_lo, s34
	s_cbranch_execz .LBB177_188
; %bb.93:
	v_bfe_u32 v6, v3, 20, 1
	s_mov_b32 s23, exec_lo
	s_delay_alu instid0(VALU_DEP_1) | instskip(NEXT) | instid1(VALU_DEP_1)
	v_add3_u32 v6, v3, v6, 0x487ffff
	v_lshrrev_b32_e32 v6, 20, v6
	s_or_saveexec_b32 s34, s34
                                        ; implicit-def: $sgpr35
	s_delay_alu instid0(SALU_CYCLE_1)
	s_xor_b32 exec_lo, exec_lo, s34
	s_cbranch_execnz .LBB177_189
.LBB177_94:
	s_or_b32 exec_lo, exec_lo, s34
	v_mov_b32_e32 v9, s35
	s_and_saveexec_b32 s34, s23
.LBB177_95:
	v_lshrrev_b32_e32 v9, 24, v3
	s_delay_alu instid0(VALU_DEP_1)
	v_and_or_b32 v9, 0x80, v9, v6
.LBB177_96:
	s_or_b32 exec_lo, exec_lo, s34
.LBB177_97:
	s_delay_alu instid0(SALU_CYCLE_1)
	s_or_b32 exec_lo, exec_lo, s3
	global_store_b8 v[0:1], v9, off
.LBB177_98:
	s_mov_b32 s3, -1
.LBB177_99:
	s_mov_b32 s23, 0
.LBB177_100:
	s_delay_alu instid0(SALU_CYCLE_1)
	s_and_b32 vcc_lo, exec_lo, s23
	s_cbranch_vccz .LBB177_141
; %bb.101:
	v_cmp_lt_i16_e32 vcc_lo, 22, v2
	s_mov_b32 s23, -1
	s_cbranch_vccz .LBB177_133
; %bb.102:
	v_cmp_gt_i16_e32 vcc_lo, 24, v2
	s_mov_b32 s3, -1
	s_cbranch_vccnz .LBB177_122
; %bb.103:
	v_cmp_lt_i16_e32 vcc_lo, 24, v2
	s_cbranch_vccz .LBB177_111
; %bb.104:
	v_and_b32_e32 v6, 0x7fffffff, v3
	v_mov_b32_e32 v9, 0x80
	s_mov_b32 s3, exec_lo
	s_delay_alu instid0(VALU_DEP_2)
	v_cmpx_gt_u32_e32 0x47800000, v6
	s_cbranch_execz .LBB177_110
; %bb.105:
	v_cmp_lt_u32_e32 vcc_lo, 0x37ffffff, v6
	s_mov_b32 s23, 0
                                        ; implicit-def: $vgpr6
	s_and_saveexec_b32 s34, vcc_lo
	s_delay_alu instid0(SALU_CYCLE_1)
	s_xor_b32 s34, exec_lo, s34
	s_cbranch_execz .LBB177_422
; %bb.106:
	v_bfe_u32 v6, v3, 21, 1
	s_mov_b32 s23, exec_lo
	s_delay_alu instid0(VALU_DEP_1) | instskip(NEXT) | instid1(VALU_DEP_1)
	v_add3_u32 v6, v3, v6, 0x88fffff
	v_lshrrev_b32_e32 v6, 21, v6
	s_or_saveexec_b32 s34, s34
                                        ; implicit-def: $sgpr35
	s_delay_alu instid0(SALU_CYCLE_1)
	s_xor_b32 exec_lo, exec_lo, s34
	s_cbranch_execnz .LBB177_423
.LBB177_107:
	s_or_b32 exec_lo, exec_lo, s34
	v_mov_b32_e32 v9, s35
	s_and_saveexec_b32 s34, s23
.LBB177_108:
	v_lshrrev_b32_e32 v9, 24, v3
	s_delay_alu instid0(VALU_DEP_1)
	v_and_or_b32 v9, 0x80, v9, v6
.LBB177_109:
	s_or_b32 exec_lo, exec_lo, s34
.LBB177_110:
	s_delay_alu instid0(SALU_CYCLE_1)
	s_or_b32 exec_lo, exec_lo, s3
	s_mov_b32 s3, 0
	global_store_b8 v[0:1], v9, off
.LBB177_111:
	s_and_b32 vcc_lo, exec_lo, s3
	s_cbranch_vccz .LBB177_121
; %bb.112:
	v_and_b32_e32 v9, 0x7fffffff, v3
	s_mov_b32 s3, exec_lo
                                        ; implicit-def: $vgpr6
	s_delay_alu instid0(VALU_DEP_1)
	v_cmpx_gt_u32_e32 0x43f00000, v9
	s_xor_b32 s3, exec_lo, s3
	s_cbranch_execz .LBB177_118
; %bb.113:
	s_mov_b32 s23, exec_lo
                                        ; implicit-def: $vgpr6
	v_cmpx_lt_u32_e32 0x3c7fffff, v9
	s_xor_b32 s23, exec_lo, s23
; %bb.114:
	v_bfe_u32 v6, v3, 20, 1
	s_delay_alu instid0(VALU_DEP_1) | instskip(NEXT) | instid1(VALU_DEP_1)
	v_add3_u32 v6, v3, v6, 0x407ffff
	v_and_b32_e32 v9, 0xff00000, v6
	v_lshrrev_b32_e32 v6, 20, v6
	s_delay_alu instid0(VALU_DEP_2) | instskip(NEXT) | instid1(VALU_DEP_2)
	v_cmp_ne_u32_e32 vcc_lo, 0x7f00000, v9
	v_cndmask_b32_e32 v6, 0x7e, v6, vcc_lo
; %bb.115:
	s_and_not1_saveexec_b32 s23, s23
; %bb.116:
	v_add_f32_e64 v6, 0x46800000, |v3|
; %bb.117:
	s_or_b32 exec_lo, exec_lo, s23
                                        ; implicit-def: $vgpr9
.LBB177_118:
	s_and_not1_saveexec_b32 s3, s3
; %bb.119:
	v_mov_b32_e32 v6, 0x7f
	v_cmp_lt_u32_e32 vcc_lo, 0x7f800000, v9
	s_delay_alu instid0(VALU_DEP_2)
	v_cndmask_b32_e32 v6, 0x7e, v6, vcc_lo
; %bb.120:
	s_or_b32 exec_lo, exec_lo, s3
	v_lshrrev_b32_e32 v9, 24, v3
	s_delay_alu instid0(VALU_DEP_1)
	v_and_or_b32 v6, 0x80, v9, v6
	global_store_b8 v[0:1], v6, off
.LBB177_121:
	s_mov_b32 s3, 0
.LBB177_122:
	s_delay_alu instid0(SALU_CYCLE_1)
	s_and_not1_b32 vcc_lo, exec_lo, s3
	s_cbranch_vccnz .LBB177_132
; %bb.123:
	v_and_b32_e32 v9, 0x7fffffff, v3
	s_mov_b32 s3, exec_lo
                                        ; implicit-def: $vgpr6
	s_delay_alu instid0(VALU_DEP_1)
	v_cmpx_gt_u32_e32 0x47800000, v9
	s_xor_b32 s3, exec_lo, s3
	s_cbranch_execz .LBB177_129
; %bb.124:
	s_mov_b32 s23, exec_lo
                                        ; implicit-def: $vgpr6
	v_cmpx_lt_u32_e32 0x387fffff, v9
	s_xor_b32 s23, exec_lo, s23
; %bb.125:
	v_bfe_u32 v6, v3, 21, 1
	s_delay_alu instid0(VALU_DEP_1) | instskip(NEXT) | instid1(VALU_DEP_1)
	v_add3_u32 v6, v3, v6, 0x80fffff
	v_lshrrev_b32_e32 v6, 21, v6
; %bb.126:
	s_and_not1_saveexec_b32 s23, s23
; %bb.127:
	v_add_f32_e64 v6, 0x43000000, |v3|
; %bb.128:
	s_or_b32 exec_lo, exec_lo, s23
                                        ; implicit-def: $vgpr9
.LBB177_129:
	s_and_not1_saveexec_b32 s3, s3
; %bb.130:
	v_mov_b32_e32 v6, 0x7f
	v_cmp_lt_u32_e32 vcc_lo, 0x7f800000, v9
	s_delay_alu instid0(VALU_DEP_2)
	v_cndmask_b32_e32 v6, 0x7c, v6, vcc_lo
; %bb.131:
	s_or_b32 exec_lo, exec_lo, s3
	v_lshrrev_b32_e32 v9, 24, v3
	s_delay_alu instid0(VALU_DEP_1)
	v_and_or_b32 v6, 0x80, v9, v6
	global_store_b8 v[0:1], v6, off
.LBB177_132:
	s_mov_b32 s23, 0
	s_mov_b32 s3, -1
.LBB177_133:
	s_and_not1_b32 vcc_lo, exec_lo, s23
	s_cbranch_vccnz .LBB177_141
; %bb.134:
	v_cmp_lt_i16_e32 vcc_lo, 14, v2
	s_mov_b32 s23, -1
	s_cbranch_vccz .LBB177_138
; %bb.135:
	v_cmp_eq_u16_e32 vcc_lo, 15, v2
	s_mov_b32 s2, -1
	s_cbranch_vccz .LBB177_137
; %bb.136:
	v_bfe_u32 v6, v3, 16, 1
	v_cmp_o_f32_e32 vcc_lo, v3, v3
	s_mov_b32 s3, -1
	s_mov_b32 s2, 0
	s_delay_alu instid0(VALU_DEP_2) | instskip(NEXT) | instid1(VALU_DEP_1)
	v_add3_u32 v6, v3, v6, 0x7fff
	v_lshrrev_b32_e32 v6, 16, v6
	s_delay_alu instid0(VALU_DEP_1)
	v_cndmask_b32_e32 v6, 0x7fc0, v6, vcc_lo
	global_store_b16 v[0:1], v6, off
.LBB177_137:
	s_mov_b32 s23, 0
.LBB177_138:
	s_delay_alu instid0(SALU_CYCLE_1)
	s_and_b32 vcc_lo, exec_lo, s23
	s_cbranch_vccz .LBB177_141
; %bb.139:
	v_cmp_eq_u16_e32 vcc_lo, 11, v2
	s_mov_b32 s2, -1
	s_cbranch_vccz .LBB177_141
; %bb.140:
	v_cmp_neq_f32_e32 vcc_lo, 0, v3
	v_cmp_neq_f32_e64 s2, 0, v4
	s_mov_b32 s3, -1
	s_delay_alu instid0(VALU_DEP_1) | instskip(NEXT) | instid1(SALU_CYCLE_1)
	s_or_b32 s2, vcc_lo, s2
	v_cndmask_b32_e64 v6, 0, 1, s2
	s_mov_b32 s2, 0
	global_store_b8 v[0:1], v6, off
.LBB177_141:
.LBB177_142:
	s_and_not1_b32 vcc_lo, exec_lo, s3
	s_cbranch_vccz .LBB177_182
	s_branch .LBB177_304
.LBB177_143:
	s_and_b32 vcc_lo, exec_lo, s23
	s_cbranch_vccz .LBB177_142
; %bb.144:
	v_cmp_gt_i16_e32 vcc_lo, 5, v2
	s_mov_b32 s3, -1
	s_cbranch_vccnz .LBB177_165
; %bb.145:
	v_cmp_gt_i16_e32 vcc_lo, 8, v2
	s_cbranch_vccnz .LBB177_155
; %bb.146:
	v_cmp_gt_i16_e32 vcc_lo, 9, v2
	s_cbranch_vccnz .LBB177_152
; %bb.147:
	v_cmp_lt_i16_e32 vcc_lo, 9, v2
	s_cbranch_vccz .LBB177_149
; %bb.148:
	v_cvt_f64_f32_e32 v[9:10], v3
	v_cvt_f64_f32_e32 v[11:12], v4
	s_mov_b32 s3, 0
	global_store_b128 v[0:1], v[9:12], off
.LBB177_149:
	s_and_not1_b32 vcc_lo, exec_lo, s3
	s_cbranch_vccnz .LBB177_151
; %bb.150:
	global_store_b64 v[0:1], v[3:4], off
.LBB177_151:
	s_mov_b32 s3, 0
.LBB177_152:
	s_delay_alu instid0(SALU_CYCLE_1)
	s_and_not1_b32 vcc_lo, exec_lo, s3
	s_cbranch_vccnz .LBB177_154
; %bb.153:
	v_cvt_f16_f32_e32 v4, v4
	v_cvt_f16_f32_e32 v6, v3
	s_delay_alu instid0(VALU_DEP_2) | instskip(NEXT) | instid1(VALU_DEP_2)
	v_lshlrev_b32_e32 v4, 16, v4
	v_and_b32_e32 v6, 0xffff, v6
	s_delay_alu instid0(VALU_DEP_1)
	v_or_b32_e32 v4, v4, v6
	global_store_b32 v[0:1], v4, off
.LBB177_154:
	s_mov_b32 s3, 0
.LBB177_155:
	s_delay_alu instid0(SALU_CYCLE_1)
	s_and_not1_b32 vcc_lo, exec_lo, s3
	s_cbranch_vccnz .LBB177_164
; %bb.156:
	v_cmp_gt_i16_e32 vcc_lo, 6, v2
	s_mov_b32 s3, -1
	s_cbranch_vccnz .LBB177_162
; %bb.157:
	v_cmp_lt_i16_e32 vcc_lo, 6, v2
	s_cbranch_vccz .LBB177_159
; %bb.158:
	v_cvt_f64_f32_e32 v[9:10], v3
	s_mov_b32 s3, 0
	global_store_b64 v[0:1], v[9:10], off
.LBB177_159:
	s_and_not1_b32 vcc_lo, exec_lo, s3
	s_cbranch_vccnz .LBB177_161
; %bb.160:
	global_store_b32 v[0:1], v3, off
.LBB177_161:
	s_mov_b32 s3, 0
.LBB177_162:
	s_delay_alu instid0(SALU_CYCLE_1)
	s_and_not1_b32 vcc_lo, exec_lo, s3
	s_cbranch_vccnz .LBB177_164
; %bb.163:
	v_cvt_f16_f32_e32 v4, v3
	global_store_b16 v[0:1], v4, off
.LBB177_164:
	s_mov_b32 s3, 0
.LBB177_165:
	s_delay_alu instid0(SALU_CYCLE_1)
	s_and_not1_b32 vcc_lo, exec_lo, s3
	s_cbranch_vccnz .LBB177_181
; %bb.166:
	v_cmp_gt_i16_e32 vcc_lo, 2, v2
	s_mov_b32 s3, -1
	s_cbranch_vccnz .LBB177_176
; %bb.167:
	v_cmp_gt_i16_e32 vcc_lo, 3, v2
	s_cbranch_vccnz .LBB177_173
; %bb.168:
	v_cmp_lt_i16_e32 vcc_lo, 3, v2
	s_cbranch_vccz .LBB177_170
; %bb.169:
	v_trunc_f32_e32 v4, v3
	s_mov_b32 s3, 0
	s_delay_alu instid0(VALU_DEP_1) | instskip(NEXT) | instid1(VALU_DEP_1)
	v_mul_f32_e64 v6, 0x2f800000, |v4|
	v_floor_f32_e32 v6, v6
	s_delay_alu instid0(VALU_DEP_1) | instskip(SKIP_2) | instid1(VALU_DEP_3)
	v_fma_f32 v9, 0xcf800000, v6, |v4|
	v_ashrrev_i32_e32 v4, 31, v4
	v_cvt_u32_f32_e32 v6, v6
	v_cvt_u32_f32_e32 v9, v9
	s_delay_alu instid0(VALU_DEP_2) | instskip(NEXT) | instid1(VALU_DEP_2)
	v_xor_b32_e32 v6, v6, v4
	v_xor_b32_e32 v9, v9, v4
	s_delay_alu instid0(VALU_DEP_1) | instskip(NEXT) | instid1(VALU_DEP_3)
	v_sub_co_u32 v9, vcc_lo, v9, v4
	v_sub_co_ci_u32_e32 v10, vcc_lo, v6, v4, vcc_lo
	global_store_b64 v[0:1], v[9:10], off
.LBB177_170:
	s_and_not1_b32 vcc_lo, exec_lo, s3
	s_cbranch_vccnz .LBB177_172
; %bb.171:
	v_cvt_i32_f32_e32 v4, v3
	global_store_b32 v[0:1], v4, off
.LBB177_172:
	s_mov_b32 s3, 0
.LBB177_173:
	s_delay_alu instid0(SALU_CYCLE_1)
	s_and_not1_b32 vcc_lo, exec_lo, s3
	s_cbranch_vccnz .LBB177_175
; %bb.174:
	v_cvt_i32_f32_e32 v4, v3
	global_store_b16 v[0:1], v4, off
.LBB177_175:
	s_mov_b32 s3, 0
.LBB177_176:
	s_delay_alu instid0(SALU_CYCLE_1)
	s_and_not1_b32 vcc_lo, exec_lo, s3
	s_cbranch_vccnz .LBB177_181
; %bb.177:
	v_cmp_lt_i16_e32 vcc_lo, 0, v2
	s_mov_b32 s3, -1
	s_cbranch_vccz .LBB177_179
; %bb.178:
	v_cvt_i32_f32_e32 v2, v3
	s_mov_b32 s3, 0
	global_store_b8 v[0:1], v2, off
.LBB177_179:
	s_and_not1_b32 vcc_lo, exec_lo, s3
	s_cbranch_vccnz .LBB177_181
; %bb.180:
	v_trunc_f32_e32 v2, v3
	s_delay_alu instid0(VALU_DEP_1) | instskip(NEXT) | instid1(VALU_DEP_1)
	v_mul_f32_e64 v3, 0x2f800000, |v2|
	v_floor_f32_e32 v3, v3
	s_delay_alu instid0(VALU_DEP_1) | instskip(SKIP_1) | instid1(VALU_DEP_2)
	v_fma_f32 v3, 0xcf800000, v3, |v2|
	v_ashrrev_i32_e32 v2, 31, v2
	v_cvt_u32_f32_e32 v3, v3
	s_delay_alu instid0(VALU_DEP_1) | instskip(NEXT) | instid1(VALU_DEP_1)
	v_xor_b32_e32 v3, v3, v2
	v_sub_nc_u32_e32 v2, v3, v2
	global_store_b8 v[0:1], v2, off
.LBB177_181:
.LBB177_182:
	v_add_nc_u32_e32 v8, 0x80, v8
	s_mov_b32 s3, -1
	s_branch .LBB177_305
.LBB177_183:
	s_mov_b32 s22, -1
.LBB177_184:
	s_mov_b32 s2, 0
                                        ; implicit-def: $vgpr2
.LBB177_185:
	s_and_b32 vcc_lo, exec_lo, s3
	s_cbranch_vccz .LBB177_192
; %bb.186:
	v_cmp_eq_u16_e32 vcc_lo, 44, v5
	s_cbranch_vccz .LBB177_190
; %bb.187:
	global_load_u8 v1, v[3:4], off
	s_mov_b32 s22, 0
	s_mov_b32 s2, -1
	s_waitcnt vmcnt(0)
	v_lshlrev_b32_e32 v2, 23, v1
	v_cmp_ne_u32_e32 vcc_lo, 0xff, v1
	s_delay_alu instid0(VALU_DEP_2) | instskip(SKIP_1) | instid1(VALU_DEP_2)
	v_cndmask_b32_e32 v2, 0x7f800001, v2, vcc_lo
	v_cmp_ne_u32_e32 vcc_lo, 0, v1
	v_cndmask_b32_e32 v1, 0x400000, v2, vcc_lo
	s_branch .LBB177_191
.LBB177_188:
	s_or_saveexec_b32 s34, s34
                                        ; implicit-def: $sgpr35
	s_delay_alu instid0(SALU_CYCLE_1)
	s_xor_b32 exec_lo, exec_lo, s34
	s_cbranch_execz .LBB177_94
.LBB177_189:
	v_add_f32_e64 v6, 0x46000000, |v3|
	s_and_not1_b32 s23, s23, exec_lo
	s_mov_b32 s35, 0
	s_delay_alu instid0(VALU_DEP_1) | instskip(NEXT) | instid1(VALU_DEP_1)
	v_and_b32_e32 v6, 0xff, v6
	v_cmp_ne_u32_e32 vcc_lo, 0, v6
	s_and_b32 s38, vcc_lo, exec_lo
	s_delay_alu instid0(SALU_CYCLE_1)
	s_or_b32 s23, s23, s38
	s_or_b32 exec_lo, exec_lo, s34
	v_mov_b32_e32 v9, s35
	s_and_saveexec_b32 s34, s23
	s_cbranch_execnz .LBB177_95
	s_branch .LBB177_96
.LBB177_190:
	s_mov_b32 s22, -1
                                        ; implicit-def: $vgpr1
.LBB177_191:
	s_delay_alu instid0(SALU_CYCLE_1)
	v_mov_b32_e32 v2, s22
.LBB177_192:
	s_mov_b32 s3, 0
.LBB177_193:
	s_delay_alu instid0(SALU_CYCLE_1)
	s_and_b32 vcc_lo, exec_lo, s3
	s_cbranch_vccz .LBB177_198
; %bb.194:
	v_cmp_eq_u16_e32 vcc_lo, 29, v5
	s_cbranch_vccz .LBB177_196
; %bb.195:
	global_load_b64 v[1:2], v[3:4], off
	s_mov_b32 s2, -1
	s_mov_b32 s22, 0
	s_mov_b32 s3, 0
	s_waitcnt vmcnt(0)
	v_clz_i32_u32_e32 v6, v2
	s_delay_alu instid0(VALU_DEP_1) | instskip(NEXT) | instid1(VALU_DEP_1)
	v_min_u32_e32 v6, 32, v6
	v_lshlrev_b64 v[1:2], v6, v[1:2]
	s_delay_alu instid0(VALU_DEP_1) | instskip(NEXT) | instid1(VALU_DEP_1)
	v_min_u32_e32 v1, 1, v1
	v_or_b32_e32 v1, v2, v1
	v_sub_nc_u32_e32 v2, 32, v6
	s_delay_alu instid0(VALU_DEP_2) | instskip(NEXT) | instid1(VALU_DEP_1)
	v_cvt_f32_u32_e32 v1, v1
	v_ldexp_f32 v1, v1, v2
	s_branch .LBB177_197
.LBB177_196:
	s_mov_b32 s22, -1
                                        ; implicit-def: $sgpr3
                                        ; implicit-def: $vgpr1
.LBB177_197:
	v_mov_b32_e32 v2, s3
.LBB177_198:
	s_mov_b32 s3, 0
.LBB177_199:
	s_delay_alu instid0(SALU_CYCLE_1)
	s_and_b32 vcc_lo, exec_lo, s3
	s_cbranch_vccz .LBB177_219
; %bb.200:
	v_cmp_gt_i16_e32 vcc_lo, 27, v5
	s_cbranch_vccnz .LBB177_203
; %bb.201:
	v_cmp_lt_i16_e32 vcc_lo, 27, v5
	s_cbranch_vccz .LBB177_204
; %bb.202:
	global_load_b32 v1, v[3:4], off
	s_mov_b32 s3, 0
	s_mov_b32 s2, 0
	s_waitcnt vmcnt(0)
	v_cvt_f32_u32_e32 v1, v1
	s_branch .LBB177_205
.LBB177_203:
	s_mov_b32 s3, -1
                                        ; implicit-def: $sgpr2
                                        ; implicit-def: $vgpr1
	s_branch .LBB177_208
.LBB177_204:
	s_mov_b32 s3, -1
                                        ; implicit-def: $sgpr2
                                        ; implicit-def: $vgpr1
.LBB177_205:
	s_delay_alu instid0(SALU_CYCLE_1)
	s_and_not1_b32 vcc_lo, exec_lo, s3
	s_cbranch_vccnz .LBB177_207
; %bb.206:
	global_load_u16 v1, v[3:4], off
	s_mov_b32 s2, 0
	s_waitcnt vmcnt(0)
	v_cvt_f32_u32_e32 v1, v1
.LBB177_207:
	s_mov_b32 s3, 0
.LBB177_208:
	v_mov_b32_e32 v2, s2
	s_and_not1_b32 vcc_lo, exec_lo, s3
	s_cbranch_vccnz .LBB177_218
; %bb.209:
	global_load_u8 v6, v[3:4], off
	s_mov_b32 s2, 0
	s_mov_b32 s34, exec_lo
                                        ; implicit-def: $sgpr23
                                        ; implicit-def: $sgpr3
	s_waitcnt vmcnt(0)
	v_cmpx_lt_i16_e32 0x7f, v6
	s_xor_b32 s34, exec_lo, s34
	s_cbranch_execz .LBB177_213
; %bb.210:
	s_mov_b32 s2, -1
	s_mov_b32 s35, exec_lo
                                        ; implicit-def: $sgpr23
                                        ; implicit-def: $sgpr3
	v_cmpx_eq_u16_e32 0x80, v6
; %bb.211:
	s_mov_b32 s3, 0x7f800001
	s_mov_b32 s23, 0
	s_xor_b32 s2, exec_lo, -1
; %bb.212:
	s_or_b32 exec_lo, exec_lo, s35
	s_delay_alu instid0(SALU_CYCLE_1)
	s_and_b32 s2, s2, exec_lo
.LBB177_213:
	s_or_saveexec_b32 s34, s34
	v_dual_mov_b32 v2, s23 :: v_dual_mov_b32 v1, s3
	s_xor_b32 exec_lo, exec_lo, s34
; %bb.214:
	v_mov_b32_e32 v2, 0
	v_cmp_ne_u16_e32 vcc_lo, 0, v6
	s_and_not1_b32 s2, s2, exec_lo
	s_delay_alu instid0(VALU_DEP_2) | instskip(SKIP_1) | instid1(SALU_CYCLE_1)
	v_mov_b32_e32 v1, v2
	s_and_b32 s3, vcc_lo, exec_lo
	s_or_b32 s2, s2, s3
; %bb.215:
	s_or_b32 exec_lo, exec_lo, s34
	s_and_saveexec_b32 s3, s2
	s_cbranch_execz .LBB177_217
; %bb.216:
	v_and_b32_e32 v1, 0xffff, v6
	v_lshlrev_b32_e32 v6, 24, v6
	s_delay_alu instid0(VALU_DEP_2) | instskip(NEXT) | instid1(VALU_DEP_2)
	v_and_b32_e32 v2, 7, v1
	v_and_b32_e32 v6, 0x80000000, v6
	s_delay_alu instid0(VALU_DEP_2) | instskip(NEXT) | instid1(VALU_DEP_1)
	v_clz_i32_u32_e32 v9, v2
	v_min_u32_e32 v9, 32, v9
	s_delay_alu instid0(VALU_DEP_1) | instskip(SKIP_1) | instid1(VALU_DEP_2)
	v_subrev_nc_u32_e32 v10, 28, v9
	v_sub_nc_u32_e32 v9, 29, v9
	v_lshlrev_b32_e32 v10, v10, v1
	v_bfe_u32 v1, v1, 3, 4
	s_delay_alu instid0(VALU_DEP_1) | instskip(NEXT) | instid1(VALU_DEP_3)
	v_cmp_eq_u32_e32 vcc_lo, 0, v1
	v_dual_cndmask_b32 v1, v1, v9 :: v_dual_and_b32 v10, 7, v10
	s_delay_alu instid0(VALU_DEP_1) | instskip(NEXT) | instid1(VALU_DEP_2)
	v_cndmask_b32_e32 v2, v2, v10, vcc_lo
	v_lshl_add_u32 v1, v1, 23, 0x3b800000
	s_delay_alu instid0(VALU_DEP_2) | instskip(NEXT) | instid1(VALU_DEP_1)
	v_lshlrev_b32_e32 v2, 20, v2
	v_or3_b32 v1, v6, v1, v2
	v_mov_b32_e32 v2, 0
.LBB177_217:
	s_or_b32 exec_lo, exec_lo, s3
.LBB177_218:
	s_mov_b32 s2, -1
.LBB177_219:
	s_branch .LBB177_253
.LBB177_220:
	v_cmp_lt_i16_e32 vcc_lo, 22, v5
	s_cbranch_vccz .LBB177_232
; %bb.221:
	v_cmp_gt_i16_e32 vcc_lo, 24, v5
	s_cbranch_vccnz .LBB177_233
; %bb.222:
	v_cmp_lt_i16_e32 vcc_lo, 24, v5
	s_cbranch_vccz .LBB177_234
; %bb.223:
	global_load_u8 v6, v[3:4], off
	s_mov_b32 s2, 0
	s_mov_b32 s34, exec_lo
                                        ; implicit-def: $sgpr23
                                        ; implicit-def: $sgpr3
	s_waitcnt vmcnt(0)
	v_cmpx_lt_i16_e32 0x7f, v6
	s_xor_b32 s34, exec_lo, s34
	s_cbranch_execz .LBB177_227
; %bb.224:
	s_mov_b32 s2, -1
	s_mov_b32 s35, exec_lo
                                        ; implicit-def: $sgpr23
                                        ; implicit-def: $sgpr3
	v_cmpx_eq_u16_e32 0x80, v6
; %bb.225:
	s_mov_b32 s3, 0x7f800001
	s_mov_b32 s23, 0
	s_xor_b32 s2, exec_lo, -1
; %bb.226:
	s_or_b32 exec_lo, exec_lo, s35
	s_delay_alu instid0(SALU_CYCLE_1)
	s_and_b32 s2, s2, exec_lo
.LBB177_227:
	s_or_saveexec_b32 s34, s34
	v_dual_mov_b32 v2, s23 :: v_dual_mov_b32 v1, s3
	s_xor_b32 exec_lo, exec_lo, s34
; %bb.228:
	v_mov_b32_e32 v2, 0
	v_cmp_ne_u16_e32 vcc_lo, 0, v6
	s_and_not1_b32 s2, s2, exec_lo
	s_delay_alu instid0(VALU_DEP_2) | instskip(SKIP_1) | instid1(SALU_CYCLE_1)
	v_mov_b32_e32 v1, v2
	s_and_b32 s3, vcc_lo, exec_lo
	s_or_b32 s2, s2, s3
; %bb.229:
	s_or_b32 exec_lo, exec_lo, s34
	s_and_saveexec_b32 s3, s2
	s_cbranch_execz .LBB177_231
; %bb.230:
	v_and_b32_e32 v1, 0xffff, v6
	v_lshlrev_b32_e32 v6, 24, v6
	s_delay_alu instid0(VALU_DEP_2) | instskip(NEXT) | instid1(VALU_DEP_2)
	v_and_b32_e32 v2, 3, v1
	v_and_b32_e32 v6, 0x80000000, v6
	s_delay_alu instid0(VALU_DEP_2) | instskip(NEXT) | instid1(VALU_DEP_1)
	v_clz_i32_u32_e32 v9, v2
	v_min_u32_e32 v9, 32, v9
	s_delay_alu instid0(VALU_DEP_1) | instskip(SKIP_1) | instid1(VALU_DEP_2)
	v_subrev_nc_u32_e32 v10, 29, v9
	v_sub_nc_u32_e32 v9, 30, v9
	v_lshlrev_b32_e32 v10, v10, v1
	v_bfe_u32 v1, v1, 2, 5
	s_delay_alu instid0(VALU_DEP_1) | instskip(NEXT) | instid1(VALU_DEP_3)
	v_cmp_eq_u32_e32 vcc_lo, 0, v1
	v_dual_cndmask_b32 v1, v1, v9 :: v_dual_and_b32 v10, 3, v10
	s_delay_alu instid0(VALU_DEP_1) | instskip(NEXT) | instid1(VALU_DEP_2)
	v_cndmask_b32_e32 v2, v2, v10, vcc_lo
	v_lshl_add_u32 v1, v1, 23, 0x37800000
	s_delay_alu instid0(VALU_DEP_2) | instskip(NEXT) | instid1(VALU_DEP_1)
	v_lshlrev_b32_e32 v2, 21, v2
	v_or3_b32 v1, v6, v1, v2
	v_mov_b32_e32 v2, 0
.LBB177_231:
	s_or_b32 exec_lo, exec_lo, s3
	s_mov_b32 s2, 0
	s_branch .LBB177_235
.LBB177_232:
	s_mov_b32 s3, -1
                                        ; implicit-def: $vgpr2
	s_branch .LBB177_241
.LBB177_233:
	s_mov_b32 s2, -1
                                        ; implicit-def: $vgpr2
	s_branch .LBB177_238
.LBB177_234:
	s_mov_b32 s2, -1
                                        ; implicit-def: $vgpr2
.LBB177_235:
	s_delay_alu instid0(SALU_CYCLE_1)
	s_and_b32 vcc_lo, exec_lo, s2
	s_cbranch_vccz .LBB177_237
; %bb.236:
	global_load_u8 v1, v[3:4], off
	s_waitcnt vmcnt(0)
	v_lshlrev_b32_e32 v1, 24, v1
	s_delay_alu instid0(VALU_DEP_1) | instskip(NEXT) | instid1(VALU_DEP_1)
	v_and_b32_e32 v2, 0x7f000000, v1
	v_clz_i32_u32_e32 v6, v2
	v_add_nc_u32_e32 v10, 0x1000000, v2
	v_cmp_ne_u32_e32 vcc_lo, 0, v2
	s_delay_alu instid0(VALU_DEP_3) | instskip(NEXT) | instid1(VALU_DEP_1)
	v_min_u32_e32 v6, 32, v6
	v_sub_nc_u32_e64 v6, v6, 4 clamp
	s_delay_alu instid0(VALU_DEP_1) | instskip(SKIP_1) | instid1(VALU_DEP_2)
	v_lshlrev_b32_e32 v9, v6, v2
	v_lshlrev_b32_e32 v6, 23, v6
	v_lshrrev_b32_e32 v9, 4, v9
	s_delay_alu instid0(VALU_DEP_1) | instskip(SKIP_1) | instid1(VALU_DEP_2)
	v_sub_nc_u32_e32 v6, v9, v6
	v_ashrrev_i32_e32 v9, 8, v10
	v_add_nc_u32_e32 v6, 0x3c000000, v6
	s_delay_alu instid0(VALU_DEP_1) | instskip(NEXT) | instid1(VALU_DEP_1)
	v_and_or_b32 v6, 0x7f800000, v9, v6
	v_cndmask_b32_e32 v2, 0, v6, vcc_lo
	s_delay_alu instid0(VALU_DEP_1)
	v_and_or_b32 v1, 0x80000000, v1, v2
	v_mov_b32_e32 v2, 0
.LBB177_237:
	s_mov_b32 s2, 0
.LBB177_238:
	s_delay_alu instid0(SALU_CYCLE_1)
	s_and_not1_b32 vcc_lo, exec_lo, s2
	s_cbranch_vccnz .LBB177_240
; %bb.239:
	global_load_u8 v1, v[3:4], off
	s_waitcnt vmcnt(0)
	v_lshlrev_b32_e32 v2, 25, v1
	v_lshlrev_b16 v1, 8, v1
	s_delay_alu instid0(VALU_DEP_2) | instskip(NEXT) | instid1(VALU_DEP_2)
	v_lshrrev_b32_e32 v6, 4, v2
	v_and_or_b32 v9, 0x7f00, v1, 0.5
	v_cmp_gt_u32_e32 vcc_lo, 0x8000000, v2
	v_bfe_i32 v1, v1, 0, 16
	s_delay_alu instid0(VALU_DEP_4) | instskip(NEXT) | instid1(VALU_DEP_1)
	v_or_b32_e32 v6, 0x70000000, v6
	v_dual_add_f32 v9, -0.5, v9 :: v_dual_mul_f32 v6, 0x7800000, v6
	s_delay_alu instid0(VALU_DEP_1) | instskip(NEXT) | instid1(VALU_DEP_1)
	v_cndmask_b32_e32 v2, v6, v9, vcc_lo
	v_and_or_b32 v1, 0x80000000, v1, v2
	v_mov_b32_e32 v2, 0
.LBB177_240:
	s_mov_b32 s3, 0
	s_mov_b32 s2, -1
.LBB177_241:
	s_and_not1_b32 vcc_lo, exec_lo, s3
	s_cbranch_vccnz .LBB177_253
; %bb.242:
	v_cmp_lt_i16_e32 vcc_lo, 14, v5
	s_cbranch_vccz .LBB177_245
; %bb.243:
	v_cmp_eq_u16_e32 vcc_lo, 15, v5
	s_cbranch_vccz .LBB177_246
; %bb.244:
	global_load_u16 v1, v[3:4], off
	s_mov_b32 s2, -1
	s_mov_b32 s22, 0
	s_mov_b32 s3, 0
	s_waitcnt vmcnt(0)
	v_lshlrev_b32_e32 v1, 16, v1
	s_branch .LBB177_247
.LBB177_245:
	s_mov_b32 s23, -1
                                        ; implicit-def: $sgpr3
                                        ; implicit-def: $vgpr1
	s_branch .LBB177_248
.LBB177_246:
	s_mov_b32 s22, -1
                                        ; implicit-def: $sgpr3
                                        ; implicit-def: $vgpr1
.LBB177_247:
	s_mov_b32 s23, 0
.LBB177_248:
	s_delay_alu instid0(SALU_CYCLE_1)
	s_and_b32 vcc_lo, exec_lo, s23
	s_cbranch_vccz .LBB177_252
; %bb.249:
	v_cmp_eq_u16_e32 vcc_lo, 11, v5
	s_cbranch_vccz .LBB177_251
; %bb.250:
	global_load_u8 v1, v[3:4], off
	s_mov_b32 s3, 0
	s_mov_b32 s2, -1
	s_mov_b32 s22, 0
	s_waitcnt vmcnt(0)
	v_cmp_ne_u16_e32 vcc_lo, 0, v1
	v_cndmask_b32_e64 v1, 0, 1.0, vcc_lo
	s_branch .LBB177_252
.LBB177_251:
	s_mov_b32 s22, -1
                                        ; implicit-def: $sgpr3
                                        ; implicit-def: $vgpr1
.LBB177_252:
	v_mov_b32_e32 v2, s3
.LBB177_253:
	s_branch .LBB177_23
.LBB177_254:
	v_cmp_gt_i16_e32 vcc_lo, 5, v5
	s_cbranch_vccnz .LBB177_259
; %bb.255:
	v_cmp_gt_i16_e32 vcc_lo, 8, v5
	s_cbranch_vccnz .LBB177_260
; %bb.256:
	;; [unrolled: 3-line block ×3, first 2 shown]
	v_cmp_lt_i16_e32 vcc_lo, 9, v5
	s_cbranch_vccz .LBB177_262
; %bb.258:
	global_load_b128 v[9:12], v[3:4], off
	s_mov_b32 s2, 0
	s_waitcnt vmcnt(0)
	v_cvt_f32_f64_e32 v1, v[9:10]
	v_cvt_f32_f64_e32 v2, v[11:12]
	s_branch .LBB177_263
.LBB177_259:
                                        ; implicit-def: $vgpr2
	s_branch .LBB177_282
.LBB177_260:
	s_mov_b32 s2, -1
                                        ; implicit-def: $vgpr2
	s_branch .LBB177_269
.LBB177_261:
	s_mov_b32 s2, -1
                                        ; implicit-def: $vgpr2
	s_branch .LBB177_266
.LBB177_262:
	s_mov_b32 s2, -1
                                        ; implicit-def: $vgpr2
.LBB177_263:
	s_delay_alu instid0(SALU_CYCLE_1)
	s_and_not1_b32 vcc_lo, exec_lo, s2
	s_cbranch_vccnz .LBB177_265
; %bb.264:
	global_load_b64 v[1:2], v[3:4], off
.LBB177_265:
	s_mov_b32 s2, 0
.LBB177_266:
	s_delay_alu instid0(SALU_CYCLE_1)
	s_and_not1_b32 vcc_lo, exec_lo, s2
	s_cbranch_vccnz .LBB177_268
; %bb.267:
	global_load_b32 v1, v[3:4], off
	s_waitcnt vmcnt(0)
	v_lshrrev_b32_e32 v2, 16, v1
	v_cvt_f32_f16_e32 v1, v1
	s_delay_alu instid0(VALU_DEP_2)
	v_cvt_f32_f16_e32 v2, v2
.LBB177_268:
	s_mov_b32 s2, 0
.LBB177_269:
	s_delay_alu instid0(SALU_CYCLE_1)
	s_and_not1_b32 vcc_lo, exec_lo, s2
	s_cbranch_vccnz .LBB177_281
; %bb.270:
	v_cmp_gt_i16_e32 vcc_lo, 6, v5
	s_cbranch_vccnz .LBB177_273
; %bb.271:
	v_cmp_lt_i16_e32 vcc_lo, 6, v5
	s_cbranch_vccz .LBB177_274
; %bb.272:
	global_load_b64 v[1:2], v[3:4], off
	s_mov_b32 s3, 0
	s_mov_b32 s2, 0
	s_waitcnt vmcnt(0)
	v_cvt_f32_f64_e32 v1, v[1:2]
	s_branch .LBB177_275
.LBB177_273:
	s_mov_b32 s3, -1
                                        ; implicit-def: $sgpr2
                                        ; implicit-def: $vgpr1
	s_branch .LBB177_278
.LBB177_274:
	s_mov_b32 s3, -1
                                        ; implicit-def: $sgpr2
                                        ; implicit-def: $vgpr1
.LBB177_275:
	s_delay_alu instid0(SALU_CYCLE_1)
	s_and_not1_b32 vcc_lo, exec_lo, s3
	s_cbranch_vccnz .LBB177_277
; %bb.276:
	global_load_b32 v1, v[3:4], off
	s_mov_b32 s2, 0
.LBB177_277:
	s_mov_b32 s3, 0
.LBB177_278:
	s_delay_alu instid0(SALU_CYCLE_1)
	s_and_not1_b32 vcc_lo, exec_lo, s3
	s_cbranch_vccnz .LBB177_280
; %bb.279:
	global_load_u16 v1, v[3:4], off
	s_mov_b32 s2, 0
	s_waitcnt vmcnt(0)
	v_cvt_f32_f16_e32 v1, v1
.LBB177_280:
	s_waitcnt vmcnt(0)
	v_mov_b32_e32 v2, s2
.LBB177_281:
	s_cbranch_execnz .LBB177_302
.LBB177_282:
	v_cmp_gt_i16_e32 vcc_lo, 2, v5
	s_cbranch_vccnz .LBB177_286
; %bb.283:
	v_cmp_gt_i16_e32 vcc_lo, 3, v5
	s_cbranch_vccnz .LBB177_287
; %bb.284:
	v_cmp_lt_i16_e32 vcc_lo, 3, v5
	s_cbranch_vccz .LBB177_288
; %bb.285:
	global_load_b64 v[1:2], v[3:4], off
	s_mov_b32 s3, 0
	s_mov_b32 s2, 0
	s_waitcnt vmcnt(0)
	v_xor_b32_e32 v6, v1, v2
	v_cls_i32_e32 v9, v2
	s_delay_alu instid0(VALU_DEP_2) | instskip(NEXT) | instid1(VALU_DEP_2)
	v_ashrrev_i32_e32 v6, 31, v6
	v_add_nc_u32_e32 v9, -1, v9
	s_delay_alu instid0(VALU_DEP_2) | instskip(NEXT) | instid1(VALU_DEP_1)
	v_add_nc_u32_e32 v6, 32, v6
	v_min_u32_e32 v6, v9, v6
	s_delay_alu instid0(VALU_DEP_1) | instskip(NEXT) | instid1(VALU_DEP_1)
	v_lshlrev_b64 v[1:2], v6, v[1:2]
	v_min_u32_e32 v1, 1, v1
	s_delay_alu instid0(VALU_DEP_1) | instskip(SKIP_1) | instid1(VALU_DEP_2)
	v_or_b32_e32 v1, v2, v1
	v_sub_nc_u32_e32 v2, 32, v6
	v_cvt_f32_i32_e32 v1, v1
	s_delay_alu instid0(VALU_DEP_1)
	v_ldexp_f32 v1, v1, v2
	s_branch .LBB177_289
.LBB177_286:
	s_mov_b32 s3, -1
                                        ; implicit-def: $sgpr2
                                        ; implicit-def: $vgpr1
	s_branch .LBB177_295
.LBB177_287:
	s_mov_b32 s3, -1
                                        ; implicit-def: $sgpr2
                                        ; implicit-def: $vgpr1
	s_branch .LBB177_292
.LBB177_288:
	s_mov_b32 s3, -1
                                        ; implicit-def: $sgpr2
                                        ; implicit-def: $vgpr1
.LBB177_289:
	s_delay_alu instid0(SALU_CYCLE_1)
	s_and_not1_b32 vcc_lo, exec_lo, s3
	s_cbranch_vccnz .LBB177_291
; %bb.290:
	global_load_b32 v1, v[3:4], off
	s_mov_b32 s2, 0
	s_waitcnt vmcnt(0)
	v_cvt_f32_i32_e32 v1, v1
.LBB177_291:
	s_mov_b32 s3, 0
.LBB177_292:
	s_delay_alu instid0(SALU_CYCLE_1)
	s_and_not1_b32 vcc_lo, exec_lo, s3
	s_cbranch_vccnz .LBB177_294
; %bb.293:
	global_load_i16 v1, v[3:4], off
	s_mov_b32 s2, 0
	s_waitcnt vmcnt(0)
	v_cvt_f32_i32_e32 v1, v1
.LBB177_294:
	s_mov_b32 s3, 0
.LBB177_295:
	s_delay_alu instid0(SALU_CYCLE_1)
	s_and_not1_b32 vcc_lo, exec_lo, s3
	s_cbranch_vccnz .LBB177_301
; %bb.296:
	v_cmp_lt_i16_e32 vcc_lo, 0, v5
	s_mov_b32 s3, 0
	s_cbranch_vccz .LBB177_298
; %bb.297:
	global_load_i8 v1, v[3:4], off
	s_mov_b32 s2, 0
	s_waitcnt vmcnt(0)
	v_cvt_f32_i32_e32 v1, v1
	s_branch .LBB177_299
.LBB177_298:
	s_mov_b32 s3, -1
                                        ; implicit-def: $sgpr2
                                        ; implicit-def: $vgpr1
.LBB177_299:
	s_delay_alu instid0(SALU_CYCLE_1)
	s_and_not1_b32 vcc_lo, exec_lo, s3
	s_cbranch_vccnz .LBB177_301
; %bb.300:
	global_load_u8 v1, v[3:4], off
	s_mov_b32 s2, 0
	s_waitcnt vmcnt(0)
	v_cvt_f32_ubyte0_e32 v1, v1
.LBB177_301:
	s_waitcnt vmcnt(0)
	v_mov_b32_e32 v2, s2
.LBB177_302:
	s_branch .LBB177_24
.LBB177_303:
	s_mov_b32 s2, 0
.LBB177_304:
	s_mov_b32 s3, 0
                                        ; implicit-def: $vgpr8
.LBB177_305:
	s_and_b32 s34, s2, exec_lo
	s_and_b32 s35, s22, exec_lo
	s_or_not1_b32 s3, s3, exec_lo
.LBB177_306:
	s_or_b32 exec_lo, exec_lo, s36
	s_mov_b32 s22, 0
	s_mov_b32 s2, 0
                                        ; implicit-def: $vgpr3_vgpr4
                                        ; implicit-def: $vgpr0
                                        ; implicit-def: $vgpr2
	s_and_saveexec_b32 s36, s3
	s_cbranch_execz .LBB177_1038
; %bb.307:
	s_mov_b32 s2, -1
	s_mov_b32 s37, s35
	s_mov_b32 s38, s34
	s_mov_b32 s39, exec_lo
	v_cmpx_gt_i32_e64 s30, v8
	s_cbranch_execz .LBB177_619
; %bb.308:
	s_and_not1_b32 vcc_lo, exec_lo, s27
	s_cbranch_vccnz .LBB177_313
; %bb.309:
	s_waitcnt vmcnt(0)
	v_dual_mov_b32 v0, 0 :: v_dual_mov_b32 v1, 0
	s_and_not1_b32 vcc_lo, exec_lo, s33
	s_mov_b32 s37, 0
	s_cbranch_vccnz .LBB177_318
; %bb.310:
	v_mov_b32_e32 v0, 0
	s_add_i32 s40, s31, 1
	s_cmp_eq_u32 s25, 2
	s_mov_b32 s38, 0
	s_cbranch_scc1 .LBB177_314
; %bb.311:
	v_dual_mov_b32 v1, 0 :: v_dual_mov_b32 v0, 0
	v_mov_b32_e32 v2, v8
	s_and_b32 s38, s40, 28
	s_mov_b32 s41, 0
	s_mov_b64 s[2:3], s[20:21]
	s_mov_b64 s[22:23], s[16:17]
.LBB177_312:                            ; =>This Inner Loop Header: Depth=1
	s_clause 0x1
	s_load_b256 s[44:51], s[22:23], 0x4
	s_load_b128 s[60:63], s[22:23], 0x24
	s_load_b256 s[52:59], s[2:3], 0x0
	s_add_u32 s22, s22, 48
	s_addc_u32 s23, s23, 0
	s_add_i32 s41, s41, 4
	s_add_u32 s2, s2, 32
	s_addc_u32 s3, s3, 0
	s_cmp_eq_u32 s38, s41
	s_waitcnt lgkmcnt(0)
	v_mul_hi_u32 v3, s45, v2
	s_delay_alu instid0(VALU_DEP_1) | instskip(NEXT) | instid1(VALU_DEP_1)
	v_add_nc_u32_e32 v3, v2, v3
	v_lshrrev_b32_e32 v3, s46, v3
	s_delay_alu instid0(VALU_DEP_1) | instskip(SKIP_1) | instid1(VALU_DEP_2)
	v_mul_hi_u32 v4, s48, v3
	v_mul_lo_u32 v9, v3, s44
	v_add_nc_u32_e32 v4, v3, v4
	s_delay_alu instid0(VALU_DEP_2) | instskip(NEXT) | instid1(VALU_DEP_2)
	v_sub_nc_u32_e32 v2, v2, v9
	v_lshrrev_b32_e32 v4, s49, v4
	s_delay_alu instid0(VALU_DEP_2) | instskip(SKIP_1) | instid1(VALU_DEP_3)
	v_mul_lo_u32 v9, v2, s52
	v_mul_lo_u32 v11, v2, s53
	v_mul_hi_u32 v6, s51, v4
	s_delay_alu instid0(VALU_DEP_1) | instskip(NEXT) | instid1(VALU_DEP_1)
	v_add_nc_u32_e32 v6, v4, v6
	v_lshrrev_b32_e32 v6, s60, v6
	s_delay_alu instid0(VALU_DEP_1) | instskip(SKIP_1) | instid1(VALU_DEP_2)
	v_mul_hi_u32 v10, s62, v6
	v_mul_lo_u32 v12, v6, s50
	v_add_nc_u32_e32 v2, v6, v10
	v_mul_lo_u32 v10, v4, s47
	s_delay_alu instid0(VALU_DEP_3) | instskip(NEXT) | instid1(VALU_DEP_3)
	v_sub_nc_u32_e32 v4, v4, v12
	v_lshrrev_b32_e32 v2, s63, v2
	s_delay_alu instid0(VALU_DEP_2) | instskip(SKIP_2) | instid1(VALU_DEP_4)
	v_mul_lo_u32 v12, v4, s56
	v_mul_lo_u32 v4, v4, s57
	v_sub_nc_u32_e32 v3, v3, v10
	v_mul_lo_u32 v13, v2, s61
	s_delay_alu instid0(VALU_DEP_2) | instskip(SKIP_1) | instid1(VALU_DEP_3)
	v_mul_lo_u32 v10, v3, s54
	v_mul_lo_u32 v3, v3, s55
	v_sub_nc_u32_e32 v6, v6, v13
	s_delay_alu instid0(VALU_DEP_3) | instskip(NEXT) | instid1(VALU_DEP_2)
	v_add3_u32 v0, v9, v0, v10
	v_mul_lo_u32 v13, v6, s58
	v_mul_lo_u32 v6, v6, s59
	v_add3_u32 v1, v11, v1, v3
	s_delay_alu instid0(VALU_DEP_3) | instskip(NEXT) | instid1(VALU_DEP_2)
	v_add3_u32 v0, v12, v0, v13
	v_add3_u32 v1, v4, v1, v6
	s_cbranch_scc0 .LBB177_312
	s_branch .LBB177_315
.LBB177_313:
	s_mov_b32 s37, -1
                                        ; implicit-def: $vgpr0
                                        ; implicit-def: $vgpr1
	s_branch .LBB177_318
.LBB177_314:
	v_dual_mov_b32 v2, v8 :: v_dual_mov_b32 v1, 0
.LBB177_315:
	s_and_b32 s40, s40, 3
	s_delay_alu instid0(SALU_CYCLE_1)
	s_cmp_eq_u32 s40, 0
	s_cbranch_scc1 .LBB177_318
; %bb.316:
	s_lshl_b32 s2, s38, 3
	s_mul_i32 s22, s38, 12
	s_add_u32 s2, s2, s16
	s_addc_u32 s3, s17, 0
	s_add_u32 s2, s2, 0xc4
	s_addc_u32 s3, s3, 0
	;; [unrolled: 2-line block ×3, first 2 shown]
	.p2align	6
.LBB177_317:                            ; =>This Inner Loop Header: Depth=1
	s_clause 0x1
	s_load_b64 s[42:43], s[22:23], 0x4
	s_load_b32 s38, s[22:23], 0xc
	s_load_b64 s[44:45], s[2:3], 0x0
	s_add_u32 s22, s22, 12
	s_addc_u32 s23, s23, 0
	s_add_u32 s2, s2, 8
	s_addc_u32 s3, s3, 0
	s_add_i32 s40, s40, -1
	s_delay_alu instid0(SALU_CYCLE_1) | instskip(SKIP_2) | instid1(VALU_DEP_1)
	s_cmp_lg_u32 s40, 0
	s_waitcnt lgkmcnt(0)
	v_mul_hi_u32 v3, s43, v2
	v_add_nc_u32_e32 v3, v2, v3
	s_delay_alu instid0(VALU_DEP_1) | instskip(NEXT) | instid1(VALU_DEP_1)
	v_lshrrev_b32_e32 v6, s38, v3
	v_mul_lo_u32 v3, v6, s42
	s_delay_alu instid0(VALU_DEP_1) | instskip(NEXT) | instid1(VALU_DEP_1)
	v_sub_nc_u32_e32 v2, v2, v3
	v_mad_u64_u32 v[3:4], null, v2, s44, v[0:1]
	v_mad_u64_u32 v[9:10], null, v2, s45, v[1:2]
	v_mov_b32_e32 v2, v6
	s_delay_alu instid0(VALU_DEP_2)
	v_dual_mov_b32 v0, v3 :: v_dual_mov_b32 v1, v9
	s_cbranch_scc1 .LBB177_317
.LBB177_318:
	s_and_not1_b32 vcc_lo, exec_lo, s37
	s_cbranch_vccnz .LBB177_321
; %bb.319:
	s_waitcnt lgkmcnt(0)
	v_mul_hi_u32 v0, s13, v8
	s_and_not1_b32 vcc_lo, exec_lo, s29
	s_delay_alu instid0(VALU_DEP_1) | instskip(SKIP_1) | instid1(VALU_DEP_1)
	v_add_nc_u32_e32 v0, v8, v0
	s_waitcnt vmcnt(0)
	v_lshrrev_b32_e32 v2, s14, v0
	s_delay_alu instid0(VALU_DEP_1) | instskip(NEXT) | instid1(VALU_DEP_1)
	v_mul_lo_u32 v0, v2, s12
	v_sub_nc_u32_e32 v1, v8, v0
	s_delay_alu instid0(VALU_DEP_1)
	v_mul_lo_u32 v0, v1, s8
	v_mul_lo_u32 v1, v1, s9
	s_cbranch_vccnz .LBB177_321
; %bb.320:
	v_mul_hi_u32 v3, s18, v2
	s_delay_alu instid0(VALU_DEP_1) | instskip(NEXT) | instid1(VALU_DEP_1)
	v_add_nc_u32_e32 v3, v2, v3
	v_lshrrev_b32_e32 v3, s19, v3
	s_delay_alu instid0(VALU_DEP_1) | instskip(NEXT) | instid1(VALU_DEP_1)
	v_mul_lo_u32 v3, v3, s15
	v_sub_nc_u32_e32 v6, v2, v3
	s_delay_alu instid0(VALU_DEP_1) | instskip(NEXT) | instid1(VALU_DEP_1)
	v_mad_u64_u32 v[2:3], null, v6, s10, v[0:1]
	v_mad_u64_u32 v[3:4], null, v6, s11, v[1:2]
	s_delay_alu instid0(VALU_DEP_1)
	v_dual_mov_b32 v0, v2 :: v_dual_mov_b32 v1, v3
.LBB177_321:
	v_cmp_gt_i16_e32 vcc_lo, 11, v5
	s_waitcnt vmcnt(0) lgkmcnt(0)
	s_delay_alu instid0(VALU_DEP_2) | instskip(NEXT) | instid1(VALU_DEP_1)
	v_add_co_u32 v3, s2, s6, v1
	v_add_co_ci_u32_e64 v4, null, s7, 0, s2
	s_mov_b32 s2, 0
	s_cbranch_vccnz .LBB177_328
; %bb.322:
	v_cmp_lt_i16_e32 vcc_lo, 25, v5
	s_cbranch_vccz .LBB177_342
; %bb.323:
	v_cmp_lt_i16_e32 vcc_lo, 28, v5
	s_cbranch_vccz .LBB177_343
	;; [unrolled: 3-line block ×4, first 2 shown]
; %bb.326:
	v_cmp_eq_u16_e32 vcc_lo, 46, v5
	s_mov_b32 s3, 0
	s_cbranch_vccz .LBB177_424
; %bb.327:
	global_load_b32 v1, v[3:4], off
	s_mov_b32 s2, -1
	s_mov_b32 s22, 0
	s_waitcnt vmcnt(0)
	v_and_b32_e32 v2, 0xffff0000, v1
	v_lshlrev_b32_e32 v1, 16, v1
	s_branch .LBB177_426
.LBB177_328:
	s_mov_b32 s22, s35
                                        ; implicit-def: $vgpr2
	s_cbranch_execnz .LBB177_566
.LBB177_329:
	s_and_not1_b32 vcc_lo, exec_lo, s2
	s_cbranch_vccnz .LBB177_616
.LBB177_330:
	s_waitcnt vmcnt(0)
	s_delay_alu instid0(VALU_DEP_2) | instskip(NEXT) | instid1(VALU_DEP_2)
	v_cmp_neq_f32_e32 vcc_lo, 0, v1
	v_cmp_neq_f32_e64 s2, 0, v2
	v_mov_b32_e32 v6, 0
	s_delay_alu instid0(VALU_DEP_2) | instskip(NEXT) | instid1(SALU_CYCLE_1)
	s_or_b32 s2, vcc_lo, s2
	s_and_saveexec_b32 s23, s2
	s_cbranch_execz .LBB177_364
; %bb.331:
	v_mov_b32_e32 v6, 0x7f800000
	s_mov_b32 s37, exec_lo
	v_cmpx_neq_f32_e64 0x7f800000, |v2|
	s_cbranch_execz .LBB177_363
; %bb.332:
	s_mov_b32 s2, exec_lo
	v_cmpx_o_f32_e32 v1, v1
	s_xor_b32 s38, exec_lo, s2
	s_cbranch_execz .LBB177_360
; %bb.333:
	s_mov_b32 s3, exec_lo
	v_cmpx_neq_f32_e64 0x7f800000, |v1|
	s_xor_b32 s40, exec_lo, s3
	s_cbranch_execz .LBB177_353
; %bb.334:
	v_max_f32_e64 v3, |v2|, |v2|
	v_max_f32_e64 v4, |v1|, |v1|
                                        ; implicit-def: $sgpr41
	s_delay_alu instid0(VALU_DEP_1) | instskip(NEXT) | instid1(VALU_DEP_1)
	v_max_f32_e32 v3, v4, v3
	v_cmp_nle_f32_e64 s2, 0x7ed413cb, v3
	s_delay_alu instid0(VALU_DEP_1) | instskip(NEXT) | instid1(SALU_CYCLE_1)
	s_and_saveexec_b32 s3, s2
	s_xor_b32 s3, exec_lo, s3
	s_cbranch_execz .LBB177_338
; %bb.335:
	v_cmp_ge_f32_e64 s41, 0x1000000, |v1|
	v_cmp_ge_f32_e64 s42, 0x1000000, |v2|
	s_delay_alu instid0(VALU_DEP_1)
	s_and_b32 s43, s41, s42
	s_mov_b32 s41, 0
	s_and_saveexec_b32 s42, s43
; %bb.336:
	v_dual_mul_f32 v2, 4.0, v2 :: v_dual_mul_f32 v1, 4.0, v1
	s_mov_b32 s41, exec_lo
; %bb.337:
	s_or_b32 exec_lo, exec_lo, s42
	s_delay_alu instid0(SALU_CYCLE_1)
	s_and_b32 s41, s41, exec_lo
.LBB177_338:
	s_and_not1_saveexec_b32 s3, s3
; %bb.339:
	v_dual_mul_f32 v1, 0x3e800000, v1 :: v_dual_mul_f32 v2, 0x3e800000, v2
	s_and_not1_b32 s41, s41, exec_lo
; %bb.340:
	s_or_b32 exec_lo, exec_lo, s3
	s_delay_alu instid0(VALU_DEP_1) | instskip(NEXT) | instid1(VALU_DEP_2)
	v_max_f32_e64 v3, |v2|, |v2|
	v_max_f32_e64 v4, |v1|, |v1|
	s_delay_alu instid0(VALU_DEP_1) | instskip(NEXT) | instid1(VALU_DEP_1)
	v_max_f32_e32 v6, v4, v3
	v_cvt_f64_f32_e32 v[3:4], v6
	s_delay_alu instid0(VALU_DEP_1) | instskip(NEXT) | instid1(VALU_DEP_1)
	v_frexp_exp_i32_f64_e32 v3, v[3:4]
	v_sub_nc_u32_e32 v4, 0, v3
	s_delay_alu instid0(VALU_DEP_1) | instskip(SKIP_1) | instid1(VALU_DEP_2)
	v_ldexp_f32 v9, |v2|, v4
	v_ldexp_f32 v4, |v1|, v4
	v_mul_f32_e32 v9, v9, v9
	v_cmp_neq_f32_e64 s3, 0x7f800000, v6
	s_delay_alu instid0(VALU_DEP_2) | instskip(NEXT) | instid1(VALU_DEP_1)
	v_fmac_f32_e32 v9, v4, v4
	v_sqrt_f32_e32 v4, v9
	s_waitcnt_depctr 0xfff
	v_ldexp_f32 v3, v4, v3
                                        ; implicit-def: $vgpr4
	s_delay_alu instid0(VALU_DEP_1)
	v_cndmask_b32_e64 v6, 0x7f800000, v3, s3
                                        ; implicit-def: $vgpr3
	s_mov_b32 s3, exec_lo
	v_cmpx_le_f32_e32 0, v1
	s_xor_b32 s42, exec_lo, s3
	s_cbranch_execz .LBB177_346
; %bb.341:
	v_add_f32_e32 v1, v1, v6
	s_delay_alu instid0(VALU_DEP_1) | instskip(NEXT) | instid1(VALU_DEP_1)
	v_mul_f32_e32 v1, 0.5, v1
	v_mul_f32_e32 v3, 0x4f800000, v1
	v_cmp_gt_f32_e32 vcc_lo, 0xf800000, v1
	s_delay_alu instid0(VALU_DEP_2) | instskip(NEXT) | instid1(VALU_DEP_1)
	v_cndmask_b32_e32 v1, v1, v3, vcc_lo
	v_sqrt_f32_e32 v3, v1
	s_waitcnt_depctr 0xfff
	v_add_nc_u32_e32 v4, -1, v3
	v_add_nc_u32_e32 v6, 1, v3
	s_delay_alu instid0(VALU_DEP_2) | instskip(NEXT) | instid1(VALU_DEP_2)
	v_fma_f32 v9, -v4, v3, v1
	v_fma_f32 v10, -v6, v3, v1
	s_delay_alu instid0(VALU_DEP_2) | instskip(NEXT) | instid1(VALU_DEP_1)
	v_cmp_ge_f32_e64 s3, 0, v9
	v_cndmask_b32_e64 v3, v3, v4, s3
	s_delay_alu instid0(VALU_DEP_3) | instskip(NEXT) | instid1(VALU_DEP_1)
	v_cmp_lt_f32_e64 s3, 0, v10
	v_cndmask_b32_e64 v3, v3, v6, s3
	s_delay_alu instid0(VALU_DEP_1) | instskip(NEXT) | instid1(VALU_DEP_1)
	v_mul_f32_e32 v4, 0x37800000, v3
	v_cndmask_b32_e32 v3, v3, v4, vcc_lo
	v_cmp_class_f32_e64 vcc_lo, v1, 0x260
	s_delay_alu instid0(VALU_DEP_2) | instskip(NEXT) | instid1(VALU_DEP_1)
	v_cndmask_b32_e32 v3, v3, v1, vcc_lo
	v_add_f32_e32 v1, v3, v3
	s_delay_alu instid0(VALU_DEP_1) | instskip(NEXT) | instid1(VALU_DEP_1)
	v_div_scale_f32 v4, null, v1, v1, v2
	v_rcp_f32_e32 v6, v4
	s_waitcnt_depctr 0xfff
	v_fma_f32 v9, -v4, v6, 1.0
	s_delay_alu instid0(VALU_DEP_1) | instskip(SKIP_1) | instid1(VALU_DEP_1)
	v_fmac_f32_e32 v6, v9, v6
	v_div_scale_f32 v9, vcc_lo, v2, v1, v2
	v_mul_f32_e32 v10, v9, v6
	s_delay_alu instid0(VALU_DEP_1) | instskip(NEXT) | instid1(VALU_DEP_1)
	v_fma_f32 v11, -v4, v10, v9
	v_fmac_f32_e32 v10, v11, v6
	s_delay_alu instid0(VALU_DEP_1) | instskip(NEXT) | instid1(VALU_DEP_1)
	v_fma_f32 v4, -v4, v10, v9
	v_div_fmas_f32 v4, v4, v6, v10
                                        ; implicit-def: $vgpr6
	s_delay_alu instid0(VALU_DEP_1)
	v_div_fixup_f32 v4, v4, v1, v2
                                        ; implicit-def: $vgpr1
	s_and_not1_saveexec_b32 s42, s42
	s_cbranch_execz .LBB177_348
	s_branch .LBB177_347
.LBB177_342:
	s_mov_b32 s3, -1
	s_mov_b32 s22, s35
                                        ; implicit-def: $vgpr2
	s_branch .LBB177_531
.LBB177_343:
	s_mov_b32 s3, -1
	s_mov_b32 s22, s35
                                        ; implicit-def: $vgpr2
	s_branch .LBB177_510
.LBB177_344:
	s_mov_b32 s3, -1
	s_mov_b32 s22, s35
                                        ; implicit-def: $vgpr2
	s_branch .LBB177_504
.LBB177_345:
	s_mov_b32 s3, -1
	s_mov_b32 s22, s35
	s_branch .LBB177_425
.LBB177_346:
	s_and_not1_saveexec_b32 s42, s42
	s_cbranch_execz .LBB177_348
.LBB177_347:
	v_sub_f32_e32 v1, v6, v1
	s_delay_alu instid0(VALU_DEP_1) | instskip(NEXT) | instid1(VALU_DEP_1)
	v_mul_f32_e32 v1, 0.5, v1
	v_mul_f32_e32 v3, 0x4f800000, v1
	v_cmp_gt_f32_e32 vcc_lo, 0xf800000, v1
	s_delay_alu instid0(VALU_DEP_2) | instskip(NEXT) | instid1(VALU_DEP_1)
	v_cndmask_b32_e32 v1, v1, v3, vcc_lo
	v_sqrt_f32_e32 v3, v1
	s_waitcnt_depctr 0xfff
	v_add_nc_u32_e32 v4, -1, v3
	v_add_nc_u32_e32 v6, 1, v3
	s_delay_alu instid0(VALU_DEP_2) | instskip(NEXT) | instid1(VALU_DEP_2)
	v_fma_f32 v9, -v4, v3, v1
	v_fma_f32 v10, -v6, v3, v1
	s_delay_alu instid0(VALU_DEP_2) | instskip(NEXT) | instid1(VALU_DEP_1)
	v_cmp_ge_f32_e64 s3, 0, v9
	v_cndmask_b32_e64 v3, v3, v4, s3
	s_delay_alu instid0(VALU_DEP_3) | instskip(NEXT) | instid1(VALU_DEP_1)
	v_cmp_lt_f32_e64 s3, 0, v10
	v_cndmask_b32_e64 v3, v3, v6, s3
	s_delay_alu instid0(VALU_DEP_1) | instskip(NEXT) | instid1(VALU_DEP_1)
	v_mul_f32_e32 v4, 0x37800000, v3
	v_cndmask_b32_e32 v3, v3, v4, vcc_lo
	v_cmp_class_f32_e64 vcc_lo, v1, 0x260
	s_delay_alu instid0(VALU_DEP_2) | instskip(NEXT) | instid1(VALU_DEP_1)
	v_cndmask_b32_e32 v1, v3, v1, vcc_lo
	v_dual_add_f32 v4, v1, v1 :: v_dual_and_b32 v3, 0x7fffffff, v2
	s_delay_alu instid0(VALU_DEP_1) | instskip(SKIP_1) | instid1(VALU_DEP_2)
	v_div_scale_f32 v6, null, v4, v4, v3
	v_div_scale_f32 v3, vcc_lo, v3, v4, v3
	v_rcp_f32_e32 v9, v6
	s_waitcnt_depctr 0xfff
	v_fma_f32 v10, -v6, v9, 1.0
	s_delay_alu instid0(VALU_DEP_1) | instskip(NEXT) | instid1(VALU_DEP_1)
	v_fmac_f32_e32 v9, v10, v9
	v_mul_f32_e32 v10, v3, v9
	s_delay_alu instid0(VALU_DEP_1) | instskip(NEXT) | instid1(VALU_DEP_1)
	v_fma_f32 v11, -v6, v10, v3
	v_fmac_f32_e32 v10, v11, v9
	s_delay_alu instid0(VALU_DEP_1) | instskip(NEXT) | instid1(VALU_DEP_1)
	v_fma_f32 v3, -v6, v10, v3
	v_div_fmas_f32 v3, v3, v9, v10
	s_delay_alu instid0(VALU_DEP_1)
	v_div_fixup_f32 v3, v3, v4, |v2|
	v_bfi_b32 v4, 0x7fffffff, v1, v2
.LBB177_348:
	s_or_b32 exec_lo, exec_lo, s42
                                        ; implicit-def: $vgpr2
	s_and_saveexec_b32 s3, s2
	s_delay_alu instid0(SALU_CYCLE_1)
	s_xor_b32 s2, exec_lo, s3
	s_cbranch_execz .LBB177_350
; %bb.349:
	v_dual_mul_f32 v1, 0.5, v3 :: v_dual_mul_f32 v2, 0.5, v4
	s_delay_alu instid0(VALU_DEP_1) | instskip(NEXT) | instid1(VALU_DEP_2)
	v_cndmask_b32_e64 v1, v3, v1, s41
	v_cndmask_b32_e64 v2, v4, v2, s41
                                        ; implicit-def: $vgpr3
                                        ; implicit-def: $vgpr4
	s_and_not1_saveexec_b32 s2, s2
	s_cbranch_execnz .LBB177_351
	s_branch .LBB177_352
.LBB177_350:
	s_and_not1_saveexec_b32 s2, s2
.LBB177_351:
	v_dual_add_f32 v1, v3, v3 :: v_dual_add_f32 v2, v4, v4
.LBB177_352:
	s_or_b32 exec_lo, exec_lo, s2
.LBB177_353:
	s_and_not1_saveexec_b32 s2, s40
	s_cbranch_execz .LBB177_359
; %bb.354:
	s_delay_alu instid0(VALU_DEP_1)
	v_sub_f32_e32 v3, v2, v2
	s_mov_b32 s3, exec_lo
	v_cmpx_lt_i32_e32 -1, v1
	s_xor_b32 s3, exec_lo, s3
; %bb.355:
	s_delay_alu instid0(VALU_DEP_2)
	v_bfi_b32 v2, 0x7fffffff, v3, v2
                                        ; implicit-def: $vgpr3
; %bb.356:
	s_and_not1_saveexec_b32 s3, s3
; %bb.357:
	v_and_b32_e32 v3, 0x7fffffff, v3
	s_delay_alu instid0(VALU_DEP_2) | instskip(NEXT) | instid1(VALU_DEP_2)
	v_bfi_b32 v2, 0x7fffffff, v1, v2
	v_mov_b32_e32 v1, v3
; %bb.358:
	s_or_b32 exec_lo, exec_lo, s3
.LBB177_359:
	s_delay_alu instid0(SALU_CYCLE_1)
	s_or_b32 exec_lo, exec_lo, s2
.LBB177_360:
	s_and_not1_saveexec_b32 s2, s38
; %bb.361:
	v_sub_f32_e32 v2, v2, v2
	s_delay_alu instid0(VALU_DEP_1) | instskip(NEXT) | instid1(VALU_DEP_1)
	v_div_scale_f32 v3, vcc_lo, v2, v2, v2
	v_rcp_f32_e32 v4, v3
	s_waitcnt_depctr 0xfff
	v_fma_f32 v6, -v3, v4, 1.0
	s_delay_alu instid0(VALU_DEP_1) | instskip(NEXT) | instid1(VALU_DEP_1)
	v_fmac_f32_e32 v4, v6, v4
	v_mul_f32_e32 v6, v3, v4
	s_delay_alu instid0(VALU_DEP_1) | instskip(NEXT) | instid1(VALU_DEP_1)
	v_fma_f32 v9, -v3, v6, v3
	v_fmac_f32_e32 v6, v9, v4
	s_delay_alu instid0(VALU_DEP_1) | instskip(NEXT) | instid1(VALU_DEP_1)
	v_fma_f32 v3, -v3, v6, v3
	v_div_fmas_f32 v3, v3, v4, v6
	s_delay_alu instid0(VALU_DEP_1)
	v_div_fixup_f32 v2, v3, v2, v2
; %bb.362:
	s_or_b32 exec_lo, exec_lo, s2
	v_mov_b32_e32 v6, v1
.LBB177_363:
	s_or_b32 exec_lo, exec_lo, s37
.LBB177_364:
	s_delay_alu instid0(SALU_CYCLE_1) | instskip(NEXT) | instid1(VALU_DEP_1)
	s_or_b32 exec_lo, exec_lo, s23
	v_cmp_gt_f32_e32 vcc_lo, 0, v6
                                        ; implicit-def: $vgpr4
	s_mov_b32 s2, exec_lo
	v_cndmask_b32_e64 v1, v6, -v6, vcc_lo
	v_cmp_gt_f32_e32 vcc_lo, 0, v2
	v_cndmask_b32_e64 v9, v2, -v2, vcc_lo
	s_delay_alu instid0(VALU_DEP_1)
	v_cmpx_ge_f32_e32 v1, v9
	s_xor_b32 s3, exec_lo, s2
	s_cbranch_execz .LBB177_370
; %bb.365:
	v_cmp_neq_f32_e32 vcc_lo, 0, v6
	v_cmp_neq_f32_e64 s2, 0, v2
                                        ; implicit-def: $vgpr4
	s_delay_alu instid0(VALU_DEP_1) | instskip(NEXT) | instid1(SALU_CYCLE_1)
	s_or_b32 s2, vcc_lo, s2
	s_and_saveexec_b32 s23, s2
	s_delay_alu instid0(SALU_CYCLE_1)
	s_xor_b32 s2, exec_lo, s23
	s_cbranch_execz .LBB177_367
; %bb.366:
	v_div_scale_f32 v1, null, v6, v6, v2
	v_div_scale_f32 v9, vcc_lo, v2, v6, v2
	s_delay_alu instid0(VALU_DEP_2) | instskip(SKIP_2) | instid1(VALU_DEP_1)
	v_rcp_f32_e32 v3, v1
	s_waitcnt_depctr 0xfff
	v_fma_f32 v4, -v1, v3, 1.0
	v_fmac_f32_e32 v3, v4, v3
	s_delay_alu instid0(VALU_DEP_1) | instskip(NEXT) | instid1(VALU_DEP_1)
	v_mul_f32_e32 v4, v9, v3
	v_fma_f32 v10, -v1, v4, v9
	s_delay_alu instid0(VALU_DEP_1) | instskip(NEXT) | instid1(VALU_DEP_1)
	v_fmac_f32_e32 v4, v10, v3
	v_fma_f32 v1, -v1, v4, v9
	s_delay_alu instid0(VALU_DEP_1) | instskip(NEXT) | instid1(VALU_DEP_1)
	v_div_fmas_f32 v1, v1, v3, v4
	v_div_fixup_f32 v1, v1, v6, v2
	s_delay_alu instid0(VALU_DEP_1) | instskip(NEXT) | instid1(VALU_DEP_1)
	v_fmac_f32_e32 v6, v2, v1
	v_div_scale_f32 v2, null, v6, v6, 1.0
	v_div_scale_f32 v9, vcc_lo, 1.0, v6, 1.0
	s_delay_alu instid0(VALU_DEP_2) | instskip(SKIP_2) | instid1(VALU_DEP_1)
	v_rcp_f32_e32 v3, v2
	s_waitcnt_depctr 0xfff
	v_fma_f32 v4, -v2, v3, 1.0
	v_fmac_f32_e32 v3, v4, v3
	s_delay_alu instid0(VALU_DEP_1) | instskip(NEXT) | instid1(VALU_DEP_1)
	v_mul_f32_e32 v4, v9, v3
	v_fma_f32 v10, -v2, v4, v9
	s_delay_alu instid0(VALU_DEP_1) | instskip(NEXT) | instid1(VALU_DEP_1)
	v_fmac_f32_e32 v4, v10, v3
	v_fma_f32 v2, -v2, v4, v9
                                        ; implicit-def: $vgpr9
	s_delay_alu instid0(VALU_DEP_1) | instskip(SKIP_1) | instid1(VALU_DEP_2)
	v_div_fmas_f32 v2, v2, v3, v4
	v_fma_f32 v3, v1, 0, 1.0
	v_div_fixup_f32 v2, v2, v6, 1.0
	s_delay_alu instid0(VALU_DEP_1)
	v_mul_f32_e32 v3, v3, v2
	v_mul_f32_e64 v4, -v1, v2
                                        ; implicit-def: $vgpr1
.LBB177_367:
	s_and_not1_saveexec_b32 s23, s2
	s_cbranch_execz .LBB177_369
; %bb.368:
	v_div_scale_f32 v2, null, v1, v1, 1.0
	v_div_scale_f32 v3, null, v9, v9, 0
	v_div_scale_f32 v12, vcc_lo, 1.0, v1, 1.0
	s_delay_alu instid0(VALU_DEP_3) | instskip(NEXT) | instid1(VALU_DEP_2)
	v_rcp_f32_e32 v4, v2
	v_rcp_f32_e32 v6, v3
	s_waitcnt_depctr 0xfff
	v_fma_f32 v10, -v2, v4, 1.0
	v_fma_f32 v11, -v3, v6, 1.0
	s_delay_alu instid0(VALU_DEP_1) | instskip(NEXT) | instid1(VALU_DEP_3)
	v_fmac_f32_e32 v6, v11, v6
	v_fmac_f32_e32 v4, v10, v4
	v_div_scale_f32 v10, s2, 0, v9, 0
	s_delay_alu instid0(VALU_DEP_1) | instskip(NEXT) | instid1(VALU_DEP_1)
	v_mul_f32_e32 v13, v10, v6
	v_fma_f32 v15, -v3, v13, v10
	s_delay_alu instid0(VALU_DEP_1) | instskip(SKIP_1) | instid1(VALU_DEP_2)
	v_fmac_f32_e32 v13, v15, v6
	v_mul_f32_e32 v11, v12, v4
	v_fma_f32 v3, -v3, v13, v10
	s_delay_alu instid0(VALU_DEP_2) | instskip(NEXT) | instid1(VALU_DEP_1)
	v_fma_f32 v14, -v2, v11, v12
	v_fmac_f32_e32 v11, v14, v4
	s_delay_alu instid0(VALU_DEP_1) | instskip(NEXT) | instid1(VALU_DEP_1)
	v_fma_f32 v2, -v2, v11, v12
	v_div_fmas_f32 v2, v2, v4, v11
	s_mov_b32 vcc_lo, s2
	v_div_fmas_f32 v4, v3, v6, v13
	s_delay_alu instid0(VALU_DEP_2) | instskip(NEXT) | instid1(VALU_DEP_2)
	v_div_fixup_f32 v3, v2, v1, 1.0
	v_div_fixup_f32 v4, v4, v9, 0
.LBB177_369:
	s_or_b32 exec_lo, exec_lo, s23
                                        ; implicit-def: $vgpr2
                                        ; implicit-def: $vgpr6
.LBB177_370:
	s_and_not1_saveexec_b32 s2, s3
	s_cbranch_execz .LBB177_372
; %bb.371:
	v_div_scale_f32 v1, null, v2, v2, v6
	v_div_scale_f32 v9, vcc_lo, v6, v2, v6
	s_delay_alu instid0(VALU_DEP_2) | instskip(SKIP_2) | instid1(VALU_DEP_1)
	v_rcp_f32_e32 v3, v1
	s_waitcnt_depctr 0xfff
	v_fma_f32 v4, -v1, v3, 1.0
	v_fmac_f32_e32 v3, v4, v3
	s_delay_alu instid0(VALU_DEP_1) | instskip(NEXT) | instid1(VALU_DEP_1)
	v_mul_f32_e32 v4, v9, v3
	v_fma_f32 v10, -v1, v4, v9
	s_delay_alu instid0(VALU_DEP_1) | instskip(NEXT) | instid1(VALU_DEP_1)
	v_fmac_f32_e32 v4, v10, v3
	v_fma_f32 v1, -v1, v4, v9
	s_delay_alu instid0(VALU_DEP_1) | instskip(NEXT) | instid1(VALU_DEP_1)
	v_div_fmas_f32 v1, v1, v3, v4
	v_div_fixup_f32 v1, v1, v2, v6
	s_delay_alu instid0(VALU_DEP_1) | instskip(NEXT) | instid1(VALU_DEP_1)
	v_fmac_f32_e32 v2, v6, v1
	v_div_scale_f32 v3, null, v2, v2, 1.0
	v_div_scale_f32 v9, vcc_lo, 1.0, v2, 1.0
	s_delay_alu instid0(VALU_DEP_2) | instskip(SKIP_2) | instid1(VALU_DEP_1)
	v_rcp_f32_e32 v4, v3
	s_waitcnt_depctr 0xfff
	v_fma_f32 v6, -v3, v4, 1.0
	v_fmac_f32_e32 v4, v6, v4
	s_delay_alu instid0(VALU_DEP_1) | instskip(NEXT) | instid1(VALU_DEP_1)
	v_mul_f32_e32 v6, v9, v4
	v_fma_f32 v10, -v3, v6, v9
	s_delay_alu instid0(VALU_DEP_1) | instskip(NEXT) | instid1(VALU_DEP_1)
	v_fmac_f32_e32 v6, v10, v4
	v_fma_f32 v3, -v3, v6, v9
	s_delay_alu instid0(VALU_DEP_1) | instskip(SKIP_2) | instid1(VALU_DEP_3)
	v_div_fmas_f32 v3, v3, v4, v6
	v_add_f32_e32 v4, 0, v1
	v_fma_f32 v1, v1, 0, -1.0
	v_div_fixup_f32 v2, v3, v2, 1.0
	s_delay_alu instid0(VALU_DEP_1) | instskip(NEXT) | instid1(VALU_DEP_3)
	v_mul_f32_e32 v3, v4, v2
	v_mul_f32_e32 v4, v1, v2
.LBB177_372:
	s_or_b32 exec_lo, exec_lo, s2
	v_and_b32_e32 v2, 0xff, v7
	v_add_co_u32 v0, s2, s4, v0
	s_delay_alu instid0(VALU_DEP_1) | instskip(NEXT) | instid1(VALU_DEP_3)
	v_add_co_ci_u32_e64 v1, null, s5, 0, s2
	v_cmp_gt_i16_e32 vcc_lo, 11, v2
	s_mov_b32 s3, 0
	s_mov_b32 s23, -1
	s_mov_b32 s2, s34
	s_cbranch_vccnz .LBB177_379
; %bb.373:
	v_cmp_lt_i16_e32 vcc_lo, 25, v2
	s_cbranch_vccz .LBB177_419
; %bb.374:
	v_cmp_lt_i16_e32 vcc_lo, 28, v2
	s_cbranch_vccz .LBB177_420
	;; [unrolled: 3-line block ×4, first 2 shown]
; %bb.377:
	v_cmp_eq_u16_e32 vcc_lo, 46, v2
	s_mov_b32 s23, 0
	s_mov_b32 s2, -1
	s_cbranch_vccz .LBB177_430
; %bb.378:
	v_bfe_u32 v6, v4, 16, 1
	v_bfe_u32 v9, v3, 16, 1
	v_cmp_o_f32_e32 vcc_lo, v4, v4
	s_mov_b32 s3, -1
	s_mov_b32 s2, 0
	v_add3_u32 v6, v4, v6, 0x7fff
	v_add3_u32 v9, v3, v9, 0x7fff
	s_delay_alu instid0(VALU_DEP_2) | instskip(NEXT) | instid1(VALU_DEP_2)
	v_and_b32_e32 v6, 0xffff0000, v6
	v_lshrrev_b32_e32 v9, 16, v9
	s_delay_alu instid0(VALU_DEP_2) | instskip(SKIP_1) | instid1(VALU_DEP_3)
	v_cndmask_b32_e32 v6, 0x7fc00000, v6, vcc_lo
	v_cmp_o_f32_e32 vcc_lo, v3, v3
	v_cndmask_b32_e32 v9, 0x7fc0, v9, vcc_lo
	s_delay_alu instid0(VALU_DEP_1)
	v_or_b32_e32 v6, v6, v9
	global_store_b32 v[0:1], v6, off
	s_branch .LBB177_430
.LBB177_379:
	s_and_b32 vcc_lo, exec_lo, s23
	s_cbranch_vccz .LBB177_499
; %bb.380:
	v_cmp_gt_i16_e32 vcc_lo, 5, v2
	s_mov_b32 s3, -1
	s_cbranch_vccnz .LBB177_401
; %bb.381:
	v_cmp_gt_i16_e32 vcc_lo, 8, v2
	s_cbranch_vccnz .LBB177_391
; %bb.382:
	v_cmp_gt_i16_e32 vcc_lo, 9, v2
	s_cbranch_vccnz .LBB177_388
; %bb.383:
	v_cmp_lt_i16_e32 vcc_lo, 9, v2
	s_cbranch_vccz .LBB177_385
; %bb.384:
	v_cvt_f64_f32_e32 v[9:10], v3
	v_cvt_f64_f32_e32 v[11:12], v4
	s_mov_b32 s3, 0
	global_store_b128 v[0:1], v[9:12], off
.LBB177_385:
	s_and_not1_b32 vcc_lo, exec_lo, s3
	s_cbranch_vccnz .LBB177_387
; %bb.386:
	global_store_b64 v[0:1], v[3:4], off
.LBB177_387:
	s_mov_b32 s3, 0
.LBB177_388:
	s_delay_alu instid0(SALU_CYCLE_1)
	s_and_not1_b32 vcc_lo, exec_lo, s3
	s_cbranch_vccnz .LBB177_390
; %bb.389:
	v_cvt_f16_f32_e32 v4, v4
	v_cvt_f16_f32_e32 v6, v3
	s_delay_alu instid0(VALU_DEP_2) | instskip(NEXT) | instid1(VALU_DEP_2)
	v_lshlrev_b32_e32 v4, 16, v4
	v_and_b32_e32 v6, 0xffff, v6
	s_delay_alu instid0(VALU_DEP_1)
	v_or_b32_e32 v4, v4, v6
	global_store_b32 v[0:1], v4, off
.LBB177_390:
	s_mov_b32 s3, 0
.LBB177_391:
	s_delay_alu instid0(SALU_CYCLE_1)
	s_and_not1_b32 vcc_lo, exec_lo, s3
	s_cbranch_vccnz .LBB177_400
; %bb.392:
	v_cmp_gt_i16_e32 vcc_lo, 6, v2
	s_mov_b32 s3, -1
	s_cbranch_vccnz .LBB177_398
; %bb.393:
	v_cmp_lt_i16_e32 vcc_lo, 6, v2
	s_cbranch_vccz .LBB177_395
; %bb.394:
	v_cvt_f64_f32_e32 v[9:10], v3
	s_mov_b32 s3, 0
	global_store_b64 v[0:1], v[9:10], off
.LBB177_395:
	s_and_not1_b32 vcc_lo, exec_lo, s3
	s_cbranch_vccnz .LBB177_397
; %bb.396:
	global_store_b32 v[0:1], v3, off
.LBB177_397:
	s_mov_b32 s3, 0
.LBB177_398:
	s_delay_alu instid0(SALU_CYCLE_1)
	s_and_not1_b32 vcc_lo, exec_lo, s3
	s_cbranch_vccnz .LBB177_400
; %bb.399:
	v_cvt_f16_f32_e32 v4, v3
	global_store_b16 v[0:1], v4, off
.LBB177_400:
	s_mov_b32 s3, 0
.LBB177_401:
	s_delay_alu instid0(SALU_CYCLE_1)
	s_and_not1_b32 vcc_lo, exec_lo, s3
	s_cbranch_vccnz .LBB177_417
; %bb.402:
	v_cmp_gt_i16_e32 vcc_lo, 2, v2
	s_mov_b32 s3, -1
	s_cbranch_vccnz .LBB177_412
; %bb.403:
	v_cmp_gt_i16_e32 vcc_lo, 3, v2
	s_cbranch_vccnz .LBB177_409
; %bb.404:
	v_cmp_lt_i16_e32 vcc_lo, 3, v2
	s_cbranch_vccz .LBB177_406
; %bb.405:
	v_trunc_f32_e32 v4, v3
	s_mov_b32 s3, 0
	s_delay_alu instid0(VALU_DEP_1) | instskip(NEXT) | instid1(VALU_DEP_1)
	v_mul_f32_e64 v6, 0x2f800000, |v4|
	v_floor_f32_e32 v6, v6
	s_delay_alu instid0(VALU_DEP_1) | instskip(SKIP_2) | instid1(VALU_DEP_3)
	v_fma_f32 v9, 0xcf800000, v6, |v4|
	v_ashrrev_i32_e32 v4, 31, v4
	v_cvt_u32_f32_e32 v6, v6
	v_cvt_u32_f32_e32 v9, v9
	s_delay_alu instid0(VALU_DEP_2) | instskip(NEXT) | instid1(VALU_DEP_2)
	v_xor_b32_e32 v6, v6, v4
	v_xor_b32_e32 v9, v9, v4
	s_delay_alu instid0(VALU_DEP_1) | instskip(NEXT) | instid1(VALU_DEP_3)
	v_sub_co_u32 v9, vcc_lo, v9, v4
	v_sub_co_ci_u32_e32 v10, vcc_lo, v6, v4, vcc_lo
	global_store_b64 v[0:1], v[9:10], off
.LBB177_406:
	s_and_not1_b32 vcc_lo, exec_lo, s3
	s_cbranch_vccnz .LBB177_408
; %bb.407:
	v_cvt_i32_f32_e32 v4, v3
	global_store_b32 v[0:1], v4, off
.LBB177_408:
	s_mov_b32 s3, 0
.LBB177_409:
	s_delay_alu instid0(SALU_CYCLE_1)
	s_and_not1_b32 vcc_lo, exec_lo, s3
	s_cbranch_vccnz .LBB177_411
; %bb.410:
	v_cvt_i32_f32_e32 v4, v3
	global_store_b16 v[0:1], v4, off
.LBB177_411:
	s_mov_b32 s3, 0
.LBB177_412:
	s_delay_alu instid0(SALU_CYCLE_1)
	s_and_not1_b32 vcc_lo, exec_lo, s3
	s_cbranch_vccnz .LBB177_417
; %bb.413:
	v_cmp_lt_i16_e32 vcc_lo, 0, v2
	s_mov_b32 s3, -1
	s_cbranch_vccz .LBB177_415
; %bb.414:
	v_cvt_i32_f32_e32 v2, v3
	s_mov_b32 s3, 0
	global_store_b8 v[0:1], v2, off
.LBB177_415:
	s_and_not1_b32 vcc_lo, exec_lo, s3
	s_cbranch_vccnz .LBB177_417
; %bb.416:
	v_trunc_f32_e32 v2, v3
	s_delay_alu instid0(VALU_DEP_1) | instskip(NEXT) | instid1(VALU_DEP_1)
	v_mul_f32_e64 v3, 0x2f800000, |v2|
	v_floor_f32_e32 v3, v3
	s_delay_alu instid0(VALU_DEP_1) | instskip(SKIP_1) | instid1(VALU_DEP_2)
	v_fma_f32 v3, 0xcf800000, v3, |v2|
	v_ashrrev_i32_e32 v2, 31, v2
	v_cvt_u32_f32_e32 v3, v3
	s_delay_alu instid0(VALU_DEP_1) | instskip(NEXT) | instid1(VALU_DEP_1)
	v_xor_b32_e32 v3, v3, v2
	v_sub_nc_u32_e32 v2, v3, v2
	global_store_b8 v[0:1], v2, off
.LBB177_417:
	s_branch .LBB177_500
.LBB177_418:
	s_mov_b32 s3, 0
	s_branch .LBB177_617
.LBB177_419:
	s_mov_b32 s2, s34
	s_branch .LBB177_457
.LBB177_420:
	s_mov_b32 s2, s34
	s_branch .LBB177_440
.LBB177_421:
	s_mov_b32 s2, s34
	s_branch .LBB177_436
.LBB177_422:
	s_or_saveexec_b32 s34, s34
                                        ; implicit-def: $sgpr35
	s_delay_alu instid0(SALU_CYCLE_1)
	s_xor_b32 exec_lo, exec_lo, s34
	s_cbranch_execz .LBB177_107
.LBB177_423:
	v_add_f32_e64 v6, 0x42800000, |v3|
	s_and_not1_b32 s23, s23, exec_lo
	s_mov_b32 s35, 0
	s_delay_alu instid0(VALU_DEP_1) | instskip(NEXT) | instid1(VALU_DEP_1)
	v_and_b32_e32 v6, 0xff, v6
	v_cmp_ne_u32_e32 vcc_lo, 0, v6
	s_and_b32 s38, vcc_lo, exec_lo
	s_delay_alu instid0(SALU_CYCLE_1)
	s_or_b32 s23, s23, s38
	s_or_b32 exec_lo, exec_lo, s34
	v_mov_b32_e32 v9, s35
	s_and_saveexec_b32 s34, s23
	s_cbranch_execnz .LBB177_108
	s_branch .LBB177_109
.LBB177_424:
	s_mov_b32 s22, -1
.LBB177_425:
                                        ; implicit-def: $vgpr2
.LBB177_426:
	s_and_b32 vcc_lo, exec_lo, s3
	s_cbranch_vccz .LBB177_503
; %bb.427:
	v_cmp_eq_u16_e32 vcc_lo, 44, v5
	s_cbranch_vccz .LBB177_501
; %bb.428:
	global_load_u8 v1, v[3:4], off
	s_mov_b32 s22, 0
	s_mov_b32 s2, -1
	s_waitcnt vmcnt(0)
	v_lshlrev_b32_e32 v2, 23, v1
	v_cmp_ne_u32_e32 vcc_lo, 0xff, v1
	s_delay_alu instid0(VALU_DEP_2) | instskip(SKIP_1) | instid1(VALU_DEP_2)
	v_cndmask_b32_e32 v2, 0x7f800001, v2, vcc_lo
	v_cmp_ne_u32_e32 vcc_lo, 0, v1
	v_cndmask_b32_e32 v1, 0x400000, v2, vcc_lo
	s_branch .LBB177_502
.LBB177_429:
	s_mov_b32 s2, s34
.LBB177_430:
	s_and_b32 vcc_lo, exec_lo, s23
	s_cbranch_vccz .LBB177_435
; %bb.431:
	v_cmp_eq_u16_e32 vcc_lo, 44, v2
	s_mov_b32 s2, -1
	s_cbranch_vccz .LBB177_435
; %bb.432:
	v_bfe_u32 v9, v3, 23, 8
	v_mov_b32_e32 v6, 0xff
	s_mov_b32 s3, exec_lo
	s_delay_alu instid0(VALU_DEP_2)
	v_cmpx_ne_u32_e32 0xff, v9
; %bb.433:
	v_and_b32_e32 v6, 0x400000, v3
	v_and_or_b32 v9, 0x3fffff, v3, v9
	s_delay_alu instid0(VALU_DEP_2) | instskip(NEXT) | instid1(VALU_DEP_2)
	v_cmp_ne_u32_e32 vcc_lo, 0, v6
	v_cmp_ne_u32_e64 s2, 0, v9
	v_lshrrev_b32_e32 v6, 23, v3
	s_delay_alu instid0(VALU_DEP_2) | instskip(NEXT) | instid1(SALU_CYCLE_1)
	s_and_b32 s2, vcc_lo, s2
	v_cndmask_b32_e64 v9, 0, 1, s2
	s_delay_alu instid0(VALU_DEP_1)
	v_add_nc_u32_e32 v6, v6, v9
; %bb.434:
	s_or_b32 exec_lo, exec_lo, s3
	s_mov_b32 s3, -1
	s_mov_b32 s2, 0
	global_store_b8 v[0:1], v6, off
.LBB177_435:
	s_mov_b32 s23, 0
.LBB177_436:
	s_delay_alu instid0(SALU_CYCLE_1)
	s_and_b32 vcc_lo, exec_lo, s23
	s_cbranch_vccz .LBB177_439
; %bb.437:
	v_cmp_eq_u16_e32 vcc_lo, 29, v2
	s_mov_b32 s2, -1
	s_cbranch_vccz .LBB177_439
; %bb.438:
	v_trunc_f32_e32 v6, v3
	s_mov_b32 s3, -1
	s_mov_b32 s2, 0
	s_mov_b32 s23, 0
	s_delay_alu instid0(VALU_DEP_1) | instskip(NEXT) | instid1(VALU_DEP_1)
	v_mul_f32_e32 v9, 0x2f800000, v6
	v_floor_f32_e32 v9, v9
	s_delay_alu instid0(VALU_DEP_1) | instskip(SKIP_1) | instid1(VALU_DEP_2)
	v_fmamk_f32 v6, v9, 0xcf800000, v6
	v_cvt_u32_f32_e32 v10, v9
	v_cvt_u32_f32_e32 v9, v6
	global_store_b64 v[0:1], v[9:10], off
	s_branch .LBB177_440
.LBB177_439:
	s_mov_b32 s23, 0
.LBB177_440:
	s_delay_alu instid0(SALU_CYCLE_1)
	s_and_b32 vcc_lo, exec_lo, s23
	s_cbranch_vccz .LBB177_456
; %bb.441:
	v_cmp_gt_i16_e32 vcc_lo, 27, v2
	s_mov_b32 s3, -1
	s_cbranch_vccnz .LBB177_447
; %bb.442:
	v_cmp_lt_i16_e32 vcc_lo, 27, v2
	s_cbranch_vccz .LBB177_444
; %bb.443:
	v_cvt_u32_f32_e32 v6, v3
	s_mov_b32 s3, 0
	global_store_b32 v[0:1], v6, off
.LBB177_444:
	s_and_not1_b32 vcc_lo, exec_lo, s3
	s_cbranch_vccnz .LBB177_446
; %bb.445:
	v_cvt_u32_f32_e32 v6, v3
	global_store_b16 v[0:1], v6, off
.LBB177_446:
	s_mov_b32 s3, 0
.LBB177_447:
	s_delay_alu instid0(SALU_CYCLE_1)
	s_and_not1_b32 vcc_lo, exec_lo, s3
	s_cbranch_vccnz .LBB177_455
; %bb.448:
	v_and_b32_e32 v6, 0x7fffffff, v3
	v_mov_b32_e32 v9, 0x80
	s_mov_b32 s3, exec_lo
	s_delay_alu instid0(VALU_DEP_2)
	v_cmpx_gt_u32_e32 0x43800000, v6
	s_cbranch_execz .LBB177_454
; %bb.449:
	v_cmp_lt_u32_e32 vcc_lo, 0x3bffffff, v6
	s_mov_b32 s23, 0
                                        ; implicit-def: $vgpr6
	s_and_saveexec_b32 s37, vcc_lo
	s_delay_alu instid0(SALU_CYCLE_1)
	s_xor_b32 s37, exec_lo, s37
	s_cbranch_execz .LBB177_645
; %bb.450:
	v_bfe_u32 v6, v3, 20, 1
	s_mov_b32 s23, exec_lo
	s_delay_alu instid0(VALU_DEP_1) | instskip(NEXT) | instid1(VALU_DEP_1)
	v_add3_u32 v6, v3, v6, 0x487ffff
	v_lshrrev_b32_e32 v6, 20, v6
	s_or_saveexec_b32 s37, s37
                                        ; implicit-def: $sgpr38
	s_delay_alu instid0(SALU_CYCLE_1)
	s_xor_b32 exec_lo, exec_lo, s37
	s_cbranch_execnz .LBB177_646
.LBB177_451:
	s_or_b32 exec_lo, exec_lo, s37
	v_mov_b32_e32 v9, s38
	s_and_saveexec_b32 s37, s23
.LBB177_452:
	v_lshrrev_b32_e32 v9, 24, v3
	s_delay_alu instid0(VALU_DEP_1)
	v_and_or_b32 v9, 0x80, v9, v6
.LBB177_453:
	s_or_b32 exec_lo, exec_lo, s37
.LBB177_454:
	s_delay_alu instid0(SALU_CYCLE_1)
	s_or_b32 exec_lo, exec_lo, s3
	global_store_b8 v[0:1], v9, off
.LBB177_455:
	s_mov_b32 s3, -1
.LBB177_456:
	s_mov_b32 s23, 0
.LBB177_457:
	s_delay_alu instid0(SALU_CYCLE_1)
	s_and_b32 vcc_lo, exec_lo, s23
	s_cbranch_vccz .LBB177_498
; %bb.458:
	v_cmp_lt_i16_e32 vcc_lo, 22, v2
	s_mov_b32 s23, -1
	s_cbranch_vccz .LBB177_490
; %bb.459:
	v_cmp_gt_i16_e32 vcc_lo, 24, v2
	s_mov_b32 s3, -1
	s_cbranch_vccnz .LBB177_479
; %bb.460:
	v_cmp_lt_i16_e32 vcc_lo, 24, v2
	s_cbranch_vccz .LBB177_468
; %bb.461:
	v_and_b32_e32 v6, 0x7fffffff, v3
	v_mov_b32_e32 v9, 0x80
	s_mov_b32 s3, exec_lo
	s_delay_alu instid0(VALU_DEP_2)
	v_cmpx_gt_u32_e32 0x47800000, v6
	s_cbranch_execz .LBB177_467
; %bb.462:
	v_cmp_lt_u32_e32 vcc_lo, 0x37ffffff, v6
	s_mov_b32 s23, 0
                                        ; implicit-def: $vgpr6
	s_and_saveexec_b32 s37, vcc_lo
	s_delay_alu instid0(SALU_CYCLE_1)
	s_xor_b32 s37, exec_lo, s37
	s_cbranch_execz .LBB177_648
; %bb.463:
	v_bfe_u32 v6, v3, 21, 1
	s_mov_b32 s23, exec_lo
	s_delay_alu instid0(VALU_DEP_1) | instskip(NEXT) | instid1(VALU_DEP_1)
	v_add3_u32 v6, v3, v6, 0x88fffff
	v_lshrrev_b32_e32 v6, 21, v6
	s_or_saveexec_b32 s37, s37
                                        ; implicit-def: $sgpr38
	s_delay_alu instid0(SALU_CYCLE_1)
	s_xor_b32 exec_lo, exec_lo, s37
	s_cbranch_execnz .LBB177_649
.LBB177_464:
	s_or_b32 exec_lo, exec_lo, s37
	v_mov_b32_e32 v9, s38
	s_and_saveexec_b32 s37, s23
.LBB177_465:
	v_lshrrev_b32_e32 v9, 24, v3
	s_delay_alu instid0(VALU_DEP_1)
	v_and_or_b32 v9, 0x80, v9, v6
.LBB177_466:
	s_or_b32 exec_lo, exec_lo, s37
.LBB177_467:
	s_delay_alu instid0(SALU_CYCLE_1)
	s_or_b32 exec_lo, exec_lo, s3
	s_mov_b32 s3, 0
	global_store_b8 v[0:1], v9, off
.LBB177_468:
	s_and_b32 vcc_lo, exec_lo, s3
	s_cbranch_vccz .LBB177_478
; %bb.469:
	v_and_b32_e32 v9, 0x7fffffff, v3
	s_mov_b32 s3, exec_lo
                                        ; implicit-def: $vgpr6
	s_delay_alu instid0(VALU_DEP_1)
	v_cmpx_gt_u32_e32 0x43f00000, v9
	s_xor_b32 s3, exec_lo, s3
	s_cbranch_execz .LBB177_475
; %bb.470:
	s_mov_b32 s23, exec_lo
                                        ; implicit-def: $vgpr6
	v_cmpx_lt_u32_e32 0x3c7fffff, v9
	s_xor_b32 s23, exec_lo, s23
; %bb.471:
	v_bfe_u32 v6, v3, 20, 1
	s_delay_alu instid0(VALU_DEP_1) | instskip(NEXT) | instid1(VALU_DEP_1)
	v_add3_u32 v6, v3, v6, 0x407ffff
	v_and_b32_e32 v9, 0xff00000, v6
	v_lshrrev_b32_e32 v6, 20, v6
	s_delay_alu instid0(VALU_DEP_2) | instskip(NEXT) | instid1(VALU_DEP_2)
	v_cmp_ne_u32_e32 vcc_lo, 0x7f00000, v9
	v_cndmask_b32_e32 v6, 0x7e, v6, vcc_lo
; %bb.472:
	s_and_not1_saveexec_b32 s23, s23
; %bb.473:
	v_add_f32_e64 v6, 0x46800000, |v3|
; %bb.474:
	s_or_b32 exec_lo, exec_lo, s23
                                        ; implicit-def: $vgpr9
.LBB177_475:
	s_and_not1_saveexec_b32 s3, s3
; %bb.476:
	v_mov_b32_e32 v6, 0x7f
	v_cmp_lt_u32_e32 vcc_lo, 0x7f800000, v9
	s_delay_alu instid0(VALU_DEP_2)
	v_cndmask_b32_e32 v6, 0x7e, v6, vcc_lo
; %bb.477:
	s_or_b32 exec_lo, exec_lo, s3
	v_lshrrev_b32_e32 v9, 24, v3
	s_delay_alu instid0(VALU_DEP_1)
	v_and_or_b32 v6, 0x80, v9, v6
	global_store_b8 v[0:1], v6, off
.LBB177_478:
	s_mov_b32 s3, 0
.LBB177_479:
	s_delay_alu instid0(SALU_CYCLE_1)
	s_and_not1_b32 vcc_lo, exec_lo, s3
	s_cbranch_vccnz .LBB177_489
; %bb.480:
	v_and_b32_e32 v9, 0x7fffffff, v3
	s_mov_b32 s3, exec_lo
                                        ; implicit-def: $vgpr6
	s_delay_alu instid0(VALU_DEP_1)
	v_cmpx_gt_u32_e32 0x47800000, v9
	s_xor_b32 s3, exec_lo, s3
	s_cbranch_execz .LBB177_486
; %bb.481:
	s_mov_b32 s23, exec_lo
                                        ; implicit-def: $vgpr6
	v_cmpx_lt_u32_e32 0x387fffff, v9
	s_xor_b32 s23, exec_lo, s23
; %bb.482:
	v_bfe_u32 v6, v3, 21, 1
	s_delay_alu instid0(VALU_DEP_1) | instskip(NEXT) | instid1(VALU_DEP_1)
	v_add3_u32 v6, v3, v6, 0x80fffff
	v_lshrrev_b32_e32 v6, 21, v6
; %bb.483:
	s_and_not1_saveexec_b32 s23, s23
; %bb.484:
	v_add_f32_e64 v6, 0x43000000, |v3|
; %bb.485:
	s_or_b32 exec_lo, exec_lo, s23
                                        ; implicit-def: $vgpr9
.LBB177_486:
	s_and_not1_saveexec_b32 s3, s3
; %bb.487:
	v_mov_b32_e32 v6, 0x7f
	v_cmp_lt_u32_e32 vcc_lo, 0x7f800000, v9
	s_delay_alu instid0(VALU_DEP_2)
	v_cndmask_b32_e32 v6, 0x7c, v6, vcc_lo
; %bb.488:
	s_or_b32 exec_lo, exec_lo, s3
	v_lshrrev_b32_e32 v9, 24, v3
	s_delay_alu instid0(VALU_DEP_1)
	v_and_or_b32 v6, 0x80, v9, v6
	global_store_b8 v[0:1], v6, off
.LBB177_489:
	s_mov_b32 s23, 0
	s_mov_b32 s3, -1
.LBB177_490:
	s_and_not1_b32 vcc_lo, exec_lo, s23
	s_cbranch_vccnz .LBB177_498
; %bb.491:
	v_cmp_lt_i16_e32 vcc_lo, 14, v2
	s_mov_b32 s23, -1
	s_cbranch_vccz .LBB177_495
; %bb.492:
	v_cmp_eq_u16_e32 vcc_lo, 15, v2
	s_mov_b32 s2, -1
	s_cbranch_vccz .LBB177_494
; %bb.493:
	v_bfe_u32 v6, v3, 16, 1
	v_cmp_o_f32_e32 vcc_lo, v3, v3
	s_mov_b32 s3, -1
	s_mov_b32 s2, 0
	s_delay_alu instid0(VALU_DEP_2) | instskip(NEXT) | instid1(VALU_DEP_1)
	v_add3_u32 v6, v3, v6, 0x7fff
	v_lshrrev_b32_e32 v6, 16, v6
	s_delay_alu instid0(VALU_DEP_1)
	v_cndmask_b32_e32 v6, 0x7fc0, v6, vcc_lo
	global_store_b16 v[0:1], v6, off
.LBB177_494:
	s_mov_b32 s23, 0
.LBB177_495:
	s_delay_alu instid0(SALU_CYCLE_1)
	s_and_b32 vcc_lo, exec_lo, s23
	s_cbranch_vccz .LBB177_498
; %bb.496:
	v_cmp_eq_u16_e32 vcc_lo, 11, v2
	s_mov_b32 s2, -1
	s_cbranch_vccz .LBB177_498
; %bb.497:
	v_cmp_neq_f32_e32 vcc_lo, 0, v3
	v_cmp_neq_f32_e64 s2, 0, v4
	s_mov_b32 s3, -1
	s_delay_alu instid0(VALU_DEP_1) | instskip(NEXT) | instid1(SALU_CYCLE_1)
	s_or_b32 s2, vcc_lo, s2
	v_cndmask_b32_e64 v6, 0, 1, s2
	s_mov_b32 s2, 0
	global_store_b8 v[0:1], v6, off
.LBB177_498:
.LBB177_499:
	s_and_not1_b32 vcc_lo, exec_lo, s3
	s_cbranch_vccnz .LBB177_418
.LBB177_500:
	v_add_nc_u32_e32 v8, 0x80, v8
	s_mov_b32 s3, -1
	s_branch .LBB177_618
.LBB177_501:
	s_mov_b32 s22, -1
                                        ; implicit-def: $vgpr1
.LBB177_502:
	s_delay_alu instid0(SALU_CYCLE_1)
	v_mov_b32_e32 v2, s22
.LBB177_503:
	s_mov_b32 s3, 0
.LBB177_504:
	s_delay_alu instid0(SALU_CYCLE_1)
	s_and_b32 vcc_lo, exec_lo, s3
	s_cbranch_vccz .LBB177_509
; %bb.505:
	v_cmp_eq_u16_e32 vcc_lo, 29, v5
	s_cbranch_vccz .LBB177_507
; %bb.506:
	global_load_b64 v[1:2], v[3:4], off
	s_mov_b32 s2, -1
	s_mov_b32 s22, 0
	s_mov_b32 s3, 0
	s_waitcnt vmcnt(0)
	v_clz_i32_u32_e32 v6, v2
	s_delay_alu instid0(VALU_DEP_1) | instskip(NEXT) | instid1(VALU_DEP_1)
	v_min_u32_e32 v6, 32, v6
	v_lshlrev_b64 v[1:2], v6, v[1:2]
	s_delay_alu instid0(VALU_DEP_1) | instskip(NEXT) | instid1(VALU_DEP_1)
	v_min_u32_e32 v1, 1, v1
	v_or_b32_e32 v1, v2, v1
	v_sub_nc_u32_e32 v2, 32, v6
	s_delay_alu instid0(VALU_DEP_2) | instskip(NEXT) | instid1(VALU_DEP_1)
	v_cvt_f32_u32_e32 v1, v1
	v_ldexp_f32 v1, v1, v2
	s_branch .LBB177_508
.LBB177_507:
	s_mov_b32 s22, -1
                                        ; implicit-def: $sgpr3
                                        ; implicit-def: $vgpr1
.LBB177_508:
	v_mov_b32_e32 v2, s3
.LBB177_509:
	s_mov_b32 s3, 0
.LBB177_510:
	s_delay_alu instid0(SALU_CYCLE_1)
	s_and_b32 vcc_lo, exec_lo, s3
	s_cbranch_vccz .LBB177_530
; %bb.511:
	v_cmp_gt_i16_e32 vcc_lo, 27, v5
	s_cbranch_vccnz .LBB177_514
; %bb.512:
	v_cmp_lt_i16_e32 vcc_lo, 27, v5
	s_cbranch_vccz .LBB177_515
; %bb.513:
	global_load_b32 v1, v[3:4], off
	s_mov_b32 s3, 0
	s_mov_b32 s2, 0
	s_waitcnt vmcnt(0)
	v_cvt_f32_u32_e32 v1, v1
	s_branch .LBB177_516
.LBB177_514:
	s_mov_b32 s3, -1
                                        ; implicit-def: $sgpr2
                                        ; implicit-def: $vgpr1
	s_branch .LBB177_519
.LBB177_515:
	s_mov_b32 s3, -1
                                        ; implicit-def: $sgpr2
                                        ; implicit-def: $vgpr1
.LBB177_516:
	s_delay_alu instid0(SALU_CYCLE_1)
	s_and_not1_b32 vcc_lo, exec_lo, s3
	s_cbranch_vccnz .LBB177_518
; %bb.517:
	global_load_u16 v1, v[3:4], off
	s_mov_b32 s2, 0
	s_waitcnt vmcnt(0)
	v_cvt_f32_u32_e32 v1, v1
.LBB177_518:
	s_mov_b32 s3, 0
.LBB177_519:
	v_mov_b32_e32 v2, s2
	s_and_not1_b32 vcc_lo, exec_lo, s3
	s_cbranch_vccnz .LBB177_529
; %bb.520:
	global_load_u8 v6, v[3:4], off
	s_mov_b32 s2, 0
	s_mov_b32 s37, exec_lo
                                        ; implicit-def: $sgpr23
                                        ; implicit-def: $sgpr3
	s_waitcnt vmcnt(0)
	v_cmpx_lt_i16_e32 0x7f, v6
	s_xor_b32 s37, exec_lo, s37
	s_cbranch_execz .LBB177_524
; %bb.521:
	s_mov_b32 s2, -1
	s_mov_b32 s38, exec_lo
                                        ; implicit-def: $sgpr23
                                        ; implicit-def: $sgpr3
	v_cmpx_eq_u16_e32 0x80, v6
; %bb.522:
	s_mov_b32 s3, 0x7f800001
	s_mov_b32 s23, 0
	s_xor_b32 s2, exec_lo, -1
; %bb.523:
	s_or_b32 exec_lo, exec_lo, s38
	s_delay_alu instid0(SALU_CYCLE_1)
	s_and_b32 s2, s2, exec_lo
.LBB177_524:
	s_or_saveexec_b32 s37, s37
	v_dual_mov_b32 v2, s23 :: v_dual_mov_b32 v1, s3
	s_xor_b32 exec_lo, exec_lo, s37
; %bb.525:
	v_cmp_ne_u16_e32 vcc_lo, 0, v6
	v_dual_mov_b32 v2, 0 :: v_dual_mov_b32 v1, 0
	s_and_not1_b32 s2, s2, exec_lo
	s_and_b32 s3, vcc_lo, exec_lo
	s_delay_alu instid0(SALU_CYCLE_1)
	s_or_b32 s2, s2, s3
; %bb.526:
	s_or_b32 exec_lo, exec_lo, s37
	s_and_saveexec_b32 s3, s2
	s_cbranch_execz .LBB177_528
; %bb.527:
	v_and_b32_e32 v1, 0xffff, v6
	v_lshlrev_b32_e32 v6, 24, v6
	s_delay_alu instid0(VALU_DEP_2) | instskip(NEXT) | instid1(VALU_DEP_2)
	v_and_b32_e32 v2, 7, v1
	v_and_b32_e32 v6, 0x80000000, v6
	s_delay_alu instid0(VALU_DEP_2) | instskip(NEXT) | instid1(VALU_DEP_1)
	v_clz_i32_u32_e32 v9, v2
	v_min_u32_e32 v9, 32, v9
	s_delay_alu instid0(VALU_DEP_1) | instskip(SKIP_1) | instid1(VALU_DEP_2)
	v_subrev_nc_u32_e32 v10, 28, v9
	v_sub_nc_u32_e32 v9, 29, v9
	v_lshlrev_b32_e32 v10, v10, v1
	v_bfe_u32 v1, v1, 3, 4
	s_delay_alu instid0(VALU_DEP_1) | instskip(NEXT) | instid1(VALU_DEP_3)
	v_cmp_eq_u32_e32 vcc_lo, 0, v1
	v_dual_cndmask_b32 v1, v1, v9 :: v_dual_and_b32 v10, 7, v10
	s_delay_alu instid0(VALU_DEP_1) | instskip(NEXT) | instid1(VALU_DEP_2)
	v_cndmask_b32_e32 v2, v2, v10, vcc_lo
	v_lshl_add_u32 v1, v1, 23, 0x3b800000
	s_delay_alu instid0(VALU_DEP_2) | instskip(NEXT) | instid1(VALU_DEP_1)
	v_lshlrev_b32_e32 v2, 20, v2
	v_or3_b32 v1, v6, v1, v2
	v_mov_b32_e32 v2, 0
.LBB177_528:
	s_or_b32 exec_lo, exec_lo, s3
.LBB177_529:
	s_mov_b32 s2, -1
.LBB177_530:
	s_mov_b32 s3, 0
.LBB177_531:
	s_delay_alu instid0(SALU_CYCLE_1)
	s_and_b32 vcc_lo, exec_lo, s3
	s_cbranch_vccz .LBB177_565
; %bb.532:
	v_cmp_lt_i16_e32 vcc_lo, 22, v5
	s_cbranch_vccz .LBB177_544
; %bb.533:
	v_cmp_gt_i16_e32 vcc_lo, 24, v5
	s_cbranch_vccnz .LBB177_545
; %bb.534:
	v_cmp_lt_i16_e32 vcc_lo, 24, v5
	s_cbranch_vccz .LBB177_546
; %bb.535:
	global_load_u8 v6, v[3:4], off
	s_mov_b32 s2, 0
	s_mov_b32 s37, exec_lo
                                        ; implicit-def: $sgpr23
                                        ; implicit-def: $sgpr3
	s_waitcnt vmcnt(0)
	v_cmpx_lt_i16_e32 0x7f, v6
	s_xor_b32 s37, exec_lo, s37
	s_cbranch_execz .LBB177_539
; %bb.536:
	s_mov_b32 s2, -1
	s_mov_b32 s38, exec_lo
                                        ; implicit-def: $sgpr23
                                        ; implicit-def: $sgpr3
	v_cmpx_eq_u16_e32 0x80, v6
; %bb.537:
	s_mov_b32 s3, 0x7f800001
	s_mov_b32 s23, 0
	s_xor_b32 s2, exec_lo, -1
; %bb.538:
	s_or_b32 exec_lo, exec_lo, s38
	s_delay_alu instid0(SALU_CYCLE_1)
	s_and_b32 s2, s2, exec_lo
.LBB177_539:
	s_or_saveexec_b32 s37, s37
	v_dual_mov_b32 v2, s23 :: v_dual_mov_b32 v1, s3
	s_xor_b32 exec_lo, exec_lo, s37
; %bb.540:
	v_cmp_ne_u16_e32 vcc_lo, 0, v6
	v_dual_mov_b32 v2, 0 :: v_dual_mov_b32 v1, 0
	s_and_not1_b32 s2, s2, exec_lo
	s_and_b32 s3, vcc_lo, exec_lo
	s_delay_alu instid0(SALU_CYCLE_1)
	s_or_b32 s2, s2, s3
; %bb.541:
	s_or_b32 exec_lo, exec_lo, s37
	s_and_saveexec_b32 s3, s2
	s_cbranch_execz .LBB177_543
; %bb.542:
	v_and_b32_e32 v1, 0xffff, v6
	v_lshlrev_b32_e32 v6, 24, v6
	s_delay_alu instid0(VALU_DEP_2) | instskip(NEXT) | instid1(VALU_DEP_2)
	v_and_b32_e32 v2, 3, v1
	v_and_b32_e32 v6, 0x80000000, v6
	s_delay_alu instid0(VALU_DEP_2) | instskip(NEXT) | instid1(VALU_DEP_1)
	v_clz_i32_u32_e32 v9, v2
	v_min_u32_e32 v9, 32, v9
	s_delay_alu instid0(VALU_DEP_1) | instskip(SKIP_1) | instid1(VALU_DEP_2)
	v_subrev_nc_u32_e32 v10, 29, v9
	v_sub_nc_u32_e32 v9, 30, v9
	v_lshlrev_b32_e32 v10, v10, v1
	v_bfe_u32 v1, v1, 2, 5
	s_delay_alu instid0(VALU_DEP_1) | instskip(NEXT) | instid1(VALU_DEP_3)
	v_cmp_eq_u32_e32 vcc_lo, 0, v1
	v_dual_cndmask_b32 v1, v1, v9 :: v_dual_and_b32 v10, 3, v10
	s_delay_alu instid0(VALU_DEP_1) | instskip(NEXT) | instid1(VALU_DEP_2)
	v_cndmask_b32_e32 v2, v2, v10, vcc_lo
	v_lshl_add_u32 v1, v1, 23, 0x37800000
	s_delay_alu instid0(VALU_DEP_2) | instskip(NEXT) | instid1(VALU_DEP_1)
	v_lshlrev_b32_e32 v2, 21, v2
	v_or3_b32 v1, v6, v1, v2
	v_mov_b32_e32 v2, 0
.LBB177_543:
	s_or_b32 exec_lo, exec_lo, s3
	s_mov_b32 s2, 0
	s_branch .LBB177_547
.LBB177_544:
	s_mov_b32 s3, -1
                                        ; implicit-def: $vgpr2
	s_branch .LBB177_553
.LBB177_545:
	s_mov_b32 s2, -1
                                        ; implicit-def: $vgpr2
	s_branch .LBB177_550
.LBB177_546:
	s_mov_b32 s2, -1
                                        ; implicit-def: $vgpr2
.LBB177_547:
	s_delay_alu instid0(SALU_CYCLE_1)
	s_and_b32 vcc_lo, exec_lo, s2
	s_cbranch_vccz .LBB177_549
; %bb.548:
	global_load_u8 v1, v[3:4], off
	s_waitcnt vmcnt(0)
	v_lshlrev_b32_e32 v1, 24, v1
	s_delay_alu instid0(VALU_DEP_1) | instskip(NEXT) | instid1(VALU_DEP_1)
	v_and_b32_e32 v2, 0x7f000000, v1
	v_clz_i32_u32_e32 v6, v2
	v_add_nc_u32_e32 v10, 0x1000000, v2
	v_cmp_ne_u32_e32 vcc_lo, 0, v2
	s_delay_alu instid0(VALU_DEP_3) | instskip(NEXT) | instid1(VALU_DEP_1)
	v_min_u32_e32 v6, 32, v6
	v_sub_nc_u32_e64 v6, v6, 4 clamp
	s_delay_alu instid0(VALU_DEP_1) | instskip(SKIP_1) | instid1(VALU_DEP_2)
	v_lshlrev_b32_e32 v9, v6, v2
	v_lshlrev_b32_e32 v6, 23, v6
	v_lshrrev_b32_e32 v9, 4, v9
	s_delay_alu instid0(VALU_DEP_1) | instskip(SKIP_1) | instid1(VALU_DEP_2)
	v_sub_nc_u32_e32 v6, v9, v6
	v_ashrrev_i32_e32 v9, 8, v10
	v_add_nc_u32_e32 v6, 0x3c000000, v6
	s_delay_alu instid0(VALU_DEP_1) | instskip(NEXT) | instid1(VALU_DEP_1)
	v_and_or_b32 v6, 0x7f800000, v9, v6
	v_cndmask_b32_e32 v2, 0, v6, vcc_lo
	s_delay_alu instid0(VALU_DEP_1)
	v_and_or_b32 v1, 0x80000000, v1, v2
	v_mov_b32_e32 v2, 0
.LBB177_549:
	s_mov_b32 s2, 0
.LBB177_550:
	s_delay_alu instid0(SALU_CYCLE_1)
	s_and_not1_b32 vcc_lo, exec_lo, s2
	s_cbranch_vccnz .LBB177_552
; %bb.551:
	global_load_u8 v1, v[3:4], off
	s_waitcnt vmcnt(0)
	v_lshlrev_b32_e32 v2, 25, v1
	v_lshlrev_b16 v1, 8, v1
	s_delay_alu instid0(VALU_DEP_2) | instskip(NEXT) | instid1(VALU_DEP_2)
	v_lshrrev_b32_e32 v6, 4, v2
	v_and_or_b32 v9, 0x7f00, v1, 0.5
	v_cmp_gt_u32_e32 vcc_lo, 0x8000000, v2
	v_bfe_i32 v1, v1, 0, 16
	s_delay_alu instid0(VALU_DEP_4) | instskip(NEXT) | instid1(VALU_DEP_1)
	v_or_b32_e32 v6, 0x70000000, v6
	v_dual_add_f32 v9, -0.5, v9 :: v_dual_mul_f32 v6, 0x7800000, v6
	s_delay_alu instid0(VALU_DEP_1) | instskip(NEXT) | instid1(VALU_DEP_1)
	v_cndmask_b32_e32 v2, v6, v9, vcc_lo
	v_and_or_b32 v1, 0x80000000, v1, v2
	v_mov_b32_e32 v2, 0
.LBB177_552:
	s_mov_b32 s3, 0
	s_mov_b32 s2, -1
.LBB177_553:
	s_and_not1_b32 vcc_lo, exec_lo, s3
	s_cbranch_vccnz .LBB177_565
; %bb.554:
	v_cmp_lt_i16_e32 vcc_lo, 14, v5
	s_cbranch_vccz .LBB177_557
; %bb.555:
	v_cmp_eq_u16_e32 vcc_lo, 15, v5
	s_cbranch_vccz .LBB177_558
; %bb.556:
	global_load_u16 v1, v[3:4], off
	s_mov_b32 s2, -1
	s_mov_b32 s22, 0
	s_mov_b32 s3, 0
	s_waitcnt vmcnt(0)
	v_lshlrev_b32_e32 v1, 16, v1
	s_branch .LBB177_559
.LBB177_557:
	s_mov_b32 s23, -1
                                        ; implicit-def: $sgpr3
                                        ; implicit-def: $vgpr1
	s_branch .LBB177_560
.LBB177_558:
	s_mov_b32 s22, -1
                                        ; implicit-def: $sgpr3
                                        ; implicit-def: $vgpr1
.LBB177_559:
	s_mov_b32 s23, 0
.LBB177_560:
	s_delay_alu instid0(SALU_CYCLE_1)
	s_and_b32 vcc_lo, exec_lo, s23
	s_cbranch_vccz .LBB177_564
; %bb.561:
	v_cmp_eq_u16_e32 vcc_lo, 11, v5
	s_cbranch_vccz .LBB177_563
; %bb.562:
	global_load_u8 v1, v[3:4], off
	s_mov_b32 s3, 0
	s_mov_b32 s2, -1
	s_mov_b32 s22, 0
	s_waitcnt vmcnt(0)
	v_cmp_ne_u16_e32 vcc_lo, 0, v1
	v_cndmask_b32_e64 v1, 0, 1.0, vcc_lo
	s_branch .LBB177_564
.LBB177_563:
	s_mov_b32 s22, -1
                                        ; implicit-def: $sgpr3
                                        ; implicit-def: $vgpr1
.LBB177_564:
	v_mov_b32_e32 v2, s3
.LBB177_565:
	s_branch .LBB177_329
.LBB177_566:
	v_cmp_gt_i16_e32 vcc_lo, 5, v5
	s_cbranch_vccnz .LBB177_571
; %bb.567:
	v_cmp_gt_i16_e32 vcc_lo, 8, v5
	s_cbranch_vccnz .LBB177_572
; %bb.568:
	;; [unrolled: 3-line block ×3, first 2 shown]
	v_cmp_lt_i16_e32 vcc_lo, 9, v5
	s_cbranch_vccz .LBB177_574
; %bb.570:
	global_load_b128 v[9:12], v[3:4], off
	s_mov_b32 s2, 0
	s_waitcnt vmcnt(0)
	v_cvt_f32_f64_e32 v1, v[9:10]
	v_cvt_f32_f64_e32 v2, v[11:12]
	s_branch .LBB177_575
.LBB177_571:
	s_mov_b32 s2, -1
                                        ; implicit-def: $vgpr2
	s_branch .LBB177_594
.LBB177_572:
	s_mov_b32 s2, -1
                                        ; implicit-def: $vgpr2
	s_branch .LBB177_581
.LBB177_573:
	s_mov_b32 s2, -1
                                        ; implicit-def: $vgpr2
	s_branch .LBB177_578
.LBB177_574:
	s_mov_b32 s2, -1
                                        ; implicit-def: $vgpr2
.LBB177_575:
	s_delay_alu instid0(SALU_CYCLE_1)
	s_and_not1_b32 vcc_lo, exec_lo, s2
	s_cbranch_vccnz .LBB177_577
; %bb.576:
	global_load_b64 v[1:2], v[3:4], off
.LBB177_577:
	s_mov_b32 s2, 0
.LBB177_578:
	s_delay_alu instid0(SALU_CYCLE_1)
	s_and_not1_b32 vcc_lo, exec_lo, s2
	s_cbranch_vccnz .LBB177_580
; %bb.579:
	global_load_b32 v1, v[3:4], off
	s_waitcnt vmcnt(0)
	v_lshrrev_b32_e32 v2, 16, v1
	v_cvt_f32_f16_e32 v1, v1
	s_delay_alu instid0(VALU_DEP_2)
	v_cvt_f32_f16_e32 v2, v2
.LBB177_580:
	s_mov_b32 s2, 0
.LBB177_581:
	s_delay_alu instid0(SALU_CYCLE_1)
	s_and_not1_b32 vcc_lo, exec_lo, s2
	s_cbranch_vccnz .LBB177_593
; %bb.582:
	v_cmp_gt_i16_e32 vcc_lo, 6, v5
	s_cbranch_vccnz .LBB177_585
; %bb.583:
	v_cmp_lt_i16_e32 vcc_lo, 6, v5
	s_cbranch_vccz .LBB177_586
; %bb.584:
	global_load_b64 v[1:2], v[3:4], off
	s_mov_b32 s3, 0
	s_mov_b32 s2, 0
	s_waitcnt vmcnt(0)
	v_cvt_f32_f64_e32 v1, v[1:2]
	s_branch .LBB177_587
.LBB177_585:
	s_mov_b32 s3, -1
                                        ; implicit-def: $sgpr2
                                        ; implicit-def: $vgpr1
	s_branch .LBB177_590
.LBB177_586:
	s_mov_b32 s3, -1
                                        ; implicit-def: $sgpr2
                                        ; implicit-def: $vgpr1
.LBB177_587:
	s_delay_alu instid0(SALU_CYCLE_1)
	s_and_not1_b32 vcc_lo, exec_lo, s3
	s_cbranch_vccnz .LBB177_589
; %bb.588:
	global_load_b32 v1, v[3:4], off
	s_mov_b32 s2, 0
.LBB177_589:
	s_mov_b32 s3, 0
.LBB177_590:
	s_delay_alu instid0(SALU_CYCLE_1)
	s_and_not1_b32 vcc_lo, exec_lo, s3
	s_cbranch_vccnz .LBB177_592
; %bb.591:
	global_load_u16 v1, v[3:4], off
	s_mov_b32 s2, 0
	s_waitcnt vmcnt(0)
	v_cvt_f32_f16_e32 v1, v1
.LBB177_592:
	s_waitcnt vmcnt(0)
	v_mov_b32_e32 v2, s2
.LBB177_593:
	s_mov_b32 s2, 0
.LBB177_594:
	s_delay_alu instid0(SALU_CYCLE_1)
	s_and_not1_b32 vcc_lo, exec_lo, s2
	s_cbranch_vccnz .LBB177_615
; %bb.595:
	v_cmp_gt_i16_e32 vcc_lo, 2, v5
	s_cbranch_vccnz .LBB177_599
; %bb.596:
	v_cmp_gt_i16_e32 vcc_lo, 3, v5
	s_cbranch_vccnz .LBB177_600
; %bb.597:
	v_cmp_lt_i16_e32 vcc_lo, 3, v5
	s_cbranch_vccz .LBB177_601
; %bb.598:
	global_load_b64 v[1:2], v[3:4], off
	s_mov_b32 s3, 0
	s_mov_b32 s2, 0
	s_waitcnt vmcnt(0)
	v_xor_b32_e32 v6, v1, v2
	v_cls_i32_e32 v9, v2
	s_delay_alu instid0(VALU_DEP_2) | instskip(NEXT) | instid1(VALU_DEP_2)
	v_ashrrev_i32_e32 v6, 31, v6
	v_add_nc_u32_e32 v9, -1, v9
	s_delay_alu instid0(VALU_DEP_2) | instskip(NEXT) | instid1(VALU_DEP_1)
	v_add_nc_u32_e32 v6, 32, v6
	v_min_u32_e32 v6, v9, v6
	s_delay_alu instid0(VALU_DEP_1) | instskip(NEXT) | instid1(VALU_DEP_1)
	v_lshlrev_b64 v[1:2], v6, v[1:2]
	v_min_u32_e32 v1, 1, v1
	s_delay_alu instid0(VALU_DEP_1) | instskip(SKIP_1) | instid1(VALU_DEP_2)
	v_or_b32_e32 v1, v2, v1
	v_sub_nc_u32_e32 v2, 32, v6
	v_cvt_f32_i32_e32 v1, v1
	s_delay_alu instid0(VALU_DEP_1)
	v_ldexp_f32 v1, v1, v2
	s_branch .LBB177_602
.LBB177_599:
	s_mov_b32 s3, -1
                                        ; implicit-def: $sgpr2
                                        ; implicit-def: $vgpr1
	s_branch .LBB177_608
.LBB177_600:
	s_mov_b32 s3, -1
                                        ; implicit-def: $sgpr2
                                        ; implicit-def: $vgpr1
	s_branch .LBB177_605
.LBB177_601:
	s_mov_b32 s3, -1
                                        ; implicit-def: $sgpr2
                                        ; implicit-def: $vgpr1
.LBB177_602:
	s_delay_alu instid0(SALU_CYCLE_1)
	s_and_not1_b32 vcc_lo, exec_lo, s3
	s_cbranch_vccnz .LBB177_604
; %bb.603:
	global_load_b32 v1, v[3:4], off
	s_mov_b32 s2, 0
	s_waitcnt vmcnt(0)
	v_cvt_f32_i32_e32 v1, v1
.LBB177_604:
	s_mov_b32 s3, 0
.LBB177_605:
	s_delay_alu instid0(SALU_CYCLE_1)
	s_and_not1_b32 vcc_lo, exec_lo, s3
	s_cbranch_vccnz .LBB177_607
; %bb.606:
	global_load_i16 v1, v[3:4], off
	s_mov_b32 s2, 0
	s_waitcnt vmcnt(0)
	v_cvt_f32_i32_e32 v1, v1
.LBB177_607:
	s_mov_b32 s3, 0
.LBB177_608:
	s_delay_alu instid0(SALU_CYCLE_1)
	s_and_not1_b32 vcc_lo, exec_lo, s3
	s_cbranch_vccnz .LBB177_614
; %bb.609:
	v_cmp_lt_i16_e32 vcc_lo, 0, v5
	s_mov_b32 s3, 0
	s_cbranch_vccz .LBB177_611
; %bb.610:
	global_load_i8 v1, v[3:4], off
	s_mov_b32 s2, 0
	s_waitcnt vmcnt(0)
	v_cvt_f32_i32_e32 v1, v1
	s_branch .LBB177_612
.LBB177_611:
	s_mov_b32 s3, -1
                                        ; implicit-def: $sgpr2
                                        ; implicit-def: $vgpr1
.LBB177_612:
	s_delay_alu instid0(SALU_CYCLE_1)
	s_and_not1_b32 vcc_lo, exec_lo, s3
	s_cbranch_vccnz .LBB177_614
; %bb.613:
	global_load_u8 v1, v[3:4], off
	s_mov_b32 s2, 0
	s_waitcnt vmcnt(0)
	v_cvt_f32_ubyte0_e32 v1, v1
.LBB177_614:
	s_waitcnt vmcnt(0)
	v_mov_b32_e32 v2, s2
.LBB177_615:
	s_branch .LBB177_330
.LBB177_616:
	s_mov_b32 s3, 0
	s_mov_b32 s2, s34
.LBB177_617:
                                        ; implicit-def: $vgpr8
.LBB177_618:
	s_and_not1_b32 s23, s34, exec_lo
	s_and_b32 s2, s2, exec_lo
	s_and_not1_b32 s37, s35, exec_lo
	s_and_b32 s22, s22, exec_lo
	s_or_b32 s38, s23, s2
	s_or_b32 s37, s37, s22
	s_or_not1_b32 s2, s3, exec_lo
.LBB177_619:
	s_or_b32 exec_lo, exec_lo, s39
	s_mov_b32 s3, 0
	s_mov_b32 s23, 0
	;; [unrolled: 1-line block ×3, first 2 shown]
                                        ; implicit-def: $vgpr3_vgpr4
                                        ; implicit-def: $vgpr0
                                        ; implicit-def: $vgpr2
	s_and_saveexec_b32 s39, s2
	s_cbranch_execz .LBB177_1037
; %bb.620:
	s_mov_b32 s42, -1
	s_mov_b32 s22, s37
	s_mov_b32 s23, s38
	s_mov_b32 s40, exec_lo
	v_cmpx_gt_i32_e64 s30, v8
	s_cbranch_execz .LBB177_935
; %bb.621:
	s_and_not1_b32 vcc_lo, exec_lo, s27
	s_cbranch_vccnz .LBB177_626
; %bb.622:
	s_waitcnt vmcnt(0)
	v_dual_mov_b32 v0, 0 :: v_dual_mov_b32 v1, 0
	s_and_not1_b32 vcc_lo, exec_lo, s33
	s_mov_b32 s41, 0
	s_cbranch_vccnz .LBB177_631
; %bb.623:
	v_mov_b32_e32 v0, 0
	s_add_i32 s43, s31, 1
	s_cmp_eq_u32 s25, 2
	s_mov_b32 s42, 0
	s_cbranch_scc1 .LBB177_627
; %bb.624:
	v_dual_mov_b32 v1, 0 :: v_dual_mov_b32 v0, 0
	v_mov_b32_e32 v2, v8
	s_and_b32 s42, s43, 28
	s_mov_b32 s44, 0
	s_mov_b64 s[2:3], s[20:21]
	s_mov_b64 s[22:23], s[16:17]
.LBB177_625:                            ; =>This Inner Loop Header: Depth=1
	s_clause 0x1
	s_load_b256 s[48:55], s[22:23], 0x4
	s_load_b128 s[64:67], s[22:23], 0x24
	s_load_b256 s[56:63], s[2:3], 0x0
	s_add_u32 s22, s22, 48
	s_addc_u32 s23, s23, 0
	s_add_i32 s44, s44, 4
	s_add_u32 s2, s2, 32
	s_addc_u32 s3, s3, 0
	s_cmp_eq_u32 s42, s44
	s_waitcnt lgkmcnt(0)
	v_mul_hi_u32 v3, s49, v2
	s_delay_alu instid0(VALU_DEP_1) | instskip(NEXT) | instid1(VALU_DEP_1)
	v_add_nc_u32_e32 v3, v2, v3
	v_lshrrev_b32_e32 v3, s50, v3
	s_delay_alu instid0(VALU_DEP_1) | instskip(SKIP_1) | instid1(VALU_DEP_2)
	v_mul_hi_u32 v4, s52, v3
	v_mul_lo_u32 v9, v3, s48
	v_add_nc_u32_e32 v4, v3, v4
	s_delay_alu instid0(VALU_DEP_2) | instskip(NEXT) | instid1(VALU_DEP_2)
	v_sub_nc_u32_e32 v2, v2, v9
	v_lshrrev_b32_e32 v4, s53, v4
	s_delay_alu instid0(VALU_DEP_2) | instskip(SKIP_1) | instid1(VALU_DEP_3)
	v_mul_lo_u32 v9, v2, s56
	v_mul_lo_u32 v11, v2, s57
	v_mul_hi_u32 v6, s55, v4
	s_delay_alu instid0(VALU_DEP_1) | instskip(NEXT) | instid1(VALU_DEP_1)
	v_add_nc_u32_e32 v6, v4, v6
	v_lshrrev_b32_e32 v6, s64, v6
	s_delay_alu instid0(VALU_DEP_1) | instskip(SKIP_1) | instid1(VALU_DEP_2)
	v_mul_hi_u32 v10, s66, v6
	v_mul_lo_u32 v12, v6, s54
	v_add_nc_u32_e32 v2, v6, v10
	v_mul_lo_u32 v10, v4, s51
	s_delay_alu instid0(VALU_DEP_3) | instskip(NEXT) | instid1(VALU_DEP_3)
	v_sub_nc_u32_e32 v4, v4, v12
	v_lshrrev_b32_e32 v2, s67, v2
	s_delay_alu instid0(VALU_DEP_2) | instskip(SKIP_2) | instid1(VALU_DEP_4)
	v_mul_lo_u32 v12, v4, s60
	v_mul_lo_u32 v4, v4, s61
	v_sub_nc_u32_e32 v3, v3, v10
	v_mul_lo_u32 v13, v2, s65
	s_delay_alu instid0(VALU_DEP_2) | instskip(SKIP_1) | instid1(VALU_DEP_3)
	v_mul_lo_u32 v10, v3, s58
	v_mul_lo_u32 v3, v3, s59
	v_sub_nc_u32_e32 v6, v6, v13
	s_delay_alu instid0(VALU_DEP_3) | instskip(NEXT) | instid1(VALU_DEP_2)
	v_add3_u32 v0, v9, v0, v10
	v_mul_lo_u32 v13, v6, s62
	v_mul_lo_u32 v6, v6, s63
	v_add3_u32 v1, v11, v1, v3
	s_delay_alu instid0(VALU_DEP_3) | instskip(NEXT) | instid1(VALU_DEP_2)
	v_add3_u32 v0, v12, v0, v13
	v_add3_u32 v1, v4, v1, v6
	s_cbranch_scc0 .LBB177_625
	s_branch .LBB177_628
.LBB177_626:
	s_mov_b32 s41, -1
                                        ; implicit-def: $vgpr0
                                        ; implicit-def: $vgpr1
	s_branch .LBB177_631
.LBB177_627:
	v_dual_mov_b32 v2, v8 :: v_dual_mov_b32 v1, 0
.LBB177_628:
	s_and_b32 s43, s43, 3
	s_delay_alu instid0(SALU_CYCLE_1)
	s_cmp_eq_u32 s43, 0
	s_cbranch_scc1 .LBB177_631
; %bb.629:
	s_lshl_b32 s2, s42, 3
	s_mul_i32 s22, s42, 12
	s_add_u32 s2, s2, s16
	s_addc_u32 s3, s17, 0
	s_add_u32 s2, s2, 0xc4
	s_addc_u32 s3, s3, 0
	;; [unrolled: 2-line block ×3, first 2 shown]
	.p2align	6
.LBB177_630:                            ; =>This Inner Loop Header: Depth=1
	s_clause 0x1
	s_load_b64 s[44:45], s[22:23], 0x4
	s_load_b32 s42, s[22:23], 0xc
	s_load_b64 s[46:47], s[2:3], 0x0
	s_add_u32 s22, s22, 12
	s_addc_u32 s23, s23, 0
	s_add_u32 s2, s2, 8
	s_addc_u32 s3, s3, 0
	s_add_i32 s43, s43, -1
	s_delay_alu instid0(SALU_CYCLE_1) | instskip(SKIP_2) | instid1(VALU_DEP_1)
	s_cmp_lg_u32 s43, 0
	s_waitcnt lgkmcnt(0)
	v_mul_hi_u32 v3, s45, v2
	v_add_nc_u32_e32 v3, v2, v3
	s_delay_alu instid0(VALU_DEP_1) | instskip(NEXT) | instid1(VALU_DEP_1)
	v_lshrrev_b32_e32 v6, s42, v3
	v_mul_lo_u32 v3, v6, s44
	s_delay_alu instid0(VALU_DEP_1) | instskip(NEXT) | instid1(VALU_DEP_1)
	v_sub_nc_u32_e32 v2, v2, v3
	v_mad_u64_u32 v[3:4], null, v2, s46, v[0:1]
	v_mad_u64_u32 v[9:10], null, v2, s47, v[1:2]
	v_mov_b32_e32 v2, v6
	s_delay_alu instid0(VALU_DEP_2)
	v_dual_mov_b32 v0, v3 :: v_dual_mov_b32 v1, v9
	s_cbranch_scc1 .LBB177_630
.LBB177_631:
	s_and_not1_b32 vcc_lo, exec_lo, s41
	s_cbranch_vccnz .LBB177_634
; %bb.632:
	s_waitcnt lgkmcnt(0)
	v_mul_hi_u32 v0, s13, v8
	s_and_not1_b32 vcc_lo, exec_lo, s29
	s_delay_alu instid0(VALU_DEP_1) | instskip(SKIP_1) | instid1(VALU_DEP_1)
	v_add_nc_u32_e32 v0, v8, v0
	s_waitcnt vmcnt(0)
	v_lshrrev_b32_e32 v2, s14, v0
	s_delay_alu instid0(VALU_DEP_1) | instskip(NEXT) | instid1(VALU_DEP_1)
	v_mul_lo_u32 v0, v2, s12
	v_sub_nc_u32_e32 v1, v8, v0
	s_delay_alu instid0(VALU_DEP_1)
	v_mul_lo_u32 v0, v1, s8
	v_mul_lo_u32 v1, v1, s9
	s_cbranch_vccnz .LBB177_634
; %bb.633:
	v_mul_hi_u32 v3, s18, v2
	s_delay_alu instid0(VALU_DEP_1) | instskip(NEXT) | instid1(VALU_DEP_1)
	v_add_nc_u32_e32 v3, v2, v3
	v_lshrrev_b32_e32 v3, s19, v3
	s_delay_alu instid0(VALU_DEP_1) | instskip(NEXT) | instid1(VALU_DEP_1)
	v_mul_lo_u32 v3, v3, s15
	v_sub_nc_u32_e32 v6, v2, v3
	s_delay_alu instid0(VALU_DEP_1) | instskip(NEXT) | instid1(VALU_DEP_1)
	v_mad_u64_u32 v[2:3], null, v6, s10, v[0:1]
	v_mad_u64_u32 v[3:4], null, v6, s11, v[1:2]
	s_delay_alu instid0(VALU_DEP_1)
	v_dual_mov_b32 v0, v2 :: v_dual_mov_b32 v1, v3
.LBB177_634:
	v_cmp_gt_i16_e32 vcc_lo, 11, v5
	s_waitcnt vmcnt(0) lgkmcnt(0)
	s_delay_alu instid0(VALU_DEP_2) | instskip(NEXT) | instid1(VALU_DEP_1)
	v_add_co_u32 v3, s2, s6, v1
	v_add_co_ci_u32_e64 v4, null, s7, 0, s2
	s_mov_b32 s2, 0
	s_cbranch_vccnz .LBB177_641
; %bb.635:
	v_cmp_lt_i16_e32 vcc_lo, 25, v5
	s_cbranch_vccz .LBB177_642
; %bb.636:
	v_cmp_lt_i16_e32 vcc_lo, 28, v5
	s_cbranch_vccz .LBB177_643
	;; [unrolled: 3-line block ×4, first 2 shown]
; %bb.639:
	v_cmp_eq_u16_e32 vcc_lo, 46, v5
	s_mov_b32 s3, 0
	s_cbranch_vccz .LBB177_650
; %bb.640:
	global_load_b32 v1, v[3:4], off
	s_mov_b32 s2, -1
	s_mov_b32 s22, 0
	s_waitcnt vmcnt(0)
	v_and_b32_e32 v2, 0xffff0000, v1
	v_lshlrev_b32_e32 v1, 16, v1
	s_branch .LBB177_652
.LBB177_641:
	s_mov_b32 s3, -1
	s_mov_b32 s22, s37
                                        ; implicit-def: $vgpr2
	s_branch .LBB177_720
.LBB177_642:
	s_mov_b32 s3, -1
	s_mov_b32 s22, s37
                                        ; implicit-def: $vgpr2
	s_branch .LBB177_685
.LBB177_643:
	s_mov_b32 s3, -1
	s_mov_b32 s22, s37
                                        ; implicit-def: $vgpr2
	s_branch .LBB177_664
.LBB177_644:
	s_mov_b32 s3, -1
	s_mov_b32 s22, s37
                                        ; implicit-def: $vgpr2
	s_branch .LBB177_658
.LBB177_645:
	s_or_saveexec_b32 s37, s37
                                        ; implicit-def: $sgpr38
	s_delay_alu instid0(SALU_CYCLE_1)
	s_xor_b32 exec_lo, exec_lo, s37
	s_cbranch_execz .LBB177_451
.LBB177_646:
	v_add_f32_e64 v6, 0x46000000, |v3|
	s_and_not1_b32 s23, s23, exec_lo
	s_mov_b32 s38, 0
	s_delay_alu instid0(VALU_DEP_1) | instskip(NEXT) | instid1(VALU_DEP_1)
	v_and_b32_e32 v6, 0xff, v6
	v_cmp_ne_u32_e32 vcc_lo, 0, v6
	s_and_b32 s40, vcc_lo, exec_lo
	s_delay_alu instid0(SALU_CYCLE_1)
	s_or_b32 s23, s23, s40
	s_or_b32 exec_lo, exec_lo, s37
	v_mov_b32_e32 v9, s38
	s_and_saveexec_b32 s37, s23
	s_cbranch_execnz .LBB177_452
	s_branch .LBB177_453
.LBB177_647:
	s_mov_b32 s3, -1
	s_mov_b32 s22, s37
	s_branch .LBB177_651
.LBB177_648:
	s_or_saveexec_b32 s37, s37
                                        ; implicit-def: $sgpr38
	s_delay_alu instid0(SALU_CYCLE_1)
	s_xor_b32 exec_lo, exec_lo, s37
	s_cbranch_execz .LBB177_464
.LBB177_649:
	v_add_f32_e64 v6, 0x42800000, |v3|
	s_and_not1_b32 s23, s23, exec_lo
	s_mov_b32 s38, 0
	s_delay_alu instid0(VALU_DEP_1) | instskip(NEXT) | instid1(VALU_DEP_1)
	v_and_b32_e32 v6, 0xff, v6
	v_cmp_ne_u32_e32 vcc_lo, 0, v6
	s_and_b32 s40, vcc_lo, exec_lo
	s_delay_alu instid0(SALU_CYCLE_1)
	s_or_b32 s23, s23, s40
	s_or_b32 exec_lo, exec_lo, s37
	v_mov_b32_e32 v9, s38
	s_and_saveexec_b32 s37, s23
	s_cbranch_execnz .LBB177_465
	s_branch .LBB177_466
.LBB177_650:
	s_mov_b32 s22, -1
.LBB177_651:
                                        ; implicit-def: $vgpr2
.LBB177_652:
	s_and_b32 vcc_lo, exec_lo, s3
	s_cbranch_vccz .LBB177_657
; %bb.653:
	v_cmp_eq_u16_e32 vcc_lo, 44, v5
	s_cbranch_vccz .LBB177_655
; %bb.654:
	global_load_u8 v1, v[3:4], off
	s_mov_b32 s22, 0
	s_mov_b32 s2, -1
	s_waitcnt vmcnt(0)
	v_lshlrev_b32_e32 v2, 23, v1
	v_cmp_ne_u32_e32 vcc_lo, 0xff, v1
	s_delay_alu instid0(VALU_DEP_2) | instskip(SKIP_1) | instid1(VALU_DEP_2)
	v_cndmask_b32_e32 v2, 0x7f800001, v2, vcc_lo
	v_cmp_ne_u32_e32 vcc_lo, 0, v1
	v_cndmask_b32_e32 v1, 0x400000, v2, vcc_lo
	s_branch .LBB177_656
.LBB177_655:
	s_mov_b32 s22, -1
                                        ; implicit-def: $vgpr1
.LBB177_656:
	s_delay_alu instid0(SALU_CYCLE_1)
	v_mov_b32_e32 v2, s22
.LBB177_657:
	s_mov_b32 s3, 0
.LBB177_658:
	s_delay_alu instid0(SALU_CYCLE_1)
	s_and_b32 vcc_lo, exec_lo, s3
	s_cbranch_vccz .LBB177_663
; %bb.659:
	v_cmp_eq_u16_e32 vcc_lo, 29, v5
	s_cbranch_vccz .LBB177_661
; %bb.660:
	global_load_b64 v[1:2], v[3:4], off
	s_mov_b32 s2, -1
	s_mov_b32 s22, 0
	s_mov_b32 s3, 0
	s_waitcnt vmcnt(0)
	v_clz_i32_u32_e32 v6, v2
	s_delay_alu instid0(VALU_DEP_1) | instskip(NEXT) | instid1(VALU_DEP_1)
	v_min_u32_e32 v6, 32, v6
	v_lshlrev_b64 v[1:2], v6, v[1:2]
	s_delay_alu instid0(VALU_DEP_1) | instskip(NEXT) | instid1(VALU_DEP_1)
	v_min_u32_e32 v1, 1, v1
	v_or_b32_e32 v1, v2, v1
	v_sub_nc_u32_e32 v2, 32, v6
	s_delay_alu instid0(VALU_DEP_2) | instskip(NEXT) | instid1(VALU_DEP_1)
	v_cvt_f32_u32_e32 v1, v1
	v_ldexp_f32 v1, v1, v2
	s_branch .LBB177_662
.LBB177_661:
	s_mov_b32 s22, -1
                                        ; implicit-def: $sgpr3
                                        ; implicit-def: $vgpr1
.LBB177_662:
	v_mov_b32_e32 v2, s3
.LBB177_663:
	s_mov_b32 s3, 0
.LBB177_664:
	s_delay_alu instid0(SALU_CYCLE_1)
	s_and_b32 vcc_lo, exec_lo, s3
	s_cbranch_vccz .LBB177_684
; %bb.665:
	v_cmp_gt_i16_e32 vcc_lo, 27, v5
	s_cbranch_vccnz .LBB177_668
; %bb.666:
	v_cmp_lt_i16_e32 vcc_lo, 27, v5
	s_cbranch_vccz .LBB177_669
; %bb.667:
	global_load_b32 v1, v[3:4], off
	s_mov_b32 s3, 0
	s_mov_b32 s2, 0
	s_waitcnt vmcnt(0)
	v_cvt_f32_u32_e32 v1, v1
	s_branch .LBB177_670
.LBB177_668:
	s_mov_b32 s3, -1
                                        ; implicit-def: $sgpr2
                                        ; implicit-def: $vgpr1
	s_branch .LBB177_673
.LBB177_669:
	s_mov_b32 s3, -1
                                        ; implicit-def: $sgpr2
                                        ; implicit-def: $vgpr1
.LBB177_670:
	s_delay_alu instid0(SALU_CYCLE_1)
	s_and_not1_b32 vcc_lo, exec_lo, s3
	s_cbranch_vccnz .LBB177_672
; %bb.671:
	global_load_u16 v1, v[3:4], off
	s_mov_b32 s2, 0
	s_waitcnt vmcnt(0)
	v_cvt_f32_u32_e32 v1, v1
.LBB177_672:
	s_mov_b32 s3, 0
.LBB177_673:
	v_mov_b32_e32 v2, s2
	s_and_not1_b32 vcc_lo, exec_lo, s3
	s_cbranch_vccnz .LBB177_683
; %bb.674:
	global_load_u8 v6, v[3:4], off
	s_mov_b32 s2, 0
	s_mov_b32 s41, exec_lo
                                        ; implicit-def: $sgpr23
                                        ; implicit-def: $sgpr3
	s_waitcnt vmcnt(0)
	v_cmpx_lt_i16_e32 0x7f, v6
	s_xor_b32 s41, exec_lo, s41
	s_cbranch_execz .LBB177_678
; %bb.675:
	s_mov_b32 s2, -1
	s_mov_b32 s42, exec_lo
                                        ; implicit-def: $sgpr23
                                        ; implicit-def: $sgpr3
	v_cmpx_eq_u16_e32 0x80, v6
; %bb.676:
	s_mov_b32 s3, 0x7f800001
	s_mov_b32 s23, 0
	s_xor_b32 s2, exec_lo, -1
; %bb.677:
	s_or_b32 exec_lo, exec_lo, s42
	s_delay_alu instid0(SALU_CYCLE_1)
	s_and_b32 s2, s2, exec_lo
.LBB177_678:
	s_or_saveexec_b32 s41, s41
	v_dual_mov_b32 v2, s23 :: v_dual_mov_b32 v1, s3
	s_xor_b32 exec_lo, exec_lo, s41
; %bb.679:
	v_cmp_ne_u16_e32 vcc_lo, 0, v6
	v_dual_mov_b32 v2, 0 :: v_dual_mov_b32 v1, 0
	s_and_not1_b32 s2, s2, exec_lo
	s_and_b32 s3, vcc_lo, exec_lo
	s_delay_alu instid0(SALU_CYCLE_1)
	s_or_b32 s2, s2, s3
; %bb.680:
	s_or_b32 exec_lo, exec_lo, s41
	s_and_saveexec_b32 s3, s2
	s_cbranch_execz .LBB177_682
; %bb.681:
	v_and_b32_e32 v1, 0xffff, v6
	v_lshlrev_b32_e32 v6, 24, v6
	s_delay_alu instid0(VALU_DEP_2) | instskip(NEXT) | instid1(VALU_DEP_2)
	v_and_b32_e32 v2, 7, v1
	v_and_b32_e32 v6, 0x80000000, v6
	s_delay_alu instid0(VALU_DEP_2) | instskip(NEXT) | instid1(VALU_DEP_1)
	v_clz_i32_u32_e32 v9, v2
	v_min_u32_e32 v9, 32, v9
	s_delay_alu instid0(VALU_DEP_1) | instskip(SKIP_1) | instid1(VALU_DEP_2)
	v_subrev_nc_u32_e32 v10, 28, v9
	v_sub_nc_u32_e32 v9, 29, v9
	v_lshlrev_b32_e32 v10, v10, v1
	v_bfe_u32 v1, v1, 3, 4
	s_delay_alu instid0(VALU_DEP_1) | instskip(NEXT) | instid1(VALU_DEP_3)
	v_cmp_eq_u32_e32 vcc_lo, 0, v1
	v_dual_cndmask_b32 v1, v1, v9 :: v_dual_and_b32 v10, 7, v10
	s_delay_alu instid0(VALU_DEP_1) | instskip(NEXT) | instid1(VALU_DEP_2)
	v_cndmask_b32_e32 v2, v2, v10, vcc_lo
	v_lshl_add_u32 v1, v1, 23, 0x3b800000
	s_delay_alu instid0(VALU_DEP_2) | instskip(NEXT) | instid1(VALU_DEP_1)
	v_lshlrev_b32_e32 v2, 20, v2
	v_or3_b32 v1, v6, v1, v2
	v_mov_b32_e32 v2, 0
.LBB177_682:
	s_or_b32 exec_lo, exec_lo, s3
.LBB177_683:
	s_mov_b32 s2, -1
.LBB177_684:
	s_mov_b32 s3, 0
.LBB177_685:
	s_delay_alu instid0(SALU_CYCLE_1)
	s_and_b32 vcc_lo, exec_lo, s3
	s_cbranch_vccz .LBB177_719
; %bb.686:
	v_cmp_lt_i16_e32 vcc_lo, 22, v5
	s_cbranch_vccz .LBB177_698
; %bb.687:
	v_cmp_gt_i16_e32 vcc_lo, 24, v5
	s_cbranch_vccnz .LBB177_699
; %bb.688:
	v_cmp_lt_i16_e32 vcc_lo, 24, v5
	s_cbranch_vccz .LBB177_700
; %bb.689:
	global_load_u8 v6, v[3:4], off
	s_mov_b32 s2, 0
	s_mov_b32 s41, exec_lo
                                        ; implicit-def: $sgpr23
                                        ; implicit-def: $sgpr3
	s_waitcnt vmcnt(0)
	v_cmpx_lt_i16_e32 0x7f, v6
	s_xor_b32 s41, exec_lo, s41
	s_cbranch_execz .LBB177_693
; %bb.690:
	s_mov_b32 s2, -1
	s_mov_b32 s42, exec_lo
                                        ; implicit-def: $sgpr23
                                        ; implicit-def: $sgpr3
	v_cmpx_eq_u16_e32 0x80, v6
; %bb.691:
	s_mov_b32 s3, 0x7f800001
	s_mov_b32 s23, 0
	s_xor_b32 s2, exec_lo, -1
; %bb.692:
	s_or_b32 exec_lo, exec_lo, s42
	s_delay_alu instid0(SALU_CYCLE_1)
	s_and_b32 s2, s2, exec_lo
.LBB177_693:
	s_or_saveexec_b32 s41, s41
	v_dual_mov_b32 v2, s23 :: v_dual_mov_b32 v1, s3
	s_xor_b32 exec_lo, exec_lo, s41
; %bb.694:
	v_cmp_ne_u16_e32 vcc_lo, 0, v6
	v_dual_mov_b32 v2, 0 :: v_dual_mov_b32 v1, 0
	s_and_not1_b32 s2, s2, exec_lo
	s_and_b32 s3, vcc_lo, exec_lo
	s_delay_alu instid0(SALU_CYCLE_1)
	s_or_b32 s2, s2, s3
; %bb.695:
	s_or_b32 exec_lo, exec_lo, s41
	s_and_saveexec_b32 s3, s2
	s_cbranch_execz .LBB177_697
; %bb.696:
	v_and_b32_e32 v1, 0xffff, v6
	v_lshlrev_b32_e32 v6, 24, v6
	s_delay_alu instid0(VALU_DEP_2) | instskip(NEXT) | instid1(VALU_DEP_2)
	v_and_b32_e32 v2, 3, v1
	v_and_b32_e32 v6, 0x80000000, v6
	s_delay_alu instid0(VALU_DEP_2) | instskip(NEXT) | instid1(VALU_DEP_1)
	v_clz_i32_u32_e32 v9, v2
	v_min_u32_e32 v9, 32, v9
	s_delay_alu instid0(VALU_DEP_1) | instskip(SKIP_1) | instid1(VALU_DEP_2)
	v_subrev_nc_u32_e32 v10, 29, v9
	v_sub_nc_u32_e32 v9, 30, v9
	v_lshlrev_b32_e32 v10, v10, v1
	v_bfe_u32 v1, v1, 2, 5
	s_delay_alu instid0(VALU_DEP_1) | instskip(NEXT) | instid1(VALU_DEP_3)
	v_cmp_eq_u32_e32 vcc_lo, 0, v1
	v_dual_cndmask_b32 v1, v1, v9 :: v_dual_and_b32 v10, 3, v10
	s_delay_alu instid0(VALU_DEP_1) | instskip(NEXT) | instid1(VALU_DEP_2)
	v_cndmask_b32_e32 v2, v2, v10, vcc_lo
	v_lshl_add_u32 v1, v1, 23, 0x37800000
	s_delay_alu instid0(VALU_DEP_2) | instskip(NEXT) | instid1(VALU_DEP_1)
	v_lshlrev_b32_e32 v2, 21, v2
	v_or3_b32 v1, v6, v1, v2
	v_mov_b32_e32 v2, 0
.LBB177_697:
	s_or_b32 exec_lo, exec_lo, s3
	s_mov_b32 s2, 0
	s_branch .LBB177_701
.LBB177_698:
	s_mov_b32 s3, -1
                                        ; implicit-def: $vgpr2
	s_branch .LBB177_707
.LBB177_699:
	s_mov_b32 s2, -1
                                        ; implicit-def: $vgpr2
	s_branch .LBB177_704
.LBB177_700:
	s_mov_b32 s2, -1
                                        ; implicit-def: $vgpr2
.LBB177_701:
	s_delay_alu instid0(SALU_CYCLE_1)
	s_and_b32 vcc_lo, exec_lo, s2
	s_cbranch_vccz .LBB177_703
; %bb.702:
	global_load_u8 v1, v[3:4], off
	s_waitcnt vmcnt(0)
	v_lshlrev_b32_e32 v1, 24, v1
	s_delay_alu instid0(VALU_DEP_1) | instskip(NEXT) | instid1(VALU_DEP_1)
	v_and_b32_e32 v2, 0x7f000000, v1
	v_clz_i32_u32_e32 v6, v2
	v_add_nc_u32_e32 v10, 0x1000000, v2
	v_cmp_ne_u32_e32 vcc_lo, 0, v2
	s_delay_alu instid0(VALU_DEP_3) | instskip(NEXT) | instid1(VALU_DEP_1)
	v_min_u32_e32 v6, 32, v6
	v_sub_nc_u32_e64 v6, v6, 4 clamp
	s_delay_alu instid0(VALU_DEP_1) | instskip(SKIP_1) | instid1(VALU_DEP_2)
	v_lshlrev_b32_e32 v9, v6, v2
	v_lshlrev_b32_e32 v6, 23, v6
	v_lshrrev_b32_e32 v9, 4, v9
	s_delay_alu instid0(VALU_DEP_1) | instskip(SKIP_1) | instid1(VALU_DEP_2)
	v_sub_nc_u32_e32 v6, v9, v6
	v_ashrrev_i32_e32 v9, 8, v10
	v_add_nc_u32_e32 v6, 0x3c000000, v6
	s_delay_alu instid0(VALU_DEP_1) | instskip(NEXT) | instid1(VALU_DEP_1)
	v_and_or_b32 v6, 0x7f800000, v9, v6
	v_cndmask_b32_e32 v2, 0, v6, vcc_lo
	s_delay_alu instid0(VALU_DEP_1)
	v_and_or_b32 v1, 0x80000000, v1, v2
	v_mov_b32_e32 v2, 0
.LBB177_703:
	s_mov_b32 s2, 0
.LBB177_704:
	s_delay_alu instid0(SALU_CYCLE_1)
	s_and_not1_b32 vcc_lo, exec_lo, s2
	s_cbranch_vccnz .LBB177_706
; %bb.705:
	global_load_u8 v1, v[3:4], off
	s_waitcnt vmcnt(0)
	v_lshlrev_b32_e32 v2, 25, v1
	v_lshlrev_b16 v1, 8, v1
	s_delay_alu instid0(VALU_DEP_2) | instskip(NEXT) | instid1(VALU_DEP_2)
	v_lshrrev_b32_e32 v6, 4, v2
	v_and_or_b32 v9, 0x7f00, v1, 0.5
	v_cmp_gt_u32_e32 vcc_lo, 0x8000000, v2
	v_bfe_i32 v1, v1, 0, 16
	s_delay_alu instid0(VALU_DEP_4) | instskip(NEXT) | instid1(VALU_DEP_1)
	v_or_b32_e32 v6, 0x70000000, v6
	v_dual_add_f32 v9, -0.5, v9 :: v_dual_mul_f32 v6, 0x7800000, v6
	s_delay_alu instid0(VALU_DEP_1) | instskip(NEXT) | instid1(VALU_DEP_1)
	v_cndmask_b32_e32 v2, v6, v9, vcc_lo
	v_and_or_b32 v1, 0x80000000, v1, v2
	v_mov_b32_e32 v2, 0
.LBB177_706:
	s_mov_b32 s3, 0
	s_mov_b32 s2, -1
.LBB177_707:
	s_and_not1_b32 vcc_lo, exec_lo, s3
	s_cbranch_vccnz .LBB177_719
; %bb.708:
	v_cmp_lt_i16_e32 vcc_lo, 14, v5
	s_cbranch_vccz .LBB177_711
; %bb.709:
	v_cmp_eq_u16_e32 vcc_lo, 15, v5
	s_cbranch_vccz .LBB177_712
; %bb.710:
	global_load_u16 v1, v[3:4], off
	s_mov_b32 s2, -1
	s_mov_b32 s22, 0
	s_mov_b32 s3, 0
	s_waitcnt vmcnt(0)
	v_lshlrev_b32_e32 v1, 16, v1
	s_branch .LBB177_713
.LBB177_711:
	s_mov_b32 s23, -1
                                        ; implicit-def: $sgpr3
                                        ; implicit-def: $vgpr1
	s_branch .LBB177_714
.LBB177_712:
	s_mov_b32 s22, -1
                                        ; implicit-def: $sgpr3
                                        ; implicit-def: $vgpr1
.LBB177_713:
	s_mov_b32 s23, 0
.LBB177_714:
	s_delay_alu instid0(SALU_CYCLE_1)
	s_and_b32 vcc_lo, exec_lo, s23
	s_cbranch_vccz .LBB177_718
; %bb.715:
	v_cmp_eq_u16_e32 vcc_lo, 11, v5
	s_cbranch_vccz .LBB177_717
; %bb.716:
	global_load_u8 v1, v[3:4], off
	s_mov_b32 s3, 0
	s_mov_b32 s2, -1
	s_mov_b32 s22, 0
	s_waitcnt vmcnt(0)
	v_cmp_ne_u16_e32 vcc_lo, 0, v1
	v_cndmask_b32_e64 v1, 0, 1.0, vcc_lo
	s_branch .LBB177_718
.LBB177_717:
	s_mov_b32 s22, -1
                                        ; implicit-def: $sgpr3
                                        ; implicit-def: $vgpr1
.LBB177_718:
	v_mov_b32_e32 v2, s3
.LBB177_719:
	s_mov_b32 s3, 0
.LBB177_720:
	s_delay_alu instid0(SALU_CYCLE_1)
	s_and_b32 vcc_lo, exec_lo, s3
	s_cbranch_vccz .LBB177_771
; %bb.721:
	v_cmp_gt_i16_e32 vcc_lo, 5, v5
	s_cbranch_vccnz .LBB177_726
; %bb.722:
	v_cmp_gt_i16_e32 vcc_lo, 8, v5
	s_cbranch_vccnz .LBB177_727
	;; [unrolled: 3-line block ×3, first 2 shown]
; %bb.724:
	v_cmp_lt_i16_e32 vcc_lo, 9, v5
	s_cbranch_vccz .LBB177_729
; %bb.725:
	global_load_b128 v[9:12], v[3:4], off
	s_mov_b32 s2, 0
	s_waitcnt vmcnt(0)
	v_cvt_f32_f64_e32 v1, v[9:10]
	v_cvt_f32_f64_e32 v2, v[11:12]
	s_branch .LBB177_730
.LBB177_726:
	s_mov_b32 s2, -1
                                        ; implicit-def: $vgpr2
	s_branch .LBB177_749
.LBB177_727:
	s_mov_b32 s2, -1
                                        ; implicit-def: $vgpr2
	s_branch .LBB177_736
.LBB177_728:
	s_mov_b32 s2, -1
                                        ; implicit-def: $vgpr2
	s_branch .LBB177_733
.LBB177_729:
	s_mov_b32 s2, -1
                                        ; implicit-def: $vgpr2
.LBB177_730:
	s_delay_alu instid0(SALU_CYCLE_1)
	s_and_not1_b32 vcc_lo, exec_lo, s2
	s_cbranch_vccnz .LBB177_732
; %bb.731:
	global_load_b64 v[1:2], v[3:4], off
.LBB177_732:
	s_mov_b32 s2, 0
.LBB177_733:
	s_delay_alu instid0(SALU_CYCLE_1)
	s_and_not1_b32 vcc_lo, exec_lo, s2
	s_cbranch_vccnz .LBB177_735
; %bb.734:
	global_load_b32 v1, v[3:4], off
	s_waitcnt vmcnt(0)
	v_lshrrev_b32_e32 v2, 16, v1
	v_cvt_f32_f16_e32 v1, v1
	s_delay_alu instid0(VALU_DEP_2)
	v_cvt_f32_f16_e32 v2, v2
.LBB177_735:
	s_mov_b32 s2, 0
.LBB177_736:
	s_delay_alu instid0(SALU_CYCLE_1)
	s_and_not1_b32 vcc_lo, exec_lo, s2
	s_cbranch_vccnz .LBB177_748
; %bb.737:
	v_cmp_gt_i16_e32 vcc_lo, 6, v5
	s_cbranch_vccnz .LBB177_740
; %bb.738:
	v_cmp_lt_i16_e32 vcc_lo, 6, v5
	s_cbranch_vccz .LBB177_741
; %bb.739:
	global_load_b64 v[1:2], v[3:4], off
	s_mov_b32 s3, 0
	s_mov_b32 s2, 0
	s_waitcnt vmcnt(0)
	v_cvt_f32_f64_e32 v1, v[1:2]
	s_branch .LBB177_742
.LBB177_740:
	s_mov_b32 s3, -1
                                        ; implicit-def: $sgpr2
                                        ; implicit-def: $vgpr1
	s_branch .LBB177_745
.LBB177_741:
	s_mov_b32 s3, -1
                                        ; implicit-def: $sgpr2
                                        ; implicit-def: $vgpr1
.LBB177_742:
	s_delay_alu instid0(SALU_CYCLE_1)
	s_and_not1_b32 vcc_lo, exec_lo, s3
	s_cbranch_vccnz .LBB177_744
; %bb.743:
	global_load_b32 v1, v[3:4], off
	s_mov_b32 s2, 0
.LBB177_744:
	s_mov_b32 s3, 0
.LBB177_745:
	s_delay_alu instid0(SALU_CYCLE_1)
	s_and_not1_b32 vcc_lo, exec_lo, s3
	s_cbranch_vccnz .LBB177_747
; %bb.746:
	global_load_u16 v1, v[3:4], off
	s_mov_b32 s2, 0
	s_waitcnt vmcnt(0)
	v_cvt_f32_f16_e32 v1, v1
.LBB177_747:
	s_waitcnt vmcnt(0)
	v_mov_b32_e32 v2, s2
.LBB177_748:
	s_mov_b32 s2, 0
.LBB177_749:
	s_delay_alu instid0(SALU_CYCLE_1)
	s_and_not1_b32 vcc_lo, exec_lo, s2
	s_cbranch_vccnz .LBB177_770
; %bb.750:
	v_cmp_gt_i16_e32 vcc_lo, 2, v5
	s_cbranch_vccnz .LBB177_754
; %bb.751:
	v_cmp_gt_i16_e32 vcc_lo, 3, v5
	s_cbranch_vccnz .LBB177_755
; %bb.752:
	v_cmp_lt_i16_e32 vcc_lo, 3, v5
	s_cbranch_vccz .LBB177_756
; %bb.753:
	global_load_b64 v[1:2], v[3:4], off
	s_mov_b32 s3, 0
	s_mov_b32 s2, 0
	s_waitcnt vmcnt(0)
	v_xor_b32_e32 v6, v1, v2
	v_cls_i32_e32 v9, v2
	s_delay_alu instid0(VALU_DEP_2) | instskip(NEXT) | instid1(VALU_DEP_2)
	v_ashrrev_i32_e32 v6, 31, v6
	v_add_nc_u32_e32 v9, -1, v9
	s_delay_alu instid0(VALU_DEP_2) | instskip(NEXT) | instid1(VALU_DEP_1)
	v_add_nc_u32_e32 v6, 32, v6
	v_min_u32_e32 v6, v9, v6
	s_delay_alu instid0(VALU_DEP_1) | instskip(NEXT) | instid1(VALU_DEP_1)
	v_lshlrev_b64 v[1:2], v6, v[1:2]
	v_min_u32_e32 v1, 1, v1
	s_delay_alu instid0(VALU_DEP_1) | instskip(SKIP_1) | instid1(VALU_DEP_2)
	v_or_b32_e32 v1, v2, v1
	v_sub_nc_u32_e32 v2, 32, v6
	v_cvt_f32_i32_e32 v1, v1
	s_delay_alu instid0(VALU_DEP_1)
	v_ldexp_f32 v1, v1, v2
	s_branch .LBB177_757
.LBB177_754:
	s_mov_b32 s3, -1
                                        ; implicit-def: $sgpr2
                                        ; implicit-def: $vgpr1
	s_branch .LBB177_763
.LBB177_755:
	s_mov_b32 s3, -1
                                        ; implicit-def: $sgpr2
                                        ; implicit-def: $vgpr1
	s_branch .LBB177_760
.LBB177_756:
	s_mov_b32 s3, -1
                                        ; implicit-def: $sgpr2
                                        ; implicit-def: $vgpr1
.LBB177_757:
	s_delay_alu instid0(SALU_CYCLE_1)
	s_and_not1_b32 vcc_lo, exec_lo, s3
	s_cbranch_vccnz .LBB177_759
; %bb.758:
	global_load_b32 v1, v[3:4], off
	s_mov_b32 s2, 0
	s_waitcnt vmcnt(0)
	v_cvt_f32_i32_e32 v1, v1
.LBB177_759:
	s_mov_b32 s3, 0
.LBB177_760:
	s_delay_alu instid0(SALU_CYCLE_1)
	s_and_not1_b32 vcc_lo, exec_lo, s3
	s_cbranch_vccnz .LBB177_762
; %bb.761:
	global_load_i16 v1, v[3:4], off
	s_mov_b32 s2, 0
	s_waitcnt vmcnt(0)
	v_cvt_f32_i32_e32 v1, v1
.LBB177_762:
	s_mov_b32 s3, 0
.LBB177_763:
	s_delay_alu instid0(SALU_CYCLE_1)
	s_and_not1_b32 vcc_lo, exec_lo, s3
	s_cbranch_vccnz .LBB177_769
; %bb.764:
	v_cmp_lt_i16_e32 vcc_lo, 0, v5
	s_mov_b32 s3, 0
	s_cbranch_vccz .LBB177_766
; %bb.765:
	global_load_i8 v1, v[3:4], off
	s_mov_b32 s2, 0
	s_waitcnt vmcnt(0)
	v_cvt_f32_i32_e32 v1, v1
	s_branch .LBB177_767
.LBB177_766:
	s_mov_b32 s3, -1
                                        ; implicit-def: $sgpr2
                                        ; implicit-def: $vgpr1
.LBB177_767:
	s_delay_alu instid0(SALU_CYCLE_1)
	s_and_not1_b32 vcc_lo, exec_lo, s3
	s_cbranch_vccnz .LBB177_769
; %bb.768:
	global_load_u8 v1, v[3:4], off
	s_mov_b32 s2, 0
	s_waitcnt vmcnt(0)
	v_cvt_f32_ubyte0_e32 v1, v1
.LBB177_769:
	s_waitcnt vmcnt(0)
	v_mov_b32_e32 v2, s2
.LBB177_770:
	s_mov_b32 s2, -1
.LBB177_771:
	s_delay_alu instid0(SALU_CYCLE_1)
	s_and_not1_b32 vcc_lo, exec_lo, s2
	s_cbranch_vccnz .LBB177_784
; %bb.772:
	s_waitcnt vmcnt(0)
	s_delay_alu instid0(VALU_DEP_2) | instskip(NEXT) | instid1(VALU_DEP_2)
	v_cmp_neq_f32_e32 vcc_lo, 0, v1
	v_cmp_neq_f32_e64 s2, 0, v2
	v_mov_b32_e32 v6, 0
	s_delay_alu instid0(VALU_DEP_2) | instskip(NEXT) | instid1(SALU_CYCLE_1)
	s_or_b32 s2, vcc_lo, s2
	s_and_saveexec_b32 s23, s2
	s_cbranch_execz .LBB177_803
; %bb.773:
	v_mov_b32_e32 v6, 0x7f800000
	s_mov_b32 s41, exec_lo
	v_cmpx_neq_f32_e64 0x7f800000, |v2|
	s_cbranch_execz .LBB177_802
; %bb.774:
	s_mov_b32 s2, exec_lo
	v_cmpx_o_f32_e32 v1, v1
	s_xor_b32 s42, exec_lo, s2
	s_cbranch_execz .LBB177_799
; %bb.775:
	s_mov_b32 s3, exec_lo
	v_cmpx_neq_f32_e64 0x7f800000, |v1|
	s_xor_b32 s43, exec_lo, s3
	s_cbranch_execz .LBB177_792
; %bb.776:
	v_max_f32_e64 v3, |v2|, |v2|
	v_max_f32_e64 v4, |v1|, |v1|
                                        ; implicit-def: $sgpr44
	s_delay_alu instid0(VALU_DEP_1) | instskip(NEXT) | instid1(VALU_DEP_1)
	v_max_f32_e32 v3, v4, v3
	v_cmp_nle_f32_e64 s2, 0x7ed413cb, v3
	s_delay_alu instid0(VALU_DEP_1) | instskip(NEXT) | instid1(SALU_CYCLE_1)
	s_and_saveexec_b32 s3, s2
	s_xor_b32 s3, exec_lo, s3
	s_cbranch_execz .LBB177_780
; %bb.777:
	v_cmp_ge_f32_e64 s44, 0x1000000, |v1|
	v_cmp_ge_f32_e64 s45, 0x1000000, |v2|
	s_delay_alu instid0(VALU_DEP_1)
	s_and_b32 s46, s44, s45
	s_mov_b32 s44, 0
	s_and_saveexec_b32 s45, s46
; %bb.778:
	v_dual_mul_f32 v2, 4.0, v2 :: v_dual_mul_f32 v1, 4.0, v1
	s_mov_b32 s44, exec_lo
; %bb.779:
	s_or_b32 exec_lo, exec_lo, s45
	s_delay_alu instid0(SALU_CYCLE_1)
	s_and_b32 s44, s44, exec_lo
.LBB177_780:
	s_and_not1_saveexec_b32 s3, s3
; %bb.781:
	v_dual_mul_f32 v1, 0x3e800000, v1 :: v_dual_mul_f32 v2, 0x3e800000, v2
	s_and_not1_b32 s44, s44, exec_lo
; %bb.782:
	s_or_b32 exec_lo, exec_lo, s3
	s_delay_alu instid0(VALU_DEP_1) | instskip(NEXT) | instid1(VALU_DEP_2)
	v_max_f32_e64 v3, |v2|, |v2|
	v_max_f32_e64 v4, |v1|, |v1|
	s_delay_alu instid0(VALU_DEP_1) | instskip(NEXT) | instid1(VALU_DEP_1)
	v_max_f32_e32 v6, v4, v3
	v_cvt_f64_f32_e32 v[3:4], v6
	s_delay_alu instid0(VALU_DEP_1) | instskip(NEXT) | instid1(VALU_DEP_1)
	v_frexp_exp_i32_f64_e32 v3, v[3:4]
	v_sub_nc_u32_e32 v4, 0, v3
	s_delay_alu instid0(VALU_DEP_1) | instskip(SKIP_1) | instid1(VALU_DEP_2)
	v_ldexp_f32 v9, |v2|, v4
	v_ldexp_f32 v4, |v1|, v4
	v_mul_f32_e32 v9, v9, v9
	v_cmp_neq_f32_e64 s3, 0x7f800000, v6
	s_delay_alu instid0(VALU_DEP_2) | instskip(NEXT) | instid1(VALU_DEP_1)
	v_fmac_f32_e32 v9, v4, v4
	v_sqrt_f32_e32 v4, v9
	s_waitcnt_depctr 0xfff
	v_ldexp_f32 v3, v4, v3
                                        ; implicit-def: $vgpr4
	s_delay_alu instid0(VALU_DEP_1)
	v_cndmask_b32_e64 v6, 0x7f800000, v3, s3
                                        ; implicit-def: $vgpr3
	s_mov_b32 s3, exec_lo
	v_cmpx_le_f32_e32 0, v1
	s_xor_b32 s45, exec_lo, s3
	s_cbranch_execz .LBB177_785
; %bb.783:
	v_add_f32_e32 v1, v1, v6
	s_delay_alu instid0(VALU_DEP_1) | instskip(NEXT) | instid1(VALU_DEP_1)
	v_mul_f32_e32 v1, 0.5, v1
	v_mul_f32_e32 v3, 0x4f800000, v1
	v_cmp_gt_f32_e32 vcc_lo, 0xf800000, v1
	s_delay_alu instid0(VALU_DEP_2) | instskip(NEXT) | instid1(VALU_DEP_1)
	v_cndmask_b32_e32 v1, v1, v3, vcc_lo
	v_sqrt_f32_e32 v3, v1
	s_waitcnt_depctr 0xfff
	v_add_nc_u32_e32 v4, -1, v3
	v_add_nc_u32_e32 v6, 1, v3
	s_delay_alu instid0(VALU_DEP_2) | instskip(NEXT) | instid1(VALU_DEP_2)
	v_fma_f32 v9, -v4, v3, v1
	v_fma_f32 v10, -v6, v3, v1
	s_delay_alu instid0(VALU_DEP_2) | instskip(NEXT) | instid1(VALU_DEP_1)
	v_cmp_ge_f32_e64 s3, 0, v9
	v_cndmask_b32_e64 v3, v3, v4, s3
	s_delay_alu instid0(VALU_DEP_3) | instskip(NEXT) | instid1(VALU_DEP_1)
	v_cmp_lt_f32_e64 s3, 0, v10
	v_cndmask_b32_e64 v3, v3, v6, s3
	s_delay_alu instid0(VALU_DEP_1) | instskip(NEXT) | instid1(VALU_DEP_1)
	v_mul_f32_e32 v4, 0x37800000, v3
	v_cndmask_b32_e32 v3, v3, v4, vcc_lo
	v_cmp_class_f32_e64 vcc_lo, v1, 0x260
	s_delay_alu instid0(VALU_DEP_2) | instskip(NEXT) | instid1(VALU_DEP_1)
	v_cndmask_b32_e32 v3, v3, v1, vcc_lo
	v_add_f32_e32 v1, v3, v3
	s_delay_alu instid0(VALU_DEP_1) | instskip(NEXT) | instid1(VALU_DEP_1)
	v_div_scale_f32 v4, null, v1, v1, v2
	v_rcp_f32_e32 v6, v4
	s_waitcnt_depctr 0xfff
	v_fma_f32 v9, -v4, v6, 1.0
	s_delay_alu instid0(VALU_DEP_1) | instskip(SKIP_1) | instid1(VALU_DEP_1)
	v_fmac_f32_e32 v6, v9, v6
	v_div_scale_f32 v9, vcc_lo, v2, v1, v2
	v_mul_f32_e32 v10, v9, v6
	s_delay_alu instid0(VALU_DEP_1) | instskip(NEXT) | instid1(VALU_DEP_1)
	v_fma_f32 v11, -v4, v10, v9
	v_fmac_f32_e32 v10, v11, v6
	s_delay_alu instid0(VALU_DEP_1) | instskip(NEXT) | instid1(VALU_DEP_1)
	v_fma_f32 v4, -v4, v10, v9
	v_div_fmas_f32 v4, v4, v6, v10
                                        ; implicit-def: $vgpr6
	s_delay_alu instid0(VALU_DEP_1)
	v_div_fixup_f32 v4, v4, v1, v2
                                        ; implicit-def: $vgpr1
	s_and_not1_saveexec_b32 s45, s45
	s_cbranch_execz .LBB177_787
	s_branch .LBB177_786
.LBB177_784:
	s_mov_b32 s3, 0
	s_mov_b32 s2, s38
	s_branch .LBB177_858
.LBB177_785:
	s_and_not1_saveexec_b32 s45, s45
	s_cbranch_execz .LBB177_787
.LBB177_786:
	v_sub_f32_e32 v1, v6, v1
	s_delay_alu instid0(VALU_DEP_1) | instskip(NEXT) | instid1(VALU_DEP_1)
	v_mul_f32_e32 v1, 0.5, v1
	v_mul_f32_e32 v3, 0x4f800000, v1
	v_cmp_gt_f32_e32 vcc_lo, 0xf800000, v1
	s_delay_alu instid0(VALU_DEP_2) | instskip(NEXT) | instid1(VALU_DEP_1)
	v_cndmask_b32_e32 v1, v1, v3, vcc_lo
	v_sqrt_f32_e32 v3, v1
	s_waitcnt_depctr 0xfff
	v_add_nc_u32_e32 v4, -1, v3
	v_add_nc_u32_e32 v6, 1, v3
	s_delay_alu instid0(VALU_DEP_2) | instskip(NEXT) | instid1(VALU_DEP_2)
	v_fma_f32 v9, -v4, v3, v1
	v_fma_f32 v10, -v6, v3, v1
	s_delay_alu instid0(VALU_DEP_2) | instskip(NEXT) | instid1(VALU_DEP_1)
	v_cmp_ge_f32_e64 s3, 0, v9
	v_cndmask_b32_e64 v3, v3, v4, s3
	s_delay_alu instid0(VALU_DEP_3) | instskip(NEXT) | instid1(VALU_DEP_1)
	v_cmp_lt_f32_e64 s3, 0, v10
	v_cndmask_b32_e64 v3, v3, v6, s3
	s_delay_alu instid0(VALU_DEP_1) | instskip(NEXT) | instid1(VALU_DEP_1)
	v_mul_f32_e32 v4, 0x37800000, v3
	v_cndmask_b32_e32 v3, v3, v4, vcc_lo
	v_cmp_class_f32_e64 vcc_lo, v1, 0x260
	s_delay_alu instid0(VALU_DEP_2) | instskip(NEXT) | instid1(VALU_DEP_1)
	v_cndmask_b32_e32 v1, v3, v1, vcc_lo
	v_dual_add_f32 v4, v1, v1 :: v_dual_and_b32 v3, 0x7fffffff, v2
	s_delay_alu instid0(VALU_DEP_1) | instskip(SKIP_1) | instid1(VALU_DEP_2)
	v_div_scale_f32 v6, null, v4, v4, v3
	v_div_scale_f32 v3, vcc_lo, v3, v4, v3
	v_rcp_f32_e32 v9, v6
	s_waitcnt_depctr 0xfff
	v_fma_f32 v10, -v6, v9, 1.0
	s_delay_alu instid0(VALU_DEP_1) | instskip(NEXT) | instid1(VALU_DEP_1)
	v_fmac_f32_e32 v9, v10, v9
	v_mul_f32_e32 v10, v3, v9
	s_delay_alu instid0(VALU_DEP_1) | instskip(NEXT) | instid1(VALU_DEP_1)
	v_fma_f32 v11, -v6, v10, v3
	v_fmac_f32_e32 v10, v11, v9
	s_delay_alu instid0(VALU_DEP_1) | instskip(NEXT) | instid1(VALU_DEP_1)
	v_fma_f32 v3, -v6, v10, v3
	v_div_fmas_f32 v3, v3, v9, v10
	s_delay_alu instid0(VALU_DEP_1)
	v_div_fixup_f32 v3, v3, v4, |v2|
	v_bfi_b32 v4, 0x7fffffff, v1, v2
.LBB177_787:
	s_or_b32 exec_lo, exec_lo, s45
                                        ; implicit-def: $vgpr2
	s_and_saveexec_b32 s3, s2
	s_delay_alu instid0(SALU_CYCLE_1)
	s_xor_b32 s2, exec_lo, s3
	s_cbranch_execz .LBB177_789
; %bb.788:
	v_dual_mul_f32 v1, 0.5, v3 :: v_dual_mul_f32 v2, 0.5, v4
	s_delay_alu instid0(VALU_DEP_1) | instskip(NEXT) | instid1(VALU_DEP_2)
	v_cndmask_b32_e64 v1, v3, v1, s44
	v_cndmask_b32_e64 v2, v4, v2, s44
                                        ; implicit-def: $vgpr3
                                        ; implicit-def: $vgpr4
	s_and_not1_saveexec_b32 s2, s2
	s_cbranch_execnz .LBB177_790
	s_branch .LBB177_791
.LBB177_789:
	s_and_not1_saveexec_b32 s2, s2
.LBB177_790:
	v_dual_add_f32 v1, v3, v3 :: v_dual_add_f32 v2, v4, v4
.LBB177_791:
	s_or_b32 exec_lo, exec_lo, s2
.LBB177_792:
	s_and_not1_saveexec_b32 s2, s43
	s_cbranch_execz .LBB177_798
; %bb.793:
	s_delay_alu instid0(VALU_DEP_1)
	v_sub_f32_e32 v3, v2, v2
	s_mov_b32 s3, exec_lo
	v_cmpx_lt_i32_e32 -1, v1
	s_xor_b32 s3, exec_lo, s3
; %bb.794:
	s_delay_alu instid0(VALU_DEP_2)
	v_bfi_b32 v2, 0x7fffffff, v3, v2
                                        ; implicit-def: $vgpr3
; %bb.795:
	s_and_not1_saveexec_b32 s3, s3
; %bb.796:
	v_and_b32_e32 v3, 0x7fffffff, v3
	s_delay_alu instid0(VALU_DEP_2) | instskip(NEXT) | instid1(VALU_DEP_2)
	v_bfi_b32 v2, 0x7fffffff, v1, v2
	v_mov_b32_e32 v1, v3
; %bb.797:
	s_or_b32 exec_lo, exec_lo, s3
.LBB177_798:
	s_delay_alu instid0(SALU_CYCLE_1)
	s_or_b32 exec_lo, exec_lo, s2
.LBB177_799:
	s_and_not1_saveexec_b32 s2, s42
; %bb.800:
	v_sub_f32_e32 v2, v2, v2
	s_delay_alu instid0(VALU_DEP_1) | instskip(NEXT) | instid1(VALU_DEP_1)
	v_div_scale_f32 v3, vcc_lo, v2, v2, v2
	v_rcp_f32_e32 v4, v3
	s_waitcnt_depctr 0xfff
	v_fma_f32 v6, -v3, v4, 1.0
	s_delay_alu instid0(VALU_DEP_1) | instskip(NEXT) | instid1(VALU_DEP_1)
	v_fmac_f32_e32 v4, v6, v4
	v_mul_f32_e32 v6, v3, v4
	s_delay_alu instid0(VALU_DEP_1) | instskip(NEXT) | instid1(VALU_DEP_1)
	v_fma_f32 v9, -v3, v6, v3
	v_fmac_f32_e32 v6, v9, v4
	s_delay_alu instid0(VALU_DEP_1) | instskip(NEXT) | instid1(VALU_DEP_1)
	v_fma_f32 v3, -v3, v6, v3
	v_div_fmas_f32 v3, v3, v4, v6
	s_delay_alu instid0(VALU_DEP_1)
	v_div_fixup_f32 v2, v3, v2, v2
; %bb.801:
	s_or_b32 exec_lo, exec_lo, s2
	v_mov_b32_e32 v6, v1
.LBB177_802:
	s_or_b32 exec_lo, exec_lo, s41
.LBB177_803:
	s_delay_alu instid0(SALU_CYCLE_1) | instskip(NEXT) | instid1(VALU_DEP_1)
	s_or_b32 exec_lo, exec_lo, s23
	v_cmp_gt_f32_e32 vcc_lo, 0, v6
                                        ; implicit-def: $vgpr4
	s_mov_b32 s2, exec_lo
	v_cndmask_b32_e64 v1, v6, -v6, vcc_lo
	v_cmp_gt_f32_e32 vcc_lo, 0, v2
	v_cndmask_b32_e64 v9, v2, -v2, vcc_lo
	s_delay_alu instid0(VALU_DEP_1)
	v_cmpx_ge_f32_e32 v1, v9
	s_xor_b32 s3, exec_lo, s2
	s_cbranch_execz .LBB177_809
; %bb.804:
	v_cmp_neq_f32_e32 vcc_lo, 0, v6
	v_cmp_neq_f32_e64 s2, 0, v2
                                        ; implicit-def: $vgpr4
	s_delay_alu instid0(VALU_DEP_1) | instskip(NEXT) | instid1(SALU_CYCLE_1)
	s_or_b32 s2, vcc_lo, s2
	s_and_saveexec_b32 s23, s2
	s_delay_alu instid0(SALU_CYCLE_1)
	s_xor_b32 s2, exec_lo, s23
	s_cbranch_execz .LBB177_806
; %bb.805:
	v_div_scale_f32 v1, null, v6, v6, v2
	v_div_scale_f32 v9, vcc_lo, v2, v6, v2
	s_delay_alu instid0(VALU_DEP_2) | instskip(SKIP_2) | instid1(VALU_DEP_1)
	v_rcp_f32_e32 v3, v1
	s_waitcnt_depctr 0xfff
	v_fma_f32 v4, -v1, v3, 1.0
	v_fmac_f32_e32 v3, v4, v3
	s_delay_alu instid0(VALU_DEP_1) | instskip(NEXT) | instid1(VALU_DEP_1)
	v_mul_f32_e32 v4, v9, v3
	v_fma_f32 v10, -v1, v4, v9
	s_delay_alu instid0(VALU_DEP_1) | instskip(NEXT) | instid1(VALU_DEP_1)
	v_fmac_f32_e32 v4, v10, v3
	v_fma_f32 v1, -v1, v4, v9
	s_delay_alu instid0(VALU_DEP_1) | instskip(NEXT) | instid1(VALU_DEP_1)
	v_div_fmas_f32 v1, v1, v3, v4
	v_div_fixup_f32 v1, v1, v6, v2
	s_delay_alu instid0(VALU_DEP_1) | instskip(NEXT) | instid1(VALU_DEP_1)
	v_fmac_f32_e32 v6, v2, v1
	v_div_scale_f32 v2, null, v6, v6, 1.0
	v_div_scale_f32 v9, vcc_lo, 1.0, v6, 1.0
	s_delay_alu instid0(VALU_DEP_2) | instskip(SKIP_2) | instid1(VALU_DEP_1)
	v_rcp_f32_e32 v3, v2
	s_waitcnt_depctr 0xfff
	v_fma_f32 v4, -v2, v3, 1.0
	v_fmac_f32_e32 v3, v4, v3
	s_delay_alu instid0(VALU_DEP_1) | instskip(NEXT) | instid1(VALU_DEP_1)
	v_mul_f32_e32 v4, v9, v3
	v_fma_f32 v10, -v2, v4, v9
	s_delay_alu instid0(VALU_DEP_1) | instskip(NEXT) | instid1(VALU_DEP_1)
	v_fmac_f32_e32 v4, v10, v3
	v_fma_f32 v2, -v2, v4, v9
                                        ; implicit-def: $vgpr9
	s_delay_alu instid0(VALU_DEP_1) | instskip(SKIP_1) | instid1(VALU_DEP_2)
	v_div_fmas_f32 v2, v2, v3, v4
	v_fma_f32 v3, v1, 0, 1.0
	v_div_fixup_f32 v2, v2, v6, 1.0
	s_delay_alu instid0(VALU_DEP_1)
	v_mul_f32_e32 v3, v3, v2
	v_mul_f32_e64 v4, -v1, v2
                                        ; implicit-def: $vgpr1
.LBB177_806:
	s_and_not1_saveexec_b32 s23, s2
	s_cbranch_execz .LBB177_808
; %bb.807:
	v_div_scale_f32 v2, null, v1, v1, 1.0
	v_div_scale_f32 v3, null, v9, v9, 0
	v_div_scale_f32 v12, vcc_lo, 1.0, v1, 1.0
	s_delay_alu instid0(VALU_DEP_3) | instskip(NEXT) | instid1(VALU_DEP_2)
	v_rcp_f32_e32 v4, v2
	v_rcp_f32_e32 v6, v3
	s_waitcnt_depctr 0xfff
	v_fma_f32 v10, -v2, v4, 1.0
	v_fma_f32 v11, -v3, v6, 1.0
	s_delay_alu instid0(VALU_DEP_1) | instskip(NEXT) | instid1(VALU_DEP_3)
	v_fmac_f32_e32 v6, v11, v6
	v_fmac_f32_e32 v4, v10, v4
	v_div_scale_f32 v10, s2, 0, v9, 0
	s_delay_alu instid0(VALU_DEP_1) | instskip(NEXT) | instid1(VALU_DEP_1)
	v_mul_f32_e32 v13, v10, v6
	v_fma_f32 v15, -v3, v13, v10
	s_delay_alu instid0(VALU_DEP_1) | instskip(SKIP_1) | instid1(VALU_DEP_2)
	v_fmac_f32_e32 v13, v15, v6
	v_mul_f32_e32 v11, v12, v4
	v_fma_f32 v3, -v3, v13, v10
	s_delay_alu instid0(VALU_DEP_2) | instskip(NEXT) | instid1(VALU_DEP_1)
	v_fma_f32 v14, -v2, v11, v12
	v_fmac_f32_e32 v11, v14, v4
	s_delay_alu instid0(VALU_DEP_1) | instskip(NEXT) | instid1(VALU_DEP_1)
	v_fma_f32 v2, -v2, v11, v12
	v_div_fmas_f32 v2, v2, v4, v11
	s_mov_b32 vcc_lo, s2
	v_div_fmas_f32 v4, v3, v6, v13
	s_delay_alu instid0(VALU_DEP_2) | instskip(NEXT) | instid1(VALU_DEP_2)
	v_div_fixup_f32 v3, v2, v1, 1.0
	v_div_fixup_f32 v4, v4, v9, 0
.LBB177_808:
	s_or_b32 exec_lo, exec_lo, s23
                                        ; implicit-def: $vgpr2
                                        ; implicit-def: $vgpr6
.LBB177_809:
	s_and_not1_saveexec_b32 s2, s3
	s_cbranch_execz .LBB177_811
; %bb.810:
	v_div_scale_f32 v1, null, v2, v2, v6
	v_div_scale_f32 v9, vcc_lo, v6, v2, v6
	s_delay_alu instid0(VALU_DEP_2) | instskip(SKIP_2) | instid1(VALU_DEP_1)
	v_rcp_f32_e32 v3, v1
	s_waitcnt_depctr 0xfff
	v_fma_f32 v4, -v1, v3, 1.0
	v_fmac_f32_e32 v3, v4, v3
	s_delay_alu instid0(VALU_DEP_1) | instskip(NEXT) | instid1(VALU_DEP_1)
	v_mul_f32_e32 v4, v9, v3
	v_fma_f32 v10, -v1, v4, v9
	s_delay_alu instid0(VALU_DEP_1) | instskip(NEXT) | instid1(VALU_DEP_1)
	v_fmac_f32_e32 v4, v10, v3
	v_fma_f32 v1, -v1, v4, v9
	s_delay_alu instid0(VALU_DEP_1) | instskip(NEXT) | instid1(VALU_DEP_1)
	v_div_fmas_f32 v1, v1, v3, v4
	v_div_fixup_f32 v1, v1, v2, v6
	s_delay_alu instid0(VALU_DEP_1) | instskip(NEXT) | instid1(VALU_DEP_1)
	v_fmac_f32_e32 v2, v6, v1
	v_div_scale_f32 v3, null, v2, v2, 1.0
	v_div_scale_f32 v9, vcc_lo, 1.0, v2, 1.0
	s_delay_alu instid0(VALU_DEP_2) | instskip(SKIP_2) | instid1(VALU_DEP_1)
	v_rcp_f32_e32 v4, v3
	s_waitcnt_depctr 0xfff
	v_fma_f32 v6, -v3, v4, 1.0
	v_fmac_f32_e32 v4, v6, v4
	s_delay_alu instid0(VALU_DEP_1) | instskip(NEXT) | instid1(VALU_DEP_1)
	v_mul_f32_e32 v6, v9, v4
	v_fma_f32 v10, -v3, v6, v9
	s_delay_alu instid0(VALU_DEP_1) | instskip(NEXT) | instid1(VALU_DEP_1)
	v_fmac_f32_e32 v6, v10, v4
	v_fma_f32 v3, -v3, v6, v9
	s_delay_alu instid0(VALU_DEP_1) | instskip(SKIP_2) | instid1(VALU_DEP_3)
	v_div_fmas_f32 v3, v3, v4, v6
	v_add_f32_e32 v4, 0, v1
	v_fma_f32 v1, v1, 0, -1.0
	v_div_fixup_f32 v2, v3, v2, 1.0
	s_delay_alu instid0(VALU_DEP_1) | instskip(NEXT) | instid1(VALU_DEP_3)
	v_mul_f32_e32 v3, v4, v2
	v_mul_f32_e32 v4, v1, v2
.LBB177_811:
	s_or_b32 exec_lo, exec_lo, s2
	v_and_b32_e32 v2, 0xff, v7
	v_add_co_u32 v0, s2, s4, v0
	s_delay_alu instid0(VALU_DEP_1) | instskip(NEXT) | instid1(VALU_DEP_3)
	v_add_co_ci_u32_e64 v1, null, s5, 0, s2
	v_cmp_gt_i16_e32 vcc_lo, 11, v2
	s_mov_b32 s3, 0
	s_mov_b32 s23, -1
	s_mov_b32 s2, s38
	s_cbranch_vccnz .LBB177_818
; %bb.812:
	v_cmp_lt_i16_e32 vcc_lo, 25, v2
	s_cbranch_vccz .LBB177_859
; %bb.813:
	v_cmp_lt_i16_e32 vcc_lo, 28, v2
	s_cbranch_vccz .LBB177_860
	;; [unrolled: 3-line block ×4, first 2 shown]
; %bb.816:
	v_cmp_eq_u16_e32 vcc_lo, 46, v2
	s_mov_b32 s23, 0
	s_mov_b32 s2, -1
	s_cbranch_vccz .LBB177_863
; %bb.817:
	v_bfe_u32 v6, v4, 16, 1
	v_bfe_u32 v9, v3, 16, 1
	v_cmp_o_f32_e32 vcc_lo, v4, v4
	s_mov_b32 s3, -1
	s_mov_b32 s2, 0
	v_add3_u32 v6, v4, v6, 0x7fff
	v_add3_u32 v9, v3, v9, 0x7fff
	s_delay_alu instid0(VALU_DEP_2) | instskip(NEXT) | instid1(VALU_DEP_2)
	v_and_b32_e32 v6, 0xffff0000, v6
	v_lshrrev_b32_e32 v9, 16, v9
	s_delay_alu instid0(VALU_DEP_2) | instskip(SKIP_1) | instid1(VALU_DEP_3)
	v_cndmask_b32_e32 v6, 0x7fc00000, v6, vcc_lo
	v_cmp_o_f32_e32 vcc_lo, v3, v3
	v_cndmask_b32_e32 v9, 0x7fc0, v9, vcc_lo
	s_delay_alu instid0(VALU_DEP_1)
	v_or_b32_e32 v6, v6, v9
	global_store_b32 v[0:1], v6, off
	s_branch .LBB177_863
.LBB177_818:
	s_and_b32 vcc_lo, exec_lo, s23
	s_cbranch_vccz .LBB177_932
; %bb.819:
	v_cmp_gt_i16_e32 vcc_lo, 5, v2
	s_mov_b32 s3, -1
	s_cbranch_vccnz .LBB177_840
; %bb.820:
	v_cmp_gt_i16_e32 vcc_lo, 8, v2
	s_cbranch_vccnz .LBB177_830
; %bb.821:
	v_cmp_gt_i16_e32 vcc_lo, 9, v2
	s_cbranch_vccnz .LBB177_827
; %bb.822:
	v_cmp_lt_i16_e32 vcc_lo, 9, v2
	s_cbranch_vccz .LBB177_824
; %bb.823:
	v_cvt_f64_f32_e32 v[9:10], v3
	v_cvt_f64_f32_e32 v[11:12], v4
	s_mov_b32 s3, 0
	global_store_b128 v[0:1], v[9:12], off
.LBB177_824:
	s_and_not1_b32 vcc_lo, exec_lo, s3
	s_cbranch_vccnz .LBB177_826
; %bb.825:
	global_store_b64 v[0:1], v[3:4], off
.LBB177_826:
	s_mov_b32 s3, 0
.LBB177_827:
	s_delay_alu instid0(SALU_CYCLE_1)
	s_and_not1_b32 vcc_lo, exec_lo, s3
	s_cbranch_vccnz .LBB177_829
; %bb.828:
	v_cvt_f16_f32_e32 v4, v4
	v_cvt_f16_f32_e32 v6, v3
	s_delay_alu instid0(VALU_DEP_2) | instskip(NEXT) | instid1(VALU_DEP_2)
	v_lshlrev_b32_e32 v4, 16, v4
	v_and_b32_e32 v6, 0xffff, v6
	s_delay_alu instid0(VALU_DEP_1)
	v_or_b32_e32 v4, v4, v6
	global_store_b32 v[0:1], v4, off
.LBB177_829:
	s_mov_b32 s3, 0
.LBB177_830:
	s_delay_alu instid0(SALU_CYCLE_1)
	s_and_not1_b32 vcc_lo, exec_lo, s3
	s_cbranch_vccnz .LBB177_839
; %bb.831:
	v_cmp_gt_i16_e32 vcc_lo, 6, v2
	s_mov_b32 s3, -1
	s_cbranch_vccnz .LBB177_837
; %bb.832:
	v_cmp_lt_i16_e32 vcc_lo, 6, v2
	s_cbranch_vccz .LBB177_834
; %bb.833:
	v_cvt_f64_f32_e32 v[9:10], v3
	s_mov_b32 s3, 0
	global_store_b64 v[0:1], v[9:10], off
.LBB177_834:
	s_and_not1_b32 vcc_lo, exec_lo, s3
	s_cbranch_vccnz .LBB177_836
; %bb.835:
	global_store_b32 v[0:1], v3, off
.LBB177_836:
	s_mov_b32 s3, 0
.LBB177_837:
	s_delay_alu instid0(SALU_CYCLE_1)
	s_and_not1_b32 vcc_lo, exec_lo, s3
	s_cbranch_vccnz .LBB177_839
; %bb.838:
	v_cvt_f16_f32_e32 v4, v3
	global_store_b16 v[0:1], v4, off
.LBB177_839:
	s_mov_b32 s3, 0
.LBB177_840:
	s_delay_alu instid0(SALU_CYCLE_1)
	s_and_not1_b32 vcc_lo, exec_lo, s3
	s_cbranch_vccnz .LBB177_856
; %bb.841:
	v_cmp_gt_i16_e32 vcc_lo, 2, v2
	s_mov_b32 s3, -1
	s_cbranch_vccnz .LBB177_851
; %bb.842:
	v_cmp_gt_i16_e32 vcc_lo, 3, v2
	s_cbranch_vccnz .LBB177_848
; %bb.843:
	v_cmp_lt_i16_e32 vcc_lo, 3, v2
	s_cbranch_vccz .LBB177_845
; %bb.844:
	v_trunc_f32_e32 v4, v3
	s_mov_b32 s3, 0
	s_delay_alu instid0(VALU_DEP_1) | instskip(NEXT) | instid1(VALU_DEP_1)
	v_mul_f32_e64 v6, 0x2f800000, |v4|
	v_floor_f32_e32 v6, v6
	s_delay_alu instid0(VALU_DEP_1) | instskip(SKIP_2) | instid1(VALU_DEP_3)
	v_fma_f32 v9, 0xcf800000, v6, |v4|
	v_ashrrev_i32_e32 v4, 31, v4
	v_cvt_u32_f32_e32 v6, v6
	v_cvt_u32_f32_e32 v9, v9
	s_delay_alu instid0(VALU_DEP_2) | instskip(NEXT) | instid1(VALU_DEP_2)
	v_xor_b32_e32 v6, v6, v4
	v_xor_b32_e32 v9, v9, v4
	s_delay_alu instid0(VALU_DEP_1) | instskip(NEXT) | instid1(VALU_DEP_3)
	v_sub_co_u32 v9, vcc_lo, v9, v4
	v_sub_co_ci_u32_e32 v10, vcc_lo, v6, v4, vcc_lo
	global_store_b64 v[0:1], v[9:10], off
.LBB177_845:
	s_and_not1_b32 vcc_lo, exec_lo, s3
	s_cbranch_vccnz .LBB177_847
; %bb.846:
	v_cvt_i32_f32_e32 v4, v3
	global_store_b32 v[0:1], v4, off
.LBB177_847:
	s_mov_b32 s3, 0
.LBB177_848:
	s_delay_alu instid0(SALU_CYCLE_1)
	s_and_not1_b32 vcc_lo, exec_lo, s3
	s_cbranch_vccnz .LBB177_850
; %bb.849:
	v_cvt_i32_f32_e32 v4, v3
	global_store_b16 v[0:1], v4, off
.LBB177_850:
	s_mov_b32 s3, 0
.LBB177_851:
	s_delay_alu instid0(SALU_CYCLE_1)
	s_and_not1_b32 vcc_lo, exec_lo, s3
	s_cbranch_vccnz .LBB177_856
; %bb.852:
	v_cmp_lt_i16_e32 vcc_lo, 0, v2
	s_mov_b32 s3, -1
	s_cbranch_vccz .LBB177_854
; %bb.853:
	v_cvt_i32_f32_e32 v2, v3
	s_mov_b32 s3, 0
	global_store_b8 v[0:1], v2, off
.LBB177_854:
	s_and_not1_b32 vcc_lo, exec_lo, s3
	s_cbranch_vccnz .LBB177_856
; %bb.855:
	v_trunc_f32_e32 v2, v3
	s_delay_alu instid0(VALU_DEP_1) | instskip(NEXT) | instid1(VALU_DEP_1)
	v_mul_f32_e64 v3, 0x2f800000, |v2|
	v_floor_f32_e32 v3, v3
	s_delay_alu instid0(VALU_DEP_1) | instskip(SKIP_1) | instid1(VALU_DEP_2)
	v_fma_f32 v3, 0xcf800000, v3, |v2|
	v_ashrrev_i32_e32 v2, 31, v2
	v_cvt_u32_f32_e32 v3, v3
	s_delay_alu instid0(VALU_DEP_1) | instskip(NEXT) | instid1(VALU_DEP_1)
	v_xor_b32_e32 v3, v3, v2
	v_sub_nc_u32_e32 v2, v3, v2
	global_store_b8 v[0:1], v2, off
.LBB177_856:
	s_branch .LBB177_933
.LBB177_857:
	s_mov_b32 s3, 0
.LBB177_858:
                                        ; implicit-def: $vgpr8
	s_branch .LBB177_934
.LBB177_859:
	s_mov_b32 s2, s38
	s_branch .LBB177_890
.LBB177_860:
	s_mov_b32 s2, s38
	s_branch .LBB177_873
.LBB177_861:
	s_mov_b32 s2, s38
	s_branch .LBB177_869
.LBB177_862:
	s_mov_b32 s2, s38
.LBB177_863:
	s_and_b32 vcc_lo, exec_lo, s23
	s_cbranch_vccz .LBB177_868
; %bb.864:
	v_cmp_eq_u16_e32 vcc_lo, 44, v2
	s_mov_b32 s2, -1
	s_cbranch_vccz .LBB177_868
; %bb.865:
	v_bfe_u32 v9, v3, 23, 8
	v_mov_b32_e32 v6, 0xff
	s_mov_b32 s3, exec_lo
	s_delay_alu instid0(VALU_DEP_2)
	v_cmpx_ne_u32_e32 0xff, v9
; %bb.866:
	v_and_b32_e32 v6, 0x400000, v3
	v_and_or_b32 v9, 0x3fffff, v3, v9
	s_delay_alu instid0(VALU_DEP_2) | instskip(NEXT) | instid1(VALU_DEP_2)
	v_cmp_ne_u32_e32 vcc_lo, 0, v6
	v_cmp_ne_u32_e64 s2, 0, v9
	v_lshrrev_b32_e32 v6, 23, v3
	s_delay_alu instid0(VALU_DEP_2) | instskip(NEXT) | instid1(SALU_CYCLE_1)
	s_and_b32 s2, vcc_lo, s2
	v_cndmask_b32_e64 v9, 0, 1, s2
	s_delay_alu instid0(VALU_DEP_1)
	v_add_nc_u32_e32 v6, v6, v9
; %bb.867:
	s_or_b32 exec_lo, exec_lo, s3
	s_mov_b32 s3, -1
	s_mov_b32 s2, 0
	global_store_b8 v[0:1], v6, off
.LBB177_868:
	s_mov_b32 s23, 0
.LBB177_869:
	s_delay_alu instid0(SALU_CYCLE_1)
	s_and_b32 vcc_lo, exec_lo, s23
	s_cbranch_vccz .LBB177_872
; %bb.870:
	v_cmp_eq_u16_e32 vcc_lo, 29, v2
	s_mov_b32 s2, -1
	s_cbranch_vccz .LBB177_872
; %bb.871:
	v_trunc_f32_e32 v6, v3
	s_mov_b32 s3, -1
	s_mov_b32 s2, 0
	s_mov_b32 s23, 0
	s_delay_alu instid0(VALU_DEP_1) | instskip(NEXT) | instid1(VALU_DEP_1)
	v_mul_f32_e32 v9, 0x2f800000, v6
	v_floor_f32_e32 v9, v9
	s_delay_alu instid0(VALU_DEP_1) | instskip(SKIP_1) | instid1(VALU_DEP_2)
	v_fmamk_f32 v6, v9, 0xcf800000, v6
	v_cvt_u32_f32_e32 v10, v9
	v_cvt_u32_f32_e32 v9, v6
	global_store_b64 v[0:1], v[9:10], off
	s_branch .LBB177_873
.LBB177_872:
	s_mov_b32 s23, 0
.LBB177_873:
	s_delay_alu instid0(SALU_CYCLE_1)
	s_and_b32 vcc_lo, exec_lo, s23
	s_cbranch_vccz .LBB177_889
; %bb.874:
	v_cmp_gt_i16_e32 vcc_lo, 27, v2
	s_mov_b32 s3, -1
	s_cbranch_vccnz .LBB177_880
; %bb.875:
	v_cmp_lt_i16_e32 vcc_lo, 27, v2
	s_cbranch_vccz .LBB177_877
; %bb.876:
	v_cvt_u32_f32_e32 v6, v3
	s_mov_b32 s3, 0
	global_store_b32 v[0:1], v6, off
.LBB177_877:
	s_and_not1_b32 vcc_lo, exec_lo, s3
	s_cbranch_vccnz .LBB177_879
; %bb.878:
	v_cvt_u32_f32_e32 v6, v3
	global_store_b16 v[0:1], v6, off
.LBB177_879:
	s_mov_b32 s3, 0
.LBB177_880:
	s_delay_alu instid0(SALU_CYCLE_1)
	s_and_not1_b32 vcc_lo, exec_lo, s3
	s_cbranch_vccnz .LBB177_888
; %bb.881:
	v_and_b32_e32 v6, 0x7fffffff, v3
	v_mov_b32_e32 v9, 0x80
	s_mov_b32 s3, exec_lo
	s_delay_alu instid0(VALU_DEP_2)
	v_cmpx_gt_u32_e32 0x43800000, v6
	s_cbranch_execz .LBB177_887
; %bb.882:
	v_cmp_lt_u32_e32 vcc_lo, 0x3bffffff, v6
	s_mov_b32 s23, 0
                                        ; implicit-def: $vgpr6
	s_and_saveexec_b32 s41, vcc_lo
	s_delay_alu instid0(SALU_CYCLE_1)
	s_xor_b32 s41, exec_lo, s41
	s_cbranch_execz .LBB177_961
; %bb.883:
	v_bfe_u32 v6, v3, 20, 1
	s_mov_b32 s23, exec_lo
	s_delay_alu instid0(VALU_DEP_1) | instskip(NEXT) | instid1(VALU_DEP_1)
	v_add3_u32 v6, v3, v6, 0x487ffff
	v_lshrrev_b32_e32 v6, 20, v6
	s_or_saveexec_b32 s41, s41
                                        ; implicit-def: $sgpr42
	s_delay_alu instid0(SALU_CYCLE_1)
	s_xor_b32 exec_lo, exec_lo, s41
	s_cbranch_execnz .LBB177_962
.LBB177_884:
	s_or_b32 exec_lo, exec_lo, s41
	v_mov_b32_e32 v9, s42
	s_and_saveexec_b32 s41, s23
.LBB177_885:
	v_lshrrev_b32_e32 v9, 24, v3
	s_delay_alu instid0(VALU_DEP_1)
	v_and_or_b32 v9, 0x80, v9, v6
.LBB177_886:
	s_or_b32 exec_lo, exec_lo, s41
.LBB177_887:
	s_delay_alu instid0(SALU_CYCLE_1)
	s_or_b32 exec_lo, exec_lo, s3
	global_store_b8 v[0:1], v9, off
.LBB177_888:
	s_mov_b32 s3, -1
.LBB177_889:
	s_mov_b32 s23, 0
.LBB177_890:
	s_delay_alu instid0(SALU_CYCLE_1)
	s_and_b32 vcc_lo, exec_lo, s23
	s_cbranch_vccz .LBB177_931
; %bb.891:
	v_cmp_lt_i16_e32 vcc_lo, 22, v2
	s_mov_b32 s23, -1
	s_cbranch_vccz .LBB177_923
; %bb.892:
	v_cmp_gt_i16_e32 vcc_lo, 24, v2
	s_mov_b32 s3, -1
	s_cbranch_vccnz .LBB177_912
; %bb.893:
	v_cmp_lt_i16_e32 vcc_lo, 24, v2
	s_cbranch_vccz .LBB177_901
; %bb.894:
	v_and_b32_e32 v6, 0x7fffffff, v3
	v_mov_b32_e32 v9, 0x80
	s_mov_b32 s3, exec_lo
	s_delay_alu instid0(VALU_DEP_2)
	v_cmpx_gt_u32_e32 0x47800000, v6
	s_cbranch_execz .LBB177_900
; %bb.895:
	v_cmp_lt_u32_e32 vcc_lo, 0x37ffffff, v6
	s_mov_b32 s23, 0
                                        ; implicit-def: $vgpr6
	s_and_saveexec_b32 s41, vcc_lo
	s_delay_alu instid0(SALU_CYCLE_1)
	s_xor_b32 s41, exec_lo, s41
	s_cbranch_execz .LBB177_964
; %bb.896:
	v_bfe_u32 v6, v3, 21, 1
	s_mov_b32 s23, exec_lo
	s_delay_alu instid0(VALU_DEP_1) | instskip(NEXT) | instid1(VALU_DEP_1)
	v_add3_u32 v6, v3, v6, 0x88fffff
	v_lshrrev_b32_e32 v6, 21, v6
	s_or_saveexec_b32 s41, s41
                                        ; implicit-def: $sgpr42
	s_delay_alu instid0(SALU_CYCLE_1)
	s_xor_b32 exec_lo, exec_lo, s41
	s_cbranch_execnz .LBB177_965
.LBB177_897:
	s_or_b32 exec_lo, exec_lo, s41
	v_mov_b32_e32 v9, s42
	s_and_saveexec_b32 s41, s23
.LBB177_898:
	v_lshrrev_b32_e32 v9, 24, v3
	s_delay_alu instid0(VALU_DEP_1)
	v_and_or_b32 v9, 0x80, v9, v6
.LBB177_899:
	s_or_b32 exec_lo, exec_lo, s41
.LBB177_900:
	s_delay_alu instid0(SALU_CYCLE_1)
	s_or_b32 exec_lo, exec_lo, s3
	s_mov_b32 s3, 0
	global_store_b8 v[0:1], v9, off
.LBB177_901:
	s_and_b32 vcc_lo, exec_lo, s3
	s_cbranch_vccz .LBB177_911
; %bb.902:
	v_and_b32_e32 v9, 0x7fffffff, v3
	s_mov_b32 s3, exec_lo
                                        ; implicit-def: $vgpr6
	s_delay_alu instid0(VALU_DEP_1)
	v_cmpx_gt_u32_e32 0x43f00000, v9
	s_xor_b32 s3, exec_lo, s3
	s_cbranch_execz .LBB177_908
; %bb.903:
	s_mov_b32 s23, exec_lo
                                        ; implicit-def: $vgpr6
	v_cmpx_lt_u32_e32 0x3c7fffff, v9
	s_xor_b32 s23, exec_lo, s23
; %bb.904:
	v_bfe_u32 v6, v3, 20, 1
	s_delay_alu instid0(VALU_DEP_1) | instskip(NEXT) | instid1(VALU_DEP_1)
	v_add3_u32 v6, v3, v6, 0x407ffff
	v_and_b32_e32 v9, 0xff00000, v6
	v_lshrrev_b32_e32 v6, 20, v6
	s_delay_alu instid0(VALU_DEP_2) | instskip(NEXT) | instid1(VALU_DEP_2)
	v_cmp_ne_u32_e32 vcc_lo, 0x7f00000, v9
	v_cndmask_b32_e32 v6, 0x7e, v6, vcc_lo
; %bb.905:
	s_and_not1_saveexec_b32 s23, s23
; %bb.906:
	v_add_f32_e64 v6, 0x46800000, |v3|
; %bb.907:
	s_or_b32 exec_lo, exec_lo, s23
                                        ; implicit-def: $vgpr9
.LBB177_908:
	s_and_not1_saveexec_b32 s3, s3
; %bb.909:
	v_mov_b32_e32 v6, 0x7f
	v_cmp_lt_u32_e32 vcc_lo, 0x7f800000, v9
	s_delay_alu instid0(VALU_DEP_2)
	v_cndmask_b32_e32 v6, 0x7e, v6, vcc_lo
; %bb.910:
	s_or_b32 exec_lo, exec_lo, s3
	v_lshrrev_b32_e32 v9, 24, v3
	s_delay_alu instid0(VALU_DEP_1)
	v_and_or_b32 v6, 0x80, v9, v6
	global_store_b8 v[0:1], v6, off
.LBB177_911:
	s_mov_b32 s3, 0
.LBB177_912:
	s_delay_alu instid0(SALU_CYCLE_1)
	s_and_not1_b32 vcc_lo, exec_lo, s3
	s_cbranch_vccnz .LBB177_922
; %bb.913:
	v_and_b32_e32 v9, 0x7fffffff, v3
	s_mov_b32 s3, exec_lo
                                        ; implicit-def: $vgpr6
	s_delay_alu instid0(VALU_DEP_1)
	v_cmpx_gt_u32_e32 0x47800000, v9
	s_xor_b32 s3, exec_lo, s3
	s_cbranch_execz .LBB177_919
; %bb.914:
	s_mov_b32 s23, exec_lo
                                        ; implicit-def: $vgpr6
	v_cmpx_lt_u32_e32 0x387fffff, v9
	s_xor_b32 s23, exec_lo, s23
; %bb.915:
	v_bfe_u32 v6, v3, 21, 1
	s_delay_alu instid0(VALU_DEP_1) | instskip(NEXT) | instid1(VALU_DEP_1)
	v_add3_u32 v6, v3, v6, 0x80fffff
	v_lshrrev_b32_e32 v6, 21, v6
; %bb.916:
	s_and_not1_saveexec_b32 s23, s23
; %bb.917:
	v_add_f32_e64 v6, 0x43000000, |v3|
; %bb.918:
	s_or_b32 exec_lo, exec_lo, s23
                                        ; implicit-def: $vgpr9
.LBB177_919:
	s_and_not1_saveexec_b32 s3, s3
; %bb.920:
	v_mov_b32_e32 v6, 0x7f
	v_cmp_lt_u32_e32 vcc_lo, 0x7f800000, v9
	s_delay_alu instid0(VALU_DEP_2)
	v_cndmask_b32_e32 v6, 0x7c, v6, vcc_lo
; %bb.921:
	s_or_b32 exec_lo, exec_lo, s3
	v_lshrrev_b32_e32 v9, 24, v3
	s_delay_alu instid0(VALU_DEP_1)
	v_and_or_b32 v6, 0x80, v9, v6
	global_store_b8 v[0:1], v6, off
.LBB177_922:
	s_mov_b32 s23, 0
	s_mov_b32 s3, -1
.LBB177_923:
	s_and_not1_b32 vcc_lo, exec_lo, s23
	s_cbranch_vccnz .LBB177_931
; %bb.924:
	v_cmp_lt_i16_e32 vcc_lo, 14, v2
	s_mov_b32 s23, -1
	s_cbranch_vccz .LBB177_928
; %bb.925:
	v_cmp_eq_u16_e32 vcc_lo, 15, v2
	s_mov_b32 s2, -1
	s_cbranch_vccz .LBB177_927
; %bb.926:
	v_bfe_u32 v6, v3, 16, 1
	v_cmp_o_f32_e32 vcc_lo, v3, v3
	s_mov_b32 s3, -1
	s_mov_b32 s2, 0
	s_delay_alu instid0(VALU_DEP_2) | instskip(NEXT) | instid1(VALU_DEP_1)
	v_add3_u32 v6, v3, v6, 0x7fff
	v_lshrrev_b32_e32 v6, 16, v6
	s_delay_alu instid0(VALU_DEP_1)
	v_cndmask_b32_e32 v6, 0x7fc0, v6, vcc_lo
	global_store_b16 v[0:1], v6, off
.LBB177_927:
	s_mov_b32 s23, 0
.LBB177_928:
	s_delay_alu instid0(SALU_CYCLE_1)
	s_and_b32 vcc_lo, exec_lo, s23
	s_cbranch_vccz .LBB177_931
; %bb.929:
	v_cmp_eq_u16_e32 vcc_lo, 11, v2
	s_mov_b32 s2, -1
	s_cbranch_vccz .LBB177_931
; %bb.930:
	v_cmp_neq_f32_e32 vcc_lo, 0, v3
	v_cmp_neq_f32_e64 s2, 0, v4
	s_mov_b32 s3, -1
	s_delay_alu instid0(VALU_DEP_1) | instskip(NEXT) | instid1(SALU_CYCLE_1)
	s_or_b32 s2, vcc_lo, s2
	v_cndmask_b32_e64 v6, 0, 1, s2
	s_mov_b32 s2, 0
	global_store_b8 v[0:1], v6, off
.LBB177_931:
.LBB177_932:
	s_and_not1_b32 vcc_lo, exec_lo, s3
	s_cbranch_vccnz .LBB177_857
.LBB177_933:
	v_add_nc_u32_e32 v8, 0x80, v8
	s_mov_b32 s3, -1
.LBB177_934:
	s_and_not1_b32 s23, s38, exec_lo
	s_and_b32 s2, s2, exec_lo
	s_and_not1_b32 s41, s37, exec_lo
	s_and_b32 s22, s22, exec_lo
	s_or_b32 s23, s23, s2
	s_or_b32 s22, s41, s22
	s_or_not1_b32 s42, s3, exec_lo
.LBB177_935:
	s_or_b32 exec_lo, exec_lo, s40
	s_mov_b32 s2, 0
	s_mov_b32 s3, 0
	;; [unrolled: 1-line block ×3, first 2 shown]
                                        ; implicit-def: $vgpr3_vgpr4
                                        ; implicit-def: $vgpr0
                                        ; implicit-def: $vgpr2
	s_and_saveexec_b32 s40, s42
	s_cbranch_execz .LBB177_1036
; %bb.936:
	v_cmp_gt_i32_e32 vcc_lo, s30, v8
	s_mov_b32 s43, s22
	s_mov_b32 s42, 0
                                        ; implicit-def: $vgpr3_vgpr4
                                        ; implicit-def: $vgpr0
                                        ; implicit-def: $vgpr2
	s_and_saveexec_b32 s30, vcc_lo
	s_cbranch_execz .LBB177_1035
; %bb.937:
	s_and_not1_b32 vcc_lo, exec_lo, s27
	s_cbranch_vccnz .LBB177_942
; %bb.938:
	s_waitcnt vmcnt(0)
	v_dual_mov_b32 v0, 0 :: v_dual_mov_b32 v1, 0
	s_and_not1_b32 vcc_lo, exec_lo, s33
	s_mov_b32 s33, 0
	s_cbranch_vccnz .LBB177_947
; %bb.939:
	v_mov_b32_e32 v0, 0
	s_add_i32 s41, s31, 1
	s_cmp_eq_u32 s25, 2
	s_mov_b32 s31, 0
	s_cbranch_scc1 .LBB177_943
; %bb.940:
	v_dual_mov_b32 v1, 0 :: v_dual_mov_b32 v0, 0
	v_mov_b32_e32 v2, v8
	s_and_b32 s31, s41, 28
	s_mov_b64 s[2:3], s[16:17]
.LBB177_941:                            ; =>This Inner Loop Header: Depth=1
	s_clause 0x1
	s_load_b256 s[44:51], s[2:3], 0x4
	s_load_b128 s[60:63], s[2:3], 0x24
	s_load_b256 s[52:59], s[20:21], 0x0
	s_add_u32 s2, s2, 48
	s_addc_u32 s3, s3, 0
	s_add_i32 s42, s42, 4
	s_add_u32 s20, s20, 32
	s_addc_u32 s21, s21, 0
	s_cmp_eq_u32 s31, s42
	s_waitcnt lgkmcnt(0)
	v_mul_hi_u32 v3, s45, v2
	s_delay_alu instid0(VALU_DEP_1) | instskip(NEXT) | instid1(VALU_DEP_1)
	v_add_nc_u32_e32 v3, v2, v3
	v_lshrrev_b32_e32 v3, s46, v3
	s_delay_alu instid0(VALU_DEP_1) | instskip(SKIP_1) | instid1(VALU_DEP_2)
	v_mul_hi_u32 v4, s48, v3
	v_mul_lo_u32 v9, v3, s44
	v_add_nc_u32_e32 v4, v3, v4
	s_delay_alu instid0(VALU_DEP_2) | instskip(NEXT) | instid1(VALU_DEP_2)
	v_sub_nc_u32_e32 v2, v2, v9
	v_lshrrev_b32_e32 v4, s49, v4
	s_delay_alu instid0(VALU_DEP_2) | instskip(SKIP_1) | instid1(VALU_DEP_3)
	v_mul_lo_u32 v9, v2, s52
	v_mul_lo_u32 v11, v2, s53
	v_mul_hi_u32 v6, s51, v4
	s_delay_alu instid0(VALU_DEP_1) | instskip(NEXT) | instid1(VALU_DEP_1)
	v_add_nc_u32_e32 v6, v4, v6
	v_lshrrev_b32_e32 v6, s60, v6
	s_delay_alu instid0(VALU_DEP_1) | instskip(SKIP_1) | instid1(VALU_DEP_2)
	v_mul_hi_u32 v10, s62, v6
	v_mul_lo_u32 v12, v6, s50
	v_add_nc_u32_e32 v2, v6, v10
	v_mul_lo_u32 v10, v4, s47
	s_delay_alu instid0(VALU_DEP_3) | instskip(NEXT) | instid1(VALU_DEP_3)
	v_sub_nc_u32_e32 v4, v4, v12
	v_lshrrev_b32_e32 v2, s63, v2
	s_delay_alu instid0(VALU_DEP_2) | instskip(SKIP_2) | instid1(VALU_DEP_4)
	v_mul_lo_u32 v12, v4, s56
	v_mul_lo_u32 v4, v4, s57
	v_sub_nc_u32_e32 v3, v3, v10
	v_mul_lo_u32 v13, v2, s61
	s_delay_alu instid0(VALU_DEP_2) | instskip(SKIP_1) | instid1(VALU_DEP_3)
	v_mul_lo_u32 v10, v3, s54
	v_mul_lo_u32 v3, v3, s55
	v_sub_nc_u32_e32 v6, v6, v13
	s_delay_alu instid0(VALU_DEP_3) | instskip(NEXT) | instid1(VALU_DEP_2)
	v_add3_u32 v0, v9, v0, v10
	v_mul_lo_u32 v13, v6, s58
	v_mul_lo_u32 v6, v6, s59
	v_add3_u32 v1, v11, v1, v3
	s_delay_alu instid0(VALU_DEP_3) | instskip(NEXT) | instid1(VALU_DEP_2)
	v_add3_u32 v0, v12, v0, v13
	v_add3_u32 v1, v4, v1, v6
	s_cbranch_scc0 .LBB177_941
	s_branch .LBB177_944
.LBB177_942:
	s_mov_b32 s33, -1
                                        ; implicit-def: $vgpr0
                                        ; implicit-def: $vgpr1
	s_branch .LBB177_947
.LBB177_943:
	v_dual_mov_b32 v2, v8 :: v_dual_mov_b32 v1, 0
.LBB177_944:
	s_and_b32 s41, s41, 3
	s_delay_alu instid0(SALU_CYCLE_1)
	s_cmp_eq_u32 s41, 0
	s_cbranch_scc1 .LBB177_947
; %bb.945:
	s_lshl_b32 s2, s31, 3
	s_mul_i32 s20, s31, 12
	s_add_u32 s2, s2, s16
	s_addc_u32 s3, s17, 0
	s_add_u32 s2, s2, 0xc4
	s_addc_u32 s3, s3, 0
	s_add_u32 s20, s16, s20
	s_addc_u32 s21, s17, 0
.LBB177_946:                            ; =>This Inner Loop Header: Depth=1
	s_clause 0x1
	s_load_b64 s[42:43], s[20:21], 0x4
	s_load_b32 s31, s[20:21], 0xc
	s_load_b64 s[44:45], s[2:3], 0x0
	s_add_u32 s20, s20, 12
	s_addc_u32 s21, s21, 0
	s_add_u32 s2, s2, 8
	s_addc_u32 s3, s3, 0
	s_add_i32 s41, s41, -1
	s_delay_alu instid0(SALU_CYCLE_1) | instskip(SKIP_2) | instid1(VALU_DEP_1)
	s_cmp_lg_u32 s41, 0
	s_waitcnt lgkmcnt(0)
	v_mul_hi_u32 v3, s43, v2
	v_add_nc_u32_e32 v3, v2, v3
	s_delay_alu instid0(VALU_DEP_1) | instskip(NEXT) | instid1(VALU_DEP_1)
	v_lshrrev_b32_e32 v6, s31, v3
	v_mul_lo_u32 v3, v6, s42
	s_delay_alu instid0(VALU_DEP_1) | instskip(NEXT) | instid1(VALU_DEP_1)
	v_sub_nc_u32_e32 v2, v2, v3
	v_mad_u64_u32 v[3:4], null, v2, s44, v[0:1]
	v_mad_u64_u32 v[9:10], null, v2, s45, v[1:2]
	v_mov_b32_e32 v2, v6
	s_delay_alu instid0(VALU_DEP_2)
	v_dual_mov_b32 v0, v3 :: v_dual_mov_b32 v1, v9
	s_cbranch_scc1 .LBB177_946
.LBB177_947:
	s_and_not1_b32 vcc_lo, exec_lo, s33
	s_cbranch_vccnz .LBB177_950
; %bb.948:
	s_waitcnt lgkmcnt(0)
	v_mul_hi_u32 v0, s13, v8
	s_and_not1_b32 vcc_lo, exec_lo, s29
	s_delay_alu instid0(VALU_DEP_1) | instskip(SKIP_1) | instid1(VALU_DEP_1)
	v_add_nc_u32_e32 v0, v8, v0
	s_waitcnt vmcnt(0)
	v_lshrrev_b32_e32 v2, s14, v0
	s_delay_alu instid0(VALU_DEP_1) | instskip(NEXT) | instid1(VALU_DEP_1)
	v_mul_lo_u32 v0, v2, s12
	v_sub_nc_u32_e32 v1, v8, v0
	s_delay_alu instid0(VALU_DEP_1)
	v_mul_lo_u32 v0, v1, s8
	v_mul_lo_u32 v1, v1, s9
	s_cbranch_vccnz .LBB177_950
; %bb.949:
	v_mul_hi_u32 v3, s18, v2
	s_delay_alu instid0(VALU_DEP_1) | instskip(NEXT) | instid1(VALU_DEP_1)
	v_add_nc_u32_e32 v3, v2, v3
	v_lshrrev_b32_e32 v3, s19, v3
	s_delay_alu instid0(VALU_DEP_1) | instskip(NEXT) | instid1(VALU_DEP_1)
	v_mul_lo_u32 v3, v3, s15
	v_sub_nc_u32_e32 v6, v2, v3
	s_delay_alu instid0(VALU_DEP_1) | instskip(NEXT) | instid1(VALU_DEP_1)
	v_mad_u64_u32 v[2:3], null, v6, s10, v[0:1]
	v_mad_u64_u32 v[3:4], null, v6, s11, v[1:2]
	s_delay_alu instid0(VALU_DEP_1)
	v_dual_mov_b32 v0, v2 :: v_dual_mov_b32 v1, v3
.LBB177_950:
	v_cmp_gt_i16_e32 vcc_lo, 11, v5
	s_waitcnt vmcnt(0) lgkmcnt(0)
	s_delay_alu instid0(VALU_DEP_2) | instskip(NEXT) | instid1(VALU_DEP_1)
	v_add_co_u32 v3, s2, s6, v1
	v_add_co_ci_u32_e64 v4, null, s7, 0, s2
	s_mov_b32 s6, 0
	s_cbranch_vccnz .LBB177_957
; %bb.951:
	v_cmp_lt_i16_e32 vcc_lo, 25, v5
	s_mov_b32 s3, 0
	s_cbranch_vccz .LBB177_958
; %bb.952:
	v_cmp_lt_i16_e32 vcc_lo, 28, v5
	s_cbranch_vccz .LBB177_959
; %bb.953:
	v_cmp_lt_i16_e32 vcc_lo, 43, v5
	;; [unrolled: 3-line block ×3, first 2 shown]
	s_cbranch_vccz .LBB177_963
; %bb.955:
	v_cmp_eq_u16_e32 vcc_lo, 46, v5
	s_mov_b32 s7, 0
	s_cbranch_vccz .LBB177_966
; %bb.956:
	global_load_b32 v1, v[3:4], off
	s_mov_b32 s2, 0
	s_mov_b32 s6, -1
	s_waitcnt vmcnt(0)
	v_and_b32_e32 v2, 0xffff0000, v1
	v_lshlrev_b32_e32 v1, 16, v1
	s_branch .LBB177_968
.LBB177_957:
	s_mov_b32 s7, -1
	s_mov_b32 s3, 0
	s_mov_b32 s2, s22
                                        ; implicit-def: $vgpr2
	s_branch .LBB177_1034
.LBB177_958:
	s_mov_b32 s7, -1
	s_mov_b32 s2, s22
                                        ; implicit-def: $vgpr2
	s_branch .LBB177_1001
.LBB177_959:
	s_mov_b32 s7, -1
	s_mov_b32 s2, s22
                                        ; implicit-def: $vgpr2
	s_branch .LBB177_980
.LBB177_960:
	s_mov_b32 s7, -1
	s_mov_b32 s2, s22
                                        ; implicit-def: $vgpr2
	s_branch .LBB177_974
.LBB177_961:
	s_or_saveexec_b32 s41, s41
                                        ; implicit-def: $sgpr42
	s_delay_alu instid0(SALU_CYCLE_1)
	s_xor_b32 exec_lo, exec_lo, s41
	s_cbranch_execz .LBB177_884
.LBB177_962:
	v_add_f32_e64 v6, 0x46000000, |v3|
	s_and_not1_b32 s23, s23, exec_lo
	s_mov_b32 s42, 0
	s_delay_alu instid0(VALU_DEP_1) | instskip(NEXT) | instid1(VALU_DEP_1)
	v_and_b32_e32 v6, 0xff, v6
	v_cmp_ne_u32_e32 vcc_lo, 0, v6
	s_and_b32 s43, vcc_lo, exec_lo
	s_delay_alu instid0(SALU_CYCLE_1)
	s_or_b32 s23, s23, s43
	s_or_b32 exec_lo, exec_lo, s41
	v_mov_b32_e32 v9, s42
	s_and_saveexec_b32 s41, s23
	s_cbranch_execnz .LBB177_885
	s_branch .LBB177_886
.LBB177_963:
	s_mov_b32 s7, -1
	s_mov_b32 s2, s22
	s_branch .LBB177_967
.LBB177_964:
	s_or_saveexec_b32 s41, s41
                                        ; implicit-def: $sgpr42
	s_delay_alu instid0(SALU_CYCLE_1)
	s_xor_b32 exec_lo, exec_lo, s41
	s_cbranch_execz .LBB177_897
.LBB177_965:
	v_add_f32_e64 v6, 0x42800000, |v3|
	s_and_not1_b32 s23, s23, exec_lo
	s_mov_b32 s42, 0
	s_delay_alu instid0(VALU_DEP_1) | instskip(NEXT) | instid1(VALU_DEP_1)
	v_and_b32_e32 v6, 0xff, v6
	v_cmp_ne_u32_e32 vcc_lo, 0, v6
	s_and_b32 s43, vcc_lo, exec_lo
	s_delay_alu instid0(SALU_CYCLE_1)
	s_or_b32 s23, s23, s43
	s_or_b32 exec_lo, exec_lo, s41
	v_mov_b32_e32 v9, s42
	s_and_saveexec_b32 s41, s23
	s_cbranch_execnz .LBB177_898
	s_branch .LBB177_899
.LBB177_966:
	s_mov_b32 s2, -1
.LBB177_967:
                                        ; implicit-def: $vgpr2
.LBB177_968:
	s_and_b32 vcc_lo, exec_lo, s7
	s_cbranch_vccz .LBB177_973
; %bb.969:
	v_cmp_eq_u16_e32 vcc_lo, 44, v5
	s_cbranch_vccz .LBB177_971
; %bb.970:
	global_load_u8 v1, v[3:4], off
	s_mov_b32 s2, 0
	s_mov_b32 s6, -1
	s_waitcnt vmcnt(0)
	v_lshlrev_b32_e32 v2, 23, v1
	v_cmp_ne_u32_e32 vcc_lo, 0xff, v1
	s_delay_alu instid0(VALU_DEP_2) | instskip(SKIP_1) | instid1(VALU_DEP_2)
	v_cndmask_b32_e32 v2, 0x7f800001, v2, vcc_lo
	v_cmp_ne_u32_e32 vcc_lo, 0, v1
	v_cndmask_b32_e32 v1, 0x400000, v2, vcc_lo
	s_branch .LBB177_972
.LBB177_971:
	s_mov_b32 s2, -1
                                        ; implicit-def: $vgpr1
.LBB177_972:
	s_delay_alu instid0(SALU_CYCLE_1)
	v_mov_b32_e32 v2, s2
.LBB177_973:
	s_mov_b32 s7, 0
.LBB177_974:
	s_delay_alu instid0(SALU_CYCLE_1)
	s_and_b32 vcc_lo, exec_lo, s7
	s_cbranch_vccz .LBB177_979
; %bb.975:
	v_cmp_eq_u16_e32 vcc_lo, 29, v5
	s_cbranch_vccz .LBB177_977
; %bb.976:
	global_load_b64 v[1:2], v[3:4], off
	s_mov_b32 s2, 0
	s_mov_b32 s6, -1
	s_mov_b32 s7, 0
	s_waitcnt vmcnt(0)
	v_clz_i32_u32_e32 v6, v2
	s_delay_alu instid0(VALU_DEP_1) | instskip(NEXT) | instid1(VALU_DEP_1)
	v_min_u32_e32 v6, 32, v6
	v_lshlrev_b64 v[1:2], v6, v[1:2]
	s_delay_alu instid0(VALU_DEP_1) | instskip(NEXT) | instid1(VALU_DEP_1)
	v_min_u32_e32 v1, 1, v1
	v_or_b32_e32 v1, v2, v1
	v_sub_nc_u32_e32 v2, 32, v6
	s_delay_alu instid0(VALU_DEP_2) | instskip(NEXT) | instid1(VALU_DEP_1)
	v_cvt_f32_u32_e32 v1, v1
	v_ldexp_f32 v1, v1, v2
	s_branch .LBB177_978
.LBB177_977:
	s_mov_b32 s2, -1
                                        ; implicit-def: $sgpr7
                                        ; implicit-def: $vgpr1
.LBB177_978:
	v_mov_b32_e32 v2, s7
.LBB177_979:
	s_mov_b32 s7, 0
.LBB177_980:
	s_delay_alu instid0(SALU_CYCLE_1)
	s_and_b32 vcc_lo, exec_lo, s7
	s_cbranch_vccz .LBB177_1000
; %bb.981:
	v_cmp_gt_i16_e32 vcc_lo, 27, v5
	s_cbranch_vccnz .LBB177_984
; %bb.982:
	v_cmp_lt_i16_e32 vcc_lo, 27, v5
	s_cbranch_vccz .LBB177_985
; %bb.983:
	global_load_b32 v1, v[3:4], off
	s_mov_b32 s7, 0
	s_mov_b32 s6, 0
	s_waitcnt vmcnt(0)
	v_cvt_f32_u32_e32 v1, v1
	s_branch .LBB177_986
.LBB177_984:
	s_mov_b32 s7, -1
                                        ; implicit-def: $sgpr6
                                        ; implicit-def: $vgpr1
	s_branch .LBB177_989
.LBB177_985:
	s_mov_b32 s7, -1
                                        ; implicit-def: $sgpr6
                                        ; implicit-def: $vgpr1
.LBB177_986:
	s_delay_alu instid0(SALU_CYCLE_1)
	s_and_not1_b32 vcc_lo, exec_lo, s7
	s_cbranch_vccnz .LBB177_988
; %bb.987:
	global_load_u16 v1, v[3:4], off
	s_mov_b32 s6, 0
	s_waitcnt vmcnt(0)
	v_cvt_f32_u32_e32 v1, v1
.LBB177_988:
	s_mov_b32 s7, 0
.LBB177_989:
	v_mov_b32_e32 v2, s6
	s_and_not1_b32 vcc_lo, exec_lo, s7
	s_cbranch_vccnz .LBB177_999
; %bb.990:
	global_load_u8 v6, v[3:4], off
	s_mov_b32 s6, 0
	s_mov_b32 s9, exec_lo
                                        ; implicit-def: $sgpr8
                                        ; implicit-def: $sgpr7
	s_waitcnt vmcnt(0)
	v_cmpx_lt_i16_e32 0x7f, v6
	s_xor_b32 s9, exec_lo, s9
	s_cbranch_execz .LBB177_994
; %bb.991:
	s_mov_b32 s6, -1
	s_mov_b32 s10, exec_lo
                                        ; implicit-def: $sgpr8
                                        ; implicit-def: $sgpr7
	v_cmpx_eq_u16_e32 0x80, v6
; %bb.992:
	s_mov_b32 s7, 0x7f800001
	s_mov_b32 s8, 0
	s_xor_b32 s6, exec_lo, -1
; %bb.993:
	s_or_b32 exec_lo, exec_lo, s10
	s_delay_alu instid0(SALU_CYCLE_1)
	s_and_b32 s6, s6, exec_lo
.LBB177_994:
	s_or_saveexec_b32 s9, s9
	v_dual_mov_b32 v2, s8 :: v_dual_mov_b32 v1, s7
	s_xor_b32 exec_lo, exec_lo, s9
; %bb.995:
	v_cmp_ne_u16_e32 vcc_lo, 0, v6
	v_dual_mov_b32 v2, 0 :: v_dual_mov_b32 v1, 0
	s_and_not1_b32 s6, s6, exec_lo
	s_and_b32 s7, vcc_lo, exec_lo
	s_delay_alu instid0(SALU_CYCLE_1)
	s_or_b32 s6, s6, s7
; %bb.996:
	s_or_b32 exec_lo, exec_lo, s9
	s_and_saveexec_b32 s7, s6
	s_cbranch_execz .LBB177_998
; %bb.997:
	v_and_b32_e32 v1, 0xffff, v6
	v_lshlrev_b32_e32 v6, 24, v6
	s_delay_alu instid0(VALU_DEP_2) | instskip(NEXT) | instid1(VALU_DEP_2)
	v_and_b32_e32 v2, 7, v1
	v_and_b32_e32 v6, 0x80000000, v6
	s_delay_alu instid0(VALU_DEP_2) | instskip(NEXT) | instid1(VALU_DEP_1)
	v_clz_i32_u32_e32 v8, v2
	v_min_u32_e32 v8, 32, v8
	s_delay_alu instid0(VALU_DEP_1) | instskip(SKIP_1) | instid1(VALU_DEP_2)
	v_subrev_nc_u32_e32 v9, 28, v8
	v_sub_nc_u32_e32 v8, 29, v8
	v_lshlrev_b32_e32 v9, v9, v1
	v_bfe_u32 v1, v1, 3, 4
	s_delay_alu instid0(VALU_DEP_2) | instskip(NEXT) | instid1(VALU_DEP_2)
	v_and_b32_e32 v9, 7, v9
	v_cmp_eq_u32_e32 vcc_lo, 0, v1
	s_delay_alu instid0(VALU_DEP_2) | instskip(NEXT) | instid1(VALU_DEP_1)
	v_dual_cndmask_b32 v1, v1, v8 :: v_dual_cndmask_b32 v2, v2, v9
	v_lshl_add_u32 v1, v1, 23, 0x3b800000
	s_delay_alu instid0(VALU_DEP_2) | instskip(NEXT) | instid1(VALU_DEP_1)
	v_lshlrev_b32_e32 v2, 20, v2
	v_or3_b32 v1, v6, v1, v2
	v_mov_b32_e32 v2, 0
.LBB177_998:
	s_or_b32 exec_lo, exec_lo, s7
.LBB177_999:
	s_mov_b32 s6, -1
.LBB177_1000:
	s_mov_b32 s7, 0
.LBB177_1001:
	s_delay_alu instid0(SALU_CYCLE_1)
	s_and_b32 vcc_lo, exec_lo, s7
	s_cbranch_vccz .LBB177_1033
; %bb.1002:
	v_cmp_lt_i16_e32 vcc_lo, 22, v5
	s_cbranch_vccz .LBB177_1014
; %bb.1003:
	v_cmp_gt_i16_e32 vcc_lo, 24, v5
	s_cbranch_vccnz .LBB177_1015
; %bb.1004:
	v_cmp_lt_i16_e32 vcc_lo, 24, v5
	s_cbranch_vccz .LBB177_1016
; %bb.1005:
	global_load_u8 v6, v[3:4], off
	s_mov_b32 s8, exec_lo
                                        ; implicit-def: $sgpr7
                                        ; implicit-def: $sgpr6
	s_waitcnt vmcnt(0)
	v_cmpx_lt_i16_e32 0x7f, v6
	s_xor_b32 s8, exec_lo, s8
	s_cbranch_execz .LBB177_1009
; %bb.1006:
	s_mov_b32 s3, -1
	s_mov_b32 s9, exec_lo
                                        ; implicit-def: $sgpr7
                                        ; implicit-def: $sgpr6
	v_cmpx_eq_u16_e32 0x80, v6
; %bb.1007:
	s_mov_b32 s6, 0x7f800001
	s_mov_b32 s7, 0
	s_xor_b32 s3, exec_lo, -1
; %bb.1008:
	s_or_b32 exec_lo, exec_lo, s9
	s_delay_alu instid0(SALU_CYCLE_1)
	s_and_b32 s3, s3, exec_lo
.LBB177_1009:
	s_or_saveexec_b32 s8, s8
	v_dual_mov_b32 v2, s7 :: v_dual_mov_b32 v1, s6
	s_xor_b32 exec_lo, exec_lo, s8
; %bb.1010:
	v_cmp_ne_u16_e32 vcc_lo, 0, v6
	v_dual_mov_b32 v2, 0 :: v_dual_mov_b32 v1, 0
	s_and_not1_b32 s3, s3, exec_lo
	s_and_b32 s6, vcc_lo, exec_lo
	s_delay_alu instid0(SALU_CYCLE_1)
	s_or_b32 s3, s3, s6
; %bb.1011:
	s_or_b32 exec_lo, exec_lo, s8
	s_and_saveexec_b32 s6, s3
	s_cbranch_execz .LBB177_1013
; %bb.1012:
	v_and_b32_e32 v1, 0xffff, v6
	v_lshlrev_b32_e32 v6, 24, v6
	s_delay_alu instid0(VALU_DEP_2) | instskip(NEXT) | instid1(VALU_DEP_2)
	v_and_b32_e32 v2, 3, v1
	v_and_b32_e32 v6, 0x80000000, v6
	s_delay_alu instid0(VALU_DEP_2) | instskip(NEXT) | instid1(VALU_DEP_1)
	v_clz_i32_u32_e32 v8, v2
	v_min_u32_e32 v8, 32, v8
	s_delay_alu instid0(VALU_DEP_1) | instskip(SKIP_1) | instid1(VALU_DEP_2)
	v_subrev_nc_u32_e32 v9, 29, v8
	v_sub_nc_u32_e32 v8, 30, v8
	v_lshlrev_b32_e32 v9, v9, v1
	v_bfe_u32 v1, v1, 2, 5
	s_delay_alu instid0(VALU_DEP_2) | instskip(NEXT) | instid1(VALU_DEP_2)
	v_and_b32_e32 v9, 3, v9
	v_cmp_eq_u32_e32 vcc_lo, 0, v1
	s_delay_alu instid0(VALU_DEP_2) | instskip(NEXT) | instid1(VALU_DEP_1)
	v_dual_cndmask_b32 v1, v1, v8 :: v_dual_cndmask_b32 v2, v2, v9
	v_lshl_add_u32 v1, v1, 23, 0x37800000
	s_delay_alu instid0(VALU_DEP_2) | instskip(NEXT) | instid1(VALU_DEP_1)
	v_lshlrev_b32_e32 v2, 21, v2
	v_or3_b32 v1, v6, v1, v2
	v_mov_b32_e32 v2, 0
.LBB177_1013:
	s_or_b32 exec_lo, exec_lo, s6
	s_mov_b32 s3, 0
	s_branch .LBB177_1017
.LBB177_1014:
	s_mov_b32 s3, -1
                                        ; implicit-def: $vgpr2
	s_branch .LBB177_1023
.LBB177_1015:
	s_mov_b32 s3, -1
                                        ; implicit-def: $vgpr2
	s_branch .LBB177_1020
.LBB177_1016:
	s_mov_b32 s3, -1
                                        ; implicit-def: $vgpr2
.LBB177_1017:
	s_delay_alu instid0(SALU_CYCLE_1)
	s_and_b32 vcc_lo, exec_lo, s3
	s_cbranch_vccz .LBB177_1019
; %bb.1018:
	global_load_u8 v1, v[3:4], off
	s_waitcnt vmcnt(0)
	v_lshlrev_b32_e32 v1, 24, v1
	s_delay_alu instid0(VALU_DEP_1) | instskip(NEXT) | instid1(VALU_DEP_1)
	v_and_b32_e32 v2, 0x7f000000, v1
	v_clz_i32_u32_e32 v6, v2
	v_add_nc_u32_e32 v9, 0x1000000, v2
	v_cmp_ne_u32_e32 vcc_lo, 0, v2
	s_delay_alu instid0(VALU_DEP_3) | instskip(NEXT) | instid1(VALU_DEP_1)
	v_min_u32_e32 v6, 32, v6
	v_sub_nc_u32_e64 v6, v6, 4 clamp
	s_delay_alu instid0(VALU_DEP_1) | instskip(SKIP_1) | instid1(VALU_DEP_2)
	v_lshlrev_b32_e32 v8, v6, v2
	v_lshlrev_b32_e32 v6, 23, v6
	v_lshrrev_b32_e32 v8, 4, v8
	s_delay_alu instid0(VALU_DEP_1) | instskip(SKIP_1) | instid1(VALU_DEP_2)
	v_sub_nc_u32_e32 v6, v8, v6
	v_ashrrev_i32_e32 v8, 8, v9
	v_add_nc_u32_e32 v6, 0x3c000000, v6
	s_delay_alu instid0(VALU_DEP_1) | instskip(NEXT) | instid1(VALU_DEP_1)
	v_and_or_b32 v6, 0x7f800000, v8, v6
	v_cndmask_b32_e32 v2, 0, v6, vcc_lo
	s_delay_alu instid0(VALU_DEP_1)
	v_and_or_b32 v1, 0x80000000, v1, v2
	v_mov_b32_e32 v2, 0
.LBB177_1019:
	s_mov_b32 s3, 0
.LBB177_1020:
	s_delay_alu instid0(SALU_CYCLE_1)
	s_and_not1_b32 vcc_lo, exec_lo, s3
	s_cbranch_vccnz .LBB177_1022
; %bb.1021:
	global_load_u8 v1, v[3:4], off
	s_waitcnt vmcnt(0)
	v_lshlrev_b32_e32 v2, 25, v1
	v_lshlrev_b16 v1, 8, v1
	s_delay_alu instid0(VALU_DEP_2) | instskip(NEXT) | instid1(VALU_DEP_2)
	v_lshrrev_b32_e32 v6, 4, v2
	v_and_or_b32 v8, 0x7f00, v1, 0.5
	v_cmp_gt_u32_e32 vcc_lo, 0x8000000, v2
	v_bfe_i32 v1, v1, 0, 16
	s_delay_alu instid0(VALU_DEP_4) | instskip(NEXT) | instid1(VALU_DEP_4)
	v_or_b32_e32 v6, 0x70000000, v6
	v_add_f32_e32 v8, -0.5, v8
	s_delay_alu instid0(VALU_DEP_2) | instskip(NEXT) | instid1(VALU_DEP_1)
	v_mul_f32_e32 v6, 0x7800000, v6
	v_cndmask_b32_e32 v2, v6, v8, vcc_lo
	s_delay_alu instid0(VALU_DEP_1)
	v_and_or_b32 v1, 0x80000000, v1, v2
	v_mov_b32_e32 v2, 0
.LBB177_1022:
	s_mov_b32 s3, 0
	s_mov_b32 s6, -1
.LBB177_1023:
	s_and_not1_b32 vcc_lo, exec_lo, s3
	s_mov_b32 s3, 0
	s_cbranch_vccnz .LBB177_1033
; %bb.1024:
	v_cmp_lt_i16_e32 vcc_lo, 14, v5
	s_cbranch_vccz .LBB177_1027
; %bb.1025:
	v_cmp_eq_u16_e32 vcc_lo, 15, v5
	s_cbranch_vccz .LBB177_1028
; %bb.1026:
	global_load_u16 v1, v[3:4], off
	s_mov_b32 s2, 0
	s_mov_b32 s6, -1
	s_mov_b32 s7, 0
	s_waitcnt vmcnt(0)
	v_lshlrev_b32_e32 v1, 16, v1
	s_branch .LBB177_1030
.LBB177_1027:
	s_mov_b32 s3, -1
	s_branch .LBB177_1029
.LBB177_1028:
	s_mov_b32 s2, -1
.LBB177_1029:
                                        ; implicit-def: $sgpr7
                                        ; implicit-def: $vgpr1
.LBB177_1030:
	s_and_b32 vcc_lo, exec_lo, s3
	s_mov_b32 s3, 0
	s_cbranch_vccz .LBB177_1032
; %bb.1031:
	v_cmp_ne_u16_e32 vcc_lo, 11, v5
	s_and_not1_b32 s2, s2, exec_lo
	s_mov_b32 s3, -1
                                        ; implicit-def: $vgpr1
	s_and_b32 s7, vcc_lo, exec_lo
	s_delay_alu instid0(SALU_CYCLE_1)
	s_or_b32 s2, s2, s7
                                        ; implicit-def: $sgpr7
.LBB177_1032:
	v_mov_b32_e32 v2, s7
.LBB177_1033:
	s_mov_b32 s7, 0
.LBB177_1034:
	s_and_b32 s41, s6, exec_lo
	s_and_b32 s42, s7, exec_lo
	s_and_not1_b32 s6, s22, exec_lo
	s_and_b32 s7, s2, exec_lo
	s_and_b32 s2, s3, exec_lo
	s_or_b32 s43, s6, s7
.LBB177_1035:
	s_or_b32 exec_lo, exec_lo, s30
	s_waitcnt lgkmcnt(0)
	s_and_not1_b32 s6, s22, exec_lo
	s_and_b32 s7, s43, exec_lo
	s_and_b32 s41, s41, exec_lo
	;; [unrolled: 1-line block ×4, first 2 shown]
	s_or_b32 s22, s6, s7
.LBB177_1036:
	s_or_b32 exec_lo, exec_lo, s40
	s_waitcnt lgkmcnt(0)
	s_and_not1_b32 s6, s38, exec_lo
	s_and_b32 s7, s23, exec_lo
	s_and_b32 s40, s41, exec_lo
	s_or_b32 s38, s6, s7
	s_and_not1_b32 s6, s37, exec_lo
	s_and_b32 s7, s22, exec_lo
	s_and_b32 s23, s3, exec_lo
	;; [unrolled: 1-line block ×3, first 2 shown]
	s_or_b32 s37, s6, s7
.LBB177_1037:
	s_or_b32 exec_lo, exec_lo, s39
	s_delay_alu instid0(SALU_CYCLE_1)
	s_and_not1_b32 s2, s34, exec_lo
	s_waitcnt lgkmcnt(0)
	s_and_b32 s6, s38, exec_lo
	s_and_b32 s7, s37, exec_lo
	s_or_b32 s34, s2, s6
	s_and_not1_b32 s6, s35, exec_lo
	s_and_b32 s2, s40, exec_lo
	s_and_b32 s22, s23, exec_lo
	;; [unrolled: 1-line block ×3, first 2 shown]
	s_or_b32 s35, s6, s7
.LBB177_1038:
	s_or_b32 exec_lo, exec_lo, s36
	s_waitcnt lgkmcnt(0)
	s_mov_b32 s6, 0
	s_and_saveexec_b32 s3, s35
	s_cbranch_execnz .LBB177_1050
; %bb.1039:
	s_or_b32 exec_lo, exec_lo, s3
	s_and_saveexec_b32 s3, s37
	s_delay_alu instid0(SALU_CYCLE_1)
	s_xor_b32 s3, exec_lo, s3
	s_cbranch_execz .LBB177_1041
.LBB177_1040:
	global_load_u8 v1, v[3:4], off
	s_waitcnt vmcnt(1)
	v_mov_b32_e32 v2, 0
	s_or_b32 s2, s2, exec_lo
	s_waitcnt vmcnt(0)
	v_cmp_ne_u16_e32 vcc_lo, 0, v1
	v_cndmask_b32_e64 v1, 0, 1.0, vcc_lo
.LBB177_1041:
	s_or_b32 exec_lo, exec_lo, s3
	s_and_saveexec_b32 s3, s22
	s_cbranch_execz .LBB177_1091
; %bb.1042:
	v_cmp_gt_i16_e32 vcc_lo, 5, v5
	s_cbranch_vccnz .LBB177_1047
; %bb.1043:
	v_cmp_gt_i16_e32 vcc_lo, 8, v5
	s_cbranch_vccnz .LBB177_1048
	;; [unrolled: 3-line block ×3, first 2 shown]
; %bb.1045:
	v_cmp_lt_i16_e32 vcc_lo, 9, v5
	s_cbranch_vccz .LBB177_1052
; %bb.1046:
	global_load_b128 v[8:11], v[3:4], off
	s_mov_b32 s7, 0
	s_waitcnt vmcnt(0)
	v_cvt_f32_f64_e32 v1, v[8:9]
	v_cvt_f32_f64_e32 v2, v[10:11]
	s_branch .LBB177_1053
.LBB177_1047:
                                        ; implicit-def: $vgpr2
	s_branch .LBB177_1071
.LBB177_1048:
                                        ; implicit-def: $vgpr2
	s_branch .LBB177_1059
.LBB177_1049:
	s_mov_b32 s7, -1
                                        ; implicit-def: $vgpr2
	s_branch .LBB177_1056
.LBB177_1050:
	s_cbranch_execnz .LBB177_1362
; %bb.1051:
	s_mov_b32 s6, exec_lo
	s_and_not1_b32 s37, s37, exec_lo
                                        ; implicit-def: $vgpr2
	s_or_b32 exec_lo, exec_lo, s3
	s_and_saveexec_b32 s3, s37
	s_delay_alu instid0(SALU_CYCLE_1)
	s_xor_b32 s3, exec_lo, s3
	s_cbranch_execnz .LBB177_1040
	s_branch .LBB177_1041
.LBB177_1052:
	s_mov_b32 s7, -1
                                        ; implicit-def: $vgpr2
.LBB177_1053:
	s_delay_alu instid0(SALU_CYCLE_1)
	s_and_not1_b32 vcc_lo, exec_lo, s7
	s_cbranch_vccnz .LBB177_1055
; %bb.1054:
	global_load_b64 v[1:2], v[3:4], off
.LBB177_1055:
	s_mov_b32 s7, 0
.LBB177_1056:
	s_delay_alu instid0(SALU_CYCLE_1)
	s_and_not1_b32 vcc_lo, exec_lo, s7
	s_cbranch_vccnz .LBB177_1058
; %bb.1057:
	global_load_b32 v1, v[3:4], off
	s_waitcnt vmcnt(0)
	v_lshrrev_b32_e32 v2, 16, v1
	v_cvt_f32_f16_e32 v1, v1
	s_delay_alu instid0(VALU_DEP_2)
	v_cvt_f32_f16_e32 v2, v2
.LBB177_1058:
	s_cbranch_execnz .LBB177_1070
.LBB177_1059:
	v_cmp_gt_i16_e32 vcc_lo, 6, v5
	s_cbranch_vccnz .LBB177_1062
; %bb.1060:
	v_cmp_lt_i16_e32 vcc_lo, 6, v5
	s_cbranch_vccz .LBB177_1063
; %bb.1061:
	global_load_b64 v[1:2], v[3:4], off
	s_mov_b32 s8, 0
	s_mov_b32 s7, 0
	s_waitcnt vmcnt(0)
	v_cvt_f32_f64_e32 v1, v[1:2]
	s_branch .LBB177_1064
.LBB177_1062:
	s_mov_b32 s8, -1
                                        ; implicit-def: $sgpr7
                                        ; implicit-def: $vgpr1
	s_branch .LBB177_1067
.LBB177_1063:
	s_mov_b32 s8, -1
                                        ; implicit-def: $sgpr7
                                        ; implicit-def: $vgpr1
.LBB177_1064:
	s_delay_alu instid0(SALU_CYCLE_1)
	s_and_not1_b32 vcc_lo, exec_lo, s8
	s_cbranch_vccnz .LBB177_1066
; %bb.1065:
	global_load_b32 v1, v[3:4], off
	s_mov_b32 s7, 0
.LBB177_1066:
	s_mov_b32 s8, 0
.LBB177_1067:
	s_delay_alu instid0(SALU_CYCLE_1)
	s_and_not1_b32 vcc_lo, exec_lo, s8
	s_cbranch_vccnz .LBB177_1069
; %bb.1068:
	global_load_u16 v1, v[3:4], off
	s_mov_b32 s7, 0
	s_waitcnt vmcnt(0)
	v_cvt_f32_f16_e32 v1, v1
.LBB177_1069:
	s_waitcnt vmcnt(0)
	v_mov_b32_e32 v2, s7
.LBB177_1070:
	s_cbranch_execnz .LBB177_1090
.LBB177_1071:
	v_cmp_gt_i16_e32 vcc_lo, 2, v5
	s_cbranch_vccnz .LBB177_1075
; %bb.1072:
	v_cmp_gt_i16_e32 vcc_lo, 3, v5
	s_cbranch_vccnz .LBB177_1076
; %bb.1073:
	v_cmp_lt_i16_e32 vcc_lo, 3, v5
	s_cbranch_vccz .LBB177_1077
; %bb.1074:
	global_load_b64 v[1:2], v[3:4], off
	s_mov_b32 s8, 0
	s_mov_b32 s7, 0
	s_waitcnt vmcnt(0)
	v_xor_b32_e32 v6, v1, v2
	v_cls_i32_e32 v8, v2
	s_delay_alu instid0(VALU_DEP_2) | instskip(NEXT) | instid1(VALU_DEP_2)
	v_ashrrev_i32_e32 v6, 31, v6
	v_add_nc_u32_e32 v8, -1, v8
	s_delay_alu instid0(VALU_DEP_2) | instskip(NEXT) | instid1(VALU_DEP_1)
	v_add_nc_u32_e32 v6, 32, v6
	v_min_u32_e32 v6, v8, v6
	s_delay_alu instid0(VALU_DEP_1) | instskip(NEXT) | instid1(VALU_DEP_1)
	v_lshlrev_b64 v[1:2], v6, v[1:2]
	v_min_u32_e32 v1, 1, v1
	s_delay_alu instid0(VALU_DEP_1) | instskip(SKIP_1) | instid1(VALU_DEP_2)
	v_or_b32_e32 v1, v2, v1
	v_sub_nc_u32_e32 v2, 32, v6
	v_cvt_f32_i32_e32 v1, v1
	s_delay_alu instid0(VALU_DEP_1)
	v_ldexp_f32 v1, v1, v2
	s_branch .LBB177_1078
.LBB177_1075:
                                        ; implicit-def: $sgpr7
                                        ; implicit-def: $vgpr1
	s_branch .LBB177_1084
.LBB177_1076:
	s_mov_b32 s8, -1
                                        ; implicit-def: $sgpr7
                                        ; implicit-def: $vgpr1
	s_branch .LBB177_1081
.LBB177_1077:
	s_mov_b32 s8, -1
                                        ; implicit-def: $sgpr7
                                        ; implicit-def: $vgpr1
.LBB177_1078:
	s_delay_alu instid0(SALU_CYCLE_1)
	s_and_not1_b32 vcc_lo, exec_lo, s8
	s_cbranch_vccnz .LBB177_1080
; %bb.1079:
	global_load_b32 v1, v[3:4], off
	s_mov_b32 s7, 0
	s_waitcnt vmcnt(0)
	v_cvt_f32_i32_e32 v1, v1
.LBB177_1080:
	s_mov_b32 s8, 0
.LBB177_1081:
	s_delay_alu instid0(SALU_CYCLE_1)
	s_and_not1_b32 vcc_lo, exec_lo, s8
	s_cbranch_vccnz .LBB177_1083
; %bb.1082:
	global_load_i16 v1, v[3:4], off
	s_mov_b32 s7, 0
	s_waitcnt vmcnt(0)
	v_cvt_f32_i32_e32 v1, v1
.LBB177_1083:
	s_cbranch_execnz .LBB177_1089
.LBB177_1084:
	v_cmp_lt_i16_e32 vcc_lo, 0, v5
	s_mov_b32 s8, 0
	s_cbranch_vccz .LBB177_1086
; %bb.1085:
	global_load_i8 v1, v[3:4], off
	s_mov_b32 s7, 0
	s_waitcnt vmcnt(0)
	v_cvt_f32_i32_e32 v1, v1
	s_branch .LBB177_1087
.LBB177_1086:
	s_mov_b32 s8, -1
                                        ; implicit-def: $sgpr7
                                        ; implicit-def: $vgpr1
.LBB177_1087:
	s_delay_alu instid0(SALU_CYCLE_1)
	s_and_not1_b32 vcc_lo, exec_lo, s8
	s_cbranch_vccnz .LBB177_1089
; %bb.1088:
	global_load_u8 v1, v[3:4], off
	s_mov_b32 s7, 0
	s_waitcnt vmcnt(0)
	v_cvt_f32_ubyte0_e32 v1, v1
.LBB177_1089:
	s_waitcnt vmcnt(0)
	v_mov_b32_e32 v2, s7
.LBB177_1090:
	s_or_b32 s2, s2, exec_lo
.LBB177_1091:
	s_or_b32 exec_lo, exec_lo, s3
	s_mov_b32 s8, 0
	s_mov_b32 s3, 0
                                        ; implicit-def: $vgpr8
                                        ; implicit-def: $vgpr5_vgpr6
                                        ; implicit-def: $vgpr4
	s_and_saveexec_b32 s7, s2
	s_cbranch_execz .LBB177_1206
; %bb.1092:
	s_waitcnt vmcnt(0)
	s_delay_alu instid0(VALU_DEP_1) | instskip(NEXT) | instid1(VALU_DEP_2)
	v_cmp_neq_f32_e32 vcc_lo, 0, v1
	v_cmp_neq_f32_e64 s2, 0, v2
	v_mov_b32_e32 v5, 0
	s_delay_alu instid0(VALU_DEP_2) | instskip(NEXT) | instid1(SALU_CYCLE_1)
	s_or_b32 s2, vcc_lo, s2
	s_and_saveexec_b32 s8, s2
	s_cbranch_execz .LBB177_1122
; %bb.1093:
	v_mov_b32_e32 v5, 0x7f800000
	s_mov_b32 s9, exec_lo
	v_cmpx_neq_f32_e64 0x7f800000, |v2|
	s_cbranch_execz .LBB177_1121
; %bb.1094:
	s_mov_b32 s2, exec_lo
	v_cmpx_o_f32_e32 v1, v1
	s_xor_b32 s10, exec_lo, s2
	s_cbranch_execz .LBB177_1118
; %bb.1095:
	s_mov_b32 s3, exec_lo
	v_cmpx_neq_f32_e64 0x7f800000, |v1|
	s_xor_b32 s11, exec_lo, s3
	s_cbranch_execz .LBB177_1111
; %bb.1096:
	v_max_f32_e64 v3, |v2|, |v2|
	v_max_f32_e64 v4, |v1|, |v1|
                                        ; implicit-def: $sgpr12
	s_delay_alu instid0(VALU_DEP_1) | instskip(NEXT) | instid1(VALU_DEP_1)
	v_max_f32_e32 v3, v4, v3
	v_cmp_nle_f32_e64 s2, 0x7ed413cb, v3
	s_delay_alu instid0(VALU_DEP_1) | instskip(NEXT) | instid1(SALU_CYCLE_1)
	s_and_saveexec_b32 s3, s2
	s_xor_b32 s3, exec_lo, s3
	s_cbranch_execz .LBB177_1100
; %bb.1097:
	v_cmp_ge_f32_e64 s12, 0x1000000, |v1|
	v_cmp_ge_f32_e64 s13, 0x1000000, |v2|
	s_delay_alu instid0(VALU_DEP_1)
	s_and_b32 s14, s12, s13
	s_mov_b32 s12, 0
	s_and_saveexec_b32 s13, s14
; %bb.1098:
	v_dual_mul_f32 v2, 4.0, v2 :: v_dual_mul_f32 v1, 4.0, v1
	s_mov_b32 s12, exec_lo
; %bb.1099:
	s_or_b32 exec_lo, exec_lo, s13
	s_delay_alu instid0(SALU_CYCLE_1)
	s_and_b32 s12, s12, exec_lo
.LBB177_1100:
	s_and_not1_saveexec_b32 s3, s3
; %bb.1101:
	v_dual_mul_f32 v1, 0x3e800000, v1 :: v_dual_mul_f32 v2, 0x3e800000, v2
	s_and_not1_b32 s12, s12, exec_lo
; %bb.1102:
	s_or_b32 exec_lo, exec_lo, s3
	s_delay_alu instid0(VALU_DEP_1) | instskip(NEXT) | instid1(VALU_DEP_2)
	v_max_f32_e64 v3, |v2|, |v2|
	v_max_f32_e64 v4, |v1|, |v1|
	s_delay_alu instid0(VALU_DEP_1) | instskip(NEXT) | instid1(VALU_DEP_1)
	v_max_f32_e32 v5, v4, v3
	v_cvt_f64_f32_e32 v[3:4], v5
	s_delay_alu instid0(VALU_DEP_1) | instskip(NEXT) | instid1(VALU_DEP_1)
	v_frexp_exp_i32_f64_e32 v3, v[3:4]
	v_sub_nc_u32_e32 v4, 0, v3
	s_delay_alu instid0(VALU_DEP_1) | instskip(SKIP_1) | instid1(VALU_DEP_2)
	v_ldexp_f32 v6, |v2|, v4
	v_ldexp_f32 v4, |v1|, v4
	v_mul_f32_e32 v6, v6, v6
	v_cmp_neq_f32_e64 s3, 0x7f800000, v5
	s_delay_alu instid0(VALU_DEP_2) | instskip(NEXT) | instid1(VALU_DEP_1)
	v_fmac_f32_e32 v6, v4, v4
	v_sqrt_f32_e32 v4, v6
	s_waitcnt_depctr 0xfff
	v_ldexp_f32 v3, v4, v3
                                        ; implicit-def: $vgpr4
	s_delay_alu instid0(VALU_DEP_1)
	v_cndmask_b32_e64 v5, 0x7f800000, v3, s3
                                        ; implicit-def: $vgpr3
	s_mov_b32 s3, exec_lo
	v_cmpx_le_f32_e32 0, v1
	s_xor_b32 s13, exec_lo, s3
	s_cbranch_execz .LBB177_1104
; %bb.1103:
	v_add_f32_e32 v1, v1, v5
	s_delay_alu instid0(VALU_DEP_1) | instskip(NEXT) | instid1(VALU_DEP_1)
	v_mul_f32_e32 v1, 0.5, v1
	v_mul_f32_e32 v3, 0x4f800000, v1
	v_cmp_gt_f32_e32 vcc_lo, 0xf800000, v1
	s_delay_alu instid0(VALU_DEP_2) | instskip(NEXT) | instid1(VALU_DEP_1)
	v_cndmask_b32_e32 v1, v1, v3, vcc_lo
	v_sqrt_f32_e32 v3, v1
	s_waitcnt_depctr 0xfff
	v_add_nc_u32_e32 v4, -1, v3
	v_add_nc_u32_e32 v5, 1, v3
	s_delay_alu instid0(VALU_DEP_2) | instskip(NEXT) | instid1(VALU_DEP_2)
	v_fma_f32 v6, -v4, v3, v1
	v_fma_f32 v8, -v5, v3, v1
	s_delay_alu instid0(VALU_DEP_2) | instskip(NEXT) | instid1(VALU_DEP_1)
	v_cmp_ge_f32_e64 s3, 0, v6
	v_cndmask_b32_e64 v3, v3, v4, s3
	s_delay_alu instid0(VALU_DEP_3) | instskip(NEXT) | instid1(VALU_DEP_1)
	v_cmp_lt_f32_e64 s3, 0, v8
	v_cndmask_b32_e64 v3, v3, v5, s3
	s_delay_alu instid0(VALU_DEP_1) | instskip(NEXT) | instid1(VALU_DEP_1)
	v_mul_f32_e32 v4, 0x37800000, v3
	v_cndmask_b32_e32 v3, v3, v4, vcc_lo
	v_cmp_class_f32_e64 vcc_lo, v1, 0x260
	s_delay_alu instid0(VALU_DEP_2) | instskip(NEXT) | instid1(VALU_DEP_1)
	v_cndmask_b32_e32 v3, v3, v1, vcc_lo
	v_add_f32_e32 v1, v3, v3
	s_delay_alu instid0(VALU_DEP_1) | instskip(NEXT) | instid1(VALU_DEP_1)
	v_div_scale_f32 v4, null, v1, v1, v2
	v_rcp_f32_e32 v5, v4
	s_waitcnt_depctr 0xfff
	v_fma_f32 v6, -v4, v5, 1.0
	s_delay_alu instid0(VALU_DEP_1) | instskip(SKIP_1) | instid1(VALU_DEP_1)
	v_fmac_f32_e32 v5, v6, v5
	v_div_scale_f32 v6, vcc_lo, v2, v1, v2
	v_mul_f32_e32 v8, v6, v5
	s_delay_alu instid0(VALU_DEP_1) | instskip(NEXT) | instid1(VALU_DEP_1)
	v_fma_f32 v9, -v4, v8, v6
	v_fmac_f32_e32 v8, v9, v5
	s_delay_alu instid0(VALU_DEP_1) | instskip(NEXT) | instid1(VALU_DEP_1)
	v_fma_f32 v4, -v4, v8, v6
	v_div_fmas_f32 v4, v4, v5, v8
                                        ; implicit-def: $vgpr5
	s_delay_alu instid0(VALU_DEP_1)
	v_div_fixup_f32 v4, v4, v1, v2
                                        ; implicit-def: $vgpr1
	s_and_not1_saveexec_b32 s13, s13
	s_cbranch_execz .LBB177_1106
	s_branch .LBB177_1105
.LBB177_1104:
	s_and_not1_saveexec_b32 s13, s13
	s_cbranch_execz .LBB177_1106
.LBB177_1105:
	v_sub_f32_e32 v1, v5, v1
	s_delay_alu instid0(VALU_DEP_1) | instskip(NEXT) | instid1(VALU_DEP_1)
	v_mul_f32_e32 v1, 0.5, v1
	v_mul_f32_e32 v3, 0x4f800000, v1
	v_cmp_gt_f32_e32 vcc_lo, 0xf800000, v1
	s_delay_alu instid0(VALU_DEP_2) | instskip(NEXT) | instid1(VALU_DEP_1)
	v_cndmask_b32_e32 v1, v1, v3, vcc_lo
	v_sqrt_f32_e32 v3, v1
	s_waitcnt_depctr 0xfff
	v_add_nc_u32_e32 v4, -1, v3
	v_add_nc_u32_e32 v5, 1, v3
	s_delay_alu instid0(VALU_DEP_2) | instskip(NEXT) | instid1(VALU_DEP_2)
	v_fma_f32 v6, -v4, v3, v1
	v_fma_f32 v8, -v5, v3, v1
	s_delay_alu instid0(VALU_DEP_2) | instskip(NEXT) | instid1(VALU_DEP_1)
	v_cmp_ge_f32_e64 s3, 0, v6
	v_cndmask_b32_e64 v3, v3, v4, s3
	s_delay_alu instid0(VALU_DEP_3) | instskip(NEXT) | instid1(VALU_DEP_1)
	v_cmp_lt_f32_e64 s3, 0, v8
	v_cndmask_b32_e64 v3, v3, v5, s3
	s_delay_alu instid0(VALU_DEP_1) | instskip(NEXT) | instid1(VALU_DEP_1)
	v_mul_f32_e32 v4, 0x37800000, v3
	v_cndmask_b32_e32 v3, v3, v4, vcc_lo
	v_cmp_class_f32_e64 vcc_lo, v1, 0x260
	s_delay_alu instid0(VALU_DEP_2) | instskip(NEXT) | instid1(VALU_DEP_1)
	v_cndmask_b32_e32 v1, v3, v1, vcc_lo
	v_dual_add_f32 v4, v1, v1 :: v_dual_and_b32 v3, 0x7fffffff, v2
	s_delay_alu instid0(VALU_DEP_1) | instskip(SKIP_1) | instid1(VALU_DEP_2)
	v_div_scale_f32 v5, null, v4, v4, v3
	v_div_scale_f32 v3, vcc_lo, v3, v4, v3
	v_rcp_f32_e32 v6, v5
	s_waitcnt_depctr 0xfff
	v_fma_f32 v8, -v5, v6, 1.0
	s_delay_alu instid0(VALU_DEP_1) | instskip(NEXT) | instid1(VALU_DEP_1)
	v_fmac_f32_e32 v6, v8, v6
	v_mul_f32_e32 v8, v3, v6
	s_delay_alu instid0(VALU_DEP_1) | instskip(NEXT) | instid1(VALU_DEP_1)
	v_fma_f32 v9, -v5, v8, v3
	v_fmac_f32_e32 v8, v9, v6
	s_delay_alu instid0(VALU_DEP_1) | instskip(NEXT) | instid1(VALU_DEP_1)
	v_fma_f32 v3, -v5, v8, v3
	v_div_fmas_f32 v3, v3, v6, v8
	s_delay_alu instid0(VALU_DEP_1)
	v_div_fixup_f32 v3, v3, v4, |v2|
	v_bfi_b32 v4, 0x7fffffff, v1, v2
.LBB177_1106:
	s_or_b32 exec_lo, exec_lo, s13
                                        ; implicit-def: $vgpr2
	s_and_saveexec_b32 s3, s2
	s_delay_alu instid0(SALU_CYCLE_1)
	s_xor_b32 s2, exec_lo, s3
	s_cbranch_execz .LBB177_1108
; %bb.1107:
	v_dual_mul_f32 v1, 0.5, v3 :: v_dual_mul_f32 v2, 0.5, v4
	s_delay_alu instid0(VALU_DEP_1) | instskip(NEXT) | instid1(VALU_DEP_2)
	v_cndmask_b32_e64 v1, v3, v1, s12
	v_cndmask_b32_e64 v2, v4, v2, s12
                                        ; implicit-def: $vgpr3
                                        ; implicit-def: $vgpr4
	s_and_not1_saveexec_b32 s2, s2
	s_cbranch_execnz .LBB177_1109
	s_branch .LBB177_1110
.LBB177_1108:
	s_and_not1_saveexec_b32 s2, s2
.LBB177_1109:
	v_dual_add_f32 v1, v3, v3 :: v_dual_add_f32 v2, v4, v4
.LBB177_1110:
	s_or_b32 exec_lo, exec_lo, s2
.LBB177_1111:
	s_and_not1_saveexec_b32 s2, s11
	s_cbranch_execz .LBB177_1117
; %bb.1112:
	s_delay_alu instid0(VALU_DEP_1)
	v_sub_f32_e32 v3, v2, v2
	s_mov_b32 s3, exec_lo
	v_cmpx_lt_i32_e32 -1, v1
	s_xor_b32 s3, exec_lo, s3
; %bb.1113:
	s_delay_alu instid0(VALU_DEP_2)
	v_bfi_b32 v2, 0x7fffffff, v3, v2
                                        ; implicit-def: $vgpr3
; %bb.1114:
	s_and_not1_saveexec_b32 s3, s3
; %bb.1115:
	v_and_b32_e32 v3, 0x7fffffff, v3
	s_delay_alu instid0(VALU_DEP_2) | instskip(NEXT) | instid1(VALU_DEP_2)
	v_bfi_b32 v2, 0x7fffffff, v1, v2
	v_mov_b32_e32 v1, v3
; %bb.1116:
	s_or_b32 exec_lo, exec_lo, s3
.LBB177_1117:
	s_delay_alu instid0(SALU_CYCLE_1)
	s_or_b32 exec_lo, exec_lo, s2
.LBB177_1118:
	s_and_not1_saveexec_b32 s2, s10
; %bb.1119:
	v_sub_f32_e32 v2, v2, v2
	s_delay_alu instid0(VALU_DEP_1) | instskip(NEXT) | instid1(VALU_DEP_1)
	v_div_scale_f32 v3, vcc_lo, v2, v2, v2
	v_rcp_f32_e32 v4, v3
	s_waitcnt_depctr 0xfff
	v_fma_f32 v5, -v3, v4, 1.0
	s_delay_alu instid0(VALU_DEP_1) | instskip(NEXT) | instid1(VALU_DEP_1)
	v_fmac_f32_e32 v4, v5, v4
	v_mul_f32_e32 v5, v3, v4
	s_delay_alu instid0(VALU_DEP_1) | instskip(NEXT) | instid1(VALU_DEP_1)
	v_fma_f32 v6, -v3, v5, v3
	v_fmac_f32_e32 v5, v6, v4
	s_delay_alu instid0(VALU_DEP_1) | instskip(NEXT) | instid1(VALU_DEP_1)
	v_fma_f32 v3, -v3, v5, v3
	v_div_fmas_f32 v3, v3, v4, v5
	s_delay_alu instid0(VALU_DEP_1)
	v_div_fixup_f32 v2, v3, v2, v2
; %bb.1120:
	s_or_b32 exec_lo, exec_lo, s2
	v_mov_b32_e32 v5, v1
.LBB177_1121:
	s_or_b32 exec_lo, exec_lo, s9
.LBB177_1122:
	s_delay_alu instid0(SALU_CYCLE_1) | instskip(NEXT) | instid1(VALU_DEP_1)
	s_or_b32 exec_lo, exec_lo, s8
	v_cmp_gt_f32_e32 vcc_lo, 0, v5
                                        ; implicit-def: $vgpr4
	s_mov_b32 s2, exec_lo
	v_cndmask_b32_e64 v1, v5, -v5, vcc_lo
	v_cmp_gt_f32_e32 vcc_lo, 0, v2
	v_cndmask_b32_e64 v6, v2, -v2, vcc_lo
	s_delay_alu instid0(VALU_DEP_1)
	v_cmpx_ge_f32_e32 v1, v6
	s_xor_b32 s3, exec_lo, s2
	s_cbranch_execz .LBB177_1128
; %bb.1123:
	v_cmp_neq_f32_e32 vcc_lo, 0, v5
	v_cmp_neq_f32_e64 s2, 0, v2
                                        ; implicit-def: $vgpr4
	s_delay_alu instid0(VALU_DEP_1) | instskip(NEXT) | instid1(SALU_CYCLE_1)
	s_or_b32 s2, vcc_lo, s2
	s_and_saveexec_b32 s8, s2
	s_delay_alu instid0(SALU_CYCLE_1)
	s_xor_b32 s2, exec_lo, s8
	s_cbranch_execz .LBB177_1125
; %bb.1124:
	v_div_scale_f32 v1, null, v5, v5, v2
	v_div_scale_f32 v6, vcc_lo, v2, v5, v2
	s_delay_alu instid0(VALU_DEP_2) | instskip(SKIP_2) | instid1(VALU_DEP_1)
	v_rcp_f32_e32 v3, v1
	s_waitcnt_depctr 0xfff
	v_fma_f32 v4, -v1, v3, 1.0
	v_fmac_f32_e32 v3, v4, v3
	s_delay_alu instid0(VALU_DEP_1) | instskip(NEXT) | instid1(VALU_DEP_1)
	v_mul_f32_e32 v4, v6, v3
	v_fma_f32 v8, -v1, v4, v6
	s_delay_alu instid0(VALU_DEP_1) | instskip(NEXT) | instid1(VALU_DEP_1)
	v_fmac_f32_e32 v4, v8, v3
	v_fma_f32 v1, -v1, v4, v6
	s_delay_alu instid0(VALU_DEP_1) | instskip(NEXT) | instid1(VALU_DEP_1)
	v_div_fmas_f32 v1, v1, v3, v4
	v_div_fixup_f32 v1, v1, v5, v2
	s_delay_alu instid0(VALU_DEP_1) | instskip(NEXT) | instid1(VALU_DEP_1)
	v_fmac_f32_e32 v5, v2, v1
	v_div_scale_f32 v2, null, v5, v5, 1.0
	v_div_scale_f32 v6, vcc_lo, 1.0, v5, 1.0
	s_delay_alu instid0(VALU_DEP_2) | instskip(SKIP_2) | instid1(VALU_DEP_1)
	v_rcp_f32_e32 v3, v2
	s_waitcnt_depctr 0xfff
	v_fma_f32 v4, -v2, v3, 1.0
	v_fmac_f32_e32 v3, v4, v3
	s_delay_alu instid0(VALU_DEP_1) | instskip(NEXT) | instid1(VALU_DEP_1)
	v_mul_f32_e32 v4, v6, v3
	v_fma_f32 v8, -v2, v4, v6
	s_delay_alu instid0(VALU_DEP_1) | instskip(NEXT) | instid1(VALU_DEP_1)
	v_fmac_f32_e32 v4, v8, v3
	v_fma_f32 v2, -v2, v4, v6
                                        ; implicit-def: $vgpr6
	s_delay_alu instid0(VALU_DEP_1) | instskip(SKIP_1) | instid1(VALU_DEP_2)
	v_div_fmas_f32 v2, v2, v3, v4
	v_fma_f32 v3, v1, 0, 1.0
	v_div_fixup_f32 v2, v2, v5, 1.0
	s_delay_alu instid0(VALU_DEP_1)
	v_mul_f32_e32 v3, v3, v2
	v_mul_f32_e64 v4, -v1, v2
                                        ; implicit-def: $vgpr1
.LBB177_1125:
	s_and_not1_saveexec_b32 s8, s2
	s_cbranch_execz .LBB177_1127
; %bb.1126:
	v_div_scale_f32 v2, null, v1, v1, 1.0
	v_div_scale_f32 v3, null, v6, v6, 0
	v_div_scale_f32 v10, vcc_lo, 1.0, v1, 1.0
	s_delay_alu instid0(VALU_DEP_3) | instskip(NEXT) | instid1(VALU_DEP_2)
	v_rcp_f32_e32 v4, v2
	v_rcp_f32_e32 v5, v3
	s_waitcnt_depctr 0xfff
	v_fma_f32 v8, -v2, v4, 1.0
	v_fma_f32 v9, -v3, v5, 1.0
	s_delay_alu instid0(VALU_DEP_1) | instskip(SKIP_1) | instid1(VALU_DEP_2)
	v_dual_fmac_f32 v4, v8, v4 :: v_dual_fmac_f32 v5, v9, v5
	v_div_scale_f32 v8, s2, 0, v6, 0
	v_mul_f32_e32 v9, v10, v4
	s_delay_alu instid0(VALU_DEP_2) | instskip(NEXT) | instid1(VALU_DEP_2)
	v_mul_f32_e32 v11, v8, v5
	v_fma_f32 v12, -v2, v9, v10
	s_delay_alu instid0(VALU_DEP_2) | instskip(NEXT) | instid1(VALU_DEP_2)
	v_fma_f32 v13, -v3, v11, v8
	v_fmac_f32_e32 v9, v12, v4
	s_delay_alu instid0(VALU_DEP_2) | instskip(NEXT) | instid1(VALU_DEP_2)
	v_fmac_f32_e32 v11, v13, v5
	v_fma_f32 v2, -v2, v9, v10
	s_delay_alu instid0(VALU_DEP_2) | instskip(NEXT) | instid1(VALU_DEP_2)
	v_fma_f32 v3, -v3, v11, v8
	v_div_fmas_f32 v2, v2, v4, v9
	s_mov_b32 vcc_lo, s2
	s_delay_alu instid0(VALU_DEP_2) | instskip(NEXT) | instid1(VALU_DEP_2)
	v_div_fmas_f32 v4, v3, v5, v11
	v_div_fixup_f32 v3, v2, v1, 1.0
	s_delay_alu instid0(VALU_DEP_2)
	v_div_fixup_f32 v4, v4, v6, 0
.LBB177_1127:
	s_or_b32 exec_lo, exec_lo, s8
                                        ; implicit-def: $vgpr2
                                        ; implicit-def: $vgpr5
.LBB177_1128:
	s_and_not1_saveexec_b32 s2, s3
	s_cbranch_execz .LBB177_1130
; %bb.1129:
	v_div_scale_f32 v1, null, v2, v2, v5
	v_div_scale_f32 v6, vcc_lo, v5, v2, v5
	s_delay_alu instid0(VALU_DEP_2) | instskip(SKIP_2) | instid1(VALU_DEP_1)
	v_rcp_f32_e32 v3, v1
	s_waitcnt_depctr 0xfff
	v_fma_f32 v4, -v1, v3, 1.0
	v_fmac_f32_e32 v3, v4, v3
	s_delay_alu instid0(VALU_DEP_1) | instskip(NEXT) | instid1(VALU_DEP_1)
	v_mul_f32_e32 v4, v6, v3
	v_fma_f32 v8, -v1, v4, v6
	s_delay_alu instid0(VALU_DEP_1) | instskip(NEXT) | instid1(VALU_DEP_1)
	v_fmac_f32_e32 v4, v8, v3
	v_fma_f32 v1, -v1, v4, v6
	s_delay_alu instid0(VALU_DEP_1) | instskip(NEXT) | instid1(VALU_DEP_1)
	v_div_fmas_f32 v1, v1, v3, v4
	v_div_fixup_f32 v1, v1, v2, v5
	s_delay_alu instid0(VALU_DEP_1) | instskip(NEXT) | instid1(VALU_DEP_1)
	v_fmac_f32_e32 v2, v5, v1
	v_div_scale_f32 v3, null, v2, v2, 1.0
	v_div_scale_f32 v6, vcc_lo, 1.0, v2, 1.0
	s_delay_alu instid0(VALU_DEP_2) | instskip(SKIP_2) | instid1(VALU_DEP_1)
	v_rcp_f32_e32 v4, v3
	s_waitcnt_depctr 0xfff
	v_fma_f32 v5, -v3, v4, 1.0
	v_fmac_f32_e32 v4, v5, v4
	s_delay_alu instid0(VALU_DEP_1) | instskip(NEXT) | instid1(VALU_DEP_1)
	v_mul_f32_e32 v5, v6, v4
	v_fma_f32 v8, -v3, v5, v6
	s_delay_alu instid0(VALU_DEP_1) | instskip(NEXT) | instid1(VALU_DEP_1)
	v_fmac_f32_e32 v5, v8, v4
	v_fma_f32 v3, -v3, v5, v6
	s_delay_alu instid0(VALU_DEP_1) | instskip(SKIP_2) | instid1(VALU_DEP_3)
	v_div_fmas_f32 v3, v3, v4, v5
	v_add_f32_e32 v4, 0, v1
	v_fma_f32 v1, v1, 0, -1.0
	v_div_fixup_f32 v2, v3, v2, 1.0
	s_delay_alu instid0(VALU_DEP_1) | instskip(NEXT) | instid1(VALU_DEP_3)
	v_mul_f32_e32 v3, v4, v2
	v_mul_f32_e32 v4, v1, v2
.LBB177_1130:
	s_or_b32 exec_lo, exec_lo, s2
	v_and_b32_e32 v8, 0xff, v7
	v_add_co_u32 v5, s2, s4, v0
	s_delay_alu instid0(VALU_DEP_1) | instskip(NEXT) | instid1(VALU_DEP_3)
	v_add_co_ci_u32_e64 v6, null, s5, 0, s2
	v_cmp_gt_i16_e32 vcc_lo, 11, v8
	s_mov_b32 s8, 0
	s_mov_b32 s3, -1
	s_mov_b32 s2, s34
	s_cbranch_vccnz .LBB177_1205
; %bb.1131:
	v_cmp_lt_i16_e32 vcc_lo, 25, v8
	s_mov_b32 s2, s34
	s_cbranch_vccz .LBB177_1164
; %bb.1132:
	v_cmp_lt_i16_e32 vcc_lo, 28, v8
	s_mov_b32 s2, s34
	s_cbranch_vccz .LBB177_1148
	;; [unrolled: 4-line block ×4, first 2 shown]
; %bb.1135:
	v_cmp_eq_u16_e32 vcc_lo, 46, v8
	s_mov_b32 s2, -1
	s_cbranch_vccz .LBB177_1137
; %bb.1136:
	v_bfe_u32 v0, v4, 16, 1
	v_bfe_u32 v1, v3, 16, 1
	v_cmp_o_f32_e32 vcc_lo, v4, v4
	s_mov_b32 s2, 0
	s_delay_alu instid0(VALU_DEP_3) | instskip(NEXT) | instid1(VALU_DEP_3)
	v_add3_u32 v0, v4, v0, 0x7fff
	v_add3_u32 v1, v3, v1, 0x7fff
	s_delay_alu instid0(VALU_DEP_2) | instskip(NEXT) | instid1(VALU_DEP_2)
	v_and_b32_e32 v0, 0xffff0000, v0
	v_lshrrev_b32_e32 v1, 16, v1
	s_delay_alu instid0(VALU_DEP_2) | instskip(SKIP_1) | instid1(VALU_DEP_3)
	v_cndmask_b32_e32 v0, 0x7fc00000, v0, vcc_lo
	v_cmp_o_f32_e32 vcc_lo, v3, v3
	v_cndmask_b32_e32 v1, 0x7fc0, v1, vcc_lo
	s_delay_alu instid0(VALU_DEP_1)
	v_or_b32_e32 v0, v0, v1
	global_store_b32 v[5:6], v0, off
.LBB177_1137:
	s_mov_b32 s3, 0
.LBB177_1138:
	s_delay_alu instid0(SALU_CYCLE_1)
	s_and_b32 vcc_lo, exec_lo, s3
	s_cbranch_vccz .LBB177_1143
; %bb.1139:
	v_cmp_eq_u16_e32 vcc_lo, 44, v8
	s_mov_b32 s2, -1
	s_cbranch_vccz .LBB177_1143
; %bb.1140:
	v_bfe_u32 v1, v3, 23, 8
	v_mov_b32_e32 v0, 0xff
	s_mov_b32 s3, exec_lo
	s_delay_alu instid0(VALU_DEP_2)
	v_cmpx_ne_u32_e32 0xff, v1
; %bb.1141:
	v_and_b32_e32 v0, 0x400000, v3
	v_and_or_b32 v1, 0x3fffff, v3, v1
	s_delay_alu instid0(VALU_DEP_2) | instskip(NEXT) | instid1(VALU_DEP_2)
	v_cmp_ne_u32_e32 vcc_lo, 0, v0
	v_cmp_ne_u32_e64 s2, 0, v1
	v_lshrrev_b32_e32 v0, 23, v3
	s_delay_alu instid0(VALU_DEP_2) | instskip(NEXT) | instid1(SALU_CYCLE_1)
	s_and_b32 s2, vcc_lo, s2
	v_cndmask_b32_e64 v1, 0, 1, s2
	s_delay_alu instid0(VALU_DEP_1)
	v_add_nc_u32_e32 v0, v0, v1
; %bb.1142:
	s_or_b32 exec_lo, exec_lo, s3
	s_mov_b32 s2, 0
	global_store_b8 v[5:6], v0, off
.LBB177_1143:
	s_mov_b32 s3, 0
.LBB177_1144:
	s_delay_alu instid0(SALU_CYCLE_1)
	s_and_b32 vcc_lo, exec_lo, s3
	s_cbranch_vccz .LBB177_1147
; %bb.1145:
	v_cmp_eq_u16_e32 vcc_lo, 29, v8
	s_mov_b32 s2, -1
	s_cbranch_vccz .LBB177_1147
; %bb.1146:
	v_trunc_f32_e32 v0, v3
	s_mov_b32 s2, 0
	s_delay_alu instid0(VALU_DEP_1) | instskip(NEXT) | instid1(VALU_DEP_1)
	v_mul_f32_e32 v1, 0x2f800000, v0
	v_floor_f32_e32 v1, v1
	s_delay_alu instid0(VALU_DEP_1) | instskip(SKIP_1) | instid1(VALU_DEP_2)
	v_fmamk_f32 v0, v1, 0xcf800000, v0
	v_cvt_u32_f32_e32 v1, v1
	v_cvt_u32_f32_e32 v0, v0
	global_store_b64 v[5:6], v[0:1], off
.LBB177_1147:
	s_mov_b32 s3, 0
.LBB177_1148:
	s_delay_alu instid0(SALU_CYCLE_1)
	s_and_b32 vcc_lo, exec_lo, s3
	s_cbranch_vccz .LBB177_1163
; %bb.1149:
	v_cmp_gt_i16_e32 vcc_lo, 27, v8
	s_mov_b32 s3, -1
	s_cbranch_vccnz .LBB177_1155
; %bb.1150:
	v_cmp_lt_i16_e32 vcc_lo, 27, v8
	v_cvt_u32_f32_e32 v0, v3
	s_cbranch_vccz .LBB177_1152
; %bb.1151:
	s_mov_b32 s3, 0
	global_store_b32 v[5:6], v0, off
.LBB177_1152:
	s_and_not1_b32 vcc_lo, exec_lo, s3
	s_cbranch_vccnz .LBB177_1154
; %bb.1153:
	global_store_b16 v[5:6], v0, off
.LBB177_1154:
	s_mov_b32 s3, 0
.LBB177_1155:
	s_delay_alu instid0(SALU_CYCLE_1)
	s_and_not1_b32 vcc_lo, exec_lo, s3
	s_cbranch_vccnz .LBB177_1163
; %bb.1156:
	v_and_b32_e32 v0, 0x7fffffff, v3
	v_mov_b32_e32 v1, 0x80
	s_mov_b32 s3, exec_lo
	s_delay_alu instid0(VALU_DEP_2)
	v_cmpx_gt_u32_e32 0x43800000, v0
	s_cbranch_execz .LBB177_1162
; %bb.1157:
	v_cmp_lt_u32_e32 vcc_lo, 0x3bffffff, v0
	s_mov_b32 s4, 0
                                        ; implicit-def: $vgpr0
	s_and_saveexec_b32 s5, vcc_lo
	s_delay_alu instid0(SALU_CYCLE_1)
	s_xor_b32 s5, exec_lo, s5
	s_cbranch_execz .LBB177_1495
; %bb.1158:
	v_bfe_u32 v0, v3, 20, 1
	s_mov_b32 s4, exec_lo
	s_delay_alu instid0(VALU_DEP_1) | instskip(NEXT) | instid1(VALU_DEP_1)
	v_add3_u32 v0, v3, v0, 0x487ffff
	v_lshrrev_b32_e32 v0, 20, v0
	s_or_saveexec_b32 s5, s5
                                        ; implicit-def: $sgpr8
	s_delay_alu instid0(SALU_CYCLE_1)
	s_xor_b32 exec_lo, exec_lo, s5
	s_cbranch_execnz .LBB177_1496
.LBB177_1159:
	s_or_b32 exec_lo, exec_lo, s5
	v_mov_b32_e32 v1, s8
	s_and_saveexec_b32 s5, s4
.LBB177_1160:
	v_lshrrev_b32_e32 v1, 24, v3
	s_delay_alu instid0(VALU_DEP_1)
	v_and_or_b32 v1, 0x80, v1, v0
.LBB177_1161:
	s_or_b32 exec_lo, exec_lo, s5
.LBB177_1162:
	s_delay_alu instid0(SALU_CYCLE_1)
	s_or_b32 exec_lo, exec_lo, s3
	global_store_b8 v[5:6], v1, off
.LBB177_1163:
	s_mov_b32 s3, 0
.LBB177_1164:
	s_delay_alu instid0(SALU_CYCLE_1)
	s_and_b32 vcc_lo, exec_lo, s3
	s_mov_b32 s3, 0
	s_cbranch_vccz .LBB177_1204
; %bb.1165:
	v_cmp_lt_i16_e32 vcc_lo, 22, v8
	s_mov_b32 s4, -1
	s_cbranch_vccz .LBB177_1197
; %bb.1166:
	v_cmp_gt_i16_e32 vcc_lo, 24, v8
	s_cbranch_vccnz .LBB177_1186
; %bb.1167:
	v_cmp_lt_i16_e32 vcc_lo, 24, v8
	s_cbranch_vccz .LBB177_1175
; %bb.1168:
	v_and_b32_e32 v0, 0x7fffffff, v3
	v_mov_b32_e32 v1, 0x80
	s_mov_b32 s4, exec_lo
	s_delay_alu instid0(VALU_DEP_2)
	v_cmpx_gt_u32_e32 0x47800000, v0
	s_cbranch_execz .LBB177_1174
; %bb.1169:
	v_cmp_lt_u32_e32 vcc_lo, 0x37ffffff, v0
	s_mov_b32 s5, 0
                                        ; implicit-def: $vgpr0
	s_and_saveexec_b32 s8, vcc_lo
	s_delay_alu instid0(SALU_CYCLE_1)
	s_xor_b32 s8, exec_lo, s8
	s_cbranch_execz .LBB177_1540
; %bb.1170:
	v_bfe_u32 v0, v3, 21, 1
	s_mov_b32 s5, exec_lo
	s_delay_alu instid0(VALU_DEP_1) | instskip(NEXT) | instid1(VALU_DEP_1)
	v_add3_u32 v0, v3, v0, 0x88fffff
	v_lshrrev_b32_e32 v0, 21, v0
	s_or_saveexec_b32 s8, s8
                                        ; implicit-def: $sgpr9
	s_delay_alu instid0(SALU_CYCLE_1)
	s_xor_b32 exec_lo, exec_lo, s8
	s_cbranch_execnz .LBB177_1541
.LBB177_1171:
	s_or_b32 exec_lo, exec_lo, s8
	v_mov_b32_e32 v1, s9
	s_and_saveexec_b32 s8, s5
.LBB177_1172:
	v_lshrrev_b32_e32 v1, 24, v3
	s_delay_alu instid0(VALU_DEP_1)
	v_and_or_b32 v1, 0x80, v1, v0
.LBB177_1173:
	s_or_b32 exec_lo, exec_lo, s8
.LBB177_1174:
	s_delay_alu instid0(SALU_CYCLE_1)
	s_or_b32 exec_lo, exec_lo, s4
	s_mov_b32 s4, 0
	global_store_b8 v[5:6], v1, off
.LBB177_1175:
	s_and_b32 vcc_lo, exec_lo, s4
	s_cbranch_vccz .LBB177_1185
; %bb.1176:
	v_and_b32_e32 v1, 0x7fffffff, v3
	s_mov_b32 s4, exec_lo
                                        ; implicit-def: $vgpr0
	s_delay_alu instid0(VALU_DEP_1)
	v_cmpx_gt_u32_e32 0x43f00000, v1
	s_xor_b32 s4, exec_lo, s4
	s_cbranch_execz .LBB177_1182
; %bb.1177:
	s_mov_b32 s5, exec_lo
                                        ; implicit-def: $vgpr0
	v_cmpx_lt_u32_e32 0x3c7fffff, v1
	s_xor_b32 s5, exec_lo, s5
; %bb.1178:
	v_bfe_u32 v0, v3, 20, 1
	s_delay_alu instid0(VALU_DEP_1) | instskip(NEXT) | instid1(VALU_DEP_1)
	v_add3_u32 v0, v3, v0, 0x407ffff
	v_and_b32_e32 v1, 0xff00000, v0
	v_lshrrev_b32_e32 v0, 20, v0
	s_delay_alu instid0(VALU_DEP_2) | instskip(NEXT) | instid1(VALU_DEP_2)
	v_cmp_ne_u32_e32 vcc_lo, 0x7f00000, v1
	v_cndmask_b32_e32 v0, 0x7e, v0, vcc_lo
; %bb.1179:
	s_and_not1_saveexec_b32 s5, s5
; %bb.1180:
	v_add_f32_e64 v0, 0x46800000, |v3|
; %bb.1181:
	s_or_b32 exec_lo, exec_lo, s5
                                        ; implicit-def: $vgpr1
.LBB177_1182:
	s_and_not1_saveexec_b32 s4, s4
; %bb.1183:
	v_mov_b32_e32 v0, 0x7f
	v_cmp_lt_u32_e32 vcc_lo, 0x7f800000, v1
	s_delay_alu instid0(VALU_DEP_2)
	v_cndmask_b32_e32 v0, 0x7e, v0, vcc_lo
; %bb.1184:
	s_or_b32 exec_lo, exec_lo, s4
	v_lshrrev_b32_e32 v1, 24, v3
	s_delay_alu instid0(VALU_DEP_1)
	v_and_or_b32 v0, 0x80, v1, v0
	global_store_b8 v[5:6], v0, off
.LBB177_1185:
	s_mov_b32 s4, 0
.LBB177_1186:
	s_delay_alu instid0(SALU_CYCLE_1)
	s_and_not1_b32 vcc_lo, exec_lo, s4
	s_cbranch_vccnz .LBB177_1196
; %bb.1187:
	v_and_b32_e32 v1, 0x7fffffff, v3
	s_mov_b32 s4, exec_lo
                                        ; implicit-def: $vgpr0
	s_delay_alu instid0(VALU_DEP_1)
	v_cmpx_gt_u32_e32 0x47800000, v1
	s_xor_b32 s4, exec_lo, s4
	s_cbranch_execz .LBB177_1193
; %bb.1188:
	s_mov_b32 s5, exec_lo
                                        ; implicit-def: $vgpr0
	v_cmpx_lt_u32_e32 0x387fffff, v1
	s_xor_b32 s5, exec_lo, s5
; %bb.1189:
	v_bfe_u32 v0, v3, 21, 1
	s_delay_alu instid0(VALU_DEP_1) | instskip(NEXT) | instid1(VALU_DEP_1)
	v_add3_u32 v0, v3, v0, 0x80fffff
	v_lshrrev_b32_e32 v0, 21, v0
; %bb.1190:
	s_and_not1_saveexec_b32 s5, s5
; %bb.1191:
	v_add_f32_e64 v0, 0x43000000, |v3|
; %bb.1192:
	s_or_b32 exec_lo, exec_lo, s5
                                        ; implicit-def: $vgpr1
.LBB177_1193:
	s_and_not1_saveexec_b32 s4, s4
; %bb.1194:
	v_mov_b32_e32 v0, 0x7f
	v_cmp_lt_u32_e32 vcc_lo, 0x7f800000, v1
	s_delay_alu instid0(VALU_DEP_2)
	v_cndmask_b32_e32 v0, 0x7c, v0, vcc_lo
; %bb.1195:
	s_or_b32 exec_lo, exec_lo, s4
	v_lshrrev_b32_e32 v1, 24, v3
	s_delay_alu instid0(VALU_DEP_1)
	v_and_or_b32 v0, 0x80, v1, v0
	global_store_b8 v[5:6], v0, off
.LBB177_1196:
	s_mov_b32 s4, 0
.LBB177_1197:
	s_delay_alu instid0(SALU_CYCLE_1)
	s_and_not1_b32 vcc_lo, exec_lo, s4
	s_mov_b32 s8, 0
	s_cbranch_vccnz .LBB177_1205
; %bb.1198:
	v_cmp_lt_i16_e32 vcc_lo, 14, v8
	s_mov_b32 s4, -1
	s_cbranch_vccz .LBB177_1202
; %bb.1199:
	v_cmp_eq_u16_e32 vcc_lo, 15, v8
	s_mov_b32 s2, -1
	s_cbranch_vccz .LBB177_1201
; %bb.1200:
	v_bfe_u32 v0, v3, 16, 1
	v_cmp_o_f32_e32 vcc_lo, v3, v3
	s_mov_b32 s2, 0
	s_delay_alu instid0(VALU_DEP_2) | instskip(NEXT) | instid1(VALU_DEP_1)
	v_add3_u32 v0, v3, v0, 0x7fff
	v_lshrrev_b32_e32 v0, 16, v0
	s_delay_alu instid0(VALU_DEP_1)
	v_cndmask_b32_e32 v0, 0x7fc0, v0, vcc_lo
	global_store_b16 v[5:6], v0, off
.LBB177_1201:
	s_mov_b32 s4, 0
.LBB177_1202:
	s_delay_alu instid0(SALU_CYCLE_1)
	s_and_b32 vcc_lo, exec_lo, s4
	s_cbranch_vccz .LBB177_1205
; %bb.1203:
	v_cmp_ne_u16_e32 vcc_lo, 11, v8
	s_and_not1_b32 s2, s2, exec_lo
	s_mov_b32 s8, -1
	s_and_b32 s4, vcc_lo, exec_lo
	s_delay_alu instid0(SALU_CYCLE_1)
	s_or_b32 s2, s2, s4
	s_branch .LBB177_1205
.LBB177_1204:
	s_mov_b32 s8, 0
.LBB177_1205:
	s_and_not1_b32 s4, s34, exec_lo
	s_and_b32 s2, s2, exec_lo
	s_and_b32 s3, s3, exec_lo
	;; [unrolled: 1-line block ×3, first 2 shown]
	s_or_b32 s34, s4, s2
.LBB177_1206:
	s_or_b32 exec_lo, exec_lo, s7
	s_and_saveexec_b32 s2, s34
	s_cbranch_execnz .LBB177_1321
; %bb.1207:
	s_or_b32 exec_lo, exec_lo, s2
	s_and_saveexec_b32 s2, s8
	s_delay_alu instid0(SALU_CYCLE_1)
	s_xor_b32 s4, exec_lo, s2
	s_cbranch_execz .LBB177_1209
.LBB177_1208:
	v_cmp_neq_f32_e32 vcc_lo, 0, v3
	v_cmp_neq_f32_e64 s2, 0, v4
	s_delay_alu instid0(VALU_DEP_1) | instskip(NEXT) | instid1(SALU_CYCLE_1)
	s_or_b32 s2, vcc_lo, s2
	v_cndmask_b32_e64 v0, 0, 1, s2
	global_store_b8 v[5:6], v0, off
.LBB177_1209:
	s_or_b32 exec_lo, exec_lo, s4
	s_and_saveexec_b32 s2, s3
	s_delay_alu instid0(SALU_CYCLE_1)
	s_xor_b32 s2, exec_lo, s2
	s_cbranch_execz .LBB177_1247
; %bb.1210:
	v_cmp_gt_i16_e32 vcc_lo, 5, v8
	s_mov_b32 s3, -1
	s_cbranch_vccnz .LBB177_1231
; %bb.1211:
	v_cmp_gt_i16_e32 vcc_lo, 8, v8
	s_cbranch_vccnz .LBB177_1221
; %bb.1212:
	v_cmp_gt_i16_e32 vcc_lo, 9, v8
	s_cbranch_vccnz .LBB177_1218
; %bb.1213:
	v_cmp_lt_i16_e32 vcc_lo, 9, v8
	s_cbranch_vccz .LBB177_1215
; %bb.1214:
	v_cvt_f64_f32_e32 v[9:10], v3
	v_cvt_f64_f32_e32 v[11:12], v4
	s_mov_b32 s3, 0
	global_store_b128 v[5:6], v[9:12], off
.LBB177_1215:
	s_and_not1_b32 vcc_lo, exec_lo, s3
	s_cbranch_vccnz .LBB177_1217
; %bb.1216:
	global_store_b64 v[5:6], v[3:4], off
.LBB177_1217:
	s_mov_b32 s3, 0
.LBB177_1218:
	s_delay_alu instid0(SALU_CYCLE_1)
	s_and_not1_b32 vcc_lo, exec_lo, s3
	s_cbranch_vccnz .LBB177_1220
; %bb.1219:
	v_cvt_f16_f32_e32 v0, v4
	s_waitcnt vmcnt(0)
	v_cvt_f16_f32_e32 v1, v3
	s_delay_alu instid0(VALU_DEP_2) | instskip(NEXT) | instid1(VALU_DEP_2)
	v_lshlrev_b32_e32 v0, 16, v0
	v_and_b32_e32 v1, 0xffff, v1
	s_delay_alu instid0(VALU_DEP_1)
	v_or_b32_e32 v0, v0, v1
	global_store_b32 v[5:6], v0, off
.LBB177_1220:
	s_mov_b32 s3, 0
.LBB177_1221:
	s_delay_alu instid0(SALU_CYCLE_1)
	s_and_not1_b32 vcc_lo, exec_lo, s3
	s_cbranch_vccnz .LBB177_1230
; %bb.1222:
	v_cmp_gt_i16_e32 vcc_lo, 6, v8
	s_mov_b32 s3, -1
	s_cbranch_vccnz .LBB177_1228
; %bb.1223:
	v_cmp_lt_i16_e32 vcc_lo, 6, v8
	s_cbranch_vccz .LBB177_1225
; %bb.1224:
	s_waitcnt vmcnt(0)
	v_cvt_f64_f32_e32 v[0:1], v3
	s_mov_b32 s3, 0
	global_store_b64 v[5:6], v[0:1], off
.LBB177_1225:
	s_and_not1_b32 vcc_lo, exec_lo, s3
	s_cbranch_vccnz .LBB177_1227
; %bb.1226:
	global_store_b32 v[5:6], v3, off
.LBB177_1227:
	s_mov_b32 s3, 0
.LBB177_1228:
	s_delay_alu instid0(SALU_CYCLE_1)
	s_and_not1_b32 vcc_lo, exec_lo, s3
	s_cbranch_vccnz .LBB177_1230
; %bb.1229:
	v_cvt_f16_f32_e32 v0, v3
	global_store_b16 v[5:6], v0, off
.LBB177_1230:
	s_mov_b32 s3, 0
.LBB177_1231:
	s_delay_alu instid0(SALU_CYCLE_1)
	s_and_not1_b32 vcc_lo, exec_lo, s3
	s_cbranch_vccnz .LBB177_1247
; %bb.1232:
	v_cmp_gt_i16_e32 vcc_lo, 2, v8
	s_mov_b32 s3, -1
	s_cbranch_vccnz .LBB177_1242
; %bb.1233:
	v_cmp_gt_i16_e32 vcc_lo, 3, v8
	s_cbranch_vccnz .LBB177_1239
; %bb.1234:
	v_cmp_lt_i16_e32 vcc_lo, 3, v8
	s_cbranch_vccz .LBB177_1236
; %bb.1235:
	v_trunc_f32_e32 v0, v3
	s_mov_b32 s3, 0
	s_waitcnt vmcnt(0)
	s_delay_alu instid0(VALU_DEP_1) | instskip(SKIP_1) | instid1(VALU_DEP_2)
	v_mul_f32_e64 v1, 0x2f800000, |v0|
	v_ashrrev_i32_e32 v4, 31, v0
	v_floor_f32_e32 v1, v1
	s_delay_alu instid0(VALU_DEP_1) | instskip(SKIP_1) | instid1(VALU_DEP_2)
	v_fma_f32 v2, 0xcf800000, v1, |v0|
	v_cvt_u32_f32_e32 v1, v1
	v_cvt_u32_f32_e32 v0, v2
	s_delay_alu instid0(VALU_DEP_2) | instskip(NEXT) | instid1(VALU_DEP_2)
	v_xor_b32_e32 v1, v1, v4
	v_xor_b32_e32 v0, v0, v4
	s_delay_alu instid0(VALU_DEP_1) | instskip(NEXT) | instid1(VALU_DEP_3)
	v_sub_co_u32 v0, vcc_lo, v0, v4
	v_sub_co_ci_u32_e32 v1, vcc_lo, v1, v4, vcc_lo
	global_store_b64 v[5:6], v[0:1], off
.LBB177_1236:
	s_and_not1_b32 vcc_lo, exec_lo, s3
	s_cbranch_vccnz .LBB177_1238
; %bb.1237:
	v_cvt_i32_f32_e32 v0, v3
	global_store_b32 v[5:6], v0, off
.LBB177_1238:
	s_mov_b32 s3, 0
.LBB177_1239:
	s_delay_alu instid0(SALU_CYCLE_1)
	s_and_not1_b32 vcc_lo, exec_lo, s3
	s_cbranch_vccnz .LBB177_1241
; %bb.1240:
	v_cvt_i32_f32_e32 v0, v3
	global_store_b16 v[5:6], v0, off
.LBB177_1241:
	s_mov_b32 s3, 0
.LBB177_1242:
	s_delay_alu instid0(SALU_CYCLE_1)
	s_and_not1_b32 vcc_lo, exec_lo, s3
	s_cbranch_vccnz .LBB177_1247
; %bb.1243:
	v_cmp_lt_i16_e32 vcc_lo, 0, v8
	s_mov_b32 s3, -1
	s_cbranch_vccz .LBB177_1245
; %bb.1244:
	v_cvt_i32_f32_e32 v0, v3
	s_mov_b32 s3, 0
	global_store_b8 v[5:6], v0, off
.LBB177_1245:
	s_and_not1_b32 vcc_lo, exec_lo, s3
	s_cbranch_vccnz .LBB177_1247
; %bb.1246:
	v_trunc_f32_e32 v0, v3
	s_waitcnt vmcnt(0)
	s_delay_alu instid0(VALU_DEP_1) | instskip(NEXT) | instid1(VALU_DEP_1)
	v_mul_f32_e64 v1, 0x2f800000, |v0|
	v_floor_f32_e32 v1, v1
	s_delay_alu instid0(VALU_DEP_1) | instskip(SKIP_1) | instid1(VALU_DEP_2)
	v_fma_f32 v1, 0xcf800000, v1, |v0|
	v_ashrrev_i32_e32 v0, 31, v0
	v_cvt_u32_f32_e32 v1, v1
	s_delay_alu instid0(VALU_DEP_1) | instskip(NEXT) | instid1(VALU_DEP_1)
	v_xor_b32_e32 v1, v1, v0
	v_sub_nc_u32_e32 v0, v1, v0
	global_store_b8 v[5:6], v0, off
.LBB177_1247:
	s_or_b32 exec_lo, exec_lo, s2
	s_delay_alu instid0(SALU_CYCLE_1)
	s_and_b32 s8, s6, exec_lo
                                        ; implicit-def: $vgpr5
                                        ; implicit-def: $vgpr8
.LBB177_1248:
	s_or_saveexec_b32 s9, s28
	s_mov_b32 s3, 0
                                        ; implicit-def: $vgpr0_vgpr1
                                        ; implicit-def: $vgpr15
                                        ; implicit-def: $vgpr12
	s_xor_b32 exec_lo, exec_lo, s9
	s_cbranch_execz .LBB177_1980
; %bb.1249:
	v_cndmask_b32_e64 v0, 0, 1, s27
	s_and_not1_b32 vcc_lo, exec_lo, s27
	s_cbranch_vccnz .LBB177_1255
; %bb.1250:
	v_dual_mov_b32 v3, 0 :: v_dual_mov_b32 v4, 0
	s_cmp_lg_u32 s24, 0
	s_mov_b32 s6, 0
	s_cbranch_scc0 .LBB177_1259
; %bb.1251:
	s_min_u32 s7, s25, 15
	v_mov_b32_e32 v3, 0
	s_add_i32 s7, s7, 1
	s_cmp_eq_u32 s25, 2
	s_mov_b32 s10, 0
	s_cbranch_scc1 .LBB177_1256
; %bb.1252:
	v_dual_mov_b32 v4, 0 :: v_dual_mov_b32 v3, 0
	s_waitcnt vmcnt(0)
	v_mov_b32_e32 v1, v8
	s_add_u32 s2, s16, 0xc4
	s_addc_u32 s3, s17, 0
	s_and_b32 s10, s7, 28
	s_mov_b32 s11, 0
	s_mov_b64 s[4:5], s[16:17]
.LBB177_1253:                           ; =>This Inner Loop Header: Depth=1
	s_clause 0x1
	s_load_b256 s[36:43], s[4:5], 0x4
	s_load_b128 s[12:15], s[4:5], 0x24
	s_load_b256 s[44:51], s[2:3], 0x0
	s_add_u32 s4, s4, 48
	s_addc_u32 s5, s5, 0
	s_add_i32 s11, s11, 4
	s_add_u32 s2, s2, 32
	s_addc_u32 s3, s3, 0
	s_cmp_lg_u32 s10, s11
	s_waitcnt lgkmcnt(0)
	v_mul_hi_u32 v2, s37, v1
	s_delay_alu instid0(VALU_DEP_1) | instskip(NEXT) | instid1(VALU_DEP_1)
	v_add_nc_u32_e32 v2, v1, v2
	v_lshrrev_b32_e32 v2, s38, v2
	s_delay_alu instid0(VALU_DEP_1) | instskip(SKIP_1) | instid1(VALU_DEP_2)
	v_mul_hi_u32 v6, s40, v2
	v_mul_lo_u32 v9, v2, s36
	v_add_nc_u32_e32 v6, v2, v6
	s_delay_alu instid0(VALU_DEP_2) | instskip(NEXT) | instid1(VALU_DEP_2)
	v_sub_nc_u32_e32 v1, v1, v9
	v_lshrrev_b32_e32 v6, s41, v6
	s_delay_alu instid0(VALU_DEP_2) | instskip(SKIP_1) | instid1(VALU_DEP_3)
	v_mul_lo_u32 v9, v1, s44
	v_mul_lo_u32 v11, v1, s45
	v_mul_hi_u32 v7, s43, v6
	s_delay_alu instid0(VALU_DEP_1) | instskip(NEXT) | instid1(VALU_DEP_1)
	v_add_nc_u32_e32 v7, v6, v7
	v_lshrrev_b32_e32 v7, s12, v7
	s_delay_alu instid0(VALU_DEP_1) | instskip(SKIP_1) | instid1(VALU_DEP_2)
	v_mul_hi_u32 v10, s14, v7
	v_mul_lo_u32 v12, v7, s42
	v_add_nc_u32_e32 v1, v7, v10
	v_mul_lo_u32 v10, v6, s39
	s_delay_alu instid0(VALU_DEP_3) | instskip(NEXT) | instid1(VALU_DEP_3)
	v_sub_nc_u32_e32 v6, v6, v12
	v_lshrrev_b32_e32 v1, s15, v1
	s_delay_alu instid0(VALU_DEP_2) | instskip(SKIP_2) | instid1(VALU_DEP_4)
	v_mul_lo_u32 v12, v6, s48
	v_mul_lo_u32 v6, v6, s49
	v_sub_nc_u32_e32 v2, v2, v10
	v_mul_lo_u32 v13, v1, s13
	s_delay_alu instid0(VALU_DEP_2) | instskip(SKIP_1) | instid1(VALU_DEP_3)
	v_mul_lo_u32 v10, v2, s46
	v_mul_lo_u32 v2, v2, s47
	v_sub_nc_u32_e32 v7, v7, v13
	s_delay_alu instid0(VALU_DEP_3) | instskip(NEXT) | instid1(VALU_DEP_2)
	v_add3_u32 v3, v9, v3, v10
	v_mul_lo_u32 v13, v7, s50
	v_mul_lo_u32 v7, v7, s51
	v_add3_u32 v2, v11, v4, v2
	s_delay_alu instid0(VALU_DEP_3) | instskip(NEXT) | instid1(VALU_DEP_2)
	v_add3_u32 v3, v12, v3, v13
	v_add3_u32 v4, v6, v2, v7
	s_cbranch_scc1 .LBB177_1253
; %bb.1254:
	s_and_b32 s7, s7, 3
	s_delay_alu instid0(SALU_CYCLE_1)
	s_cmp_eq_u32 s7, 0
	s_cbranch_scc0 .LBB177_1257
	s_branch .LBB177_1259
.LBB177_1255:
	s_mov_b32 s6, -1
                                        ; implicit-def: $vgpr3
                                        ; implicit-def: $vgpr4
	s_branch .LBB177_1259
.LBB177_1256:
	s_waitcnt vmcnt(0)
	v_dual_mov_b32 v1, v8 :: v_dual_mov_b32 v4, 0
	s_and_b32 s7, s7, 3
	s_delay_alu instid0(SALU_CYCLE_1)
	s_cmp_eq_u32 s7, 0
	s_cbranch_scc1 .LBB177_1259
.LBB177_1257:
	s_lshl_b32 s2, s10, 3
	s_mul_i32 s4, s10, 12
	s_add_u32 s2, s2, s16
	s_addc_u32 s3, 0, s17
	s_add_u32 s2, s2, 0xc4
	s_addc_u32 s3, s3, 0
	;; [unrolled: 2-line block ×3, first 2 shown]
	.p2align	6
.LBB177_1258:                           ; =>This Inner Loop Header: Depth=1
	s_clause 0x1
	s_load_b64 s[10:11], s[4:5], 0x4
	s_load_b32 s14, s[4:5], 0xc
	s_load_b64 s[12:13], s[2:3], 0x0
	s_add_u32 s4, s4, 12
	s_addc_u32 s5, s5, 0
	s_add_u32 s2, s2, 8
	s_addc_u32 s3, s3, 0
	s_add_i32 s7, s7, -1
	s_delay_alu instid0(SALU_CYCLE_1) | instskip(SKIP_2) | instid1(VALU_DEP_1)
	s_cmp_lg_u32 s7, 0
	s_waitcnt lgkmcnt(0)
	v_mul_hi_u32 v2, s11, v1
	v_add_nc_u32_e32 v2, v1, v2
	s_delay_alu instid0(VALU_DEP_1) | instskip(NEXT) | instid1(VALU_DEP_1)
	v_lshrrev_b32_e32 v9, s14, v2
	v_mul_lo_u32 v2, v9, s10
	s_delay_alu instid0(VALU_DEP_1) | instskip(NEXT) | instid1(VALU_DEP_1)
	v_sub_nc_u32_e32 v1, v1, v2
	v_mad_u64_u32 v[6:7], null, v1, s12, v[3:4]
	v_mad_u64_u32 v[2:3], null, v1, s13, v[4:5]
	v_mov_b32_e32 v1, v9
	s_delay_alu instid0(VALU_DEP_3) | instskip(NEXT) | instid1(VALU_DEP_3)
	v_mov_b32_e32 v3, v6
	v_mov_b32_e32 v4, v2
	s_cbranch_scc1 .LBB177_1258
.LBB177_1259:
	s_and_not1_b32 vcc_lo, exec_lo, s6
	s_cbranch_vccnz .LBB177_1262
; %bb.1260:
	s_clause 0x1
	s_load_b128 s[4:7], s[16:17], 0x4
	s_load_b64 s[2:3], s[16:17], 0xc4
	s_cmp_lt_u32 s24, 2
	s_waitcnt vmcnt(0) lgkmcnt(0)
	v_mul_hi_u32 v1, s5, v8
	s_delay_alu instid0(VALU_DEP_1) | instskip(NEXT) | instid1(VALU_DEP_1)
	v_add_nc_u32_e32 v1, v8, v1
	v_lshrrev_b32_e32 v1, s6, v1
	s_delay_alu instid0(VALU_DEP_1) | instskip(NEXT) | instid1(VALU_DEP_1)
	v_mul_lo_u32 v2, v1, s4
	v_sub_nc_u32_e32 v2, v8, v2
	s_delay_alu instid0(VALU_DEP_1)
	v_mul_lo_u32 v3, v2, s2
	v_mul_lo_u32 v4, v2, s3
	s_cbranch_scc1 .LBB177_1262
; %bb.1261:
	s_clause 0x1
	s_load_b128 s[4:7], s[16:17], 0x10
	s_load_b64 s[2:3], s[16:17], 0xcc
	s_waitcnt lgkmcnt(0)
	v_mul_hi_u32 v2, s5, v1
	s_delay_alu instid0(VALU_DEP_1) | instskip(NEXT) | instid1(VALU_DEP_1)
	v_add_nc_u32_e32 v2, v1, v2
	v_lshrrev_b32_e32 v2, s6, v2
	s_delay_alu instid0(VALU_DEP_1) | instskip(NEXT) | instid1(VALU_DEP_1)
	v_mul_lo_u32 v2, v2, s4
	v_sub_nc_u32_e32 v6, v1, v2
	s_delay_alu instid0(VALU_DEP_1) | instskip(SKIP_1) | instid1(VALU_DEP_1)
	v_mad_u64_u32 v[1:2], null, v6, s2, v[3:4]
	v_mad_u64_u32 v[2:3], null, v6, s3, v[4:5]
	v_dual_mov_b32 v3, v1 :: v_dual_mov_b32 v4, v2
.LBB177_1262:
	v_cmp_ne_u32_e32 vcc_lo, 1, v0
	s_waitcnt vmcnt(0)
	v_add_nc_u32_e32 v1, 0x80, v8
	s_cbranch_vccnz .LBB177_1268
; %bb.1263:
	v_mov_b32_e32 v2, 0
	v_mov_b32_e32 v6, 0
	s_cmp_lg_u32 s24, 0
	s_mov_b32 s6, 0
	s_cbranch_scc0 .LBB177_1272
; %bb.1264:
	s_min_u32 s7, s25, 15
	v_mov_b32_e32 v2, 0
	s_add_i32 s7, s7, 1
	s_cmp_eq_u32 s25, 2
	s_mov_b32 s10, 0
	s_cbranch_scc1 .LBB177_1269
; %bb.1265:
	v_dual_mov_b32 v6, 0 :: v_dual_mov_b32 v7, v1
	v_mov_b32_e32 v2, 0
	s_add_u32 s2, s16, 0xc4
	s_addc_u32 s3, s17, 0
	s_and_b32 s10, s7, 28
	s_mov_b32 s11, 0
	s_mov_b64 s[4:5], s[16:17]
.LBB177_1266:                           ; =>This Inner Loop Header: Depth=1
	s_clause 0x1
	s_load_b256 s[36:43], s[4:5], 0x4
	s_load_b128 s[12:15], s[4:5], 0x24
	s_load_b256 s[44:51], s[2:3], 0x0
	s_add_u32 s4, s4, 48
	s_addc_u32 s5, s5, 0
	s_add_i32 s11, s11, 4
	s_add_u32 s2, s2, 32
	s_addc_u32 s3, s3, 0
	s_cmp_lg_u32 s10, s11
	s_waitcnt lgkmcnt(0)
	v_mul_hi_u32 v9, s37, v7
	s_delay_alu instid0(VALU_DEP_1) | instskip(NEXT) | instid1(VALU_DEP_1)
	v_add_nc_u32_e32 v9, v7, v9
	v_lshrrev_b32_e32 v9, s38, v9
	s_delay_alu instid0(VALU_DEP_1) | instskip(SKIP_1) | instid1(VALU_DEP_2)
	v_mul_hi_u32 v10, s40, v9
	v_mul_lo_u32 v12, v9, s36
	v_add_nc_u32_e32 v10, v9, v10
	s_delay_alu instid0(VALU_DEP_2) | instskip(NEXT) | instid1(VALU_DEP_2)
	v_sub_nc_u32_e32 v7, v7, v12
	v_lshrrev_b32_e32 v10, s41, v10
	s_delay_alu instid0(VALU_DEP_2) | instskip(SKIP_1) | instid1(VALU_DEP_3)
	v_mul_lo_u32 v12, v7, s44
	v_mul_lo_u32 v14, v7, s45
	v_mul_hi_u32 v11, s43, v10
	s_delay_alu instid0(VALU_DEP_1) | instskip(NEXT) | instid1(VALU_DEP_1)
	v_add_nc_u32_e32 v11, v10, v11
	v_lshrrev_b32_e32 v11, s12, v11
	s_delay_alu instid0(VALU_DEP_1) | instskip(SKIP_1) | instid1(VALU_DEP_2)
	v_mul_hi_u32 v13, s14, v11
	v_mul_lo_u32 v15, v11, s42
	v_add_nc_u32_e32 v7, v11, v13
	v_mul_lo_u32 v13, v10, s39
	s_delay_alu instid0(VALU_DEP_3) | instskip(NEXT) | instid1(VALU_DEP_3)
	v_sub_nc_u32_e32 v10, v10, v15
	v_lshrrev_b32_e32 v7, s15, v7
	s_delay_alu instid0(VALU_DEP_2) | instskip(SKIP_2) | instid1(VALU_DEP_4)
	v_mul_lo_u32 v15, v10, s48
	v_mul_lo_u32 v10, v10, s49
	v_sub_nc_u32_e32 v9, v9, v13
	v_mul_lo_u32 v16, v7, s13
	s_delay_alu instid0(VALU_DEP_2) | instskip(SKIP_1) | instid1(VALU_DEP_3)
	v_mul_lo_u32 v13, v9, s46
	v_mul_lo_u32 v9, v9, s47
	v_sub_nc_u32_e32 v11, v11, v16
	s_delay_alu instid0(VALU_DEP_3) | instskip(NEXT) | instid1(VALU_DEP_2)
	v_add3_u32 v2, v12, v2, v13
	v_mul_lo_u32 v16, v11, s50
	v_mul_lo_u32 v11, v11, s51
	v_add3_u32 v6, v14, v6, v9
	s_delay_alu instid0(VALU_DEP_3) | instskip(NEXT) | instid1(VALU_DEP_2)
	v_add3_u32 v2, v15, v2, v16
	v_add3_u32 v6, v10, v6, v11
	s_cbranch_scc1 .LBB177_1266
; %bb.1267:
	s_and_b32 s7, s7, 3
	s_delay_alu instid0(SALU_CYCLE_1)
	s_cmp_eq_u32 s7, 0
	s_cbranch_scc0 .LBB177_1270
	s_branch .LBB177_1272
.LBB177_1268:
	s_mov_b32 s6, -1
                                        ; implicit-def: $vgpr2
                                        ; implicit-def: $vgpr6
	s_branch .LBB177_1272
.LBB177_1269:
	v_dual_mov_b32 v7, v1 :: v_dual_mov_b32 v6, 0
	s_and_b32 s7, s7, 3
	s_delay_alu instid0(SALU_CYCLE_1)
	s_cmp_eq_u32 s7, 0
	s_cbranch_scc1 .LBB177_1272
.LBB177_1270:
	s_lshl_b32 s2, s10, 3
	s_mul_i32 s4, s10, 12
	s_add_u32 s2, s2, s16
	s_addc_u32 s3, 0, s17
	s_add_u32 s2, s2, 0xc4
	s_addc_u32 s3, s3, 0
	;; [unrolled: 2-line block ×3, first 2 shown]
	.p2align	6
.LBB177_1271:                           ; =>This Inner Loop Header: Depth=1
	s_clause 0x1
	s_load_b64 s[10:11], s[4:5], 0x4
	s_load_b32 s14, s[4:5], 0xc
	s_load_b64 s[12:13], s[2:3], 0x0
	s_add_u32 s4, s4, 12
	s_addc_u32 s5, s5, 0
	s_add_u32 s2, s2, 8
	s_addc_u32 s3, s3, 0
	s_add_i32 s7, s7, -1
	s_delay_alu instid0(SALU_CYCLE_1) | instskip(SKIP_2) | instid1(VALU_DEP_1)
	s_cmp_lg_u32 s7, 0
	s_waitcnt lgkmcnt(0)
	v_mul_hi_u32 v9, s11, v7
	v_add_nc_u32_e32 v9, v7, v9
	s_delay_alu instid0(VALU_DEP_1) | instskip(NEXT) | instid1(VALU_DEP_1)
	v_lshrrev_b32_e32 v12, s14, v9
	v_mul_lo_u32 v9, v12, s10
	s_delay_alu instid0(VALU_DEP_1) | instskip(NEXT) | instid1(VALU_DEP_1)
	v_sub_nc_u32_e32 v7, v7, v9
	v_mad_u64_u32 v[9:10], null, v7, s12, v[2:3]
	v_mad_u64_u32 v[10:11], null, v7, s13, v[6:7]
	s_delay_alu instid0(VALU_DEP_2) | instskip(NEXT) | instid1(VALU_DEP_2)
	v_dual_mov_b32 v7, v12 :: v_dual_mov_b32 v2, v9
	v_mov_b32_e32 v6, v10
	s_cbranch_scc1 .LBB177_1271
.LBB177_1272:
	s_and_not1_b32 vcc_lo, exec_lo, s6
	s_cbranch_vccnz .LBB177_1275
; %bb.1273:
	s_clause 0x1
	s_load_b128 s[4:7], s[16:17], 0x4
	s_load_b64 s[2:3], s[16:17], 0xc4
	s_cmp_lt_u32 s24, 2
	s_waitcnt lgkmcnt(0)
	v_mul_hi_u32 v2, s5, v1
	s_delay_alu instid0(VALU_DEP_1) | instskip(NEXT) | instid1(VALU_DEP_1)
	v_add_nc_u32_e32 v2, v1, v2
	v_lshrrev_b32_e32 v7, s6, v2
	s_delay_alu instid0(VALU_DEP_1) | instskip(NEXT) | instid1(VALU_DEP_1)
	v_mul_lo_u32 v2, v7, s4
	v_sub_nc_u32_e32 v1, v1, v2
	s_delay_alu instid0(VALU_DEP_1)
	v_mul_lo_u32 v2, v1, s2
	v_mul_lo_u32 v6, v1, s3
	s_cbranch_scc1 .LBB177_1275
; %bb.1274:
	s_clause 0x1
	s_load_b128 s[4:7], s[16:17], 0x10
	s_load_b64 s[2:3], s[16:17], 0xcc
	s_waitcnt lgkmcnt(0)
	v_mul_hi_u32 v1, s5, v7
	s_delay_alu instid0(VALU_DEP_1) | instskip(NEXT) | instid1(VALU_DEP_1)
	v_add_nc_u32_e32 v1, v7, v1
	v_lshrrev_b32_e32 v1, s6, v1
	s_delay_alu instid0(VALU_DEP_1) | instskip(NEXT) | instid1(VALU_DEP_1)
	v_mul_lo_u32 v1, v1, s4
	v_sub_nc_u32_e32 v7, v7, v1
	s_delay_alu instid0(VALU_DEP_1) | instskip(SKIP_1) | instid1(VALU_DEP_2)
	v_mad_u64_u32 v[9:10], null, v7, s2, v[2:3]
	v_mad_u64_u32 v[1:2], null, v7, s3, v[6:7]
	v_mov_b32_e32 v2, v9
	s_delay_alu instid0(VALU_DEP_2)
	v_mov_b32_e32 v6, v1
.LBB177_1275:
	v_cmp_ne_u32_e32 vcc_lo, 1, v0
	v_add_nc_u32_e32 v7, 0x100, v8
	s_cbranch_vccnz .LBB177_1281
; %bb.1276:
	v_mov_b32_e32 v1, 0
	v_mov_b32_e32 v9, 0
	s_cmp_lg_u32 s24, 0
	s_mov_b32 s6, 0
	s_cbranch_scc0 .LBB177_1285
; %bb.1277:
	s_min_u32 s7, s25, 15
	v_mov_b32_e32 v1, 0
	s_add_i32 s7, s7, 1
	s_cmp_eq_u32 s25, 2
	s_mov_b32 s10, 0
	s_cbranch_scc1 .LBB177_1282
; %bb.1278:
	v_dual_mov_b32 v9, 0 :: v_dual_mov_b32 v8, v7
	v_mov_b32_e32 v1, 0
	s_add_u32 s2, s16, 0xc4
	s_addc_u32 s3, s17, 0
	s_and_b32 s10, s7, 28
	s_mov_b32 s11, 0
	s_mov_b64 s[4:5], s[16:17]
.LBB177_1279:                           ; =>This Inner Loop Header: Depth=1
	s_clause 0x1
	s_load_b256 s[36:43], s[4:5], 0x4
	s_load_b128 s[12:15], s[4:5], 0x24
	s_load_b256 s[44:51], s[2:3], 0x0
	s_add_u32 s4, s4, 48
	s_addc_u32 s5, s5, 0
	s_add_i32 s11, s11, 4
	s_add_u32 s2, s2, 32
	s_addc_u32 s3, s3, 0
	s_cmp_lg_u32 s10, s11
	s_waitcnt lgkmcnt(0)
	v_mul_hi_u32 v10, s37, v8
	s_delay_alu instid0(VALU_DEP_1) | instskip(NEXT) | instid1(VALU_DEP_1)
	v_add_nc_u32_e32 v10, v8, v10
	v_lshrrev_b32_e32 v10, s38, v10
	s_delay_alu instid0(VALU_DEP_1) | instskip(SKIP_1) | instid1(VALU_DEP_2)
	v_mul_hi_u32 v11, s40, v10
	v_mul_lo_u32 v13, v10, s36
	v_add_nc_u32_e32 v11, v10, v11
	s_delay_alu instid0(VALU_DEP_2) | instskip(NEXT) | instid1(VALU_DEP_2)
	v_sub_nc_u32_e32 v8, v8, v13
	v_lshrrev_b32_e32 v11, s41, v11
	s_delay_alu instid0(VALU_DEP_2) | instskip(SKIP_1) | instid1(VALU_DEP_3)
	v_mul_lo_u32 v13, v8, s44
	v_mul_lo_u32 v15, v8, s45
	v_mul_hi_u32 v12, s43, v11
	s_delay_alu instid0(VALU_DEP_1) | instskip(NEXT) | instid1(VALU_DEP_1)
	v_add_nc_u32_e32 v12, v11, v12
	v_lshrrev_b32_e32 v12, s12, v12
	s_delay_alu instid0(VALU_DEP_1) | instskip(SKIP_1) | instid1(VALU_DEP_2)
	v_mul_hi_u32 v14, s14, v12
	v_mul_lo_u32 v16, v12, s42
	v_add_nc_u32_e32 v8, v12, v14
	v_mul_lo_u32 v14, v11, s39
	s_delay_alu instid0(VALU_DEP_3) | instskip(NEXT) | instid1(VALU_DEP_3)
	v_sub_nc_u32_e32 v11, v11, v16
	v_lshrrev_b32_e32 v8, s15, v8
	s_delay_alu instid0(VALU_DEP_2) | instskip(SKIP_2) | instid1(VALU_DEP_4)
	v_mul_lo_u32 v16, v11, s48
	v_mul_lo_u32 v11, v11, s49
	v_sub_nc_u32_e32 v10, v10, v14
	v_mul_lo_u32 v17, v8, s13
	s_delay_alu instid0(VALU_DEP_2) | instskip(SKIP_1) | instid1(VALU_DEP_3)
	v_mul_lo_u32 v14, v10, s46
	v_mul_lo_u32 v10, v10, s47
	v_sub_nc_u32_e32 v12, v12, v17
	s_delay_alu instid0(VALU_DEP_3) | instskip(NEXT) | instid1(VALU_DEP_2)
	v_add3_u32 v1, v13, v1, v14
	v_mul_lo_u32 v17, v12, s50
	v_mul_lo_u32 v12, v12, s51
	v_add3_u32 v9, v15, v9, v10
	s_delay_alu instid0(VALU_DEP_3) | instskip(NEXT) | instid1(VALU_DEP_2)
	v_add3_u32 v1, v16, v1, v17
	v_add3_u32 v9, v11, v9, v12
	s_cbranch_scc1 .LBB177_1279
; %bb.1280:
	s_and_b32 s7, s7, 3
	s_delay_alu instid0(SALU_CYCLE_1)
	s_cmp_eq_u32 s7, 0
	s_cbranch_scc0 .LBB177_1283
	s_branch .LBB177_1285
.LBB177_1281:
	s_mov_b32 s6, -1
                                        ; implicit-def: $vgpr1
                                        ; implicit-def: $vgpr9
	s_branch .LBB177_1285
.LBB177_1282:
	v_dual_mov_b32 v8, v7 :: v_dual_mov_b32 v9, 0
	s_and_b32 s7, s7, 3
	s_delay_alu instid0(SALU_CYCLE_1)
	s_cmp_eq_u32 s7, 0
	s_cbranch_scc1 .LBB177_1285
.LBB177_1283:
	s_lshl_b32 s2, s10, 3
	s_mul_i32 s4, s10, 12
	s_add_u32 s2, s2, s16
	s_addc_u32 s3, 0, s17
	s_add_u32 s2, s2, 0xc4
	s_addc_u32 s3, s3, 0
	;; [unrolled: 2-line block ×3, first 2 shown]
	.p2align	6
.LBB177_1284:                           ; =>This Inner Loop Header: Depth=1
	s_clause 0x1
	s_load_b64 s[10:11], s[4:5], 0x4
	s_load_b32 s14, s[4:5], 0xc
	s_load_b64 s[12:13], s[2:3], 0x0
	s_add_u32 s4, s4, 12
	s_addc_u32 s5, s5, 0
	s_add_u32 s2, s2, 8
	s_addc_u32 s3, s3, 0
	s_add_i32 s7, s7, -1
	s_delay_alu instid0(SALU_CYCLE_1) | instskip(SKIP_2) | instid1(VALU_DEP_1)
	s_cmp_lg_u32 s7, 0
	s_waitcnt lgkmcnt(0)
	v_mul_hi_u32 v10, s11, v8
	v_add_nc_u32_e32 v10, v8, v10
	s_delay_alu instid0(VALU_DEP_1) | instskip(NEXT) | instid1(VALU_DEP_1)
	v_lshrrev_b32_e32 v13, s14, v10
	v_mul_lo_u32 v10, v13, s10
	s_delay_alu instid0(VALU_DEP_1) | instskip(NEXT) | instid1(VALU_DEP_1)
	v_sub_nc_u32_e32 v8, v8, v10
	v_mad_u64_u32 v[10:11], null, v8, s12, v[1:2]
	s_delay_alu instid0(VALU_DEP_1) | instskip(SKIP_1) | instid1(VALU_DEP_2)
	v_mad_u64_u32 v[11:12], null, v8, s13, v[9:10]
	v_dual_mov_b32 v8, v13 :: v_dual_mov_b32 v1, v10
	v_mov_b32_e32 v9, v11
	s_cbranch_scc1 .LBB177_1284
.LBB177_1285:
	s_and_not1_b32 vcc_lo, exec_lo, s6
	s_cbranch_vccnz .LBB177_1288
; %bb.1286:
	s_clause 0x1
	s_load_b128 s[4:7], s[16:17], 0x4
	s_load_b64 s[2:3], s[16:17], 0xc4
	s_cmp_lt_u32 s24, 2
	s_waitcnt lgkmcnt(0)
	v_mul_hi_u32 v1, s5, v7
	s_delay_alu instid0(VALU_DEP_1) | instskip(NEXT) | instid1(VALU_DEP_1)
	v_add_nc_u32_e32 v1, v7, v1
	v_lshrrev_b32_e32 v8, s6, v1
	s_delay_alu instid0(VALU_DEP_1) | instskip(NEXT) | instid1(VALU_DEP_1)
	v_mul_lo_u32 v1, v8, s4
	v_sub_nc_u32_e32 v7, v7, v1
	s_delay_alu instid0(VALU_DEP_1)
	v_mul_lo_u32 v1, v7, s2
	v_mul_lo_u32 v9, v7, s3
	s_cbranch_scc1 .LBB177_1288
; %bb.1287:
	s_clause 0x1
	s_load_b128 s[4:7], s[16:17], 0x10
	s_load_b64 s[2:3], s[16:17], 0xcc
	s_waitcnt lgkmcnt(0)
	v_mul_hi_u32 v7, s5, v8
	s_delay_alu instid0(VALU_DEP_1) | instskip(NEXT) | instid1(VALU_DEP_1)
	v_add_nc_u32_e32 v7, v8, v7
	v_lshrrev_b32_e32 v7, s6, v7
	s_delay_alu instid0(VALU_DEP_1) | instskip(NEXT) | instid1(VALU_DEP_1)
	v_mul_lo_u32 v7, v7, s4
	v_sub_nc_u32_e32 v12, v8, v7
	s_delay_alu instid0(VALU_DEP_1) | instskip(SKIP_1) | instid1(VALU_DEP_2)
	v_mad_u64_u32 v[7:8], null, v12, s2, v[1:2]
	v_mad_u64_u32 v[10:11], null, v12, s3, v[9:10]
	v_mov_b32_e32 v1, v7
	s_delay_alu instid0(VALU_DEP_2)
	v_mov_b32_e32 v9, v10
.LBB177_1288:
	v_cmp_ne_u32_e32 vcc_lo, 1, v0
	s_cbranch_vccnz .LBB177_1294
; %bb.1289:
	v_mov_b32_e32 v0, 0
	v_mov_b32_e32 v8, 0
	s_cmp_lg_u32 s24, 0
	s_mov_b32 s6, 0
	s_cbranch_scc0 .LBB177_1298
; %bb.1290:
	s_min_u32 s7, s25, 15
	v_mov_b32_e32 v0, 0
	s_add_i32 s7, s7, 1
	s_cmp_eq_u32 s25, 2
	s_mov_b32 s10, 0
	s_cbranch_scc1 .LBB177_1295
; %bb.1291:
	v_dual_mov_b32 v8, 0 :: v_dual_mov_b32 v7, v5
	v_mov_b32_e32 v0, 0
	s_add_u32 s2, s16, 0xc4
	s_addc_u32 s3, s17, 0
	s_and_b32 s10, s7, 28
	s_mov_b32 s11, 0
	s_mov_b64 s[4:5], s[16:17]
.LBB177_1292:                           ; =>This Inner Loop Header: Depth=1
	s_clause 0x1
	s_load_b256 s[36:43], s[4:5], 0x4
	s_load_b128 s[12:15], s[4:5], 0x24
	s_load_b256 s[44:51], s[2:3], 0x0
	s_add_u32 s4, s4, 48
	s_addc_u32 s5, s5, 0
	s_add_i32 s11, s11, 4
	s_add_u32 s2, s2, 32
	s_addc_u32 s3, s3, 0
	s_cmp_lg_u32 s10, s11
	s_waitcnt lgkmcnt(0)
	v_mul_hi_u32 v10, s37, v7
	s_delay_alu instid0(VALU_DEP_1) | instskip(NEXT) | instid1(VALU_DEP_1)
	v_add_nc_u32_e32 v10, v7, v10
	v_lshrrev_b32_e32 v10, s38, v10
	s_delay_alu instid0(VALU_DEP_1) | instskip(SKIP_1) | instid1(VALU_DEP_2)
	v_mul_hi_u32 v11, s40, v10
	v_mul_lo_u32 v13, v10, s36
	v_add_nc_u32_e32 v11, v10, v11
	s_delay_alu instid0(VALU_DEP_2) | instskip(NEXT) | instid1(VALU_DEP_2)
	v_sub_nc_u32_e32 v7, v7, v13
	v_lshrrev_b32_e32 v11, s41, v11
	s_delay_alu instid0(VALU_DEP_2) | instskip(SKIP_1) | instid1(VALU_DEP_3)
	v_mul_lo_u32 v13, v7, s44
	v_mul_lo_u32 v15, v7, s45
	v_mul_hi_u32 v12, s43, v11
	s_delay_alu instid0(VALU_DEP_1) | instskip(NEXT) | instid1(VALU_DEP_1)
	v_add_nc_u32_e32 v12, v11, v12
	v_lshrrev_b32_e32 v12, s12, v12
	s_delay_alu instid0(VALU_DEP_1) | instskip(SKIP_1) | instid1(VALU_DEP_2)
	v_mul_hi_u32 v14, s14, v12
	v_mul_lo_u32 v16, v12, s42
	v_add_nc_u32_e32 v7, v12, v14
	v_mul_lo_u32 v14, v11, s39
	s_delay_alu instid0(VALU_DEP_3) | instskip(NEXT) | instid1(VALU_DEP_3)
	v_sub_nc_u32_e32 v11, v11, v16
	v_lshrrev_b32_e32 v7, s15, v7
	s_delay_alu instid0(VALU_DEP_2) | instskip(SKIP_2) | instid1(VALU_DEP_4)
	v_mul_lo_u32 v16, v11, s48
	v_mul_lo_u32 v11, v11, s49
	v_sub_nc_u32_e32 v10, v10, v14
	v_mul_lo_u32 v17, v7, s13
	s_delay_alu instid0(VALU_DEP_2) | instskip(SKIP_1) | instid1(VALU_DEP_3)
	v_mul_lo_u32 v14, v10, s46
	v_mul_lo_u32 v10, v10, s47
	v_sub_nc_u32_e32 v12, v12, v17
	s_delay_alu instid0(VALU_DEP_3) | instskip(NEXT) | instid1(VALU_DEP_2)
	v_add3_u32 v0, v13, v0, v14
	v_mul_lo_u32 v17, v12, s50
	v_mul_lo_u32 v12, v12, s51
	v_add3_u32 v8, v15, v8, v10
	s_delay_alu instid0(VALU_DEP_3) | instskip(NEXT) | instid1(VALU_DEP_2)
	v_add3_u32 v0, v16, v0, v17
	v_add3_u32 v8, v11, v8, v12
	s_cbranch_scc1 .LBB177_1292
; %bb.1293:
	s_and_b32 s7, s7, 3
	s_delay_alu instid0(SALU_CYCLE_1)
	s_cmp_eq_u32 s7, 0
	s_cbranch_scc0 .LBB177_1296
	s_branch .LBB177_1298
.LBB177_1294:
	s_mov_b32 s6, -1
                                        ; implicit-def: $vgpr0
                                        ; implicit-def: $vgpr8
	s_branch .LBB177_1298
.LBB177_1295:
	v_dual_mov_b32 v7, v5 :: v_dual_mov_b32 v8, 0
	s_and_b32 s7, s7, 3
	s_delay_alu instid0(SALU_CYCLE_1)
	s_cmp_eq_u32 s7, 0
	s_cbranch_scc1 .LBB177_1298
.LBB177_1296:
	s_lshl_b32 s2, s10, 3
	s_mul_i32 s4, s10, 12
	s_add_u32 s2, s2, s16
	s_addc_u32 s3, 0, s17
	s_add_u32 s2, s2, 0xc4
	s_addc_u32 s3, s3, 0
	;; [unrolled: 2-line block ×3, first 2 shown]
	.p2align	6
.LBB177_1297:                           ; =>This Inner Loop Header: Depth=1
	s_clause 0x1
	s_load_b64 s[10:11], s[4:5], 0x4
	s_load_b32 s14, s[4:5], 0xc
	s_load_b64 s[12:13], s[2:3], 0x0
	s_add_u32 s4, s4, 12
	s_addc_u32 s5, s5, 0
	s_add_u32 s2, s2, 8
	s_addc_u32 s3, s3, 0
	s_add_i32 s7, s7, -1
	s_delay_alu instid0(SALU_CYCLE_1) | instskip(SKIP_2) | instid1(VALU_DEP_1)
	s_cmp_lg_u32 s7, 0
	s_waitcnt lgkmcnt(0)
	v_mul_hi_u32 v10, s11, v7
	v_add_nc_u32_e32 v10, v7, v10
	s_delay_alu instid0(VALU_DEP_1) | instskip(NEXT) | instid1(VALU_DEP_1)
	v_lshrrev_b32_e32 v13, s14, v10
	v_mul_lo_u32 v10, v13, s10
	s_delay_alu instid0(VALU_DEP_1) | instskip(NEXT) | instid1(VALU_DEP_1)
	v_sub_nc_u32_e32 v7, v7, v10
	v_mad_u64_u32 v[10:11], null, v7, s12, v[0:1]
	v_mad_u64_u32 v[11:12], null, v7, s13, v[8:9]
	s_delay_alu instid0(VALU_DEP_2) | instskip(NEXT) | instid1(VALU_DEP_2)
	v_dual_mov_b32 v7, v13 :: v_dual_mov_b32 v0, v10
	v_mov_b32_e32 v8, v11
	s_cbranch_scc1 .LBB177_1297
.LBB177_1298:
	s_and_not1_b32 vcc_lo, exec_lo, s6
	s_cbranch_vccnz .LBB177_1301
; %bb.1299:
	s_clause 0x1
	s_load_b128 s[4:7], s[16:17], 0x4
	s_load_b64 s[2:3], s[16:17], 0xc4
	s_cmp_lt_u32 s24, 2
	s_waitcnt lgkmcnt(0)
	v_mul_hi_u32 v0, s5, v5
	s_delay_alu instid0(VALU_DEP_1) | instskip(NEXT) | instid1(VALU_DEP_1)
	v_add_nc_u32_e32 v0, v5, v0
	v_lshrrev_b32_e32 v7, s6, v0
	s_delay_alu instid0(VALU_DEP_1) | instskip(NEXT) | instid1(VALU_DEP_1)
	v_mul_lo_u32 v0, v7, s4
	v_sub_nc_u32_e32 v5, v5, v0
	s_delay_alu instid0(VALU_DEP_1)
	v_mul_lo_u32 v0, v5, s2
	v_mul_lo_u32 v8, v5, s3
	s_cbranch_scc1 .LBB177_1301
; %bb.1300:
	s_clause 0x1
	s_load_b128 s[4:7], s[16:17], 0x10
	s_load_b64 s[2:3], s[16:17], 0xcc
	s_waitcnt lgkmcnt(0)
	v_mul_hi_u32 v5, s5, v7
	s_delay_alu instid0(VALU_DEP_1) | instskip(NEXT) | instid1(VALU_DEP_1)
	v_add_nc_u32_e32 v5, v7, v5
	v_lshrrev_b32_e32 v5, s6, v5
	s_delay_alu instid0(VALU_DEP_1) | instskip(NEXT) | instid1(VALU_DEP_1)
	v_mul_lo_u32 v5, v5, s4
	v_sub_nc_u32_e32 v5, v7, v5
	s_delay_alu instid0(VALU_DEP_1) | instskip(SKIP_1) | instid1(VALU_DEP_2)
	v_mad_u64_u32 v[10:11], null, v5, s2, v[0:1]
	v_mad_u64_u32 v[11:12], null, v5, s3, v[8:9]
	v_mov_b32_e32 v0, v10
	s_delay_alu instid0(VALU_DEP_2)
	v_mov_b32_e32 v8, v11
.LBB177_1301:
	s_clause 0x1
	s_load_b32 s3, s[0:1], 0x160
	s_load_b128 s[4:7], s[16:17], 0x148
	s_mov_b32 s10, 0
	s_waitcnt lgkmcnt(0)
	s_lshr_b32 s0, s3, 16
	s_delay_alu instid0(SALU_CYCLE_1) | instskip(SKIP_1) | instid1(VALU_DEP_1)
	v_and_b32_e64 v16, 0xff, s0
	v_add_co_u32 v4, s0, s6, v4
	v_add_co_ci_u32_e64 v5, null, s7, 0, s0
	s_delay_alu instid0(VALU_DEP_3)
	v_cmp_gt_i16_e32 vcc_lo, 11, v16
	s_cbranch_vccnz .LBB177_1308
; %bb.1302:
	v_cmp_lt_i16_e32 vcc_lo, 25, v16
	s_mov_b32 s1, 0
	s_cbranch_vccz .LBB177_1314
; %bb.1303:
	v_cmp_lt_i16_e32 vcc_lo, 28, v16
	s_cbranch_vccz .LBB177_1317
; %bb.1304:
	v_cmp_lt_i16_e32 vcc_lo, 43, v16
	;; [unrolled: 3-line block ×3, first 2 shown]
	s_cbranch_vccz .LBB177_1323
; %bb.1306:
	v_cmp_eq_u16_e32 vcc_lo, 46, v16
	s_mov_b32 s2, 0
	s_cbranch_vccz .LBB177_1366
; %bb.1307:
	global_load_b32 v7, v[4:5], off
	s_mov_b32 s0, 0
	s_mov_b32 s10, -1
	s_waitcnt vmcnt(0)
	v_and_b32_e32 v11, 0xffff0000, v7
	v_lshlrev_b32_e32 v10, 16, v7
	s_branch .LBB177_1368
.LBB177_1308:
	s_mov_b32 s2, s8
                                        ; implicit-def: $vgpr11
	s_cbranch_execz .LBB177_1434
; %bb.1309:
	v_cmp_gt_i16_e32 vcc_lo, 5, v16
	s_cbranch_vccnz .LBB177_1315
; %bb.1310:
	v_cmp_gt_i16_e32 vcc_lo, 8, v16
	s_cbranch_vccnz .LBB177_1318
	;; [unrolled: 3-line block ×3, first 2 shown]
; %bb.1312:
	v_cmp_lt_i16_e32 vcc_lo, 9, v16
	s_cbranch_vccz .LBB177_1324
; %bb.1313:
	global_load_b128 v[10:13], v[4:5], off
	s_mov_b32 s0, 0
	s_waitcnt vmcnt(0)
	v_cvt_f32_f64_e32 v10, v[10:11]
	v_cvt_f32_f64_e32 v11, v[12:13]
	s_branch .LBB177_1325
.LBB177_1314:
	s_mov_b32 s0, 0
                                        ; implicit-def: $vgpr11
	s_cbranch_execnz .LBB177_1400
	s_branch .LBB177_1430
.LBB177_1315:
                                        ; implicit-def: $vgpr11
	s_branch .LBB177_1343
.LBB177_1316:
	s_branch .LBB177_1435
.LBB177_1317:
	s_mov_b32 s0, 0
                                        ; implicit-def: $vgpr11
	s_cbranch_execnz .LBB177_1380
	s_branch .LBB177_1399
.LBB177_1318:
                                        ; implicit-def: $vgpr11
	s_branch .LBB177_1331
.LBB177_1319:
	s_mov_b32 s2, -1
	s_mov_b32 s0, 0
                                        ; implicit-def: $vgpr11
	s_branch .LBB177_1374
.LBB177_1320:
	s_mov_b32 s0, -1
                                        ; implicit-def: $vgpr11
	s_branch .LBB177_1328
.LBB177_1321:
	s_cbranch_execnz .LBB177_1364
; %bb.1322:
	s_or_b32 s6, s6, exec_lo
	s_and_not1_b32 s8, s8, exec_lo
	s_or_b32 exec_lo, exec_lo, s2
	s_and_saveexec_b32 s2, s8
	s_delay_alu instid0(SALU_CYCLE_1)
	s_xor_b32 s4, exec_lo, s2
	s_cbranch_execnz .LBB177_1208
	s_branch .LBB177_1209
.LBB177_1323:
	s_mov_b32 s2, -1
	s_mov_b32 s0, 0
	s_branch .LBB177_1367
.LBB177_1324:
	s_mov_b32 s0, -1
                                        ; implicit-def: $vgpr11
.LBB177_1325:
	s_delay_alu instid0(SALU_CYCLE_1)
	s_and_not1_b32 vcc_lo, exec_lo, s0
	s_cbranch_vccnz .LBB177_1327
; %bb.1326:
	global_load_b64 v[10:11], v[4:5], off
.LBB177_1327:
	s_mov_b32 s0, 0
.LBB177_1328:
	s_delay_alu instid0(SALU_CYCLE_1)
	s_and_not1_b32 vcc_lo, exec_lo, s0
	s_cbranch_vccnz .LBB177_1330
; %bb.1329:
	global_load_b32 v7, v[4:5], off
	s_waitcnt vmcnt(0)
	v_lshrrev_b32_e32 v11, 16, v7
	v_cvt_f32_f16_e32 v10, v7
	s_delay_alu instid0(VALU_DEP_2)
	v_cvt_f32_f16_e32 v11, v11
.LBB177_1330:
	s_cbranch_execnz .LBB177_1342
.LBB177_1331:
	v_cmp_gt_i16_e32 vcc_lo, 6, v16
	s_cbranch_vccnz .LBB177_1334
; %bb.1332:
	v_cmp_lt_i16_e32 vcc_lo, 6, v16
	s_cbranch_vccz .LBB177_1335
; %bb.1333:
	global_load_b64 v[10:11], v[4:5], off
	s_mov_b32 s1, 0
	s_mov_b32 s0, 0
	s_waitcnt vmcnt(0)
	v_cvt_f32_f64_e32 v10, v[10:11]
	s_branch .LBB177_1336
.LBB177_1334:
	s_mov_b32 s1, -1
                                        ; implicit-def: $sgpr0
                                        ; implicit-def: $vgpr10
	s_branch .LBB177_1339
.LBB177_1335:
	s_mov_b32 s1, -1
                                        ; implicit-def: $sgpr0
                                        ; implicit-def: $vgpr10
.LBB177_1336:
	s_delay_alu instid0(SALU_CYCLE_1)
	s_and_not1_b32 vcc_lo, exec_lo, s1
	s_cbranch_vccnz .LBB177_1338
; %bb.1337:
	global_load_b32 v10, v[4:5], off
	s_mov_b32 s0, 0
.LBB177_1338:
	s_mov_b32 s1, 0
.LBB177_1339:
	s_delay_alu instid0(SALU_CYCLE_1)
	s_and_not1_b32 vcc_lo, exec_lo, s1
	s_cbranch_vccnz .LBB177_1341
; %bb.1340:
	global_load_u16 v7, v[4:5], off
	s_mov_b32 s0, 0
	s_waitcnt vmcnt(0)
	v_cvt_f32_f16_e32 v10, v7
.LBB177_1341:
	s_waitcnt vmcnt(0)
	v_mov_b32_e32 v11, s0
.LBB177_1342:
	s_cbranch_execnz .LBB177_1316
.LBB177_1343:
	v_cmp_gt_i16_e32 vcc_lo, 2, v16
	s_cbranch_vccnz .LBB177_1347
; %bb.1344:
	v_cmp_gt_i16_e32 vcc_lo, 3, v16
	s_cbranch_vccnz .LBB177_1348
; %bb.1345:
	v_cmp_lt_i16_e32 vcc_lo, 3, v16
	s_cbranch_vccz .LBB177_1349
; %bb.1346:
	global_load_b64 v[10:11], v[4:5], off
	s_mov_b32 s1, 0
	s_mov_b32 s0, 0
	s_waitcnt vmcnt(0)
	v_xor_b32_e32 v7, v10, v11
	v_cls_i32_e32 v12, v11
	s_delay_alu instid0(VALU_DEP_2) | instskip(NEXT) | instid1(VALU_DEP_2)
	v_ashrrev_i32_e32 v7, 31, v7
	v_add_nc_u32_e32 v12, -1, v12
	s_delay_alu instid0(VALU_DEP_2) | instskip(NEXT) | instid1(VALU_DEP_1)
	v_add_nc_u32_e32 v7, 32, v7
	v_min_u32_e32 v7, v12, v7
	s_delay_alu instid0(VALU_DEP_1) | instskip(SKIP_1) | instid1(VALU_DEP_2)
	v_lshlrev_b64 v[10:11], v7, v[10:11]
	v_sub_nc_u32_e32 v7, 32, v7
	v_min_u32_e32 v10, 1, v10
	s_delay_alu instid0(VALU_DEP_1) | instskip(NEXT) | instid1(VALU_DEP_1)
	v_or_b32_e32 v10, v11, v10
	v_cvt_f32_i32_e32 v10, v10
	s_delay_alu instid0(VALU_DEP_1)
	v_ldexp_f32 v10, v10, v7
	s_branch .LBB177_1350
.LBB177_1347:
                                        ; implicit-def: $sgpr0
                                        ; implicit-def: $vgpr10
	s_branch .LBB177_1356
.LBB177_1348:
	s_mov_b32 s1, -1
                                        ; implicit-def: $sgpr0
                                        ; implicit-def: $vgpr10
	s_branch .LBB177_1353
.LBB177_1349:
	s_mov_b32 s1, -1
                                        ; implicit-def: $sgpr0
                                        ; implicit-def: $vgpr10
.LBB177_1350:
	s_delay_alu instid0(SALU_CYCLE_1)
	s_and_not1_b32 vcc_lo, exec_lo, s1
	s_cbranch_vccnz .LBB177_1352
; %bb.1351:
	global_load_b32 v7, v[4:5], off
	s_mov_b32 s0, 0
	s_waitcnt vmcnt(0)
	v_cvt_f32_i32_e32 v10, v7
.LBB177_1352:
	s_mov_b32 s1, 0
.LBB177_1353:
	s_delay_alu instid0(SALU_CYCLE_1)
	s_and_not1_b32 vcc_lo, exec_lo, s1
	s_cbranch_vccnz .LBB177_1355
; %bb.1354:
	global_load_i16 v7, v[4:5], off
	s_mov_b32 s0, 0
	s_waitcnt vmcnt(0)
	v_cvt_f32_i32_e32 v10, v7
.LBB177_1355:
	s_cbranch_execnz .LBB177_1361
.LBB177_1356:
	v_cmp_lt_i16_e32 vcc_lo, 0, v16
	s_mov_b32 s1, 0
	s_cbranch_vccz .LBB177_1358
; %bb.1357:
	global_load_i8 v7, v[4:5], off
	s_mov_b32 s0, 0
	s_waitcnt vmcnt(0)
	v_cvt_f32_i32_e32 v10, v7
	s_branch .LBB177_1359
.LBB177_1358:
	s_mov_b32 s1, -1
                                        ; implicit-def: $sgpr0
                                        ; implicit-def: $vgpr10
.LBB177_1359:
	s_delay_alu instid0(SALU_CYCLE_1)
	s_and_not1_b32 vcc_lo, exec_lo, s1
	s_cbranch_vccnz .LBB177_1361
; %bb.1360:
	global_load_u8 v4, v[4:5], off
	s_mov_b32 s0, 0
	s_waitcnt vmcnt(0)
	v_cvt_f32_ubyte0_e32 v10, v4
.LBB177_1361:
	s_waitcnt vmcnt(0)
	v_mov_b32_e32 v11, s0
	s_branch .LBB177_1435
.LBB177_1362:
	s_trap 2
	s_sendmsg_rtn_b32 s0, sendmsg(MSG_RTN_GET_DOORBELL)
	s_mov_b32 ttmp2, m0
	s_waitcnt lgkmcnt(0)
	s_and_b32 s0, s0, 0x3ff
	s_delay_alu instid0(SALU_CYCLE_1) | instskip(NEXT) | instid1(SALU_CYCLE_1)
	s_bitset1_b32 s0, 10
	s_mov_b32 m0, s0
	s_sendmsg sendmsg(MSG_INTERRUPT)
	s_mov_b32 m0, ttmp2
.LBB177_1363:                           ; =>This Inner Loop Header: Depth=1
	s_sethalt 5
	s_branch .LBB177_1363
.LBB177_1364:
	s_trap 2
	s_sendmsg_rtn_b32 s0, sendmsg(MSG_RTN_GET_DOORBELL)
	s_mov_b32 ttmp2, m0
	s_waitcnt lgkmcnt(0)
	s_and_b32 s0, s0, 0x3ff
	s_delay_alu instid0(SALU_CYCLE_1) | instskip(NEXT) | instid1(SALU_CYCLE_1)
	s_bitset1_b32 s0, 10
	s_mov_b32 m0, s0
	s_sendmsg sendmsg(MSG_INTERRUPT)
	s_mov_b32 m0, ttmp2
.LBB177_1365:                           ; =>This Inner Loop Header: Depth=1
	s_sethalt 5
	s_branch .LBB177_1365
.LBB177_1366:
	s_mov_b32 s0, -1
.LBB177_1367:
                                        ; implicit-def: $vgpr11
.LBB177_1368:
	s_and_b32 vcc_lo, exec_lo, s2
	s_cbranch_vccz .LBB177_1373
; %bb.1369:
	v_cmp_eq_u16_e32 vcc_lo, 44, v16
	s_cbranch_vccz .LBB177_1371
; %bb.1370:
	global_load_u8 v7, v[4:5], off
	s_mov_b32 s0, 0
	s_mov_b32 s10, -1
	s_waitcnt vmcnt(0)
	v_lshlrev_b32_e32 v10, 23, v7
	v_cmp_ne_u32_e32 vcc_lo, 0xff, v7
	s_delay_alu instid0(VALU_DEP_2) | instskip(SKIP_1) | instid1(VALU_DEP_2)
	v_cndmask_b32_e32 v10, 0x7f800001, v10, vcc_lo
	v_cmp_ne_u32_e32 vcc_lo, 0, v7
	v_cndmask_b32_e32 v10, 0x400000, v10, vcc_lo
	s_branch .LBB177_1372
.LBB177_1371:
	s_mov_b32 s0, -1
                                        ; implicit-def: $vgpr10
.LBB177_1372:
	s_delay_alu instid0(SALU_CYCLE_1)
	v_mov_b32_e32 v11, s0
.LBB177_1373:
	s_mov_b32 s2, 0
.LBB177_1374:
	s_delay_alu instid0(SALU_CYCLE_1)
	s_and_b32 vcc_lo, exec_lo, s2
	s_cbranch_vccz .LBB177_1379
; %bb.1375:
	v_cmp_eq_u16_e32 vcc_lo, 29, v16
	s_cbranch_vccz .LBB177_1377
; %bb.1376:
	global_load_b64 v[10:11], v[4:5], off
	s_mov_b32 s0, 0
	s_mov_b32 s10, -1
	s_mov_b32 s2, 0
	s_waitcnt vmcnt(0)
	v_clz_i32_u32_e32 v7, v11
	s_delay_alu instid0(VALU_DEP_1) | instskip(NEXT) | instid1(VALU_DEP_1)
	v_min_u32_e32 v7, 32, v7
	v_lshlrev_b64 v[10:11], v7, v[10:11]
	v_sub_nc_u32_e32 v7, 32, v7
	s_delay_alu instid0(VALU_DEP_2) | instskip(NEXT) | instid1(VALU_DEP_1)
	v_min_u32_e32 v10, 1, v10
	v_or_b32_e32 v10, v11, v10
	s_delay_alu instid0(VALU_DEP_1) | instskip(NEXT) | instid1(VALU_DEP_1)
	v_cvt_f32_u32_e32 v10, v10
	v_ldexp_f32 v10, v10, v7
	s_branch .LBB177_1378
.LBB177_1377:
	s_mov_b32 s0, -1
                                        ; implicit-def: $sgpr2
                                        ; implicit-def: $vgpr10
.LBB177_1378:
	v_mov_b32_e32 v11, s2
.LBB177_1379:
	s_branch .LBB177_1399
.LBB177_1380:
	v_cmp_gt_i16_e32 vcc_lo, 27, v16
	s_cbranch_vccnz .LBB177_1383
; %bb.1381:
	v_cmp_lt_i16_e32 vcc_lo, 27, v16
	s_cbranch_vccz .LBB177_1384
; %bb.1382:
	global_load_b32 v7, v[4:5], off
	s_mov_b32 s10, 0
	s_mov_b32 s2, 0
	s_waitcnt vmcnt(0)
	v_cvt_f32_u32_e32 v10, v7
	s_branch .LBB177_1385
.LBB177_1383:
	s_mov_b32 s10, -1
                                        ; implicit-def: $sgpr2
                                        ; implicit-def: $vgpr10
	s_branch .LBB177_1388
.LBB177_1384:
	s_mov_b32 s10, -1
                                        ; implicit-def: $sgpr2
                                        ; implicit-def: $vgpr10
.LBB177_1385:
	s_delay_alu instid0(SALU_CYCLE_1)
	s_and_not1_b32 vcc_lo, exec_lo, s10
	s_cbranch_vccnz .LBB177_1387
; %bb.1386:
	global_load_u16 v7, v[4:5], off
	s_mov_b32 s2, 0
	s_waitcnt vmcnt(0)
	v_cvt_f32_u32_e32 v10, v7
.LBB177_1387:
	s_mov_b32 s10, 0
.LBB177_1388:
	v_mov_b32_e32 v11, s2
	s_and_not1_b32 vcc_lo, exec_lo, s10
	s_cbranch_vccnz .LBB177_1398
; %bb.1389:
	global_load_u8 v7, v[4:5], off
	s_mov_b32 s2, 0
	s_mov_b32 s12, exec_lo
                                        ; implicit-def: $sgpr11
                                        ; implicit-def: $sgpr10
	s_waitcnt vmcnt(0)
	v_cmpx_lt_i16_e32 0x7f, v7
	s_xor_b32 s12, exec_lo, s12
	s_cbranch_execz .LBB177_1393
; %bb.1390:
	s_mov_b32 s2, -1
	s_mov_b32 s13, exec_lo
                                        ; implicit-def: $sgpr11
                                        ; implicit-def: $sgpr10
	v_cmpx_eq_u16_e32 0x80, v7
; %bb.1391:
	s_mov_b32 s10, 0x7f800001
	s_mov_b32 s11, 0
	s_xor_b32 s2, exec_lo, -1
; %bb.1392:
	s_or_b32 exec_lo, exec_lo, s13
	s_delay_alu instid0(SALU_CYCLE_1)
	s_and_b32 s2, s2, exec_lo
.LBB177_1393:
	s_or_saveexec_b32 s12, s12
	v_dual_mov_b32 v11, s11 :: v_dual_mov_b32 v10, s10
	s_xor_b32 exec_lo, exec_lo, s12
; %bb.1394:
	v_mov_b32_e32 v11, 0
	v_cmp_ne_u16_e32 vcc_lo, 0, v7
	s_and_not1_b32 s2, s2, exec_lo
	s_delay_alu instid0(VALU_DEP_2) | instskip(SKIP_1) | instid1(SALU_CYCLE_1)
	v_mov_b32_e32 v10, v11
	s_and_b32 s10, vcc_lo, exec_lo
	s_or_b32 s2, s2, s10
; %bb.1395:
	s_or_b32 exec_lo, exec_lo, s12
	s_and_saveexec_b32 s10, s2
	s_cbranch_execz .LBB177_1397
; %bb.1396:
	v_and_b32_e32 v10, 0xffff, v7
	v_lshlrev_b32_e32 v7, 24, v7
	s_delay_alu instid0(VALU_DEP_2) | instskip(NEXT) | instid1(VALU_DEP_2)
	v_and_b32_e32 v11, 7, v10
	v_and_b32_e32 v7, 0x80000000, v7
	s_delay_alu instid0(VALU_DEP_2) | instskip(NEXT) | instid1(VALU_DEP_1)
	v_clz_i32_u32_e32 v12, v11
	v_min_u32_e32 v12, 32, v12
	s_delay_alu instid0(VALU_DEP_1) | instskip(SKIP_1) | instid1(VALU_DEP_2)
	v_subrev_nc_u32_e32 v13, 28, v12
	v_sub_nc_u32_e32 v12, 29, v12
	v_lshlrev_b32_e32 v13, v13, v10
	v_bfe_u32 v10, v10, 3, 4
	s_delay_alu instid0(VALU_DEP_2) | instskip(NEXT) | instid1(VALU_DEP_2)
	v_and_b32_e32 v13, 7, v13
	v_cmp_eq_u32_e32 vcc_lo, 0, v10
	s_delay_alu instid0(VALU_DEP_2) | instskip(NEXT) | instid1(VALU_DEP_1)
	v_dual_cndmask_b32 v10, v10, v12 :: v_dual_cndmask_b32 v11, v11, v13
	v_lshl_add_u32 v10, v10, 23, 0x3b800000
	s_delay_alu instid0(VALU_DEP_2) | instskip(NEXT) | instid1(VALU_DEP_1)
	v_lshlrev_b32_e32 v11, 20, v11
	v_or3_b32 v10, v7, v10, v11
	v_mov_b32_e32 v11, 0
.LBB177_1397:
	s_or_b32 exec_lo, exec_lo, s10
.LBB177_1398:
	s_mov_b32 s10, -1
.LBB177_1399:
	s_branch .LBB177_1430
.LBB177_1400:
	v_cmp_lt_i16_e32 vcc_lo, 22, v16
	s_cbranch_vccz .LBB177_1412
; %bb.1401:
	v_cmp_gt_i16_e32 vcc_lo, 24, v16
	s_cbranch_vccnz .LBB177_1413
; %bb.1402:
	v_cmp_lt_i16_e32 vcc_lo, 24, v16
	s_cbranch_vccz .LBB177_1414
; %bb.1403:
	global_load_u8 v7, v[4:5], off
	s_mov_b32 s11, exec_lo
                                        ; implicit-def: $sgpr10
                                        ; implicit-def: $sgpr2
	s_waitcnt vmcnt(0)
	v_cmpx_lt_i16_e32 0x7f, v7
	s_xor_b32 s11, exec_lo, s11
	s_cbranch_execz .LBB177_1407
; %bb.1404:
	s_mov_b32 s1, -1
	s_mov_b32 s12, exec_lo
                                        ; implicit-def: $sgpr10
                                        ; implicit-def: $sgpr2
	v_cmpx_eq_u16_e32 0x80, v7
; %bb.1405:
	s_mov_b32 s2, 0x7f800001
	s_mov_b32 s10, 0
	s_xor_b32 s1, exec_lo, -1
; %bb.1406:
	s_or_b32 exec_lo, exec_lo, s12
	s_delay_alu instid0(SALU_CYCLE_1)
	s_and_b32 s1, s1, exec_lo
.LBB177_1407:
	s_or_saveexec_b32 s11, s11
	v_dual_mov_b32 v11, s10 :: v_dual_mov_b32 v10, s2
	s_xor_b32 exec_lo, exec_lo, s11
; %bb.1408:
	v_mov_b32_e32 v11, 0
	v_cmp_ne_u16_e32 vcc_lo, 0, v7
	s_and_not1_b32 s1, s1, exec_lo
	s_delay_alu instid0(VALU_DEP_2) | instskip(SKIP_1) | instid1(SALU_CYCLE_1)
	v_mov_b32_e32 v10, v11
	s_and_b32 s2, vcc_lo, exec_lo
	s_or_b32 s1, s1, s2
; %bb.1409:
	s_or_b32 exec_lo, exec_lo, s11
	s_and_saveexec_b32 s2, s1
	s_cbranch_execz .LBB177_1411
; %bb.1410:
	v_and_b32_e32 v10, 0xffff, v7
	v_lshlrev_b32_e32 v7, 24, v7
	s_delay_alu instid0(VALU_DEP_2) | instskip(NEXT) | instid1(VALU_DEP_2)
	v_and_b32_e32 v11, 3, v10
	v_and_b32_e32 v7, 0x80000000, v7
	s_delay_alu instid0(VALU_DEP_2) | instskip(NEXT) | instid1(VALU_DEP_1)
	v_clz_i32_u32_e32 v12, v11
	v_min_u32_e32 v12, 32, v12
	s_delay_alu instid0(VALU_DEP_1) | instskip(SKIP_1) | instid1(VALU_DEP_2)
	v_subrev_nc_u32_e32 v13, 29, v12
	v_sub_nc_u32_e32 v12, 30, v12
	v_lshlrev_b32_e32 v13, v13, v10
	v_bfe_u32 v10, v10, 2, 5
	s_delay_alu instid0(VALU_DEP_2) | instskip(NEXT) | instid1(VALU_DEP_2)
	v_and_b32_e32 v13, 3, v13
	v_cmp_eq_u32_e32 vcc_lo, 0, v10
	s_delay_alu instid0(VALU_DEP_2) | instskip(NEXT) | instid1(VALU_DEP_1)
	v_dual_cndmask_b32 v10, v10, v12 :: v_dual_cndmask_b32 v11, v11, v13
	v_lshl_add_u32 v10, v10, 23, 0x37800000
	s_delay_alu instid0(VALU_DEP_2) | instskip(NEXT) | instid1(VALU_DEP_1)
	v_lshlrev_b32_e32 v11, 21, v11
	v_or3_b32 v10, v7, v10, v11
	v_mov_b32_e32 v11, 0
.LBB177_1411:
	s_or_b32 exec_lo, exec_lo, s2
	s_mov_b32 s1, 0
	s_branch .LBB177_1415
.LBB177_1412:
                                        ; implicit-def: $vgpr11
	s_mov_b32 s1, 0
	s_branch .LBB177_1421
.LBB177_1413:
	s_mov_b32 s1, -1
                                        ; implicit-def: $vgpr11
	s_branch .LBB177_1418
.LBB177_1414:
	s_mov_b32 s1, -1
                                        ; implicit-def: $vgpr11
.LBB177_1415:
	s_delay_alu instid0(SALU_CYCLE_1)
	s_and_b32 vcc_lo, exec_lo, s1
	s_cbranch_vccz .LBB177_1417
; %bb.1416:
	global_load_u8 v7, v[4:5], off
	s_waitcnt vmcnt(0)
	v_lshlrev_b32_e32 v7, 24, v7
	s_delay_alu instid0(VALU_DEP_1) | instskip(NEXT) | instid1(VALU_DEP_1)
	v_and_b32_e32 v10, 0x7f000000, v7
	v_clz_i32_u32_e32 v11, v10
	v_cmp_ne_u32_e32 vcc_lo, 0, v10
	v_add_nc_u32_e32 v13, 0x1000000, v10
	s_delay_alu instid0(VALU_DEP_3) | instskip(NEXT) | instid1(VALU_DEP_1)
	v_min_u32_e32 v11, 32, v11
	v_sub_nc_u32_e64 v11, v11, 4 clamp
	s_delay_alu instid0(VALU_DEP_1) | instskip(SKIP_1) | instid1(VALU_DEP_2)
	v_lshlrev_b32_e32 v12, v11, v10
	v_lshlrev_b32_e32 v11, 23, v11
	v_lshrrev_b32_e32 v12, 4, v12
	s_delay_alu instid0(VALU_DEP_1) | instskip(SKIP_1) | instid1(VALU_DEP_2)
	v_sub_nc_u32_e32 v11, v12, v11
	v_ashrrev_i32_e32 v12, 8, v13
	v_add_nc_u32_e32 v11, 0x3c000000, v11
	s_delay_alu instid0(VALU_DEP_1) | instskip(NEXT) | instid1(VALU_DEP_1)
	v_and_or_b32 v11, 0x7f800000, v12, v11
	v_dual_cndmask_b32 v10, 0, v11 :: v_dual_mov_b32 v11, 0
	s_delay_alu instid0(VALU_DEP_1)
	v_and_or_b32 v10, 0x80000000, v7, v10
.LBB177_1417:
	s_mov_b32 s1, 0
.LBB177_1418:
	s_delay_alu instid0(SALU_CYCLE_1)
	s_and_not1_b32 vcc_lo, exec_lo, s1
	s_cbranch_vccnz .LBB177_1420
; %bb.1419:
	global_load_u8 v7, v[4:5], off
	s_waitcnt vmcnt(0)
	v_lshlrev_b32_e32 v10, 25, v7
	v_lshlrev_b16 v7, 8, v7
	s_delay_alu instid0(VALU_DEP_2) | instskip(NEXT) | instid1(VALU_DEP_2)
	v_lshrrev_b32_e32 v11, 4, v10
	v_and_or_b32 v12, 0x7f00, v7, 0.5
	v_cmp_gt_u32_e32 vcc_lo, 0x8000000, v10
	v_bfe_i32 v7, v7, 0, 16
	s_delay_alu instid0(VALU_DEP_4) | instskip(NEXT) | instid1(VALU_DEP_1)
	v_or_b32_e32 v11, 0x70000000, v11
	v_dual_add_f32 v12, -0.5, v12 :: v_dual_mul_f32 v11, 0x7800000, v11
	s_delay_alu instid0(VALU_DEP_1) | instskip(NEXT) | instid1(VALU_DEP_1)
	v_dual_cndmask_b32 v10, v11, v12 :: v_dual_mov_b32 v11, 0
	v_and_or_b32 v10, 0x80000000, v7, v10
.LBB177_1420:
	s_mov_b32 s10, -1
	s_mov_b32 s1, 0
	s_cbranch_execnz .LBB177_1430
.LBB177_1421:
	v_cmp_lt_i16_e32 vcc_lo, 14, v16
	s_cbranch_vccz .LBB177_1424
; %bb.1422:
	v_cmp_eq_u16_e32 vcc_lo, 15, v16
	s_cbranch_vccz .LBB177_1425
; %bb.1423:
	global_load_u16 v7, v[4:5], off
	s_mov_b32 s0, 0
	s_mov_b32 s10, -1
	s_mov_b32 s2, 0
	s_waitcnt vmcnt(0)
	v_lshlrev_b32_e32 v10, 16, v7
	s_branch .LBB177_1427
.LBB177_1424:
	s_mov_b32 s1, -1
	s_branch .LBB177_1426
.LBB177_1425:
	s_mov_b32 s0, -1
.LBB177_1426:
                                        ; implicit-def: $sgpr2
                                        ; implicit-def: $vgpr10
.LBB177_1427:
	s_and_b32 vcc_lo, exec_lo, s1
	s_mov_b32 s1, 0
	s_cbranch_vccz .LBB177_1429
; %bb.1428:
	v_cmp_ne_u16_e64 s0, 11, v16
	s_mov_b32 s1, -1
                                        ; implicit-def: $sgpr2
                                        ; implicit-def: $vgpr10
.LBB177_1429:
	v_mov_b32_e32 v11, s2
.LBB177_1430:
	s_delay_alu instid0(VALU_DEP_2)
	s_and_b32 vcc_lo, exec_lo, s0
	s_mov_b32 s2, s8
	s_cbranch_vccnz .LBB177_1493
; %bb.1431:
	s_and_not1_b32 vcc_lo, exec_lo, s1
	s_cbranch_vccnz .LBB177_1433
.LBB177_1432:
	global_load_u8 v7, v[4:5], off
	v_mov_b32_e32 v11, 0
	s_mov_b32 s10, -1
	s_waitcnt vmcnt(0)
	v_cmp_ne_u16_e32 vcc_lo, 0, v7
	v_cndmask_b32_e64 v10, 0, 1.0, vcc_lo
.LBB177_1433:
.LBB177_1434:
	s_and_not1_b32 vcc_lo, exec_lo, s10
	s_cbranch_vccnz .LBB177_1978
.LBB177_1435:
	s_waitcnt vmcnt(0)
	s_delay_alu instid0(VALU_DEP_1) | instskip(NEXT) | instid1(VALU_DEP_2)
	v_cmp_neq_f32_e32 vcc_lo, 0, v10
	v_cmp_neq_f32_e64 s0, 0, v11
	v_mov_b32_e32 v7, 0
	s_delay_alu instid0(VALU_DEP_2) | instskip(NEXT) | instid1(SALU_CYCLE_1)
	s_or_b32 s0, vcc_lo, s0
	s_and_saveexec_b32 s10, s0
	s_cbranch_execz .LBB177_1465
; %bb.1436:
	v_mov_b32_e32 v7, 0x7f800000
	s_mov_b32 s11, exec_lo
	v_cmpx_neq_f32_e64 0x7f800000, |v11|
	s_cbranch_execz .LBB177_1464
; %bb.1437:
	s_mov_b32 s0, exec_lo
	v_cmpx_o_f32_e32 v10, v10
	s_xor_b32 s12, exec_lo, s0
	s_cbranch_execz .LBB177_1461
; %bb.1438:
	s_mov_b32 s1, exec_lo
	v_cmpx_neq_f32_e64 0x7f800000, |v10|
	s_xor_b32 s13, exec_lo, s1
	s_cbranch_execz .LBB177_1454
; %bb.1439:
	v_max_f32_e64 v4, |v11|, |v11|
	v_max_f32_e64 v5, |v10|, |v10|
                                        ; implicit-def: $sgpr14
	s_delay_alu instid0(VALU_DEP_1) | instskip(NEXT) | instid1(VALU_DEP_1)
	v_max_f32_e32 v4, v5, v4
	v_cmp_nle_f32_e64 s0, 0x7ed413cb, v4
	s_delay_alu instid0(VALU_DEP_1) | instskip(NEXT) | instid1(SALU_CYCLE_1)
	s_and_saveexec_b32 s1, s0
	s_xor_b32 s1, exec_lo, s1
	s_cbranch_execz .LBB177_1443
; %bb.1440:
	v_cmp_ge_f32_e64 s14, 0x1000000, |v10|
	v_cmp_ge_f32_e64 s15, 0x1000000, |v11|
	s_delay_alu instid0(VALU_DEP_1)
	s_and_b32 s16, s14, s15
	s_mov_b32 s14, 0
	s_and_saveexec_b32 s15, s16
; %bb.1441:
	v_dual_mul_f32 v11, 4.0, v11 :: v_dual_mul_f32 v10, 4.0, v10
	s_mov_b32 s14, exec_lo
; %bb.1442:
	s_or_b32 exec_lo, exec_lo, s15
	s_delay_alu instid0(SALU_CYCLE_1)
	s_and_b32 s14, s14, exec_lo
.LBB177_1443:
	s_and_not1_saveexec_b32 s1, s1
; %bb.1444:
	v_dual_mul_f32 v10, 0x3e800000, v10 :: v_dual_mul_f32 v11, 0x3e800000, v11
	s_and_not1_b32 s14, s14, exec_lo
; %bb.1445:
	s_or_b32 exec_lo, exec_lo, s1
	s_delay_alu instid0(VALU_DEP_1) | instskip(NEXT) | instid1(VALU_DEP_2)
	v_max_f32_e64 v4, |v11|, |v11|
	v_max_f32_e64 v5, |v10|, |v10|
	s_delay_alu instid0(VALU_DEP_1) | instskip(NEXT) | instid1(VALU_DEP_1)
	v_max_f32_e32 v7, v5, v4
	v_cvt_f64_f32_e32 v[4:5], v7
	v_cmp_neq_f32_e64 s1, 0x7f800000, v7
	s_delay_alu instid0(VALU_DEP_2) | instskip(NEXT) | instid1(VALU_DEP_1)
	v_frexp_exp_i32_f64_e32 v4, v[4:5]
	v_sub_nc_u32_e32 v5, 0, v4
	s_delay_alu instid0(VALU_DEP_1) | instskip(SKIP_1) | instid1(VALU_DEP_2)
	v_ldexp_f32 v12, |v11|, v5
	v_ldexp_f32 v5, |v10|, v5
	v_mul_f32_e32 v12, v12, v12
	s_delay_alu instid0(VALU_DEP_1) | instskip(NEXT) | instid1(VALU_DEP_1)
	v_fmac_f32_e32 v12, v5, v5
	v_sqrt_f32_e32 v5, v12
	s_waitcnt_depctr 0xfff
	v_ldexp_f32 v4, v5, v4
                                        ; implicit-def: $vgpr5
	s_delay_alu instid0(VALU_DEP_1)
	v_cndmask_b32_e64 v7, 0x7f800000, v4, s1
                                        ; implicit-def: $vgpr4
	s_mov_b32 s1, exec_lo
	v_cmpx_le_f32_e32 0, v10
	s_xor_b32 s15, exec_lo, s1
	s_cbranch_execz .LBB177_1447
; %bb.1446:
	v_add_f32_e32 v4, v10, v7
	s_delay_alu instid0(VALU_DEP_1) | instskip(NEXT) | instid1(VALU_DEP_1)
	v_mul_f32_e32 v4, 0.5, v4
	v_mul_f32_e32 v5, 0x4f800000, v4
	v_cmp_gt_f32_e32 vcc_lo, 0xf800000, v4
	s_delay_alu instid0(VALU_DEP_2) | instskip(NEXT) | instid1(VALU_DEP_1)
	v_cndmask_b32_e32 v4, v4, v5, vcc_lo
	v_sqrt_f32_e32 v5, v4
	s_waitcnt_depctr 0xfff
	v_add_nc_u32_e32 v7, -1, v5
	v_add_nc_u32_e32 v10, 1, v5
	s_delay_alu instid0(VALU_DEP_2) | instskip(NEXT) | instid1(VALU_DEP_2)
	v_fma_f32 v12, -v7, v5, v4
	v_fma_f32 v13, -v10, v5, v4
	s_delay_alu instid0(VALU_DEP_2) | instskip(NEXT) | instid1(VALU_DEP_1)
	v_cmp_ge_f32_e64 s1, 0, v12
	v_cndmask_b32_e64 v5, v5, v7, s1
	s_delay_alu instid0(VALU_DEP_3) | instskip(NEXT) | instid1(VALU_DEP_1)
	v_cmp_lt_f32_e64 s1, 0, v13
	v_cndmask_b32_e64 v5, v5, v10, s1
	s_delay_alu instid0(VALU_DEP_1) | instskip(NEXT) | instid1(VALU_DEP_1)
	v_mul_f32_e32 v7, 0x37800000, v5
	v_cndmask_b32_e32 v5, v5, v7, vcc_lo
	v_cmp_class_f32_e64 vcc_lo, v4, 0x260
	s_delay_alu instid0(VALU_DEP_2) | instskip(NEXT) | instid1(VALU_DEP_1)
	v_cndmask_b32_e32 v4, v5, v4, vcc_lo
	v_add_f32_e32 v5, v4, v4
	s_delay_alu instid0(VALU_DEP_1) | instskip(NEXT) | instid1(VALU_DEP_1)
	v_div_scale_f32 v7, null, v5, v5, v11
	v_rcp_f32_e32 v10, v7
	s_waitcnt_depctr 0xfff
	v_fma_f32 v12, -v7, v10, 1.0
	s_delay_alu instid0(VALU_DEP_1) | instskip(SKIP_1) | instid1(VALU_DEP_1)
	v_fmac_f32_e32 v10, v12, v10
	v_div_scale_f32 v12, vcc_lo, v11, v5, v11
	v_mul_f32_e32 v13, v12, v10
	s_delay_alu instid0(VALU_DEP_1) | instskip(NEXT) | instid1(VALU_DEP_1)
	v_fma_f32 v14, -v7, v13, v12
	v_fmac_f32_e32 v13, v14, v10
	s_delay_alu instid0(VALU_DEP_1) | instskip(NEXT) | instid1(VALU_DEP_1)
	v_fma_f32 v7, -v7, v13, v12
	v_div_fmas_f32 v7, v7, v10, v13
                                        ; implicit-def: $vgpr10
	s_delay_alu instid0(VALU_DEP_1)
	v_div_fixup_f32 v5, v7, v5, v11
                                        ; implicit-def: $vgpr7
	s_and_not1_saveexec_b32 s15, s15
	s_cbranch_execz .LBB177_1449
	s_branch .LBB177_1448
.LBB177_1447:
	s_and_not1_saveexec_b32 s15, s15
	s_cbranch_execz .LBB177_1449
.LBB177_1448:
	v_sub_f32_e32 v4, v7, v10
	s_delay_alu instid0(VALU_DEP_1) | instskip(NEXT) | instid1(VALU_DEP_1)
	v_mul_f32_e32 v4, 0.5, v4
	v_mul_f32_e32 v5, 0x4f800000, v4
	v_cmp_gt_f32_e32 vcc_lo, 0xf800000, v4
	s_delay_alu instid0(VALU_DEP_2) | instskip(NEXT) | instid1(VALU_DEP_1)
	v_cndmask_b32_e32 v4, v4, v5, vcc_lo
	v_sqrt_f32_e32 v5, v4
	s_waitcnt_depctr 0xfff
	v_add_nc_u32_e32 v7, -1, v5
	v_add_nc_u32_e32 v10, 1, v5
	s_delay_alu instid0(VALU_DEP_2) | instskip(NEXT) | instid1(VALU_DEP_2)
	v_fma_f32 v12, -v7, v5, v4
	v_fma_f32 v13, -v10, v5, v4
	s_delay_alu instid0(VALU_DEP_2) | instskip(NEXT) | instid1(VALU_DEP_1)
	v_cmp_ge_f32_e64 s1, 0, v12
	v_cndmask_b32_e64 v5, v5, v7, s1
	s_delay_alu instid0(VALU_DEP_3) | instskip(NEXT) | instid1(VALU_DEP_1)
	v_cmp_lt_f32_e64 s1, 0, v13
	v_cndmask_b32_e64 v5, v5, v10, s1
	s_delay_alu instid0(VALU_DEP_1) | instskip(NEXT) | instid1(VALU_DEP_1)
	v_mul_f32_e32 v7, 0x37800000, v5
	v_cndmask_b32_e32 v5, v5, v7, vcc_lo
	v_cmp_class_f32_e64 vcc_lo, v4, 0x260
	s_delay_alu instid0(VALU_DEP_2) | instskip(NEXT) | instid1(VALU_DEP_1)
	v_dual_cndmask_b32 v5, v5, v4 :: v_dual_and_b32 v4, 0x7fffffff, v11
	v_add_f32_e32 v7, v5, v5
	v_bfi_b32 v5, 0x7fffffff, v5, v11
	s_delay_alu instid0(VALU_DEP_2) | instskip(SKIP_1) | instid1(VALU_DEP_2)
	v_div_scale_f32 v10, null, v7, v7, v4
	v_div_scale_f32 v4, vcc_lo, v4, v7, v4
	v_rcp_f32_e32 v12, v10
	s_waitcnt_depctr 0xfff
	v_fma_f32 v13, -v10, v12, 1.0
	s_delay_alu instid0(VALU_DEP_1) | instskip(NEXT) | instid1(VALU_DEP_1)
	v_fmac_f32_e32 v12, v13, v12
	v_mul_f32_e32 v13, v4, v12
	s_delay_alu instid0(VALU_DEP_1) | instskip(NEXT) | instid1(VALU_DEP_1)
	v_fma_f32 v14, -v10, v13, v4
	v_fmac_f32_e32 v13, v14, v12
	s_delay_alu instid0(VALU_DEP_1) | instskip(NEXT) | instid1(VALU_DEP_1)
	v_fma_f32 v4, -v10, v13, v4
	v_div_fmas_f32 v4, v4, v12, v13
	s_delay_alu instid0(VALU_DEP_1)
	v_div_fixup_f32 v4, v4, v7, |v11|
.LBB177_1449:
	s_or_b32 exec_lo, exec_lo, s15
                                        ; implicit-def: $vgpr11
	s_and_saveexec_b32 s1, s0
	s_delay_alu instid0(SALU_CYCLE_1)
	s_xor_b32 s0, exec_lo, s1
	s_cbranch_execz .LBB177_1451
; %bb.1450:
	v_mul_f32_e32 v7, 0.5, v4
	v_mul_f32_e32 v11, 0.5, v5
	s_delay_alu instid0(VALU_DEP_2) | instskip(NEXT) | instid1(VALU_DEP_2)
	v_cndmask_b32_e64 v10, v4, v7, s14
	v_cndmask_b32_e64 v11, v5, v11, s14
                                        ; implicit-def: $vgpr4
                                        ; implicit-def: $vgpr5
	s_and_not1_saveexec_b32 s0, s0
	s_cbranch_execnz .LBB177_1452
	s_branch .LBB177_1453
.LBB177_1451:
	s_and_not1_saveexec_b32 s0, s0
.LBB177_1452:
	v_dual_add_f32 v10, v4, v4 :: v_dual_add_f32 v11, v5, v5
.LBB177_1453:
	s_or_b32 exec_lo, exec_lo, s0
.LBB177_1454:
	s_and_not1_saveexec_b32 s0, s13
	s_cbranch_execz .LBB177_1460
; %bb.1455:
	s_delay_alu instid0(VALU_DEP_1)
	v_sub_f32_e32 v4, v11, v11
	s_mov_b32 s1, exec_lo
	v_cmpx_lt_i32_e32 -1, v10
	s_xor_b32 s1, exec_lo, s1
; %bb.1456:
	s_delay_alu instid0(VALU_DEP_2)
	v_bfi_b32 v11, 0x7fffffff, v4, v11
                                        ; implicit-def: $vgpr4
; %bb.1457:
	s_and_not1_saveexec_b32 s1, s1
; %bb.1458:
	v_and_b32_e32 v4, 0x7fffffff, v4
	s_delay_alu instid0(VALU_DEP_2) | instskip(NEXT) | instid1(VALU_DEP_2)
	v_bfi_b32 v11, 0x7fffffff, v10, v11
	v_mov_b32_e32 v10, v4
; %bb.1459:
	s_or_b32 exec_lo, exec_lo, s1
.LBB177_1460:
	s_delay_alu instid0(SALU_CYCLE_1)
	s_or_b32 exec_lo, exec_lo, s0
.LBB177_1461:
	s_and_not1_saveexec_b32 s0, s12
; %bb.1462:
	v_sub_f32_e32 v4, v11, v11
	s_delay_alu instid0(VALU_DEP_1) | instskip(NEXT) | instid1(VALU_DEP_1)
	v_div_scale_f32 v5, vcc_lo, v4, v4, v4
	v_rcp_f32_e32 v7, v5
	s_waitcnt_depctr 0xfff
	v_fma_f32 v11, -v5, v7, 1.0
	s_delay_alu instid0(VALU_DEP_1) | instskip(NEXT) | instid1(VALU_DEP_1)
	v_fmac_f32_e32 v7, v11, v7
	v_mul_f32_e32 v11, v5, v7
	s_delay_alu instid0(VALU_DEP_1) | instskip(NEXT) | instid1(VALU_DEP_1)
	v_fma_f32 v12, -v5, v11, v5
	v_fmac_f32_e32 v11, v12, v7
	s_delay_alu instid0(VALU_DEP_1) | instskip(NEXT) | instid1(VALU_DEP_1)
	v_fma_f32 v5, -v5, v11, v5
	v_div_fmas_f32 v5, v5, v7, v11
	s_delay_alu instid0(VALU_DEP_1)
	v_div_fixup_f32 v11, v5, v4, v4
; %bb.1463:
	s_or_b32 exec_lo, exec_lo, s0
	v_mov_b32_e32 v7, v10
.LBB177_1464:
	s_or_b32 exec_lo, exec_lo, s11
.LBB177_1465:
	s_delay_alu instid0(SALU_CYCLE_1) | instskip(NEXT) | instid1(VALU_DEP_1)
	s_or_b32 exec_lo, exec_lo, s10
	v_cmp_gt_f32_e32 vcc_lo, 0, v7
                                        ; implicit-def: $vgpr5
	s_mov_b32 s0, exec_lo
	v_cndmask_b32_e64 v10, v7, -v7, vcc_lo
	v_cmp_gt_f32_e32 vcc_lo, 0, v11
	v_cndmask_b32_e64 v12, v11, -v11, vcc_lo
	s_delay_alu instid0(VALU_DEP_1)
	v_cmpx_ge_f32_e32 v10, v12
	s_xor_b32 s1, exec_lo, s0
	s_cbranch_execz .LBB177_1471
; %bb.1466:
	v_cmp_neq_f32_e32 vcc_lo, 0, v7
	v_cmp_neq_f32_e64 s0, 0, v11
                                        ; implicit-def: $vgpr5
	s_delay_alu instid0(VALU_DEP_1) | instskip(NEXT) | instid1(SALU_CYCLE_1)
	s_or_b32 s0, vcc_lo, s0
	s_and_saveexec_b32 s10, s0
	s_delay_alu instid0(SALU_CYCLE_1)
	s_xor_b32 s0, exec_lo, s10
	s_cbranch_execz .LBB177_1468
; %bb.1467:
	v_div_scale_f32 v4, null, v7, v7, v11
	v_div_scale_f32 v12, vcc_lo, v11, v7, v11
	s_delay_alu instid0(VALU_DEP_2) | instskip(SKIP_2) | instid1(VALU_DEP_1)
	v_rcp_f32_e32 v5, v4
	s_waitcnt_depctr 0xfff
	v_fma_f32 v10, -v4, v5, 1.0
	v_fmac_f32_e32 v5, v10, v5
	s_delay_alu instid0(VALU_DEP_1) | instskip(NEXT) | instid1(VALU_DEP_1)
	v_mul_f32_e32 v10, v12, v5
	v_fma_f32 v13, -v4, v10, v12
	s_delay_alu instid0(VALU_DEP_1) | instskip(NEXT) | instid1(VALU_DEP_1)
	v_fmac_f32_e32 v10, v13, v5
	v_fma_f32 v4, -v4, v10, v12
	s_delay_alu instid0(VALU_DEP_1) | instskip(NEXT) | instid1(VALU_DEP_1)
	v_div_fmas_f32 v4, v4, v5, v10
	v_div_fixup_f32 v5, v4, v7, v11
	s_delay_alu instid0(VALU_DEP_1) | instskip(NEXT) | instid1(VALU_DEP_1)
	v_fmac_f32_e32 v7, v11, v5
	v_div_scale_f32 v4, null, v7, v7, 1.0
	v_div_scale_f32 v12, vcc_lo, 1.0, v7, 1.0
	s_delay_alu instid0(VALU_DEP_2) | instskip(SKIP_2) | instid1(VALU_DEP_1)
	v_rcp_f32_e32 v10, v4
	s_waitcnt_depctr 0xfff
	v_fma_f32 v11, -v4, v10, 1.0
	v_fmac_f32_e32 v10, v11, v10
	s_delay_alu instid0(VALU_DEP_1) | instskip(NEXT) | instid1(VALU_DEP_1)
	v_mul_f32_e32 v11, v12, v10
	v_fma_f32 v13, -v4, v11, v12
	s_delay_alu instid0(VALU_DEP_1) | instskip(NEXT) | instid1(VALU_DEP_1)
	v_fmac_f32_e32 v11, v13, v10
	v_fma_f32 v4, -v4, v11, v12
                                        ; implicit-def: $vgpr12
	s_delay_alu instid0(VALU_DEP_1) | instskip(SKIP_1) | instid1(VALU_DEP_2)
	v_div_fmas_f32 v4, v4, v10, v11
	v_fma_f32 v10, v5, 0, 1.0
	v_div_fixup_f32 v7, v4, v7, 1.0
	s_delay_alu instid0(VALU_DEP_1)
	v_mul_f32_e32 v4, v10, v7
	v_mul_f32_e64 v5, -v5, v7
                                        ; implicit-def: $vgpr10
.LBB177_1468:
	s_and_not1_saveexec_b32 s10, s0
	s_cbranch_execz .LBB177_1470
; %bb.1469:
	v_div_scale_f32 v4, null, v10, v10, 1.0
	v_div_scale_f32 v5, null, v12, v12, 0
	v_div_scale_f32 v15, vcc_lo, 1.0, v10, 1.0
	s_delay_alu instid0(VALU_DEP_3) | instskip(NEXT) | instid1(VALU_DEP_2)
	v_rcp_f32_e32 v7, v4
	v_rcp_f32_e32 v11, v5
	s_waitcnt_depctr 0xfff
	v_fma_f32 v13, -v4, v7, 1.0
	v_fma_f32 v14, -v5, v11, 1.0
	s_delay_alu instid0(VALU_DEP_2) | instskip(SKIP_1) | instid1(VALU_DEP_3)
	v_fmac_f32_e32 v7, v13, v7
	v_div_scale_f32 v13, s0, 0, v12, 0
	v_fmac_f32_e32 v11, v14, v11
	s_delay_alu instid0(VALU_DEP_3) | instskip(NEXT) | instid1(VALU_DEP_2)
	v_mul_f32_e32 v14, v15, v7
	v_mul_f32_e32 v17, v13, v11
	s_delay_alu instid0(VALU_DEP_2) | instskip(NEXT) | instid1(VALU_DEP_2)
	v_fma_f32 v18, -v4, v14, v15
	v_fma_f32 v19, -v5, v17, v13
	s_delay_alu instid0(VALU_DEP_2) | instskip(NEXT) | instid1(VALU_DEP_2)
	v_fmac_f32_e32 v14, v18, v7
	v_fmac_f32_e32 v17, v19, v11
	s_delay_alu instid0(VALU_DEP_2) | instskip(NEXT) | instid1(VALU_DEP_2)
	v_fma_f32 v4, -v4, v14, v15
	v_fma_f32 v5, -v5, v17, v13
	s_delay_alu instid0(VALU_DEP_2) | instskip(SKIP_1) | instid1(VALU_DEP_2)
	v_div_fmas_f32 v4, v4, v7, v14
	s_mov_b32 vcc_lo, s0
	v_div_fmas_f32 v5, v5, v11, v17
	s_delay_alu instid0(VALU_DEP_2) | instskip(NEXT) | instid1(VALU_DEP_2)
	v_div_fixup_f32 v4, v4, v10, 1.0
	v_div_fixup_f32 v5, v5, v12, 0
.LBB177_1470:
	s_or_b32 exec_lo, exec_lo, s10
                                        ; implicit-def: $vgpr11
                                        ; implicit-def: $vgpr7
.LBB177_1471:
	s_and_not1_saveexec_b32 s0, s1
	s_cbranch_execz .LBB177_1473
; %bb.1472:
	v_div_scale_f32 v4, null, v11, v11, v7
	v_div_scale_f32 v12, vcc_lo, v7, v11, v7
	s_delay_alu instid0(VALU_DEP_2) | instskip(SKIP_2) | instid1(VALU_DEP_1)
	v_rcp_f32_e32 v5, v4
	s_waitcnt_depctr 0xfff
	v_fma_f32 v10, -v4, v5, 1.0
	v_fmac_f32_e32 v5, v10, v5
	s_delay_alu instid0(VALU_DEP_1) | instskip(NEXT) | instid1(VALU_DEP_1)
	v_mul_f32_e32 v10, v12, v5
	v_fma_f32 v13, -v4, v10, v12
	s_delay_alu instid0(VALU_DEP_1) | instskip(NEXT) | instid1(VALU_DEP_1)
	v_fmac_f32_e32 v10, v13, v5
	v_fma_f32 v4, -v4, v10, v12
	s_delay_alu instid0(VALU_DEP_1) | instskip(NEXT) | instid1(VALU_DEP_1)
	v_div_fmas_f32 v4, v4, v5, v10
	v_div_fixup_f32 v4, v4, v11, v7
	s_delay_alu instid0(VALU_DEP_1) | instskip(NEXT) | instid1(VALU_DEP_1)
	v_fmac_f32_e32 v11, v7, v4
	v_div_scale_f32 v5, null, v11, v11, 1.0
	v_div_scale_f32 v12, vcc_lo, 1.0, v11, 1.0
	s_delay_alu instid0(VALU_DEP_2) | instskip(SKIP_2) | instid1(VALU_DEP_1)
	v_rcp_f32_e32 v7, v5
	s_waitcnt_depctr 0xfff
	v_fma_f32 v10, -v5, v7, 1.0
	v_fmac_f32_e32 v7, v10, v7
	s_delay_alu instid0(VALU_DEP_1) | instskip(NEXT) | instid1(VALU_DEP_1)
	v_mul_f32_e32 v10, v12, v7
	v_fma_f32 v13, -v5, v10, v12
	s_delay_alu instid0(VALU_DEP_1) | instskip(NEXT) | instid1(VALU_DEP_1)
	v_fmac_f32_e32 v10, v13, v7
	v_fma_f32 v5, -v5, v10, v12
	s_delay_alu instid0(VALU_DEP_1) | instskip(SKIP_2) | instid1(VALU_DEP_3)
	v_div_fmas_f32 v5, v5, v7, v10
	v_add_f32_e32 v7, 0, v4
	v_fma_f32 v10, v4, 0, -1.0
	v_div_fixup_f32 v5, v5, v11, 1.0
	s_delay_alu instid0(VALU_DEP_1) | instskip(NEXT) | instid1(VALU_DEP_3)
	v_mul_f32_e32 v4, v7, v5
	v_mul_f32_e32 v5, v10, v5
.LBB177_1473:
	s_or_b32 exec_lo, exec_lo, s0
	v_cmp_gt_i16_e32 vcc_lo, 11, v16
	v_add_co_u32 v6, s0, s6, v6
	s_delay_alu instid0(VALU_DEP_1)
	v_add_co_ci_u32_e64 v7, null, s7, 0, s0
	s_mov_b32 s10, 0
	s_cbranch_vccnz .LBB177_1480
; %bb.1474:
	v_cmp_lt_i16_e32 vcc_lo, 25, v16
	s_mov_b32 s1, 0
	s_cbranch_vccz .LBB177_1486
; %bb.1475:
	v_cmp_lt_i16_e32 vcc_lo, 28, v16
	s_cbranch_vccz .LBB177_1489
; %bb.1476:
	v_cmp_lt_i16_e32 vcc_lo, 43, v16
	;; [unrolled: 3-line block ×3, first 2 shown]
	s_cbranch_vccz .LBB177_1497
; %bb.1478:
	v_cmp_eq_u16_e32 vcc_lo, 46, v16
	s_mov_b32 s11, 0
	s_cbranch_vccz .LBB177_1542
; %bb.1479:
	global_load_b32 v10, v[6:7], off
	s_mov_b32 s0, 0
	s_mov_b32 s10, -1
	s_waitcnt vmcnt(0)
	v_and_b32_e32 v11, 0xffff0000, v10
	v_lshlrev_b32_e32 v10, 16, v10
	s_branch .LBB177_1544
.LBB177_1480:
                                        ; implicit-def: $vgpr11
	s_cbranch_execz .LBB177_1612
; %bb.1481:
	v_cmp_gt_i16_e32 vcc_lo, 5, v16
	s_cbranch_vccnz .LBB177_1487
; %bb.1482:
	v_cmp_gt_i16_e32 vcc_lo, 8, v16
	s_cbranch_vccnz .LBB177_1490
	;; [unrolled: 3-line block ×3, first 2 shown]
; %bb.1484:
	v_cmp_lt_i16_e32 vcc_lo, 9, v16
	s_cbranch_vccz .LBB177_1498
; %bb.1485:
	global_load_b128 v[10:13], v[6:7], off
	s_mov_b32 s0, 0
	s_waitcnt vmcnt(0)
	v_cvt_f32_f64_e32 v10, v[10:11]
	v_cvt_f32_f64_e32 v11, v[12:13]
	s_branch .LBB177_1499
.LBB177_1486:
	s_mov_b32 s0, 0
                                        ; implicit-def: $vgpr11
	s_cbranch_execnz .LBB177_1577
	s_branch .LBB177_1608
.LBB177_1487:
                                        ; implicit-def: $vgpr11
	s_branch .LBB177_1518
.LBB177_1488:
	s_branch .LBB177_1613
.LBB177_1489:
	s_mov_b32 s11, -1
	s_mov_b32 s0, 0
                                        ; implicit-def: $vgpr11
	s_branch .LBB177_1556
.LBB177_1490:
	s_mov_b32 s0, -1
                                        ; implicit-def: $vgpr11
	s_branch .LBB177_1505
.LBB177_1491:
	s_mov_b32 s11, -1
	s_mov_b32 s0, 0
                                        ; implicit-def: $vgpr11
	s_branch .LBB177_1550
.LBB177_1492:
	s_mov_b32 s0, -1
                                        ; implicit-def: $vgpr11
	s_branch .LBB177_1502
.LBB177_1493:
	s_cbranch_execnz .LBB177_1538
; %bb.1494:
	s_or_b32 s2, s8, exec_lo
                                        ; implicit-def: $vgpr11
	s_cbranch_execz .LBB177_1432
	s_branch .LBB177_1433
.LBB177_1495:
	s_or_saveexec_b32 s5, s5
                                        ; implicit-def: $sgpr8
	s_delay_alu instid0(SALU_CYCLE_1)
	s_xor_b32 exec_lo, exec_lo, s5
	s_cbranch_execz .LBB177_1159
.LBB177_1496:
	v_add_f32_e64 v0, 0x46000000, |v3|
	s_and_not1_b32 s4, s4, exec_lo
	s_mov_b32 s8, 0
	s_delay_alu instid0(VALU_DEP_1) | instskip(NEXT) | instid1(VALU_DEP_1)
	v_and_b32_e32 v0, 0xff, v0
	v_cmp_ne_u32_e32 vcc_lo, 0, v0
	s_and_b32 s9, vcc_lo, exec_lo
	s_delay_alu instid0(SALU_CYCLE_1)
	s_or_b32 s4, s4, s9
	s_or_b32 exec_lo, exec_lo, s5
	v_mov_b32_e32 v1, s8
	s_and_saveexec_b32 s5, s4
	s_cbranch_execnz .LBB177_1160
	s_branch .LBB177_1161
.LBB177_1497:
	s_mov_b32 s11, -1
	s_mov_b32 s0, 0
	s_branch .LBB177_1543
.LBB177_1498:
	s_mov_b32 s0, -1
                                        ; implicit-def: $vgpr11
.LBB177_1499:
	s_delay_alu instid0(SALU_CYCLE_1)
	s_and_not1_b32 vcc_lo, exec_lo, s0
	s_cbranch_vccnz .LBB177_1501
; %bb.1500:
	global_load_b64 v[10:11], v[6:7], off
.LBB177_1501:
	s_mov_b32 s0, 0
.LBB177_1502:
	s_delay_alu instid0(SALU_CYCLE_1)
	s_and_not1_b32 vcc_lo, exec_lo, s0
	s_cbranch_vccnz .LBB177_1504
; %bb.1503:
	global_load_b32 v10, v[6:7], off
	s_waitcnt vmcnt(0)
	v_lshrrev_b32_e32 v11, 16, v10
	v_cvt_f32_f16_e32 v10, v10
	s_delay_alu instid0(VALU_DEP_2)
	v_cvt_f32_f16_e32 v11, v11
.LBB177_1504:
	s_mov_b32 s0, 0
.LBB177_1505:
	s_delay_alu instid0(SALU_CYCLE_1)
	s_and_not1_b32 vcc_lo, exec_lo, s0
	s_cbranch_vccnz .LBB177_1517
; %bb.1506:
	v_cmp_gt_i16_e32 vcc_lo, 6, v16
	s_cbranch_vccnz .LBB177_1509
; %bb.1507:
	v_cmp_lt_i16_e32 vcc_lo, 6, v16
	s_cbranch_vccz .LBB177_1510
; %bb.1508:
	global_load_b64 v[10:11], v[6:7], off
	s_mov_b32 s1, 0
	s_mov_b32 s0, 0
	s_waitcnt vmcnt(0)
	v_cvt_f32_f64_e32 v10, v[10:11]
	s_branch .LBB177_1511
.LBB177_1509:
	s_mov_b32 s1, -1
                                        ; implicit-def: $sgpr0
                                        ; implicit-def: $vgpr10
	s_branch .LBB177_1514
.LBB177_1510:
	s_mov_b32 s1, -1
                                        ; implicit-def: $sgpr0
                                        ; implicit-def: $vgpr10
.LBB177_1511:
	s_delay_alu instid0(SALU_CYCLE_1)
	s_and_not1_b32 vcc_lo, exec_lo, s1
	s_cbranch_vccnz .LBB177_1513
; %bb.1512:
	global_load_b32 v10, v[6:7], off
	s_mov_b32 s0, 0
.LBB177_1513:
	s_mov_b32 s1, 0
.LBB177_1514:
	s_delay_alu instid0(SALU_CYCLE_1)
	s_and_not1_b32 vcc_lo, exec_lo, s1
	s_cbranch_vccnz .LBB177_1516
; %bb.1515:
	global_load_u16 v10, v[6:7], off
	s_mov_b32 s0, 0
	s_waitcnt vmcnt(0)
	v_cvt_f32_f16_e32 v10, v10
.LBB177_1516:
	s_waitcnt vmcnt(0)
	v_mov_b32_e32 v11, s0
.LBB177_1517:
	s_cbranch_execnz .LBB177_1488
.LBB177_1518:
	v_cmp_gt_i16_e32 vcc_lo, 2, v16
	s_cbranch_vccnz .LBB177_1522
; %bb.1519:
	v_cmp_gt_i16_e32 vcc_lo, 3, v16
	s_cbranch_vccnz .LBB177_1523
; %bb.1520:
	v_cmp_lt_i16_e32 vcc_lo, 3, v16
	s_cbranch_vccz .LBB177_1524
; %bb.1521:
	global_load_b64 v[10:11], v[6:7], off
	s_mov_b32 s1, 0
	s_mov_b32 s0, 0
	s_waitcnt vmcnt(0)
	v_xor_b32_e32 v12, v10, v11
	v_cls_i32_e32 v13, v11
	s_delay_alu instid0(VALU_DEP_2) | instskip(NEXT) | instid1(VALU_DEP_2)
	v_ashrrev_i32_e32 v12, 31, v12
	v_add_nc_u32_e32 v13, -1, v13
	s_delay_alu instid0(VALU_DEP_2) | instskip(NEXT) | instid1(VALU_DEP_1)
	v_add_nc_u32_e32 v12, 32, v12
	v_min_u32_e32 v12, v13, v12
	s_delay_alu instid0(VALU_DEP_1) | instskip(NEXT) | instid1(VALU_DEP_1)
	v_lshlrev_b64 v[10:11], v12, v[10:11]
	v_min_u32_e32 v10, 1, v10
	s_delay_alu instid0(VALU_DEP_1) | instskip(SKIP_1) | instid1(VALU_DEP_2)
	v_or_b32_e32 v10, v11, v10
	v_sub_nc_u32_e32 v11, 32, v12
	v_cvt_f32_i32_e32 v10, v10
	s_delay_alu instid0(VALU_DEP_1)
	v_ldexp_f32 v10, v10, v11
	s_branch .LBB177_1525
.LBB177_1522:
	s_mov_b32 s1, -1
                                        ; implicit-def: $sgpr0
                                        ; implicit-def: $vgpr10
	s_branch .LBB177_1531
.LBB177_1523:
	s_mov_b32 s1, -1
                                        ; implicit-def: $sgpr0
                                        ; implicit-def: $vgpr10
	s_branch .LBB177_1528
.LBB177_1524:
	s_mov_b32 s1, -1
                                        ; implicit-def: $sgpr0
                                        ; implicit-def: $vgpr10
.LBB177_1525:
	s_delay_alu instid0(SALU_CYCLE_1)
	s_and_not1_b32 vcc_lo, exec_lo, s1
	s_cbranch_vccnz .LBB177_1527
; %bb.1526:
	global_load_b32 v10, v[6:7], off
	s_mov_b32 s0, 0
	s_waitcnt vmcnt(0)
	v_cvt_f32_i32_e32 v10, v10
.LBB177_1527:
	s_mov_b32 s1, 0
.LBB177_1528:
	s_delay_alu instid0(SALU_CYCLE_1)
	s_and_not1_b32 vcc_lo, exec_lo, s1
	s_cbranch_vccnz .LBB177_1530
; %bb.1529:
	global_load_i16 v10, v[6:7], off
	s_mov_b32 s0, 0
	s_waitcnt vmcnt(0)
	v_cvt_f32_i32_e32 v10, v10
.LBB177_1530:
	s_mov_b32 s1, 0
.LBB177_1531:
	s_delay_alu instid0(SALU_CYCLE_1)
	s_and_not1_b32 vcc_lo, exec_lo, s1
	s_cbranch_vccnz .LBB177_1537
; %bb.1532:
	v_cmp_lt_i16_e32 vcc_lo, 0, v16
	s_mov_b32 s1, 0
	s_cbranch_vccz .LBB177_1534
; %bb.1533:
	global_load_i8 v10, v[6:7], off
	s_mov_b32 s0, 0
	s_waitcnt vmcnt(0)
	v_cvt_f32_i32_e32 v10, v10
	s_branch .LBB177_1535
.LBB177_1534:
	s_mov_b32 s1, -1
                                        ; implicit-def: $sgpr0
                                        ; implicit-def: $vgpr10
.LBB177_1535:
	s_delay_alu instid0(SALU_CYCLE_1)
	s_and_not1_b32 vcc_lo, exec_lo, s1
	s_cbranch_vccnz .LBB177_1537
; %bb.1536:
	global_load_u8 v6, v[6:7], off
	s_mov_b32 s0, 0
	s_waitcnt vmcnt(0)
	v_cvt_f32_ubyte0_e32 v10, v6
.LBB177_1537:
	s_waitcnt vmcnt(0)
	v_mov_b32_e32 v11, s0
	s_branch .LBB177_1613
.LBB177_1538:
	s_trap 2
	s_sendmsg_rtn_b32 s0, sendmsg(MSG_RTN_GET_DOORBELL)
	s_mov_b32 ttmp2, m0
	s_waitcnt lgkmcnt(0)
	s_and_b32 s0, s0, 0x3ff
	s_delay_alu instid0(SALU_CYCLE_1) | instskip(NEXT) | instid1(SALU_CYCLE_1)
	s_bitset1_b32 s0, 10
	s_mov_b32 m0, s0
	s_sendmsg sendmsg(MSG_INTERRUPT)
	s_mov_b32 m0, ttmp2
.LBB177_1539:                           ; =>This Inner Loop Header: Depth=1
	s_sethalt 5
	s_branch .LBB177_1539
.LBB177_1540:
	s_or_saveexec_b32 s8, s8
                                        ; implicit-def: $sgpr9
	s_delay_alu instid0(SALU_CYCLE_1)
	s_xor_b32 exec_lo, exec_lo, s8
	s_cbranch_execz .LBB177_1171
.LBB177_1541:
	v_add_f32_e64 v0, 0x42800000, |v3|
	s_and_not1_b32 s5, s5, exec_lo
	s_mov_b32 s9, 0
	s_delay_alu instid0(VALU_DEP_1) | instskip(NEXT) | instid1(VALU_DEP_1)
	v_and_b32_e32 v0, 0xff, v0
	v_cmp_ne_u32_e32 vcc_lo, 0, v0
	s_and_b32 s10, vcc_lo, exec_lo
	s_delay_alu instid0(SALU_CYCLE_1)
	s_or_b32 s5, s5, s10
	s_or_b32 exec_lo, exec_lo, s8
	v_mov_b32_e32 v1, s9
	s_and_saveexec_b32 s8, s5
	s_cbranch_execnz .LBB177_1172
	s_branch .LBB177_1173
.LBB177_1542:
	s_mov_b32 s0, -1
.LBB177_1543:
                                        ; implicit-def: $vgpr11
.LBB177_1544:
	s_and_b32 vcc_lo, exec_lo, s11
	s_cbranch_vccz .LBB177_1549
; %bb.1545:
	v_cmp_eq_u16_e32 vcc_lo, 44, v16
	s_cbranch_vccz .LBB177_1547
; %bb.1546:
	global_load_u8 v10, v[6:7], off
	s_mov_b32 s0, 0
	s_mov_b32 s10, -1
	s_waitcnt vmcnt(0)
	v_lshlrev_b32_e32 v11, 23, v10
	v_cmp_ne_u32_e32 vcc_lo, 0xff, v10
	s_delay_alu instid0(VALU_DEP_2) | instskip(SKIP_1) | instid1(VALU_DEP_2)
	v_cndmask_b32_e32 v11, 0x7f800001, v11, vcc_lo
	v_cmp_ne_u32_e32 vcc_lo, 0, v10
	v_cndmask_b32_e32 v10, 0x400000, v11, vcc_lo
	s_branch .LBB177_1548
.LBB177_1547:
	s_mov_b32 s0, -1
                                        ; implicit-def: $vgpr10
.LBB177_1548:
	s_delay_alu instid0(SALU_CYCLE_1)
	v_mov_b32_e32 v11, s0
.LBB177_1549:
	s_mov_b32 s11, 0
.LBB177_1550:
	s_delay_alu instid0(SALU_CYCLE_1)
	s_and_b32 vcc_lo, exec_lo, s11
	s_cbranch_vccz .LBB177_1555
; %bb.1551:
	v_cmp_eq_u16_e32 vcc_lo, 29, v16
	s_cbranch_vccz .LBB177_1553
; %bb.1552:
	global_load_b64 v[10:11], v[6:7], off
	s_mov_b32 s0, 0
	s_mov_b32 s10, -1
	s_mov_b32 s11, 0
	s_waitcnt vmcnt(0)
	v_clz_i32_u32_e32 v12, v11
	s_delay_alu instid0(VALU_DEP_1) | instskip(NEXT) | instid1(VALU_DEP_1)
	v_min_u32_e32 v12, 32, v12
	v_lshlrev_b64 v[10:11], v12, v[10:11]
	s_delay_alu instid0(VALU_DEP_1) | instskip(NEXT) | instid1(VALU_DEP_1)
	v_min_u32_e32 v10, 1, v10
	v_or_b32_e32 v10, v11, v10
	v_sub_nc_u32_e32 v11, 32, v12
	s_delay_alu instid0(VALU_DEP_2) | instskip(NEXT) | instid1(VALU_DEP_1)
	v_cvt_f32_u32_e32 v10, v10
	v_ldexp_f32 v10, v10, v11
	s_branch .LBB177_1554
.LBB177_1553:
	s_mov_b32 s0, -1
                                        ; implicit-def: $sgpr11
                                        ; implicit-def: $vgpr10
.LBB177_1554:
	v_mov_b32_e32 v11, s11
.LBB177_1555:
	s_mov_b32 s11, 0
.LBB177_1556:
	s_delay_alu instid0(SALU_CYCLE_1)
	s_and_b32 vcc_lo, exec_lo, s11
	s_cbranch_vccz .LBB177_1576
; %bb.1557:
	v_cmp_gt_i16_e32 vcc_lo, 27, v16
	s_cbranch_vccnz .LBB177_1560
; %bb.1558:
	v_cmp_lt_i16_e32 vcc_lo, 27, v16
	s_cbranch_vccz .LBB177_1561
; %bb.1559:
	global_load_b32 v10, v[6:7], off
	s_mov_b32 s11, 0
	s_mov_b32 s10, 0
	s_waitcnt vmcnt(0)
	v_cvt_f32_u32_e32 v10, v10
	s_branch .LBB177_1562
.LBB177_1560:
	s_mov_b32 s11, -1
                                        ; implicit-def: $sgpr10
                                        ; implicit-def: $vgpr10
	s_branch .LBB177_1565
.LBB177_1561:
	s_mov_b32 s11, -1
                                        ; implicit-def: $sgpr10
                                        ; implicit-def: $vgpr10
.LBB177_1562:
	s_delay_alu instid0(SALU_CYCLE_1)
	s_and_not1_b32 vcc_lo, exec_lo, s11
	s_cbranch_vccnz .LBB177_1564
; %bb.1563:
	global_load_u16 v10, v[6:7], off
	s_mov_b32 s10, 0
	s_waitcnt vmcnt(0)
	v_cvt_f32_u32_e32 v10, v10
.LBB177_1564:
	s_mov_b32 s11, 0
.LBB177_1565:
	v_mov_b32_e32 v11, s10
	s_and_not1_b32 vcc_lo, exec_lo, s11
	s_cbranch_vccnz .LBB177_1575
; %bb.1566:
	global_load_u8 v12, v[6:7], off
	s_mov_b32 s10, 0
	s_mov_b32 s13, exec_lo
                                        ; implicit-def: $sgpr12
                                        ; implicit-def: $sgpr11
	s_waitcnt vmcnt(0)
	v_cmpx_lt_i16_e32 0x7f, v12
	s_xor_b32 s13, exec_lo, s13
	s_cbranch_execz .LBB177_1570
; %bb.1567:
	s_mov_b32 s10, -1
	s_mov_b32 s14, exec_lo
                                        ; implicit-def: $sgpr12
                                        ; implicit-def: $sgpr11
	v_cmpx_eq_u16_e32 0x80, v12
; %bb.1568:
	s_mov_b32 s11, 0x7f800001
	s_mov_b32 s12, 0
	s_xor_b32 s10, exec_lo, -1
; %bb.1569:
	s_or_b32 exec_lo, exec_lo, s14
	s_delay_alu instid0(SALU_CYCLE_1)
	s_and_b32 s10, s10, exec_lo
.LBB177_1570:
	s_or_saveexec_b32 s13, s13
	v_dual_mov_b32 v11, s12 :: v_dual_mov_b32 v10, s11
	s_xor_b32 exec_lo, exec_lo, s13
; %bb.1571:
	v_mov_b32_e32 v11, 0
	v_cmp_ne_u16_e32 vcc_lo, 0, v12
	s_and_not1_b32 s10, s10, exec_lo
	s_delay_alu instid0(VALU_DEP_2) | instskip(SKIP_1) | instid1(SALU_CYCLE_1)
	v_mov_b32_e32 v10, v11
	s_and_b32 s11, vcc_lo, exec_lo
	s_or_b32 s10, s10, s11
; %bb.1572:
	s_or_b32 exec_lo, exec_lo, s13
	s_and_saveexec_b32 s11, s10
	s_cbranch_execz .LBB177_1574
; %bb.1573:
	v_and_b32_e32 v10, 0xffff, v12
	v_lshlrev_b32_e32 v12, 24, v12
	s_delay_alu instid0(VALU_DEP_2) | instskip(NEXT) | instid1(VALU_DEP_2)
	v_and_b32_e32 v11, 7, v10
	v_and_b32_e32 v12, 0x80000000, v12
	s_delay_alu instid0(VALU_DEP_2) | instskip(NEXT) | instid1(VALU_DEP_1)
	v_clz_i32_u32_e32 v13, v11
	v_min_u32_e32 v13, 32, v13
	s_delay_alu instid0(VALU_DEP_1) | instskip(SKIP_1) | instid1(VALU_DEP_2)
	v_subrev_nc_u32_e32 v14, 28, v13
	v_sub_nc_u32_e32 v13, 29, v13
	v_lshlrev_b32_e32 v14, v14, v10
	v_bfe_u32 v10, v10, 3, 4
	s_delay_alu instid0(VALU_DEP_2) | instskip(NEXT) | instid1(VALU_DEP_2)
	v_and_b32_e32 v14, 7, v14
	v_cmp_eq_u32_e32 vcc_lo, 0, v10
	s_delay_alu instid0(VALU_DEP_2) | instskip(NEXT) | instid1(VALU_DEP_1)
	v_dual_cndmask_b32 v10, v10, v13 :: v_dual_cndmask_b32 v11, v11, v14
	v_lshl_add_u32 v10, v10, 23, 0x3b800000
	s_delay_alu instid0(VALU_DEP_2) | instskip(NEXT) | instid1(VALU_DEP_1)
	v_lshlrev_b32_e32 v11, 20, v11
	v_or3_b32 v10, v12, v10, v11
	v_mov_b32_e32 v11, 0
.LBB177_1574:
	s_or_b32 exec_lo, exec_lo, s11
.LBB177_1575:
	s_mov_b32 s10, -1
.LBB177_1576:
	s_branch .LBB177_1608
.LBB177_1577:
	v_cmp_lt_i16_e32 vcc_lo, 22, v16
	s_cbranch_vccz .LBB177_1589
; %bb.1578:
	v_cmp_gt_i16_e32 vcc_lo, 24, v16
	s_cbranch_vccnz .LBB177_1590
; %bb.1579:
	v_cmp_lt_i16_e32 vcc_lo, 24, v16
	s_cbranch_vccz .LBB177_1591
; %bb.1580:
	global_load_u8 v12, v[6:7], off
	s_mov_b32 s12, exec_lo
                                        ; implicit-def: $sgpr11
                                        ; implicit-def: $sgpr10
	s_waitcnt vmcnt(0)
	v_cmpx_lt_i16_e32 0x7f, v12
	s_xor_b32 s12, exec_lo, s12
	s_cbranch_execz .LBB177_1584
; %bb.1581:
	s_mov_b32 s1, -1
	s_mov_b32 s13, exec_lo
                                        ; implicit-def: $sgpr11
                                        ; implicit-def: $sgpr10
	v_cmpx_eq_u16_e32 0x80, v12
; %bb.1582:
	s_mov_b32 s10, 0x7f800001
	s_mov_b32 s11, 0
	s_xor_b32 s1, exec_lo, -1
; %bb.1583:
	s_or_b32 exec_lo, exec_lo, s13
	s_delay_alu instid0(SALU_CYCLE_1)
	s_and_b32 s1, s1, exec_lo
.LBB177_1584:
	s_or_saveexec_b32 s12, s12
	v_dual_mov_b32 v11, s11 :: v_dual_mov_b32 v10, s10
	s_xor_b32 exec_lo, exec_lo, s12
; %bb.1585:
	v_mov_b32_e32 v11, 0
	v_cmp_ne_u16_e32 vcc_lo, 0, v12
	s_and_not1_b32 s1, s1, exec_lo
	s_delay_alu instid0(VALU_DEP_2) | instskip(SKIP_1) | instid1(SALU_CYCLE_1)
	v_mov_b32_e32 v10, v11
	s_and_b32 s10, vcc_lo, exec_lo
	s_or_b32 s1, s1, s10
; %bb.1586:
	s_or_b32 exec_lo, exec_lo, s12
	s_and_saveexec_b32 s10, s1
	s_cbranch_execz .LBB177_1588
; %bb.1587:
	v_and_b32_e32 v10, 0xffff, v12
	v_lshlrev_b32_e32 v12, 24, v12
	s_delay_alu instid0(VALU_DEP_2) | instskip(NEXT) | instid1(VALU_DEP_2)
	v_and_b32_e32 v11, 3, v10
	v_and_b32_e32 v12, 0x80000000, v12
	s_delay_alu instid0(VALU_DEP_2) | instskip(NEXT) | instid1(VALU_DEP_1)
	v_clz_i32_u32_e32 v13, v11
	v_min_u32_e32 v13, 32, v13
	s_delay_alu instid0(VALU_DEP_1) | instskip(SKIP_1) | instid1(VALU_DEP_2)
	v_subrev_nc_u32_e32 v14, 29, v13
	v_sub_nc_u32_e32 v13, 30, v13
	v_lshlrev_b32_e32 v14, v14, v10
	v_bfe_u32 v10, v10, 2, 5
	s_delay_alu instid0(VALU_DEP_2) | instskip(NEXT) | instid1(VALU_DEP_2)
	v_and_b32_e32 v14, 3, v14
	v_cmp_eq_u32_e32 vcc_lo, 0, v10
	s_delay_alu instid0(VALU_DEP_2) | instskip(NEXT) | instid1(VALU_DEP_1)
	v_dual_cndmask_b32 v10, v10, v13 :: v_dual_cndmask_b32 v11, v11, v14
	v_lshl_add_u32 v10, v10, 23, 0x37800000
	s_delay_alu instid0(VALU_DEP_2) | instskip(NEXT) | instid1(VALU_DEP_1)
	v_lshlrev_b32_e32 v11, 21, v11
	v_or3_b32 v10, v12, v10, v11
	v_mov_b32_e32 v11, 0
.LBB177_1588:
	s_or_b32 exec_lo, exec_lo, s10
	s_mov_b32 s1, 0
	s_branch .LBB177_1592
.LBB177_1589:
	s_mov_b32 s1, -1
                                        ; implicit-def: $vgpr11
	s_branch .LBB177_1598
.LBB177_1590:
	s_mov_b32 s1, -1
                                        ; implicit-def: $vgpr11
	s_branch .LBB177_1595
.LBB177_1591:
	s_mov_b32 s1, -1
                                        ; implicit-def: $vgpr11
.LBB177_1592:
	s_delay_alu instid0(SALU_CYCLE_1)
	s_and_b32 vcc_lo, exec_lo, s1
	s_cbranch_vccz .LBB177_1594
; %bb.1593:
	global_load_u8 v10, v[6:7], off
	s_waitcnt vmcnt(0)
	v_lshlrev_b32_e32 v10, 24, v10
	s_delay_alu instid0(VALU_DEP_1) | instskip(NEXT) | instid1(VALU_DEP_1)
	v_and_b32_e32 v11, 0x7f000000, v10
	v_clz_i32_u32_e32 v12, v11
	v_add_nc_u32_e32 v14, 0x1000000, v11
	v_cmp_ne_u32_e32 vcc_lo, 0, v11
	s_delay_alu instid0(VALU_DEP_3) | instskip(NEXT) | instid1(VALU_DEP_1)
	v_min_u32_e32 v12, 32, v12
	v_sub_nc_u32_e64 v12, v12, 4 clamp
	s_delay_alu instid0(VALU_DEP_1) | instskip(SKIP_1) | instid1(VALU_DEP_2)
	v_lshlrev_b32_e32 v13, v12, v11
	v_lshlrev_b32_e32 v12, 23, v12
	v_lshrrev_b32_e32 v13, 4, v13
	s_delay_alu instid0(VALU_DEP_1) | instskip(SKIP_1) | instid1(VALU_DEP_2)
	v_sub_nc_u32_e32 v12, v13, v12
	v_ashrrev_i32_e32 v13, 8, v14
	v_add_nc_u32_e32 v12, 0x3c000000, v12
	s_delay_alu instid0(VALU_DEP_1) | instskip(NEXT) | instid1(VALU_DEP_1)
	v_and_or_b32 v12, 0x7f800000, v13, v12
	v_cndmask_b32_e32 v11, 0, v12, vcc_lo
	s_delay_alu instid0(VALU_DEP_1)
	v_and_or_b32 v10, 0x80000000, v10, v11
	v_mov_b32_e32 v11, 0
.LBB177_1594:
	s_mov_b32 s1, 0
.LBB177_1595:
	s_delay_alu instid0(SALU_CYCLE_1)
	s_and_not1_b32 vcc_lo, exec_lo, s1
	s_cbranch_vccnz .LBB177_1597
; %bb.1596:
	global_load_u8 v10, v[6:7], off
	s_waitcnt vmcnt(0)
	v_lshlrev_b32_e32 v11, 25, v10
	v_lshlrev_b16 v10, 8, v10
	s_delay_alu instid0(VALU_DEP_2) | instskip(NEXT) | instid1(VALU_DEP_2)
	v_lshrrev_b32_e32 v12, 4, v11
	v_and_or_b32 v13, 0x7f00, v10, 0.5
	v_bfe_i32 v10, v10, 0, 16
	s_delay_alu instid0(VALU_DEP_3) | instskip(NEXT) | instid1(VALU_DEP_1)
	v_or_b32_e32 v12, 0x70000000, v12
	v_dual_add_f32 v13, -0.5, v13 :: v_dual_mul_f32 v12, 0x7800000, v12
	v_cmp_gt_u32_e32 vcc_lo, 0x8000000, v11
	s_delay_alu instid0(VALU_DEP_2) | instskip(NEXT) | instid1(VALU_DEP_1)
	v_cndmask_b32_e32 v11, v12, v13, vcc_lo
	v_and_or_b32 v10, 0x80000000, v10, v11
	v_mov_b32_e32 v11, 0
.LBB177_1597:
	s_mov_b32 s1, 0
	s_mov_b32 s10, -1
.LBB177_1598:
	s_and_not1_b32 vcc_lo, exec_lo, s1
	s_mov_b32 s1, 0
	s_cbranch_vccnz .LBB177_1608
; %bb.1599:
	v_cmp_lt_i16_e32 vcc_lo, 14, v16
	s_cbranch_vccz .LBB177_1602
; %bb.1600:
	v_cmp_eq_u16_e32 vcc_lo, 15, v16
	s_cbranch_vccz .LBB177_1603
; %bb.1601:
	global_load_u16 v10, v[6:7], off
	s_mov_b32 s0, 0
	s_mov_b32 s10, -1
	s_mov_b32 s11, 0
	s_waitcnt vmcnt(0)
	v_lshlrev_b32_e32 v10, 16, v10
	s_branch .LBB177_1605
.LBB177_1602:
	s_mov_b32 s1, -1
	s_branch .LBB177_1604
.LBB177_1603:
	s_mov_b32 s0, -1
.LBB177_1604:
                                        ; implicit-def: $sgpr11
                                        ; implicit-def: $vgpr10
.LBB177_1605:
	s_and_b32 vcc_lo, exec_lo, s1
	s_mov_b32 s1, 0
	s_cbranch_vccz .LBB177_1607
; %bb.1606:
	v_cmp_ne_u16_e64 s0, 11, v16
	s_mov_b32 s1, -1
                                        ; implicit-def: $sgpr11
                                        ; implicit-def: $vgpr10
.LBB177_1607:
	v_mov_b32_e32 v11, s11
.LBB177_1608:
	s_delay_alu instid0(VALU_DEP_2)
	s_and_b32 vcc_lo, exec_lo, s0
	s_cbranch_vccnz .LBB177_1670
; %bb.1609:
	s_and_not1_b32 vcc_lo, exec_lo, s1
	s_cbranch_vccnz .LBB177_1611
.LBB177_1610:
	global_load_u8 v10, v[6:7], off
	v_mov_b32_e32 v11, 0
	s_mov_b32 s10, -1
	s_waitcnt vmcnt(0)
	v_cmp_ne_u16_e32 vcc_lo, 0, v10
	v_cndmask_b32_e64 v10, 0, 1.0, vcc_lo
.LBB177_1611:
.LBB177_1612:
	s_and_not1_b32 vcc_lo, exec_lo, s10
	s_cbranch_vccnz .LBB177_1978
.LBB177_1613:
	s_waitcnt vmcnt(0)
	s_delay_alu instid0(VALU_DEP_1) | instskip(NEXT) | instid1(VALU_DEP_2)
	v_cmp_neq_f32_e32 vcc_lo, 0, v10
	v_cmp_neq_f32_e64 s0, 0, v11
	v_mov_b32_e32 v12, 0
	s_delay_alu instid0(VALU_DEP_2) | instskip(NEXT) | instid1(SALU_CYCLE_1)
	s_or_b32 s0, vcc_lo, s0
	s_and_saveexec_b32 s10, s0
	s_cbranch_execz .LBB177_1643
; %bb.1614:
	v_mov_b32_e32 v12, 0x7f800000
	s_mov_b32 s11, exec_lo
	v_cmpx_neq_f32_e64 0x7f800000, |v11|
	s_cbranch_execz .LBB177_1642
; %bb.1615:
	s_mov_b32 s0, exec_lo
	v_cmpx_o_f32_e32 v10, v10
	s_xor_b32 s12, exec_lo, s0
	s_cbranch_execz .LBB177_1639
; %bb.1616:
	s_mov_b32 s1, exec_lo
	v_cmpx_neq_f32_e64 0x7f800000, |v10|
	s_xor_b32 s13, exec_lo, s1
	s_cbranch_execz .LBB177_1632
; %bb.1617:
	v_max_f32_e64 v6, |v11|, |v11|
	v_max_f32_e64 v7, |v10|, |v10|
                                        ; implicit-def: $sgpr14
	s_delay_alu instid0(VALU_DEP_1) | instskip(NEXT) | instid1(VALU_DEP_1)
	v_max_f32_e32 v6, v7, v6
	v_cmp_nle_f32_e64 s0, 0x7ed413cb, v6
	s_delay_alu instid0(VALU_DEP_1) | instskip(NEXT) | instid1(SALU_CYCLE_1)
	s_and_saveexec_b32 s1, s0
	s_xor_b32 s1, exec_lo, s1
	s_cbranch_execz .LBB177_1621
; %bb.1618:
	v_cmp_ge_f32_e64 s14, 0x1000000, |v10|
	v_cmp_ge_f32_e64 s15, 0x1000000, |v11|
	s_delay_alu instid0(VALU_DEP_1)
	s_and_b32 s16, s14, s15
	s_mov_b32 s14, 0
	s_and_saveexec_b32 s15, s16
; %bb.1619:
	v_dual_mul_f32 v11, 4.0, v11 :: v_dual_mul_f32 v10, 4.0, v10
	s_mov_b32 s14, exec_lo
; %bb.1620:
	s_or_b32 exec_lo, exec_lo, s15
	s_delay_alu instid0(SALU_CYCLE_1)
	s_and_b32 s14, s14, exec_lo
.LBB177_1621:
	s_and_not1_saveexec_b32 s1, s1
; %bb.1622:
	v_dual_mul_f32 v10, 0x3e800000, v10 :: v_dual_mul_f32 v11, 0x3e800000, v11
	s_and_not1_b32 s14, s14, exec_lo
; %bb.1623:
	s_or_b32 exec_lo, exec_lo, s1
	s_delay_alu instid0(VALU_DEP_1) | instskip(NEXT) | instid1(VALU_DEP_2)
	v_max_f32_e64 v6, |v11|, |v11|
	v_max_f32_e64 v7, |v10|, |v10|
	s_delay_alu instid0(VALU_DEP_1) | instskip(NEXT) | instid1(VALU_DEP_1)
	v_max_f32_e32 v12, v7, v6
	v_cvt_f64_f32_e32 v[6:7], v12
	s_delay_alu instid0(VALU_DEP_1) | instskip(NEXT) | instid1(VALU_DEP_1)
	v_frexp_exp_i32_f64_e32 v6, v[6:7]
	v_sub_nc_u32_e32 v7, 0, v6
	s_delay_alu instid0(VALU_DEP_1) | instskip(SKIP_1) | instid1(VALU_DEP_2)
	v_ldexp_f32 v13, |v11|, v7
	v_ldexp_f32 v7, |v10|, v7
	v_mul_f32_e32 v13, v13, v13
	v_cmp_neq_f32_e64 s1, 0x7f800000, v12
	s_delay_alu instid0(VALU_DEP_2) | instskip(NEXT) | instid1(VALU_DEP_1)
	v_fmac_f32_e32 v13, v7, v7
	v_sqrt_f32_e32 v7, v13
	s_waitcnt_depctr 0xfff
	v_ldexp_f32 v6, v7, v6
                                        ; implicit-def: $vgpr7
	s_delay_alu instid0(VALU_DEP_1)
	v_cndmask_b32_e64 v12, 0x7f800000, v6, s1
                                        ; implicit-def: $vgpr6
	s_mov_b32 s1, exec_lo
	v_cmpx_le_f32_e32 0, v10
	s_xor_b32 s15, exec_lo, s1
	s_cbranch_execz .LBB177_1625
; %bb.1624:
	v_add_f32_e32 v6, v10, v12
	s_delay_alu instid0(VALU_DEP_1) | instskip(NEXT) | instid1(VALU_DEP_1)
	v_mul_f32_e32 v6, 0.5, v6
	v_mul_f32_e32 v7, 0x4f800000, v6
	v_cmp_gt_f32_e32 vcc_lo, 0xf800000, v6
	s_delay_alu instid0(VALU_DEP_2) | instskip(NEXT) | instid1(VALU_DEP_1)
	v_cndmask_b32_e32 v6, v6, v7, vcc_lo
	v_sqrt_f32_e32 v7, v6
	s_waitcnt_depctr 0xfff
	v_add_nc_u32_e32 v10, -1, v7
	v_add_nc_u32_e32 v12, 1, v7
	s_delay_alu instid0(VALU_DEP_2) | instskip(NEXT) | instid1(VALU_DEP_2)
	v_fma_f32 v13, -v10, v7, v6
	v_fma_f32 v14, -v12, v7, v6
	s_delay_alu instid0(VALU_DEP_2) | instskip(NEXT) | instid1(VALU_DEP_1)
	v_cmp_ge_f32_e64 s1, 0, v13
	v_cndmask_b32_e64 v7, v7, v10, s1
	s_delay_alu instid0(VALU_DEP_3) | instskip(NEXT) | instid1(VALU_DEP_1)
	v_cmp_lt_f32_e64 s1, 0, v14
	v_cndmask_b32_e64 v7, v7, v12, s1
	s_delay_alu instid0(VALU_DEP_1) | instskip(NEXT) | instid1(VALU_DEP_1)
	v_mul_f32_e32 v10, 0x37800000, v7
	v_cndmask_b32_e32 v7, v7, v10, vcc_lo
	v_cmp_class_f32_e64 vcc_lo, v6, 0x260
	s_delay_alu instid0(VALU_DEP_2) | instskip(NEXT) | instid1(VALU_DEP_1)
	v_cndmask_b32_e32 v6, v7, v6, vcc_lo
	v_add_f32_e32 v7, v6, v6
	s_delay_alu instid0(VALU_DEP_1) | instskip(NEXT) | instid1(VALU_DEP_1)
	v_div_scale_f32 v10, null, v7, v7, v11
	v_rcp_f32_e32 v12, v10
	s_waitcnt_depctr 0xfff
	v_fma_f32 v13, -v10, v12, 1.0
	s_delay_alu instid0(VALU_DEP_1) | instskip(SKIP_1) | instid1(VALU_DEP_1)
	v_fmac_f32_e32 v12, v13, v12
	v_div_scale_f32 v13, vcc_lo, v11, v7, v11
	v_mul_f32_e32 v14, v13, v12
	s_delay_alu instid0(VALU_DEP_1) | instskip(NEXT) | instid1(VALU_DEP_1)
	v_fma_f32 v15, -v10, v14, v13
	v_fmac_f32_e32 v14, v15, v12
	s_delay_alu instid0(VALU_DEP_1) | instskip(NEXT) | instid1(VALU_DEP_1)
	v_fma_f32 v10, -v10, v14, v13
	v_div_fmas_f32 v10, v10, v12, v14
                                        ; implicit-def: $vgpr12
	s_delay_alu instid0(VALU_DEP_1)
	v_div_fixup_f32 v7, v10, v7, v11
                                        ; implicit-def: $vgpr10
	s_and_not1_saveexec_b32 s15, s15
	s_cbranch_execz .LBB177_1627
	s_branch .LBB177_1626
.LBB177_1625:
	s_and_not1_saveexec_b32 s15, s15
	s_cbranch_execz .LBB177_1627
.LBB177_1626:
	v_sub_f32_e32 v6, v12, v10
	s_delay_alu instid0(VALU_DEP_1) | instskip(NEXT) | instid1(VALU_DEP_1)
	v_mul_f32_e32 v6, 0.5, v6
	v_mul_f32_e32 v7, 0x4f800000, v6
	v_cmp_gt_f32_e32 vcc_lo, 0xf800000, v6
	s_delay_alu instid0(VALU_DEP_2) | instskip(NEXT) | instid1(VALU_DEP_1)
	v_cndmask_b32_e32 v6, v6, v7, vcc_lo
	v_sqrt_f32_e32 v7, v6
	s_waitcnt_depctr 0xfff
	v_add_nc_u32_e32 v10, -1, v7
	v_add_nc_u32_e32 v12, 1, v7
	s_delay_alu instid0(VALU_DEP_2) | instskip(NEXT) | instid1(VALU_DEP_2)
	v_fma_f32 v13, -v10, v7, v6
	v_fma_f32 v14, -v12, v7, v6
	s_delay_alu instid0(VALU_DEP_2) | instskip(NEXT) | instid1(VALU_DEP_1)
	v_cmp_ge_f32_e64 s1, 0, v13
	v_cndmask_b32_e64 v7, v7, v10, s1
	s_delay_alu instid0(VALU_DEP_3) | instskip(NEXT) | instid1(VALU_DEP_1)
	v_cmp_lt_f32_e64 s1, 0, v14
	v_cndmask_b32_e64 v7, v7, v12, s1
	s_delay_alu instid0(VALU_DEP_1) | instskip(NEXT) | instid1(VALU_DEP_1)
	v_mul_f32_e32 v10, 0x37800000, v7
	v_cndmask_b32_e32 v7, v7, v10, vcc_lo
	v_cmp_class_f32_e64 vcc_lo, v6, 0x260
	s_delay_alu instid0(VALU_DEP_2) | instskip(NEXT) | instid1(VALU_DEP_1)
	v_dual_cndmask_b32 v7, v7, v6 :: v_dual_and_b32 v6, 0x7fffffff, v11
	v_add_f32_e32 v10, v7, v7
	v_bfi_b32 v7, 0x7fffffff, v7, v11
	s_delay_alu instid0(VALU_DEP_2) | instskip(SKIP_1) | instid1(VALU_DEP_2)
	v_div_scale_f32 v12, null, v10, v10, v6
	v_div_scale_f32 v6, vcc_lo, v6, v10, v6
	v_rcp_f32_e32 v13, v12
	s_waitcnt_depctr 0xfff
	v_fma_f32 v14, -v12, v13, 1.0
	s_delay_alu instid0(VALU_DEP_1) | instskip(NEXT) | instid1(VALU_DEP_1)
	v_fmac_f32_e32 v13, v14, v13
	v_mul_f32_e32 v14, v6, v13
	s_delay_alu instid0(VALU_DEP_1) | instskip(NEXT) | instid1(VALU_DEP_1)
	v_fma_f32 v15, -v12, v14, v6
	v_fmac_f32_e32 v14, v15, v13
	s_delay_alu instid0(VALU_DEP_1) | instskip(NEXT) | instid1(VALU_DEP_1)
	v_fma_f32 v6, -v12, v14, v6
	v_div_fmas_f32 v6, v6, v13, v14
	s_delay_alu instid0(VALU_DEP_1)
	v_div_fixup_f32 v6, v6, v10, |v11|
.LBB177_1627:
	s_or_b32 exec_lo, exec_lo, s15
                                        ; implicit-def: $vgpr11
	s_and_saveexec_b32 s1, s0
	s_delay_alu instid0(SALU_CYCLE_1)
	s_xor_b32 s0, exec_lo, s1
	s_cbranch_execz .LBB177_1629
; %bb.1628:
	v_dual_mul_f32 v10, 0.5, v6 :: v_dual_mul_f32 v11, 0.5, v7
	s_delay_alu instid0(VALU_DEP_1) | instskip(NEXT) | instid1(VALU_DEP_2)
	v_cndmask_b32_e64 v10, v6, v10, s14
	v_cndmask_b32_e64 v11, v7, v11, s14
                                        ; implicit-def: $vgpr6
                                        ; implicit-def: $vgpr7
	s_and_not1_saveexec_b32 s0, s0
	s_cbranch_execnz .LBB177_1630
	s_branch .LBB177_1631
.LBB177_1629:
	s_and_not1_saveexec_b32 s0, s0
.LBB177_1630:
	v_dual_add_f32 v10, v6, v6 :: v_dual_add_f32 v11, v7, v7
.LBB177_1631:
	s_or_b32 exec_lo, exec_lo, s0
.LBB177_1632:
	s_and_not1_saveexec_b32 s0, s13
	s_cbranch_execz .LBB177_1638
; %bb.1633:
	s_delay_alu instid0(VALU_DEP_1)
	v_sub_f32_e32 v6, v11, v11
	s_mov_b32 s1, exec_lo
	v_cmpx_lt_i32_e32 -1, v10
	s_xor_b32 s1, exec_lo, s1
; %bb.1634:
	s_delay_alu instid0(VALU_DEP_2)
	v_bfi_b32 v11, 0x7fffffff, v6, v11
                                        ; implicit-def: $vgpr6
; %bb.1635:
	s_and_not1_saveexec_b32 s1, s1
; %bb.1636:
	v_and_b32_e32 v6, 0x7fffffff, v6
	s_delay_alu instid0(VALU_DEP_2) | instskip(NEXT) | instid1(VALU_DEP_2)
	v_bfi_b32 v11, 0x7fffffff, v10, v11
	v_mov_b32_e32 v10, v6
; %bb.1637:
	s_or_b32 exec_lo, exec_lo, s1
.LBB177_1638:
	s_delay_alu instid0(SALU_CYCLE_1)
	s_or_b32 exec_lo, exec_lo, s0
.LBB177_1639:
	s_and_not1_saveexec_b32 s0, s12
; %bb.1640:
	v_sub_f32_e32 v6, v11, v11
	s_delay_alu instid0(VALU_DEP_1) | instskip(NEXT) | instid1(VALU_DEP_1)
	v_div_scale_f32 v7, vcc_lo, v6, v6, v6
	v_rcp_f32_e32 v11, v7
	s_waitcnt_depctr 0xfff
	v_fma_f32 v12, -v7, v11, 1.0
	s_delay_alu instid0(VALU_DEP_1) | instskip(NEXT) | instid1(VALU_DEP_1)
	v_fmac_f32_e32 v11, v12, v11
	v_mul_f32_e32 v12, v7, v11
	s_delay_alu instid0(VALU_DEP_1) | instskip(NEXT) | instid1(VALU_DEP_1)
	v_fma_f32 v13, -v7, v12, v7
	v_fmac_f32_e32 v12, v13, v11
	s_delay_alu instid0(VALU_DEP_1) | instskip(NEXT) | instid1(VALU_DEP_1)
	v_fma_f32 v7, -v7, v12, v7
	v_div_fmas_f32 v7, v7, v11, v12
	s_delay_alu instid0(VALU_DEP_1)
	v_div_fixup_f32 v11, v7, v6, v6
; %bb.1641:
	s_or_b32 exec_lo, exec_lo, s0
	v_mov_b32_e32 v12, v10
.LBB177_1642:
	s_or_b32 exec_lo, exec_lo, s11
.LBB177_1643:
	s_delay_alu instid0(SALU_CYCLE_1) | instskip(NEXT) | instid1(VALU_DEP_1)
	s_or_b32 exec_lo, exec_lo, s10
	v_cmp_gt_f32_e32 vcc_lo, 0, v12
                                        ; implicit-def: $vgpr7
	s_mov_b32 s0, exec_lo
	v_cndmask_b32_e64 v10, v12, -v12, vcc_lo
	v_cmp_gt_f32_e32 vcc_lo, 0, v11
	v_cndmask_b32_e64 v13, v11, -v11, vcc_lo
	s_delay_alu instid0(VALU_DEP_1)
	v_cmpx_ge_f32_e32 v10, v13
	s_xor_b32 s1, exec_lo, s0
	s_cbranch_execz .LBB177_1649
; %bb.1644:
	v_cmp_neq_f32_e32 vcc_lo, 0, v12
	v_cmp_neq_f32_e64 s0, 0, v11
                                        ; implicit-def: $vgpr7
	s_delay_alu instid0(VALU_DEP_1) | instskip(NEXT) | instid1(SALU_CYCLE_1)
	s_or_b32 s0, vcc_lo, s0
	s_and_saveexec_b32 s10, s0
	s_delay_alu instid0(SALU_CYCLE_1)
	s_xor_b32 s0, exec_lo, s10
	s_cbranch_execz .LBB177_1646
; %bb.1645:
	v_div_scale_f32 v6, null, v12, v12, v11
	v_div_scale_f32 v13, vcc_lo, v11, v12, v11
	s_delay_alu instid0(VALU_DEP_2) | instskip(SKIP_2) | instid1(VALU_DEP_1)
	v_rcp_f32_e32 v7, v6
	s_waitcnt_depctr 0xfff
	v_fma_f32 v10, -v6, v7, 1.0
	v_fmac_f32_e32 v7, v10, v7
	s_delay_alu instid0(VALU_DEP_1) | instskip(NEXT) | instid1(VALU_DEP_1)
	v_mul_f32_e32 v10, v13, v7
	v_fma_f32 v14, -v6, v10, v13
	s_delay_alu instid0(VALU_DEP_1) | instskip(NEXT) | instid1(VALU_DEP_1)
	v_fmac_f32_e32 v10, v14, v7
	v_fma_f32 v6, -v6, v10, v13
	s_delay_alu instid0(VALU_DEP_1) | instskip(NEXT) | instid1(VALU_DEP_1)
	v_div_fmas_f32 v6, v6, v7, v10
	v_div_fixup_f32 v7, v6, v12, v11
	s_delay_alu instid0(VALU_DEP_1) | instskip(NEXT) | instid1(VALU_DEP_1)
	v_fmac_f32_e32 v12, v11, v7
	v_div_scale_f32 v6, null, v12, v12, 1.0
	v_div_scale_f32 v13, vcc_lo, 1.0, v12, 1.0
	s_delay_alu instid0(VALU_DEP_2) | instskip(SKIP_2) | instid1(VALU_DEP_1)
	v_rcp_f32_e32 v10, v6
	s_waitcnt_depctr 0xfff
	v_fma_f32 v11, -v6, v10, 1.0
	v_fmac_f32_e32 v10, v11, v10
	s_delay_alu instid0(VALU_DEP_1) | instskip(NEXT) | instid1(VALU_DEP_1)
	v_mul_f32_e32 v11, v13, v10
	v_fma_f32 v14, -v6, v11, v13
	s_delay_alu instid0(VALU_DEP_1) | instskip(NEXT) | instid1(VALU_DEP_1)
	v_fmac_f32_e32 v11, v14, v10
	v_fma_f32 v6, -v6, v11, v13
                                        ; implicit-def: $vgpr13
	s_delay_alu instid0(VALU_DEP_1) | instskip(SKIP_1) | instid1(VALU_DEP_2)
	v_div_fmas_f32 v6, v6, v10, v11
	v_fma_f32 v10, v7, 0, 1.0
	v_div_fixup_f32 v11, v6, v12, 1.0
	s_delay_alu instid0(VALU_DEP_1)
	v_mul_f32_e32 v6, v10, v11
	v_mul_f32_e64 v7, -v7, v11
                                        ; implicit-def: $vgpr10
.LBB177_1646:
	s_and_not1_saveexec_b32 s10, s0
	s_cbranch_execz .LBB177_1648
; %bb.1647:
	v_div_scale_f32 v6, null, v10, v10, 1.0
	v_div_scale_f32 v7, null, v13, v13, 0
	v_div_scale_f32 v17, vcc_lo, 1.0, v10, 1.0
	s_delay_alu instid0(VALU_DEP_3) | instskip(NEXT) | instid1(VALU_DEP_2)
	v_rcp_f32_e32 v11, v6
	v_rcp_f32_e32 v12, v7
	s_waitcnt_depctr 0xfff
	v_fma_f32 v14, -v6, v11, 1.0
	v_fma_f32 v15, -v7, v12, 1.0
	s_delay_alu instid0(VALU_DEP_1) | instskip(SKIP_1) | instid1(VALU_DEP_1)
	v_dual_fmac_f32 v11, v14, v11 :: v_dual_fmac_f32 v12, v15, v12
	v_div_scale_f32 v14, s0, 0, v13, 0
	v_dual_mul_f32 v15, v17, v11 :: v_dual_mul_f32 v18, v14, v12
	s_delay_alu instid0(VALU_DEP_1) | instskip(NEXT) | instid1(VALU_DEP_2)
	v_fma_f32 v19, -v6, v15, v17
	v_fma_f32 v20, -v7, v18, v14
	s_delay_alu instid0(VALU_DEP_1) | instskip(NEXT) | instid1(VALU_DEP_1)
	v_dual_fmac_f32 v15, v19, v11 :: v_dual_fmac_f32 v18, v20, v12
	v_fma_f32 v6, -v6, v15, v17
	s_delay_alu instid0(VALU_DEP_2) | instskip(NEXT) | instid1(VALU_DEP_2)
	v_fma_f32 v7, -v7, v18, v14
	v_div_fmas_f32 v6, v6, v11, v15
	s_mov_b32 vcc_lo, s0
	s_delay_alu instid0(VALU_DEP_2) | instskip(NEXT) | instid1(VALU_DEP_2)
	v_div_fmas_f32 v7, v7, v12, v18
	v_div_fixup_f32 v6, v6, v10, 1.0
	s_delay_alu instid0(VALU_DEP_2)
	v_div_fixup_f32 v7, v7, v13, 0
.LBB177_1648:
	s_or_b32 exec_lo, exec_lo, s10
                                        ; implicit-def: $vgpr11
                                        ; implicit-def: $vgpr12
.LBB177_1649:
	s_and_not1_saveexec_b32 s0, s1
	s_cbranch_execz .LBB177_1651
; %bb.1650:
	v_div_scale_f32 v6, null, v11, v11, v12
	v_div_scale_f32 v13, vcc_lo, v12, v11, v12
	s_delay_alu instid0(VALU_DEP_2) | instskip(SKIP_2) | instid1(VALU_DEP_1)
	v_rcp_f32_e32 v7, v6
	s_waitcnt_depctr 0xfff
	v_fma_f32 v10, -v6, v7, 1.0
	v_fmac_f32_e32 v7, v10, v7
	s_delay_alu instid0(VALU_DEP_1) | instskip(NEXT) | instid1(VALU_DEP_1)
	v_mul_f32_e32 v10, v13, v7
	v_fma_f32 v14, -v6, v10, v13
	s_delay_alu instid0(VALU_DEP_1) | instskip(NEXT) | instid1(VALU_DEP_1)
	v_fmac_f32_e32 v10, v14, v7
	v_fma_f32 v6, -v6, v10, v13
	s_delay_alu instid0(VALU_DEP_1) | instskip(NEXT) | instid1(VALU_DEP_1)
	v_div_fmas_f32 v6, v6, v7, v10
	v_div_fixup_f32 v6, v6, v11, v12
	s_delay_alu instid0(VALU_DEP_1) | instskip(NEXT) | instid1(VALU_DEP_1)
	v_fmac_f32_e32 v11, v12, v6
	v_div_scale_f32 v7, null, v11, v11, 1.0
	v_div_scale_f32 v13, vcc_lo, 1.0, v11, 1.0
	s_delay_alu instid0(VALU_DEP_2) | instskip(SKIP_2) | instid1(VALU_DEP_1)
	v_rcp_f32_e32 v10, v7
	s_waitcnt_depctr 0xfff
	v_fma_f32 v12, -v7, v10, 1.0
	v_fmac_f32_e32 v10, v12, v10
	s_delay_alu instid0(VALU_DEP_1) | instskip(NEXT) | instid1(VALU_DEP_1)
	v_mul_f32_e32 v12, v13, v10
	v_fma_f32 v14, -v7, v12, v13
	s_delay_alu instid0(VALU_DEP_1) | instskip(NEXT) | instid1(VALU_DEP_1)
	v_fmac_f32_e32 v12, v14, v10
	v_fma_f32 v7, -v7, v12, v13
	s_delay_alu instid0(VALU_DEP_1) | instskip(SKIP_1) | instid1(VALU_DEP_2)
	v_div_fmas_f32 v7, v7, v10, v12
	v_add_f32_e32 v10, 0, v6
	v_div_fixup_f32 v7, v7, v11, 1.0
	v_fma_f32 v11, v6, 0, -1.0
	s_delay_alu instid0(VALU_DEP_2) | instskip(NEXT) | instid1(VALU_DEP_2)
	v_mul_f32_e32 v6, v10, v7
	v_mul_f32_e32 v7, v11, v7
.LBB177_1651:
	s_or_b32 exec_lo, exec_lo, s0
	v_cmp_gt_i16_e32 vcc_lo, 11, v16
	v_add_co_u32 v12, s0, s6, v9
	s_delay_alu instid0(VALU_DEP_1)
	v_add_co_ci_u32_e64 v13, null, s7, 0, s0
	s_mov_b32 s10, 0
	s_cbranch_vccnz .LBB177_1658
; %bb.1652:
	v_cmp_lt_i16_e32 vcc_lo, 25, v16
	s_mov_b32 s1, 0
	s_cbranch_vccz .LBB177_1664
; %bb.1653:
	v_cmp_lt_i16_e32 vcc_lo, 28, v16
	s_cbranch_vccz .LBB177_1666
; %bb.1654:
	v_cmp_lt_i16_e32 vcc_lo, 43, v16
	;; [unrolled: 3-line block ×3, first 2 shown]
	s_cbranch_vccz .LBB177_1672
; %bb.1656:
	v_cmp_eq_u16_e32 vcc_lo, 46, v16
	s_mov_b32 s11, 0
	s_cbranch_vccz .LBB177_1717
; %bb.1657:
	global_load_b32 v9, v[12:13], off
	s_mov_b32 s0, 0
	s_mov_b32 s10, -1
	s_waitcnt vmcnt(0)
	v_and_b32_e32 v11, 0xffff0000, v9
	v_lshlrev_b32_e32 v10, 16, v9
	s_branch .LBB177_1719
.LBB177_1658:
                                        ; implicit-def: $vgpr11
	s_cbranch_execz .LBB177_1788
; %bb.1659:
	v_cmp_gt_i16_e32 vcc_lo, 5, v16
	s_cbranch_vccnz .LBB177_1665
; %bb.1660:
	v_cmp_gt_i16_e32 vcc_lo, 8, v16
	s_cbranch_vccnz .LBB177_1667
	;; [unrolled: 3-line block ×3, first 2 shown]
; %bb.1662:
	v_cmp_lt_i16_e32 vcc_lo, 9, v16
	s_cbranch_vccz .LBB177_1673
; %bb.1663:
	global_load_b128 v[17:20], v[12:13], off
	s_mov_b32 s0, 0
	s_waitcnt vmcnt(0)
	v_cvt_f32_f64_e32 v10, v[17:18]
	v_cvt_f32_f64_e32 v11, v[19:20]
	s_branch .LBB177_1674
.LBB177_1664:
	s_mov_b32 s11, -1
	s_mov_b32 s0, 0
                                        ; implicit-def: $vgpr11
	s_branch .LBB177_1752
.LBB177_1665:
	s_mov_b32 s0, -1
                                        ; implicit-def: $vgpr11
	s_branch .LBB177_1693
.LBB177_1666:
	s_mov_b32 s11, -1
	s_mov_b32 s0, 0
                                        ; implicit-def: $vgpr11
	s_branch .LBB177_1731
.LBB177_1667:
	s_mov_b32 s0, -1
                                        ; implicit-def: $vgpr11
	s_branch .LBB177_1680
.LBB177_1668:
	s_mov_b32 s11, -1
	s_mov_b32 s0, 0
                                        ; implicit-def: $vgpr11
	s_branch .LBB177_1725
.LBB177_1669:
	s_mov_b32 s0, -1
                                        ; implicit-def: $vgpr11
	s_branch .LBB177_1677
.LBB177_1670:
	s_cbranch_execnz .LBB177_1715
; %bb.1671:
	s_or_b32 s2, s2, exec_lo
                                        ; implicit-def: $vgpr11
	s_cbranch_execz .LBB177_1610
	s_branch .LBB177_1611
.LBB177_1672:
	s_mov_b32 s11, -1
	s_mov_b32 s0, 0
	s_branch .LBB177_1718
.LBB177_1673:
	s_mov_b32 s0, -1
                                        ; implicit-def: $vgpr11
.LBB177_1674:
	s_delay_alu instid0(SALU_CYCLE_1)
	s_and_not1_b32 vcc_lo, exec_lo, s0
	s_cbranch_vccnz .LBB177_1676
; %bb.1675:
	global_load_b64 v[10:11], v[12:13], off
.LBB177_1676:
	s_mov_b32 s0, 0
.LBB177_1677:
	s_delay_alu instid0(SALU_CYCLE_1)
	s_and_not1_b32 vcc_lo, exec_lo, s0
	s_cbranch_vccnz .LBB177_1679
; %bb.1678:
	global_load_b32 v9, v[12:13], off
	s_waitcnt vmcnt(0)
	v_lshrrev_b32_e32 v11, 16, v9
	v_cvt_f32_f16_e32 v10, v9
	s_delay_alu instid0(VALU_DEP_2)
	v_cvt_f32_f16_e32 v11, v11
.LBB177_1679:
	s_mov_b32 s0, 0
.LBB177_1680:
	s_delay_alu instid0(SALU_CYCLE_1)
	s_and_not1_b32 vcc_lo, exec_lo, s0
	s_cbranch_vccnz .LBB177_1692
; %bb.1681:
	v_cmp_gt_i16_e32 vcc_lo, 6, v16
	s_cbranch_vccnz .LBB177_1684
; %bb.1682:
	v_cmp_lt_i16_e32 vcc_lo, 6, v16
	s_cbranch_vccz .LBB177_1685
; %bb.1683:
	global_load_b64 v[9:10], v[12:13], off
	s_mov_b32 s1, 0
	s_mov_b32 s0, 0
	s_waitcnt vmcnt(0)
	v_cvt_f32_f64_e32 v10, v[9:10]
	s_branch .LBB177_1686
.LBB177_1684:
	s_mov_b32 s1, -1
                                        ; implicit-def: $sgpr0
                                        ; implicit-def: $vgpr10
	s_branch .LBB177_1689
.LBB177_1685:
	s_mov_b32 s1, -1
                                        ; implicit-def: $sgpr0
                                        ; implicit-def: $vgpr10
.LBB177_1686:
	s_delay_alu instid0(SALU_CYCLE_1)
	s_and_not1_b32 vcc_lo, exec_lo, s1
	s_cbranch_vccnz .LBB177_1688
; %bb.1687:
	global_load_b32 v10, v[12:13], off
	s_mov_b32 s0, 0
.LBB177_1688:
	s_mov_b32 s1, 0
.LBB177_1689:
	s_delay_alu instid0(SALU_CYCLE_1)
	s_and_not1_b32 vcc_lo, exec_lo, s1
	s_cbranch_vccnz .LBB177_1691
; %bb.1690:
	global_load_u16 v9, v[12:13], off
	s_mov_b32 s0, 0
	s_waitcnt vmcnt(0)
	v_cvt_f32_f16_e32 v10, v9
.LBB177_1691:
	s_waitcnt vmcnt(0)
	v_mov_b32_e32 v11, s0
.LBB177_1692:
	s_mov_b32 s0, 0
.LBB177_1693:
	s_delay_alu instid0(SALU_CYCLE_1)
	s_and_not1_b32 vcc_lo, exec_lo, s0
	s_cbranch_vccnz .LBB177_1714
; %bb.1694:
	v_cmp_gt_i16_e32 vcc_lo, 2, v16
	s_cbranch_vccnz .LBB177_1698
; %bb.1695:
	v_cmp_gt_i16_e32 vcc_lo, 3, v16
	s_cbranch_vccnz .LBB177_1699
; %bb.1696:
	v_cmp_lt_i16_e32 vcc_lo, 3, v16
	s_cbranch_vccz .LBB177_1700
; %bb.1697:
	global_load_b64 v[9:10], v[12:13], off
	s_mov_b32 s1, 0
	s_mov_b32 s0, 0
	s_waitcnt vmcnt(0)
	v_xor_b32_e32 v11, v9, v10
	v_cls_i32_e32 v14, v10
	s_delay_alu instid0(VALU_DEP_2) | instskip(NEXT) | instid1(VALU_DEP_2)
	v_ashrrev_i32_e32 v11, 31, v11
	v_add_nc_u32_e32 v14, -1, v14
	s_delay_alu instid0(VALU_DEP_2) | instskip(NEXT) | instid1(VALU_DEP_1)
	v_add_nc_u32_e32 v11, 32, v11
	v_min_u32_e32 v11, v14, v11
	s_delay_alu instid0(VALU_DEP_1) | instskip(NEXT) | instid1(VALU_DEP_1)
	v_lshlrev_b64 v[9:10], v11, v[9:10]
	v_min_u32_e32 v9, 1, v9
	s_delay_alu instid0(VALU_DEP_1) | instskip(SKIP_1) | instid1(VALU_DEP_2)
	v_or_b32_e32 v9, v10, v9
	v_sub_nc_u32_e32 v10, 32, v11
	v_cvt_f32_i32_e32 v9, v9
	s_delay_alu instid0(VALU_DEP_1)
	v_ldexp_f32 v10, v9, v10
	s_branch .LBB177_1701
.LBB177_1698:
	s_mov_b32 s1, -1
                                        ; implicit-def: $sgpr0
                                        ; implicit-def: $vgpr10
	s_branch .LBB177_1707
.LBB177_1699:
	s_mov_b32 s1, -1
                                        ; implicit-def: $sgpr0
                                        ; implicit-def: $vgpr10
	s_branch .LBB177_1704
.LBB177_1700:
	s_mov_b32 s1, -1
                                        ; implicit-def: $sgpr0
                                        ; implicit-def: $vgpr10
.LBB177_1701:
	s_delay_alu instid0(SALU_CYCLE_1)
	s_and_not1_b32 vcc_lo, exec_lo, s1
	s_cbranch_vccnz .LBB177_1703
; %bb.1702:
	global_load_b32 v9, v[12:13], off
	s_mov_b32 s0, 0
	s_waitcnt vmcnt(0)
	v_cvt_f32_i32_e32 v10, v9
.LBB177_1703:
	s_mov_b32 s1, 0
.LBB177_1704:
	s_delay_alu instid0(SALU_CYCLE_1)
	s_and_not1_b32 vcc_lo, exec_lo, s1
	s_cbranch_vccnz .LBB177_1706
; %bb.1705:
	global_load_i16 v9, v[12:13], off
	s_mov_b32 s0, 0
	s_waitcnt vmcnt(0)
	v_cvt_f32_i32_e32 v10, v9
.LBB177_1706:
	s_mov_b32 s1, 0
.LBB177_1707:
	s_delay_alu instid0(SALU_CYCLE_1)
	s_and_not1_b32 vcc_lo, exec_lo, s1
	s_cbranch_vccnz .LBB177_1713
; %bb.1708:
	v_cmp_lt_i16_e32 vcc_lo, 0, v16
	s_mov_b32 s1, 0
	s_cbranch_vccz .LBB177_1710
; %bb.1709:
	global_load_i8 v9, v[12:13], off
	s_mov_b32 s0, 0
	s_waitcnt vmcnt(0)
	v_cvt_f32_i32_e32 v10, v9
	s_branch .LBB177_1711
.LBB177_1710:
	s_mov_b32 s1, -1
                                        ; implicit-def: $sgpr0
                                        ; implicit-def: $vgpr10
.LBB177_1711:
	s_delay_alu instid0(SALU_CYCLE_1)
	s_and_not1_b32 vcc_lo, exec_lo, s1
	s_cbranch_vccnz .LBB177_1713
; %bb.1712:
	global_load_u8 v9, v[12:13], off
	s_mov_b32 s0, 0
	s_waitcnt vmcnt(0)
	v_cvt_f32_ubyte0_e32 v10, v9
.LBB177_1713:
	s_waitcnt vmcnt(0)
	v_mov_b32_e32 v11, s0
.LBB177_1714:
	s_branch .LBB177_1789
.LBB177_1715:
	s_trap 2
	s_sendmsg_rtn_b32 s0, sendmsg(MSG_RTN_GET_DOORBELL)
	s_mov_b32 ttmp2, m0
	s_waitcnt lgkmcnt(0)
	s_and_b32 s0, s0, 0x3ff
	s_delay_alu instid0(SALU_CYCLE_1) | instskip(NEXT) | instid1(SALU_CYCLE_1)
	s_bitset1_b32 s0, 10
	s_mov_b32 m0, s0
	s_sendmsg sendmsg(MSG_INTERRUPT)
	s_mov_b32 m0, ttmp2
.LBB177_1716:                           ; =>This Inner Loop Header: Depth=1
	s_sethalt 5
	s_branch .LBB177_1716
.LBB177_1717:
	s_mov_b32 s0, -1
.LBB177_1718:
                                        ; implicit-def: $vgpr11
.LBB177_1719:
	s_and_b32 vcc_lo, exec_lo, s11
	s_cbranch_vccz .LBB177_1724
; %bb.1720:
	v_cmp_eq_u16_e32 vcc_lo, 44, v16
	s_cbranch_vccz .LBB177_1722
; %bb.1721:
	global_load_u8 v9, v[12:13], off
	s_mov_b32 s0, 0
	s_mov_b32 s10, -1
	s_waitcnt vmcnt(0)
	v_lshlrev_b32_e32 v10, 23, v9
	v_cmp_ne_u32_e32 vcc_lo, 0xff, v9
	s_delay_alu instid0(VALU_DEP_2) | instskip(SKIP_1) | instid1(VALU_DEP_2)
	v_cndmask_b32_e32 v10, 0x7f800001, v10, vcc_lo
	v_cmp_ne_u32_e32 vcc_lo, 0, v9
	v_cndmask_b32_e32 v10, 0x400000, v10, vcc_lo
	s_branch .LBB177_1723
.LBB177_1722:
	s_mov_b32 s0, -1
                                        ; implicit-def: $vgpr10
.LBB177_1723:
	s_delay_alu instid0(SALU_CYCLE_1)
	v_mov_b32_e32 v11, s0
.LBB177_1724:
	s_mov_b32 s11, 0
.LBB177_1725:
	s_delay_alu instid0(SALU_CYCLE_1)
	s_and_b32 vcc_lo, exec_lo, s11
	s_cbranch_vccz .LBB177_1730
; %bb.1726:
	v_cmp_eq_u16_e32 vcc_lo, 29, v16
	s_cbranch_vccz .LBB177_1728
; %bb.1727:
	global_load_b64 v[9:10], v[12:13], off
	s_mov_b32 s0, 0
	s_mov_b32 s10, -1
	s_mov_b32 s11, 0
	s_waitcnt vmcnt(0)
	v_clz_i32_u32_e32 v11, v10
	s_delay_alu instid0(VALU_DEP_1) | instskip(NEXT) | instid1(VALU_DEP_1)
	v_min_u32_e32 v11, 32, v11
	v_lshlrev_b64 v[9:10], v11, v[9:10]
	s_delay_alu instid0(VALU_DEP_1) | instskip(NEXT) | instid1(VALU_DEP_1)
	v_min_u32_e32 v9, 1, v9
	v_or_b32_e32 v9, v10, v9
	v_sub_nc_u32_e32 v10, 32, v11
	s_delay_alu instid0(VALU_DEP_2) | instskip(NEXT) | instid1(VALU_DEP_1)
	v_cvt_f32_u32_e32 v9, v9
	v_ldexp_f32 v10, v9, v10
	s_branch .LBB177_1729
.LBB177_1728:
	s_mov_b32 s0, -1
                                        ; implicit-def: $sgpr11
                                        ; implicit-def: $vgpr10
.LBB177_1729:
	v_mov_b32_e32 v11, s11
.LBB177_1730:
	s_mov_b32 s11, 0
.LBB177_1731:
	s_delay_alu instid0(SALU_CYCLE_1)
	s_and_b32 vcc_lo, exec_lo, s11
	s_cbranch_vccz .LBB177_1751
; %bb.1732:
	v_cmp_gt_i16_e32 vcc_lo, 27, v16
	s_cbranch_vccnz .LBB177_1735
; %bb.1733:
	v_cmp_lt_i16_e32 vcc_lo, 27, v16
	s_cbranch_vccz .LBB177_1736
; %bb.1734:
	global_load_b32 v9, v[12:13], off
	s_mov_b32 s11, 0
	s_mov_b32 s10, 0
	s_waitcnt vmcnt(0)
	v_cvt_f32_u32_e32 v10, v9
	s_branch .LBB177_1737
.LBB177_1735:
	s_mov_b32 s11, -1
                                        ; implicit-def: $sgpr10
                                        ; implicit-def: $vgpr10
	s_branch .LBB177_1740
.LBB177_1736:
	s_mov_b32 s11, -1
                                        ; implicit-def: $sgpr10
                                        ; implicit-def: $vgpr10
.LBB177_1737:
	s_delay_alu instid0(SALU_CYCLE_1)
	s_and_not1_b32 vcc_lo, exec_lo, s11
	s_cbranch_vccnz .LBB177_1739
; %bb.1738:
	global_load_u16 v9, v[12:13], off
	s_mov_b32 s10, 0
	s_waitcnt vmcnt(0)
	v_cvt_f32_u32_e32 v10, v9
.LBB177_1739:
	s_mov_b32 s11, 0
.LBB177_1740:
	v_mov_b32_e32 v11, s10
	s_and_not1_b32 vcc_lo, exec_lo, s11
	s_cbranch_vccnz .LBB177_1750
; %bb.1741:
	global_load_u8 v9, v[12:13], off
	s_mov_b32 s10, 0
	s_mov_b32 s13, exec_lo
                                        ; implicit-def: $sgpr12
                                        ; implicit-def: $sgpr11
	s_waitcnt vmcnt(0)
	v_cmpx_lt_i16_e32 0x7f, v9
	s_xor_b32 s13, exec_lo, s13
	s_cbranch_execz .LBB177_1745
; %bb.1742:
	s_mov_b32 s10, -1
	s_mov_b32 s14, exec_lo
                                        ; implicit-def: $sgpr12
                                        ; implicit-def: $sgpr11
	v_cmpx_eq_u16_e32 0x80, v9
; %bb.1743:
	s_mov_b32 s11, 0x7f800001
	s_mov_b32 s12, 0
	s_xor_b32 s10, exec_lo, -1
; %bb.1744:
	s_or_b32 exec_lo, exec_lo, s14
	s_delay_alu instid0(SALU_CYCLE_1)
	s_and_b32 s10, s10, exec_lo
.LBB177_1745:
	s_or_saveexec_b32 s13, s13
	v_dual_mov_b32 v11, s12 :: v_dual_mov_b32 v10, s11
	s_xor_b32 exec_lo, exec_lo, s13
; %bb.1746:
	v_mov_b32_e32 v11, 0
	v_cmp_ne_u16_e32 vcc_lo, 0, v9
	s_and_not1_b32 s10, s10, exec_lo
	s_delay_alu instid0(VALU_DEP_2) | instskip(SKIP_1) | instid1(SALU_CYCLE_1)
	v_mov_b32_e32 v10, v11
	s_and_b32 s11, vcc_lo, exec_lo
	s_or_b32 s10, s10, s11
; %bb.1747:
	s_or_b32 exec_lo, exec_lo, s13
	s_and_saveexec_b32 s11, s10
	s_cbranch_execz .LBB177_1749
; %bb.1748:
	v_and_b32_e32 v10, 0xffff, v9
	v_lshlrev_b32_e32 v9, 24, v9
	s_delay_alu instid0(VALU_DEP_2) | instskip(NEXT) | instid1(VALU_DEP_2)
	v_and_b32_e32 v11, 7, v10
	v_and_b32_e32 v9, 0x80000000, v9
	s_delay_alu instid0(VALU_DEP_2) | instskip(NEXT) | instid1(VALU_DEP_1)
	v_clz_i32_u32_e32 v14, v11
	v_min_u32_e32 v14, 32, v14
	s_delay_alu instid0(VALU_DEP_1) | instskip(SKIP_1) | instid1(VALU_DEP_2)
	v_subrev_nc_u32_e32 v15, 28, v14
	v_sub_nc_u32_e32 v14, 29, v14
	v_lshlrev_b32_e32 v15, v15, v10
	v_bfe_u32 v10, v10, 3, 4
	s_delay_alu instid0(VALU_DEP_1) | instskip(NEXT) | instid1(VALU_DEP_3)
	v_cmp_eq_u32_e32 vcc_lo, 0, v10
	v_dual_cndmask_b32 v10, v10, v14 :: v_dual_and_b32 v15, 7, v15
	s_delay_alu instid0(VALU_DEP_1) | instskip(NEXT) | instid1(VALU_DEP_2)
	v_cndmask_b32_e32 v11, v11, v15, vcc_lo
	v_lshl_add_u32 v10, v10, 23, 0x3b800000
	s_delay_alu instid0(VALU_DEP_2) | instskip(NEXT) | instid1(VALU_DEP_1)
	v_lshlrev_b32_e32 v11, 20, v11
	v_or3_b32 v10, v9, v10, v11
	v_mov_b32_e32 v11, 0
.LBB177_1749:
	s_or_b32 exec_lo, exec_lo, s11
.LBB177_1750:
	s_mov_b32 s10, -1
.LBB177_1751:
	s_mov_b32 s11, 0
.LBB177_1752:
	s_delay_alu instid0(SALU_CYCLE_1)
	s_and_b32 vcc_lo, exec_lo, s11
	s_cbranch_vccz .LBB177_1784
; %bb.1753:
	v_cmp_lt_i16_e32 vcc_lo, 22, v16
	s_cbranch_vccz .LBB177_1765
; %bb.1754:
	v_cmp_gt_i16_e32 vcc_lo, 24, v16
	s_cbranch_vccnz .LBB177_1766
; %bb.1755:
	v_cmp_lt_i16_e32 vcc_lo, 24, v16
	s_cbranch_vccz .LBB177_1767
; %bb.1756:
	global_load_u8 v9, v[12:13], off
	s_mov_b32 s12, exec_lo
                                        ; implicit-def: $sgpr11
                                        ; implicit-def: $sgpr10
	s_waitcnt vmcnt(0)
	v_cmpx_lt_i16_e32 0x7f, v9
	s_xor_b32 s12, exec_lo, s12
	s_cbranch_execz .LBB177_1760
; %bb.1757:
	s_mov_b32 s1, -1
	s_mov_b32 s13, exec_lo
                                        ; implicit-def: $sgpr11
                                        ; implicit-def: $sgpr10
	v_cmpx_eq_u16_e32 0x80, v9
; %bb.1758:
	s_mov_b32 s10, 0x7f800001
	s_mov_b32 s11, 0
	s_xor_b32 s1, exec_lo, -1
; %bb.1759:
	s_or_b32 exec_lo, exec_lo, s13
	s_delay_alu instid0(SALU_CYCLE_1)
	s_and_b32 s1, s1, exec_lo
.LBB177_1760:
	s_or_saveexec_b32 s12, s12
	v_dual_mov_b32 v11, s11 :: v_dual_mov_b32 v10, s10
	s_xor_b32 exec_lo, exec_lo, s12
; %bb.1761:
	v_mov_b32_e32 v11, 0
	v_cmp_ne_u16_e32 vcc_lo, 0, v9
	s_and_not1_b32 s1, s1, exec_lo
	s_delay_alu instid0(VALU_DEP_2) | instskip(SKIP_1) | instid1(SALU_CYCLE_1)
	v_mov_b32_e32 v10, v11
	s_and_b32 s10, vcc_lo, exec_lo
	s_or_b32 s1, s1, s10
; %bb.1762:
	s_or_b32 exec_lo, exec_lo, s12
	s_and_saveexec_b32 s10, s1
	s_cbranch_execz .LBB177_1764
; %bb.1763:
	v_and_b32_e32 v10, 0xffff, v9
	v_lshlrev_b32_e32 v9, 24, v9
	s_delay_alu instid0(VALU_DEP_2) | instskip(NEXT) | instid1(VALU_DEP_2)
	v_and_b32_e32 v11, 3, v10
	v_and_b32_e32 v9, 0x80000000, v9
	s_delay_alu instid0(VALU_DEP_2) | instskip(NEXT) | instid1(VALU_DEP_1)
	v_clz_i32_u32_e32 v14, v11
	v_min_u32_e32 v14, 32, v14
	s_delay_alu instid0(VALU_DEP_1) | instskip(SKIP_1) | instid1(VALU_DEP_2)
	v_subrev_nc_u32_e32 v15, 29, v14
	v_sub_nc_u32_e32 v14, 30, v14
	v_lshlrev_b32_e32 v15, v15, v10
	v_bfe_u32 v10, v10, 2, 5
	s_delay_alu instid0(VALU_DEP_1) | instskip(NEXT) | instid1(VALU_DEP_3)
	v_cmp_eq_u32_e32 vcc_lo, 0, v10
	v_dual_cndmask_b32 v10, v10, v14 :: v_dual_and_b32 v15, 3, v15
	s_delay_alu instid0(VALU_DEP_1) | instskip(NEXT) | instid1(VALU_DEP_2)
	v_cndmask_b32_e32 v11, v11, v15, vcc_lo
	v_lshl_add_u32 v10, v10, 23, 0x37800000
	s_delay_alu instid0(VALU_DEP_2) | instskip(NEXT) | instid1(VALU_DEP_1)
	v_lshlrev_b32_e32 v11, 21, v11
	v_or3_b32 v10, v9, v10, v11
	v_mov_b32_e32 v11, 0
.LBB177_1764:
	s_or_b32 exec_lo, exec_lo, s10
	s_mov_b32 s1, 0
	s_branch .LBB177_1768
.LBB177_1765:
	s_mov_b32 s1, -1
                                        ; implicit-def: $vgpr11
	s_branch .LBB177_1774
.LBB177_1766:
	s_mov_b32 s1, -1
                                        ; implicit-def: $vgpr11
	s_branch .LBB177_1771
.LBB177_1767:
	s_mov_b32 s1, -1
                                        ; implicit-def: $vgpr11
.LBB177_1768:
	s_delay_alu instid0(SALU_CYCLE_1)
	s_and_b32 vcc_lo, exec_lo, s1
	s_cbranch_vccz .LBB177_1770
; %bb.1769:
	global_load_u8 v9, v[12:13], off
	s_waitcnt vmcnt(0)
	v_lshlrev_b32_e32 v9, 24, v9
	s_delay_alu instid0(VALU_DEP_1) | instskip(NEXT) | instid1(VALU_DEP_1)
	v_and_b32_e32 v10, 0x7f000000, v9
	v_clz_i32_u32_e32 v11, v10
	v_add_nc_u32_e32 v15, 0x1000000, v10
	v_cmp_ne_u32_e32 vcc_lo, 0, v10
	s_delay_alu instid0(VALU_DEP_3) | instskip(NEXT) | instid1(VALU_DEP_1)
	v_min_u32_e32 v11, 32, v11
	v_sub_nc_u32_e64 v11, v11, 4 clamp
	s_delay_alu instid0(VALU_DEP_1) | instskip(SKIP_1) | instid1(VALU_DEP_2)
	v_lshlrev_b32_e32 v14, v11, v10
	v_lshlrev_b32_e32 v11, 23, v11
	v_lshrrev_b32_e32 v14, 4, v14
	s_delay_alu instid0(VALU_DEP_1) | instskip(SKIP_1) | instid1(VALU_DEP_2)
	v_sub_nc_u32_e32 v11, v14, v11
	v_ashrrev_i32_e32 v14, 8, v15
	v_add_nc_u32_e32 v11, 0x3c000000, v11
	s_delay_alu instid0(VALU_DEP_1) | instskip(NEXT) | instid1(VALU_DEP_1)
	v_and_or_b32 v11, 0x7f800000, v14, v11
	v_dual_cndmask_b32 v10, 0, v11 :: v_dual_mov_b32 v11, 0
	s_delay_alu instid0(VALU_DEP_1)
	v_and_or_b32 v10, 0x80000000, v9, v10
.LBB177_1770:
	s_mov_b32 s1, 0
.LBB177_1771:
	s_delay_alu instid0(SALU_CYCLE_1)
	s_and_not1_b32 vcc_lo, exec_lo, s1
	s_cbranch_vccnz .LBB177_1773
; %bb.1772:
	global_load_u8 v9, v[12:13], off
	s_waitcnt vmcnt(0)
	v_lshlrev_b32_e32 v10, 25, v9
	v_lshlrev_b16 v9, 8, v9
	s_delay_alu instid0(VALU_DEP_2) | instskip(NEXT) | instid1(VALU_DEP_2)
	v_lshrrev_b32_e32 v11, 4, v10
	v_and_or_b32 v14, 0x7f00, v9, 0.5
	v_bfe_i32 v9, v9, 0, 16
	s_delay_alu instid0(VALU_DEP_3) | instskip(NEXT) | instid1(VALU_DEP_1)
	v_or_b32_e32 v11, 0x70000000, v11
	v_dual_add_f32 v14, -0.5, v14 :: v_dual_mul_f32 v11, 0x7800000, v11
	v_cmp_gt_u32_e32 vcc_lo, 0x8000000, v10
	s_delay_alu instid0(VALU_DEP_2) | instskip(NEXT) | instid1(VALU_DEP_1)
	v_dual_cndmask_b32 v10, v11, v14 :: v_dual_mov_b32 v11, 0
	v_and_or_b32 v10, 0x80000000, v9, v10
.LBB177_1773:
	s_mov_b32 s1, 0
	s_mov_b32 s10, -1
.LBB177_1774:
	s_and_not1_b32 vcc_lo, exec_lo, s1
	s_mov_b32 s1, 0
	s_cbranch_vccnz .LBB177_1784
; %bb.1775:
	v_cmp_lt_i16_e32 vcc_lo, 14, v16
	s_cbranch_vccz .LBB177_1778
; %bb.1776:
	v_cmp_eq_u16_e32 vcc_lo, 15, v16
	s_cbranch_vccz .LBB177_1779
; %bb.1777:
	global_load_u16 v9, v[12:13], off
	s_mov_b32 s0, 0
	s_mov_b32 s10, -1
	s_mov_b32 s11, 0
	s_waitcnt vmcnt(0)
	v_lshlrev_b32_e32 v10, 16, v9
	s_branch .LBB177_1781
.LBB177_1778:
	s_mov_b32 s1, -1
	s_branch .LBB177_1780
.LBB177_1779:
	s_mov_b32 s0, -1
.LBB177_1780:
                                        ; implicit-def: $sgpr11
                                        ; implicit-def: $vgpr10
.LBB177_1781:
	s_and_b32 vcc_lo, exec_lo, s1
	s_mov_b32 s1, 0
	s_cbranch_vccz .LBB177_1783
; %bb.1782:
	v_cmp_ne_u16_e64 s0, 11, v16
	s_mov_b32 s1, -1
                                        ; implicit-def: $sgpr11
                                        ; implicit-def: $vgpr10
.LBB177_1783:
	v_mov_b32_e32 v11, s11
.LBB177_1784:
	s_delay_alu instid0(VALU_DEP_2)
	s_and_b32 vcc_lo, exec_lo, s0
	s_cbranch_vccnz .LBB177_1838
; %bb.1785:
	s_and_not1_b32 vcc_lo, exec_lo, s1
	s_cbranch_vccnz .LBB177_1787
.LBB177_1786:
	global_load_u8 v9, v[12:13], off
	v_mov_b32_e32 v11, 0
	s_mov_b32 s10, -1
	s_waitcnt vmcnt(0)
	v_cmp_ne_u16_e32 vcc_lo, 0, v9
	v_cndmask_b32_e64 v10, 0, 1.0, vcc_lo
.LBB177_1787:
.LBB177_1788:
	s_and_not1_b32 vcc_lo, exec_lo, s10
	s_cbranch_vccnz .LBB177_1978
.LBB177_1789:
	s_waitcnt vmcnt(0)
	s_delay_alu instid0(VALU_DEP_1) | instskip(NEXT) | instid1(VALU_DEP_2)
	v_cmp_neq_f32_e32 vcc_lo, 0, v10
	v_cmp_neq_f32_e64 s0, 0, v11
	v_mov_b32_e32 v12, 0
	s_delay_alu instid0(VALU_DEP_2) | instskip(NEXT) | instid1(SALU_CYCLE_1)
	s_or_b32 s0, vcc_lo, s0
	s_and_saveexec_b32 s10, s0
	s_cbranch_execz .LBB177_1819
; %bb.1790:
	v_mov_b32_e32 v12, 0x7f800000
	s_mov_b32 s11, exec_lo
	v_cmpx_neq_f32_e64 0x7f800000, |v11|
	s_cbranch_execz .LBB177_1818
; %bb.1791:
	s_mov_b32 s0, exec_lo
	v_cmpx_o_f32_e32 v10, v10
	s_xor_b32 s12, exec_lo, s0
	s_cbranch_execz .LBB177_1815
; %bb.1792:
	s_mov_b32 s1, exec_lo
	v_cmpx_neq_f32_e64 0x7f800000, |v10|
	s_xor_b32 s13, exec_lo, s1
	s_cbranch_execz .LBB177_1808
; %bb.1793:
	v_max_f32_e64 v9, |v11|, |v11|
	v_max_f32_e64 v12, |v10|, |v10|
                                        ; implicit-def: $sgpr14
	s_delay_alu instid0(VALU_DEP_1) | instskip(NEXT) | instid1(VALU_DEP_1)
	v_max_f32_e32 v9, v12, v9
	v_cmp_nle_f32_e64 s0, 0x7ed413cb, v9
	s_delay_alu instid0(VALU_DEP_1) | instskip(NEXT) | instid1(SALU_CYCLE_1)
	s_and_saveexec_b32 s1, s0
	s_xor_b32 s1, exec_lo, s1
	s_cbranch_execz .LBB177_1797
; %bb.1794:
	v_cmp_ge_f32_e64 s14, 0x1000000, |v10|
	v_cmp_ge_f32_e64 s15, 0x1000000, |v11|
	s_delay_alu instid0(VALU_DEP_1)
	s_and_b32 s16, s14, s15
	s_mov_b32 s14, 0
	s_and_saveexec_b32 s15, s16
; %bb.1795:
	v_dual_mul_f32 v11, 4.0, v11 :: v_dual_mul_f32 v10, 4.0, v10
	s_mov_b32 s14, exec_lo
; %bb.1796:
	s_or_b32 exec_lo, exec_lo, s15
	s_delay_alu instid0(SALU_CYCLE_1)
	s_and_b32 s14, s14, exec_lo
.LBB177_1797:
	s_and_not1_saveexec_b32 s1, s1
; %bb.1798:
	v_dual_mul_f32 v10, 0x3e800000, v10 :: v_dual_mul_f32 v11, 0x3e800000, v11
	s_and_not1_b32 s14, s14, exec_lo
; %bb.1799:
	s_or_b32 exec_lo, exec_lo, s1
	s_delay_alu instid0(VALU_DEP_1) | instskip(NEXT) | instid1(VALU_DEP_2)
	v_max_f32_e64 v9, |v11|, |v11|
	v_max_f32_e64 v12, |v10|, |v10|
	s_delay_alu instid0(VALU_DEP_1) | instskip(NEXT) | instid1(VALU_DEP_1)
	v_max_f32_e32 v9, v12, v9
	v_cvt_f64_f32_e32 v[12:13], v9
	s_delay_alu instid0(VALU_DEP_1) | instskip(NEXT) | instid1(VALU_DEP_1)
	v_frexp_exp_i32_f64_e32 v12, v[12:13]
	v_sub_nc_u32_e32 v13, 0, v12
	s_delay_alu instid0(VALU_DEP_1) | instskip(SKIP_1) | instid1(VALU_DEP_2)
	v_ldexp_f32 v14, |v11|, v13
	v_ldexp_f32 v13, |v10|, v13
	v_mul_f32_e32 v14, v14, v14
	v_cmp_neq_f32_e64 s1, 0x7f800000, v9
                                        ; implicit-def: $vgpr9
	s_delay_alu instid0(VALU_DEP_2) | instskip(NEXT) | instid1(VALU_DEP_1)
	v_fmac_f32_e32 v14, v13, v13
	v_sqrt_f32_e32 v13, v14
	s_waitcnt_depctr 0xfff
	v_ldexp_f32 v12, v13, v12
	s_delay_alu instid0(VALU_DEP_1)
	v_cndmask_b32_e64 v13, 0x7f800000, v12, s1
                                        ; implicit-def: $vgpr12
	s_mov_b32 s1, exec_lo
	v_cmpx_le_f32_e32 0, v10
	s_xor_b32 s15, exec_lo, s1
	s_cbranch_execz .LBB177_1801
; %bb.1800:
	v_add_f32_e32 v9, v10, v13
	s_delay_alu instid0(VALU_DEP_1) | instskip(NEXT) | instid1(VALU_DEP_1)
	v_mul_f32_e32 v9, 0.5, v9
	v_mul_f32_e32 v10, 0x4f800000, v9
	v_cmp_gt_f32_e32 vcc_lo, 0xf800000, v9
	s_delay_alu instid0(VALU_DEP_2) | instskip(NEXT) | instid1(VALU_DEP_1)
	v_cndmask_b32_e32 v9, v9, v10, vcc_lo
	v_sqrt_f32_e32 v10, v9
	s_waitcnt_depctr 0xfff
	v_add_nc_u32_e32 v12, -1, v10
	v_add_nc_u32_e32 v13, 1, v10
	s_delay_alu instid0(VALU_DEP_2) | instskip(NEXT) | instid1(VALU_DEP_2)
	v_fma_f32 v14, -v12, v10, v9
	v_fma_f32 v15, -v13, v10, v9
	s_delay_alu instid0(VALU_DEP_2) | instskip(NEXT) | instid1(VALU_DEP_1)
	v_cmp_ge_f32_e64 s1, 0, v14
	v_cndmask_b32_e64 v10, v10, v12, s1
	s_delay_alu instid0(VALU_DEP_3) | instskip(NEXT) | instid1(VALU_DEP_1)
	v_cmp_lt_f32_e64 s1, 0, v15
	v_cndmask_b32_e64 v10, v10, v13, s1
	s_delay_alu instid0(VALU_DEP_1) | instskip(NEXT) | instid1(VALU_DEP_1)
	v_mul_f32_e32 v12, 0x37800000, v10
	v_cndmask_b32_e32 v10, v10, v12, vcc_lo
	v_cmp_class_f32_e64 vcc_lo, v9, 0x260
	s_delay_alu instid0(VALU_DEP_2) | instskip(NEXT) | instid1(VALU_DEP_1)
	v_cndmask_b32_e32 v9, v10, v9, vcc_lo
	v_add_f32_e32 v10, v9, v9
	s_delay_alu instid0(VALU_DEP_1) | instskip(NEXT) | instid1(VALU_DEP_1)
	v_div_scale_f32 v12, null, v10, v10, v11
	v_rcp_f32_e32 v13, v12
	s_waitcnt_depctr 0xfff
	v_fma_f32 v14, -v12, v13, 1.0
	s_delay_alu instid0(VALU_DEP_1) | instskip(SKIP_1) | instid1(VALU_DEP_1)
	v_fmac_f32_e32 v13, v14, v13
	v_div_scale_f32 v14, vcc_lo, v11, v10, v11
	v_mul_f32_e32 v15, v14, v13
	s_delay_alu instid0(VALU_DEP_1) | instskip(NEXT) | instid1(VALU_DEP_1)
	v_fma_f32 v17, -v12, v15, v14
	v_fmac_f32_e32 v15, v17, v13
	s_delay_alu instid0(VALU_DEP_1) | instskip(NEXT) | instid1(VALU_DEP_1)
	v_fma_f32 v12, -v12, v15, v14
	v_div_fmas_f32 v12, v12, v13, v15
                                        ; implicit-def: $vgpr13
	s_delay_alu instid0(VALU_DEP_1)
	v_div_fixup_f32 v12, v12, v10, v11
                                        ; implicit-def: $vgpr10
	s_and_not1_saveexec_b32 s15, s15
	s_cbranch_execz .LBB177_1803
	s_branch .LBB177_1802
.LBB177_1801:
	s_and_not1_saveexec_b32 s15, s15
	s_cbranch_execz .LBB177_1803
.LBB177_1802:
	v_sub_f32_e32 v9, v13, v10
	s_delay_alu instid0(VALU_DEP_1) | instskip(NEXT) | instid1(VALU_DEP_1)
	v_mul_f32_e32 v9, 0.5, v9
	v_mul_f32_e32 v10, 0x4f800000, v9
	v_cmp_gt_f32_e32 vcc_lo, 0xf800000, v9
	s_delay_alu instid0(VALU_DEP_2) | instskip(NEXT) | instid1(VALU_DEP_1)
	v_cndmask_b32_e32 v9, v9, v10, vcc_lo
	v_sqrt_f32_e32 v10, v9
	s_waitcnt_depctr 0xfff
	v_add_nc_u32_e32 v12, -1, v10
	v_add_nc_u32_e32 v13, 1, v10
	s_delay_alu instid0(VALU_DEP_2) | instskip(NEXT) | instid1(VALU_DEP_2)
	v_fma_f32 v14, -v12, v10, v9
	v_fma_f32 v15, -v13, v10, v9
	s_delay_alu instid0(VALU_DEP_2) | instskip(NEXT) | instid1(VALU_DEP_1)
	v_cmp_ge_f32_e64 s1, 0, v14
	v_cndmask_b32_e64 v10, v10, v12, s1
	s_delay_alu instid0(VALU_DEP_3) | instskip(NEXT) | instid1(VALU_DEP_1)
	v_cmp_lt_f32_e64 s1, 0, v15
	v_cndmask_b32_e64 v10, v10, v13, s1
	s_delay_alu instid0(VALU_DEP_1) | instskip(NEXT) | instid1(VALU_DEP_1)
	v_mul_f32_e32 v12, 0x37800000, v10
	v_cndmask_b32_e32 v10, v10, v12, vcc_lo
	v_cmp_class_f32_e64 vcc_lo, v9, 0x260
	s_delay_alu instid0(VALU_DEP_2) | instskip(NEXT) | instid1(VALU_DEP_1)
	v_dual_cndmask_b32 v10, v10, v9 :: v_dual_and_b32 v9, 0x7fffffff, v11
	v_add_f32_e32 v12, v10, v10
	s_delay_alu instid0(VALU_DEP_1) | instskip(SKIP_1) | instid1(VALU_DEP_2)
	v_div_scale_f32 v13, null, v12, v12, v9
	v_div_scale_f32 v9, vcc_lo, v9, v12, v9
	v_rcp_f32_e32 v14, v13
	s_waitcnt_depctr 0xfff
	v_fma_f32 v15, -v13, v14, 1.0
	s_delay_alu instid0(VALU_DEP_1) | instskip(NEXT) | instid1(VALU_DEP_1)
	v_fmac_f32_e32 v14, v15, v14
	v_mul_f32_e32 v15, v9, v14
	s_delay_alu instid0(VALU_DEP_1) | instskip(NEXT) | instid1(VALU_DEP_1)
	v_fma_f32 v17, -v13, v15, v9
	v_fmac_f32_e32 v15, v17, v14
	s_delay_alu instid0(VALU_DEP_1) | instskip(NEXT) | instid1(VALU_DEP_1)
	v_fma_f32 v9, -v13, v15, v9
	v_div_fmas_f32 v9, v9, v14, v15
	s_delay_alu instid0(VALU_DEP_1)
	v_div_fixup_f32 v9, v9, v12, |v11|
	v_bfi_b32 v12, 0x7fffffff, v10, v11
.LBB177_1803:
	s_or_b32 exec_lo, exec_lo, s15
                                        ; implicit-def: $vgpr11
	s_and_saveexec_b32 s1, s0
	s_delay_alu instid0(SALU_CYCLE_1)
	s_xor_b32 s0, exec_lo, s1
	s_cbranch_execz .LBB177_1805
; %bb.1804:
	v_dual_mul_f32 v10, 0.5, v9 :: v_dual_mul_f32 v11, 0.5, v12
	s_delay_alu instid0(VALU_DEP_1) | instskip(NEXT) | instid1(VALU_DEP_2)
	v_cndmask_b32_e64 v10, v9, v10, s14
	v_cndmask_b32_e64 v11, v12, v11, s14
                                        ; implicit-def: $vgpr9
                                        ; implicit-def: $vgpr12
	s_and_not1_saveexec_b32 s0, s0
	s_cbranch_execnz .LBB177_1806
	s_branch .LBB177_1807
.LBB177_1805:
	s_and_not1_saveexec_b32 s0, s0
.LBB177_1806:
	v_dual_add_f32 v10, v9, v9 :: v_dual_add_f32 v11, v12, v12
.LBB177_1807:
	s_or_b32 exec_lo, exec_lo, s0
.LBB177_1808:
	s_and_not1_saveexec_b32 s0, s13
	s_cbranch_execz .LBB177_1814
; %bb.1809:
	s_delay_alu instid0(VALU_DEP_1)
	v_sub_f32_e32 v9, v11, v11
	s_mov_b32 s1, exec_lo
	v_cmpx_lt_i32_e32 -1, v10
	s_xor_b32 s1, exec_lo, s1
; %bb.1810:
	s_delay_alu instid0(VALU_DEP_2)
	v_bfi_b32 v11, 0x7fffffff, v9, v11
                                        ; implicit-def: $vgpr9
; %bb.1811:
	s_and_not1_saveexec_b32 s1, s1
; %bb.1812:
	v_and_b32_e32 v9, 0x7fffffff, v9
	s_delay_alu instid0(VALU_DEP_2) | instskip(NEXT) | instid1(VALU_DEP_2)
	v_bfi_b32 v11, 0x7fffffff, v10, v11
	v_mov_b32_e32 v10, v9
; %bb.1813:
	s_or_b32 exec_lo, exec_lo, s1
.LBB177_1814:
	s_delay_alu instid0(SALU_CYCLE_1)
	s_or_b32 exec_lo, exec_lo, s0
.LBB177_1815:
	s_and_not1_saveexec_b32 s0, s12
; %bb.1816:
	v_sub_f32_e32 v9, v11, v11
	s_delay_alu instid0(VALU_DEP_1) | instskip(NEXT) | instid1(VALU_DEP_1)
	v_div_scale_f32 v11, vcc_lo, v9, v9, v9
	v_rcp_f32_e32 v12, v11
	s_waitcnt_depctr 0xfff
	v_fma_f32 v13, -v11, v12, 1.0
	s_delay_alu instid0(VALU_DEP_1) | instskip(NEXT) | instid1(VALU_DEP_1)
	v_fmac_f32_e32 v12, v13, v12
	v_mul_f32_e32 v13, v11, v12
	s_delay_alu instid0(VALU_DEP_1) | instskip(NEXT) | instid1(VALU_DEP_1)
	v_fma_f32 v14, -v11, v13, v11
	v_fmac_f32_e32 v13, v14, v12
	s_delay_alu instid0(VALU_DEP_1) | instskip(NEXT) | instid1(VALU_DEP_1)
	v_fma_f32 v11, -v11, v13, v11
	v_div_fmas_f32 v11, v11, v12, v13
	s_delay_alu instid0(VALU_DEP_1)
	v_div_fixup_f32 v11, v11, v9, v9
; %bb.1817:
	s_or_b32 exec_lo, exec_lo, s0
	v_mov_b32_e32 v12, v10
.LBB177_1818:
	s_or_b32 exec_lo, exec_lo, s11
.LBB177_1819:
	s_delay_alu instid0(SALU_CYCLE_1) | instskip(NEXT) | instid1(VALU_DEP_1)
	s_or_b32 exec_lo, exec_lo, s10
	v_cmp_gt_f32_e32 vcc_lo, 0, v12
                                        ; implicit-def: $vgpr10
	s_mov_b32 s0, exec_lo
	v_cndmask_b32_e64 v13, v12, -v12, vcc_lo
	v_cmp_gt_f32_e32 vcc_lo, 0, v11
	v_cndmask_b32_e64 v14, v11, -v11, vcc_lo
	s_delay_alu instid0(VALU_DEP_1)
	v_cmpx_ge_f32_e32 v13, v14
	s_xor_b32 s1, exec_lo, s0
	s_cbranch_execz .LBB177_1825
; %bb.1820:
	v_cmp_neq_f32_e32 vcc_lo, 0, v12
	v_cmp_neq_f32_e64 s0, 0, v11
                                        ; implicit-def: $vgpr10
	s_delay_alu instid0(VALU_DEP_1) | instskip(NEXT) | instid1(SALU_CYCLE_1)
	s_or_b32 s0, vcc_lo, s0
	s_and_saveexec_b32 s10, s0
	s_delay_alu instid0(SALU_CYCLE_1)
	s_xor_b32 s0, exec_lo, s10
	s_cbranch_execz .LBB177_1822
; %bb.1821:
	v_div_scale_f32 v9, null, v12, v12, v11
	v_div_scale_f32 v14, vcc_lo, v11, v12, v11
	s_delay_alu instid0(VALU_DEP_2) | instskip(SKIP_2) | instid1(VALU_DEP_1)
	v_rcp_f32_e32 v10, v9
	s_waitcnt_depctr 0xfff
	v_fma_f32 v13, -v9, v10, 1.0
	v_fmac_f32_e32 v10, v13, v10
	s_delay_alu instid0(VALU_DEP_1) | instskip(NEXT) | instid1(VALU_DEP_1)
	v_mul_f32_e32 v13, v14, v10
	v_fma_f32 v15, -v9, v13, v14
	s_delay_alu instid0(VALU_DEP_1) | instskip(NEXT) | instid1(VALU_DEP_1)
	v_fmac_f32_e32 v13, v15, v10
	v_fma_f32 v9, -v9, v13, v14
	s_delay_alu instid0(VALU_DEP_1) | instskip(NEXT) | instid1(VALU_DEP_1)
	v_div_fmas_f32 v9, v9, v10, v13
	v_div_fixup_f32 v10, v9, v12, v11
	s_delay_alu instid0(VALU_DEP_1) | instskip(NEXT) | instid1(VALU_DEP_1)
	v_fmac_f32_e32 v12, v11, v10
	v_div_scale_f32 v9, null, v12, v12, 1.0
	s_delay_alu instid0(VALU_DEP_1) | instskip(SKIP_2) | instid1(VALU_DEP_1)
	v_rcp_f32_e32 v11, v9
	s_waitcnt_depctr 0xfff
	v_fma_f32 v13, -v9, v11, 1.0
	v_fmac_f32_e32 v11, v13, v11
	v_div_scale_f32 v14, vcc_lo, 1.0, v12, 1.0
	s_delay_alu instid0(VALU_DEP_1) | instskip(NEXT) | instid1(VALU_DEP_1)
	v_mul_f32_e32 v13, v14, v11
	v_fma_f32 v15, -v9, v13, v14
	s_delay_alu instid0(VALU_DEP_1) | instskip(NEXT) | instid1(VALU_DEP_1)
	v_fmac_f32_e32 v13, v15, v11
	v_fma_f32 v9, -v9, v13, v14
                                        ; implicit-def: $vgpr14
	s_delay_alu instid0(VALU_DEP_1) | instskip(SKIP_1) | instid1(VALU_DEP_2)
	v_div_fmas_f32 v9, v9, v11, v13
	v_fma_f32 v11, v10, 0, 1.0
                                        ; implicit-def: $vgpr13
	v_div_fixup_f32 v12, v9, v12, 1.0
	s_delay_alu instid0(VALU_DEP_1)
	v_mul_f32_e32 v9, v11, v12
	v_mul_f32_e64 v10, -v10, v12
.LBB177_1822:
	s_and_not1_saveexec_b32 s10, s0
	s_cbranch_execz .LBB177_1824
; %bb.1823:
	v_div_scale_f32 v9, null, v13, v13, 1.0
	v_div_scale_f32 v10, null, v14, v14, 0
	v_div_scale_f32 v18, vcc_lo, 1.0, v13, 1.0
	s_delay_alu instid0(VALU_DEP_3) | instskip(NEXT) | instid1(VALU_DEP_2)
	v_rcp_f32_e32 v11, v9
	v_rcp_f32_e32 v12, v10
	s_waitcnt_depctr 0xfff
	v_fma_f32 v15, -v9, v11, 1.0
	v_fma_f32 v17, -v10, v12, 1.0
	s_delay_alu instid0(VALU_DEP_1) | instskip(SKIP_1) | instid1(VALU_DEP_2)
	v_dual_fmac_f32 v11, v15, v11 :: v_dual_fmac_f32 v12, v17, v12
	v_div_scale_f32 v15, s0, 0, v14, 0
	v_mul_f32_e32 v17, v18, v11
	s_delay_alu instid0(VALU_DEP_2) | instskip(NEXT) | instid1(VALU_DEP_2)
	v_mul_f32_e32 v19, v15, v12
	v_fma_f32 v20, -v9, v17, v18
	s_delay_alu instid0(VALU_DEP_2) | instskip(NEXT) | instid1(VALU_DEP_2)
	v_fma_f32 v21, -v10, v19, v15
	v_fmac_f32_e32 v17, v20, v11
	s_delay_alu instid0(VALU_DEP_2) | instskip(NEXT) | instid1(VALU_DEP_2)
	v_fmac_f32_e32 v19, v21, v12
	v_fma_f32 v9, -v9, v17, v18
	s_delay_alu instid0(VALU_DEP_2) | instskip(NEXT) | instid1(VALU_DEP_2)
	v_fma_f32 v10, -v10, v19, v15
	v_div_fmas_f32 v9, v9, v11, v17
	s_mov_b32 vcc_lo, s0
	s_delay_alu instid0(VALU_DEP_2) | instskip(NEXT) | instid1(VALU_DEP_2)
	v_div_fmas_f32 v10, v10, v12, v19
	v_div_fixup_f32 v9, v9, v13, 1.0
	s_delay_alu instid0(VALU_DEP_2)
	v_div_fixup_f32 v10, v10, v14, 0
.LBB177_1824:
	s_or_b32 exec_lo, exec_lo, s10
                                        ; implicit-def: $vgpr11
                                        ; implicit-def: $vgpr12
.LBB177_1825:
	s_and_not1_saveexec_b32 s0, s1
	s_cbranch_execz .LBB177_1827
; %bb.1826:
	v_div_scale_f32 v9, null, v11, v11, v12
	v_div_scale_f32 v14, vcc_lo, v12, v11, v12
	s_delay_alu instid0(VALU_DEP_2) | instskip(SKIP_2) | instid1(VALU_DEP_1)
	v_rcp_f32_e32 v10, v9
	s_waitcnt_depctr 0xfff
	v_fma_f32 v13, -v9, v10, 1.0
	v_fmac_f32_e32 v10, v13, v10
	s_delay_alu instid0(VALU_DEP_1) | instskip(NEXT) | instid1(VALU_DEP_1)
	v_mul_f32_e32 v13, v14, v10
	v_fma_f32 v15, -v9, v13, v14
	s_delay_alu instid0(VALU_DEP_1) | instskip(NEXT) | instid1(VALU_DEP_1)
	v_fmac_f32_e32 v13, v15, v10
	v_fma_f32 v9, -v9, v13, v14
	s_delay_alu instid0(VALU_DEP_1) | instskip(NEXT) | instid1(VALU_DEP_1)
	v_div_fmas_f32 v9, v9, v10, v13
	v_div_fixup_f32 v9, v9, v11, v12
	s_delay_alu instid0(VALU_DEP_1) | instskip(NEXT) | instid1(VALU_DEP_1)
	v_fmac_f32_e32 v11, v12, v9
	v_div_scale_f32 v10, null, v11, v11, 1.0
	v_div_scale_f32 v14, vcc_lo, 1.0, v11, 1.0
	s_delay_alu instid0(VALU_DEP_2) | instskip(SKIP_2) | instid1(VALU_DEP_1)
	v_rcp_f32_e32 v12, v10
	s_waitcnt_depctr 0xfff
	v_fma_f32 v13, -v10, v12, 1.0
	v_fmac_f32_e32 v12, v13, v12
	s_delay_alu instid0(VALU_DEP_1) | instskip(NEXT) | instid1(VALU_DEP_1)
	v_mul_f32_e32 v13, v14, v12
	v_fma_f32 v15, -v10, v13, v14
	s_delay_alu instid0(VALU_DEP_1) | instskip(NEXT) | instid1(VALU_DEP_1)
	v_fmac_f32_e32 v13, v15, v12
	v_fma_f32 v10, -v10, v13, v14
	s_delay_alu instid0(VALU_DEP_1) | instskip(SKIP_1) | instid1(VALU_DEP_2)
	v_div_fmas_f32 v10, v10, v12, v13
	v_add_f32_e32 v12, 0, v9
	v_div_fixup_f32 v10, v10, v11, 1.0
	v_fma_f32 v11, v9, 0, -1.0
	s_delay_alu instid0(VALU_DEP_2) | instskip(NEXT) | instid1(VALU_DEP_2)
	v_mul_f32_e32 v9, v12, v10
	v_mul_f32_e32 v10, v11, v10
.LBB177_1827:
	s_or_b32 exec_lo, exec_lo, s0
	v_cmp_gt_i16_e32 vcc_lo, 11, v16
	v_add_co_u32 v14, s0, s6, v8
	s_delay_alu instid0(VALU_DEP_1)
	v_add_co_ci_u32_e64 v15, null, s7, 0, s0
	s_mov_b32 s6, 0
	s_cbranch_vccnz .LBB177_1834
; %bb.1828:
	v_cmp_lt_i16_e32 vcc_lo, 25, v16
	s_mov_b32 s1, 0
	s_cbranch_vccz .LBB177_1835
; %bb.1829:
	v_cmp_lt_i16_e32 vcc_lo, 28, v16
	s_cbranch_vccz .LBB177_1836
; %bb.1830:
	v_cmp_lt_i16_e32 vcc_lo, 43, v16
	;; [unrolled: 3-line block ×3, first 2 shown]
	s_cbranch_vccz .LBB177_1840
; %bb.1832:
	v_cmp_eq_u16_e32 vcc_lo, 46, v16
	s_mov_b32 s7, 0
	s_cbranch_vccz .LBB177_1843
; %bb.1833:
	global_load_b32 v8, v[14:15], off
	s_mov_b32 s0, 0
	s_mov_b32 s6, -1
	s_waitcnt vmcnt(0)
	v_and_b32_e32 v13, 0xffff0000, v8
	v_lshlrev_b32_e32 v12, 16, v8
	s_branch .LBB177_1845
.LBB177_1834:
	s_mov_b32 s0, -1
                                        ; implicit-def: $vgpr13
	s_branch .LBB177_1914
.LBB177_1835:
	s_mov_b32 s7, -1
	s_mov_b32 s0, 0
                                        ; implicit-def: $vgpr13
	s_branch .LBB177_1878
.LBB177_1836:
	s_mov_b32 s7, -1
	s_mov_b32 s0, 0
                                        ; implicit-def: $vgpr13
	s_branch .LBB177_1857
.LBB177_1837:
	s_mov_b32 s7, -1
	s_mov_b32 s0, 0
                                        ; implicit-def: $vgpr13
	s_branch .LBB177_1851
.LBB177_1838:
	s_cbranch_execnz .LBB177_1841
; %bb.1839:
	s_or_b32 s2, s2, exec_lo
                                        ; implicit-def: $vgpr11
	s_cbranch_execz .LBB177_1786
	s_branch .LBB177_1787
.LBB177_1840:
	s_mov_b32 s7, -1
	s_mov_b32 s0, 0
	s_branch .LBB177_1844
.LBB177_1841:
	s_trap 2
	s_sendmsg_rtn_b32 s0, sendmsg(MSG_RTN_GET_DOORBELL)
	s_mov_b32 ttmp2, m0
	s_waitcnt lgkmcnt(0)
	s_and_b32 s0, s0, 0x3ff
	s_delay_alu instid0(SALU_CYCLE_1) | instskip(NEXT) | instid1(SALU_CYCLE_1)
	s_bitset1_b32 s0, 10
	s_mov_b32 m0, s0
	s_sendmsg sendmsg(MSG_INTERRUPT)
	s_mov_b32 m0, ttmp2
.LBB177_1842:                           ; =>This Inner Loop Header: Depth=1
	s_sethalt 5
	s_branch .LBB177_1842
.LBB177_1843:
	s_mov_b32 s0, -1
.LBB177_1844:
                                        ; implicit-def: $vgpr13
.LBB177_1845:
	s_and_b32 vcc_lo, exec_lo, s7
	s_cbranch_vccz .LBB177_1850
; %bb.1846:
	v_cmp_eq_u16_e32 vcc_lo, 44, v16
	s_cbranch_vccz .LBB177_1848
; %bb.1847:
	global_load_u8 v8, v[14:15], off
	s_mov_b32 s0, 0
	s_mov_b32 s6, -1
	s_waitcnt vmcnt(0)
	v_lshlrev_b32_e32 v11, 23, v8
	v_cmp_ne_u32_e32 vcc_lo, 0xff, v8
	s_delay_alu instid0(VALU_DEP_2) | instskip(SKIP_1) | instid1(VALU_DEP_2)
	v_cndmask_b32_e32 v11, 0x7f800001, v11, vcc_lo
	v_cmp_ne_u32_e32 vcc_lo, 0, v8
	v_cndmask_b32_e32 v12, 0x400000, v11, vcc_lo
	s_branch .LBB177_1849
.LBB177_1848:
	s_mov_b32 s0, -1
                                        ; implicit-def: $vgpr12
.LBB177_1849:
	s_delay_alu instid0(SALU_CYCLE_1)
	v_mov_b32_e32 v13, s0
.LBB177_1850:
	s_mov_b32 s7, 0
.LBB177_1851:
	s_delay_alu instid0(SALU_CYCLE_1)
	s_and_b32 vcc_lo, exec_lo, s7
	s_cbranch_vccz .LBB177_1856
; %bb.1852:
	v_cmp_eq_u16_e32 vcc_lo, 29, v16
	s_cbranch_vccz .LBB177_1854
; %bb.1853:
	global_load_b64 v[11:12], v[14:15], off
	s_mov_b32 s0, 0
	s_mov_b32 s6, -1
	s_mov_b32 s7, 0
	s_waitcnt vmcnt(0)
	v_clz_i32_u32_e32 v8, v12
	s_delay_alu instid0(VALU_DEP_1) | instskip(NEXT) | instid1(VALU_DEP_1)
	v_min_u32_e32 v8, 32, v8
	v_lshlrev_b64 v[11:12], v8, v[11:12]
	v_sub_nc_u32_e32 v8, 32, v8
	s_delay_alu instid0(VALU_DEP_2) | instskip(NEXT) | instid1(VALU_DEP_1)
	v_min_u32_e32 v11, 1, v11
	v_or_b32_e32 v11, v12, v11
	s_delay_alu instid0(VALU_DEP_1) | instskip(NEXT) | instid1(VALU_DEP_1)
	v_cvt_f32_u32_e32 v11, v11
	v_ldexp_f32 v12, v11, v8
	s_branch .LBB177_1855
.LBB177_1854:
	s_mov_b32 s0, -1
                                        ; implicit-def: $sgpr7
                                        ; implicit-def: $vgpr12
.LBB177_1855:
	v_mov_b32_e32 v13, s7
.LBB177_1856:
	s_mov_b32 s7, 0
.LBB177_1857:
	s_delay_alu instid0(SALU_CYCLE_1)
	s_and_b32 vcc_lo, exec_lo, s7
	s_cbranch_vccz .LBB177_1877
; %bb.1858:
	v_cmp_gt_i16_e32 vcc_lo, 27, v16
	s_cbranch_vccnz .LBB177_1861
; %bb.1859:
	v_cmp_lt_i16_e32 vcc_lo, 27, v16
	s_cbranch_vccz .LBB177_1862
; %bb.1860:
	global_load_b32 v8, v[14:15], off
	s_mov_b32 s7, 0
	s_mov_b32 s6, 0
	s_waitcnt vmcnt(0)
	v_cvt_f32_u32_e32 v12, v8
	s_branch .LBB177_1863
.LBB177_1861:
	s_mov_b32 s7, -1
                                        ; implicit-def: $sgpr6
                                        ; implicit-def: $vgpr12
	s_branch .LBB177_1866
.LBB177_1862:
	s_mov_b32 s7, -1
                                        ; implicit-def: $sgpr6
                                        ; implicit-def: $vgpr12
.LBB177_1863:
	s_delay_alu instid0(SALU_CYCLE_1)
	s_and_not1_b32 vcc_lo, exec_lo, s7
	s_cbranch_vccnz .LBB177_1865
; %bb.1864:
	global_load_u16 v8, v[14:15], off
	s_mov_b32 s6, 0
	s_waitcnt vmcnt(0)
	v_cvt_f32_u32_e32 v12, v8
.LBB177_1865:
	s_mov_b32 s7, 0
.LBB177_1866:
	v_mov_b32_e32 v13, s6
	s_and_not1_b32 vcc_lo, exec_lo, s7
	s_cbranch_vccnz .LBB177_1876
; %bb.1867:
	global_load_u8 v8, v[14:15], off
	s_mov_b32 s6, 0
	s_mov_b32 s11, exec_lo
                                        ; implicit-def: $sgpr10
                                        ; implicit-def: $sgpr7
	s_waitcnt vmcnt(0)
	v_cmpx_lt_i16_e32 0x7f, v8
	s_xor_b32 s11, exec_lo, s11
	s_cbranch_execz .LBB177_1871
; %bb.1868:
	s_mov_b32 s6, -1
	s_mov_b32 s12, exec_lo
                                        ; implicit-def: $sgpr10
                                        ; implicit-def: $sgpr7
	v_cmpx_eq_u16_e32 0x80, v8
; %bb.1869:
	s_mov_b32 s7, 0x7f800001
	s_mov_b32 s10, 0
	s_xor_b32 s6, exec_lo, -1
; %bb.1870:
	s_or_b32 exec_lo, exec_lo, s12
	s_delay_alu instid0(SALU_CYCLE_1)
	s_and_b32 s6, s6, exec_lo
.LBB177_1871:
	s_or_saveexec_b32 s11, s11
	v_dual_mov_b32 v13, s10 :: v_dual_mov_b32 v12, s7
	s_xor_b32 exec_lo, exec_lo, s11
; %bb.1872:
	v_mov_b32_e32 v13, 0
	v_cmp_ne_u16_e32 vcc_lo, 0, v8
	s_and_not1_b32 s6, s6, exec_lo
	s_delay_alu instid0(VALU_DEP_2) | instskip(SKIP_1) | instid1(SALU_CYCLE_1)
	v_mov_b32_e32 v12, v13
	s_and_b32 s7, vcc_lo, exec_lo
	s_or_b32 s6, s6, s7
; %bb.1873:
	s_or_b32 exec_lo, exec_lo, s11
	s_and_saveexec_b32 s7, s6
	s_cbranch_execz .LBB177_1875
; %bb.1874:
	v_and_b32_e32 v11, 0xffff, v8
	v_lshlrev_b32_e32 v8, 24, v8
	s_delay_alu instid0(VALU_DEP_2) | instskip(NEXT) | instid1(VALU_DEP_1)
	v_and_b32_e32 v12, 7, v11
	v_clz_i32_u32_e32 v13, v12
	s_delay_alu instid0(VALU_DEP_1) | instskip(NEXT) | instid1(VALU_DEP_1)
	v_min_u32_e32 v13, 32, v13
	v_subrev_nc_u32_e32 v17, 28, v13
	v_sub_nc_u32_e32 v13, 29, v13
	s_delay_alu instid0(VALU_DEP_2) | instskip(SKIP_1) | instid1(VALU_DEP_2)
	v_lshlrev_b32_e32 v17, v17, v11
	v_bfe_u32 v11, v11, 3, 4
	v_and_b32_e32 v17, 7, v17
	s_delay_alu instid0(VALU_DEP_2) | instskip(SKIP_1) | instid1(VALU_DEP_3)
	v_cmp_eq_u32_e32 vcc_lo, 0, v11
	v_cndmask_b32_e32 v11, v11, v13, vcc_lo
	v_dual_cndmask_b32 v12, v12, v17 :: v_dual_mov_b32 v13, 0
	v_and_b32_e32 v8, 0x80000000, v8
	s_delay_alu instid0(VALU_DEP_3) | instskip(NEXT) | instid1(VALU_DEP_3)
	v_lshl_add_u32 v11, v11, 23, 0x3b800000
	v_lshlrev_b32_e32 v12, 20, v12
	s_delay_alu instid0(VALU_DEP_1)
	v_or3_b32 v12, v8, v11, v12
.LBB177_1875:
	s_or_b32 exec_lo, exec_lo, s7
.LBB177_1876:
	s_mov_b32 s6, -1
.LBB177_1877:
	s_mov_b32 s7, 0
.LBB177_1878:
	s_delay_alu instid0(SALU_CYCLE_1)
	s_and_b32 vcc_lo, exec_lo, s7
	s_cbranch_vccz .LBB177_1910
; %bb.1879:
	v_cmp_lt_i16_e32 vcc_lo, 22, v16
	s_cbranch_vccz .LBB177_1891
; %bb.1880:
	v_cmp_gt_i16_e32 vcc_lo, 24, v16
	s_cbranch_vccnz .LBB177_1892
; %bb.1881:
	v_cmp_lt_i16_e32 vcc_lo, 24, v16
	s_cbranch_vccz .LBB177_1893
; %bb.1882:
	global_load_u8 v8, v[14:15], off
	s_mov_b32 s10, exec_lo
                                        ; implicit-def: $sgpr7
                                        ; implicit-def: $sgpr6
	s_waitcnt vmcnt(0)
	v_cmpx_lt_i16_e32 0x7f, v8
	s_xor_b32 s10, exec_lo, s10
	s_cbranch_execz .LBB177_1886
; %bb.1883:
	s_mov_b32 s1, -1
	s_mov_b32 s11, exec_lo
                                        ; implicit-def: $sgpr7
                                        ; implicit-def: $sgpr6
	v_cmpx_eq_u16_e32 0x80, v8
; %bb.1884:
	s_mov_b32 s6, 0x7f800001
	s_mov_b32 s7, 0
	s_xor_b32 s1, exec_lo, -1
; %bb.1885:
	s_or_b32 exec_lo, exec_lo, s11
	s_delay_alu instid0(SALU_CYCLE_1)
	s_and_b32 s1, s1, exec_lo
.LBB177_1886:
	s_or_saveexec_b32 s10, s10
	v_dual_mov_b32 v13, s7 :: v_dual_mov_b32 v12, s6
	s_xor_b32 exec_lo, exec_lo, s10
; %bb.1887:
	v_mov_b32_e32 v13, 0
	v_cmp_ne_u16_e32 vcc_lo, 0, v8
	s_and_not1_b32 s1, s1, exec_lo
	s_delay_alu instid0(VALU_DEP_2) | instskip(SKIP_1) | instid1(SALU_CYCLE_1)
	v_mov_b32_e32 v12, v13
	s_and_b32 s6, vcc_lo, exec_lo
	s_or_b32 s1, s1, s6
; %bb.1888:
	s_or_b32 exec_lo, exec_lo, s10
	s_and_saveexec_b32 s6, s1
	s_cbranch_execz .LBB177_1890
; %bb.1889:
	v_and_b32_e32 v11, 0xffff, v8
	v_lshlrev_b32_e32 v8, 24, v8
	s_delay_alu instid0(VALU_DEP_2) | instskip(NEXT) | instid1(VALU_DEP_1)
	v_and_b32_e32 v12, 3, v11
	v_clz_i32_u32_e32 v13, v12
	s_delay_alu instid0(VALU_DEP_1) | instskip(NEXT) | instid1(VALU_DEP_1)
	v_min_u32_e32 v13, 32, v13
	v_subrev_nc_u32_e32 v17, 29, v13
	v_sub_nc_u32_e32 v13, 30, v13
	s_delay_alu instid0(VALU_DEP_2) | instskip(SKIP_1) | instid1(VALU_DEP_2)
	v_lshlrev_b32_e32 v17, v17, v11
	v_bfe_u32 v11, v11, 2, 5
	v_and_b32_e32 v17, 3, v17
	s_delay_alu instid0(VALU_DEP_2) | instskip(SKIP_1) | instid1(VALU_DEP_3)
	v_cmp_eq_u32_e32 vcc_lo, 0, v11
	v_cndmask_b32_e32 v11, v11, v13, vcc_lo
	v_dual_cndmask_b32 v12, v12, v17 :: v_dual_mov_b32 v13, 0
	v_and_b32_e32 v8, 0x80000000, v8
	s_delay_alu instid0(VALU_DEP_3) | instskip(NEXT) | instid1(VALU_DEP_3)
	v_lshl_add_u32 v11, v11, 23, 0x37800000
	v_lshlrev_b32_e32 v12, 21, v12
	s_delay_alu instid0(VALU_DEP_1)
	v_or3_b32 v12, v8, v11, v12
.LBB177_1890:
	s_or_b32 exec_lo, exec_lo, s6
	s_mov_b32 s1, 0
	s_branch .LBB177_1894
.LBB177_1891:
	s_mov_b32 s1, -1
                                        ; implicit-def: $vgpr13
	s_branch .LBB177_1900
.LBB177_1892:
	s_mov_b32 s1, -1
                                        ; implicit-def: $vgpr13
	s_branch .LBB177_1897
.LBB177_1893:
	s_mov_b32 s1, -1
                                        ; implicit-def: $vgpr13
.LBB177_1894:
	s_delay_alu instid0(SALU_CYCLE_1)
	s_and_b32 vcc_lo, exec_lo, s1
	s_cbranch_vccz .LBB177_1896
; %bb.1895:
	global_load_u8 v8, v[14:15], off
	s_waitcnt vmcnt(0)
	v_lshlrev_b32_e32 v8, 24, v8
	s_delay_alu instid0(VALU_DEP_1) | instskip(NEXT) | instid1(VALU_DEP_1)
	v_and_b32_e32 v11, 0x7f000000, v8
	v_clz_i32_u32_e32 v12, v11
	v_add_nc_u32_e32 v17, 0x1000000, v11
	v_cmp_ne_u32_e32 vcc_lo, 0, v11
	s_delay_alu instid0(VALU_DEP_3) | instskip(NEXT) | instid1(VALU_DEP_1)
	v_min_u32_e32 v12, 32, v12
	v_sub_nc_u32_e64 v12, v12, 4 clamp
	s_delay_alu instid0(VALU_DEP_1) | instskip(SKIP_1) | instid1(VALU_DEP_2)
	v_lshlrev_b32_e32 v13, v12, v11
	v_lshlrev_b32_e32 v12, 23, v12
	v_lshrrev_b32_e32 v13, 4, v13
	s_delay_alu instid0(VALU_DEP_1) | instskip(SKIP_1) | instid1(VALU_DEP_2)
	v_sub_nc_u32_e32 v12, v13, v12
	v_ashrrev_i32_e32 v13, 8, v17
	v_add_nc_u32_e32 v12, 0x3c000000, v12
	s_delay_alu instid0(VALU_DEP_1) | instskip(SKIP_1) | instid1(VALU_DEP_2)
	v_and_or_b32 v12, 0x7f800000, v13, v12
	v_mov_b32_e32 v13, 0
	v_cndmask_b32_e32 v11, 0, v12, vcc_lo
	s_delay_alu instid0(VALU_DEP_1)
	v_and_or_b32 v12, 0x80000000, v8, v11
.LBB177_1896:
	s_mov_b32 s1, 0
.LBB177_1897:
	s_delay_alu instid0(SALU_CYCLE_1)
	s_and_not1_b32 vcc_lo, exec_lo, s1
	s_cbranch_vccnz .LBB177_1899
; %bb.1898:
	global_load_u8 v8, v[14:15], off
	s_waitcnt vmcnt(0)
	v_lshlrev_b32_e32 v11, 25, v8
	v_lshlrev_b16 v8, 8, v8
	s_delay_alu instid0(VALU_DEP_2) | instskip(NEXT) | instid1(VALU_DEP_2)
	v_lshrrev_b32_e32 v12, 4, v11
	v_and_or_b32 v13, 0x7f00, v8, 0.5
	v_cmp_gt_u32_e32 vcc_lo, 0x8000000, v11
	v_bfe_i32 v8, v8, 0, 16
	s_delay_alu instid0(VALU_DEP_4) | instskip(NEXT) | instid1(VALU_DEP_1)
	v_or_b32_e32 v12, 0x70000000, v12
	v_dual_add_f32 v13, -0.5, v13 :: v_dual_mul_f32 v12, 0x7800000, v12
	s_delay_alu instid0(VALU_DEP_1) | instskip(SKIP_1) | instid1(VALU_DEP_2)
	v_cndmask_b32_e32 v11, v12, v13, vcc_lo
	v_mov_b32_e32 v13, 0
	v_and_or_b32 v12, 0x80000000, v8, v11
.LBB177_1899:
	s_mov_b32 s1, 0
	s_mov_b32 s6, -1
.LBB177_1900:
	s_and_not1_b32 vcc_lo, exec_lo, s1
	s_mov_b32 s1, 0
	s_cbranch_vccnz .LBB177_1910
; %bb.1901:
	v_cmp_lt_i16_e32 vcc_lo, 14, v16
	s_cbranch_vccz .LBB177_1904
; %bb.1902:
	v_cmp_eq_u16_e32 vcc_lo, 15, v16
	s_cbranch_vccz .LBB177_1905
; %bb.1903:
	global_load_u16 v8, v[14:15], off
	s_mov_b32 s0, 0
	s_mov_b32 s6, -1
	s_mov_b32 s7, 0
	s_waitcnt vmcnt(0)
	v_lshlrev_b32_e32 v12, 16, v8
	s_branch .LBB177_1907
.LBB177_1904:
	s_mov_b32 s1, -1
	s_branch .LBB177_1906
.LBB177_1905:
	s_mov_b32 s0, -1
.LBB177_1906:
                                        ; implicit-def: $sgpr7
                                        ; implicit-def: $vgpr12
.LBB177_1907:
	s_and_b32 vcc_lo, exec_lo, s1
	s_mov_b32 s1, 0
	s_cbranch_vccz .LBB177_1909
; %bb.1908:
	v_cmp_ne_u16_e64 s0, 11, v16
	s_mov_b32 s1, -1
                                        ; implicit-def: $sgpr7
                                        ; implicit-def: $vgpr12
.LBB177_1909:
	v_mov_b32_e32 v13, s7
.LBB177_1910:
	s_delay_alu instid0(VALU_DEP_2)
	s_and_b32 vcc_lo, exec_lo, s0
	s_cbranch_vccnz .LBB177_2480
; %bb.1911:
	s_and_not1_b32 vcc_lo, exec_lo, s1
	s_cbranch_vccnz .LBB177_1913
.LBB177_1912:
	global_load_u8 v8, v[14:15], off
	v_mov_b32_e32 v13, 0
	s_mov_b32 s6, -1
	s_waitcnt vmcnt(0)
	v_cmp_ne_u16_e32 vcc_lo, 0, v8
	v_cndmask_b32_e64 v12, 0, 1.0, vcc_lo
.LBB177_1913:
	s_mov_b32 s0, 0
.LBB177_1914:
	s_delay_alu instid0(SALU_CYCLE_1)
	s_and_b32 vcc_lo, exec_lo, s0
	s_cbranch_vccz .LBB177_1965
; %bb.1915:
	v_cmp_gt_i16_e32 vcc_lo, 5, v16
	s_cbranch_vccnz .LBB177_1920
; %bb.1916:
	v_cmp_gt_i16_e32 vcc_lo, 8, v16
	s_cbranch_vccnz .LBB177_1921
	;; [unrolled: 3-line block ×3, first 2 shown]
; %bb.1918:
	v_cmp_lt_i16_e32 vcc_lo, 9, v16
	s_cbranch_vccz .LBB177_1923
; %bb.1919:
	global_load_b128 v[17:20], v[14:15], off
	s_mov_b32 s0, 0
	s_waitcnt vmcnt(0)
	v_cvt_f32_f64_e32 v12, v[17:18]
	v_cvt_f32_f64_e32 v13, v[19:20]
	s_branch .LBB177_1924
.LBB177_1920:
	s_mov_b32 s0, -1
                                        ; implicit-def: $vgpr13
	s_branch .LBB177_1943
.LBB177_1921:
	s_mov_b32 s0, -1
                                        ; implicit-def: $vgpr13
	s_branch .LBB177_1930
.LBB177_1922:
	s_mov_b32 s0, -1
                                        ; implicit-def: $vgpr13
	s_branch .LBB177_1927
.LBB177_1923:
	s_mov_b32 s0, -1
                                        ; implicit-def: $vgpr13
.LBB177_1924:
	s_delay_alu instid0(SALU_CYCLE_1)
	s_and_not1_b32 vcc_lo, exec_lo, s0
	s_cbranch_vccnz .LBB177_1926
; %bb.1925:
	global_load_b64 v[12:13], v[14:15], off
.LBB177_1926:
	s_mov_b32 s0, 0
.LBB177_1927:
	s_delay_alu instid0(SALU_CYCLE_1)
	s_and_not1_b32 vcc_lo, exec_lo, s0
	s_cbranch_vccnz .LBB177_1929
; %bb.1928:
	global_load_b32 v8, v[14:15], off
	s_waitcnt vmcnt(0)
	v_lshrrev_b32_e32 v11, 16, v8
	v_cvt_f32_f16_e32 v12, v8
	s_delay_alu instid0(VALU_DEP_2)
	v_cvt_f32_f16_e32 v13, v11
.LBB177_1929:
	s_mov_b32 s0, 0
.LBB177_1930:
	s_delay_alu instid0(SALU_CYCLE_1)
	s_and_not1_b32 vcc_lo, exec_lo, s0
	s_cbranch_vccnz .LBB177_1942
; %bb.1931:
	v_cmp_gt_i16_e32 vcc_lo, 6, v16
	s_cbranch_vccnz .LBB177_1934
; %bb.1932:
	v_cmp_lt_i16_e32 vcc_lo, 6, v16
	s_cbranch_vccz .LBB177_1935
; %bb.1933:
	global_load_b64 v[11:12], v[14:15], off
	s_mov_b32 s1, 0
	s_mov_b32 s0, 0
	s_waitcnt vmcnt(0)
	v_cvt_f32_f64_e32 v12, v[11:12]
	s_branch .LBB177_1936
.LBB177_1934:
	s_mov_b32 s1, -1
                                        ; implicit-def: $sgpr0
                                        ; implicit-def: $vgpr12
	s_branch .LBB177_1939
.LBB177_1935:
	s_mov_b32 s1, -1
                                        ; implicit-def: $sgpr0
                                        ; implicit-def: $vgpr12
.LBB177_1936:
	s_delay_alu instid0(SALU_CYCLE_1)
	s_and_not1_b32 vcc_lo, exec_lo, s1
	s_cbranch_vccnz .LBB177_1938
; %bb.1937:
	global_load_b32 v12, v[14:15], off
	s_mov_b32 s0, 0
.LBB177_1938:
	s_mov_b32 s1, 0
.LBB177_1939:
	s_delay_alu instid0(SALU_CYCLE_1)
	s_and_not1_b32 vcc_lo, exec_lo, s1
	s_cbranch_vccnz .LBB177_1941
; %bb.1940:
	global_load_u16 v8, v[14:15], off
	s_mov_b32 s0, 0
	s_waitcnt vmcnt(0)
	v_cvt_f32_f16_e32 v12, v8
.LBB177_1941:
	s_waitcnt vmcnt(0)
	v_mov_b32_e32 v13, s0
.LBB177_1942:
	s_mov_b32 s0, 0
.LBB177_1943:
	s_delay_alu instid0(SALU_CYCLE_1)
	s_and_not1_b32 vcc_lo, exec_lo, s0
	s_cbranch_vccnz .LBB177_1964
; %bb.1944:
	v_cmp_gt_i16_e32 vcc_lo, 2, v16
	s_cbranch_vccnz .LBB177_1948
; %bb.1945:
	v_cmp_gt_i16_e32 vcc_lo, 3, v16
	s_cbranch_vccnz .LBB177_1949
; %bb.1946:
	v_cmp_lt_i16_e32 vcc_lo, 3, v16
	s_cbranch_vccz .LBB177_1950
; %bb.1947:
	global_load_b64 v[11:12], v[14:15], off
	s_mov_b32 s1, 0
	s_mov_b32 s0, 0
	s_waitcnt vmcnt(0)
	v_xor_b32_e32 v8, v11, v12
	v_cls_i32_e32 v13, v12
	s_delay_alu instid0(VALU_DEP_2) | instskip(NEXT) | instid1(VALU_DEP_2)
	v_ashrrev_i32_e32 v8, 31, v8
	v_add_nc_u32_e32 v13, -1, v13
	s_delay_alu instid0(VALU_DEP_2) | instskip(NEXT) | instid1(VALU_DEP_1)
	v_add_nc_u32_e32 v8, 32, v8
	v_min_u32_e32 v8, v13, v8
	s_delay_alu instid0(VALU_DEP_1) | instskip(SKIP_1) | instid1(VALU_DEP_2)
	v_lshlrev_b64 v[11:12], v8, v[11:12]
	v_sub_nc_u32_e32 v8, 32, v8
	v_min_u32_e32 v11, 1, v11
	s_delay_alu instid0(VALU_DEP_1) | instskip(NEXT) | instid1(VALU_DEP_1)
	v_or_b32_e32 v11, v12, v11
	v_cvt_f32_i32_e32 v11, v11
	s_delay_alu instid0(VALU_DEP_1)
	v_ldexp_f32 v12, v11, v8
	s_branch .LBB177_1951
.LBB177_1948:
	s_mov_b32 s1, -1
                                        ; implicit-def: $sgpr0
                                        ; implicit-def: $vgpr12
	s_branch .LBB177_1957
.LBB177_1949:
	s_mov_b32 s1, -1
                                        ; implicit-def: $sgpr0
                                        ; implicit-def: $vgpr12
	s_branch .LBB177_1954
.LBB177_1950:
	s_mov_b32 s1, -1
                                        ; implicit-def: $sgpr0
                                        ; implicit-def: $vgpr12
.LBB177_1951:
	s_delay_alu instid0(SALU_CYCLE_1)
	s_and_not1_b32 vcc_lo, exec_lo, s1
	s_cbranch_vccnz .LBB177_1953
; %bb.1952:
	global_load_b32 v8, v[14:15], off
	s_mov_b32 s0, 0
	s_waitcnt vmcnt(0)
	v_cvt_f32_i32_e32 v12, v8
.LBB177_1953:
	s_mov_b32 s1, 0
.LBB177_1954:
	s_delay_alu instid0(SALU_CYCLE_1)
	s_and_not1_b32 vcc_lo, exec_lo, s1
	s_cbranch_vccnz .LBB177_1956
; %bb.1955:
	global_load_i16 v8, v[14:15], off
	s_mov_b32 s0, 0
	s_waitcnt vmcnt(0)
	v_cvt_f32_i32_e32 v12, v8
.LBB177_1956:
	s_mov_b32 s1, 0
.LBB177_1957:
	s_delay_alu instid0(SALU_CYCLE_1)
	s_and_not1_b32 vcc_lo, exec_lo, s1
	s_cbranch_vccnz .LBB177_1963
; %bb.1958:
	v_cmp_lt_i16_e32 vcc_lo, 0, v16
	s_mov_b32 s1, 0
	s_cbranch_vccz .LBB177_1960
; %bb.1959:
	global_load_i8 v8, v[14:15], off
	s_mov_b32 s0, 0
	s_waitcnt vmcnt(0)
	v_cvt_f32_i32_e32 v12, v8
	s_branch .LBB177_1961
.LBB177_1960:
	s_mov_b32 s1, -1
                                        ; implicit-def: $sgpr0
                                        ; implicit-def: $vgpr12
.LBB177_1961:
	s_delay_alu instid0(SALU_CYCLE_1)
	s_and_not1_b32 vcc_lo, exec_lo, s1
	s_cbranch_vccnz .LBB177_1963
; %bb.1962:
	global_load_u8 v8, v[14:15], off
	s_mov_b32 s0, 0
	s_waitcnt vmcnt(0)
	v_cvt_f32_ubyte0_e32 v12, v8
.LBB177_1963:
	s_waitcnt vmcnt(0)
	v_mov_b32_e32 v13, s0
.LBB177_1964:
	s_mov_b32 s6, -1
.LBB177_1965:
	s_delay_alu instid0(SALU_CYCLE_1)
	s_and_not1_b32 vcc_lo, exec_lo, s6
	s_cbranch_vccnz .LBB177_1978
; %bb.1966:
	s_waitcnt vmcnt(0)
	s_delay_alu instid0(VALU_DEP_1) | instskip(NEXT) | instid1(VALU_DEP_2)
	v_cmp_neq_f32_e32 vcc_lo, 0, v12
	v_cmp_neq_f32_e64 s0, 0, v13
	v_mov_b32_e32 v8, 0
	s_delay_alu instid0(VALU_DEP_2) | instskip(NEXT) | instid1(SALU_CYCLE_1)
	s_or_b32 s0, vcc_lo, s0
	s_and_saveexec_b32 s6, s0
	s_cbranch_execz .LBB177_2041
; %bb.1967:
	v_mov_b32_e32 v8, 0x7f800000
	s_mov_b32 s7, exec_lo
	v_cmpx_neq_f32_e64 0x7f800000, |v13|
	s_cbranch_execz .LBB177_2040
; %bb.1968:
	s_mov_b32 s0, exec_lo
	v_cmpx_o_f32_e32 v12, v12
	s_xor_b32 s10, exec_lo, s0
	s_cbranch_execz .LBB177_2037
; %bb.1969:
	s_mov_b32 s1, exec_lo
	v_cmpx_neq_f32_e64 0x7f800000, |v12|
	s_xor_b32 s11, exec_lo, s1
	s_cbranch_execz .LBB177_2030
; %bb.1970:
	v_max_f32_e64 v8, |v13|, |v13|
	v_max_f32_e64 v11, |v12|, |v12|
                                        ; implicit-def: $sgpr12
	s_delay_alu instid0(VALU_DEP_1) | instskip(NEXT) | instid1(VALU_DEP_1)
	v_max_f32_e32 v8, v11, v8
	v_cmp_nle_f32_e64 s0, 0x7ed413cb, v8
	s_delay_alu instid0(VALU_DEP_1) | instskip(NEXT) | instid1(SALU_CYCLE_1)
	s_and_saveexec_b32 s1, s0
	s_xor_b32 s1, exec_lo, s1
	s_cbranch_execz .LBB177_1974
; %bb.1971:
	v_cmp_ge_f32_e64 s12, 0x1000000, |v12|
	v_cmp_ge_f32_e64 s13, 0x1000000, |v13|
	s_delay_alu instid0(VALU_DEP_1)
	s_and_b32 s14, s12, s13
	s_mov_b32 s12, 0
	s_and_saveexec_b32 s13, s14
; %bb.1972:
	v_dual_mul_f32 v13, 4.0, v13 :: v_dual_mul_f32 v12, 4.0, v12
	s_mov_b32 s12, exec_lo
; %bb.1973:
	s_or_b32 exec_lo, exec_lo, s13
	s_delay_alu instid0(SALU_CYCLE_1)
	s_and_b32 s12, s12, exec_lo
.LBB177_1974:
	s_and_not1_saveexec_b32 s1, s1
; %bb.1975:
	v_dual_mul_f32 v12, 0x3e800000, v12 :: v_dual_mul_f32 v13, 0x3e800000, v13
	s_and_not1_b32 s12, s12, exec_lo
; %bb.1976:
	s_or_b32 exec_lo, exec_lo, s1
	s_delay_alu instid0(VALU_DEP_1) | instskip(NEXT) | instid1(VALU_DEP_2)
	v_max_f32_e64 v8, |v13|, |v13|
	v_max_f32_e64 v11, |v12|, |v12|
	s_delay_alu instid0(VALU_DEP_1) | instskip(NEXT) | instid1(VALU_DEP_1)
	v_max_f32_e32 v8, v11, v8
	v_cvt_f64_f32_e32 v[14:15], v8
	s_delay_alu instid0(VALU_DEP_1) | instskip(NEXT) | instid1(VALU_DEP_1)
	v_frexp_exp_i32_f64_e32 v11, v[14:15]
	v_sub_nc_u32_e32 v14, 0, v11
	s_delay_alu instid0(VALU_DEP_1) | instskip(SKIP_1) | instid1(VALU_DEP_2)
	v_ldexp_f32 v15, |v13|, v14
	v_ldexp_f32 v14, |v12|, v14
	v_mul_f32_e32 v15, v15, v15
	s_delay_alu instid0(VALU_DEP_1) | instskip(SKIP_1) | instid1(VALU_DEP_2)
	v_fmac_f32_e32 v15, v14, v14
	v_cmp_neq_f32_e64 s1, 0x7f800000, v8
                                        ; implicit-def: $vgpr8
	v_sqrt_f32_e32 v14, v15
	s_waitcnt_depctr 0xfff
	v_ldexp_f32 v11, v14, v11
	s_delay_alu instid0(VALU_DEP_1)
	v_cndmask_b32_e64 v14, 0x7f800000, v11, s1
                                        ; implicit-def: $vgpr11
	s_mov_b32 s1, exec_lo
	v_cmpx_le_f32_e32 0, v12
	s_xor_b32 s13, exec_lo, s1
	s_cbranch_execz .LBB177_2023
; %bb.1977:
	v_add_f32_e32 v8, v12, v14
	s_delay_alu instid0(VALU_DEP_1) | instskip(NEXT) | instid1(VALU_DEP_1)
	v_mul_f32_e32 v8, 0.5, v8
	v_mul_f32_e32 v11, 0x4f800000, v8
	v_cmp_gt_f32_e32 vcc_lo, 0xf800000, v8
	s_delay_alu instid0(VALU_DEP_2) | instskip(NEXT) | instid1(VALU_DEP_1)
	v_cndmask_b32_e32 v8, v8, v11, vcc_lo
	v_sqrt_f32_e32 v11, v8
	s_waitcnt_depctr 0xfff
	v_add_nc_u32_e32 v12, -1, v11
	v_add_nc_u32_e32 v14, 1, v11
	s_delay_alu instid0(VALU_DEP_2) | instskip(NEXT) | instid1(VALU_DEP_2)
	v_fma_f32 v15, -v12, v11, v8
	v_fma_f32 v16, -v14, v11, v8
	s_delay_alu instid0(VALU_DEP_2) | instskip(NEXT) | instid1(VALU_DEP_1)
	v_cmp_ge_f32_e64 s1, 0, v15
	v_cndmask_b32_e64 v11, v11, v12, s1
	s_delay_alu instid0(VALU_DEP_3) | instskip(NEXT) | instid1(VALU_DEP_1)
	v_cmp_lt_f32_e64 s1, 0, v16
	v_cndmask_b32_e64 v11, v11, v14, s1
	s_delay_alu instid0(VALU_DEP_1) | instskip(NEXT) | instid1(VALU_DEP_1)
	v_mul_f32_e32 v12, 0x37800000, v11
	v_cndmask_b32_e32 v11, v11, v12, vcc_lo
	v_cmp_class_f32_e64 vcc_lo, v8, 0x260
	s_delay_alu instid0(VALU_DEP_2) | instskip(NEXT) | instid1(VALU_DEP_1)
	v_cndmask_b32_e32 v8, v11, v8, vcc_lo
	v_add_f32_e32 v11, v8, v8
	s_delay_alu instid0(VALU_DEP_1) | instskip(NEXT) | instid1(VALU_DEP_1)
	v_div_scale_f32 v12, null, v11, v11, v13
	v_rcp_f32_e32 v14, v12
	s_waitcnt_depctr 0xfff
	v_fma_f32 v15, -v12, v14, 1.0
	s_delay_alu instid0(VALU_DEP_1) | instskip(SKIP_1) | instid1(VALU_DEP_1)
	v_fmac_f32_e32 v14, v15, v14
	v_div_scale_f32 v15, vcc_lo, v13, v11, v13
	v_mul_f32_e32 v16, v15, v14
	s_delay_alu instid0(VALU_DEP_1) | instskip(NEXT) | instid1(VALU_DEP_1)
	v_fma_f32 v17, -v12, v16, v15
	v_fmac_f32_e32 v16, v17, v14
	s_delay_alu instid0(VALU_DEP_1) | instskip(NEXT) | instid1(VALU_DEP_1)
	v_fma_f32 v12, -v12, v16, v15
	v_div_fmas_f32 v12, v12, v14, v16
                                        ; implicit-def: $vgpr14
	s_delay_alu instid0(VALU_DEP_1)
	v_div_fixup_f32 v11, v12, v11, v13
                                        ; implicit-def: $vgpr12
	s_and_not1_saveexec_b32 s13, s13
	s_cbranch_execz .LBB177_2025
	s_branch .LBB177_2024
.LBB177_1978:
	s_mov_b32 s0, 0
	s_mov_b32 s1, 0
                                        ; implicit-def: $vgpr0_vgpr1
                                        ; implicit-def: $vgpr15
                                        ; implicit-def: $vgpr12
.LBB177_1979:
	s_and_b32 s3, s0, exec_lo
	s_and_not1_b32 s0, s8, exec_lo
	s_and_b32 s2, s2, exec_lo
	s_and_b32 s26, s1, exec_lo
	s_or_b32 s8, s0, s2
.LBB177_1980:
	s_or_b32 exec_lo, exec_lo, s9
	s_and_saveexec_b32 s0, s8
	s_cbranch_execz .LBB177_1983
; %bb.1981:
	; divergent unreachable
	s_or_b32 exec_lo, exec_lo, s0
	s_and_saveexec_b32 s0, s26
	s_delay_alu instid0(SALU_CYCLE_1)
	s_xor_b32 s1, exec_lo, s0
	s_cbranch_execnz .LBB177_1984
.LBB177_1982:
	s_or_b32 exec_lo, exec_lo, s1
	s_and_saveexec_b32 s0, s3
	s_cbranch_execnz .LBB177_1985
	s_branch .LBB177_2022
.LBB177_1983:
	s_or_b32 exec_lo, exec_lo, s0
	s_and_saveexec_b32 s0, s26
	s_delay_alu instid0(SALU_CYCLE_1)
	s_xor_b32 s1, exec_lo, s0
	s_cbranch_execz .LBB177_1982
.LBB177_1984:
	s_waitcnt vmcnt(0)
	v_cmp_neq_f32_e32 vcc_lo, 0, v11
	s_delay_alu instid0(VALU_DEP_2) | instskip(NEXT) | instid1(VALU_DEP_1)
	v_cmp_neq_f32_e64 s0, 0, v12
	s_or_b32 s0, vcc_lo, s0
	s_delay_alu instid0(SALU_CYCLE_1)
	v_cndmask_b32_e64 v2, 0, 1, s0
	global_store_b8 v[0:1], v2, off
	s_or_b32 exec_lo, exec_lo, s1
	s_and_saveexec_b32 s0, s3
	s_cbranch_execz .LBB177_2022
.LBB177_1985:
	v_cmp_gt_i16_e32 vcc_lo, 5, v15
	s_mov_b32 s0, -1
	s_cbranch_vccnz .LBB177_2006
; %bb.1986:
	v_cmp_gt_i16_e32 vcc_lo, 8, v15
	s_cbranch_vccnz .LBB177_1996
; %bb.1987:
	v_cmp_gt_i16_e32 vcc_lo, 9, v15
	s_cbranch_vccnz .LBB177_1993
; %bb.1988:
	v_cmp_lt_i16_e32 vcc_lo, 9, v15
	s_cbranch_vccz .LBB177_1990
; %bb.1989:
	s_waitcnt vmcnt(0)
	v_cvt_f64_f32_e32 v[2:3], v11
	v_cvt_f64_f32_e32 v[4:5], v12
	s_mov_b32 s0, 0
	global_store_b128 v[0:1], v[2:5], off
.LBB177_1990:
	s_and_not1_b32 vcc_lo, exec_lo, s0
	s_cbranch_vccnz .LBB177_1992
; %bb.1991:
	s_waitcnt vmcnt(0)
	global_store_b64 v[0:1], v[11:12], off
.LBB177_1992:
	s_mov_b32 s0, 0
.LBB177_1993:
	s_delay_alu instid0(SALU_CYCLE_1)
	s_and_not1_b32 vcc_lo, exec_lo, s0
	s_cbranch_vccnz .LBB177_1995
; %bb.1994:
	s_waitcnt vmcnt(0)
	v_cvt_f16_f32_e32 v2, v12
	v_cvt_f16_f32_e32 v3, v11
	s_delay_alu instid0(VALU_DEP_2) | instskip(NEXT) | instid1(VALU_DEP_2)
	v_lshlrev_b32_e32 v2, 16, v2
	v_and_b32_e32 v3, 0xffff, v3
	s_delay_alu instid0(VALU_DEP_1)
	v_or_b32_e32 v2, v2, v3
	global_store_b32 v[0:1], v2, off
.LBB177_1995:
	s_mov_b32 s0, 0
.LBB177_1996:
	s_delay_alu instid0(SALU_CYCLE_1)
	s_and_not1_b32 vcc_lo, exec_lo, s0
	s_cbranch_vccnz .LBB177_2005
; %bb.1997:
	v_cmp_gt_i16_e32 vcc_lo, 6, v15
	s_mov_b32 s0, -1
	s_cbranch_vccnz .LBB177_2003
; %bb.1998:
	v_cmp_lt_i16_e32 vcc_lo, 6, v15
	s_cbranch_vccz .LBB177_2000
; %bb.1999:
	s_waitcnt vmcnt(0)
	v_cvt_f64_f32_e32 v[2:3], v11
	s_mov_b32 s0, 0
	global_store_b64 v[0:1], v[2:3], off
.LBB177_2000:
	s_and_not1_b32 vcc_lo, exec_lo, s0
	s_cbranch_vccnz .LBB177_2002
; %bb.2001:
	s_waitcnt vmcnt(0)
	global_store_b32 v[0:1], v11, off
.LBB177_2002:
	s_mov_b32 s0, 0
.LBB177_2003:
	s_delay_alu instid0(SALU_CYCLE_1)
	s_and_not1_b32 vcc_lo, exec_lo, s0
	s_cbranch_vccnz .LBB177_2005
; %bb.2004:
	s_waitcnt vmcnt(0)
	v_cvt_f16_f32_e32 v2, v11
	global_store_b16 v[0:1], v2, off
.LBB177_2005:
	s_mov_b32 s0, 0
.LBB177_2006:
	s_delay_alu instid0(SALU_CYCLE_1)
	s_and_not1_b32 vcc_lo, exec_lo, s0
	s_cbranch_vccnz .LBB177_2022
; %bb.2007:
	v_cmp_gt_i16_e32 vcc_lo, 2, v15
	s_mov_b32 s0, -1
	s_cbranch_vccnz .LBB177_2017
; %bb.2008:
	v_cmp_gt_i16_e32 vcc_lo, 3, v15
	s_cbranch_vccnz .LBB177_2014
; %bb.2009:
	v_cmp_lt_i16_e32 vcc_lo, 3, v15
	s_cbranch_vccz .LBB177_2011
; %bb.2010:
	s_waitcnt vmcnt(0)
	v_trunc_f32_e32 v2, v11
	s_mov_b32 s0, 0
	s_delay_alu instid0(VALU_DEP_1) | instskip(SKIP_1) | instid1(VALU_DEP_2)
	v_mul_f32_e64 v3, 0x2f800000, |v2|
	v_ashrrev_i32_e32 v5, 31, v2
	v_floor_f32_e32 v3, v3
	s_delay_alu instid0(VALU_DEP_1) | instskip(SKIP_1) | instid1(VALU_DEP_2)
	v_fma_f32 v4, 0xcf800000, v3, |v2|
	v_cvt_u32_f32_e32 v3, v3
	v_cvt_u32_f32_e32 v2, v4
	s_delay_alu instid0(VALU_DEP_2) | instskip(NEXT) | instid1(VALU_DEP_2)
	v_xor_b32_e32 v3, v3, v5
	v_xor_b32_e32 v2, v2, v5
	s_delay_alu instid0(VALU_DEP_1) | instskip(NEXT) | instid1(VALU_DEP_3)
	v_sub_co_u32 v2, vcc_lo, v2, v5
	v_sub_co_ci_u32_e32 v3, vcc_lo, v3, v5, vcc_lo
	global_store_b64 v[0:1], v[2:3], off
.LBB177_2011:
	s_and_not1_b32 vcc_lo, exec_lo, s0
	s_cbranch_vccnz .LBB177_2013
; %bb.2012:
	s_waitcnt vmcnt(0)
	v_cvt_i32_f32_e32 v2, v11
	global_store_b32 v[0:1], v2, off
.LBB177_2013:
	s_mov_b32 s0, 0
.LBB177_2014:
	s_delay_alu instid0(SALU_CYCLE_1)
	s_and_not1_b32 vcc_lo, exec_lo, s0
	s_cbranch_vccnz .LBB177_2016
; %bb.2015:
	s_waitcnt vmcnt(0)
	v_cvt_i32_f32_e32 v2, v11
	global_store_b16 v[0:1], v2, off
.LBB177_2016:
	s_mov_b32 s0, 0
.LBB177_2017:
	s_delay_alu instid0(SALU_CYCLE_1)
	s_and_not1_b32 vcc_lo, exec_lo, s0
	s_cbranch_vccnz .LBB177_2022
; %bb.2018:
	v_cmp_lt_i16_e32 vcc_lo, 0, v15
	s_mov_b32 s0, -1
	s_cbranch_vccz .LBB177_2020
; %bb.2019:
	s_waitcnt vmcnt(0)
	v_cvt_i32_f32_e32 v2, v11
	s_mov_b32 s0, 0
	global_store_b8 v[0:1], v2, off
.LBB177_2020:
	s_and_not1_b32 vcc_lo, exec_lo, s0
	s_cbranch_vccnz .LBB177_2022
; %bb.2021:
	s_waitcnt vmcnt(0)
	v_trunc_f32_e32 v2, v11
	s_delay_alu instid0(VALU_DEP_1) | instskip(NEXT) | instid1(VALU_DEP_1)
	v_mul_f32_e64 v3, 0x2f800000, |v2|
	v_floor_f32_e32 v3, v3
	s_delay_alu instid0(VALU_DEP_1) | instskip(SKIP_1) | instid1(VALU_DEP_2)
	v_fma_f32 v3, 0xcf800000, v3, |v2|
	v_ashrrev_i32_e32 v2, 31, v2
	v_cvt_u32_f32_e32 v3, v3
	s_delay_alu instid0(VALU_DEP_1) | instskip(NEXT) | instid1(VALU_DEP_1)
	v_xor_b32_e32 v3, v3, v2
	v_sub_nc_u32_e32 v2, v3, v2
	global_store_b8 v[0:1], v2, off
	s_nop 0
	s_sendmsg sendmsg(MSG_DEALLOC_VGPRS)
	s_endpgm
.LBB177_2022:
	s_nop 0
	s_sendmsg sendmsg(MSG_DEALLOC_VGPRS)
	s_endpgm
.LBB177_2023:
	s_and_not1_saveexec_b32 s13, s13
	s_cbranch_execz .LBB177_2025
.LBB177_2024:
	v_sub_f32_e32 v8, v14, v12
	s_delay_alu instid0(VALU_DEP_1) | instskip(NEXT) | instid1(VALU_DEP_1)
	v_mul_f32_e32 v8, 0.5, v8
	v_mul_f32_e32 v11, 0x4f800000, v8
	v_cmp_gt_f32_e32 vcc_lo, 0xf800000, v8
	s_delay_alu instid0(VALU_DEP_2) | instskip(NEXT) | instid1(VALU_DEP_1)
	v_cndmask_b32_e32 v8, v8, v11, vcc_lo
	v_sqrt_f32_e32 v11, v8
	s_waitcnt_depctr 0xfff
	v_add_nc_u32_e32 v12, -1, v11
	v_add_nc_u32_e32 v14, 1, v11
	s_delay_alu instid0(VALU_DEP_2) | instskip(NEXT) | instid1(VALU_DEP_2)
	v_fma_f32 v15, -v12, v11, v8
	v_fma_f32 v16, -v14, v11, v8
	s_delay_alu instid0(VALU_DEP_2) | instskip(NEXT) | instid1(VALU_DEP_1)
	v_cmp_ge_f32_e64 s1, 0, v15
	v_cndmask_b32_e64 v11, v11, v12, s1
	s_delay_alu instid0(VALU_DEP_3) | instskip(NEXT) | instid1(VALU_DEP_1)
	v_cmp_lt_f32_e64 s1, 0, v16
	v_cndmask_b32_e64 v11, v11, v14, s1
	s_delay_alu instid0(VALU_DEP_1) | instskip(NEXT) | instid1(VALU_DEP_1)
	v_mul_f32_e32 v12, 0x37800000, v11
	v_cndmask_b32_e32 v11, v11, v12, vcc_lo
	v_cmp_class_f32_e64 vcc_lo, v8, 0x260
	s_delay_alu instid0(VALU_DEP_2) | instskip(NEXT) | instid1(VALU_DEP_1)
	v_dual_cndmask_b32 v11, v11, v8 :: v_dual_and_b32 v8, 0x7fffffff, v13
	v_add_f32_e32 v12, v11, v11
	v_bfi_b32 v11, 0x7fffffff, v11, v13
	s_delay_alu instid0(VALU_DEP_2) | instskip(SKIP_1) | instid1(VALU_DEP_2)
	v_div_scale_f32 v14, null, v12, v12, v8
	v_div_scale_f32 v8, vcc_lo, v8, v12, v8
	v_rcp_f32_e32 v15, v14
	s_waitcnt_depctr 0xfff
	v_fma_f32 v16, -v14, v15, 1.0
	s_delay_alu instid0(VALU_DEP_1) | instskip(NEXT) | instid1(VALU_DEP_1)
	v_fmac_f32_e32 v15, v16, v15
	v_mul_f32_e32 v16, v8, v15
	s_delay_alu instid0(VALU_DEP_1) | instskip(NEXT) | instid1(VALU_DEP_1)
	v_fma_f32 v17, -v14, v16, v8
	v_fmac_f32_e32 v16, v17, v15
	s_delay_alu instid0(VALU_DEP_1) | instskip(NEXT) | instid1(VALU_DEP_1)
	v_fma_f32 v8, -v14, v16, v8
	v_div_fmas_f32 v8, v8, v15, v16
	s_delay_alu instid0(VALU_DEP_1)
	v_div_fixup_f32 v8, v8, v12, |v13|
.LBB177_2025:
	s_or_b32 exec_lo, exec_lo, s13
                                        ; implicit-def: $vgpr13
	s_and_saveexec_b32 s1, s0
	s_delay_alu instid0(SALU_CYCLE_1)
	s_xor_b32 s0, exec_lo, s1
	s_cbranch_execz .LBB177_2027
; %bb.2026:
	v_dual_mul_f32 v12, 0.5, v8 :: v_dual_mul_f32 v13, 0.5, v11
	s_delay_alu instid0(VALU_DEP_1) | instskip(NEXT) | instid1(VALU_DEP_2)
	v_cndmask_b32_e64 v12, v8, v12, s12
	v_cndmask_b32_e64 v13, v11, v13, s12
                                        ; implicit-def: $vgpr8
                                        ; implicit-def: $vgpr11
	s_and_not1_saveexec_b32 s0, s0
	s_cbranch_execnz .LBB177_2028
	s_branch .LBB177_2029
.LBB177_2027:
	s_and_not1_saveexec_b32 s0, s0
.LBB177_2028:
	v_dual_add_f32 v12, v8, v8 :: v_dual_add_f32 v13, v11, v11
.LBB177_2029:
	s_or_b32 exec_lo, exec_lo, s0
.LBB177_2030:
	s_and_not1_saveexec_b32 s0, s11
	s_cbranch_execz .LBB177_2036
; %bb.2031:
	s_delay_alu instid0(VALU_DEP_1)
	v_sub_f32_e32 v8, v13, v13
	s_mov_b32 s1, exec_lo
	v_cmpx_lt_i32_e32 -1, v12
	s_xor_b32 s1, exec_lo, s1
; %bb.2032:
	s_delay_alu instid0(VALU_DEP_2)
	v_bfi_b32 v13, 0x7fffffff, v8, v13
                                        ; implicit-def: $vgpr8
; %bb.2033:
	s_and_not1_saveexec_b32 s1, s1
; %bb.2034:
	v_and_b32_e32 v8, 0x7fffffff, v8
	s_delay_alu instid0(VALU_DEP_2) | instskip(NEXT) | instid1(VALU_DEP_2)
	v_bfi_b32 v13, 0x7fffffff, v12, v13
	v_mov_b32_e32 v12, v8
; %bb.2035:
	s_or_b32 exec_lo, exec_lo, s1
.LBB177_2036:
	s_delay_alu instid0(SALU_CYCLE_1)
	s_or_b32 exec_lo, exec_lo, s0
.LBB177_2037:
	s_and_not1_saveexec_b32 s0, s10
; %bb.2038:
	v_sub_f32_e32 v8, v13, v13
	s_delay_alu instid0(VALU_DEP_1) | instskip(NEXT) | instid1(VALU_DEP_1)
	v_div_scale_f32 v11, vcc_lo, v8, v8, v8
	v_rcp_f32_e32 v13, v11
	s_waitcnt_depctr 0xfff
	v_fma_f32 v14, -v11, v13, 1.0
	s_delay_alu instid0(VALU_DEP_1) | instskip(NEXT) | instid1(VALU_DEP_1)
	v_fmac_f32_e32 v13, v14, v13
	v_mul_f32_e32 v14, v11, v13
	s_delay_alu instid0(VALU_DEP_1) | instskip(NEXT) | instid1(VALU_DEP_1)
	v_fma_f32 v15, -v11, v14, v11
	v_fmac_f32_e32 v14, v15, v13
	s_delay_alu instid0(VALU_DEP_1) | instskip(NEXT) | instid1(VALU_DEP_1)
	v_fma_f32 v11, -v11, v14, v11
	v_div_fmas_f32 v11, v11, v13, v14
	s_delay_alu instid0(VALU_DEP_1)
	v_div_fixup_f32 v13, v11, v8, v8
; %bb.2039:
	s_or_b32 exec_lo, exec_lo, s0
	v_mov_b32_e32 v8, v12
.LBB177_2040:
	s_or_b32 exec_lo, exec_lo, s7
.LBB177_2041:
	s_delay_alu instid0(SALU_CYCLE_1) | instskip(NEXT) | instid1(VALU_DEP_1)
	s_or_b32 exec_lo, exec_lo, s6
	v_cmp_gt_f32_e32 vcc_lo, 0, v8
                                        ; implicit-def: $vgpr12
	s_mov_b32 s0, exec_lo
	v_cndmask_b32_e64 v14, v8, -v8, vcc_lo
	v_cmp_gt_f32_e32 vcc_lo, 0, v13
	v_cndmask_b32_e64 v15, v13, -v13, vcc_lo
	s_delay_alu instid0(VALU_DEP_1)
	v_cmpx_ge_f32_e32 v14, v15
	s_xor_b32 s1, exec_lo, s0
	s_cbranch_execz .LBB177_2047
; %bb.2042:
	v_cmp_neq_f32_e32 vcc_lo, 0, v8
	v_cmp_neq_f32_e64 s0, 0, v13
                                        ; implicit-def: $vgpr12
	s_delay_alu instid0(VALU_DEP_1) | instskip(NEXT) | instid1(SALU_CYCLE_1)
	s_or_b32 s0, vcc_lo, s0
	s_and_saveexec_b32 s6, s0
	s_delay_alu instid0(SALU_CYCLE_1)
	s_xor_b32 s0, exec_lo, s6
	s_cbranch_execz .LBB177_2044
; %bb.2043:
	v_div_scale_f32 v11, null, v8, v8, v13
	v_div_scale_f32 v15, vcc_lo, v13, v8, v13
	s_delay_alu instid0(VALU_DEP_2) | instskip(SKIP_2) | instid1(VALU_DEP_1)
	v_rcp_f32_e32 v12, v11
	s_waitcnt_depctr 0xfff
	v_fma_f32 v14, -v11, v12, 1.0
	v_fmac_f32_e32 v12, v14, v12
	s_delay_alu instid0(VALU_DEP_1) | instskip(NEXT) | instid1(VALU_DEP_1)
	v_mul_f32_e32 v14, v15, v12
	v_fma_f32 v16, -v11, v14, v15
	s_delay_alu instid0(VALU_DEP_1) | instskip(NEXT) | instid1(VALU_DEP_1)
	v_fmac_f32_e32 v14, v16, v12
	v_fma_f32 v11, -v11, v14, v15
	s_delay_alu instid0(VALU_DEP_1) | instskip(NEXT) | instid1(VALU_DEP_1)
	v_div_fmas_f32 v11, v11, v12, v14
	v_div_fixup_f32 v12, v11, v8, v13
	s_delay_alu instid0(VALU_DEP_1) | instskip(NEXT) | instid1(VALU_DEP_1)
	v_fmac_f32_e32 v8, v13, v12
	v_div_scale_f32 v11, null, v8, v8, 1.0
	s_delay_alu instid0(VALU_DEP_1) | instskip(SKIP_2) | instid1(VALU_DEP_1)
	v_rcp_f32_e32 v13, v11
	s_waitcnt_depctr 0xfff
	v_fma_f32 v14, -v11, v13, 1.0
	v_fmac_f32_e32 v13, v14, v13
	v_div_scale_f32 v15, vcc_lo, 1.0, v8, 1.0
	s_delay_alu instid0(VALU_DEP_1) | instskip(NEXT) | instid1(VALU_DEP_1)
	v_mul_f32_e32 v14, v15, v13
	v_fma_f32 v16, -v11, v14, v15
	s_delay_alu instid0(VALU_DEP_1) | instskip(NEXT) | instid1(VALU_DEP_1)
	v_fmac_f32_e32 v14, v16, v13
	v_fma_f32 v11, -v11, v14, v15
                                        ; implicit-def: $vgpr15
	s_delay_alu instid0(VALU_DEP_1) | instskip(SKIP_1) | instid1(VALU_DEP_2)
	v_div_fmas_f32 v11, v11, v13, v14
	v_fma_f32 v13, v12, 0, 1.0
                                        ; implicit-def: $vgpr14
	v_div_fixup_f32 v8, v11, v8, 1.0
	s_delay_alu instid0(VALU_DEP_1)
	v_mul_f32_e32 v11, v13, v8
	v_mul_f32_e64 v12, -v12, v8
.LBB177_2044:
	s_and_not1_saveexec_b32 s6, s0
	s_cbranch_execz .LBB177_2046
; %bb.2045:
	v_div_scale_f32 v8, null, v14, v14, 1.0
	v_div_scale_f32 v11, null, v15, v15, 0
	v_div_scale_f32 v18, vcc_lo, 1.0, v14, 1.0
	s_delay_alu instid0(VALU_DEP_3) | instskip(NEXT) | instid1(VALU_DEP_2)
	v_rcp_f32_e32 v12, v8
	v_rcp_f32_e32 v13, v11
	s_waitcnt_depctr 0xfff
	v_fma_f32 v16, -v8, v12, 1.0
	v_fma_f32 v17, -v11, v13, 1.0
	s_delay_alu instid0(VALU_DEP_1) | instskip(SKIP_1) | instid1(VALU_DEP_2)
	v_dual_fmac_f32 v12, v16, v12 :: v_dual_fmac_f32 v13, v17, v13
	v_div_scale_f32 v16, s0, 0, v15, 0
	v_mul_f32_e32 v17, v18, v12
	s_delay_alu instid0(VALU_DEP_2) | instskip(NEXT) | instid1(VALU_DEP_2)
	v_mul_f32_e32 v19, v16, v13
	v_fma_f32 v20, -v8, v17, v18
	s_delay_alu instid0(VALU_DEP_2) | instskip(NEXT) | instid1(VALU_DEP_2)
	v_fma_f32 v21, -v11, v19, v16
	v_fmac_f32_e32 v17, v20, v12
	s_delay_alu instid0(VALU_DEP_2) | instskip(NEXT) | instid1(VALU_DEP_2)
	v_fmac_f32_e32 v19, v21, v13
	v_fma_f32 v8, -v8, v17, v18
	s_delay_alu instid0(VALU_DEP_2) | instskip(NEXT) | instid1(VALU_DEP_2)
	v_fma_f32 v11, -v11, v19, v16
	v_div_fmas_f32 v8, v8, v12, v17
	s_mov_b32 vcc_lo, s0
	s_delay_alu instid0(VALU_DEP_2) | instskip(NEXT) | instid1(VALU_DEP_2)
	v_div_fmas_f32 v12, v11, v13, v19
	v_div_fixup_f32 v11, v8, v14, 1.0
	s_delay_alu instid0(VALU_DEP_2)
	v_div_fixup_f32 v12, v12, v15, 0
.LBB177_2046:
	s_or_b32 exec_lo, exec_lo, s6
                                        ; implicit-def: $vgpr13
                                        ; implicit-def: $vgpr8
.LBB177_2047:
	s_and_not1_saveexec_b32 s0, s1
	s_cbranch_execz .LBB177_2049
; %bb.2048:
	v_div_scale_f32 v11, null, v13, v13, v8
	v_div_scale_f32 v15, vcc_lo, v8, v13, v8
	s_delay_alu instid0(VALU_DEP_2) | instskip(SKIP_2) | instid1(VALU_DEP_1)
	v_rcp_f32_e32 v12, v11
	s_waitcnt_depctr 0xfff
	v_fma_f32 v14, -v11, v12, 1.0
	v_fmac_f32_e32 v12, v14, v12
	s_delay_alu instid0(VALU_DEP_1) | instskip(NEXT) | instid1(VALU_DEP_1)
	v_mul_f32_e32 v14, v15, v12
	v_fma_f32 v16, -v11, v14, v15
	s_delay_alu instid0(VALU_DEP_1) | instskip(NEXT) | instid1(VALU_DEP_1)
	v_fmac_f32_e32 v14, v16, v12
	v_fma_f32 v11, -v11, v14, v15
	s_delay_alu instid0(VALU_DEP_1) | instskip(NEXT) | instid1(VALU_DEP_1)
	v_div_fmas_f32 v11, v11, v12, v14
	v_div_fixup_f32 v11, v11, v13, v8
	s_delay_alu instid0(VALU_DEP_1) | instskip(NEXT) | instid1(VALU_DEP_1)
	v_fmac_f32_e32 v13, v8, v11
	v_div_scale_f32 v8, null, v13, v13, 1.0
	v_div_scale_f32 v15, vcc_lo, 1.0, v13, 1.0
	s_delay_alu instid0(VALU_DEP_2) | instskip(SKIP_2) | instid1(VALU_DEP_1)
	v_rcp_f32_e32 v12, v8
	s_waitcnt_depctr 0xfff
	v_fma_f32 v14, -v8, v12, 1.0
	v_fmac_f32_e32 v12, v14, v12
	s_delay_alu instid0(VALU_DEP_1) | instskip(NEXT) | instid1(VALU_DEP_1)
	v_mul_f32_e32 v14, v15, v12
	v_fma_f32 v16, -v8, v14, v15
	s_delay_alu instid0(VALU_DEP_1) | instskip(NEXT) | instid1(VALU_DEP_1)
	v_fmac_f32_e32 v14, v16, v12
	v_fma_f32 v8, -v8, v14, v15
	s_delay_alu instid0(VALU_DEP_1) | instskip(SKIP_1) | instid1(VALU_DEP_2)
	v_div_fmas_f32 v8, v8, v12, v14
	v_add_f32_e32 v12, 0, v11
	v_div_fixup_f32 v8, v8, v13, 1.0
	v_fma_f32 v13, v11, 0, -1.0
	s_delay_alu instid0(VALU_DEP_2) | instskip(NEXT) | instid1(VALU_DEP_2)
	v_mul_f32_e32 v11, v12, v8
	v_mul_f32_e32 v12, v13, v8
.LBB177_2049:
	s_or_b32 exec_lo, exec_lo, s0
	s_lshr_b32 s0, s3, 8
	s_mov_b32 s3, 0
	v_and_b32_e64 v15, 0xff, s0
	v_add_co_u32 v13, s0, s4, v3
	s_delay_alu instid0(VALU_DEP_1) | instskip(NEXT) | instid1(VALU_DEP_3)
	v_add_co_ci_u32_e64 v14, null, s5, 0, s0
	v_cmp_gt_i16_e32 vcc_lo, 11, v15
	s_mov_b32 s0, -1
	s_cbranch_vccnz .LBB177_2127
; %bb.2050:
	v_cmp_lt_i16_e32 vcc_lo, 25, v15
	s_mov_b32 s6, -1
	s_mov_b32 s1, 0
	s_mov_b32 s0, 0
	s_cbranch_vccz .LBB177_2083
; %bb.2051:
	v_cmp_lt_i16_e32 vcc_lo, 28, v15
	s_cbranch_vccz .LBB177_2066
; %bb.2052:
	v_cmp_lt_i16_e32 vcc_lo, 43, v15
	;; [unrolled: 3-line block ×3, first 2 shown]
	s_cbranch_vccz .LBB177_2056
; %bb.2054:
	v_cmp_eq_u16_e32 vcc_lo, 46, v15
	s_mov_b32 s0, -1
	s_mov_b32 s6, 0
	s_cbranch_vccz .LBB177_2056
; %bb.2055:
	v_bfe_u32 v3, v5, 16, 1
	v_bfe_u32 v8, v4, 16, 1
	v_cmp_o_f32_e32 vcc_lo, v5, v5
	s_mov_b32 s0, 0
	s_mov_b32 s3, -1
	v_add3_u32 v3, v5, v3, 0x7fff
	v_add3_u32 v8, v4, v8, 0x7fff
	s_delay_alu instid0(VALU_DEP_2) | instskip(NEXT) | instid1(VALU_DEP_2)
	v_and_b32_e32 v3, 0xffff0000, v3
	v_lshrrev_b32_e32 v8, 16, v8
	s_delay_alu instid0(VALU_DEP_2) | instskip(SKIP_1) | instid1(VALU_DEP_3)
	v_cndmask_b32_e32 v3, 0x7fc00000, v3, vcc_lo
	v_cmp_o_f32_e32 vcc_lo, v4, v4
	v_cndmask_b32_e32 v8, 0x7fc0, v8, vcc_lo
	s_delay_alu instid0(VALU_DEP_1)
	v_or_b32_e32 v3, v3, v8
	global_store_b32 v[13:14], v3, off
.LBB177_2056:
	s_and_b32 vcc_lo, exec_lo, s6
	s_cbranch_vccz .LBB177_2061
; %bb.2057:
	v_cmp_eq_u16_e32 vcc_lo, 44, v15
	s_mov_b32 s0, -1
	s_cbranch_vccz .LBB177_2061
; %bb.2058:
	v_bfe_u32 v8, v4, 23, 8
	v_mov_b32_e32 v3, 0xff
	s_mov_b32 s3, exec_lo
	s_delay_alu instid0(VALU_DEP_2)
	v_cmpx_ne_u32_e32 0xff, v8
; %bb.2059:
	v_and_b32_e32 v3, 0x400000, v4
	v_and_or_b32 v8, 0x3fffff, v4, v8
	s_delay_alu instid0(VALU_DEP_2) | instskip(NEXT) | instid1(VALU_DEP_2)
	v_cmp_ne_u32_e32 vcc_lo, 0, v3
	v_cmp_ne_u32_e64 s0, 0, v8
	v_lshrrev_b32_e32 v3, 23, v4
	s_delay_alu instid0(VALU_DEP_2) | instskip(NEXT) | instid1(SALU_CYCLE_1)
	s_and_b32 s0, vcc_lo, s0
	v_cndmask_b32_e64 v8, 0, 1, s0
	s_delay_alu instid0(VALU_DEP_1)
	v_add_nc_u32_e32 v3, v3, v8
; %bb.2060:
	s_or_b32 exec_lo, exec_lo, s3
	s_mov_b32 s0, 0
	s_mov_b32 s3, -1
	global_store_b8 v[13:14], v3, off
.LBB177_2061:
	s_mov_b32 s6, 0
.LBB177_2062:
	s_delay_alu instid0(SALU_CYCLE_1)
	s_and_b32 vcc_lo, exec_lo, s6
	s_cbranch_vccz .LBB177_2065
; %bb.2063:
	v_cmp_eq_u16_e32 vcc_lo, 29, v15
	s_mov_b32 s0, -1
	s_cbranch_vccz .LBB177_2065
; %bb.2064:
	v_trunc_f32_e32 v3, v4
	s_mov_b32 s0, 0
	s_mov_b32 s3, -1
	s_delay_alu instid0(VALU_DEP_1) | instskip(NEXT) | instid1(VALU_DEP_1)
	v_mul_f32_e32 v8, 0x2f800000, v3
	v_floor_f32_e32 v8, v8
	s_delay_alu instid0(VALU_DEP_1) | instskip(SKIP_1) | instid1(VALU_DEP_2)
	v_fmamk_f32 v3, v8, 0xcf800000, v3
	v_cvt_u32_f32_e32 v17, v8
	v_cvt_u32_f32_e32 v16, v3
	global_store_b64 v[13:14], v[16:17], off
.LBB177_2065:
	s_mov_b32 s6, 0
.LBB177_2066:
	s_delay_alu instid0(SALU_CYCLE_1)
	s_and_b32 vcc_lo, exec_lo, s6
	s_cbranch_vccz .LBB177_2082
; %bb.2067:
	v_cmp_gt_i16_e32 vcc_lo, 27, v15
	s_mov_b32 s3, -1
	s_cbranch_vccnz .LBB177_2073
; %bb.2068:
	v_cmp_lt_i16_e32 vcc_lo, 27, v15
	v_cvt_u32_f32_e32 v3, v4
	s_cbranch_vccz .LBB177_2070
; %bb.2069:
	s_mov_b32 s3, 0
	global_store_b32 v[13:14], v3, off
.LBB177_2070:
	s_and_not1_b32 vcc_lo, exec_lo, s3
	s_cbranch_vccnz .LBB177_2072
; %bb.2071:
	global_store_b16 v[13:14], v3, off
.LBB177_2072:
	s_mov_b32 s3, 0
.LBB177_2073:
	s_delay_alu instid0(SALU_CYCLE_1)
	s_and_not1_b32 vcc_lo, exec_lo, s3
	s_cbranch_vccnz .LBB177_2081
; %bb.2074:
	v_and_b32_e32 v3, 0x7fffffff, v4
	v_mov_b32_e32 v8, 0x80
	s_mov_b32 s3, exec_lo
	s_delay_alu instid0(VALU_DEP_2)
	v_cmpx_gt_u32_e32 0x43800000, v3
	s_cbranch_execz .LBB177_2080
; %bb.2075:
	v_cmp_lt_u32_e32 vcc_lo, 0x3bffffff, v3
	s_mov_b32 s6, 0
                                        ; implicit-def: $vgpr3
	s_and_saveexec_b32 s7, vcc_lo
	s_delay_alu instid0(SALU_CYCLE_1)
	s_xor_b32 s7, exec_lo, s7
	s_cbranch_execz .LBB177_2482
; %bb.2076:
	v_bfe_u32 v3, v4, 20, 1
	s_mov_b32 s6, exec_lo
	s_delay_alu instid0(VALU_DEP_1) | instskip(NEXT) | instid1(VALU_DEP_1)
	v_add3_u32 v3, v4, v3, 0x487ffff
	v_lshrrev_b32_e32 v3, 20, v3
	s_or_saveexec_b32 s7, s7
                                        ; implicit-def: $sgpr10
	s_delay_alu instid0(SALU_CYCLE_1)
	s_xor_b32 exec_lo, exec_lo, s7
	s_cbranch_execnz .LBB177_2483
.LBB177_2077:
	s_or_b32 exec_lo, exec_lo, s7
	v_mov_b32_e32 v8, s10
	s_and_saveexec_b32 s7, s6
.LBB177_2078:
	v_lshrrev_b32_e32 v8, 24, v4
	s_delay_alu instid0(VALU_DEP_1)
	v_and_or_b32 v8, 0x80, v8, v3
.LBB177_2079:
	s_or_b32 exec_lo, exec_lo, s7
.LBB177_2080:
	s_delay_alu instid0(SALU_CYCLE_1)
	s_or_b32 exec_lo, exec_lo, s3
	global_store_b8 v[13:14], v8, off
.LBB177_2081:
	s_mov_b32 s3, -1
.LBB177_2082:
	s_mov_b32 s6, 0
.LBB177_2083:
	s_delay_alu instid0(SALU_CYCLE_1)
	s_and_b32 vcc_lo, exec_lo, s6
	s_cbranch_vccz .LBB177_2123
; %bb.2084:
	v_cmp_lt_i16_e32 vcc_lo, 22, v15
	s_mov_b32 s1, -1
	s_cbranch_vccz .LBB177_2116
; %bb.2085:
	v_cmp_gt_i16_e32 vcc_lo, 24, v15
	s_cbranch_vccnz .LBB177_2105
; %bb.2086:
	v_cmp_lt_i16_e32 vcc_lo, 24, v15
	s_cbranch_vccz .LBB177_2094
; %bb.2087:
	v_and_b32_e32 v3, 0x7fffffff, v4
	v_mov_b32_e32 v8, 0x80
	s_mov_b32 s1, exec_lo
	s_delay_alu instid0(VALU_DEP_2)
	v_cmpx_gt_u32_e32 0x47800000, v3
	s_cbranch_execz .LBB177_2093
; %bb.2088:
	v_cmp_lt_u32_e32 vcc_lo, 0x37ffffff, v3
	s_mov_b32 s3, 0
                                        ; implicit-def: $vgpr3
	s_and_saveexec_b32 s6, vcc_lo
	s_delay_alu instid0(SALU_CYCLE_1)
	s_xor_b32 s6, exec_lo, s6
	s_cbranch_execz .LBB177_2488
; %bb.2089:
	v_bfe_u32 v3, v4, 21, 1
	s_mov_b32 s3, exec_lo
	s_delay_alu instid0(VALU_DEP_1) | instskip(NEXT) | instid1(VALU_DEP_1)
	v_add3_u32 v3, v4, v3, 0x88fffff
	v_lshrrev_b32_e32 v3, 21, v3
	s_or_saveexec_b32 s6, s6
                                        ; implicit-def: $sgpr7
	s_delay_alu instid0(SALU_CYCLE_1)
	s_xor_b32 exec_lo, exec_lo, s6
	s_cbranch_execnz .LBB177_2489
.LBB177_2090:
	s_or_b32 exec_lo, exec_lo, s6
	v_mov_b32_e32 v8, s7
	s_and_saveexec_b32 s6, s3
.LBB177_2091:
	v_lshrrev_b32_e32 v8, 24, v4
	s_delay_alu instid0(VALU_DEP_1)
	v_and_or_b32 v8, 0x80, v8, v3
.LBB177_2092:
	s_or_b32 exec_lo, exec_lo, s6
.LBB177_2093:
	s_delay_alu instid0(SALU_CYCLE_1)
	s_or_b32 exec_lo, exec_lo, s1
	s_mov_b32 s1, 0
	global_store_b8 v[13:14], v8, off
.LBB177_2094:
	s_and_b32 vcc_lo, exec_lo, s1
	s_cbranch_vccz .LBB177_2104
; %bb.2095:
	v_and_b32_e32 v8, 0x7fffffff, v4
	s_mov_b32 s1, exec_lo
                                        ; implicit-def: $vgpr3
	s_delay_alu instid0(VALU_DEP_1)
	v_cmpx_gt_u32_e32 0x43f00000, v8
	s_xor_b32 s1, exec_lo, s1
	s_cbranch_execz .LBB177_2101
; %bb.2096:
	s_mov_b32 s3, exec_lo
                                        ; implicit-def: $vgpr3
	v_cmpx_lt_u32_e32 0x3c7fffff, v8
	s_xor_b32 s3, exec_lo, s3
; %bb.2097:
	v_bfe_u32 v3, v4, 20, 1
	s_delay_alu instid0(VALU_DEP_1) | instskip(NEXT) | instid1(VALU_DEP_1)
	v_add3_u32 v3, v4, v3, 0x407ffff
	v_and_b32_e32 v8, 0xff00000, v3
	v_lshrrev_b32_e32 v3, 20, v3
	s_delay_alu instid0(VALU_DEP_2) | instskip(NEXT) | instid1(VALU_DEP_2)
	v_cmp_ne_u32_e32 vcc_lo, 0x7f00000, v8
	v_cndmask_b32_e32 v3, 0x7e, v3, vcc_lo
; %bb.2098:
	s_and_not1_saveexec_b32 s3, s3
; %bb.2099:
	v_add_f32_e64 v3, 0x46800000, |v4|
; %bb.2100:
	s_or_b32 exec_lo, exec_lo, s3
                                        ; implicit-def: $vgpr8
.LBB177_2101:
	s_and_not1_saveexec_b32 s1, s1
; %bb.2102:
	v_mov_b32_e32 v3, 0x7f
	v_cmp_lt_u32_e32 vcc_lo, 0x7f800000, v8
	s_delay_alu instid0(VALU_DEP_2)
	v_cndmask_b32_e32 v3, 0x7e, v3, vcc_lo
; %bb.2103:
	s_or_b32 exec_lo, exec_lo, s1
	v_lshrrev_b32_e32 v8, 24, v4
	s_delay_alu instid0(VALU_DEP_1)
	v_and_or_b32 v3, 0x80, v8, v3
	global_store_b8 v[13:14], v3, off
.LBB177_2104:
	s_mov_b32 s1, 0
.LBB177_2105:
	s_delay_alu instid0(SALU_CYCLE_1)
	s_and_not1_b32 vcc_lo, exec_lo, s1
	s_cbranch_vccnz .LBB177_2115
; %bb.2106:
	v_and_b32_e32 v8, 0x7fffffff, v4
	s_mov_b32 s1, exec_lo
                                        ; implicit-def: $vgpr3
	s_delay_alu instid0(VALU_DEP_1)
	v_cmpx_gt_u32_e32 0x47800000, v8
	s_xor_b32 s1, exec_lo, s1
	s_cbranch_execz .LBB177_2112
; %bb.2107:
	s_mov_b32 s3, exec_lo
                                        ; implicit-def: $vgpr3
	v_cmpx_lt_u32_e32 0x387fffff, v8
	s_xor_b32 s3, exec_lo, s3
; %bb.2108:
	v_bfe_u32 v3, v4, 21, 1
	s_delay_alu instid0(VALU_DEP_1) | instskip(NEXT) | instid1(VALU_DEP_1)
	v_add3_u32 v3, v4, v3, 0x80fffff
	v_lshrrev_b32_e32 v3, 21, v3
; %bb.2109:
	s_and_not1_saveexec_b32 s3, s3
; %bb.2110:
	v_add_f32_e64 v3, 0x43000000, |v4|
; %bb.2111:
	s_or_b32 exec_lo, exec_lo, s3
                                        ; implicit-def: $vgpr8
.LBB177_2112:
	s_and_not1_saveexec_b32 s1, s1
; %bb.2113:
	v_mov_b32_e32 v3, 0x7f
	v_cmp_lt_u32_e32 vcc_lo, 0x7f800000, v8
	s_delay_alu instid0(VALU_DEP_2)
	v_cndmask_b32_e32 v3, 0x7c, v3, vcc_lo
; %bb.2114:
	s_or_b32 exec_lo, exec_lo, s1
	v_lshrrev_b32_e32 v8, 24, v4
	s_delay_alu instid0(VALU_DEP_1)
	v_and_or_b32 v3, 0x80, v8, v3
	global_store_b8 v[13:14], v3, off
.LBB177_2115:
	s_mov_b32 s1, 0
	s_mov_b32 s3, -1
.LBB177_2116:
	s_and_not1_b32 vcc_lo, exec_lo, s1
	s_mov_b32 s1, 0
	s_cbranch_vccnz .LBB177_2123
; %bb.2117:
	v_cmp_lt_i16_e32 vcc_lo, 14, v15
	s_mov_b32 s1, -1
	s_cbranch_vccz .LBB177_2121
; %bb.2118:
	v_cmp_eq_u16_e32 vcc_lo, 15, v15
	s_mov_b32 s0, -1
	s_cbranch_vccz .LBB177_2120
; %bb.2119:
	v_bfe_u32 v3, v4, 16, 1
	v_cmp_o_f32_e32 vcc_lo, v4, v4
	s_mov_b32 s0, 0
	s_mov_b32 s3, -1
	s_delay_alu instid0(VALU_DEP_2) | instskip(NEXT) | instid1(VALU_DEP_1)
	v_add3_u32 v3, v4, v3, 0x7fff
	v_lshrrev_b32_e32 v3, 16, v3
	s_delay_alu instid0(VALU_DEP_1)
	v_cndmask_b32_e32 v3, 0x7fc0, v3, vcc_lo
	global_store_b16 v[13:14], v3, off
.LBB177_2120:
	s_mov_b32 s1, 0
.LBB177_2121:
	s_delay_alu instid0(SALU_CYCLE_1)
	s_and_b32 vcc_lo, exec_lo, s1
	s_mov_b32 s1, 0
	s_cbranch_vccz .LBB177_2123
; %bb.2122:
	v_cmp_ne_u16_e64 s0, 11, v15
	s_mov_b32 s1, -1
.LBB177_2123:
	s_delay_alu instid0(VALU_DEP_1)
	s_and_b32 vcc_lo, exec_lo, s0
	s_cbranch_vccnz .LBB177_2486
; %bb.2124:
	s_and_not1_b32 vcc_lo, exec_lo, s1
	s_cbranch_vccnz .LBB177_2126
.LBB177_2125:
	v_cmp_neq_f32_e32 vcc_lo, 0, v4
	v_cmp_neq_f32_e64 s0, 0, v5
	s_mov_b32 s3, -1
	s_delay_alu instid0(VALU_DEP_1) | instskip(NEXT) | instid1(SALU_CYCLE_1)
	s_or_b32 s0, vcc_lo, s0
	v_cndmask_b32_e64 v3, 0, 1, s0
	global_store_b8 v[13:14], v3, off
.LBB177_2126:
	s_mov_b32 s0, 0
.LBB177_2127:
	s_delay_alu instid0(SALU_CYCLE_1)
	s_and_b32 vcc_lo, exec_lo, s0
	s_cbranch_vccz .LBB177_2166
; %bb.2128:
	v_cmp_gt_i16_e32 vcc_lo, 5, v15
	s_mov_b32 s0, -1
	s_cbranch_vccnz .LBB177_2149
; %bb.2129:
	v_cmp_gt_i16_e32 vcc_lo, 8, v15
	s_cbranch_vccnz .LBB177_2139
; %bb.2130:
	v_cmp_gt_i16_e32 vcc_lo, 9, v15
	s_cbranch_vccnz .LBB177_2136
; %bb.2131:
	v_cmp_lt_i16_e32 vcc_lo, 9, v15
	s_cbranch_vccz .LBB177_2133
; %bb.2132:
	v_cvt_f64_f32_e32 v[16:17], v4
	v_cvt_f64_f32_e32 v[18:19], v5
	s_mov_b32 s0, 0
	global_store_b128 v[13:14], v[16:19], off
.LBB177_2133:
	s_and_not1_b32 vcc_lo, exec_lo, s0
	s_cbranch_vccnz .LBB177_2135
; %bb.2134:
	global_store_b64 v[13:14], v[4:5], off
.LBB177_2135:
	s_mov_b32 s0, 0
.LBB177_2136:
	s_delay_alu instid0(SALU_CYCLE_1)
	s_and_not1_b32 vcc_lo, exec_lo, s0
	s_cbranch_vccnz .LBB177_2138
; %bb.2137:
	v_cvt_f16_f32_e32 v3, v5
	v_cvt_f16_f32_e32 v5, v4
	s_delay_alu instid0(VALU_DEP_2) | instskip(NEXT) | instid1(VALU_DEP_2)
	v_lshlrev_b32_e32 v3, 16, v3
	v_and_b32_e32 v5, 0xffff, v5
	s_delay_alu instid0(VALU_DEP_1)
	v_or_b32_e32 v3, v3, v5
	global_store_b32 v[13:14], v3, off
.LBB177_2138:
	s_mov_b32 s0, 0
.LBB177_2139:
	s_delay_alu instid0(SALU_CYCLE_1)
	s_and_not1_b32 vcc_lo, exec_lo, s0
	s_cbranch_vccnz .LBB177_2148
; %bb.2140:
	v_cmp_gt_i16_e32 vcc_lo, 6, v15
	s_mov_b32 s0, -1
	s_cbranch_vccnz .LBB177_2146
; %bb.2141:
	v_cmp_lt_i16_e32 vcc_lo, 6, v15
	s_cbranch_vccz .LBB177_2143
; %bb.2142:
	v_cvt_f64_f32_e32 v[16:17], v4
	s_mov_b32 s0, 0
	global_store_b64 v[13:14], v[16:17], off
.LBB177_2143:
	s_and_not1_b32 vcc_lo, exec_lo, s0
	s_cbranch_vccnz .LBB177_2145
; %bb.2144:
	global_store_b32 v[13:14], v4, off
.LBB177_2145:
	s_mov_b32 s0, 0
.LBB177_2146:
	s_delay_alu instid0(SALU_CYCLE_1)
	s_and_not1_b32 vcc_lo, exec_lo, s0
	s_cbranch_vccnz .LBB177_2148
; %bb.2147:
	v_cvt_f16_f32_e32 v3, v4
	global_store_b16 v[13:14], v3, off
.LBB177_2148:
	s_mov_b32 s0, 0
.LBB177_2149:
	s_delay_alu instid0(SALU_CYCLE_1)
	s_and_not1_b32 vcc_lo, exec_lo, s0
	s_cbranch_vccnz .LBB177_2165
; %bb.2150:
	v_cmp_gt_i16_e32 vcc_lo, 2, v15
	s_mov_b32 s0, -1
	s_cbranch_vccnz .LBB177_2160
; %bb.2151:
	v_cmp_gt_i16_e32 vcc_lo, 3, v15
	s_cbranch_vccnz .LBB177_2157
; %bb.2152:
	v_cmp_lt_i16_e32 vcc_lo, 3, v15
	s_cbranch_vccz .LBB177_2154
; %bb.2153:
	v_trunc_f32_e32 v3, v4
	s_mov_b32 s0, 0
	s_delay_alu instid0(VALU_DEP_1) | instskip(NEXT) | instid1(VALU_DEP_1)
	v_mul_f32_e64 v5, 0x2f800000, |v3|
	v_floor_f32_e32 v5, v5
	s_delay_alu instid0(VALU_DEP_1) | instskip(SKIP_2) | instid1(VALU_DEP_3)
	v_fma_f32 v8, 0xcf800000, v5, |v3|
	v_ashrrev_i32_e32 v3, 31, v3
	v_cvt_u32_f32_e32 v5, v5
	v_cvt_u32_f32_e32 v8, v8
	s_delay_alu instid0(VALU_DEP_2) | instskip(NEXT) | instid1(VALU_DEP_2)
	v_xor_b32_e32 v5, v5, v3
	v_xor_b32_e32 v8, v8, v3
	s_delay_alu instid0(VALU_DEP_1) | instskip(NEXT) | instid1(VALU_DEP_3)
	v_sub_co_u32 v16, vcc_lo, v8, v3
	v_sub_co_ci_u32_e32 v17, vcc_lo, v5, v3, vcc_lo
	global_store_b64 v[13:14], v[16:17], off
.LBB177_2154:
	s_and_not1_b32 vcc_lo, exec_lo, s0
	s_cbranch_vccnz .LBB177_2156
; %bb.2155:
	v_cvt_i32_f32_e32 v3, v4
	global_store_b32 v[13:14], v3, off
.LBB177_2156:
	s_mov_b32 s0, 0
.LBB177_2157:
	s_delay_alu instid0(SALU_CYCLE_1)
	s_and_not1_b32 vcc_lo, exec_lo, s0
	s_cbranch_vccnz .LBB177_2159
; %bb.2158:
	v_cvt_i32_f32_e32 v3, v4
	global_store_b16 v[13:14], v3, off
.LBB177_2159:
	s_mov_b32 s0, 0
.LBB177_2160:
	s_delay_alu instid0(SALU_CYCLE_1)
	s_and_not1_b32 vcc_lo, exec_lo, s0
	s_cbranch_vccnz .LBB177_2165
; %bb.2161:
	v_cmp_lt_i16_e32 vcc_lo, 0, v15
	s_mov_b32 s0, -1
	s_cbranch_vccz .LBB177_2163
; %bb.2162:
	v_cvt_i32_f32_e32 v3, v4
	s_mov_b32 s0, 0
	global_store_b8 v[13:14], v3, off
.LBB177_2163:
	s_and_not1_b32 vcc_lo, exec_lo, s0
	s_cbranch_vccnz .LBB177_2165
; %bb.2164:
	v_trunc_f32_e32 v3, v4
	s_delay_alu instid0(VALU_DEP_1) | instskip(NEXT) | instid1(VALU_DEP_1)
	v_mul_f32_e64 v4, 0x2f800000, |v3|
	v_floor_f32_e32 v4, v4
	s_delay_alu instid0(VALU_DEP_1) | instskip(SKIP_1) | instid1(VALU_DEP_2)
	v_fma_f32 v4, 0xcf800000, v4, |v3|
	v_ashrrev_i32_e32 v3, 31, v3
	v_cvt_u32_f32_e32 v4, v4
	s_delay_alu instid0(VALU_DEP_1) | instskip(NEXT) | instid1(VALU_DEP_1)
	v_xor_b32_e32 v4, v4, v3
	v_sub_nc_u32_e32 v3, v4, v3
	global_store_b8 v[13:14], v3, off
.LBB177_2165:
	s_mov_b32 s3, -1
.LBB177_2166:
	s_delay_alu instid0(SALU_CYCLE_1)
	s_and_not1_b32 vcc_lo, exec_lo, s3
	s_cbranch_vccnz .LBB177_2479
; %bb.2167:
	v_cmp_gt_i16_e32 vcc_lo, 11, v15
	v_add_co_u32 v2, s0, s4, v2
	s_delay_alu instid0(VALU_DEP_1)
	v_add_co_ci_u32_e64 v3, null, s5, 0, s0
	s_mov_b32 s3, 0
	s_mov_b32 s0, -1
	s_cbranch_vccnz .LBB177_2245
; %bb.2168:
	v_cmp_lt_i16_e32 vcc_lo, 25, v15
	s_mov_b32 s6, -1
	s_mov_b32 s1, 0
	s_mov_b32 s0, 0
	s_cbranch_vccz .LBB177_2201
; %bb.2169:
	v_cmp_lt_i16_e32 vcc_lo, 28, v15
	s_cbranch_vccz .LBB177_2184
; %bb.2170:
	v_cmp_lt_i16_e32 vcc_lo, 43, v15
	;; [unrolled: 3-line block ×3, first 2 shown]
	s_cbranch_vccz .LBB177_2174
; %bb.2172:
	v_cmp_eq_u16_e32 vcc_lo, 46, v15
	s_mov_b32 s0, -1
	s_mov_b32 s6, 0
	s_cbranch_vccz .LBB177_2174
; %bb.2173:
	v_bfe_u32 v4, v7, 16, 1
	v_bfe_u32 v5, v6, 16, 1
	v_cmp_o_f32_e32 vcc_lo, v7, v7
	s_mov_b32 s0, 0
	s_mov_b32 s3, -1
	v_add3_u32 v4, v7, v4, 0x7fff
	v_add3_u32 v5, v6, v5, 0x7fff
	s_delay_alu instid0(VALU_DEP_2) | instskip(NEXT) | instid1(VALU_DEP_2)
	v_and_b32_e32 v4, 0xffff0000, v4
	v_lshrrev_b32_e32 v5, 16, v5
	s_delay_alu instid0(VALU_DEP_2) | instskip(SKIP_1) | instid1(VALU_DEP_3)
	v_cndmask_b32_e32 v4, 0x7fc00000, v4, vcc_lo
	v_cmp_o_f32_e32 vcc_lo, v6, v6
	v_cndmask_b32_e32 v5, 0x7fc0, v5, vcc_lo
	s_delay_alu instid0(VALU_DEP_1)
	v_or_b32_e32 v4, v4, v5
	global_store_b32 v[2:3], v4, off
.LBB177_2174:
	s_and_b32 vcc_lo, exec_lo, s6
	s_cbranch_vccz .LBB177_2179
; %bb.2175:
	v_cmp_eq_u16_e32 vcc_lo, 44, v15
	s_mov_b32 s0, -1
	s_cbranch_vccz .LBB177_2179
; %bb.2176:
	v_bfe_u32 v5, v6, 23, 8
	v_mov_b32_e32 v4, 0xff
	s_mov_b32 s3, exec_lo
	s_delay_alu instid0(VALU_DEP_2)
	v_cmpx_ne_u32_e32 0xff, v5
; %bb.2177:
	v_and_b32_e32 v4, 0x400000, v6
	v_and_or_b32 v5, 0x3fffff, v6, v5
	s_delay_alu instid0(VALU_DEP_2) | instskip(NEXT) | instid1(VALU_DEP_2)
	v_cmp_ne_u32_e32 vcc_lo, 0, v4
	v_cmp_ne_u32_e64 s0, 0, v5
	v_lshrrev_b32_e32 v4, 23, v6
	s_delay_alu instid0(VALU_DEP_2) | instskip(NEXT) | instid1(SALU_CYCLE_1)
	s_and_b32 s0, vcc_lo, s0
	v_cndmask_b32_e64 v5, 0, 1, s0
	s_delay_alu instid0(VALU_DEP_1)
	v_add_nc_u32_e32 v4, v4, v5
; %bb.2178:
	s_or_b32 exec_lo, exec_lo, s3
	s_mov_b32 s0, 0
	s_mov_b32 s3, -1
	global_store_b8 v[2:3], v4, off
.LBB177_2179:
	s_mov_b32 s6, 0
.LBB177_2180:
	s_delay_alu instid0(SALU_CYCLE_1)
	s_and_b32 vcc_lo, exec_lo, s6
	s_cbranch_vccz .LBB177_2183
; %bb.2181:
	v_cmp_eq_u16_e32 vcc_lo, 29, v15
	s_mov_b32 s0, -1
	s_cbranch_vccz .LBB177_2183
; %bb.2182:
	v_trunc_f32_e32 v4, v6
	s_mov_b32 s0, 0
	s_mov_b32 s3, -1
	s_delay_alu instid0(VALU_DEP_1) | instskip(NEXT) | instid1(VALU_DEP_1)
	v_mul_f32_e32 v5, 0x2f800000, v4
	v_floor_f32_e32 v5, v5
	s_delay_alu instid0(VALU_DEP_1) | instskip(SKIP_1) | instid1(VALU_DEP_2)
	v_fmamk_f32 v4, v5, 0xcf800000, v4
	v_cvt_u32_f32_e32 v5, v5
	v_cvt_u32_f32_e32 v4, v4
	global_store_b64 v[2:3], v[4:5], off
.LBB177_2183:
	s_mov_b32 s6, 0
.LBB177_2184:
	s_delay_alu instid0(SALU_CYCLE_1)
	s_and_b32 vcc_lo, exec_lo, s6
	s_cbranch_vccz .LBB177_2200
; %bb.2185:
	v_cmp_gt_i16_e32 vcc_lo, 27, v15
	s_mov_b32 s3, -1
	s_cbranch_vccnz .LBB177_2191
; %bb.2186:
	v_cmp_lt_i16_e32 vcc_lo, 27, v15
	v_cvt_u32_f32_e32 v4, v6
	s_cbranch_vccz .LBB177_2188
; %bb.2187:
	s_mov_b32 s3, 0
	global_store_b32 v[2:3], v4, off
.LBB177_2188:
	s_and_not1_b32 vcc_lo, exec_lo, s3
	s_cbranch_vccnz .LBB177_2190
; %bb.2189:
	global_store_b16 v[2:3], v4, off
.LBB177_2190:
	s_mov_b32 s3, 0
.LBB177_2191:
	s_delay_alu instid0(SALU_CYCLE_1)
	s_and_not1_b32 vcc_lo, exec_lo, s3
	s_cbranch_vccnz .LBB177_2199
; %bb.2192:
	v_and_b32_e32 v4, 0x7fffffff, v6
	v_mov_b32_e32 v5, 0x80
	s_mov_b32 s3, exec_lo
	s_delay_alu instid0(VALU_DEP_2)
	v_cmpx_gt_u32_e32 0x43800000, v4
	s_cbranch_execz .LBB177_2198
; %bb.2193:
	v_cmp_lt_u32_e32 vcc_lo, 0x3bffffff, v4
	s_mov_b32 s6, 0
                                        ; implicit-def: $vgpr4
	s_and_saveexec_b32 s7, vcc_lo
	s_delay_alu instid0(SALU_CYCLE_1)
	s_xor_b32 s7, exec_lo, s7
	s_cbranch_execz .LBB177_2490
; %bb.2194:
	v_bfe_u32 v4, v6, 20, 1
	s_mov_b32 s6, exec_lo
	s_delay_alu instid0(VALU_DEP_1) | instskip(NEXT) | instid1(VALU_DEP_1)
	v_add3_u32 v4, v6, v4, 0x487ffff
	v_lshrrev_b32_e32 v4, 20, v4
	s_or_saveexec_b32 s7, s7
                                        ; implicit-def: $sgpr10
	s_delay_alu instid0(SALU_CYCLE_1)
	s_xor_b32 exec_lo, exec_lo, s7
	s_cbranch_execnz .LBB177_2491
.LBB177_2195:
	s_or_b32 exec_lo, exec_lo, s7
	v_mov_b32_e32 v5, s10
	s_and_saveexec_b32 s7, s6
.LBB177_2196:
	v_lshrrev_b32_e32 v5, 24, v6
	s_delay_alu instid0(VALU_DEP_1)
	v_and_or_b32 v5, 0x80, v5, v4
.LBB177_2197:
	s_or_b32 exec_lo, exec_lo, s7
.LBB177_2198:
	s_delay_alu instid0(SALU_CYCLE_1)
	s_or_b32 exec_lo, exec_lo, s3
	global_store_b8 v[2:3], v5, off
.LBB177_2199:
	s_mov_b32 s3, -1
.LBB177_2200:
	s_mov_b32 s6, 0
.LBB177_2201:
	s_delay_alu instid0(SALU_CYCLE_1)
	s_and_b32 vcc_lo, exec_lo, s6
	s_cbranch_vccz .LBB177_2241
; %bb.2202:
	v_cmp_lt_i16_e32 vcc_lo, 22, v15
	s_mov_b32 s1, -1
	s_cbranch_vccz .LBB177_2234
; %bb.2203:
	v_cmp_gt_i16_e32 vcc_lo, 24, v15
	s_cbranch_vccnz .LBB177_2223
; %bb.2204:
	v_cmp_lt_i16_e32 vcc_lo, 24, v15
	s_cbranch_vccz .LBB177_2212
; %bb.2205:
	v_and_b32_e32 v4, 0x7fffffff, v6
	v_mov_b32_e32 v5, 0x80
	s_mov_b32 s1, exec_lo
	s_delay_alu instid0(VALU_DEP_2)
	v_cmpx_gt_u32_e32 0x47800000, v4
	s_cbranch_execz .LBB177_2211
; %bb.2206:
	v_cmp_lt_u32_e32 vcc_lo, 0x37ffffff, v4
	s_mov_b32 s3, 0
                                        ; implicit-def: $vgpr4
	s_and_saveexec_b32 s6, vcc_lo
	s_delay_alu instid0(SALU_CYCLE_1)
	s_xor_b32 s6, exec_lo, s6
	s_cbranch_execz .LBB177_2496
; %bb.2207:
	v_bfe_u32 v4, v6, 21, 1
	s_mov_b32 s3, exec_lo
	s_delay_alu instid0(VALU_DEP_1) | instskip(NEXT) | instid1(VALU_DEP_1)
	v_add3_u32 v4, v6, v4, 0x88fffff
	v_lshrrev_b32_e32 v4, 21, v4
	s_or_saveexec_b32 s6, s6
                                        ; implicit-def: $sgpr7
	s_delay_alu instid0(SALU_CYCLE_1)
	s_xor_b32 exec_lo, exec_lo, s6
	s_cbranch_execnz .LBB177_2497
.LBB177_2208:
	s_or_b32 exec_lo, exec_lo, s6
	v_mov_b32_e32 v5, s7
	s_and_saveexec_b32 s6, s3
.LBB177_2209:
	v_lshrrev_b32_e32 v5, 24, v6
	s_delay_alu instid0(VALU_DEP_1)
	v_and_or_b32 v5, 0x80, v5, v4
.LBB177_2210:
	s_or_b32 exec_lo, exec_lo, s6
.LBB177_2211:
	s_delay_alu instid0(SALU_CYCLE_1)
	s_or_b32 exec_lo, exec_lo, s1
	s_mov_b32 s1, 0
	global_store_b8 v[2:3], v5, off
.LBB177_2212:
	s_and_b32 vcc_lo, exec_lo, s1
	s_cbranch_vccz .LBB177_2222
; %bb.2213:
	v_and_b32_e32 v5, 0x7fffffff, v6
	s_mov_b32 s1, exec_lo
                                        ; implicit-def: $vgpr4
	s_delay_alu instid0(VALU_DEP_1)
	v_cmpx_gt_u32_e32 0x43f00000, v5
	s_xor_b32 s1, exec_lo, s1
	s_cbranch_execz .LBB177_2219
; %bb.2214:
	s_mov_b32 s3, exec_lo
                                        ; implicit-def: $vgpr4
	v_cmpx_lt_u32_e32 0x3c7fffff, v5
	s_xor_b32 s3, exec_lo, s3
; %bb.2215:
	v_bfe_u32 v4, v6, 20, 1
	s_delay_alu instid0(VALU_DEP_1) | instskip(NEXT) | instid1(VALU_DEP_1)
	v_add3_u32 v4, v6, v4, 0x407ffff
	v_and_b32_e32 v5, 0xff00000, v4
	v_lshrrev_b32_e32 v4, 20, v4
	s_delay_alu instid0(VALU_DEP_2) | instskip(NEXT) | instid1(VALU_DEP_2)
	v_cmp_ne_u32_e32 vcc_lo, 0x7f00000, v5
	v_cndmask_b32_e32 v4, 0x7e, v4, vcc_lo
; %bb.2216:
	s_and_not1_saveexec_b32 s3, s3
; %bb.2217:
	v_add_f32_e64 v4, 0x46800000, |v6|
; %bb.2218:
	s_or_b32 exec_lo, exec_lo, s3
                                        ; implicit-def: $vgpr5
.LBB177_2219:
	s_and_not1_saveexec_b32 s1, s1
; %bb.2220:
	v_mov_b32_e32 v4, 0x7f
	v_cmp_lt_u32_e32 vcc_lo, 0x7f800000, v5
	s_delay_alu instid0(VALU_DEP_2)
	v_cndmask_b32_e32 v4, 0x7e, v4, vcc_lo
; %bb.2221:
	s_or_b32 exec_lo, exec_lo, s1
	v_lshrrev_b32_e32 v5, 24, v6
	s_delay_alu instid0(VALU_DEP_1)
	v_and_or_b32 v4, 0x80, v5, v4
	global_store_b8 v[2:3], v4, off
.LBB177_2222:
	s_mov_b32 s1, 0
.LBB177_2223:
	s_delay_alu instid0(SALU_CYCLE_1)
	s_and_not1_b32 vcc_lo, exec_lo, s1
	s_cbranch_vccnz .LBB177_2233
; %bb.2224:
	v_and_b32_e32 v5, 0x7fffffff, v6
	s_mov_b32 s1, exec_lo
                                        ; implicit-def: $vgpr4
	s_delay_alu instid0(VALU_DEP_1)
	v_cmpx_gt_u32_e32 0x47800000, v5
	s_xor_b32 s1, exec_lo, s1
	s_cbranch_execz .LBB177_2230
; %bb.2225:
	s_mov_b32 s3, exec_lo
                                        ; implicit-def: $vgpr4
	v_cmpx_lt_u32_e32 0x387fffff, v5
	s_xor_b32 s3, exec_lo, s3
; %bb.2226:
	v_bfe_u32 v4, v6, 21, 1
	s_delay_alu instid0(VALU_DEP_1) | instskip(NEXT) | instid1(VALU_DEP_1)
	v_add3_u32 v4, v6, v4, 0x80fffff
	v_lshrrev_b32_e32 v4, 21, v4
; %bb.2227:
	s_and_not1_saveexec_b32 s3, s3
; %bb.2228:
	v_add_f32_e64 v4, 0x43000000, |v6|
; %bb.2229:
	s_or_b32 exec_lo, exec_lo, s3
                                        ; implicit-def: $vgpr5
.LBB177_2230:
	s_and_not1_saveexec_b32 s1, s1
; %bb.2231:
	v_mov_b32_e32 v4, 0x7f
	v_cmp_lt_u32_e32 vcc_lo, 0x7f800000, v5
	s_delay_alu instid0(VALU_DEP_2)
	v_cndmask_b32_e32 v4, 0x7c, v4, vcc_lo
; %bb.2232:
	s_or_b32 exec_lo, exec_lo, s1
	v_lshrrev_b32_e32 v5, 24, v6
	s_delay_alu instid0(VALU_DEP_1)
	v_and_or_b32 v4, 0x80, v5, v4
	global_store_b8 v[2:3], v4, off
.LBB177_2233:
	s_mov_b32 s1, 0
	s_mov_b32 s3, -1
.LBB177_2234:
	s_and_not1_b32 vcc_lo, exec_lo, s1
	s_mov_b32 s1, 0
	s_cbranch_vccnz .LBB177_2241
; %bb.2235:
	v_cmp_lt_i16_e32 vcc_lo, 14, v15
	s_mov_b32 s1, -1
	s_cbranch_vccz .LBB177_2239
; %bb.2236:
	v_cmp_eq_u16_e32 vcc_lo, 15, v15
	s_mov_b32 s0, -1
	s_cbranch_vccz .LBB177_2238
; %bb.2237:
	v_bfe_u32 v4, v6, 16, 1
	v_cmp_o_f32_e32 vcc_lo, v6, v6
	s_mov_b32 s0, 0
	s_mov_b32 s3, -1
	s_delay_alu instid0(VALU_DEP_2) | instskip(NEXT) | instid1(VALU_DEP_1)
	v_add3_u32 v4, v6, v4, 0x7fff
	v_lshrrev_b32_e32 v4, 16, v4
	s_delay_alu instid0(VALU_DEP_1)
	v_cndmask_b32_e32 v4, 0x7fc0, v4, vcc_lo
	global_store_b16 v[2:3], v4, off
.LBB177_2238:
	s_mov_b32 s1, 0
.LBB177_2239:
	s_delay_alu instid0(SALU_CYCLE_1)
	s_and_b32 vcc_lo, exec_lo, s1
	s_mov_b32 s1, 0
	s_cbranch_vccz .LBB177_2241
; %bb.2240:
	v_cmp_ne_u16_e64 s0, 11, v15
	s_mov_b32 s1, -1
.LBB177_2241:
	s_delay_alu instid0(VALU_DEP_1)
	s_and_b32 vcc_lo, exec_lo, s0
	s_cbranch_vccnz .LBB177_2494
; %bb.2242:
	s_and_not1_b32 vcc_lo, exec_lo, s1
	s_cbranch_vccnz .LBB177_2244
.LBB177_2243:
	v_cmp_neq_f32_e32 vcc_lo, 0, v6
	v_cmp_neq_f32_e64 s0, 0, v7
	s_mov_b32 s3, -1
	s_delay_alu instid0(VALU_DEP_1) | instskip(NEXT) | instid1(SALU_CYCLE_1)
	s_or_b32 s0, vcc_lo, s0
	v_cndmask_b32_e64 v4, 0, 1, s0
	global_store_b8 v[2:3], v4, off
.LBB177_2244:
	s_mov_b32 s0, 0
.LBB177_2245:
	s_delay_alu instid0(SALU_CYCLE_1)
	s_and_b32 vcc_lo, exec_lo, s0
	s_cbranch_vccz .LBB177_2284
; %bb.2246:
	v_cmp_gt_i16_e32 vcc_lo, 5, v15
	s_mov_b32 s0, -1
	s_cbranch_vccnz .LBB177_2267
; %bb.2247:
	v_cmp_gt_i16_e32 vcc_lo, 8, v15
	s_cbranch_vccnz .LBB177_2257
; %bb.2248:
	v_cmp_gt_i16_e32 vcc_lo, 9, v15
	s_cbranch_vccnz .LBB177_2254
; %bb.2249:
	v_cmp_lt_i16_e32 vcc_lo, 9, v15
	s_cbranch_vccz .LBB177_2251
; %bb.2250:
	v_cvt_f64_f32_e32 v[16:17], v6
	v_cvt_f64_f32_e32 v[18:19], v7
	s_mov_b32 s0, 0
	global_store_b128 v[2:3], v[16:19], off
.LBB177_2251:
	s_and_not1_b32 vcc_lo, exec_lo, s0
	s_cbranch_vccnz .LBB177_2253
; %bb.2252:
	global_store_b64 v[2:3], v[6:7], off
.LBB177_2253:
	s_mov_b32 s0, 0
.LBB177_2254:
	s_delay_alu instid0(SALU_CYCLE_1)
	s_and_not1_b32 vcc_lo, exec_lo, s0
	s_cbranch_vccnz .LBB177_2256
; %bb.2255:
	v_cvt_f16_f32_e32 v4, v7
	v_cvt_f16_f32_e32 v5, v6
	s_delay_alu instid0(VALU_DEP_2) | instskip(NEXT) | instid1(VALU_DEP_2)
	v_lshlrev_b32_e32 v4, 16, v4
	v_and_b32_e32 v5, 0xffff, v5
	s_delay_alu instid0(VALU_DEP_1)
	v_or_b32_e32 v4, v4, v5
	global_store_b32 v[2:3], v4, off
.LBB177_2256:
	s_mov_b32 s0, 0
.LBB177_2257:
	s_delay_alu instid0(SALU_CYCLE_1)
	s_and_not1_b32 vcc_lo, exec_lo, s0
	s_cbranch_vccnz .LBB177_2266
; %bb.2258:
	v_cmp_gt_i16_e32 vcc_lo, 6, v15
	s_mov_b32 s0, -1
	s_cbranch_vccnz .LBB177_2264
; %bb.2259:
	v_cmp_lt_i16_e32 vcc_lo, 6, v15
	s_cbranch_vccz .LBB177_2261
; %bb.2260:
	v_cvt_f64_f32_e32 v[4:5], v6
	s_mov_b32 s0, 0
	global_store_b64 v[2:3], v[4:5], off
.LBB177_2261:
	s_and_not1_b32 vcc_lo, exec_lo, s0
	s_cbranch_vccnz .LBB177_2263
; %bb.2262:
	global_store_b32 v[2:3], v6, off
.LBB177_2263:
	s_mov_b32 s0, 0
.LBB177_2264:
	s_delay_alu instid0(SALU_CYCLE_1)
	s_and_not1_b32 vcc_lo, exec_lo, s0
	s_cbranch_vccnz .LBB177_2266
; %bb.2265:
	v_cvt_f16_f32_e32 v4, v6
	global_store_b16 v[2:3], v4, off
.LBB177_2266:
	s_mov_b32 s0, 0
.LBB177_2267:
	s_delay_alu instid0(SALU_CYCLE_1)
	s_and_not1_b32 vcc_lo, exec_lo, s0
	s_cbranch_vccnz .LBB177_2283
; %bb.2268:
	v_cmp_gt_i16_e32 vcc_lo, 2, v15
	s_mov_b32 s0, -1
	s_cbranch_vccnz .LBB177_2278
; %bb.2269:
	v_cmp_gt_i16_e32 vcc_lo, 3, v15
	s_cbranch_vccnz .LBB177_2275
; %bb.2270:
	v_cmp_lt_i16_e32 vcc_lo, 3, v15
	s_cbranch_vccz .LBB177_2272
; %bb.2271:
	v_trunc_f32_e32 v4, v6
	s_mov_b32 s0, 0
	s_delay_alu instid0(VALU_DEP_1) | instskip(SKIP_1) | instid1(VALU_DEP_2)
	v_mul_f32_e64 v5, 0x2f800000, |v4|
	v_ashrrev_i32_e32 v8, 31, v4
	v_floor_f32_e32 v5, v5
	s_delay_alu instid0(VALU_DEP_1) | instskip(SKIP_1) | instid1(VALU_DEP_2)
	v_fma_f32 v7, 0xcf800000, v5, |v4|
	v_cvt_u32_f32_e32 v5, v5
	v_cvt_u32_f32_e32 v4, v7
	s_delay_alu instid0(VALU_DEP_2) | instskip(NEXT) | instid1(VALU_DEP_2)
	v_xor_b32_e32 v5, v5, v8
	v_xor_b32_e32 v4, v4, v8
	s_delay_alu instid0(VALU_DEP_1) | instskip(NEXT) | instid1(VALU_DEP_3)
	v_sub_co_u32 v4, vcc_lo, v4, v8
	v_sub_co_ci_u32_e32 v5, vcc_lo, v5, v8, vcc_lo
	global_store_b64 v[2:3], v[4:5], off
.LBB177_2272:
	s_and_not1_b32 vcc_lo, exec_lo, s0
	s_cbranch_vccnz .LBB177_2274
; %bb.2273:
	v_cvt_i32_f32_e32 v4, v6
	global_store_b32 v[2:3], v4, off
.LBB177_2274:
	s_mov_b32 s0, 0
.LBB177_2275:
	s_delay_alu instid0(SALU_CYCLE_1)
	s_and_not1_b32 vcc_lo, exec_lo, s0
	s_cbranch_vccnz .LBB177_2277
; %bb.2276:
	v_cvt_i32_f32_e32 v4, v6
	global_store_b16 v[2:3], v4, off
.LBB177_2277:
	s_mov_b32 s0, 0
.LBB177_2278:
	s_delay_alu instid0(SALU_CYCLE_1)
	s_and_not1_b32 vcc_lo, exec_lo, s0
	s_cbranch_vccnz .LBB177_2283
; %bb.2279:
	v_cmp_lt_i16_e32 vcc_lo, 0, v15
	s_mov_b32 s0, -1
	s_cbranch_vccz .LBB177_2281
; %bb.2280:
	v_cvt_i32_f32_e32 v4, v6
	s_mov_b32 s0, 0
	global_store_b8 v[2:3], v4, off
.LBB177_2281:
	s_and_not1_b32 vcc_lo, exec_lo, s0
	s_cbranch_vccnz .LBB177_2283
; %bb.2282:
	v_trunc_f32_e32 v4, v6
	s_delay_alu instid0(VALU_DEP_1) | instskip(NEXT) | instid1(VALU_DEP_1)
	v_mul_f32_e64 v5, 0x2f800000, |v4|
	v_floor_f32_e32 v5, v5
	s_delay_alu instid0(VALU_DEP_1) | instskip(SKIP_1) | instid1(VALU_DEP_2)
	v_fma_f32 v5, 0xcf800000, v5, |v4|
	v_ashrrev_i32_e32 v4, 31, v4
	v_cvt_u32_f32_e32 v5, v5
	s_delay_alu instid0(VALU_DEP_1) | instskip(NEXT) | instid1(VALU_DEP_1)
	v_xor_b32_e32 v5, v5, v4
	v_sub_nc_u32_e32 v4, v5, v4
	global_store_b8 v[2:3], v4, off
.LBB177_2283:
	s_mov_b32 s3, -1
.LBB177_2284:
	s_delay_alu instid0(SALU_CYCLE_1)
	s_and_not1_b32 vcc_lo, exec_lo, s3
	s_cbranch_vccnz .LBB177_2479
; %bb.2285:
	v_cmp_gt_i16_e32 vcc_lo, 11, v15
	v_add_co_u32 v1, s0, s4, v1
	s_delay_alu instid0(VALU_DEP_1)
	v_add_co_ci_u32_e64 v2, null, s5, 0, s0
	s_mov_b32 s3, 0
	s_mov_b32 s0, -1
	s_cbranch_vccnz .LBB177_2363
; %bb.2286:
	v_cmp_lt_i16_e32 vcc_lo, 25, v15
	s_mov_b32 s6, -1
	s_mov_b32 s1, 0
	s_mov_b32 s0, 0
	s_cbranch_vccz .LBB177_2319
; %bb.2287:
	v_cmp_lt_i16_e32 vcc_lo, 28, v15
	s_cbranch_vccz .LBB177_2302
; %bb.2288:
	v_cmp_lt_i16_e32 vcc_lo, 43, v15
	;; [unrolled: 3-line block ×3, first 2 shown]
	s_cbranch_vccz .LBB177_2292
; %bb.2290:
	v_cmp_eq_u16_e32 vcc_lo, 46, v15
	s_mov_b32 s0, -1
	s_mov_b32 s6, 0
	s_cbranch_vccz .LBB177_2292
; %bb.2291:
	v_bfe_u32 v3, v10, 16, 1
	v_bfe_u32 v4, v9, 16, 1
	v_cmp_o_f32_e32 vcc_lo, v10, v10
	s_mov_b32 s0, 0
	s_mov_b32 s3, -1
	v_add3_u32 v3, v10, v3, 0x7fff
	v_add3_u32 v4, v9, v4, 0x7fff
	s_delay_alu instid0(VALU_DEP_2) | instskip(NEXT) | instid1(VALU_DEP_2)
	v_and_b32_e32 v3, 0xffff0000, v3
	v_lshrrev_b32_e32 v4, 16, v4
	s_delay_alu instid0(VALU_DEP_2) | instskip(SKIP_1) | instid1(VALU_DEP_3)
	v_cndmask_b32_e32 v3, 0x7fc00000, v3, vcc_lo
	v_cmp_o_f32_e32 vcc_lo, v9, v9
	v_cndmask_b32_e32 v4, 0x7fc0, v4, vcc_lo
	s_delay_alu instid0(VALU_DEP_1)
	v_or_b32_e32 v3, v3, v4
	global_store_b32 v[1:2], v3, off
.LBB177_2292:
	s_and_b32 vcc_lo, exec_lo, s6
	s_cbranch_vccz .LBB177_2297
; %bb.2293:
	v_cmp_eq_u16_e32 vcc_lo, 44, v15
	s_mov_b32 s0, -1
	s_cbranch_vccz .LBB177_2297
; %bb.2294:
	v_bfe_u32 v4, v9, 23, 8
	v_mov_b32_e32 v3, 0xff
	s_mov_b32 s3, exec_lo
	s_delay_alu instid0(VALU_DEP_2)
	v_cmpx_ne_u32_e32 0xff, v4
; %bb.2295:
	v_and_b32_e32 v3, 0x400000, v9
	v_and_or_b32 v4, 0x3fffff, v9, v4
	s_delay_alu instid0(VALU_DEP_2) | instskip(NEXT) | instid1(VALU_DEP_2)
	v_cmp_ne_u32_e32 vcc_lo, 0, v3
	v_cmp_ne_u32_e64 s0, 0, v4
	v_lshrrev_b32_e32 v3, 23, v9
	s_delay_alu instid0(VALU_DEP_2) | instskip(NEXT) | instid1(SALU_CYCLE_1)
	s_and_b32 s0, vcc_lo, s0
	v_cndmask_b32_e64 v4, 0, 1, s0
	s_delay_alu instid0(VALU_DEP_1)
	v_add_nc_u32_e32 v3, v3, v4
; %bb.2296:
	s_or_b32 exec_lo, exec_lo, s3
	s_mov_b32 s0, 0
	s_mov_b32 s3, -1
	global_store_b8 v[1:2], v3, off
.LBB177_2297:
	s_mov_b32 s6, 0
.LBB177_2298:
	s_delay_alu instid0(SALU_CYCLE_1)
	s_and_b32 vcc_lo, exec_lo, s6
	s_cbranch_vccz .LBB177_2301
; %bb.2299:
	v_cmp_eq_u16_e32 vcc_lo, 29, v15
	s_mov_b32 s0, -1
	s_cbranch_vccz .LBB177_2301
; %bb.2300:
	v_trunc_f32_e32 v3, v9
	s_mov_b32 s0, 0
	s_mov_b32 s3, -1
	s_delay_alu instid0(VALU_DEP_1) | instskip(NEXT) | instid1(VALU_DEP_1)
	v_mul_f32_e32 v4, 0x2f800000, v3
	v_floor_f32_e32 v4, v4
	s_delay_alu instid0(VALU_DEP_1) | instskip(SKIP_1) | instid1(VALU_DEP_2)
	v_fmamk_f32 v3, v4, 0xcf800000, v3
	v_cvt_u32_f32_e32 v4, v4
	v_cvt_u32_f32_e32 v3, v3
	global_store_b64 v[1:2], v[3:4], off
.LBB177_2301:
	s_mov_b32 s6, 0
.LBB177_2302:
	s_delay_alu instid0(SALU_CYCLE_1)
	s_and_b32 vcc_lo, exec_lo, s6
	s_cbranch_vccz .LBB177_2318
; %bb.2303:
	v_cmp_gt_i16_e32 vcc_lo, 27, v15
	s_mov_b32 s3, -1
	s_cbranch_vccnz .LBB177_2309
; %bb.2304:
	v_cmp_lt_i16_e32 vcc_lo, 27, v15
	v_cvt_u32_f32_e32 v3, v9
	s_cbranch_vccz .LBB177_2306
; %bb.2305:
	s_mov_b32 s3, 0
	global_store_b32 v[1:2], v3, off
.LBB177_2306:
	s_and_not1_b32 vcc_lo, exec_lo, s3
	s_cbranch_vccnz .LBB177_2308
; %bb.2307:
	global_store_b16 v[1:2], v3, off
.LBB177_2308:
	s_mov_b32 s3, 0
.LBB177_2309:
	s_delay_alu instid0(SALU_CYCLE_1)
	s_and_not1_b32 vcc_lo, exec_lo, s3
	s_cbranch_vccnz .LBB177_2317
; %bb.2310:
	v_and_b32_e32 v3, 0x7fffffff, v9
	v_mov_b32_e32 v4, 0x80
	s_mov_b32 s3, exec_lo
	s_delay_alu instid0(VALU_DEP_2)
	v_cmpx_gt_u32_e32 0x43800000, v3
	s_cbranch_execz .LBB177_2316
; %bb.2311:
	v_cmp_lt_u32_e32 vcc_lo, 0x3bffffff, v3
	s_mov_b32 s6, 0
                                        ; implicit-def: $vgpr3
	s_and_saveexec_b32 s7, vcc_lo
	s_delay_alu instid0(SALU_CYCLE_1)
	s_xor_b32 s7, exec_lo, s7
	s_cbranch_execz .LBB177_2498
; %bb.2312:
	v_bfe_u32 v3, v9, 20, 1
	s_mov_b32 s6, exec_lo
	s_delay_alu instid0(VALU_DEP_1) | instskip(NEXT) | instid1(VALU_DEP_1)
	v_add3_u32 v3, v9, v3, 0x487ffff
	v_lshrrev_b32_e32 v3, 20, v3
	s_or_saveexec_b32 s7, s7
                                        ; implicit-def: $sgpr10
	s_delay_alu instid0(SALU_CYCLE_1)
	s_xor_b32 exec_lo, exec_lo, s7
	s_cbranch_execnz .LBB177_2499
.LBB177_2313:
	s_or_b32 exec_lo, exec_lo, s7
	v_mov_b32_e32 v4, s10
	s_and_saveexec_b32 s7, s6
.LBB177_2314:
	v_lshrrev_b32_e32 v4, 24, v9
	s_delay_alu instid0(VALU_DEP_1)
	v_and_or_b32 v4, 0x80, v4, v3
.LBB177_2315:
	s_or_b32 exec_lo, exec_lo, s7
.LBB177_2316:
	s_delay_alu instid0(SALU_CYCLE_1)
	s_or_b32 exec_lo, exec_lo, s3
	global_store_b8 v[1:2], v4, off
.LBB177_2317:
	s_mov_b32 s3, -1
.LBB177_2318:
	s_mov_b32 s6, 0
.LBB177_2319:
	s_delay_alu instid0(SALU_CYCLE_1)
	s_and_b32 vcc_lo, exec_lo, s6
	s_cbranch_vccz .LBB177_2359
; %bb.2320:
	v_cmp_lt_i16_e32 vcc_lo, 22, v15
	s_mov_b32 s1, -1
	s_cbranch_vccz .LBB177_2352
; %bb.2321:
	v_cmp_gt_i16_e32 vcc_lo, 24, v15
	s_cbranch_vccnz .LBB177_2341
; %bb.2322:
	v_cmp_lt_i16_e32 vcc_lo, 24, v15
	s_cbranch_vccz .LBB177_2330
; %bb.2323:
	v_and_b32_e32 v3, 0x7fffffff, v9
	v_mov_b32_e32 v4, 0x80
	s_mov_b32 s1, exec_lo
	s_delay_alu instid0(VALU_DEP_2)
	v_cmpx_gt_u32_e32 0x47800000, v3
	s_cbranch_execz .LBB177_2329
; %bb.2324:
	v_cmp_lt_u32_e32 vcc_lo, 0x37ffffff, v3
	s_mov_b32 s3, 0
                                        ; implicit-def: $vgpr3
	s_and_saveexec_b32 s6, vcc_lo
	s_delay_alu instid0(SALU_CYCLE_1)
	s_xor_b32 s6, exec_lo, s6
	s_cbranch_execz .LBB177_2504
; %bb.2325:
	v_bfe_u32 v3, v9, 21, 1
	s_mov_b32 s3, exec_lo
	s_delay_alu instid0(VALU_DEP_1) | instskip(NEXT) | instid1(VALU_DEP_1)
	v_add3_u32 v3, v9, v3, 0x88fffff
	v_lshrrev_b32_e32 v3, 21, v3
	s_or_saveexec_b32 s6, s6
                                        ; implicit-def: $sgpr7
	s_delay_alu instid0(SALU_CYCLE_1)
	s_xor_b32 exec_lo, exec_lo, s6
	s_cbranch_execnz .LBB177_2505
.LBB177_2326:
	s_or_b32 exec_lo, exec_lo, s6
	v_mov_b32_e32 v4, s7
	s_and_saveexec_b32 s6, s3
.LBB177_2327:
	v_lshrrev_b32_e32 v4, 24, v9
	s_delay_alu instid0(VALU_DEP_1)
	v_and_or_b32 v4, 0x80, v4, v3
.LBB177_2328:
	s_or_b32 exec_lo, exec_lo, s6
.LBB177_2329:
	s_delay_alu instid0(SALU_CYCLE_1)
	s_or_b32 exec_lo, exec_lo, s1
	s_mov_b32 s1, 0
	global_store_b8 v[1:2], v4, off
.LBB177_2330:
	s_and_b32 vcc_lo, exec_lo, s1
	s_cbranch_vccz .LBB177_2340
; %bb.2331:
	v_and_b32_e32 v4, 0x7fffffff, v9
	s_mov_b32 s1, exec_lo
                                        ; implicit-def: $vgpr3
	s_delay_alu instid0(VALU_DEP_1)
	v_cmpx_gt_u32_e32 0x43f00000, v4
	s_xor_b32 s1, exec_lo, s1
	s_cbranch_execz .LBB177_2337
; %bb.2332:
	s_mov_b32 s3, exec_lo
                                        ; implicit-def: $vgpr3
	v_cmpx_lt_u32_e32 0x3c7fffff, v4
	s_xor_b32 s3, exec_lo, s3
; %bb.2333:
	v_bfe_u32 v3, v9, 20, 1
	s_delay_alu instid0(VALU_DEP_1) | instskip(NEXT) | instid1(VALU_DEP_1)
	v_add3_u32 v3, v9, v3, 0x407ffff
	v_and_b32_e32 v4, 0xff00000, v3
	v_lshrrev_b32_e32 v3, 20, v3
	s_delay_alu instid0(VALU_DEP_2) | instskip(NEXT) | instid1(VALU_DEP_2)
	v_cmp_ne_u32_e32 vcc_lo, 0x7f00000, v4
	v_cndmask_b32_e32 v3, 0x7e, v3, vcc_lo
; %bb.2334:
	s_and_not1_saveexec_b32 s3, s3
; %bb.2335:
	v_add_f32_e64 v3, 0x46800000, |v9|
; %bb.2336:
	s_or_b32 exec_lo, exec_lo, s3
                                        ; implicit-def: $vgpr4
.LBB177_2337:
	s_and_not1_saveexec_b32 s1, s1
; %bb.2338:
	v_mov_b32_e32 v3, 0x7f
	v_cmp_lt_u32_e32 vcc_lo, 0x7f800000, v4
	s_delay_alu instid0(VALU_DEP_2)
	v_cndmask_b32_e32 v3, 0x7e, v3, vcc_lo
; %bb.2339:
	s_or_b32 exec_lo, exec_lo, s1
	v_lshrrev_b32_e32 v4, 24, v9
	s_delay_alu instid0(VALU_DEP_1)
	v_and_or_b32 v3, 0x80, v4, v3
	global_store_b8 v[1:2], v3, off
.LBB177_2340:
	s_mov_b32 s1, 0
.LBB177_2341:
	s_delay_alu instid0(SALU_CYCLE_1)
	s_and_not1_b32 vcc_lo, exec_lo, s1
	s_cbranch_vccnz .LBB177_2351
; %bb.2342:
	v_and_b32_e32 v4, 0x7fffffff, v9
	s_mov_b32 s1, exec_lo
                                        ; implicit-def: $vgpr3
	s_delay_alu instid0(VALU_DEP_1)
	v_cmpx_gt_u32_e32 0x47800000, v4
	s_xor_b32 s1, exec_lo, s1
	s_cbranch_execz .LBB177_2348
; %bb.2343:
	s_mov_b32 s3, exec_lo
                                        ; implicit-def: $vgpr3
	v_cmpx_lt_u32_e32 0x387fffff, v4
	s_xor_b32 s3, exec_lo, s3
; %bb.2344:
	v_bfe_u32 v3, v9, 21, 1
	s_delay_alu instid0(VALU_DEP_1) | instskip(NEXT) | instid1(VALU_DEP_1)
	v_add3_u32 v3, v9, v3, 0x80fffff
	v_lshrrev_b32_e32 v3, 21, v3
; %bb.2345:
	s_and_not1_saveexec_b32 s3, s3
; %bb.2346:
	v_add_f32_e64 v3, 0x43000000, |v9|
; %bb.2347:
	s_or_b32 exec_lo, exec_lo, s3
                                        ; implicit-def: $vgpr4
.LBB177_2348:
	s_and_not1_saveexec_b32 s1, s1
; %bb.2349:
	v_mov_b32_e32 v3, 0x7f
	v_cmp_lt_u32_e32 vcc_lo, 0x7f800000, v4
	s_delay_alu instid0(VALU_DEP_2)
	v_cndmask_b32_e32 v3, 0x7c, v3, vcc_lo
; %bb.2350:
	s_or_b32 exec_lo, exec_lo, s1
	v_lshrrev_b32_e32 v4, 24, v9
	s_delay_alu instid0(VALU_DEP_1)
	v_and_or_b32 v3, 0x80, v4, v3
	global_store_b8 v[1:2], v3, off
.LBB177_2351:
	s_mov_b32 s1, 0
	s_mov_b32 s3, -1
.LBB177_2352:
	s_and_not1_b32 vcc_lo, exec_lo, s1
	s_mov_b32 s1, 0
	s_cbranch_vccnz .LBB177_2359
; %bb.2353:
	v_cmp_lt_i16_e32 vcc_lo, 14, v15
	s_mov_b32 s1, -1
	s_cbranch_vccz .LBB177_2357
; %bb.2354:
	v_cmp_eq_u16_e32 vcc_lo, 15, v15
	s_mov_b32 s0, -1
	s_cbranch_vccz .LBB177_2356
; %bb.2355:
	v_bfe_u32 v3, v9, 16, 1
	v_cmp_o_f32_e32 vcc_lo, v9, v9
	s_mov_b32 s0, 0
	s_mov_b32 s3, -1
	s_delay_alu instid0(VALU_DEP_2) | instskip(NEXT) | instid1(VALU_DEP_1)
	v_add3_u32 v3, v9, v3, 0x7fff
	v_lshrrev_b32_e32 v3, 16, v3
	s_delay_alu instid0(VALU_DEP_1)
	v_cndmask_b32_e32 v3, 0x7fc0, v3, vcc_lo
	global_store_b16 v[1:2], v3, off
.LBB177_2356:
	s_mov_b32 s1, 0
.LBB177_2357:
	s_delay_alu instid0(SALU_CYCLE_1)
	s_and_b32 vcc_lo, exec_lo, s1
	s_mov_b32 s1, 0
	s_cbranch_vccz .LBB177_2359
; %bb.2358:
	v_cmp_ne_u16_e64 s0, 11, v15
	s_mov_b32 s1, -1
.LBB177_2359:
	s_delay_alu instid0(VALU_DEP_1)
	s_and_b32 vcc_lo, exec_lo, s0
	s_cbranch_vccnz .LBB177_2502
; %bb.2360:
	s_and_not1_b32 vcc_lo, exec_lo, s1
	s_cbranch_vccnz .LBB177_2362
.LBB177_2361:
	v_cmp_neq_f32_e32 vcc_lo, 0, v9
	v_cmp_neq_f32_e64 s0, 0, v10
	s_mov_b32 s3, -1
	s_delay_alu instid0(VALU_DEP_1) | instskip(NEXT) | instid1(SALU_CYCLE_1)
	s_or_b32 s0, vcc_lo, s0
	v_cndmask_b32_e64 v3, 0, 1, s0
	global_store_b8 v[1:2], v3, off
.LBB177_2362:
	s_mov_b32 s0, 0
.LBB177_2363:
	s_delay_alu instid0(SALU_CYCLE_1)
	s_and_b32 vcc_lo, exec_lo, s0
	s_cbranch_vccz .LBB177_2402
; %bb.2364:
	v_cmp_gt_i16_e32 vcc_lo, 5, v15
	s_mov_b32 s0, -1
	s_cbranch_vccnz .LBB177_2385
; %bb.2365:
	v_cmp_gt_i16_e32 vcc_lo, 8, v15
	s_cbranch_vccnz .LBB177_2375
; %bb.2366:
	v_cmp_gt_i16_e32 vcc_lo, 9, v15
	s_cbranch_vccnz .LBB177_2372
; %bb.2367:
	v_cmp_lt_i16_e32 vcc_lo, 9, v15
	s_cbranch_vccz .LBB177_2369
; %bb.2368:
	v_cvt_f64_f32_e32 v[3:4], v9
	v_cvt_f64_f32_e32 v[5:6], v10
	s_mov_b32 s0, 0
	global_store_b128 v[1:2], v[3:6], off
.LBB177_2369:
	s_and_not1_b32 vcc_lo, exec_lo, s0
	s_cbranch_vccnz .LBB177_2371
; %bb.2370:
	global_store_b64 v[1:2], v[9:10], off
.LBB177_2371:
	s_mov_b32 s0, 0
.LBB177_2372:
	s_delay_alu instid0(SALU_CYCLE_1)
	s_and_not1_b32 vcc_lo, exec_lo, s0
	s_cbranch_vccnz .LBB177_2374
; %bb.2373:
	v_cvt_f16_f32_e32 v3, v10
	v_cvt_f16_f32_e32 v4, v9
	s_delay_alu instid0(VALU_DEP_2) | instskip(NEXT) | instid1(VALU_DEP_2)
	v_lshlrev_b32_e32 v3, 16, v3
	v_and_b32_e32 v4, 0xffff, v4
	s_delay_alu instid0(VALU_DEP_1)
	v_or_b32_e32 v3, v3, v4
	global_store_b32 v[1:2], v3, off
.LBB177_2374:
	s_mov_b32 s0, 0
.LBB177_2375:
	s_delay_alu instid0(SALU_CYCLE_1)
	s_and_not1_b32 vcc_lo, exec_lo, s0
	s_cbranch_vccnz .LBB177_2384
; %bb.2376:
	v_cmp_gt_i16_e32 vcc_lo, 6, v15
	s_mov_b32 s0, -1
	s_cbranch_vccnz .LBB177_2382
; %bb.2377:
	v_cmp_lt_i16_e32 vcc_lo, 6, v15
	s_cbranch_vccz .LBB177_2379
; %bb.2378:
	v_cvt_f64_f32_e32 v[3:4], v9
	s_mov_b32 s0, 0
	global_store_b64 v[1:2], v[3:4], off
.LBB177_2379:
	s_and_not1_b32 vcc_lo, exec_lo, s0
	s_cbranch_vccnz .LBB177_2381
; %bb.2380:
	global_store_b32 v[1:2], v9, off
.LBB177_2381:
	s_mov_b32 s0, 0
.LBB177_2382:
	s_delay_alu instid0(SALU_CYCLE_1)
	s_and_not1_b32 vcc_lo, exec_lo, s0
	s_cbranch_vccnz .LBB177_2384
; %bb.2383:
	v_cvt_f16_f32_e32 v3, v9
	global_store_b16 v[1:2], v3, off
.LBB177_2384:
	s_mov_b32 s0, 0
.LBB177_2385:
	s_delay_alu instid0(SALU_CYCLE_1)
	s_and_not1_b32 vcc_lo, exec_lo, s0
	s_cbranch_vccnz .LBB177_2401
; %bb.2386:
	v_cmp_gt_i16_e32 vcc_lo, 2, v15
	s_mov_b32 s0, -1
	s_cbranch_vccnz .LBB177_2396
; %bb.2387:
	v_cmp_gt_i16_e32 vcc_lo, 3, v15
	s_cbranch_vccnz .LBB177_2393
; %bb.2388:
	v_cmp_lt_i16_e32 vcc_lo, 3, v15
	s_cbranch_vccz .LBB177_2390
; %bb.2389:
	v_trunc_f32_e32 v3, v9
	s_mov_b32 s0, 0
	s_delay_alu instid0(VALU_DEP_1) | instskip(SKIP_1) | instid1(VALU_DEP_2)
	v_mul_f32_e64 v4, 0x2f800000, |v3|
	v_ashrrev_i32_e32 v6, 31, v3
	v_floor_f32_e32 v4, v4
	s_delay_alu instid0(VALU_DEP_1) | instskip(SKIP_1) | instid1(VALU_DEP_2)
	v_fma_f32 v5, 0xcf800000, v4, |v3|
	v_cvt_u32_f32_e32 v4, v4
	v_cvt_u32_f32_e32 v3, v5
	s_delay_alu instid0(VALU_DEP_2) | instskip(NEXT) | instid1(VALU_DEP_2)
	v_xor_b32_e32 v4, v4, v6
	v_xor_b32_e32 v3, v3, v6
	s_delay_alu instid0(VALU_DEP_1) | instskip(NEXT) | instid1(VALU_DEP_3)
	v_sub_co_u32 v3, vcc_lo, v3, v6
	v_sub_co_ci_u32_e32 v4, vcc_lo, v4, v6, vcc_lo
	global_store_b64 v[1:2], v[3:4], off
.LBB177_2390:
	s_and_not1_b32 vcc_lo, exec_lo, s0
	s_cbranch_vccnz .LBB177_2392
; %bb.2391:
	v_cvt_i32_f32_e32 v3, v9
	global_store_b32 v[1:2], v3, off
.LBB177_2392:
	s_mov_b32 s0, 0
.LBB177_2393:
	s_delay_alu instid0(SALU_CYCLE_1)
	s_and_not1_b32 vcc_lo, exec_lo, s0
	s_cbranch_vccnz .LBB177_2395
; %bb.2394:
	v_cvt_i32_f32_e32 v3, v9
	global_store_b16 v[1:2], v3, off
.LBB177_2395:
	s_mov_b32 s0, 0
.LBB177_2396:
	s_delay_alu instid0(SALU_CYCLE_1)
	s_and_not1_b32 vcc_lo, exec_lo, s0
	s_cbranch_vccnz .LBB177_2401
; %bb.2397:
	v_cmp_lt_i16_e32 vcc_lo, 0, v15
	s_mov_b32 s0, -1
	s_cbranch_vccz .LBB177_2399
; %bb.2398:
	v_cvt_i32_f32_e32 v3, v9
	s_mov_b32 s0, 0
	global_store_b8 v[1:2], v3, off
.LBB177_2399:
	s_and_not1_b32 vcc_lo, exec_lo, s0
	s_cbranch_vccnz .LBB177_2401
; %bb.2400:
	v_trunc_f32_e32 v3, v9
	s_delay_alu instid0(VALU_DEP_1) | instskip(NEXT) | instid1(VALU_DEP_1)
	v_mul_f32_e64 v4, 0x2f800000, |v3|
	v_floor_f32_e32 v4, v4
	s_delay_alu instid0(VALU_DEP_1) | instskip(SKIP_1) | instid1(VALU_DEP_2)
	v_fma_f32 v4, 0xcf800000, v4, |v3|
	v_ashrrev_i32_e32 v3, 31, v3
	v_cvt_u32_f32_e32 v4, v4
	s_delay_alu instid0(VALU_DEP_1) | instskip(NEXT) | instid1(VALU_DEP_1)
	v_xor_b32_e32 v4, v4, v3
	v_sub_nc_u32_e32 v3, v4, v3
	global_store_b8 v[1:2], v3, off
.LBB177_2401:
	s_mov_b32 s3, -1
.LBB177_2402:
	s_delay_alu instid0(SALU_CYCLE_1)
	s_and_not1_b32 vcc_lo, exec_lo, s3
	s_cbranch_vccnz .LBB177_2479
; %bb.2403:
	v_cmp_gt_i16_e32 vcc_lo, 11, v15
	v_add_co_u32 v0, s0, s4, v0
	s_delay_alu instid0(VALU_DEP_1)
	v_add_co_ci_u32_e64 v1, null, s5, 0, s0
	s_mov_b32 s1, 0
	s_mov_b32 s0, -1
	s_cbranch_vccnz .LBB177_1979
; %bb.2404:
	v_cmp_lt_i16_e32 vcc_lo, 25, v15
	s_mov_b32 s3, -1
	s_mov_b32 s0, 0
	s_cbranch_vccz .LBB177_2437
; %bb.2405:
	v_cmp_lt_i16_e32 vcc_lo, 28, v15
	s_cbranch_vccz .LBB177_2421
; %bb.2406:
	v_cmp_lt_i16_e32 vcc_lo, 43, v15
	;; [unrolled: 3-line block ×3, first 2 shown]
	s_cbranch_vccz .LBB177_2411
; %bb.2408:
	v_cmp_eq_u16_e32 vcc_lo, 46, v15
	s_mov_b32 s0, -1
	s_cbranch_vccz .LBB177_2410
; %bb.2409:
	v_bfe_u32 v2, v12, 16, 1
	v_bfe_u32 v3, v11, 16, 1
	v_cmp_o_f32_e32 vcc_lo, v12, v12
	s_mov_b32 s0, 0
	s_delay_alu instid0(VALU_DEP_3) | instskip(NEXT) | instid1(VALU_DEP_3)
	v_add3_u32 v2, v12, v2, 0x7fff
	v_add3_u32 v3, v11, v3, 0x7fff
	s_delay_alu instid0(VALU_DEP_2) | instskip(NEXT) | instid1(VALU_DEP_2)
	v_and_b32_e32 v2, 0xffff0000, v2
	v_lshrrev_b32_e32 v3, 16, v3
	s_delay_alu instid0(VALU_DEP_2) | instskip(SKIP_1) | instid1(VALU_DEP_3)
	v_cndmask_b32_e32 v2, 0x7fc00000, v2, vcc_lo
	v_cmp_o_f32_e32 vcc_lo, v11, v11
	v_cndmask_b32_e32 v3, 0x7fc0, v3, vcc_lo
	s_delay_alu instid0(VALU_DEP_1)
	v_or_b32_e32 v2, v2, v3
	global_store_b32 v[0:1], v2, off
.LBB177_2410:
	s_mov_b32 s3, 0
.LBB177_2411:
	s_delay_alu instid0(SALU_CYCLE_1)
	s_and_b32 vcc_lo, exec_lo, s3
	s_cbranch_vccz .LBB177_2416
; %bb.2412:
	v_cmp_eq_u16_e32 vcc_lo, 44, v15
	s_mov_b32 s0, -1
	s_cbranch_vccz .LBB177_2416
; %bb.2413:
	v_bfe_u32 v3, v11, 23, 8
	v_mov_b32_e32 v2, 0xff
	s_mov_b32 s3, exec_lo
	s_delay_alu instid0(VALU_DEP_2)
	v_cmpx_ne_u32_e32 0xff, v3
; %bb.2414:
	v_and_b32_e32 v2, 0x400000, v11
	v_and_or_b32 v3, 0x3fffff, v11, v3
	s_delay_alu instid0(VALU_DEP_2) | instskip(NEXT) | instid1(VALU_DEP_2)
	v_cmp_ne_u32_e32 vcc_lo, 0, v2
	v_cmp_ne_u32_e64 s0, 0, v3
	v_lshrrev_b32_e32 v2, 23, v11
	s_delay_alu instid0(VALU_DEP_2) | instskip(NEXT) | instid1(SALU_CYCLE_1)
	s_and_b32 s0, vcc_lo, s0
	v_cndmask_b32_e64 v3, 0, 1, s0
	s_delay_alu instid0(VALU_DEP_1)
	v_add_nc_u32_e32 v2, v2, v3
; %bb.2415:
	s_or_b32 exec_lo, exec_lo, s3
	s_mov_b32 s0, 0
	global_store_b8 v[0:1], v2, off
.LBB177_2416:
	s_mov_b32 s3, 0
.LBB177_2417:
	s_delay_alu instid0(SALU_CYCLE_1)
	s_and_b32 vcc_lo, exec_lo, s3
	s_cbranch_vccz .LBB177_2420
; %bb.2418:
	v_cmp_eq_u16_e32 vcc_lo, 29, v15
	s_mov_b32 s0, -1
	s_cbranch_vccz .LBB177_2420
; %bb.2419:
	v_trunc_f32_e32 v2, v11
	s_mov_b32 s0, 0
	s_delay_alu instid0(VALU_DEP_1) | instskip(NEXT) | instid1(VALU_DEP_1)
	v_mul_f32_e32 v3, 0x2f800000, v2
	v_floor_f32_e32 v3, v3
	s_delay_alu instid0(VALU_DEP_1) | instskip(SKIP_1) | instid1(VALU_DEP_2)
	v_fmamk_f32 v2, v3, 0xcf800000, v2
	v_cvt_u32_f32_e32 v3, v3
	v_cvt_u32_f32_e32 v2, v2
	global_store_b64 v[0:1], v[2:3], off
.LBB177_2420:
	s_mov_b32 s3, 0
.LBB177_2421:
	s_delay_alu instid0(SALU_CYCLE_1)
	s_and_b32 vcc_lo, exec_lo, s3
	s_cbranch_vccz .LBB177_2436
; %bb.2422:
	v_cmp_gt_i16_e32 vcc_lo, 27, v15
	s_mov_b32 s3, -1
	s_cbranch_vccnz .LBB177_2428
; %bb.2423:
	v_cmp_lt_i16_e32 vcc_lo, 27, v15
	v_cvt_u32_f32_e32 v2, v11
	s_cbranch_vccz .LBB177_2425
; %bb.2424:
	s_mov_b32 s3, 0
	global_store_b32 v[0:1], v2, off
.LBB177_2425:
	s_and_not1_b32 vcc_lo, exec_lo, s3
	s_cbranch_vccnz .LBB177_2427
; %bb.2426:
	global_store_b16 v[0:1], v2, off
.LBB177_2427:
	s_mov_b32 s3, 0
.LBB177_2428:
	s_delay_alu instid0(SALU_CYCLE_1)
	s_and_not1_b32 vcc_lo, exec_lo, s3
	s_cbranch_vccnz .LBB177_2436
; %bb.2429:
	v_and_b32_e32 v2, 0x7fffffff, v11
	v_mov_b32_e32 v3, 0x80
	s_mov_b32 s3, exec_lo
	s_delay_alu instid0(VALU_DEP_2)
	v_cmpx_gt_u32_e32 0x43800000, v2
	s_cbranch_execz .LBB177_2435
; %bb.2430:
	v_cmp_lt_u32_e32 vcc_lo, 0x3bffffff, v2
	s_mov_b32 s4, 0
                                        ; implicit-def: $vgpr2
	s_and_saveexec_b32 s5, vcc_lo
	s_delay_alu instid0(SALU_CYCLE_1)
	s_xor_b32 s5, exec_lo, s5
	s_cbranch_execz .LBB177_2506
; %bb.2431:
	v_bfe_u32 v2, v11, 20, 1
	s_mov_b32 s4, exec_lo
	s_delay_alu instid0(VALU_DEP_1) | instskip(NEXT) | instid1(VALU_DEP_1)
	v_add3_u32 v2, v11, v2, 0x487ffff
	v_lshrrev_b32_e32 v2, 20, v2
	s_or_saveexec_b32 s5, s5
                                        ; implicit-def: $sgpr6
	s_delay_alu instid0(SALU_CYCLE_1)
	s_xor_b32 exec_lo, exec_lo, s5
	s_cbranch_execnz .LBB177_2507
.LBB177_2432:
	s_or_b32 exec_lo, exec_lo, s5
	v_mov_b32_e32 v3, s6
	s_and_saveexec_b32 s5, s4
.LBB177_2433:
	v_lshrrev_b32_e32 v3, 24, v11
	s_delay_alu instid0(VALU_DEP_1)
	v_and_or_b32 v3, 0x80, v3, v2
.LBB177_2434:
	s_or_b32 exec_lo, exec_lo, s5
.LBB177_2435:
	s_delay_alu instid0(SALU_CYCLE_1)
	s_or_b32 exec_lo, exec_lo, s3
	global_store_b8 v[0:1], v3, off
.LBB177_2436:
	s_mov_b32 s3, 0
.LBB177_2437:
	s_delay_alu instid0(SALU_CYCLE_1)
	s_and_b32 vcc_lo, exec_lo, s3
	s_cbranch_vccz .LBB177_2477
; %bb.2438:
	v_cmp_lt_i16_e32 vcc_lo, 22, v15
	s_mov_b32 s1, -1
	s_cbranch_vccz .LBB177_2470
; %bb.2439:
	v_cmp_gt_i16_e32 vcc_lo, 24, v15
	s_cbranch_vccnz .LBB177_2459
; %bb.2440:
	v_cmp_lt_i16_e32 vcc_lo, 24, v15
	s_cbranch_vccz .LBB177_2448
; %bb.2441:
	v_and_b32_e32 v2, 0x7fffffff, v11
	v_mov_b32_e32 v3, 0x80
	s_mov_b32 s1, exec_lo
	s_delay_alu instid0(VALU_DEP_2)
	v_cmpx_gt_u32_e32 0x47800000, v2
	s_cbranch_execz .LBB177_2447
; %bb.2442:
	v_cmp_lt_u32_e32 vcc_lo, 0x37ffffff, v2
	s_mov_b32 s3, 0
                                        ; implicit-def: $vgpr2
	s_and_saveexec_b32 s4, vcc_lo
	s_delay_alu instid0(SALU_CYCLE_1)
	s_xor_b32 s4, exec_lo, s4
	s_cbranch_execz .LBB177_2512
; %bb.2443:
	v_bfe_u32 v2, v11, 21, 1
	s_mov_b32 s3, exec_lo
	s_delay_alu instid0(VALU_DEP_1) | instskip(NEXT) | instid1(VALU_DEP_1)
	v_add3_u32 v2, v11, v2, 0x88fffff
	v_lshrrev_b32_e32 v2, 21, v2
	s_or_saveexec_b32 s4, s4
                                        ; implicit-def: $sgpr5
	s_delay_alu instid0(SALU_CYCLE_1)
	s_xor_b32 exec_lo, exec_lo, s4
	s_cbranch_execnz .LBB177_2513
.LBB177_2444:
	s_or_b32 exec_lo, exec_lo, s4
	v_mov_b32_e32 v3, s5
	s_and_saveexec_b32 s4, s3
.LBB177_2445:
	v_lshrrev_b32_e32 v3, 24, v11
	s_delay_alu instid0(VALU_DEP_1)
	v_and_or_b32 v3, 0x80, v3, v2
.LBB177_2446:
	s_or_b32 exec_lo, exec_lo, s4
.LBB177_2447:
	s_delay_alu instid0(SALU_CYCLE_1)
	s_or_b32 exec_lo, exec_lo, s1
	s_mov_b32 s1, 0
	global_store_b8 v[0:1], v3, off
.LBB177_2448:
	s_and_b32 vcc_lo, exec_lo, s1
	s_cbranch_vccz .LBB177_2458
; %bb.2449:
	v_and_b32_e32 v3, 0x7fffffff, v11
	s_mov_b32 s1, exec_lo
                                        ; implicit-def: $vgpr2
	s_delay_alu instid0(VALU_DEP_1)
	v_cmpx_gt_u32_e32 0x43f00000, v3
	s_xor_b32 s1, exec_lo, s1
	s_cbranch_execz .LBB177_2455
; %bb.2450:
	s_mov_b32 s3, exec_lo
                                        ; implicit-def: $vgpr2
	v_cmpx_lt_u32_e32 0x3c7fffff, v3
	s_xor_b32 s3, exec_lo, s3
; %bb.2451:
	v_bfe_u32 v2, v11, 20, 1
	s_delay_alu instid0(VALU_DEP_1) | instskip(NEXT) | instid1(VALU_DEP_1)
	v_add3_u32 v2, v11, v2, 0x407ffff
	v_and_b32_e32 v3, 0xff00000, v2
	v_lshrrev_b32_e32 v2, 20, v2
	s_delay_alu instid0(VALU_DEP_2) | instskip(NEXT) | instid1(VALU_DEP_2)
	v_cmp_ne_u32_e32 vcc_lo, 0x7f00000, v3
	v_cndmask_b32_e32 v2, 0x7e, v2, vcc_lo
; %bb.2452:
	s_and_not1_saveexec_b32 s3, s3
; %bb.2453:
	v_add_f32_e64 v2, 0x46800000, |v11|
; %bb.2454:
	s_or_b32 exec_lo, exec_lo, s3
                                        ; implicit-def: $vgpr3
.LBB177_2455:
	s_and_not1_saveexec_b32 s1, s1
; %bb.2456:
	v_mov_b32_e32 v2, 0x7f
	v_cmp_lt_u32_e32 vcc_lo, 0x7f800000, v3
	s_delay_alu instid0(VALU_DEP_2)
	v_cndmask_b32_e32 v2, 0x7e, v2, vcc_lo
; %bb.2457:
	s_or_b32 exec_lo, exec_lo, s1
	v_lshrrev_b32_e32 v3, 24, v11
	s_delay_alu instid0(VALU_DEP_1)
	v_and_or_b32 v2, 0x80, v3, v2
	global_store_b8 v[0:1], v2, off
.LBB177_2458:
	s_mov_b32 s1, 0
.LBB177_2459:
	s_delay_alu instid0(SALU_CYCLE_1)
	s_and_not1_b32 vcc_lo, exec_lo, s1
	s_cbranch_vccnz .LBB177_2469
; %bb.2460:
	v_and_b32_e32 v3, 0x7fffffff, v11
	s_mov_b32 s1, exec_lo
                                        ; implicit-def: $vgpr2
	s_delay_alu instid0(VALU_DEP_1)
	v_cmpx_gt_u32_e32 0x47800000, v3
	s_xor_b32 s1, exec_lo, s1
	s_cbranch_execz .LBB177_2466
; %bb.2461:
	s_mov_b32 s3, exec_lo
                                        ; implicit-def: $vgpr2
	v_cmpx_lt_u32_e32 0x387fffff, v3
	s_xor_b32 s3, exec_lo, s3
; %bb.2462:
	v_bfe_u32 v2, v11, 21, 1
	s_delay_alu instid0(VALU_DEP_1) | instskip(NEXT) | instid1(VALU_DEP_1)
	v_add3_u32 v2, v11, v2, 0x80fffff
	v_lshrrev_b32_e32 v2, 21, v2
; %bb.2463:
	s_and_not1_saveexec_b32 s3, s3
; %bb.2464:
	v_add_f32_e64 v2, 0x43000000, |v11|
; %bb.2465:
	s_or_b32 exec_lo, exec_lo, s3
                                        ; implicit-def: $vgpr3
.LBB177_2466:
	s_and_not1_saveexec_b32 s1, s1
; %bb.2467:
	v_mov_b32_e32 v2, 0x7f
	v_cmp_lt_u32_e32 vcc_lo, 0x7f800000, v3
	s_delay_alu instid0(VALU_DEP_2)
	v_cndmask_b32_e32 v2, 0x7c, v2, vcc_lo
; %bb.2468:
	s_or_b32 exec_lo, exec_lo, s1
	v_lshrrev_b32_e32 v3, 24, v11
	s_delay_alu instid0(VALU_DEP_1)
	v_and_or_b32 v2, 0x80, v3, v2
	global_store_b8 v[0:1], v2, off
.LBB177_2469:
	s_mov_b32 s1, 0
.LBB177_2470:
	s_delay_alu instid0(SALU_CYCLE_1)
	s_and_not1_b32 vcc_lo, exec_lo, s1
	s_mov_b32 s1, 0
	s_cbranch_vccnz .LBB177_2477
; %bb.2471:
	v_cmp_lt_i16_e32 vcc_lo, 14, v15
	s_mov_b32 s1, -1
	s_cbranch_vccz .LBB177_2475
; %bb.2472:
	v_cmp_eq_u16_e32 vcc_lo, 15, v15
	s_mov_b32 s0, -1
	s_cbranch_vccz .LBB177_2474
; %bb.2473:
	v_bfe_u32 v2, v11, 16, 1
	v_cmp_o_f32_e32 vcc_lo, v11, v11
	s_mov_b32 s0, 0
	s_delay_alu instid0(VALU_DEP_2) | instskip(NEXT) | instid1(VALU_DEP_1)
	v_add3_u32 v2, v11, v2, 0x7fff
	v_lshrrev_b32_e32 v2, 16, v2
	s_delay_alu instid0(VALU_DEP_1)
	v_cndmask_b32_e32 v2, 0x7fc0, v2, vcc_lo
	global_store_b16 v[0:1], v2, off
.LBB177_2474:
	s_mov_b32 s1, 0
.LBB177_2475:
	s_delay_alu instid0(SALU_CYCLE_1)
	s_and_b32 vcc_lo, exec_lo, s1
	s_mov_b32 s1, 0
	s_cbranch_vccz .LBB177_2477
; %bb.2476:
	v_cmp_ne_u16_e64 s0, 11, v15
	s_mov_b32 s1, -1
.LBB177_2477:
	s_delay_alu instid0(VALU_DEP_1)
	s_and_b32 vcc_lo, exec_lo, s0
	s_cbranch_vccnz .LBB177_2510
.LBB177_2478:
	s_mov_b32 s0, 0
	s_branch .LBB177_1979
.LBB177_2479:
	s_mov_b32 s0, 0
	s_mov_b32 s1, 0
                                        ; implicit-def: $vgpr0_vgpr1
                                        ; implicit-def: $vgpr15
	s_branch .LBB177_1979
.LBB177_2480:
	s_cbranch_execnz .LBB177_2484
; %bb.2481:
	s_or_b32 s2, s2, exec_lo
                                        ; implicit-def: $vgpr13
	s_cbranch_execz .LBB177_1912
	s_branch .LBB177_1913
.LBB177_2482:
	s_or_saveexec_b32 s7, s7
                                        ; implicit-def: $sgpr10
	s_delay_alu instid0(SALU_CYCLE_1)
	s_xor_b32 exec_lo, exec_lo, s7
	s_cbranch_execz .LBB177_2077
.LBB177_2483:
	v_add_f32_e64 v3, 0x46000000, |v4|
	s_and_not1_b32 s6, s6, exec_lo
	s_mov_b32 s10, 0
	s_delay_alu instid0(VALU_DEP_1) | instskip(NEXT) | instid1(VALU_DEP_1)
	v_and_b32_e32 v3, 0xff, v3
	v_cmp_ne_u32_e32 vcc_lo, 0, v3
	s_and_b32 s11, vcc_lo, exec_lo
	s_delay_alu instid0(SALU_CYCLE_1)
	s_or_b32 s6, s6, s11
	s_or_b32 exec_lo, exec_lo, s7
	v_mov_b32_e32 v8, s10
	s_and_saveexec_b32 s7, s6
	s_cbranch_execnz .LBB177_2078
	s_branch .LBB177_2079
.LBB177_2484:
	s_trap 2
	s_sendmsg_rtn_b32 s0, sendmsg(MSG_RTN_GET_DOORBELL)
	s_mov_b32 ttmp2, m0
	s_waitcnt lgkmcnt(0)
	s_and_b32 s0, s0, 0x3ff
	s_delay_alu instid0(SALU_CYCLE_1) | instskip(NEXT) | instid1(SALU_CYCLE_1)
	s_bitset1_b32 s0, 10
	s_mov_b32 m0, s0
	s_sendmsg sendmsg(MSG_INTERRUPT)
	s_mov_b32 m0, ttmp2
.LBB177_2485:                           ; =>This Inner Loop Header: Depth=1
	s_sethalt 5
	s_branch .LBB177_2485
.LBB177_2486:
	s_cbranch_execnz .LBB177_2492
; %bb.2487:
	s_or_b32 s2, s2, exec_lo
	s_cbranch_execz .LBB177_2125
	s_branch .LBB177_2126
.LBB177_2488:
	s_or_saveexec_b32 s6, s6
                                        ; implicit-def: $sgpr7
	s_delay_alu instid0(SALU_CYCLE_1)
	s_xor_b32 exec_lo, exec_lo, s6
	s_cbranch_execz .LBB177_2090
.LBB177_2489:
	v_add_f32_e64 v3, 0x42800000, |v4|
	s_and_not1_b32 s3, s3, exec_lo
	s_mov_b32 s7, 0
	s_delay_alu instid0(VALU_DEP_1) | instskip(NEXT) | instid1(VALU_DEP_1)
	v_and_b32_e32 v3, 0xff, v3
	v_cmp_ne_u32_e32 vcc_lo, 0, v3
	s_and_b32 s10, vcc_lo, exec_lo
	s_delay_alu instid0(SALU_CYCLE_1)
	s_or_b32 s3, s3, s10
	s_or_b32 exec_lo, exec_lo, s6
	v_mov_b32_e32 v8, s7
	s_and_saveexec_b32 s6, s3
	s_cbranch_execnz .LBB177_2091
	s_branch .LBB177_2092
.LBB177_2490:
	s_or_saveexec_b32 s7, s7
                                        ; implicit-def: $sgpr10
	s_delay_alu instid0(SALU_CYCLE_1)
	s_xor_b32 exec_lo, exec_lo, s7
	s_cbranch_execz .LBB177_2195
.LBB177_2491:
	v_add_f32_e64 v4, 0x46000000, |v6|
	s_and_not1_b32 s6, s6, exec_lo
	s_mov_b32 s10, 0
	s_delay_alu instid0(VALU_DEP_1) | instskip(NEXT) | instid1(VALU_DEP_1)
	v_and_b32_e32 v4, 0xff, v4
	v_cmp_ne_u32_e32 vcc_lo, 0, v4
	s_and_b32 s11, vcc_lo, exec_lo
	s_delay_alu instid0(SALU_CYCLE_1)
	s_or_b32 s6, s6, s11
	s_or_b32 exec_lo, exec_lo, s7
	v_mov_b32_e32 v5, s10
	s_and_saveexec_b32 s7, s6
	s_cbranch_execnz .LBB177_2196
	s_branch .LBB177_2197
.LBB177_2492:
	s_trap 2
	s_sendmsg_rtn_b32 s0, sendmsg(MSG_RTN_GET_DOORBELL)
	s_mov_b32 ttmp2, m0
	s_waitcnt lgkmcnt(0)
	s_and_b32 s0, s0, 0x3ff
	s_delay_alu instid0(SALU_CYCLE_1) | instskip(NEXT) | instid1(SALU_CYCLE_1)
	s_bitset1_b32 s0, 10
	s_mov_b32 m0, s0
	s_sendmsg sendmsg(MSG_INTERRUPT)
	s_mov_b32 m0, ttmp2
.LBB177_2493:                           ; =>This Inner Loop Header: Depth=1
	s_sethalt 5
	s_branch .LBB177_2493
.LBB177_2494:
	s_cbranch_execnz .LBB177_2500
; %bb.2495:
	s_or_b32 s2, s2, exec_lo
	s_cbranch_execz .LBB177_2243
	s_branch .LBB177_2244
.LBB177_2496:
	s_or_saveexec_b32 s6, s6
                                        ; implicit-def: $sgpr7
	s_delay_alu instid0(SALU_CYCLE_1)
	s_xor_b32 exec_lo, exec_lo, s6
	s_cbranch_execz .LBB177_2208
.LBB177_2497:
	v_add_f32_e64 v4, 0x42800000, |v6|
	s_and_not1_b32 s3, s3, exec_lo
	s_mov_b32 s7, 0
	s_delay_alu instid0(VALU_DEP_1) | instskip(NEXT) | instid1(VALU_DEP_1)
	v_and_b32_e32 v4, 0xff, v4
	v_cmp_ne_u32_e32 vcc_lo, 0, v4
	s_and_b32 s10, vcc_lo, exec_lo
	s_delay_alu instid0(SALU_CYCLE_1)
	s_or_b32 s3, s3, s10
	s_or_b32 exec_lo, exec_lo, s6
	v_mov_b32_e32 v5, s7
	s_and_saveexec_b32 s6, s3
	s_cbranch_execnz .LBB177_2209
	s_branch .LBB177_2210
.LBB177_2498:
	s_or_saveexec_b32 s7, s7
                                        ; implicit-def: $sgpr10
	s_delay_alu instid0(SALU_CYCLE_1)
	s_xor_b32 exec_lo, exec_lo, s7
	s_cbranch_execz .LBB177_2313
.LBB177_2499:
	v_add_f32_e64 v3, 0x46000000, |v9|
	s_and_not1_b32 s6, s6, exec_lo
	s_mov_b32 s10, 0
	s_delay_alu instid0(VALU_DEP_1) | instskip(NEXT) | instid1(VALU_DEP_1)
	v_and_b32_e32 v3, 0xff, v3
	v_cmp_ne_u32_e32 vcc_lo, 0, v3
	s_and_b32 s11, vcc_lo, exec_lo
	s_delay_alu instid0(SALU_CYCLE_1)
	s_or_b32 s6, s6, s11
	s_or_b32 exec_lo, exec_lo, s7
	v_mov_b32_e32 v4, s10
	s_and_saveexec_b32 s7, s6
	s_cbranch_execnz .LBB177_2314
	s_branch .LBB177_2315
.LBB177_2500:
	s_trap 2
	s_sendmsg_rtn_b32 s0, sendmsg(MSG_RTN_GET_DOORBELL)
	s_mov_b32 ttmp2, m0
	s_waitcnt lgkmcnt(0)
	s_and_b32 s0, s0, 0x3ff
	s_delay_alu instid0(SALU_CYCLE_1) | instskip(NEXT) | instid1(SALU_CYCLE_1)
	s_bitset1_b32 s0, 10
	s_mov_b32 m0, s0
	s_sendmsg sendmsg(MSG_INTERRUPT)
	s_mov_b32 m0, ttmp2
.LBB177_2501:                           ; =>This Inner Loop Header: Depth=1
	s_sethalt 5
	s_branch .LBB177_2501
.LBB177_2502:
	s_cbranch_execnz .LBB177_2508
; %bb.2503:
	s_or_b32 s2, s2, exec_lo
	s_cbranch_execz .LBB177_2361
	s_branch .LBB177_2362
.LBB177_2504:
	s_or_saveexec_b32 s6, s6
                                        ; implicit-def: $sgpr7
	s_delay_alu instid0(SALU_CYCLE_1)
	s_xor_b32 exec_lo, exec_lo, s6
	s_cbranch_execz .LBB177_2326
.LBB177_2505:
	v_add_f32_e64 v3, 0x42800000, |v9|
	s_and_not1_b32 s3, s3, exec_lo
	s_mov_b32 s7, 0
	s_delay_alu instid0(VALU_DEP_1) | instskip(NEXT) | instid1(VALU_DEP_1)
	v_and_b32_e32 v3, 0xff, v3
	v_cmp_ne_u32_e32 vcc_lo, 0, v3
	s_and_b32 s10, vcc_lo, exec_lo
	s_delay_alu instid0(SALU_CYCLE_1)
	s_or_b32 s3, s3, s10
	s_or_b32 exec_lo, exec_lo, s6
	v_mov_b32_e32 v4, s7
	s_and_saveexec_b32 s6, s3
	s_cbranch_execnz .LBB177_2327
	s_branch .LBB177_2328
.LBB177_2506:
	s_or_saveexec_b32 s5, s5
                                        ; implicit-def: $sgpr6
	s_delay_alu instid0(SALU_CYCLE_1)
	s_xor_b32 exec_lo, exec_lo, s5
	s_cbranch_execz .LBB177_2432
.LBB177_2507:
	v_add_f32_e64 v2, 0x46000000, |v11|
	s_and_not1_b32 s4, s4, exec_lo
	s_mov_b32 s6, 0
	s_delay_alu instid0(VALU_DEP_1) | instskip(NEXT) | instid1(VALU_DEP_1)
	v_and_b32_e32 v2, 0xff, v2
	v_cmp_ne_u32_e32 vcc_lo, 0, v2
	s_and_b32 s7, vcc_lo, exec_lo
	s_delay_alu instid0(SALU_CYCLE_1)
	s_or_b32 s4, s4, s7
	s_or_b32 exec_lo, exec_lo, s5
	v_mov_b32_e32 v3, s6
	s_and_saveexec_b32 s5, s4
	s_cbranch_execnz .LBB177_2433
	s_branch .LBB177_2434
.LBB177_2508:
	s_trap 2
	s_sendmsg_rtn_b32 s0, sendmsg(MSG_RTN_GET_DOORBELL)
	s_mov_b32 ttmp2, m0
	s_waitcnt lgkmcnt(0)
	s_and_b32 s0, s0, 0x3ff
	s_delay_alu instid0(SALU_CYCLE_1) | instskip(NEXT) | instid1(SALU_CYCLE_1)
	s_bitset1_b32 s0, 10
	s_mov_b32 m0, s0
	s_sendmsg sendmsg(MSG_INTERRUPT)
	s_mov_b32 m0, ttmp2
.LBB177_2509:                           ; =>This Inner Loop Header: Depth=1
	s_sethalt 5
	s_branch .LBB177_2509
.LBB177_2510:
	s_cbranch_execnz .LBB177_2514
; %bb.2511:
	s_mov_b32 s1, 0
	s_or_b32 s2, s2, exec_lo
	s_branch .LBB177_2478
.LBB177_2512:
	s_or_saveexec_b32 s4, s4
                                        ; implicit-def: $sgpr5
	s_delay_alu instid0(SALU_CYCLE_1)
	s_xor_b32 exec_lo, exec_lo, s4
	s_cbranch_execz .LBB177_2444
.LBB177_2513:
	v_add_f32_e64 v2, 0x42800000, |v11|
	s_and_not1_b32 s3, s3, exec_lo
	s_mov_b32 s5, 0
	s_delay_alu instid0(VALU_DEP_1) | instskip(NEXT) | instid1(VALU_DEP_1)
	v_and_b32_e32 v2, 0xff, v2
	v_cmp_ne_u32_e32 vcc_lo, 0, v2
	s_and_b32 s6, vcc_lo, exec_lo
	s_delay_alu instid0(SALU_CYCLE_1)
	s_or_b32 s3, s3, s6
	s_or_b32 exec_lo, exec_lo, s4
	v_mov_b32_e32 v3, s5
	s_and_saveexec_b32 s4, s3
	s_cbranch_execnz .LBB177_2445
	s_branch .LBB177_2446
.LBB177_2514:
	s_trap 2
	s_sendmsg_rtn_b32 s0, sendmsg(MSG_RTN_GET_DOORBELL)
	s_mov_b32 ttmp2, m0
	s_waitcnt lgkmcnt(0)
	s_and_b32 s0, s0, 0x3ff
	s_delay_alu instid0(SALU_CYCLE_1) | instskip(NEXT) | instid1(SALU_CYCLE_1)
	s_bitset1_b32 s0, 10
	s_mov_b32 m0, s0
	s_sendmsg sendmsg(MSG_INTERRUPT)
	s_mov_b32 m0, ttmp2
.LBB177_2515:                           ; =>This Inner Loop Header: Depth=1
	s_sethalt 5
	s_branch .LBB177_2515
	.section	.rodata,"a",@progbits
	.p2align	6, 0x0
	.amdhsa_kernel _ZN2at6native32elementwise_kernel_manual_unrollILi128ELi4EZNS0_15gpu_kernel_implIZZZNS0_17rsqrt_kernel_cudaERNS_18TensorIteratorBaseEENKUlvE_clEvENKUlvE0_clEvEUlN3c107complexIfEEE_EEvS4_RKT_EUlibE0_EEviT1_
		.amdhsa_group_segment_fixed_size 0
		.amdhsa_private_segment_fixed_size 0
		.amdhsa_kernarg_size 360
		.amdhsa_user_sgpr_count 15
		.amdhsa_user_sgpr_dispatch_ptr 0
		.amdhsa_user_sgpr_queue_ptr 0
		.amdhsa_user_sgpr_kernarg_segment_ptr 1
		.amdhsa_user_sgpr_dispatch_id 0
		.amdhsa_user_sgpr_private_segment_size 0
		.amdhsa_wavefront_size32 1
		.amdhsa_uses_dynamic_stack 0
		.amdhsa_enable_private_segment 0
		.amdhsa_system_sgpr_workgroup_id_x 1
		.amdhsa_system_sgpr_workgroup_id_y 0
		.amdhsa_system_sgpr_workgroup_id_z 0
		.amdhsa_system_sgpr_workgroup_info 0
		.amdhsa_system_vgpr_workitem_id 0
		.amdhsa_next_free_vgpr 22
		.amdhsa_next_free_sgpr 68
		.amdhsa_reserve_vcc 1
		.amdhsa_float_round_mode_32 0
		.amdhsa_float_round_mode_16_64 0
		.amdhsa_float_denorm_mode_32 3
		.amdhsa_float_denorm_mode_16_64 3
		.amdhsa_dx10_clamp 1
		.amdhsa_ieee_mode 1
		.amdhsa_fp16_overflow 0
		.amdhsa_workgroup_processor_mode 1
		.amdhsa_memory_ordered 1
		.amdhsa_forward_progress 0
		.amdhsa_shared_vgpr_count 0
		.amdhsa_exception_fp_ieee_invalid_op 0
		.amdhsa_exception_fp_denorm_src 0
		.amdhsa_exception_fp_ieee_div_zero 0
		.amdhsa_exception_fp_ieee_overflow 0
		.amdhsa_exception_fp_ieee_underflow 0
		.amdhsa_exception_fp_ieee_inexact 0
		.amdhsa_exception_int_div_zero 0
	.end_amdhsa_kernel
	.section	.text._ZN2at6native32elementwise_kernel_manual_unrollILi128ELi4EZNS0_15gpu_kernel_implIZZZNS0_17rsqrt_kernel_cudaERNS_18TensorIteratorBaseEENKUlvE_clEvENKUlvE0_clEvEUlN3c107complexIfEEE_EEvS4_RKT_EUlibE0_EEviT1_,"axG",@progbits,_ZN2at6native32elementwise_kernel_manual_unrollILi128ELi4EZNS0_15gpu_kernel_implIZZZNS0_17rsqrt_kernel_cudaERNS_18TensorIteratorBaseEENKUlvE_clEvENKUlvE0_clEvEUlN3c107complexIfEEE_EEvS4_RKT_EUlibE0_EEviT1_,comdat
.Lfunc_end177:
	.size	_ZN2at6native32elementwise_kernel_manual_unrollILi128ELi4EZNS0_15gpu_kernel_implIZZZNS0_17rsqrt_kernel_cudaERNS_18TensorIteratorBaseEENKUlvE_clEvENKUlvE0_clEvEUlN3c107complexIfEEE_EEvS4_RKT_EUlibE0_EEviT1_, .Lfunc_end177-_ZN2at6native32elementwise_kernel_manual_unrollILi128ELi4EZNS0_15gpu_kernel_implIZZZNS0_17rsqrt_kernel_cudaERNS_18TensorIteratorBaseEENKUlvE_clEvENKUlvE0_clEvEUlN3c107complexIfEEE_EEvS4_RKT_EUlibE0_EEviT1_
                                        ; -- End function
	.section	.AMDGPU.csdata,"",@progbits
; Kernel info:
; codeLenInByte = 57776
; NumSgprs: 70
; NumVgprs: 22
; ScratchSize: 0
; MemoryBound: 1
; FloatMode: 240
; IeeeMode: 1
; LDSByteSize: 0 bytes/workgroup (compile time only)
; SGPRBlocks: 8
; VGPRBlocks: 2
; NumSGPRsForWavesPerEU: 70
; NumVGPRsForWavesPerEU: 22
; Occupancy: 16
; WaveLimiterHint : 1
; COMPUTE_PGM_RSRC2:SCRATCH_EN: 0
; COMPUTE_PGM_RSRC2:USER_SGPR: 15
; COMPUTE_PGM_RSRC2:TRAP_HANDLER: 0
; COMPUTE_PGM_RSRC2:TGID_X_EN: 1
; COMPUTE_PGM_RSRC2:TGID_Y_EN: 0
; COMPUTE_PGM_RSRC2:TGID_Z_EN: 0
; COMPUTE_PGM_RSRC2:TIDIG_COMP_CNT: 0
	.section	.text._ZN2at6native29vectorized_elementwise_kernelILi16EZZZNS0_17rsqrt_kernel_cudaERNS_18TensorIteratorBaseEENKUlvE_clEvENKUlvE1_clEvEUlN3c107complexINS6_4HalfEEEE_St5arrayIPcLm2EEEEviT0_T1_,"axG",@progbits,_ZN2at6native29vectorized_elementwise_kernelILi16EZZZNS0_17rsqrt_kernel_cudaERNS_18TensorIteratorBaseEENKUlvE_clEvENKUlvE1_clEvEUlN3c107complexINS6_4HalfEEEE_St5arrayIPcLm2EEEEviT0_T1_,comdat
	.globl	_ZN2at6native29vectorized_elementwise_kernelILi16EZZZNS0_17rsqrt_kernel_cudaERNS_18TensorIteratorBaseEENKUlvE_clEvENKUlvE1_clEvEUlN3c107complexINS6_4HalfEEEE_St5arrayIPcLm2EEEEviT0_T1_ ; -- Begin function _ZN2at6native29vectorized_elementwise_kernelILi16EZZZNS0_17rsqrt_kernel_cudaERNS_18TensorIteratorBaseEENKUlvE_clEvENKUlvE1_clEvEUlN3c107complexINS6_4HalfEEEE_St5arrayIPcLm2EEEEviT0_T1_
	.p2align	8
	.type	_ZN2at6native29vectorized_elementwise_kernelILi16EZZZNS0_17rsqrt_kernel_cudaERNS_18TensorIteratorBaseEENKUlvE_clEvENKUlvE1_clEvEUlN3c107complexINS6_4HalfEEEE_St5arrayIPcLm2EEEEviT0_T1_,@function
_ZN2at6native29vectorized_elementwise_kernelILi16EZZZNS0_17rsqrt_kernel_cudaERNS_18TensorIteratorBaseEENKUlvE_clEvENKUlvE1_clEvEUlN3c107complexINS6_4HalfEEEE_St5arrayIPcLm2EEEEviT0_T1_: ; @_ZN2at6native29vectorized_elementwise_kernelILi16EZZZNS0_17rsqrt_kernel_cudaERNS_18TensorIteratorBaseEENKUlvE_clEvENKUlvE1_clEvEUlN3c107complexINS6_4HalfEEEE_St5arrayIPcLm2EEEEviT0_T1_
; %bb.0:
	s_clause 0x1
	s_load_b32 s2, s[0:1], 0x0
	s_load_b128 s[4:7], s[0:1], 0x8
	s_lshl_b32 s8, s15, 10
	s_mov_b32 s0, -1
	s_waitcnt lgkmcnt(0)
	s_sub_i32 s10, s2, s8
	s_delay_alu instid0(SALU_CYCLE_1)
	s_cmpk_gt_i32 s10, 0x3ff
	s_cbranch_scc0 .LBB178_154
; %bb.1:
	s_ashr_i32 s9, s8, 31
	v_lshlrev_b32_e32 v5, 4, v0
	s_lshl_b64 s[2:3], s[8:9], 2
	v_mov_b32_e32 v9, 0
	s_add_u32 s0, s6, s2
	s_addc_u32 s1, s7, s3
	global_load_b128 v[1:4], v5, s[0:1]
	s_waitcnt vmcnt(0)
	v_lshrrev_b32_e32 v6, 16, v1
	v_cmp_neq_f16_e32 vcc_lo, 0, v1
	s_delay_alu instid0(VALU_DEP_2) | instskip(SKIP_1) | instid1(VALU_DEP_2)
	v_cmp_neq_f16_e64 s0, 0, v6
	v_cvt_f32_f16_e32 v8, v6
	s_or_b32 s0, vcc_lo, s0
	s_delay_alu instid0(SALU_CYCLE_1)
	s_and_saveexec_b32 s9, s0
	s_cbranch_execz .LBB178_31
; %bb.2:
	v_mov_b32_e32 v9, 0x7f800000
	s_mov_b32 s11, exec_lo
	v_cmpx_neq_f32_e64 0x7f800000, |v8|
	s_cbranch_execz .LBB178_30
; %bb.3:
	v_cvt_f32_f16_e32 v9, v1
	s_mov_b32 s0, exec_lo
	v_cmpx_o_f16_e32 v1, v1
	s_xor_b32 s12, exec_lo, s0
	s_cbranch_execz .LBB178_27
; %bb.4:
	s_mov_b32 s1, exec_lo
	v_cmpx_neq_f32_e64 0x7f800000, |v9|
	s_xor_b32 s13, exec_lo, s1
	s_cbranch_execz .LBB178_20
; %bb.5:
	v_max_f32_e64 v6, |v8|, |v8|
	v_max_f32_e64 v7, |v9|, |v9|
                                        ; implicit-def: $sgpr14
	s_delay_alu instid0(VALU_DEP_1) | instskip(NEXT) | instid1(VALU_DEP_1)
	v_max_f32_e32 v6, v7, v6
	v_cmp_nle_f32_e64 s0, 0x7ed413cb, v6
	s_delay_alu instid0(VALU_DEP_1) | instskip(NEXT) | instid1(SALU_CYCLE_1)
	s_and_saveexec_b32 s1, s0
	s_xor_b32 s1, exec_lo, s1
	s_cbranch_execz .LBB178_9
; %bb.6:
	v_cmp_ge_f32_e64 s14, 0x1000000, |v9|
	v_cmp_ge_f32_e64 s15, 0x1000000, |v8|
	s_delay_alu instid0(VALU_DEP_1)
	s_and_b32 s16, s14, s15
	s_mov_b32 s14, 0
	s_and_saveexec_b32 s15, s16
; %bb.7:
	v_dual_mul_f32 v9, 4.0, v9 :: v_dual_mul_f32 v8, 4.0, v8
	s_mov_b32 s14, exec_lo
; %bb.8:
	s_or_b32 exec_lo, exec_lo, s15
	s_delay_alu instid0(SALU_CYCLE_1)
	s_and_b32 s14, s14, exec_lo
.LBB178_9:
	s_and_not1_saveexec_b32 s1, s1
; %bb.10:
	v_dual_mul_f32 v9, 0x3e800000, v9 :: v_dual_mul_f32 v8, 0x3e800000, v8
	s_and_not1_b32 s14, s14, exec_lo
; %bb.11:
	s_or_b32 exec_lo, exec_lo, s1
	s_delay_alu instid0(VALU_DEP_1) | instskip(NEXT) | instid1(VALU_DEP_2)
	v_max_f32_e64 v6, |v8|, |v8|
	v_max_f32_e64 v7, |v9|, |v9|
	s_delay_alu instid0(VALU_DEP_1) | instskip(NEXT) | instid1(VALU_DEP_1)
	v_max_f32_e32 v10, v7, v6
	v_cvt_f64_f32_e32 v[6:7], v10
	v_cmp_neq_f32_e64 s1, 0x7f800000, v10
	s_delay_alu instid0(VALU_DEP_2) | instskip(NEXT) | instid1(VALU_DEP_1)
	v_frexp_exp_i32_f64_e32 v6, v[6:7]
	v_sub_nc_u32_e32 v7, 0, v6
	s_delay_alu instid0(VALU_DEP_1) | instskip(SKIP_1) | instid1(VALU_DEP_2)
	v_ldexp_f32 v11, |v8|, v7
	v_ldexp_f32 v7, |v9|, v7
	v_mul_f32_e32 v11, v11, v11
	s_delay_alu instid0(VALU_DEP_1) | instskip(NEXT) | instid1(VALU_DEP_1)
	v_fmac_f32_e32 v11, v7, v7
	v_sqrt_f32_e32 v7, v11
	s_waitcnt_depctr 0xfff
	v_ldexp_f32 v6, v7, v6
                                        ; implicit-def: $vgpr7
	s_delay_alu instid0(VALU_DEP_1)
	v_cndmask_b32_e64 v10, 0x7f800000, v6, s1
                                        ; implicit-def: $vgpr6
	s_mov_b32 s1, exec_lo
	v_cmpx_le_f32_e32 0, v9
	s_xor_b32 s15, exec_lo, s1
	s_cbranch_execz .LBB178_13
; %bb.12:
	v_add_f32_e32 v6, v9, v10
	s_delay_alu instid0(VALU_DEP_1) | instskip(NEXT) | instid1(VALU_DEP_1)
	v_mul_f32_e32 v6, 0.5, v6
	v_mul_f32_e32 v7, 0x4f800000, v6
	v_cmp_gt_f32_e32 vcc_lo, 0xf800000, v6
	s_delay_alu instid0(VALU_DEP_2) | instskip(NEXT) | instid1(VALU_DEP_1)
	v_cndmask_b32_e32 v6, v6, v7, vcc_lo
	v_sqrt_f32_e32 v7, v6
	s_waitcnt_depctr 0xfff
	v_add_nc_u32_e32 v9, -1, v7
	v_add_nc_u32_e32 v10, 1, v7
	s_delay_alu instid0(VALU_DEP_2) | instskip(NEXT) | instid1(VALU_DEP_2)
	v_fma_f32 v11, -v9, v7, v6
	v_fma_f32 v12, -v10, v7, v6
	s_delay_alu instid0(VALU_DEP_2) | instskip(NEXT) | instid1(VALU_DEP_1)
	v_cmp_ge_f32_e64 s1, 0, v11
	v_cndmask_b32_e64 v7, v7, v9, s1
	s_delay_alu instid0(VALU_DEP_3) | instskip(NEXT) | instid1(VALU_DEP_1)
	v_cmp_lt_f32_e64 s1, 0, v12
	v_cndmask_b32_e64 v7, v7, v10, s1
	s_delay_alu instid0(VALU_DEP_1) | instskip(NEXT) | instid1(VALU_DEP_1)
	v_mul_f32_e32 v9, 0x37800000, v7
	v_cndmask_b32_e32 v7, v7, v9, vcc_lo
	v_cmp_class_f32_e64 vcc_lo, v6, 0x260
	s_delay_alu instid0(VALU_DEP_2) | instskip(NEXT) | instid1(VALU_DEP_1)
	v_cndmask_b32_e32 v6, v7, v6, vcc_lo
	v_add_f32_e32 v7, v6, v6
	s_delay_alu instid0(VALU_DEP_1) | instskip(NEXT) | instid1(VALU_DEP_1)
	v_div_scale_f32 v9, null, v7, v7, v8
	v_rcp_f32_e32 v10, v9
	s_waitcnt_depctr 0xfff
	v_fma_f32 v11, -v9, v10, 1.0
	s_delay_alu instid0(VALU_DEP_1) | instskip(SKIP_1) | instid1(VALU_DEP_1)
	v_fmac_f32_e32 v10, v11, v10
	v_div_scale_f32 v11, vcc_lo, v8, v7, v8
	v_mul_f32_e32 v12, v11, v10
	s_delay_alu instid0(VALU_DEP_1) | instskip(NEXT) | instid1(VALU_DEP_1)
	v_fma_f32 v13, -v9, v12, v11
	v_fmac_f32_e32 v12, v13, v10
	s_delay_alu instid0(VALU_DEP_1) | instskip(NEXT) | instid1(VALU_DEP_1)
	v_fma_f32 v9, -v9, v12, v11
	v_div_fmas_f32 v9, v9, v10, v12
                                        ; implicit-def: $vgpr10
	s_delay_alu instid0(VALU_DEP_1)
	v_div_fixup_f32 v7, v9, v7, v8
                                        ; implicit-def: $vgpr9
                                        ; implicit-def: $vgpr8
	s_and_not1_saveexec_b32 s15, s15
	s_cbranch_execz .LBB178_15
	s_branch .LBB178_14
.LBB178_13:
	s_and_not1_saveexec_b32 s15, s15
	s_cbranch_execz .LBB178_15
.LBB178_14:
	v_sub_f32_e32 v6, v10, v9
	s_delay_alu instid0(VALU_DEP_1) | instskip(NEXT) | instid1(VALU_DEP_1)
	v_mul_f32_e32 v6, 0.5, v6
	v_mul_f32_e32 v7, 0x4f800000, v6
	v_cmp_gt_f32_e32 vcc_lo, 0xf800000, v6
	s_delay_alu instid0(VALU_DEP_2) | instskip(NEXT) | instid1(VALU_DEP_1)
	v_cndmask_b32_e32 v6, v6, v7, vcc_lo
	v_sqrt_f32_e32 v7, v6
	s_waitcnt_depctr 0xfff
	v_add_nc_u32_e32 v9, -1, v7
	v_add_nc_u32_e32 v10, 1, v7
	s_delay_alu instid0(VALU_DEP_2) | instskip(NEXT) | instid1(VALU_DEP_2)
	v_fma_f32 v11, -v9, v7, v6
	v_fma_f32 v12, -v10, v7, v6
	s_delay_alu instid0(VALU_DEP_2) | instskip(NEXT) | instid1(VALU_DEP_1)
	v_cmp_ge_f32_e64 s1, 0, v11
	v_cndmask_b32_e64 v7, v7, v9, s1
	s_delay_alu instid0(VALU_DEP_3) | instskip(NEXT) | instid1(VALU_DEP_1)
	v_cmp_lt_f32_e64 s1, 0, v12
	v_cndmask_b32_e64 v7, v7, v10, s1
	s_delay_alu instid0(VALU_DEP_1) | instskip(NEXT) | instid1(VALU_DEP_1)
	v_mul_f32_e32 v9, 0x37800000, v7
	v_cndmask_b32_e32 v7, v7, v9, vcc_lo
	v_cmp_class_f32_e64 vcc_lo, v6, 0x260
	s_delay_alu instid0(VALU_DEP_2) | instskip(NEXT) | instid1(VALU_DEP_1)
	v_dual_cndmask_b32 v7, v7, v6 :: v_dual_and_b32 v6, 0x7fffffff, v8
	v_add_f32_e32 v9, v7, v7
	v_bfi_b32 v7, 0x7fffffff, v7, v8
	s_delay_alu instid0(VALU_DEP_2) | instskip(SKIP_1) | instid1(VALU_DEP_2)
	v_div_scale_f32 v10, null, v9, v9, v6
	v_div_scale_f32 v6, vcc_lo, v6, v9, v6
	v_rcp_f32_e32 v11, v10
	s_waitcnt_depctr 0xfff
	v_fma_f32 v12, -v10, v11, 1.0
	s_delay_alu instid0(VALU_DEP_1) | instskip(NEXT) | instid1(VALU_DEP_1)
	v_fmac_f32_e32 v11, v12, v11
	v_mul_f32_e32 v12, v6, v11
	s_delay_alu instid0(VALU_DEP_1) | instskip(NEXT) | instid1(VALU_DEP_1)
	v_fma_f32 v13, -v10, v12, v6
	v_fmac_f32_e32 v12, v13, v11
	s_delay_alu instid0(VALU_DEP_1) | instskip(NEXT) | instid1(VALU_DEP_1)
	v_fma_f32 v6, -v10, v12, v6
	v_div_fmas_f32 v6, v6, v11, v12
	s_delay_alu instid0(VALU_DEP_1)
	v_div_fixup_f32 v6, v6, v9, |v8|
.LBB178_15:
	s_or_b32 exec_lo, exec_lo, s15
                                        ; implicit-def: $vgpr8
                                        ; implicit-def: $vgpr9
	s_and_saveexec_b32 s1, s0
	s_delay_alu instid0(SALU_CYCLE_1)
	s_xor_b32 s0, exec_lo, s1
	s_cbranch_execz .LBB178_17
; %bb.16:
	v_mul_f32_e32 v8, 0.5, v6
	v_mul_f32_e32 v10, 0.5, v7
	s_delay_alu instid0(VALU_DEP_2) | instskip(NEXT) | instid1(VALU_DEP_2)
	v_cndmask_b32_e64 v9, v6, v8, s14
	v_cndmask_b32_e64 v8, v7, v10, s14
                                        ; implicit-def: $vgpr6
                                        ; implicit-def: $vgpr7
	s_and_not1_saveexec_b32 s0, s0
	s_cbranch_execnz .LBB178_18
	s_branch .LBB178_19
.LBB178_17:
	s_and_not1_saveexec_b32 s0, s0
.LBB178_18:
	v_dual_add_f32 v9, v6, v6 :: v_dual_add_f32 v8, v7, v7
.LBB178_19:
	s_or_b32 exec_lo, exec_lo, s0
.LBB178_20:
	s_and_not1_saveexec_b32 s0, s13
	s_cbranch_execz .LBB178_26
; %bb.21:
	v_cmp_lt_i16_e32 vcc_lo, -1, v1
	v_sub_f32_e32 v1, v8, v8
	s_and_saveexec_b32 s1, vcc_lo
	s_delay_alu instid0(SALU_CYCLE_1)
	s_xor_b32 s1, exec_lo, s1
; %bb.22:
	s_delay_alu instid0(VALU_DEP_1)
	v_bfi_b32 v8, 0x7fffffff, v1, v8
                                        ; implicit-def: $vgpr1
; %bb.23:
	s_and_not1_saveexec_b32 s1, s1
; %bb.24:
	v_and_b32_e32 v1, 0x7fffffff, v1
	s_delay_alu instid0(VALU_DEP_2) | instskip(NEXT) | instid1(VALU_DEP_2)
	v_bfi_b32 v8, 0x7fffffff, v9, v8
	v_mov_b32_e32 v9, v1
; %bb.25:
	s_or_b32 exec_lo, exec_lo, s1
.LBB178_26:
	s_delay_alu instid0(SALU_CYCLE_1)
	s_or_b32 exec_lo, exec_lo, s0
.LBB178_27:
	s_and_not1_saveexec_b32 s0, s12
; %bb.28:
	v_sub_f32_e32 v1, v8, v8
	s_delay_alu instid0(VALU_DEP_1) | instskip(NEXT) | instid1(VALU_DEP_1)
	v_div_scale_f32 v6, vcc_lo, v1, v1, v1
	v_rcp_f32_e32 v7, v6
	s_waitcnt_depctr 0xfff
	v_fma_f32 v8, -v6, v7, 1.0
	s_delay_alu instid0(VALU_DEP_1) | instskip(NEXT) | instid1(VALU_DEP_1)
	v_fmac_f32_e32 v7, v8, v7
	v_mul_f32_e32 v8, v6, v7
	s_delay_alu instid0(VALU_DEP_1) | instskip(NEXT) | instid1(VALU_DEP_1)
	v_fma_f32 v10, -v6, v8, v6
	v_fmac_f32_e32 v8, v10, v7
	s_delay_alu instid0(VALU_DEP_1) | instskip(NEXT) | instid1(VALU_DEP_1)
	v_fma_f32 v6, -v6, v8, v6
	v_div_fmas_f32 v6, v6, v7, v8
	s_delay_alu instid0(VALU_DEP_1)
	v_div_fixup_f32 v8, v6, v1, v1
; %bb.29:
	s_or_b32 exec_lo, exec_lo, s0
.LBB178_30:
	s_delay_alu instid0(SALU_CYCLE_1)
	s_or_b32 exec_lo, exec_lo, s11
.LBB178_31:
	s_delay_alu instid0(SALU_CYCLE_1)
	s_or_b32 exec_lo, exec_lo, s9
	v_cmp_gt_f32_e32 vcc_lo, 0, v9
                                        ; implicit-def: $vgpr7
                                        ; implicit-def: $vgpr6
	s_mov_b32 s0, exec_lo
	v_cndmask_b32_e64 v1, v9, -v9, vcc_lo
	v_cmp_gt_f32_e32 vcc_lo, 0, v8
	v_cndmask_b32_e64 v10, v8, -v8, vcc_lo
	s_delay_alu instid0(VALU_DEP_1)
	v_cmpx_ge_f32_e32 v1, v10
	s_xor_b32 s1, exec_lo, s0
	s_cbranch_execz .LBB178_37
; %bb.32:
	v_cmp_neq_f32_e32 vcc_lo, 0, v9
	v_cmp_neq_f32_e64 s0, 0, v8
                                        ; implicit-def: $vgpr7
                                        ; implicit-def: $vgpr6
	s_delay_alu instid0(VALU_DEP_1) | instskip(NEXT) | instid1(SALU_CYCLE_1)
	s_or_b32 s0, vcc_lo, s0
	s_and_saveexec_b32 s9, s0
	s_delay_alu instid0(SALU_CYCLE_1)
	s_xor_b32 s0, exec_lo, s9
	s_cbranch_execz .LBB178_34
; %bb.33:
	v_div_scale_f32 v1, null, v9, v9, v8
	v_div_scale_f32 v10, vcc_lo, v8, v9, v8
	s_delay_alu instid0(VALU_DEP_2) | instskip(SKIP_2) | instid1(VALU_DEP_1)
	v_rcp_f32_e32 v6, v1
	s_waitcnt_depctr 0xfff
	v_fma_f32 v7, -v1, v6, 1.0
	v_fmac_f32_e32 v6, v7, v6
	s_delay_alu instid0(VALU_DEP_1) | instskip(NEXT) | instid1(VALU_DEP_1)
	v_mul_f32_e32 v7, v10, v6
	v_fma_f32 v11, -v1, v7, v10
	s_delay_alu instid0(VALU_DEP_1) | instskip(NEXT) | instid1(VALU_DEP_1)
	v_fmac_f32_e32 v7, v11, v6
	v_fma_f32 v1, -v1, v7, v10
	s_delay_alu instid0(VALU_DEP_1) | instskip(NEXT) | instid1(VALU_DEP_1)
	v_div_fmas_f32 v1, v1, v6, v7
	v_div_fixup_f32 v1, v1, v9, v8
	s_delay_alu instid0(VALU_DEP_1) | instskip(NEXT) | instid1(VALU_DEP_1)
	v_fmac_f32_e32 v9, v8, v1
	v_div_scale_f32 v6, null, v9, v9, 1.0
	v_div_scale_f32 v10, vcc_lo, 1.0, v9, 1.0
	s_delay_alu instid0(VALU_DEP_2) | instskip(SKIP_2) | instid1(VALU_DEP_1)
	v_rcp_f32_e32 v7, v6
	s_waitcnt_depctr 0xfff
	v_fma_f32 v8, -v6, v7, 1.0
	v_fmac_f32_e32 v7, v8, v7
	s_delay_alu instid0(VALU_DEP_1) | instskip(NEXT) | instid1(VALU_DEP_1)
	v_mul_f32_e32 v8, v10, v7
	v_fma_f32 v11, -v6, v8, v10
	s_delay_alu instid0(VALU_DEP_1) | instskip(NEXT) | instid1(VALU_DEP_1)
	v_fmac_f32_e32 v8, v11, v7
	v_fma_f32 v6, -v6, v8, v10
                                        ; implicit-def: $vgpr10
	s_delay_alu instid0(VALU_DEP_1) | instskip(SKIP_1) | instid1(VALU_DEP_2)
	v_div_fmas_f32 v6, v6, v7, v8
	v_fma_f32 v7, v1, 0, 1.0
	v_div_fixup_f32 v8, v6, v9, 1.0
	s_delay_alu instid0(VALU_DEP_1)
	v_mul_f32_e32 v6, v7, v8
	v_mul_f32_e64 v7, -v1, v8
                                        ; implicit-def: $vgpr1
.LBB178_34:
	s_and_not1_saveexec_b32 s9, s0
	s_cbranch_execz .LBB178_36
; %bb.35:
	v_div_scale_f32 v6, null, v1, v1, 1.0
	v_div_scale_f32 v7, null, v10, v10, 0
	v_div_scale_f32 v13, vcc_lo, 1.0, v1, 1.0
	s_delay_alu instid0(VALU_DEP_3) | instskip(NEXT) | instid1(VALU_DEP_2)
	v_rcp_f32_e32 v8, v6
	v_rcp_f32_e32 v9, v7
	s_waitcnt_depctr 0xfff
	v_fma_f32 v11, -v6, v8, 1.0
	v_fma_f32 v12, -v7, v9, 1.0
	s_delay_alu instid0(VALU_DEP_1) | instskip(SKIP_1) | instid1(VALU_DEP_2)
	v_dual_fmac_f32 v8, v11, v8 :: v_dual_fmac_f32 v9, v12, v9
	v_div_scale_f32 v11, s0, 0, v10, 0
	v_mul_f32_e32 v12, v13, v8
	s_delay_alu instid0(VALU_DEP_2) | instskip(NEXT) | instid1(VALU_DEP_2)
	v_mul_f32_e32 v14, v11, v9
	v_fma_f32 v15, -v6, v12, v13
	s_delay_alu instid0(VALU_DEP_2) | instskip(NEXT) | instid1(VALU_DEP_2)
	v_fma_f32 v16, -v7, v14, v11
	v_fmac_f32_e32 v12, v15, v8
	s_delay_alu instid0(VALU_DEP_2) | instskip(NEXT) | instid1(VALU_DEP_2)
	v_fmac_f32_e32 v14, v16, v9
	v_fma_f32 v6, -v6, v12, v13
	s_delay_alu instid0(VALU_DEP_2) | instskip(NEXT) | instid1(VALU_DEP_2)
	v_fma_f32 v7, -v7, v14, v11
	v_div_fmas_f32 v6, v6, v8, v12
	s_mov_b32 vcc_lo, s0
	s_delay_alu instid0(VALU_DEP_2) | instskip(NEXT) | instid1(VALU_DEP_2)
	v_div_fmas_f32 v7, v7, v9, v14
	v_div_fixup_f32 v6, v6, v1, 1.0
	s_delay_alu instid0(VALU_DEP_2)
	v_div_fixup_f32 v7, v7, v10, 0
.LBB178_36:
	s_or_b32 exec_lo, exec_lo, s9
                                        ; implicit-def: $vgpr8
                                        ; implicit-def: $vgpr9
.LBB178_37:
	s_and_not1_saveexec_b32 s0, s1
	s_cbranch_execz .LBB178_39
; %bb.38:
	v_div_scale_f32 v1, null, v8, v8, v9
	v_div_scale_f32 v10, vcc_lo, v9, v8, v9
	s_delay_alu instid0(VALU_DEP_2) | instskip(SKIP_2) | instid1(VALU_DEP_1)
	v_rcp_f32_e32 v6, v1
	s_waitcnt_depctr 0xfff
	v_fma_f32 v7, -v1, v6, 1.0
	v_fmac_f32_e32 v6, v7, v6
	s_delay_alu instid0(VALU_DEP_1) | instskip(NEXT) | instid1(VALU_DEP_1)
	v_mul_f32_e32 v7, v10, v6
	v_fma_f32 v11, -v1, v7, v10
	s_delay_alu instid0(VALU_DEP_1) | instskip(NEXT) | instid1(VALU_DEP_1)
	v_fmac_f32_e32 v7, v11, v6
	v_fma_f32 v1, -v1, v7, v10
	s_delay_alu instid0(VALU_DEP_1) | instskip(NEXT) | instid1(VALU_DEP_1)
	v_div_fmas_f32 v1, v1, v6, v7
	v_div_fixup_f32 v1, v1, v8, v9
	s_delay_alu instid0(VALU_DEP_1) | instskip(NEXT) | instid1(VALU_DEP_1)
	v_fmac_f32_e32 v8, v9, v1
	v_div_scale_f32 v6, null, v8, v8, 1.0
	v_div_scale_f32 v10, vcc_lo, 1.0, v8, 1.0
	s_delay_alu instid0(VALU_DEP_2) | instskip(SKIP_2) | instid1(VALU_DEP_1)
	v_rcp_f32_e32 v7, v6
	s_waitcnt_depctr 0xfff
	v_fma_f32 v9, -v6, v7, 1.0
	v_fmac_f32_e32 v7, v9, v7
	s_delay_alu instid0(VALU_DEP_1) | instskip(NEXT) | instid1(VALU_DEP_1)
	v_mul_f32_e32 v9, v10, v7
	v_fma_f32 v11, -v6, v9, v10
	s_delay_alu instid0(VALU_DEP_1) | instskip(NEXT) | instid1(VALU_DEP_1)
	v_fmac_f32_e32 v9, v11, v7
	v_fma_f32 v6, -v6, v9, v10
	s_delay_alu instid0(VALU_DEP_1) | instskip(SKIP_2) | instid1(VALU_DEP_3)
	v_div_fmas_f32 v6, v6, v7, v9
	v_add_f32_e32 v7, 0, v1
	v_fma_f32 v1, v1, 0, -1.0
	v_div_fixup_f32 v8, v6, v8, 1.0
	s_delay_alu instid0(VALU_DEP_1) | instskip(NEXT) | instid1(VALU_DEP_3)
	v_mul_f32_e32 v6, v7, v8
	v_mul_f32_e32 v7, v1, v8
.LBB178_39:
	s_or_b32 exec_lo, exec_lo, s0
	v_lshrrev_b32_e32 v1, 16, v2
	v_cmp_neq_f16_e32 vcc_lo, 0, v2
	v_mov_b32_e32 v10, 0
	s_delay_alu instid0(VALU_DEP_3) | instskip(SKIP_1) | instid1(VALU_DEP_2)
	v_cmp_neq_f16_e64 s0, 0, v1
	v_cvt_f32_f16_e32 v1, v1
	s_or_b32 s0, vcc_lo, s0
	s_delay_alu instid0(SALU_CYCLE_1)
	s_and_saveexec_b32 s9, s0
	s_cbranch_execz .LBB178_69
; %bb.40:
	v_mov_b32_e32 v10, 0x7f800000
	s_mov_b32 s11, exec_lo
	v_cmpx_neq_f32_e64 0x7f800000, |v1|
	s_cbranch_execz .LBB178_68
; %bb.41:
	v_cvt_f32_f16_e32 v10, v2
	s_mov_b32 s0, exec_lo
	v_cmpx_o_f16_e32 v2, v2
	s_xor_b32 s12, exec_lo, s0
	s_cbranch_execz .LBB178_65
; %bb.42:
	s_mov_b32 s1, exec_lo
	v_cmpx_neq_f32_e64 0x7f800000, |v10|
	s_xor_b32 s13, exec_lo, s1
	s_cbranch_execz .LBB178_58
; %bb.43:
	v_max_f32_e64 v8, |v1|, |v1|
	v_max_f32_e64 v9, |v10|, |v10|
                                        ; implicit-def: $sgpr14
	s_delay_alu instid0(VALU_DEP_1) | instskip(NEXT) | instid1(VALU_DEP_1)
	v_max_f32_e32 v8, v9, v8
	v_cmp_nle_f32_e64 s0, 0x7ed413cb, v8
	s_delay_alu instid0(VALU_DEP_1) | instskip(NEXT) | instid1(SALU_CYCLE_1)
	s_and_saveexec_b32 s1, s0
	s_xor_b32 s1, exec_lo, s1
	s_cbranch_execz .LBB178_47
; %bb.44:
	v_cmp_ge_f32_e64 s14, 0x1000000, |v10|
	v_cmp_ge_f32_e64 s15, 0x1000000, |v1|
	s_delay_alu instid0(VALU_DEP_1)
	s_and_b32 s16, s14, s15
	s_mov_b32 s14, 0
	s_and_saveexec_b32 s15, s16
; %bb.45:
	v_dual_mul_f32 v10, 4.0, v10 :: v_dual_mul_f32 v1, 4.0, v1
	s_mov_b32 s14, exec_lo
; %bb.46:
	s_or_b32 exec_lo, exec_lo, s15
	s_delay_alu instid0(SALU_CYCLE_1)
	s_and_b32 s14, s14, exec_lo
.LBB178_47:
	s_and_not1_saveexec_b32 s1, s1
; %bb.48:
	v_dual_mul_f32 v10, 0x3e800000, v10 :: v_dual_mul_f32 v1, 0x3e800000, v1
	s_and_not1_b32 s14, s14, exec_lo
; %bb.49:
	s_or_b32 exec_lo, exec_lo, s1
	s_delay_alu instid0(VALU_DEP_1) | instskip(NEXT) | instid1(VALU_DEP_2)
	v_max_f32_e64 v8, |v1|, |v1|
	v_max_f32_e64 v9, |v10|, |v10|
	s_delay_alu instid0(VALU_DEP_1) | instskip(NEXT) | instid1(VALU_DEP_1)
	v_max_f32_e32 v11, v9, v8
	v_cvt_f64_f32_e32 v[8:9], v11
	v_cmp_neq_f32_e64 s1, 0x7f800000, v11
	s_delay_alu instid0(VALU_DEP_2) | instskip(NEXT) | instid1(VALU_DEP_1)
	v_frexp_exp_i32_f64_e32 v8, v[8:9]
	v_sub_nc_u32_e32 v9, 0, v8
	s_delay_alu instid0(VALU_DEP_1) | instskip(SKIP_1) | instid1(VALU_DEP_2)
	v_ldexp_f32 v12, |v1|, v9
	v_ldexp_f32 v9, |v10|, v9
	v_mul_f32_e32 v12, v12, v12
	s_delay_alu instid0(VALU_DEP_1) | instskip(NEXT) | instid1(VALU_DEP_1)
	v_fmac_f32_e32 v12, v9, v9
	v_sqrt_f32_e32 v9, v12
	s_waitcnt_depctr 0xfff
	v_ldexp_f32 v8, v9, v8
                                        ; implicit-def: $vgpr9
	s_delay_alu instid0(VALU_DEP_1)
	v_cndmask_b32_e64 v11, 0x7f800000, v8, s1
                                        ; implicit-def: $vgpr8
	s_mov_b32 s1, exec_lo
	v_cmpx_le_f32_e32 0, v10
	s_xor_b32 s15, exec_lo, s1
	s_cbranch_execz .LBB178_51
; %bb.50:
	v_add_f32_e32 v8, v10, v11
	s_delay_alu instid0(VALU_DEP_1) | instskip(NEXT) | instid1(VALU_DEP_1)
	v_mul_f32_e32 v8, 0.5, v8
	v_mul_f32_e32 v9, 0x4f800000, v8
	v_cmp_gt_f32_e32 vcc_lo, 0xf800000, v8
	s_delay_alu instid0(VALU_DEP_2) | instskip(NEXT) | instid1(VALU_DEP_1)
	v_cndmask_b32_e32 v8, v8, v9, vcc_lo
	v_sqrt_f32_e32 v9, v8
	s_waitcnt_depctr 0xfff
	v_add_nc_u32_e32 v10, -1, v9
	v_add_nc_u32_e32 v11, 1, v9
	s_delay_alu instid0(VALU_DEP_2) | instskip(NEXT) | instid1(VALU_DEP_2)
	v_fma_f32 v12, -v10, v9, v8
	v_fma_f32 v13, -v11, v9, v8
	s_delay_alu instid0(VALU_DEP_2) | instskip(NEXT) | instid1(VALU_DEP_1)
	v_cmp_ge_f32_e64 s1, 0, v12
	v_cndmask_b32_e64 v9, v9, v10, s1
	s_delay_alu instid0(VALU_DEP_3) | instskip(NEXT) | instid1(VALU_DEP_1)
	v_cmp_lt_f32_e64 s1, 0, v13
	v_cndmask_b32_e64 v9, v9, v11, s1
	s_delay_alu instid0(VALU_DEP_1) | instskip(NEXT) | instid1(VALU_DEP_1)
	v_mul_f32_e32 v10, 0x37800000, v9
	v_cndmask_b32_e32 v9, v9, v10, vcc_lo
	v_cmp_class_f32_e64 vcc_lo, v8, 0x260
	s_delay_alu instid0(VALU_DEP_2) | instskip(NEXT) | instid1(VALU_DEP_1)
	v_cndmask_b32_e32 v8, v9, v8, vcc_lo
	v_add_f32_e32 v9, v8, v8
	s_delay_alu instid0(VALU_DEP_1) | instskip(NEXT) | instid1(VALU_DEP_1)
	v_div_scale_f32 v10, null, v9, v9, v1
	v_rcp_f32_e32 v11, v10
	s_waitcnt_depctr 0xfff
	v_fma_f32 v12, -v10, v11, 1.0
	s_delay_alu instid0(VALU_DEP_1) | instskip(SKIP_1) | instid1(VALU_DEP_1)
	v_fmac_f32_e32 v11, v12, v11
	v_div_scale_f32 v12, vcc_lo, v1, v9, v1
	v_mul_f32_e32 v13, v12, v11
	s_delay_alu instid0(VALU_DEP_1) | instskip(NEXT) | instid1(VALU_DEP_1)
	v_fma_f32 v14, -v10, v13, v12
	v_fmac_f32_e32 v13, v14, v11
	s_delay_alu instid0(VALU_DEP_1) | instskip(NEXT) | instid1(VALU_DEP_1)
	v_fma_f32 v10, -v10, v13, v12
	v_div_fmas_f32 v10, v10, v11, v13
                                        ; implicit-def: $vgpr11
	s_delay_alu instid0(VALU_DEP_1)
	v_div_fixup_f32 v9, v10, v9, v1
                                        ; implicit-def: $vgpr10
                                        ; implicit-def: $vgpr1
	s_and_not1_saveexec_b32 s15, s15
	s_cbranch_execz .LBB178_53
	s_branch .LBB178_52
.LBB178_51:
	s_and_not1_saveexec_b32 s15, s15
	s_cbranch_execz .LBB178_53
.LBB178_52:
	v_sub_f32_e32 v8, v11, v10
	s_delay_alu instid0(VALU_DEP_1) | instskip(NEXT) | instid1(VALU_DEP_1)
	v_mul_f32_e32 v8, 0.5, v8
	v_mul_f32_e32 v9, 0x4f800000, v8
	v_cmp_gt_f32_e32 vcc_lo, 0xf800000, v8
	s_delay_alu instid0(VALU_DEP_2) | instskip(NEXT) | instid1(VALU_DEP_1)
	v_cndmask_b32_e32 v8, v8, v9, vcc_lo
	v_sqrt_f32_e32 v9, v8
	s_waitcnt_depctr 0xfff
	v_add_nc_u32_e32 v10, -1, v9
	v_add_nc_u32_e32 v11, 1, v9
	s_delay_alu instid0(VALU_DEP_2) | instskip(NEXT) | instid1(VALU_DEP_2)
	v_fma_f32 v12, -v10, v9, v8
	v_fma_f32 v13, -v11, v9, v8
	s_delay_alu instid0(VALU_DEP_2) | instskip(NEXT) | instid1(VALU_DEP_1)
	v_cmp_ge_f32_e64 s1, 0, v12
	v_cndmask_b32_e64 v9, v9, v10, s1
	s_delay_alu instid0(VALU_DEP_3) | instskip(NEXT) | instid1(VALU_DEP_1)
	v_cmp_lt_f32_e64 s1, 0, v13
	v_cndmask_b32_e64 v9, v9, v11, s1
	s_delay_alu instid0(VALU_DEP_1) | instskip(NEXT) | instid1(VALU_DEP_1)
	v_mul_f32_e32 v10, 0x37800000, v9
	v_cndmask_b32_e32 v9, v9, v10, vcc_lo
	v_cmp_class_f32_e64 vcc_lo, v8, 0x260
	s_delay_alu instid0(VALU_DEP_2) | instskip(NEXT) | instid1(VALU_DEP_1)
	v_dual_cndmask_b32 v9, v9, v8 :: v_dual_and_b32 v8, 0x7fffffff, v1
	v_add_f32_e32 v10, v9, v9
	v_bfi_b32 v9, 0x7fffffff, v9, v1
	s_delay_alu instid0(VALU_DEP_2) | instskip(SKIP_1) | instid1(VALU_DEP_2)
	v_div_scale_f32 v11, null, v10, v10, v8
	v_div_scale_f32 v8, vcc_lo, v8, v10, v8
	v_rcp_f32_e32 v12, v11
	s_waitcnt_depctr 0xfff
	v_fma_f32 v13, -v11, v12, 1.0
	s_delay_alu instid0(VALU_DEP_1) | instskip(NEXT) | instid1(VALU_DEP_1)
	v_fmac_f32_e32 v12, v13, v12
	v_mul_f32_e32 v13, v8, v12
	s_delay_alu instid0(VALU_DEP_1) | instskip(NEXT) | instid1(VALU_DEP_1)
	v_fma_f32 v14, -v11, v13, v8
	v_fmac_f32_e32 v13, v14, v12
	s_delay_alu instid0(VALU_DEP_1) | instskip(NEXT) | instid1(VALU_DEP_1)
	v_fma_f32 v8, -v11, v13, v8
	v_div_fmas_f32 v8, v8, v12, v13
	s_delay_alu instid0(VALU_DEP_1)
	v_div_fixup_f32 v8, v8, v10, |v1|
.LBB178_53:
	s_or_b32 exec_lo, exec_lo, s15
                                        ; implicit-def: $vgpr1
                                        ; implicit-def: $vgpr10
	s_and_saveexec_b32 s1, s0
	s_delay_alu instid0(SALU_CYCLE_1)
	s_xor_b32 s0, exec_lo, s1
	s_cbranch_execz .LBB178_55
; %bb.54:
	v_mul_f32_e32 v1, 0.5, v8
	v_mul_f32_e32 v11, 0.5, v9
	s_delay_alu instid0(VALU_DEP_2) | instskip(NEXT) | instid1(VALU_DEP_2)
	v_cndmask_b32_e64 v10, v8, v1, s14
	v_cndmask_b32_e64 v1, v9, v11, s14
                                        ; implicit-def: $vgpr8
                                        ; implicit-def: $vgpr9
	s_and_not1_saveexec_b32 s0, s0
	s_cbranch_execnz .LBB178_56
	s_branch .LBB178_57
.LBB178_55:
	s_and_not1_saveexec_b32 s0, s0
.LBB178_56:
	v_dual_add_f32 v10, v8, v8 :: v_dual_add_f32 v1, v9, v9
.LBB178_57:
	s_or_b32 exec_lo, exec_lo, s0
.LBB178_58:
	s_and_not1_saveexec_b32 s0, s13
	s_cbranch_execz .LBB178_64
; %bb.59:
	v_cmp_lt_i16_e32 vcc_lo, -1, v2
	v_sub_f32_e32 v2, v1, v1
	s_and_saveexec_b32 s1, vcc_lo
	s_delay_alu instid0(SALU_CYCLE_1)
	s_xor_b32 s1, exec_lo, s1
; %bb.60:
	s_delay_alu instid0(VALU_DEP_1)
	v_bfi_b32 v1, 0x7fffffff, v2, v1
                                        ; implicit-def: $vgpr2
; %bb.61:
	s_and_not1_saveexec_b32 s1, s1
; %bb.62:
	v_and_b32_e32 v2, 0x7fffffff, v2
	s_delay_alu instid0(VALU_DEP_2) | instskip(NEXT) | instid1(VALU_DEP_2)
	v_bfi_b32 v1, 0x7fffffff, v10, v1
	v_mov_b32_e32 v10, v2
; %bb.63:
	s_or_b32 exec_lo, exec_lo, s1
.LBB178_64:
	s_delay_alu instid0(SALU_CYCLE_1)
	s_or_b32 exec_lo, exec_lo, s0
.LBB178_65:
	s_and_not1_saveexec_b32 s0, s12
; %bb.66:
	v_sub_f32_e32 v1, v1, v1
	s_delay_alu instid0(VALU_DEP_1) | instskip(NEXT) | instid1(VALU_DEP_1)
	v_div_scale_f32 v2, vcc_lo, v1, v1, v1
	v_rcp_f32_e32 v8, v2
	s_waitcnt_depctr 0xfff
	v_fma_f32 v9, -v2, v8, 1.0
	s_delay_alu instid0(VALU_DEP_1) | instskip(NEXT) | instid1(VALU_DEP_1)
	v_fmac_f32_e32 v8, v9, v8
	v_mul_f32_e32 v9, v2, v8
	s_delay_alu instid0(VALU_DEP_1) | instskip(NEXT) | instid1(VALU_DEP_1)
	v_fma_f32 v11, -v2, v9, v2
	v_fmac_f32_e32 v9, v11, v8
	s_delay_alu instid0(VALU_DEP_1) | instskip(NEXT) | instid1(VALU_DEP_1)
	v_fma_f32 v2, -v2, v9, v2
	v_div_fmas_f32 v2, v2, v8, v9
	s_delay_alu instid0(VALU_DEP_1)
	v_div_fixup_f32 v1, v2, v1, v1
; %bb.67:
	s_or_b32 exec_lo, exec_lo, s0
.LBB178_68:
	s_delay_alu instid0(SALU_CYCLE_1)
	s_or_b32 exec_lo, exec_lo, s11
.LBB178_69:
	s_delay_alu instid0(SALU_CYCLE_1)
	s_or_b32 exec_lo, exec_lo, s9
	v_cmp_gt_f32_e32 vcc_lo, 0, v10
                                        ; implicit-def: $vgpr9
                                        ; implicit-def: $vgpr8
	s_mov_b32 s0, exec_lo
	v_cndmask_b32_e64 v2, v10, -v10, vcc_lo
	v_cmp_gt_f32_e32 vcc_lo, 0, v1
	v_cndmask_b32_e64 v11, v1, -v1, vcc_lo
	s_delay_alu instid0(VALU_DEP_1)
	v_cmpx_ge_f32_e32 v2, v11
	s_xor_b32 s1, exec_lo, s0
	s_cbranch_execz .LBB178_75
; %bb.70:
	v_cmp_neq_f32_e32 vcc_lo, 0, v10
	v_cmp_neq_f32_e64 s0, 0, v1
                                        ; implicit-def: $vgpr9
                                        ; implicit-def: $vgpr8
	s_delay_alu instid0(VALU_DEP_1) | instskip(NEXT) | instid1(SALU_CYCLE_1)
	s_or_b32 s0, vcc_lo, s0
	s_and_saveexec_b32 s9, s0
	s_delay_alu instid0(SALU_CYCLE_1)
	s_xor_b32 s0, exec_lo, s9
	s_cbranch_execz .LBB178_72
; %bb.71:
	v_div_scale_f32 v2, null, v10, v10, v1
	v_div_scale_f32 v11, vcc_lo, v1, v10, v1
	s_delay_alu instid0(VALU_DEP_2) | instskip(SKIP_2) | instid1(VALU_DEP_1)
	v_rcp_f32_e32 v8, v2
	s_waitcnt_depctr 0xfff
	v_fma_f32 v9, -v2, v8, 1.0
	v_fmac_f32_e32 v8, v9, v8
	s_delay_alu instid0(VALU_DEP_1) | instskip(NEXT) | instid1(VALU_DEP_1)
	v_mul_f32_e32 v9, v11, v8
	v_fma_f32 v12, -v2, v9, v11
	s_delay_alu instid0(VALU_DEP_1) | instskip(NEXT) | instid1(VALU_DEP_1)
	v_fmac_f32_e32 v9, v12, v8
	v_fma_f32 v2, -v2, v9, v11
	s_delay_alu instid0(VALU_DEP_1) | instskip(NEXT) | instid1(VALU_DEP_1)
	v_div_fmas_f32 v2, v2, v8, v9
	v_div_fixup_f32 v2, v2, v10, v1
	s_delay_alu instid0(VALU_DEP_1) | instskip(NEXT) | instid1(VALU_DEP_1)
	v_fmac_f32_e32 v10, v1, v2
	v_div_scale_f32 v1, null, v10, v10, 1.0
	v_div_scale_f32 v11, vcc_lo, 1.0, v10, 1.0
	s_delay_alu instid0(VALU_DEP_2) | instskip(SKIP_2) | instid1(VALU_DEP_1)
	v_rcp_f32_e32 v8, v1
	s_waitcnt_depctr 0xfff
	v_fma_f32 v9, -v1, v8, 1.0
	v_fmac_f32_e32 v8, v9, v8
	s_delay_alu instid0(VALU_DEP_1) | instskip(NEXT) | instid1(VALU_DEP_1)
	v_mul_f32_e32 v9, v11, v8
	v_fma_f32 v12, -v1, v9, v11
	s_delay_alu instid0(VALU_DEP_1) | instskip(NEXT) | instid1(VALU_DEP_1)
	v_fmac_f32_e32 v9, v12, v8
	v_fma_f32 v1, -v1, v9, v11
                                        ; implicit-def: $vgpr11
	s_delay_alu instid0(VALU_DEP_1) | instskip(SKIP_1) | instid1(VALU_DEP_2)
	v_div_fmas_f32 v1, v1, v8, v9
	v_fma_f32 v8, v2, 0, 1.0
	v_div_fixup_f32 v1, v1, v10, 1.0
	s_delay_alu instid0(VALU_DEP_1)
	v_mul_f32_e32 v8, v8, v1
	v_mul_f32_e64 v9, -v2, v1
                                        ; implicit-def: $vgpr2
.LBB178_72:
	s_and_not1_saveexec_b32 s9, s0
	s_cbranch_execz .LBB178_74
; %bb.73:
	v_div_scale_f32 v1, null, v2, v2, 1.0
	v_div_scale_f32 v8, null, v11, v11, 0
	v_div_scale_f32 v14, vcc_lo, 1.0, v2, 1.0
	s_delay_alu instid0(VALU_DEP_3) | instskip(NEXT) | instid1(VALU_DEP_2)
	v_rcp_f32_e32 v9, v1
	v_rcp_f32_e32 v10, v8
	s_waitcnt_depctr 0xfff
	v_fma_f32 v12, -v1, v9, 1.0
	v_fma_f32 v13, -v8, v10, 1.0
	s_delay_alu instid0(VALU_DEP_1) | instskip(SKIP_1) | instid1(VALU_DEP_2)
	v_dual_fmac_f32 v9, v12, v9 :: v_dual_fmac_f32 v10, v13, v10
	v_div_scale_f32 v12, s0, 0, v11, 0
	v_mul_f32_e32 v13, v14, v9
	s_delay_alu instid0(VALU_DEP_2) | instskip(NEXT) | instid1(VALU_DEP_2)
	v_mul_f32_e32 v15, v12, v10
	v_fma_f32 v16, -v1, v13, v14
	s_delay_alu instid0(VALU_DEP_2) | instskip(NEXT) | instid1(VALU_DEP_2)
	v_fma_f32 v17, -v8, v15, v12
	v_fmac_f32_e32 v13, v16, v9
	s_delay_alu instid0(VALU_DEP_2) | instskip(NEXT) | instid1(VALU_DEP_2)
	v_fmac_f32_e32 v15, v17, v10
	v_fma_f32 v1, -v1, v13, v14
	s_delay_alu instid0(VALU_DEP_2) | instskip(NEXT) | instid1(VALU_DEP_2)
	v_fma_f32 v8, -v8, v15, v12
	v_div_fmas_f32 v1, v1, v9, v13
	s_mov_b32 vcc_lo, s0
	s_delay_alu instid0(VALU_DEP_2) | instskip(NEXT) | instid1(VALU_DEP_2)
	v_div_fmas_f32 v9, v8, v10, v15
	v_div_fixup_f32 v8, v1, v2, 1.0
	s_delay_alu instid0(VALU_DEP_2)
	v_div_fixup_f32 v9, v9, v11, 0
.LBB178_74:
	s_or_b32 exec_lo, exec_lo, s9
                                        ; implicit-def: $vgpr1
                                        ; implicit-def: $vgpr10
.LBB178_75:
	s_and_not1_saveexec_b32 s0, s1
	s_cbranch_execz .LBB178_77
; %bb.76:
	v_div_scale_f32 v2, null, v1, v1, v10
	v_div_scale_f32 v11, vcc_lo, v10, v1, v10
	s_delay_alu instid0(VALU_DEP_2) | instskip(SKIP_2) | instid1(VALU_DEP_1)
	v_rcp_f32_e32 v8, v2
	s_waitcnt_depctr 0xfff
	v_fma_f32 v9, -v2, v8, 1.0
	v_fmac_f32_e32 v8, v9, v8
	s_delay_alu instid0(VALU_DEP_1) | instskip(NEXT) | instid1(VALU_DEP_1)
	v_mul_f32_e32 v9, v11, v8
	v_fma_f32 v12, -v2, v9, v11
	s_delay_alu instid0(VALU_DEP_1) | instskip(NEXT) | instid1(VALU_DEP_1)
	v_fmac_f32_e32 v9, v12, v8
	v_fma_f32 v2, -v2, v9, v11
	s_delay_alu instid0(VALU_DEP_1) | instskip(NEXT) | instid1(VALU_DEP_1)
	v_div_fmas_f32 v2, v2, v8, v9
	v_div_fixup_f32 v2, v2, v1, v10
	s_delay_alu instid0(VALU_DEP_1) | instskip(NEXT) | instid1(VALU_DEP_1)
	v_fmac_f32_e32 v1, v10, v2
	v_div_scale_f32 v8, null, v1, v1, 1.0
	v_div_scale_f32 v11, vcc_lo, 1.0, v1, 1.0
	s_delay_alu instid0(VALU_DEP_2) | instskip(SKIP_2) | instid1(VALU_DEP_1)
	v_rcp_f32_e32 v9, v8
	s_waitcnt_depctr 0xfff
	v_fma_f32 v10, -v8, v9, 1.0
	v_fmac_f32_e32 v9, v10, v9
	s_delay_alu instid0(VALU_DEP_1) | instskip(NEXT) | instid1(VALU_DEP_1)
	v_mul_f32_e32 v10, v11, v9
	v_fma_f32 v12, -v8, v10, v11
	s_delay_alu instid0(VALU_DEP_1) | instskip(NEXT) | instid1(VALU_DEP_1)
	v_fmac_f32_e32 v10, v12, v9
	v_fma_f32 v8, -v8, v10, v11
	s_delay_alu instid0(VALU_DEP_1) | instskip(SKIP_2) | instid1(VALU_DEP_3)
	v_div_fmas_f32 v8, v8, v9, v10
	v_add_f32_e32 v9, 0, v2
	v_fma_f32 v2, v2, 0, -1.0
	v_div_fixup_f32 v1, v8, v1, 1.0
	s_delay_alu instid0(VALU_DEP_1) | instskip(NEXT) | instid1(VALU_DEP_3)
	v_mul_f32_e32 v8, v9, v1
	v_mul_f32_e32 v9, v2, v1
.LBB178_77:
	s_or_b32 exec_lo, exec_lo, s0
	v_lshrrev_b32_e32 v1, 16, v3
	v_cmp_neq_f16_e32 vcc_lo, 0, v3
	v_mov_b32_e32 v2, 0
	s_delay_alu instid0(VALU_DEP_3) | instskip(SKIP_1) | instid1(VALU_DEP_2)
	v_cmp_neq_f16_e64 s0, 0, v1
	v_cvt_f32_f16_e32 v1, v1
	s_or_b32 s0, vcc_lo, s0
	s_delay_alu instid0(SALU_CYCLE_1)
	s_and_saveexec_b32 s9, s0
	s_cbranch_execz .LBB178_107
; %bb.78:
	v_mov_b32_e32 v2, 0x7f800000
	s_mov_b32 s11, exec_lo
	v_cmpx_neq_f32_e64 0x7f800000, |v1|
	s_cbranch_execz .LBB178_106
; %bb.79:
	v_cvt_f32_f16_e32 v2, v3
	s_mov_b32 s0, exec_lo
	v_cmpx_o_f16_e32 v3, v3
	s_xor_b32 s12, exec_lo, s0
	s_cbranch_execz .LBB178_103
; %bb.80:
	s_mov_b32 s1, exec_lo
	v_cmpx_neq_f32_e64 0x7f800000, |v2|
	s_xor_b32 s13, exec_lo, s1
	s_cbranch_execz .LBB178_96
; %bb.81:
	v_max_f32_e64 v10, |v1|, |v1|
	v_max_f32_e64 v11, |v2|, |v2|
                                        ; implicit-def: $sgpr14
	s_delay_alu instid0(VALU_DEP_1) | instskip(NEXT) | instid1(VALU_DEP_1)
	v_max_f32_e32 v10, v11, v10
	v_cmp_nle_f32_e64 s0, 0x7ed413cb, v10
	s_delay_alu instid0(VALU_DEP_1) | instskip(NEXT) | instid1(SALU_CYCLE_1)
	s_and_saveexec_b32 s1, s0
	s_xor_b32 s1, exec_lo, s1
	s_cbranch_execz .LBB178_85
; %bb.82:
	v_cmp_ge_f32_e64 s14, 0x1000000, |v2|
	v_cmp_ge_f32_e64 s15, 0x1000000, |v1|
	s_delay_alu instid0(VALU_DEP_1)
	s_and_b32 s16, s14, s15
	s_mov_b32 s14, 0
	s_and_saveexec_b32 s15, s16
; %bb.83:
	v_dual_mul_f32 v2, 4.0, v2 :: v_dual_mul_f32 v1, 4.0, v1
	s_mov_b32 s14, exec_lo
; %bb.84:
	s_or_b32 exec_lo, exec_lo, s15
	s_delay_alu instid0(SALU_CYCLE_1)
	s_and_b32 s14, s14, exec_lo
.LBB178_85:
	s_and_not1_saveexec_b32 s1, s1
; %bb.86:
	v_dual_mul_f32 v2, 0x3e800000, v2 :: v_dual_mul_f32 v1, 0x3e800000, v1
	s_and_not1_b32 s14, s14, exec_lo
; %bb.87:
	s_or_b32 exec_lo, exec_lo, s1
	s_delay_alu instid0(VALU_DEP_1) | instskip(NEXT) | instid1(VALU_DEP_2)
	v_max_f32_e64 v10, |v1|, |v1|
	v_max_f32_e64 v11, |v2|, |v2|
	s_delay_alu instid0(VALU_DEP_1) | instskip(NEXT) | instid1(VALU_DEP_1)
	v_max_f32_e32 v12, v11, v10
	v_cvt_f64_f32_e32 v[10:11], v12
	s_delay_alu instid0(VALU_DEP_1) | instskip(NEXT) | instid1(VALU_DEP_1)
	v_frexp_exp_i32_f64_e32 v10, v[10:11]
	v_sub_nc_u32_e32 v11, 0, v10
	s_delay_alu instid0(VALU_DEP_1) | instskip(SKIP_1) | instid1(VALU_DEP_2)
	v_ldexp_f32 v13, |v1|, v11
	v_ldexp_f32 v11, |v2|, v11
	v_mul_f32_e32 v13, v13, v13
	v_cmp_neq_f32_e64 s1, 0x7f800000, v12
	s_delay_alu instid0(VALU_DEP_2) | instskip(NEXT) | instid1(VALU_DEP_1)
	v_fmac_f32_e32 v13, v11, v11
	v_sqrt_f32_e32 v11, v13
	s_waitcnt_depctr 0xfff
	v_ldexp_f32 v10, v11, v10
                                        ; implicit-def: $vgpr11
	s_delay_alu instid0(VALU_DEP_1)
	v_cndmask_b32_e64 v12, 0x7f800000, v10, s1
                                        ; implicit-def: $vgpr10
	s_mov_b32 s1, exec_lo
	v_cmpx_le_f32_e32 0, v2
	s_xor_b32 s15, exec_lo, s1
	s_cbranch_execz .LBB178_89
; %bb.88:
	v_add_f32_e32 v2, v2, v12
	s_delay_alu instid0(VALU_DEP_1) | instskip(NEXT) | instid1(VALU_DEP_1)
	v_mul_f32_e32 v2, 0.5, v2
	v_mul_f32_e32 v10, 0x4f800000, v2
	v_cmp_gt_f32_e32 vcc_lo, 0xf800000, v2
	s_delay_alu instid0(VALU_DEP_2) | instskip(NEXT) | instid1(VALU_DEP_1)
	v_cndmask_b32_e32 v2, v2, v10, vcc_lo
	v_sqrt_f32_e32 v10, v2
	s_waitcnt_depctr 0xfff
	v_add_nc_u32_e32 v11, -1, v10
	v_add_nc_u32_e32 v12, 1, v10
	s_delay_alu instid0(VALU_DEP_2) | instskip(NEXT) | instid1(VALU_DEP_2)
	v_fma_f32 v13, -v11, v10, v2
	v_fma_f32 v14, -v12, v10, v2
	s_delay_alu instid0(VALU_DEP_2) | instskip(NEXT) | instid1(VALU_DEP_1)
	v_cmp_ge_f32_e64 s1, 0, v13
	v_cndmask_b32_e64 v10, v10, v11, s1
	s_delay_alu instid0(VALU_DEP_3) | instskip(NEXT) | instid1(VALU_DEP_1)
	v_cmp_lt_f32_e64 s1, 0, v14
	v_cndmask_b32_e64 v10, v10, v12, s1
	s_delay_alu instid0(VALU_DEP_1) | instskip(NEXT) | instid1(VALU_DEP_1)
	v_mul_f32_e32 v11, 0x37800000, v10
	v_cndmask_b32_e32 v10, v10, v11, vcc_lo
	v_cmp_class_f32_e64 vcc_lo, v2, 0x260
	s_delay_alu instid0(VALU_DEP_2) | instskip(NEXT) | instid1(VALU_DEP_1)
	v_cndmask_b32_e32 v10, v10, v2, vcc_lo
	v_add_f32_e32 v2, v10, v10
	s_delay_alu instid0(VALU_DEP_1) | instskip(NEXT) | instid1(VALU_DEP_1)
	v_div_scale_f32 v11, null, v2, v2, v1
	v_rcp_f32_e32 v12, v11
	s_waitcnt_depctr 0xfff
	v_fma_f32 v13, -v11, v12, 1.0
	s_delay_alu instid0(VALU_DEP_1) | instskip(SKIP_1) | instid1(VALU_DEP_1)
	v_fmac_f32_e32 v12, v13, v12
	v_div_scale_f32 v13, vcc_lo, v1, v2, v1
	v_mul_f32_e32 v14, v13, v12
	s_delay_alu instid0(VALU_DEP_1) | instskip(NEXT) | instid1(VALU_DEP_1)
	v_fma_f32 v15, -v11, v14, v13
	v_fmac_f32_e32 v14, v15, v12
	s_delay_alu instid0(VALU_DEP_1) | instskip(NEXT) | instid1(VALU_DEP_1)
	v_fma_f32 v11, -v11, v14, v13
	v_div_fmas_f32 v11, v11, v12, v14
                                        ; implicit-def: $vgpr12
	s_delay_alu instid0(VALU_DEP_1)
	v_div_fixup_f32 v11, v11, v2, v1
                                        ; implicit-def: $vgpr2
                                        ; implicit-def: $vgpr1
	s_and_not1_saveexec_b32 s15, s15
	s_cbranch_execz .LBB178_91
	s_branch .LBB178_90
.LBB178_89:
	s_and_not1_saveexec_b32 s15, s15
	s_cbranch_execz .LBB178_91
.LBB178_90:
	v_sub_f32_e32 v2, v12, v2
	s_delay_alu instid0(VALU_DEP_1) | instskip(NEXT) | instid1(VALU_DEP_1)
	v_mul_f32_e32 v2, 0.5, v2
	v_mul_f32_e32 v10, 0x4f800000, v2
	v_cmp_gt_f32_e32 vcc_lo, 0xf800000, v2
	s_delay_alu instid0(VALU_DEP_2) | instskip(NEXT) | instid1(VALU_DEP_1)
	v_cndmask_b32_e32 v2, v2, v10, vcc_lo
	v_sqrt_f32_e32 v10, v2
	s_waitcnt_depctr 0xfff
	v_add_nc_u32_e32 v11, -1, v10
	v_add_nc_u32_e32 v12, 1, v10
	s_delay_alu instid0(VALU_DEP_2) | instskip(NEXT) | instid1(VALU_DEP_2)
	v_fma_f32 v13, -v11, v10, v2
	v_fma_f32 v14, -v12, v10, v2
	s_delay_alu instid0(VALU_DEP_2) | instskip(NEXT) | instid1(VALU_DEP_1)
	v_cmp_ge_f32_e64 s1, 0, v13
	v_cndmask_b32_e64 v10, v10, v11, s1
	s_delay_alu instid0(VALU_DEP_3) | instskip(NEXT) | instid1(VALU_DEP_1)
	v_cmp_lt_f32_e64 s1, 0, v14
	v_cndmask_b32_e64 v10, v10, v12, s1
	s_delay_alu instid0(VALU_DEP_1) | instskip(NEXT) | instid1(VALU_DEP_1)
	v_mul_f32_e32 v11, 0x37800000, v10
	v_cndmask_b32_e32 v10, v10, v11, vcc_lo
	v_cmp_class_f32_e64 vcc_lo, v2, 0x260
	s_delay_alu instid0(VALU_DEP_2) | instskip(NEXT) | instid1(VALU_DEP_1)
	v_cndmask_b32_e32 v2, v10, v2, vcc_lo
	v_dual_add_f32 v11, v2, v2 :: v_dual_and_b32 v10, 0x7fffffff, v1
	s_delay_alu instid0(VALU_DEP_1) | instskip(SKIP_1) | instid1(VALU_DEP_2)
	v_div_scale_f32 v12, null, v11, v11, v10
	v_div_scale_f32 v10, vcc_lo, v10, v11, v10
	v_rcp_f32_e32 v13, v12
	s_waitcnt_depctr 0xfff
	v_fma_f32 v14, -v12, v13, 1.0
	s_delay_alu instid0(VALU_DEP_1) | instskip(NEXT) | instid1(VALU_DEP_1)
	v_fmac_f32_e32 v13, v14, v13
	v_mul_f32_e32 v14, v10, v13
	s_delay_alu instid0(VALU_DEP_1) | instskip(NEXT) | instid1(VALU_DEP_1)
	v_fma_f32 v15, -v12, v14, v10
	v_fmac_f32_e32 v14, v15, v13
	s_delay_alu instid0(VALU_DEP_1) | instskip(NEXT) | instid1(VALU_DEP_1)
	v_fma_f32 v10, -v12, v14, v10
	v_div_fmas_f32 v10, v10, v13, v14
	s_delay_alu instid0(VALU_DEP_1)
	v_div_fixup_f32 v10, v10, v11, |v1|
	v_bfi_b32 v11, 0x7fffffff, v2, v1
.LBB178_91:
	s_or_b32 exec_lo, exec_lo, s15
                                        ; implicit-def: $vgpr1
                                        ; implicit-def: $vgpr2
	s_and_saveexec_b32 s1, s0
	s_delay_alu instid0(SALU_CYCLE_1)
	s_xor_b32 s0, exec_lo, s1
	s_cbranch_execz .LBB178_93
; %bb.92:
	v_dual_mul_f32 v1, 0.5, v10 :: v_dual_mul_f32 v12, 0.5, v11
	s_delay_alu instid0(VALU_DEP_1) | instskip(NEXT) | instid1(VALU_DEP_2)
	v_cndmask_b32_e64 v2, v10, v1, s14
	v_cndmask_b32_e64 v1, v11, v12, s14
                                        ; implicit-def: $vgpr10
                                        ; implicit-def: $vgpr11
	s_and_not1_saveexec_b32 s0, s0
	s_cbranch_execnz .LBB178_94
	s_branch .LBB178_95
.LBB178_93:
	s_and_not1_saveexec_b32 s0, s0
.LBB178_94:
	v_dual_add_f32 v2, v10, v10 :: v_dual_add_f32 v1, v11, v11
.LBB178_95:
	s_or_b32 exec_lo, exec_lo, s0
.LBB178_96:
	s_and_not1_saveexec_b32 s0, s13
	s_cbranch_execz .LBB178_102
; %bb.97:
	v_cmp_lt_i16_e32 vcc_lo, -1, v3
	v_sub_f32_e32 v3, v1, v1
	s_and_saveexec_b32 s1, vcc_lo
	s_delay_alu instid0(SALU_CYCLE_1)
	s_xor_b32 s1, exec_lo, s1
; %bb.98:
	s_delay_alu instid0(VALU_DEP_1)
	v_bfi_b32 v1, 0x7fffffff, v3, v1
                                        ; implicit-def: $vgpr3
; %bb.99:
	s_and_not1_saveexec_b32 s1, s1
; %bb.100:
	v_and_b32_e32 v3, 0x7fffffff, v3
	s_delay_alu instid0(VALU_DEP_2) | instskip(NEXT) | instid1(VALU_DEP_2)
	v_bfi_b32 v1, 0x7fffffff, v2, v1
	v_mov_b32_e32 v2, v3
; %bb.101:
	s_or_b32 exec_lo, exec_lo, s1
.LBB178_102:
	s_delay_alu instid0(SALU_CYCLE_1)
	s_or_b32 exec_lo, exec_lo, s0
.LBB178_103:
	s_and_not1_saveexec_b32 s0, s12
; %bb.104:
	v_sub_f32_e32 v1, v1, v1
	s_delay_alu instid0(VALU_DEP_1) | instskip(NEXT) | instid1(VALU_DEP_1)
	v_div_scale_f32 v3, vcc_lo, v1, v1, v1
	v_rcp_f32_e32 v10, v3
	s_waitcnt_depctr 0xfff
	v_fma_f32 v11, -v3, v10, 1.0
	s_delay_alu instid0(VALU_DEP_1) | instskip(NEXT) | instid1(VALU_DEP_1)
	v_fmac_f32_e32 v10, v11, v10
	v_mul_f32_e32 v11, v3, v10
	s_delay_alu instid0(VALU_DEP_1) | instskip(NEXT) | instid1(VALU_DEP_1)
	v_fma_f32 v12, -v3, v11, v3
	v_fmac_f32_e32 v11, v12, v10
	s_delay_alu instid0(VALU_DEP_1) | instskip(NEXT) | instid1(VALU_DEP_1)
	v_fma_f32 v3, -v3, v11, v3
	v_div_fmas_f32 v3, v3, v10, v11
	s_delay_alu instid0(VALU_DEP_1)
	v_div_fixup_f32 v1, v3, v1, v1
; %bb.105:
	s_or_b32 exec_lo, exec_lo, s0
.LBB178_106:
	s_delay_alu instid0(SALU_CYCLE_1)
	s_or_b32 exec_lo, exec_lo, s11
.LBB178_107:
	s_delay_alu instid0(SALU_CYCLE_1)
	s_or_b32 exec_lo, exec_lo, s9
	v_cmp_gt_f32_e32 vcc_lo, 0, v2
                                        ; implicit-def: $vgpr11
                                        ; implicit-def: $vgpr10
	s_mov_b32 s0, exec_lo
	v_cndmask_b32_e64 v3, v2, -v2, vcc_lo
	v_cmp_gt_f32_e32 vcc_lo, 0, v1
	v_cndmask_b32_e64 v12, v1, -v1, vcc_lo
	s_delay_alu instid0(VALU_DEP_1)
	v_cmpx_ge_f32_e32 v3, v12
	s_xor_b32 s1, exec_lo, s0
	s_cbranch_execz .LBB178_113
; %bb.108:
	v_cmp_neq_f32_e32 vcc_lo, 0, v2
	v_cmp_neq_f32_e64 s0, 0, v1
                                        ; implicit-def: $vgpr11
                                        ; implicit-def: $vgpr10
	s_delay_alu instid0(VALU_DEP_1) | instskip(NEXT) | instid1(SALU_CYCLE_1)
	s_or_b32 s0, vcc_lo, s0
	s_and_saveexec_b32 s9, s0
	s_delay_alu instid0(SALU_CYCLE_1)
	s_xor_b32 s0, exec_lo, s9
	s_cbranch_execz .LBB178_110
; %bb.109:
	v_div_scale_f32 v3, null, v2, v2, v1
	v_div_scale_f32 v12, vcc_lo, v1, v2, v1
	s_delay_alu instid0(VALU_DEP_2) | instskip(SKIP_2) | instid1(VALU_DEP_1)
	v_rcp_f32_e32 v10, v3
	s_waitcnt_depctr 0xfff
	v_fma_f32 v11, -v3, v10, 1.0
	v_fmac_f32_e32 v10, v11, v10
	s_delay_alu instid0(VALU_DEP_1) | instskip(NEXT) | instid1(VALU_DEP_1)
	v_mul_f32_e32 v11, v12, v10
	v_fma_f32 v13, -v3, v11, v12
	s_delay_alu instid0(VALU_DEP_1) | instskip(NEXT) | instid1(VALU_DEP_1)
	v_fmac_f32_e32 v11, v13, v10
	v_fma_f32 v3, -v3, v11, v12
	s_delay_alu instid0(VALU_DEP_1) | instskip(NEXT) | instid1(VALU_DEP_1)
	v_div_fmas_f32 v3, v3, v10, v11
	v_div_fixup_f32 v3, v3, v2, v1
	s_delay_alu instid0(VALU_DEP_1) | instskip(NEXT) | instid1(VALU_DEP_1)
	v_fmac_f32_e32 v2, v1, v3
	v_div_scale_f32 v1, null, v2, v2, 1.0
	v_div_scale_f32 v12, vcc_lo, 1.0, v2, 1.0
	s_delay_alu instid0(VALU_DEP_2) | instskip(SKIP_2) | instid1(VALU_DEP_1)
	v_rcp_f32_e32 v10, v1
	s_waitcnt_depctr 0xfff
	v_fma_f32 v11, -v1, v10, 1.0
	v_fmac_f32_e32 v10, v11, v10
	s_delay_alu instid0(VALU_DEP_1) | instskip(NEXT) | instid1(VALU_DEP_1)
	v_mul_f32_e32 v11, v12, v10
	v_fma_f32 v13, -v1, v11, v12
	s_delay_alu instid0(VALU_DEP_1) | instskip(NEXT) | instid1(VALU_DEP_1)
	v_fmac_f32_e32 v11, v13, v10
	v_fma_f32 v1, -v1, v11, v12
                                        ; implicit-def: $vgpr12
	s_delay_alu instid0(VALU_DEP_1) | instskip(SKIP_1) | instid1(VALU_DEP_2)
	v_div_fmas_f32 v1, v1, v10, v11
	v_fma_f32 v10, v3, 0, 1.0
	v_div_fixup_f32 v1, v1, v2, 1.0
	s_delay_alu instid0(VALU_DEP_1)
	v_mul_f32_e32 v10, v10, v1
	v_mul_f32_e64 v11, -v3, v1
                                        ; implicit-def: $vgpr3
.LBB178_110:
	s_and_not1_saveexec_b32 s9, s0
	s_cbranch_execz .LBB178_112
; %bb.111:
	v_div_scale_f32 v1, null, v3, v3, 1.0
	v_div_scale_f32 v2, null, v12, v12, 0
	v_div_scale_f32 v15, vcc_lo, 1.0, v3, 1.0
	s_delay_alu instid0(VALU_DEP_3) | instskip(NEXT) | instid1(VALU_DEP_2)
	v_rcp_f32_e32 v10, v1
	v_rcp_f32_e32 v11, v2
	s_waitcnt_depctr 0xfff
	v_fma_f32 v13, -v1, v10, 1.0
	v_fma_f32 v14, -v2, v11, 1.0
	s_delay_alu instid0(VALU_DEP_1) | instskip(SKIP_1) | instid1(VALU_DEP_2)
	v_dual_fmac_f32 v10, v13, v10 :: v_dual_fmac_f32 v11, v14, v11
	v_div_scale_f32 v13, s0, 0, v12, 0
	v_mul_f32_e32 v14, v15, v10
	s_delay_alu instid0(VALU_DEP_2) | instskip(NEXT) | instid1(VALU_DEP_2)
	v_mul_f32_e32 v16, v13, v11
	v_fma_f32 v17, -v1, v14, v15
	s_delay_alu instid0(VALU_DEP_2) | instskip(NEXT) | instid1(VALU_DEP_2)
	v_fma_f32 v18, -v2, v16, v13
	v_fmac_f32_e32 v14, v17, v10
	s_delay_alu instid0(VALU_DEP_2) | instskip(NEXT) | instid1(VALU_DEP_2)
	v_fmac_f32_e32 v16, v18, v11
	v_fma_f32 v1, -v1, v14, v15
	s_delay_alu instid0(VALU_DEP_2) | instskip(NEXT) | instid1(VALU_DEP_2)
	v_fma_f32 v2, -v2, v16, v13
	v_div_fmas_f32 v1, v1, v10, v14
	s_mov_b32 vcc_lo, s0
	s_delay_alu instid0(VALU_DEP_2) | instskip(NEXT) | instid1(VALU_DEP_2)
	v_div_fmas_f32 v2, v2, v11, v16
	v_div_fixup_f32 v10, v1, v3, 1.0
	s_delay_alu instid0(VALU_DEP_2)
	v_div_fixup_f32 v11, v2, v12, 0
.LBB178_112:
	s_or_b32 exec_lo, exec_lo, s9
                                        ; implicit-def: $vgpr1
                                        ; implicit-def: $vgpr2
.LBB178_113:
	s_and_not1_saveexec_b32 s0, s1
	s_cbranch_execz .LBB178_115
; %bb.114:
	v_div_scale_f32 v3, null, v1, v1, v2
	v_div_scale_f32 v12, vcc_lo, v2, v1, v2
	s_delay_alu instid0(VALU_DEP_2) | instskip(SKIP_2) | instid1(VALU_DEP_1)
	v_rcp_f32_e32 v10, v3
	s_waitcnt_depctr 0xfff
	v_fma_f32 v11, -v3, v10, 1.0
	v_fmac_f32_e32 v10, v11, v10
	s_delay_alu instid0(VALU_DEP_1) | instskip(NEXT) | instid1(VALU_DEP_1)
	v_mul_f32_e32 v11, v12, v10
	v_fma_f32 v13, -v3, v11, v12
	s_delay_alu instid0(VALU_DEP_1) | instskip(NEXT) | instid1(VALU_DEP_1)
	v_fmac_f32_e32 v11, v13, v10
	v_fma_f32 v3, -v3, v11, v12
	s_delay_alu instid0(VALU_DEP_1) | instskip(NEXT) | instid1(VALU_DEP_1)
	v_div_fmas_f32 v3, v3, v10, v11
	v_div_fixup_f32 v3, v3, v1, v2
	s_delay_alu instid0(VALU_DEP_1) | instskip(NEXT) | instid1(VALU_DEP_1)
	v_fmac_f32_e32 v1, v2, v3
	v_div_scale_f32 v2, null, v1, v1, 1.0
	v_div_scale_f32 v12, vcc_lo, 1.0, v1, 1.0
	s_delay_alu instid0(VALU_DEP_2) | instskip(SKIP_2) | instid1(VALU_DEP_1)
	v_rcp_f32_e32 v10, v2
	s_waitcnt_depctr 0xfff
	v_fma_f32 v11, -v2, v10, 1.0
	v_fmac_f32_e32 v10, v11, v10
	s_delay_alu instid0(VALU_DEP_1) | instskip(NEXT) | instid1(VALU_DEP_1)
	v_mul_f32_e32 v11, v12, v10
	v_fma_f32 v13, -v2, v11, v12
	s_delay_alu instid0(VALU_DEP_1) | instskip(NEXT) | instid1(VALU_DEP_1)
	v_fmac_f32_e32 v11, v13, v10
	v_fma_f32 v2, -v2, v11, v12
	s_delay_alu instid0(VALU_DEP_1) | instskip(SKIP_1) | instid1(VALU_DEP_2)
	v_div_fmas_f32 v2, v2, v10, v11
	v_add_f32_e32 v10, 0, v3
	v_div_fixup_f32 v1, v2, v1, 1.0
	v_fma_f32 v2, v3, 0, -1.0
	s_delay_alu instid0(VALU_DEP_2) | instskip(NEXT) | instid1(VALU_DEP_2)
	v_mul_f32_e32 v10, v10, v1
	v_mul_f32_e32 v11, v2, v1
.LBB178_115:
	s_or_b32 exec_lo, exec_lo, s0
	v_lshrrev_b32_e32 v1, 16, v4
	v_cmp_neq_f16_e32 vcc_lo, 0, v4
	v_mov_b32_e32 v13, 0
	s_delay_alu instid0(VALU_DEP_3) | instskip(SKIP_1) | instid1(VALU_DEP_2)
	v_cmp_neq_f16_e64 s0, 0, v1
	v_cvt_f32_f16_e32 v12, v1
	s_or_b32 s0, vcc_lo, s0
	s_delay_alu instid0(SALU_CYCLE_1)
	s_and_saveexec_b32 s9, s0
	s_cbranch_execz .LBB178_145
; %bb.116:
	v_mov_b32_e32 v13, 0x7f800000
	s_mov_b32 s11, exec_lo
	v_cmpx_neq_f32_e64 0x7f800000, |v12|
	s_cbranch_execz .LBB178_144
; %bb.117:
	v_cvt_f32_f16_e32 v13, v4
	s_mov_b32 s0, exec_lo
	v_cmpx_o_f16_e32 v4, v4
	s_xor_b32 s12, exec_lo, s0
	s_cbranch_execz .LBB178_141
; %bb.118:
	s_mov_b32 s1, exec_lo
	v_cmpx_neq_f32_e64 0x7f800000, |v13|
	s_xor_b32 s13, exec_lo, s1
	s_cbranch_execz .LBB178_134
; %bb.119:
	v_max_f32_e64 v1, |v12|, |v12|
	v_max_f32_e64 v2, |v13|, |v13|
                                        ; implicit-def: $sgpr14
	s_delay_alu instid0(VALU_DEP_1) | instskip(NEXT) | instid1(VALU_DEP_1)
	v_max_f32_e32 v1, v2, v1
	v_cmp_nle_f32_e64 s0, 0x7ed413cb, v1
	s_delay_alu instid0(VALU_DEP_1) | instskip(NEXT) | instid1(SALU_CYCLE_1)
	s_and_saveexec_b32 s1, s0
	s_xor_b32 s1, exec_lo, s1
	s_cbranch_execz .LBB178_123
; %bb.120:
	v_cmp_ge_f32_e64 s14, 0x1000000, |v13|
	v_cmp_ge_f32_e64 s15, 0x1000000, |v12|
	s_delay_alu instid0(VALU_DEP_1)
	s_and_b32 s16, s14, s15
	s_mov_b32 s14, 0
	s_and_saveexec_b32 s15, s16
; %bb.121:
	v_dual_mul_f32 v13, 4.0, v13 :: v_dual_mul_f32 v12, 4.0, v12
	s_mov_b32 s14, exec_lo
; %bb.122:
	s_or_b32 exec_lo, exec_lo, s15
	s_delay_alu instid0(SALU_CYCLE_1)
	s_and_b32 s14, s14, exec_lo
.LBB178_123:
	s_and_not1_saveexec_b32 s1, s1
; %bb.124:
	v_dual_mul_f32 v13, 0x3e800000, v13 :: v_dual_mul_f32 v12, 0x3e800000, v12
	s_and_not1_b32 s14, s14, exec_lo
; %bb.125:
	s_or_b32 exec_lo, exec_lo, s1
	s_delay_alu instid0(VALU_DEP_1) | instskip(NEXT) | instid1(VALU_DEP_2)
	v_max_f32_e64 v1, |v12|, |v12|
	v_max_f32_e64 v2, |v13|, |v13|
	s_delay_alu instid0(VALU_DEP_1) | instskip(NEXT) | instid1(VALU_DEP_1)
	v_max_f32_e32 v3, v2, v1
	v_cvt_f64_f32_e32 v[1:2], v3
	s_delay_alu instid0(VALU_DEP_1) | instskip(NEXT) | instid1(VALU_DEP_1)
	v_frexp_exp_i32_f64_e32 v1, v[1:2]
	v_sub_nc_u32_e32 v2, 0, v1
	s_delay_alu instid0(VALU_DEP_1) | instskip(SKIP_1) | instid1(VALU_DEP_2)
	v_ldexp_f32 v4, |v12|, v2
	v_ldexp_f32 v2, |v13|, v2
	v_mul_f32_e32 v4, v4, v4
	v_cmp_neq_f32_e64 s1, 0x7f800000, v3
	s_delay_alu instid0(VALU_DEP_2) | instskip(NEXT) | instid1(VALU_DEP_1)
	v_fmac_f32_e32 v4, v2, v2
	v_sqrt_f32_e32 v2, v4
	s_waitcnt_depctr 0xfff
	v_ldexp_f32 v1, v2, v1
                                        ; implicit-def: $vgpr2
	s_delay_alu instid0(VALU_DEP_1)
	v_cndmask_b32_e64 v3, 0x7f800000, v1, s1
                                        ; implicit-def: $vgpr1
	s_mov_b32 s1, exec_lo
	v_cmpx_le_f32_e32 0, v13
	s_xor_b32 s15, exec_lo, s1
	s_cbranch_execz .LBB178_127
; %bb.126:
	v_add_f32_e32 v1, v13, v3
	s_delay_alu instid0(VALU_DEP_1) | instskip(NEXT) | instid1(VALU_DEP_1)
	v_mul_f32_e32 v1, 0.5, v1
	v_mul_f32_e32 v2, 0x4f800000, v1
	v_cmp_gt_f32_e32 vcc_lo, 0xf800000, v1
	s_delay_alu instid0(VALU_DEP_2) | instskip(NEXT) | instid1(VALU_DEP_1)
	v_cndmask_b32_e32 v1, v1, v2, vcc_lo
	v_sqrt_f32_e32 v2, v1
	s_waitcnt_depctr 0xfff
	v_add_nc_u32_e32 v3, -1, v2
	v_add_nc_u32_e32 v4, 1, v2
	s_delay_alu instid0(VALU_DEP_2) | instskip(NEXT) | instid1(VALU_DEP_2)
	v_fma_f32 v13, -v3, v2, v1
	v_fma_f32 v14, -v4, v2, v1
	s_delay_alu instid0(VALU_DEP_2) | instskip(NEXT) | instid1(VALU_DEP_1)
	v_cmp_ge_f32_e64 s1, 0, v13
	v_cndmask_b32_e64 v2, v2, v3, s1
	s_delay_alu instid0(VALU_DEP_3) | instskip(NEXT) | instid1(VALU_DEP_1)
	v_cmp_lt_f32_e64 s1, 0, v14
	v_cndmask_b32_e64 v2, v2, v4, s1
	s_delay_alu instid0(VALU_DEP_1) | instskip(NEXT) | instid1(VALU_DEP_1)
	v_mul_f32_e32 v3, 0x37800000, v2
	v_cndmask_b32_e32 v2, v2, v3, vcc_lo
	v_cmp_class_f32_e64 vcc_lo, v1, 0x260
	s_delay_alu instid0(VALU_DEP_2) | instskip(NEXT) | instid1(VALU_DEP_1)
	v_cndmask_b32_e32 v1, v2, v1, vcc_lo
	v_add_f32_e32 v2, v1, v1
	s_delay_alu instid0(VALU_DEP_1) | instskip(NEXT) | instid1(VALU_DEP_1)
	v_div_scale_f32 v3, null, v2, v2, v12
	v_rcp_f32_e32 v4, v3
	s_waitcnt_depctr 0xfff
	v_fma_f32 v13, -v3, v4, 1.0
	s_delay_alu instid0(VALU_DEP_1) | instskip(SKIP_1) | instid1(VALU_DEP_1)
	v_fmac_f32_e32 v4, v13, v4
	v_div_scale_f32 v13, vcc_lo, v12, v2, v12
	v_mul_f32_e32 v14, v13, v4
	s_delay_alu instid0(VALU_DEP_1) | instskip(NEXT) | instid1(VALU_DEP_1)
	v_fma_f32 v15, -v3, v14, v13
	v_fmac_f32_e32 v14, v15, v4
	s_delay_alu instid0(VALU_DEP_1) | instskip(NEXT) | instid1(VALU_DEP_1)
	v_fma_f32 v3, -v3, v14, v13
                                        ; implicit-def: $vgpr13
	v_div_fmas_f32 v3, v3, v4, v14
	s_delay_alu instid0(VALU_DEP_1)
	v_div_fixup_f32 v2, v3, v2, v12
                                        ; implicit-def: $vgpr3
                                        ; implicit-def: $vgpr12
	s_and_not1_saveexec_b32 s15, s15
	s_cbranch_execz .LBB178_129
	s_branch .LBB178_128
.LBB178_127:
	s_and_not1_saveexec_b32 s15, s15
	s_cbranch_execz .LBB178_129
.LBB178_128:
	v_sub_f32_e32 v1, v3, v13
	s_delay_alu instid0(VALU_DEP_1) | instskip(NEXT) | instid1(VALU_DEP_1)
	v_mul_f32_e32 v1, 0.5, v1
	v_mul_f32_e32 v2, 0x4f800000, v1
	v_cmp_gt_f32_e32 vcc_lo, 0xf800000, v1
	s_delay_alu instid0(VALU_DEP_2) | instskip(NEXT) | instid1(VALU_DEP_1)
	v_cndmask_b32_e32 v1, v1, v2, vcc_lo
	v_sqrt_f32_e32 v2, v1
	s_waitcnt_depctr 0xfff
	v_add_nc_u32_e32 v3, -1, v2
	v_add_nc_u32_e32 v4, 1, v2
	s_delay_alu instid0(VALU_DEP_2) | instskip(NEXT) | instid1(VALU_DEP_2)
	v_fma_f32 v13, -v3, v2, v1
	v_fma_f32 v14, -v4, v2, v1
	s_delay_alu instid0(VALU_DEP_2) | instskip(NEXT) | instid1(VALU_DEP_1)
	v_cmp_ge_f32_e64 s1, 0, v13
	v_cndmask_b32_e64 v2, v2, v3, s1
	s_delay_alu instid0(VALU_DEP_3) | instskip(NEXT) | instid1(VALU_DEP_1)
	v_cmp_lt_f32_e64 s1, 0, v14
	v_cndmask_b32_e64 v2, v2, v4, s1
	s_delay_alu instid0(VALU_DEP_1) | instskip(NEXT) | instid1(VALU_DEP_1)
	v_mul_f32_e32 v3, 0x37800000, v2
	v_cndmask_b32_e32 v2, v2, v3, vcc_lo
	v_cmp_class_f32_e64 vcc_lo, v1, 0x260
	s_delay_alu instid0(VALU_DEP_2) | instskip(NEXT) | instid1(VALU_DEP_1)
	v_dual_cndmask_b32 v2, v2, v1 :: v_dual_and_b32 v1, 0x7fffffff, v12
	v_add_f32_e32 v3, v2, v2
	v_bfi_b32 v2, 0x7fffffff, v2, v12
	s_delay_alu instid0(VALU_DEP_2) | instskip(SKIP_1) | instid1(VALU_DEP_2)
	v_div_scale_f32 v4, null, v3, v3, v1
	v_div_scale_f32 v1, vcc_lo, v1, v3, v1
	v_rcp_f32_e32 v13, v4
	s_waitcnt_depctr 0xfff
	v_fma_f32 v14, -v4, v13, 1.0
	s_delay_alu instid0(VALU_DEP_1) | instskip(NEXT) | instid1(VALU_DEP_1)
	v_fmac_f32_e32 v13, v14, v13
	v_mul_f32_e32 v14, v1, v13
	s_delay_alu instid0(VALU_DEP_1) | instskip(NEXT) | instid1(VALU_DEP_1)
	v_fma_f32 v15, -v4, v14, v1
	v_fmac_f32_e32 v14, v15, v13
	s_delay_alu instid0(VALU_DEP_1) | instskip(NEXT) | instid1(VALU_DEP_1)
	v_fma_f32 v1, -v4, v14, v1
	v_div_fmas_f32 v1, v1, v13, v14
	s_delay_alu instid0(VALU_DEP_1)
	v_div_fixup_f32 v1, v1, v3, |v12|
.LBB178_129:
	s_or_b32 exec_lo, exec_lo, s15
                                        ; implicit-def: $vgpr12
                                        ; implicit-def: $vgpr13
	s_and_saveexec_b32 s1, s0
	s_delay_alu instid0(SALU_CYCLE_1)
	s_xor_b32 s0, exec_lo, s1
	s_cbranch_execz .LBB178_131
; %bb.130:
	v_dual_mul_f32 v3, 0.5, v1 :: v_dual_mul_f32 v4, 0.5, v2
	s_delay_alu instid0(VALU_DEP_1) | instskip(NEXT) | instid1(VALU_DEP_2)
	v_cndmask_b32_e64 v13, v1, v3, s14
	v_cndmask_b32_e64 v12, v2, v4, s14
                                        ; implicit-def: $vgpr1
                                        ; implicit-def: $vgpr2
	s_and_not1_saveexec_b32 s0, s0
	s_cbranch_execnz .LBB178_132
	s_branch .LBB178_133
.LBB178_131:
	s_and_not1_saveexec_b32 s0, s0
.LBB178_132:
	v_dual_add_f32 v13, v1, v1 :: v_dual_add_f32 v12, v2, v2
.LBB178_133:
	s_or_b32 exec_lo, exec_lo, s0
                                        ; implicit-def: $vgpr1_vgpr2_vgpr3_vgpr4
.LBB178_134:
	s_and_not1_saveexec_b32 s0, s13
	s_cbranch_execz .LBB178_140
; %bb.135:
	s_delay_alu instid0(VALU_DEP_1)
	v_sub_f32_e32 v1, v12, v12
	s_mov_b32 s1, exec_lo
	v_cmpx_lt_i16_e32 -1, v4
	s_xor_b32 s1, exec_lo, s1
; %bb.136:
	s_delay_alu instid0(VALU_DEP_2)
	v_bfi_b32 v12, 0x7fffffff, v1, v12
                                        ; implicit-def: $vgpr1
; %bb.137:
	s_and_not1_saveexec_b32 s1, s1
; %bb.138:
	v_and_b32_e32 v1, 0x7fffffff, v1
	s_delay_alu instid0(VALU_DEP_2) | instskip(NEXT) | instid1(VALU_DEP_2)
	v_bfi_b32 v12, 0x7fffffff, v13, v12
	v_mov_b32_e32 v13, v1
; %bb.139:
	s_or_b32 exec_lo, exec_lo, s1
.LBB178_140:
	s_delay_alu instid0(SALU_CYCLE_1)
	s_or_b32 exec_lo, exec_lo, s0
.LBB178_141:
	s_and_not1_saveexec_b32 s0, s12
; %bb.142:
	v_sub_f32_e32 v1, v12, v12
	s_delay_alu instid0(VALU_DEP_1) | instskip(NEXT) | instid1(VALU_DEP_1)
	v_div_scale_f32 v2, vcc_lo, v1, v1, v1
	v_rcp_f32_e32 v3, v2
	s_waitcnt_depctr 0xfff
	v_fma_f32 v4, -v2, v3, 1.0
	s_delay_alu instid0(VALU_DEP_1) | instskip(NEXT) | instid1(VALU_DEP_1)
	v_fmac_f32_e32 v3, v4, v3
	v_mul_f32_e32 v4, v2, v3
	s_delay_alu instid0(VALU_DEP_1) | instskip(NEXT) | instid1(VALU_DEP_1)
	v_fma_f32 v12, -v2, v4, v2
	v_fmac_f32_e32 v4, v12, v3
	s_delay_alu instid0(VALU_DEP_1) | instskip(NEXT) | instid1(VALU_DEP_1)
	v_fma_f32 v2, -v2, v4, v2
	v_div_fmas_f32 v2, v2, v3, v4
	s_delay_alu instid0(VALU_DEP_1)
	v_div_fixup_f32 v12, v2, v1, v1
; %bb.143:
	s_or_b32 exec_lo, exec_lo, s0
.LBB178_144:
	s_delay_alu instid0(SALU_CYCLE_1)
	s_or_b32 exec_lo, exec_lo, s11
.LBB178_145:
	s_delay_alu instid0(SALU_CYCLE_1)
	s_or_b32 exec_lo, exec_lo, s9
	v_cmp_gt_f32_e32 vcc_lo, 0, v13
                                        ; implicit-def: $vgpr2
                                        ; implicit-def: $vgpr1
	s_mov_b32 s0, exec_lo
	v_cndmask_b32_e64 v3, v13, -v13, vcc_lo
	v_cmp_gt_f32_e32 vcc_lo, 0, v12
	v_cndmask_b32_e64 v4, v12, -v12, vcc_lo
	s_delay_alu instid0(VALU_DEP_1)
	v_cmpx_ge_f32_e32 v3, v4
	s_xor_b32 s1, exec_lo, s0
	s_cbranch_execz .LBB178_151
; %bb.146:
	v_cmp_neq_f32_e32 vcc_lo, 0, v13
	v_cmp_neq_f32_e64 s0, 0, v12
                                        ; implicit-def: $vgpr2
                                        ; implicit-def: $vgpr1
	s_delay_alu instid0(VALU_DEP_1) | instskip(NEXT) | instid1(SALU_CYCLE_1)
	s_or_b32 s0, vcc_lo, s0
	s_and_saveexec_b32 s9, s0
	s_delay_alu instid0(SALU_CYCLE_1)
	s_xor_b32 s0, exec_lo, s9
	s_cbranch_execz .LBB178_148
; %bb.147:
	v_div_scale_f32 v1, null, v13, v13, v12
	v_div_scale_f32 v4, vcc_lo, v12, v13, v12
	s_delay_alu instid0(VALU_DEP_2) | instskip(SKIP_2) | instid1(VALU_DEP_1)
	v_rcp_f32_e32 v2, v1
	s_waitcnt_depctr 0xfff
	v_fma_f32 v3, -v1, v2, 1.0
	v_fmac_f32_e32 v2, v3, v2
	s_delay_alu instid0(VALU_DEP_1) | instskip(NEXT) | instid1(VALU_DEP_1)
	v_mul_f32_e32 v3, v4, v2
	v_fma_f32 v14, -v1, v3, v4
	s_delay_alu instid0(VALU_DEP_1) | instskip(NEXT) | instid1(VALU_DEP_1)
	v_fmac_f32_e32 v3, v14, v2
	v_fma_f32 v1, -v1, v3, v4
	s_delay_alu instid0(VALU_DEP_1) | instskip(NEXT) | instid1(VALU_DEP_1)
	v_div_fmas_f32 v1, v1, v2, v3
	v_div_fixup_f32 v2, v1, v13, v12
	s_delay_alu instid0(VALU_DEP_1) | instskip(NEXT) | instid1(VALU_DEP_1)
	v_fmac_f32_e32 v13, v12, v2
	v_div_scale_f32 v1, null, v13, v13, 1.0
	v_div_scale_f32 v12, vcc_lo, 1.0, v13, 1.0
	s_delay_alu instid0(VALU_DEP_2) | instskip(SKIP_2) | instid1(VALU_DEP_1)
	v_rcp_f32_e32 v3, v1
	s_waitcnt_depctr 0xfff
	v_fma_f32 v4, -v1, v3, 1.0
	v_fmac_f32_e32 v3, v4, v3
	s_delay_alu instid0(VALU_DEP_1) | instskip(NEXT) | instid1(VALU_DEP_1)
	v_mul_f32_e32 v4, v12, v3
	v_fma_f32 v14, -v1, v4, v12
	s_delay_alu instid0(VALU_DEP_1) | instskip(NEXT) | instid1(VALU_DEP_1)
	v_fmac_f32_e32 v4, v14, v3
	v_fma_f32 v1, -v1, v4, v12
	s_delay_alu instid0(VALU_DEP_1) | instskip(SKIP_1) | instid1(VALU_DEP_2)
	v_div_fmas_f32 v1, v1, v3, v4
	v_fma_f32 v3, v2, 0, 1.0
	v_div_fixup_f32 v4, v1, v13, 1.0
	s_delay_alu instid0(VALU_DEP_1)
	v_mul_f32_e32 v1, v3, v4
	v_mul_f32_e64 v2, -v2, v4
                                        ; implicit-def: $vgpr3
                                        ; implicit-def: $vgpr4
.LBB178_148:
	s_and_not1_saveexec_b32 s9, s0
	s_cbranch_execz .LBB178_150
; %bb.149:
	v_div_scale_f32 v1, null, v3, v3, 1.0
	v_div_scale_f32 v2, null, v4, v4, 0
	v_div_scale_f32 v16, vcc_lo, 1.0, v3, 1.0
	s_delay_alu instid0(VALU_DEP_3) | instskip(NEXT) | instid1(VALU_DEP_2)
	v_rcp_f32_e32 v12, v1
	v_rcp_f32_e32 v13, v2
	s_waitcnt_depctr 0xfff
	v_fma_f32 v14, -v1, v12, 1.0
	v_fma_f32 v15, -v2, v13, 1.0
	s_delay_alu instid0(VALU_DEP_1) | instskip(SKIP_1) | instid1(VALU_DEP_2)
	v_dual_fmac_f32 v12, v14, v12 :: v_dual_fmac_f32 v13, v15, v13
	v_div_scale_f32 v14, s0, 0, v4, 0
	v_mul_f32_e32 v15, v16, v12
	s_delay_alu instid0(VALU_DEP_2) | instskip(NEXT) | instid1(VALU_DEP_2)
	v_mul_f32_e32 v17, v14, v13
	v_fma_f32 v18, -v1, v15, v16
	s_delay_alu instid0(VALU_DEP_2) | instskip(NEXT) | instid1(VALU_DEP_2)
	v_fma_f32 v19, -v2, v17, v14
	v_fmac_f32_e32 v15, v18, v12
	s_delay_alu instid0(VALU_DEP_2) | instskip(NEXT) | instid1(VALU_DEP_2)
	v_fmac_f32_e32 v17, v19, v13
	v_fma_f32 v1, -v1, v15, v16
	s_delay_alu instid0(VALU_DEP_2) | instskip(NEXT) | instid1(VALU_DEP_2)
	v_fma_f32 v2, -v2, v17, v14
	v_div_fmas_f32 v1, v1, v12, v15
	s_mov_b32 vcc_lo, s0
	s_delay_alu instid0(VALU_DEP_2) | instskip(NEXT) | instid1(VALU_DEP_2)
	v_div_fmas_f32 v2, v2, v13, v17
	v_div_fixup_f32 v1, v1, v3, 1.0
	s_delay_alu instid0(VALU_DEP_2)
	v_div_fixup_f32 v2, v2, v4, 0
.LBB178_150:
	s_or_b32 exec_lo, exec_lo, s9
                                        ; implicit-def: $vgpr12
                                        ; implicit-def: $vgpr13
.LBB178_151:
	s_and_not1_saveexec_b32 s0, s1
	s_cbranch_execz .LBB178_153
; %bb.152:
	v_div_scale_f32 v1, null, v12, v12, v13
	v_div_scale_f32 v4, vcc_lo, v13, v12, v13
	s_delay_alu instid0(VALU_DEP_2) | instskip(SKIP_2) | instid1(VALU_DEP_1)
	v_rcp_f32_e32 v2, v1
	s_waitcnt_depctr 0xfff
	v_fma_f32 v3, -v1, v2, 1.0
	v_fmac_f32_e32 v2, v3, v2
	s_delay_alu instid0(VALU_DEP_1) | instskip(NEXT) | instid1(VALU_DEP_1)
	v_mul_f32_e32 v3, v4, v2
	v_fma_f32 v14, -v1, v3, v4
	s_delay_alu instid0(VALU_DEP_1) | instskip(NEXT) | instid1(VALU_DEP_1)
	v_fmac_f32_e32 v3, v14, v2
	v_fma_f32 v1, -v1, v3, v4
	s_delay_alu instid0(VALU_DEP_1) | instskip(NEXT) | instid1(VALU_DEP_1)
	v_div_fmas_f32 v1, v1, v2, v3
	v_div_fixup_f32 v1, v1, v12, v13
	s_delay_alu instid0(VALU_DEP_1) | instskip(NEXT) | instid1(VALU_DEP_1)
	v_fmac_f32_e32 v12, v13, v1
	v_div_scale_f32 v2, null, v12, v12, 1.0
	v_div_scale_f32 v13, vcc_lo, 1.0, v12, 1.0
	s_delay_alu instid0(VALU_DEP_2) | instskip(SKIP_2) | instid1(VALU_DEP_1)
	v_rcp_f32_e32 v3, v2
	s_waitcnt_depctr 0xfff
	v_fma_f32 v4, -v2, v3, 1.0
	v_fmac_f32_e32 v3, v4, v3
	s_delay_alu instid0(VALU_DEP_1) | instskip(NEXT) | instid1(VALU_DEP_1)
	v_mul_f32_e32 v4, v13, v3
	v_fma_f32 v14, -v2, v4, v13
	s_delay_alu instid0(VALU_DEP_1) | instskip(NEXT) | instid1(VALU_DEP_1)
	v_fmac_f32_e32 v4, v14, v3
	v_fma_f32 v2, -v2, v4, v13
	s_delay_alu instid0(VALU_DEP_1) | instskip(SKIP_2) | instid1(VALU_DEP_3)
	v_div_fmas_f32 v2, v2, v3, v4
	v_add_f32_e32 v3, 0, v1
	v_fma_f32 v4, v1, 0, -1.0
	v_div_fixup_f32 v2, v2, v12, 1.0
	s_delay_alu instid0(VALU_DEP_1) | instskip(NEXT) | instid1(VALU_DEP_3)
	v_mul_f32_e32 v1, v3, v2
	v_mul_f32_e32 v2, v4, v2
.LBB178_153:
	s_or_b32 exec_lo, exec_lo, s0
	v_cvt_f16_f32_e32 v3, v11
	v_cvt_f16_f32_e32 v4, v10
	;; [unrolled: 1-line block ×8, first 2 shown]
	v_lshlrev_b32_e32 v3, 16, v3
	v_and_b32_e32 v4, 0xffff, v4
	v_lshlrev_b32_e32 v9, 16, v9
	v_and_b32_e32 v8, 0xffff, v8
	;; [unrolled: 2-line block ×4, first 2 shown]
	v_or_b32_e32 v3, v3, v4
	v_or_b32_e32 v2, v9, v8
	;; [unrolled: 1-line block ×3, first 2 shown]
	s_add_u32 s2, s4, s2
	v_or_b32_e32 v4, v10, v11
	s_addc_u32 s3, s5, s3
	s_mov_b32 s0, 0
	global_store_b128 v5, v[1:4], s[2:3]
.LBB178_154:
	s_and_b32 vcc_lo, exec_lo, s0
	s_cbranch_vccz .LBB178_331
; %bb.155:
	v_cmp_gt_i32_e64 s0, s10, v0
	v_dual_mov_b32 v7, 0 :: v_dual_mov_b32 v8, 0
	v_or_b32_e32 v1, s8, v0
	v_or_b32_e32 v3, 0x100, v0
	v_mov_b32_e32 v4, v0
	s_and_saveexec_b32 s1, s0
	s_cbranch_execz .LBB178_157
; %bb.156:
	v_mov_b32_e32 v2, 0
	s_delay_alu instid0(VALU_DEP_1) | instskip(NEXT) | instid1(VALU_DEP_1)
	v_lshlrev_b64 v[4:5], 2, v[1:2]
	v_add_co_u32 v4, vcc_lo, s6, v4
	s_delay_alu instid0(VALU_DEP_2)
	v_add_co_ci_u32_e32 v5, vcc_lo, s7, v5, vcc_lo
	global_load_b32 v8, v[4:5], off
	v_or_b32_e32 v4, 0x100, v0
.LBB178_157:
	s_or_b32 exec_lo, exec_lo, s1
	s_delay_alu instid0(SALU_CYCLE_1) | instskip(NEXT) | instid1(VALU_DEP_1)
	s_mov_b32 s1, exec_lo
	v_cmpx_gt_i32_e64 s10, v4
	s_cbranch_execz .LBB178_159
; %bb.158:
	v_dual_mov_b32 v6, 0 :: v_dual_add_nc_u32 v5, s8, v4
	v_add_nc_u32_e32 v4, 0x100, v4
	s_delay_alu instid0(VALU_DEP_2) | instskip(NEXT) | instid1(VALU_DEP_1)
	v_lshlrev_b64 v[5:6], 2, v[5:6]
	v_add_co_u32 v5, vcc_lo, s6, v5
	s_delay_alu instid0(VALU_DEP_2)
	v_add_co_ci_u32_e32 v6, vcc_lo, s7, v6, vcc_lo
	global_load_b32 v7, v[5:6], off
.LBB178_159:
	s_or_b32 exec_lo, exec_lo, s1
	v_dual_mov_b32 v2, 0 :: v_dual_mov_b32 v5, 0
	s_mov_b32 s1, exec_lo
	v_cmpx_gt_i32_e64 s10, v4
	s_cbranch_execz .LBB178_163
; %bb.160:
	v_dual_mov_b32 v6, 0 :: v_dual_add_nc_u32 v5, s8, v4
	v_add_nc_u32_e32 v4, 0x100, v4
	s_delay_alu instid0(VALU_DEP_2) | instskip(NEXT) | instid1(VALU_DEP_1)
	v_lshlrev_b64 v[5:6], 2, v[5:6]
	v_add_co_u32 v5, vcc_lo, s6, v5
	s_delay_alu instid0(VALU_DEP_2) | instskip(SKIP_2) | instid1(SALU_CYCLE_1)
	v_add_co_ci_u32_e32 v6, vcc_lo, s7, v6, vcc_lo
	global_load_b32 v5, v[5:6], off
	s_or_b32 exec_lo, exec_lo, s1
	s_mov_b32 s1, exec_lo
	v_cmpx_gt_i32_e64 s10, v4
	s_cbranch_execnz .LBB178_164
.LBB178_161:
	s_or_b32 exec_lo, exec_lo, s1
                                        ; implicit-def: $vgpr4
	s_and_saveexec_b32 s3, s0
	s_cbranch_execnz .LBB178_165
.LBB178_162:
	s_or_b32 exec_lo, exec_lo, s3
	s_delay_alu instid0(SALU_CYCLE_1)
	s_mov_b32 s3, exec_lo
                                        ; implicit-def: $vgpr6
	v_cmpx_gt_i32_e64 s10, v3
	s_cbranch_execz .LBB178_243
	s_branch .LBB178_204
.LBB178_163:
	s_or_b32 exec_lo, exec_lo, s1
	s_delay_alu instid0(SALU_CYCLE_1)
	s_mov_b32 s1, exec_lo
	v_cmpx_gt_i32_e64 s10, v4
	s_cbranch_execz .LBB178_161
.LBB178_164:
	v_dual_mov_b32 v10, 0 :: v_dual_add_nc_u32 v9, s8, v4
	s_delay_alu instid0(VALU_DEP_1) | instskip(NEXT) | instid1(VALU_DEP_1)
	v_lshlrev_b64 v[9:10], 2, v[9:10]
	v_add_co_u32 v9, vcc_lo, s6, v9
	s_delay_alu instid0(VALU_DEP_2)
	v_add_co_ci_u32_e32 v10, vcc_lo, s7, v10, vcc_lo
	global_load_b32 v2, v[9:10], off
	s_or_b32 exec_lo, exec_lo, s1
                                        ; implicit-def: $vgpr4
	s_and_saveexec_b32 s3, s0
	s_cbranch_execz .LBB178_162
.LBB178_165:
	s_waitcnt vmcnt(0)
	v_lshrrev_b32_e32 v4, 16, v8
	v_cmp_neq_f16_e32 vcc_lo, 0, v8
	v_mov_b32_e32 v6, 0
	s_delay_alu instid0(VALU_DEP_3) | instskip(SKIP_1) | instid1(VALU_DEP_2)
	v_cmp_neq_f16_e64 s1, 0, v4
	v_cvt_f32_f16_e32 v4, v4
	s_or_b32 s1, vcc_lo, s1
	s_delay_alu instid0(SALU_CYCLE_1)
	s_and_saveexec_b32 s6, s1
	s_cbranch_execz .LBB178_195
; %bb.166:
	v_mov_b32_e32 v6, 0x7f800000
	s_mov_b32 s7, exec_lo
	v_cmpx_neq_f32_e64 0x7f800000, |v4|
	s_cbranch_execz .LBB178_194
; %bb.167:
	v_cvt_f32_f16_e32 v6, v8
	s_mov_b32 s1, exec_lo
	v_cmpx_o_f16_e32 v8, v8
	s_xor_b32 s9, exec_lo, s1
	s_cbranch_execz .LBB178_191
; %bb.168:
	s_mov_b32 s2, exec_lo
	v_cmpx_neq_f32_e64 0x7f800000, |v6|
	s_xor_b32 s11, exec_lo, s2
	s_cbranch_execz .LBB178_184
; %bb.169:
	v_max_f32_e64 v8, |v4|, |v4|
	v_max_f32_e64 v9, |v6|, |v6|
                                        ; implicit-def: $sgpr12
	s_delay_alu instid0(VALU_DEP_1) | instskip(NEXT) | instid1(VALU_DEP_1)
	v_max_f32_e32 v8, v9, v8
	v_cmp_nle_f32_e64 s1, 0x7ed413cb, v8
	s_delay_alu instid0(VALU_DEP_1) | instskip(NEXT) | instid1(SALU_CYCLE_1)
	s_and_saveexec_b32 s2, s1
	s_xor_b32 s2, exec_lo, s2
	s_cbranch_execz .LBB178_173
; %bb.170:
	v_cmp_ge_f32_e64 s12, 0x1000000, |v6|
	v_cmp_ge_f32_e64 s13, 0x1000000, |v4|
	s_delay_alu instid0(VALU_DEP_1)
	s_and_b32 s14, s12, s13
	s_mov_b32 s12, 0
	s_and_saveexec_b32 s13, s14
; %bb.171:
	v_mul_f32_e32 v6, 4.0, v6
	v_mul_f32_e32 v4, 4.0, v4
	s_mov_b32 s12, exec_lo
; %bb.172:
	s_or_b32 exec_lo, exec_lo, s13
	s_delay_alu instid0(SALU_CYCLE_1)
	s_and_b32 s12, s12, exec_lo
.LBB178_173:
	s_and_not1_saveexec_b32 s2, s2
; %bb.174:
	v_mul_f32_e32 v6, 0x3e800000, v6
	v_mul_f32_e32 v4, 0x3e800000, v4
	s_and_not1_b32 s12, s12, exec_lo
; %bb.175:
	s_or_b32 exec_lo, exec_lo, s2
	s_delay_alu instid0(VALU_DEP_1) | instskip(SKIP_1) | instid1(VALU_DEP_1)
	v_max_f32_e64 v8, |v4|, |v4|
	v_max_f32_e64 v9, |v6|, |v6|
	v_max_f32_e32 v10, v9, v8
	s_delay_alu instid0(VALU_DEP_1) | instskip(NEXT) | instid1(VALU_DEP_1)
	v_cvt_f64_f32_e32 v[8:9], v10
	v_frexp_exp_i32_f64_e32 v8, v[8:9]
	s_delay_alu instid0(VALU_DEP_1) | instskip(NEXT) | instid1(VALU_DEP_1)
	v_sub_nc_u32_e32 v9, 0, v8
	v_ldexp_f32 v11, |v4|, v9
	v_ldexp_f32 v9, |v6|, v9
	s_delay_alu instid0(VALU_DEP_2) | instskip(SKIP_1) | instid1(VALU_DEP_2)
	v_mul_f32_e32 v11, v11, v11
	v_cmp_neq_f32_e64 s2, 0x7f800000, v10
	v_fmac_f32_e32 v11, v9, v9
	s_delay_alu instid0(VALU_DEP_1) | instskip(SKIP_2) | instid1(VALU_DEP_1)
	v_sqrt_f32_e32 v9, v11
	s_waitcnt_depctr 0xfff
	v_ldexp_f32 v8, v9, v8
                                        ; implicit-def: $vgpr9
	v_cndmask_b32_e64 v10, 0x7f800000, v8, s2
                                        ; implicit-def: $vgpr8
	s_mov_b32 s2, exec_lo
	v_cmpx_le_f32_e32 0, v6
	s_xor_b32 s13, exec_lo, s2
	s_cbranch_execz .LBB178_177
; %bb.176:
	v_add_f32_e32 v6, v6, v10
	s_delay_alu instid0(VALU_DEP_1) | instskip(NEXT) | instid1(VALU_DEP_1)
	v_mul_f32_e32 v6, 0.5, v6
	v_mul_f32_e32 v8, 0x4f800000, v6
	v_cmp_gt_f32_e32 vcc_lo, 0xf800000, v6
	s_delay_alu instid0(VALU_DEP_2) | instskip(NEXT) | instid1(VALU_DEP_1)
	v_cndmask_b32_e32 v6, v6, v8, vcc_lo
	v_sqrt_f32_e32 v8, v6
	s_waitcnt_depctr 0xfff
	v_add_nc_u32_e32 v9, -1, v8
	v_add_nc_u32_e32 v10, 1, v8
	s_delay_alu instid0(VALU_DEP_2) | instskip(NEXT) | instid1(VALU_DEP_2)
	v_fma_f32 v11, -v9, v8, v6
	v_fma_f32 v12, -v10, v8, v6
	s_delay_alu instid0(VALU_DEP_2) | instskip(NEXT) | instid1(VALU_DEP_1)
	v_cmp_ge_f32_e64 s2, 0, v11
	v_cndmask_b32_e64 v8, v8, v9, s2
	s_delay_alu instid0(VALU_DEP_3) | instskip(NEXT) | instid1(VALU_DEP_1)
	v_cmp_lt_f32_e64 s2, 0, v12
	v_cndmask_b32_e64 v8, v8, v10, s2
	s_delay_alu instid0(VALU_DEP_1) | instskip(NEXT) | instid1(VALU_DEP_1)
	v_mul_f32_e32 v9, 0x37800000, v8
	v_cndmask_b32_e32 v8, v8, v9, vcc_lo
	v_cmp_class_f32_e64 vcc_lo, v6, 0x260
	s_delay_alu instid0(VALU_DEP_2) | instskip(NEXT) | instid1(VALU_DEP_1)
	v_cndmask_b32_e32 v8, v8, v6, vcc_lo
	v_add_f32_e32 v6, v8, v8
	s_delay_alu instid0(VALU_DEP_1) | instskip(NEXT) | instid1(VALU_DEP_1)
	v_div_scale_f32 v9, null, v6, v6, v4
	v_rcp_f32_e32 v10, v9
	s_waitcnt_depctr 0xfff
	v_fma_f32 v11, -v9, v10, 1.0
	s_delay_alu instid0(VALU_DEP_1) | instskip(SKIP_1) | instid1(VALU_DEP_1)
	v_fmac_f32_e32 v10, v11, v10
	v_div_scale_f32 v11, vcc_lo, v4, v6, v4
	v_mul_f32_e32 v12, v11, v10
	s_delay_alu instid0(VALU_DEP_1) | instskip(NEXT) | instid1(VALU_DEP_1)
	v_fma_f32 v13, -v9, v12, v11
	v_fmac_f32_e32 v12, v13, v10
	s_delay_alu instid0(VALU_DEP_1) | instskip(NEXT) | instid1(VALU_DEP_1)
	v_fma_f32 v9, -v9, v12, v11
	v_div_fmas_f32 v9, v9, v10, v12
                                        ; implicit-def: $vgpr10
	s_delay_alu instid0(VALU_DEP_1)
	v_div_fixup_f32 v9, v9, v6, v4
                                        ; implicit-def: $vgpr6
                                        ; implicit-def: $vgpr4
	s_and_not1_saveexec_b32 s13, s13
	s_cbranch_execz .LBB178_179
	s_branch .LBB178_178
.LBB178_177:
	s_and_not1_saveexec_b32 s13, s13
	s_cbranch_execz .LBB178_179
.LBB178_178:
	v_sub_f32_e32 v6, v10, v6
	s_delay_alu instid0(VALU_DEP_1) | instskip(NEXT) | instid1(VALU_DEP_1)
	v_mul_f32_e32 v6, 0.5, v6
	v_mul_f32_e32 v8, 0x4f800000, v6
	v_cmp_gt_f32_e32 vcc_lo, 0xf800000, v6
	s_delay_alu instid0(VALU_DEP_2) | instskip(NEXT) | instid1(VALU_DEP_1)
	v_cndmask_b32_e32 v6, v6, v8, vcc_lo
	v_sqrt_f32_e32 v8, v6
	s_waitcnt_depctr 0xfff
	v_add_nc_u32_e32 v9, -1, v8
	v_add_nc_u32_e32 v10, 1, v8
	s_delay_alu instid0(VALU_DEP_2) | instskip(NEXT) | instid1(VALU_DEP_2)
	v_fma_f32 v11, -v9, v8, v6
	v_fma_f32 v12, -v10, v8, v6
	s_delay_alu instid0(VALU_DEP_2) | instskip(NEXT) | instid1(VALU_DEP_1)
	v_cmp_ge_f32_e64 s2, 0, v11
	v_cndmask_b32_e64 v8, v8, v9, s2
	s_delay_alu instid0(VALU_DEP_3) | instskip(NEXT) | instid1(VALU_DEP_1)
	v_cmp_lt_f32_e64 s2, 0, v12
	v_cndmask_b32_e64 v8, v8, v10, s2
	s_delay_alu instid0(VALU_DEP_1) | instskip(NEXT) | instid1(VALU_DEP_1)
	v_mul_f32_e32 v9, 0x37800000, v8
	v_cndmask_b32_e32 v8, v8, v9, vcc_lo
	v_cmp_class_f32_e64 vcc_lo, v6, 0x260
	s_delay_alu instid0(VALU_DEP_2) | instskip(NEXT) | instid1(VALU_DEP_1)
	v_cndmask_b32_e32 v6, v8, v6, vcc_lo
	v_dual_add_f32 v9, v6, v6 :: v_dual_and_b32 v8, 0x7fffffff, v4
	s_delay_alu instid0(VALU_DEP_1) | instskip(SKIP_1) | instid1(VALU_DEP_2)
	v_div_scale_f32 v10, null, v9, v9, v8
	v_div_scale_f32 v8, vcc_lo, v8, v9, v8
	v_rcp_f32_e32 v11, v10
	s_waitcnt_depctr 0xfff
	v_fma_f32 v12, -v10, v11, 1.0
	s_delay_alu instid0(VALU_DEP_1) | instskip(NEXT) | instid1(VALU_DEP_1)
	v_fmac_f32_e32 v11, v12, v11
	v_mul_f32_e32 v12, v8, v11
	s_delay_alu instid0(VALU_DEP_1) | instskip(NEXT) | instid1(VALU_DEP_1)
	v_fma_f32 v13, -v10, v12, v8
	v_fmac_f32_e32 v12, v13, v11
	s_delay_alu instid0(VALU_DEP_1) | instskip(NEXT) | instid1(VALU_DEP_1)
	v_fma_f32 v8, -v10, v12, v8
	v_div_fmas_f32 v8, v8, v11, v12
	s_delay_alu instid0(VALU_DEP_1)
	v_div_fixup_f32 v8, v8, v9, |v4|
	v_bfi_b32 v9, 0x7fffffff, v6, v4
.LBB178_179:
	s_or_b32 exec_lo, exec_lo, s13
                                        ; implicit-def: $vgpr4
                                        ; implicit-def: $vgpr6
	s_and_saveexec_b32 s2, s1
	s_delay_alu instid0(SALU_CYCLE_1)
	s_xor_b32 s1, exec_lo, s2
	s_cbranch_execz .LBB178_181
; %bb.180:
	v_mul_f32_e32 v4, 0.5, v8
	v_mul_f32_e32 v10, 0.5, v9
	s_delay_alu instid0(VALU_DEP_2) | instskip(NEXT) | instid1(VALU_DEP_2)
	v_cndmask_b32_e64 v6, v8, v4, s12
	v_cndmask_b32_e64 v4, v9, v10, s12
                                        ; implicit-def: $vgpr8
                                        ; implicit-def: $vgpr9
	s_and_not1_saveexec_b32 s1, s1
	s_cbranch_execnz .LBB178_182
	s_branch .LBB178_183
.LBB178_181:
	s_and_not1_saveexec_b32 s1, s1
.LBB178_182:
	v_add_f32_e32 v6, v8, v8
	v_add_f32_e32 v4, v9, v9
.LBB178_183:
	s_or_b32 exec_lo, exec_lo, s1
                                        ; implicit-def: $vgpr8
.LBB178_184:
	s_and_not1_saveexec_b32 s1, s11
	s_cbranch_execz .LBB178_190
; %bb.185:
	v_cmp_lt_i16_e32 vcc_lo, -1, v8
	v_sub_f32_e32 v8, v4, v4
	s_and_saveexec_b32 s2, vcc_lo
	s_delay_alu instid0(SALU_CYCLE_1)
	s_xor_b32 s2, exec_lo, s2
; %bb.186:
	s_delay_alu instid0(VALU_DEP_1)
	v_bfi_b32 v4, 0x7fffffff, v8, v4
                                        ; implicit-def: $vgpr8
; %bb.187:
	s_and_not1_saveexec_b32 s2, s2
; %bb.188:
	v_and_b32_e32 v8, 0x7fffffff, v8
	s_delay_alu instid0(VALU_DEP_2) | instskip(NEXT) | instid1(VALU_DEP_2)
	v_bfi_b32 v4, 0x7fffffff, v6, v4
	v_mov_b32_e32 v6, v8
; %bb.189:
	s_or_b32 exec_lo, exec_lo, s2
.LBB178_190:
	s_delay_alu instid0(SALU_CYCLE_1)
	s_or_b32 exec_lo, exec_lo, s1
.LBB178_191:
	s_and_not1_saveexec_b32 s1, s9
; %bb.192:
	v_sub_f32_e32 v4, v4, v4
	s_delay_alu instid0(VALU_DEP_1) | instskip(NEXT) | instid1(VALU_DEP_1)
	v_div_scale_f32 v8, vcc_lo, v4, v4, v4
	v_rcp_f32_e32 v9, v8
	s_waitcnt_depctr 0xfff
	v_fma_f32 v10, -v8, v9, 1.0
	s_delay_alu instid0(VALU_DEP_1) | instskip(NEXT) | instid1(VALU_DEP_1)
	v_fmac_f32_e32 v9, v10, v9
	v_mul_f32_e32 v10, v8, v9
	s_delay_alu instid0(VALU_DEP_1) | instskip(NEXT) | instid1(VALU_DEP_1)
	v_fma_f32 v11, -v8, v10, v8
	v_fmac_f32_e32 v10, v11, v9
	s_delay_alu instid0(VALU_DEP_1) | instskip(NEXT) | instid1(VALU_DEP_1)
	v_fma_f32 v8, -v8, v10, v8
	v_div_fmas_f32 v8, v8, v9, v10
	s_delay_alu instid0(VALU_DEP_1)
	v_div_fixup_f32 v4, v8, v4, v4
; %bb.193:
	s_or_b32 exec_lo, exec_lo, s1
.LBB178_194:
	s_delay_alu instid0(SALU_CYCLE_1)
	s_or_b32 exec_lo, exec_lo, s7
.LBB178_195:
	s_delay_alu instid0(SALU_CYCLE_1)
	s_or_b32 exec_lo, exec_lo, s6
	v_cmp_gt_f32_e32 vcc_lo, 0, v6
                                        ; implicit-def: $vgpr11
                                        ; implicit-def: $vgpr10
	s_mov_b32 s1, exec_lo
	v_cndmask_b32_e64 v8, v6, -v6, vcc_lo
	v_cmp_gt_f32_e32 vcc_lo, 0, v4
	v_cndmask_b32_e64 v9, v4, -v4, vcc_lo
	s_delay_alu instid0(VALU_DEP_1)
	v_cmpx_ge_f32_e32 v8, v9
	s_xor_b32 s2, exec_lo, s1
	s_cbranch_execz .LBB178_201
; %bb.196:
	v_cmp_neq_f32_e32 vcc_lo, 0, v6
	v_cmp_neq_f32_e64 s1, 0, v4
                                        ; implicit-def: $vgpr11
                                        ; implicit-def: $vgpr10
	s_delay_alu instid0(VALU_DEP_1) | instskip(NEXT) | instid1(SALU_CYCLE_1)
	s_or_b32 s1, vcc_lo, s1
	s_and_saveexec_b32 s6, s1
	s_delay_alu instid0(SALU_CYCLE_1)
	s_xor_b32 s1, exec_lo, s6
	s_cbranch_execz .LBB178_198
; %bb.197:
	v_div_scale_f32 v8, null, v6, v6, v4
	v_div_scale_f32 v11, vcc_lo, v4, v6, v4
	s_delay_alu instid0(VALU_DEP_2) | instskip(SKIP_2) | instid1(VALU_DEP_1)
	v_rcp_f32_e32 v9, v8
	s_waitcnt_depctr 0xfff
	v_fma_f32 v10, -v8, v9, 1.0
	v_fmac_f32_e32 v9, v10, v9
	s_delay_alu instid0(VALU_DEP_1) | instskip(NEXT) | instid1(VALU_DEP_1)
	v_mul_f32_e32 v10, v11, v9
	v_fma_f32 v12, -v8, v10, v11
	s_delay_alu instid0(VALU_DEP_1) | instskip(NEXT) | instid1(VALU_DEP_1)
	v_fmac_f32_e32 v10, v12, v9
	v_fma_f32 v8, -v8, v10, v11
	s_delay_alu instid0(VALU_DEP_1) | instskip(NEXT) | instid1(VALU_DEP_1)
	v_div_fmas_f32 v8, v8, v9, v10
	v_div_fixup_f32 v8, v8, v6, v4
	s_delay_alu instid0(VALU_DEP_1) | instskip(NEXT) | instid1(VALU_DEP_1)
	v_fmac_f32_e32 v6, v4, v8
	v_div_scale_f32 v4, null, v6, v6, 1.0
	v_div_scale_f32 v11, vcc_lo, 1.0, v6, 1.0
	s_delay_alu instid0(VALU_DEP_2) | instskip(SKIP_2) | instid1(VALU_DEP_1)
	v_rcp_f32_e32 v9, v4
	s_waitcnt_depctr 0xfff
	v_fma_f32 v10, -v4, v9, 1.0
	v_fmac_f32_e32 v9, v10, v9
	s_delay_alu instid0(VALU_DEP_1) | instskip(NEXT) | instid1(VALU_DEP_1)
	v_mul_f32_e32 v10, v11, v9
	v_fma_f32 v12, -v4, v10, v11
	s_delay_alu instid0(VALU_DEP_1) | instskip(NEXT) | instid1(VALU_DEP_1)
	v_fmac_f32_e32 v10, v12, v9
	v_fma_f32 v4, -v4, v10, v11
	s_delay_alu instid0(VALU_DEP_1) | instskip(SKIP_1) | instid1(VALU_DEP_2)
	v_div_fmas_f32 v4, v4, v9, v10
	v_fma_f32 v9, v8, 0, 1.0
	v_div_fixup_f32 v4, v4, v6, 1.0
	s_delay_alu instid0(VALU_DEP_1)
	v_mul_f32_e32 v10, v9, v4
	v_mul_f32_e64 v11, -v8, v4
                                        ; implicit-def: $vgpr8
                                        ; implicit-def: $vgpr9
.LBB178_198:
	s_and_not1_saveexec_b32 s6, s1
	s_cbranch_execz .LBB178_200
; %bb.199:
	v_div_scale_f32 v4, null, v8, v8, 1.0
	v_div_scale_f32 v6, null, v9, v9, 0
	v_div_scale_f32 v14, vcc_lo, 1.0, v8, 1.0
	s_delay_alu instid0(VALU_DEP_3) | instskip(NEXT) | instid1(VALU_DEP_2)
	v_rcp_f32_e32 v10, v4
	v_rcp_f32_e32 v11, v6
	s_waitcnt_depctr 0xfff
	v_fma_f32 v12, -v4, v10, 1.0
	v_fma_f32 v13, -v6, v11, 1.0
	s_delay_alu instid0(VALU_DEP_1) | instskip(SKIP_1) | instid1(VALU_DEP_2)
	v_dual_fmac_f32 v10, v12, v10 :: v_dual_fmac_f32 v11, v13, v11
	v_div_scale_f32 v12, s1, 0, v9, 0
	v_mul_f32_e32 v13, v14, v10
	s_delay_alu instid0(VALU_DEP_2) | instskip(NEXT) | instid1(VALU_DEP_2)
	v_mul_f32_e32 v15, v12, v11
	v_fma_f32 v16, -v4, v13, v14
	s_delay_alu instid0(VALU_DEP_2) | instskip(NEXT) | instid1(VALU_DEP_2)
	v_fma_f32 v17, -v6, v15, v12
	v_fmac_f32_e32 v13, v16, v10
	s_delay_alu instid0(VALU_DEP_2) | instskip(NEXT) | instid1(VALU_DEP_2)
	v_fmac_f32_e32 v15, v17, v11
	v_fma_f32 v4, -v4, v13, v14
	s_delay_alu instid0(VALU_DEP_2) | instskip(NEXT) | instid1(VALU_DEP_2)
	v_fma_f32 v6, -v6, v15, v12
	v_div_fmas_f32 v4, v4, v10, v13
	s_mov_b32 vcc_lo, s1
	s_delay_alu instid0(VALU_DEP_2) | instskip(NEXT) | instid1(VALU_DEP_2)
	v_div_fmas_f32 v6, v6, v11, v15
	v_div_fixup_f32 v10, v4, v8, 1.0
	s_delay_alu instid0(VALU_DEP_2)
	v_div_fixup_f32 v11, v6, v9, 0
.LBB178_200:
	s_or_b32 exec_lo, exec_lo, s6
                                        ; implicit-def: $vgpr4
                                        ; implicit-def: $vgpr6
.LBB178_201:
	s_and_not1_saveexec_b32 s1, s2
	s_cbranch_execz .LBB178_203
; %bb.202:
	v_div_scale_f32 v8, null, v4, v4, v6
	v_div_scale_f32 v11, vcc_lo, v6, v4, v6
	s_delay_alu instid0(VALU_DEP_2) | instskip(SKIP_2) | instid1(VALU_DEP_1)
	v_rcp_f32_e32 v9, v8
	s_waitcnt_depctr 0xfff
	v_fma_f32 v10, -v8, v9, 1.0
	v_fmac_f32_e32 v9, v10, v9
	s_delay_alu instid0(VALU_DEP_1) | instskip(NEXT) | instid1(VALU_DEP_1)
	v_mul_f32_e32 v10, v11, v9
	v_fma_f32 v12, -v8, v10, v11
	s_delay_alu instid0(VALU_DEP_1) | instskip(NEXT) | instid1(VALU_DEP_1)
	v_fmac_f32_e32 v10, v12, v9
	v_fma_f32 v8, -v8, v10, v11
	s_delay_alu instid0(VALU_DEP_1) | instskip(NEXT) | instid1(VALU_DEP_1)
	v_div_fmas_f32 v8, v8, v9, v10
	v_div_fixup_f32 v8, v8, v4, v6
	s_delay_alu instid0(VALU_DEP_1) | instskip(NEXT) | instid1(VALU_DEP_1)
	v_fmac_f32_e32 v4, v6, v8
	v_div_scale_f32 v6, null, v4, v4, 1.0
	v_div_scale_f32 v11, vcc_lo, 1.0, v4, 1.0
	s_delay_alu instid0(VALU_DEP_2) | instskip(SKIP_2) | instid1(VALU_DEP_1)
	v_rcp_f32_e32 v9, v6
	s_waitcnt_depctr 0xfff
	v_fma_f32 v10, -v6, v9, 1.0
	v_fmac_f32_e32 v9, v10, v9
	s_delay_alu instid0(VALU_DEP_1) | instskip(NEXT) | instid1(VALU_DEP_1)
	v_mul_f32_e32 v10, v11, v9
	v_fma_f32 v12, -v6, v10, v11
	s_delay_alu instid0(VALU_DEP_1) | instskip(NEXT) | instid1(VALU_DEP_1)
	v_fmac_f32_e32 v10, v12, v9
	v_fma_f32 v6, -v6, v10, v11
	s_delay_alu instid0(VALU_DEP_1) | instskip(SKIP_1) | instid1(VALU_DEP_2)
	v_div_fmas_f32 v6, v6, v9, v10
	v_add_f32_e32 v9, 0, v8
	v_div_fixup_f32 v4, v6, v4, 1.0
	v_fma_f32 v6, v8, 0, -1.0
	s_delay_alu instid0(VALU_DEP_2) | instskip(NEXT) | instid1(VALU_DEP_2)
	v_mul_f32_e32 v10, v9, v4
	v_mul_f32_e32 v11, v6, v4
.LBB178_203:
	s_or_b32 exec_lo, exec_lo, s1
	s_delay_alu instid0(VALU_DEP_1) | instskip(NEXT) | instid1(VALU_DEP_3)
	v_cvt_f16_f32_e32 v4, v11
	v_cvt_f16_f32_e32 v6, v10
	s_delay_alu instid0(VALU_DEP_2) | instskip(NEXT) | instid1(VALU_DEP_2)
	v_lshlrev_b32_e32 v4, 16, v4
	v_and_b32_e32 v6, 0xffff, v6
	s_delay_alu instid0(VALU_DEP_1) | instskip(SKIP_1) | instid1(SALU_CYCLE_1)
	v_or_b32_e32 v4, v4, v6
	s_or_b32 exec_lo, exec_lo, s3
	s_mov_b32 s3, exec_lo
                                        ; implicit-def: $vgpr6
	v_cmpx_gt_i32_e64 s10, v3
	s_cbranch_execz .LBB178_243
.LBB178_204:
	s_waitcnt vmcnt(0)
	v_lshrrev_b32_e32 v6, 16, v7
	v_cmp_neq_f16_e32 vcc_lo, 0, v7
	v_mov_b32_e32 v8, 0
	s_delay_alu instid0(VALU_DEP_3) | instskip(SKIP_1) | instid1(VALU_DEP_2)
	v_cmp_neq_f16_e64 s1, 0, v6
	v_cvt_f32_f16_e32 v6, v6
	s_or_b32 s1, vcc_lo, s1
	s_delay_alu instid0(SALU_CYCLE_1)
	s_and_saveexec_b32 s6, s1
	s_cbranch_execz .LBB178_234
; %bb.205:
	v_mov_b32_e32 v8, 0x7f800000
	s_mov_b32 s7, exec_lo
	v_cmpx_neq_f32_e64 0x7f800000, |v6|
	s_cbranch_execz .LBB178_233
; %bb.206:
	v_cvt_f32_f16_e32 v8, v7
	s_mov_b32 s1, exec_lo
	v_cmpx_o_f16_e32 v7, v7
	s_xor_b32 s9, exec_lo, s1
	s_cbranch_execz .LBB178_230
; %bb.207:
	s_mov_b32 s2, exec_lo
	v_cmpx_neq_f32_e64 0x7f800000, |v8|
	s_xor_b32 s11, exec_lo, s2
	s_cbranch_execz .LBB178_223
; %bb.208:
	v_max_f32_e64 v7, |v6|, |v6|
	v_max_f32_e64 v9, |v8|, |v8|
                                        ; implicit-def: $sgpr12
	s_delay_alu instid0(VALU_DEP_1) | instskip(NEXT) | instid1(VALU_DEP_1)
	v_max_f32_e32 v7, v9, v7
	v_cmp_nle_f32_e64 s1, 0x7ed413cb, v7
	s_delay_alu instid0(VALU_DEP_1) | instskip(NEXT) | instid1(SALU_CYCLE_1)
	s_and_saveexec_b32 s2, s1
	s_xor_b32 s2, exec_lo, s2
	s_cbranch_execz .LBB178_212
; %bb.209:
	v_cmp_ge_f32_e64 s12, 0x1000000, |v8|
	v_cmp_ge_f32_e64 s13, 0x1000000, |v6|
	s_delay_alu instid0(VALU_DEP_1)
	s_and_b32 s14, s12, s13
	s_mov_b32 s12, 0
	s_and_saveexec_b32 s13, s14
; %bb.210:
	v_mul_f32_e32 v8, 4.0, v8
	v_mul_f32_e32 v6, 4.0, v6
	s_mov_b32 s12, exec_lo
; %bb.211:
	s_or_b32 exec_lo, exec_lo, s13
	s_delay_alu instid0(SALU_CYCLE_1)
	s_and_b32 s12, s12, exec_lo
.LBB178_212:
	s_and_not1_saveexec_b32 s2, s2
; %bb.213:
	v_mul_f32_e32 v8, 0x3e800000, v8
	v_mul_f32_e32 v6, 0x3e800000, v6
	s_and_not1_b32 s12, s12, exec_lo
; %bb.214:
	s_or_b32 exec_lo, exec_lo, s2
	s_delay_alu instid0(VALU_DEP_1) | instskip(SKIP_1) | instid1(VALU_DEP_1)
	v_max_f32_e64 v7, |v6|, |v6|
	v_max_f32_e64 v9, |v8|, |v8|
	v_max_f32_e32 v7, v9, v7
	s_delay_alu instid0(VALU_DEP_1) | instskip(SKIP_1) | instid1(VALU_DEP_2)
	v_cvt_f64_f32_e32 v[9:10], v7
	v_cmp_neq_f32_e64 s2, 0x7f800000, v7
                                        ; implicit-def: $vgpr7
	v_frexp_exp_i32_f64_e32 v9, v[9:10]
	s_delay_alu instid0(VALU_DEP_1) | instskip(NEXT) | instid1(VALU_DEP_1)
	v_sub_nc_u32_e32 v10, 0, v9
	v_ldexp_f32 v11, |v6|, v10
	v_ldexp_f32 v10, |v8|, v10
	s_delay_alu instid0(VALU_DEP_2) | instskip(NEXT) | instid1(VALU_DEP_1)
	v_mul_f32_e32 v11, v11, v11
	v_fmac_f32_e32 v11, v10, v10
	s_delay_alu instid0(VALU_DEP_1) | instskip(SKIP_2) | instid1(VALU_DEP_1)
	v_sqrt_f32_e32 v10, v11
	s_waitcnt_depctr 0xfff
	v_ldexp_f32 v9, v10, v9
	v_cndmask_b32_e64 v10, 0x7f800000, v9, s2
                                        ; implicit-def: $vgpr9
	s_mov_b32 s2, exec_lo
	v_cmpx_le_f32_e32 0, v8
	s_xor_b32 s13, exec_lo, s2
	s_cbranch_execz .LBB178_216
; %bb.215:
	v_add_f32_e32 v7, v8, v10
	s_delay_alu instid0(VALU_DEP_1) | instskip(NEXT) | instid1(VALU_DEP_1)
	v_mul_f32_e32 v7, 0.5, v7
	v_mul_f32_e32 v8, 0x4f800000, v7
	v_cmp_gt_f32_e32 vcc_lo, 0xf800000, v7
	s_delay_alu instid0(VALU_DEP_2) | instskip(NEXT) | instid1(VALU_DEP_1)
	v_cndmask_b32_e32 v7, v7, v8, vcc_lo
	v_sqrt_f32_e32 v8, v7
	s_waitcnt_depctr 0xfff
	v_add_nc_u32_e32 v9, -1, v8
	v_add_nc_u32_e32 v10, 1, v8
	s_delay_alu instid0(VALU_DEP_2) | instskip(NEXT) | instid1(VALU_DEP_2)
	v_fma_f32 v11, -v9, v8, v7
	v_fma_f32 v12, -v10, v8, v7
	s_delay_alu instid0(VALU_DEP_2) | instskip(NEXT) | instid1(VALU_DEP_1)
	v_cmp_ge_f32_e64 s2, 0, v11
	v_cndmask_b32_e64 v8, v8, v9, s2
	s_delay_alu instid0(VALU_DEP_3) | instskip(NEXT) | instid1(VALU_DEP_1)
	v_cmp_lt_f32_e64 s2, 0, v12
	v_cndmask_b32_e64 v8, v8, v10, s2
	s_delay_alu instid0(VALU_DEP_1) | instskip(NEXT) | instid1(VALU_DEP_1)
	v_mul_f32_e32 v9, 0x37800000, v8
	v_cndmask_b32_e32 v8, v8, v9, vcc_lo
	v_cmp_class_f32_e64 vcc_lo, v7, 0x260
	s_delay_alu instid0(VALU_DEP_2) | instskip(NEXT) | instid1(VALU_DEP_1)
	v_cndmask_b32_e32 v7, v8, v7, vcc_lo
	v_add_f32_e32 v8, v7, v7
	s_delay_alu instid0(VALU_DEP_1) | instskip(NEXT) | instid1(VALU_DEP_1)
	v_div_scale_f32 v9, null, v8, v8, v6
	v_rcp_f32_e32 v10, v9
	s_waitcnt_depctr 0xfff
	v_fma_f32 v11, -v9, v10, 1.0
	s_delay_alu instid0(VALU_DEP_1) | instskip(SKIP_1) | instid1(VALU_DEP_1)
	v_fmac_f32_e32 v10, v11, v10
	v_div_scale_f32 v11, vcc_lo, v6, v8, v6
	v_mul_f32_e32 v12, v11, v10
	s_delay_alu instid0(VALU_DEP_1) | instskip(NEXT) | instid1(VALU_DEP_1)
	v_fma_f32 v13, -v9, v12, v11
	v_fmac_f32_e32 v12, v13, v10
	s_delay_alu instid0(VALU_DEP_1) | instskip(NEXT) | instid1(VALU_DEP_1)
	v_fma_f32 v9, -v9, v12, v11
	v_div_fmas_f32 v9, v9, v10, v12
                                        ; implicit-def: $vgpr10
	s_delay_alu instid0(VALU_DEP_1)
	v_div_fixup_f32 v9, v9, v8, v6
                                        ; implicit-def: $vgpr8
                                        ; implicit-def: $vgpr6
	s_and_not1_saveexec_b32 s13, s13
	s_cbranch_execz .LBB178_218
	s_branch .LBB178_217
.LBB178_216:
	s_and_not1_saveexec_b32 s13, s13
	s_cbranch_execz .LBB178_218
.LBB178_217:
	v_sub_f32_e32 v7, v10, v8
	s_delay_alu instid0(VALU_DEP_1) | instskip(NEXT) | instid1(VALU_DEP_1)
	v_mul_f32_e32 v7, 0.5, v7
	v_mul_f32_e32 v8, 0x4f800000, v7
	v_cmp_gt_f32_e32 vcc_lo, 0xf800000, v7
	s_delay_alu instid0(VALU_DEP_2) | instskip(NEXT) | instid1(VALU_DEP_1)
	v_cndmask_b32_e32 v7, v7, v8, vcc_lo
	v_sqrt_f32_e32 v8, v7
	s_waitcnt_depctr 0xfff
	v_add_nc_u32_e32 v9, -1, v8
	v_add_nc_u32_e32 v10, 1, v8
	s_delay_alu instid0(VALU_DEP_2) | instskip(NEXT) | instid1(VALU_DEP_2)
	v_fma_f32 v11, -v9, v8, v7
	v_fma_f32 v12, -v10, v8, v7
	s_delay_alu instid0(VALU_DEP_2) | instskip(NEXT) | instid1(VALU_DEP_1)
	v_cmp_ge_f32_e64 s2, 0, v11
	v_cndmask_b32_e64 v8, v8, v9, s2
	s_delay_alu instid0(VALU_DEP_3) | instskip(NEXT) | instid1(VALU_DEP_1)
	v_cmp_lt_f32_e64 s2, 0, v12
	v_cndmask_b32_e64 v8, v8, v10, s2
	s_delay_alu instid0(VALU_DEP_1) | instskip(NEXT) | instid1(VALU_DEP_1)
	v_mul_f32_e32 v9, 0x37800000, v8
	v_cndmask_b32_e32 v8, v8, v9, vcc_lo
	v_cmp_class_f32_e64 vcc_lo, v7, 0x260
	s_delay_alu instid0(VALU_DEP_2) | instskip(NEXT) | instid1(VALU_DEP_1)
	v_dual_cndmask_b32 v8, v8, v7 :: v_dual_and_b32 v7, 0x7fffffff, v6
	v_add_f32_e32 v9, v8, v8
	s_delay_alu instid0(VALU_DEP_1) | instskip(SKIP_1) | instid1(VALU_DEP_2)
	v_div_scale_f32 v10, null, v9, v9, v7
	v_div_scale_f32 v7, vcc_lo, v7, v9, v7
	v_rcp_f32_e32 v11, v10
	s_waitcnt_depctr 0xfff
	v_fma_f32 v12, -v10, v11, 1.0
	s_delay_alu instid0(VALU_DEP_1) | instskip(NEXT) | instid1(VALU_DEP_1)
	v_fmac_f32_e32 v11, v12, v11
	v_mul_f32_e32 v12, v7, v11
	s_delay_alu instid0(VALU_DEP_1) | instskip(NEXT) | instid1(VALU_DEP_1)
	v_fma_f32 v13, -v10, v12, v7
	v_fmac_f32_e32 v12, v13, v11
	s_delay_alu instid0(VALU_DEP_1) | instskip(NEXT) | instid1(VALU_DEP_1)
	v_fma_f32 v7, -v10, v12, v7
	v_div_fmas_f32 v7, v7, v11, v12
	s_delay_alu instid0(VALU_DEP_1)
	v_div_fixup_f32 v7, v7, v9, |v6|
	v_bfi_b32 v9, 0x7fffffff, v8, v6
.LBB178_218:
	s_or_b32 exec_lo, exec_lo, s13
                                        ; implicit-def: $vgpr6
                                        ; implicit-def: $vgpr8
	s_and_saveexec_b32 s2, s1
	s_delay_alu instid0(SALU_CYCLE_1)
	s_xor_b32 s1, exec_lo, s2
	s_cbranch_execz .LBB178_220
; %bb.219:
	v_mul_f32_e32 v6, 0.5, v7
	v_mul_f32_e32 v10, 0.5, v9
	s_delay_alu instid0(VALU_DEP_2) | instskip(NEXT) | instid1(VALU_DEP_2)
	v_cndmask_b32_e64 v8, v7, v6, s12
	v_cndmask_b32_e64 v6, v9, v10, s12
                                        ; implicit-def: $vgpr7
                                        ; implicit-def: $vgpr9
	s_and_not1_saveexec_b32 s1, s1
	s_cbranch_execnz .LBB178_221
	s_branch .LBB178_222
.LBB178_220:
	s_and_not1_saveexec_b32 s1, s1
.LBB178_221:
	v_add_f32_e32 v8, v7, v7
	v_add_f32_e32 v6, v9, v9
.LBB178_222:
	s_or_b32 exec_lo, exec_lo, s1
                                        ; implicit-def: $vgpr7
.LBB178_223:
	s_and_not1_saveexec_b32 s1, s11
	s_cbranch_execz .LBB178_229
; %bb.224:
	v_cmp_lt_i16_e32 vcc_lo, -1, v7
	v_sub_f32_e32 v7, v6, v6
	s_and_saveexec_b32 s2, vcc_lo
	s_delay_alu instid0(SALU_CYCLE_1)
	s_xor_b32 s2, exec_lo, s2
; %bb.225:
	s_delay_alu instid0(VALU_DEP_1)
	v_bfi_b32 v6, 0x7fffffff, v7, v6
                                        ; implicit-def: $vgpr7
; %bb.226:
	s_and_not1_saveexec_b32 s2, s2
; %bb.227:
	v_and_b32_e32 v7, 0x7fffffff, v7
	s_delay_alu instid0(VALU_DEP_2) | instskip(NEXT) | instid1(VALU_DEP_2)
	v_bfi_b32 v6, 0x7fffffff, v8, v6
	v_mov_b32_e32 v8, v7
; %bb.228:
	s_or_b32 exec_lo, exec_lo, s2
.LBB178_229:
	s_delay_alu instid0(SALU_CYCLE_1)
	s_or_b32 exec_lo, exec_lo, s1
.LBB178_230:
	s_and_not1_saveexec_b32 s1, s9
; %bb.231:
	v_sub_f32_e32 v6, v6, v6
	s_delay_alu instid0(VALU_DEP_1) | instskip(NEXT) | instid1(VALU_DEP_1)
	v_div_scale_f32 v7, vcc_lo, v6, v6, v6
	v_rcp_f32_e32 v9, v7
	s_waitcnt_depctr 0xfff
	v_fma_f32 v10, -v7, v9, 1.0
	s_delay_alu instid0(VALU_DEP_1) | instskip(NEXT) | instid1(VALU_DEP_1)
	v_fmac_f32_e32 v9, v10, v9
	v_mul_f32_e32 v10, v7, v9
	s_delay_alu instid0(VALU_DEP_1) | instskip(NEXT) | instid1(VALU_DEP_1)
	v_fma_f32 v11, -v7, v10, v7
	v_fmac_f32_e32 v10, v11, v9
	s_delay_alu instid0(VALU_DEP_1) | instskip(NEXT) | instid1(VALU_DEP_1)
	v_fma_f32 v7, -v7, v10, v7
	v_div_fmas_f32 v7, v7, v9, v10
	s_delay_alu instid0(VALU_DEP_1)
	v_div_fixup_f32 v6, v7, v6, v6
; %bb.232:
	s_or_b32 exec_lo, exec_lo, s1
.LBB178_233:
	s_delay_alu instid0(SALU_CYCLE_1)
	s_or_b32 exec_lo, exec_lo, s7
.LBB178_234:
	s_delay_alu instid0(SALU_CYCLE_1)
	s_or_b32 exec_lo, exec_lo, s6
	v_cmp_gt_f32_e32 vcc_lo, 0, v8
                                        ; implicit-def: $vgpr11
                                        ; implicit-def: $vgpr10
	s_mov_b32 s1, exec_lo
	v_cndmask_b32_e64 v7, v8, -v8, vcc_lo
	v_cmp_gt_f32_e32 vcc_lo, 0, v6
	v_cndmask_b32_e64 v9, v6, -v6, vcc_lo
	s_delay_alu instid0(VALU_DEP_1)
	v_cmpx_ge_f32_e32 v7, v9
	s_xor_b32 s2, exec_lo, s1
	s_cbranch_execz .LBB178_240
; %bb.235:
	v_cmp_neq_f32_e32 vcc_lo, 0, v8
	v_cmp_neq_f32_e64 s1, 0, v6
                                        ; implicit-def: $vgpr11
                                        ; implicit-def: $vgpr10
	s_delay_alu instid0(VALU_DEP_1) | instskip(NEXT) | instid1(SALU_CYCLE_1)
	s_or_b32 s1, vcc_lo, s1
	s_and_saveexec_b32 s6, s1
	s_delay_alu instid0(SALU_CYCLE_1)
	s_xor_b32 s1, exec_lo, s6
	s_cbranch_execz .LBB178_237
; %bb.236:
	v_div_scale_f32 v7, null, v8, v8, v6
	v_div_scale_f32 v11, vcc_lo, v6, v8, v6
	s_delay_alu instid0(VALU_DEP_2) | instskip(SKIP_2) | instid1(VALU_DEP_1)
	v_rcp_f32_e32 v9, v7
	s_waitcnt_depctr 0xfff
	v_fma_f32 v10, -v7, v9, 1.0
	v_fmac_f32_e32 v9, v10, v9
	s_delay_alu instid0(VALU_DEP_1) | instskip(NEXT) | instid1(VALU_DEP_1)
	v_mul_f32_e32 v10, v11, v9
	v_fma_f32 v12, -v7, v10, v11
	s_delay_alu instid0(VALU_DEP_1) | instskip(NEXT) | instid1(VALU_DEP_1)
	v_fmac_f32_e32 v10, v12, v9
	v_fma_f32 v7, -v7, v10, v11
	s_delay_alu instid0(VALU_DEP_1) | instskip(NEXT) | instid1(VALU_DEP_1)
	v_div_fmas_f32 v7, v7, v9, v10
	v_div_fixup_f32 v7, v7, v8, v6
	s_delay_alu instid0(VALU_DEP_1) | instskip(NEXT) | instid1(VALU_DEP_1)
	v_fmac_f32_e32 v8, v6, v7
	v_div_scale_f32 v6, null, v8, v8, 1.0
	v_div_scale_f32 v11, vcc_lo, 1.0, v8, 1.0
	s_delay_alu instid0(VALU_DEP_2) | instskip(SKIP_2) | instid1(VALU_DEP_1)
	v_rcp_f32_e32 v9, v6
	s_waitcnt_depctr 0xfff
	v_fma_f32 v10, -v6, v9, 1.0
	v_fmac_f32_e32 v9, v10, v9
	s_delay_alu instid0(VALU_DEP_1) | instskip(NEXT) | instid1(VALU_DEP_1)
	v_mul_f32_e32 v10, v11, v9
	v_fma_f32 v12, -v6, v10, v11
	s_delay_alu instid0(VALU_DEP_1) | instskip(NEXT) | instid1(VALU_DEP_1)
	v_fmac_f32_e32 v10, v12, v9
	v_fma_f32 v6, -v6, v10, v11
	s_delay_alu instid0(VALU_DEP_1) | instskip(SKIP_1) | instid1(VALU_DEP_2)
	v_div_fmas_f32 v6, v6, v9, v10
	v_fma_f32 v9, v7, 0, 1.0
	v_div_fixup_f32 v6, v6, v8, 1.0
	s_delay_alu instid0(VALU_DEP_1)
	v_mul_f32_e32 v10, v9, v6
	v_mul_f32_e64 v11, -v7, v6
                                        ; implicit-def: $vgpr7
                                        ; implicit-def: $vgpr9
.LBB178_237:
	s_and_not1_saveexec_b32 s6, s1
	s_cbranch_execz .LBB178_239
; %bb.238:
	v_div_scale_f32 v6, null, v7, v7, 1.0
	v_div_scale_f32 v8, null, v9, v9, 0
	v_div_scale_f32 v14, vcc_lo, 1.0, v7, 1.0
	s_delay_alu instid0(VALU_DEP_3) | instskip(NEXT) | instid1(VALU_DEP_2)
	v_rcp_f32_e32 v10, v6
	v_rcp_f32_e32 v11, v8
	s_waitcnt_depctr 0xfff
	v_fma_f32 v12, -v6, v10, 1.0
	v_fma_f32 v13, -v8, v11, 1.0
	s_delay_alu instid0(VALU_DEP_1) | instskip(SKIP_1) | instid1(VALU_DEP_2)
	v_dual_fmac_f32 v10, v12, v10 :: v_dual_fmac_f32 v11, v13, v11
	v_div_scale_f32 v12, s1, 0, v9, 0
	v_mul_f32_e32 v13, v14, v10
	s_delay_alu instid0(VALU_DEP_2) | instskip(NEXT) | instid1(VALU_DEP_2)
	v_mul_f32_e32 v15, v12, v11
	v_fma_f32 v16, -v6, v13, v14
	s_delay_alu instid0(VALU_DEP_2) | instskip(NEXT) | instid1(VALU_DEP_2)
	v_fma_f32 v17, -v8, v15, v12
	v_fmac_f32_e32 v13, v16, v10
	s_delay_alu instid0(VALU_DEP_2) | instskip(NEXT) | instid1(VALU_DEP_2)
	v_fmac_f32_e32 v15, v17, v11
	v_fma_f32 v6, -v6, v13, v14
	s_delay_alu instid0(VALU_DEP_2) | instskip(NEXT) | instid1(VALU_DEP_2)
	v_fma_f32 v8, -v8, v15, v12
	v_div_fmas_f32 v6, v6, v10, v13
	s_mov_b32 vcc_lo, s1
	s_delay_alu instid0(VALU_DEP_2) | instskip(NEXT) | instid1(VALU_DEP_2)
	v_div_fmas_f32 v8, v8, v11, v15
	v_div_fixup_f32 v10, v6, v7, 1.0
	s_delay_alu instid0(VALU_DEP_2)
	v_div_fixup_f32 v11, v8, v9, 0
.LBB178_239:
	s_or_b32 exec_lo, exec_lo, s6
                                        ; implicit-def: $vgpr6
                                        ; implicit-def: $vgpr8
.LBB178_240:
	s_and_not1_saveexec_b32 s1, s2
	s_cbranch_execz .LBB178_242
; %bb.241:
	v_div_scale_f32 v7, null, v6, v6, v8
	v_div_scale_f32 v11, vcc_lo, v8, v6, v8
	s_delay_alu instid0(VALU_DEP_2) | instskip(SKIP_2) | instid1(VALU_DEP_1)
	v_rcp_f32_e32 v9, v7
	s_waitcnt_depctr 0xfff
	v_fma_f32 v10, -v7, v9, 1.0
	v_fmac_f32_e32 v9, v10, v9
	s_delay_alu instid0(VALU_DEP_1) | instskip(NEXT) | instid1(VALU_DEP_1)
	v_mul_f32_e32 v10, v11, v9
	v_fma_f32 v12, -v7, v10, v11
	s_delay_alu instid0(VALU_DEP_1) | instskip(NEXT) | instid1(VALU_DEP_1)
	v_fmac_f32_e32 v10, v12, v9
	v_fma_f32 v7, -v7, v10, v11
	s_delay_alu instid0(VALU_DEP_1) | instskip(NEXT) | instid1(VALU_DEP_1)
	v_div_fmas_f32 v7, v7, v9, v10
	v_div_fixup_f32 v7, v7, v6, v8
	s_delay_alu instid0(VALU_DEP_1) | instskip(NEXT) | instid1(VALU_DEP_1)
	v_fmac_f32_e32 v6, v8, v7
	v_div_scale_f32 v8, null, v6, v6, 1.0
	v_div_scale_f32 v11, vcc_lo, 1.0, v6, 1.0
	s_delay_alu instid0(VALU_DEP_2) | instskip(SKIP_2) | instid1(VALU_DEP_1)
	v_rcp_f32_e32 v9, v8
	s_waitcnt_depctr 0xfff
	v_fma_f32 v10, -v8, v9, 1.0
	v_fmac_f32_e32 v9, v10, v9
	s_delay_alu instid0(VALU_DEP_1) | instskip(NEXT) | instid1(VALU_DEP_1)
	v_mul_f32_e32 v10, v11, v9
	v_fma_f32 v12, -v8, v10, v11
	s_delay_alu instid0(VALU_DEP_1) | instskip(NEXT) | instid1(VALU_DEP_1)
	v_fmac_f32_e32 v10, v12, v9
	v_fma_f32 v8, -v8, v10, v11
	s_delay_alu instid0(VALU_DEP_1) | instskip(SKIP_2) | instid1(VALU_DEP_3)
	v_div_fmas_f32 v8, v8, v9, v10
	v_add_f32_e32 v9, 0, v7
	v_fma_f32 v7, v7, 0, -1.0
	v_div_fixup_f32 v6, v8, v6, 1.0
	s_delay_alu instid0(VALU_DEP_1) | instskip(NEXT) | instid1(VALU_DEP_4)
	v_mul_f32_e32 v11, v7, v6
	v_mul_f32_e32 v10, v9, v6
.LBB178_242:
	s_or_b32 exec_lo, exec_lo, s1
	s_delay_alu instid0(VALU_DEP_1) | instskip(NEXT) | instid1(VALU_DEP_2)
	v_cvt_f16_f32_e32 v6, v11
	v_cvt_f16_f32_e32 v7, v10
	s_delay_alu instid0(VALU_DEP_2) | instskip(NEXT) | instid1(VALU_DEP_2)
	v_lshlrev_b32_e32 v6, 16, v6
	v_and_b32_e32 v7, 0xffff, v7
	s_delay_alu instid0(VALU_DEP_1)
	v_or_b32_e32 v6, v6, v7
.LBB178_243:
	s_or_b32 exec_lo, exec_lo, s3
	s_waitcnt vmcnt(0)
	v_or_b32_e32 v7, 0x200, v0
	s_delay_alu instid0(VALU_DEP_1)
	v_cmp_gt_i32_e32 vcc_lo, s10, v7
                                        ; implicit-def: $vgpr7
	s_and_saveexec_b32 s3, vcc_lo
	s_cbranch_execz .LBB178_283
; %bb.244:
	v_lshrrev_b32_e32 v7, 16, v5
	v_cmp_neq_f16_e32 vcc_lo, 0, v5
	v_mov_b32_e32 v8, 0
	s_delay_alu instid0(VALU_DEP_3) | instskip(SKIP_1) | instid1(VALU_DEP_2)
	v_cmp_neq_f16_e64 s1, 0, v7
	v_cvt_f32_f16_e32 v7, v7
	s_or_b32 s1, vcc_lo, s1
	s_delay_alu instid0(SALU_CYCLE_1)
	s_and_saveexec_b32 s6, s1
	s_cbranch_execz .LBB178_274
; %bb.245:
	v_mov_b32_e32 v8, 0x7f800000
	s_mov_b32 s7, exec_lo
	v_cmpx_neq_f32_e64 0x7f800000, |v7|
	s_cbranch_execz .LBB178_273
; %bb.246:
	v_cvt_f32_f16_e32 v8, v5
	s_mov_b32 s1, exec_lo
	v_cmpx_o_f16_e32 v5, v5
	s_xor_b32 s9, exec_lo, s1
	s_cbranch_execz .LBB178_270
; %bb.247:
	s_mov_b32 s2, exec_lo
	v_cmpx_neq_f32_e64 0x7f800000, |v8|
	s_xor_b32 s11, exec_lo, s2
	s_cbranch_execz .LBB178_263
; %bb.248:
	v_max_f32_e64 v5, |v7|, |v7|
	v_max_f32_e64 v9, |v8|, |v8|
                                        ; implicit-def: $sgpr12
	s_delay_alu instid0(VALU_DEP_1) | instskip(NEXT) | instid1(VALU_DEP_1)
	v_max_f32_e32 v5, v9, v5
	v_cmp_nle_f32_e64 s1, 0x7ed413cb, v5
	s_delay_alu instid0(VALU_DEP_1) | instskip(NEXT) | instid1(SALU_CYCLE_1)
	s_and_saveexec_b32 s2, s1
	s_xor_b32 s2, exec_lo, s2
	s_cbranch_execz .LBB178_252
; %bb.249:
	v_cmp_ge_f32_e64 s12, 0x1000000, |v8|
	v_cmp_ge_f32_e64 s13, 0x1000000, |v7|
	s_delay_alu instid0(VALU_DEP_1)
	s_and_b32 s14, s12, s13
	s_mov_b32 s12, 0
	s_and_saveexec_b32 s13, s14
; %bb.250:
	v_dual_mul_f32 v8, 4.0, v8 :: v_dual_mul_f32 v7, 4.0, v7
	s_mov_b32 s12, exec_lo
; %bb.251:
	s_or_b32 exec_lo, exec_lo, s13
	s_delay_alu instid0(SALU_CYCLE_1)
	s_and_b32 s12, s12, exec_lo
.LBB178_252:
	s_and_not1_saveexec_b32 s2, s2
; %bb.253:
	v_dual_mul_f32 v8, 0x3e800000, v8 :: v_dual_mul_f32 v7, 0x3e800000, v7
	s_and_not1_b32 s12, s12, exec_lo
; %bb.254:
	s_or_b32 exec_lo, exec_lo, s2
	s_delay_alu instid0(VALU_DEP_1) | instskip(NEXT) | instid1(VALU_DEP_2)
	v_max_f32_e64 v5, |v7|, |v7|
	v_max_f32_e64 v9, |v8|, |v8|
	s_delay_alu instid0(VALU_DEP_1) | instskip(NEXT) | instid1(VALU_DEP_1)
	v_max_f32_e32 v5, v9, v5
	v_cvt_f64_f32_e32 v[9:10], v5
	v_cmp_neq_f32_e64 s2, 0x7f800000, v5
                                        ; implicit-def: $vgpr5
	s_delay_alu instid0(VALU_DEP_2) | instskip(NEXT) | instid1(VALU_DEP_1)
	v_frexp_exp_i32_f64_e32 v9, v[9:10]
	v_sub_nc_u32_e32 v10, 0, v9
	s_delay_alu instid0(VALU_DEP_1) | instskip(SKIP_1) | instid1(VALU_DEP_2)
	v_ldexp_f32 v11, |v7|, v10
	v_ldexp_f32 v10, |v8|, v10
	v_mul_f32_e32 v11, v11, v11
	s_delay_alu instid0(VALU_DEP_1) | instskip(NEXT) | instid1(VALU_DEP_1)
	v_fmac_f32_e32 v11, v10, v10
	v_sqrt_f32_e32 v10, v11
	s_waitcnt_depctr 0xfff
	v_ldexp_f32 v9, v10, v9
	s_delay_alu instid0(VALU_DEP_1)
	v_cndmask_b32_e64 v10, 0x7f800000, v9, s2
                                        ; implicit-def: $vgpr9
	s_mov_b32 s2, exec_lo
	v_cmpx_le_f32_e32 0, v8
	s_xor_b32 s13, exec_lo, s2
	s_cbranch_execz .LBB178_256
; %bb.255:
	v_add_f32_e32 v5, v8, v10
	s_delay_alu instid0(VALU_DEP_1) | instskip(NEXT) | instid1(VALU_DEP_1)
	v_mul_f32_e32 v5, 0.5, v5
	v_mul_f32_e32 v8, 0x4f800000, v5
	v_cmp_gt_f32_e32 vcc_lo, 0xf800000, v5
	s_delay_alu instid0(VALU_DEP_2) | instskip(NEXT) | instid1(VALU_DEP_1)
	v_cndmask_b32_e32 v5, v5, v8, vcc_lo
	v_sqrt_f32_e32 v8, v5
	s_waitcnt_depctr 0xfff
	v_add_nc_u32_e32 v9, -1, v8
	v_add_nc_u32_e32 v10, 1, v8
	s_delay_alu instid0(VALU_DEP_2) | instskip(NEXT) | instid1(VALU_DEP_2)
	v_fma_f32 v11, -v9, v8, v5
	v_fma_f32 v12, -v10, v8, v5
	s_delay_alu instid0(VALU_DEP_2) | instskip(NEXT) | instid1(VALU_DEP_1)
	v_cmp_ge_f32_e64 s2, 0, v11
	v_cndmask_b32_e64 v8, v8, v9, s2
	s_delay_alu instid0(VALU_DEP_3) | instskip(NEXT) | instid1(VALU_DEP_1)
	v_cmp_lt_f32_e64 s2, 0, v12
	v_cndmask_b32_e64 v8, v8, v10, s2
	s_delay_alu instid0(VALU_DEP_1) | instskip(NEXT) | instid1(VALU_DEP_1)
	v_mul_f32_e32 v9, 0x37800000, v8
	v_cndmask_b32_e32 v8, v8, v9, vcc_lo
	v_cmp_class_f32_e64 vcc_lo, v5, 0x260
	s_delay_alu instid0(VALU_DEP_2) | instskip(NEXT) | instid1(VALU_DEP_1)
	v_cndmask_b32_e32 v5, v8, v5, vcc_lo
	v_add_f32_e32 v8, v5, v5
	s_delay_alu instid0(VALU_DEP_1) | instskip(NEXT) | instid1(VALU_DEP_1)
	v_div_scale_f32 v9, null, v8, v8, v7
	v_rcp_f32_e32 v10, v9
	s_waitcnt_depctr 0xfff
	v_fma_f32 v11, -v9, v10, 1.0
	s_delay_alu instid0(VALU_DEP_1) | instskip(SKIP_1) | instid1(VALU_DEP_1)
	v_fmac_f32_e32 v10, v11, v10
	v_div_scale_f32 v11, vcc_lo, v7, v8, v7
	v_mul_f32_e32 v12, v11, v10
	s_delay_alu instid0(VALU_DEP_1) | instskip(NEXT) | instid1(VALU_DEP_1)
	v_fma_f32 v13, -v9, v12, v11
	v_fmac_f32_e32 v12, v13, v10
	s_delay_alu instid0(VALU_DEP_1) | instskip(NEXT) | instid1(VALU_DEP_1)
	v_fma_f32 v9, -v9, v12, v11
	v_div_fmas_f32 v9, v9, v10, v12
                                        ; implicit-def: $vgpr10
	s_delay_alu instid0(VALU_DEP_1)
	v_div_fixup_f32 v9, v9, v8, v7
                                        ; implicit-def: $vgpr8
                                        ; implicit-def: $vgpr7
	s_and_not1_saveexec_b32 s13, s13
	s_cbranch_execz .LBB178_258
	s_branch .LBB178_257
.LBB178_256:
	s_and_not1_saveexec_b32 s13, s13
	s_cbranch_execz .LBB178_258
.LBB178_257:
	v_sub_f32_e32 v5, v10, v8
	s_delay_alu instid0(VALU_DEP_1) | instskip(NEXT) | instid1(VALU_DEP_1)
	v_mul_f32_e32 v5, 0.5, v5
	v_mul_f32_e32 v8, 0x4f800000, v5
	v_cmp_gt_f32_e32 vcc_lo, 0xf800000, v5
	s_delay_alu instid0(VALU_DEP_2) | instskip(NEXT) | instid1(VALU_DEP_1)
	v_cndmask_b32_e32 v5, v5, v8, vcc_lo
	v_sqrt_f32_e32 v8, v5
	s_waitcnt_depctr 0xfff
	v_add_nc_u32_e32 v9, -1, v8
	v_add_nc_u32_e32 v10, 1, v8
	s_delay_alu instid0(VALU_DEP_2) | instskip(NEXT) | instid1(VALU_DEP_2)
	v_fma_f32 v11, -v9, v8, v5
	v_fma_f32 v12, -v10, v8, v5
	s_delay_alu instid0(VALU_DEP_2) | instskip(NEXT) | instid1(VALU_DEP_1)
	v_cmp_ge_f32_e64 s2, 0, v11
	v_cndmask_b32_e64 v8, v8, v9, s2
	s_delay_alu instid0(VALU_DEP_3) | instskip(NEXT) | instid1(VALU_DEP_1)
	v_cmp_lt_f32_e64 s2, 0, v12
	v_cndmask_b32_e64 v8, v8, v10, s2
	s_delay_alu instid0(VALU_DEP_1) | instskip(NEXT) | instid1(VALU_DEP_1)
	v_mul_f32_e32 v9, 0x37800000, v8
	v_cndmask_b32_e32 v8, v8, v9, vcc_lo
	v_cmp_class_f32_e64 vcc_lo, v5, 0x260
	s_delay_alu instid0(VALU_DEP_2) | instskip(NEXT) | instid1(VALU_DEP_1)
	v_dual_cndmask_b32 v8, v8, v5 :: v_dual_and_b32 v5, 0x7fffffff, v7
	v_add_f32_e32 v9, v8, v8
	s_delay_alu instid0(VALU_DEP_1) | instskip(SKIP_1) | instid1(VALU_DEP_2)
	v_div_scale_f32 v10, null, v9, v9, v5
	v_div_scale_f32 v5, vcc_lo, v5, v9, v5
	v_rcp_f32_e32 v11, v10
	s_waitcnt_depctr 0xfff
	v_fma_f32 v12, -v10, v11, 1.0
	s_delay_alu instid0(VALU_DEP_1) | instskip(NEXT) | instid1(VALU_DEP_1)
	v_fmac_f32_e32 v11, v12, v11
	v_mul_f32_e32 v12, v5, v11
	s_delay_alu instid0(VALU_DEP_1) | instskip(NEXT) | instid1(VALU_DEP_1)
	v_fma_f32 v13, -v10, v12, v5
	v_fmac_f32_e32 v12, v13, v11
	s_delay_alu instid0(VALU_DEP_1) | instskip(NEXT) | instid1(VALU_DEP_1)
	v_fma_f32 v5, -v10, v12, v5
	v_div_fmas_f32 v5, v5, v11, v12
	s_delay_alu instid0(VALU_DEP_1)
	v_div_fixup_f32 v5, v5, v9, |v7|
	v_bfi_b32 v9, 0x7fffffff, v8, v7
.LBB178_258:
	s_or_b32 exec_lo, exec_lo, s13
                                        ; implicit-def: $vgpr7
                                        ; implicit-def: $vgpr8
	s_and_saveexec_b32 s2, s1
	s_delay_alu instid0(SALU_CYCLE_1)
	s_xor_b32 s1, exec_lo, s2
	s_cbranch_execz .LBB178_260
; %bb.259:
	v_mul_f32_e32 v7, 0.5, v5
	v_mul_f32_e32 v10, 0.5, v9
	s_delay_alu instid0(VALU_DEP_2) | instskip(NEXT) | instid1(VALU_DEP_2)
	v_cndmask_b32_e64 v8, v5, v7, s12
	v_cndmask_b32_e64 v7, v9, v10, s12
                                        ; implicit-def: $vgpr5
                                        ; implicit-def: $vgpr9
	s_and_not1_saveexec_b32 s1, s1
	s_cbranch_execnz .LBB178_261
	s_branch .LBB178_262
.LBB178_260:
	s_and_not1_saveexec_b32 s1, s1
.LBB178_261:
	v_add_f32_e32 v8, v5, v5
	v_add_f32_e32 v7, v9, v9
.LBB178_262:
	s_or_b32 exec_lo, exec_lo, s1
                                        ; implicit-def: $vgpr5
.LBB178_263:
	s_and_not1_saveexec_b32 s1, s11
	s_cbranch_execz .LBB178_269
; %bb.264:
	v_cmp_lt_i16_e32 vcc_lo, -1, v5
	v_sub_f32_e32 v5, v7, v7
	s_and_saveexec_b32 s2, vcc_lo
	s_delay_alu instid0(SALU_CYCLE_1)
	s_xor_b32 s2, exec_lo, s2
; %bb.265:
	s_delay_alu instid0(VALU_DEP_1)
	v_bfi_b32 v7, 0x7fffffff, v5, v7
                                        ; implicit-def: $vgpr5
; %bb.266:
	s_and_not1_saveexec_b32 s2, s2
; %bb.267:
	v_and_b32_e32 v5, 0x7fffffff, v5
	s_delay_alu instid0(VALU_DEP_2) | instskip(NEXT) | instid1(VALU_DEP_2)
	v_bfi_b32 v7, 0x7fffffff, v8, v7
	v_mov_b32_e32 v8, v5
; %bb.268:
	s_or_b32 exec_lo, exec_lo, s2
.LBB178_269:
	s_delay_alu instid0(SALU_CYCLE_1)
	s_or_b32 exec_lo, exec_lo, s1
.LBB178_270:
	s_and_not1_saveexec_b32 s1, s9
; %bb.271:
	v_sub_f32_e32 v5, v7, v7
	s_delay_alu instid0(VALU_DEP_1) | instskip(NEXT) | instid1(VALU_DEP_1)
	v_div_scale_f32 v7, vcc_lo, v5, v5, v5
	v_rcp_f32_e32 v9, v7
	s_waitcnt_depctr 0xfff
	v_fma_f32 v10, -v7, v9, 1.0
	s_delay_alu instid0(VALU_DEP_1) | instskip(NEXT) | instid1(VALU_DEP_1)
	v_fmac_f32_e32 v9, v10, v9
	v_mul_f32_e32 v10, v7, v9
	s_delay_alu instid0(VALU_DEP_1) | instskip(NEXT) | instid1(VALU_DEP_1)
	v_fma_f32 v11, -v7, v10, v7
	v_fmac_f32_e32 v10, v11, v9
	s_delay_alu instid0(VALU_DEP_1) | instskip(NEXT) | instid1(VALU_DEP_1)
	v_fma_f32 v7, -v7, v10, v7
	v_div_fmas_f32 v7, v7, v9, v10
	s_delay_alu instid0(VALU_DEP_1)
	v_div_fixup_f32 v7, v7, v5, v5
; %bb.272:
	s_or_b32 exec_lo, exec_lo, s1
.LBB178_273:
	s_delay_alu instid0(SALU_CYCLE_1)
	s_or_b32 exec_lo, exec_lo, s7
.LBB178_274:
	s_delay_alu instid0(SALU_CYCLE_1)
	s_or_b32 exec_lo, exec_lo, s6
	v_cmp_gt_f32_e32 vcc_lo, 0, v8
                                        ; implicit-def: $vgpr11
                                        ; implicit-def: $vgpr10
	s_mov_b32 s1, exec_lo
	v_cndmask_b32_e64 v5, v8, -v8, vcc_lo
	v_cmp_gt_f32_e32 vcc_lo, 0, v7
	v_cndmask_b32_e64 v9, v7, -v7, vcc_lo
	s_delay_alu instid0(VALU_DEP_1)
	v_cmpx_ge_f32_e32 v5, v9
	s_xor_b32 s2, exec_lo, s1
	s_cbranch_execz .LBB178_280
; %bb.275:
	v_cmp_neq_f32_e32 vcc_lo, 0, v8
	v_cmp_neq_f32_e64 s1, 0, v7
                                        ; implicit-def: $vgpr11
                                        ; implicit-def: $vgpr10
	s_delay_alu instid0(VALU_DEP_1) | instskip(NEXT) | instid1(SALU_CYCLE_1)
	s_or_b32 s1, vcc_lo, s1
	s_and_saveexec_b32 s6, s1
	s_delay_alu instid0(SALU_CYCLE_1)
	s_xor_b32 s1, exec_lo, s6
	s_cbranch_execz .LBB178_277
; %bb.276:
	v_div_scale_f32 v5, null, v8, v8, v7
	v_div_scale_f32 v11, vcc_lo, v7, v8, v7
	s_delay_alu instid0(VALU_DEP_2) | instskip(SKIP_2) | instid1(VALU_DEP_1)
	v_rcp_f32_e32 v9, v5
	s_waitcnt_depctr 0xfff
	v_fma_f32 v10, -v5, v9, 1.0
	v_fmac_f32_e32 v9, v10, v9
	s_delay_alu instid0(VALU_DEP_1) | instskip(NEXT) | instid1(VALU_DEP_1)
	v_mul_f32_e32 v10, v11, v9
	v_fma_f32 v12, -v5, v10, v11
	s_delay_alu instid0(VALU_DEP_1) | instskip(NEXT) | instid1(VALU_DEP_1)
	v_fmac_f32_e32 v10, v12, v9
	v_fma_f32 v5, -v5, v10, v11
	s_delay_alu instid0(VALU_DEP_1) | instskip(NEXT) | instid1(VALU_DEP_1)
	v_div_fmas_f32 v5, v5, v9, v10
	v_div_fixup_f32 v5, v5, v8, v7
	s_delay_alu instid0(VALU_DEP_1) | instskip(NEXT) | instid1(VALU_DEP_1)
	v_fmac_f32_e32 v8, v7, v5
	v_div_scale_f32 v7, null, v8, v8, 1.0
	v_div_scale_f32 v11, vcc_lo, 1.0, v8, 1.0
	s_delay_alu instid0(VALU_DEP_2) | instskip(SKIP_2) | instid1(VALU_DEP_1)
	v_rcp_f32_e32 v9, v7
	s_waitcnt_depctr 0xfff
	v_fma_f32 v10, -v7, v9, 1.0
	v_fmac_f32_e32 v9, v10, v9
	s_delay_alu instid0(VALU_DEP_1) | instskip(NEXT) | instid1(VALU_DEP_1)
	v_mul_f32_e32 v10, v11, v9
	v_fma_f32 v12, -v7, v10, v11
	s_delay_alu instid0(VALU_DEP_1) | instskip(NEXT) | instid1(VALU_DEP_1)
	v_fmac_f32_e32 v10, v12, v9
	v_fma_f32 v7, -v7, v10, v11
	s_delay_alu instid0(VALU_DEP_1) | instskip(SKIP_1) | instid1(VALU_DEP_2)
	v_div_fmas_f32 v7, v7, v9, v10
	v_fma_f32 v9, v5, 0, 1.0
	v_div_fixup_f32 v7, v7, v8, 1.0
	s_delay_alu instid0(VALU_DEP_1)
	v_mul_f32_e32 v10, v9, v7
	v_mul_f32_e64 v11, -v5, v7
                                        ; implicit-def: $vgpr5
                                        ; implicit-def: $vgpr9
.LBB178_277:
	s_and_not1_saveexec_b32 s6, s1
	s_cbranch_execz .LBB178_279
; %bb.278:
	v_div_scale_f32 v7, null, v5, v5, 1.0
	v_div_scale_f32 v8, null, v9, v9, 0
	v_div_scale_f32 v14, vcc_lo, 1.0, v5, 1.0
	s_delay_alu instid0(VALU_DEP_3) | instskip(NEXT) | instid1(VALU_DEP_2)
	v_rcp_f32_e32 v10, v7
	v_rcp_f32_e32 v11, v8
	s_waitcnt_depctr 0xfff
	v_fma_f32 v12, -v7, v10, 1.0
	v_fma_f32 v13, -v8, v11, 1.0
	s_delay_alu instid0(VALU_DEP_1) | instskip(SKIP_1) | instid1(VALU_DEP_2)
	v_dual_fmac_f32 v10, v12, v10 :: v_dual_fmac_f32 v11, v13, v11
	v_div_scale_f32 v12, s1, 0, v9, 0
	v_mul_f32_e32 v13, v14, v10
	s_delay_alu instid0(VALU_DEP_2) | instskip(NEXT) | instid1(VALU_DEP_2)
	v_mul_f32_e32 v15, v12, v11
	v_fma_f32 v16, -v7, v13, v14
	s_delay_alu instid0(VALU_DEP_2) | instskip(NEXT) | instid1(VALU_DEP_2)
	v_fma_f32 v17, -v8, v15, v12
	v_fmac_f32_e32 v13, v16, v10
	s_delay_alu instid0(VALU_DEP_2) | instskip(NEXT) | instid1(VALU_DEP_2)
	v_fmac_f32_e32 v15, v17, v11
	v_fma_f32 v7, -v7, v13, v14
	s_delay_alu instid0(VALU_DEP_2) | instskip(NEXT) | instid1(VALU_DEP_2)
	v_fma_f32 v8, -v8, v15, v12
	v_div_fmas_f32 v7, v7, v10, v13
	s_mov_b32 vcc_lo, s1
	s_delay_alu instid0(VALU_DEP_2) | instskip(NEXT) | instid1(VALU_DEP_2)
	v_div_fmas_f32 v8, v8, v11, v15
	v_div_fixup_f32 v10, v7, v5, 1.0
	s_delay_alu instid0(VALU_DEP_2)
	v_div_fixup_f32 v11, v8, v9, 0
.LBB178_279:
	s_or_b32 exec_lo, exec_lo, s6
                                        ; implicit-def: $vgpr7
                                        ; implicit-def: $vgpr8
.LBB178_280:
	s_and_not1_saveexec_b32 s1, s2
	s_cbranch_execz .LBB178_282
; %bb.281:
	v_div_scale_f32 v5, null, v7, v7, v8
	v_div_scale_f32 v11, vcc_lo, v8, v7, v8
	s_delay_alu instid0(VALU_DEP_2) | instskip(SKIP_2) | instid1(VALU_DEP_1)
	v_rcp_f32_e32 v9, v5
	s_waitcnt_depctr 0xfff
	v_fma_f32 v10, -v5, v9, 1.0
	v_fmac_f32_e32 v9, v10, v9
	s_delay_alu instid0(VALU_DEP_1) | instskip(NEXT) | instid1(VALU_DEP_1)
	v_mul_f32_e32 v10, v11, v9
	v_fma_f32 v12, -v5, v10, v11
	s_delay_alu instid0(VALU_DEP_1) | instskip(NEXT) | instid1(VALU_DEP_1)
	v_fmac_f32_e32 v10, v12, v9
	v_fma_f32 v5, -v5, v10, v11
	s_delay_alu instid0(VALU_DEP_1) | instskip(NEXT) | instid1(VALU_DEP_1)
	v_div_fmas_f32 v5, v5, v9, v10
	v_div_fixup_f32 v5, v5, v7, v8
	s_delay_alu instid0(VALU_DEP_1) | instskip(NEXT) | instid1(VALU_DEP_1)
	v_fmac_f32_e32 v7, v8, v5
	v_div_scale_f32 v8, null, v7, v7, 1.0
	v_div_scale_f32 v11, vcc_lo, 1.0, v7, 1.0
	s_delay_alu instid0(VALU_DEP_2) | instskip(SKIP_2) | instid1(VALU_DEP_1)
	v_rcp_f32_e32 v9, v8
	s_waitcnt_depctr 0xfff
	v_fma_f32 v10, -v8, v9, 1.0
	v_fmac_f32_e32 v9, v10, v9
	s_delay_alu instid0(VALU_DEP_1) | instskip(NEXT) | instid1(VALU_DEP_1)
	v_mul_f32_e32 v10, v11, v9
	v_fma_f32 v12, -v8, v10, v11
	s_delay_alu instid0(VALU_DEP_1) | instskip(NEXT) | instid1(VALU_DEP_1)
	v_fmac_f32_e32 v10, v12, v9
	v_fma_f32 v8, -v8, v10, v11
	s_delay_alu instid0(VALU_DEP_1) | instskip(SKIP_2) | instid1(VALU_DEP_3)
	v_div_fmas_f32 v8, v8, v9, v10
	v_add_f32_e32 v9, 0, v5
	v_fma_f32 v5, v5, 0, -1.0
	v_div_fixup_f32 v7, v8, v7, 1.0
	s_delay_alu instid0(VALU_DEP_1) | instskip(NEXT) | instid1(VALU_DEP_4)
	v_mul_f32_e32 v11, v5, v7
	v_mul_f32_e32 v10, v9, v7
.LBB178_282:
	s_or_b32 exec_lo, exec_lo, s1
	s_delay_alu instid0(VALU_DEP_1) | instskip(NEXT) | instid1(VALU_DEP_2)
	v_cvt_f16_f32_e32 v5, v11
	v_cvt_f16_f32_e32 v7, v10
	s_delay_alu instid0(VALU_DEP_2) | instskip(NEXT) | instid1(VALU_DEP_2)
	v_lshlrev_b32_e32 v5, 16, v5
	v_and_b32_e32 v7, 0xffff, v7
	s_delay_alu instid0(VALU_DEP_1)
	v_or_b32_e32 v7, v5, v7
.LBB178_283:
	s_or_b32 exec_lo, exec_lo, s3
	v_or_b32_e32 v5, 0x300, v0
	s_delay_alu instid0(VALU_DEP_1)
	v_cmp_gt_i32_e32 vcc_lo, s10, v5
                                        ; implicit-def: $vgpr5
	s_and_saveexec_b32 s3, vcc_lo
	s_cbranch_execz .LBB178_296
; %bb.284:
	v_lshrrev_b32_e32 v5, 16, v2
	v_cmp_neq_f16_e32 vcc_lo, 0, v2
	v_mov_b32_e32 v8, 0
	s_delay_alu instid0(VALU_DEP_3) | instskip(SKIP_1) | instid1(VALU_DEP_2)
	v_cmp_neq_f16_e64 s1, 0, v5
	v_cvt_f32_f16_e32 v5, v5
	s_or_b32 s1, vcc_lo, s1
	s_delay_alu instid0(SALU_CYCLE_1)
	s_and_saveexec_b32 s6, s1
	s_cbranch_execz .LBB178_318
; %bb.285:
	v_mov_b32_e32 v8, 0x7f800000
	s_mov_b32 s7, exec_lo
	v_cmpx_neq_f32_e64 0x7f800000, |v5|
	s_cbranch_execz .LBB178_317
; %bb.286:
	v_cvt_f32_f16_e32 v8, v2
	s_mov_b32 s1, exec_lo
	v_cmpx_o_f16_e32 v2, v2
	s_xor_b32 s9, exec_lo, s1
	s_cbranch_execz .LBB178_314
; %bb.287:
	s_mov_b32 s2, exec_lo
	v_cmpx_neq_f32_e64 0x7f800000, |v8|
	s_xor_b32 s11, exec_lo, s2
	s_cbranch_execz .LBB178_307
; %bb.288:
	v_max_f32_e64 v2, |v5|, |v5|
	v_max_f32_e64 v9, |v8|, |v8|
                                        ; implicit-def: $sgpr12
	s_delay_alu instid0(VALU_DEP_1) | instskip(NEXT) | instid1(VALU_DEP_1)
	v_max_f32_e32 v2, v9, v2
	v_cmp_nle_f32_e64 s1, 0x7ed413cb, v2
	s_delay_alu instid0(VALU_DEP_1) | instskip(NEXT) | instid1(SALU_CYCLE_1)
	s_and_saveexec_b32 s2, s1
	s_xor_b32 s2, exec_lo, s2
	s_cbranch_execz .LBB178_292
; %bb.289:
	v_cmp_ge_f32_e64 s12, 0x1000000, |v8|
	v_cmp_ge_f32_e64 s13, 0x1000000, |v5|
	s_delay_alu instid0(VALU_DEP_1)
	s_and_b32 s14, s12, s13
	s_mov_b32 s12, 0
	s_and_saveexec_b32 s13, s14
; %bb.290:
	v_dual_mul_f32 v8, 4.0, v8 :: v_dual_mul_f32 v5, 4.0, v5
	s_mov_b32 s12, exec_lo
; %bb.291:
	s_or_b32 exec_lo, exec_lo, s13
	s_delay_alu instid0(SALU_CYCLE_1)
	s_and_b32 s12, s12, exec_lo
.LBB178_292:
	s_and_not1_saveexec_b32 s2, s2
; %bb.293:
	v_dual_mul_f32 v8, 0x3e800000, v8 :: v_dual_mul_f32 v5, 0x3e800000, v5
	s_and_not1_b32 s12, s12, exec_lo
; %bb.294:
	s_or_b32 exec_lo, exec_lo, s2
	s_delay_alu instid0(VALU_DEP_1) | instskip(NEXT) | instid1(VALU_DEP_2)
	v_max_f32_e64 v2, |v5|, |v5|
	v_max_f32_e64 v9, |v8|, |v8|
	s_delay_alu instid0(VALU_DEP_1) | instskip(NEXT) | instid1(VALU_DEP_1)
	v_max_f32_e32 v2, v9, v2
	v_cvt_f64_f32_e32 v[9:10], v2
	s_delay_alu instid0(VALU_DEP_1) | instskip(NEXT) | instid1(VALU_DEP_1)
	v_frexp_exp_i32_f64_e32 v9, v[9:10]
	v_sub_nc_u32_e32 v10, 0, v9
	s_delay_alu instid0(VALU_DEP_1) | instskip(SKIP_1) | instid1(VALU_DEP_2)
	v_ldexp_f32 v11, |v5|, v10
	v_ldexp_f32 v10, |v8|, v10
	v_mul_f32_e32 v11, v11, v11
	v_cmp_neq_f32_e64 s2, 0x7f800000, v2
                                        ; implicit-def: $vgpr2
	s_delay_alu instid0(VALU_DEP_2) | instskip(NEXT) | instid1(VALU_DEP_1)
	v_fmac_f32_e32 v11, v10, v10
	v_sqrt_f32_e32 v10, v11
	s_waitcnt_depctr 0xfff
	v_ldexp_f32 v9, v10, v9
	s_delay_alu instid0(VALU_DEP_1)
	v_cndmask_b32_e64 v10, 0x7f800000, v9, s2
                                        ; implicit-def: $vgpr9
	s_mov_b32 s2, exec_lo
	v_cmpx_le_f32_e32 0, v8
	s_xor_b32 s13, exec_lo, s2
	s_cbranch_execz .LBB178_300
; %bb.295:
	v_add_f32_e32 v2, v8, v10
	s_delay_alu instid0(VALU_DEP_1) | instskip(NEXT) | instid1(VALU_DEP_1)
	v_mul_f32_e32 v2, 0.5, v2
	v_mul_f32_e32 v8, 0x4f800000, v2
	v_cmp_gt_f32_e32 vcc_lo, 0xf800000, v2
	s_delay_alu instid0(VALU_DEP_2) | instskip(NEXT) | instid1(VALU_DEP_1)
	v_cndmask_b32_e32 v2, v2, v8, vcc_lo
	v_sqrt_f32_e32 v8, v2
	s_waitcnt_depctr 0xfff
	v_add_nc_u32_e32 v9, -1, v8
	v_add_nc_u32_e32 v10, 1, v8
	s_delay_alu instid0(VALU_DEP_2) | instskip(NEXT) | instid1(VALU_DEP_2)
	v_fma_f32 v11, -v9, v8, v2
	v_fma_f32 v12, -v10, v8, v2
	s_delay_alu instid0(VALU_DEP_2) | instskip(NEXT) | instid1(VALU_DEP_1)
	v_cmp_ge_f32_e64 s2, 0, v11
	v_cndmask_b32_e64 v8, v8, v9, s2
	s_delay_alu instid0(VALU_DEP_3) | instskip(NEXT) | instid1(VALU_DEP_1)
	v_cmp_lt_f32_e64 s2, 0, v12
	v_cndmask_b32_e64 v8, v8, v10, s2
	s_delay_alu instid0(VALU_DEP_1) | instskip(NEXT) | instid1(VALU_DEP_1)
	v_mul_f32_e32 v9, 0x37800000, v8
	v_cndmask_b32_e32 v8, v8, v9, vcc_lo
	v_cmp_class_f32_e64 vcc_lo, v2, 0x260
	s_delay_alu instid0(VALU_DEP_2) | instskip(NEXT) | instid1(VALU_DEP_1)
	v_cndmask_b32_e32 v2, v8, v2, vcc_lo
	v_add_f32_e32 v8, v2, v2
	s_delay_alu instid0(VALU_DEP_1) | instskip(NEXT) | instid1(VALU_DEP_1)
	v_div_scale_f32 v9, null, v8, v8, v5
	v_rcp_f32_e32 v10, v9
	s_waitcnt_depctr 0xfff
	v_fma_f32 v11, -v9, v10, 1.0
	s_delay_alu instid0(VALU_DEP_1) | instskip(SKIP_1) | instid1(VALU_DEP_1)
	v_fmac_f32_e32 v10, v11, v10
	v_div_scale_f32 v11, vcc_lo, v5, v8, v5
	v_mul_f32_e32 v12, v11, v10
	s_delay_alu instid0(VALU_DEP_1) | instskip(NEXT) | instid1(VALU_DEP_1)
	v_fma_f32 v13, -v9, v12, v11
	v_fmac_f32_e32 v12, v13, v10
	s_delay_alu instid0(VALU_DEP_1) | instskip(NEXT) | instid1(VALU_DEP_1)
	v_fma_f32 v9, -v9, v12, v11
	v_div_fmas_f32 v9, v9, v10, v12
                                        ; implicit-def: $vgpr10
	s_delay_alu instid0(VALU_DEP_1)
	v_div_fixup_f32 v9, v9, v8, v5
                                        ; implicit-def: $vgpr8
                                        ; implicit-def: $vgpr5
	s_and_not1_saveexec_b32 s13, s13
	s_cbranch_execz .LBB178_302
	s_branch .LBB178_301
.LBB178_296:
	s_or_b32 exec_lo, exec_lo, s3
	s_and_saveexec_b32 s1, s0
	s_delay_alu instid0(SALU_CYCLE_1)
	s_xor_b32 s0, exec_lo, s1
	s_cbranch_execz .LBB178_327
.LBB178_297:
	v_mov_b32_e32 v2, 0
	s_delay_alu instid0(VALU_DEP_1) | instskip(NEXT) | instid1(VALU_DEP_1)
	v_lshlrev_b64 v[0:1], 2, v[1:2]
	v_add_co_u32 v8, vcc_lo, s4, v0
	s_delay_alu instid0(VALU_DEP_2) | instskip(SKIP_3) | instid1(SALU_CYCLE_1)
	v_add_co_ci_u32_e32 v9, vcc_lo, s5, v1, vcc_lo
	v_mov_b32_e32 v0, v3
	global_store_b32 v[8:9], v4, off
	s_or_b32 exec_lo, exec_lo, s0
	s_mov_b32 s0, exec_lo
	v_cmpx_gt_i32_e64 s10, v0
	s_cbranch_execnz .LBB178_328
.LBB178_298:
	s_or_b32 exec_lo, exec_lo, s0
	s_delay_alu instid0(SALU_CYCLE_1)
	s_mov_b32 s0, exec_lo
	v_cmpx_gt_i32_e64 s10, v0
	s_cbranch_execz .LBB178_329
.LBB178_299:
	v_dual_mov_b32 v2, 0 :: v_dual_add_nc_u32 v1, s8, v0
	v_add_nc_u32_e32 v0, 0x100, v0
	s_delay_alu instid0(VALU_DEP_2) | instskip(NEXT) | instid1(VALU_DEP_1)
	v_lshlrev_b64 v[1:2], 2, v[1:2]
	v_add_co_u32 v1, vcc_lo, s4, v1
	s_delay_alu instid0(VALU_DEP_2) | instskip(SKIP_2) | instid1(SALU_CYCLE_1)
	v_add_co_ci_u32_e32 v2, vcc_lo, s5, v2, vcc_lo
	global_store_b32 v[1:2], v7, off
	s_or_b32 exec_lo, exec_lo, s0
	s_mov_b32 s0, exec_lo
	v_cmpx_gt_i32_e64 s10, v0
	s_cbranch_execnz .LBB178_330
	s_branch .LBB178_331
.LBB178_300:
	s_and_not1_saveexec_b32 s13, s13
	s_cbranch_execz .LBB178_302
.LBB178_301:
	v_sub_f32_e32 v2, v10, v8
	s_delay_alu instid0(VALU_DEP_1) | instskip(NEXT) | instid1(VALU_DEP_1)
	v_mul_f32_e32 v2, 0.5, v2
	v_mul_f32_e32 v8, 0x4f800000, v2
	v_cmp_gt_f32_e32 vcc_lo, 0xf800000, v2
	s_delay_alu instid0(VALU_DEP_2) | instskip(NEXT) | instid1(VALU_DEP_1)
	v_cndmask_b32_e32 v2, v2, v8, vcc_lo
	v_sqrt_f32_e32 v8, v2
	s_waitcnt_depctr 0xfff
	v_add_nc_u32_e32 v9, -1, v8
	v_add_nc_u32_e32 v10, 1, v8
	s_delay_alu instid0(VALU_DEP_2) | instskip(NEXT) | instid1(VALU_DEP_2)
	v_fma_f32 v11, -v9, v8, v2
	v_fma_f32 v12, -v10, v8, v2
	s_delay_alu instid0(VALU_DEP_2) | instskip(NEXT) | instid1(VALU_DEP_1)
	v_cmp_ge_f32_e64 s2, 0, v11
	v_cndmask_b32_e64 v8, v8, v9, s2
	s_delay_alu instid0(VALU_DEP_3) | instskip(NEXT) | instid1(VALU_DEP_1)
	v_cmp_lt_f32_e64 s2, 0, v12
	v_cndmask_b32_e64 v8, v8, v10, s2
	s_delay_alu instid0(VALU_DEP_1) | instskip(NEXT) | instid1(VALU_DEP_1)
	v_mul_f32_e32 v9, 0x37800000, v8
	v_cndmask_b32_e32 v8, v8, v9, vcc_lo
	v_cmp_class_f32_e64 vcc_lo, v2, 0x260
	s_delay_alu instid0(VALU_DEP_2) | instskip(NEXT) | instid1(VALU_DEP_1)
	v_cndmask_b32_e32 v8, v8, v2, vcc_lo
	v_dual_add_f32 v9, v8, v8 :: v_dual_and_b32 v2, 0x7fffffff, v5
	s_delay_alu instid0(VALU_DEP_1) | instskip(SKIP_1) | instid1(VALU_DEP_2)
	v_div_scale_f32 v10, null, v9, v9, v2
	v_div_scale_f32 v2, vcc_lo, v2, v9, v2
	v_rcp_f32_e32 v11, v10
	s_waitcnt_depctr 0xfff
	v_fma_f32 v12, -v10, v11, 1.0
	s_delay_alu instid0(VALU_DEP_1) | instskip(NEXT) | instid1(VALU_DEP_1)
	v_fmac_f32_e32 v11, v12, v11
	v_mul_f32_e32 v12, v2, v11
	s_delay_alu instid0(VALU_DEP_1) | instskip(NEXT) | instid1(VALU_DEP_1)
	v_fma_f32 v13, -v10, v12, v2
	v_fmac_f32_e32 v12, v13, v11
	s_delay_alu instid0(VALU_DEP_1) | instskip(NEXT) | instid1(VALU_DEP_1)
	v_fma_f32 v2, -v10, v12, v2
	v_div_fmas_f32 v2, v2, v11, v12
	s_delay_alu instid0(VALU_DEP_1)
	v_div_fixup_f32 v2, v2, v9, |v5|
	v_bfi_b32 v9, 0x7fffffff, v8, v5
.LBB178_302:
	s_or_b32 exec_lo, exec_lo, s13
                                        ; implicit-def: $vgpr5
                                        ; implicit-def: $vgpr8
	s_and_saveexec_b32 s2, s1
	s_delay_alu instid0(SALU_CYCLE_1)
	s_xor_b32 s1, exec_lo, s2
	s_cbranch_execz .LBB178_304
; %bb.303:
	v_dual_mul_f32 v5, 0.5, v2 :: v_dual_mul_f32 v10, 0.5, v9
	s_delay_alu instid0(VALU_DEP_1) | instskip(NEXT) | instid1(VALU_DEP_2)
	v_cndmask_b32_e64 v8, v2, v5, s12
	v_cndmask_b32_e64 v5, v9, v10, s12
                                        ; implicit-def: $vgpr2
                                        ; implicit-def: $vgpr9
	s_and_not1_saveexec_b32 s1, s1
	s_cbranch_execnz .LBB178_305
	s_branch .LBB178_306
.LBB178_304:
	s_and_not1_saveexec_b32 s1, s1
.LBB178_305:
	v_dual_add_f32 v8, v2, v2 :: v_dual_add_f32 v5, v9, v9
.LBB178_306:
	s_or_b32 exec_lo, exec_lo, s1
                                        ; implicit-def: $vgpr2
.LBB178_307:
	s_and_not1_saveexec_b32 s1, s11
	s_cbranch_execz .LBB178_313
; %bb.308:
	v_cmp_lt_i16_e32 vcc_lo, -1, v2
	v_sub_f32_e32 v2, v5, v5
	s_and_saveexec_b32 s2, vcc_lo
	s_delay_alu instid0(SALU_CYCLE_1)
	s_xor_b32 s2, exec_lo, s2
; %bb.309:
	s_delay_alu instid0(VALU_DEP_1)
	v_bfi_b32 v5, 0x7fffffff, v2, v5
                                        ; implicit-def: $vgpr2
; %bb.310:
	s_and_not1_saveexec_b32 s2, s2
; %bb.311:
	v_and_b32_e32 v2, 0x7fffffff, v2
	s_delay_alu instid0(VALU_DEP_2) | instskip(NEXT) | instid1(VALU_DEP_2)
	v_bfi_b32 v5, 0x7fffffff, v8, v5
	v_mov_b32_e32 v8, v2
; %bb.312:
	s_or_b32 exec_lo, exec_lo, s2
.LBB178_313:
	s_delay_alu instid0(SALU_CYCLE_1)
	s_or_b32 exec_lo, exec_lo, s1
.LBB178_314:
	s_and_not1_saveexec_b32 s1, s9
; %bb.315:
	v_sub_f32_e32 v2, v5, v5
	s_delay_alu instid0(VALU_DEP_1) | instskip(NEXT) | instid1(VALU_DEP_1)
	v_div_scale_f32 v5, vcc_lo, v2, v2, v2
	v_rcp_f32_e32 v9, v5
	s_waitcnt_depctr 0xfff
	v_fma_f32 v10, -v5, v9, 1.0
	s_delay_alu instid0(VALU_DEP_1) | instskip(NEXT) | instid1(VALU_DEP_1)
	v_fmac_f32_e32 v9, v10, v9
	v_mul_f32_e32 v10, v5, v9
	s_delay_alu instid0(VALU_DEP_1) | instskip(NEXT) | instid1(VALU_DEP_1)
	v_fma_f32 v11, -v5, v10, v5
	v_fmac_f32_e32 v10, v11, v9
	s_delay_alu instid0(VALU_DEP_1) | instskip(NEXT) | instid1(VALU_DEP_1)
	v_fma_f32 v5, -v5, v10, v5
	v_div_fmas_f32 v5, v5, v9, v10
	s_delay_alu instid0(VALU_DEP_1)
	v_div_fixup_f32 v5, v5, v2, v2
; %bb.316:
	s_or_b32 exec_lo, exec_lo, s1
.LBB178_317:
	s_delay_alu instid0(SALU_CYCLE_1)
	s_or_b32 exec_lo, exec_lo, s7
.LBB178_318:
	s_delay_alu instid0(SALU_CYCLE_1)
	s_or_b32 exec_lo, exec_lo, s6
	v_cmp_gt_f32_e32 vcc_lo, 0, v8
                                        ; implicit-def: $vgpr11
                                        ; implicit-def: $vgpr10
	s_mov_b32 s1, exec_lo
	v_cndmask_b32_e64 v2, v8, -v8, vcc_lo
	v_cmp_gt_f32_e32 vcc_lo, 0, v5
	v_cndmask_b32_e64 v9, v5, -v5, vcc_lo
	s_delay_alu instid0(VALU_DEP_1)
	v_cmpx_ge_f32_e32 v2, v9
	s_xor_b32 s2, exec_lo, s1
	s_cbranch_execz .LBB178_324
; %bb.319:
	v_cmp_neq_f32_e32 vcc_lo, 0, v8
	v_cmp_neq_f32_e64 s1, 0, v5
                                        ; implicit-def: $vgpr11
                                        ; implicit-def: $vgpr10
	s_delay_alu instid0(VALU_DEP_1) | instskip(NEXT) | instid1(SALU_CYCLE_1)
	s_or_b32 s1, vcc_lo, s1
	s_and_saveexec_b32 s6, s1
	s_delay_alu instid0(SALU_CYCLE_1)
	s_xor_b32 s1, exec_lo, s6
	s_cbranch_execz .LBB178_321
; %bb.320:
	v_div_scale_f32 v2, null, v8, v8, v5
	v_div_scale_f32 v11, vcc_lo, v5, v8, v5
	s_delay_alu instid0(VALU_DEP_2) | instskip(SKIP_2) | instid1(VALU_DEP_1)
	v_rcp_f32_e32 v9, v2
	s_waitcnt_depctr 0xfff
	v_fma_f32 v10, -v2, v9, 1.0
	v_fmac_f32_e32 v9, v10, v9
	s_delay_alu instid0(VALU_DEP_1) | instskip(NEXT) | instid1(VALU_DEP_1)
	v_mul_f32_e32 v10, v11, v9
	v_fma_f32 v12, -v2, v10, v11
	s_delay_alu instid0(VALU_DEP_1) | instskip(NEXT) | instid1(VALU_DEP_1)
	v_fmac_f32_e32 v10, v12, v9
	v_fma_f32 v2, -v2, v10, v11
	s_delay_alu instid0(VALU_DEP_1) | instskip(NEXT) | instid1(VALU_DEP_1)
	v_div_fmas_f32 v2, v2, v9, v10
	v_div_fixup_f32 v2, v2, v8, v5
	s_delay_alu instid0(VALU_DEP_1) | instskip(NEXT) | instid1(VALU_DEP_1)
	v_fmac_f32_e32 v8, v5, v2
	v_div_scale_f32 v5, null, v8, v8, 1.0
	v_div_scale_f32 v11, vcc_lo, 1.0, v8, 1.0
	s_delay_alu instid0(VALU_DEP_2) | instskip(SKIP_2) | instid1(VALU_DEP_1)
	v_rcp_f32_e32 v9, v5
	s_waitcnt_depctr 0xfff
	v_fma_f32 v10, -v5, v9, 1.0
	v_fmac_f32_e32 v9, v10, v9
	s_delay_alu instid0(VALU_DEP_1) | instskip(NEXT) | instid1(VALU_DEP_1)
	v_mul_f32_e32 v10, v11, v9
	v_fma_f32 v12, -v5, v10, v11
	s_delay_alu instid0(VALU_DEP_1) | instskip(NEXT) | instid1(VALU_DEP_1)
	v_fmac_f32_e32 v10, v12, v9
	v_fma_f32 v5, -v5, v10, v11
	s_delay_alu instid0(VALU_DEP_1) | instskip(SKIP_1) | instid1(VALU_DEP_2)
	v_div_fmas_f32 v5, v5, v9, v10
	v_fma_f32 v9, v2, 0, 1.0
	v_div_fixup_f32 v5, v5, v8, 1.0
	s_delay_alu instid0(VALU_DEP_1)
	v_mul_f32_e32 v10, v9, v5
	v_mul_f32_e64 v11, -v2, v5
                                        ; implicit-def: $vgpr2
                                        ; implicit-def: $vgpr9
.LBB178_321:
	s_and_not1_saveexec_b32 s6, s1
	s_cbranch_execz .LBB178_323
; %bb.322:
	v_div_scale_f32 v5, null, v2, v2, 1.0
	v_div_scale_f32 v8, null, v9, v9, 0
	v_div_scale_f32 v14, vcc_lo, 1.0, v2, 1.0
	s_delay_alu instid0(VALU_DEP_3) | instskip(NEXT) | instid1(VALU_DEP_2)
	v_rcp_f32_e32 v10, v5
	v_rcp_f32_e32 v11, v8
	s_waitcnt_depctr 0xfff
	v_fma_f32 v12, -v5, v10, 1.0
	v_fma_f32 v13, -v8, v11, 1.0
	s_delay_alu instid0(VALU_DEP_1) | instskip(SKIP_1) | instid1(VALU_DEP_2)
	v_dual_fmac_f32 v10, v12, v10 :: v_dual_fmac_f32 v11, v13, v11
	v_div_scale_f32 v12, s1, 0, v9, 0
	v_mul_f32_e32 v13, v14, v10
	s_delay_alu instid0(VALU_DEP_2) | instskip(NEXT) | instid1(VALU_DEP_2)
	v_mul_f32_e32 v15, v12, v11
	v_fma_f32 v16, -v5, v13, v14
	s_delay_alu instid0(VALU_DEP_2) | instskip(NEXT) | instid1(VALU_DEP_2)
	v_fma_f32 v17, -v8, v15, v12
	v_fmac_f32_e32 v13, v16, v10
	s_delay_alu instid0(VALU_DEP_2) | instskip(NEXT) | instid1(VALU_DEP_2)
	v_fmac_f32_e32 v15, v17, v11
	v_fma_f32 v5, -v5, v13, v14
	s_delay_alu instid0(VALU_DEP_2) | instskip(NEXT) | instid1(VALU_DEP_2)
	v_fma_f32 v8, -v8, v15, v12
	v_div_fmas_f32 v5, v5, v10, v13
	s_mov_b32 vcc_lo, s1
	s_delay_alu instid0(VALU_DEP_2) | instskip(NEXT) | instid1(VALU_DEP_2)
	v_div_fmas_f32 v8, v8, v11, v15
	v_div_fixup_f32 v10, v5, v2, 1.0
	s_delay_alu instid0(VALU_DEP_2)
	v_div_fixup_f32 v11, v8, v9, 0
.LBB178_323:
	s_or_b32 exec_lo, exec_lo, s6
                                        ; implicit-def: $vgpr5
                                        ; implicit-def: $vgpr8
.LBB178_324:
	s_and_not1_saveexec_b32 s1, s2
	s_cbranch_execz .LBB178_326
; %bb.325:
	v_div_scale_f32 v2, null, v5, v5, v8
	v_div_scale_f32 v11, vcc_lo, v8, v5, v8
	s_delay_alu instid0(VALU_DEP_2) | instskip(SKIP_2) | instid1(VALU_DEP_1)
	v_rcp_f32_e32 v9, v2
	s_waitcnt_depctr 0xfff
	v_fma_f32 v10, -v2, v9, 1.0
	v_fmac_f32_e32 v9, v10, v9
	s_delay_alu instid0(VALU_DEP_1) | instskip(NEXT) | instid1(VALU_DEP_1)
	v_mul_f32_e32 v10, v11, v9
	v_fma_f32 v12, -v2, v10, v11
	s_delay_alu instid0(VALU_DEP_1) | instskip(NEXT) | instid1(VALU_DEP_1)
	v_fmac_f32_e32 v10, v12, v9
	v_fma_f32 v2, -v2, v10, v11
	s_delay_alu instid0(VALU_DEP_1) | instskip(NEXT) | instid1(VALU_DEP_1)
	v_div_fmas_f32 v2, v2, v9, v10
	v_div_fixup_f32 v2, v2, v5, v8
	s_delay_alu instid0(VALU_DEP_1) | instskip(NEXT) | instid1(VALU_DEP_1)
	v_fmac_f32_e32 v5, v8, v2
	v_div_scale_f32 v8, null, v5, v5, 1.0
	v_div_scale_f32 v11, vcc_lo, 1.0, v5, 1.0
	s_delay_alu instid0(VALU_DEP_2) | instskip(SKIP_2) | instid1(VALU_DEP_1)
	v_rcp_f32_e32 v9, v8
	s_waitcnt_depctr 0xfff
	v_fma_f32 v10, -v8, v9, 1.0
	v_fmac_f32_e32 v9, v10, v9
	s_delay_alu instid0(VALU_DEP_1) | instskip(NEXT) | instid1(VALU_DEP_1)
	v_mul_f32_e32 v10, v11, v9
	v_fma_f32 v12, -v8, v10, v11
	s_delay_alu instid0(VALU_DEP_1) | instskip(NEXT) | instid1(VALU_DEP_1)
	v_fmac_f32_e32 v10, v12, v9
	v_fma_f32 v8, -v8, v10, v11
	s_delay_alu instid0(VALU_DEP_1) | instskip(SKIP_2) | instid1(VALU_DEP_3)
	v_div_fmas_f32 v8, v8, v9, v10
	v_add_f32_e32 v9, 0, v2
	v_fma_f32 v2, v2, 0, -1.0
	v_div_fixup_f32 v5, v8, v5, 1.0
	s_delay_alu instid0(VALU_DEP_1) | instskip(NEXT) | instid1(VALU_DEP_3)
	v_mul_f32_e32 v10, v9, v5
	v_mul_f32_e32 v11, v2, v5
.LBB178_326:
	s_or_b32 exec_lo, exec_lo, s1
	s_delay_alu instid0(VALU_DEP_1) | instskip(NEXT) | instid1(VALU_DEP_3)
	v_cvt_f16_f32_e32 v2, v11
	v_cvt_f16_f32_e32 v5, v10
	s_delay_alu instid0(VALU_DEP_2) | instskip(NEXT) | instid1(VALU_DEP_2)
	v_lshlrev_b32_e32 v2, 16, v2
	v_and_b32_e32 v5, 0xffff, v5
	s_delay_alu instid0(VALU_DEP_1) | instskip(SKIP_2) | instid1(SALU_CYCLE_1)
	v_or_b32_e32 v5, v2, v5
	s_or_b32 exec_lo, exec_lo, s3
	s_and_saveexec_b32 s1, s0
	s_xor_b32 s0, exec_lo, s1
	s_cbranch_execnz .LBB178_297
.LBB178_327:
	s_or_b32 exec_lo, exec_lo, s0
	s_delay_alu instid0(SALU_CYCLE_1)
	s_mov_b32 s0, exec_lo
	v_cmpx_gt_i32_e64 s10, v0
	s_cbranch_execz .LBB178_298
.LBB178_328:
	v_dual_mov_b32 v2, 0 :: v_dual_add_nc_u32 v1, s8, v0
	v_add_nc_u32_e32 v0, 0x100, v0
	s_delay_alu instid0(VALU_DEP_2) | instskip(NEXT) | instid1(VALU_DEP_1)
	v_lshlrev_b64 v[1:2], 2, v[1:2]
	v_add_co_u32 v1, vcc_lo, s4, v1
	s_delay_alu instid0(VALU_DEP_2) | instskip(SKIP_2) | instid1(SALU_CYCLE_1)
	v_add_co_ci_u32_e32 v2, vcc_lo, s5, v2, vcc_lo
	global_store_b32 v[1:2], v6, off
	s_or_b32 exec_lo, exec_lo, s0
	s_mov_b32 s0, exec_lo
	v_cmpx_gt_i32_e64 s10, v0
	s_cbranch_execnz .LBB178_299
.LBB178_329:
	s_or_b32 exec_lo, exec_lo, s0
	s_delay_alu instid0(SALU_CYCLE_1)
	s_mov_b32 s0, exec_lo
	v_cmpx_gt_i32_e64 s10, v0
	s_cbranch_execz .LBB178_331
.LBB178_330:
	v_dual_mov_b32 v1, 0 :: v_dual_add_nc_u32 v0, s8, v0
	s_delay_alu instid0(VALU_DEP_1) | instskip(NEXT) | instid1(VALU_DEP_1)
	v_lshlrev_b64 v[0:1], 2, v[0:1]
	v_add_co_u32 v0, vcc_lo, s4, v0
	s_delay_alu instid0(VALU_DEP_2)
	v_add_co_ci_u32_e32 v1, vcc_lo, s5, v1, vcc_lo
	global_store_b32 v[0:1], v5, off
.LBB178_331:
	s_nop 0
	s_sendmsg sendmsg(MSG_DEALLOC_VGPRS)
	s_endpgm
	.section	.rodata,"a",@progbits
	.p2align	6, 0x0
	.amdhsa_kernel _ZN2at6native29vectorized_elementwise_kernelILi16EZZZNS0_17rsqrt_kernel_cudaERNS_18TensorIteratorBaseEENKUlvE_clEvENKUlvE1_clEvEUlN3c107complexINS6_4HalfEEEE_St5arrayIPcLm2EEEEviT0_T1_
		.amdhsa_group_segment_fixed_size 0
		.amdhsa_private_segment_fixed_size 0
		.amdhsa_kernarg_size 24
		.amdhsa_user_sgpr_count 15
		.amdhsa_user_sgpr_dispatch_ptr 0
		.amdhsa_user_sgpr_queue_ptr 0
		.amdhsa_user_sgpr_kernarg_segment_ptr 1
		.amdhsa_user_sgpr_dispatch_id 0
		.amdhsa_user_sgpr_private_segment_size 0
		.amdhsa_wavefront_size32 1
		.amdhsa_uses_dynamic_stack 0
		.amdhsa_enable_private_segment 0
		.amdhsa_system_sgpr_workgroup_id_x 1
		.amdhsa_system_sgpr_workgroup_id_y 0
		.amdhsa_system_sgpr_workgroup_id_z 0
		.amdhsa_system_sgpr_workgroup_info 0
		.amdhsa_system_vgpr_workitem_id 0
		.amdhsa_next_free_vgpr 20
		.amdhsa_next_free_sgpr 17
		.amdhsa_reserve_vcc 1
		.amdhsa_float_round_mode_32 0
		.amdhsa_float_round_mode_16_64 0
		.amdhsa_float_denorm_mode_32 3
		.amdhsa_float_denorm_mode_16_64 3
		.amdhsa_dx10_clamp 1
		.amdhsa_ieee_mode 1
		.amdhsa_fp16_overflow 0
		.amdhsa_workgroup_processor_mode 1
		.amdhsa_memory_ordered 1
		.amdhsa_forward_progress 0
		.amdhsa_shared_vgpr_count 0
		.amdhsa_exception_fp_ieee_invalid_op 0
		.amdhsa_exception_fp_denorm_src 0
		.amdhsa_exception_fp_ieee_div_zero 0
		.amdhsa_exception_fp_ieee_overflow 0
		.amdhsa_exception_fp_ieee_underflow 0
		.amdhsa_exception_fp_ieee_inexact 0
		.amdhsa_exception_int_div_zero 0
	.end_amdhsa_kernel
	.section	.text._ZN2at6native29vectorized_elementwise_kernelILi16EZZZNS0_17rsqrt_kernel_cudaERNS_18TensorIteratorBaseEENKUlvE_clEvENKUlvE1_clEvEUlN3c107complexINS6_4HalfEEEE_St5arrayIPcLm2EEEEviT0_T1_,"axG",@progbits,_ZN2at6native29vectorized_elementwise_kernelILi16EZZZNS0_17rsqrt_kernel_cudaERNS_18TensorIteratorBaseEENKUlvE_clEvENKUlvE1_clEvEUlN3c107complexINS6_4HalfEEEE_St5arrayIPcLm2EEEEviT0_T1_,comdat
.Lfunc_end178:
	.size	_ZN2at6native29vectorized_elementwise_kernelILi16EZZZNS0_17rsqrt_kernel_cudaERNS_18TensorIteratorBaseEENKUlvE_clEvENKUlvE1_clEvEUlN3c107complexINS6_4HalfEEEE_St5arrayIPcLm2EEEEviT0_T1_, .Lfunc_end178-_ZN2at6native29vectorized_elementwise_kernelILi16EZZZNS0_17rsqrt_kernel_cudaERNS_18TensorIteratorBaseEENKUlvE_clEvENKUlvE1_clEvEUlN3c107complexINS6_4HalfEEEE_St5arrayIPcLm2EEEEviT0_T1_
                                        ; -- End function
	.section	.AMDGPU.csdata,"",@progbits
; Kernel info:
; codeLenInByte = 16620
; NumSgprs: 19
; NumVgprs: 20
; ScratchSize: 0
; MemoryBound: 0
; FloatMode: 240
; IeeeMode: 1
; LDSByteSize: 0 bytes/workgroup (compile time only)
; SGPRBlocks: 2
; VGPRBlocks: 2
; NumSGPRsForWavesPerEU: 19
; NumVGPRsForWavesPerEU: 20
; Occupancy: 16
; WaveLimiterHint : 0
; COMPUTE_PGM_RSRC2:SCRATCH_EN: 0
; COMPUTE_PGM_RSRC2:USER_SGPR: 15
; COMPUTE_PGM_RSRC2:TRAP_HANDLER: 0
; COMPUTE_PGM_RSRC2:TGID_X_EN: 1
; COMPUTE_PGM_RSRC2:TGID_Y_EN: 0
; COMPUTE_PGM_RSRC2:TGID_Z_EN: 0
; COMPUTE_PGM_RSRC2:TIDIG_COMP_CNT: 0
	.section	.text._ZN2at6native29vectorized_elementwise_kernelILi8EZZZNS0_17rsqrt_kernel_cudaERNS_18TensorIteratorBaseEENKUlvE_clEvENKUlvE1_clEvEUlN3c107complexINS6_4HalfEEEE_St5arrayIPcLm2EEEEviT0_T1_,"axG",@progbits,_ZN2at6native29vectorized_elementwise_kernelILi8EZZZNS0_17rsqrt_kernel_cudaERNS_18TensorIteratorBaseEENKUlvE_clEvENKUlvE1_clEvEUlN3c107complexINS6_4HalfEEEE_St5arrayIPcLm2EEEEviT0_T1_,comdat
	.globl	_ZN2at6native29vectorized_elementwise_kernelILi8EZZZNS0_17rsqrt_kernel_cudaERNS_18TensorIteratorBaseEENKUlvE_clEvENKUlvE1_clEvEUlN3c107complexINS6_4HalfEEEE_St5arrayIPcLm2EEEEviT0_T1_ ; -- Begin function _ZN2at6native29vectorized_elementwise_kernelILi8EZZZNS0_17rsqrt_kernel_cudaERNS_18TensorIteratorBaseEENKUlvE_clEvENKUlvE1_clEvEUlN3c107complexINS6_4HalfEEEE_St5arrayIPcLm2EEEEviT0_T1_
	.p2align	8
	.type	_ZN2at6native29vectorized_elementwise_kernelILi8EZZZNS0_17rsqrt_kernel_cudaERNS_18TensorIteratorBaseEENKUlvE_clEvENKUlvE1_clEvEUlN3c107complexINS6_4HalfEEEE_St5arrayIPcLm2EEEEviT0_T1_,@function
_ZN2at6native29vectorized_elementwise_kernelILi8EZZZNS0_17rsqrt_kernel_cudaERNS_18TensorIteratorBaseEENKUlvE_clEvENKUlvE1_clEvEUlN3c107complexINS6_4HalfEEEE_St5arrayIPcLm2EEEEviT0_T1_: ; @_ZN2at6native29vectorized_elementwise_kernelILi8EZZZNS0_17rsqrt_kernel_cudaERNS_18TensorIteratorBaseEENKUlvE_clEvENKUlvE1_clEvEUlN3c107complexINS6_4HalfEEEE_St5arrayIPcLm2EEEEviT0_T1_
; %bb.0:
	s_clause 0x1
	s_load_b32 s2, s[0:1], 0x0
	s_load_b128 s[4:7], s[0:1], 0x8
	s_lshl_b32 s8, s15, 10
	s_mov_b32 s0, -1
	s_waitcnt lgkmcnt(0)
	s_sub_i32 s10, s2, s8
	s_delay_alu instid0(SALU_CYCLE_1)
	s_cmpk_gt_i32 s10, 0x3ff
	s_cbranch_scc0 .LBB179_154
; %bb.1:
	s_ashr_i32 s9, s8, 31
	v_lshlrev_b32_e32 v5, 4, v0
	s_lshl_b64 s[2:3], s[8:9], 2
	v_mov_b32_e32 v9, 0
	s_add_u32 s0, s6, s2
	s_addc_u32 s1, s7, s3
	global_load_b128 v[1:4], v5, s[0:1]
	s_waitcnt vmcnt(0)
	v_lshrrev_b32_e32 v6, 16, v1
	v_cmp_neq_f16_e32 vcc_lo, 0, v1
	s_delay_alu instid0(VALU_DEP_2) | instskip(SKIP_1) | instid1(VALU_DEP_2)
	v_cmp_neq_f16_e64 s0, 0, v6
	v_cvt_f32_f16_e32 v8, v6
	s_or_b32 s0, vcc_lo, s0
	s_delay_alu instid0(SALU_CYCLE_1)
	s_and_saveexec_b32 s9, s0
	s_cbranch_execz .LBB179_31
; %bb.2:
	v_mov_b32_e32 v9, 0x7f800000
	s_mov_b32 s11, exec_lo
	v_cmpx_neq_f32_e64 0x7f800000, |v8|
	s_cbranch_execz .LBB179_30
; %bb.3:
	v_cvt_f32_f16_e32 v9, v1
	s_mov_b32 s0, exec_lo
	v_cmpx_o_f16_e32 v1, v1
	s_xor_b32 s12, exec_lo, s0
	s_cbranch_execz .LBB179_27
; %bb.4:
	s_mov_b32 s1, exec_lo
	v_cmpx_neq_f32_e64 0x7f800000, |v9|
	s_xor_b32 s13, exec_lo, s1
	s_cbranch_execz .LBB179_20
; %bb.5:
	v_max_f32_e64 v6, |v8|, |v8|
	v_max_f32_e64 v7, |v9|, |v9|
                                        ; implicit-def: $sgpr14
	s_delay_alu instid0(VALU_DEP_1) | instskip(NEXT) | instid1(VALU_DEP_1)
	v_max_f32_e32 v6, v7, v6
	v_cmp_nle_f32_e64 s0, 0x7ed413cb, v6
	s_delay_alu instid0(VALU_DEP_1) | instskip(NEXT) | instid1(SALU_CYCLE_1)
	s_and_saveexec_b32 s1, s0
	s_xor_b32 s1, exec_lo, s1
	s_cbranch_execz .LBB179_9
; %bb.6:
	v_cmp_ge_f32_e64 s14, 0x1000000, |v9|
	v_cmp_ge_f32_e64 s15, 0x1000000, |v8|
	s_delay_alu instid0(VALU_DEP_1)
	s_and_b32 s16, s14, s15
	s_mov_b32 s14, 0
	s_and_saveexec_b32 s15, s16
; %bb.7:
	v_dual_mul_f32 v9, 4.0, v9 :: v_dual_mul_f32 v8, 4.0, v8
	s_mov_b32 s14, exec_lo
; %bb.8:
	s_or_b32 exec_lo, exec_lo, s15
	s_delay_alu instid0(SALU_CYCLE_1)
	s_and_b32 s14, s14, exec_lo
.LBB179_9:
	s_and_not1_saveexec_b32 s1, s1
; %bb.10:
	v_dual_mul_f32 v9, 0x3e800000, v9 :: v_dual_mul_f32 v8, 0x3e800000, v8
	s_and_not1_b32 s14, s14, exec_lo
; %bb.11:
	s_or_b32 exec_lo, exec_lo, s1
	s_delay_alu instid0(VALU_DEP_1) | instskip(NEXT) | instid1(VALU_DEP_2)
	v_max_f32_e64 v6, |v8|, |v8|
	v_max_f32_e64 v7, |v9|, |v9|
	s_delay_alu instid0(VALU_DEP_1) | instskip(NEXT) | instid1(VALU_DEP_1)
	v_max_f32_e32 v10, v7, v6
	v_cvt_f64_f32_e32 v[6:7], v10
	v_cmp_neq_f32_e64 s1, 0x7f800000, v10
	s_delay_alu instid0(VALU_DEP_2) | instskip(NEXT) | instid1(VALU_DEP_1)
	v_frexp_exp_i32_f64_e32 v6, v[6:7]
	v_sub_nc_u32_e32 v7, 0, v6
	s_delay_alu instid0(VALU_DEP_1) | instskip(SKIP_1) | instid1(VALU_DEP_2)
	v_ldexp_f32 v11, |v8|, v7
	v_ldexp_f32 v7, |v9|, v7
	v_mul_f32_e32 v11, v11, v11
	s_delay_alu instid0(VALU_DEP_1) | instskip(NEXT) | instid1(VALU_DEP_1)
	v_fmac_f32_e32 v11, v7, v7
	v_sqrt_f32_e32 v7, v11
	s_waitcnt_depctr 0xfff
	v_ldexp_f32 v6, v7, v6
                                        ; implicit-def: $vgpr7
	s_delay_alu instid0(VALU_DEP_1)
	v_cndmask_b32_e64 v10, 0x7f800000, v6, s1
                                        ; implicit-def: $vgpr6
	s_mov_b32 s1, exec_lo
	v_cmpx_le_f32_e32 0, v9
	s_xor_b32 s15, exec_lo, s1
	s_cbranch_execz .LBB179_13
; %bb.12:
	v_add_f32_e32 v6, v9, v10
	s_delay_alu instid0(VALU_DEP_1) | instskip(NEXT) | instid1(VALU_DEP_1)
	v_mul_f32_e32 v6, 0.5, v6
	v_mul_f32_e32 v7, 0x4f800000, v6
	v_cmp_gt_f32_e32 vcc_lo, 0xf800000, v6
	s_delay_alu instid0(VALU_DEP_2) | instskip(NEXT) | instid1(VALU_DEP_1)
	v_cndmask_b32_e32 v6, v6, v7, vcc_lo
	v_sqrt_f32_e32 v7, v6
	s_waitcnt_depctr 0xfff
	v_add_nc_u32_e32 v9, -1, v7
	v_add_nc_u32_e32 v10, 1, v7
	s_delay_alu instid0(VALU_DEP_2) | instskip(NEXT) | instid1(VALU_DEP_2)
	v_fma_f32 v11, -v9, v7, v6
	v_fma_f32 v12, -v10, v7, v6
	s_delay_alu instid0(VALU_DEP_2) | instskip(NEXT) | instid1(VALU_DEP_1)
	v_cmp_ge_f32_e64 s1, 0, v11
	v_cndmask_b32_e64 v7, v7, v9, s1
	s_delay_alu instid0(VALU_DEP_3) | instskip(NEXT) | instid1(VALU_DEP_1)
	v_cmp_lt_f32_e64 s1, 0, v12
	v_cndmask_b32_e64 v7, v7, v10, s1
	s_delay_alu instid0(VALU_DEP_1) | instskip(NEXT) | instid1(VALU_DEP_1)
	v_mul_f32_e32 v9, 0x37800000, v7
	v_cndmask_b32_e32 v7, v7, v9, vcc_lo
	v_cmp_class_f32_e64 vcc_lo, v6, 0x260
	s_delay_alu instid0(VALU_DEP_2) | instskip(NEXT) | instid1(VALU_DEP_1)
	v_cndmask_b32_e32 v6, v7, v6, vcc_lo
	v_add_f32_e32 v7, v6, v6
	s_delay_alu instid0(VALU_DEP_1) | instskip(NEXT) | instid1(VALU_DEP_1)
	v_div_scale_f32 v9, null, v7, v7, v8
	v_rcp_f32_e32 v10, v9
	s_waitcnt_depctr 0xfff
	v_fma_f32 v11, -v9, v10, 1.0
	s_delay_alu instid0(VALU_DEP_1) | instskip(SKIP_1) | instid1(VALU_DEP_1)
	v_fmac_f32_e32 v10, v11, v10
	v_div_scale_f32 v11, vcc_lo, v8, v7, v8
	v_mul_f32_e32 v12, v11, v10
	s_delay_alu instid0(VALU_DEP_1) | instskip(NEXT) | instid1(VALU_DEP_1)
	v_fma_f32 v13, -v9, v12, v11
	v_fmac_f32_e32 v12, v13, v10
	s_delay_alu instid0(VALU_DEP_1) | instskip(NEXT) | instid1(VALU_DEP_1)
	v_fma_f32 v9, -v9, v12, v11
	v_div_fmas_f32 v9, v9, v10, v12
                                        ; implicit-def: $vgpr10
	s_delay_alu instid0(VALU_DEP_1)
	v_div_fixup_f32 v7, v9, v7, v8
                                        ; implicit-def: $vgpr9
                                        ; implicit-def: $vgpr8
	s_and_not1_saveexec_b32 s15, s15
	s_cbranch_execz .LBB179_15
	s_branch .LBB179_14
.LBB179_13:
	s_and_not1_saveexec_b32 s15, s15
	s_cbranch_execz .LBB179_15
.LBB179_14:
	v_sub_f32_e32 v6, v10, v9
	s_delay_alu instid0(VALU_DEP_1) | instskip(NEXT) | instid1(VALU_DEP_1)
	v_mul_f32_e32 v6, 0.5, v6
	v_mul_f32_e32 v7, 0x4f800000, v6
	v_cmp_gt_f32_e32 vcc_lo, 0xf800000, v6
	s_delay_alu instid0(VALU_DEP_2) | instskip(NEXT) | instid1(VALU_DEP_1)
	v_cndmask_b32_e32 v6, v6, v7, vcc_lo
	v_sqrt_f32_e32 v7, v6
	s_waitcnt_depctr 0xfff
	v_add_nc_u32_e32 v9, -1, v7
	v_add_nc_u32_e32 v10, 1, v7
	s_delay_alu instid0(VALU_DEP_2) | instskip(NEXT) | instid1(VALU_DEP_2)
	v_fma_f32 v11, -v9, v7, v6
	v_fma_f32 v12, -v10, v7, v6
	s_delay_alu instid0(VALU_DEP_2) | instskip(NEXT) | instid1(VALU_DEP_1)
	v_cmp_ge_f32_e64 s1, 0, v11
	v_cndmask_b32_e64 v7, v7, v9, s1
	s_delay_alu instid0(VALU_DEP_3) | instskip(NEXT) | instid1(VALU_DEP_1)
	v_cmp_lt_f32_e64 s1, 0, v12
	v_cndmask_b32_e64 v7, v7, v10, s1
	s_delay_alu instid0(VALU_DEP_1) | instskip(NEXT) | instid1(VALU_DEP_1)
	v_mul_f32_e32 v9, 0x37800000, v7
	v_cndmask_b32_e32 v7, v7, v9, vcc_lo
	v_cmp_class_f32_e64 vcc_lo, v6, 0x260
	s_delay_alu instid0(VALU_DEP_2) | instskip(NEXT) | instid1(VALU_DEP_1)
	v_dual_cndmask_b32 v7, v7, v6 :: v_dual_and_b32 v6, 0x7fffffff, v8
	v_add_f32_e32 v9, v7, v7
	v_bfi_b32 v7, 0x7fffffff, v7, v8
	s_delay_alu instid0(VALU_DEP_2) | instskip(SKIP_1) | instid1(VALU_DEP_2)
	v_div_scale_f32 v10, null, v9, v9, v6
	v_div_scale_f32 v6, vcc_lo, v6, v9, v6
	v_rcp_f32_e32 v11, v10
	s_waitcnt_depctr 0xfff
	v_fma_f32 v12, -v10, v11, 1.0
	s_delay_alu instid0(VALU_DEP_1) | instskip(NEXT) | instid1(VALU_DEP_1)
	v_fmac_f32_e32 v11, v12, v11
	v_mul_f32_e32 v12, v6, v11
	s_delay_alu instid0(VALU_DEP_1) | instskip(NEXT) | instid1(VALU_DEP_1)
	v_fma_f32 v13, -v10, v12, v6
	v_fmac_f32_e32 v12, v13, v11
	s_delay_alu instid0(VALU_DEP_1) | instskip(NEXT) | instid1(VALU_DEP_1)
	v_fma_f32 v6, -v10, v12, v6
	v_div_fmas_f32 v6, v6, v11, v12
	s_delay_alu instid0(VALU_DEP_1)
	v_div_fixup_f32 v6, v6, v9, |v8|
.LBB179_15:
	s_or_b32 exec_lo, exec_lo, s15
                                        ; implicit-def: $vgpr8
                                        ; implicit-def: $vgpr9
	s_and_saveexec_b32 s1, s0
	s_delay_alu instid0(SALU_CYCLE_1)
	s_xor_b32 s0, exec_lo, s1
	s_cbranch_execz .LBB179_17
; %bb.16:
	v_mul_f32_e32 v8, 0.5, v6
	v_mul_f32_e32 v10, 0.5, v7
	s_delay_alu instid0(VALU_DEP_2) | instskip(NEXT) | instid1(VALU_DEP_2)
	v_cndmask_b32_e64 v9, v6, v8, s14
	v_cndmask_b32_e64 v8, v7, v10, s14
                                        ; implicit-def: $vgpr6
                                        ; implicit-def: $vgpr7
	s_and_not1_saveexec_b32 s0, s0
	s_cbranch_execnz .LBB179_18
	s_branch .LBB179_19
.LBB179_17:
	s_and_not1_saveexec_b32 s0, s0
.LBB179_18:
	v_dual_add_f32 v9, v6, v6 :: v_dual_add_f32 v8, v7, v7
.LBB179_19:
	s_or_b32 exec_lo, exec_lo, s0
.LBB179_20:
	s_and_not1_saveexec_b32 s0, s13
	s_cbranch_execz .LBB179_26
; %bb.21:
	v_cmp_lt_i16_e32 vcc_lo, -1, v1
	v_sub_f32_e32 v1, v8, v8
	s_and_saveexec_b32 s1, vcc_lo
	s_delay_alu instid0(SALU_CYCLE_1)
	s_xor_b32 s1, exec_lo, s1
; %bb.22:
	s_delay_alu instid0(VALU_DEP_1)
	v_bfi_b32 v8, 0x7fffffff, v1, v8
                                        ; implicit-def: $vgpr1
; %bb.23:
	s_and_not1_saveexec_b32 s1, s1
; %bb.24:
	v_and_b32_e32 v1, 0x7fffffff, v1
	s_delay_alu instid0(VALU_DEP_2) | instskip(NEXT) | instid1(VALU_DEP_2)
	v_bfi_b32 v8, 0x7fffffff, v9, v8
	v_mov_b32_e32 v9, v1
; %bb.25:
	s_or_b32 exec_lo, exec_lo, s1
.LBB179_26:
	s_delay_alu instid0(SALU_CYCLE_1)
	s_or_b32 exec_lo, exec_lo, s0
.LBB179_27:
	s_and_not1_saveexec_b32 s0, s12
; %bb.28:
	v_sub_f32_e32 v1, v8, v8
	s_delay_alu instid0(VALU_DEP_1) | instskip(NEXT) | instid1(VALU_DEP_1)
	v_div_scale_f32 v6, vcc_lo, v1, v1, v1
	v_rcp_f32_e32 v7, v6
	s_waitcnt_depctr 0xfff
	v_fma_f32 v8, -v6, v7, 1.0
	s_delay_alu instid0(VALU_DEP_1) | instskip(NEXT) | instid1(VALU_DEP_1)
	v_fmac_f32_e32 v7, v8, v7
	v_mul_f32_e32 v8, v6, v7
	s_delay_alu instid0(VALU_DEP_1) | instskip(NEXT) | instid1(VALU_DEP_1)
	v_fma_f32 v10, -v6, v8, v6
	v_fmac_f32_e32 v8, v10, v7
	s_delay_alu instid0(VALU_DEP_1) | instskip(NEXT) | instid1(VALU_DEP_1)
	v_fma_f32 v6, -v6, v8, v6
	v_div_fmas_f32 v6, v6, v7, v8
	s_delay_alu instid0(VALU_DEP_1)
	v_div_fixup_f32 v8, v6, v1, v1
; %bb.29:
	s_or_b32 exec_lo, exec_lo, s0
.LBB179_30:
	s_delay_alu instid0(SALU_CYCLE_1)
	s_or_b32 exec_lo, exec_lo, s11
.LBB179_31:
	s_delay_alu instid0(SALU_CYCLE_1)
	s_or_b32 exec_lo, exec_lo, s9
	v_cmp_gt_f32_e32 vcc_lo, 0, v9
                                        ; implicit-def: $vgpr7
                                        ; implicit-def: $vgpr6
	s_mov_b32 s0, exec_lo
	v_cndmask_b32_e64 v1, v9, -v9, vcc_lo
	v_cmp_gt_f32_e32 vcc_lo, 0, v8
	v_cndmask_b32_e64 v10, v8, -v8, vcc_lo
	s_delay_alu instid0(VALU_DEP_1)
	v_cmpx_ge_f32_e32 v1, v10
	s_xor_b32 s1, exec_lo, s0
	s_cbranch_execz .LBB179_37
; %bb.32:
	v_cmp_neq_f32_e32 vcc_lo, 0, v9
	v_cmp_neq_f32_e64 s0, 0, v8
                                        ; implicit-def: $vgpr7
                                        ; implicit-def: $vgpr6
	s_delay_alu instid0(VALU_DEP_1) | instskip(NEXT) | instid1(SALU_CYCLE_1)
	s_or_b32 s0, vcc_lo, s0
	s_and_saveexec_b32 s9, s0
	s_delay_alu instid0(SALU_CYCLE_1)
	s_xor_b32 s0, exec_lo, s9
	s_cbranch_execz .LBB179_34
; %bb.33:
	v_div_scale_f32 v1, null, v9, v9, v8
	v_div_scale_f32 v10, vcc_lo, v8, v9, v8
	s_delay_alu instid0(VALU_DEP_2) | instskip(SKIP_2) | instid1(VALU_DEP_1)
	v_rcp_f32_e32 v6, v1
	s_waitcnt_depctr 0xfff
	v_fma_f32 v7, -v1, v6, 1.0
	v_fmac_f32_e32 v6, v7, v6
	s_delay_alu instid0(VALU_DEP_1) | instskip(NEXT) | instid1(VALU_DEP_1)
	v_mul_f32_e32 v7, v10, v6
	v_fma_f32 v11, -v1, v7, v10
	s_delay_alu instid0(VALU_DEP_1) | instskip(NEXT) | instid1(VALU_DEP_1)
	v_fmac_f32_e32 v7, v11, v6
	v_fma_f32 v1, -v1, v7, v10
	s_delay_alu instid0(VALU_DEP_1) | instskip(NEXT) | instid1(VALU_DEP_1)
	v_div_fmas_f32 v1, v1, v6, v7
	v_div_fixup_f32 v1, v1, v9, v8
	s_delay_alu instid0(VALU_DEP_1) | instskip(NEXT) | instid1(VALU_DEP_1)
	v_fmac_f32_e32 v9, v8, v1
	v_div_scale_f32 v6, null, v9, v9, 1.0
	v_div_scale_f32 v10, vcc_lo, 1.0, v9, 1.0
	s_delay_alu instid0(VALU_DEP_2) | instskip(SKIP_2) | instid1(VALU_DEP_1)
	v_rcp_f32_e32 v7, v6
	s_waitcnt_depctr 0xfff
	v_fma_f32 v8, -v6, v7, 1.0
	v_fmac_f32_e32 v7, v8, v7
	s_delay_alu instid0(VALU_DEP_1) | instskip(NEXT) | instid1(VALU_DEP_1)
	v_mul_f32_e32 v8, v10, v7
	v_fma_f32 v11, -v6, v8, v10
	s_delay_alu instid0(VALU_DEP_1) | instskip(NEXT) | instid1(VALU_DEP_1)
	v_fmac_f32_e32 v8, v11, v7
	v_fma_f32 v6, -v6, v8, v10
                                        ; implicit-def: $vgpr10
	s_delay_alu instid0(VALU_DEP_1) | instskip(SKIP_1) | instid1(VALU_DEP_2)
	v_div_fmas_f32 v6, v6, v7, v8
	v_fma_f32 v7, v1, 0, 1.0
	v_div_fixup_f32 v8, v6, v9, 1.0
	s_delay_alu instid0(VALU_DEP_1)
	v_mul_f32_e32 v6, v7, v8
	v_mul_f32_e64 v7, -v1, v8
                                        ; implicit-def: $vgpr1
.LBB179_34:
	s_and_not1_saveexec_b32 s9, s0
	s_cbranch_execz .LBB179_36
; %bb.35:
	v_div_scale_f32 v6, null, v1, v1, 1.0
	v_div_scale_f32 v7, null, v10, v10, 0
	v_div_scale_f32 v13, vcc_lo, 1.0, v1, 1.0
	s_delay_alu instid0(VALU_DEP_3) | instskip(NEXT) | instid1(VALU_DEP_2)
	v_rcp_f32_e32 v8, v6
	v_rcp_f32_e32 v9, v7
	s_waitcnt_depctr 0xfff
	v_fma_f32 v11, -v6, v8, 1.0
	v_fma_f32 v12, -v7, v9, 1.0
	s_delay_alu instid0(VALU_DEP_1) | instskip(SKIP_1) | instid1(VALU_DEP_2)
	v_dual_fmac_f32 v8, v11, v8 :: v_dual_fmac_f32 v9, v12, v9
	v_div_scale_f32 v11, s0, 0, v10, 0
	v_mul_f32_e32 v12, v13, v8
	s_delay_alu instid0(VALU_DEP_2) | instskip(NEXT) | instid1(VALU_DEP_2)
	v_mul_f32_e32 v14, v11, v9
	v_fma_f32 v15, -v6, v12, v13
	s_delay_alu instid0(VALU_DEP_2) | instskip(NEXT) | instid1(VALU_DEP_2)
	v_fma_f32 v16, -v7, v14, v11
	v_fmac_f32_e32 v12, v15, v8
	s_delay_alu instid0(VALU_DEP_2) | instskip(NEXT) | instid1(VALU_DEP_2)
	v_fmac_f32_e32 v14, v16, v9
	v_fma_f32 v6, -v6, v12, v13
	s_delay_alu instid0(VALU_DEP_2) | instskip(NEXT) | instid1(VALU_DEP_2)
	v_fma_f32 v7, -v7, v14, v11
	v_div_fmas_f32 v6, v6, v8, v12
	s_mov_b32 vcc_lo, s0
	s_delay_alu instid0(VALU_DEP_2) | instskip(NEXT) | instid1(VALU_DEP_2)
	v_div_fmas_f32 v7, v7, v9, v14
	v_div_fixup_f32 v6, v6, v1, 1.0
	s_delay_alu instid0(VALU_DEP_2)
	v_div_fixup_f32 v7, v7, v10, 0
.LBB179_36:
	s_or_b32 exec_lo, exec_lo, s9
                                        ; implicit-def: $vgpr8
                                        ; implicit-def: $vgpr9
.LBB179_37:
	s_and_not1_saveexec_b32 s0, s1
	s_cbranch_execz .LBB179_39
; %bb.38:
	v_div_scale_f32 v1, null, v8, v8, v9
	v_div_scale_f32 v10, vcc_lo, v9, v8, v9
	s_delay_alu instid0(VALU_DEP_2) | instskip(SKIP_2) | instid1(VALU_DEP_1)
	v_rcp_f32_e32 v6, v1
	s_waitcnt_depctr 0xfff
	v_fma_f32 v7, -v1, v6, 1.0
	v_fmac_f32_e32 v6, v7, v6
	s_delay_alu instid0(VALU_DEP_1) | instskip(NEXT) | instid1(VALU_DEP_1)
	v_mul_f32_e32 v7, v10, v6
	v_fma_f32 v11, -v1, v7, v10
	s_delay_alu instid0(VALU_DEP_1) | instskip(NEXT) | instid1(VALU_DEP_1)
	v_fmac_f32_e32 v7, v11, v6
	v_fma_f32 v1, -v1, v7, v10
	s_delay_alu instid0(VALU_DEP_1) | instskip(NEXT) | instid1(VALU_DEP_1)
	v_div_fmas_f32 v1, v1, v6, v7
	v_div_fixup_f32 v1, v1, v8, v9
	s_delay_alu instid0(VALU_DEP_1) | instskip(NEXT) | instid1(VALU_DEP_1)
	v_fmac_f32_e32 v8, v9, v1
	v_div_scale_f32 v6, null, v8, v8, 1.0
	v_div_scale_f32 v10, vcc_lo, 1.0, v8, 1.0
	s_delay_alu instid0(VALU_DEP_2) | instskip(SKIP_2) | instid1(VALU_DEP_1)
	v_rcp_f32_e32 v7, v6
	s_waitcnt_depctr 0xfff
	v_fma_f32 v9, -v6, v7, 1.0
	v_fmac_f32_e32 v7, v9, v7
	s_delay_alu instid0(VALU_DEP_1) | instskip(NEXT) | instid1(VALU_DEP_1)
	v_mul_f32_e32 v9, v10, v7
	v_fma_f32 v11, -v6, v9, v10
	s_delay_alu instid0(VALU_DEP_1) | instskip(NEXT) | instid1(VALU_DEP_1)
	v_fmac_f32_e32 v9, v11, v7
	v_fma_f32 v6, -v6, v9, v10
	s_delay_alu instid0(VALU_DEP_1) | instskip(SKIP_2) | instid1(VALU_DEP_3)
	v_div_fmas_f32 v6, v6, v7, v9
	v_add_f32_e32 v7, 0, v1
	v_fma_f32 v1, v1, 0, -1.0
	v_div_fixup_f32 v8, v6, v8, 1.0
	s_delay_alu instid0(VALU_DEP_1) | instskip(NEXT) | instid1(VALU_DEP_3)
	v_mul_f32_e32 v6, v7, v8
	v_mul_f32_e32 v7, v1, v8
.LBB179_39:
	s_or_b32 exec_lo, exec_lo, s0
	v_lshrrev_b32_e32 v1, 16, v2
	v_cmp_neq_f16_e32 vcc_lo, 0, v2
	v_mov_b32_e32 v10, 0
	s_delay_alu instid0(VALU_DEP_3) | instskip(SKIP_1) | instid1(VALU_DEP_2)
	v_cmp_neq_f16_e64 s0, 0, v1
	v_cvt_f32_f16_e32 v1, v1
	s_or_b32 s0, vcc_lo, s0
	s_delay_alu instid0(SALU_CYCLE_1)
	s_and_saveexec_b32 s9, s0
	s_cbranch_execz .LBB179_69
; %bb.40:
	v_mov_b32_e32 v10, 0x7f800000
	s_mov_b32 s11, exec_lo
	v_cmpx_neq_f32_e64 0x7f800000, |v1|
	s_cbranch_execz .LBB179_68
; %bb.41:
	v_cvt_f32_f16_e32 v10, v2
	s_mov_b32 s0, exec_lo
	v_cmpx_o_f16_e32 v2, v2
	s_xor_b32 s12, exec_lo, s0
	s_cbranch_execz .LBB179_65
; %bb.42:
	s_mov_b32 s1, exec_lo
	v_cmpx_neq_f32_e64 0x7f800000, |v10|
	s_xor_b32 s13, exec_lo, s1
	s_cbranch_execz .LBB179_58
; %bb.43:
	v_max_f32_e64 v8, |v1|, |v1|
	v_max_f32_e64 v9, |v10|, |v10|
                                        ; implicit-def: $sgpr14
	s_delay_alu instid0(VALU_DEP_1) | instskip(NEXT) | instid1(VALU_DEP_1)
	v_max_f32_e32 v8, v9, v8
	v_cmp_nle_f32_e64 s0, 0x7ed413cb, v8
	s_delay_alu instid0(VALU_DEP_1) | instskip(NEXT) | instid1(SALU_CYCLE_1)
	s_and_saveexec_b32 s1, s0
	s_xor_b32 s1, exec_lo, s1
	s_cbranch_execz .LBB179_47
; %bb.44:
	v_cmp_ge_f32_e64 s14, 0x1000000, |v10|
	v_cmp_ge_f32_e64 s15, 0x1000000, |v1|
	s_delay_alu instid0(VALU_DEP_1)
	s_and_b32 s16, s14, s15
	s_mov_b32 s14, 0
	s_and_saveexec_b32 s15, s16
; %bb.45:
	v_dual_mul_f32 v10, 4.0, v10 :: v_dual_mul_f32 v1, 4.0, v1
	s_mov_b32 s14, exec_lo
; %bb.46:
	s_or_b32 exec_lo, exec_lo, s15
	s_delay_alu instid0(SALU_CYCLE_1)
	s_and_b32 s14, s14, exec_lo
.LBB179_47:
	s_and_not1_saveexec_b32 s1, s1
; %bb.48:
	v_dual_mul_f32 v10, 0x3e800000, v10 :: v_dual_mul_f32 v1, 0x3e800000, v1
	s_and_not1_b32 s14, s14, exec_lo
; %bb.49:
	s_or_b32 exec_lo, exec_lo, s1
	s_delay_alu instid0(VALU_DEP_1) | instskip(NEXT) | instid1(VALU_DEP_2)
	v_max_f32_e64 v8, |v1|, |v1|
	v_max_f32_e64 v9, |v10|, |v10|
	s_delay_alu instid0(VALU_DEP_1) | instskip(NEXT) | instid1(VALU_DEP_1)
	v_max_f32_e32 v11, v9, v8
	v_cvt_f64_f32_e32 v[8:9], v11
	v_cmp_neq_f32_e64 s1, 0x7f800000, v11
	s_delay_alu instid0(VALU_DEP_2) | instskip(NEXT) | instid1(VALU_DEP_1)
	v_frexp_exp_i32_f64_e32 v8, v[8:9]
	v_sub_nc_u32_e32 v9, 0, v8
	s_delay_alu instid0(VALU_DEP_1) | instskip(SKIP_1) | instid1(VALU_DEP_2)
	v_ldexp_f32 v12, |v1|, v9
	v_ldexp_f32 v9, |v10|, v9
	v_mul_f32_e32 v12, v12, v12
	s_delay_alu instid0(VALU_DEP_1) | instskip(NEXT) | instid1(VALU_DEP_1)
	v_fmac_f32_e32 v12, v9, v9
	v_sqrt_f32_e32 v9, v12
	s_waitcnt_depctr 0xfff
	v_ldexp_f32 v8, v9, v8
                                        ; implicit-def: $vgpr9
	s_delay_alu instid0(VALU_DEP_1)
	v_cndmask_b32_e64 v11, 0x7f800000, v8, s1
                                        ; implicit-def: $vgpr8
	s_mov_b32 s1, exec_lo
	v_cmpx_le_f32_e32 0, v10
	s_xor_b32 s15, exec_lo, s1
	s_cbranch_execz .LBB179_51
; %bb.50:
	v_add_f32_e32 v8, v10, v11
	s_delay_alu instid0(VALU_DEP_1) | instskip(NEXT) | instid1(VALU_DEP_1)
	v_mul_f32_e32 v8, 0.5, v8
	v_mul_f32_e32 v9, 0x4f800000, v8
	v_cmp_gt_f32_e32 vcc_lo, 0xf800000, v8
	s_delay_alu instid0(VALU_DEP_2) | instskip(NEXT) | instid1(VALU_DEP_1)
	v_cndmask_b32_e32 v8, v8, v9, vcc_lo
	v_sqrt_f32_e32 v9, v8
	s_waitcnt_depctr 0xfff
	v_add_nc_u32_e32 v10, -1, v9
	v_add_nc_u32_e32 v11, 1, v9
	s_delay_alu instid0(VALU_DEP_2) | instskip(NEXT) | instid1(VALU_DEP_2)
	v_fma_f32 v12, -v10, v9, v8
	v_fma_f32 v13, -v11, v9, v8
	s_delay_alu instid0(VALU_DEP_2) | instskip(NEXT) | instid1(VALU_DEP_1)
	v_cmp_ge_f32_e64 s1, 0, v12
	v_cndmask_b32_e64 v9, v9, v10, s1
	s_delay_alu instid0(VALU_DEP_3) | instskip(NEXT) | instid1(VALU_DEP_1)
	v_cmp_lt_f32_e64 s1, 0, v13
	v_cndmask_b32_e64 v9, v9, v11, s1
	s_delay_alu instid0(VALU_DEP_1) | instskip(NEXT) | instid1(VALU_DEP_1)
	v_mul_f32_e32 v10, 0x37800000, v9
	v_cndmask_b32_e32 v9, v9, v10, vcc_lo
	v_cmp_class_f32_e64 vcc_lo, v8, 0x260
	s_delay_alu instid0(VALU_DEP_2) | instskip(NEXT) | instid1(VALU_DEP_1)
	v_cndmask_b32_e32 v8, v9, v8, vcc_lo
	v_add_f32_e32 v9, v8, v8
	s_delay_alu instid0(VALU_DEP_1) | instskip(NEXT) | instid1(VALU_DEP_1)
	v_div_scale_f32 v10, null, v9, v9, v1
	v_rcp_f32_e32 v11, v10
	s_waitcnt_depctr 0xfff
	v_fma_f32 v12, -v10, v11, 1.0
	s_delay_alu instid0(VALU_DEP_1) | instskip(SKIP_1) | instid1(VALU_DEP_1)
	v_fmac_f32_e32 v11, v12, v11
	v_div_scale_f32 v12, vcc_lo, v1, v9, v1
	v_mul_f32_e32 v13, v12, v11
	s_delay_alu instid0(VALU_DEP_1) | instskip(NEXT) | instid1(VALU_DEP_1)
	v_fma_f32 v14, -v10, v13, v12
	v_fmac_f32_e32 v13, v14, v11
	s_delay_alu instid0(VALU_DEP_1) | instskip(NEXT) | instid1(VALU_DEP_1)
	v_fma_f32 v10, -v10, v13, v12
	v_div_fmas_f32 v10, v10, v11, v13
                                        ; implicit-def: $vgpr11
	s_delay_alu instid0(VALU_DEP_1)
	v_div_fixup_f32 v9, v10, v9, v1
                                        ; implicit-def: $vgpr10
                                        ; implicit-def: $vgpr1
	s_and_not1_saveexec_b32 s15, s15
	s_cbranch_execz .LBB179_53
	s_branch .LBB179_52
.LBB179_51:
	s_and_not1_saveexec_b32 s15, s15
	s_cbranch_execz .LBB179_53
.LBB179_52:
	v_sub_f32_e32 v8, v11, v10
	s_delay_alu instid0(VALU_DEP_1) | instskip(NEXT) | instid1(VALU_DEP_1)
	v_mul_f32_e32 v8, 0.5, v8
	v_mul_f32_e32 v9, 0x4f800000, v8
	v_cmp_gt_f32_e32 vcc_lo, 0xf800000, v8
	s_delay_alu instid0(VALU_DEP_2) | instskip(NEXT) | instid1(VALU_DEP_1)
	v_cndmask_b32_e32 v8, v8, v9, vcc_lo
	v_sqrt_f32_e32 v9, v8
	s_waitcnt_depctr 0xfff
	v_add_nc_u32_e32 v10, -1, v9
	v_add_nc_u32_e32 v11, 1, v9
	s_delay_alu instid0(VALU_DEP_2) | instskip(NEXT) | instid1(VALU_DEP_2)
	v_fma_f32 v12, -v10, v9, v8
	v_fma_f32 v13, -v11, v9, v8
	s_delay_alu instid0(VALU_DEP_2) | instskip(NEXT) | instid1(VALU_DEP_1)
	v_cmp_ge_f32_e64 s1, 0, v12
	v_cndmask_b32_e64 v9, v9, v10, s1
	s_delay_alu instid0(VALU_DEP_3) | instskip(NEXT) | instid1(VALU_DEP_1)
	v_cmp_lt_f32_e64 s1, 0, v13
	v_cndmask_b32_e64 v9, v9, v11, s1
	s_delay_alu instid0(VALU_DEP_1) | instskip(NEXT) | instid1(VALU_DEP_1)
	v_mul_f32_e32 v10, 0x37800000, v9
	v_cndmask_b32_e32 v9, v9, v10, vcc_lo
	v_cmp_class_f32_e64 vcc_lo, v8, 0x260
	s_delay_alu instid0(VALU_DEP_2) | instskip(NEXT) | instid1(VALU_DEP_1)
	v_dual_cndmask_b32 v9, v9, v8 :: v_dual_and_b32 v8, 0x7fffffff, v1
	v_add_f32_e32 v10, v9, v9
	v_bfi_b32 v9, 0x7fffffff, v9, v1
	s_delay_alu instid0(VALU_DEP_2) | instskip(SKIP_1) | instid1(VALU_DEP_2)
	v_div_scale_f32 v11, null, v10, v10, v8
	v_div_scale_f32 v8, vcc_lo, v8, v10, v8
	v_rcp_f32_e32 v12, v11
	s_waitcnt_depctr 0xfff
	v_fma_f32 v13, -v11, v12, 1.0
	s_delay_alu instid0(VALU_DEP_1) | instskip(NEXT) | instid1(VALU_DEP_1)
	v_fmac_f32_e32 v12, v13, v12
	v_mul_f32_e32 v13, v8, v12
	s_delay_alu instid0(VALU_DEP_1) | instskip(NEXT) | instid1(VALU_DEP_1)
	v_fma_f32 v14, -v11, v13, v8
	v_fmac_f32_e32 v13, v14, v12
	s_delay_alu instid0(VALU_DEP_1) | instskip(NEXT) | instid1(VALU_DEP_1)
	v_fma_f32 v8, -v11, v13, v8
	v_div_fmas_f32 v8, v8, v12, v13
	s_delay_alu instid0(VALU_DEP_1)
	v_div_fixup_f32 v8, v8, v10, |v1|
.LBB179_53:
	s_or_b32 exec_lo, exec_lo, s15
                                        ; implicit-def: $vgpr1
                                        ; implicit-def: $vgpr10
	s_and_saveexec_b32 s1, s0
	s_delay_alu instid0(SALU_CYCLE_1)
	s_xor_b32 s0, exec_lo, s1
	s_cbranch_execz .LBB179_55
; %bb.54:
	v_mul_f32_e32 v1, 0.5, v8
	v_mul_f32_e32 v11, 0.5, v9
	s_delay_alu instid0(VALU_DEP_2) | instskip(NEXT) | instid1(VALU_DEP_2)
	v_cndmask_b32_e64 v10, v8, v1, s14
	v_cndmask_b32_e64 v1, v9, v11, s14
                                        ; implicit-def: $vgpr8
                                        ; implicit-def: $vgpr9
	s_and_not1_saveexec_b32 s0, s0
	s_cbranch_execnz .LBB179_56
	s_branch .LBB179_57
.LBB179_55:
	s_and_not1_saveexec_b32 s0, s0
.LBB179_56:
	v_dual_add_f32 v10, v8, v8 :: v_dual_add_f32 v1, v9, v9
.LBB179_57:
	s_or_b32 exec_lo, exec_lo, s0
.LBB179_58:
	s_and_not1_saveexec_b32 s0, s13
	s_cbranch_execz .LBB179_64
; %bb.59:
	v_cmp_lt_i16_e32 vcc_lo, -1, v2
	v_sub_f32_e32 v2, v1, v1
	s_and_saveexec_b32 s1, vcc_lo
	s_delay_alu instid0(SALU_CYCLE_1)
	s_xor_b32 s1, exec_lo, s1
; %bb.60:
	s_delay_alu instid0(VALU_DEP_1)
	v_bfi_b32 v1, 0x7fffffff, v2, v1
                                        ; implicit-def: $vgpr2
; %bb.61:
	s_and_not1_saveexec_b32 s1, s1
; %bb.62:
	v_and_b32_e32 v2, 0x7fffffff, v2
	s_delay_alu instid0(VALU_DEP_2) | instskip(NEXT) | instid1(VALU_DEP_2)
	v_bfi_b32 v1, 0x7fffffff, v10, v1
	v_mov_b32_e32 v10, v2
; %bb.63:
	s_or_b32 exec_lo, exec_lo, s1
.LBB179_64:
	s_delay_alu instid0(SALU_CYCLE_1)
	s_or_b32 exec_lo, exec_lo, s0
.LBB179_65:
	s_and_not1_saveexec_b32 s0, s12
; %bb.66:
	v_sub_f32_e32 v1, v1, v1
	s_delay_alu instid0(VALU_DEP_1) | instskip(NEXT) | instid1(VALU_DEP_1)
	v_div_scale_f32 v2, vcc_lo, v1, v1, v1
	v_rcp_f32_e32 v8, v2
	s_waitcnt_depctr 0xfff
	v_fma_f32 v9, -v2, v8, 1.0
	s_delay_alu instid0(VALU_DEP_1) | instskip(NEXT) | instid1(VALU_DEP_1)
	v_fmac_f32_e32 v8, v9, v8
	v_mul_f32_e32 v9, v2, v8
	s_delay_alu instid0(VALU_DEP_1) | instskip(NEXT) | instid1(VALU_DEP_1)
	v_fma_f32 v11, -v2, v9, v2
	v_fmac_f32_e32 v9, v11, v8
	s_delay_alu instid0(VALU_DEP_1) | instskip(NEXT) | instid1(VALU_DEP_1)
	v_fma_f32 v2, -v2, v9, v2
	v_div_fmas_f32 v2, v2, v8, v9
	s_delay_alu instid0(VALU_DEP_1)
	v_div_fixup_f32 v1, v2, v1, v1
; %bb.67:
	s_or_b32 exec_lo, exec_lo, s0
.LBB179_68:
	s_delay_alu instid0(SALU_CYCLE_1)
	s_or_b32 exec_lo, exec_lo, s11
.LBB179_69:
	s_delay_alu instid0(SALU_CYCLE_1)
	s_or_b32 exec_lo, exec_lo, s9
	v_cmp_gt_f32_e32 vcc_lo, 0, v10
                                        ; implicit-def: $vgpr9
                                        ; implicit-def: $vgpr8
	s_mov_b32 s0, exec_lo
	v_cndmask_b32_e64 v2, v10, -v10, vcc_lo
	v_cmp_gt_f32_e32 vcc_lo, 0, v1
	v_cndmask_b32_e64 v11, v1, -v1, vcc_lo
	s_delay_alu instid0(VALU_DEP_1)
	v_cmpx_ge_f32_e32 v2, v11
	s_xor_b32 s1, exec_lo, s0
	s_cbranch_execz .LBB179_75
; %bb.70:
	v_cmp_neq_f32_e32 vcc_lo, 0, v10
	v_cmp_neq_f32_e64 s0, 0, v1
                                        ; implicit-def: $vgpr9
                                        ; implicit-def: $vgpr8
	s_delay_alu instid0(VALU_DEP_1) | instskip(NEXT) | instid1(SALU_CYCLE_1)
	s_or_b32 s0, vcc_lo, s0
	s_and_saveexec_b32 s9, s0
	s_delay_alu instid0(SALU_CYCLE_1)
	s_xor_b32 s0, exec_lo, s9
	s_cbranch_execz .LBB179_72
; %bb.71:
	v_div_scale_f32 v2, null, v10, v10, v1
	v_div_scale_f32 v11, vcc_lo, v1, v10, v1
	s_delay_alu instid0(VALU_DEP_2) | instskip(SKIP_2) | instid1(VALU_DEP_1)
	v_rcp_f32_e32 v8, v2
	s_waitcnt_depctr 0xfff
	v_fma_f32 v9, -v2, v8, 1.0
	v_fmac_f32_e32 v8, v9, v8
	s_delay_alu instid0(VALU_DEP_1) | instskip(NEXT) | instid1(VALU_DEP_1)
	v_mul_f32_e32 v9, v11, v8
	v_fma_f32 v12, -v2, v9, v11
	s_delay_alu instid0(VALU_DEP_1) | instskip(NEXT) | instid1(VALU_DEP_1)
	v_fmac_f32_e32 v9, v12, v8
	v_fma_f32 v2, -v2, v9, v11
	s_delay_alu instid0(VALU_DEP_1) | instskip(NEXT) | instid1(VALU_DEP_1)
	v_div_fmas_f32 v2, v2, v8, v9
	v_div_fixup_f32 v2, v2, v10, v1
	s_delay_alu instid0(VALU_DEP_1) | instskip(NEXT) | instid1(VALU_DEP_1)
	v_fmac_f32_e32 v10, v1, v2
	v_div_scale_f32 v1, null, v10, v10, 1.0
	v_div_scale_f32 v11, vcc_lo, 1.0, v10, 1.0
	s_delay_alu instid0(VALU_DEP_2) | instskip(SKIP_2) | instid1(VALU_DEP_1)
	v_rcp_f32_e32 v8, v1
	s_waitcnt_depctr 0xfff
	v_fma_f32 v9, -v1, v8, 1.0
	v_fmac_f32_e32 v8, v9, v8
	s_delay_alu instid0(VALU_DEP_1) | instskip(NEXT) | instid1(VALU_DEP_1)
	v_mul_f32_e32 v9, v11, v8
	v_fma_f32 v12, -v1, v9, v11
	s_delay_alu instid0(VALU_DEP_1) | instskip(NEXT) | instid1(VALU_DEP_1)
	v_fmac_f32_e32 v9, v12, v8
	v_fma_f32 v1, -v1, v9, v11
                                        ; implicit-def: $vgpr11
	s_delay_alu instid0(VALU_DEP_1) | instskip(SKIP_1) | instid1(VALU_DEP_2)
	v_div_fmas_f32 v1, v1, v8, v9
	v_fma_f32 v8, v2, 0, 1.0
	v_div_fixup_f32 v1, v1, v10, 1.0
	s_delay_alu instid0(VALU_DEP_1)
	v_mul_f32_e32 v8, v8, v1
	v_mul_f32_e64 v9, -v2, v1
                                        ; implicit-def: $vgpr2
.LBB179_72:
	s_and_not1_saveexec_b32 s9, s0
	s_cbranch_execz .LBB179_74
; %bb.73:
	v_div_scale_f32 v1, null, v2, v2, 1.0
	v_div_scale_f32 v8, null, v11, v11, 0
	v_div_scale_f32 v14, vcc_lo, 1.0, v2, 1.0
	s_delay_alu instid0(VALU_DEP_3) | instskip(NEXT) | instid1(VALU_DEP_2)
	v_rcp_f32_e32 v9, v1
	v_rcp_f32_e32 v10, v8
	s_waitcnt_depctr 0xfff
	v_fma_f32 v12, -v1, v9, 1.0
	v_fma_f32 v13, -v8, v10, 1.0
	s_delay_alu instid0(VALU_DEP_1) | instskip(SKIP_1) | instid1(VALU_DEP_2)
	v_dual_fmac_f32 v9, v12, v9 :: v_dual_fmac_f32 v10, v13, v10
	v_div_scale_f32 v12, s0, 0, v11, 0
	v_mul_f32_e32 v13, v14, v9
	s_delay_alu instid0(VALU_DEP_2) | instskip(NEXT) | instid1(VALU_DEP_2)
	v_mul_f32_e32 v15, v12, v10
	v_fma_f32 v16, -v1, v13, v14
	s_delay_alu instid0(VALU_DEP_2) | instskip(NEXT) | instid1(VALU_DEP_2)
	v_fma_f32 v17, -v8, v15, v12
	v_fmac_f32_e32 v13, v16, v9
	s_delay_alu instid0(VALU_DEP_2) | instskip(NEXT) | instid1(VALU_DEP_2)
	v_fmac_f32_e32 v15, v17, v10
	v_fma_f32 v1, -v1, v13, v14
	s_delay_alu instid0(VALU_DEP_2) | instskip(NEXT) | instid1(VALU_DEP_2)
	v_fma_f32 v8, -v8, v15, v12
	v_div_fmas_f32 v1, v1, v9, v13
	s_mov_b32 vcc_lo, s0
	s_delay_alu instid0(VALU_DEP_2) | instskip(NEXT) | instid1(VALU_DEP_2)
	v_div_fmas_f32 v9, v8, v10, v15
	v_div_fixup_f32 v8, v1, v2, 1.0
	s_delay_alu instid0(VALU_DEP_2)
	v_div_fixup_f32 v9, v9, v11, 0
.LBB179_74:
	s_or_b32 exec_lo, exec_lo, s9
                                        ; implicit-def: $vgpr1
                                        ; implicit-def: $vgpr10
.LBB179_75:
	s_and_not1_saveexec_b32 s0, s1
	s_cbranch_execz .LBB179_77
; %bb.76:
	v_div_scale_f32 v2, null, v1, v1, v10
	v_div_scale_f32 v11, vcc_lo, v10, v1, v10
	s_delay_alu instid0(VALU_DEP_2) | instskip(SKIP_2) | instid1(VALU_DEP_1)
	v_rcp_f32_e32 v8, v2
	s_waitcnt_depctr 0xfff
	v_fma_f32 v9, -v2, v8, 1.0
	v_fmac_f32_e32 v8, v9, v8
	s_delay_alu instid0(VALU_DEP_1) | instskip(NEXT) | instid1(VALU_DEP_1)
	v_mul_f32_e32 v9, v11, v8
	v_fma_f32 v12, -v2, v9, v11
	s_delay_alu instid0(VALU_DEP_1) | instskip(NEXT) | instid1(VALU_DEP_1)
	v_fmac_f32_e32 v9, v12, v8
	v_fma_f32 v2, -v2, v9, v11
	s_delay_alu instid0(VALU_DEP_1) | instskip(NEXT) | instid1(VALU_DEP_1)
	v_div_fmas_f32 v2, v2, v8, v9
	v_div_fixup_f32 v2, v2, v1, v10
	s_delay_alu instid0(VALU_DEP_1) | instskip(NEXT) | instid1(VALU_DEP_1)
	v_fmac_f32_e32 v1, v10, v2
	v_div_scale_f32 v8, null, v1, v1, 1.0
	v_div_scale_f32 v11, vcc_lo, 1.0, v1, 1.0
	s_delay_alu instid0(VALU_DEP_2) | instskip(SKIP_2) | instid1(VALU_DEP_1)
	v_rcp_f32_e32 v9, v8
	s_waitcnt_depctr 0xfff
	v_fma_f32 v10, -v8, v9, 1.0
	v_fmac_f32_e32 v9, v10, v9
	s_delay_alu instid0(VALU_DEP_1) | instskip(NEXT) | instid1(VALU_DEP_1)
	v_mul_f32_e32 v10, v11, v9
	v_fma_f32 v12, -v8, v10, v11
	s_delay_alu instid0(VALU_DEP_1) | instskip(NEXT) | instid1(VALU_DEP_1)
	v_fmac_f32_e32 v10, v12, v9
	v_fma_f32 v8, -v8, v10, v11
	s_delay_alu instid0(VALU_DEP_1) | instskip(SKIP_2) | instid1(VALU_DEP_3)
	v_div_fmas_f32 v8, v8, v9, v10
	v_add_f32_e32 v9, 0, v2
	v_fma_f32 v2, v2, 0, -1.0
	v_div_fixup_f32 v1, v8, v1, 1.0
	s_delay_alu instid0(VALU_DEP_1) | instskip(NEXT) | instid1(VALU_DEP_3)
	v_mul_f32_e32 v8, v9, v1
	v_mul_f32_e32 v9, v2, v1
.LBB179_77:
	s_or_b32 exec_lo, exec_lo, s0
	v_lshrrev_b32_e32 v1, 16, v3
	v_cmp_neq_f16_e32 vcc_lo, 0, v3
	v_mov_b32_e32 v2, 0
	s_delay_alu instid0(VALU_DEP_3) | instskip(SKIP_1) | instid1(VALU_DEP_2)
	v_cmp_neq_f16_e64 s0, 0, v1
	v_cvt_f32_f16_e32 v1, v1
	s_or_b32 s0, vcc_lo, s0
	s_delay_alu instid0(SALU_CYCLE_1)
	s_and_saveexec_b32 s9, s0
	s_cbranch_execz .LBB179_107
; %bb.78:
	v_mov_b32_e32 v2, 0x7f800000
	s_mov_b32 s11, exec_lo
	v_cmpx_neq_f32_e64 0x7f800000, |v1|
	s_cbranch_execz .LBB179_106
; %bb.79:
	v_cvt_f32_f16_e32 v2, v3
	s_mov_b32 s0, exec_lo
	v_cmpx_o_f16_e32 v3, v3
	s_xor_b32 s12, exec_lo, s0
	s_cbranch_execz .LBB179_103
; %bb.80:
	s_mov_b32 s1, exec_lo
	v_cmpx_neq_f32_e64 0x7f800000, |v2|
	s_xor_b32 s13, exec_lo, s1
	s_cbranch_execz .LBB179_96
; %bb.81:
	v_max_f32_e64 v10, |v1|, |v1|
	v_max_f32_e64 v11, |v2|, |v2|
                                        ; implicit-def: $sgpr14
	s_delay_alu instid0(VALU_DEP_1) | instskip(NEXT) | instid1(VALU_DEP_1)
	v_max_f32_e32 v10, v11, v10
	v_cmp_nle_f32_e64 s0, 0x7ed413cb, v10
	s_delay_alu instid0(VALU_DEP_1) | instskip(NEXT) | instid1(SALU_CYCLE_1)
	s_and_saveexec_b32 s1, s0
	s_xor_b32 s1, exec_lo, s1
	s_cbranch_execz .LBB179_85
; %bb.82:
	v_cmp_ge_f32_e64 s14, 0x1000000, |v2|
	v_cmp_ge_f32_e64 s15, 0x1000000, |v1|
	s_delay_alu instid0(VALU_DEP_1)
	s_and_b32 s16, s14, s15
	s_mov_b32 s14, 0
	s_and_saveexec_b32 s15, s16
; %bb.83:
	v_dual_mul_f32 v2, 4.0, v2 :: v_dual_mul_f32 v1, 4.0, v1
	s_mov_b32 s14, exec_lo
; %bb.84:
	s_or_b32 exec_lo, exec_lo, s15
	s_delay_alu instid0(SALU_CYCLE_1)
	s_and_b32 s14, s14, exec_lo
.LBB179_85:
	s_and_not1_saveexec_b32 s1, s1
; %bb.86:
	v_dual_mul_f32 v2, 0x3e800000, v2 :: v_dual_mul_f32 v1, 0x3e800000, v1
	s_and_not1_b32 s14, s14, exec_lo
; %bb.87:
	s_or_b32 exec_lo, exec_lo, s1
	s_delay_alu instid0(VALU_DEP_1) | instskip(NEXT) | instid1(VALU_DEP_2)
	v_max_f32_e64 v10, |v1|, |v1|
	v_max_f32_e64 v11, |v2|, |v2|
	s_delay_alu instid0(VALU_DEP_1) | instskip(NEXT) | instid1(VALU_DEP_1)
	v_max_f32_e32 v12, v11, v10
	v_cvt_f64_f32_e32 v[10:11], v12
	s_delay_alu instid0(VALU_DEP_1) | instskip(NEXT) | instid1(VALU_DEP_1)
	v_frexp_exp_i32_f64_e32 v10, v[10:11]
	v_sub_nc_u32_e32 v11, 0, v10
	s_delay_alu instid0(VALU_DEP_1) | instskip(SKIP_1) | instid1(VALU_DEP_2)
	v_ldexp_f32 v13, |v1|, v11
	v_ldexp_f32 v11, |v2|, v11
	v_mul_f32_e32 v13, v13, v13
	v_cmp_neq_f32_e64 s1, 0x7f800000, v12
	s_delay_alu instid0(VALU_DEP_2) | instskip(NEXT) | instid1(VALU_DEP_1)
	v_fmac_f32_e32 v13, v11, v11
	v_sqrt_f32_e32 v11, v13
	s_waitcnt_depctr 0xfff
	v_ldexp_f32 v10, v11, v10
                                        ; implicit-def: $vgpr11
	s_delay_alu instid0(VALU_DEP_1)
	v_cndmask_b32_e64 v12, 0x7f800000, v10, s1
                                        ; implicit-def: $vgpr10
	s_mov_b32 s1, exec_lo
	v_cmpx_le_f32_e32 0, v2
	s_xor_b32 s15, exec_lo, s1
	s_cbranch_execz .LBB179_89
; %bb.88:
	v_add_f32_e32 v2, v2, v12
	s_delay_alu instid0(VALU_DEP_1) | instskip(NEXT) | instid1(VALU_DEP_1)
	v_mul_f32_e32 v2, 0.5, v2
	v_mul_f32_e32 v10, 0x4f800000, v2
	v_cmp_gt_f32_e32 vcc_lo, 0xf800000, v2
	s_delay_alu instid0(VALU_DEP_2) | instskip(NEXT) | instid1(VALU_DEP_1)
	v_cndmask_b32_e32 v2, v2, v10, vcc_lo
	v_sqrt_f32_e32 v10, v2
	s_waitcnt_depctr 0xfff
	v_add_nc_u32_e32 v11, -1, v10
	v_add_nc_u32_e32 v12, 1, v10
	s_delay_alu instid0(VALU_DEP_2) | instskip(NEXT) | instid1(VALU_DEP_2)
	v_fma_f32 v13, -v11, v10, v2
	v_fma_f32 v14, -v12, v10, v2
	s_delay_alu instid0(VALU_DEP_2) | instskip(NEXT) | instid1(VALU_DEP_1)
	v_cmp_ge_f32_e64 s1, 0, v13
	v_cndmask_b32_e64 v10, v10, v11, s1
	s_delay_alu instid0(VALU_DEP_3) | instskip(NEXT) | instid1(VALU_DEP_1)
	v_cmp_lt_f32_e64 s1, 0, v14
	v_cndmask_b32_e64 v10, v10, v12, s1
	s_delay_alu instid0(VALU_DEP_1) | instskip(NEXT) | instid1(VALU_DEP_1)
	v_mul_f32_e32 v11, 0x37800000, v10
	v_cndmask_b32_e32 v10, v10, v11, vcc_lo
	v_cmp_class_f32_e64 vcc_lo, v2, 0x260
	s_delay_alu instid0(VALU_DEP_2) | instskip(NEXT) | instid1(VALU_DEP_1)
	v_cndmask_b32_e32 v10, v10, v2, vcc_lo
	v_add_f32_e32 v2, v10, v10
	s_delay_alu instid0(VALU_DEP_1) | instskip(NEXT) | instid1(VALU_DEP_1)
	v_div_scale_f32 v11, null, v2, v2, v1
	v_rcp_f32_e32 v12, v11
	s_waitcnt_depctr 0xfff
	v_fma_f32 v13, -v11, v12, 1.0
	s_delay_alu instid0(VALU_DEP_1) | instskip(SKIP_1) | instid1(VALU_DEP_1)
	v_fmac_f32_e32 v12, v13, v12
	v_div_scale_f32 v13, vcc_lo, v1, v2, v1
	v_mul_f32_e32 v14, v13, v12
	s_delay_alu instid0(VALU_DEP_1) | instskip(NEXT) | instid1(VALU_DEP_1)
	v_fma_f32 v15, -v11, v14, v13
	v_fmac_f32_e32 v14, v15, v12
	s_delay_alu instid0(VALU_DEP_1) | instskip(NEXT) | instid1(VALU_DEP_1)
	v_fma_f32 v11, -v11, v14, v13
	v_div_fmas_f32 v11, v11, v12, v14
                                        ; implicit-def: $vgpr12
	s_delay_alu instid0(VALU_DEP_1)
	v_div_fixup_f32 v11, v11, v2, v1
                                        ; implicit-def: $vgpr2
                                        ; implicit-def: $vgpr1
	s_and_not1_saveexec_b32 s15, s15
	s_cbranch_execz .LBB179_91
	s_branch .LBB179_90
.LBB179_89:
	s_and_not1_saveexec_b32 s15, s15
	s_cbranch_execz .LBB179_91
.LBB179_90:
	v_sub_f32_e32 v2, v12, v2
	s_delay_alu instid0(VALU_DEP_1) | instskip(NEXT) | instid1(VALU_DEP_1)
	v_mul_f32_e32 v2, 0.5, v2
	v_mul_f32_e32 v10, 0x4f800000, v2
	v_cmp_gt_f32_e32 vcc_lo, 0xf800000, v2
	s_delay_alu instid0(VALU_DEP_2) | instskip(NEXT) | instid1(VALU_DEP_1)
	v_cndmask_b32_e32 v2, v2, v10, vcc_lo
	v_sqrt_f32_e32 v10, v2
	s_waitcnt_depctr 0xfff
	v_add_nc_u32_e32 v11, -1, v10
	v_add_nc_u32_e32 v12, 1, v10
	s_delay_alu instid0(VALU_DEP_2) | instskip(NEXT) | instid1(VALU_DEP_2)
	v_fma_f32 v13, -v11, v10, v2
	v_fma_f32 v14, -v12, v10, v2
	s_delay_alu instid0(VALU_DEP_2) | instskip(NEXT) | instid1(VALU_DEP_1)
	v_cmp_ge_f32_e64 s1, 0, v13
	v_cndmask_b32_e64 v10, v10, v11, s1
	s_delay_alu instid0(VALU_DEP_3) | instskip(NEXT) | instid1(VALU_DEP_1)
	v_cmp_lt_f32_e64 s1, 0, v14
	v_cndmask_b32_e64 v10, v10, v12, s1
	s_delay_alu instid0(VALU_DEP_1) | instskip(NEXT) | instid1(VALU_DEP_1)
	v_mul_f32_e32 v11, 0x37800000, v10
	v_cndmask_b32_e32 v10, v10, v11, vcc_lo
	v_cmp_class_f32_e64 vcc_lo, v2, 0x260
	s_delay_alu instid0(VALU_DEP_2) | instskip(NEXT) | instid1(VALU_DEP_1)
	v_cndmask_b32_e32 v2, v10, v2, vcc_lo
	v_dual_add_f32 v11, v2, v2 :: v_dual_and_b32 v10, 0x7fffffff, v1
	s_delay_alu instid0(VALU_DEP_1) | instskip(SKIP_1) | instid1(VALU_DEP_2)
	v_div_scale_f32 v12, null, v11, v11, v10
	v_div_scale_f32 v10, vcc_lo, v10, v11, v10
	v_rcp_f32_e32 v13, v12
	s_waitcnt_depctr 0xfff
	v_fma_f32 v14, -v12, v13, 1.0
	s_delay_alu instid0(VALU_DEP_1) | instskip(NEXT) | instid1(VALU_DEP_1)
	v_fmac_f32_e32 v13, v14, v13
	v_mul_f32_e32 v14, v10, v13
	s_delay_alu instid0(VALU_DEP_1) | instskip(NEXT) | instid1(VALU_DEP_1)
	v_fma_f32 v15, -v12, v14, v10
	v_fmac_f32_e32 v14, v15, v13
	s_delay_alu instid0(VALU_DEP_1) | instskip(NEXT) | instid1(VALU_DEP_1)
	v_fma_f32 v10, -v12, v14, v10
	v_div_fmas_f32 v10, v10, v13, v14
	s_delay_alu instid0(VALU_DEP_1)
	v_div_fixup_f32 v10, v10, v11, |v1|
	v_bfi_b32 v11, 0x7fffffff, v2, v1
.LBB179_91:
	s_or_b32 exec_lo, exec_lo, s15
                                        ; implicit-def: $vgpr1
                                        ; implicit-def: $vgpr2
	s_and_saveexec_b32 s1, s0
	s_delay_alu instid0(SALU_CYCLE_1)
	s_xor_b32 s0, exec_lo, s1
	s_cbranch_execz .LBB179_93
; %bb.92:
	v_dual_mul_f32 v1, 0.5, v10 :: v_dual_mul_f32 v12, 0.5, v11
	s_delay_alu instid0(VALU_DEP_1) | instskip(NEXT) | instid1(VALU_DEP_2)
	v_cndmask_b32_e64 v2, v10, v1, s14
	v_cndmask_b32_e64 v1, v11, v12, s14
                                        ; implicit-def: $vgpr10
                                        ; implicit-def: $vgpr11
	s_and_not1_saveexec_b32 s0, s0
	s_cbranch_execnz .LBB179_94
	s_branch .LBB179_95
.LBB179_93:
	s_and_not1_saveexec_b32 s0, s0
.LBB179_94:
	v_dual_add_f32 v2, v10, v10 :: v_dual_add_f32 v1, v11, v11
.LBB179_95:
	s_or_b32 exec_lo, exec_lo, s0
.LBB179_96:
	s_and_not1_saveexec_b32 s0, s13
	s_cbranch_execz .LBB179_102
; %bb.97:
	v_cmp_lt_i16_e32 vcc_lo, -1, v3
	v_sub_f32_e32 v3, v1, v1
	s_and_saveexec_b32 s1, vcc_lo
	s_delay_alu instid0(SALU_CYCLE_1)
	s_xor_b32 s1, exec_lo, s1
; %bb.98:
	s_delay_alu instid0(VALU_DEP_1)
	v_bfi_b32 v1, 0x7fffffff, v3, v1
                                        ; implicit-def: $vgpr3
; %bb.99:
	s_and_not1_saveexec_b32 s1, s1
; %bb.100:
	v_and_b32_e32 v3, 0x7fffffff, v3
	s_delay_alu instid0(VALU_DEP_2) | instskip(NEXT) | instid1(VALU_DEP_2)
	v_bfi_b32 v1, 0x7fffffff, v2, v1
	v_mov_b32_e32 v2, v3
; %bb.101:
	s_or_b32 exec_lo, exec_lo, s1
.LBB179_102:
	s_delay_alu instid0(SALU_CYCLE_1)
	s_or_b32 exec_lo, exec_lo, s0
.LBB179_103:
	s_and_not1_saveexec_b32 s0, s12
; %bb.104:
	v_sub_f32_e32 v1, v1, v1
	s_delay_alu instid0(VALU_DEP_1) | instskip(NEXT) | instid1(VALU_DEP_1)
	v_div_scale_f32 v3, vcc_lo, v1, v1, v1
	v_rcp_f32_e32 v10, v3
	s_waitcnt_depctr 0xfff
	v_fma_f32 v11, -v3, v10, 1.0
	s_delay_alu instid0(VALU_DEP_1) | instskip(NEXT) | instid1(VALU_DEP_1)
	v_fmac_f32_e32 v10, v11, v10
	v_mul_f32_e32 v11, v3, v10
	s_delay_alu instid0(VALU_DEP_1) | instskip(NEXT) | instid1(VALU_DEP_1)
	v_fma_f32 v12, -v3, v11, v3
	v_fmac_f32_e32 v11, v12, v10
	s_delay_alu instid0(VALU_DEP_1) | instskip(NEXT) | instid1(VALU_DEP_1)
	v_fma_f32 v3, -v3, v11, v3
	v_div_fmas_f32 v3, v3, v10, v11
	s_delay_alu instid0(VALU_DEP_1)
	v_div_fixup_f32 v1, v3, v1, v1
; %bb.105:
	s_or_b32 exec_lo, exec_lo, s0
.LBB179_106:
	s_delay_alu instid0(SALU_CYCLE_1)
	s_or_b32 exec_lo, exec_lo, s11
.LBB179_107:
	s_delay_alu instid0(SALU_CYCLE_1)
	s_or_b32 exec_lo, exec_lo, s9
	v_cmp_gt_f32_e32 vcc_lo, 0, v2
                                        ; implicit-def: $vgpr11
                                        ; implicit-def: $vgpr10
	s_mov_b32 s0, exec_lo
	v_cndmask_b32_e64 v3, v2, -v2, vcc_lo
	v_cmp_gt_f32_e32 vcc_lo, 0, v1
	v_cndmask_b32_e64 v12, v1, -v1, vcc_lo
	s_delay_alu instid0(VALU_DEP_1)
	v_cmpx_ge_f32_e32 v3, v12
	s_xor_b32 s1, exec_lo, s0
	s_cbranch_execz .LBB179_113
; %bb.108:
	v_cmp_neq_f32_e32 vcc_lo, 0, v2
	v_cmp_neq_f32_e64 s0, 0, v1
                                        ; implicit-def: $vgpr11
                                        ; implicit-def: $vgpr10
	s_delay_alu instid0(VALU_DEP_1) | instskip(NEXT) | instid1(SALU_CYCLE_1)
	s_or_b32 s0, vcc_lo, s0
	s_and_saveexec_b32 s9, s0
	s_delay_alu instid0(SALU_CYCLE_1)
	s_xor_b32 s0, exec_lo, s9
	s_cbranch_execz .LBB179_110
; %bb.109:
	v_div_scale_f32 v3, null, v2, v2, v1
	v_div_scale_f32 v12, vcc_lo, v1, v2, v1
	s_delay_alu instid0(VALU_DEP_2) | instskip(SKIP_2) | instid1(VALU_DEP_1)
	v_rcp_f32_e32 v10, v3
	s_waitcnt_depctr 0xfff
	v_fma_f32 v11, -v3, v10, 1.0
	v_fmac_f32_e32 v10, v11, v10
	s_delay_alu instid0(VALU_DEP_1) | instskip(NEXT) | instid1(VALU_DEP_1)
	v_mul_f32_e32 v11, v12, v10
	v_fma_f32 v13, -v3, v11, v12
	s_delay_alu instid0(VALU_DEP_1) | instskip(NEXT) | instid1(VALU_DEP_1)
	v_fmac_f32_e32 v11, v13, v10
	v_fma_f32 v3, -v3, v11, v12
	s_delay_alu instid0(VALU_DEP_1) | instskip(NEXT) | instid1(VALU_DEP_1)
	v_div_fmas_f32 v3, v3, v10, v11
	v_div_fixup_f32 v3, v3, v2, v1
	s_delay_alu instid0(VALU_DEP_1) | instskip(NEXT) | instid1(VALU_DEP_1)
	v_fmac_f32_e32 v2, v1, v3
	v_div_scale_f32 v1, null, v2, v2, 1.0
	v_div_scale_f32 v12, vcc_lo, 1.0, v2, 1.0
	s_delay_alu instid0(VALU_DEP_2) | instskip(SKIP_2) | instid1(VALU_DEP_1)
	v_rcp_f32_e32 v10, v1
	s_waitcnt_depctr 0xfff
	v_fma_f32 v11, -v1, v10, 1.0
	v_fmac_f32_e32 v10, v11, v10
	s_delay_alu instid0(VALU_DEP_1) | instskip(NEXT) | instid1(VALU_DEP_1)
	v_mul_f32_e32 v11, v12, v10
	v_fma_f32 v13, -v1, v11, v12
	s_delay_alu instid0(VALU_DEP_1) | instskip(NEXT) | instid1(VALU_DEP_1)
	v_fmac_f32_e32 v11, v13, v10
	v_fma_f32 v1, -v1, v11, v12
                                        ; implicit-def: $vgpr12
	s_delay_alu instid0(VALU_DEP_1) | instskip(SKIP_1) | instid1(VALU_DEP_2)
	v_div_fmas_f32 v1, v1, v10, v11
	v_fma_f32 v10, v3, 0, 1.0
	v_div_fixup_f32 v1, v1, v2, 1.0
	s_delay_alu instid0(VALU_DEP_1)
	v_mul_f32_e32 v10, v10, v1
	v_mul_f32_e64 v11, -v3, v1
                                        ; implicit-def: $vgpr3
.LBB179_110:
	s_and_not1_saveexec_b32 s9, s0
	s_cbranch_execz .LBB179_112
; %bb.111:
	v_div_scale_f32 v1, null, v3, v3, 1.0
	v_div_scale_f32 v2, null, v12, v12, 0
	v_div_scale_f32 v15, vcc_lo, 1.0, v3, 1.0
	s_delay_alu instid0(VALU_DEP_3) | instskip(NEXT) | instid1(VALU_DEP_2)
	v_rcp_f32_e32 v10, v1
	v_rcp_f32_e32 v11, v2
	s_waitcnt_depctr 0xfff
	v_fma_f32 v13, -v1, v10, 1.0
	v_fma_f32 v14, -v2, v11, 1.0
	s_delay_alu instid0(VALU_DEP_1) | instskip(SKIP_1) | instid1(VALU_DEP_2)
	v_dual_fmac_f32 v10, v13, v10 :: v_dual_fmac_f32 v11, v14, v11
	v_div_scale_f32 v13, s0, 0, v12, 0
	v_mul_f32_e32 v14, v15, v10
	s_delay_alu instid0(VALU_DEP_2) | instskip(NEXT) | instid1(VALU_DEP_2)
	v_mul_f32_e32 v16, v13, v11
	v_fma_f32 v17, -v1, v14, v15
	s_delay_alu instid0(VALU_DEP_2) | instskip(NEXT) | instid1(VALU_DEP_2)
	v_fma_f32 v18, -v2, v16, v13
	v_fmac_f32_e32 v14, v17, v10
	s_delay_alu instid0(VALU_DEP_2) | instskip(NEXT) | instid1(VALU_DEP_2)
	v_fmac_f32_e32 v16, v18, v11
	v_fma_f32 v1, -v1, v14, v15
	s_delay_alu instid0(VALU_DEP_2) | instskip(NEXT) | instid1(VALU_DEP_2)
	v_fma_f32 v2, -v2, v16, v13
	v_div_fmas_f32 v1, v1, v10, v14
	s_mov_b32 vcc_lo, s0
	s_delay_alu instid0(VALU_DEP_2) | instskip(NEXT) | instid1(VALU_DEP_2)
	v_div_fmas_f32 v2, v2, v11, v16
	v_div_fixup_f32 v10, v1, v3, 1.0
	s_delay_alu instid0(VALU_DEP_2)
	v_div_fixup_f32 v11, v2, v12, 0
.LBB179_112:
	s_or_b32 exec_lo, exec_lo, s9
                                        ; implicit-def: $vgpr1
                                        ; implicit-def: $vgpr2
.LBB179_113:
	s_and_not1_saveexec_b32 s0, s1
	s_cbranch_execz .LBB179_115
; %bb.114:
	v_div_scale_f32 v3, null, v1, v1, v2
	v_div_scale_f32 v12, vcc_lo, v2, v1, v2
	s_delay_alu instid0(VALU_DEP_2) | instskip(SKIP_2) | instid1(VALU_DEP_1)
	v_rcp_f32_e32 v10, v3
	s_waitcnt_depctr 0xfff
	v_fma_f32 v11, -v3, v10, 1.0
	v_fmac_f32_e32 v10, v11, v10
	s_delay_alu instid0(VALU_DEP_1) | instskip(NEXT) | instid1(VALU_DEP_1)
	v_mul_f32_e32 v11, v12, v10
	v_fma_f32 v13, -v3, v11, v12
	s_delay_alu instid0(VALU_DEP_1) | instskip(NEXT) | instid1(VALU_DEP_1)
	v_fmac_f32_e32 v11, v13, v10
	v_fma_f32 v3, -v3, v11, v12
	s_delay_alu instid0(VALU_DEP_1) | instskip(NEXT) | instid1(VALU_DEP_1)
	v_div_fmas_f32 v3, v3, v10, v11
	v_div_fixup_f32 v3, v3, v1, v2
	s_delay_alu instid0(VALU_DEP_1) | instskip(NEXT) | instid1(VALU_DEP_1)
	v_fmac_f32_e32 v1, v2, v3
	v_div_scale_f32 v2, null, v1, v1, 1.0
	v_div_scale_f32 v12, vcc_lo, 1.0, v1, 1.0
	s_delay_alu instid0(VALU_DEP_2) | instskip(SKIP_2) | instid1(VALU_DEP_1)
	v_rcp_f32_e32 v10, v2
	s_waitcnt_depctr 0xfff
	v_fma_f32 v11, -v2, v10, 1.0
	v_fmac_f32_e32 v10, v11, v10
	s_delay_alu instid0(VALU_DEP_1) | instskip(NEXT) | instid1(VALU_DEP_1)
	v_mul_f32_e32 v11, v12, v10
	v_fma_f32 v13, -v2, v11, v12
	s_delay_alu instid0(VALU_DEP_1) | instskip(NEXT) | instid1(VALU_DEP_1)
	v_fmac_f32_e32 v11, v13, v10
	v_fma_f32 v2, -v2, v11, v12
	s_delay_alu instid0(VALU_DEP_1) | instskip(SKIP_1) | instid1(VALU_DEP_2)
	v_div_fmas_f32 v2, v2, v10, v11
	v_add_f32_e32 v10, 0, v3
	v_div_fixup_f32 v1, v2, v1, 1.0
	v_fma_f32 v2, v3, 0, -1.0
	s_delay_alu instid0(VALU_DEP_2) | instskip(NEXT) | instid1(VALU_DEP_2)
	v_mul_f32_e32 v10, v10, v1
	v_mul_f32_e32 v11, v2, v1
.LBB179_115:
	s_or_b32 exec_lo, exec_lo, s0
	v_lshrrev_b32_e32 v1, 16, v4
	v_cmp_neq_f16_e32 vcc_lo, 0, v4
	v_mov_b32_e32 v13, 0
	s_delay_alu instid0(VALU_DEP_3) | instskip(SKIP_1) | instid1(VALU_DEP_2)
	v_cmp_neq_f16_e64 s0, 0, v1
	v_cvt_f32_f16_e32 v12, v1
	s_or_b32 s0, vcc_lo, s0
	s_delay_alu instid0(SALU_CYCLE_1)
	s_and_saveexec_b32 s9, s0
	s_cbranch_execz .LBB179_145
; %bb.116:
	v_mov_b32_e32 v13, 0x7f800000
	s_mov_b32 s11, exec_lo
	v_cmpx_neq_f32_e64 0x7f800000, |v12|
	s_cbranch_execz .LBB179_144
; %bb.117:
	v_cvt_f32_f16_e32 v13, v4
	s_mov_b32 s0, exec_lo
	v_cmpx_o_f16_e32 v4, v4
	s_xor_b32 s12, exec_lo, s0
	s_cbranch_execz .LBB179_141
; %bb.118:
	s_mov_b32 s1, exec_lo
	v_cmpx_neq_f32_e64 0x7f800000, |v13|
	s_xor_b32 s13, exec_lo, s1
	s_cbranch_execz .LBB179_134
; %bb.119:
	v_max_f32_e64 v1, |v12|, |v12|
	v_max_f32_e64 v2, |v13|, |v13|
                                        ; implicit-def: $sgpr14
	s_delay_alu instid0(VALU_DEP_1) | instskip(NEXT) | instid1(VALU_DEP_1)
	v_max_f32_e32 v1, v2, v1
	v_cmp_nle_f32_e64 s0, 0x7ed413cb, v1
	s_delay_alu instid0(VALU_DEP_1) | instskip(NEXT) | instid1(SALU_CYCLE_1)
	s_and_saveexec_b32 s1, s0
	s_xor_b32 s1, exec_lo, s1
	s_cbranch_execz .LBB179_123
; %bb.120:
	v_cmp_ge_f32_e64 s14, 0x1000000, |v13|
	v_cmp_ge_f32_e64 s15, 0x1000000, |v12|
	s_delay_alu instid0(VALU_DEP_1)
	s_and_b32 s16, s14, s15
	s_mov_b32 s14, 0
	s_and_saveexec_b32 s15, s16
; %bb.121:
	v_dual_mul_f32 v13, 4.0, v13 :: v_dual_mul_f32 v12, 4.0, v12
	s_mov_b32 s14, exec_lo
; %bb.122:
	s_or_b32 exec_lo, exec_lo, s15
	s_delay_alu instid0(SALU_CYCLE_1)
	s_and_b32 s14, s14, exec_lo
.LBB179_123:
	s_and_not1_saveexec_b32 s1, s1
; %bb.124:
	v_dual_mul_f32 v13, 0x3e800000, v13 :: v_dual_mul_f32 v12, 0x3e800000, v12
	s_and_not1_b32 s14, s14, exec_lo
; %bb.125:
	s_or_b32 exec_lo, exec_lo, s1
	s_delay_alu instid0(VALU_DEP_1) | instskip(NEXT) | instid1(VALU_DEP_2)
	v_max_f32_e64 v1, |v12|, |v12|
	v_max_f32_e64 v2, |v13|, |v13|
	s_delay_alu instid0(VALU_DEP_1) | instskip(NEXT) | instid1(VALU_DEP_1)
	v_max_f32_e32 v3, v2, v1
	v_cvt_f64_f32_e32 v[1:2], v3
	s_delay_alu instid0(VALU_DEP_1) | instskip(NEXT) | instid1(VALU_DEP_1)
	v_frexp_exp_i32_f64_e32 v1, v[1:2]
	v_sub_nc_u32_e32 v2, 0, v1
	s_delay_alu instid0(VALU_DEP_1) | instskip(SKIP_1) | instid1(VALU_DEP_2)
	v_ldexp_f32 v4, |v12|, v2
	v_ldexp_f32 v2, |v13|, v2
	v_mul_f32_e32 v4, v4, v4
	v_cmp_neq_f32_e64 s1, 0x7f800000, v3
	s_delay_alu instid0(VALU_DEP_2) | instskip(NEXT) | instid1(VALU_DEP_1)
	v_fmac_f32_e32 v4, v2, v2
	v_sqrt_f32_e32 v2, v4
	s_waitcnt_depctr 0xfff
	v_ldexp_f32 v1, v2, v1
                                        ; implicit-def: $vgpr2
	s_delay_alu instid0(VALU_DEP_1)
	v_cndmask_b32_e64 v3, 0x7f800000, v1, s1
                                        ; implicit-def: $vgpr1
	s_mov_b32 s1, exec_lo
	v_cmpx_le_f32_e32 0, v13
	s_xor_b32 s15, exec_lo, s1
	s_cbranch_execz .LBB179_127
; %bb.126:
	v_add_f32_e32 v1, v13, v3
	s_delay_alu instid0(VALU_DEP_1) | instskip(NEXT) | instid1(VALU_DEP_1)
	v_mul_f32_e32 v1, 0.5, v1
	v_mul_f32_e32 v2, 0x4f800000, v1
	v_cmp_gt_f32_e32 vcc_lo, 0xf800000, v1
	s_delay_alu instid0(VALU_DEP_2) | instskip(NEXT) | instid1(VALU_DEP_1)
	v_cndmask_b32_e32 v1, v1, v2, vcc_lo
	v_sqrt_f32_e32 v2, v1
	s_waitcnt_depctr 0xfff
	v_add_nc_u32_e32 v3, -1, v2
	v_add_nc_u32_e32 v4, 1, v2
	s_delay_alu instid0(VALU_DEP_2) | instskip(NEXT) | instid1(VALU_DEP_2)
	v_fma_f32 v13, -v3, v2, v1
	v_fma_f32 v14, -v4, v2, v1
	s_delay_alu instid0(VALU_DEP_2) | instskip(NEXT) | instid1(VALU_DEP_1)
	v_cmp_ge_f32_e64 s1, 0, v13
	v_cndmask_b32_e64 v2, v2, v3, s1
	s_delay_alu instid0(VALU_DEP_3) | instskip(NEXT) | instid1(VALU_DEP_1)
	v_cmp_lt_f32_e64 s1, 0, v14
	v_cndmask_b32_e64 v2, v2, v4, s1
	s_delay_alu instid0(VALU_DEP_1) | instskip(NEXT) | instid1(VALU_DEP_1)
	v_mul_f32_e32 v3, 0x37800000, v2
	v_cndmask_b32_e32 v2, v2, v3, vcc_lo
	v_cmp_class_f32_e64 vcc_lo, v1, 0x260
	s_delay_alu instid0(VALU_DEP_2) | instskip(NEXT) | instid1(VALU_DEP_1)
	v_cndmask_b32_e32 v1, v2, v1, vcc_lo
	v_add_f32_e32 v2, v1, v1
	s_delay_alu instid0(VALU_DEP_1) | instskip(NEXT) | instid1(VALU_DEP_1)
	v_div_scale_f32 v3, null, v2, v2, v12
	v_rcp_f32_e32 v4, v3
	s_waitcnt_depctr 0xfff
	v_fma_f32 v13, -v3, v4, 1.0
	s_delay_alu instid0(VALU_DEP_1) | instskip(SKIP_1) | instid1(VALU_DEP_1)
	v_fmac_f32_e32 v4, v13, v4
	v_div_scale_f32 v13, vcc_lo, v12, v2, v12
	v_mul_f32_e32 v14, v13, v4
	s_delay_alu instid0(VALU_DEP_1) | instskip(NEXT) | instid1(VALU_DEP_1)
	v_fma_f32 v15, -v3, v14, v13
	v_fmac_f32_e32 v14, v15, v4
	s_delay_alu instid0(VALU_DEP_1) | instskip(NEXT) | instid1(VALU_DEP_1)
	v_fma_f32 v3, -v3, v14, v13
                                        ; implicit-def: $vgpr13
	v_div_fmas_f32 v3, v3, v4, v14
	s_delay_alu instid0(VALU_DEP_1)
	v_div_fixup_f32 v2, v3, v2, v12
                                        ; implicit-def: $vgpr3
                                        ; implicit-def: $vgpr12
	s_and_not1_saveexec_b32 s15, s15
	s_cbranch_execz .LBB179_129
	s_branch .LBB179_128
.LBB179_127:
	s_and_not1_saveexec_b32 s15, s15
	s_cbranch_execz .LBB179_129
.LBB179_128:
	v_sub_f32_e32 v1, v3, v13
	s_delay_alu instid0(VALU_DEP_1) | instskip(NEXT) | instid1(VALU_DEP_1)
	v_mul_f32_e32 v1, 0.5, v1
	v_mul_f32_e32 v2, 0x4f800000, v1
	v_cmp_gt_f32_e32 vcc_lo, 0xf800000, v1
	s_delay_alu instid0(VALU_DEP_2) | instskip(NEXT) | instid1(VALU_DEP_1)
	v_cndmask_b32_e32 v1, v1, v2, vcc_lo
	v_sqrt_f32_e32 v2, v1
	s_waitcnt_depctr 0xfff
	v_add_nc_u32_e32 v3, -1, v2
	v_add_nc_u32_e32 v4, 1, v2
	s_delay_alu instid0(VALU_DEP_2) | instskip(NEXT) | instid1(VALU_DEP_2)
	v_fma_f32 v13, -v3, v2, v1
	v_fma_f32 v14, -v4, v2, v1
	s_delay_alu instid0(VALU_DEP_2) | instskip(NEXT) | instid1(VALU_DEP_1)
	v_cmp_ge_f32_e64 s1, 0, v13
	v_cndmask_b32_e64 v2, v2, v3, s1
	s_delay_alu instid0(VALU_DEP_3) | instskip(NEXT) | instid1(VALU_DEP_1)
	v_cmp_lt_f32_e64 s1, 0, v14
	v_cndmask_b32_e64 v2, v2, v4, s1
	s_delay_alu instid0(VALU_DEP_1) | instskip(NEXT) | instid1(VALU_DEP_1)
	v_mul_f32_e32 v3, 0x37800000, v2
	v_cndmask_b32_e32 v2, v2, v3, vcc_lo
	v_cmp_class_f32_e64 vcc_lo, v1, 0x260
	s_delay_alu instid0(VALU_DEP_2) | instskip(NEXT) | instid1(VALU_DEP_1)
	v_dual_cndmask_b32 v2, v2, v1 :: v_dual_and_b32 v1, 0x7fffffff, v12
	v_add_f32_e32 v3, v2, v2
	v_bfi_b32 v2, 0x7fffffff, v2, v12
	s_delay_alu instid0(VALU_DEP_2) | instskip(SKIP_1) | instid1(VALU_DEP_2)
	v_div_scale_f32 v4, null, v3, v3, v1
	v_div_scale_f32 v1, vcc_lo, v1, v3, v1
	v_rcp_f32_e32 v13, v4
	s_waitcnt_depctr 0xfff
	v_fma_f32 v14, -v4, v13, 1.0
	s_delay_alu instid0(VALU_DEP_1) | instskip(NEXT) | instid1(VALU_DEP_1)
	v_fmac_f32_e32 v13, v14, v13
	v_mul_f32_e32 v14, v1, v13
	s_delay_alu instid0(VALU_DEP_1) | instskip(NEXT) | instid1(VALU_DEP_1)
	v_fma_f32 v15, -v4, v14, v1
	v_fmac_f32_e32 v14, v15, v13
	s_delay_alu instid0(VALU_DEP_1) | instskip(NEXT) | instid1(VALU_DEP_1)
	v_fma_f32 v1, -v4, v14, v1
	v_div_fmas_f32 v1, v1, v13, v14
	s_delay_alu instid0(VALU_DEP_1)
	v_div_fixup_f32 v1, v1, v3, |v12|
.LBB179_129:
	s_or_b32 exec_lo, exec_lo, s15
                                        ; implicit-def: $vgpr12
                                        ; implicit-def: $vgpr13
	s_and_saveexec_b32 s1, s0
	s_delay_alu instid0(SALU_CYCLE_1)
	s_xor_b32 s0, exec_lo, s1
	s_cbranch_execz .LBB179_131
; %bb.130:
	v_dual_mul_f32 v3, 0.5, v1 :: v_dual_mul_f32 v4, 0.5, v2
	s_delay_alu instid0(VALU_DEP_1) | instskip(NEXT) | instid1(VALU_DEP_2)
	v_cndmask_b32_e64 v13, v1, v3, s14
	v_cndmask_b32_e64 v12, v2, v4, s14
                                        ; implicit-def: $vgpr1
                                        ; implicit-def: $vgpr2
	s_and_not1_saveexec_b32 s0, s0
	s_cbranch_execnz .LBB179_132
	s_branch .LBB179_133
.LBB179_131:
	s_and_not1_saveexec_b32 s0, s0
.LBB179_132:
	v_dual_add_f32 v13, v1, v1 :: v_dual_add_f32 v12, v2, v2
.LBB179_133:
	s_or_b32 exec_lo, exec_lo, s0
                                        ; implicit-def: $vgpr1_vgpr2_vgpr3_vgpr4
.LBB179_134:
	s_and_not1_saveexec_b32 s0, s13
	s_cbranch_execz .LBB179_140
; %bb.135:
	s_delay_alu instid0(VALU_DEP_1)
	v_sub_f32_e32 v1, v12, v12
	s_mov_b32 s1, exec_lo
	v_cmpx_lt_i16_e32 -1, v4
	s_xor_b32 s1, exec_lo, s1
; %bb.136:
	s_delay_alu instid0(VALU_DEP_2)
	v_bfi_b32 v12, 0x7fffffff, v1, v12
                                        ; implicit-def: $vgpr1
; %bb.137:
	s_and_not1_saveexec_b32 s1, s1
; %bb.138:
	v_and_b32_e32 v1, 0x7fffffff, v1
	s_delay_alu instid0(VALU_DEP_2) | instskip(NEXT) | instid1(VALU_DEP_2)
	v_bfi_b32 v12, 0x7fffffff, v13, v12
	v_mov_b32_e32 v13, v1
; %bb.139:
	s_or_b32 exec_lo, exec_lo, s1
.LBB179_140:
	s_delay_alu instid0(SALU_CYCLE_1)
	s_or_b32 exec_lo, exec_lo, s0
.LBB179_141:
	s_and_not1_saveexec_b32 s0, s12
; %bb.142:
	v_sub_f32_e32 v1, v12, v12
	s_delay_alu instid0(VALU_DEP_1) | instskip(NEXT) | instid1(VALU_DEP_1)
	v_div_scale_f32 v2, vcc_lo, v1, v1, v1
	v_rcp_f32_e32 v3, v2
	s_waitcnt_depctr 0xfff
	v_fma_f32 v4, -v2, v3, 1.0
	s_delay_alu instid0(VALU_DEP_1) | instskip(NEXT) | instid1(VALU_DEP_1)
	v_fmac_f32_e32 v3, v4, v3
	v_mul_f32_e32 v4, v2, v3
	s_delay_alu instid0(VALU_DEP_1) | instskip(NEXT) | instid1(VALU_DEP_1)
	v_fma_f32 v12, -v2, v4, v2
	v_fmac_f32_e32 v4, v12, v3
	s_delay_alu instid0(VALU_DEP_1) | instskip(NEXT) | instid1(VALU_DEP_1)
	v_fma_f32 v2, -v2, v4, v2
	v_div_fmas_f32 v2, v2, v3, v4
	s_delay_alu instid0(VALU_DEP_1)
	v_div_fixup_f32 v12, v2, v1, v1
; %bb.143:
	s_or_b32 exec_lo, exec_lo, s0
.LBB179_144:
	s_delay_alu instid0(SALU_CYCLE_1)
	s_or_b32 exec_lo, exec_lo, s11
.LBB179_145:
	s_delay_alu instid0(SALU_CYCLE_1)
	s_or_b32 exec_lo, exec_lo, s9
	v_cmp_gt_f32_e32 vcc_lo, 0, v13
                                        ; implicit-def: $vgpr2
                                        ; implicit-def: $vgpr1
	s_mov_b32 s0, exec_lo
	v_cndmask_b32_e64 v3, v13, -v13, vcc_lo
	v_cmp_gt_f32_e32 vcc_lo, 0, v12
	v_cndmask_b32_e64 v4, v12, -v12, vcc_lo
	s_delay_alu instid0(VALU_DEP_1)
	v_cmpx_ge_f32_e32 v3, v4
	s_xor_b32 s1, exec_lo, s0
	s_cbranch_execz .LBB179_151
; %bb.146:
	v_cmp_neq_f32_e32 vcc_lo, 0, v13
	v_cmp_neq_f32_e64 s0, 0, v12
                                        ; implicit-def: $vgpr2
                                        ; implicit-def: $vgpr1
	s_delay_alu instid0(VALU_DEP_1) | instskip(NEXT) | instid1(SALU_CYCLE_1)
	s_or_b32 s0, vcc_lo, s0
	s_and_saveexec_b32 s9, s0
	s_delay_alu instid0(SALU_CYCLE_1)
	s_xor_b32 s0, exec_lo, s9
	s_cbranch_execz .LBB179_148
; %bb.147:
	v_div_scale_f32 v1, null, v13, v13, v12
	v_div_scale_f32 v4, vcc_lo, v12, v13, v12
	s_delay_alu instid0(VALU_DEP_2) | instskip(SKIP_2) | instid1(VALU_DEP_1)
	v_rcp_f32_e32 v2, v1
	s_waitcnt_depctr 0xfff
	v_fma_f32 v3, -v1, v2, 1.0
	v_fmac_f32_e32 v2, v3, v2
	s_delay_alu instid0(VALU_DEP_1) | instskip(NEXT) | instid1(VALU_DEP_1)
	v_mul_f32_e32 v3, v4, v2
	v_fma_f32 v14, -v1, v3, v4
	s_delay_alu instid0(VALU_DEP_1) | instskip(NEXT) | instid1(VALU_DEP_1)
	v_fmac_f32_e32 v3, v14, v2
	v_fma_f32 v1, -v1, v3, v4
	s_delay_alu instid0(VALU_DEP_1) | instskip(NEXT) | instid1(VALU_DEP_1)
	v_div_fmas_f32 v1, v1, v2, v3
	v_div_fixup_f32 v2, v1, v13, v12
	s_delay_alu instid0(VALU_DEP_1) | instskip(NEXT) | instid1(VALU_DEP_1)
	v_fmac_f32_e32 v13, v12, v2
	v_div_scale_f32 v1, null, v13, v13, 1.0
	v_div_scale_f32 v12, vcc_lo, 1.0, v13, 1.0
	s_delay_alu instid0(VALU_DEP_2) | instskip(SKIP_2) | instid1(VALU_DEP_1)
	v_rcp_f32_e32 v3, v1
	s_waitcnt_depctr 0xfff
	v_fma_f32 v4, -v1, v3, 1.0
	v_fmac_f32_e32 v3, v4, v3
	s_delay_alu instid0(VALU_DEP_1) | instskip(NEXT) | instid1(VALU_DEP_1)
	v_mul_f32_e32 v4, v12, v3
	v_fma_f32 v14, -v1, v4, v12
	s_delay_alu instid0(VALU_DEP_1) | instskip(NEXT) | instid1(VALU_DEP_1)
	v_fmac_f32_e32 v4, v14, v3
	v_fma_f32 v1, -v1, v4, v12
	s_delay_alu instid0(VALU_DEP_1) | instskip(SKIP_1) | instid1(VALU_DEP_2)
	v_div_fmas_f32 v1, v1, v3, v4
	v_fma_f32 v3, v2, 0, 1.0
	v_div_fixup_f32 v4, v1, v13, 1.0
	s_delay_alu instid0(VALU_DEP_1)
	v_mul_f32_e32 v1, v3, v4
	v_mul_f32_e64 v2, -v2, v4
                                        ; implicit-def: $vgpr3
                                        ; implicit-def: $vgpr4
.LBB179_148:
	s_and_not1_saveexec_b32 s9, s0
	s_cbranch_execz .LBB179_150
; %bb.149:
	v_div_scale_f32 v1, null, v3, v3, 1.0
	v_div_scale_f32 v2, null, v4, v4, 0
	v_div_scale_f32 v16, vcc_lo, 1.0, v3, 1.0
	s_delay_alu instid0(VALU_DEP_3) | instskip(NEXT) | instid1(VALU_DEP_2)
	v_rcp_f32_e32 v12, v1
	v_rcp_f32_e32 v13, v2
	s_waitcnt_depctr 0xfff
	v_fma_f32 v14, -v1, v12, 1.0
	v_fma_f32 v15, -v2, v13, 1.0
	s_delay_alu instid0(VALU_DEP_1) | instskip(SKIP_1) | instid1(VALU_DEP_2)
	v_dual_fmac_f32 v12, v14, v12 :: v_dual_fmac_f32 v13, v15, v13
	v_div_scale_f32 v14, s0, 0, v4, 0
	v_mul_f32_e32 v15, v16, v12
	s_delay_alu instid0(VALU_DEP_2) | instskip(NEXT) | instid1(VALU_DEP_2)
	v_mul_f32_e32 v17, v14, v13
	v_fma_f32 v18, -v1, v15, v16
	s_delay_alu instid0(VALU_DEP_2) | instskip(NEXT) | instid1(VALU_DEP_2)
	v_fma_f32 v19, -v2, v17, v14
	v_fmac_f32_e32 v15, v18, v12
	s_delay_alu instid0(VALU_DEP_2) | instskip(NEXT) | instid1(VALU_DEP_2)
	v_fmac_f32_e32 v17, v19, v13
	v_fma_f32 v1, -v1, v15, v16
	s_delay_alu instid0(VALU_DEP_2) | instskip(NEXT) | instid1(VALU_DEP_2)
	v_fma_f32 v2, -v2, v17, v14
	v_div_fmas_f32 v1, v1, v12, v15
	s_mov_b32 vcc_lo, s0
	s_delay_alu instid0(VALU_DEP_2) | instskip(NEXT) | instid1(VALU_DEP_2)
	v_div_fmas_f32 v2, v2, v13, v17
	v_div_fixup_f32 v1, v1, v3, 1.0
	s_delay_alu instid0(VALU_DEP_2)
	v_div_fixup_f32 v2, v2, v4, 0
.LBB179_150:
	s_or_b32 exec_lo, exec_lo, s9
                                        ; implicit-def: $vgpr12
                                        ; implicit-def: $vgpr13
.LBB179_151:
	s_and_not1_saveexec_b32 s0, s1
	s_cbranch_execz .LBB179_153
; %bb.152:
	v_div_scale_f32 v1, null, v12, v12, v13
	v_div_scale_f32 v4, vcc_lo, v13, v12, v13
	s_delay_alu instid0(VALU_DEP_2) | instskip(SKIP_2) | instid1(VALU_DEP_1)
	v_rcp_f32_e32 v2, v1
	s_waitcnt_depctr 0xfff
	v_fma_f32 v3, -v1, v2, 1.0
	v_fmac_f32_e32 v2, v3, v2
	s_delay_alu instid0(VALU_DEP_1) | instskip(NEXT) | instid1(VALU_DEP_1)
	v_mul_f32_e32 v3, v4, v2
	v_fma_f32 v14, -v1, v3, v4
	s_delay_alu instid0(VALU_DEP_1) | instskip(NEXT) | instid1(VALU_DEP_1)
	v_fmac_f32_e32 v3, v14, v2
	v_fma_f32 v1, -v1, v3, v4
	s_delay_alu instid0(VALU_DEP_1) | instskip(NEXT) | instid1(VALU_DEP_1)
	v_div_fmas_f32 v1, v1, v2, v3
	v_div_fixup_f32 v1, v1, v12, v13
	s_delay_alu instid0(VALU_DEP_1) | instskip(NEXT) | instid1(VALU_DEP_1)
	v_fmac_f32_e32 v12, v13, v1
	v_div_scale_f32 v2, null, v12, v12, 1.0
	v_div_scale_f32 v13, vcc_lo, 1.0, v12, 1.0
	s_delay_alu instid0(VALU_DEP_2) | instskip(SKIP_2) | instid1(VALU_DEP_1)
	v_rcp_f32_e32 v3, v2
	s_waitcnt_depctr 0xfff
	v_fma_f32 v4, -v2, v3, 1.0
	v_fmac_f32_e32 v3, v4, v3
	s_delay_alu instid0(VALU_DEP_1) | instskip(NEXT) | instid1(VALU_DEP_1)
	v_mul_f32_e32 v4, v13, v3
	v_fma_f32 v14, -v2, v4, v13
	s_delay_alu instid0(VALU_DEP_1) | instskip(NEXT) | instid1(VALU_DEP_1)
	v_fmac_f32_e32 v4, v14, v3
	v_fma_f32 v2, -v2, v4, v13
	s_delay_alu instid0(VALU_DEP_1) | instskip(SKIP_2) | instid1(VALU_DEP_3)
	v_div_fmas_f32 v2, v2, v3, v4
	v_add_f32_e32 v3, 0, v1
	v_fma_f32 v4, v1, 0, -1.0
	v_div_fixup_f32 v2, v2, v12, 1.0
	s_delay_alu instid0(VALU_DEP_1) | instskip(NEXT) | instid1(VALU_DEP_3)
	v_mul_f32_e32 v1, v3, v2
	v_mul_f32_e32 v2, v4, v2
.LBB179_153:
	s_or_b32 exec_lo, exec_lo, s0
	v_cvt_f16_f32_e32 v3, v11
	v_cvt_f16_f32_e32 v4, v10
	;; [unrolled: 1-line block ×8, first 2 shown]
	v_lshlrev_b32_e32 v3, 16, v3
	v_and_b32_e32 v4, 0xffff, v4
	v_lshlrev_b32_e32 v9, 16, v9
	v_and_b32_e32 v8, 0xffff, v8
	;; [unrolled: 2-line block ×4, first 2 shown]
	v_or_b32_e32 v3, v3, v4
	v_or_b32_e32 v2, v9, v8
	;; [unrolled: 1-line block ×3, first 2 shown]
	s_add_u32 s2, s4, s2
	v_or_b32_e32 v4, v10, v11
	s_addc_u32 s3, s5, s3
	s_mov_b32 s0, 0
	global_store_b128 v5, v[1:4], s[2:3]
.LBB179_154:
	s_and_b32 vcc_lo, exec_lo, s0
	s_cbranch_vccz .LBB179_331
; %bb.155:
	v_cmp_gt_i32_e64 s0, s10, v0
	v_dual_mov_b32 v7, 0 :: v_dual_mov_b32 v8, 0
	v_or_b32_e32 v1, s8, v0
	v_or_b32_e32 v3, 0x100, v0
	v_mov_b32_e32 v4, v0
	s_and_saveexec_b32 s1, s0
	s_cbranch_execz .LBB179_157
; %bb.156:
	v_mov_b32_e32 v2, 0
	s_delay_alu instid0(VALU_DEP_1) | instskip(NEXT) | instid1(VALU_DEP_1)
	v_lshlrev_b64 v[4:5], 2, v[1:2]
	v_add_co_u32 v4, vcc_lo, s6, v4
	s_delay_alu instid0(VALU_DEP_2)
	v_add_co_ci_u32_e32 v5, vcc_lo, s7, v5, vcc_lo
	global_load_b32 v8, v[4:5], off
	v_or_b32_e32 v4, 0x100, v0
.LBB179_157:
	s_or_b32 exec_lo, exec_lo, s1
	s_delay_alu instid0(SALU_CYCLE_1) | instskip(NEXT) | instid1(VALU_DEP_1)
	s_mov_b32 s1, exec_lo
	v_cmpx_gt_i32_e64 s10, v4
	s_cbranch_execz .LBB179_159
; %bb.158:
	v_dual_mov_b32 v6, 0 :: v_dual_add_nc_u32 v5, s8, v4
	v_add_nc_u32_e32 v4, 0x100, v4
	s_delay_alu instid0(VALU_DEP_2) | instskip(NEXT) | instid1(VALU_DEP_1)
	v_lshlrev_b64 v[5:6], 2, v[5:6]
	v_add_co_u32 v5, vcc_lo, s6, v5
	s_delay_alu instid0(VALU_DEP_2)
	v_add_co_ci_u32_e32 v6, vcc_lo, s7, v6, vcc_lo
	global_load_b32 v7, v[5:6], off
.LBB179_159:
	s_or_b32 exec_lo, exec_lo, s1
	v_dual_mov_b32 v2, 0 :: v_dual_mov_b32 v5, 0
	s_mov_b32 s1, exec_lo
	v_cmpx_gt_i32_e64 s10, v4
	s_cbranch_execz .LBB179_163
; %bb.160:
	v_dual_mov_b32 v6, 0 :: v_dual_add_nc_u32 v5, s8, v4
	v_add_nc_u32_e32 v4, 0x100, v4
	s_delay_alu instid0(VALU_DEP_2) | instskip(NEXT) | instid1(VALU_DEP_1)
	v_lshlrev_b64 v[5:6], 2, v[5:6]
	v_add_co_u32 v5, vcc_lo, s6, v5
	s_delay_alu instid0(VALU_DEP_2) | instskip(SKIP_2) | instid1(SALU_CYCLE_1)
	v_add_co_ci_u32_e32 v6, vcc_lo, s7, v6, vcc_lo
	global_load_b32 v5, v[5:6], off
	s_or_b32 exec_lo, exec_lo, s1
	s_mov_b32 s1, exec_lo
	v_cmpx_gt_i32_e64 s10, v4
	s_cbranch_execnz .LBB179_164
.LBB179_161:
	s_or_b32 exec_lo, exec_lo, s1
                                        ; implicit-def: $vgpr4
	s_and_saveexec_b32 s3, s0
	s_cbranch_execnz .LBB179_165
.LBB179_162:
	s_or_b32 exec_lo, exec_lo, s3
	s_delay_alu instid0(SALU_CYCLE_1)
	s_mov_b32 s3, exec_lo
                                        ; implicit-def: $vgpr6
	v_cmpx_gt_i32_e64 s10, v3
	s_cbranch_execz .LBB179_243
	s_branch .LBB179_204
.LBB179_163:
	s_or_b32 exec_lo, exec_lo, s1
	s_delay_alu instid0(SALU_CYCLE_1)
	s_mov_b32 s1, exec_lo
	v_cmpx_gt_i32_e64 s10, v4
	s_cbranch_execz .LBB179_161
.LBB179_164:
	v_dual_mov_b32 v10, 0 :: v_dual_add_nc_u32 v9, s8, v4
	s_delay_alu instid0(VALU_DEP_1) | instskip(NEXT) | instid1(VALU_DEP_1)
	v_lshlrev_b64 v[9:10], 2, v[9:10]
	v_add_co_u32 v9, vcc_lo, s6, v9
	s_delay_alu instid0(VALU_DEP_2)
	v_add_co_ci_u32_e32 v10, vcc_lo, s7, v10, vcc_lo
	global_load_b32 v2, v[9:10], off
	s_or_b32 exec_lo, exec_lo, s1
                                        ; implicit-def: $vgpr4
	s_and_saveexec_b32 s3, s0
	s_cbranch_execz .LBB179_162
.LBB179_165:
	s_waitcnt vmcnt(0)
	v_lshrrev_b32_e32 v4, 16, v8
	v_cmp_neq_f16_e32 vcc_lo, 0, v8
	v_mov_b32_e32 v6, 0
	s_delay_alu instid0(VALU_DEP_3) | instskip(SKIP_1) | instid1(VALU_DEP_2)
	v_cmp_neq_f16_e64 s1, 0, v4
	v_cvt_f32_f16_e32 v4, v4
	s_or_b32 s1, vcc_lo, s1
	s_delay_alu instid0(SALU_CYCLE_1)
	s_and_saveexec_b32 s6, s1
	s_cbranch_execz .LBB179_195
; %bb.166:
	v_mov_b32_e32 v6, 0x7f800000
	s_mov_b32 s7, exec_lo
	v_cmpx_neq_f32_e64 0x7f800000, |v4|
	s_cbranch_execz .LBB179_194
; %bb.167:
	v_cvt_f32_f16_e32 v6, v8
	s_mov_b32 s1, exec_lo
	v_cmpx_o_f16_e32 v8, v8
	s_xor_b32 s9, exec_lo, s1
	s_cbranch_execz .LBB179_191
; %bb.168:
	s_mov_b32 s2, exec_lo
	v_cmpx_neq_f32_e64 0x7f800000, |v6|
	s_xor_b32 s11, exec_lo, s2
	s_cbranch_execz .LBB179_184
; %bb.169:
	v_max_f32_e64 v8, |v4|, |v4|
	v_max_f32_e64 v9, |v6|, |v6|
                                        ; implicit-def: $sgpr12
	s_delay_alu instid0(VALU_DEP_1) | instskip(NEXT) | instid1(VALU_DEP_1)
	v_max_f32_e32 v8, v9, v8
	v_cmp_nle_f32_e64 s1, 0x7ed413cb, v8
	s_delay_alu instid0(VALU_DEP_1) | instskip(NEXT) | instid1(SALU_CYCLE_1)
	s_and_saveexec_b32 s2, s1
	s_xor_b32 s2, exec_lo, s2
	s_cbranch_execz .LBB179_173
; %bb.170:
	v_cmp_ge_f32_e64 s12, 0x1000000, |v6|
	v_cmp_ge_f32_e64 s13, 0x1000000, |v4|
	s_delay_alu instid0(VALU_DEP_1)
	s_and_b32 s14, s12, s13
	s_mov_b32 s12, 0
	s_and_saveexec_b32 s13, s14
; %bb.171:
	v_mul_f32_e32 v6, 4.0, v6
	v_mul_f32_e32 v4, 4.0, v4
	s_mov_b32 s12, exec_lo
; %bb.172:
	s_or_b32 exec_lo, exec_lo, s13
	s_delay_alu instid0(SALU_CYCLE_1)
	s_and_b32 s12, s12, exec_lo
.LBB179_173:
	s_and_not1_saveexec_b32 s2, s2
; %bb.174:
	v_mul_f32_e32 v6, 0x3e800000, v6
	v_mul_f32_e32 v4, 0x3e800000, v4
	s_and_not1_b32 s12, s12, exec_lo
; %bb.175:
	s_or_b32 exec_lo, exec_lo, s2
	s_delay_alu instid0(VALU_DEP_1) | instskip(SKIP_1) | instid1(VALU_DEP_1)
	v_max_f32_e64 v8, |v4|, |v4|
	v_max_f32_e64 v9, |v6|, |v6|
	v_max_f32_e32 v10, v9, v8
	s_delay_alu instid0(VALU_DEP_1) | instskip(NEXT) | instid1(VALU_DEP_1)
	v_cvt_f64_f32_e32 v[8:9], v10
	v_frexp_exp_i32_f64_e32 v8, v[8:9]
	s_delay_alu instid0(VALU_DEP_1) | instskip(NEXT) | instid1(VALU_DEP_1)
	v_sub_nc_u32_e32 v9, 0, v8
	v_ldexp_f32 v11, |v4|, v9
	v_ldexp_f32 v9, |v6|, v9
	s_delay_alu instid0(VALU_DEP_2) | instskip(SKIP_1) | instid1(VALU_DEP_2)
	v_mul_f32_e32 v11, v11, v11
	v_cmp_neq_f32_e64 s2, 0x7f800000, v10
	v_fmac_f32_e32 v11, v9, v9
	s_delay_alu instid0(VALU_DEP_1) | instskip(SKIP_2) | instid1(VALU_DEP_1)
	v_sqrt_f32_e32 v9, v11
	s_waitcnt_depctr 0xfff
	v_ldexp_f32 v8, v9, v8
                                        ; implicit-def: $vgpr9
	v_cndmask_b32_e64 v10, 0x7f800000, v8, s2
                                        ; implicit-def: $vgpr8
	s_mov_b32 s2, exec_lo
	v_cmpx_le_f32_e32 0, v6
	s_xor_b32 s13, exec_lo, s2
	s_cbranch_execz .LBB179_177
; %bb.176:
	v_add_f32_e32 v6, v6, v10
	s_delay_alu instid0(VALU_DEP_1) | instskip(NEXT) | instid1(VALU_DEP_1)
	v_mul_f32_e32 v6, 0.5, v6
	v_mul_f32_e32 v8, 0x4f800000, v6
	v_cmp_gt_f32_e32 vcc_lo, 0xf800000, v6
	s_delay_alu instid0(VALU_DEP_2) | instskip(NEXT) | instid1(VALU_DEP_1)
	v_cndmask_b32_e32 v6, v6, v8, vcc_lo
	v_sqrt_f32_e32 v8, v6
	s_waitcnt_depctr 0xfff
	v_add_nc_u32_e32 v9, -1, v8
	v_add_nc_u32_e32 v10, 1, v8
	s_delay_alu instid0(VALU_DEP_2) | instskip(NEXT) | instid1(VALU_DEP_2)
	v_fma_f32 v11, -v9, v8, v6
	v_fma_f32 v12, -v10, v8, v6
	s_delay_alu instid0(VALU_DEP_2) | instskip(NEXT) | instid1(VALU_DEP_1)
	v_cmp_ge_f32_e64 s2, 0, v11
	v_cndmask_b32_e64 v8, v8, v9, s2
	s_delay_alu instid0(VALU_DEP_3) | instskip(NEXT) | instid1(VALU_DEP_1)
	v_cmp_lt_f32_e64 s2, 0, v12
	v_cndmask_b32_e64 v8, v8, v10, s2
	s_delay_alu instid0(VALU_DEP_1) | instskip(NEXT) | instid1(VALU_DEP_1)
	v_mul_f32_e32 v9, 0x37800000, v8
	v_cndmask_b32_e32 v8, v8, v9, vcc_lo
	v_cmp_class_f32_e64 vcc_lo, v6, 0x260
	s_delay_alu instid0(VALU_DEP_2) | instskip(NEXT) | instid1(VALU_DEP_1)
	v_cndmask_b32_e32 v8, v8, v6, vcc_lo
	v_add_f32_e32 v6, v8, v8
	s_delay_alu instid0(VALU_DEP_1) | instskip(NEXT) | instid1(VALU_DEP_1)
	v_div_scale_f32 v9, null, v6, v6, v4
	v_rcp_f32_e32 v10, v9
	s_waitcnt_depctr 0xfff
	v_fma_f32 v11, -v9, v10, 1.0
	s_delay_alu instid0(VALU_DEP_1) | instskip(SKIP_1) | instid1(VALU_DEP_1)
	v_fmac_f32_e32 v10, v11, v10
	v_div_scale_f32 v11, vcc_lo, v4, v6, v4
	v_mul_f32_e32 v12, v11, v10
	s_delay_alu instid0(VALU_DEP_1) | instskip(NEXT) | instid1(VALU_DEP_1)
	v_fma_f32 v13, -v9, v12, v11
	v_fmac_f32_e32 v12, v13, v10
	s_delay_alu instid0(VALU_DEP_1) | instskip(NEXT) | instid1(VALU_DEP_1)
	v_fma_f32 v9, -v9, v12, v11
	v_div_fmas_f32 v9, v9, v10, v12
                                        ; implicit-def: $vgpr10
	s_delay_alu instid0(VALU_DEP_1)
	v_div_fixup_f32 v9, v9, v6, v4
                                        ; implicit-def: $vgpr6
                                        ; implicit-def: $vgpr4
	s_and_not1_saveexec_b32 s13, s13
	s_cbranch_execz .LBB179_179
	s_branch .LBB179_178
.LBB179_177:
	s_and_not1_saveexec_b32 s13, s13
	s_cbranch_execz .LBB179_179
.LBB179_178:
	v_sub_f32_e32 v6, v10, v6
	s_delay_alu instid0(VALU_DEP_1) | instskip(NEXT) | instid1(VALU_DEP_1)
	v_mul_f32_e32 v6, 0.5, v6
	v_mul_f32_e32 v8, 0x4f800000, v6
	v_cmp_gt_f32_e32 vcc_lo, 0xf800000, v6
	s_delay_alu instid0(VALU_DEP_2) | instskip(NEXT) | instid1(VALU_DEP_1)
	v_cndmask_b32_e32 v6, v6, v8, vcc_lo
	v_sqrt_f32_e32 v8, v6
	s_waitcnt_depctr 0xfff
	v_add_nc_u32_e32 v9, -1, v8
	v_add_nc_u32_e32 v10, 1, v8
	s_delay_alu instid0(VALU_DEP_2) | instskip(NEXT) | instid1(VALU_DEP_2)
	v_fma_f32 v11, -v9, v8, v6
	v_fma_f32 v12, -v10, v8, v6
	s_delay_alu instid0(VALU_DEP_2) | instskip(NEXT) | instid1(VALU_DEP_1)
	v_cmp_ge_f32_e64 s2, 0, v11
	v_cndmask_b32_e64 v8, v8, v9, s2
	s_delay_alu instid0(VALU_DEP_3) | instskip(NEXT) | instid1(VALU_DEP_1)
	v_cmp_lt_f32_e64 s2, 0, v12
	v_cndmask_b32_e64 v8, v8, v10, s2
	s_delay_alu instid0(VALU_DEP_1) | instskip(NEXT) | instid1(VALU_DEP_1)
	v_mul_f32_e32 v9, 0x37800000, v8
	v_cndmask_b32_e32 v8, v8, v9, vcc_lo
	v_cmp_class_f32_e64 vcc_lo, v6, 0x260
	s_delay_alu instid0(VALU_DEP_2) | instskip(NEXT) | instid1(VALU_DEP_1)
	v_cndmask_b32_e32 v6, v8, v6, vcc_lo
	v_dual_add_f32 v9, v6, v6 :: v_dual_and_b32 v8, 0x7fffffff, v4
	s_delay_alu instid0(VALU_DEP_1) | instskip(SKIP_1) | instid1(VALU_DEP_2)
	v_div_scale_f32 v10, null, v9, v9, v8
	v_div_scale_f32 v8, vcc_lo, v8, v9, v8
	v_rcp_f32_e32 v11, v10
	s_waitcnt_depctr 0xfff
	v_fma_f32 v12, -v10, v11, 1.0
	s_delay_alu instid0(VALU_DEP_1) | instskip(NEXT) | instid1(VALU_DEP_1)
	v_fmac_f32_e32 v11, v12, v11
	v_mul_f32_e32 v12, v8, v11
	s_delay_alu instid0(VALU_DEP_1) | instskip(NEXT) | instid1(VALU_DEP_1)
	v_fma_f32 v13, -v10, v12, v8
	v_fmac_f32_e32 v12, v13, v11
	s_delay_alu instid0(VALU_DEP_1) | instskip(NEXT) | instid1(VALU_DEP_1)
	v_fma_f32 v8, -v10, v12, v8
	v_div_fmas_f32 v8, v8, v11, v12
	s_delay_alu instid0(VALU_DEP_1)
	v_div_fixup_f32 v8, v8, v9, |v4|
	v_bfi_b32 v9, 0x7fffffff, v6, v4
.LBB179_179:
	s_or_b32 exec_lo, exec_lo, s13
                                        ; implicit-def: $vgpr4
                                        ; implicit-def: $vgpr6
	s_and_saveexec_b32 s2, s1
	s_delay_alu instid0(SALU_CYCLE_1)
	s_xor_b32 s1, exec_lo, s2
	s_cbranch_execz .LBB179_181
; %bb.180:
	v_mul_f32_e32 v4, 0.5, v8
	v_mul_f32_e32 v10, 0.5, v9
	s_delay_alu instid0(VALU_DEP_2) | instskip(NEXT) | instid1(VALU_DEP_2)
	v_cndmask_b32_e64 v6, v8, v4, s12
	v_cndmask_b32_e64 v4, v9, v10, s12
                                        ; implicit-def: $vgpr8
                                        ; implicit-def: $vgpr9
	s_and_not1_saveexec_b32 s1, s1
	s_cbranch_execnz .LBB179_182
	s_branch .LBB179_183
.LBB179_181:
	s_and_not1_saveexec_b32 s1, s1
.LBB179_182:
	v_add_f32_e32 v6, v8, v8
	v_add_f32_e32 v4, v9, v9
.LBB179_183:
	s_or_b32 exec_lo, exec_lo, s1
                                        ; implicit-def: $vgpr8
.LBB179_184:
	s_and_not1_saveexec_b32 s1, s11
	s_cbranch_execz .LBB179_190
; %bb.185:
	v_cmp_lt_i16_e32 vcc_lo, -1, v8
	v_sub_f32_e32 v8, v4, v4
	s_and_saveexec_b32 s2, vcc_lo
	s_delay_alu instid0(SALU_CYCLE_1)
	s_xor_b32 s2, exec_lo, s2
; %bb.186:
	s_delay_alu instid0(VALU_DEP_1)
	v_bfi_b32 v4, 0x7fffffff, v8, v4
                                        ; implicit-def: $vgpr8
; %bb.187:
	s_and_not1_saveexec_b32 s2, s2
; %bb.188:
	v_and_b32_e32 v8, 0x7fffffff, v8
	s_delay_alu instid0(VALU_DEP_2) | instskip(NEXT) | instid1(VALU_DEP_2)
	v_bfi_b32 v4, 0x7fffffff, v6, v4
	v_mov_b32_e32 v6, v8
; %bb.189:
	s_or_b32 exec_lo, exec_lo, s2
.LBB179_190:
	s_delay_alu instid0(SALU_CYCLE_1)
	s_or_b32 exec_lo, exec_lo, s1
.LBB179_191:
	s_and_not1_saveexec_b32 s1, s9
; %bb.192:
	v_sub_f32_e32 v4, v4, v4
	s_delay_alu instid0(VALU_DEP_1) | instskip(NEXT) | instid1(VALU_DEP_1)
	v_div_scale_f32 v8, vcc_lo, v4, v4, v4
	v_rcp_f32_e32 v9, v8
	s_waitcnt_depctr 0xfff
	v_fma_f32 v10, -v8, v9, 1.0
	s_delay_alu instid0(VALU_DEP_1) | instskip(NEXT) | instid1(VALU_DEP_1)
	v_fmac_f32_e32 v9, v10, v9
	v_mul_f32_e32 v10, v8, v9
	s_delay_alu instid0(VALU_DEP_1) | instskip(NEXT) | instid1(VALU_DEP_1)
	v_fma_f32 v11, -v8, v10, v8
	v_fmac_f32_e32 v10, v11, v9
	s_delay_alu instid0(VALU_DEP_1) | instskip(NEXT) | instid1(VALU_DEP_1)
	v_fma_f32 v8, -v8, v10, v8
	v_div_fmas_f32 v8, v8, v9, v10
	s_delay_alu instid0(VALU_DEP_1)
	v_div_fixup_f32 v4, v8, v4, v4
; %bb.193:
	s_or_b32 exec_lo, exec_lo, s1
.LBB179_194:
	s_delay_alu instid0(SALU_CYCLE_1)
	s_or_b32 exec_lo, exec_lo, s7
.LBB179_195:
	s_delay_alu instid0(SALU_CYCLE_1)
	s_or_b32 exec_lo, exec_lo, s6
	v_cmp_gt_f32_e32 vcc_lo, 0, v6
                                        ; implicit-def: $vgpr11
                                        ; implicit-def: $vgpr10
	s_mov_b32 s1, exec_lo
	v_cndmask_b32_e64 v8, v6, -v6, vcc_lo
	v_cmp_gt_f32_e32 vcc_lo, 0, v4
	v_cndmask_b32_e64 v9, v4, -v4, vcc_lo
	s_delay_alu instid0(VALU_DEP_1)
	v_cmpx_ge_f32_e32 v8, v9
	s_xor_b32 s2, exec_lo, s1
	s_cbranch_execz .LBB179_201
; %bb.196:
	v_cmp_neq_f32_e32 vcc_lo, 0, v6
	v_cmp_neq_f32_e64 s1, 0, v4
                                        ; implicit-def: $vgpr11
                                        ; implicit-def: $vgpr10
	s_delay_alu instid0(VALU_DEP_1) | instskip(NEXT) | instid1(SALU_CYCLE_1)
	s_or_b32 s1, vcc_lo, s1
	s_and_saveexec_b32 s6, s1
	s_delay_alu instid0(SALU_CYCLE_1)
	s_xor_b32 s1, exec_lo, s6
	s_cbranch_execz .LBB179_198
; %bb.197:
	v_div_scale_f32 v8, null, v6, v6, v4
	v_div_scale_f32 v11, vcc_lo, v4, v6, v4
	s_delay_alu instid0(VALU_DEP_2) | instskip(SKIP_2) | instid1(VALU_DEP_1)
	v_rcp_f32_e32 v9, v8
	s_waitcnt_depctr 0xfff
	v_fma_f32 v10, -v8, v9, 1.0
	v_fmac_f32_e32 v9, v10, v9
	s_delay_alu instid0(VALU_DEP_1) | instskip(NEXT) | instid1(VALU_DEP_1)
	v_mul_f32_e32 v10, v11, v9
	v_fma_f32 v12, -v8, v10, v11
	s_delay_alu instid0(VALU_DEP_1) | instskip(NEXT) | instid1(VALU_DEP_1)
	v_fmac_f32_e32 v10, v12, v9
	v_fma_f32 v8, -v8, v10, v11
	s_delay_alu instid0(VALU_DEP_1) | instskip(NEXT) | instid1(VALU_DEP_1)
	v_div_fmas_f32 v8, v8, v9, v10
	v_div_fixup_f32 v8, v8, v6, v4
	s_delay_alu instid0(VALU_DEP_1) | instskip(NEXT) | instid1(VALU_DEP_1)
	v_fmac_f32_e32 v6, v4, v8
	v_div_scale_f32 v4, null, v6, v6, 1.0
	v_div_scale_f32 v11, vcc_lo, 1.0, v6, 1.0
	s_delay_alu instid0(VALU_DEP_2) | instskip(SKIP_2) | instid1(VALU_DEP_1)
	v_rcp_f32_e32 v9, v4
	s_waitcnt_depctr 0xfff
	v_fma_f32 v10, -v4, v9, 1.0
	v_fmac_f32_e32 v9, v10, v9
	s_delay_alu instid0(VALU_DEP_1) | instskip(NEXT) | instid1(VALU_DEP_1)
	v_mul_f32_e32 v10, v11, v9
	v_fma_f32 v12, -v4, v10, v11
	s_delay_alu instid0(VALU_DEP_1) | instskip(NEXT) | instid1(VALU_DEP_1)
	v_fmac_f32_e32 v10, v12, v9
	v_fma_f32 v4, -v4, v10, v11
	s_delay_alu instid0(VALU_DEP_1) | instskip(SKIP_1) | instid1(VALU_DEP_2)
	v_div_fmas_f32 v4, v4, v9, v10
	v_fma_f32 v9, v8, 0, 1.0
	v_div_fixup_f32 v4, v4, v6, 1.0
	s_delay_alu instid0(VALU_DEP_1)
	v_mul_f32_e32 v10, v9, v4
	v_mul_f32_e64 v11, -v8, v4
                                        ; implicit-def: $vgpr8
                                        ; implicit-def: $vgpr9
.LBB179_198:
	s_and_not1_saveexec_b32 s6, s1
	s_cbranch_execz .LBB179_200
; %bb.199:
	v_div_scale_f32 v4, null, v8, v8, 1.0
	v_div_scale_f32 v6, null, v9, v9, 0
	v_div_scale_f32 v14, vcc_lo, 1.0, v8, 1.0
	s_delay_alu instid0(VALU_DEP_3) | instskip(NEXT) | instid1(VALU_DEP_2)
	v_rcp_f32_e32 v10, v4
	v_rcp_f32_e32 v11, v6
	s_waitcnt_depctr 0xfff
	v_fma_f32 v12, -v4, v10, 1.0
	v_fma_f32 v13, -v6, v11, 1.0
	s_delay_alu instid0(VALU_DEP_1) | instskip(SKIP_1) | instid1(VALU_DEP_2)
	v_dual_fmac_f32 v10, v12, v10 :: v_dual_fmac_f32 v11, v13, v11
	v_div_scale_f32 v12, s1, 0, v9, 0
	v_mul_f32_e32 v13, v14, v10
	s_delay_alu instid0(VALU_DEP_2) | instskip(NEXT) | instid1(VALU_DEP_2)
	v_mul_f32_e32 v15, v12, v11
	v_fma_f32 v16, -v4, v13, v14
	s_delay_alu instid0(VALU_DEP_2) | instskip(NEXT) | instid1(VALU_DEP_2)
	v_fma_f32 v17, -v6, v15, v12
	v_fmac_f32_e32 v13, v16, v10
	s_delay_alu instid0(VALU_DEP_2) | instskip(NEXT) | instid1(VALU_DEP_2)
	v_fmac_f32_e32 v15, v17, v11
	v_fma_f32 v4, -v4, v13, v14
	s_delay_alu instid0(VALU_DEP_2) | instskip(NEXT) | instid1(VALU_DEP_2)
	v_fma_f32 v6, -v6, v15, v12
	v_div_fmas_f32 v4, v4, v10, v13
	s_mov_b32 vcc_lo, s1
	s_delay_alu instid0(VALU_DEP_2) | instskip(NEXT) | instid1(VALU_DEP_2)
	v_div_fmas_f32 v6, v6, v11, v15
	v_div_fixup_f32 v10, v4, v8, 1.0
	s_delay_alu instid0(VALU_DEP_2)
	v_div_fixup_f32 v11, v6, v9, 0
.LBB179_200:
	s_or_b32 exec_lo, exec_lo, s6
                                        ; implicit-def: $vgpr4
                                        ; implicit-def: $vgpr6
.LBB179_201:
	s_and_not1_saveexec_b32 s1, s2
	s_cbranch_execz .LBB179_203
; %bb.202:
	v_div_scale_f32 v8, null, v4, v4, v6
	v_div_scale_f32 v11, vcc_lo, v6, v4, v6
	s_delay_alu instid0(VALU_DEP_2) | instskip(SKIP_2) | instid1(VALU_DEP_1)
	v_rcp_f32_e32 v9, v8
	s_waitcnt_depctr 0xfff
	v_fma_f32 v10, -v8, v9, 1.0
	v_fmac_f32_e32 v9, v10, v9
	s_delay_alu instid0(VALU_DEP_1) | instskip(NEXT) | instid1(VALU_DEP_1)
	v_mul_f32_e32 v10, v11, v9
	v_fma_f32 v12, -v8, v10, v11
	s_delay_alu instid0(VALU_DEP_1) | instskip(NEXT) | instid1(VALU_DEP_1)
	v_fmac_f32_e32 v10, v12, v9
	v_fma_f32 v8, -v8, v10, v11
	s_delay_alu instid0(VALU_DEP_1) | instskip(NEXT) | instid1(VALU_DEP_1)
	v_div_fmas_f32 v8, v8, v9, v10
	v_div_fixup_f32 v8, v8, v4, v6
	s_delay_alu instid0(VALU_DEP_1) | instskip(NEXT) | instid1(VALU_DEP_1)
	v_fmac_f32_e32 v4, v6, v8
	v_div_scale_f32 v6, null, v4, v4, 1.0
	v_div_scale_f32 v11, vcc_lo, 1.0, v4, 1.0
	s_delay_alu instid0(VALU_DEP_2) | instskip(SKIP_2) | instid1(VALU_DEP_1)
	v_rcp_f32_e32 v9, v6
	s_waitcnt_depctr 0xfff
	v_fma_f32 v10, -v6, v9, 1.0
	v_fmac_f32_e32 v9, v10, v9
	s_delay_alu instid0(VALU_DEP_1) | instskip(NEXT) | instid1(VALU_DEP_1)
	v_mul_f32_e32 v10, v11, v9
	v_fma_f32 v12, -v6, v10, v11
	s_delay_alu instid0(VALU_DEP_1) | instskip(NEXT) | instid1(VALU_DEP_1)
	v_fmac_f32_e32 v10, v12, v9
	v_fma_f32 v6, -v6, v10, v11
	s_delay_alu instid0(VALU_DEP_1) | instskip(SKIP_1) | instid1(VALU_DEP_2)
	v_div_fmas_f32 v6, v6, v9, v10
	v_add_f32_e32 v9, 0, v8
	v_div_fixup_f32 v4, v6, v4, 1.0
	v_fma_f32 v6, v8, 0, -1.0
	s_delay_alu instid0(VALU_DEP_2) | instskip(NEXT) | instid1(VALU_DEP_2)
	v_mul_f32_e32 v10, v9, v4
	v_mul_f32_e32 v11, v6, v4
.LBB179_203:
	s_or_b32 exec_lo, exec_lo, s1
	s_delay_alu instid0(VALU_DEP_1) | instskip(NEXT) | instid1(VALU_DEP_3)
	v_cvt_f16_f32_e32 v4, v11
	v_cvt_f16_f32_e32 v6, v10
	s_delay_alu instid0(VALU_DEP_2) | instskip(NEXT) | instid1(VALU_DEP_2)
	v_lshlrev_b32_e32 v4, 16, v4
	v_and_b32_e32 v6, 0xffff, v6
	s_delay_alu instid0(VALU_DEP_1) | instskip(SKIP_1) | instid1(SALU_CYCLE_1)
	v_or_b32_e32 v4, v4, v6
	s_or_b32 exec_lo, exec_lo, s3
	s_mov_b32 s3, exec_lo
                                        ; implicit-def: $vgpr6
	v_cmpx_gt_i32_e64 s10, v3
	s_cbranch_execz .LBB179_243
.LBB179_204:
	s_waitcnt vmcnt(0)
	v_lshrrev_b32_e32 v6, 16, v7
	v_cmp_neq_f16_e32 vcc_lo, 0, v7
	v_mov_b32_e32 v8, 0
	s_delay_alu instid0(VALU_DEP_3) | instskip(SKIP_1) | instid1(VALU_DEP_2)
	v_cmp_neq_f16_e64 s1, 0, v6
	v_cvt_f32_f16_e32 v6, v6
	s_or_b32 s1, vcc_lo, s1
	s_delay_alu instid0(SALU_CYCLE_1)
	s_and_saveexec_b32 s6, s1
	s_cbranch_execz .LBB179_234
; %bb.205:
	v_mov_b32_e32 v8, 0x7f800000
	s_mov_b32 s7, exec_lo
	v_cmpx_neq_f32_e64 0x7f800000, |v6|
	s_cbranch_execz .LBB179_233
; %bb.206:
	v_cvt_f32_f16_e32 v8, v7
	s_mov_b32 s1, exec_lo
	v_cmpx_o_f16_e32 v7, v7
	s_xor_b32 s9, exec_lo, s1
	s_cbranch_execz .LBB179_230
; %bb.207:
	s_mov_b32 s2, exec_lo
	v_cmpx_neq_f32_e64 0x7f800000, |v8|
	s_xor_b32 s11, exec_lo, s2
	s_cbranch_execz .LBB179_223
; %bb.208:
	v_max_f32_e64 v7, |v6|, |v6|
	v_max_f32_e64 v9, |v8|, |v8|
                                        ; implicit-def: $sgpr12
	s_delay_alu instid0(VALU_DEP_1) | instskip(NEXT) | instid1(VALU_DEP_1)
	v_max_f32_e32 v7, v9, v7
	v_cmp_nle_f32_e64 s1, 0x7ed413cb, v7
	s_delay_alu instid0(VALU_DEP_1) | instskip(NEXT) | instid1(SALU_CYCLE_1)
	s_and_saveexec_b32 s2, s1
	s_xor_b32 s2, exec_lo, s2
	s_cbranch_execz .LBB179_212
; %bb.209:
	v_cmp_ge_f32_e64 s12, 0x1000000, |v8|
	v_cmp_ge_f32_e64 s13, 0x1000000, |v6|
	s_delay_alu instid0(VALU_DEP_1)
	s_and_b32 s14, s12, s13
	s_mov_b32 s12, 0
	s_and_saveexec_b32 s13, s14
; %bb.210:
	v_mul_f32_e32 v8, 4.0, v8
	v_mul_f32_e32 v6, 4.0, v6
	s_mov_b32 s12, exec_lo
; %bb.211:
	s_or_b32 exec_lo, exec_lo, s13
	s_delay_alu instid0(SALU_CYCLE_1)
	s_and_b32 s12, s12, exec_lo
.LBB179_212:
	s_and_not1_saveexec_b32 s2, s2
; %bb.213:
	v_mul_f32_e32 v8, 0x3e800000, v8
	v_mul_f32_e32 v6, 0x3e800000, v6
	s_and_not1_b32 s12, s12, exec_lo
; %bb.214:
	s_or_b32 exec_lo, exec_lo, s2
	s_delay_alu instid0(VALU_DEP_1) | instskip(SKIP_1) | instid1(VALU_DEP_1)
	v_max_f32_e64 v7, |v6|, |v6|
	v_max_f32_e64 v9, |v8|, |v8|
	v_max_f32_e32 v7, v9, v7
	s_delay_alu instid0(VALU_DEP_1) | instskip(SKIP_1) | instid1(VALU_DEP_2)
	v_cvt_f64_f32_e32 v[9:10], v7
	v_cmp_neq_f32_e64 s2, 0x7f800000, v7
                                        ; implicit-def: $vgpr7
	v_frexp_exp_i32_f64_e32 v9, v[9:10]
	s_delay_alu instid0(VALU_DEP_1) | instskip(NEXT) | instid1(VALU_DEP_1)
	v_sub_nc_u32_e32 v10, 0, v9
	v_ldexp_f32 v11, |v6|, v10
	v_ldexp_f32 v10, |v8|, v10
	s_delay_alu instid0(VALU_DEP_2) | instskip(NEXT) | instid1(VALU_DEP_1)
	v_mul_f32_e32 v11, v11, v11
	v_fmac_f32_e32 v11, v10, v10
	s_delay_alu instid0(VALU_DEP_1) | instskip(SKIP_2) | instid1(VALU_DEP_1)
	v_sqrt_f32_e32 v10, v11
	s_waitcnt_depctr 0xfff
	v_ldexp_f32 v9, v10, v9
	v_cndmask_b32_e64 v10, 0x7f800000, v9, s2
                                        ; implicit-def: $vgpr9
	s_mov_b32 s2, exec_lo
	v_cmpx_le_f32_e32 0, v8
	s_xor_b32 s13, exec_lo, s2
	s_cbranch_execz .LBB179_216
; %bb.215:
	v_add_f32_e32 v7, v8, v10
	s_delay_alu instid0(VALU_DEP_1) | instskip(NEXT) | instid1(VALU_DEP_1)
	v_mul_f32_e32 v7, 0.5, v7
	v_mul_f32_e32 v8, 0x4f800000, v7
	v_cmp_gt_f32_e32 vcc_lo, 0xf800000, v7
	s_delay_alu instid0(VALU_DEP_2) | instskip(NEXT) | instid1(VALU_DEP_1)
	v_cndmask_b32_e32 v7, v7, v8, vcc_lo
	v_sqrt_f32_e32 v8, v7
	s_waitcnt_depctr 0xfff
	v_add_nc_u32_e32 v9, -1, v8
	v_add_nc_u32_e32 v10, 1, v8
	s_delay_alu instid0(VALU_DEP_2) | instskip(NEXT) | instid1(VALU_DEP_2)
	v_fma_f32 v11, -v9, v8, v7
	v_fma_f32 v12, -v10, v8, v7
	s_delay_alu instid0(VALU_DEP_2) | instskip(NEXT) | instid1(VALU_DEP_1)
	v_cmp_ge_f32_e64 s2, 0, v11
	v_cndmask_b32_e64 v8, v8, v9, s2
	s_delay_alu instid0(VALU_DEP_3) | instskip(NEXT) | instid1(VALU_DEP_1)
	v_cmp_lt_f32_e64 s2, 0, v12
	v_cndmask_b32_e64 v8, v8, v10, s2
	s_delay_alu instid0(VALU_DEP_1) | instskip(NEXT) | instid1(VALU_DEP_1)
	v_mul_f32_e32 v9, 0x37800000, v8
	v_cndmask_b32_e32 v8, v8, v9, vcc_lo
	v_cmp_class_f32_e64 vcc_lo, v7, 0x260
	s_delay_alu instid0(VALU_DEP_2) | instskip(NEXT) | instid1(VALU_DEP_1)
	v_cndmask_b32_e32 v7, v8, v7, vcc_lo
	v_add_f32_e32 v8, v7, v7
	s_delay_alu instid0(VALU_DEP_1) | instskip(NEXT) | instid1(VALU_DEP_1)
	v_div_scale_f32 v9, null, v8, v8, v6
	v_rcp_f32_e32 v10, v9
	s_waitcnt_depctr 0xfff
	v_fma_f32 v11, -v9, v10, 1.0
	s_delay_alu instid0(VALU_DEP_1) | instskip(SKIP_1) | instid1(VALU_DEP_1)
	v_fmac_f32_e32 v10, v11, v10
	v_div_scale_f32 v11, vcc_lo, v6, v8, v6
	v_mul_f32_e32 v12, v11, v10
	s_delay_alu instid0(VALU_DEP_1) | instskip(NEXT) | instid1(VALU_DEP_1)
	v_fma_f32 v13, -v9, v12, v11
	v_fmac_f32_e32 v12, v13, v10
	s_delay_alu instid0(VALU_DEP_1) | instskip(NEXT) | instid1(VALU_DEP_1)
	v_fma_f32 v9, -v9, v12, v11
	v_div_fmas_f32 v9, v9, v10, v12
                                        ; implicit-def: $vgpr10
	s_delay_alu instid0(VALU_DEP_1)
	v_div_fixup_f32 v9, v9, v8, v6
                                        ; implicit-def: $vgpr8
                                        ; implicit-def: $vgpr6
	s_and_not1_saveexec_b32 s13, s13
	s_cbranch_execz .LBB179_218
	s_branch .LBB179_217
.LBB179_216:
	s_and_not1_saveexec_b32 s13, s13
	s_cbranch_execz .LBB179_218
.LBB179_217:
	v_sub_f32_e32 v7, v10, v8
	s_delay_alu instid0(VALU_DEP_1) | instskip(NEXT) | instid1(VALU_DEP_1)
	v_mul_f32_e32 v7, 0.5, v7
	v_mul_f32_e32 v8, 0x4f800000, v7
	v_cmp_gt_f32_e32 vcc_lo, 0xf800000, v7
	s_delay_alu instid0(VALU_DEP_2) | instskip(NEXT) | instid1(VALU_DEP_1)
	v_cndmask_b32_e32 v7, v7, v8, vcc_lo
	v_sqrt_f32_e32 v8, v7
	s_waitcnt_depctr 0xfff
	v_add_nc_u32_e32 v9, -1, v8
	v_add_nc_u32_e32 v10, 1, v8
	s_delay_alu instid0(VALU_DEP_2) | instskip(NEXT) | instid1(VALU_DEP_2)
	v_fma_f32 v11, -v9, v8, v7
	v_fma_f32 v12, -v10, v8, v7
	s_delay_alu instid0(VALU_DEP_2) | instskip(NEXT) | instid1(VALU_DEP_1)
	v_cmp_ge_f32_e64 s2, 0, v11
	v_cndmask_b32_e64 v8, v8, v9, s2
	s_delay_alu instid0(VALU_DEP_3) | instskip(NEXT) | instid1(VALU_DEP_1)
	v_cmp_lt_f32_e64 s2, 0, v12
	v_cndmask_b32_e64 v8, v8, v10, s2
	s_delay_alu instid0(VALU_DEP_1) | instskip(NEXT) | instid1(VALU_DEP_1)
	v_mul_f32_e32 v9, 0x37800000, v8
	v_cndmask_b32_e32 v8, v8, v9, vcc_lo
	v_cmp_class_f32_e64 vcc_lo, v7, 0x260
	s_delay_alu instid0(VALU_DEP_2) | instskip(NEXT) | instid1(VALU_DEP_1)
	v_dual_cndmask_b32 v8, v8, v7 :: v_dual_and_b32 v7, 0x7fffffff, v6
	v_add_f32_e32 v9, v8, v8
	s_delay_alu instid0(VALU_DEP_1) | instskip(SKIP_1) | instid1(VALU_DEP_2)
	v_div_scale_f32 v10, null, v9, v9, v7
	v_div_scale_f32 v7, vcc_lo, v7, v9, v7
	v_rcp_f32_e32 v11, v10
	s_waitcnt_depctr 0xfff
	v_fma_f32 v12, -v10, v11, 1.0
	s_delay_alu instid0(VALU_DEP_1) | instskip(NEXT) | instid1(VALU_DEP_1)
	v_fmac_f32_e32 v11, v12, v11
	v_mul_f32_e32 v12, v7, v11
	s_delay_alu instid0(VALU_DEP_1) | instskip(NEXT) | instid1(VALU_DEP_1)
	v_fma_f32 v13, -v10, v12, v7
	v_fmac_f32_e32 v12, v13, v11
	s_delay_alu instid0(VALU_DEP_1) | instskip(NEXT) | instid1(VALU_DEP_1)
	v_fma_f32 v7, -v10, v12, v7
	v_div_fmas_f32 v7, v7, v11, v12
	s_delay_alu instid0(VALU_DEP_1)
	v_div_fixup_f32 v7, v7, v9, |v6|
	v_bfi_b32 v9, 0x7fffffff, v8, v6
.LBB179_218:
	s_or_b32 exec_lo, exec_lo, s13
                                        ; implicit-def: $vgpr6
                                        ; implicit-def: $vgpr8
	s_and_saveexec_b32 s2, s1
	s_delay_alu instid0(SALU_CYCLE_1)
	s_xor_b32 s1, exec_lo, s2
	s_cbranch_execz .LBB179_220
; %bb.219:
	v_mul_f32_e32 v6, 0.5, v7
	v_mul_f32_e32 v10, 0.5, v9
	s_delay_alu instid0(VALU_DEP_2) | instskip(NEXT) | instid1(VALU_DEP_2)
	v_cndmask_b32_e64 v8, v7, v6, s12
	v_cndmask_b32_e64 v6, v9, v10, s12
                                        ; implicit-def: $vgpr7
                                        ; implicit-def: $vgpr9
	s_and_not1_saveexec_b32 s1, s1
	s_cbranch_execnz .LBB179_221
	s_branch .LBB179_222
.LBB179_220:
	s_and_not1_saveexec_b32 s1, s1
.LBB179_221:
	v_add_f32_e32 v8, v7, v7
	v_add_f32_e32 v6, v9, v9
.LBB179_222:
	s_or_b32 exec_lo, exec_lo, s1
                                        ; implicit-def: $vgpr7
.LBB179_223:
	s_and_not1_saveexec_b32 s1, s11
	s_cbranch_execz .LBB179_229
; %bb.224:
	v_cmp_lt_i16_e32 vcc_lo, -1, v7
	v_sub_f32_e32 v7, v6, v6
	s_and_saveexec_b32 s2, vcc_lo
	s_delay_alu instid0(SALU_CYCLE_1)
	s_xor_b32 s2, exec_lo, s2
; %bb.225:
	s_delay_alu instid0(VALU_DEP_1)
	v_bfi_b32 v6, 0x7fffffff, v7, v6
                                        ; implicit-def: $vgpr7
; %bb.226:
	s_and_not1_saveexec_b32 s2, s2
; %bb.227:
	v_and_b32_e32 v7, 0x7fffffff, v7
	s_delay_alu instid0(VALU_DEP_2) | instskip(NEXT) | instid1(VALU_DEP_2)
	v_bfi_b32 v6, 0x7fffffff, v8, v6
	v_mov_b32_e32 v8, v7
; %bb.228:
	s_or_b32 exec_lo, exec_lo, s2
.LBB179_229:
	s_delay_alu instid0(SALU_CYCLE_1)
	s_or_b32 exec_lo, exec_lo, s1
.LBB179_230:
	s_and_not1_saveexec_b32 s1, s9
; %bb.231:
	v_sub_f32_e32 v6, v6, v6
	s_delay_alu instid0(VALU_DEP_1) | instskip(NEXT) | instid1(VALU_DEP_1)
	v_div_scale_f32 v7, vcc_lo, v6, v6, v6
	v_rcp_f32_e32 v9, v7
	s_waitcnt_depctr 0xfff
	v_fma_f32 v10, -v7, v9, 1.0
	s_delay_alu instid0(VALU_DEP_1) | instskip(NEXT) | instid1(VALU_DEP_1)
	v_fmac_f32_e32 v9, v10, v9
	v_mul_f32_e32 v10, v7, v9
	s_delay_alu instid0(VALU_DEP_1) | instskip(NEXT) | instid1(VALU_DEP_1)
	v_fma_f32 v11, -v7, v10, v7
	v_fmac_f32_e32 v10, v11, v9
	s_delay_alu instid0(VALU_DEP_1) | instskip(NEXT) | instid1(VALU_DEP_1)
	v_fma_f32 v7, -v7, v10, v7
	v_div_fmas_f32 v7, v7, v9, v10
	s_delay_alu instid0(VALU_DEP_1)
	v_div_fixup_f32 v6, v7, v6, v6
; %bb.232:
	s_or_b32 exec_lo, exec_lo, s1
.LBB179_233:
	s_delay_alu instid0(SALU_CYCLE_1)
	s_or_b32 exec_lo, exec_lo, s7
.LBB179_234:
	s_delay_alu instid0(SALU_CYCLE_1)
	s_or_b32 exec_lo, exec_lo, s6
	v_cmp_gt_f32_e32 vcc_lo, 0, v8
                                        ; implicit-def: $vgpr11
                                        ; implicit-def: $vgpr10
	s_mov_b32 s1, exec_lo
	v_cndmask_b32_e64 v7, v8, -v8, vcc_lo
	v_cmp_gt_f32_e32 vcc_lo, 0, v6
	v_cndmask_b32_e64 v9, v6, -v6, vcc_lo
	s_delay_alu instid0(VALU_DEP_1)
	v_cmpx_ge_f32_e32 v7, v9
	s_xor_b32 s2, exec_lo, s1
	s_cbranch_execz .LBB179_240
; %bb.235:
	v_cmp_neq_f32_e32 vcc_lo, 0, v8
	v_cmp_neq_f32_e64 s1, 0, v6
                                        ; implicit-def: $vgpr11
                                        ; implicit-def: $vgpr10
	s_delay_alu instid0(VALU_DEP_1) | instskip(NEXT) | instid1(SALU_CYCLE_1)
	s_or_b32 s1, vcc_lo, s1
	s_and_saveexec_b32 s6, s1
	s_delay_alu instid0(SALU_CYCLE_1)
	s_xor_b32 s1, exec_lo, s6
	s_cbranch_execz .LBB179_237
; %bb.236:
	v_div_scale_f32 v7, null, v8, v8, v6
	v_div_scale_f32 v11, vcc_lo, v6, v8, v6
	s_delay_alu instid0(VALU_DEP_2) | instskip(SKIP_2) | instid1(VALU_DEP_1)
	v_rcp_f32_e32 v9, v7
	s_waitcnt_depctr 0xfff
	v_fma_f32 v10, -v7, v9, 1.0
	v_fmac_f32_e32 v9, v10, v9
	s_delay_alu instid0(VALU_DEP_1) | instskip(NEXT) | instid1(VALU_DEP_1)
	v_mul_f32_e32 v10, v11, v9
	v_fma_f32 v12, -v7, v10, v11
	s_delay_alu instid0(VALU_DEP_1) | instskip(NEXT) | instid1(VALU_DEP_1)
	v_fmac_f32_e32 v10, v12, v9
	v_fma_f32 v7, -v7, v10, v11
	s_delay_alu instid0(VALU_DEP_1) | instskip(NEXT) | instid1(VALU_DEP_1)
	v_div_fmas_f32 v7, v7, v9, v10
	v_div_fixup_f32 v7, v7, v8, v6
	s_delay_alu instid0(VALU_DEP_1) | instskip(NEXT) | instid1(VALU_DEP_1)
	v_fmac_f32_e32 v8, v6, v7
	v_div_scale_f32 v6, null, v8, v8, 1.0
	v_div_scale_f32 v11, vcc_lo, 1.0, v8, 1.0
	s_delay_alu instid0(VALU_DEP_2) | instskip(SKIP_2) | instid1(VALU_DEP_1)
	v_rcp_f32_e32 v9, v6
	s_waitcnt_depctr 0xfff
	v_fma_f32 v10, -v6, v9, 1.0
	v_fmac_f32_e32 v9, v10, v9
	s_delay_alu instid0(VALU_DEP_1) | instskip(NEXT) | instid1(VALU_DEP_1)
	v_mul_f32_e32 v10, v11, v9
	v_fma_f32 v12, -v6, v10, v11
	s_delay_alu instid0(VALU_DEP_1) | instskip(NEXT) | instid1(VALU_DEP_1)
	v_fmac_f32_e32 v10, v12, v9
	v_fma_f32 v6, -v6, v10, v11
	s_delay_alu instid0(VALU_DEP_1) | instskip(SKIP_1) | instid1(VALU_DEP_2)
	v_div_fmas_f32 v6, v6, v9, v10
	v_fma_f32 v9, v7, 0, 1.0
	v_div_fixup_f32 v6, v6, v8, 1.0
	s_delay_alu instid0(VALU_DEP_1)
	v_mul_f32_e32 v10, v9, v6
	v_mul_f32_e64 v11, -v7, v6
                                        ; implicit-def: $vgpr7
                                        ; implicit-def: $vgpr9
.LBB179_237:
	s_and_not1_saveexec_b32 s6, s1
	s_cbranch_execz .LBB179_239
; %bb.238:
	v_div_scale_f32 v6, null, v7, v7, 1.0
	v_div_scale_f32 v8, null, v9, v9, 0
	v_div_scale_f32 v14, vcc_lo, 1.0, v7, 1.0
	s_delay_alu instid0(VALU_DEP_3) | instskip(NEXT) | instid1(VALU_DEP_2)
	v_rcp_f32_e32 v10, v6
	v_rcp_f32_e32 v11, v8
	s_waitcnt_depctr 0xfff
	v_fma_f32 v12, -v6, v10, 1.0
	v_fma_f32 v13, -v8, v11, 1.0
	s_delay_alu instid0(VALU_DEP_1) | instskip(SKIP_1) | instid1(VALU_DEP_2)
	v_dual_fmac_f32 v10, v12, v10 :: v_dual_fmac_f32 v11, v13, v11
	v_div_scale_f32 v12, s1, 0, v9, 0
	v_mul_f32_e32 v13, v14, v10
	s_delay_alu instid0(VALU_DEP_2) | instskip(NEXT) | instid1(VALU_DEP_2)
	v_mul_f32_e32 v15, v12, v11
	v_fma_f32 v16, -v6, v13, v14
	s_delay_alu instid0(VALU_DEP_2) | instskip(NEXT) | instid1(VALU_DEP_2)
	v_fma_f32 v17, -v8, v15, v12
	v_fmac_f32_e32 v13, v16, v10
	s_delay_alu instid0(VALU_DEP_2) | instskip(NEXT) | instid1(VALU_DEP_2)
	v_fmac_f32_e32 v15, v17, v11
	v_fma_f32 v6, -v6, v13, v14
	s_delay_alu instid0(VALU_DEP_2) | instskip(NEXT) | instid1(VALU_DEP_2)
	v_fma_f32 v8, -v8, v15, v12
	v_div_fmas_f32 v6, v6, v10, v13
	s_mov_b32 vcc_lo, s1
	s_delay_alu instid0(VALU_DEP_2) | instskip(NEXT) | instid1(VALU_DEP_2)
	v_div_fmas_f32 v8, v8, v11, v15
	v_div_fixup_f32 v10, v6, v7, 1.0
	s_delay_alu instid0(VALU_DEP_2)
	v_div_fixup_f32 v11, v8, v9, 0
.LBB179_239:
	s_or_b32 exec_lo, exec_lo, s6
                                        ; implicit-def: $vgpr6
                                        ; implicit-def: $vgpr8
.LBB179_240:
	s_and_not1_saveexec_b32 s1, s2
	s_cbranch_execz .LBB179_242
; %bb.241:
	v_div_scale_f32 v7, null, v6, v6, v8
	v_div_scale_f32 v11, vcc_lo, v8, v6, v8
	s_delay_alu instid0(VALU_DEP_2) | instskip(SKIP_2) | instid1(VALU_DEP_1)
	v_rcp_f32_e32 v9, v7
	s_waitcnt_depctr 0xfff
	v_fma_f32 v10, -v7, v9, 1.0
	v_fmac_f32_e32 v9, v10, v9
	s_delay_alu instid0(VALU_DEP_1) | instskip(NEXT) | instid1(VALU_DEP_1)
	v_mul_f32_e32 v10, v11, v9
	v_fma_f32 v12, -v7, v10, v11
	s_delay_alu instid0(VALU_DEP_1) | instskip(NEXT) | instid1(VALU_DEP_1)
	v_fmac_f32_e32 v10, v12, v9
	v_fma_f32 v7, -v7, v10, v11
	s_delay_alu instid0(VALU_DEP_1) | instskip(NEXT) | instid1(VALU_DEP_1)
	v_div_fmas_f32 v7, v7, v9, v10
	v_div_fixup_f32 v7, v7, v6, v8
	s_delay_alu instid0(VALU_DEP_1) | instskip(NEXT) | instid1(VALU_DEP_1)
	v_fmac_f32_e32 v6, v8, v7
	v_div_scale_f32 v8, null, v6, v6, 1.0
	v_div_scale_f32 v11, vcc_lo, 1.0, v6, 1.0
	s_delay_alu instid0(VALU_DEP_2) | instskip(SKIP_2) | instid1(VALU_DEP_1)
	v_rcp_f32_e32 v9, v8
	s_waitcnt_depctr 0xfff
	v_fma_f32 v10, -v8, v9, 1.0
	v_fmac_f32_e32 v9, v10, v9
	s_delay_alu instid0(VALU_DEP_1) | instskip(NEXT) | instid1(VALU_DEP_1)
	v_mul_f32_e32 v10, v11, v9
	v_fma_f32 v12, -v8, v10, v11
	s_delay_alu instid0(VALU_DEP_1) | instskip(NEXT) | instid1(VALU_DEP_1)
	v_fmac_f32_e32 v10, v12, v9
	v_fma_f32 v8, -v8, v10, v11
	s_delay_alu instid0(VALU_DEP_1) | instskip(SKIP_2) | instid1(VALU_DEP_3)
	v_div_fmas_f32 v8, v8, v9, v10
	v_add_f32_e32 v9, 0, v7
	v_fma_f32 v7, v7, 0, -1.0
	v_div_fixup_f32 v6, v8, v6, 1.0
	s_delay_alu instid0(VALU_DEP_1) | instskip(NEXT) | instid1(VALU_DEP_4)
	v_mul_f32_e32 v11, v7, v6
	v_mul_f32_e32 v10, v9, v6
.LBB179_242:
	s_or_b32 exec_lo, exec_lo, s1
	s_delay_alu instid0(VALU_DEP_1) | instskip(NEXT) | instid1(VALU_DEP_2)
	v_cvt_f16_f32_e32 v6, v11
	v_cvt_f16_f32_e32 v7, v10
	s_delay_alu instid0(VALU_DEP_2) | instskip(NEXT) | instid1(VALU_DEP_2)
	v_lshlrev_b32_e32 v6, 16, v6
	v_and_b32_e32 v7, 0xffff, v7
	s_delay_alu instid0(VALU_DEP_1)
	v_or_b32_e32 v6, v6, v7
.LBB179_243:
	s_or_b32 exec_lo, exec_lo, s3
	s_waitcnt vmcnt(0)
	v_or_b32_e32 v7, 0x200, v0
	s_delay_alu instid0(VALU_DEP_1)
	v_cmp_gt_i32_e32 vcc_lo, s10, v7
                                        ; implicit-def: $vgpr7
	s_and_saveexec_b32 s3, vcc_lo
	s_cbranch_execz .LBB179_283
; %bb.244:
	v_lshrrev_b32_e32 v7, 16, v5
	v_cmp_neq_f16_e32 vcc_lo, 0, v5
	v_mov_b32_e32 v8, 0
	s_delay_alu instid0(VALU_DEP_3) | instskip(SKIP_1) | instid1(VALU_DEP_2)
	v_cmp_neq_f16_e64 s1, 0, v7
	v_cvt_f32_f16_e32 v7, v7
	s_or_b32 s1, vcc_lo, s1
	s_delay_alu instid0(SALU_CYCLE_1)
	s_and_saveexec_b32 s6, s1
	s_cbranch_execz .LBB179_274
; %bb.245:
	v_mov_b32_e32 v8, 0x7f800000
	s_mov_b32 s7, exec_lo
	v_cmpx_neq_f32_e64 0x7f800000, |v7|
	s_cbranch_execz .LBB179_273
; %bb.246:
	v_cvt_f32_f16_e32 v8, v5
	s_mov_b32 s1, exec_lo
	v_cmpx_o_f16_e32 v5, v5
	s_xor_b32 s9, exec_lo, s1
	s_cbranch_execz .LBB179_270
; %bb.247:
	s_mov_b32 s2, exec_lo
	v_cmpx_neq_f32_e64 0x7f800000, |v8|
	s_xor_b32 s11, exec_lo, s2
	s_cbranch_execz .LBB179_263
; %bb.248:
	v_max_f32_e64 v5, |v7|, |v7|
	v_max_f32_e64 v9, |v8|, |v8|
                                        ; implicit-def: $sgpr12
	s_delay_alu instid0(VALU_DEP_1) | instskip(NEXT) | instid1(VALU_DEP_1)
	v_max_f32_e32 v5, v9, v5
	v_cmp_nle_f32_e64 s1, 0x7ed413cb, v5
	s_delay_alu instid0(VALU_DEP_1) | instskip(NEXT) | instid1(SALU_CYCLE_1)
	s_and_saveexec_b32 s2, s1
	s_xor_b32 s2, exec_lo, s2
	s_cbranch_execz .LBB179_252
; %bb.249:
	v_cmp_ge_f32_e64 s12, 0x1000000, |v8|
	v_cmp_ge_f32_e64 s13, 0x1000000, |v7|
	s_delay_alu instid0(VALU_DEP_1)
	s_and_b32 s14, s12, s13
	s_mov_b32 s12, 0
	s_and_saveexec_b32 s13, s14
; %bb.250:
	v_dual_mul_f32 v8, 4.0, v8 :: v_dual_mul_f32 v7, 4.0, v7
	s_mov_b32 s12, exec_lo
; %bb.251:
	s_or_b32 exec_lo, exec_lo, s13
	s_delay_alu instid0(SALU_CYCLE_1)
	s_and_b32 s12, s12, exec_lo
.LBB179_252:
	s_and_not1_saveexec_b32 s2, s2
; %bb.253:
	v_dual_mul_f32 v8, 0x3e800000, v8 :: v_dual_mul_f32 v7, 0x3e800000, v7
	s_and_not1_b32 s12, s12, exec_lo
; %bb.254:
	s_or_b32 exec_lo, exec_lo, s2
	s_delay_alu instid0(VALU_DEP_1) | instskip(NEXT) | instid1(VALU_DEP_2)
	v_max_f32_e64 v5, |v7|, |v7|
	v_max_f32_e64 v9, |v8|, |v8|
	s_delay_alu instid0(VALU_DEP_1) | instskip(NEXT) | instid1(VALU_DEP_1)
	v_max_f32_e32 v5, v9, v5
	v_cvt_f64_f32_e32 v[9:10], v5
	v_cmp_neq_f32_e64 s2, 0x7f800000, v5
                                        ; implicit-def: $vgpr5
	s_delay_alu instid0(VALU_DEP_2) | instskip(NEXT) | instid1(VALU_DEP_1)
	v_frexp_exp_i32_f64_e32 v9, v[9:10]
	v_sub_nc_u32_e32 v10, 0, v9
	s_delay_alu instid0(VALU_DEP_1) | instskip(SKIP_1) | instid1(VALU_DEP_2)
	v_ldexp_f32 v11, |v7|, v10
	v_ldexp_f32 v10, |v8|, v10
	v_mul_f32_e32 v11, v11, v11
	s_delay_alu instid0(VALU_DEP_1) | instskip(NEXT) | instid1(VALU_DEP_1)
	v_fmac_f32_e32 v11, v10, v10
	v_sqrt_f32_e32 v10, v11
	s_waitcnt_depctr 0xfff
	v_ldexp_f32 v9, v10, v9
	s_delay_alu instid0(VALU_DEP_1)
	v_cndmask_b32_e64 v10, 0x7f800000, v9, s2
                                        ; implicit-def: $vgpr9
	s_mov_b32 s2, exec_lo
	v_cmpx_le_f32_e32 0, v8
	s_xor_b32 s13, exec_lo, s2
	s_cbranch_execz .LBB179_256
; %bb.255:
	v_add_f32_e32 v5, v8, v10
	s_delay_alu instid0(VALU_DEP_1) | instskip(NEXT) | instid1(VALU_DEP_1)
	v_mul_f32_e32 v5, 0.5, v5
	v_mul_f32_e32 v8, 0x4f800000, v5
	v_cmp_gt_f32_e32 vcc_lo, 0xf800000, v5
	s_delay_alu instid0(VALU_DEP_2) | instskip(NEXT) | instid1(VALU_DEP_1)
	v_cndmask_b32_e32 v5, v5, v8, vcc_lo
	v_sqrt_f32_e32 v8, v5
	s_waitcnt_depctr 0xfff
	v_add_nc_u32_e32 v9, -1, v8
	v_add_nc_u32_e32 v10, 1, v8
	s_delay_alu instid0(VALU_DEP_2) | instskip(NEXT) | instid1(VALU_DEP_2)
	v_fma_f32 v11, -v9, v8, v5
	v_fma_f32 v12, -v10, v8, v5
	s_delay_alu instid0(VALU_DEP_2) | instskip(NEXT) | instid1(VALU_DEP_1)
	v_cmp_ge_f32_e64 s2, 0, v11
	v_cndmask_b32_e64 v8, v8, v9, s2
	s_delay_alu instid0(VALU_DEP_3) | instskip(NEXT) | instid1(VALU_DEP_1)
	v_cmp_lt_f32_e64 s2, 0, v12
	v_cndmask_b32_e64 v8, v8, v10, s2
	s_delay_alu instid0(VALU_DEP_1) | instskip(NEXT) | instid1(VALU_DEP_1)
	v_mul_f32_e32 v9, 0x37800000, v8
	v_cndmask_b32_e32 v8, v8, v9, vcc_lo
	v_cmp_class_f32_e64 vcc_lo, v5, 0x260
	s_delay_alu instid0(VALU_DEP_2) | instskip(NEXT) | instid1(VALU_DEP_1)
	v_cndmask_b32_e32 v5, v8, v5, vcc_lo
	v_add_f32_e32 v8, v5, v5
	s_delay_alu instid0(VALU_DEP_1) | instskip(NEXT) | instid1(VALU_DEP_1)
	v_div_scale_f32 v9, null, v8, v8, v7
	v_rcp_f32_e32 v10, v9
	s_waitcnt_depctr 0xfff
	v_fma_f32 v11, -v9, v10, 1.0
	s_delay_alu instid0(VALU_DEP_1) | instskip(SKIP_1) | instid1(VALU_DEP_1)
	v_fmac_f32_e32 v10, v11, v10
	v_div_scale_f32 v11, vcc_lo, v7, v8, v7
	v_mul_f32_e32 v12, v11, v10
	s_delay_alu instid0(VALU_DEP_1) | instskip(NEXT) | instid1(VALU_DEP_1)
	v_fma_f32 v13, -v9, v12, v11
	v_fmac_f32_e32 v12, v13, v10
	s_delay_alu instid0(VALU_DEP_1) | instskip(NEXT) | instid1(VALU_DEP_1)
	v_fma_f32 v9, -v9, v12, v11
	v_div_fmas_f32 v9, v9, v10, v12
                                        ; implicit-def: $vgpr10
	s_delay_alu instid0(VALU_DEP_1)
	v_div_fixup_f32 v9, v9, v8, v7
                                        ; implicit-def: $vgpr8
                                        ; implicit-def: $vgpr7
	s_and_not1_saveexec_b32 s13, s13
	s_cbranch_execz .LBB179_258
	s_branch .LBB179_257
.LBB179_256:
	s_and_not1_saveexec_b32 s13, s13
	s_cbranch_execz .LBB179_258
.LBB179_257:
	v_sub_f32_e32 v5, v10, v8
	s_delay_alu instid0(VALU_DEP_1) | instskip(NEXT) | instid1(VALU_DEP_1)
	v_mul_f32_e32 v5, 0.5, v5
	v_mul_f32_e32 v8, 0x4f800000, v5
	v_cmp_gt_f32_e32 vcc_lo, 0xf800000, v5
	s_delay_alu instid0(VALU_DEP_2) | instskip(NEXT) | instid1(VALU_DEP_1)
	v_cndmask_b32_e32 v5, v5, v8, vcc_lo
	v_sqrt_f32_e32 v8, v5
	s_waitcnt_depctr 0xfff
	v_add_nc_u32_e32 v9, -1, v8
	v_add_nc_u32_e32 v10, 1, v8
	s_delay_alu instid0(VALU_DEP_2) | instskip(NEXT) | instid1(VALU_DEP_2)
	v_fma_f32 v11, -v9, v8, v5
	v_fma_f32 v12, -v10, v8, v5
	s_delay_alu instid0(VALU_DEP_2) | instskip(NEXT) | instid1(VALU_DEP_1)
	v_cmp_ge_f32_e64 s2, 0, v11
	v_cndmask_b32_e64 v8, v8, v9, s2
	s_delay_alu instid0(VALU_DEP_3) | instskip(NEXT) | instid1(VALU_DEP_1)
	v_cmp_lt_f32_e64 s2, 0, v12
	v_cndmask_b32_e64 v8, v8, v10, s2
	s_delay_alu instid0(VALU_DEP_1) | instskip(NEXT) | instid1(VALU_DEP_1)
	v_mul_f32_e32 v9, 0x37800000, v8
	v_cndmask_b32_e32 v8, v8, v9, vcc_lo
	v_cmp_class_f32_e64 vcc_lo, v5, 0x260
	s_delay_alu instid0(VALU_DEP_2) | instskip(NEXT) | instid1(VALU_DEP_1)
	v_dual_cndmask_b32 v8, v8, v5 :: v_dual_and_b32 v5, 0x7fffffff, v7
	v_add_f32_e32 v9, v8, v8
	s_delay_alu instid0(VALU_DEP_1) | instskip(SKIP_1) | instid1(VALU_DEP_2)
	v_div_scale_f32 v10, null, v9, v9, v5
	v_div_scale_f32 v5, vcc_lo, v5, v9, v5
	v_rcp_f32_e32 v11, v10
	s_waitcnt_depctr 0xfff
	v_fma_f32 v12, -v10, v11, 1.0
	s_delay_alu instid0(VALU_DEP_1) | instskip(NEXT) | instid1(VALU_DEP_1)
	v_fmac_f32_e32 v11, v12, v11
	v_mul_f32_e32 v12, v5, v11
	s_delay_alu instid0(VALU_DEP_1) | instskip(NEXT) | instid1(VALU_DEP_1)
	v_fma_f32 v13, -v10, v12, v5
	v_fmac_f32_e32 v12, v13, v11
	s_delay_alu instid0(VALU_DEP_1) | instskip(NEXT) | instid1(VALU_DEP_1)
	v_fma_f32 v5, -v10, v12, v5
	v_div_fmas_f32 v5, v5, v11, v12
	s_delay_alu instid0(VALU_DEP_1)
	v_div_fixup_f32 v5, v5, v9, |v7|
	v_bfi_b32 v9, 0x7fffffff, v8, v7
.LBB179_258:
	s_or_b32 exec_lo, exec_lo, s13
                                        ; implicit-def: $vgpr7
                                        ; implicit-def: $vgpr8
	s_and_saveexec_b32 s2, s1
	s_delay_alu instid0(SALU_CYCLE_1)
	s_xor_b32 s1, exec_lo, s2
	s_cbranch_execz .LBB179_260
; %bb.259:
	v_mul_f32_e32 v7, 0.5, v5
	v_mul_f32_e32 v10, 0.5, v9
	s_delay_alu instid0(VALU_DEP_2) | instskip(NEXT) | instid1(VALU_DEP_2)
	v_cndmask_b32_e64 v8, v5, v7, s12
	v_cndmask_b32_e64 v7, v9, v10, s12
                                        ; implicit-def: $vgpr5
                                        ; implicit-def: $vgpr9
	s_and_not1_saveexec_b32 s1, s1
	s_cbranch_execnz .LBB179_261
	s_branch .LBB179_262
.LBB179_260:
	s_and_not1_saveexec_b32 s1, s1
.LBB179_261:
	v_add_f32_e32 v8, v5, v5
	v_add_f32_e32 v7, v9, v9
.LBB179_262:
	s_or_b32 exec_lo, exec_lo, s1
                                        ; implicit-def: $vgpr5
.LBB179_263:
	s_and_not1_saveexec_b32 s1, s11
	s_cbranch_execz .LBB179_269
; %bb.264:
	v_cmp_lt_i16_e32 vcc_lo, -1, v5
	v_sub_f32_e32 v5, v7, v7
	s_and_saveexec_b32 s2, vcc_lo
	s_delay_alu instid0(SALU_CYCLE_1)
	s_xor_b32 s2, exec_lo, s2
; %bb.265:
	s_delay_alu instid0(VALU_DEP_1)
	v_bfi_b32 v7, 0x7fffffff, v5, v7
                                        ; implicit-def: $vgpr5
; %bb.266:
	s_and_not1_saveexec_b32 s2, s2
; %bb.267:
	v_and_b32_e32 v5, 0x7fffffff, v5
	s_delay_alu instid0(VALU_DEP_2) | instskip(NEXT) | instid1(VALU_DEP_2)
	v_bfi_b32 v7, 0x7fffffff, v8, v7
	v_mov_b32_e32 v8, v5
; %bb.268:
	s_or_b32 exec_lo, exec_lo, s2
.LBB179_269:
	s_delay_alu instid0(SALU_CYCLE_1)
	s_or_b32 exec_lo, exec_lo, s1
.LBB179_270:
	s_and_not1_saveexec_b32 s1, s9
; %bb.271:
	v_sub_f32_e32 v5, v7, v7
	s_delay_alu instid0(VALU_DEP_1) | instskip(NEXT) | instid1(VALU_DEP_1)
	v_div_scale_f32 v7, vcc_lo, v5, v5, v5
	v_rcp_f32_e32 v9, v7
	s_waitcnt_depctr 0xfff
	v_fma_f32 v10, -v7, v9, 1.0
	s_delay_alu instid0(VALU_DEP_1) | instskip(NEXT) | instid1(VALU_DEP_1)
	v_fmac_f32_e32 v9, v10, v9
	v_mul_f32_e32 v10, v7, v9
	s_delay_alu instid0(VALU_DEP_1) | instskip(NEXT) | instid1(VALU_DEP_1)
	v_fma_f32 v11, -v7, v10, v7
	v_fmac_f32_e32 v10, v11, v9
	s_delay_alu instid0(VALU_DEP_1) | instskip(NEXT) | instid1(VALU_DEP_1)
	v_fma_f32 v7, -v7, v10, v7
	v_div_fmas_f32 v7, v7, v9, v10
	s_delay_alu instid0(VALU_DEP_1)
	v_div_fixup_f32 v7, v7, v5, v5
; %bb.272:
	s_or_b32 exec_lo, exec_lo, s1
.LBB179_273:
	s_delay_alu instid0(SALU_CYCLE_1)
	s_or_b32 exec_lo, exec_lo, s7
.LBB179_274:
	s_delay_alu instid0(SALU_CYCLE_1)
	s_or_b32 exec_lo, exec_lo, s6
	v_cmp_gt_f32_e32 vcc_lo, 0, v8
                                        ; implicit-def: $vgpr11
                                        ; implicit-def: $vgpr10
	s_mov_b32 s1, exec_lo
	v_cndmask_b32_e64 v5, v8, -v8, vcc_lo
	v_cmp_gt_f32_e32 vcc_lo, 0, v7
	v_cndmask_b32_e64 v9, v7, -v7, vcc_lo
	s_delay_alu instid0(VALU_DEP_1)
	v_cmpx_ge_f32_e32 v5, v9
	s_xor_b32 s2, exec_lo, s1
	s_cbranch_execz .LBB179_280
; %bb.275:
	v_cmp_neq_f32_e32 vcc_lo, 0, v8
	v_cmp_neq_f32_e64 s1, 0, v7
                                        ; implicit-def: $vgpr11
                                        ; implicit-def: $vgpr10
	s_delay_alu instid0(VALU_DEP_1) | instskip(NEXT) | instid1(SALU_CYCLE_1)
	s_or_b32 s1, vcc_lo, s1
	s_and_saveexec_b32 s6, s1
	s_delay_alu instid0(SALU_CYCLE_1)
	s_xor_b32 s1, exec_lo, s6
	s_cbranch_execz .LBB179_277
; %bb.276:
	v_div_scale_f32 v5, null, v8, v8, v7
	v_div_scale_f32 v11, vcc_lo, v7, v8, v7
	s_delay_alu instid0(VALU_DEP_2) | instskip(SKIP_2) | instid1(VALU_DEP_1)
	v_rcp_f32_e32 v9, v5
	s_waitcnt_depctr 0xfff
	v_fma_f32 v10, -v5, v9, 1.0
	v_fmac_f32_e32 v9, v10, v9
	s_delay_alu instid0(VALU_DEP_1) | instskip(NEXT) | instid1(VALU_DEP_1)
	v_mul_f32_e32 v10, v11, v9
	v_fma_f32 v12, -v5, v10, v11
	s_delay_alu instid0(VALU_DEP_1) | instskip(NEXT) | instid1(VALU_DEP_1)
	v_fmac_f32_e32 v10, v12, v9
	v_fma_f32 v5, -v5, v10, v11
	s_delay_alu instid0(VALU_DEP_1) | instskip(NEXT) | instid1(VALU_DEP_1)
	v_div_fmas_f32 v5, v5, v9, v10
	v_div_fixup_f32 v5, v5, v8, v7
	s_delay_alu instid0(VALU_DEP_1) | instskip(NEXT) | instid1(VALU_DEP_1)
	v_fmac_f32_e32 v8, v7, v5
	v_div_scale_f32 v7, null, v8, v8, 1.0
	v_div_scale_f32 v11, vcc_lo, 1.0, v8, 1.0
	s_delay_alu instid0(VALU_DEP_2) | instskip(SKIP_2) | instid1(VALU_DEP_1)
	v_rcp_f32_e32 v9, v7
	s_waitcnt_depctr 0xfff
	v_fma_f32 v10, -v7, v9, 1.0
	v_fmac_f32_e32 v9, v10, v9
	s_delay_alu instid0(VALU_DEP_1) | instskip(NEXT) | instid1(VALU_DEP_1)
	v_mul_f32_e32 v10, v11, v9
	v_fma_f32 v12, -v7, v10, v11
	s_delay_alu instid0(VALU_DEP_1) | instskip(NEXT) | instid1(VALU_DEP_1)
	v_fmac_f32_e32 v10, v12, v9
	v_fma_f32 v7, -v7, v10, v11
	s_delay_alu instid0(VALU_DEP_1) | instskip(SKIP_1) | instid1(VALU_DEP_2)
	v_div_fmas_f32 v7, v7, v9, v10
	v_fma_f32 v9, v5, 0, 1.0
	v_div_fixup_f32 v7, v7, v8, 1.0
	s_delay_alu instid0(VALU_DEP_1)
	v_mul_f32_e32 v10, v9, v7
	v_mul_f32_e64 v11, -v5, v7
                                        ; implicit-def: $vgpr5
                                        ; implicit-def: $vgpr9
.LBB179_277:
	s_and_not1_saveexec_b32 s6, s1
	s_cbranch_execz .LBB179_279
; %bb.278:
	v_div_scale_f32 v7, null, v5, v5, 1.0
	v_div_scale_f32 v8, null, v9, v9, 0
	v_div_scale_f32 v14, vcc_lo, 1.0, v5, 1.0
	s_delay_alu instid0(VALU_DEP_3) | instskip(NEXT) | instid1(VALU_DEP_2)
	v_rcp_f32_e32 v10, v7
	v_rcp_f32_e32 v11, v8
	s_waitcnt_depctr 0xfff
	v_fma_f32 v12, -v7, v10, 1.0
	v_fma_f32 v13, -v8, v11, 1.0
	s_delay_alu instid0(VALU_DEP_1) | instskip(SKIP_1) | instid1(VALU_DEP_2)
	v_dual_fmac_f32 v10, v12, v10 :: v_dual_fmac_f32 v11, v13, v11
	v_div_scale_f32 v12, s1, 0, v9, 0
	v_mul_f32_e32 v13, v14, v10
	s_delay_alu instid0(VALU_DEP_2) | instskip(NEXT) | instid1(VALU_DEP_2)
	v_mul_f32_e32 v15, v12, v11
	v_fma_f32 v16, -v7, v13, v14
	s_delay_alu instid0(VALU_DEP_2) | instskip(NEXT) | instid1(VALU_DEP_2)
	v_fma_f32 v17, -v8, v15, v12
	v_fmac_f32_e32 v13, v16, v10
	s_delay_alu instid0(VALU_DEP_2) | instskip(NEXT) | instid1(VALU_DEP_2)
	v_fmac_f32_e32 v15, v17, v11
	v_fma_f32 v7, -v7, v13, v14
	s_delay_alu instid0(VALU_DEP_2) | instskip(NEXT) | instid1(VALU_DEP_2)
	v_fma_f32 v8, -v8, v15, v12
	v_div_fmas_f32 v7, v7, v10, v13
	s_mov_b32 vcc_lo, s1
	s_delay_alu instid0(VALU_DEP_2) | instskip(NEXT) | instid1(VALU_DEP_2)
	v_div_fmas_f32 v8, v8, v11, v15
	v_div_fixup_f32 v10, v7, v5, 1.0
	s_delay_alu instid0(VALU_DEP_2)
	v_div_fixup_f32 v11, v8, v9, 0
.LBB179_279:
	s_or_b32 exec_lo, exec_lo, s6
                                        ; implicit-def: $vgpr7
                                        ; implicit-def: $vgpr8
.LBB179_280:
	s_and_not1_saveexec_b32 s1, s2
	s_cbranch_execz .LBB179_282
; %bb.281:
	v_div_scale_f32 v5, null, v7, v7, v8
	v_div_scale_f32 v11, vcc_lo, v8, v7, v8
	s_delay_alu instid0(VALU_DEP_2) | instskip(SKIP_2) | instid1(VALU_DEP_1)
	v_rcp_f32_e32 v9, v5
	s_waitcnt_depctr 0xfff
	v_fma_f32 v10, -v5, v9, 1.0
	v_fmac_f32_e32 v9, v10, v9
	s_delay_alu instid0(VALU_DEP_1) | instskip(NEXT) | instid1(VALU_DEP_1)
	v_mul_f32_e32 v10, v11, v9
	v_fma_f32 v12, -v5, v10, v11
	s_delay_alu instid0(VALU_DEP_1) | instskip(NEXT) | instid1(VALU_DEP_1)
	v_fmac_f32_e32 v10, v12, v9
	v_fma_f32 v5, -v5, v10, v11
	s_delay_alu instid0(VALU_DEP_1) | instskip(NEXT) | instid1(VALU_DEP_1)
	v_div_fmas_f32 v5, v5, v9, v10
	v_div_fixup_f32 v5, v5, v7, v8
	s_delay_alu instid0(VALU_DEP_1) | instskip(NEXT) | instid1(VALU_DEP_1)
	v_fmac_f32_e32 v7, v8, v5
	v_div_scale_f32 v8, null, v7, v7, 1.0
	v_div_scale_f32 v11, vcc_lo, 1.0, v7, 1.0
	s_delay_alu instid0(VALU_DEP_2) | instskip(SKIP_2) | instid1(VALU_DEP_1)
	v_rcp_f32_e32 v9, v8
	s_waitcnt_depctr 0xfff
	v_fma_f32 v10, -v8, v9, 1.0
	v_fmac_f32_e32 v9, v10, v9
	s_delay_alu instid0(VALU_DEP_1) | instskip(NEXT) | instid1(VALU_DEP_1)
	v_mul_f32_e32 v10, v11, v9
	v_fma_f32 v12, -v8, v10, v11
	s_delay_alu instid0(VALU_DEP_1) | instskip(NEXT) | instid1(VALU_DEP_1)
	v_fmac_f32_e32 v10, v12, v9
	v_fma_f32 v8, -v8, v10, v11
	s_delay_alu instid0(VALU_DEP_1) | instskip(SKIP_2) | instid1(VALU_DEP_3)
	v_div_fmas_f32 v8, v8, v9, v10
	v_add_f32_e32 v9, 0, v5
	v_fma_f32 v5, v5, 0, -1.0
	v_div_fixup_f32 v7, v8, v7, 1.0
	s_delay_alu instid0(VALU_DEP_1) | instskip(NEXT) | instid1(VALU_DEP_4)
	v_mul_f32_e32 v11, v5, v7
	v_mul_f32_e32 v10, v9, v7
.LBB179_282:
	s_or_b32 exec_lo, exec_lo, s1
	s_delay_alu instid0(VALU_DEP_1) | instskip(NEXT) | instid1(VALU_DEP_2)
	v_cvt_f16_f32_e32 v5, v11
	v_cvt_f16_f32_e32 v7, v10
	s_delay_alu instid0(VALU_DEP_2) | instskip(NEXT) | instid1(VALU_DEP_2)
	v_lshlrev_b32_e32 v5, 16, v5
	v_and_b32_e32 v7, 0xffff, v7
	s_delay_alu instid0(VALU_DEP_1)
	v_or_b32_e32 v7, v5, v7
.LBB179_283:
	s_or_b32 exec_lo, exec_lo, s3
	v_or_b32_e32 v5, 0x300, v0
	s_delay_alu instid0(VALU_DEP_1)
	v_cmp_gt_i32_e32 vcc_lo, s10, v5
                                        ; implicit-def: $vgpr5
	s_and_saveexec_b32 s3, vcc_lo
	s_cbranch_execz .LBB179_296
; %bb.284:
	v_lshrrev_b32_e32 v5, 16, v2
	v_cmp_neq_f16_e32 vcc_lo, 0, v2
	v_mov_b32_e32 v8, 0
	s_delay_alu instid0(VALU_DEP_3) | instskip(SKIP_1) | instid1(VALU_DEP_2)
	v_cmp_neq_f16_e64 s1, 0, v5
	v_cvt_f32_f16_e32 v5, v5
	s_or_b32 s1, vcc_lo, s1
	s_delay_alu instid0(SALU_CYCLE_1)
	s_and_saveexec_b32 s6, s1
	s_cbranch_execz .LBB179_318
; %bb.285:
	v_mov_b32_e32 v8, 0x7f800000
	s_mov_b32 s7, exec_lo
	v_cmpx_neq_f32_e64 0x7f800000, |v5|
	s_cbranch_execz .LBB179_317
; %bb.286:
	v_cvt_f32_f16_e32 v8, v2
	s_mov_b32 s1, exec_lo
	v_cmpx_o_f16_e32 v2, v2
	s_xor_b32 s9, exec_lo, s1
	s_cbranch_execz .LBB179_314
; %bb.287:
	s_mov_b32 s2, exec_lo
	v_cmpx_neq_f32_e64 0x7f800000, |v8|
	s_xor_b32 s11, exec_lo, s2
	s_cbranch_execz .LBB179_307
; %bb.288:
	v_max_f32_e64 v2, |v5|, |v5|
	v_max_f32_e64 v9, |v8|, |v8|
                                        ; implicit-def: $sgpr12
	s_delay_alu instid0(VALU_DEP_1) | instskip(NEXT) | instid1(VALU_DEP_1)
	v_max_f32_e32 v2, v9, v2
	v_cmp_nle_f32_e64 s1, 0x7ed413cb, v2
	s_delay_alu instid0(VALU_DEP_1) | instskip(NEXT) | instid1(SALU_CYCLE_1)
	s_and_saveexec_b32 s2, s1
	s_xor_b32 s2, exec_lo, s2
	s_cbranch_execz .LBB179_292
; %bb.289:
	v_cmp_ge_f32_e64 s12, 0x1000000, |v8|
	v_cmp_ge_f32_e64 s13, 0x1000000, |v5|
	s_delay_alu instid0(VALU_DEP_1)
	s_and_b32 s14, s12, s13
	s_mov_b32 s12, 0
	s_and_saveexec_b32 s13, s14
; %bb.290:
	v_dual_mul_f32 v8, 4.0, v8 :: v_dual_mul_f32 v5, 4.0, v5
	s_mov_b32 s12, exec_lo
; %bb.291:
	s_or_b32 exec_lo, exec_lo, s13
	s_delay_alu instid0(SALU_CYCLE_1)
	s_and_b32 s12, s12, exec_lo
.LBB179_292:
	s_and_not1_saveexec_b32 s2, s2
; %bb.293:
	v_dual_mul_f32 v8, 0x3e800000, v8 :: v_dual_mul_f32 v5, 0x3e800000, v5
	s_and_not1_b32 s12, s12, exec_lo
; %bb.294:
	s_or_b32 exec_lo, exec_lo, s2
	s_delay_alu instid0(VALU_DEP_1) | instskip(NEXT) | instid1(VALU_DEP_2)
	v_max_f32_e64 v2, |v5|, |v5|
	v_max_f32_e64 v9, |v8|, |v8|
	s_delay_alu instid0(VALU_DEP_1) | instskip(NEXT) | instid1(VALU_DEP_1)
	v_max_f32_e32 v2, v9, v2
	v_cvt_f64_f32_e32 v[9:10], v2
	s_delay_alu instid0(VALU_DEP_1) | instskip(NEXT) | instid1(VALU_DEP_1)
	v_frexp_exp_i32_f64_e32 v9, v[9:10]
	v_sub_nc_u32_e32 v10, 0, v9
	s_delay_alu instid0(VALU_DEP_1) | instskip(SKIP_1) | instid1(VALU_DEP_2)
	v_ldexp_f32 v11, |v5|, v10
	v_ldexp_f32 v10, |v8|, v10
	v_mul_f32_e32 v11, v11, v11
	v_cmp_neq_f32_e64 s2, 0x7f800000, v2
                                        ; implicit-def: $vgpr2
	s_delay_alu instid0(VALU_DEP_2) | instskip(NEXT) | instid1(VALU_DEP_1)
	v_fmac_f32_e32 v11, v10, v10
	v_sqrt_f32_e32 v10, v11
	s_waitcnt_depctr 0xfff
	v_ldexp_f32 v9, v10, v9
	s_delay_alu instid0(VALU_DEP_1)
	v_cndmask_b32_e64 v10, 0x7f800000, v9, s2
                                        ; implicit-def: $vgpr9
	s_mov_b32 s2, exec_lo
	v_cmpx_le_f32_e32 0, v8
	s_xor_b32 s13, exec_lo, s2
	s_cbranch_execz .LBB179_300
; %bb.295:
	v_add_f32_e32 v2, v8, v10
	s_delay_alu instid0(VALU_DEP_1) | instskip(NEXT) | instid1(VALU_DEP_1)
	v_mul_f32_e32 v2, 0.5, v2
	v_mul_f32_e32 v8, 0x4f800000, v2
	v_cmp_gt_f32_e32 vcc_lo, 0xf800000, v2
	s_delay_alu instid0(VALU_DEP_2) | instskip(NEXT) | instid1(VALU_DEP_1)
	v_cndmask_b32_e32 v2, v2, v8, vcc_lo
	v_sqrt_f32_e32 v8, v2
	s_waitcnt_depctr 0xfff
	v_add_nc_u32_e32 v9, -1, v8
	v_add_nc_u32_e32 v10, 1, v8
	s_delay_alu instid0(VALU_DEP_2) | instskip(NEXT) | instid1(VALU_DEP_2)
	v_fma_f32 v11, -v9, v8, v2
	v_fma_f32 v12, -v10, v8, v2
	s_delay_alu instid0(VALU_DEP_2) | instskip(NEXT) | instid1(VALU_DEP_1)
	v_cmp_ge_f32_e64 s2, 0, v11
	v_cndmask_b32_e64 v8, v8, v9, s2
	s_delay_alu instid0(VALU_DEP_3) | instskip(NEXT) | instid1(VALU_DEP_1)
	v_cmp_lt_f32_e64 s2, 0, v12
	v_cndmask_b32_e64 v8, v8, v10, s2
	s_delay_alu instid0(VALU_DEP_1) | instskip(NEXT) | instid1(VALU_DEP_1)
	v_mul_f32_e32 v9, 0x37800000, v8
	v_cndmask_b32_e32 v8, v8, v9, vcc_lo
	v_cmp_class_f32_e64 vcc_lo, v2, 0x260
	s_delay_alu instid0(VALU_DEP_2) | instskip(NEXT) | instid1(VALU_DEP_1)
	v_cndmask_b32_e32 v2, v8, v2, vcc_lo
	v_add_f32_e32 v8, v2, v2
	s_delay_alu instid0(VALU_DEP_1) | instskip(NEXT) | instid1(VALU_DEP_1)
	v_div_scale_f32 v9, null, v8, v8, v5
	v_rcp_f32_e32 v10, v9
	s_waitcnt_depctr 0xfff
	v_fma_f32 v11, -v9, v10, 1.0
	s_delay_alu instid0(VALU_DEP_1) | instskip(SKIP_1) | instid1(VALU_DEP_1)
	v_fmac_f32_e32 v10, v11, v10
	v_div_scale_f32 v11, vcc_lo, v5, v8, v5
	v_mul_f32_e32 v12, v11, v10
	s_delay_alu instid0(VALU_DEP_1) | instskip(NEXT) | instid1(VALU_DEP_1)
	v_fma_f32 v13, -v9, v12, v11
	v_fmac_f32_e32 v12, v13, v10
	s_delay_alu instid0(VALU_DEP_1) | instskip(NEXT) | instid1(VALU_DEP_1)
	v_fma_f32 v9, -v9, v12, v11
	v_div_fmas_f32 v9, v9, v10, v12
                                        ; implicit-def: $vgpr10
	s_delay_alu instid0(VALU_DEP_1)
	v_div_fixup_f32 v9, v9, v8, v5
                                        ; implicit-def: $vgpr8
                                        ; implicit-def: $vgpr5
	s_and_not1_saveexec_b32 s13, s13
	s_cbranch_execz .LBB179_302
	s_branch .LBB179_301
.LBB179_296:
	s_or_b32 exec_lo, exec_lo, s3
	s_and_saveexec_b32 s1, s0
	s_delay_alu instid0(SALU_CYCLE_1)
	s_xor_b32 s0, exec_lo, s1
	s_cbranch_execz .LBB179_327
.LBB179_297:
	v_mov_b32_e32 v2, 0
	s_delay_alu instid0(VALU_DEP_1) | instskip(NEXT) | instid1(VALU_DEP_1)
	v_lshlrev_b64 v[0:1], 2, v[1:2]
	v_add_co_u32 v8, vcc_lo, s4, v0
	s_delay_alu instid0(VALU_DEP_2) | instskip(SKIP_3) | instid1(SALU_CYCLE_1)
	v_add_co_ci_u32_e32 v9, vcc_lo, s5, v1, vcc_lo
	v_mov_b32_e32 v0, v3
	global_store_b32 v[8:9], v4, off
	s_or_b32 exec_lo, exec_lo, s0
	s_mov_b32 s0, exec_lo
	v_cmpx_gt_i32_e64 s10, v0
	s_cbranch_execnz .LBB179_328
.LBB179_298:
	s_or_b32 exec_lo, exec_lo, s0
	s_delay_alu instid0(SALU_CYCLE_1)
	s_mov_b32 s0, exec_lo
	v_cmpx_gt_i32_e64 s10, v0
	s_cbranch_execz .LBB179_329
.LBB179_299:
	v_dual_mov_b32 v2, 0 :: v_dual_add_nc_u32 v1, s8, v0
	v_add_nc_u32_e32 v0, 0x100, v0
	s_delay_alu instid0(VALU_DEP_2) | instskip(NEXT) | instid1(VALU_DEP_1)
	v_lshlrev_b64 v[1:2], 2, v[1:2]
	v_add_co_u32 v1, vcc_lo, s4, v1
	s_delay_alu instid0(VALU_DEP_2) | instskip(SKIP_2) | instid1(SALU_CYCLE_1)
	v_add_co_ci_u32_e32 v2, vcc_lo, s5, v2, vcc_lo
	global_store_b32 v[1:2], v7, off
	s_or_b32 exec_lo, exec_lo, s0
	s_mov_b32 s0, exec_lo
	v_cmpx_gt_i32_e64 s10, v0
	s_cbranch_execnz .LBB179_330
	s_branch .LBB179_331
.LBB179_300:
	s_and_not1_saveexec_b32 s13, s13
	s_cbranch_execz .LBB179_302
.LBB179_301:
	v_sub_f32_e32 v2, v10, v8
	s_delay_alu instid0(VALU_DEP_1) | instskip(NEXT) | instid1(VALU_DEP_1)
	v_mul_f32_e32 v2, 0.5, v2
	v_mul_f32_e32 v8, 0x4f800000, v2
	v_cmp_gt_f32_e32 vcc_lo, 0xf800000, v2
	s_delay_alu instid0(VALU_DEP_2) | instskip(NEXT) | instid1(VALU_DEP_1)
	v_cndmask_b32_e32 v2, v2, v8, vcc_lo
	v_sqrt_f32_e32 v8, v2
	s_waitcnt_depctr 0xfff
	v_add_nc_u32_e32 v9, -1, v8
	v_add_nc_u32_e32 v10, 1, v8
	s_delay_alu instid0(VALU_DEP_2) | instskip(NEXT) | instid1(VALU_DEP_2)
	v_fma_f32 v11, -v9, v8, v2
	v_fma_f32 v12, -v10, v8, v2
	s_delay_alu instid0(VALU_DEP_2) | instskip(NEXT) | instid1(VALU_DEP_1)
	v_cmp_ge_f32_e64 s2, 0, v11
	v_cndmask_b32_e64 v8, v8, v9, s2
	s_delay_alu instid0(VALU_DEP_3) | instskip(NEXT) | instid1(VALU_DEP_1)
	v_cmp_lt_f32_e64 s2, 0, v12
	v_cndmask_b32_e64 v8, v8, v10, s2
	s_delay_alu instid0(VALU_DEP_1) | instskip(NEXT) | instid1(VALU_DEP_1)
	v_mul_f32_e32 v9, 0x37800000, v8
	v_cndmask_b32_e32 v8, v8, v9, vcc_lo
	v_cmp_class_f32_e64 vcc_lo, v2, 0x260
	s_delay_alu instid0(VALU_DEP_2) | instskip(NEXT) | instid1(VALU_DEP_1)
	v_cndmask_b32_e32 v8, v8, v2, vcc_lo
	v_dual_add_f32 v9, v8, v8 :: v_dual_and_b32 v2, 0x7fffffff, v5
	s_delay_alu instid0(VALU_DEP_1) | instskip(SKIP_1) | instid1(VALU_DEP_2)
	v_div_scale_f32 v10, null, v9, v9, v2
	v_div_scale_f32 v2, vcc_lo, v2, v9, v2
	v_rcp_f32_e32 v11, v10
	s_waitcnt_depctr 0xfff
	v_fma_f32 v12, -v10, v11, 1.0
	s_delay_alu instid0(VALU_DEP_1) | instskip(NEXT) | instid1(VALU_DEP_1)
	v_fmac_f32_e32 v11, v12, v11
	v_mul_f32_e32 v12, v2, v11
	s_delay_alu instid0(VALU_DEP_1) | instskip(NEXT) | instid1(VALU_DEP_1)
	v_fma_f32 v13, -v10, v12, v2
	v_fmac_f32_e32 v12, v13, v11
	s_delay_alu instid0(VALU_DEP_1) | instskip(NEXT) | instid1(VALU_DEP_1)
	v_fma_f32 v2, -v10, v12, v2
	v_div_fmas_f32 v2, v2, v11, v12
	s_delay_alu instid0(VALU_DEP_1)
	v_div_fixup_f32 v2, v2, v9, |v5|
	v_bfi_b32 v9, 0x7fffffff, v8, v5
.LBB179_302:
	s_or_b32 exec_lo, exec_lo, s13
                                        ; implicit-def: $vgpr5
                                        ; implicit-def: $vgpr8
	s_and_saveexec_b32 s2, s1
	s_delay_alu instid0(SALU_CYCLE_1)
	s_xor_b32 s1, exec_lo, s2
	s_cbranch_execz .LBB179_304
; %bb.303:
	v_dual_mul_f32 v5, 0.5, v2 :: v_dual_mul_f32 v10, 0.5, v9
	s_delay_alu instid0(VALU_DEP_1) | instskip(NEXT) | instid1(VALU_DEP_2)
	v_cndmask_b32_e64 v8, v2, v5, s12
	v_cndmask_b32_e64 v5, v9, v10, s12
                                        ; implicit-def: $vgpr2
                                        ; implicit-def: $vgpr9
	s_and_not1_saveexec_b32 s1, s1
	s_cbranch_execnz .LBB179_305
	s_branch .LBB179_306
.LBB179_304:
	s_and_not1_saveexec_b32 s1, s1
.LBB179_305:
	v_dual_add_f32 v8, v2, v2 :: v_dual_add_f32 v5, v9, v9
.LBB179_306:
	s_or_b32 exec_lo, exec_lo, s1
                                        ; implicit-def: $vgpr2
.LBB179_307:
	s_and_not1_saveexec_b32 s1, s11
	s_cbranch_execz .LBB179_313
; %bb.308:
	v_cmp_lt_i16_e32 vcc_lo, -1, v2
	v_sub_f32_e32 v2, v5, v5
	s_and_saveexec_b32 s2, vcc_lo
	s_delay_alu instid0(SALU_CYCLE_1)
	s_xor_b32 s2, exec_lo, s2
; %bb.309:
	s_delay_alu instid0(VALU_DEP_1)
	v_bfi_b32 v5, 0x7fffffff, v2, v5
                                        ; implicit-def: $vgpr2
; %bb.310:
	s_and_not1_saveexec_b32 s2, s2
; %bb.311:
	v_and_b32_e32 v2, 0x7fffffff, v2
	s_delay_alu instid0(VALU_DEP_2) | instskip(NEXT) | instid1(VALU_DEP_2)
	v_bfi_b32 v5, 0x7fffffff, v8, v5
	v_mov_b32_e32 v8, v2
; %bb.312:
	s_or_b32 exec_lo, exec_lo, s2
.LBB179_313:
	s_delay_alu instid0(SALU_CYCLE_1)
	s_or_b32 exec_lo, exec_lo, s1
.LBB179_314:
	s_and_not1_saveexec_b32 s1, s9
; %bb.315:
	v_sub_f32_e32 v2, v5, v5
	s_delay_alu instid0(VALU_DEP_1) | instskip(NEXT) | instid1(VALU_DEP_1)
	v_div_scale_f32 v5, vcc_lo, v2, v2, v2
	v_rcp_f32_e32 v9, v5
	s_waitcnt_depctr 0xfff
	v_fma_f32 v10, -v5, v9, 1.0
	s_delay_alu instid0(VALU_DEP_1) | instskip(NEXT) | instid1(VALU_DEP_1)
	v_fmac_f32_e32 v9, v10, v9
	v_mul_f32_e32 v10, v5, v9
	s_delay_alu instid0(VALU_DEP_1) | instskip(NEXT) | instid1(VALU_DEP_1)
	v_fma_f32 v11, -v5, v10, v5
	v_fmac_f32_e32 v10, v11, v9
	s_delay_alu instid0(VALU_DEP_1) | instskip(NEXT) | instid1(VALU_DEP_1)
	v_fma_f32 v5, -v5, v10, v5
	v_div_fmas_f32 v5, v5, v9, v10
	s_delay_alu instid0(VALU_DEP_1)
	v_div_fixup_f32 v5, v5, v2, v2
; %bb.316:
	s_or_b32 exec_lo, exec_lo, s1
.LBB179_317:
	s_delay_alu instid0(SALU_CYCLE_1)
	s_or_b32 exec_lo, exec_lo, s7
.LBB179_318:
	s_delay_alu instid0(SALU_CYCLE_1)
	s_or_b32 exec_lo, exec_lo, s6
	v_cmp_gt_f32_e32 vcc_lo, 0, v8
                                        ; implicit-def: $vgpr11
                                        ; implicit-def: $vgpr10
	s_mov_b32 s1, exec_lo
	v_cndmask_b32_e64 v2, v8, -v8, vcc_lo
	v_cmp_gt_f32_e32 vcc_lo, 0, v5
	v_cndmask_b32_e64 v9, v5, -v5, vcc_lo
	s_delay_alu instid0(VALU_DEP_1)
	v_cmpx_ge_f32_e32 v2, v9
	s_xor_b32 s2, exec_lo, s1
	s_cbranch_execz .LBB179_324
; %bb.319:
	v_cmp_neq_f32_e32 vcc_lo, 0, v8
	v_cmp_neq_f32_e64 s1, 0, v5
                                        ; implicit-def: $vgpr11
                                        ; implicit-def: $vgpr10
	s_delay_alu instid0(VALU_DEP_1) | instskip(NEXT) | instid1(SALU_CYCLE_1)
	s_or_b32 s1, vcc_lo, s1
	s_and_saveexec_b32 s6, s1
	s_delay_alu instid0(SALU_CYCLE_1)
	s_xor_b32 s1, exec_lo, s6
	s_cbranch_execz .LBB179_321
; %bb.320:
	v_div_scale_f32 v2, null, v8, v8, v5
	v_div_scale_f32 v11, vcc_lo, v5, v8, v5
	s_delay_alu instid0(VALU_DEP_2) | instskip(SKIP_2) | instid1(VALU_DEP_1)
	v_rcp_f32_e32 v9, v2
	s_waitcnt_depctr 0xfff
	v_fma_f32 v10, -v2, v9, 1.0
	v_fmac_f32_e32 v9, v10, v9
	s_delay_alu instid0(VALU_DEP_1) | instskip(NEXT) | instid1(VALU_DEP_1)
	v_mul_f32_e32 v10, v11, v9
	v_fma_f32 v12, -v2, v10, v11
	s_delay_alu instid0(VALU_DEP_1) | instskip(NEXT) | instid1(VALU_DEP_1)
	v_fmac_f32_e32 v10, v12, v9
	v_fma_f32 v2, -v2, v10, v11
	s_delay_alu instid0(VALU_DEP_1) | instskip(NEXT) | instid1(VALU_DEP_1)
	v_div_fmas_f32 v2, v2, v9, v10
	v_div_fixup_f32 v2, v2, v8, v5
	s_delay_alu instid0(VALU_DEP_1) | instskip(NEXT) | instid1(VALU_DEP_1)
	v_fmac_f32_e32 v8, v5, v2
	v_div_scale_f32 v5, null, v8, v8, 1.0
	v_div_scale_f32 v11, vcc_lo, 1.0, v8, 1.0
	s_delay_alu instid0(VALU_DEP_2) | instskip(SKIP_2) | instid1(VALU_DEP_1)
	v_rcp_f32_e32 v9, v5
	s_waitcnt_depctr 0xfff
	v_fma_f32 v10, -v5, v9, 1.0
	v_fmac_f32_e32 v9, v10, v9
	s_delay_alu instid0(VALU_DEP_1) | instskip(NEXT) | instid1(VALU_DEP_1)
	v_mul_f32_e32 v10, v11, v9
	v_fma_f32 v12, -v5, v10, v11
	s_delay_alu instid0(VALU_DEP_1) | instskip(NEXT) | instid1(VALU_DEP_1)
	v_fmac_f32_e32 v10, v12, v9
	v_fma_f32 v5, -v5, v10, v11
	s_delay_alu instid0(VALU_DEP_1) | instskip(SKIP_1) | instid1(VALU_DEP_2)
	v_div_fmas_f32 v5, v5, v9, v10
	v_fma_f32 v9, v2, 0, 1.0
	v_div_fixup_f32 v5, v5, v8, 1.0
	s_delay_alu instid0(VALU_DEP_1)
	v_mul_f32_e32 v10, v9, v5
	v_mul_f32_e64 v11, -v2, v5
                                        ; implicit-def: $vgpr2
                                        ; implicit-def: $vgpr9
.LBB179_321:
	s_and_not1_saveexec_b32 s6, s1
	s_cbranch_execz .LBB179_323
; %bb.322:
	v_div_scale_f32 v5, null, v2, v2, 1.0
	v_div_scale_f32 v8, null, v9, v9, 0
	v_div_scale_f32 v14, vcc_lo, 1.0, v2, 1.0
	s_delay_alu instid0(VALU_DEP_3) | instskip(NEXT) | instid1(VALU_DEP_2)
	v_rcp_f32_e32 v10, v5
	v_rcp_f32_e32 v11, v8
	s_waitcnt_depctr 0xfff
	v_fma_f32 v12, -v5, v10, 1.0
	v_fma_f32 v13, -v8, v11, 1.0
	s_delay_alu instid0(VALU_DEP_1) | instskip(SKIP_1) | instid1(VALU_DEP_2)
	v_dual_fmac_f32 v10, v12, v10 :: v_dual_fmac_f32 v11, v13, v11
	v_div_scale_f32 v12, s1, 0, v9, 0
	v_mul_f32_e32 v13, v14, v10
	s_delay_alu instid0(VALU_DEP_2) | instskip(NEXT) | instid1(VALU_DEP_2)
	v_mul_f32_e32 v15, v12, v11
	v_fma_f32 v16, -v5, v13, v14
	s_delay_alu instid0(VALU_DEP_2) | instskip(NEXT) | instid1(VALU_DEP_2)
	v_fma_f32 v17, -v8, v15, v12
	v_fmac_f32_e32 v13, v16, v10
	s_delay_alu instid0(VALU_DEP_2) | instskip(NEXT) | instid1(VALU_DEP_2)
	v_fmac_f32_e32 v15, v17, v11
	v_fma_f32 v5, -v5, v13, v14
	s_delay_alu instid0(VALU_DEP_2) | instskip(NEXT) | instid1(VALU_DEP_2)
	v_fma_f32 v8, -v8, v15, v12
	v_div_fmas_f32 v5, v5, v10, v13
	s_mov_b32 vcc_lo, s1
	s_delay_alu instid0(VALU_DEP_2) | instskip(NEXT) | instid1(VALU_DEP_2)
	v_div_fmas_f32 v8, v8, v11, v15
	v_div_fixup_f32 v10, v5, v2, 1.0
	s_delay_alu instid0(VALU_DEP_2)
	v_div_fixup_f32 v11, v8, v9, 0
.LBB179_323:
	s_or_b32 exec_lo, exec_lo, s6
                                        ; implicit-def: $vgpr5
                                        ; implicit-def: $vgpr8
.LBB179_324:
	s_and_not1_saveexec_b32 s1, s2
	s_cbranch_execz .LBB179_326
; %bb.325:
	v_div_scale_f32 v2, null, v5, v5, v8
	v_div_scale_f32 v11, vcc_lo, v8, v5, v8
	s_delay_alu instid0(VALU_DEP_2) | instskip(SKIP_2) | instid1(VALU_DEP_1)
	v_rcp_f32_e32 v9, v2
	s_waitcnt_depctr 0xfff
	v_fma_f32 v10, -v2, v9, 1.0
	v_fmac_f32_e32 v9, v10, v9
	s_delay_alu instid0(VALU_DEP_1) | instskip(NEXT) | instid1(VALU_DEP_1)
	v_mul_f32_e32 v10, v11, v9
	v_fma_f32 v12, -v2, v10, v11
	s_delay_alu instid0(VALU_DEP_1) | instskip(NEXT) | instid1(VALU_DEP_1)
	v_fmac_f32_e32 v10, v12, v9
	v_fma_f32 v2, -v2, v10, v11
	s_delay_alu instid0(VALU_DEP_1) | instskip(NEXT) | instid1(VALU_DEP_1)
	v_div_fmas_f32 v2, v2, v9, v10
	v_div_fixup_f32 v2, v2, v5, v8
	s_delay_alu instid0(VALU_DEP_1) | instskip(NEXT) | instid1(VALU_DEP_1)
	v_fmac_f32_e32 v5, v8, v2
	v_div_scale_f32 v8, null, v5, v5, 1.0
	v_div_scale_f32 v11, vcc_lo, 1.0, v5, 1.0
	s_delay_alu instid0(VALU_DEP_2) | instskip(SKIP_2) | instid1(VALU_DEP_1)
	v_rcp_f32_e32 v9, v8
	s_waitcnt_depctr 0xfff
	v_fma_f32 v10, -v8, v9, 1.0
	v_fmac_f32_e32 v9, v10, v9
	s_delay_alu instid0(VALU_DEP_1) | instskip(NEXT) | instid1(VALU_DEP_1)
	v_mul_f32_e32 v10, v11, v9
	v_fma_f32 v12, -v8, v10, v11
	s_delay_alu instid0(VALU_DEP_1) | instskip(NEXT) | instid1(VALU_DEP_1)
	v_fmac_f32_e32 v10, v12, v9
	v_fma_f32 v8, -v8, v10, v11
	s_delay_alu instid0(VALU_DEP_1) | instskip(SKIP_2) | instid1(VALU_DEP_3)
	v_div_fmas_f32 v8, v8, v9, v10
	v_add_f32_e32 v9, 0, v2
	v_fma_f32 v2, v2, 0, -1.0
	v_div_fixup_f32 v5, v8, v5, 1.0
	s_delay_alu instid0(VALU_DEP_1) | instskip(NEXT) | instid1(VALU_DEP_3)
	v_mul_f32_e32 v10, v9, v5
	v_mul_f32_e32 v11, v2, v5
.LBB179_326:
	s_or_b32 exec_lo, exec_lo, s1
	s_delay_alu instid0(VALU_DEP_1) | instskip(NEXT) | instid1(VALU_DEP_3)
	v_cvt_f16_f32_e32 v2, v11
	v_cvt_f16_f32_e32 v5, v10
	s_delay_alu instid0(VALU_DEP_2) | instskip(NEXT) | instid1(VALU_DEP_2)
	v_lshlrev_b32_e32 v2, 16, v2
	v_and_b32_e32 v5, 0xffff, v5
	s_delay_alu instid0(VALU_DEP_1) | instskip(SKIP_2) | instid1(SALU_CYCLE_1)
	v_or_b32_e32 v5, v2, v5
	s_or_b32 exec_lo, exec_lo, s3
	s_and_saveexec_b32 s1, s0
	s_xor_b32 s0, exec_lo, s1
	s_cbranch_execnz .LBB179_297
.LBB179_327:
	s_or_b32 exec_lo, exec_lo, s0
	s_delay_alu instid0(SALU_CYCLE_1)
	s_mov_b32 s0, exec_lo
	v_cmpx_gt_i32_e64 s10, v0
	s_cbranch_execz .LBB179_298
.LBB179_328:
	v_dual_mov_b32 v2, 0 :: v_dual_add_nc_u32 v1, s8, v0
	v_add_nc_u32_e32 v0, 0x100, v0
	s_delay_alu instid0(VALU_DEP_2) | instskip(NEXT) | instid1(VALU_DEP_1)
	v_lshlrev_b64 v[1:2], 2, v[1:2]
	v_add_co_u32 v1, vcc_lo, s4, v1
	s_delay_alu instid0(VALU_DEP_2) | instskip(SKIP_2) | instid1(SALU_CYCLE_1)
	v_add_co_ci_u32_e32 v2, vcc_lo, s5, v2, vcc_lo
	global_store_b32 v[1:2], v6, off
	s_or_b32 exec_lo, exec_lo, s0
	s_mov_b32 s0, exec_lo
	v_cmpx_gt_i32_e64 s10, v0
	s_cbranch_execnz .LBB179_299
.LBB179_329:
	s_or_b32 exec_lo, exec_lo, s0
	s_delay_alu instid0(SALU_CYCLE_1)
	s_mov_b32 s0, exec_lo
	v_cmpx_gt_i32_e64 s10, v0
	s_cbranch_execz .LBB179_331
.LBB179_330:
	v_dual_mov_b32 v1, 0 :: v_dual_add_nc_u32 v0, s8, v0
	s_delay_alu instid0(VALU_DEP_1) | instskip(NEXT) | instid1(VALU_DEP_1)
	v_lshlrev_b64 v[0:1], 2, v[0:1]
	v_add_co_u32 v0, vcc_lo, s4, v0
	s_delay_alu instid0(VALU_DEP_2)
	v_add_co_ci_u32_e32 v1, vcc_lo, s5, v1, vcc_lo
	global_store_b32 v[0:1], v5, off
.LBB179_331:
	s_nop 0
	s_sendmsg sendmsg(MSG_DEALLOC_VGPRS)
	s_endpgm
	.section	.rodata,"a",@progbits
	.p2align	6, 0x0
	.amdhsa_kernel _ZN2at6native29vectorized_elementwise_kernelILi8EZZZNS0_17rsqrt_kernel_cudaERNS_18TensorIteratorBaseEENKUlvE_clEvENKUlvE1_clEvEUlN3c107complexINS6_4HalfEEEE_St5arrayIPcLm2EEEEviT0_T1_
		.amdhsa_group_segment_fixed_size 0
		.amdhsa_private_segment_fixed_size 0
		.amdhsa_kernarg_size 24
		.amdhsa_user_sgpr_count 15
		.amdhsa_user_sgpr_dispatch_ptr 0
		.amdhsa_user_sgpr_queue_ptr 0
		.amdhsa_user_sgpr_kernarg_segment_ptr 1
		.amdhsa_user_sgpr_dispatch_id 0
		.amdhsa_user_sgpr_private_segment_size 0
		.amdhsa_wavefront_size32 1
		.amdhsa_uses_dynamic_stack 0
		.amdhsa_enable_private_segment 0
		.amdhsa_system_sgpr_workgroup_id_x 1
		.amdhsa_system_sgpr_workgroup_id_y 0
		.amdhsa_system_sgpr_workgroup_id_z 0
		.amdhsa_system_sgpr_workgroup_info 0
		.amdhsa_system_vgpr_workitem_id 0
		.amdhsa_next_free_vgpr 20
		.amdhsa_next_free_sgpr 17
		.amdhsa_reserve_vcc 1
		.amdhsa_float_round_mode_32 0
		.amdhsa_float_round_mode_16_64 0
		.amdhsa_float_denorm_mode_32 3
		.amdhsa_float_denorm_mode_16_64 3
		.amdhsa_dx10_clamp 1
		.amdhsa_ieee_mode 1
		.amdhsa_fp16_overflow 0
		.amdhsa_workgroup_processor_mode 1
		.amdhsa_memory_ordered 1
		.amdhsa_forward_progress 0
		.amdhsa_shared_vgpr_count 0
		.amdhsa_exception_fp_ieee_invalid_op 0
		.amdhsa_exception_fp_denorm_src 0
		.amdhsa_exception_fp_ieee_div_zero 0
		.amdhsa_exception_fp_ieee_overflow 0
		.amdhsa_exception_fp_ieee_underflow 0
		.amdhsa_exception_fp_ieee_inexact 0
		.amdhsa_exception_int_div_zero 0
	.end_amdhsa_kernel
	.section	.text._ZN2at6native29vectorized_elementwise_kernelILi8EZZZNS0_17rsqrt_kernel_cudaERNS_18TensorIteratorBaseEENKUlvE_clEvENKUlvE1_clEvEUlN3c107complexINS6_4HalfEEEE_St5arrayIPcLm2EEEEviT0_T1_,"axG",@progbits,_ZN2at6native29vectorized_elementwise_kernelILi8EZZZNS0_17rsqrt_kernel_cudaERNS_18TensorIteratorBaseEENKUlvE_clEvENKUlvE1_clEvEUlN3c107complexINS6_4HalfEEEE_St5arrayIPcLm2EEEEviT0_T1_,comdat
.Lfunc_end179:
	.size	_ZN2at6native29vectorized_elementwise_kernelILi8EZZZNS0_17rsqrt_kernel_cudaERNS_18TensorIteratorBaseEENKUlvE_clEvENKUlvE1_clEvEUlN3c107complexINS6_4HalfEEEE_St5arrayIPcLm2EEEEviT0_T1_, .Lfunc_end179-_ZN2at6native29vectorized_elementwise_kernelILi8EZZZNS0_17rsqrt_kernel_cudaERNS_18TensorIteratorBaseEENKUlvE_clEvENKUlvE1_clEvEUlN3c107complexINS6_4HalfEEEE_St5arrayIPcLm2EEEEviT0_T1_
                                        ; -- End function
	.section	.AMDGPU.csdata,"",@progbits
; Kernel info:
; codeLenInByte = 16620
; NumSgprs: 19
; NumVgprs: 20
; ScratchSize: 0
; MemoryBound: 0
; FloatMode: 240
; IeeeMode: 1
; LDSByteSize: 0 bytes/workgroup (compile time only)
; SGPRBlocks: 2
; VGPRBlocks: 2
; NumSGPRsForWavesPerEU: 19
; NumVGPRsForWavesPerEU: 20
; Occupancy: 16
; WaveLimiterHint : 0
; COMPUTE_PGM_RSRC2:SCRATCH_EN: 0
; COMPUTE_PGM_RSRC2:USER_SGPR: 15
; COMPUTE_PGM_RSRC2:TRAP_HANDLER: 0
; COMPUTE_PGM_RSRC2:TGID_X_EN: 1
; COMPUTE_PGM_RSRC2:TGID_Y_EN: 0
; COMPUTE_PGM_RSRC2:TGID_Z_EN: 0
; COMPUTE_PGM_RSRC2:TIDIG_COMP_CNT: 0
	.section	.text._ZN2at6native29vectorized_elementwise_kernelILi4EZZZNS0_17rsqrt_kernel_cudaERNS_18TensorIteratorBaseEENKUlvE_clEvENKUlvE1_clEvEUlN3c107complexINS6_4HalfEEEE_St5arrayIPcLm2EEEEviT0_T1_,"axG",@progbits,_ZN2at6native29vectorized_elementwise_kernelILi4EZZZNS0_17rsqrt_kernel_cudaERNS_18TensorIteratorBaseEENKUlvE_clEvENKUlvE1_clEvEUlN3c107complexINS6_4HalfEEEE_St5arrayIPcLm2EEEEviT0_T1_,comdat
	.globl	_ZN2at6native29vectorized_elementwise_kernelILi4EZZZNS0_17rsqrt_kernel_cudaERNS_18TensorIteratorBaseEENKUlvE_clEvENKUlvE1_clEvEUlN3c107complexINS6_4HalfEEEE_St5arrayIPcLm2EEEEviT0_T1_ ; -- Begin function _ZN2at6native29vectorized_elementwise_kernelILi4EZZZNS0_17rsqrt_kernel_cudaERNS_18TensorIteratorBaseEENKUlvE_clEvENKUlvE1_clEvEUlN3c107complexINS6_4HalfEEEE_St5arrayIPcLm2EEEEviT0_T1_
	.p2align	8
	.type	_ZN2at6native29vectorized_elementwise_kernelILi4EZZZNS0_17rsqrt_kernel_cudaERNS_18TensorIteratorBaseEENKUlvE_clEvENKUlvE1_clEvEUlN3c107complexINS6_4HalfEEEE_St5arrayIPcLm2EEEEviT0_T1_,@function
_ZN2at6native29vectorized_elementwise_kernelILi4EZZZNS0_17rsqrt_kernel_cudaERNS_18TensorIteratorBaseEENKUlvE_clEvENKUlvE1_clEvEUlN3c107complexINS6_4HalfEEEE_St5arrayIPcLm2EEEEviT0_T1_: ; @_ZN2at6native29vectorized_elementwise_kernelILi4EZZZNS0_17rsqrt_kernel_cudaERNS_18TensorIteratorBaseEENKUlvE_clEvENKUlvE1_clEvEUlN3c107complexINS6_4HalfEEEE_St5arrayIPcLm2EEEEviT0_T1_
; %bb.0:
	s_clause 0x1
	s_load_b32 s2, s[0:1], 0x0
	s_load_b128 s[4:7], s[0:1], 0x8
	s_lshl_b32 s8, s15, 10
	s_mov_b32 s0, -1
	s_waitcnt lgkmcnt(0)
	s_sub_i32 s10, s2, s8
	s_delay_alu instid0(SALU_CYCLE_1)
	s_cmpk_gt_i32 s10, 0x3ff
	s_cbranch_scc0 .LBB180_154
; %bb.1:
	s_ashr_i32 s9, s8, 31
	v_lshlrev_b32_e32 v5, 4, v0
	s_lshl_b64 s[2:3], s[8:9], 2
	v_mov_b32_e32 v9, 0
	s_add_u32 s0, s6, s2
	s_addc_u32 s1, s7, s3
	global_load_b128 v[1:4], v5, s[0:1]
	s_waitcnt vmcnt(0)
	v_lshrrev_b32_e32 v6, 16, v1
	v_cmp_neq_f16_e32 vcc_lo, 0, v1
	s_delay_alu instid0(VALU_DEP_2) | instskip(SKIP_1) | instid1(VALU_DEP_2)
	v_cmp_neq_f16_e64 s0, 0, v6
	v_cvt_f32_f16_e32 v8, v6
	s_or_b32 s0, vcc_lo, s0
	s_delay_alu instid0(SALU_CYCLE_1)
	s_and_saveexec_b32 s9, s0
	s_cbranch_execz .LBB180_31
; %bb.2:
	v_mov_b32_e32 v9, 0x7f800000
	s_mov_b32 s11, exec_lo
	v_cmpx_neq_f32_e64 0x7f800000, |v8|
	s_cbranch_execz .LBB180_30
; %bb.3:
	v_cvt_f32_f16_e32 v9, v1
	s_mov_b32 s0, exec_lo
	v_cmpx_o_f16_e32 v1, v1
	s_xor_b32 s12, exec_lo, s0
	s_cbranch_execz .LBB180_27
; %bb.4:
	s_mov_b32 s1, exec_lo
	v_cmpx_neq_f32_e64 0x7f800000, |v9|
	s_xor_b32 s13, exec_lo, s1
	s_cbranch_execz .LBB180_20
; %bb.5:
	v_max_f32_e64 v6, |v8|, |v8|
	v_max_f32_e64 v7, |v9|, |v9|
                                        ; implicit-def: $sgpr14
	s_delay_alu instid0(VALU_DEP_1) | instskip(NEXT) | instid1(VALU_DEP_1)
	v_max_f32_e32 v6, v7, v6
	v_cmp_nle_f32_e64 s0, 0x7ed413cb, v6
	s_delay_alu instid0(VALU_DEP_1) | instskip(NEXT) | instid1(SALU_CYCLE_1)
	s_and_saveexec_b32 s1, s0
	s_xor_b32 s1, exec_lo, s1
	s_cbranch_execz .LBB180_9
; %bb.6:
	v_cmp_ge_f32_e64 s14, 0x1000000, |v9|
	v_cmp_ge_f32_e64 s15, 0x1000000, |v8|
	s_delay_alu instid0(VALU_DEP_1)
	s_and_b32 s16, s14, s15
	s_mov_b32 s14, 0
	s_and_saveexec_b32 s15, s16
; %bb.7:
	v_dual_mul_f32 v9, 4.0, v9 :: v_dual_mul_f32 v8, 4.0, v8
	s_mov_b32 s14, exec_lo
; %bb.8:
	s_or_b32 exec_lo, exec_lo, s15
	s_delay_alu instid0(SALU_CYCLE_1)
	s_and_b32 s14, s14, exec_lo
.LBB180_9:
	s_and_not1_saveexec_b32 s1, s1
; %bb.10:
	v_dual_mul_f32 v9, 0x3e800000, v9 :: v_dual_mul_f32 v8, 0x3e800000, v8
	s_and_not1_b32 s14, s14, exec_lo
; %bb.11:
	s_or_b32 exec_lo, exec_lo, s1
	s_delay_alu instid0(VALU_DEP_1) | instskip(NEXT) | instid1(VALU_DEP_2)
	v_max_f32_e64 v6, |v8|, |v8|
	v_max_f32_e64 v7, |v9|, |v9|
	s_delay_alu instid0(VALU_DEP_1) | instskip(NEXT) | instid1(VALU_DEP_1)
	v_max_f32_e32 v10, v7, v6
	v_cvt_f64_f32_e32 v[6:7], v10
	v_cmp_neq_f32_e64 s1, 0x7f800000, v10
	s_delay_alu instid0(VALU_DEP_2) | instskip(NEXT) | instid1(VALU_DEP_1)
	v_frexp_exp_i32_f64_e32 v6, v[6:7]
	v_sub_nc_u32_e32 v7, 0, v6
	s_delay_alu instid0(VALU_DEP_1) | instskip(SKIP_1) | instid1(VALU_DEP_2)
	v_ldexp_f32 v11, |v8|, v7
	v_ldexp_f32 v7, |v9|, v7
	v_mul_f32_e32 v11, v11, v11
	s_delay_alu instid0(VALU_DEP_1) | instskip(NEXT) | instid1(VALU_DEP_1)
	v_fmac_f32_e32 v11, v7, v7
	v_sqrt_f32_e32 v7, v11
	s_waitcnt_depctr 0xfff
	v_ldexp_f32 v6, v7, v6
                                        ; implicit-def: $vgpr7
	s_delay_alu instid0(VALU_DEP_1)
	v_cndmask_b32_e64 v10, 0x7f800000, v6, s1
                                        ; implicit-def: $vgpr6
	s_mov_b32 s1, exec_lo
	v_cmpx_le_f32_e32 0, v9
	s_xor_b32 s15, exec_lo, s1
	s_cbranch_execz .LBB180_13
; %bb.12:
	v_add_f32_e32 v6, v9, v10
	s_delay_alu instid0(VALU_DEP_1) | instskip(NEXT) | instid1(VALU_DEP_1)
	v_mul_f32_e32 v6, 0.5, v6
	v_mul_f32_e32 v7, 0x4f800000, v6
	v_cmp_gt_f32_e32 vcc_lo, 0xf800000, v6
	s_delay_alu instid0(VALU_DEP_2) | instskip(NEXT) | instid1(VALU_DEP_1)
	v_cndmask_b32_e32 v6, v6, v7, vcc_lo
	v_sqrt_f32_e32 v7, v6
	s_waitcnt_depctr 0xfff
	v_add_nc_u32_e32 v9, -1, v7
	v_add_nc_u32_e32 v10, 1, v7
	s_delay_alu instid0(VALU_DEP_2) | instskip(NEXT) | instid1(VALU_DEP_2)
	v_fma_f32 v11, -v9, v7, v6
	v_fma_f32 v12, -v10, v7, v6
	s_delay_alu instid0(VALU_DEP_2) | instskip(NEXT) | instid1(VALU_DEP_1)
	v_cmp_ge_f32_e64 s1, 0, v11
	v_cndmask_b32_e64 v7, v7, v9, s1
	s_delay_alu instid0(VALU_DEP_3) | instskip(NEXT) | instid1(VALU_DEP_1)
	v_cmp_lt_f32_e64 s1, 0, v12
	v_cndmask_b32_e64 v7, v7, v10, s1
	s_delay_alu instid0(VALU_DEP_1) | instskip(NEXT) | instid1(VALU_DEP_1)
	v_mul_f32_e32 v9, 0x37800000, v7
	v_cndmask_b32_e32 v7, v7, v9, vcc_lo
	v_cmp_class_f32_e64 vcc_lo, v6, 0x260
	s_delay_alu instid0(VALU_DEP_2) | instskip(NEXT) | instid1(VALU_DEP_1)
	v_cndmask_b32_e32 v6, v7, v6, vcc_lo
	v_add_f32_e32 v7, v6, v6
	s_delay_alu instid0(VALU_DEP_1) | instskip(NEXT) | instid1(VALU_DEP_1)
	v_div_scale_f32 v9, null, v7, v7, v8
	v_rcp_f32_e32 v10, v9
	s_waitcnt_depctr 0xfff
	v_fma_f32 v11, -v9, v10, 1.0
	s_delay_alu instid0(VALU_DEP_1) | instskip(SKIP_1) | instid1(VALU_DEP_1)
	v_fmac_f32_e32 v10, v11, v10
	v_div_scale_f32 v11, vcc_lo, v8, v7, v8
	v_mul_f32_e32 v12, v11, v10
	s_delay_alu instid0(VALU_DEP_1) | instskip(NEXT) | instid1(VALU_DEP_1)
	v_fma_f32 v13, -v9, v12, v11
	v_fmac_f32_e32 v12, v13, v10
	s_delay_alu instid0(VALU_DEP_1) | instskip(NEXT) | instid1(VALU_DEP_1)
	v_fma_f32 v9, -v9, v12, v11
	v_div_fmas_f32 v9, v9, v10, v12
                                        ; implicit-def: $vgpr10
	s_delay_alu instid0(VALU_DEP_1)
	v_div_fixup_f32 v7, v9, v7, v8
                                        ; implicit-def: $vgpr9
                                        ; implicit-def: $vgpr8
	s_and_not1_saveexec_b32 s15, s15
	s_cbranch_execz .LBB180_15
	s_branch .LBB180_14
.LBB180_13:
	s_and_not1_saveexec_b32 s15, s15
	s_cbranch_execz .LBB180_15
.LBB180_14:
	v_sub_f32_e32 v6, v10, v9
	s_delay_alu instid0(VALU_DEP_1) | instskip(NEXT) | instid1(VALU_DEP_1)
	v_mul_f32_e32 v6, 0.5, v6
	v_mul_f32_e32 v7, 0x4f800000, v6
	v_cmp_gt_f32_e32 vcc_lo, 0xf800000, v6
	s_delay_alu instid0(VALU_DEP_2) | instskip(NEXT) | instid1(VALU_DEP_1)
	v_cndmask_b32_e32 v6, v6, v7, vcc_lo
	v_sqrt_f32_e32 v7, v6
	s_waitcnt_depctr 0xfff
	v_add_nc_u32_e32 v9, -1, v7
	v_add_nc_u32_e32 v10, 1, v7
	s_delay_alu instid0(VALU_DEP_2) | instskip(NEXT) | instid1(VALU_DEP_2)
	v_fma_f32 v11, -v9, v7, v6
	v_fma_f32 v12, -v10, v7, v6
	s_delay_alu instid0(VALU_DEP_2) | instskip(NEXT) | instid1(VALU_DEP_1)
	v_cmp_ge_f32_e64 s1, 0, v11
	v_cndmask_b32_e64 v7, v7, v9, s1
	s_delay_alu instid0(VALU_DEP_3) | instskip(NEXT) | instid1(VALU_DEP_1)
	v_cmp_lt_f32_e64 s1, 0, v12
	v_cndmask_b32_e64 v7, v7, v10, s1
	s_delay_alu instid0(VALU_DEP_1) | instskip(NEXT) | instid1(VALU_DEP_1)
	v_mul_f32_e32 v9, 0x37800000, v7
	v_cndmask_b32_e32 v7, v7, v9, vcc_lo
	v_cmp_class_f32_e64 vcc_lo, v6, 0x260
	s_delay_alu instid0(VALU_DEP_2) | instskip(NEXT) | instid1(VALU_DEP_1)
	v_dual_cndmask_b32 v7, v7, v6 :: v_dual_and_b32 v6, 0x7fffffff, v8
	v_add_f32_e32 v9, v7, v7
	v_bfi_b32 v7, 0x7fffffff, v7, v8
	s_delay_alu instid0(VALU_DEP_2) | instskip(SKIP_1) | instid1(VALU_DEP_2)
	v_div_scale_f32 v10, null, v9, v9, v6
	v_div_scale_f32 v6, vcc_lo, v6, v9, v6
	v_rcp_f32_e32 v11, v10
	s_waitcnt_depctr 0xfff
	v_fma_f32 v12, -v10, v11, 1.0
	s_delay_alu instid0(VALU_DEP_1) | instskip(NEXT) | instid1(VALU_DEP_1)
	v_fmac_f32_e32 v11, v12, v11
	v_mul_f32_e32 v12, v6, v11
	s_delay_alu instid0(VALU_DEP_1) | instskip(NEXT) | instid1(VALU_DEP_1)
	v_fma_f32 v13, -v10, v12, v6
	v_fmac_f32_e32 v12, v13, v11
	s_delay_alu instid0(VALU_DEP_1) | instskip(NEXT) | instid1(VALU_DEP_1)
	v_fma_f32 v6, -v10, v12, v6
	v_div_fmas_f32 v6, v6, v11, v12
	s_delay_alu instid0(VALU_DEP_1)
	v_div_fixup_f32 v6, v6, v9, |v8|
.LBB180_15:
	s_or_b32 exec_lo, exec_lo, s15
                                        ; implicit-def: $vgpr8
                                        ; implicit-def: $vgpr9
	s_and_saveexec_b32 s1, s0
	s_delay_alu instid0(SALU_CYCLE_1)
	s_xor_b32 s0, exec_lo, s1
	s_cbranch_execz .LBB180_17
; %bb.16:
	v_mul_f32_e32 v8, 0.5, v6
	v_mul_f32_e32 v10, 0.5, v7
	s_delay_alu instid0(VALU_DEP_2) | instskip(NEXT) | instid1(VALU_DEP_2)
	v_cndmask_b32_e64 v9, v6, v8, s14
	v_cndmask_b32_e64 v8, v7, v10, s14
                                        ; implicit-def: $vgpr6
                                        ; implicit-def: $vgpr7
	s_and_not1_saveexec_b32 s0, s0
	s_cbranch_execnz .LBB180_18
	s_branch .LBB180_19
.LBB180_17:
	s_and_not1_saveexec_b32 s0, s0
.LBB180_18:
	v_dual_add_f32 v9, v6, v6 :: v_dual_add_f32 v8, v7, v7
.LBB180_19:
	s_or_b32 exec_lo, exec_lo, s0
.LBB180_20:
	s_and_not1_saveexec_b32 s0, s13
	s_cbranch_execz .LBB180_26
; %bb.21:
	v_cmp_lt_i16_e32 vcc_lo, -1, v1
	v_sub_f32_e32 v1, v8, v8
	s_and_saveexec_b32 s1, vcc_lo
	s_delay_alu instid0(SALU_CYCLE_1)
	s_xor_b32 s1, exec_lo, s1
; %bb.22:
	s_delay_alu instid0(VALU_DEP_1)
	v_bfi_b32 v8, 0x7fffffff, v1, v8
                                        ; implicit-def: $vgpr1
; %bb.23:
	s_and_not1_saveexec_b32 s1, s1
; %bb.24:
	v_and_b32_e32 v1, 0x7fffffff, v1
	s_delay_alu instid0(VALU_DEP_2) | instskip(NEXT) | instid1(VALU_DEP_2)
	v_bfi_b32 v8, 0x7fffffff, v9, v8
	v_mov_b32_e32 v9, v1
; %bb.25:
	s_or_b32 exec_lo, exec_lo, s1
.LBB180_26:
	s_delay_alu instid0(SALU_CYCLE_1)
	s_or_b32 exec_lo, exec_lo, s0
.LBB180_27:
	s_and_not1_saveexec_b32 s0, s12
; %bb.28:
	v_sub_f32_e32 v1, v8, v8
	s_delay_alu instid0(VALU_DEP_1) | instskip(NEXT) | instid1(VALU_DEP_1)
	v_div_scale_f32 v6, vcc_lo, v1, v1, v1
	v_rcp_f32_e32 v7, v6
	s_waitcnt_depctr 0xfff
	v_fma_f32 v8, -v6, v7, 1.0
	s_delay_alu instid0(VALU_DEP_1) | instskip(NEXT) | instid1(VALU_DEP_1)
	v_fmac_f32_e32 v7, v8, v7
	v_mul_f32_e32 v8, v6, v7
	s_delay_alu instid0(VALU_DEP_1) | instskip(NEXT) | instid1(VALU_DEP_1)
	v_fma_f32 v10, -v6, v8, v6
	v_fmac_f32_e32 v8, v10, v7
	s_delay_alu instid0(VALU_DEP_1) | instskip(NEXT) | instid1(VALU_DEP_1)
	v_fma_f32 v6, -v6, v8, v6
	v_div_fmas_f32 v6, v6, v7, v8
	s_delay_alu instid0(VALU_DEP_1)
	v_div_fixup_f32 v8, v6, v1, v1
; %bb.29:
	s_or_b32 exec_lo, exec_lo, s0
.LBB180_30:
	s_delay_alu instid0(SALU_CYCLE_1)
	s_or_b32 exec_lo, exec_lo, s11
.LBB180_31:
	s_delay_alu instid0(SALU_CYCLE_1)
	s_or_b32 exec_lo, exec_lo, s9
	v_cmp_gt_f32_e32 vcc_lo, 0, v9
                                        ; implicit-def: $vgpr7
                                        ; implicit-def: $vgpr6
	s_mov_b32 s0, exec_lo
	v_cndmask_b32_e64 v1, v9, -v9, vcc_lo
	v_cmp_gt_f32_e32 vcc_lo, 0, v8
	v_cndmask_b32_e64 v10, v8, -v8, vcc_lo
	s_delay_alu instid0(VALU_DEP_1)
	v_cmpx_ge_f32_e32 v1, v10
	s_xor_b32 s1, exec_lo, s0
	s_cbranch_execz .LBB180_37
; %bb.32:
	v_cmp_neq_f32_e32 vcc_lo, 0, v9
	v_cmp_neq_f32_e64 s0, 0, v8
                                        ; implicit-def: $vgpr7
                                        ; implicit-def: $vgpr6
	s_delay_alu instid0(VALU_DEP_1) | instskip(NEXT) | instid1(SALU_CYCLE_1)
	s_or_b32 s0, vcc_lo, s0
	s_and_saveexec_b32 s9, s0
	s_delay_alu instid0(SALU_CYCLE_1)
	s_xor_b32 s0, exec_lo, s9
	s_cbranch_execz .LBB180_34
; %bb.33:
	v_div_scale_f32 v1, null, v9, v9, v8
	v_div_scale_f32 v10, vcc_lo, v8, v9, v8
	s_delay_alu instid0(VALU_DEP_2) | instskip(SKIP_2) | instid1(VALU_DEP_1)
	v_rcp_f32_e32 v6, v1
	s_waitcnt_depctr 0xfff
	v_fma_f32 v7, -v1, v6, 1.0
	v_fmac_f32_e32 v6, v7, v6
	s_delay_alu instid0(VALU_DEP_1) | instskip(NEXT) | instid1(VALU_DEP_1)
	v_mul_f32_e32 v7, v10, v6
	v_fma_f32 v11, -v1, v7, v10
	s_delay_alu instid0(VALU_DEP_1) | instskip(NEXT) | instid1(VALU_DEP_1)
	v_fmac_f32_e32 v7, v11, v6
	v_fma_f32 v1, -v1, v7, v10
	s_delay_alu instid0(VALU_DEP_1) | instskip(NEXT) | instid1(VALU_DEP_1)
	v_div_fmas_f32 v1, v1, v6, v7
	v_div_fixup_f32 v1, v1, v9, v8
	s_delay_alu instid0(VALU_DEP_1) | instskip(NEXT) | instid1(VALU_DEP_1)
	v_fmac_f32_e32 v9, v8, v1
	v_div_scale_f32 v6, null, v9, v9, 1.0
	v_div_scale_f32 v10, vcc_lo, 1.0, v9, 1.0
	s_delay_alu instid0(VALU_DEP_2) | instskip(SKIP_2) | instid1(VALU_DEP_1)
	v_rcp_f32_e32 v7, v6
	s_waitcnt_depctr 0xfff
	v_fma_f32 v8, -v6, v7, 1.0
	v_fmac_f32_e32 v7, v8, v7
	s_delay_alu instid0(VALU_DEP_1) | instskip(NEXT) | instid1(VALU_DEP_1)
	v_mul_f32_e32 v8, v10, v7
	v_fma_f32 v11, -v6, v8, v10
	s_delay_alu instid0(VALU_DEP_1) | instskip(NEXT) | instid1(VALU_DEP_1)
	v_fmac_f32_e32 v8, v11, v7
	v_fma_f32 v6, -v6, v8, v10
                                        ; implicit-def: $vgpr10
	s_delay_alu instid0(VALU_DEP_1) | instskip(SKIP_1) | instid1(VALU_DEP_2)
	v_div_fmas_f32 v6, v6, v7, v8
	v_fma_f32 v7, v1, 0, 1.0
	v_div_fixup_f32 v8, v6, v9, 1.0
	s_delay_alu instid0(VALU_DEP_1)
	v_mul_f32_e32 v6, v7, v8
	v_mul_f32_e64 v7, -v1, v8
                                        ; implicit-def: $vgpr1
.LBB180_34:
	s_and_not1_saveexec_b32 s9, s0
	s_cbranch_execz .LBB180_36
; %bb.35:
	v_div_scale_f32 v6, null, v1, v1, 1.0
	v_div_scale_f32 v7, null, v10, v10, 0
	v_div_scale_f32 v13, vcc_lo, 1.0, v1, 1.0
	s_delay_alu instid0(VALU_DEP_3) | instskip(NEXT) | instid1(VALU_DEP_2)
	v_rcp_f32_e32 v8, v6
	v_rcp_f32_e32 v9, v7
	s_waitcnt_depctr 0xfff
	v_fma_f32 v11, -v6, v8, 1.0
	v_fma_f32 v12, -v7, v9, 1.0
	s_delay_alu instid0(VALU_DEP_1) | instskip(SKIP_1) | instid1(VALU_DEP_2)
	v_dual_fmac_f32 v8, v11, v8 :: v_dual_fmac_f32 v9, v12, v9
	v_div_scale_f32 v11, s0, 0, v10, 0
	v_mul_f32_e32 v12, v13, v8
	s_delay_alu instid0(VALU_DEP_2) | instskip(NEXT) | instid1(VALU_DEP_2)
	v_mul_f32_e32 v14, v11, v9
	v_fma_f32 v15, -v6, v12, v13
	s_delay_alu instid0(VALU_DEP_2) | instskip(NEXT) | instid1(VALU_DEP_2)
	v_fma_f32 v16, -v7, v14, v11
	v_fmac_f32_e32 v12, v15, v8
	s_delay_alu instid0(VALU_DEP_2) | instskip(NEXT) | instid1(VALU_DEP_2)
	v_fmac_f32_e32 v14, v16, v9
	v_fma_f32 v6, -v6, v12, v13
	s_delay_alu instid0(VALU_DEP_2) | instskip(NEXT) | instid1(VALU_DEP_2)
	v_fma_f32 v7, -v7, v14, v11
	v_div_fmas_f32 v6, v6, v8, v12
	s_mov_b32 vcc_lo, s0
	s_delay_alu instid0(VALU_DEP_2) | instskip(NEXT) | instid1(VALU_DEP_2)
	v_div_fmas_f32 v7, v7, v9, v14
	v_div_fixup_f32 v6, v6, v1, 1.0
	s_delay_alu instid0(VALU_DEP_2)
	v_div_fixup_f32 v7, v7, v10, 0
.LBB180_36:
	s_or_b32 exec_lo, exec_lo, s9
                                        ; implicit-def: $vgpr8
                                        ; implicit-def: $vgpr9
.LBB180_37:
	s_and_not1_saveexec_b32 s0, s1
	s_cbranch_execz .LBB180_39
; %bb.38:
	v_div_scale_f32 v1, null, v8, v8, v9
	v_div_scale_f32 v10, vcc_lo, v9, v8, v9
	s_delay_alu instid0(VALU_DEP_2) | instskip(SKIP_2) | instid1(VALU_DEP_1)
	v_rcp_f32_e32 v6, v1
	s_waitcnt_depctr 0xfff
	v_fma_f32 v7, -v1, v6, 1.0
	v_fmac_f32_e32 v6, v7, v6
	s_delay_alu instid0(VALU_DEP_1) | instskip(NEXT) | instid1(VALU_DEP_1)
	v_mul_f32_e32 v7, v10, v6
	v_fma_f32 v11, -v1, v7, v10
	s_delay_alu instid0(VALU_DEP_1) | instskip(NEXT) | instid1(VALU_DEP_1)
	v_fmac_f32_e32 v7, v11, v6
	v_fma_f32 v1, -v1, v7, v10
	s_delay_alu instid0(VALU_DEP_1) | instskip(NEXT) | instid1(VALU_DEP_1)
	v_div_fmas_f32 v1, v1, v6, v7
	v_div_fixup_f32 v1, v1, v8, v9
	s_delay_alu instid0(VALU_DEP_1) | instskip(NEXT) | instid1(VALU_DEP_1)
	v_fmac_f32_e32 v8, v9, v1
	v_div_scale_f32 v6, null, v8, v8, 1.0
	v_div_scale_f32 v10, vcc_lo, 1.0, v8, 1.0
	s_delay_alu instid0(VALU_DEP_2) | instskip(SKIP_2) | instid1(VALU_DEP_1)
	v_rcp_f32_e32 v7, v6
	s_waitcnt_depctr 0xfff
	v_fma_f32 v9, -v6, v7, 1.0
	v_fmac_f32_e32 v7, v9, v7
	s_delay_alu instid0(VALU_DEP_1) | instskip(NEXT) | instid1(VALU_DEP_1)
	v_mul_f32_e32 v9, v10, v7
	v_fma_f32 v11, -v6, v9, v10
	s_delay_alu instid0(VALU_DEP_1) | instskip(NEXT) | instid1(VALU_DEP_1)
	v_fmac_f32_e32 v9, v11, v7
	v_fma_f32 v6, -v6, v9, v10
	s_delay_alu instid0(VALU_DEP_1) | instskip(SKIP_2) | instid1(VALU_DEP_3)
	v_div_fmas_f32 v6, v6, v7, v9
	v_add_f32_e32 v7, 0, v1
	v_fma_f32 v1, v1, 0, -1.0
	v_div_fixup_f32 v8, v6, v8, 1.0
	s_delay_alu instid0(VALU_DEP_1) | instskip(NEXT) | instid1(VALU_DEP_3)
	v_mul_f32_e32 v6, v7, v8
	v_mul_f32_e32 v7, v1, v8
.LBB180_39:
	s_or_b32 exec_lo, exec_lo, s0
	v_lshrrev_b32_e32 v1, 16, v2
	v_cmp_neq_f16_e32 vcc_lo, 0, v2
	v_mov_b32_e32 v10, 0
	s_delay_alu instid0(VALU_DEP_3) | instskip(SKIP_1) | instid1(VALU_DEP_2)
	v_cmp_neq_f16_e64 s0, 0, v1
	v_cvt_f32_f16_e32 v1, v1
	s_or_b32 s0, vcc_lo, s0
	s_delay_alu instid0(SALU_CYCLE_1)
	s_and_saveexec_b32 s9, s0
	s_cbranch_execz .LBB180_69
; %bb.40:
	v_mov_b32_e32 v10, 0x7f800000
	s_mov_b32 s11, exec_lo
	v_cmpx_neq_f32_e64 0x7f800000, |v1|
	s_cbranch_execz .LBB180_68
; %bb.41:
	v_cvt_f32_f16_e32 v10, v2
	s_mov_b32 s0, exec_lo
	v_cmpx_o_f16_e32 v2, v2
	s_xor_b32 s12, exec_lo, s0
	s_cbranch_execz .LBB180_65
; %bb.42:
	s_mov_b32 s1, exec_lo
	v_cmpx_neq_f32_e64 0x7f800000, |v10|
	s_xor_b32 s13, exec_lo, s1
	s_cbranch_execz .LBB180_58
; %bb.43:
	v_max_f32_e64 v8, |v1|, |v1|
	v_max_f32_e64 v9, |v10|, |v10|
                                        ; implicit-def: $sgpr14
	s_delay_alu instid0(VALU_DEP_1) | instskip(NEXT) | instid1(VALU_DEP_1)
	v_max_f32_e32 v8, v9, v8
	v_cmp_nle_f32_e64 s0, 0x7ed413cb, v8
	s_delay_alu instid0(VALU_DEP_1) | instskip(NEXT) | instid1(SALU_CYCLE_1)
	s_and_saveexec_b32 s1, s0
	s_xor_b32 s1, exec_lo, s1
	s_cbranch_execz .LBB180_47
; %bb.44:
	v_cmp_ge_f32_e64 s14, 0x1000000, |v10|
	v_cmp_ge_f32_e64 s15, 0x1000000, |v1|
	s_delay_alu instid0(VALU_DEP_1)
	s_and_b32 s16, s14, s15
	s_mov_b32 s14, 0
	s_and_saveexec_b32 s15, s16
; %bb.45:
	v_dual_mul_f32 v10, 4.0, v10 :: v_dual_mul_f32 v1, 4.0, v1
	s_mov_b32 s14, exec_lo
; %bb.46:
	s_or_b32 exec_lo, exec_lo, s15
	s_delay_alu instid0(SALU_CYCLE_1)
	s_and_b32 s14, s14, exec_lo
.LBB180_47:
	s_and_not1_saveexec_b32 s1, s1
; %bb.48:
	v_dual_mul_f32 v10, 0x3e800000, v10 :: v_dual_mul_f32 v1, 0x3e800000, v1
	s_and_not1_b32 s14, s14, exec_lo
; %bb.49:
	s_or_b32 exec_lo, exec_lo, s1
	s_delay_alu instid0(VALU_DEP_1) | instskip(NEXT) | instid1(VALU_DEP_2)
	v_max_f32_e64 v8, |v1|, |v1|
	v_max_f32_e64 v9, |v10|, |v10|
	s_delay_alu instid0(VALU_DEP_1) | instskip(NEXT) | instid1(VALU_DEP_1)
	v_max_f32_e32 v11, v9, v8
	v_cvt_f64_f32_e32 v[8:9], v11
	v_cmp_neq_f32_e64 s1, 0x7f800000, v11
	s_delay_alu instid0(VALU_DEP_2) | instskip(NEXT) | instid1(VALU_DEP_1)
	v_frexp_exp_i32_f64_e32 v8, v[8:9]
	v_sub_nc_u32_e32 v9, 0, v8
	s_delay_alu instid0(VALU_DEP_1) | instskip(SKIP_1) | instid1(VALU_DEP_2)
	v_ldexp_f32 v12, |v1|, v9
	v_ldexp_f32 v9, |v10|, v9
	v_mul_f32_e32 v12, v12, v12
	s_delay_alu instid0(VALU_DEP_1) | instskip(NEXT) | instid1(VALU_DEP_1)
	v_fmac_f32_e32 v12, v9, v9
	v_sqrt_f32_e32 v9, v12
	s_waitcnt_depctr 0xfff
	v_ldexp_f32 v8, v9, v8
                                        ; implicit-def: $vgpr9
	s_delay_alu instid0(VALU_DEP_1)
	v_cndmask_b32_e64 v11, 0x7f800000, v8, s1
                                        ; implicit-def: $vgpr8
	s_mov_b32 s1, exec_lo
	v_cmpx_le_f32_e32 0, v10
	s_xor_b32 s15, exec_lo, s1
	s_cbranch_execz .LBB180_51
; %bb.50:
	v_add_f32_e32 v8, v10, v11
	s_delay_alu instid0(VALU_DEP_1) | instskip(NEXT) | instid1(VALU_DEP_1)
	v_mul_f32_e32 v8, 0.5, v8
	v_mul_f32_e32 v9, 0x4f800000, v8
	v_cmp_gt_f32_e32 vcc_lo, 0xf800000, v8
	s_delay_alu instid0(VALU_DEP_2) | instskip(NEXT) | instid1(VALU_DEP_1)
	v_cndmask_b32_e32 v8, v8, v9, vcc_lo
	v_sqrt_f32_e32 v9, v8
	s_waitcnt_depctr 0xfff
	v_add_nc_u32_e32 v10, -1, v9
	v_add_nc_u32_e32 v11, 1, v9
	s_delay_alu instid0(VALU_DEP_2) | instskip(NEXT) | instid1(VALU_DEP_2)
	v_fma_f32 v12, -v10, v9, v8
	v_fma_f32 v13, -v11, v9, v8
	s_delay_alu instid0(VALU_DEP_2) | instskip(NEXT) | instid1(VALU_DEP_1)
	v_cmp_ge_f32_e64 s1, 0, v12
	v_cndmask_b32_e64 v9, v9, v10, s1
	s_delay_alu instid0(VALU_DEP_3) | instskip(NEXT) | instid1(VALU_DEP_1)
	v_cmp_lt_f32_e64 s1, 0, v13
	v_cndmask_b32_e64 v9, v9, v11, s1
	s_delay_alu instid0(VALU_DEP_1) | instskip(NEXT) | instid1(VALU_DEP_1)
	v_mul_f32_e32 v10, 0x37800000, v9
	v_cndmask_b32_e32 v9, v9, v10, vcc_lo
	v_cmp_class_f32_e64 vcc_lo, v8, 0x260
	s_delay_alu instid0(VALU_DEP_2) | instskip(NEXT) | instid1(VALU_DEP_1)
	v_cndmask_b32_e32 v8, v9, v8, vcc_lo
	v_add_f32_e32 v9, v8, v8
	s_delay_alu instid0(VALU_DEP_1) | instskip(NEXT) | instid1(VALU_DEP_1)
	v_div_scale_f32 v10, null, v9, v9, v1
	v_rcp_f32_e32 v11, v10
	s_waitcnt_depctr 0xfff
	v_fma_f32 v12, -v10, v11, 1.0
	s_delay_alu instid0(VALU_DEP_1) | instskip(SKIP_1) | instid1(VALU_DEP_1)
	v_fmac_f32_e32 v11, v12, v11
	v_div_scale_f32 v12, vcc_lo, v1, v9, v1
	v_mul_f32_e32 v13, v12, v11
	s_delay_alu instid0(VALU_DEP_1) | instskip(NEXT) | instid1(VALU_DEP_1)
	v_fma_f32 v14, -v10, v13, v12
	v_fmac_f32_e32 v13, v14, v11
	s_delay_alu instid0(VALU_DEP_1) | instskip(NEXT) | instid1(VALU_DEP_1)
	v_fma_f32 v10, -v10, v13, v12
	v_div_fmas_f32 v10, v10, v11, v13
                                        ; implicit-def: $vgpr11
	s_delay_alu instid0(VALU_DEP_1)
	v_div_fixup_f32 v9, v10, v9, v1
                                        ; implicit-def: $vgpr10
                                        ; implicit-def: $vgpr1
	s_and_not1_saveexec_b32 s15, s15
	s_cbranch_execz .LBB180_53
	s_branch .LBB180_52
.LBB180_51:
	s_and_not1_saveexec_b32 s15, s15
	s_cbranch_execz .LBB180_53
.LBB180_52:
	v_sub_f32_e32 v8, v11, v10
	s_delay_alu instid0(VALU_DEP_1) | instskip(NEXT) | instid1(VALU_DEP_1)
	v_mul_f32_e32 v8, 0.5, v8
	v_mul_f32_e32 v9, 0x4f800000, v8
	v_cmp_gt_f32_e32 vcc_lo, 0xf800000, v8
	s_delay_alu instid0(VALU_DEP_2) | instskip(NEXT) | instid1(VALU_DEP_1)
	v_cndmask_b32_e32 v8, v8, v9, vcc_lo
	v_sqrt_f32_e32 v9, v8
	s_waitcnt_depctr 0xfff
	v_add_nc_u32_e32 v10, -1, v9
	v_add_nc_u32_e32 v11, 1, v9
	s_delay_alu instid0(VALU_DEP_2) | instskip(NEXT) | instid1(VALU_DEP_2)
	v_fma_f32 v12, -v10, v9, v8
	v_fma_f32 v13, -v11, v9, v8
	s_delay_alu instid0(VALU_DEP_2) | instskip(NEXT) | instid1(VALU_DEP_1)
	v_cmp_ge_f32_e64 s1, 0, v12
	v_cndmask_b32_e64 v9, v9, v10, s1
	s_delay_alu instid0(VALU_DEP_3) | instskip(NEXT) | instid1(VALU_DEP_1)
	v_cmp_lt_f32_e64 s1, 0, v13
	v_cndmask_b32_e64 v9, v9, v11, s1
	s_delay_alu instid0(VALU_DEP_1) | instskip(NEXT) | instid1(VALU_DEP_1)
	v_mul_f32_e32 v10, 0x37800000, v9
	v_cndmask_b32_e32 v9, v9, v10, vcc_lo
	v_cmp_class_f32_e64 vcc_lo, v8, 0x260
	s_delay_alu instid0(VALU_DEP_2) | instskip(NEXT) | instid1(VALU_DEP_1)
	v_dual_cndmask_b32 v9, v9, v8 :: v_dual_and_b32 v8, 0x7fffffff, v1
	v_add_f32_e32 v10, v9, v9
	v_bfi_b32 v9, 0x7fffffff, v9, v1
	s_delay_alu instid0(VALU_DEP_2) | instskip(SKIP_1) | instid1(VALU_DEP_2)
	v_div_scale_f32 v11, null, v10, v10, v8
	v_div_scale_f32 v8, vcc_lo, v8, v10, v8
	v_rcp_f32_e32 v12, v11
	s_waitcnt_depctr 0xfff
	v_fma_f32 v13, -v11, v12, 1.0
	s_delay_alu instid0(VALU_DEP_1) | instskip(NEXT) | instid1(VALU_DEP_1)
	v_fmac_f32_e32 v12, v13, v12
	v_mul_f32_e32 v13, v8, v12
	s_delay_alu instid0(VALU_DEP_1) | instskip(NEXT) | instid1(VALU_DEP_1)
	v_fma_f32 v14, -v11, v13, v8
	v_fmac_f32_e32 v13, v14, v12
	s_delay_alu instid0(VALU_DEP_1) | instskip(NEXT) | instid1(VALU_DEP_1)
	v_fma_f32 v8, -v11, v13, v8
	v_div_fmas_f32 v8, v8, v12, v13
	s_delay_alu instid0(VALU_DEP_1)
	v_div_fixup_f32 v8, v8, v10, |v1|
.LBB180_53:
	s_or_b32 exec_lo, exec_lo, s15
                                        ; implicit-def: $vgpr1
                                        ; implicit-def: $vgpr10
	s_and_saveexec_b32 s1, s0
	s_delay_alu instid0(SALU_CYCLE_1)
	s_xor_b32 s0, exec_lo, s1
	s_cbranch_execz .LBB180_55
; %bb.54:
	v_mul_f32_e32 v1, 0.5, v8
	v_mul_f32_e32 v11, 0.5, v9
	s_delay_alu instid0(VALU_DEP_2) | instskip(NEXT) | instid1(VALU_DEP_2)
	v_cndmask_b32_e64 v10, v8, v1, s14
	v_cndmask_b32_e64 v1, v9, v11, s14
                                        ; implicit-def: $vgpr8
                                        ; implicit-def: $vgpr9
	s_and_not1_saveexec_b32 s0, s0
	s_cbranch_execnz .LBB180_56
	s_branch .LBB180_57
.LBB180_55:
	s_and_not1_saveexec_b32 s0, s0
.LBB180_56:
	v_dual_add_f32 v10, v8, v8 :: v_dual_add_f32 v1, v9, v9
.LBB180_57:
	s_or_b32 exec_lo, exec_lo, s0
.LBB180_58:
	s_and_not1_saveexec_b32 s0, s13
	s_cbranch_execz .LBB180_64
; %bb.59:
	v_cmp_lt_i16_e32 vcc_lo, -1, v2
	v_sub_f32_e32 v2, v1, v1
	s_and_saveexec_b32 s1, vcc_lo
	s_delay_alu instid0(SALU_CYCLE_1)
	s_xor_b32 s1, exec_lo, s1
; %bb.60:
	s_delay_alu instid0(VALU_DEP_1)
	v_bfi_b32 v1, 0x7fffffff, v2, v1
                                        ; implicit-def: $vgpr2
; %bb.61:
	s_and_not1_saveexec_b32 s1, s1
; %bb.62:
	v_and_b32_e32 v2, 0x7fffffff, v2
	s_delay_alu instid0(VALU_DEP_2) | instskip(NEXT) | instid1(VALU_DEP_2)
	v_bfi_b32 v1, 0x7fffffff, v10, v1
	v_mov_b32_e32 v10, v2
; %bb.63:
	s_or_b32 exec_lo, exec_lo, s1
.LBB180_64:
	s_delay_alu instid0(SALU_CYCLE_1)
	s_or_b32 exec_lo, exec_lo, s0
.LBB180_65:
	s_and_not1_saveexec_b32 s0, s12
; %bb.66:
	v_sub_f32_e32 v1, v1, v1
	s_delay_alu instid0(VALU_DEP_1) | instskip(NEXT) | instid1(VALU_DEP_1)
	v_div_scale_f32 v2, vcc_lo, v1, v1, v1
	v_rcp_f32_e32 v8, v2
	s_waitcnt_depctr 0xfff
	v_fma_f32 v9, -v2, v8, 1.0
	s_delay_alu instid0(VALU_DEP_1) | instskip(NEXT) | instid1(VALU_DEP_1)
	v_fmac_f32_e32 v8, v9, v8
	v_mul_f32_e32 v9, v2, v8
	s_delay_alu instid0(VALU_DEP_1) | instskip(NEXT) | instid1(VALU_DEP_1)
	v_fma_f32 v11, -v2, v9, v2
	v_fmac_f32_e32 v9, v11, v8
	s_delay_alu instid0(VALU_DEP_1) | instskip(NEXT) | instid1(VALU_DEP_1)
	v_fma_f32 v2, -v2, v9, v2
	v_div_fmas_f32 v2, v2, v8, v9
	s_delay_alu instid0(VALU_DEP_1)
	v_div_fixup_f32 v1, v2, v1, v1
; %bb.67:
	s_or_b32 exec_lo, exec_lo, s0
.LBB180_68:
	s_delay_alu instid0(SALU_CYCLE_1)
	s_or_b32 exec_lo, exec_lo, s11
.LBB180_69:
	s_delay_alu instid0(SALU_CYCLE_1)
	s_or_b32 exec_lo, exec_lo, s9
	v_cmp_gt_f32_e32 vcc_lo, 0, v10
                                        ; implicit-def: $vgpr9
                                        ; implicit-def: $vgpr8
	s_mov_b32 s0, exec_lo
	v_cndmask_b32_e64 v2, v10, -v10, vcc_lo
	v_cmp_gt_f32_e32 vcc_lo, 0, v1
	v_cndmask_b32_e64 v11, v1, -v1, vcc_lo
	s_delay_alu instid0(VALU_DEP_1)
	v_cmpx_ge_f32_e32 v2, v11
	s_xor_b32 s1, exec_lo, s0
	s_cbranch_execz .LBB180_75
; %bb.70:
	v_cmp_neq_f32_e32 vcc_lo, 0, v10
	v_cmp_neq_f32_e64 s0, 0, v1
                                        ; implicit-def: $vgpr9
                                        ; implicit-def: $vgpr8
	s_delay_alu instid0(VALU_DEP_1) | instskip(NEXT) | instid1(SALU_CYCLE_1)
	s_or_b32 s0, vcc_lo, s0
	s_and_saveexec_b32 s9, s0
	s_delay_alu instid0(SALU_CYCLE_1)
	s_xor_b32 s0, exec_lo, s9
	s_cbranch_execz .LBB180_72
; %bb.71:
	v_div_scale_f32 v2, null, v10, v10, v1
	v_div_scale_f32 v11, vcc_lo, v1, v10, v1
	s_delay_alu instid0(VALU_DEP_2) | instskip(SKIP_2) | instid1(VALU_DEP_1)
	v_rcp_f32_e32 v8, v2
	s_waitcnt_depctr 0xfff
	v_fma_f32 v9, -v2, v8, 1.0
	v_fmac_f32_e32 v8, v9, v8
	s_delay_alu instid0(VALU_DEP_1) | instskip(NEXT) | instid1(VALU_DEP_1)
	v_mul_f32_e32 v9, v11, v8
	v_fma_f32 v12, -v2, v9, v11
	s_delay_alu instid0(VALU_DEP_1) | instskip(NEXT) | instid1(VALU_DEP_1)
	v_fmac_f32_e32 v9, v12, v8
	v_fma_f32 v2, -v2, v9, v11
	s_delay_alu instid0(VALU_DEP_1) | instskip(NEXT) | instid1(VALU_DEP_1)
	v_div_fmas_f32 v2, v2, v8, v9
	v_div_fixup_f32 v2, v2, v10, v1
	s_delay_alu instid0(VALU_DEP_1) | instskip(NEXT) | instid1(VALU_DEP_1)
	v_fmac_f32_e32 v10, v1, v2
	v_div_scale_f32 v1, null, v10, v10, 1.0
	v_div_scale_f32 v11, vcc_lo, 1.0, v10, 1.0
	s_delay_alu instid0(VALU_DEP_2) | instskip(SKIP_2) | instid1(VALU_DEP_1)
	v_rcp_f32_e32 v8, v1
	s_waitcnt_depctr 0xfff
	v_fma_f32 v9, -v1, v8, 1.0
	v_fmac_f32_e32 v8, v9, v8
	s_delay_alu instid0(VALU_DEP_1) | instskip(NEXT) | instid1(VALU_DEP_1)
	v_mul_f32_e32 v9, v11, v8
	v_fma_f32 v12, -v1, v9, v11
	s_delay_alu instid0(VALU_DEP_1) | instskip(NEXT) | instid1(VALU_DEP_1)
	v_fmac_f32_e32 v9, v12, v8
	v_fma_f32 v1, -v1, v9, v11
                                        ; implicit-def: $vgpr11
	s_delay_alu instid0(VALU_DEP_1) | instskip(SKIP_1) | instid1(VALU_DEP_2)
	v_div_fmas_f32 v1, v1, v8, v9
	v_fma_f32 v8, v2, 0, 1.0
	v_div_fixup_f32 v1, v1, v10, 1.0
	s_delay_alu instid0(VALU_DEP_1)
	v_mul_f32_e32 v8, v8, v1
	v_mul_f32_e64 v9, -v2, v1
                                        ; implicit-def: $vgpr2
.LBB180_72:
	s_and_not1_saveexec_b32 s9, s0
	s_cbranch_execz .LBB180_74
; %bb.73:
	v_div_scale_f32 v1, null, v2, v2, 1.0
	v_div_scale_f32 v8, null, v11, v11, 0
	v_div_scale_f32 v14, vcc_lo, 1.0, v2, 1.0
	s_delay_alu instid0(VALU_DEP_3) | instskip(NEXT) | instid1(VALU_DEP_2)
	v_rcp_f32_e32 v9, v1
	v_rcp_f32_e32 v10, v8
	s_waitcnt_depctr 0xfff
	v_fma_f32 v12, -v1, v9, 1.0
	v_fma_f32 v13, -v8, v10, 1.0
	s_delay_alu instid0(VALU_DEP_1) | instskip(SKIP_1) | instid1(VALU_DEP_2)
	v_dual_fmac_f32 v9, v12, v9 :: v_dual_fmac_f32 v10, v13, v10
	v_div_scale_f32 v12, s0, 0, v11, 0
	v_mul_f32_e32 v13, v14, v9
	s_delay_alu instid0(VALU_DEP_2) | instskip(NEXT) | instid1(VALU_DEP_2)
	v_mul_f32_e32 v15, v12, v10
	v_fma_f32 v16, -v1, v13, v14
	s_delay_alu instid0(VALU_DEP_2) | instskip(NEXT) | instid1(VALU_DEP_2)
	v_fma_f32 v17, -v8, v15, v12
	v_fmac_f32_e32 v13, v16, v9
	s_delay_alu instid0(VALU_DEP_2) | instskip(NEXT) | instid1(VALU_DEP_2)
	v_fmac_f32_e32 v15, v17, v10
	v_fma_f32 v1, -v1, v13, v14
	s_delay_alu instid0(VALU_DEP_2) | instskip(NEXT) | instid1(VALU_DEP_2)
	v_fma_f32 v8, -v8, v15, v12
	v_div_fmas_f32 v1, v1, v9, v13
	s_mov_b32 vcc_lo, s0
	s_delay_alu instid0(VALU_DEP_2) | instskip(NEXT) | instid1(VALU_DEP_2)
	v_div_fmas_f32 v9, v8, v10, v15
	v_div_fixup_f32 v8, v1, v2, 1.0
	s_delay_alu instid0(VALU_DEP_2)
	v_div_fixup_f32 v9, v9, v11, 0
.LBB180_74:
	s_or_b32 exec_lo, exec_lo, s9
                                        ; implicit-def: $vgpr1
                                        ; implicit-def: $vgpr10
.LBB180_75:
	s_and_not1_saveexec_b32 s0, s1
	s_cbranch_execz .LBB180_77
; %bb.76:
	v_div_scale_f32 v2, null, v1, v1, v10
	v_div_scale_f32 v11, vcc_lo, v10, v1, v10
	s_delay_alu instid0(VALU_DEP_2) | instskip(SKIP_2) | instid1(VALU_DEP_1)
	v_rcp_f32_e32 v8, v2
	s_waitcnt_depctr 0xfff
	v_fma_f32 v9, -v2, v8, 1.0
	v_fmac_f32_e32 v8, v9, v8
	s_delay_alu instid0(VALU_DEP_1) | instskip(NEXT) | instid1(VALU_DEP_1)
	v_mul_f32_e32 v9, v11, v8
	v_fma_f32 v12, -v2, v9, v11
	s_delay_alu instid0(VALU_DEP_1) | instskip(NEXT) | instid1(VALU_DEP_1)
	v_fmac_f32_e32 v9, v12, v8
	v_fma_f32 v2, -v2, v9, v11
	s_delay_alu instid0(VALU_DEP_1) | instskip(NEXT) | instid1(VALU_DEP_1)
	v_div_fmas_f32 v2, v2, v8, v9
	v_div_fixup_f32 v2, v2, v1, v10
	s_delay_alu instid0(VALU_DEP_1) | instskip(NEXT) | instid1(VALU_DEP_1)
	v_fmac_f32_e32 v1, v10, v2
	v_div_scale_f32 v8, null, v1, v1, 1.0
	v_div_scale_f32 v11, vcc_lo, 1.0, v1, 1.0
	s_delay_alu instid0(VALU_DEP_2) | instskip(SKIP_2) | instid1(VALU_DEP_1)
	v_rcp_f32_e32 v9, v8
	s_waitcnt_depctr 0xfff
	v_fma_f32 v10, -v8, v9, 1.0
	v_fmac_f32_e32 v9, v10, v9
	s_delay_alu instid0(VALU_DEP_1) | instskip(NEXT) | instid1(VALU_DEP_1)
	v_mul_f32_e32 v10, v11, v9
	v_fma_f32 v12, -v8, v10, v11
	s_delay_alu instid0(VALU_DEP_1) | instskip(NEXT) | instid1(VALU_DEP_1)
	v_fmac_f32_e32 v10, v12, v9
	v_fma_f32 v8, -v8, v10, v11
	s_delay_alu instid0(VALU_DEP_1) | instskip(SKIP_2) | instid1(VALU_DEP_3)
	v_div_fmas_f32 v8, v8, v9, v10
	v_add_f32_e32 v9, 0, v2
	v_fma_f32 v2, v2, 0, -1.0
	v_div_fixup_f32 v1, v8, v1, 1.0
	s_delay_alu instid0(VALU_DEP_1) | instskip(NEXT) | instid1(VALU_DEP_3)
	v_mul_f32_e32 v8, v9, v1
	v_mul_f32_e32 v9, v2, v1
.LBB180_77:
	s_or_b32 exec_lo, exec_lo, s0
	v_lshrrev_b32_e32 v1, 16, v3
	v_cmp_neq_f16_e32 vcc_lo, 0, v3
	v_mov_b32_e32 v2, 0
	s_delay_alu instid0(VALU_DEP_3) | instskip(SKIP_1) | instid1(VALU_DEP_2)
	v_cmp_neq_f16_e64 s0, 0, v1
	v_cvt_f32_f16_e32 v1, v1
	s_or_b32 s0, vcc_lo, s0
	s_delay_alu instid0(SALU_CYCLE_1)
	s_and_saveexec_b32 s9, s0
	s_cbranch_execz .LBB180_107
; %bb.78:
	v_mov_b32_e32 v2, 0x7f800000
	s_mov_b32 s11, exec_lo
	v_cmpx_neq_f32_e64 0x7f800000, |v1|
	s_cbranch_execz .LBB180_106
; %bb.79:
	v_cvt_f32_f16_e32 v2, v3
	s_mov_b32 s0, exec_lo
	v_cmpx_o_f16_e32 v3, v3
	s_xor_b32 s12, exec_lo, s0
	s_cbranch_execz .LBB180_103
; %bb.80:
	s_mov_b32 s1, exec_lo
	v_cmpx_neq_f32_e64 0x7f800000, |v2|
	s_xor_b32 s13, exec_lo, s1
	s_cbranch_execz .LBB180_96
; %bb.81:
	v_max_f32_e64 v10, |v1|, |v1|
	v_max_f32_e64 v11, |v2|, |v2|
                                        ; implicit-def: $sgpr14
	s_delay_alu instid0(VALU_DEP_1) | instskip(NEXT) | instid1(VALU_DEP_1)
	v_max_f32_e32 v10, v11, v10
	v_cmp_nle_f32_e64 s0, 0x7ed413cb, v10
	s_delay_alu instid0(VALU_DEP_1) | instskip(NEXT) | instid1(SALU_CYCLE_1)
	s_and_saveexec_b32 s1, s0
	s_xor_b32 s1, exec_lo, s1
	s_cbranch_execz .LBB180_85
; %bb.82:
	v_cmp_ge_f32_e64 s14, 0x1000000, |v2|
	v_cmp_ge_f32_e64 s15, 0x1000000, |v1|
	s_delay_alu instid0(VALU_DEP_1)
	s_and_b32 s16, s14, s15
	s_mov_b32 s14, 0
	s_and_saveexec_b32 s15, s16
; %bb.83:
	v_dual_mul_f32 v2, 4.0, v2 :: v_dual_mul_f32 v1, 4.0, v1
	s_mov_b32 s14, exec_lo
; %bb.84:
	s_or_b32 exec_lo, exec_lo, s15
	s_delay_alu instid0(SALU_CYCLE_1)
	s_and_b32 s14, s14, exec_lo
.LBB180_85:
	s_and_not1_saveexec_b32 s1, s1
; %bb.86:
	v_dual_mul_f32 v2, 0x3e800000, v2 :: v_dual_mul_f32 v1, 0x3e800000, v1
	s_and_not1_b32 s14, s14, exec_lo
; %bb.87:
	s_or_b32 exec_lo, exec_lo, s1
	s_delay_alu instid0(VALU_DEP_1) | instskip(NEXT) | instid1(VALU_DEP_2)
	v_max_f32_e64 v10, |v1|, |v1|
	v_max_f32_e64 v11, |v2|, |v2|
	s_delay_alu instid0(VALU_DEP_1) | instskip(NEXT) | instid1(VALU_DEP_1)
	v_max_f32_e32 v12, v11, v10
	v_cvt_f64_f32_e32 v[10:11], v12
	s_delay_alu instid0(VALU_DEP_1) | instskip(NEXT) | instid1(VALU_DEP_1)
	v_frexp_exp_i32_f64_e32 v10, v[10:11]
	v_sub_nc_u32_e32 v11, 0, v10
	s_delay_alu instid0(VALU_DEP_1) | instskip(SKIP_1) | instid1(VALU_DEP_2)
	v_ldexp_f32 v13, |v1|, v11
	v_ldexp_f32 v11, |v2|, v11
	v_mul_f32_e32 v13, v13, v13
	v_cmp_neq_f32_e64 s1, 0x7f800000, v12
	s_delay_alu instid0(VALU_DEP_2) | instskip(NEXT) | instid1(VALU_DEP_1)
	v_fmac_f32_e32 v13, v11, v11
	v_sqrt_f32_e32 v11, v13
	s_waitcnt_depctr 0xfff
	v_ldexp_f32 v10, v11, v10
                                        ; implicit-def: $vgpr11
	s_delay_alu instid0(VALU_DEP_1)
	v_cndmask_b32_e64 v12, 0x7f800000, v10, s1
                                        ; implicit-def: $vgpr10
	s_mov_b32 s1, exec_lo
	v_cmpx_le_f32_e32 0, v2
	s_xor_b32 s15, exec_lo, s1
	s_cbranch_execz .LBB180_89
; %bb.88:
	v_add_f32_e32 v2, v2, v12
	s_delay_alu instid0(VALU_DEP_1) | instskip(NEXT) | instid1(VALU_DEP_1)
	v_mul_f32_e32 v2, 0.5, v2
	v_mul_f32_e32 v10, 0x4f800000, v2
	v_cmp_gt_f32_e32 vcc_lo, 0xf800000, v2
	s_delay_alu instid0(VALU_DEP_2) | instskip(NEXT) | instid1(VALU_DEP_1)
	v_cndmask_b32_e32 v2, v2, v10, vcc_lo
	v_sqrt_f32_e32 v10, v2
	s_waitcnt_depctr 0xfff
	v_add_nc_u32_e32 v11, -1, v10
	v_add_nc_u32_e32 v12, 1, v10
	s_delay_alu instid0(VALU_DEP_2) | instskip(NEXT) | instid1(VALU_DEP_2)
	v_fma_f32 v13, -v11, v10, v2
	v_fma_f32 v14, -v12, v10, v2
	s_delay_alu instid0(VALU_DEP_2) | instskip(NEXT) | instid1(VALU_DEP_1)
	v_cmp_ge_f32_e64 s1, 0, v13
	v_cndmask_b32_e64 v10, v10, v11, s1
	s_delay_alu instid0(VALU_DEP_3) | instskip(NEXT) | instid1(VALU_DEP_1)
	v_cmp_lt_f32_e64 s1, 0, v14
	v_cndmask_b32_e64 v10, v10, v12, s1
	s_delay_alu instid0(VALU_DEP_1) | instskip(NEXT) | instid1(VALU_DEP_1)
	v_mul_f32_e32 v11, 0x37800000, v10
	v_cndmask_b32_e32 v10, v10, v11, vcc_lo
	v_cmp_class_f32_e64 vcc_lo, v2, 0x260
	s_delay_alu instid0(VALU_DEP_2) | instskip(NEXT) | instid1(VALU_DEP_1)
	v_cndmask_b32_e32 v10, v10, v2, vcc_lo
	v_add_f32_e32 v2, v10, v10
	s_delay_alu instid0(VALU_DEP_1) | instskip(NEXT) | instid1(VALU_DEP_1)
	v_div_scale_f32 v11, null, v2, v2, v1
	v_rcp_f32_e32 v12, v11
	s_waitcnt_depctr 0xfff
	v_fma_f32 v13, -v11, v12, 1.0
	s_delay_alu instid0(VALU_DEP_1) | instskip(SKIP_1) | instid1(VALU_DEP_1)
	v_fmac_f32_e32 v12, v13, v12
	v_div_scale_f32 v13, vcc_lo, v1, v2, v1
	v_mul_f32_e32 v14, v13, v12
	s_delay_alu instid0(VALU_DEP_1) | instskip(NEXT) | instid1(VALU_DEP_1)
	v_fma_f32 v15, -v11, v14, v13
	v_fmac_f32_e32 v14, v15, v12
	s_delay_alu instid0(VALU_DEP_1) | instskip(NEXT) | instid1(VALU_DEP_1)
	v_fma_f32 v11, -v11, v14, v13
	v_div_fmas_f32 v11, v11, v12, v14
                                        ; implicit-def: $vgpr12
	s_delay_alu instid0(VALU_DEP_1)
	v_div_fixup_f32 v11, v11, v2, v1
                                        ; implicit-def: $vgpr2
                                        ; implicit-def: $vgpr1
	s_and_not1_saveexec_b32 s15, s15
	s_cbranch_execz .LBB180_91
	s_branch .LBB180_90
.LBB180_89:
	s_and_not1_saveexec_b32 s15, s15
	s_cbranch_execz .LBB180_91
.LBB180_90:
	v_sub_f32_e32 v2, v12, v2
	s_delay_alu instid0(VALU_DEP_1) | instskip(NEXT) | instid1(VALU_DEP_1)
	v_mul_f32_e32 v2, 0.5, v2
	v_mul_f32_e32 v10, 0x4f800000, v2
	v_cmp_gt_f32_e32 vcc_lo, 0xf800000, v2
	s_delay_alu instid0(VALU_DEP_2) | instskip(NEXT) | instid1(VALU_DEP_1)
	v_cndmask_b32_e32 v2, v2, v10, vcc_lo
	v_sqrt_f32_e32 v10, v2
	s_waitcnt_depctr 0xfff
	v_add_nc_u32_e32 v11, -1, v10
	v_add_nc_u32_e32 v12, 1, v10
	s_delay_alu instid0(VALU_DEP_2) | instskip(NEXT) | instid1(VALU_DEP_2)
	v_fma_f32 v13, -v11, v10, v2
	v_fma_f32 v14, -v12, v10, v2
	s_delay_alu instid0(VALU_DEP_2) | instskip(NEXT) | instid1(VALU_DEP_1)
	v_cmp_ge_f32_e64 s1, 0, v13
	v_cndmask_b32_e64 v10, v10, v11, s1
	s_delay_alu instid0(VALU_DEP_3) | instskip(NEXT) | instid1(VALU_DEP_1)
	v_cmp_lt_f32_e64 s1, 0, v14
	v_cndmask_b32_e64 v10, v10, v12, s1
	s_delay_alu instid0(VALU_DEP_1) | instskip(NEXT) | instid1(VALU_DEP_1)
	v_mul_f32_e32 v11, 0x37800000, v10
	v_cndmask_b32_e32 v10, v10, v11, vcc_lo
	v_cmp_class_f32_e64 vcc_lo, v2, 0x260
	s_delay_alu instid0(VALU_DEP_2) | instskip(NEXT) | instid1(VALU_DEP_1)
	v_cndmask_b32_e32 v2, v10, v2, vcc_lo
	v_dual_add_f32 v11, v2, v2 :: v_dual_and_b32 v10, 0x7fffffff, v1
	s_delay_alu instid0(VALU_DEP_1) | instskip(SKIP_1) | instid1(VALU_DEP_2)
	v_div_scale_f32 v12, null, v11, v11, v10
	v_div_scale_f32 v10, vcc_lo, v10, v11, v10
	v_rcp_f32_e32 v13, v12
	s_waitcnt_depctr 0xfff
	v_fma_f32 v14, -v12, v13, 1.0
	s_delay_alu instid0(VALU_DEP_1) | instskip(NEXT) | instid1(VALU_DEP_1)
	v_fmac_f32_e32 v13, v14, v13
	v_mul_f32_e32 v14, v10, v13
	s_delay_alu instid0(VALU_DEP_1) | instskip(NEXT) | instid1(VALU_DEP_1)
	v_fma_f32 v15, -v12, v14, v10
	v_fmac_f32_e32 v14, v15, v13
	s_delay_alu instid0(VALU_DEP_1) | instskip(NEXT) | instid1(VALU_DEP_1)
	v_fma_f32 v10, -v12, v14, v10
	v_div_fmas_f32 v10, v10, v13, v14
	s_delay_alu instid0(VALU_DEP_1)
	v_div_fixup_f32 v10, v10, v11, |v1|
	v_bfi_b32 v11, 0x7fffffff, v2, v1
.LBB180_91:
	s_or_b32 exec_lo, exec_lo, s15
                                        ; implicit-def: $vgpr1
                                        ; implicit-def: $vgpr2
	s_and_saveexec_b32 s1, s0
	s_delay_alu instid0(SALU_CYCLE_1)
	s_xor_b32 s0, exec_lo, s1
	s_cbranch_execz .LBB180_93
; %bb.92:
	v_dual_mul_f32 v1, 0.5, v10 :: v_dual_mul_f32 v12, 0.5, v11
	s_delay_alu instid0(VALU_DEP_1) | instskip(NEXT) | instid1(VALU_DEP_2)
	v_cndmask_b32_e64 v2, v10, v1, s14
	v_cndmask_b32_e64 v1, v11, v12, s14
                                        ; implicit-def: $vgpr10
                                        ; implicit-def: $vgpr11
	s_and_not1_saveexec_b32 s0, s0
	s_cbranch_execnz .LBB180_94
	s_branch .LBB180_95
.LBB180_93:
	s_and_not1_saveexec_b32 s0, s0
.LBB180_94:
	v_dual_add_f32 v2, v10, v10 :: v_dual_add_f32 v1, v11, v11
.LBB180_95:
	s_or_b32 exec_lo, exec_lo, s0
.LBB180_96:
	s_and_not1_saveexec_b32 s0, s13
	s_cbranch_execz .LBB180_102
; %bb.97:
	v_cmp_lt_i16_e32 vcc_lo, -1, v3
	v_sub_f32_e32 v3, v1, v1
	s_and_saveexec_b32 s1, vcc_lo
	s_delay_alu instid0(SALU_CYCLE_1)
	s_xor_b32 s1, exec_lo, s1
; %bb.98:
	s_delay_alu instid0(VALU_DEP_1)
	v_bfi_b32 v1, 0x7fffffff, v3, v1
                                        ; implicit-def: $vgpr3
; %bb.99:
	s_and_not1_saveexec_b32 s1, s1
; %bb.100:
	v_and_b32_e32 v3, 0x7fffffff, v3
	s_delay_alu instid0(VALU_DEP_2) | instskip(NEXT) | instid1(VALU_DEP_2)
	v_bfi_b32 v1, 0x7fffffff, v2, v1
	v_mov_b32_e32 v2, v3
; %bb.101:
	s_or_b32 exec_lo, exec_lo, s1
.LBB180_102:
	s_delay_alu instid0(SALU_CYCLE_1)
	s_or_b32 exec_lo, exec_lo, s0
.LBB180_103:
	s_and_not1_saveexec_b32 s0, s12
; %bb.104:
	v_sub_f32_e32 v1, v1, v1
	s_delay_alu instid0(VALU_DEP_1) | instskip(NEXT) | instid1(VALU_DEP_1)
	v_div_scale_f32 v3, vcc_lo, v1, v1, v1
	v_rcp_f32_e32 v10, v3
	s_waitcnt_depctr 0xfff
	v_fma_f32 v11, -v3, v10, 1.0
	s_delay_alu instid0(VALU_DEP_1) | instskip(NEXT) | instid1(VALU_DEP_1)
	v_fmac_f32_e32 v10, v11, v10
	v_mul_f32_e32 v11, v3, v10
	s_delay_alu instid0(VALU_DEP_1) | instskip(NEXT) | instid1(VALU_DEP_1)
	v_fma_f32 v12, -v3, v11, v3
	v_fmac_f32_e32 v11, v12, v10
	s_delay_alu instid0(VALU_DEP_1) | instskip(NEXT) | instid1(VALU_DEP_1)
	v_fma_f32 v3, -v3, v11, v3
	v_div_fmas_f32 v3, v3, v10, v11
	s_delay_alu instid0(VALU_DEP_1)
	v_div_fixup_f32 v1, v3, v1, v1
; %bb.105:
	s_or_b32 exec_lo, exec_lo, s0
.LBB180_106:
	s_delay_alu instid0(SALU_CYCLE_1)
	s_or_b32 exec_lo, exec_lo, s11
.LBB180_107:
	s_delay_alu instid0(SALU_CYCLE_1)
	s_or_b32 exec_lo, exec_lo, s9
	v_cmp_gt_f32_e32 vcc_lo, 0, v2
                                        ; implicit-def: $vgpr11
                                        ; implicit-def: $vgpr10
	s_mov_b32 s0, exec_lo
	v_cndmask_b32_e64 v3, v2, -v2, vcc_lo
	v_cmp_gt_f32_e32 vcc_lo, 0, v1
	v_cndmask_b32_e64 v12, v1, -v1, vcc_lo
	s_delay_alu instid0(VALU_DEP_1)
	v_cmpx_ge_f32_e32 v3, v12
	s_xor_b32 s1, exec_lo, s0
	s_cbranch_execz .LBB180_113
; %bb.108:
	v_cmp_neq_f32_e32 vcc_lo, 0, v2
	v_cmp_neq_f32_e64 s0, 0, v1
                                        ; implicit-def: $vgpr11
                                        ; implicit-def: $vgpr10
	s_delay_alu instid0(VALU_DEP_1) | instskip(NEXT) | instid1(SALU_CYCLE_1)
	s_or_b32 s0, vcc_lo, s0
	s_and_saveexec_b32 s9, s0
	s_delay_alu instid0(SALU_CYCLE_1)
	s_xor_b32 s0, exec_lo, s9
	s_cbranch_execz .LBB180_110
; %bb.109:
	v_div_scale_f32 v3, null, v2, v2, v1
	v_div_scale_f32 v12, vcc_lo, v1, v2, v1
	s_delay_alu instid0(VALU_DEP_2) | instskip(SKIP_2) | instid1(VALU_DEP_1)
	v_rcp_f32_e32 v10, v3
	s_waitcnt_depctr 0xfff
	v_fma_f32 v11, -v3, v10, 1.0
	v_fmac_f32_e32 v10, v11, v10
	s_delay_alu instid0(VALU_DEP_1) | instskip(NEXT) | instid1(VALU_DEP_1)
	v_mul_f32_e32 v11, v12, v10
	v_fma_f32 v13, -v3, v11, v12
	s_delay_alu instid0(VALU_DEP_1) | instskip(NEXT) | instid1(VALU_DEP_1)
	v_fmac_f32_e32 v11, v13, v10
	v_fma_f32 v3, -v3, v11, v12
	s_delay_alu instid0(VALU_DEP_1) | instskip(NEXT) | instid1(VALU_DEP_1)
	v_div_fmas_f32 v3, v3, v10, v11
	v_div_fixup_f32 v3, v3, v2, v1
	s_delay_alu instid0(VALU_DEP_1) | instskip(NEXT) | instid1(VALU_DEP_1)
	v_fmac_f32_e32 v2, v1, v3
	v_div_scale_f32 v1, null, v2, v2, 1.0
	v_div_scale_f32 v12, vcc_lo, 1.0, v2, 1.0
	s_delay_alu instid0(VALU_DEP_2) | instskip(SKIP_2) | instid1(VALU_DEP_1)
	v_rcp_f32_e32 v10, v1
	s_waitcnt_depctr 0xfff
	v_fma_f32 v11, -v1, v10, 1.0
	v_fmac_f32_e32 v10, v11, v10
	s_delay_alu instid0(VALU_DEP_1) | instskip(NEXT) | instid1(VALU_DEP_1)
	v_mul_f32_e32 v11, v12, v10
	v_fma_f32 v13, -v1, v11, v12
	s_delay_alu instid0(VALU_DEP_1) | instskip(NEXT) | instid1(VALU_DEP_1)
	v_fmac_f32_e32 v11, v13, v10
	v_fma_f32 v1, -v1, v11, v12
                                        ; implicit-def: $vgpr12
	s_delay_alu instid0(VALU_DEP_1) | instskip(SKIP_1) | instid1(VALU_DEP_2)
	v_div_fmas_f32 v1, v1, v10, v11
	v_fma_f32 v10, v3, 0, 1.0
	v_div_fixup_f32 v1, v1, v2, 1.0
	s_delay_alu instid0(VALU_DEP_1)
	v_mul_f32_e32 v10, v10, v1
	v_mul_f32_e64 v11, -v3, v1
                                        ; implicit-def: $vgpr3
.LBB180_110:
	s_and_not1_saveexec_b32 s9, s0
	s_cbranch_execz .LBB180_112
; %bb.111:
	v_div_scale_f32 v1, null, v3, v3, 1.0
	v_div_scale_f32 v2, null, v12, v12, 0
	v_div_scale_f32 v15, vcc_lo, 1.0, v3, 1.0
	s_delay_alu instid0(VALU_DEP_3) | instskip(NEXT) | instid1(VALU_DEP_2)
	v_rcp_f32_e32 v10, v1
	v_rcp_f32_e32 v11, v2
	s_waitcnt_depctr 0xfff
	v_fma_f32 v13, -v1, v10, 1.0
	v_fma_f32 v14, -v2, v11, 1.0
	s_delay_alu instid0(VALU_DEP_1) | instskip(SKIP_1) | instid1(VALU_DEP_2)
	v_dual_fmac_f32 v10, v13, v10 :: v_dual_fmac_f32 v11, v14, v11
	v_div_scale_f32 v13, s0, 0, v12, 0
	v_mul_f32_e32 v14, v15, v10
	s_delay_alu instid0(VALU_DEP_2) | instskip(NEXT) | instid1(VALU_DEP_2)
	v_mul_f32_e32 v16, v13, v11
	v_fma_f32 v17, -v1, v14, v15
	s_delay_alu instid0(VALU_DEP_2) | instskip(NEXT) | instid1(VALU_DEP_2)
	v_fma_f32 v18, -v2, v16, v13
	v_fmac_f32_e32 v14, v17, v10
	s_delay_alu instid0(VALU_DEP_2) | instskip(NEXT) | instid1(VALU_DEP_2)
	v_fmac_f32_e32 v16, v18, v11
	v_fma_f32 v1, -v1, v14, v15
	s_delay_alu instid0(VALU_DEP_2) | instskip(NEXT) | instid1(VALU_DEP_2)
	v_fma_f32 v2, -v2, v16, v13
	v_div_fmas_f32 v1, v1, v10, v14
	s_mov_b32 vcc_lo, s0
	s_delay_alu instid0(VALU_DEP_2) | instskip(NEXT) | instid1(VALU_DEP_2)
	v_div_fmas_f32 v2, v2, v11, v16
	v_div_fixup_f32 v10, v1, v3, 1.0
	s_delay_alu instid0(VALU_DEP_2)
	v_div_fixup_f32 v11, v2, v12, 0
.LBB180_112:
	s_or_b32 exec_lo, exec_lo, s9
                                        ; implicit-def: $vgpr1
                                        ; implicit-def: $vgpr2
.LBB180_113:
	s_and_not1_saveexec_b32 s0, s1
	s_cbranch_execz .LBB180_115
; %bb.114:
	v_div_scale_f32 v3, null, v1, v1, v2
	v_div_scale_f32 v12, vcc_lo, v2, v1, v2
	s_delay_alu instid0(VALU_DEP_2) | instskip(SKIP_2) | instid1(VALU_DEP_1)
	v_rcp_f32_e32 v10, v3
	s_waitcnt_depctr 0xfff
	v_fma_f32 v11, -v3, v10, 1.0
	v_fmac_f32_e32 v10, v11, v10
	s_delay_alu instid0(VALU_DEP_1) | instskip(NEXT) | instid1(VALU_DEP_1)
	v_mul_f32_e32 v11, v12, v10
	v_fma_f32 v13, -v3, v11, v12
	s_delay_alu instid0(VALU_DEP_1) | instskip(NEXT) | instid1(VALU_DEP_1)
	v_fmac_f32_e32 v11, v13, v10
	v_fma_f32 v3, -v3, v11, v12
	s_delay_alu instid0(VALU_DEP_1) | instskip(NEXT) | instid1(VALU_DEP_1)
	v_div_fmas_f32 v3, v3, v10, v11
	v_div_fixup_f32 v3, v3, v1, v2
	s_delay_alu instid0(VALU_DEP_1) | instskip(NEXT) | instid1(VALU_DEP_1)
	v_fmac_f32_e32 v1, v2, v3
	v_div_scale_f32 v2, null, v1, v1, 1.0
	v_div_scale_f32 v12, vcc_lo, 1.0, v1, 1.0
	s_delay_alu instid0(VALU_DEP_2) | instskip(SKIP_2) | instid1(VALU_DEP_1)
	v_rcp_f32_e32 v10, v2
	s_waitcnt_depctr 0xfff
	v_fma_f32 v11, -v2, v10, 1.0
	v_fmac_f32_e32 v10, v11, v10
	s_delay_alu instid0(VALU_DEP_1) | instskip(NEXT) | instid1(VALU_DEP_1)
	v_mul_f32_e32 v11, v12, v10
	v_fma_f32 v13, -v2, v11, v12
	s_delay_alu instid0(VALU_DEP_1) | instskip(NEXT) | instid1(VALU_DEP_1)
	v_fmac_f32_e32 v11, v13, v10
	v_fma_f32 v2, -v2, v11, v12
	s_delay_alu instid0(VALU_DEP_1) | instskip(SKIP_1) | instid1(VALU_DEP_2)
	v_div_fmas_f32 v2, v2, v10, v11
	v_add_f32_e32 v10, 0, v3
	v_div_fixup_f32 v1, v2, v1, 1.0
	v_fma_f32 v2, v3, 0, -1.0
	s_delay_alu instid0(VALU_DEP_2) | instskip(NEXT) | instid1(VALU_DEP_2)
	v_mul_f32_e32 v10, v10, v1
	v_mul_f32_e32 v11, v2, v1
.LBB180_115:
	s_or_b32 exec_lo, exec_lo, s0
	v_lshrrev_b32_e32 v1, 16, v4
	v_cmp_neq_f16_e32 vcc_lo, 0, v4
	v_mov_b32_e32 v13, 0
	s_delay_alu instid0(VALU_DEP_3) | instskip(SKIP_1) | instid1(VALU_DEP_2)
	v_cmp_neq_f16_e64 s0, 0, v1
	v_cvt_f32_f16_e32 v12, v1
	s_or_b32 s0, vcc_lo, s0
	s_delay_alu instid0(SALU_CYCLE_1)
	s_and_saveexec_b32 s9, s0
	s_cbranch_execz .LBB180_145
; %bb.116:
	v_mov_b32_e32 v13, 0x7f800000
	s_mov_b32 s11, exec_lo
	v_cmpx_neq_f32_e64 0x7f800000, |v12|
	s_cbranch_execz .LBB180_144
; %bb.117:
	v_cvt_f32_f16_e32 v13, v4
	s_mov_b32 s0, exec_lo
	v_cmpx_o_f16_e32 v4, v4
	s_xor_b32 s12, exec_lo, s0
	s_cbranch_execz .LBB180_141
; %bb.118:
	s_mov_b32 s1, exec_lo
	v_cmpx_neq_f32_e64 0x7f800000, |v13|
	s_xor_b32 s13, exec_lo, s1
	s_cbranch_execz .LBB180_134
; %bb.119:
	v_max_f32_e64 v1, |v12|, |v12|
	v_max_f32_e64 v2, |v13|, |v13|
                                        ; implicit-def: $sgpr14
	s_delay_alu instid0(VALU_DEP_1) | instskip(NEXT) | instid1(VALU_DEP_1)
	v_max_f32_e32 v1, v2, v1
	v_cmp_nle_f32_e64 s0, 0x7ed413cb, v1
	s_delay_alu instid0(VALU_DEP_1) | instskip(NEXT) | instid1(SALU_CYCLE_1)
	s_and_saveexec_b32 s1, s0
	s_xor_b32 s1, exec_lo, s1
	s_cbranch_execz .LBB180_123
; %bb.120:
	v_cmp_ge_f32_e64 s14, 0x1000000, |v13|
	v_cmp_ge_f32_e64 s15, 0x1000000, |v12|
	s_delay_alu instid0(VALU_DEP_1)
	s_and_b32 s16, s14, s15
	s_mov_b32 s14, 0
	s_and_saveexec_b32 s15, s16
; %bb.121:
	v_dual_mul_f32 v13, 4.0, v13 :: v_dual_mul_f32 v12, 4.0, v12
	s_mov_b32 s14, exec_lo
; %bb.122:
	s_or_b32 exec_lo, exec_lo, s15
	s_delay_alu instid0(SALU_CYCLE_1)
	s_and_b32 s14, s14, exec_lo
.LBB180_123:
	s_and_not1_saveexec_b32 s1, s1
; %bb.124:
	v_dual_mul_f32 v13, 0x3e800000, v13 :: v_dual_mul_f32 v12, 0x3e800000, v12
	s_and_not1_b32 s14, s14, exec_lo
; %bb.125:
	s_or_b32 exec_lo, exec_lo, s1
	s_delay_alu instid0(VALU_DEP_1) | instskip(NEXT) | instid1(VALU_DEP_2)
	v_max_f32_e64 v1, |v12|, |v12|
	v_max_f32_e64 v2, |v13|, |v13|
	s_delay_alu instid0(VALU_DEP_1) | instskip(NEXT) | instid1(VALU_DEP_1)
	v_max_f32_e32 v3, v2, v1
	v_cvt_f64_f32_e32 v[1:2], v3
	s_delay_alu instid0(VALU_DEP_1) | instskip(NEXT) | instid1(VALU_DEP_1)
	v_frexp_exp_i32_f64_e32 v1, v[1:2]
	v_sub_nc_u32_e32 v2, 0, v1
	s_delay_alu instid0(VALU_DEP_1) | instskip(SKIP_1) | instid1(VALU_DEP_2)
	v_ldexp_f32 v4, |v12|, v2
	v_ldexp_f32 v2, |v13|, v2
	v_mul_f32_e32 v4, v4, v4
	v_cmp_neq_f32_e64 s1, 0x7f800000, v3
	s_delay_alu instid0(VALU_DEP_2) | instskip(NEXT) | instid1(VALU_DEP_1)
	v_fmac_f32_e32 v4, v2, v2
	v_sqrt_f32_e32 v2, v4
	s_waitcnt_depctr 0xfff
	v_ldexp_f32 v1, v2, v1
                                        ; implicit-def: $vgpr2
	s_delay_alu instid0(VALU_DEP_1)
	v_cndmask_b32_e64 v3, 0x7f800000, v1, s1
                                        ; implicit-def: $vgpr1
	s_mov_b32 s1, exec_lo
	v_cmpx_le_f32_e32 0, v13
	s_xor_b32 s15, exec_lo, s1
	s_cbranch_execz .LBB180_127
; %bb.126:
	v_add_f32_e32 v1, v13, v3
	s_delay_alu instid0(VALU_DEP_1) | instskip(NEXT) | instid1(VALU_DEP_1)
	v_mul_f32_e32 v1, 0.5, v1
	v_mul_f32_e32 v2, 0x4f800000, v1
	v_cmp_gt_f32_e32 vcc_lo, 0xf800000, v1
	s_delay_alu instid0(VALU_DEP_2) | instskip(NEXT) | instid1(VALU_DEP_1)
	v_cndmask_b32_e32 v1, v1, v2, vcc_lo
	v_sqrt_f32_e32 v2, v1
	s_waitcnt_depctr 0xfff
	v_add_nc_u32_e32 v3, -1, v2
	v_add_nc_u32_e32 v4, 1, v2
	s_delay_alu instid0(VALU_DEP_2) | instskip(NEXT) | instid1(VALU_DEP_2)
	v_fma_f32 v13, -v3, v2, v1
	v_fma_f32 v14, -v4, v2, v1
	s_delay_alu instid0(VALU_DEP_2) | instskip(NEXT) | instid1(VALU_DEP_1)
	v_cmp_ge_f32_e64 s1, 0, v13
	v_cndmask_b32_e64 v2, v2, v3, s1
	s_delay_alu instid0(VALU_DEP_3) | instskip(NEXT) | instid1(VALU_DEP_1)
	v_cmp_lt_f32_e64 s1, 0, v14
	v_cndmask_b32_e64 v2, v2, v4, s1
	s_delay_alu instid0(VALU_DEP_1) | instskip(NEXT) | instid1(VALU_DEP_1)
	v_mul_f32_e32 v3, 0x37800000, v2
	v_cndmask_b32_e32 v2, v2, v3, vcc_lo
	v_cmp_class_f32_e64 vcc_lo, v1, 0x260
	s_delay_alu instid0(VALU_DEP_2) | instskip(NEXT) | instid1(VALU_DEP_1)
	v_cndmask_b32_e32 v1, v2, v1, vcc_lo
	v_add_f32_e32 v2, v1, v1
	s_delay_alu instid0(VALU_DEP_1) | instskip(NEXT) | instid1(VALU_DEP_1)
	v_div_scale_f32 v3, null, v2, v2, v12
	v_rcp_f32_e32 v4, v3
	s_waitcnt_depctr 0xfff
	v_fma_f32 v13, -v3, v4, 1.0
	s_delay_alu instid0(VALU_DEP_1) | instskip(SKIP_1) | instid1(VALU_DEP_1)
	v_fmac_f32_e32 v4, v13, v4
	v_div_scale_f32 v13, vcc_lo, v12, v2, v12
	v_mul_f32_e32 v14, v13, v4
	s_delay_alu instid0(VALU_DEP_1) | instskip(NEXT) | instid1(VALU_DEP_1)
	v_fma_f32 v15, -v3, v14, v13
	v_fmac_f32_e32 v14, v15, v4
	s_delay_alu instid0(VALU_DEP_1) | instskip(NEXT) | instid1(VALU_DEP_1)
	v_fma_f32 v3, -v3, v14, v13
                                        ; implicit-def: $vgpr13
	v_div_fmas_f32 v3, v3, v4, v14
	s_delay_alu instid0(VALU_DEP_1)
	v_div_fixup_f32 v2, v3, v2, v12
                                        ; implicit-def: $vgpr3
                                        ; implicit-def: $vgpr12
	s_and_not1_saveexec_b32 s15, s15
	s_cbranch_execz .LBB180_129
	s_branch .LBB180_128
.LBB180_127:
	s_and_not1_saveexec_b32 s15, s15
	s_cbranch_execz .LBB180_129
.LBB180_128:
	v_sub_f32_e32 v1, v3, v13
	s_delay_alu instid0(VALU_DEP_1) | instskip(NEXT) | instid1(VALU_DEP_1)
	v_mul_f32_e32 v1, 0.5, v1
	v_mul_f32_e32 v2, 0x4f800000, v1
	v_cmp_gt_f32_e32 vcc_lo, 0xf800000, v1
	s_delay_alu instid0(VALU_DEP_2) | instskip(NEXT) | instid1(VALU_DEP_1)
	v_cndmask_b32_e32 v1, v1, v2, vcc_lo
	v_sqrt_f32_e32 v2, v1
	s_waitcnt_depctr 0xfff
	v_add_nc_u32_e32 v3, -1, v2
	v_add_nc_u32_e32 v4, 1, v2
	s_delay_alu instid0(VALU_DEP_2) | instskip(NEXT) | instid1(VALU_DEP_2)
	v_fma_f32 v13, -v3, v2, v1
	v_fma_f32 v14, -v4, v2, v1
	s_delay_alu instid0(VALU_DEP_2) | instskip(NEXT) | instid1(VALU_DEP_1)
	v_cmp_ge_f32_e64 s1, 0, v13
	v_cndmask_b32_e64 v2, v2, v3, s1
	s_delay_alu instid0(VALU_DEP_3) | instskip(NEXT) | instid1(VALU_DEP_1)
	v_cmp_lt_f32_e64 s1, 0, v14
	v_cndmask_b32_e64 v2, v2, v4, s1
	s_delay_alu instid0(VALU_DEP_1) | instskip(NEXT) | instid1(VALU_DEP_1)
	v_mul_f32_e32 v3, 0x37800000, v2
	v_cndmask_b32_e32 v2, v2, v3, vcc_lo
	v_cmp_class_f32_e64 vcc_lo, v1, 0x260
	s_delay_alu instid0(VALU_DEP_2) | instskip(NEXT) | instid1(VALU_DEP_1)
	v_dual_cndmask_b32 v2, v2, v1 :: v_dual_and_b32 v1, 0x7fffffff, v12
	v_add_f32_e32 v3, v2, v2
	v_bfi_b32 v2, 0x7fffffff, v2, v12
	s_delay_alu instid0(VALU_DEP_2) | instskip(SKIP_1) | instid1(VALU_DEP_2)
	v_div_scale_f32 v4, null, v3, v3, v1
	v_div_scale_f32 v1, vcc_lo, v1, v3, v1
	v_rcp_f32_e32 v13, v4
	s_waitcnt_depctr 0xfff
	v_fma_f32 v14, -v4, v13, 1.0
	s_delay_alu instid0(VALU_DEP_1) | instskip(NEXT) | instid1(VALU_DEP_1)
	v_fmac_f32_e32 v13, v14, v13
	v_mul_f32_e32 v14, v1, v13
	s_delay_alu instid0(VALU_DEP_1) | instskip(NEXT) | instid1(VALU_DEP_1)
	v_fma_f32 v15, -v4, v14, v1
	v_fmac_f32_e32 v14, v15, v13
	s_delay_alu instid0(VALU_DEP_1) | instskip(NEXT) | instid1(VALU_DEP_1)
	v_fma_f32 v1, -v4, v14, v1
	v_div_fmas_f32 v1, v1, v13, v14
	s_delay_alu instid0(VALU_DEP_1)
	v_div_fixup_f32 v1, v1, v3, |v12|
.LBB180_129:
	s_or_b32 exec_lo, exec_lo, s15
                                        ; implicit-def: $vgpr12
                                        ; implicit-def: $vgpr13
	s_and_saveexec_b32 s1, s0
	s_delay_alu instid0(SALU_CYCLE_1)
	s_xor_b32 s0, exec_lo, s1
	s_cbranch_execz .LBB180_131
; %bb.130:
	v_dual_mul_f32 v3, 0.5, v1 :: v_dual_mul_f32 v4, 0.5, v2
	s_delay_alu instid0(VALU_DEP_1) | instskip(NEXT) | instid1(VALU_DEP_2)
	v_cndmask_b32_e64 v13, v1, v3, s14
	v_cndmask_b32_e64 v12, v2, v4, s14
                                        ; implicit-def: $vgpr1
                                        ; implicit-def: $vgpr2
	s_and_not1_saveexec_b32 s0, s0
	s_cbranch_execnz .LBB180_132
	s_branch .LBB180_133
.LBB180_131:
	s_and_not1_saveexec_b32 s0, s0
.LBB180_132:
	v_dual_add_f32 v13, v1, v1 :: v_dual_add_f32 v12, v2, v2
.LBB180_133:
	s_or_b32 exec_lo, exec_lo, s0
                                        ; implicit-def: $vgpr1_vgpr2_vgpr3_vgpr4
.LBB180_134:
	s_and_not1_saveexec_b32 s0, s13
	s_cbranch_execz .LBB180_140
; %bb.135:
	s_delay_alu instid0(VALU_DEP_1)
	v_sub_f32_e32 v1, v12, v12
	s_mov_b32 s1, exec_lo
	v_cmpx_lt_i16_e32 -1, v4
	s_xor_b32 s1, exec_lo, s1
; %bb.136:
	s_delay_alu instid0(VALU_DEP_2)
	v_bfi_b32 v12, 0x7fffffff, v1, v12
                                        ; implicit-def: $vgpr1
; %bb.137:
	s_and_not1_saveexec_b32 s1, s1
; %bb.138:
	v_and_b32_e32 v1, 0x7fffffff, v1
	s_delay_alu instid0(VALU_DEP_2) | instskip(NEXT) | instid1(VALU_DEP_2)
	v_bfi_b32 v12, 0x7fffffff, v13, v12
	v_mov_b32_e32 v13, v1
; %bb.139:
	s_or_b32 exec_lo, exec_lo, s1
.LBB180_140:
	s_delay_alu instid0(SALU_CYCLE_1)
	s_or_b32 exec_lo, exec_lo, s0
.LBB180_141:
	s_and_not1_saveexec_b32 s0, s12
; %bb.142:
	v_sub_f32_e32 v1, v12, v12
	s_delay_alu instid0(VALU_DEP_1) | instskip(NEXT) | instid1(VALU_DEP_1)
	v_div_scale_f32 v2, vcc_lo, v1, v1, v1
	v_rcp_f32_e32 v3, v2
	s_waitcnt_depctr 0xfff
	v_fma_f32 v4, -v2, v3, 1.0
	s_delay_alu instid0(VALU_DEP_1) | instskip(NEXT) | instid1(VALU_DEP_1)
	v_fmac_f32_e32 v3, v4, v3
	v_mul_f32_e32 v4, v2, v3
	s_delay_alu instid0(VALU_DEP_1) | instskip(NEXT) | instid1(VALU_DEP_1)
	v_fma_f32 v12, -v2, v4, v2
	v_fmac_f32_e32 v4, v12, v3
	s_delay_alu instid0(VALU_DEP_1) | instskip(NEXT) | instid1(VALU_DEP_1)
	v_fma_f32 v2, -v2, v4, v2
	v_div_fmas_f32 v2, v2, v3, v4
	s_delay_alu instid0(VALU_DEP_1)
	v_div_fixup_f32 v12, v2, v1, v1
; %bb.143:
	s_or_b32 exec_lo, exec_lo, s0
.LBB180_144:
	s_delay_alu instid0(SALU_CYCLE_1)
	s_or_b32 exec_lo, exec_lo, s11
.LBB180_145:
	s_delay_alu instid0(SALU_CYCLE_1)
	s_or_b32 exec_lo, exec_lo, s9
	v_cmp_gt_f32_e32 vcc_lo, 0, v13
                                        ; implicit-def: $vgpr2
                                        ; implicit-def: $vgpr1
	s_mov_b32 s0, exec_lo
	v_cndmask_b32_e64 v3, v13, -v13, vcc_lo
	v_cmp_gt_f32_e32 vcc_lo, 0, v12
	v_cndmask_b32_e64 v4, v12, -v12, vcc_lo
	s_delay_alu instid0(VALU_DEP_1)
	v_cmpx_ge_f32_e32 v3, v4
	s_xor_b32 s1, exec_lo, s0
	s_cbranch_execz .LBB180_151
; %bb.146:
	v_cmp_neq_f32_e32 vcc_lo, 0, v13
	v_cmp_neq_f32_e64 s0, 0, v12
                                        ; implicit-def: $vgpr2
                                        ; implicit-def: $vgpr1
	s_delay_alu instid0(VALU_DEP_1) | instskip(NEXT) | instid1(SALU_CYCLE_1)
	s_or_b32 s0, vcc_lo, s0
	s_and_saveexec_b32 s9, s0
	s_delay_alu instid0(SALU_CYCLE_1)
	s_xor_b32 s0, exec_lo, s9
	s_cbranch_execz .LBB180_148
; %bb.147:
	v_div_scale_f32 v1, null, v13, v13, v12
	v_div_scale_f32 v4, vcc_lo, v12, v13, v12
	s_delay_alu instid0(VALU_DEP_2) | instskip(SKIP_2) | instid1(VALU_DEP_1)
	v_rcp_f32_e32 v2, v1
	s_waitcnt_depctr 0xfff
	v_fma_f32 v3, -v1, v2, 1.0
	v_fmac_f32_e32 v2, v3, v2
	s_delay_alu instid0(VALU_DEP_1) | instskip(NEXT) | instid1(VALU_DEP_1)
	v_mul_f32_e32 v3, v4, v2
	v_fma_f32 v14, -v1, v3, v4
	s_delay_alu instid0(VALU_DEP_1) | instskip(NEXT) | instid1(VALU_DEP_1)
	v_fmac_f32_e32 v3, v14, v2
	v_fma_f32 v1, -v1, v3, v4
	s_delay_alu instid0(VALU_DEP_1) | instskip(NEXT) | instid1(VALU_DEP_1)
	v_div_fmas_f32 v1, v1, v2, v3
	v_div_fixup_f32 v2, v1, v13, v12
	s_delay_alu instid0(VALU_DEP_1) | instskip(NEXT) | instid1(VALU_DEP_1)
	v_fmac_f32_e32 v13, v12, v2
	v_div_scale_f32 v1, null, v13, v13, 1.0
	v_div_scale_f32 v12, vcc_lo, 1.0, v13, 1.0
	s_delay_alu instid0(VALU_DEP_2) | instskip(SKIP_2) | instid1(VALU_DEP_1)
	v_rcp_f32_e32 v3, v1
	s_waitcnt_depctr 0xfff
	v_fma_f32 v4, -v1, v3, 1.0
	v_fmac_f32_e32 v3, v4, v3
	s_delay_alu instid0(VALU_DEP_1) | instskip(NEXT) | instid1(VALU_DEP_1)
	v_mul_f32_e32 v4, v12, v3
	v_fma_f32 v14, -v1, v4, v12
	s_delay_alu instid0(VALU_DEP_1) | instskip(NEXT) | instid1(VALU_DEP_1)
	v_fmac_f32_e32 v4, v14, v3
	v_fma_f32 v1, -v1, v4, v12
	s_delay_alu instid0(VALU_DEP_1) | instskip(SKIP_1) | instid1(VALU_DEP_2)
	v_div_fmas_f32 v1, v1, v3, v4
	v_fma_f32 v3, v2, 0, 1.0
	v_div_fixup_f32 v4, v1, v13, 1.0
	s_delay_alu instid0(VALU_DEP_1)
	v_mul_f32_e32 v1, v3, v4
	v_mul_f32_e64 v2, -v2, v4
                                        ; implicit-def: $vgpr3
                                        ; implicit-def: $vgpr4
.LBB180_148:
	s_and_not1_saveexec_b32 s9, s0
	s_cbranch_execz .LBB180_150
; %bb.149:
	v_div_scale_f32 v1, null, v3, v3, 1.0
	v_div_scale_f32 v2, null, v4, v4, 0
	v_div_scale_f32 v16, vcc_lo, 1.0, v3, 1.0
	s_delay_alu instid0(VALU_DEP_3) | instskip(NEXT) | instid1(VALU_DEP_2)
	v_rcp_f32_e32 v12, v1
	v_rcp_f32_e32 v13, v2
	s_waitcnt_depctr 0xfff
	v_fma_f32 v14, -v1, v12, 1.0
	v_fma_f32 v15, -v2, v13, 1.0
	s_delay_alu instid0(VALU_DEP_1) | instskip(SKIP_1) | instid1(VALU_DEP_2)
	v_dual_fmac_f32 v12, v14, v12 :: v_dual_fmac_f32 v13, v15, v13
	v_div_scale_f32 v14, s0, 0, v4, 0
	v_mul_f32_e32 v15, v16, v12
	s_delay_alu instid0(VALU_DEP_2) | instskip(NEXT) | instid1(VALU_DEP_2)
	v_mul_f32_e32 v17, v14, v13
	v_fma_f32 v18, -v1, v15, v16
	s_delay_alu instid0(VALU_DEP_2) | instskip(NEXT) | instid1(VALU_DEP_2)
	v_fma_f32 v19, -v2, v17, v14
	v_fmac_f32_e32 v15, v18, v12
	s_delay_alu instid0(VALU_DEP_2) | instskip(NEXT) | instid1(VALU_DEP_2)
	v_fmac_f32_e32 v17, v19, v13
	v_fma_f32 v1, -v1, v15, v16
	s_delay_alu instid0(VALU_DEP_2) | instskip(NEXT) | instid1(VALU_DEP_2)
	v_fma_f32 v2, -v2, v17, v14
	v_div_fmas_f32 v1, v1, v12, v15
	s_mov_b32 vcc_lo, s0
	s_delay_alu instid0(VALU_DEP_2) | instskip(NEXT) | instid1(VALU_DEP_2)
	v_div_fmas_f32 v2, v2, v13, v17
	v_div_fixup_f32 v1, v1, v3, 1.0
	s_delay_alu instid0(VALU_DEP_2)
	v_div_fixup_f32 v2, v2, v4, 0
.LBB180_150:
	s_or_b32 exec_lo, exec_lo, s9
                                        ; implicit-def: $vgpr12
                                        ; implicit-def: $vgpr13
.LBB180_151:
	s_and_not1_saveexec_b32 s0, s1
	s_cbranch_execz .LBB180_153
; %bb.152:
	v_div_scale_f32 v1, null, v12, v12, v13
	v_div_scale_f32 v4, vcc_lo, v13, v12, v13
	s_delay_alu instid0(VALU_DEP_2) | instskip(SKIP_2) | instid1(VALU_DEP_1)
	v_rcp_f32_e32 v2, v1
	s_waitcnt_depctr 0xfff
	v_fma_f32 v3, -v1, v2, 1.0
	v_fmac_f32_e32 v2, v3, v2
	s_delay_alu instid0(VALU_DEP_1) | instskip(NEXT) | instid1(VALU_DEP_1)
	v_mul_f32_e32 v3, v4, v2
	v_fma_f32 v14, -v1, v3, v4
	s_delay_alu instid0(VALU_DEP_1) | instskip(NEXT) | instid1(VALU_DEP_1)
	v_fmac_f32_e32 v3, v14, v2
	v_fma_f32 v1, -v1, v3, v4
	s_delay_alu instid0(VALU_DEP_1) | instskip(NEXT) | instid1(VALU_DEP_1)
	v_div_fmas_f32 v1, v1, v2, v3
	v_div_fixup_f32 v1, v1, v12, v13
	s_delay_alu instid0(VALU_DEP_1) | instskip(NEXT) | instid1(VALU_DEP_1)
	v_fmac_f32_e32 v12, v13, v1
	v_div_scale_f32 v2, null, v12, v12, 1.0
	v_div_scale_f32 v13, vcc_lo, 1.0, v12, 1.0
	s_delay_alu instid0(VALU_DEP_2) | instskip(SKIP_2) | instid1(VALU_DEP_1)
	v_rcp_f32_e32 v3, v2
	s_waitcnt_depctr 0xfff
	v_fma_f32 v4, -v2, v3, 1.0
	v_fmac_f32_e32 v3, v4, v3
	s_delay_alu instid0(VALU_DEP_1) | instskip(NEXT) | instid1(VALU_DEP_1)
	v_mul_f32_e32 v4, v13, v3
	v_fma_f32 v14, -v2, v4, v13
	s_delay_alu instid0(VALU_DEP_1) | instskip(NEXT) | instid1(VALU_DEP_1)
	v_fmac_f32_e32 v4, v14, v3
	v_fma_f32 v2, -v2, v4, v13
	s_delay_alu instid0(VALU_DEP_1) | instskip(SKIP_2) | instid1(VALU_DEP_3)
	v_div_fmas_f32 v2, v2, v3, v4
	v_add_f32_e32 v3, 0, v1
	v_fma_f32 v4, v1, 0, -1.0
	v_div_fixup_f32 v2, v2, v12, 1.0
	s_delay_alu instid0(VALU_DEP_1) | instskip(NEXT) | instid1(VALU_DEP_3)
	v_mul_f32_e32 v1, v3, v2
	v_mul_f32_e32 v2, v4, v2
.LBB180_153:
	s_or_b32 exec_lo, exec_lo, s0
	v_cvt_f16_f32_e32 v3, v11
	v_cvt_f16_f32_e32 v4, v10
	;; [unrolled: 1-line block ×8, first 2 shown]
	v_lshlrev_b32_e32 v3, 16, v3
	v_and_b32_e32 v4, 0xffff, v4
	v_lshlrev_b32_e32 v9, 16, v9
	v_and_b32_e32 v8, 0xffff, v8
	;; [unrolled: 2-line block ×4, first 2 shown]
	v_or_b32_e32 v3, v3, v4
	v_or_b32_e32 v2, v9, v8
	v_or_b32_e32 v1, v7, v6
	s_add_u32 s2, s4, s2
	v_or_b32_e32 v4, v10, v11
	s_addc_u32 s3, s5, s3
	s_mov_b32 s0, 0
	global_store_b128 v5, v[1:4], s[2:3]
.LBB180_154:
	s_and_b32 vcc_lo, exec_lo, s0
	s_cbranch_vccz .LBB180_331
; %bb.155:
	v_cmp_gt_i32_e64 s0, s10, v0
	v_dual_mov_b32 v7, 0 :: v_dual_mov_b32 v8, 0
	v_or_b32_e32 v1, s8, v0
	v_or_b32_e32 v3, 0x100, v0
	v_mov_b32_e32 v4, v0
	s_and_saveexec_b32 s1, s0
	s_cbranch_execz .LBB180_157
; %bb.156:
	v_mov_b32_e32 v2, 0
	s_delay_alu instid0(VALU_DEP_1) | instskip(NEXT) | instid1(VALU_DEP_1)
	v_lshlrev_b64 v[4:5], 2, v[1:2]
	v_add_co_u32 v4, vcc_lo, s6, v4
	s_delay_alu instid0(VALU_DEP_2)
	v_add_co_ci_u32_e32 v5, vcc_lo, s7, v5, vcc_lo
	global_load_b32 v8, v[4:5], off
	v_or_b32_e32 v4, 0x100, v0
.LBB180_157:
	s_or_b32 exec_lo, exec_lo, s1
	s_delay_alu instid0(SALU_CYCLE_1) | instskip(NEXT) | instid1(VALU_DEP_1)
	s_mov_b32 s1, exec_lo
	v_cmpx_gt_i32_e64 s10, v4
	s_cbranch_execz .LBB180_159
; %bb.158:
	v_dual_mov_b32 v6, 0 :: v_dual_add_nc_u32 v5, s8, v4
	v_add_nc_u32_e32 v4, 0x100, v4
	s_delay_alu instid0(VALU_DEP_2) | instskip(NEXT) | instid1(VALU_DEP_1)
	v_lshlrev_b64 v[5:6], 2, v[5:6]
	v_add_co_u32 v5, vcc_lo, s6, v5
	s_delay_alu instid0(VALU_DEP_2)
	v_add_co_ci_u32_e32 v6, vcc_lo, s7, v6, vcc_lo
	global_load_b32 v7, v[5:6], off
.LBB180_159:
	s_or_b32 exec_lo, exec_lo, s1
	v_dual_mov_b32 v2, 0 :: v_dual_mov_b32 v5, 0
	s_mov_b32 s1, exec_lo
	v_cmpx_gt_i32_e64 s10, v4
	s_cbranch_execz .LBB180_163
; %bb.160:
	v_dual_mov_b32 v6, 0 :: v_dual_add_nc_u32 v5, s8, v4
	v_add_nc_u32_e32 v4, 0x100, v4
	s_delay_alu instid0(VALU_DEP_2) | instskip(NEXT) | instid1(VALU_DEP_1)
	v_lshlrev_b64 v[5:6], 2, v[5:6]
	v_add_co_u32 v5, vcc_lo, s6, v5
	s_delay_alu instid0(VALU_DEP_2) | instskip(SKIP_2) | instid1(SALU_CYCLE_1)
	v_add_co_ci_u32_e32 v6, vcc_lo, s7, v6, vcc_lo
	global_load_b32 v5, v[5:6], off
	s_or_b32 exec_lo, exec_lo, s1
	s_mov_b32 s1, exec_lo
	v_cmpx_gt_i32_e64 s10, v4
	s_cbranch_execnz .LBB180_164
.LBB180_161:
	s_or_b32 exec_lo, exec_lo, s1
                                        ; implicit-def: $vgpr4
	s_and_saveexec_b32 s3, s0
	s_cbranch_execnz .LBB180_165
.LBB180_162:
	s_or_b32 exec_lo, exec_lo, s3
	s_delay_alu instid0(SALU_CYCLE_1)
	s_mov_b32 s3, exec_lo
                                        ; implicit-def: $vgpr6
	v_cmpx_gt_i32_e64 s10, v3
	s_cbranch_execz .LBB180_243
	s_branch .LBB180_204
.LBB180_163:
	s_or_b32 exec_lo, exec_lo, s1
	s_delay_alu instid0(SALU_CYCLE_1)
	s_mov_b32 s1, exec_lo
	v_cmpx_gt_i32_e64 s10, v4
	s_cbranch_execz .LBB180_161
.LBB180_164:
	v_dual_mov_b32 v10, 0 :: v_dual_add_nc_u32 v9, s8, v4
	s_delay_alu instid0(VALU_DEP_1) | instskip(NEXT) | instid1(VALU_DEP_1)
	v_lshlrev_b64 v[9:10], 2, v[9:10]
	v_add_co_u32 v9, vcc_lo, s6, v9
	s_delay_alu instid0(VALU_DEP_2)
	v_add_co_ci_u32_e32 v10, vcc_lo, s7, v10, vcc_lo
	global_load_b32 v2, v[9:10], off
	s_or_b32 exec_lo, exec_lo, s1
                                        ; implicit-def: $vgpr4
	s_and_saveexec_b32 s3, s0
	s_cbranch_execz .LBB180_162
.LBB180_165:
	s_waitcnt vmcnt(0)
	v_lshrrev_b32_e32 v4, 16, v8
	v_cmp_neq_f16_e32 vcc_lo, 0, v8
	v_mov_b32_e32 v6, 0
	s_delay_alu instid0(VALU_DEP_3) | instskip(SKIP_1) | instid1(VALU_DEP_2)
	v_cmp_neq_f16_e64 s1, 0, v4
	v_cvt_f32_f16_e32 v4, v4
	s_or_b32 s1, vcc_lo, s1
	s_delay_alu instid0(SALU_CYCLE_1)
	s_and_saveexec_b32 s6, s1
	s_cbranch_execz .LBB180_195
; %bb.166:
	v_mov_b32_e32 v6, 0x7f800000
	s_mov_b32 s7, exec_lo
	v_cmpx_neq_f32_e64 0x7f800000, |v4|
	s_cbranch_execz .LBB180_194
; %bb.167:
	v_cvt_f32_f16_e32 v6, v8
	s_mov_b32 s1, exec_lo
	v_cmpx_o_f16_e32 v8, v8
	s_xor_b32 s9, exec_lo, s1
	s_cbranch_execz .LBB180_191
; %bb.168:
	s_mov_b32 s2, exec_lo
	v_cmpx_neq_f32_e64 0x7f800000, |v6|
	s_xor_b32 s11, exec_lo, s2
	s_cbranch_execz .LBB180_184
; %bb.169:
	v_max_f32_e64 v8, |v4|, |v4|
	v_max_f32_e64 v9, |v6|, |v6|
                                        ; implicit-def: $sgpr12
	s_delay_alu instid0(VALU_DEP_1) | instskip(NEXT) | instid1(VALU_DEP_1)
	v_max_f32_e32 v8, v9, v8
	v_cmp_nle_f32_e64 s1, 0x7ed413cb, v8
	s_delay_alu instid0(VALU_DEP_1) | instskip(NEXT) | instid1(SALU_CYCLE_1)
	s_and_saveexec_b32 s2, s1
	s_xor_b32 s2, exec_lo, s2
	s_cbranch_execz .LBB180_173
; %bb.170:
	v_cmp_ge_f32_e64 s12, 0x1000000, |v6|
	v_cmp_ge_f32_e64 s13, 0x1000000, |v4|
	s_delay_alu instid0(VALU_DEP_1)
	s_and_b32 s14, s12, s13
	s_mov_b32 s12, 0
	s_and_saveexec_b32 s13, s14
; %bb.171:
	v_mul_f32_e32 v6, 4.0, v6
	v_mul_f32_e32 v4, 4.0, v4
	s_mov_b32 s12, exec_lo
; %bb.172:
	s_or_b32 exec_lo, exec_lo, s13
	s_delay_alu instid0(SALU_CYCLE_1)
	s_and_b32 s12, s12, exec_lo
.LBB180_173:
	s_and_not1_saveexec_b32 s2, s2
; %bb.174:
	v_mul_f32_e32 v6, 0x3e800000, v6
	v_mul_f32_e32 v4, 0x3e800000, v4
	s_and_not1_b32 s12, s12, exec_lo
; %bb.175:
	s_or_b32 exec_lo, exec_lo, s2
	s_delay_alu instid0(VALU_DEP_1) | instskip(SKIP_1) | instid1(VALU_DEP_1)
	v_max_f32_e64 v8, |v4|, |v4|
	v_max_f32_e64 v9, |v6|, |v6|
	v_max_f32_e32 v10, v9, v8
	s_delay_alu instid0(VALU_DEP_1) | instskip(NEXT) | instid1(VALU_DEP_1)
	v_cvt_f64_f32_e32 v[8:9], v10
	v_frexp_exp_i32_f64_e32 v8, v[8:9]
	s_delay_alu instid0(VALU_DEP_1) | instskip(NEXT) | instid1(VALU_DEP_1)
	v_sub_nc_u32_e32 v9, 0, v8
	v_ldexp_f32 v11, |v4|, v9
	v_ldexp_f32 v9, |v6|, v9
	s_delay_alu instid0(VALU_DEP_2) | instskip(SKIP_1) | instid1(VALU_DEP_2)
	v_mul_f32_e32 v11, v11, v11
	v_cmp_neq_f32_e64 s2, 0x7f800000, v10
	v_fmac_f32_e32 v11, v9, v9
	s_delay_alu instid0(VALU_DEP_1) | instskip(SKIP_2) | instid1(VALU_DEP_1)
	v_sqrt_f32_e32 v9, v11
	s_waitcnt_depctr 0xfff
	v_ldexp_f32 v8, v9, v8
                                        ; implicit-def: $vgpr9
	v_cndmask_b32_e64 v10, 0x7f800000, v8, s2
                                        ; implicit-def: $vgpr8
	s_mov_b32 s2, exec_lo
	v_cmpx_le_f32_e32 0, v6
	s_xor_b32 s13, exec_lo, s2
	s_cbranch_execz .LBB180_177
; %bb.176:
	v_add_f32_e32 v6, v6, v10
	s_delay_alu instid0(VALU_DEP_1) | instskip(NEXT) | instid1(VALU_DEP_1)
	v_mul_f32_e32 v6, 0.5, v6
	v_mul_f32_e32 v8, 0x4f800000, v6
	v_cmp_gt_f32_e32 vcc_lo, 0xf800000, v6
	s_delay_alu instid0(VALU_DEP_2) | instskip(NEXT) | instid1(VALU_DEP_1)
	v_cndmask_b32_e32 v6, v6, v8, vcc_lo
	v_sqrt_f32_e32 v8, v6
	s_waitcnt_depctr 0xfff
	v_add_nc_u32_e32 v9, -1, v8
	v_add_nc_u32_e32 v10, 1, v8
	s_delay_alu instid0(VALU_DEP_2) | instskip(NEXT) | instid1(VALU_DEP_2)
	v_fma_f32 v11, -v9, v8, v6
	v_fma_f32 v12, -v10, v8, v6
	s_delay_alu instid0(VALU_DEP_2) | instskip(NEXT) | instid1(VALU_DEP_1)
	v_cmp_ge_f32_e64 s2, 0, v11
	v_cndmask_b32_e64 v8, v8, v9, s2
	s_delay_alu instid0(VALU_DEP_3) | instskip(NEXT) | instid1(VALU_DEP_1)
	v_cmp_lt_f32_e64 s2, 0, v12
	v_cndmask_b32_e64 v8, v8, v10, s2
	s_delay_alu instid0(VALU_DEP_1) | instskip(NEXT) | instid1(VALU_DEP_1)
	v_mul_f32_e32 v9, 0x37800000, v8
	v_cndmask_b32_e32 v8, v8, v9, vcc_lo
	v_cmp_class_f32_e64 vcc_lo, v6, 0x260
	s_delay_alu instid0(VALU_DEP_2) | instskip(NEXT) | instid1(VALU_DEP_1)
	v_cndmask_b32_e32 v8, v8, v6, vcc_lo
	v_add_f32_e32 v6, v8, v8
	s_delay_alu instid0(VALU_DEP_1) | instskip(NEXT) | instid1(VALU_DEP_1)
	v_div_scale_f32 v9, null, v6, v6, v4
	v_rcp_f32_e32 v10, v9
	s_waitcnt_depctr 0xfff
	v_fma_f32 v11, -v9, v10, 1.0
	s_delay_alu instid0(VALU_DEP_1) | instskip(SKIP_1) | instid1(VALU_DEP_1)
	v_fmac_f32_e32 v10, v11, v10
	v_div_scale_f32 v11, vcc_lo, v4, v6, v4
	v_mul_f32_e32 v12, v11, v10
	s_delay_alu instid0(VALU_DEP_1) | instskip(NEXT) | instid1(VALU_DEP_1)
	v_fma_f32 v13, -v9, v12, v11
	v_fmac_f32_e32 v12, v13, v10
	s_delay_alu instid0(VALU_DEP_1) | instskip(NEXT) | instid1(VALU_DEP_1)
	v_fma_f32 v9, -v9, v12, v11
	v_div_fmas_f32 v9, v9, v10, v12
                                        ; implicit-def: $vgpr10
	s_delay_alu instid0(VALU_DEP_1)
	v_div_fixup_f32 v9, v9, v6, v4
                                        ; implicit-def: $vgpr6
                                        ; implicit-def: $vgpr4
	s_and_not1_saveexec_b32 s13, s13
	s_cbranch_execz .LBB180_179
	s_branch .LBB180_178
.LBB180_177:
	s_and_not1_saveexec_b32 s13, s13
	s_cbranch_execz .LBB180_179
.LBB180_178:
	v_sub_f32_e32 v6, v10, v6
	s_delay_alu instid0(VALU_DEP_1) | instskip(NEXT) | instid1(VALU_DEP_1)
	v_mul_f32_e32 v6, 0.5, v6
	v_mul_f32_e32 v8, 0x4f800000, v6
	v_cmp_gt_f32_e32 vcc_lo, 0xf800000, v6
	s_delay_alu instid0(VALU_DEP_2) | instskip(NEXT) | instid1(VALU_DEP_1)
	v_cndmask_b32_e32 v6, v6, v8, vcc_lo
	v_sqrt_f32_e32 v8, v6
	s_waitcnt_depctr 0xfff
	v_add_nc_u32_e32 v9, -1, v8
	v_add_nc_u32_e32 v10, 1, v8
	s_delay_alu instid0(VALU_DEP_2) | instskip(NEXT) | instid1(VALU_DEP_2)
	v_fma_f32 v11, -v9, v8, v6
	v_fma_f32 v12, -v10, v8, v6
	s_delay_alu instid0(VALU_DEP_2) | instskip(NEXT) | instid1(VALU_DEP_1)
	v_cmp_ge_f32_e64 s2, 0, v11
	v_cndmask_b32_e64 v8, v8, v9, s2
	s_delay_alu instid0(VALU_DEP_3) | instskip(NEXT) | instid1(VALU_DEP_1)
	v_cmp_lt_f32_e64 s2, 0, v12
	v_cndmask_b32_e64 v8, v8, v10, s2
	s_delay_alu instid0(VALU_DEP_1) | instskip(NEXT) | instid1(VALU_DEP_1)
	v_mul_f32_e32 v9, 0x37800000, v8
	v_cndmask_b32_e32 v8, v8, v9, vcc_lo
	v_cmp_class_f32_e64 vcc_lo, v6, 0x260
	s_delay_alu instid0(VALU_DEP_2) | instskip(NEXT) | instid1(VALU_DEP_1)
	v_cndmask_b32_e32 v6, v8, v6, vcc_lo
	v_dual_add_f32 v9, v6, v6 :: v_dual_and_b32 v8, 0x7fffffff, v4
	s_delay_alu instid0(VALU_DEP_1) | instskip(SKIP_1) | instid1(VALU_DEP_2)
	v_div_scale_f32 v10, null, v9, v9, v8
	v_div_scale_f32 v8, vcc_lo, v8, v9, v8
	v_rcp_f32_e32 v11, v10
	s_waitcnt_depctr 0xfff
	v_fma_f32 v12, -v10, v11, 1.0
	s_delay_alu instid0(VALU_DEP_1) | instskip(NEXT) | instid1(VALU_DEP_1)
	v_fmac_f32_e32 v11, v12, v11
	v_mul_f32_e32 v12, v8, v11
	s_delay_alu instid0(VALU_DEP_1) | instskip(NEXT) | instid1(VALU_DEP_1)
	v_fma_f32 v13, -v10, v12, v8
	v_fmac_f32_e32 v12, v13, v11
	s_delay_alu instid0(VALU_DEP_1) | instskip(NEXT) | instid1(VALU_DEP_1)
	v_fma_f32 v8, -v10, v12, v8
	v_div_fmas_f32 v8, v8, v11, v12
	s_delay_alu instid0(VALU_DEP_1)
	v_div_fixup_f32 v8, v8, v9, |v4|
	v_bfi_b32 v9, 0x7fffffff, v6, v4
.LBB180_179:
	s_or_b32 exec_lo, exec_lo, s13
                                        ; implicit-def: $vgpr4
                                        ; implicit-def: $vgpr6
	s_and_saveexec_b32 s2, s1
	s_delay_alu instid0(SALU_CYCLE_1)
	s_xor_b32 s1, exec_lo, s2
	s_cbranch_execz .LBB180_181
; %bb.180:
	v_mul_f32_e32 v4, 0.5, v8
	v_mul_f32_e32 v10, 0.5, v9
	s_delay_alu instid0(VALU_DEP_2) | instskip(NEXT) | instid1(VALU_DEP_2)
	v_cndmask_b32_e64 v6, v8, v4, s12
	v_cndmask_b32_e64 v4, v9, v10, s12
                                        ; implicit-def: $vgpr8
                                        ; implicit-def: $vgpr9
	s_and_not1_saveexec_b32 s1, s1
	s_cbranch_execnz .LBB180_182
	s_branch .LBB180_183
.LBB180_181:
	s_and_not1_saveexec_b32 s1, s1
.LBB180_182:
	v_add_f32_e32 v6, v8, v8
	v_add_f32_e32 v4, v9, v9
.LBB180_183:
	s_or_b32 exec_lo, exec_lo, s1
                                        ; implicit-def: $vgpr8
.LBB180_184:
	s_and_not1_saveexec_b32 s1, s11
	s_cbranch_execz .LBB180_190
; %bb.185:
	v_cmp_lt_i16_e32 vcc_lo, -1, v8
	v_sub_f32_e32 v8, v4, v4
	s_and_saveexec_b32 s2, vcc_lo
	s_delay_alu instid0(SALU_CYCLE_1)
	s_xor_b32 s2, exec_lo, s2
; %bb.186:
	s_delay_alu instid0(VALU_DEP_1)
	v_bfi_b32 v4, 0x7fffffff, v8, v4
                                        ; implicit-def: $vgpr8
; %bb.187:
	s_and_not1_saveexec_b32 s2, s2
; %bb.188:
	v_and_b32_e32 v8, 0x7fffffff, v8
	s_delay_alu instid0(VALU_DEP_2) | instskip(NEXT) | instid1(VALU_DEP_2)
	v_bfi_b32 v4, 0x7fffffff, v6, v4
	v_mov_b32_e32 v6, v8
; %bb.189:
	s_or_b32 exec_lo, exec_lo, s2
.LBB180_190:
	s_delay_alu instid0(SALU_CYCLE_1)
	s_or_b32 exec_lo, exec_lo, s1
.LBB180_191:
	s_and_not1_saveexec_b32 s1, s9
; %bb.192:
	v_sub_f32_e32 v4, v4, v4
	s_delay_alu instid0(VALU_DEP_1) | instskip(NEXT) | instid1(VALU_DEP_1)
	v_div_scale_f32 v8, vcc_lo, v4, v4, v4
	v_rcp_f32_e32 v9, v8
	s_waitcnt_depctr 0xfff
	v_fma_f32 v10, -v8, v9, 1.0
	s_delay_alu instid0(VALU_DEP_1) | instskip(NEXT) | instid1(VALU_DEP_1)
	v_fmac_f32_e32 v9, v10, v9
	v_mul_f32_e32 v10, v8, v9
	s_delay_alu instid0(VALU_DEP_1) | instskip(NEXT) | instid1(VALU_DEP_1)
	v_fma_f32 v11, -v8, v10, v8
	v_fmac_f32_e32 v10, v11, v9
	s_delay_alu instid0(VALU_DEP_1) | instskip(NEXT) | instid1(VALU_DEP_1)
	v_fma_f32 v8, -v8, v10, v8
	v_div_fmas_f32 v8, v8, v9, v10
	s_delay_alu instid0(VALU_DEP_1)
	v_div_fixup_f32 v4, v8, v4, v4
; %bb.193:
	s_or_b32 exec_lo, exec_lo, s1
.LBB180_194:
	s_delay_alu instid0(SALU_CYCLE_1)
	s_or_b32 exec_lo, exec_lo, s7
.LBB180_195:
	s_delay_alu instid0(SALU_CYCLE_1)
	s_or_b32 exec_lo, exec_lo, s6
	v_cmp_gt_f32_e32 vcc_lo, 0, v6
                                        ; implicit-def: $vgpr11
                                        ; implicit-def: $vgpr10
	s_mov_b32 s1, exec_lo
	v_cndmask_b32_e64 v8, v6, -v6, vcc_lo
	v_cmp_gt_f32_e32 vcc_lo, 0, v4
	v_cndmask_b32_e64 v9, v4, -v4, vcc_lo
	s_delay_alu instid0(VALU_DEP_1)
	v_cmpx_ge_f32_e32 v8, v9
	s_xor_b32 s2, exec_lo, s1
	s_cbranch_execz .LBB180_201
; %bb.196:
	v_cmp_neq_f32_e32 vcc_lo, 0, v6
	v_cmp_neq_f32_e64 s1, 0, v4
                                        ; implicit-def: $vgpr11
                                        ; implicit-def: $vgpr10
	s_delay_alu instid0(VALU_DEP_1) | instskip(NEXT) | instid1(SALU_CYCLE_1)
	s_or_b32 s1, vcc_lo, s1
	s_and_saveexec_b32 s6, s1
	s_delay_alu instid0(SALU_CYCLE_1)
	s_xor_b32 s1, exec_lo, s6
	s_cbranch_execz .LBB180_198
; %bb.197:
	v_div_scale_f32 v8, null, v6, v6, v4
	v_div_scale_f32 v11, vcc_lo, v4, v6, v4
	s_delay_alu instid0(VALU_DEP_2) | instskip(SKIP_2) | instid1(VALU_DEP_1)
	v_rcp_f32_e32 v9, v8
	s_waitcnt_depctr 0xfff
	v_fma_f32 v10, -v8, v9, 1.0
	v_fmac_f32_e32 v9, v10, v9
	s_delay_alu instid0(VALU_DEP_1) | instskip(NEXT) | instid1(VALU_DEP_1)
	v_mul_f32_e32 v10, v11, v9
	v_fma_f32 v12, -v8, v10, v11
	s_delay_alu instid0(VALU_DEP_1) | instskip(NEXT) | instid1(VALU_DEP_1)
	v_fmac_f32_e32 v10, v12, v9
	v_fma_f32 v8, -v8, v10, v11
	s_delay_alu instid0(VALU_DEP_1) | instskip(NEXT) | instid1(VALU_DEP_1)
	v_div_fmas_f32 v8, v8, v9, v10
	v_div_fixup_f32 v8, v8, v6, v4
	s_delay_alu instid0(VALU_DEP_1) | instskip(NEXT) | instid1(VALU_DEP_1)
	v_fmac_f32_e32 v6, v4, v8
	v_div_scale_f32 v4, null, v6, v6, 1.0
	v_div_scale_f32 v11, vcc_lo, 1.0, v6, 1.0
	s_delay_alu instid0(VALU_DEP_2) | instskip(SKIP_2) | instid1(VALU_DEP_1)
	v_rcp_f32_e32 v9, v4
	s_waitcnt_depctr 0xfff
	v_fma_f32 v10, -v4, v9, 1.0
	v_fmac_f32_e32 v9, v10, v9
	s_delay_alu instid0(VALU_DEP_1) | instskip(NEXT) | instid1(VALU_DEP_1)
	v_mul_f32_e32 v10, v11, v9
	v_fma_f32 v12, -v4, v10, v11
	s_delay_alu instid0(VALU_DEP_1) | instskip(NEXT) | instid1(VALU_DEP_1)
	v_fmac_f32_e32 v10, v12, v9
	v_fma_f32 v4, -v4, v10, v11
	s_delay_alu instid0(VALU_DEP_1) | instskip(SKIP_1) | instid1(VALU_DEP_2)
	v_div_fmas_f32 v4, v4, v9, v10
	v_fma_f32 v9, v8, 0, 1.0
	v_div_fixup_f32 v4, v4, v6, 1.0
	s_delay_alu instid0(VALU_DEP_1)
	v_mul_f32_e32 v10, v9, v4
	v_mul_f32_e64 v11, -v8, v4
                                        ; implicit-def: $vgpr8
                                        ; implicit-def: $vgpr9
.LBB180_198:
	s_and_not1_saveexec_b32 s6, s1
	s_cbranch_execz .LBB180_200
; %bb.199:
	v_div_scale_f32 v4, null, v8, v8, 1.0
	v_div_scale_f32 v6, null, v9, v9, 0
	v_div_scale_f32 v14, vcc_lo, 1.0, v8, 1.0
	s_delay_alu instid0(VALU_DEP_3) | instskip(NEXT) | instid1(VALU_DEP_2)
	v_rcp_f32_e32 v10, v4
	v_rcp_f32_e32 v11, v6
	s_waitcnt_depctr 0xfff
	v_fma_f32 v12, -v4, v10, 1.0
	v_fma_f32 v13, -v6, v11, 1.0
	s_delay_alu instid0(VALU_DEP_1) | instskip(SKIP_1) | instid1(VALU_DEP_2)
	v_dual_fmac_f32 v10, v12, v10 :: v_dual_fmac_f32 v11, v13, v11
	v_div_scale_f32 v12, s1, 0, v9, 0
	v_mul_f32_e32 v13, v14, v10
	s_delay_alu instid0(VALU_DEP_2) | instskip(NEXT) | instid1(VALU_DEP_2)
	v_mul_f32_e32 v15, v12, v11
	v_fma_f32 v16, -v4, v13, v14
	s_delay_alu instid0(VALU_DEP_2) | instskip(NEXT) | instid1(VALU_DEP_2)
	v_fma_f32 v17, -v6, v15, v12
	v_fmac_f32_e32 v13, v16, v10
	s_delay_alu instid0(VALU_DEP_2) | instskip(NEXT) | instid1(VALU_DEP_2)
	v_fmac_f32_e32 v15, v17, v11
	v_fma_f32 v4, -v4, v13, v14
	s_delay_alu instid0(VALU_DEP_2) | instskip(NEXT) | instid1(VALU_DEP_2)
	v_fma_f32 v6, -v6, v15, v12
	v_div_fmas_f32 v4, v4, v10, v13
	s_mov_b32 vcc_lo, s1
	s_delay_alu instid0(VALU_DEP_2) | instskip(NEXT) | instid1(VALU_DEP_2)
	v_div_fmas_f32 v6, v6, v11, v15
	v_div_fixup_f32 v10, v4, v8, 1.0
	s_delay_alu instid0(VALU_DEP_2)
	v_div_fixup_f32 v11, v6, v9, 0
.LBB180_200:
	s_or_b32 exec_lo, exec_lo, s6
                                        ; implicit-def: $vgpr4
                                        ; implicit-def: $vgpr6
.LBB180_201:
	s_and_not1_saveexec_b32 s1, s2
	s_cbranch_execz .LBB180_203
; %bb.202:
	v_div_scale_f32 v8, null, v4, v4, v6
	v_div_scale_f32 v11, vcc_lo, v6, v4, v6
	s_delay_alu instid0(VALU_DEP_2) | instskip(SKIP_2) | instid1(VALU_DEP_1)
	v_rcp_f32_e32 v9, v8
	s_waitcnt_depctr 0xfff
	v_fma_f32 v10, -v8, v9, 1.0
	v_fmac_f32_e32 v9, v10, v9
	s_delay_alu instid0(VALU_DEP_1) | instskip(NEXT) | instid1(VALU_DEP_1)
	v_mul_f32_e32 v10, v11, v9
	v_fma_f32 v12, -v8, v10, v11
	s_delay_alu instid0(VALU_DEP_1) | instskip(NEXT) | instid1(VALU_DEP_1)
	v_fmac_f32_e32 v10, v12, v9
	v_fma_f32 v8, -v8, v10, v11
	s_delay_alu instid0(VALU_DEP_1) | instskip(NEXT) | instid1(VALU_DEP_1)
	v_div_fmas_f32 v8, v8, v9, v10
	v_div_fixup_f32 v8, v8, v4, v6
	s_delay_alu instid0(VALU_DEP_1) | instskip(NEXT) | instid1(VALU_DEP_1)
	v_fmac_f32_e32 v4, v6, v8
	v_div_scale_f32 v6, null, v4, v4, 1.0
	v_div_scale_f32 v11, vcc_lo, 1.0, v4, 1.0
	s_delay_alu instid0(VALU_DEP_2) | instskip(SKIP_2) | instid1(VALU_DEP_1)
	v_rcp_f32_e32 v9, v6
	s_waitcnt_depctr 0xfff
	v_fma_f32 v10, -v6, v9, 1.0
	v_fmac_f32_e32 v9, v10, v9
	s_delay_alu instid0(VALU_DEP_1) | instskip(NEXT) | instid1(VALU_DEP_1)
	v_mul_f32_e32 v10, v11, v9
	v_fma_f32 v12, -v6, v10, v11
	s_delay_alu instid0(VALU_DEP_1) | instskip(NEXT) | instid1(VALU_DEP_1)
	v_fmac_f32_e32 v10, v12, v9
	v_fma_f32 v6, -v6, v10, v11
	s_delay_alu instid0(VALU_DEP_1) | instskip(SKIP_1) | instid1(VALU_DEP_2)
	v_div_fmas_f32 v6, v6, v9, v10
	v_add_f32_e32 v9, 0, v8
	v_div_fixup_f32 v4, v6, v4, 1.0
	v_fma_f32 v6, v8, 0, -1.0
	s_delay_alu instid0(VALU_DEP_2) | instskip(NEXT) | instid1(VALU_DEP_2)
	v_mul_f32_e32 v10, v9, v4
	v_mul_f32_e32 v11, v6, v4
.LBB180_203:
	s_or_b32 exec_lo, exec_lo, s1
	s_delay_alu instid0(VALU_DEP_1) | instskip(NEXT) | instid1(VALU_DEP_3)
	v_cvt_f16_f32_e32 v4, v11
	v_cvt_f16_f32_e32 v6, v10
	s_delay_alu instid0(VALU_DEP_2) | instskip(NEXT) | instid1(VALU_DEP_2)
	v_lshlrev_b32_e32 v4, 16, v4
	v_and_b32_e32 v6, 0xffff, v6
	s_delay_alu instid0(VALU_DEP_1) | instskip(SKIP_1) | instid1(SALU_CYCLE_1)
	v_or_b32_e32 v4, v4, v6
	s_or_b32 exec_lo, exec_lo, s3
	s_mov_b32 s3, exec_lo
                                        ; implicit-def: $vgpr6
	v_cmpx_gt_i32_e64 s10, v3
	s_cbranch_execz .LBB180_243
.LBB180_204:
	s_waitcnt vmcnt(0)
	v_lshrrev_b32_e32 v6, 16, v7
	v_cmp_neq_f16_e32 vcc_lo, 0, v7
	v_mov_b32_e32 v8, 0
	s_delay_alu instid0(VALU_DEP_3) | instskip(SKIP_1) | instid1(VALU_DEP_2)
	v_cmp_neq_f16_e64 s1, 0, v6
	v_cvt_f32_f16_e32 v6, v6
	s_or_b32 s1, vcc_lo, s1
	s_delay_alu instid0(SALU_CYCLE_1)
	s_and_saveexec_b32 s6, s1
	s_cbranch_execz .LBB180_234
; %bb.205:
	v_mov_b32_e32 v8, 0x7f800000
	s_mov_b32 s7, exec_lo
	v_cmpx_neq_f32_e64 0x7f800000, |v6|
	s_cbranch_execz .LBB180_233
; %bb.206:
	v_cvt_f32_f16_e32 v8, v7
	s_mov_b32 s1, exec_lo
	v_cmpx_o_f16_e32 v7, v7
	s_xor_b32 s9, exec_lo, s1
	s_cbranch_execz .LBB180_230
; %bb.207:
	s_mov_b32 s2, exec_lo
	v_cmpx_neq_f32_e64 0x7f800000, |v8|
	s_xor_b32 s11, exec_lo, s2
	s_cbranch_execz .LBB180_223
; %bb.208:
	v_max_f32_e64 v7, |v6|, |v6|
	v_max_f32_e64 v9, |v8|, |v8|
                                        ; implicit-def: $sgpr12
	s_delay_alu instid0(VALU_DEP_1) | instskip(NEXT) | instid1(VALU_DEP_1)
	v_max_f32_e32 v7, v9, v7
	v_cmp_nle_f32_e64 s1, 0x7ed413cb, v7
	s_delay_alu instid0(VALU_DEP_1) | instskip(NEXT) | instid1(SALU_CYCLE_1)
	s_and_saveexec_b32 s2, s1
	s_xor_b32 s2, exec_lo, s2
	s_cbranch_execz .LBB180_212
; %bb.209:
	v_cmp_ge_f32_e64 s12, 0x1000000, |v8|
	v_cmp_ge_f32_e64 s13, 0x1000000, |v6|
	s_delay_alu instid0(VALU_DEP_1)
	s_and_b32 s14, s12, s13
	s_mov_b32 s12, 0
	s_and_saveexec_b32 s13, s14
; %bb.210:
	v_mul_f32_e32 v8, 4.0, v8
	v_mul_f32_e32 v6, 4.0, v6
	s_mov_b32 s12, exec_lo
; %bb.211:
	s_or_b32 exec_lo, exec_lo, s13
	s_delay_alu instid0(SALU_CYCLE_1)
	s_and_b32 s12, s12, exec_lo
.LBB180_212:
	s_and_not1_saveexec_b32 s2, s2
; %bb.213:
	v_mul_f32_e32 v8, 0x3e800000, v8
	v_mul_f32_e32 v6, 0x3e800000, v6
	s_and_not1_b32 s12, s12, exec_lo
; %bb.214:
	s_or_b32 exec_lo, exec_lo, s2
	s_delay_alu instid0(VALU_DEP_1) | instskip(SKIP_1) | instid1(VALU_DEP_1)
	v_max_f32_e64 v7, |v6|, |v6|
	v_max_f32_e64 v9, |v8|, |v8|
	v_max_f32_e32 v7, v9, v7
	s_delay_alu instid0(VALU_DEP_1) | instskip(SKIP_1) | instid1(VALU_DEP_2)
	v_cvt_f64_f32_e32 v[9:10], v7
	v_cmp_neq_f32_e64 s2, 0x7f800000, v7
                                        ; implicit-def: $vgpr7
	v_frexp_exp_i32_f64_e32 v9, v[9:10]
	s_delay_alu instid0(VALU_DEP_1) | instskip(NEXT) | instid1(VALU_DEP_1)
	v_sub_nc_u32_e32 v10, 0, v9
	v_ldexp_f32 v11, |v6|, v10
	v_ldexp_f32 v10, |v8|, v10
	s_delay_alu instid0(VALU_DEP_2) | instskip(NEXT) | instid1(VALU_DEP_1)
	v_mul_f32_e32 v11, v11, v11
	v_fmac_f32_e32 v11, v10, v10
	s_delay_alu instid0(VALU_DEP_1) | instskip(SKIP_2) | instid1(VALU_DEP_1)
	v_sqrt_f32_e32 v10, v11
	s_waitcnt_depctr 0xfff
	v_ldexp_f32 v9, v10, v9
	v_cndmask_b32_e64 v10, 0x7f800000, v9, s2
                                        ; implicit-def: $vgpr9
	s_mov_b32 s2, exec_lo
	v_cmpx_le_f32_e32 0, v8
	s_xor_b32 s13, exec_lo, s2
	s_cbranch_execz .LBB180_216
; %bb.215:
	v_add_f32_e32 v7, v8, v10
	s_delay_alu instid0(VALU_DEP_1) | instskip(NEXT) | instid1(VALU_DEP_1)
	v_mul_f32_e32 v7, 0.5, v7
	v_mul_f32_e32 v8, 0x4f800000, v7
	v_cmp_gt_f32_e32 vcc_lo, 0xf800000, v7
	s_delay_alu instid0(VALU_DEP_2) | instskip(NEXT) | instid1(VALU_DEP_1)
	v_cndmask_b32_e32 v7, v7, v8, vcc_lo
	v_sqrt_f32_e32 v8, v7
	s_waitcnt_depctr 0xfff
	v_add_nc_u32_e32 v9, -1, v8
	v_add_nc_u32_e32 v10, 1, v8
	s_delay_alu instid0(VALU_DEP_2) | instskip(NEXT) | instid1(VALU_DEP_2)
	v_fma_f32 v11, -v9, v8, v7
	v_fma_f32 v12, -v10, v8, v7
	s_delay_alu instid0(VALU_DEP_2) | instskip(NEXT) | instid1(VALU_DEP_1)
	v_cmp_ge_f32_e64 s2, 0, v11
	v_cndmask_b32_e64 v8, v8, v9, s2
	s_delay_alu instid0(VALU_DEP_3) | instskip(NEXT) | instid1(VALU_DEP_1)
	v_cmp_lt_f32_e64 s2, 0, v12
	v_cndmask_b32_e64 v8, v8, v10, s2
	s_delay_alu instid0(VALU_DEP_1) | instskip(NEXT) | instid1(VALU_DEP_1)
	v_mul_f32_e32 v9, 0x37800000, v8
	v_cndmask_b32_e32 v8, v8, v9, vcc_lo
	v_cmp_class_f32_e64 vcc_lo, v7, 0x260
	s_delay_alu instid0(VALU_DEP_2) | instskip(NEXT) | instid1(VALU_DEP_1)
	v_cndmask_b32_e32 v7, v8, v7, vcc_lo
	v_add_f32_e32 v8, v7, v7
	s_delay_alu instid0(VALU_DEP_1) | instskip(NEXT) | instid1(VALU_DEP_1)
	v_div_scale_f32 v9, null, v8, v8, v6
	v_rcp_f32_e32 v10, v9
	s_waitcnt_depctr 0xfff
	v_fma_f32 v11, -v9, v10, 1.0
	s_delay_alu instid0(VALU_DEP_1) | instskip(SKIP_1) | instid1(VALU_DEP_1)
	v_fmac_f32_e32 v10, v11, v10
	v_div_scale_f32 v11, vcc_lo, v6, v8, v6
	v_mul_f32_e32 v12, v11, v10
	s_delay_alu instid0(VALU_DEP_1) | instskip(NEXT) | instid1(VALU_DEP_1)
	v_fma_f32 v13, -v9, v12, v11
	v_fmac_f32_e32 v12, v13, v10
	s_delay_alu instid0(VALU_DEP_1) | instskip(NEXT) | instid1(VALU_DEP_1)
	v_fma_f32 v9, -v9, v12, v11
	v_div_fmas_f32 v9, v9, v10, v12
                                        ; implicit-def: $vgpr10
	s_delay_alu instid0(VALU_DEP_1)
	v_div_fixup_f32 v9, v9, v8, v6
                                        ; implicit-def: $vgpr8
                                        ; implicit-def: $vgpr6
	s_and_not1_saveexec_b32 s13, s13
	s_cbranch_execz .LBB180_218
	s_branch .LBB180_217
.LBB180_216:
	s_and_not1_saveexec_b32 s13, s13
	s_cbranch_execz .LBB180_218
.LBB180_217:
	v_sub_f32_e32 v7, v10, v8
	s_delay_alu instid0(VALU_DEP_1) | instskip(NEXT) | instid1(VALU_DEP_1)
	v_mul_f32_e32 v7, 0.5, v7
	v_mul_f32_e32 v8, 0x4f800000, v7
	v_cmp_gt_f32_e32 vcc_lo, 0xf800000, v7
	s_delay_alu instid0(VALU_DEP_2) | instskip(NEXT) | instid1(VALU_DEP_1)
	v_cndmask_b32_e32 v7, v7, v8, vcc_lo
	v_sqrt_f32_e32 v8, v7
	s_waitcnt_depctr 0xfff
	v_add_nc_u32_e32 v9, -1, v8
	v_add_nc_u32_e32 v10, 1, v8
	s_delay_alu instid0(VALU_DEP_2) | instskip(NEXT) | instid1(VALU_DEP_2)
	v_fma_f32 v11, -v9, v8, v7
	v_fma_f32 v12, -v10, v8, v7
	s_delay_alu instid0(VALU_DEP_2) | instskip(NEXT) | instid1(VALU_DEP_1)
	v_cmp_ge_f32_e64 s2, 0, v11
	v_cndmask_b32_e64 v8, v8, v9, s2
	s_delay_alu instid0(VALU_DEP_3) | instskip(NEXT) | instid1(VALU_DEP_1)
	v_cmp_lt_f32_e64 s2, 0, v12
	v_cndmask_b32_e64 v8, v8, v10, s2
	s_delay_alu instid0(VALU_DEP_1) | instskip(NEXT) | instid1(VALU_DEP_1)
	v_mul_f32_e32 v9, 0x37800000, v8
	v_cndmask_b32_e32 v8, v8, v9, vcc_lo
	v_cmp_class_f32_e64 vcc_lo, v7, 0x260
	s_delay_alu instid0(VALU_DEP_2) | instskip(NEXT) | instid1(VALU_DEP_1)
	v_dual_cndmask_b32 v8, v8, v7 :: v_dual_and_b32 v7, 0x7fffffff, v6
	v_add_f32_e32 v9, v8, v8
	s_delay_alu instid0(VALU_DEP_1) | instskip(SKIP_1) | instid1(VALU_DEP_2)
	v_div_scale_f32 v10, null, v9, v9, v7
	v_div_scale_f32 v7, vcc_lo, v7, v9, v7
	v_rcp_f32_e32 v11, v10
	s_waitcnt_depctr 0xfff
	v_fma_f32 v12, -v10, v11, 1.0
	s_delay_alu instid0(VALU_DEP_1) | instskip(NEXT) | instid1(VALU_DEP_1)
	v_fmac_f32_e32 v11, v12, v11
	v_mul_f32_e32 v12, v7, v11
	s_delay_alu instid0(VALU_DEP_1) | instskip(NEXT) | instid1(VALU_DEP_1)
	v_fma_f32 v13, -v10, v12, v7
	v_fmac_f32_e32 v12, v13, v11
	s_delay_alu instid0(VALU_DEP_1) | instskip(NEXT) | instid1(VALU_DEP_1)
	v_fma_f32 v7, -v10, v12, v7
	v_div_fmas_f32 v7, v7, v11, v12
	s_delay_alu instid0(VALU_DEP_1)
	v_div_fixup_f32 v7, v7, v9, |v6|
	v_bfi_b32 v9, 0x7fffffff, v8, v6
.LBB180_218:
	s_or_b32 exec_lo, exec_lo, s13
                                        ; implicit-def: $vgpr6
                                        ; implicit-def: $vgpr8
	s_and_saveexec_b32 s2, s1
	s_delay_alu instid0(SALU_CYCLE_1)
	s_xor_b32 s1, exec_lo, s2
	s_cbranch_execz .LBB180_220
; %bb.219:
	v_mul_f32_e32 v6, 0.5, v7
	v_mul_f32_e32 v10, 0.5, v9
	s_delay_alu instid0(VALU_DEP_2) | instskip(NEXT) | instid1(VALU_DEP_2)
	v_cndmask_b32_e64 v8, v7, v6, s12
	v_cndmask_b32_e64 v6, v9, v10, s12
                                        ; implicit-def: $vgpr7
                                        ; implicit-def: $vgpr9
	s_and_not1_saveexec_b32 s1, s1
	s_cbranch_execnz .LBB180_221
	s_branch .LBB180_222
.LBB180_220:
	s_and_not1_saveexec_b32 s1, s1
.LBB180_221:
	v_add_f32_e32 v8, v7, v7
	v_add_f32_e32 v6, v9, v9
.LBB180_222:
	s_or_b32 exec_lo, exec_lo, s1
                                        ; implicit-def: $vgpr7
.LBB180_223:
	s_and_not1_saveexec_b32 s1, s11
	s_cbranch_execz .LBB180_229
; %bb.224:
	v_cmp_lt_i16_e32 vcc_lo, -1, v7
	v_sub_f32_e32 v7, v6, v6
	s_and_saveexec_b32 s2, vcc_lo
	s_delay_alu instid0(SALU_CYCLE_1)
	s_xor_b32 s2, exec_lo, s2
; %bb.225:
	s_delay_alu instid0(VALU_DEP_1)
	v_bfi_b32 v6, 0x7fffffff, v7, v6
                                        ; implicit-def: $vgpr7
; %bb.226:
	s_and_not1_saveexec_b32 s2, s2
; %bb.227:
	v_and_b32_e32 v7, 0x7fffffff, v7
	s_delay_alu instid0(VALU_DEP_2) | instskip(NEXT) | instid1(VALU_DEP_2)
	v_bfi_b32 v6, 0x7fffffff, v8, v6
	v_mov_b32_e32 v8, v7
; %bb.228:
	s_or_b32 exec_lo, exec_lo, s2
.LBB180_229:
	s_delay_alu instid0(SALU_CYCLE_1)
	s_or_b32 exec_lo, exec_lo, s1
.LBB180_230:
	s_and_not1_saveexec_b32 s1, s9
; %bb.231:
	v_sub_f32_e32 v6, v6, v6
	s_delay_alu instid0(VALU_DEP_1) | instskip(NEXT) | instid1(VALU_DEP_1)
	v_div_scale_f32 v7, vcc_lo, v6, v6, v6
	v_rcp_f32_e32 v9, v7
	s_waitcnt_depctr 0xfff
	v_fma_f32 v10, -v7, v9, 1.0
	s_delay_alu instid0(VALU_DEP_1) | instskip(NEXT) | instid1(VALU_DEP_1)
	v_fmac_f32_e32 v9, v10, v9
	v_mul_f32_e32 v10, v7, v9
	s_delay_alu instid0(VALU_DEP_1) | instskip(NEXT) | instid1(VALU_DEP_1)
	v_fma_f32 v11, -v7, v10, v7
	v_fmac_f32_e32 v10, v11, v9
	s_delay_alu instid0(VALU_DEP_1) | instskip(NEXT) | instid1(VALU_DEP_1)
	v_fma_f32 v7, -v7, v10, v7
	v_div_fmas_f32 v7, v7, v9, v10
	s_delay_alu instid0(VALU_DEP_1)
	v_div_fixup_f32 v6, v7, v6, v6
; %bb.232:
	s_or_b32 exec_lo, exec_lo, s1
.LBB180_233:
	s_delay_alu instid0(SALU_CYCLE_1)
	s_or_b32 exec_lo, exec_lo, s7
.LBB180_234:
	s_delay_alu instid0(SALU_CYCLE_1)
	s_or_b32 exec_lo, exec_lo, s6
	v_cmp_gt_f32_e32 vcc_lo, 0, v8
                                        ; implicit-def: $vgpr11
                                        ; implicit-def: $vgpr10
	s_mov_b32 s1, exec_lo
	v_cndmask_b32_e64 v7, v8, -v8, vcc_lo
	v_cmp_gt_f32_e32 vcc_lo, 0, v6
	v_cndmask_b32_e64 v9, v6, -v6, vcc_lo
	s_delay_alu instid0(VALU_DEP_1)
	v_cmpx_ge_f32_e32 v7, v9
	s_xor_b32 s2, exec_lo, s1
	s_cbranch_execz .LBB180_240
; %bb.235:
	v_cmp_neq_f32_e32 vcc_lo, 0, v8
	v_cmp_neq_f32_e64 s1, 0, v6
                                        ; implicit-def: $vgpr11
                                        ; implicit-def: $vgpr10
	s_delay_alu instid0(VALU_DEP_1) | instskip(NEXT) | instid1(SALU_CYCLE_1)
	s_or_b32 s1, vcc_lo, s1
	s_and_saveexec_b32 s6, s1
	s_delay_alu instid0(SALU_CYCLE_1)
	s_xor_b32 s1, exec_lo, s6
	s_cbranch_execz .LBB180_237
; %bb.236:
	v_div_scale_f32 v7, null, v8, v8, v6
	v_div_scale_f32 v11, vcc_lo, v6, v8, v6
	s_delay_alu instid0(VALU_DEP_2) | instskip(SKIP_2) | instid1(VALU_DEP_1)
	v_rcp_f32_e32 v9, v7
	s_waitcnt_depctr 0xfff
	v_fma_f32 v10, -v7, v9, 1.0
	v_fmac_f32_e32 v9, v10, v9
	s_delay_alu instid0(VALU_DEP_1) | instskip(NEXT) | instid1(VALU_DEP_1)
	v_mul_f32_e32 v10, v11, v9
	v_fma_f32 v12, -v7, v10, v11
	s_delay_alu instid0(VALU_DEP_1) | instskip(NEXT) | instid1(VALU_DEP_1)
	v_fmac_f32_e32 v10, v12, v9
	v_fma_f32 v7, -v7, v10, v11
	s_delay_alu instid0(VALU_DEP_1) | instskip(NEXT) | instid1(VALU_DEP_1)
	v_div_fmas_f32 v7, v7, v9, v10
	v_div_fixup_f32 v7, v7, v8, v6
	s_delay_alu instid0(VALU_DEP_1) | instskip(NEXT) | instid1(VALU_DEP_1)
	v_fmac_f32_e32 v8, v6, v7
	v_div_scale_f32 v6, null, v8, v8, 1.0
	v_div_scale_f32 v11, vcc_lo, 1.0, v8, 1.0
	s_delay_alu instid0(VALU_DEP_2) | instskip(SKIP_2) | instid1(VALU_DEP_1)
	v_rcp_f32_e32 v9, v6
	s_waitcnt_depctr 0xfff
	v_fma_f32 v10, -v6, v9, 1.0
	v_fmac_f32_e32 v9, v10, v9
	s_delay_alu instid0(VALU_DEP_1) | instskip(NEXT) | instid1(VALU_DEP_1)
	v_mul_f32_e32 v10, v11, v9
	v_fma_f32 v12, -v6, v10, v11
	s_delay_alu instid0(VALU_DEP_1) | instskip(NEXT) | instid1(VALU_DEP_1)
	v_fmac_f32_e32 v10, v12, v9
	v_fma_f32 v6, -v6, v10, v11
	s_delay_alu instid0(VALU_DEP_1) | instskip(SKIP_1) | instid1(VALU_DEP_2)
	v_div_fmas_f32 v6, v6, v9, v10
	v_fma_f32 v9, v7, 0, 1.0
	v_div_fixup_f32 v6, v6, v8, 1.0
	s_delay_alu instid0(VALU_DEP_1)
	v_mul_f32_e32 v10, v9, v6
	v_mul_f32_e64 v11, -v7, v6
                                        ; implicit-def: $vgpr7
                                        ; implicit-def: $vgpr9
.LBB180_237:
	s_and_not1_saveexec_b32 s6, s1
	s_cbranch_execz .LBB180_239
; %bb.238:
	v_div_scale_f32 v6, null, v7, v7, 1.0
	v_div_scale_f32 v8, null, v9, v9, 0
	v_div_scale_f32 v14, vcc_lo, 1.0, v7, 1.0
	s_delay_alu instid0(VALU_DEP_3) | instskip(NEXT) | instid1(VALU_DEP_2)
	v_rcp_f32_e32 v10, v6
	v_rcp_f32_e32 v11, v8
	s_waitcnt_depctr 0xfff
	v_fma_f32 v12, -v6, v10, 1.0
	v_fma_f32 v13, -v8, v11, 1.0
	s_delay_alu instid0(VALU_DEP_1) | instskip(SKIP_1) | instid1(VALU_DEP_2)
	v_dual_fmac_f32 v10, v12, v10 :: v_dual_fmac_f32 v11, v13, v11
	v_div_scale_f32 v12, s1, 0, v9, 0
	v_mul_f32_e32 v13, v14, v10
	s_delay_alu instid0(VALU_DEP_2) | instskip(NEXT) | instid1(VALU_DEP_2)
	v_mul_f32_e32 v15, v12, v11
	v_fma_f32 v16, -v6, v13, v14
	s_delay_alu instid0(VALU_DEP_2) | instskip(NEXT) | instid1(VALU_DEP_2)
	v_fma_f32 v17, -v8, v15, v12
	v_fmac_f32_e32 v13, v16, v10
	s_delay_alu instid0(VALU_DEP_2) | instskip(NEXT) | instid1(VALU_DEP_2)
	v_fmac_f32_e32 v15, v17, v11
	v_fma_f32 v6, -v6, v13, v14
	s_delay_alu instid0(VALU_DEP_2) | instskip(NEXT) | instid1(VALU_DEP_2)
	v_fma_f32 v8, -v8, v15, v12
	v_div_fmas_f32 v6, v6, v10, v13
	s_mov_b32 vcc_lo, s1
	s_delay_alu instid0(VALU_DEP_2) | instskip(NEXT) | instid1(VALU_DEP_2)
	v_div_fmas_f32 v8, v8, v11, v15
	v_div_fixup_f32 v10, v6, v7, 1.0
	s_delay_alu instid0(VALU_DEP_2)
	v_div_fixup_f32 v11, v8, v9, 0
.LBB180_239:
	s_or_b32 exec_lo, exec_lo, s6
                                        ; implicit-def: $vgpr6
                                        ; implicit-def: $vgpr8
.LBB180_240:
	s_and_not1_saveexec_b32 s1, s2
	s_cbranch_execz .LBB180_242
; %bb.241:
	v_div_scale_f32 v7, null, v6, v6, v8
	v_div_scale_f32 v11, vcc_lo, v8, v6, v8
	s_delay_alu instid0(VALU_DEP_2) | instskip(SKIP_2) | instid1(VALU_DEP_1)
	v_rcp_f32_e32 v9, v7
	s_waitcnt_depctr 0xfff
	v_fma_f32 v10, -v7, v9, 1.0
	v_fmac_f32_e32 v9, v10, v9
	s_delay_alu instid0(VALU_DEP_1) | instskip(NEXT) | instid1(VALU_DEP_1)
	v_mul_f32_e32 v10, v11, v9
	v_fma_f32 v12, -v7, v10, v11
	s_delay_alu instid0(VALU_DEP_1) | instskip(NEXT) | instid1(VALU_DEP_1)
	v_fmac_f32_e32 v10, v12, v9
	v_fma_f32 v7, -v7, v10, v11
	s_delay_alu instid0(VALU_DEP_1) | instskip(NEXT) | instid1(VALU_DEP_1)
	v_div_fmas_f32 v7, v7, v9, v10
	v_div_fixup_f32 v7, v7, v6, v8
	s_delay_alu instid0(VALU_DEP_1) | instskip(NEXT) | instid1(VALU_DEP_1)
	v_fmac_f32_e32 v6, v8, v7
	v_div_scale_f32 v8, null, v6, v6, 1.0
	v_div_scale_f32 v11, vcc_lo, 1.0, v6, 1.0
	s_delay_alu instid0(VALU_DEP_2) | instskip(SKIP_2) | instid1(VALU_DEP_1)
	v_rcp_f32_e32 v9, v8
	s_waitcnt_depctr 0xfff
	v_fma_f32 v10, -v8, v9, 1.0
	v_fmac_f32_e32 v9, v10, v9
	s_delay_alu instid0(VALU_DEP_1) | instskip(NEXT) | instid1(VALU_DEP_1)
	v_mul_f32_e32 v10, v11, v9
	v_fma_f32 v12, -v8, v10, v11
	s_delay_alu instid0(VALU_DEP_1) | instskip(NEXT) | instid1(VALU_DEP_1)
	v_fmac_f32_e32 v10, v12, v9
	v_fma_f32 v8, -v8, v10, v11
	s_delay_alu instid0(VALU_DEP_1) | instskip(SKIP_2) | instid1(VALU_DEP_3)
	v_div_fmas_f32 v8, v8, v9, v10
	v_add_f32_e32 v9, 0, v7
	v_fma_f32 v7, v7, 0, -1.0
	v_div_fixup_f32 v6, v8, v6, 1.0
	s_delay_alu instid0(VALU_DEP_1) | instskip(NEXT) | instid1(VALU_DEP_4)
	v_mul_f32_e32 v11, v7, v6
	v_mul_f32_e32 v10, v9, v6
.LBB180_242:
	s_or_b32 exec_lo, exec_lo, s1
	s_delay_alu instid0(VALU_DEP_1) | instskip(NEXT) | instid1(VALU_DEP_2)
	v_cvt_f16_f32_e32 v6, v11
	v_cvt_f16_f32_e32 v7, v10
	s_delay_alu instid0(VALU_DEP_2) | instskip(NEXT) | instid1(VALU_DEP_2)
	v_lshlrev_b32_e32 v6, 16, v6
	v_and_b32_e32 v7, 0xffff, v7
	s_delay_alu instid0(VALU_DEP_1)
	v_or_b32_e32 v6, v6, v7
.LBB180_243:
	s_or_b32 exec_lo, exec_lo, s3
	s_waitcnt vmcnt(0)
	v_or_b32_e32 v7, 0x200, v0
	s_delay_alu instid0(VALU_DEP_1)
	v_cmp_gt_i32_e32 vcc_lo, s10, v7
                                        ; implicit-def: $vgpr7
	s_and_saveexec_b32 s3, vcc_lo
	s_cbranch_execz .LBB180_283
; %bb.244:
	v_lshrrev_b32_e32 v7, 16, v5
	v_cmp_neq_f16_e32 vcc_lo, 0, v5
	v_mov_b32_e32 v8, 0
	s_delay_alu instid0(VALU_DEP_3) | instskip(SKIP_1) | instid1(VALU_DEP_2)
	v_cmp_neq_f16_e64 s1, 0, v7
	v_cvt_f32_f16_e32 v7, v7
	s_or_b32 s1, vcc_lo, s1
	s_delay_alu instid0(SALU_CYCLE_1)
	s_and_saveexec_b32 s6, s1
	s_cbranch_execz .LBB180_274
; %bb.245:
	v_mov_b32_e32 v8, 0x7f800000
	s_mov_b32 s7, exec_lo
	v_cmpx_neq_f32_e64 0x7f800000, |v7|
	s_cbranch_execz .LBB180_273
; %bb.246:
	v_cvt_f32_f16_e32 v8, v5
	s_mov_b32 s1, exec_lo
	v_cmpx_o_f16_e32 v5, v5
	s_xor_b32 s9, exec_lo, s1
	s_cbranch_execz .LBB180_270
; %bb.247:
	s_mov_b32 s2, exec_lo
	v_cmpx_neq_f32_e64 0x7f800000, |v8|
	s_xor_b32 s11, exec_lo, s2
	s_cbranch_execz .LBB180_263
; %bb.248:
	v_max_f32_e64 v5, |v7|, |v7|
	v_max_f32_e64 v9, |v8|, |v8|
                                        ; implicit-def: $sgpr12
	s_delay_alu instid0(VALU_DEP_1) | instskip(NEXT) | instid1(VALU_DEP_1)
	v_max_f32_e32 v5, v9, v5
	v_cmp_nle_f32_e64 s1, 0x7ed413cb, v5
	s_delay_alu instid0(VALU_DEP_1) | instskip(NEXT) | instid1(SALU_CYCLE_1)
	s_and_saveexec_b32 s2, s1
	s_xor_b32 s2, exec_lo, s2
	s_cbranch_execz .LBB180_252
; %bb.249:
	v_cmp_ge_f32_e64 s12, 0x1000000, |v8|
	v_cmp_ge_f32_e64 s13, 0x1000000, |v7|
	s_delay_alu instid0(VALU_DEP_1)
	s_and_b32 s14, s12, s13
	s_mov_b32 s12, 0
	s_and_saveexec_b32 s13, s14
; %bb.250:
	v_dual_mul_f32 v8, 4.0, v8 :: v_dual_mul_f32 v7, 4.0, v7
	s_mov_b32 s12, exec_lo
; %bb.251:
	s_or_b32 exec_lo, exec_lo, s13
	s_delay_alu instid0(SALU_CYCLE_1)
	s_and_b32 s12, s12, exec_lo
.LBB180_252:
	s_and_not1_saveexec_b32 s2, s2
; %bb.253:
	v_dual_mul_f32 v8, 0x3e800000, v8 :: v_dual_mul_f32 v7, 0x3e800000, v7
	s_and_not1_b32 s12, s12, exec_lo
; %bb.254:
	s_or_b32 exec_lo, exec_lo, s2
	s_delay_alu instid0(VALU_DEP_1) | instskip(NEXT) | instid1(VALU_DEP_2)
	v_max_f32_e64 v5, |v7|, |v7|
	v_max_f32_e64 v9, |v8|, |v8|
	s_delay_alu instid0(VALU_DEP_1) | instskip(NEXT) | instid1(VALU_DEP_1)
	v_max_f32_e32 v5, v9, v5
	v_cvt_f64_f32_e32 v[9:10], v5
	v_cmp_neq_f32_e64 s2, 0x7f800000, v5
                                        ; implicit-def: $vgpr5
	s_delay_alu instid0(VALU_DEP_2) | instskip(NEXT) | instid1(VALU_DEP_1)
	v_frexp_exp_i32_f64_e32 v9, v[9:10]
	v_sub_nc_u32_e32 v10, 0, v9
	s_delay_alu instid0(VALU_DEP_1) | instskip(SKIP_1) | instid1(VALU_DEP_2)
	v_ldexp_f32 v11, |v7|, v10
	v_ldexp_f32 v10, |v8|, v10
	v_mul_f32_e32 v11, v11, v11
	s_delay_alu instid0(VALU_DEP_1) | instskip(NEXT) | instid1(VALU_DEP_1)
	v_fmac_f32_e32 v11, v10, v10
	v_sqrt_f32_e32 v10, v11
	s_waitcnt_depctr 0xfff
	v_ldexp_f32 v9, v10, v9
	s_delay_alu instid0(VALU_DEP_1)
	v_cndmask_b32_e64 v10, 0x7f800000, v9, s2
                                        ; implicit-def: $vgpr9
	s_mov_b32 s2, exec_lo
	v_cmpx_le_f32_e32 0, v8
	s_xor_b32 s13, exec_lo, s2
	s_cbranch_execz .LBB180_256
; %bb.255:
	v_add_f32_e32 v5, v8, v10
	s_delay_alu instid0(VALU_DEP_1) | instskip(NEXT) | instid1(VALU_DEP_1)
	v_mul_f32_e32 v5, 0.5, v5
	v_mul_f32_e32 v8, 0x4f800000, v5
	v_cmp_gt_f32_e32 vcc_lo, 0xf800000, v5
	s_delay_alu instid0(VALU_DEP_2) | instskip(NEXT) | instid1(VALU_DEP_1)
	v_cndmask_b32_e32 v5, v5, v8, vcc_lo
	v_sqrt_f32_e32 v8, v5
	s_waitcnt_depctr 0xfff
	v_add_nc_u32_e32 v9, -1, v8
	v_add_nc_u32_e32 v10, 1, v8
	s_delay_alu instid0(VALU_DEP_2) | instskip(NEXT) | instid1(VALU_DEP_2)
	v_fma_f32 v11, -v9, v8, v5
	v_fma_f32 v12, -v10, v8, v5
	s_delay_alu instid0(VALU_DEP_2) | instskip(NEXT) | instid1(VALU_DEP_1)
	v_cmp_ge_f32_e64 s2, 0, v11
	v_cndmask_b32_e64 v8, v8, v9, s2
	s_delay_alu instid0(VALU_DEP_3) | instskip(NEXT) | instid1(VALU_DEP_1)
	v_cmp_lt_f32_e64 s2, 0, v12
	v_cndmask_b32_e64 v8, v8, v10, s2
	s_delay_alu instid0(VALU_DEP_1) | instskip(NEXT) | instid1(VALU_DEP_1)
	v_mul_f32_e32 v9, 0x37800000, v8
	v_cndmask_b32_e32 v8, v8, v9, vcc_lo
	v_cmp_class_f32_e64 vcc_lo, v5, 0x260
	s_delay_alu instid0(VALU_DEP_2) | instskip(NEXT) | instid1(VALU_DEP_1)
	v_cndmask_b32_e32 v5, v8, v5, vcc_lo
	v_add_f32_e32 v8, v5, v5
	s_delay_alu instid0(VALU_DEP_1) | instskip(NEXT) | instid1(VALU_DEP_1)
	v_div_scale_f32 v9, null, v8, v8, v7
	v_rcp_f32_e32 v10, v9
	s_waitcnt_depctr 0xfff
	v_fma_f32 v11, -v9, v10, 1.0
	s_delay_alu instid0(VALU_DEP_1) | instskip(SKIP_1) | instid1(VALU_DEP_1)
	v_fmac_f32_e32 v10, v11, v10
	v_div_scale_f32 v11, vcc_lo, v7, v8, v7
	v_mul_f32_e32 v12, v11, v10
	s_delay_alu instid0(VALU_DEP_1) | instskip(NEXT) | instid1(VALU_DEP_1)
	v_fma_f32 v13, -v9, v12, v11
	v_fmac_f32_e32 v12, v13, v10
	s_delay_alu instid0(VALU_DEP_1) | instskip(NEXT) | instid1(VALU_DEP_1)
	v_fma_f32 v9, -v9, v12, v11
	v_div_fmas_f32 v9, v9, v10, v12
                                        ; implicit-def: $vgpr10
	s_delay_alu instid0(VALU_DEP_1)
	v_div_fixup_f32 v9, v9, v8, v7
                                        ; implicit-def: $vgpr8
                                        ; implicit-def: $vgpr7
	s_and_not1_saveexec_b32 s13, s13
	s_cbranch_execz .LBB180_258
	s_branch .LBB180_257
.LBB180_256:
	s_and_not1_saveexec_b32 s13, s13
	s_cbranch_execz .LBB180_258
.LBB180_257:
	v_sub_f32_e32 v5, v10, v8
	s_delay_alu instid0(VALU_DEP_1) | instskip(NEXT) | instid1(VALU_DEP_1)
	v_mul_f32_e32 v5, 0.5, v5
	v_mul_f32_e32 v8, 0x4f800000, v5
	v_cmp_gt_f32_e32 vcc_lo, 0xf800000, v5
	s_delay_alu instid0(VALU_DEP_2) | instskip(NEXT) | instid1(VALU_DEP_1)
	v_cndmask_b32_e32 v5, v5, v8, vcc_lo
	v_sqrt_f32_e32 v8, v5
	s_waitcnt_depctr 0xfff
	v_add_nc_u32_e32 v9, -1, v8
	v_add_nc_u32_e32 v10, 1, v8
	s_delay_alu instid0(VALU_DEP_2) | instskip(NEXT) | instid1(VALU_DEP_2)
	v_fma_f32 v11, -v9, v8, v5
	v_fma_f32 v12, -v10, v8, v5
	s_delay_alu instid0(VALU_DEP_2) | instskip(NEXT) | instid1(VALU_DEP_1)
	v_cmp_ge_f32_e64 s2, 0, v11
	v_cndmask_b32_e64 v8, v8, v9, s2
	s_delay_alu instid0(VALU_DEP_3) | instskip(NEXT) | instid1(VALU_DEP_1)
	v_cmp_lt_f32_e64 s2, 0, v12
	v_cndmask_b32_e64 v8, v8, v10, s2
	s_delay_alu instid0(VALU_DEP_1) | instskip(NEXT) | instid1(VALU_DEP_1)
	v_mul_f32_e32 v9, 0x37800000, v8
	v_cndmask_b32_e32 v8, v8, v9, vcc_lo
	v_cmp_class_f32_e64 vcc_lo, v5, 0x260
	s_delay_alu instid0(VALU_DEP_2) | instskip(NEXT) | instid1(VALU_DEP_1)
	v_dual_cndmask_b32 v8, v8, v5 :: v_dual_and_b32 v5, 0x7fffffff, v7
	v_add_f32_e32 v9, v8, v8
	s_delay_alu instid0(VALU_DEP_1) | instskip(SKIP_1) | instid1(VALU_DEP_2)
	v_div_scale_f32 v10, null, v9, v9, v5
	v_div_scale_f32 v5, vcc_lo, v5, v9, v5
	v_rcp_f32_e32 v11, v10
	s_waitcnt_depctr 0xfff
	v_fma_f32 v12, -v10, v11, 1.0
	s_delay_alu instid0(VALU_DEP_1) | instskip(NEXT) | instid1(VALU_DEP_1)
	v_fmac_f32_e32 v11, v12, v11
	v_mul_f32_e32 v12, v5, v11
	s_delay_alu instid0(VALU_DEP_1) | instskip(NEXT) | instid1(VALU_DEP_1)
	v_fma_f32 v13, -v10, v12, v5
	v_fmac_f32_e32 v12, v13, v11
	s_delay_alu instid0(VALU_DEP_1) | instskip(NEXT) | instid1(VALU_DEP_1)
	v_fma_f32 v5, -v10, v12, v5
	v_div_fmas_f32 v5, v5, v11, v12
	s_delay_alu instid0(VALU_DEP_1)
	v_div_fixup_f32 v5, v5, v9, |v7|
	v_bfi_b32 v9, 0x7fffffff, v8, v7
.LBB180_258:
	s_or_b32 exec_lo, exec_lo, s13
                                        ; implicit-def: $vgpr7
                                        ; implicit-def: $vgpr8
	s_and_saveexec_b32 s2, s1
	s_delay_alu instid0(SALU_CYCLE_1)
	s_xor_b32 s1, exec_lo, s2
	s_cbranch_execz .LBB180_260
; %bb.259:
	v_mul_f32_e32 v7, 0.5, v5
	v_mul_f32_e32 v10, 0.5, v9
	s_delay_alu instid0(VALU_DEP_2) | instskip(NEXT) | instid1(VALU_DEP_2)
	v_cndmask_b32_e64 v8, v5, v7, s12
	v_cndmask_b32_e64 v7, v9, v10, s12
                                        ; implicit-def: $vgpr5
                                        ; implicit-def: $vgpr9
	s_and_not1_saveexec_b32 s1, s1
	s_cbranch_execnz .LBB180_261
	s_branch .LBB180_262
.LBB180_260:
	s_and_not1_saveexec_b32 s1, s1
.LBB180_261:
	v_add_f32_e32 v8, v5, v5
	v_add_f32_e32 v7, v9, v9
.LBB180_262:
	s_or_b32 exec_lo, exec_lo, s1
                                        ; implicit-def: $vgpr5
.LBB180_263:
	s_and_not1_saveexec_b32 s1, s11
	s_cbranch_execz .LBB180_269
; %bb.264:
	v_cmp_lt_i16_e32 vcc_lo, -1, v5
	v_sub_f32_e32 v5, v7, v7
	s_and_saveexec_b32 s2, vcc_lo
	s_delay_alu instid0(SALU_CYCLE_1)
	s_xor_b32 s2, exec_lo, s2
; %bb.265:
	s_delay_alu instid0(VALU_DEP_1)
	v_bfi_b32 v7, 0x7fffffff, v5, v7
                                        ; implicit-def: $vgpr5
; %bb.266:
	s_and_not1_saveexec_b32 s2, s2
; %bb.267:
	v_and_b32_e32 v5, 0x7fffffff, v5
	s_delay_alu instid0(VALU_DEP_2) | instskip(NEXT) | instid1(VALU_DEP_2)
	v_bfi_b32 v7, 0x7fffffff, v8, v7
	v_mov_b32_e32 v8, v5
; %bb.268:
	s_or_b32 exec_lo, exec_lo, s2
.LBB180_269:
	s_delay_alu instid0(SALU_CYCLE_1)
	s_or_b32 exec_lo, exec_lo, s1
.LBB180_270:
	s_and_not1_saveexec_b32 s1, s9
; %bb.271:
	v_sub_f32_e32 v5, v7, v7
	s_delay_alu instid0(VALU_DEP_1) | instskip(NEXT) | instid1(VALU_DEP_1)
	v_div_scale_f32 v7, vcc_lo, v5, v5, v5
	v_rcp_f32_e32 v9, v7
	s_waitcnt_depctr 0xfff
	v_fma_f32 v10, -v7, v9, 1.0
	s_delay_alu instid0(VALU_DEP_1) | instskip(NEXT) | instid1(VALU_DEP_1)
	v_fmac_f32_e32 v9, v10, v9
	v_mul_f32_e32 v10, v7, v9
	s_delay_alu instid0(VALU_DEP_1) | instskip(NEXT) | instid1(VALU_DEP_1)
	v_fma_f32 v11, -v7, v10, v7
	v_fmac_f32_e32 v10, v11, v9
	s_delay_alu instid0(VALU_DEP_1) | instskip(NEXT) | instid1(VALU_DEP_1)
	v_fma_f32 v7, -v7, v10, v7
	v_div_fmas_f32 v7, v7, v9, v10
	s_delay_alu instid0(VALU_DEP_1)
	v_div_fixup_f32 v7, v7, v5, v5
; %bb.272:
	s_or_b32 exec_lo, exec_lo, s1
.LBB180_273:
	s_delay_alu instid0(SALU_CYCLE_1)
	s_or_b32 exec_lo, exec_lo, s7
.LBB180_274:
	s_delay_alu instid0(SALU_CYCLE_1)
	s_or_b32 exec_lo, exec_lo, s6
	v_cmp_gt_f32_e32 vcc_lo, 0, v8
                                        ; implicit-def: $vgpr11
                                        ; implicit-def: $vgpr10
	s_mov_b32 s1, exec_lo
	v_cndmask_b32_e64 v5, v8, -v8, vcc_lo
	v_cmp_gt_f32_e32 vcc_lo, 0, v7
	v_cndmask_b32_e64 v9, v7, -v7, vcc_lo
	s_delay_alu instid0(VALU_DEP_1)
	v_cmpx_ge_f32_e32 v5, v9
	s_xor_b32 s2, exec_lo, s1
	s_cbranch_execz .LBB180_280
; %bb.275:
	v_cmp_neq_f32_e32 vcc_lo, 0, v8
	v_cmp_neq_f32_e64 s1, 0, v7
                                        ; implicit-def: $vgpr11
                                        ; implicit-def: $vgpr10
	s_delay_alu instid0(VALU_DEP_1) | instskip(NEXT) | instid1(SALU_CYCLE_1)
	s_or_b32 s1, vcc_lo, s1
	s_and_saveexec_b32 s6, s1
	s_delay_alu instid0(SALU_CYCLE_1)
	s_xor_b32 s1, exec_lo, s6
	s_cbranch_execz .LBB180_277
; %bb.276:
	v_div_scale_f32 v5, null, v8, v8, v7
	v_div_scale_f32 v11, vcc_lo, v7, v8, v7
	s_delay_alu instid0(VALU_DEP_2) | instskip(SKIP_2) | instid1(VALU_DEP_1)
	v_rcp_f32_e32 v9, v5
	s_waitcnt_depctr 0xfff
	v_fma_f32 v10, -v5, v9, 1.0
	v_fmac_f32_e32 v9, v10, v9
	s_delay_alu instid0(VALU_DEP_1) | instskip(NEXT) | instid1(VALU_DEP_1)
	v_mul_f32_e32 v10, v11, v9
	v_fma_f32 v12, -v5, v10, v11
	s_delay_alu instid0(VALU_DEP_1) | instskip(NEXT) | instid1(VALU_DEP_1)
	v_fmac_f32_e32 v10, v12, v9
	v_fma_f32 v5, -v5, v10, v11
	s_delay_alu instid0(VALU_DEP_1) | instskip(NEXT) | instid1(VALU_DEP_1)
	v_div_fmas_f32 v5, v5, v9, v10
	v_div_fixup_f32 v5, v5, v8, v7
	s_delay_alu instid0(VALU_DEP_1) | instskip(NEXT) | instid1(VALU_DEP_1)
	v_fmac_f32_e32 v8, v7, v5
	v_div_scale_f32 v7, null, v8, v8, 1.0
	v_div_scale_f32 v11, vcc_lo, 1.0, v8, 1.0
	s_delay_alu instid0(VALU_DEP_2) | instskip(SKIP_2) | instid1(VALU_DEP_1)
	v_rcp_f32_e32 v9, v7
	s_waitcnt_depctr 0xfff
	v_fma_f32 v10, -v7, v9, 1.0
	v_fmac_f32_e32 v9, v10, v9
	s_delay_alu instid0(VALU_DEP_1) | instskip(NEXT) | instid1(VALU_DEP_1)
	v_mul_f32_e32 v10, v11, v9
	v_fma_f32 v12, -v7, v10, v11
	s_delay_alu instid0(VALU_DEP_1) | instskip(NEXT) | instid1(VALU_DEP_1)
	v_fmac_f32_e32 v10, v12, v9
	v_fma_f32 v7, -v7, v10, v11
	s_delay_alu instid0(VALU_DEP_1) | instskip(SKIP_1) | instid1(VALU_DEP_2)
	v_div_fmas_f32 v7, v7, v9, v10
	v_fma_f32 v9, v5, 0, 1.0
	v_div_fixup_f32 v7, v7, v8, 1.0
	s_delay_alu instid0(VALU_DEP_1)
	v_mul_f32_e32 v10, v9, v7
	v_mul_f32_e64 v11, -v5, v7
                                        ; implicit-def: $vgpr5
                                        ; implicit-def: $vgpr9
.LBB180_277:
	s_and_not1_saveexec_b32 s6, s1
	s_cbranch_execz .LBB180_279
; %bb.278:
	v_div_scale_f32 v7, null, v5, v5, 1.0
	v_div_scale_f32 v8, null, v9, v9, 0
	v_div_scale_f32 v14, vcc_lo, 1.0, v5, 1.0
	s_delay_alu instid0(VALU_DEP_3) | instskip(NEXT) | instid1(VALU_DEP_2)
	v_rcp_f32_e32 v10, v7
	v_rcp_f32_e32 v11, v8
	s_waitcnt_depctr 0xfff
	v_fma_f32 v12, -v7, v10, 1.0
	v_fma_f32 v13, -v8, v11, 1.0
	s_delay_alu instid0(VALU_DEP_1) | instskip(SKIP_1) | instid1(VALU_DEP_2)
	v_dual_fmac_f32 v10, v12, v10 :: v_dual_fmac_f32 v11, v13, v11
	v_div_scale_f32 v12, s1, 0, v9, 0
	v_mul_f32_e32 v13, v14, v10
	s_delay_alu instid0(VALU_DEP_2) | instskip(NEXT) | instid1(VALU_DEP_2)
	v_mul_f32_e32 v15, v12, v11
	v_fma_f32 v16, -v7, v13, v14
	s_delay_alu instid0(VALU_DEP_2) | instskip(NEXT) | instid1(VALU_DEP_2)
	v_fma_f32 v17, -v8, v15, v12
	v_fmac_f32_e32 v13, v16, v10
	s_delay_alu instid0(VALU_DEP_2) | instskip(NEXT) | instid1(VALU_DEP_2)
	v_fmac_f32_e32 v15, v17, v11
	v_fma_f32 v7, -v7, v13, v14
	s_delay_alu instid0(VALU_DEP_2) | instskip(NEXT) | instid1(VALU_DEP_2)
	v_fma_f32 v8, -v8, v15, v12
	v_div_fmas_f32 v7, v7, v10, v13
	s_mov_b32 vcc_lo, s1
	s_delay_alu instid0(VALU_DEP_2) | instskip(NEXT) | instid1(VALU_DEP_2)
	v_div_fmas_f32 v8, v8, v11, v15
	v_div_fixup_f32 v10, v7, v5, 1.0
	s_delay_alu instid0(VALU_DEP_2)
	v_div_fixup_f32 v11, v8, v9, 0
.LBB180_279:
	s_or_b32 exec_lo, exec_lo, s6
                                        ; implicit-def: $vgpr7
                                        ; implicit-def: $vgpr8
.LBB180_280:
	s_and_not1_saveexec_b32 s1, s2
	s_cbranch_execz .LBB180_282
; %bb.281:
	v_div_scale_f32 v5, null, v7, v7, v8
	v_div_scale_f32 v11, vcc_lo, v8, v7, v8
	s_delay_alu instid0(VALU_DEP_2) | instskip(SKIP_2) | instid1(VALU_DEP_1)
	v_rcp_f32_e32 v9, v5
	s_waitcnt_depctr 0xfff
	v_fma_f32 v10, -v5, v9, 1.0
	v_fmac_f32_e32 v9, v10, v9
	s_delay_alu instid0(VALU_DEP_1) | instskip(NEXT) | instid1(VALU_DEP_1)
	v_mul_f32_e32 v10, v11, v9
	v_fma_f32 v12, -v5, v10, v11
	s_delay_alu instid0(VALU_DEP_1) | instskip(NEXT) | instid1(VALU_DEP_1)
	v_fmac_f32_e32 v10, v12, v9
	v_fma_f32 v5, -v5, v10, v11
	s_delay_alu instid0(VALU_DEP_1) | instskip(NEXT) | instid1(VALU_DEP_1)
	v_div_fmas_f32 v5, v5, v9, v10
	v_div_fixup_f32 v5, v5, v7, v8
	s_delay_alu instid0(VALU_DEP_1) | instskip(NEXT) | instid1(VALU_DEP_1)
	v_fmac_f32_e32 v7, v8, v5
	v_div_scale_f32 v8, null, v7, v7, 1.0
	v_div_scale_f32 v11, vcc_lo, 1.0, v7, 1.0
	s_delay_alu instid0(VALU_DEP_2) | instskip(SKIP_2) | instid1(VALU_DEP_1)
	v_rcp_f32_e32 v9, v8
	s_waitcnt_depctr 0xfff
	v_fma_f32 v10, -v8, v9, 1.0
	v_fmac_f32_e32 v9, v10, v9
	s_delay_alu instid0(VALU_DEP_1) | instskip(NEXT) | instid1(VALU_DEP_1)
	v_mul_f32_e32 v10, v11, v9
	v_fma_f32 v12, -v8, v10, v11
	s_delay_alu instid0(VALU_DEP_1) | instskip(NEXT) | instid1(VALU_DEP_1)
	v_fmac_f32_e32 v10, v12, v9
	v_fma_f32 v8, -v8, v10, v11
	s_delay_alu instid0(VALU_DEP_1) | instskip(SKIP_2) | instid1(VALU_DEP_3)
	v_div_fmas_f32 v8, v8, v9, v10
	v_add_f32_e32 v9, 0, v5
	v_fma_f32 v5, v5, 0, -1.0
	v_div_fixup_f32 v7, v8, v7, 1.0
	s_delay_alu instid0(VALU_DEP_1) | instskip(NEXT) | instid1(VALU_DEP_4)
	v_mul_f32_e32 v11, v5, v7
	v_mul_f32_e32 v10, v9, v7
.LBB180_282:
	s_or_b32 exec_lo, exec_lo, s1
	s_delay_alu instid0(VALU_DEP_1) | instskip(NEXT) | instid1(VALU_DEP_2)
	v_cvt_f16_f32_e32 v5, v11
	v_cvt_f16_f32_e32 v7, v10
	s_delay_alu instid0(VALU_DEP_2) | instskip(NEXT) | instid1(VALU_DEP_2)
	v_lshlrev_b32_e32 v5, 16, v5
	v_and_b32_e32 v7, 0xffff, v7
	s_delay_alu instid0(VALU_DEP_1)
	v_or_b32_e32 v7, v5, v7
.LBB180_283:
	s_or_b32 exec_lo, exec_lo, s3
	v_or_b32_e32 v5, 0x300, v0
	s_delay_alu instid0(VALU_DEP_1)
	v_cmp_gt_i32_e32 vcc_lo, s10, v5
                                        ; implicit-def: $vgpr5
	s_and_saveexec_b32 s3, vcc_lo
	s_cbranch_execz .LBB180_296
; %bb.284:
	v_lshrrev_b32_e32 v5, 16, v2
	v_cmp_neq_f16_e32 vcc_lo, 0, v2
	v_mov_b32_e32 v8, 0
	s_delay_alu instid0(VALU_DEP_3) | instskip(SKIP_1) | instid1(VALU_DEP_2)
	v_cmp_neq_f16_e64 s1, 0, v5
	v_cvt_f32_f16_e32 v5, v5
	s_or_b32 s1, vcc_lo, s1
	s_delay_alu instid0(SALU_CYCLE_1)
	s_and_saveexec_b32 s6, s1
	s_cbranch_execz .LBB180_318
; %bb.285:
	v_mov_b32_e32 v8, 0x7f800000
	s_mov_b32 s7, exec_lo
	v_cmpx_neq_f32_e64 0x7f800000, |v5|
	s_cbranch_execz .LBB180_317
; %bb.286:
	v_cvt_f32_f16_e32 v8, v2
	s_mov_b32 s1, exec_lo
	v_cmpx_o_f16_e32 v2, v2
	s_xor_b32 s9, exec_lo, s1
	s_cbranch_execz .LBB180_314
; %bb.287:
	s_mov_b32 s2, exec_lo
	v_cmpx_neq_f32_e64 0x7f800000, |v8|
	s_xor_b32 s11, exec_lo, s2
	s_cbranch_execz .LBB180_307
; %bb.288:
	v_max_f32_e64 v2, |v5|, |v5|
	v_max_f32_e64 v9, |v8|, |v8|
                                        ; implicit-def: $sgpr12
	s_delay_alu instid0(VALU_DEP_1) | instskip(NEXT) | instid1(VALU_DEP_1)
	v_max_f32_e32 v2, v9, v2
	v_cmp_nle_f32_e64 s1, 0x7ed413cb, v2
	s_delay_alu instid0(VALU_DEP_1) | instskip(NEXT) | instid1(SALU_CYCLE_1)
	s_and_saveexec_b32 s2, s1
	s_xor_b32 s2, exec_lo, s2
	s_cbranch_execz .LBB180_292
; %bb.289:
	v_cmp_ge_f32_e64 s12, 0x1000000, |v8|
	v_cmp_ge_f32_e64 s13, 0x1000000, |v5|
	s_delay_alu instid0(VALU_DEP_1)
	s_and_b32 s14, s12, s13
	s_mov_b32 s12, 0
	s_and_saveexec_b32 s13, s14
; %bb.290:
	v_dual_mul_f32 v8, 4.0, v8 :: v_dual_mul_f32 v5, 4.0, v5
	s_mov_b32 s12, exec_lo
; %bb.291:
	s_or_b32 exec_lo, exec_lo, s13
	s_delay_alu instid0(SALU_CYCLE_1)
	s_and_b32 s12, s12, exec_lo
.LBB180_292:
	s_and_not1_saveexec_b32 s2, s2
; %bb.293:
	v_dual_mul_f32 v8, 0x3e800000, v8 :: v_dual_mul_f32 v5, 0x3e800000, v5
	s_and_not1_b32 s12, s12, exec_lo
; %bb.294:
	s_or_b32 exec_lo, exec_lo, s2
	s_delay_alu instid0(VALU_DEP_1) | instskip(NEXT) | instid1(VALU_DEP_2)
	v_max_f32_e64 v2, |v5|, |v5|
	v_max_f32_e64 v9, |v8|, |v8|
	s_delay_alu instid0(VALU_DEP_1) | instskip(NEXT) | instid1(VALU_DEP_1)
	v_max_f32_e32 v2, v9, v2
	v_cvt_f64_f32_e32 v[9:10], v2
	s_delay_alu instid0(VALU_DEP_1) | instskip(NEXT) | instid1(VALU_DEP_1)
	v_frexp_exp_i32_f64_e32 v9, v[9:10]
	v_sub_nc_u32_e32 v10, 0, v9
	s_delay_alu instid0(VALU_DEP_1) | instskip(SKIP_1) | instid1(VALU_DEP_2)
	v_ldexp_f32 v11, |v5|, v10
	v_ldexp_f32 v10, |v8|, v10
	v_mul_f32_e32 v11, v11, v11
	v_cmp_neq_f32_e64 s2, 0x7f800000, v2
                                        ; implicit-def: $vgpr2
	s_delay_alu instid0(VALU_DEP_2) | instskip(NEXT) | instid1(VALU_DEP_1)
	v_fmac_f32_e32 v11, v10, v10
	v_sqrt_f32_e32 v10, v11
	s_waitcnt_depctr 0xfff
	v_ldexp_f32 v9, v10, v9
	s_delay_alu instid0(VALU_DEP_1)
	v_cndmask_b32_e64 v10, 0x7f800000, v9, s2
                                        ; implicit-def: $vgpr9
	s_mov_b32 s2, exec_lo
	v_cmpx_le_f32_e32 0, v8
	s_xor_b32 s13, exec_lo, s2
	s_cbranch_execz .LBB180_300
; %bb.295:
	v_add_f32_e32 v2, v8, v10
	s_delay_alu instid0(VALU_DEP_1) | instskip(NEXT) | instid1(VALU_DEP_1)
	v_mul_f32_e32 v2, 0.5, v2
	v_mul_f32_e32 v8, 0x4f800000, v2
	v_cmp_gt_f32_e32 vcc_lo, 0xf800000, v2
	s_delay_alu instid0(VALU_DEP_2) | instskip(NEXT) | instid1(VALU_DEP_1)
	v_cndmask_b32_e32 v2, v2, v8, vcc_lo
	v_sqrt_f32_e32 v8, v2
	s_waitcnt_depctr 0xfff
	v_add_nc_u32_e32 v9, -1, v8
	v_add_nc_u32_e32 v10, 1, v8
	s_delay_alu instid0(VALU_DEP_2) | instskip(NEXT) | instid1(VALU_DEP_2)
	v_fma_f32 v11, -v9, v8, v2
	v_fma_f32 v12, -v10, v8, v2
	s_delay_alu instid0(VALU_DEP_2) | instskip(NEXT) | instid1(VALU_DEP_1)
	v_cmp_ge_f32_e64 s2, 0, v11
	v_cndmask_b32_e64 v8, v8, v9, s2
	s_delay_alu instid0(VALU_DEP_3) | instskip(NEXT) | instid1(VALU_DEP_1)
	v_cmp_lt_f32_e64 s2, 0, v12
	v_cndmask_b32_e64 v8, v8, v10, s2
	s_delay_alu instid0(VALU_DEP_1) | instskip(NEXT) | instid1(VALU_DEP_1)
	v_mul_f32_e32 v9, 0x37800000, v8
	v_cndmask_b32_e32 v8, v8, v9, vcc_lo
	v_cmp_class_f32_e64 vcc_lo, v2, 0x260
	s_delay_alu instid0(VALU_DEP_2) | instskip(NEXT) | instid1(VALU_DEP_1)
	v_cndmask_b32_e32 v2, v8, v2, vcc_lo
	v_add_f32_e32 v8, v2, v2
	s_delay_alu instid0(VALU_DEP_1) | instskip(NEXT) | instid1(VALU_DEP_1)
	v_div_scale_f32 v9, null, v8, v8, v5
	v_rcp_f32_e32 v10, v9
	s_waitcnt_depctr 0xfff
	v_fma_f32 v11, -v9, v10, 1.0
	s_delay_alu instid0(VALU_DEP_1) | instskip(SKIP_1) | instid1(VALU_DEP_1)
	v_fmac_f32_e32 v10, v11, v10
	v_div_scale_f32 v11, vcc_lo, v5, v8, v5
	v_mul_f32_e32 v12, v11, v10
	s_delay_alu instid0(VALU_DEP_1) | instskip(NEXT) | instid1(VALU_DEP_1)
	v_fma_f32 v13, -v9, v12, v11
	v_fmac_f32_e32 v12, v13, v10
	s_delay_alu instid0(VALU_DEP_1) | instskip(NEXT) | instid1(VALU_DEP_1)
	v_fma_f32 v9, -v9, v12, v11
	v_div_fmas_f32 v9, v9, v10, v12
                                        ; implicit-def: $vgpr10
	s_delay_alu instid0(VALU_DEP_1)
	v_div_fixup_f32 v9, v9, v8, v5
                                        ; implicit-def: $vgpr8
                                        ; implicit-def: $vgpr5
	s_and_not1_saveexec_b32 s13, s13
	s_cbranch_execz .LBB180_302
	s_branch .LBB180_301
.LBB180_296:
	s_or_b32 exec_lo, exec_lo, s3
	s_and_saveexec_b32 s1, s0
	s_delay_alu instid0(SALU_CYCLE_1)
	s_xor_b32 s0, exec_lo, s1
	s_cbranch_execz .LBB180_327
.LBB180_297:
	v_mov_b32_e32 v2, 0
	s_delay_alu instid0(VALU_DEP_1) | instskip(NEXT) | instid1(VALU_DEP_1)
	v_lshlrev_b64 v[0:1], 2, v[1:2]
	v_add_co_u32 v8, vcc_lo, s4, v0
	s_delay_alu instid0(VALU_DEP_2) | instskip(SKIP_3) | instid1(SALU_CYCLE_1)
	v_add_co_ci_u32_e32 v9, vcc_lo, s5, v1, vcc_lo
	v_mov_b32_e32 v0, v3
	global_store_b32 v[8:9], v4, off
	s_or_b32 exec_lo, exec_lo, s0
	s_mov_b32 s0, exec_lo
	v_cmpx_gt_i32_e64 s10, v0
	s_cbranch_execnz .LBB180_328
.LBB180_298:
	s_or_b32 exec_lo, exec_lo, s0
	s_delay_alu instid0(SALU_CYCLE_1)
	s_mov_b32 s0, exec_lo
	v_cmpx_gt_i32_e64 s10, v0
	s_cbranch_execz .LBB180_329
.LBB180_299:
	v_dual_mov_b32 v2, 0 :: v_dual_add_nc_u32 v1, s8, v0
	v_add_nc_u32_e32 v0, 0x100, v0
	s_delay_alu instid0(VALU_DEP_2) | instskip(NEXT) | instid1(VALU_DEP_1)
	v_lshlrev_b64 v[1:2], 2, v[1:2]
	v_add_co_u32 v1, vcc_lo, s4, v1
	s_delay_alu instid0(VALU_DEP_2) | instskip(SKIP_2) | instid1(SALU_CYCLE_1)
	v_add_co_ci_u32_e32 v2, vcc_lo, s5, v2, vcc_lo
	global_store_b32 v[1:2], v7, off
	s_or_b32 exec_lo, exec_lo, s0
	s_mov_b32 s0, exec_lo
	v_cmpx_gt_i32_e64 s10, v0
	s_cbranch_execnz .LBB180_330
	s_branch .LBB180_331
.LBB180_300:
	s_and_not1_saveexec_b32 s13, s13
	s_cbranch_execz .LBB180_302
.LBB180_301:
	v_sub_f32_e32 v2, v10, v8
	s_delay_alu instid0(VALU_DEP_1) | instskip(NEXT) | instid1(VALU_DEP_1)
	v_mul_f32_e32 v2, 0.5, v2
	v_mul_f32_e32 v8, 0x4f800000, v2
	v_cmp_gt_f32_e32 vcc_lo, 0xf800000, v2
	s_delay_alu instid0(VALU_DEP_2) | instskip(NEXT) | instid1(VALU_DEP_1)
	v_cndmask_b32_e32 v2, v2, v8, vcc_lo
	v_sqrt_f32_e32 v8, v2
	s_waitcnt_depctr 0xfff
	v_add_nc_u32_e32 v9, -1, v8
	v_add_nc_u32_e32 v10, 1, v8
	s_delay_alu instid0(VALU_DEP_2) | instskip(NEXT) | instid1(VALU_DEP_2)
	v_fma_f32 v11, -v9, v8, v2
	v_fma_f32 v12, -v10, v8, v2
	s_delay_alu instid0(VALU_DEP_2) | instskip(NEXT) | instid1(VALU_DEP_1)
	v_cmp_ge_f32_e64 s2, 0, v11
	v_cndmask_b32_e64 v8, v8, v9, s2
	s_delay_alu instid0(VALU_DEP_3) | instskip(NEXT) | instid1(VALU_DEP_1)
	v_cmp_lt_f32_e64 s2, 0, v12
	v_cndmask_b32_e64 v8, v8, v10, s2
	s_delay_alu instid0(VALU_DEP_1) | instskip(NEXT) | instid1(VALU_DEP_1)
	v_mul_f32_e32 v9, 0x37800000, v8
	v_cndmask_b32_e32 v8, v8, v9, vcc_lo
	v_cmp_class_f32_e64 vcc_lo, v2, 0x260
	s_delay_alu instid0(VALU_DEP_2) | instskip(NEXT) | instid1(VALU_DEP_1)
	v_cndmask_b32_e32 v8, v8, v2, vcc_lo
	v_dual_add_f32 v9, v8, v8 :: v_dual_and_b32 v2, 0x7fffffff, v5
	s_delay_alu instid0(VALU_DEP_1) | instskip(SKIP_1) | instid1(VALU_DEP_2)
	v_div_scale_f32 v10, null, v9, v9, v2
	v_div_scale_f32 v2, vcc_lo, v2, v9, v2
	v_rcp_f32_e32 v11, v10
	s_waitcnt_depctr 0xfff
	v_fma_f32 v12, -v10, v11, 1.0
	s_delay_alu instid0(VALU_DEP_1) | instskip(NEXT) | instid1(VALU_DEP_1)
	v_fmac_f32_e32 v11, v12, v11
	v_mul_f32_e32 v12, v2, v11
	s_delay_alu instid0(VALU_DEP_1) | instskip(NEXT) | instid1(VALU_DEP_1)
	v_fma_f32 v13, -v10, v12, v2
	v_fmac_f32_e32 v12, v13, v11
	s_delay_alu instid0(VALU_DEP_1) | instskip(NEXT) | instid1(VALU_DEP_1)
	v_fma_f32 v2, -v10, v12, v2
	v_div_fmas_f32 v2, v2, v11, v12
	s_delay_alu instid0(VALU_DEP_1)
	v_div_fixup_f32 v2, v2, v9, |v5|
	v_bfi_b32 v9, 0x7fffffff, v8, v5
.LBB180_302:
	s_or_b32 exec_lo, exec_lo, s13
                                        ; implicit-def: $vgpr5
                                        ; implicit-def: $vgpr8
	s_and_saveexec_b32 s2, s1
	s_delay_alu instid0(SALU_CYCLE_1)
	s_xor_b32 s1, exec_lo, s2
	s_cbranch_execz .LBB180_304
; %bb.303:
	v_dual_mul_f32 v5, 0.5, v2 :: v_dual_mul_f32 v10, 0.5, v9
	s_delay_alu instid0(VALU_DEP_1) | instskip(NEXT) | instid1(VALU_DEP_2)
	v_cndmask_b32_e64 v8, v2, v5, s12
	v_cndmask_b32_e64 v5, v9, v10, s12
                                        ; implicit-def: $vgpr2
                                        ; implicit-def: $vgpr9
	s_and_not1_saveexec_b32 s1, s1
	s_cbranch_execnz .LBB180_305
	s_branch .LBB180_306
.LBB180_304:
	s_and_not1_saveexec_b32 s1, s1
.LBB180_305:
	v_dual_add_f32 v8, v2, v2 :: v_dual_add_f32 v5, v9, v9
.LBB180_306:
	s_or_b32 exec_lo, exec_lo, s1
                                        ; implicit-def: $vgpr2
.LBB180_307:
	s_and_not1_saveexec_b32 s1, s11
	s_cbranch_execz .LBB180_313
; %bb.308:
	v_cmp_lt_i16_e32 vcc_lo, -1, v2
	v_sub_f32_e32 v2, v5, v5
	s_and_saveexec_b32 s2, vcc_lo
	s_delay_alu instid0(SALU_CYCLE_1)
	s_xor_b32 s2, exec_lo, s2
; %bb.309:
	s_delay_alu instid0(VALU_DEP_1)
	v_bfi_b32 v5, 0x7fffffff, v2, v5
                                        ; implicit-def: $vgpr2
; %bb.310:
	s_and_not1_saveexec_b32 s2, s2
; %bb.311:
	v_and_b32_e32 v2, 0x7fffffff, v2
	s_delay_alu instid0(VALU_DEP_2) | instskip(NEXT) | instid1(VALU_DEP_2)
	v_bfi_b32 v5, 0x7fffffff, v8, v5
	v_mov_b32_e32 v8, v2
; %bb.312:
	s_or_b32 exec_lo, exec_lo, s2
.LBB180_313:
	s_delay_alu instid0(SALU_CYCLE_1)
	s_or_b32 exec_lo, exec_lo, s1
.LBB180_314:
	s_and_not1_saveexec_b32 s1, s9
; %bb.315:
	v_sub_f32_e32 v2, v5, v5
	s_delay_alu instid0(VALU_DEP_1) | instskip(NEXT) | instid1(VALU_DEP_1)
	v_div_scale_f32 v5, vcc_lo, v2, v2, v2
	v_rcp_f32_e32 v9, v5
	s_waitcnt_depctr 0xfff
	v_fma_f32 v10, -v5, v9, 1.0
	s_delay_alu instid0(VALU_DEP_1) | instskip(NEXT) | instid1(VALU_DEP_1)
	v_fmac_f32_e32 v9, v10, v9
	v_mul_f32_e32 v10, v5, v9
	s_delay_alu instid0(VALU_DEP_1) | instskip(NEXT) | instid1(VALU_DEP_1)
	v_fma_f32 v11, -v5, v10, v5
	v_fmac_f32_e32 v10, v11, v9
	s_delay_alu instid0(VALU_DEP_1) | instskip(NEXT) | instid1(VALU_DEP_1)
	v_fma_f32 v5, -v5, v10, v5
	v_div_fmas_f32 v5, v5, v9, v10
	s_delay_alu instid0(VALU_DEP_1)
	v_div_fixup_f32 v5, v5, v2, v2
; %bb.316:
	s_or_b32 exec_lo, exec_lo, s1
.LBB180_317:
	s_delay_alu instid0(SALU_CYCLE_1)
	s_or_b32 exec_lo, exec_lo, s7
.LBB180_318:
	s_delay_alu instid0(SALU_CYCLE_1)
	s_or_b32 exec_lo, exec_lo, s6
	v_cmp_gt_f32_e32 vcc_lo, 0, v8
                                        ; implicit-def: $vgpr11
                                        ; implicit-def: $vgpr10
	s_mov_b32 s1, exec_lo
	v_cndmask_b32_e64 v2, v8, -v8, vcc_lo
	v_cmp_gt_f32_e32 vcc_lo, 0, v5
	v_cndmask_b32_e64 v9, v5, -v5, vcc_lo
	s_delay_alu instid0(VALU_DEP_1)
	v_cmpx_ge_f32_e32 v2, v9
	s_xor_b32 s2, exec_lo, s1
	s_cbranch_execz .LBB180_324
; %bb.319:
	v_cmp_neq_f32_e32 vcc_lo, 0, v8
	v_cmp_neq_f32_e64 s1, 0, v5
                                        ; implicit-def: $vgpr11
                                        ; implicit-def: $vgpr10
	s_delay_alu instid0(VALU_DEP_1) | instskip(NEXT) | instid1(SALU_CYCLE_1)
	s_or_b32 s1, vcc_lo, s1
	s_and_saveexec_b32 s6, s1
	s_delay_alu instid0(SALU_CYCLE_1)
	s_xor_b32 s1, exec_lo, s6
	s_cbranch_execz .LBB180_321
; %bb.320:
	v_div_scale_f32 v2, null, v8, v8, v5
	v_div_scale_f32 v11, vcc_lo, v5, v8, v5
	s_delay_alu instid0(VALU_DEP_2) | instskip(SKIP_2) | instid1(VALU_DEP_1)
	v_rcp_f32_e32 v9, v2
	s_waitcnt_depctr 0xfff
	v_fma_f32 v10, -v2, v9, 1.0
	v_fmac_f32_e32 v9, v10, v9
	s_delay_alu instid0(VALU_DEP_1) | instskip(NEXT) | instid1(VALU_DEP_1)
	v_mul_f32_e32 v10, v11, v9
	v_fma_f32 v12, -v2, v10, v11
	s_delay_alu instid0(VALU_DEP_1) | instskip(NEXT) | instid1(VALU_DEP_1)
	v_fmac_f32_e32 v10, v12, v9
	v_fma_f32 v2, -v2, v10, v11
	s_delay_alu instid0(VALU_DEP_1) | instskip(NEXT) | instid1(VALU_DEP_1)
	v_div_fmas_f32 v2, v2, v9, v10
	v_div_fixup_f32 v2, v2, v8, v5
	s_delay_alu instid0(VALU_DEP_1) | instskip(NEXT) | instid1(VALU_DEP_1)
	v_fmac_f32_e32 v8, v5, v2
	v_div_scale_f32 v5, null, v8, v8, 1.0
	v_div_scale_f32 v11, vcc_lo, 1.0, v8, 1.0
	s_delay_alu instid0(VALU_DEP_2) | instskip(SKIP_2) | instid1(VALU_DEP_1)
	v_rcp_f32_e32 v9, v5
	s_waitcnt_depctr 0xfff
	v_fma_f32 v10, -v5, v9, 1.0
	v_fmac_f32_e32 v9, v10, v9
	s_delay_alu instid0(VALU_DEP_1) | instskip(NEXT) | instid1(VALU_DEP_1)
	v_mul_f32_e32 v10, v11, v9
	v_fma_f32 v12, -v5, v10, v11
	s_delay_alu instid0(VALU_DEP_1) | instskip(NEXT) | instid1(VALU_DEP_1)
	v_fmac_f32_e32 v10, v12, v9
	v_fma_f32 v5, -v5, v10, v11
	s_delay_alu instid0(VALU_DEP_1) | instskip(SKIP_1) | instid1(VALU_DEP_2)
	v_div_fmas_f32 v5, v5, v9, v10
	v_fma_f32 v9, v2, 0, 1.0
	v_div_fixup_f32 v5, v5, v8, 1.0
	s_delay_alu instid0(VALU_DEP_1)
	v_mul_f32_e32 v10, v9, v5
	v_mul_f32_e64 v11, -v2, v5
                                        ; implicit-def: $vgpr2
                                        ; implicit-def: $vgpr9
.LBB180_321:
	s_and_not1_saveexec_b32 s6, s1
	s_cbranch_execz .LBB180_323
; %bb.322:
	v_div_scale_f32 v5, null, v2, v2, 1.0
	v_div_scale_f32 v8, null, v9, v9, 0
	v_div_scale_f32 v14, vcc_lo, 1.0, v2, 1.0
	s_delay_alu instid0(VALU_DEP_3) | instskip(NEXT) | instid1(VALU_DEP_2)
	v_rcp_f32_e32 v10, v5
	v_rcp_f32_e32 v11, v8
	s_waitcnt_depctr 0xfff
	v_fma_f32 v12, -v5, v10, 1.0
	v_fma_f32 v13, -v8, v11, 1.0
	s_delay_alu instid0(VALU_DEP_1) | instskip(SKIP_1) | instid1(VALU_DEP_2)
	v_dual_fmac_f32 v10, v12, v10 :: v_dual_fmac_f32 v11, v13, v11
	v_div_scale_f32 v12, s1, 0, v9, 0
	v_mul_f32_e32 v13, v14, v10
	s_delay_alu instid0(VALU_DEP_2) | instskip(NEXT) | instid1(VALU_DEP_2)
	v_mul_f32_e32 v15, v12, v11
	v_fma_f32 v16, -v5, v13, v14
	s_delay_alu instid0(VALU_DEP_2) | instskip(NEXT) | instid1(VALU_DEP_2)
	v_fma_f32 v17, -v8, v15, v12
	v_fmac_f32_e32 v13, v16, v10
	s_delay_alu instid0(VALU_DEP_2) | instskip(NEXT) | instid1(VALU_DEP_2)
	v_fmac_f32_e32 v15, v17, v11
	v_fma_f32 v5, -v5, v13, v14
	s_delay_alu instid0(VALU_DEP_2) | instskip(NEXT) | instid1(VALU_DEP_2)
	v_fma_f32 v8, -v8, v15, v12
	v_div_fmas_f32 v5, v5, v10, v13
	s_mov_b32 vcc_lo, s1
	s_delay_alu instid0(VALU_DEP_2) | instskip(NEXT) | instid1(VALU_DEP_2)
	v_div_fmas_f32 v8, v8, v11, v15
	v_div_fixup_f32 v10, v5, v2, 1.0
	s_delay_alu instid0(VALU_DEP_2)
	v_div_fixup_f32 v11, v8, v9, 0
.LBB180_323:
	s_or_b32 exec_lo, exec_lo, s6
                                        ; implicit-def: $vgpr5
                                        ; implicit-def: $vgpr8
.LBB180_324:
	s_and_not1_saveexec_b32 s1, s2
	s_cbranch_execz .LBB180_326
; %bb.325:
	v_div_scale_f32 v2, null, v5, v5, v8
	v_div_scale_f32 v11, vcc_lo, v8, v5, v8
	s_delay_alu instid0(VALU_DEP_2) | instskip(SKIP_2) | instid1(VALU_DEP_1)
	v_rcp_f32_e32 v9, v2
	s_waitcnt_depctr 0xfff
	v_fma_f32 v10, -v2, v9, 1.0
	v_fmac_f32_e32 v9, v10, v9
	s_delay_alu instid0(VALU_DEP_1) | instskip(NEXT) | instid1(VALU_DEP_1)
	v_mul_f32_e32 v10, v11, v9
	v_fma_f32 v12, -v2, v10, v11
	s_delay_alu instid0(VALU_DEP_1) | instskip(NEXT) | instid1(VALU_DEP_1)
	v_fmac_f32_e32 v10, v12, v9
	v_fma_f32 v2, -v2, v10, v11
	s_delay_alu instid0(VALU_DEP_1) | instskip(NEXT) | instid1(VALU_DEP_1)
	v_div_fmas_f32 v2, v2, v9, v10
	v_div_fixup_f32 v2, v2, v5, v8
	s_delay_alu instid0(VALU_DEP_1) | instskip(NEXT) | instid1(VALU_DEP_1)
	v_fmac_f32_e32 v5, v8, v2
	v_div_scale_f32 v8, null, v5, v5, 1.0
	v_div_scale_f32 v11, vcc_lo, 1.0, v5, 1.0
	s_delay_alu instid0(VALU_DEP_2) | instskip(SKIP_2) | instid1(VALU_DEP_1)
	v_rcp_f32_e32 v9, v8
	s_waitcnt_depctr 0xfff
	v_fma_f32 v10, -v8, v9, 1.0
	v_fmac_f32_e32 v9, v10, v9
	s_delay_alu instid0(VALU_DEP_1) | instskip(NEXT) | instid1(VALU_DEP_1)
	v_mul_f32_e32 v10, v11, v9
	v_fma_f32 v12, -v8, v10, v11
	s_delay_alu instid0(VALU_DEP_1) | instskip(NEXT) | instid1(VALU_DEP_1)
	v_fmac_f32_e32 v10, v12, v9
	v_fma_f32 v8, -v8, v10, v11
	s_delay_alu instid0(VALU_DEP_1) | instskip(SKIP_2) | instid1(VALU_DEP_3)
	v_div_fmas_f32 v8, v8, v9, v10
	v_add_f32_e32 v9, 0, v2
	v_fma_f32 v2, v2, 0, -1.0
	v_div_fixup_f32 v5, v8, v5, 1.0
	s_delay_alu instid0(VALU_DEP_1) | instskip(NEXT) | instid1(VALU_DEP_3)
	v_mul_f32_e32 v10, v9, v5
	v_mul_f32_e32 v11, v2, v5
.LBB180_326:
	s_or_b32 exec_lo, exec_lo, s1
	s_delay_alu instid0(VALU_DEP_1) | instskip(NEXT) | instid1(VALU_DEP_3)
	v_cvt_f16_f32_e32 v2, v11
	v_cvt_f16_f32_e32 v5, v10
	s_delay_alu instid0(VALU_DEP_2) | instskip(NEXT) | instid1(VALU_DEP_2)
	v_lshlrev_b32_e32 v2, 16, v2
	v_and_b32_e32 v5, 0xffff, v5
	s_delay_alu instid0(VALU_DEP_1) | instskip(SKIP_2) | instid1(SALU_CYCLE_1)
	v_or_b32_e32 v5, v2, v5
	s_or_b32 exec_lo, exec_lo, s3
	s_and_saveexec_b32 s1, s0
	s_xor_b32 s0, exec_lo, s1
	s_cbranch_execnz .LBB180_297
.LBB180_327:
	s_or_b32 exec_lo, exec_lo, s0
	s_delay_alu instid0(SALU_CYCLE_1)
	s_mov_b32 s0, exec_lo
	v_cmpx_gt_i32_e64 s10, v0
	s_cbranch_execz .LBB180_298
.LBB180_328:
	v_dual_mov_b32 v2, 0 :: v_dual_add_nc_u32 v1, s8, v0
	v_add_nc_u32_e32 v0, 0x100, v0
	s_delay_alu instid0(VALU_DEP_2) | instskip(NEXT) | instid1(VALU_DEP_1)
	v_lshlrev_b64 v[1:2], 2, v[1:2]
	v_add_co_u32 v1, vcc_lo, s4, v1
	s_delay_alu instid0(VALU_DEP_2) | instskip(SKIP_2) | instid1(SALU_CYCLE_1)
	v_add_co_ci_u32_e32 v2, vcc_lo, s5, v2, vcc_lo
	global_store_b32 v[1:2], v6, off
	s_or_b32 exec_lo, exec_lo, s0
	s_mov_b32 s0, exec_lo
	v_cmpx_gt_i32_e64 s10, v0
	s_cbranch_execnz .LBB180_299
.LBB180_329:
	s_or_b32 exec_lo, exec_lo, s0
	s_delay_alu instid0(SALU_CYCLE_1)
	s_mov_b32 s0, exec_lo
	v_cmpx_gt_i32_e64 s10, v0
	s_cbranch_execz .LBB180_331
.LBB180_330:
	v_dual_mov_b32 v1, 0 :: v_dual_add_nc_u32 v0, s8, v0
	s_delay_alu instid0(VALU_DEP_1) | instskip(NEXT) | instid1(VALU_DEP_1)
	v_lshlrev_b64 v[0:1], 2, v[0:1]
	v_add_co_u32 v0, vcc_lo, s4, v0
	s_delay_alu instid0(VALU_DEP_2)
	v_add_co_ci_u32_e32 v1, vcc_lo, s5, v1, vcc_lo
	global_store_b32 v[0:1], v5, off
.LBB180_331:
	s_nop 0
	s_sendmsg sendmsg(MSG_DEALLOC_VGPRS)
	s_endpgm
	.section	.rodata,"a",@progbits
	.p2align	6, 0x0
	.amdhsa_kernel _ZN2at6native29vectorized_elementwise_kernelILi4EZZZNS0_17rsqrt_kernel_cudaERNS_18TensorIteratorBaseEENKUlvE_clEvENKUlvE1_clEvEUlN3c107complexINS6_4HalfEEEE_St5arrayIPcLm2EEEEviT0_T1_
		.amdhsa_group_segment_fixed_size 0
		.amdhsa_private_segment_fixed_size 0
		.amdhsa_kernarg_size 24
		.amdhsa_user_sgpr_count 15
		.amdhsa_user_sgpr_dispatch_ptr 0
		.amdhsa_user_sgpr_queue_ptr 0
		.amdhsa_user_sgpr_kernarg_segment_ptr 1
		.amdhsa_user_sgpr_dispatch_id 0
		.amdhsa_user_sgpr_private_segment_size 0
		.amdhsa_wavefront_size32 1
		.amdhsa_uses_dynamic_stack 0
		.amdhsa_enable_private_segment 0
		.amdhsa_system_sgpr_workgroup_id_x 1
		.amdhsa_system_sgpr_workgroup_id_y 0
		.amdhsa_system_sgpr_workgroup_id_z 0
		.amdhsa_system_sgpr_workgroup_info 0
		.amdhsa_system_vgpr_workitem_id 0
		.amdhsa_next_free_vgpr 20
		.amdhsa_next_free_sgpr 17
		.amdhsa_reserve_vcc 1
		.amdhsa_float_round_mode_32 0
		.amdhsa_float_round_mode_16_64 0
		.amdhsa_float_denorm_mode_32 3
		.amdhsa_float_denorm_mode_16_64 3
		.amdhsa_dx10_clamp 1
		.amdhsa_ieee_mode 1
		.amdhsa_fp16_overflow 0
		.amdhsa_workgroup_processor_mode 1
		.amdhsa_memory_ordered 1
		.amdhsa_forward_progress 0
		.amdhsa_shared_vgpr_count 0
		.amdhsa_exception_fp_ieee_invalid_op 0
		.amdhsa_exception_fp_denorm_src 0
		.amdhsa_exception_fp_ieee_div_zero 0
		.amdhsa_exception_fp_ieee_overflow 0
		.amdhsa_exception_fp_ieee_underflow 0
		.amdhsa_exception_fp_ieee_inexact 0
		.amdhsa_exception_int_div_zero 0
	.end_amdhsa_kernel
	.section	.text._ZN2at6native29vectorized_elementwise_kernelILi4EZZZNS0_17rsqrt_kernel_cudaERNS_18TensorIteratorBaseEENKUlvE_clEvENKUlvE1_clEvEUlN3c107complexINS6_4HalfEEEE_St5arrayIPcLm2EEEEviT0_T1_,"axG",@progbits,_ZN2at6native29vectorized_elementwise_kernelILi4EZZZNS0_17rsqrt_kernel_cudaERNS_18TensorIteratorBaseEENKUlvE_clEvENKUlvE1_clEvEUlN3c107complexINS6_4HalfEEEE_St5arrayIPcLm2EEEEviT0_T1_,comdat
.Lfunc_end180:
	.size	_ZN2at6native29vectorized_elementwise_kernelILi4EZZZNS0_17rsqrt_kernel_cudaERNS_18TensorIteratorBaseEENKUlvE_clEvENKUlvE1_clEvEUlN3c107complexINS6_4HalfEEEE_St5arrayIPcLm2EEEEviT0_T1_, .Lfunc_end180-_ZN2at6native29vectorized_elementwise_kernelILi4EZZZNS0_17rsqrt_kernel_cudaERNS_18TensorIteratorBaseEENKUlvE_clEvENKUlvE1_clEvEUlN3c107complexINS6_4HalfEEEE_St5arrayIPcLm2EEEEviT0_T1_
                                        ; -- End function
	.section	.AMDGPU.csdata,"",@progbits
; Kernel info:
; codeLenInByte = 16620
; NumSgprs: 19
; NumVgprs: 20
; ScratchSize: 0
; MemoryBound: 0
; FloatMode: 240
; IeeeMode: 1
; LDSByteSize: 0 bytes/workgroup (compile time only)
; SGPRBlocks: 2
; VGPRBlocks: 2
; NumSGPRsForWavesPerEU: 19
; NumVGPRsForWavesPerEU: 20
; Occupancy: 16
; WaveLimiterHint : 0
; COMPUTE_PGM_RSRC2:SCRATCH_EN: 0
; COMPUTE_PGM_RSRC2:USER_SGPR: 15
; COMPUTE_PGM_RSRC2:TRAP_HANDLER: 0
; COMPUTE_PGM_RSRC2:TGID_X_EN: 1
; COMPUTE_PGM_RSRC2:TGID_Y_EN: 0
; COMPUTE_PGM_RSRC2:TGID_Z_EN: 0
; COMPUTE_PGM_RSRC2:TIDIG_COMP_CNT: 0
	.section	.text._ZN2at6native29vectorized_elementwise_kernelILi2EZZZNS0_17rsqrt_kernel_cudaERNS_18TensorIteratorBaseEENKUlvE_clEvENKUlvE1_clEvEUlN3c107complexINS6_4HalfEEEE_St5arrayIPcLm2EEEEviT0_T1_,"axG",@progbits,_ZN2at6native29vectorized_elementwise_kernelILi2EZZZNS0_17rsqrt_kernel_cudaERNS_18TensorIteratorBaseEENKUlvE_clEvENKUlvE1_clEvEUlN3c107complexINS6_4HalfEEEE_St5arrayIPcLm2EEEEviT0_T1_,comdat
	.globl	_ZN2at6native29vectorized_elementwise_kernelILi2EZZZNS0_17rsqrt_kernel_cudaERNS_18TensorIteratorBaseEENKUlvE_clEvENKUlvE1_clEvEUlN3c107complexINS6_4HalfEEEE_St5arrayIPcLm2EEEEviT0_T1_ ; -- Begin function _ZN2at6native29vectorized_elementwise_kernelILi2EZZZNS0_17rsqrt_kernel_cudaERNS_18TensorIteratorBaseEENKUlvE_clEvENKUlvE1_clEvEUlN3c107complexINS6_4HalfEEEE_St5arrayIPcLm2EEEEviT0_T1_
	.p2align	8
	.type	_ZN2at6native29vectorized_elementwise_kernelILi2EZZZNS0_17rsqrt_kernel_cudaERNS_18TensorIteratorBaseEENKUlvE_clEvENKUlvE1_clEvEUlN3c107complexINS6_4HalfEEEE_St5arrayIPcLm2EEEEviT0_T1_,@function
_ZN2at6native29vectorized_elementwise_kernelILi2EZZZNS0_17rsqrt_kernel_cudaERNS_18TensorIteratorBaseEENKUlvE_clEvENKUlvE1_clEvEUlN3c107complexINS6_4HalfEEEE_St5arrayIPcLm2EEEEviT0_T1_: ; @_ZN2at6native29vectorized_elementwise_kernelILi2EZZZNS0_17rsqrt_kernel_cudaERNS_18TensorIteratorBaseEENKUlvE_clEvENKUlvE1_clEvEUlN3c107complexINS6_4HalfEEEE_St5arrayIPcLm2EEEEviT0_T1_
; %bb.0:
	s_clause 0x1
	s_load_b32 s2, s[0:1], 0x0
	s_load_b128 s[4:7], s[0:1], 0x8
	s_lshl_b32 s8, s15, 10
	s_mov_b32 s0, -1
	s_waitcnt lgkmcnt(0)
	s_sub_i32 s10, s2, s8
	s_delay_alu instid0(SALU_CYCLE_1)
	s_cmpk_gt_i32 s10, 0x3ff
	s_cbranch_scc0 .LBB181_154
; %bb.1:
	s_ashr_i32 s9, s8, 31
	v_lshlrev_b32_e32 v5, 3, v0
	s_lshl_b64 s[2:3], s[8:9], 2
	v_mov_b32_e32 v9, 0
	s_add_u32 s0, s6, s2
	s_addc_u32 s1, s7, s3
	s_clause 0x1
	global_load_b64 v[3:4], v5, s[0:1]
	global_load_b64 v[1:2], v5, s[0:1] offset:2048
	s_waitcnt vmcnt(1)
	v_lshrrev_b32_e32 v6, 16, v3
	v_cmp_neq_f16_e32 vcc_lo, 0, v3
	s_delay_alu instid0(VALU_DEP_2) | instskip(SKIP_1) | instid1(VALU_DEP_2)
	v_cmp_neq_f16_e64 s0, 0, v6
	v_cvt_f32_f16_e32 v8, v6
	s_or_b32 s0, vcc_lo, s0
	s_delay_alu instid0(SALU_CYCLE_1)
	s_and_saveexec_b32 s9, s0
	s_cbranch_execz .LBB181_31
; %bb.2:
	v_mov_b32_e32 v9, 0x7f800000
	s_mov_b32 s11, exec_lo
	v_cmpx_neq_f32_e64 0x7f800000, |v8|
	s_cbranch_execz .LBB181_30
; %bb.3:
	v_cvt_f32_f16_e32 v9, v3
	s_mov_b32 s0, exec_lo
	v_cmpx_o_f16_e32 v3, v3
	s_xor_b32 s12, exec_lo, s0
	s_cbranch_execz .LBB181_27
; %bb.4:
	s_mov_b32 s1, exec_lo
	v_cmpx_neq_f32_e64 0x7f800000, |v9|
	s_xor_b32 s13, exec_lo, s1
	s_cbranch_execz .LBB181_20
; %bb.5:
	v_max_f32_e64 v6, |v8|, |v8|
	v_max_f32_e64 v7, |v9|, |v9|
                                        ; implicit-def: $sgpr14
	s_delay_alu instid0(VALU_DEP_1) | instskip(NEXT) | instid1(VALU_DEP_1)
	v_max_f32_e32 v6, v7, v6
	v_cmp_nle_f32_e64 s0, 0x7ed413cb, v6
	s_delay_alu instid0(VALU_DEP_1) | instskip(NEXT) | instid1(SALU_CYCLE_1)
	s_and_saveexec_b32 s1, s0
	s_xor_b32 s1, exec_lo, s1
	s_cbranch_execz .LBB181_9
; %bb.6:
	v_cmp_ge_f32_e64 s14, 0x1000000, |v9|
	v_cmp_ge_f32_e64 s15, 0x1000000, |v8|
	s_delay_alu instid0(VALU_DEP_1)
	s_and_b32 s16, s14, s15
	s_mov_b32 s14, 0
	s_and_saveexec_b32 s15, s16
; %bb.7:
	v_dual_mul_f32 v9, 4.0, v9 :: v_dual_mul_f32 v8, 4.0, v8
	s_mov_b32 s14, exec_lo
; %bb.8:
	s_or_b32 exec_lo, exec_lo, s15
	s_delay_alu instid0(SALU_CYCLE_1)
	s_and_b32 s14, s14, exec_lo
.LBB181_9:
	s_and_not1_saveexec_b32 s1, s1
; %bb.10:
	v_dual_mul_f32 v9, 0x3e800000, v9 :: v_dual_mul_f32 v8, 0x3e800000, v8
	s_and_not1_b32 s14, s14, exec_lo
; %bb.11:
	s_or_b32 exec_lo, exec_lo, s1
	s_delay_alu instid0(VALU_DEP_1) | instskip(NEXT) | instid1(VALU_DEP_2)
	v_max_f32_e64 v6, |v8|, |v8|
	v_max_f32_e64 v7, |v9|, |v9|
	s_delay_alu instid0(VALU_DEP_1) | instskip(NEXT) | instid1(VALU_DEP_1)
	v_max_f32_e32 v10, v7, v6
	v_cvt_f64_f32_e32 v[6:7], v10
	v_cmp_neq_f32_e64 s1, 0x7f800000, v10
	s_delay_alu instid0(VALU_DEP_2) | instskip(NEXT) | instid1(VALU_DEP_1)
	v_frexp_exp_i32_f64_e32 v6, v[6:7]
	v_sub_nc_u32_e32 v7, 0, v6
	s_delay_alu instid0(VALU_DEP_1) | instskip(SKIP_1) | instid1(VALU_DEP_2)
	v_ldexp_f32 v11, |v8|, v7
	v_ldexp_f32 v7, |v9|, v7
	v_mul_f32_e32 v11, v11, v11
	s_delay_alu instid0(VALU_DEP_1) | instskip(NEXT) | instid1(VALU_DEP_1)
	v_fmac_f32_e32 v11, v7, v7
	v_sqrt_f32_e32 v7, v11
	s_waitcnt_depctr 0xfff
	v_ldexp_f32 v6, v7, v6
                                        ; implicit-def: $vgpr7
	s_delay_alu instid0(VALU_DEP_1)
	v_cndmask_b32_e64 v10, 0x7f800000, v6, s1
                                        ; implicit-def: $vgpr6
	s_mov_b32 s1, exec_lo
	v_cmpx_le_f32_e32 0, v9
	s_xor_b32 s15, exec_lo, s1
	s_cbranch_execz .LBB181_13
; %bb.12:
	v_add_f32_e32 v6, v9, v10
	s_delay_alu instid0(VALU_DEP_1) | instskip(NEXT) | instid1(VALU_DEP_1)
	v_mul_f32_e32 v6, 0.5, v6
	v_mul_f32_e32 v7, 0x4f800000, v6
	v_cmp_gt_f32_e32 vcc_lo, 0xf800000, v6
	s_delay_alu instid0(VALU_DEP_2) | instskip(NEXT) | instid1(VALU_DEP_1)
	v_cndmask_b32_e32 v6, v6, v7, vcc_lo
	v_sqrt_f32_e32 v7, v6
	s_waitcnt_depctr 0xfff
	v_add_nc_u32_e32 v9, -1, v7
	v_add_nc_u32_e32 v10, 1, v7
	s_delay_alu instid0(VALU_DEP_2) | instskip(NEXT) | instid1(VALU_DEP_2)
	v_fma_f32 v11, -v9, v7, v6
	v_fma_f32 v12, -v10, v7, v6
	s_delay_alu instid0(VALU_DEP_2) | instskip(NEXT) | instid1(VALU_DEP_1)
	v_cmp_ge_f32_e64 s1, 0, v11
	v_cndmask_b32_e64 v7, v7, v9, s1
	s_delay_alu instid0(VALU_DEP_3) | instskip(NEXT) | instid1(VALU_DEP_1)
	v_cmp_lt_f32_e64 s1, 0, v12
	v_cndmask_b32_e64 v7, v7, v10, s1
	s_delay_alu instid0(VALU_DEP_1) | instskip(NEXT) | instid1(VALU_DEP_1)
	v_mul_f32_e32 v9, 0x37800000, v7
	v_cndmask_b32_e32 v7, v7, v9, vcc_lo
	v_cmp_class_f32_e64 vcc_lo, v6, 0x260
	s_delay_alu instid0(VALU_DEP_2) | instskip(NEXT) | instid1(VALU_DEP_1)
	v_cndmask_b32_e32 v6, v7, v6, vcc_lo
	v_add_f32_e32 v7, v6, v6
	s_delay_alu instid0(VALU_DEP_1) | instskip(NEXT) | instid1(VALU_DEP_1)
	v_div_scale_f32 v9, null, v7, v7, v8
	v_rcp_f32_e32 v10, v9
	s_waitcnt_depctr 0xfff
	v_fma_f32 v11, -v9, v10, 1.0
	s_delay_alu instid0(VALU_DEP_1) | instskip(SKIP_1) | instid1(VALU_DEP_1)
	v_fmac_f32_e32 v10, v11, v10
	v_div_scale_f32 v11, vcc_lo, v8, v7, v8
	v_mul_f32_e32 v12, v11, v10
	s_delay_alu instid0(VALU_DEP_1) | instskip(NEXT) | instid1(VALU_DEP_1)
	v_fma_f32 v13, -v9, v12, v11
	v_fmac_f32_e32 v12, v13, v10
	s_delay_alu instid0(VALU_DEP_1) | instskip(NEXT) | instid1(VALU_DEP_1)
	v_fma_f32 v9, -v9, v12, v11
	v_div_fmas_f32 v9, v9, v10, v12
                                        ; implicit-def: $vgpr10
	s_delay_alu instid0(VALU_DEP_1)
	v_div_fixup_f32 v7, v9, v7, v8
                                        ; implicit-def: $vgpr9
                                        ; implicit-def: $vgpr8
	s_and_not1_saveexec_b32 s15, s15
	s_cbranch_execz .LBB181_15
	s_branch .LBB181_14
.LBB181_13:
	s_and_not1_saveexec_b32 s15, s15
	s_cbranch_execz .LBB181_15
.LBB181_14:
	v_sub_f32_e32 v6, v10, v9
	s_delay_alu instid0(VALU_DEP_1) | instskip(NEXT) | instid1(VALU_DEP_1)
	v_mul_f32_e32 v6, 0.5, v6
	v_mul_f32_e32 v7, 0x4f800000, v6
	v_cmp_gt_f32_e32 vcc_lo, 0xf800000, v6
	s_delay_alu instid0(VALU_DEP_2) | instskip(NEXT) | instid1(VALU_DEP_1)
	v_cndmask_b32_e32 v6, v6, v7, vcc_lo
	v_sqrt_f32_e32 v7, v6
	s_waitcnt_depctr 0xfff
	v_add_nc_u32_e32 v9, -1, v7
	v_add_nc_u32_e32 v10, 1, v7
	s_delay_alu instid0(VALU_DEP_2) | instskip(NEXT) | instid1(VALU_DEP_2)
	v_fma_f32 v11, -v9, v7, v6
	v_fma_f32 v12, -v10, v7, v6
	s_delay_alu instid0(VALU_DEP_2) | instskip(NEXT) | instid1(VALU_DEP_1)
	v_cmp_ge_f32_e64 s1, 0, v11
	v_cndmask_b32_e64 v7, v7, v9, s1
	s_delay_alu instid0(VALU_DEP_3) | instskip(NEXT) | instid1(VALU_DEP_1)
	v_cmp_lt_f32_e64 s1, 0, v12
	v_cndmask_b32_e64 v7, v7, v10, s1
	s_delay_alu instid0(VALU_DEP_1) | instskip(NEXT) | instid1(VALU_DEP_1)
	v_mul_f32_e32 v9, 0x37800000, v7
	v_cndmask_b32_e32 v7, v7, v9, vcc_lo
	v_cmp_class_f32_e64 vcc_lo, v6, 0x260
	s_delay_alu instid0(VALU_DEP_2) | instskip(NEXT) | instid1(VALU_DEP_1)
	v_dual_cndmask_b32 v7, v7, v6 :: v_dual_and_b32 v6, 0x7fffffff, v8
	v_add_f32_e32 v9, v7, v7
	v_bfi_b32 v7, 0x7fffffff, v7, v8
	s_delay_alu instid0(VALU_DEP_2) | instskip(SKIP_1) | instid1(VALU_DEP_2)
	v_div_scale_f32 v10, null, v9, v9, v6
	v_div_scale_f32 v6, vcc_lo, v6, v9, v6
	v_rcp_f32_e32 v11, v10
	s_waitcnt_depctr 0xfff
	v_fma_f32 v12, -v10, v11, 1.0
	s_delay_alu instid0(VALU_DEP_1) | instskip(NEXT) | instid1(VALU_DEP_1)
	v_fmac_f32_e32 v11, v12, v11
	v_mul_f32_e32 v12, v6, v11
	s_delay_alu instid0(VALU_DEP_1) | instskip(NEXT) | instid1(VALU_DEP_1)
	v_fma_f32 v13, -v10, v12, v6
	v_fmac_f32_e32 v12, v13, v11
	s_delay_alu instid0(VALU_DEP_1) | instskip(NEXT) | instid1(VALU_DEP_1)
	v_fma_f32 v6, -v10, v12, v6
	v_div_fmas_f32 v6, v6, v11, v12
	s_delay_alu instid0(VALU_DEP_1)
	v_div_fixup_f32 v6, v6, v9, |v8|
.LBB181_15:
	s_or_b32 exec_lo, exec_lo, s15
                                        ; implicit-def: $vgpr8
                                        ; implicit-def: $vgpr9
	s_and_saveexec_b32 s1, s0
	s_delay_alu instid0(SALU_CYCLE_1)
	s_xor_b32 s0, exec_lo, s1
	s_cbranch_execz .LBB181_17
; %bb.16:
	v_mul_f32_e32 v8, 0.5, v6
	v_mul_f32_e32 v10, 0.5, v7
	s_delay_alu instid0(VALU_DEP_2) | instskip(NEXT) | instid1(VALU_DEP_2)
	v_cndmask_b32_e64 v9, v6, v8, s14
	v_cndmask_b32_e64 v8, v7, v10, s14
                                        ; implicit-def: $vgpr6
                                        ; implicit-def: $vgpr7
	s_and_not1_saveexec_b32 s0, s0
	s_cbranch_execnz .LBB181_18
	s_branch .LBB181_19
.LBB181_17:
	s_and_not1_saveexec_b32 s0, s0
.LBB181_18:
	v_dual_add_f32 v9, v6, v6 :: v_dual_add_f32 v8, v7, v7
.LBB181_19:
	s_or_b32 exec_lo, exec_lo, s0
.LBB181_20:
	s_and_not1_saveexec_b32 s0, s13
	s_cbranch_execz .LBB181_26
; %bb.21:
	v_cmp_lt_i16_e32 vcc_lo, -1, v3
	v_sub_f32_e32 v3, v8, v8
	s_and_saveexec_b32 s1, vcc_lo
	s_delay_alu instid0(SALU_CYCLE_1)
	s_xor_b32 s1, exec_lo, s1
; %bb.22:
	s_delay_alu instid0(VALU_DEP_1)
	v_bfi_b32 v8, 0x7fffffff, v3, v8
                                        ; implicit-def: $vgpr3
; %bb.23:
	s_and_not1_saveexec_b32 s1, s1
; %bb.24:
	v_and_b32_e32 v3, 0x7fffffff, v3
	s_delay_alu instid0(VALU_DEP_2) | instskip(NEXT) | instid1(VALU_DEP_2)
	v_bfi_b32 v8, 0x7fffffff, v9, v8
	v_mov_b32_e32 v9, v3
; %bb.25:
	s_or_b32 exec_lo, exec_lo, s1
.LBB181_26:
	s_delay_alu instid0(SALU_CYCLE_1)
	s_or_b32 exec_lo, exec_lo, s0
.LBB181_27:
	s_and_not1_saveexec_b32 s0, s12
; %bb.28:
	v_sub_f32_e32 v3, v8, v8
	s_delay_alu instid0(VALU_DEP_1) | instskip(NEXT) | instid1(VALU_DEP_1)
	v_div_scale_f32 v6, vcc_lo, v3, v3, v3
	v_rcp_f32_e32 v7, v6
	s_waitcnt_depctr 0xfff
	v_fma_f32 v8, -v6, v7, 1.0
	s_delay_alu instid0(VALU_DEP_1) | instskip(NEXT) | instid1(VALU_DEP_1)
	v_fmac_f32_e32 v7, v8, v7
	v_mul_f32_e32 v8, v6, v7
	s_delay_alu instid0(VALU_DEP_1) | instskip(NEXT) | instid1(VALU_DEP_1)
	v_fma_f32 v10, -v6, v8, v6
	v_fmac_f32_e32 v8, v10, v7
	s_delay_alu instid0(VALU_DEP_1) | instskip(NEXT) | instid1(VALU_DEP_1)
	v_fma_f32 v6, -v6, v8, v6
	v_div_fmas_f32 v6, v6, v7, v8
	s_delay_alu instid0(VALU_DEP_1)
	v_div_fixup_f32 v8, v6, v3, v3
; %bb.29:
	s_or_b32 exec_lo, exec_lo, s0
.LBB181_30:
	s_delay_alu instid0(SALU_CYCLE_1)
	s_or_b32 exec_lo, exec_lo, s11
.LBB181_31:
	s_delay_alu instid0(SALU_CYCLE_1)
	s_or_b32 exec_lo, exec_lo, s9
	v_cmp_gt_f32_e32 vcc_lo, 0, v9
                                        ; implicit-def: $vgpr7
                                        ; implicit-def: $vgpr6
	s_mov_b32 s0, exec_lo
	v_cndmask_b32_e64 v3, v9, -v9, vcc_lo
	v_cmp_gt_f32_e32 vcc_lo, 0, v8
	v_cndmask_b32_e64 v10, v8, -v8, vcc_lo
	s_delay_alu instid0(VALU_DEP_1)
	v_cmpx_ge_f32_e32 v3, v10
	s_xor_b32 s1, exec_lo, s0
	s_cbranch_execz .LBB181_37
; %bb.32:
	v_cmp_neq_f32_e32 vcc_lo, 0, v9
	v_cmp_neq_f32_e64 s0, 0, v8
                                        ; implicit-def: $vgpr7
                                        ; implicit-def: $vgpr6
	s_delay_alu instid0(VALU_DEP_1) | instskip(NEXT) | instid1(SALU_CYCLE_1)
	s_or_b32 s0, vcc_lo, s0
	s_and_saveexec_b32 s9, s0
	s_delay_alu instid0(SALU_CYCLE_1)
	s_xor_b32 s0, exec_lo, s9
	s_cbranch_execz .LBB181_34
; %bb.33:
	v_div_scale_f32 v3, null, v9, v9, v8
	v_div_scale_f32 v10, vcc_lo, v8, v9, v8
	s_delay_alu instid0(VALU_DEP_2) | instskip(SKIP_2) | instid1(VALU_DEP_1)
	v_rcp_f32_e32 v6, v3
	s_waitcnt_depctr 0xfff
	v_fma_f32 v7, -v3, v6, 1.0
	v_fmac_f32_e32 v6, v7, v6
	s_delay_alu instid0(VALU_DEP_1) | instskip(NEXT) | instid1(VALU_DEP_1)
	v_mul_f32_e32 v7, v10, v6
	v_fma_f32 v11, -v3, v7, v10
	s_delay_alu instid0(VALU_DEP_1) | instskip(NEXT) | instid1(VALU_DEP_1)
	v_fmac_f32_e32 v7, v11, v6
	v_fma_f32 v3, -v3, v7, v10
	s_delay_alu instid0(VALU_DEP_1) | instskip(NEXT) | instid1(VALU_DEP_1)
	v_div_fmas_f32 v3, v3, v6, v7
	v_div_fixup_f32 v3, v3, v9, v8
	s_delay_alu instid0(VALU_DEP_1) | instskip(NEXT) | instid1(VALU_DEP_1)
	v_fmac_f32_e32 v9, v8, v3
	v_div_scale_f32 v6, null, v9, v9, 1.0
	v_div_scale_f32 v10, vcc_lo, 1.0, v9, 1.0
	s_delay_alu instid0(VALU_DEP_2) | instskip(SKIP_2) | instid1(VALU_DEP_1)
	v_rcp_f32_e32 v7, v6
	s_waitcnt_depctr 0xfff
	v_fma_f32 v8, -v6, v7, 1.0
	v_fmac_f32_e32 v7, v8, v7
	s_delay_alu instid0(VALU_DEP_1) | instskip(NEXT) | instid1(VALU_DEP_1)
	v_mul_f32_e32 v8, v10, v7
	v_fma_f32 v11, -v6, v8, v10
	s_delay_alu instid0(VALU_DEP_1) | instskip(NEXT) | instid1(VALU_DEP_1)
	v_fmac_f32_e32 v8, v11, v7
	v_fma_f32 v6, -v6, v8, v10
                                        ; implicit-def: $vgpr10
	s_delay_alu instid0(VALU_DEP_1) | instskip(SKIP_1) | instid1(VALU_DEP_2)
	v_div_fmas_f32 v6, v6, v7, v8
	v_fma_f32 v7, v3, 0, 1.0
	v_div_fixup_f32 v8, v6, v9, 1.0
	s_delay_alu instid0(VALU_DEP_1)
	v_mul_f32_e32 v6, v7, v8
	v_mul_f32_e64 v7, -v3, v8
                                        ; implicit-def: $vgpr3
.LBB181_34:
	s_and_not1_saveexec_b32 s9, s0
	s_cbranch_execz .LBB181_36
; %bb.35:
	v_div_scale_f32 v6, null, v3, v3, 1.0
	v_div_scale_f32 v7, null, v10, v10, 0
	v_div_scale_f32 v13, vcc_lo, 1.0, v3, 1.0
	s_delay_alu instid0(VALU_DEP_3) | instskip(NEXT) | instid1(VALU_DEP_2)
	v_rcp_f32_e32 v8, v6
	v_rcp_f32_e32 v9, v7
	s_waitcnt_depctr 0xfff
	v_fma_f32 v11, -v6, v8, 1.0
	v_fma_f32 v12, -v7, v9, 1.0
	s_delay_alu instid0(VALU_DEP_1) | instskip(SKIP_1) | instid1(VALU_DEP_2)
	v_dual_fmac_f32 v8, v11, v8 :: v_dual_fmac_f32 v9, v12, v9
	v_div_scale_f32 v11, s0, 0, v10, 0
	v_mul_f32_e32 v12, v13, v8
	s_delay_alu instid0(VALU_DEP_2) | instskip(NEXT) | instid1(VALU_DEP_2)
	v_mul_f32_e32 v14, v11, v9
	v_fma_f32 v15, -v6, v12, v13
	s_delay_alu instid0(VALU_DEP_2) | instskip(NEXT) | instid1(VALU_DEP_2)
	v_fma_f32 v16, -v7, v14, v11
	v_fmac_f32_e32 v12, v15, v8
	s_delay_alu instid0(VALU_DEP_2) | instskip(NEXT) | instid1(VALU_DEP_2)
	v_fmac_f32_e32 v14, v16, v9
	v_fma_f32 v6, -v6, v12, v13
	s_delay_alu instid0(VALU_DEP_2) | instskip(NEXT) | instid1(VALU_DEP_2)
	v_fma_f32 v7, -v7, v14, v11
	v_div_fmas_f32 v6, v6, v8, v12
	s_mov_b32 vcc_lo, s0
	s_delay_alu instid0(VALU_DEP_2) | instskip(NEXT) | instid1(VALU_DEP_2)
	v_div_fmas_f32 v7, v7, v9, v14
	v_div_fixup_f32 v6, v6, v3, 1.0
	s_delay_alu instid0(VALU_DEP_2)
	v_div_fixup_f32 v7, v7, v10, 0
.LBB181_36:
	s_or_b32 exec_lo, exec_lo, s9
                                        ; implicit-def: $vgpr8
                                        ; implicit-def: $vgpr9
.LBB181_37:
	s_and_not1_saveexec_b32 s0, s1
	s_cbranch_execz .LBB181_39
; %bb.38:
	v_div_scale_f32 v3, null, v8, v8, v9
	v_div_scale_f32 v10, vcc_lo, v9, v8, v9
	s_delay_alu instid0(VALU_DEP_2) | instskip(SKIP_2) | instid1(VALU_DEP_1)
	v_rcp_f32_e32 v6, v3
	s_waitcnt_depctr 0xfff
	v_fma_f32 v7, -v3, v6, 1.0
	v_fmac_f32_e32 v6, v7, v6
	s_delay_alu instid0(VALU_DEP_1) | instskip(NEXT) | instid1(VALU_DEP_1)
	v_mul_f32_e32 v7, v10, v6
	v_fma_f32 v11, -v3, v7, v10
	s_delay_alu instid0(VALU_DEP_1) | instskip(NEXT) | instid1(VALU_DEP_1)
	v_fmac_f32_e32 v7, v11, v6
	v_fma_f32 v3, -v3, v7, v10
	s_delay_alu instid0(VALU_DEP_1) | instskip(NEXT) | instid1(VALU_DEP_1)
	v_div_fmas_f32 v3, v3, v6, v7
	v_div_fixup_f32 v3, v3, v8, v9
	s_delay_alu instid0(VALU_DEP_1) | instskip(NEXT) | instid1(VALU_DEP_1)
	v_fmac_f32_e32 v8, v9, v3
	v_div_scale_f32 v6, null, v8, v8, 1.0
	v_div_scale_f32 v10, vcc_lo, 1.0, v8, 1.0
	s_delay_alu instid0(VALU_DEP_2) | instskip(SKIP_2) | instid1(VALU_DEP_1)
	v_rcp_f32_e32 v7, v6
	s_waitcnt_depctr 0xfff
	v_fma_f32 v9, -v6, v7, 1.0
	v_fmac_f32_e32 v7, v9, v7
	s_delay_alu instid0(VALU_DEP_1) | instskip(NEXT) | instid1(VALU_DEP_1)
	v_mul_f32_e32 v9, v10, v7
	v_fma_f32 v11, -v6, v9, v10
	s_delay_alu instid0(VALU_DEP_1) | instskip(NEXT) | instid1(VALU_DEP_1)
	v_fmac_f32_e32 v9, v11, v7
	v_fma_f32 v6, -v6, v9, v10
	s_delay_alu instid0(VALU_DEP_1) | instskip(SKIP_2) | instid1(VALU_DEP_3)
	v_div_fmas_f32 v6, v6, v7, v9
	v_add_f32_e32 v7, 0, v3
	v_fma_f32 v3, v3, 0, -1.0
	v_div_fixup_f32 v8, v6, v8, 1.0
	s_delay_alu instid0(VALU_DEP_1) | instskip(NEXT) | instid1(VALU_DEP_3)
	v_mul_f32_e32 v6, v7, v8
	v_mul_f32_e32 v7, v3, v8
.LBB181_39:
	s_or_b32 exec_lo, exec_lo, s0
	v_lshrrev_b32_e32 v3, 16, v4
	v_cmp_neq_f16_e32 vcc_lo, 0, v4
	v_mov_b32_e32 v9, 0
	s_delay_alu instid0(VALU_DEP_3) | instskip(SKIP_1) | instid1(VALU_DEP_2)
	v_cmp_neq_f16_e64 s0, 0, v3
	v_cvt_f32_f16_e32 v8, v3
	s_or_b32 s0, vcc_lo, s0
	s_delay_alu instid0(SALU_CYCLE_1)
	s_and_saveexec_b32 s9, s0
	s_cbranch_execz .LBB181_69
; %bb.40:
	v_mov_b32_e32 v9, 0x7f800000
	s_mov_b32 s11, exec_lo
	v_cmpx_neq_f32_e64 0x7f800000, |v8|
	s_cbranch_execz .LBB181_68
; %bb.41:
	v_cvt_f32_f16_e32 v9, v4
	s_mov_b32 s0, exec_lo
	v_cmpx_o_f16_e32 v4, v4
	s_xor_b32 s12, exec_lo, s0
	s_cbranch_execz .LBB181_65
; %bb.42:
	s_mov_b32 s1, exec_lo
	v_cmpx_neq_f32_e64 0x7f800000, |v9|
	s_xor_b32 s13, exec_lo, s1
	s_cbranch_execz .LBB181_58
; %bb.43:
	v_max_f32_e64 v3, |v8|, |v8|
	v_max_f32_e64 v4, |v9|, |v9|
                                        ; implicit-def: $sgpr14
	s_delay_alu instid0(VALU_DEP_1) | instskip(NEXT) | instid1(VALU_DEP_1)
	v_max_f32_e32 v3, v4, v3
	v_cmp_nle_f32_e64 s0, 0x7ed413cb, v3
	s_delay_alu instid0(VALU_DEP_1) | instskip(NEXT) | instid1(SALU_CYCLE_1)
	s_and_saveexec_b32 s1, s0
	s_xor_b32 s1, exec_lo, s1
	s_cbranch_execz .LBB181_47
; %bb.44:
	v_cmp_ge_f32_e64 s14, 0x1000000, |v9|
	v_cmp_ge_f32_e64 s15, 0x1000000, |v8|
	s_delay_alu instid0(VALU_DEP_1)
	s_and_b32 s16, s14, s15
	s_mov_b32 s14, 0
	s_and_saveexec_b32 s15, s16
; %bb.45:
	v_dual_mul_f32 v9, 4.0, v9 :: v_dual_mul_f32 v8, 4.0, v8
	s_mov_b32 s14, exec_lo
; %bb.46:
	s_or_b32 exec_lo, exec_lo, s15
	s_delay_alu instid0(SALU_CYCLE_1)
	s_and_b32 s14, s14, exec_lo
.LBB181_47:
	s_and_not1_saveexec_b32 s1, s1
; %bb.48:
	v_dual_mul_f32 v9, 0x3e800000, v9 :: v_dual_mul_f32 v8, 0x3e800000, v8
	s_and_not1_b32 s14, s14, exec_lo
; %bb.49:
	s_or_b32 exec_lo, exec_lo, s1
	s_delay_alu instid0(VALU_DEP_1) | instskip(NEXT) | instid1(VALU_DEP_2)
	v_max_f32_e64 v3, |v8|, |v8|
	v_max_f32_e64 v4, |v9|, |v9|
	s_delay_alu instid0(VALU_DEP_1) | instskip(NEXT) | instid1(VALU_DEP_1)
	v_max_f32_e32 v10, v4, v3
	v_cvt_f64_f32_e32 v[3:4], v10
	v_cmp_neq_f32_e64 s1, 0x7f800000, v10
	s_delay_alu instid0(VALU_DEP_2) | instskip(NEXT) | instid1(VALU_DEP_1)
	v_frexp_exp_i32_f64_e32 v3, v[3:4]
	v_sub_nc_u32_e32 v4, 0, v3
	s_delay_alu instid0(VALU_DEP_1) | instskip(SKIP_1) | instid1(VALU_DEP_2)
	v_ldexp_f32 v11, |v8|, v4
	v_ldexp_f32 v4, |v9|, v4
	v_mul_f32_e32 v11, v11, v11
	s_delay_alu instid0(VALU_DEP_1) | instskip(NEXT) | instid1(VALU_DEP_1)
	v_fmac_f32_e32 v11, v4, v4
	v_sqrt_f32_e32 v4, v11
	s_waitcnt_depctr 0xfff
	v_ldexp_f32 v3, v4, v3
                                        ; implicit-def: $vgpr4
	s_delay_alu instid0(VALU_DEP_1)
	v_cndmask_b32_e64 v10, 0x7f800000, v3, s1
                                        ; implicit-def: $vgpr3
	s_mov_b32 s1, exec_lo
	v_cmpx_le_f32_e32 0, v9
	s_xor_b32 s15, exec_lo, s1
	s_cbranch_execz .LBB181_51
; %bb.50:
	v_add_f32_e32 v3, v9, v10
	s_delay_alu instid0(VALU_DEP_1) | instskip(NEXT) | instid1(VALU_DEP_1)
	v_mul_f32_e32 v3, 0.5, v3
	v_mul_f32_e32 v4, 0x4f800000, v3
	v_cmp_gt_f32_e32 vcc_lo, 0xf800000, v3
	s_delay_alu instid0(VALU_DEP_2) | instskip(NEXT) | instid1(VALU_DEP_1)
	v_cndmask_b32_e32 v3, v3, v4, vcc_lo
	v_sqrt_f32_e32 v4, v3
	s_waitcnt_depctr 0xfff
	v_add_nc_u32_e32 v9, -1, v4
	v_add_nc_u32_e32 v10, 1, v4
	s_delay_alu instid0(VALU_DEP_2) | instskip(NEXT) | instid1(VALU_DEP_2)
	v_fma_f32 v11, -v9, v4, v3
	v_fma_f32 v12, -v10, v4, v3
	s_delay_alu instid0(VALU_DEP_2) | instskip(NEXT) | instid1(VALU_DEP_1)
	v_cmp_ge_f32_e64 s1, 0, v11
	v_cndmask_b32_e64 v4, v4, v9, s1
	s_delay_alu instid0(VALU_DEP_3) | instskip(NEXT) | instid1(VALU_DEP_1)
	v_cmp_lt_f32_e64 s1, 0, v12
	v_cndmask_b32_e64 v4, v4, v10, s1
	s_delay_alu instid0(VALU_DEP_1) | instskip(NEXT) | instid1(VALU_DEP_1)
	v_mul_f32_e32 v9, 0x37800000, v4
	v_cndmask_b32_e32 v4, v4, v9, vcc_lo
	v_cmp_class_f32_e64 vcc_lo, v3, 0x260
	s_delay_alu instid0(VALU_DEP_2) | instskip(NEXT) | instid1(VALU_DEP_1)
	v_cndmask_b32_e32 v3, v4, v3, vcc_lo
	v_add_f32_e32 v4, v3, v3
	s_delay_alu instid0(VALU_DEP_1) | instskip(NEXT) | instid1(VALU_DEP_1)
	v_div_scale_f32 v9, null, v4, v4, v8
	v_rcp_f32_e32 v10, v9
	s_waitcnt_depctr 0xfff
	v_fma_f32 v11, -v9, v10, 1.0
	s_delay_alu instid0(VALU_DEP_1) | instskip(SKIP_1) | instid1(VALU_DEP_1)
	v_fmac_f32_e32 v10, v11, v10
	v_div_scale_f32 v11, vcc_lo, v8, v4, v8
	v_mul_f32_e32 v12, v11, v10
	s_delay_alu instid0(VALU_DEP_1) | instskip(NEXT) | instid1(VALU_DEP_1)
	v_fma_f32 v13, -v9, v12, v11
	v_fmac_f32_e32 v12, v13, v10
	s_delay_alu instid0(VALU_DEP_1) | instskip(NEXT) | instid1(VALU_DEP_1)
	v_fma_f32 v9, -v9, v12, v11
	v_div_fmas_f32 v9, v9, v10, v12
                                        ; implicit-def: $vgpr10
	s_delay_alu instid0(VALU_DEP_1)
	v_div_fixup_f32 v4, v9, v4, v8
                                        ; implicit-def: $vgpr9
                                        ; implicit-def: $vgpr8
	s_and_not1_saveexec_b32 s15, s15
	s_cbranch_execz .LBB181_53
	s_branch .LBB181_52
.LBB181_51:
	s_and_not1_saveexec_b32 s15, s15
	s_cbranch_execz .LBB181_53
.LBB181_52:
	v_sub_f32_e32 v3, v10, v9
	s_delay_alu instid0(VALU_DEP_1) | instskip(NEXT) | instid1(VALU_DEP_1)
	v_mul_f32_e32 v3, 0.5, v3
	v_mul_f32_e32 v4, 0x4f800000, v3
	v_cmp_gt_f32_e32 vcc_lo, 0xf800000, v3
	s_delay_alu instid0(VALU_DEP_2) | instskip(NEXT) | instid1(VALU_DEP_1)
	v_cndmask_b32_e32 v3, v3, v4, vcc_lo
	v_sqrt_f32_e32 v4, v3
	s_waitcnt_depctr 0xfff
	v_add_nc_u32_e32 v9, -1, v4
	v_add_nc_u32_e32 v10, 1, v4
	s_delay_alu instid0(VALU_DEP_2) | instskip(NEXT) | instid1(VALU_DEP_2)
	v_fma_f32 v11, -v9, v4, v3
	v_fma_f32 v12, -v10, v4, v3
	s_delay_alu instid0(VALU_DEP_2) | instskip(NEXT) | instid1(VALU_DEP_1)
	v_cmp_ge_f32_e64 s1, 0, v11
	v_cndmask_b32_e64 v4, v4, v9, s1
	s_delay_alu instid0(VALU_DEP_3) | instskip(NEXT) | instid1(VALU_DEP_1)
	v_cmp_lt_f32_e64 s1, 0, v12
	v_cndmask_b32_e64 v4, v4, v10, s1
	s_delay_alu instid0(VALU_DEP_1) | instskip(NEXT) | instid1(VALU_DEP_1)
	v_mul_f32_e32 v9, 0x37800000, v4
	v_cndmask_b32_e32 v4, v4, v9, vcc_lo
	v_cmp_class_f32_e64 vcc_lo, v3, 0x260
	s_delay_alu instid0(VALU_DEP_2) | instskip(NEXT) | instid1(VALU_DEP_1)
	v_dual_cndmask_b32 v4, v4, v3 :: v_dual_and_b32 v3, 0x7fffffff, v8
	v_add_f32_e32 v9, v4, v4
	v_bfi_b32 v4, 0x7fffffff, v4, v8
	s_delay_alu instid0(VALU_DEP_2) | instskip(SKIP_1) | instid1(VALU_DEP_2)
	v_div_scale_f32 v10, null, v9, v9, v3
	v_div_scale_f32 v3, vcc_lo, v3, v9, v3
	v_rcp_f32_e32 v11, v10
	s_waitcnt_depctr 0xfff
	v_fma_f32 v12, -v10, v11, 1.0
	s_delay_alu instid0(VALU_DEP_1) | instskip(NEXT) | instid1(VALU_DEP_1)
	v_fmac_f32_e32 v11, v12, v11
	v_mul_f32_e32 v12, v3, v11
	s_delay_alu instid0(VALU_DEP_1) | instskip(NEXT) | instid1(VALU_DEP_1)
	v_fma_f32 v13, -v10, v12, v3
	v_fmac_f32_e32 v12, v13, v11
	s_delay_alu instid0(VALU_DEP_1) | instskip(NEXT) | instid1(VALU_DEP_1)
	v_fma_f32 v3, -v10, v12, v3
	v_div_fmas_f32 v3, v3, v11, v12
	s_delay_alu instid0(VALU_DEP_1)
	v_div_fixup_f32 v3, v3, v9, |v8|
.LBB181_53:
	s_or_b32 exec_lo, exec_lo, s15
                                        ; implicit-def: $vgpr8
                                        ; implicit-def: $vgpr9
	s_and_saveexec_b32 s1, s0
	s_delay_alu instid0(SALU_CYCLE_1)
	s_xor_b32 s0, exec_lo, s1
	s_cbranch_execz .LBB181_55
; %bb.54:
	v_mul_f32_e32 v8, 0.5, v3
	v_mul_f32_e32 v10, 0.5, v4
	s_delay_alu instid0(VALU_DEP_2) | instskip(NEXT) | instid1(VALU_DEP_2)
	v_cndmask_b32_e64 v9, v3, v8, s14
	v_cndmask_b32_e64 v8, v4, v10, s14
                                        ; implicit-def: $vgpr3
                                        ; implicit-def: $vgpr4
	s_and_not1_saveexec_b32 s0, s0
	s_cbranch_execnz .LBB181_56
	s_branch .LBB181_57
.LBB181_55:
	s_and_not1_saveexec_b32 s0, s0
.LBB181_56:
	v_dual_add_f32 v9, v3, v3 :: v_dual_add_f32 v8, v4, v4
.LBB181_57:
	s_or_b32 exec_lo, exec_lo, s0
                                        ; implicit-def: $vgpr3_vgpr4
.LBB181_58:
	s_and_not1_saveexec_b32 s0, s13
	s_cbranch_execz .LBB181_64
; %bb.59:
	s_delay_alu instid0(VALU_DEP_1)
	v_sub_f32_e32 v3, v8, v8
	s_mov_b32 s1, exec_lo
	v_cmpx_lt_i16_e32 -1, v4
	s_xor_b32 s1, exec_lo, s1
; %bb.60:
	s_delay_alu instid0(VALU_DEP_2)
	v_bfi_b32 v8, 0x7fffffff, v3, v8
                                        ; implicit-def: $vgpr3
; %bb.61:
	s_and_not1_saveexec_b32 s1, s1
; %bb.62:
	v_and_b32_e32 v3, 0x7fffffff, v3
	s_delay_alu instid0(VALU_DEP_2) | instskip(NEXT) | instid1(VALU_DEP_2)
	v_bfi_b32 v8, 0x7fffffff, v9, v8
	v_mov_b32_e32 v9, v3
; %bb.63:
	s_or_b32 exec_lo, exec_lo, s1
.LBB181_64:
	s_delay_alu instid0(SALU_CYCLE_1)
	s_or_b32 exec_lo, exec_lo, s0
.LBB181_65:
	s_and_not1_saveexec_b32 s0, s12
; %bb.66:
	v_sub_f32_e32 v3, v8, v8
	s_delay_alu instid0(VALU_DEP_1) | instskip(NEXT) | instid1(VALU_DEP_1)
	v_div_scale_f32 v4, vcc_lo, v3, v3, v3
	v_rcp_f32_e32 v8, v4
	s_waitcnt_depctr 0xfff
	v_fma_f32 v10, -v4, v8, 1.0
	s_delay_alu instid0(VALU_DEP_1) | instskip(NEXT) | instid1(VALU_DEP_1)
	v_fmac_f32_e32 v8, v10, v8
	v_mul_f32_e32 v10, v4, v8
	s_delay_alu instid0(VALU_DEP_1) | instskip(NEXT) | instid1(VALU_DEP_1)
	v_fma_f32 v11, -v4, v10, v4
	v_fmac_f32_e32 v10, v11, v8
	s_delay_alu instid0(VALU_DEP_1) | instskip(NEXT) | instid1(VALU_DEP_1)
	v_fma_f32 v4, -v4, v10, v4
	v_div_fmas_f32 v4, v4, v8, v10
	s_delay_alu instid0(VALU_DEP_1)
	v_div_fixup_f32 v8, v4, v3, v3
; %bb.67:
	s_or_b32 exec_lo, exec_lo, s0
.LBB181_68:
	s_delay_alu instid0(SALU_CYCLE_1)
	s_or_b32 exec_lo, exec_lo, s11
.LBB181_69:
	s_delay_alu instid0(SALU_CYCLE_1)
	s_or_b32 exec_lo, exec_lo, s9
	v_cmp_gt_f32_e32 vcc_lo, 0, v9
                                        ; implicit-def: $vgpr4
                                        ; implicit-def: $vgpr3
	s_mov_b32 s0, exec_lo
	v_cndmask_b32_e64 v10, v9, -v9, vcc_lo
	v_cmp_gt_f32_e32 vcc_lo, 0, v8
	v_cndmask_b32_e64 v11, v8, -v8, vcc_lo
	s_delay_alu instid0(VALU_DEP_1)
	v_cmpx_ge_f32_e32 v10, v11
	s_xor_b32 s1, exec_lo, s0
	s_cbranch_execz .LBB181_75
; %bb.70:
	v_cmp_neq_f32_e32 vcc_lo, 0, v9
	v_cmp_neq_f32_e64 s0, 0, v8
                                        ; implicit-def: $vgpr4
                                        ; implicit-def: $vgpr3
	s_delay_alu instid0(VALU_DEP_1) | instskip(NEXT) | instid1(SALU_CYCLE_1)
	s_or_b32 s0, vcc_lo, s0
	s_and_saveexec_b32 s9, s0
	s_delay_alu instid0(SALU_CYCLE_1)
	s_xor_b32 s0, exec_lo, s9
	s_cbranch_execz .LBB181_72
; %bb.71:
	v_div_scale_f32 v3, null, v9, v9, v8
	v_div_scale_f32 v11, vcc_lo, v8, v9, v8
	s_delay_alu instid0(VALU_DEP_2) | instskip(SKIP_2) | instid1(VALU_DEP_1)
	v_rcp_f32_e32 v4, v3
	s_waitcnt_depctr 0xfff
	v_fma_f32 v10, -v3, v4, 1.0
	v_fmac_f32_e32 v4, v10, v4
	s_delay_alu instid0(VALU_DEP_1) | instskip(NEXT) | instid1(VALU_DEP_1)
	v_mul_f32_e32 v10, v11, v4
	v_fma_f32 v12, -v3, v10, v11
	s_delay_alu instid0(VALU_DEP_1) | instskip(NEXT) | instid1(VALU_DEP_1)
	v_fmac_f32_e32 v10, v12, v4
	v_fma_f32 v3, -v3, v10, v11
	s_delay_alu instid0(VALU_DEP_1) | instskip(NEXT) | instid1(VALU_DEP_1)
	v_div_fmas_f32 v3, v3, v4, v10
	v_div_fixup_f32 v4, v3, v9, v8
	s_delay_alu instid0(VALU_DEP_1) | instskip(NEXT) | instid1(VALU_DEP_1)
	v_fmac_f32_e32 v9, v8, v4
	v_div_scale_f32 v3, null, v9, v9, 1.0
	v_div_scale_f32 v11, vcc_lo, 1.0, v9, 1.0
	s_delay_alu instid0(VALU_DEP_2) | instskip(SKIP_2) | instid1(VALU_DEP_1)
	v_rcp_f32_e32 v8, v3
	s_waitcnt_depctr 0xfff
	v_fma_f32 v10, -v3, v8, 1.0
	v_fmac_f32_e32 v8, v10, v8
	s_delay_alu instid0(VALU_DEP_1) | instskip(NEXT) | instid1(VALU_DEP_1)
	v_mul_f32_e32 v10, v11, v8
	v_fma_f32 v12, -v3, v10, v11
	s_delay_alu instid0(VALU_DEP_1) | instskip(NEXT) | instid1(VALU_DEP_1)
	v_fmac_f32_e32 v10, v12, v8
	v_fma_f32 v3, -v3, v10, v11
                                        ; implicit-def: $vgpr11
	s_delay_alu instid0(VALU_DEP_1) | instskip(SKIP_1) | instid1(VALU_DEP_2)
	v_div_fmas_f32 v3, v3, v8, v10
	v_fma_f32 v8, v4, 0, 1.0
                                        ; implicit-def: $vgpr10
	v_div_fixup_f32 v9, v3, v9, 1.0
	s_delay_alu instid0(VALU_DEP_1)
	v_mul_f32_e32 v3, v8, v9
	v_mul_f32_e64 v4, -v4, v9
.LBB181_72:
	s_and_not1_saveexec_b32 s9, s0
	s_cbranch_execz .LBB181_74
; %bb.73:
	v_div_scale_f32 v3, null, v10, v10, 1.0
	v_div_scale_f32 v4, null, v11, v11, 0
	v_div_scale_f32 v14, vcc_lo, 1.0, v10, 1.0
	s_delay_alu instid0(VALU_DEP_3) | instskip(NEXT) | instid1(VALU_DEP_2)
	v_rcp_f32_e32 v8, v3
	v_rcp_f32_e32 v9, v4
	s_waitcnt_depctr 0xfff
	v_fma_f32 v12, -v3, v8, 1.0
	v_fma_f32 v13, -v4, v9, 1.0
	s_delay_alu instid0(VALU_DEP_1) | instskip(SKIP_1) | instid1(VALU_DEP_2)
	v_dual_fmac_f32 v8, v12, v8 :: v_dual_fmac_f32 v9, v13, v9
	v_div_scale_f32 v12, s0, 0, v11, 0
	v_mul_f32_e32 v13, v14, v8
	s_delay_alu instid0(VALU_DEP_2) | instskip(NEXT) | instid1(VALU_DEP_2)
	v_mul_f32_e32 v15, v12, v9
	v_fma_f32 v16, -v3, v13, v14
	s_delay_alu instid0(VALU_DEP_2) | instskip(NEXT) | instid1(VALU_DEP_2)
	v_fma_f32 v17, -v4, v15, v12
	v_fmac_f32_e32 v13, v16, v8
	s_delay_alu instid0(VALU_DEP_2) | instskip(NEXT) | instid1(VALU_DEP_2)
	v_fmac_f32_e32 v15, v17, v9
	v_fma_f32 v3, -v3, v13, v14
	s_delay_alu instid0(VALU_DEP_2) | instskip(NEXT) | instid1(VALU_DEP_2)
	v_fma_f32 v4, -v4, v15, v12
	v_div_fmas_f32 v3, v3, v8, v13
	s_mov_b32 vcc_lo, s0
	s_delay_alu instid0(VALU_DEP_2) | instskip(NEXT) | instid1(VALU_DEP_2)
	v_div_fmas_f32 v4, v4, v9, v15
	v_div_fixup_f32 v3, v3, v10, 1.0
	s_delay_alu instid0(VALU_DEP_2)
	v_div_fixup_f32 v4, v4, v11, 0
.LBB181_74:
	s_or_b32 exec_lo, exec_lo, s9
                                        ; implicit-def: $vgpr8
                                        ; implicit-def: $vgpr9
.LBB181_75:
	s_and_not1_saveexec_b32 s0, s1
	s_cbranch_execz .LBB181_77
; %bb.76:
	v_div_scale_f32 v3, null, v8, v8, v9
	v_div_scale_f32 v11, vcc_lo, v9, v8, v9
	s_delay_alu instid0(VALU_DEP_2) | instskip(SKIP_2) | instid1(VALU_DEP_1)
	v_rcp_f32_e32 v4, v3
	s_waitcnt_depctr 0xfff
	v_fma_f32 v10, -v3, v4, 1.0
	v_fmac_f32_e32 v4, v10, v4
	s_delay_alu instid0(VALU_DEP_1) | instskip(NEXT) | instid1(VALU_DEP_1)
	v_mul_f32_e32 v10, v11, v4
	v_fma_f32 v12, -v3, v10, v11
	s_delay_alu instid0(VALU_DEP_1) | instskip(NEXT) | instid1(VALU_DEP_1)
	v_fmac_f32_e32 v10, v12, v4
	v_fma_f32 v3, -v3, v10, v11
	s_delay_alu instid0(VALU_DEP_1) | instskip(NEXT) | instid1(VALU_DEP_1)
	v_div_fmas_f32 v3, v3, v4, v10
	v_div_fixup_f32 v3, v3, v8, v9
	s_delay_alu instid0(VALU_DEP_1) | instskip(NEXT) | instid1(VALU_DEP_1)
	v_fmac_f32_e32 v8, v9, v3
	v_div_scale_f32 v4, null, v8, v8, 1.0
	s_delay_alu instid0(VALU_DEP_1) | instskip(SKIP_2) | instid1(VALU_DEP_1)
	v_rcp_f32_e32 v9, v4
	s_waitcnt_depctr 0xfff
	v_fma_f32 v10, -v4, v9, 1.0
	v_fmac_f32_e32 v9, v10, v9
	v_div_scale_f32 v11, vcc_lo, 1.0, v8, 1.0
	s_delay_alu instid0(VALU_DEP_1) | instskip(NEXT) | instid1(VALU_DEP_1)
	v_mul_f32_e32 v10, v11, v9
	v_fma_f32 v12, -v4, v10, v11
	s_delay_alu instid0(VALU_DEP_1) | instskip(NEXT) | instid1(VALU_DEP_1)
	v_fmac_f32_e32 v10, v12, v9
	v_fma_f32 v4, -v4, v10, v11
	s_delay_alu instid0(VALU_DEP_1) | instskip(SKIP_1) | instid1(VALU_DEP_2)
	v_div_fmas_f32 v4, v4, v9, v10
	v_add_f32_e32 v9, 0, v3
	v_div_fixup_f32 v4, v4, v8, 1.0
	v_fma_f32 v8, v3, 0, -1.0
	s_delay_alu instid0(VALU_DEP_2) | instskip(NEXT) | instid1(VALU_DEP_2)
	v_mul_f32_e32 v3, v9, v4
	v_mul_f32_e32 v4, v8, v4
.LBB181_77:
	s_or_b32 exec_lo, exec_lo, s0
	s_waitcnt vmcnt(0)
	v_lshrrev_b32_e32 v8, 16, v1
	v_cmp_neq_f16_e32 vcc_lo, 0, v1
	v_mov_b32_e32 v11, 0
	s_delay_alu instid0(VALU_DEP_3) | instskip(SKIP_1) | instid1(VALU_DEP_2)
	v_cmp_neq_f16_e64 s0, 0, v8
	v_cvt_f32_f16_e32 v10, v8
	s_or_b32 s0, vcc_lo, s0
	s_delay_alu instid0(SALU_CYCLE_1)
	s_and_saveexec_b32 s9, s0
	s_cbranch_execz .LBB181_107
; %bb.78:
	v_mov_b32_e32 v11, 0x7f800000
	s_mov_b32 s11, exec_lo
	v_cmpx_neq_f32_e64 0x7f800000, |v10|
	s_cbranch_execz .LBB181_106
; %bb.79:
	v_cvt_f32_f16_e32 v11, v1
	s_mov_b32 s0, exec_lo
	v_cmpx_o_f16_e32 v1, v1
	s_xor_b32 s12, exec_lo, s0
	s_cbranch_execz .LBB181_103
; %bb.80:
	s_mov_b32 s1, exec_lo
	v_cmpx_neq_f32_e64 0x7f800000, |v11|
	s_xor_b32 s13, exec_lo, s1
	s_cbranch_execz .LBB181_96
; %bb.81:
	v_max_f32_e64 v8, |v10|, |v10|
	v_max_f32_e64 v9, |v11|, |v11|
                                        ; implicit-def: $sgpr14
	s_delay_alu instid0(VALU_DEP_1) | instskip(NEXT) | instid1(VALU_DEP_1)
	v_max_f32_e32 v8, v9, v8
	v_cmp_nle_f32_e64 s0, 0x7ed413cb, v8
	s_delay_alu instid0(VALU_DEP_1) | instskip(NEXT) | instid1(SALU_CYCLE_1)
	s_and_saveexec_b32 s1, s0
	s_xor_b32 s1, exec_lo, s1
	s_cbranch_execz .LBB181_85
; %bb.82:
	v_cmp_ge_f32_e64 s14, 0x1000000, |v11|
	v_cmp_ge_f32_e64 s15, 0x1000000, |v10|
	s_delay_alu instid0(VALU_DEP_1)
	s_and_b32 s16, s14, s15
	s_mov_b32 s14, 0
	s_and_saveexec_b32 s15, s16
; %bb.83:
	v_dual_mul_f32 v11, 4.0, v11 :: v_dual_mul_f32 v10, 4.0, v10
	s_mov_b32 s14, exec_lo
; %bb.84:
	s_or_b32 exec_lo, exec_lo, s15
	s_delay_alu instid0(SALU_CYCLE_1)
	s_and_b32 s14, s14, exec_lo
.LBB181_85:
	s_and_not1_saveexec_b32 s1, s1
; %bb.86:
	v_dual_mul_f32 v11, 0x3e800000, v11 :: v_dual_mul_f32 v10, 0x3e800000, v10
	s_and_not1_b32 s14, s14, exec_lo
; %bb.87:
	s_or_b32 exec_lo, exec_lo, s1
	s_delay_alu instid0(VALU_DEP_1) | instskip(NEXT) | instid1(VALU_DEP_2)
	v_max_f32_e64 v8, |v10|, |v10|
	v_max_f32_e64 v9, |v11|, |v11|
	s_delay_alu instid0(VALU_DEP_1) | instskip(NEXT) | instid1(VALU_DEP_1)
	v_max_f32_e32 v12, v9, v8
	v_cvt_f64_f32_e32 v[8:9], v12
	v_cmp_neq_f32_e64 s1, 0x7f800000, v12
	s_delay_alu instid0(VALU_DEP_2) | instskip(NEXT) | instid1(VALU_DEP_1)
	v_frexp_exp_i32_f64_e32 v8, v[8:9]
	v_sub_nc_u32_e32 v9, 0, v8
	s_delay_alu instid0(VALU_DEP_1) | instskip(SKIP_1) | instid1(VALU_DEP_2)
	v_ldexp_f32 v13, |v10|, v9
	v_ldexp_f32 v9, |v11|, v9
	v_mul_f32_e32 v13, v13, v13
	s_delay_alu instid0(VALU_DEP_1) | instskip(NEXT) | instid1(VALU_DEP_1)
	v_fmac_f32_e32 v13, v9, v9
	v_sqrt_f32_e32 v9, v13
	s_waitcnt_depctr 0xfff
	v_ldexp_f32 v8, v9, v8
                                        ; implicit-def: $vgpr9
	s_delay_alu instid0(VALU_DEP_1)
	v_cndmask_b32_e64 v12, 0x7f800000, v8, s1
                                        ; implicit-def: $vgpr8
	s_mov_b32 s1, exec_lo
	v_cmpx_le_f32_e32 0, v11
	s_xor_b32 s15, exec_lo, s1
	s_cbranch_execz .LBB181_89
; %bb.88:
	v_add_f32_e32 v8, v11, v12
	s_delay_alu instid0(VALU_DEP_1) | instskip(NEXT) | instid1(VALU_DEP_1)
	v_mul_f32_e32 v8, 0.5, v8
	v_mul_f32_e32 v9, 0x4f800000, v8
	v_cmp_gt_f32_e32 vcc_lo, 0xf800000, v8
	s_delay_alu instid0(VALU_DEP_2) | instskip(NEXT) | instid1(VALU_DEP_1)
	v_cndmask_b32_e32 v8, v8, v9, vcc_lo
	v_sqrt_f32_e32 v9, v8
	s_waitcnt_depctr 0xfff
	v_add_nc_u32_e32 v11, -1, v9
	v_add_nc_u32_e32 v12, 1, v9
	s_delay_alu instid0(VALU_DEP_2) | instskip(NEXT) | instid1(VALU_DEP_2)
	v_fma_f32 v13, -v11, v9, v8
	v_fma_f32 v14, -v12, v9, v8
	s_delay_alu instid0(VALU_DEP_2) | instskip(NEXT) | instid1(VALU_DEP_1)
	v_cmp_ge_f32_e64 s1, 0, v13
	v_cndmask_b32_e64 v9, v9, v11, s1
	s_delay_alu instid0(VALU_DEP_3) | instskip(NEXT) | instid1(VALU_DEP_1)
	v_cmp_lt_f32_e64 s1, 0, v14
	v_cndmask_b32_e64 v9, v9, v12, s1
	s_delay_alu instid0(VALU_DEP_1) | instskip(NEXT) | instid1(VALU_DEP_1)
	v_mul_f32_e32 v11, 0x37800000, v9
	v_cndmask_b32_e32 v9, v9, v11, vcc_lo
	v_cmp_class_f32_e64 vcc_lo, v8, 0x260
	s_delay_alu instid0(VALU_DEP_2) | instskip(NEXT) | instid1(VALU_DEP_1)
	v_cndmask_b32_e32 v8, v9, v8, vcc_lo
	v_add_f32_e32 v9, v8, v8
	s_delay_alu instid0(VALU_DEP_1) | instskip(NEXT) | instid1(VALU_DEP_1)
	v_div_scale_f32 v11, null, v9, v9, v10
	v_rcp_f32_e32 v12, v11
	s_waitcnt_depctr 0xfff
	v_fma_f32 v13, -v11, v12, 1.0
	s_delay_alu instid0(VALU_DEP_1) | instskip(SKIP_1) | instid1(VALU_DEP_1)
	v_fmac_f32_e32 v12, v13, v12
	v_div_scale_f32 v13, vcc_lo, v10, v9, v10
	v_mul_f32_e32 v14, v13, v12
	s_delay_alu instid0(VALU_DEP_1) | instskip(NEXT) | instid1(VALU_DEP_1)
	v_fma_f32 v15, -v11, v14, v13
	v_fmac_f32_e32 v14, v15, v12
	s_delay_alu instid0(VALU_DEP_1) | instskip(NEXT) | instid1(VALU_DEP_1)
	v_fma_f32 v11, -v11, v14, v13
	v_div_fmas_f32 v11, v11, v12, v14
                                        ; implicit-def: $vgpr12
	s_delay_alu instid0(VALU_DEP_1)
	v_div_fixup_f32 v9, v11, v9, v10
                                        ; implicit-def: $vgpr11
                                        ; implicit-def: $vgpr10
	s_and_not1_saveexec_b32 s15, s15
	s_cbranch_execz .LBB181_91
	s_branch .LBB181_90
.LBB181_89:
	s_and_not1_saveexec_b32 s15, s15
	s_cbranch_execz .LBB181_91
.LBB181_90:
	v_sub_f32_e32 v8, v12, v11
	s_delay_alu instid0(VALU_DEP_1) | instskip(NEXT) | instid1(VALU_DEP_1)
	v_mul_f32_e32 v8, 0.5, v8
	v_mul_f32_e32 v9, 0x4f800000, v8
	v_cmp_gt_f32_e32 vcc_lo, 0xf800000, v8
	s_delay_alu instid0(VALU_DEP_2) | instskip(NEXT) | instid1(VALU_DEP_1)
	v_cndmask_b32_e32 v8, v8, v9, vcc_lo
	v_sqrt_f32_e32 v9, v8
	s_waitcnt_depctr 0xfff
	v_add_nc_u32_e32 v11, -1, v9
	v_add_nc_u32_e32 v12, 1, v9
	s_delay_alu instid0(VALU_DEP_2) | instskip(NEXT) | instid1(VALU_DEP_2)
	v_fma_f32 v13, -v11, v9, v8
	v_fma_f32 v14, -v12, v9, v8
	s_delay_alu instid0(VALU_DEP_2) | instskip(NEXT) | instid1(VALU_DEP_1)
	v_cmp_ge_f32_e64 s1, 0, v13
	v_cndmask_b32_e64 v9, v9, v11, s1
	s_delay_alu instid0(VALU_DEP_3) | instskip(NEXT) | instid1(VALU_DEP_1)
	v_cmp_lt_f32_e64 s1, 0, v14
	v_cndmask_b32_e64 v9, v9, v12, s1
	s_delay_alu instid0(VALU_DEP_1) | instskip(NEXT) | instid1(VALU_DEP_1)
	v_mul_f32_e32 v11, 0x37800000, v9
	v_cndmask_b32_e32 v9, v9, v11, vcc_lo
	v_cmp_class_f32_e64 vcc_lo, v8, 0x260
	s_delay_alu instid0(VALU_DEP_2) | instskip(NEXT) | instid1(VALU_DEP_1)
	v_dual_cndmask_b32 v9, v9, v8 :: v_dual_and_b32 v8, 0x7fffffff, v10
	v_add_f32_e32 v11, v9, v9
	v_bfi_b32 v9, 0x7fffffff, v9, v10
	s_delay_alu instid0(VALU_DEP_2) | instskip(SKIP_1) | instid1(VALU_DEP_2)
	v_div_scale_f32 v12, null, v11, v11, v8
	v_div_scale_f32 v8, vcc_lo, v8, v11, v8
	v_rcp_f32_e32 v13, v12
	s_waitcnt_depctr 0xfff
	v_fma_f32 v14, -v12, v13, 1.0
	s_delay_alu instid0(VALU_DEP_1) | instskip(NEXT) | instid1(VALU_DEP_1)
	v_fmac_f32_e32 v13, v14, v13
	v_mul_f32_e32 v14, v8, v13
	s_delay_alu instid0(VALU_DEP_1) | instskip(NEXT) | instid1(VALU_DEP_1)
	v_fma_f32 v15, -v12, v14, v8
	v_fmac_f32_e32 v14, v15, v13
	s_delay_alu instid0(VALU_DEP_1) | instskip(NEXT) | instid1(VALU_DEP_1)
	v_fma_f32 v8, -v12, v14, v8
	v_div_fmas_f32 v8, v8, v13, v14
	s_delay_alu instid0(VALU_DEP_1)
	v_div_fixup_f32 v8, v8, v11, |v10|
.LBB181_91:
	s_or_b32 exec_lo, exec_lo, s15
                                        ; implicit-def: $vgpr10
                                        ; implicit-def: $vgpr11
	s_and_saveexec_b32 s1, s0
	s_delay_alu instid0(SALU_CYCLE_1)
	s_xor_b32 s0, exec_lo, s1
	s_cbranch_execz .LBB181_93
; %bb.92:
	v_mul_f32_e32 v10, 0.5, v8
	v_mul_f32_e32 v12, 0.5, v9
	s_delay_alu instid0(VALU_DEP_2) | instskip(NEXT) | instid1(VALU_DEP_2)
	v_cndmask_b32_e64 v11, v8, v10, s14
	v_cndmask_b32_e64 v10, v9, v12, s14
                                        ; implicit-def: $vgpr8
                                        ; implicit-def: $vgpr9
	s_and_not1_saveexec_b32 s0, s0
	s_cbranch_execnz .LBB181_94
	s_branch .LBB181_95
.LBB181_93:
	s_and_not1_saveexec_b32 s0, s0
.LBB181_94:
	v_dual_add_f32 v11, v8, v8 :: v_dual_add_f32 v10, v9, v9
.LBB181_95:
	s_or_b32 exec_lo, exec_lo, s0
.LBB181_96:
	s_and_not1_saveexec_b32 s0, s13
	s_cbranch_execz .LBB181_102
; %bb.97:
	v_cmp_lt_i16_e32 vcc_lo, -1, v1
	v_sub_f32_e32 v1, v10, v10
	s_and_saveexec_b32 s1, vcc_lo
	s_delay_alu instid0(SALU_CYCLE_1)
	s_xor_b32 s1, exec_lo, s1
; %bb.98:
	s_delay_alu instid0(VALU_DEP_1)
	v_bfi_b32 v10, 0x7fffffff, v1, v10
                                        ; implicit-def: $vgpr1
; %bb.99:
	s_and_not1_saveexec_b32 s1, s1
; %bb.100:
	v_and_b32_e32 v1, 0x7fffffff, v1
	s_delay_alu instid0(VALU_DEP_2) | instskip(NEXT) | instid1(VALU_DEP_2)
	v_bfi_b32 v10, 0x7fffffff, v11, v10
	v_mov_b32_e32 v11, v1
; %bb.101:
	s_or_b32 exec_lo, exec_lo, s1
.LBB181_102:
	s_delay_alu instid0(SALU_CYCLE_1)
	s_or_b32 exec_lo, exec_lo, s0
.LBB181_103:
	s_and_not1_saveexec_b32 s0, s12
; %bb.104:
	v_sub_f32_e32 v1, v10, v10
	s_delay_alu instid0(VALU_DEP_1) | instskip(NEXT) | instid1(VALU_DEP_1)
	v_div_scale_f32 v8, vcc_lo, v1, v1, v1
	v_rcp_f32_e32 v9, v8
	s_waitcnt_depctr 0xfff
	v_fma_f32 v10, -v8, v9, 1.0
	s_delay_alu instid0(VALU_DEP_1) | instskip(NEXT) | instid1(VALU_DEP_1)
	v_fmac_f32_e32 v9, v10, v9
	v_mul_f32_e32 v10, v8, v9
	s_delay_alu instid0(VALU_DEP_1) | instskip(NEXT) | instid1(VALU_DEP_1)
	v_fma_f32 v12, -v8, v10, v8
	v_fmac_f32_e32 v10, v12, v9
	s_delay_alu instid0(VALU_DEP_1) | instskip(NEXT) | instid1(VALU_DEP_1)
	v_fma_f32 v8, -v8, v10, v8
	v_div_fmas_f32 v8, v8, v9, v10
	s_delay_alu instid0(VALU_DEP_1)
	v_div_fixup_f32 v10, v8, v1, v1
; %bb.105:
	s_or_b32 exec_lo, exec_lo, s0
.LBB181_106:
	s_delay_alu instid0(SALU_CYCLE_1)
	s_or_b32 exec_lo, exec_lo, s11
.LBB181_107:
	s_delay_alu instid0(SALU_CYCLE_1)
	s_or_b32 exec_lo, exec_lo, s9
	v_cmp_gt_f32_e32 vcc_lo, 0, v11
                                        ; implicit-def: $vgpr9
                                        ; implicit-def: $vgpr8
	s_mov_b32 s0, exec_lo
	v_cndmask_b32_e64 v1, v11, -v11, vcc_lo
	v_cmp_gt_f32_e32 vcc_lo, 0, v10
	v_cndmask_b32_e64 v12, v10, -v10, vcc_lo
	s_delay_alu instid0(VALU_DEP_1)
	v_cmpx_ge_f32_e32 v1, v12
	s_xor_b32 s1, exec_lo, s0
	s_cbranch_execz .LBB181_113
; %bb.108:
	v_cmp_neq_f32_e32 vcc_lo, 0, v11
	v_cmp_neq_f32_e64 s0, 0, v10
                                        ; implicit-def: $vgpr9
                                        ; implicit-def: $vgpr8
	s_delay_alu instid0(VALU_DEP_1) | instskip(NEXT) | instid1(SALU_CYCLE_1)
	s_or_b32 s0, vcc_lo, s0
	s_and_saveexec_b32 s9, s0
	s_delay_alu instid0(SALU_CYCLE_1)
	s_xor_b32 s0, exec_lo, s9
	s_cbranch_execz .LBB181_110
; %bb.109:
	v_div_scale_f32 v1, null, v11, v11, v10
	v_div_scale_f32 v12, vcc_lo, v10, v11, v10
	s_delay_alu instid0(VALU_DEP_2) | instskip(SKIP_2) | instid1(VALU_DEP_1)
	v_rcp_f32_e32 v8, v1
	s_waitcnt_depctr 0xfff
	v_fma_f32 v9, -v1, v8, 1.0
	v_fmac_f32_e32 v8, v9, v8
	s_delay_alu instid0(VALU_DEP_1) | instskip(NEXT) | instid1(VALU_DEP_1)
	v_mul_f32_e32 v9, v12, v8
	v_fma_f32 v13, -v1, v9, v12
	s_delay_alu instid0(VALU_DEP_1) | instskip(NEXT) | instid1(VALU_DEP_1)
	v_fmac_f32_e32 v9, v13, v8
	v_fma_f32 v1, -v1, v9, v12
	s_delay_alu instid0(VALU_DEP_1) | instskip(NEXT) | instid1(VALU_DEP_1)
	v_div_fmas_f32 v1, v1, v8, v9
	v_div_fixup_f32 v1, v1, v11, v10
	s_delay_alu instid0(VALU_DEP_1) | instskip(NEXT) | instid1(VALU_DEP_1)
	v_fmac_f32_e32 v11, v10, v1
	v_div_scale_f32 v8, null, v11, v11, 1.0
	v_div_scale_f32 v12, vcc_lo, 1.0, v11, 1.0
	s_delay_alu instid0(VALU_DEP_2) | instskip(SKIP_2) | instid1(VALU_DEP_1)
	v_rcp_f32_e32 v9, v8
	s_waitcnt_depctr 0xfff
	v_fma_f32 v10, -v8, v9, 1.0
	v_fmac_f32_e32 v9, v10, v9
	s_delay_alu instid0(VALU_DEP_1) | instskip(NEXT) | instid1(VALU_DEP_1)
	v_mul_f32_e32 v10, v12, v9
	v_fma_f32 v13, -v8, v10, v12
	s_delay_alu instid0(VALU_DEP_1) | instskip(NEXT) | instid1(VALU_DEP_1)
	v_fmac_f32_e32 v10, v13, v9
	v_fma_f32 v8, -v8, v10, v12
                                        ; implicit-def: $vgpr12
	s_delay_alu instid0(VALU_DEP_1) | instskip(SKIP_1) | instid1(VALU_DEP_2)
	v_div_fmas_f32 v8, v8, v9, v10
	v_fma_f32 v9, v1, 0, 1.0
	v_div_fixup_f32 v10, v8, v11, 1.0
	s_delay_alu instid0(VALU_DEP_1)
	v_mul_f32_e32 v8, v9, v10
	v_mul_f32_e64 v9, -v1, v10
                                        ; implicit-def: $vgpr1
.LBB181_110:
	s_and_not1_saveexec_b32 s9, s0
	s_cbranch_execz .LBB181_112
; %bb.111:
	v_div_scale_f32 v8, null, v1, v1, 1.0
	v_div_scale_f32 v9, null, v12, v12, 0
	v_div_scale_f32 v15, vcc_lo, 1.0, v1, 1.0
	s_delay_alu instid0(VALU_DEP_3) | instskip(NEXT) | instid1(VALU_DEP_2)
	v_rcp_f32_e32 v10, v8
	v_rcp_f32_e32 v11, v9
	s_waitcnt_depctr 0xfff
	v_fma_f32 v13, -v8, v10, 1.0
	v_fma_f32 v14, -v9, v11, 1.0
	s_delay_alu instid0(VALU_DEP_1) | instskip(SKIP_1) | instid1(VALU_DEP_2)
	v_dual_fmac_f32 v10, v13, v10 :: v_dual_fmac_f32 v11, v14, v11
	v_div_scale_f32 v13, s0, 0, v12, 0
	v_mul_f32_e32 v14, v15, v10
	s_delay_alu instid0(VALU_DEP_2) | instskip(NEXT) | instid1(VALU_DEP_2)
	v_mul_f32_e32 v16, v13, v11
	v_fma_f32 v17, -v8, v14, v15
	s_delay_alu instid0(VALU_DEP_2) | instskip(NEXT) | instid1(VALU_DEP_2)
	v_fma_f32 v18, -v9, v16, v13
	v_fmac_f32_e32 v14, v17, v10
	s_delay_alu instid0(VALU_DEP_2) | instskip(NEXT) | instid1(VALU_DEP_2)
	v_fmac_f32_e32 v16, v18, v11
	v_fma_f32 v8, -v8, v14, v15
	s_delay_alu instid0(VALU_DEP_2) | instskip(NEXT) | instid1(VALU_DEP_2)
	v_fma_f32 v9, -v9, v16, v13
	v_div_fmas_f32 v8, v8, v10, v14
	s_mov_b32 vcc_lo, s0
	s_delay_alu instid0(VALU_DEP_2) | instskip(NEXT) | instid1(VALU_DEP_2)
	v_div_fmas_f32 v9, v9, v11, v16
	v_div_fixup_f32 v8, v8, v1, 1.0
	s_delay_alu instid0(VALU_DEP_2)
	v_div_fixup_f32 v9, v9, v12, 0
.LBB181_112:
	s_or_b32 exec_lo, exec_lo, s9
                                        ; implicit-def: $vgpr10
                                        ; implicit-def: $vgpr11
.LBB181_113:
	s_and_not1_saveexec_b32 s0, s1
	s_cbranch_execz .LBB181_115
; %bb.114:
	v_div_scale_f32 v1, null, v10, v10, v11
	v_div_scale_f32 v12, vcc_lo, v11, v10, v11
	s_delay_alu instid0(VALU_DEP_2) | instskip(SKIP_2) | instid1(VALU_DEP_1)
	v_rcp_f32_e32 v8, v1
	s_waitcnt_depctr 0xfff
	v_fma_f32 v9, -v1, v8, 1.0
	v_fmac_f32_e32 v8, v9, v8
	s_delay_alu instid0(VALU_DEP_1) | instskip(NEXT) | instid1(VALU_DEP_1)
	v_mul_f32_e32 v9, v12, v8
	v_fma_f32 v13, -v1, v9, v12
	s_delay_alu instid0(VALU_DEP_1) | instskip(NEXT) | instid1(VALU_DEP_1)
	v_fmac_f32_e32 v9, v13, v8
	v_fma_f32 v1, -v1, v9, v12
	s_delay_alu instid0(VALU_DEP_1) | instskip(NEXT) | instid1(VALU_DEP_1)
	v_div_fmas_f32 v1, v1, v8, v9
	v_div_fixup_f32 v1, v1, v10, v11
	s_delay_alu instid0(VALU_DEP_1) | instskip(NEXT) | instid1(VALU_DEP_1)
	v_fmac_f32_e32 v10, v11, v1
	v_div_scale_f32 v8, null, v10, v10, 1.0
	v_div_scale_f32 v12, vcc_lo, 1.0, v10, 1.0
	s_delay_alu instid0(VALU_DEP_2) | instskip(SKIP_2) | instid1(VALU_DEP_1)
	v_rcp_f32_e32 v9, v8
	s_waitcnt_depctr 0xfff
	v_fma_f32 v11, -v8, v9, 1.0
	v_fmac_f32_e32 v9, v11, v9
	s_delay_alu instid0(VALU_DEP_1) | instskip(NEXT) | instid1(VALU_DEP_1)
	v_mul_f32_e32 v11, v12, v9
	v_fma_f32 v13, -v8, v11, v12
	s_delay_alu instid0(VALU_DEP_1) | instskip(NEXT) | instid1(VALU_DEP_1)
	v_fmac_f32_e32 v11, v13, v9
	v_fma_f32 v8, -v8, v11, v12
	s_delay_alu instid0(VALU_DEP_1) | instskip(SKIP_2) | instid1(VALU_DEP_3)
	v_div_fmas_f32 v8, v8, v9, v11
	v_add_f32_e32 v9, 0, v1
	v_fma_f32 v1, v1, 0, -1.0
	v_div_fixup_f32 v10, v8, v10, 1.0
	s_delay_alu instid0(VALU_DEP_1) | instskip(NEXT) | instid1(VALU_DEP_3)
	v_mul_f32_e32 v8, v9, v10
	v_mul_f32_e32 v9, v1, v10
.LBB181_115:
	s_or_b32 exec_lo, exec_lo, s0
	v_lshrrev_b32_e32 v1, 16, v2
	v_cmp_neq_f16_e32 vcc_lo, 0, v2
	v_mov_b32_e32 v11, 0
	s_delay_alu instid0(VALU_DEP_3) | instskip(SKIP_1) | instid1(VALU_DEP_2)
	v_cmp_neq_f16_e64 s0, 0, v1
	v_cvt_f32_f16_e32 v10, v1
	s_or_b32 s0, vcc_lo, s0
	s_delay_alu instid0(SALU_CYCLE_1)
	s_and_saveexec_b32 s9, s0
	s_cbranch_execz .LBB181_145
; %bb.116:
	v_mov_b32_e32 v11, 0x7f800000
	s_mov_b32 s11, exec_lo
	v_cmpx_neq_f32_e64 0x7f800000, |v10|
	s_cbranch_execz .LBB181_144
; %bb.117:
	v_cvt_f32_f16_e32 v11, v2
	s_mov_b32 s0, exec_lo
	v_cmpx_o_f16_e32 v2, v2
	s_xor_b32 s12, exec_lo, s0
	s_cbranch_execz .LBB181_141
; %bb.118:
	s_mov_b32 s1, exec_lo
	v_cmpx_neq_f32_e64 0x7f800000, |v11|
	s_xor_b32 s13, exec_lo, s1
	s_cbranch_execz .LBB181_134
; %bb.119:
	v_max_f32_e64 v1, |v10|, |v10|
	v_max_f32_e64 v2, |v11|, |v11|
                                        ; implicit-def: $sgpr14
	s_delay_alu instid0(VALU_DEP_1) | instskip(NEXT) | instid1(VALU_DEP_1)
	v_max_f32_e32 v1, v2, v1
	v_cmp_nle_f32_e64 s0, 0x7ed413cb, v1
	s_delay_alu instid0(VALU_DEP_1) | instskip(NEXT) | instid1(SALU_CYCLE_1)
	s_and_saveexec_b32 s1, s0
	s_xor_b32 s1, exec_lo, s1
	s_cbranch_execz .LBB181_123
; %bb.120:
	v_cmp_ge_f32_e64 s14, 0x1000000, |v11|
	v_cmp_ge_f32_e64 s15, 0x1000000, |v10|
	s_delay_alu instid0(VALU_DEP_1)
	s_and_b32 s16, s14, s15
	s_mov_b32 s14, 0
	s_and_saveexec_b32 s15, s16
; %bb.121:
	v_dual_mul_f32 v11, 4.0, v11 :: v_dual_mul_f32 v10, 4.0, v10
	s_mov_b32 s14, exec_lo
; %bb.122:
	s_or_b32 exec_lo, exec_lo, s15
	s_delay_alu instid0(SALU_CYCLE_1)
	s_and_b32 s14, s14, exec_lo
.LBB181_123:
	s_and_not1_saveexec_b32 s1, s1
; %bb.124:
	v_dual_mul_f32 v11, 0x3e800000, v11 :: v_dual_mul_f32 v10, 0x3e800000, v10
	s_and_not1_b32 s14, s14, exec_lo
; %bb.125:
	s_or_b32 exec_lo, exec_lo, s1
	s_delay_alu instid0(VALU_DEP_1) | instskip(NEXT) | instid1(VALU_DEP_2)
	v_max_f32_e64 v1, |v10|, |v10|
	v_max_f32_e64 v2, |v11|, |v11|
	s_delay_alu instid0(VALU_DEP_1) | instskip(NEXT) | instid1(VALU_DEP_1)
	v_max_f32_e32 v12, v2, v1
	v_cvt_f64_f32_e32 v[1:2], v12
	v_cmp_neq_f32_e64 s1, 0x7f800000, v12
	s_delay_alu instid0(VALU_DEP_2) | instskip(NEXT) | instid1(VALU_DEP_1)
	v_frexp_exp_i32_f64_e32 v1, v[1:2]
	v_sub_nc_u32_e32 v2, 0, v1
	s_delay_alu instid0(VALU_DEP_1) | instskip(SKIP_1) | instid1(VALU_DEP_2)
	v_ldexp_f32 v13, |v10|, v2
	v_ldexp_f32 v2, |v11|, v2
	v_mul_f32_e32 v13, v13, v13
	s_delay_alu instid0(VALU_DEP_1) | instskip(NEXT) | instid1(VALU_DEP_1)
	v_fmac_f32_e32 v13, v2, v2
	v_sqrt_f32_e32 v2, v13
	s_waitcnt_depctr 0xfff
	v_ldexp_f32 v1, v2, v1
                                        ; implicit-def: $vgpr2
	s_delay_alu instid0(VALU_DEP_1)
	v_cndmask_b32_e64 v12, 0x7f800000, v1, s1
                                        ; implicit-def: $vgpr1
	s_mov_b32 s1, exec_lo
	v_cmpx_le_f32_e32 0, v11
	s_xor_b32 s15, exec_lo, s1
	s_cbranch_execz .LBB181_127
; %bb.126:
	v_add_f32_e32 v1, v11, v12
	s_delay_alu instid0(VALU_DEP_1) | instskip(NEXT) | instid1(VALU_DEP_1)
	v_mul_f32_e32 v1, 0.5, v1
	v_mul_f32_e32 v2, 0x4f800000, v1
	v_cmp_gt_f32_e32 vcc_lo, 0xf800000, v1
	s_delay_alu instid0(VALU_DEP_2) | instskip(NEXT) | instid1(VALU_DEP_1)
	v_cndmask_b32_e32 v1, v1, v2, vcc_lo
	v_sqrt_f32_e32 v2, v1
	s_waitcnt_depctr 0xfff
	v_add_nc_u32_e32 v11, -1, v2
	v_add_nc_u32_e32 v12, 1, v2
	s_delay_alu instid0(VALU_DEP_2) | instskip(NEXT) | instid1(VALU_DEP_2)
	v_fma_f32 v13, -v11, v2, v1
	v_fma_f32 v14, -v12, v2, v1
	s_delay_alu instid0(VALU_DEP_2) | instskip(NEXT) | instid1(VALU_DEP_1)
	v_cmp_ge_f32_e64 s1, 0, v13
	v_cndmask_b32_e64 v2, v2, v11, s1
	s_delay_alu instid0(VALU_DEP_3) | instskip(NEXT) | instid1(VALU_DEP_1)
	v_cmp_lt_f32_e64 s1, 0, v14
	v_cndmask_b32_e64 v2, v2, v12, s1
	s_delay_alu instid0(VALU_DEP_1) | instskip(NEXT) | instid1(VALU_DEP_1)
	v_mul_f32_e32 v11, 0x37800000, v2
	v_cndmask_b32_e32 v2, v2, v11, vcc_lo
	v_cmp_class_f32_e64 vcc_lo, v1, 0x260
	s_delay_alu instid0(VALU_DEP_2) | instskip(NEXT) | instid1(VALU_DEP_1)
	v_cndmask_b32_e32 v1, v2, v1, vcc_lo
	v_add_f32_e32 v2, v1, v1
	s_delay_alu instid0(VALU_DEP_1) | instskip(NEXT) | instid1(VALU_DEP_1)
	v_div_scale_f32 v11, null, v2, v2, v10
	v_rcp_f32_e32 v12, v11
	s_waitcnt_depctr 0xfff
	v_fma_f32 v13, -v11, v12, 1.0
	s_delay_alu instid0(VALU_DEP_1) | instskip(SKIP_1) | instid1(VALU_DEP_1)
	v_fmac_f32_e32 v12, v13, v12
	v_div_scale_f32 v13, vcc_lo, v10, v2, v10
	v_mul_f32_e32 v14, v13, v12
	s_delay_alu instid0(VALU_DEP_1) | instskip(NEXT) | instid1(VALU_DEP_1)
	v_fma_f32 v15, -v11, v14, v13
	v_fmac_f32_e32 v14, v15, v12
	s_delay_alu instid0(VALU_DEP_1) | instskip(NEXT) | instid1(VALU_DEP_1)
	v_fma_f32 v11, -v11, v14, v13
	v_div_fmas_f32 v11, v11, v12, v14
                                        ; implicit-def: $vgpr12
	s_delay_alu instid0(VALU_DEP_1)
	v_div_fixup_f32 v2, v11, v2, v10
                                        ; implicit-def: $vgpr11
                                        ; implicit-def: $vgpr10
	s_and_not1_saveexec_b32 s15, s15
	s_cbranch_execz .LBB181_129
	s_branch .LBB181_128
.LBB181_127:
	s_and_not1_saveexec_b32 s15, s15
	s_cbranch_execz .LBB181_129
.LBB181_128:
	v_sub_f32_e32 v1, v12, v11
	s_delay_alu instid0(VALU_DEP_1) | instskip(NEXT) | instid1(VALU_DEP_1)
	v_mul_f32_e32 v1, 0.5, v1
	v_mul_f32_e32 v2, 0x4f800000, v1
	v_cmp_gt_f32_e32 vcc_lo, 0xf800000, v1
	s_delay_alu instid0(VALU_DEP_2) | instskip(NEXT) | instid1(VALU_DEP_1)
	v_cndmask_b32_e32 v1, v1, v2, vcc_lo
	v_sqrt_f32_e32 v2, v1
	s_waitcnt_depctr 0xfff
	v_add_nc_u32_e32 v11, -1, v2
	v_add_nc_u32_e32 v12, 1, v2
	s_delay_alu instid0(VALU_DEP_2) | instskip(NEXT) | instid1(VALU_DEP_2)
	v_fma_f32 v13, -v11, v2, v1
	v_fma_f32 v14, -v12, v2, v1
	s_delay_alu instid0(VALU_DEP_2) | instskip(NEXT) | instid1(VALU_DEP_1)
	v_cmp_ge_f32_e64 s1, 0, v13
	v_cndmask_b32_e64 v2, v2, v11, s1
	s_delay_alu instid0(VALU_DEP_3) | instskip(NEXT) | instid1(VALU_DEP_1)
	v_cmp_lt_f32_e64 s1, 0, v14
	v_cndmask_b32_e64 v2, v2, v12, s1
	s_delay_alu instid0(VALU_DEP_1) | instskip(NEXT) | instid1(VALU_DEP_1)
	v_mul_f32_e32 v11, 0x37800000, v2
	v_cndmask_b32_e32 v2, v2, v11, vcc_lo
	v_cmp_class_f32_e64 vcc_lo, v1, 0x260
	s_delay_alu instid0(VALU_DEP_2) | instskip(NEXT) | instid1(VALU_DEP_1)
	v_dual_cndmask_b32 v2, v2, v1 :: v_dual_and_b32 v1, 0x7fffffff, v10
	v_add_f32_e32 v11, v2, v2
	v_bfi_b32 v2, 0x7fffffff, v2, v10
	s_delay_alu instid0(VALU_DEP_2) | instskip(SKIP_1) | instid1(VALU_DEP_2)
	v_div_scale_f32 v12, null, v11, v11, v1
	v_div_scale_f32 v1, vcc_lo, v1, v11, v1
	v_rcp_f32_e32 v13, v12
	s_waitcnt_depctr 0xfff
	v_fma_f32 v14, -v12, v13, 1.0
	s_delay_alu instid0(VALU_DEP_1) | instskip(NEXT) | instid1(VALU_DEP_1)
	v_fmac_f32_e32 v13, v14, v13
	v_mul_f32_e32 v14, v1, v13
	s_delay_alu instid0(VALU_DEP_1) | instskip(NEXT) | instid1(VALU_DEP_1)
	v_fma_f32 v15, -v12, v14, v1
	v_fmac_f32_e32 v14, v15, v13
	s_delay_alu instid0(VALU_DEP_1) | instskip(NEXT) | instid1(VALU_DEP_1)
	v_fma_f32 v1, -v12, v14, v1
	v_div_fmas_f32 v1, v1, v13, v14
	s_delay_alu instid0(VALU_DEP_1)
	v_div_fixup_f32 v1, v1, v11, |v10|
.LBB181_129:
	s_or_b32 exec_lo, exec_lo, s15
                                        ; implicit-def: $vgpr10
                                        ; implicit-def: $vgpr11
	s_and_saveexec_b32 s1, s0
	s_delay_alu instid0(SALU_CYCLE_1)
	s_xor_b32 s0, exec_lo, s1
	s_cbranch_execz .LBB181_131
; %bb.130:
	v_mul_f32_e32 v10, 0.5, v1
	v_mul_f32_e32 v12, 0.5, v2
	s_delay_alu instid0(VALU_DEP_2) | instskip(NEXT) | instid1(VALU_DEP_2)
	v_cndmask_b32_e64 v11, v1, v10, s14
	v_cndmask_b32_e64 v10, v2, v12, s14
                                        ; implicit-def: $vgpr1
                                        ; implicit-def: $vgpr2
	s_and_not1_saveexec_b32 s0, s0
	s_cbranch_execnz .LBB181_132
	s_branch .LBB181_133
.LBB181_131:
	s_and_not1_saveexec_b32 s0, s0
.LBB181_132:
	v_dual_add_f32 v11, v1, v1 :: v_dual_add_f32 v10, v2, v2
.LBB181_133:
	s_or_b32 exec_lo, exec_lo, s0
                                        ; implicit-def: $vgpr1_vgpr2
.LBB181_134:
	s_and_not1_saveexec_b32 s0, s13
	s_cbranch_execz .LBB181_140
; %bb.135:
	s_delay_alu instid0(VALU_DEP_1)
	v_sub_f32_e32 v1, v10, v10
	s_mov_b32 s1, exec_lo
	v_cmpx_lt_i16_e32 -1, v2
	s_xor_b32 s1, exec_lo, s1
; %bb.136:
	s_delay_alu instid0(VALU_DEP_2)
	v_bfi_b32 v10, 0x7fffffff, v1, v10
                                        ; implicit-def: $vgpr1
; %bb.137:
	s_and_not1_saveexec_b32 s1, s1
; %bb.138:
	v_and_b32_e32 v1, 0x7fffffff, v1
	s_delay_alu instid0(VALU_DEP_2) | instskip(NEXT) | instid1(VALU_DEP_2)
	v_bfi_b32 v10, 0x7fffffff, v11, v10
	v_mov_b32_e32 v11, v1
; %bb.139:
	s_or_b32 exec_lo, exec_lo, s1
.LBB181_140:
	s_delay_alu instid0(SALU_CYCLE_1)
	s_or_b32 exec_lo, exec_lo, s0
.LBB181_141:
	s_and_not1_saveexec_b32 s0, s12
; %bb.142:
	v_sub_f32_e32 v1, v10, v10
	s_delay_alu instid0(VALU_DEP_1) | instskip(NEXT) | instid1(VALU_DEP_1)
	v_div_scale_f32 v2, vcc_lo, v1, v1, v1
	v_rcp_f32_e32 v10, v2
	s_waitcnt_depctr 0xfff
	v_fma_f32 v12, -v2, v10, 1.0
	s_delay_alu instid0(VALU_DEP_1) | instskip(NEXT) | instid1(VALU_DEP_1)
	v_fmac_f32_e32 v10, v12, v10
	v_mul_f32_e32 v12, v2, v10
	s_delay_alu instid0(VALU_DEP_1) | instskip(NEXT) | instid1(VALU_DEP_1)
	v_fma_f32 v13, -v2, v12, v2
	v_fmac_f32_e32 v12, v13, v10
	s_delay_alu instid0(VALU_DEP_1) | instskip(NEXT) | instid1(VALU_DEP_1)
	v_fma_f32 v2, -v2, v12, v2
	v_div_fmas_f32 v2, v2, v10, v12
	s_delay_alu instid0(VALU_DEP_1)
	v_div_fixup_f32 v10, v2, v1, v1
; %bb.143:
	s_or_b32 exec_lo, exec_lo, s0
.LBB181_144:
	s_delay_alu instid0(SALU_CYCLE_1)
	s_or_b32 exec_lo, exec_lo, s11
.LBB181_145:
	s_delay_alu instid0(SALU_CYCLE_1)
	s_or_b32 exec_lo, exec_lo, s9
	v_cmp_gt_f32_e32 vcc_lo, 0, v11
                                        ; implicit-def: $vgpr2
                                        ; implicit-def: $vgpr1
	s_mov_b32 s0, exec_lo
	v_cndmask_b32_e64 v12, v11, -v11, vcc_lo
	v_cmp_gt_f32_e32 vcc_lo, 0, v10
	v_cndmask_b32_e64 v13, v10, -v10, vcc_lo
	s_delay_alu instid0(VALU_DEP_1)
	v_cmpx_ge_f32_e32 v12, v13
	s_xor_b32 s1, exec_lo, s0
	s_cbranch_execz .LBB181_151
; %bb.146:
	v_cmp_neq_f32_e32 vcc_lo, 0, v11
	v_cmp_neq_f32_e64 s0, 0, v10
                                        ; implicit-def: $vgpr2
                                        ; implicit-def: $vgpr1
	s_delay_alu instid0(VALU_DEP_1) | instskip(NEXT) | instid1(SALU_CYCLE_1)
	s_or_b32 s0, vcc_lo, s0
	s_and_saveexec_b32 s9, s0
	s_delay_alu instid0(SALU_CYCLE_1)
	s_xor_b32 s0, exec_lo, s9
	s_cbranch_execz .LBB181_148
; %bb.147:
	v_div_scale_f32 v1, null, v11, v11, v10
	v_div_scale_f32 v13, vcc_lo, v10, v11, v10
	s_delay_alu instid0(VALU_DEP_2) | instskip(SKIP_2) | instid1(VALU_DEP_1)
	v_rcp_f32_e32 v2, v1
	s_waitcnt_depctr 0xfff
	v_fma_f32 v12, -v1, v2, 1.0
	v_fmac_f32_e32 v2, v12, v2
	s_delay_alu instid0(VALU_DEP_1) | instskip(NEXT) | instid1(VALU_DEP_1)
	v_mul_f32_e32 v12, v13, v2
	v_fma_f32 v14, -v1, v12, v13
	s_delay_alu instid0(VALU_DEP_1) | instskip(NEXT) | instid1(VALU_DEP_1)
	v_fmac_f32_e32 v12, v14, v2
	v_fma_f32 v1, -v1, v12, v13
	s_delay_alu instid0(VALU_DEP_1) | instskip(NEXT) | instid1(VALU_DEP_1)
	v_div_fmas_f32 v1, v1, v2, v12
	v_div_fixup_f32 v2, v1, v11, v10
	s_delay_alu instid0(VALU_DEP_1) | instskip(NEXT) | instid1(VALU_DEP_1)
	v_fmac_f32_e32 v11, v10, v2
	v_div_scale_f32 v1, null, v11, v11, 1.0
	v_div_scale_f32 v13, vcc_lo, 1.0, v11, 1.0
	s_delay_alu instid0(VALU_DEP_2) | instskip(SKIP_2) | instid1(VALU_DEP_1)
	v_rcp_f32_e32 v10, v1
	s_waitcnt_depctr 0xfff
	v_fma_f32 v12, -v1, v10, 1.0
	v_fmac_f32_e32 v10, v12, v10
	s_delay_alu instid0(VALU_DEP_1) | instskip(NEXT) | instid1(VALU_DEP_1)
	v_mul_f32_e32 v12, v13, v10
	v_fma_f32 v14, -v1, v12, v13
	s_delay_alu instid0(VALU_DEP_1) | instskip(NEXT) | instid1(VALU_DEP_1)
	v_fmac_f32_e32 v12, v14, v10
	v_fma_f32 v1, -v1, v12, v13
                                        ; implicit-def: $vgpr13
	s_delay_alu instid0(VALU_DEP_1) | instskip(SKIP_1) | instid1(VALU_DEP_2)
	v_div_fmas_f32 v1, v1, v10, v12
	v_fma_f32 v10, v2, 0, 1.0
                                        ; implicit-def: $vgpr12
	v_div_fixup_f32 v11, v1, v11, 1.0
	s_delay_alu instid0(VALU_DEP_1)
	v_mul_f32_e32 v1, v10, v11
	v_mul_f32_e64 v2, -v2, v11
.LBB181_148:
	s_and_not1_saveexec_b32 s9, s0
	s_cbranch_execz .LBB181_150
; %bb.149:
	v_div_scale_f32 v1, null, v12, v12, 1.0
	v_div_scale_f32 v2, null, v13, v13, 0
	v_div_scale_f32 v16, vcc_lo, 1.0, v12, 1.0
	s_delay_alu instid0(VALU_DEP_3) | instskip(NEXT) | instid1(VALU_DEP_2)
	v_rcp_f32_e32 v10, v1
	v_rcp_f32_e32 v11, v2
	s_waitcnt_depctr 0xfff
	v_fma_f32 v14, -v1, v10, 1.0
	v_fma_f32 v15, -v2, v11, 1.0
	s_delay_alu instid0(VALU_DEP_1) | instskip(SKIP_1) | instid1(VALU_DEP_2)
	v_dual_fmac_f32 v10, v14, v10 :: v_dual_fmac_f32 v11, v15, v11
	v_div_scale_f32 v14, s0, 0, v13, 0
	v_mul_f32_e32 v15, v16, v10
	s_delay_alu instid0(VALU_DEP_2) | instskip(NEXT) | instid1(VALU_DEP_2)
	v_mul_f32_e32 v17, v14, v11
	v_fma_f32 v18, -v1, v15, v16
	s_delay_alu instid0(VALU_DEP_2) | instskip(NEXT) | instid1(VALU_DEP_2)
	v_fma_f32 v19, -v2, v17, v14
	v_fmac_f32_e32 v15, v18, v10
	s_delay_alu instid0(VALU_DEP_2) | instskip(NEXT) | instid1(VALU_DEP_2)
	v_fmac_f32_e32 v17, v19, v11
	v_fma_f32 v1, -v1, v15, v16
	s_delay_alu instid0(VALU_DEP_2) | instskip(NEXT) | instid1(VALU_DEP_2)
	v_fma_f32 v2, -v2, v17, v14
	v_div_fmas_f32 v1, v1, v10, v15
	s_mov_b32 vcc_lo, s0
	s_delay_alu instid0(VALU_DEP_2) | instskip(NEXT) | instid1(VALU_DEP_2)
	v_div_fmas_f32 v2, v2, v11, v17
	v_div_fixup_f32 v1, v1, v12, 1.0
	s_delay_alu instid0(VALU_DEP_2)
	v_div_fixup_f32 v2, v2, v13, 0
.LBB181_150:
	s_or_b32 exec_lo, exec_lo, s9
                                        ; implicit-def: $vgpr10
                                        ; implicit-def: $vgpr11
.LBB181_151:
	s_and_not1_saveexec_b32 s0, s1
	s_cbranch_execz .LBB181_153
; %bb.152:
	v_div_scale_f32 v1, null, v10, v10, v11
	v_div_scale_f32 v13, vcc_lo, v11, v10, v11
	s_delay_alu instid0(VALU_DEP_2) | instskip(SKIP_2) | instid1(VALU_DEP_1)
	v_rcp_f32_e32 v2, v1
	s_waitcnt_depctr 0xfff
	v_fma_f32 v12, -v1, v2, 1.0
	v_fmac_f32_e32 v2, v12, v2
	s_delay_alu instid0(VALU_DEP_1) | instskip(NEXT) | instid1(VALU_DEP_1)
	v_mul_f32_e32 v12, v13, v2
	v_fma_f32 v14, -v1, v12, v13
	s_delay_alu instid0(VALU_DEP_1) | instskip(NEXT) | instid1(VALU_DEP_1)
	v_fmac_f32_e32 v12, v14, v2
	v_fma_f32 v1, -v1, v12, v13
	s_delay_alu instid0(VALU_DEP_1) | instskip(NEXT) | instid1(VALU_DEP_1)
	v_div_fmas_f32 v1, v1, v2, v12
	v_div_fixup_f32 v1, v1, v10, v11
	s_delay_alu instid0(VALU_DEP_1) | instskip(NEXT) | instid1(VALU_DEP_1)
	v_fmac_f32_e32 v10, v11, v1
	v_div_scale_f32 v2, null, v10, v10, 1.0
	s_delay_alu instid0(VALU_DEP_1) | instskip(SKIP_2) | instid1(VALU_DEP_1)
	v_rcp_f32_e32 v11, v2
	s_waitcnt_depctr 0xfff
	v_fma_f32 v12, -v2, v11, 1.0
	v_fmac_f32_e32 v11, v12, v11
	v_div_scale_f32 v13, vcc_lo, 1.0, v10, 1.0
	s_delay_alu instid0(VALU_DEP_1) | instskip(NEXT) | instid1(VALU_DEP_1)
	v_mul_f32_e32 v12, v13, v11
	v_fma_f32 v14, -v2, v12, v13
	s_delay_alu instid0(VALU_DEP_1) | instskip(NEXT) | instid1(VALU_DEP_1)
	v_fmac_f32_e32 v12, v14, v11
	v_fma_f32 v2, -v2, v12, v13
	s_delay_alu instid0(VALU_DEP_1) | instskip(SKIP_1) | instid1(VALU_DEP_2)
	v_div_fmas_f32 v2, v2, v11, v12
	v_add_f32_e32 v11, 0, v1
	v_div_fixup_f32 v2, v2, v10, 1.0
	v_fma_f32 v10, v1, 0, -1.0
	s_delay_alu instid0(VALU_DEP_2) | instskip(NEXT) | instid1(VALU_DEP_2)
	v_mul_f32_e32 v1, v11, v2
	v_mul_f32_e32 v2, v10, v2
.LBB181_153:
	s_or_b32 exec_lo, exec_lo, s0
	v_cvt_f16_f32_e32 v7, v7
	v_cvt_f16_f32_e32 v6, v6
	v_cvt_f16_f32_e32 v9, v9
	v_cvt_f16_f32_e32 v8, v8
	v_cvt_f16_f32_e32 v4, v4
	v_lshlrev_b32_e32 v7, 16, v7
	v_and_b32_e32 v6, 0xffff, v6
	v_cvt_f16_f32_e32 v3, v3
	v_lshlrev_b32_e32 v9, 16, v9
	v_and_b32_e32 v8, 0xffff, v8
	v_cvt_f16_f32_e32 v2, v2
	v_cvt_f16_f32_e32 v1, v1
	v_or_b32_e32 v6, v7, v6
	v_lshlrev_b32_e32 v4, 16, v4
	v_and_b32_e32 v3, 0xffff, v3
	v_lshlrev_b32_e32 v7, 16, v2
	v_and_b32_e32 v10, 0xffff, v1
	v_or_b32_e32 v8, v9, v8
	v_or3_b32 v1, 0, 0, v6
	v_or3_b32 v2, v4, v3, 0
	s_add_u32 s2, s4, s2
	v_or3_b32 v4, v7, v10, 0
	v_or3_b32 v3, 0, 0, v8
	s_addc_u32 s3, s5, s3
	s_mov_b32 s0, 0
	s_clause 0x1
	global_store_b64 v5, v[1:2], s[2:3]
	global_store_b64 v5, v[3:4], s[2:3] offset:2048
.LBB181_154:
	s_and_b32 vcc_lo, exec_lo, s0
	s_cbranch_vccz .LBB181_331
; %bb.155:
	v_cmp_gt_i32_e64 s0, s10, v0
	v_dual_mov_b32 v7, 0 :: v_dual_mov_b32 v8, 0
	v_or_b32_e32 v1, s8, v0
	v_or_b32_e32 v3, 0x100, v0
	v_mov_b32_e32 v4, v0
	s_and_saveexec_b32 s1, s0
	s_cbranch_execz .LBB181_157
; %bb.156:
	v_mov_b32_e32 v2, 0
	s_delay_alu instid0(VALU_DEP_1) | instskip(NEXT) | instid1(VALU_DEP_1)
	v_lshlrev_b64 v[4:5], 2, v[1:2]
	v_add_co_u32 v4, vcc_lo, s6, v4
	s_delay_alu instid0(VALU_DEP_2)
	v_add_co_ci_u32_e32 v5, vcc_lo, s7, v5, vcc_lo
	global_load_b32 v8, v[4:5], off
	v_or_b32_e32 v4, 0x100, v0
.LBB181_157:
	s_or_b32 exec_lo, exec_lo, s1
	s_delay_alu instid0(SALU_CYCLE_1) | instskip(NEXT) | instid1(VALU_DEP_1)
	s_mov_b32 s1, exec_lo
	v_cmpx_gt_i32_e64 s10, v4
	s_cbranch_execz .LBB181_159
; %bb.158:
	v_dual_mov_b32 v6, 0 :: v_dual_add_nc_u32 v5, s8, v4
	v_add_nc_u32_e32 v4, 0x100, v4
	s_delay_alu instid0(VALU_DEP_2) | instskip(NEXT) | instid1(VALU_DEP_1)
	v_lshlrev_b64 v[5:6], 2, v[5:6]
	v_add_co_u32 v5, vcc_lo, s6, v5
	s_delay_alu instid0(VALU_DEP_2)
	v_add_co_ci_u32_e32 v6, vcc_lo, s7, v6, vcc_lo
	global_load_b32 v7, v[5:6], off
.LBB181_159:
	s_or_b32 exec_lo, exec_lo, s1
	v_dual_mov_b32 v2, 0 :: v_dual_mov_b32 v5, 0
	s_mov_b32 s1, exec_lo
	v_cmpx_gt_i32_e64 s10, v4
	s_cbranch_execz .LBB181_163
; %bb.160:
	v_dual_mov_b32 v6, 0 :: v_dual_add_nc_u32 v5, s8, v4
	v_add_nc_u32_e32 v4, 0x100, v4
	s_delay_alu instid0(VALU_DEP_2) | instskip(NEXT) | instid1(VALU_DEP_1)
	v_lshlrev_b64 v[5:6], 2, v[5:6]
	v_add_co_u32 v5, vcc_lo, s6, v5
	s_delay_alu instid0(VALU_DEP_2) | instskip(SKIP_2) | instid1(SALU_CYCLE_1)
	v_add_co_ci_u32_e32 v6, vcc_lo, s7, v6, vcc_lo
	global_load_b32 v5, v[5:6], off
	s_or_b32 exec_lo, exec_lo, s1
	s_mov_b32 s1, exec_lo
	v_cmpx_gt_i32_e64 s10, v4
	s_cbranch_execnz .LBB181_164
.LBB181_161:
	s_or_b32 exec_lo, exec_lo, s1
                                        ; implicit-def: $vgpr4
	s_and_saveexec_b32 s3, s0
	s_cbranch_execnz .LBB181_165
.LBB181_162:
	s_or_b32 exec_lo, exec_lo, s3
	s_delay_alu instid0(SALU_CYCLE_1)
	s_mov_b32 s3, exec_lo
                                        ; implicit-def: $vgpr6
	v_cmpx_gt_i32_e64 s10, v3
	s_cbranch_execz .LBB181_243
	s_branch .LBB181_204
.LBB181_163:
	s_or_b32 exec_lo, exec_lo, s1
	s_delay_alu instid0(SALU_CYCLE_1)
	s_mov_b32 s1, exec_lo
	v_cmpx_gt_i32_e64 s10, v4
	s_cbranch_execz .LBB181_161
.LBB181_164:
	v_dual_mov_b32 v10, 0 :: v_dual_add_nc_u32 v9, s8, v4
	s_delay_alu instid0(VALU_DEP_1) | instskip(NEXT) | instid1(VALU_DEP_1)
	v_lshlrev_b64 v[9:10], 2, v[9:10]
	v_add_co_u32 v9, vcc_lo, s6, v9
	s_delay_alu instid0(VALU_DEP_2)
	v_add_co_ci_u32_e32 v10, vcc_lo, s7, v10, vcc_lo
	global_load_b32 v2, v[9:10], off
	s_or_b32 exec_lo, exec_lo, s1
                                        ; implicit-def: $vgpr4
	s_and_saveexec_b32 s3, s0
	s_cbranch_execz .LBB181_162
.LBB181_165:
	s_waitcnt vmcnt(0)
	v_lshrrev_b32_e32 v4, 16, v8
	v_cmp_neq_f16_e32 vcc_lo, 0, v8
	v_mov_b32_e32 v6, 0
	s_delay_alu instid0(VALU_DEP_3) | instskip(SKIP_1) | instid1(VALU_DEP_2)
	v_cmp_neq_f16_e64 s1, 0, v4
	v_cvt_f32_f16_e32 v4, v4
	s_or_b32 s1, vcc_lo, s1
	s_delay_alu instid0(SALU_CYCLE_1)
	s_and_saveexec_b32 s6, s1
	s_cbranch_execz .LBB181_195
; %bb.166:
	v_mov_b32_e32 v6, 0x7f800000
	s_mov_b32 s7, exec_lo
	v_cmpx_neq_f32_e64 0x7f800000, |v4|
	s_cbranch_execz .LBB181_194
; %bb.167:
	v_cvt_f32_f16_e32 v6, v8
	s_mov_b32 s1, exec_lo
	v_cmpx_o_f16_e32 v8, v8
	s_xor_b32 s9, exec_lo, s1
	s_cbranch_execz .LBB181_191
; %bb.168:
	s_mov_b32 s2, exec_lo
	v_cmpx_neq_f32_e64 0x7f800000, |v6|
	s_xor_b32 s11, exec_lo, s2
	s_cbranch_execz .LBB181_184
; %bb.169:
	v_max_f32_e64 v8, |v4|, |v4|
	v_max_f32_e64 v9, |v6|, |v6|
                                        ; implicit-def: $sgpr12
	s_delay_alu instid0(VALU_DEP_1) | instskip(NEXT) | instid1(VALU_DEP_1)
	v_max_f32_e32 v8, v9, v8
	v_cmp_nle_f32_e64 s1, 0x7ed413cb, v8
	s_delay_alu instid0(VALU_DEP_1) | instskip(NEXT) | instid1(SALU_CYCLE_1)
	s_and_saveexec_b32 s2, s1
	s_xor_b32 s2, exec_lo, s2
	s_cbranch_execz .LBB181_173
; %bb.170:
	v_cmp_ge_f32_e64 s12, 0x1000000, |v6|
	v_cmp_ge_f32_e64 s13, 0x1000000, |v4|
	s_delay_alu instid0(VALU_DEP_1)
	s_and_b32 s14, s12, s13
	s_mov_b32 s12, 0
	s_and_saveexec_b32 s13, s14
; %bb.171:
	v_mul_f32_e32 v6, 4.0, v6
	v_mul_f32_e32 v4, 4.0, v4
	s_mov_b32 s12, exec_lo
; %bb.172:
	s_or_b32 exec_lo, exec_lo, s13
	s_delay_alu instid0(SALU_CYCLE_1)
	s_and_b32 s12, s12, exec_lo
.LBB181_173:
	s_and_not1_saveexec_b32 s2, s2
; %bb.174:
	v_mul_f32_e32 v6, 0x3e800000, v6
	v_mul_f32_e32 v4, 0x3e800000, v4
	s_and_not1_b32 s12, s12, exec_lo
; %bb.175:
	s_or_b32 exec_lo, exec_lo, s2
	s_delay_alu instid0(VALU_DEP_1) | instskip(SKIP_1) | instid1(VALU_DEP_1)
	v_max_f32_e64 v8, |v4|, |v4|
	v_max_f32_e64 v9, |v6|, |v6|
	v_max_f32_e32 v10, v9, v8
	s_delay_alu instid0(VALU_DEP_1) | instskip(NEXT) | instid1(VALU_DEP_1)
	v_cvt_f64_f32_e32 v[8:9], v10
	v_frexp_exp_i32_f64_e32 v8, v[8:9]
	s_delay_alu instid0(VALU_DEP_1) | instskip(NEXT) | instid1(VALU_DEP_1)
	v_sub_nc_u32_e32 v9, 0, v8
	v_ldexp_f32 v11, |v4|, v9
	v_ldexp_f32 v9, |v6|, v9
	s_delay_alu instid0(VALU_DEP_2) | instskip(SKIP_1) | instid1(VALU_DEP_2)
	v_mul_f32_e32 v11, v11, v11
	v_cmp_neq_f32_e64 s2, 0x7f800000, v10
	v_fmac_f32_e32 v11, v9, v9
	s_delay_alu instid0(VALU_DEP_1) | instskip(SKIP_2) | instid1(VALU_DEP_1)
	v_sqrt_f32_e32 v9, v11
	s_waitcnt_depctr 0xfff
	v_ldexp_f32 v8, v9, v8
                                        ; implicit-def: $vgpr9
	v_cndmask_b32_e64 v10, 0x7f800000, v8, s2
                                        ; implicit-def: $vgpr8
	s_mov_b32 s2, exec_lo
	v_cmpx_le_f32_e32 0, v6
	s_xor_b32 s13, exec_lo, s2
	s_cbranch_execz .LBB181_177
; %bb.176:
	v_add_f32_e32 v6, v6, v10
	s_delay_alu instid0(VALU_DEP_1) | instskip(NEXT) | instid1(VALU_DEP_1)
	v_mul_f32_e32 v6, 0.5, v6
	v_mul_f32_e32 v8, 0x4f800000, v6
	v_cmp_gt_f32_e32 vcc_lo, 0xf800000, v6
	s_delay_alu instid0(VALU_DEP_2) | instskip(NEXT) | instid1(VALU_DEP_1)
	v_cndmask_b32_e32 v6, v6, v8, vcc_lo
	v_sqrt_f32_e32 v8, v6
	s_waitcnt_depctr 0xfff
	v_add_nc_u32_e32 v9, -1, v8
	v_add_nc_u32_e32 v10, 1, v8
	s_delay_alu instid0(VALU_DEP_2) | instskip(NEXT) | instid1(VALU_DEP_2)
	v_fma_f32 v11, -v9, v8, v6
	v_fma_f32 v12, -v10, v8, v6
	s_delay_alu instid0(VALU_DEP_2) | instskip(NEXT) | instid1(VALU_DEP_1)
	v_cmp_ge_f32_e64 s2, 0, v11
	v_cndmask_b32_e64 v8, v8, v9, s2
	s_delay_alu instid0(VALU_DEP_3) | instskip(NEXT) | instid1(VALU_DEP_1)
	v_cmp_lt_f32_e64 s2, 0, v12
	v_cndmask_b32_e64 v8, v8, v10, s2
	s_delay_alu instid0(VALU_DEP_1) | instskip(NEXT) | instid1(VALU_DEP_1)
	v_mul_f32_e32 v9, 0x37800000, v8
	v_cndmask_b32_e32 v8, v8, v9, vcc_lo
	v_cmp_class_f32_e64 vcc_lo, v6, 0x260
	s_delay_alu instid0(VALU_DEP_2) | instskip(NEXT) | instid1(VALU_DEP_1)
	v_cndmask_b32_e32 v8, v8, v6, vcc_lo
	v_add_f32_e32 v6, v8, v8
	s_delay_alu instid0(VALU_DEP_1) | instskip(NEXT) | instid1(VALU_DEP_1)
	v_div_scale_f32 v9, null, v6, v6, v4
	v_rcp_f32_e32 v10, v9
	s_waitcnt_depctr 0xfff
	v_fma_f32 v11, -v9, v10, 1.0
	s_delay_alu instid0(VALU_DEP_1) | instskip(SKIP_1) | instid1(VALU_DEP_1)
	v_fmac_f32_e32 v10, v11, v10
	v_div_scale_f32 v11, vcc_lo, v4, v6, v4
	v_mul_f32_e32 v12, v11, v10
	s_delay_alu instid0(VALU_DEP_1) | instskip(NEXT) | instid1(VALU_DEP_1)
	v_fma_f32 v13, -v9, v12, v11
	v_fmac_f32_e32 v12, v13, v10
	s_delay_alu instid0(VALU_DEP_1) | instskip(NEXT) | instid1(VALU_DEP_1)
	v_fma_f32 v9, -v9, v12, v11
	v_div_fmas_f32 v9, v9, v10, v12
                                        ; implicit-def: $vgpr10
	s_delay_alu instid0(VALU_DEP_1)
	v_div_fixup_f32 v9, v9, v6, v4
                                        ; implicit-def: $vgpr6
                                        ; implicit-def: $vgpr4
	s_and_not1_saveexec_b32 s13, s13
	s_cbranch_execz .LBB181_179
	s_branch .LBB181_178
.LBB181_177:
	s_and_not1_saveexec_b32 s13, s13
	s_cbranch_execz .LBB181_179
.LBB181_178:
	v_sub_f32_e32 v6, v10, v6
	s_delay_alu instid0(VALU_DEP_1) | instskip(NEXT) | instid1(VALU_DEP_1)
	v_mul_f32_e32 v6, 0.5, v6
	v_mul_f32_e32 v8, 0x4f800000, v6
	v_cmp_gt_f32_e32 vcc_lo, 0xf800000, v6
	s_delay_alu instid0(VALU_DEP_2) | instskip(NEXT) | instid1(VALU_DEP_1)
	v_cndmask_b32_e32 v6, v6, v8, vcc_lo
	v_sqrt_f32_e32 v8, v6
	s_waitcnt_depctr 0xfff
	v_add_nc_u32_e32 v9, -1, v8
	v_add_nc_u32_e32 v10, 1, v8
	s_delay_alu instid0(VALU_DEP_2) | instskip(NEXT) | instid1(VALU_DEP_2)
	v_fma_f32 v11, -v9, v8, v6
	v_fma_f32 v12, -v10, v8, v6
	s_delay_alu instid0(VALU_DEP_2) | instskip(NEXT) | instid1(VALU_DEP_1)
	v_cmp_ge_f32_e64 s2, 0, v11
	v_cndmask_b32_e64 v8, v8, v9, s2
	s_delay_alu instid0(VALU_DEP_3) | instskip(NEXT) | instid1(VALU_DEP_1)
	v_cmp_lt_f32_e64 s2, 0, v12
	v_cndmask_b32_e64 v8, v8, v10, s2
	s_delay_alu instid0(VALU_DEP_1) | instskip(NEXT) | instid1(VALU_DEP_1)
	v_mul_f32_e32 v9, 0x37800000, v8
	v_cndmask_b32_e32 v8, v8, v9, vcc_lo
	v_cmp_class_f32_e64 vcc_lo, v6, 0x260
	s_delay_alu instid0(VALU_DEP_2) | instskip(NEXT) | instid1(VALU_DEP_1)
	v_cndmask_b32_e32 v6, v8, v6, vcc_lo
	v_dual_add_f32 v9, v6, v6 :: v_dual_and_b32 v8, 0x7fffffff, v4
	s_delay_alu instid0(VALU_DEP_1) | instskip(SKIP_1) | instid1(VALU_DEP_2)
	v_div_scale_f32 v10, null, v9, v9, v8
	v_div_scale_f32 v8, vcc_lo, v8, v9, v8
	v_rcp_f32_e32 v11, v10
	s_waitcnt_depctr 0xfff
	v_fma_f32 v12, -v10, v11, 1.0
	s_delay_alu instid0(VALU_DEP_1) | instskip(NEXT) | instid1(VALU_DEP_1)
	v_fmac_f32_e32 v11, v12, v11
	v_mul_f32_e32 v12, v8, v11
	s_delay_alu instid0(VALU_DEP_1) | instskip(NEXT) | instid1(VALU_DEP_1)
	v_fma_f32 v13, -v10, v12, v8
	v_fmac_f32_e32 v12, v13, v11
	s_delay_alu instid0(VALU_DEP_1) | instskip(NEXT) | instid1(VALU_DEP_1)
	v_fma_f32 v8, -v10, v12, v8
	v_div_fmas_f32 v8, v8, v11, v12
	s_delay_alu instid0(VALU_DEP_1)
	v_div_fixup_f32 v8, v8, v9, |v4|
	v_bfi_b32 v9, 0x7fffffff, v6, v4
.LBB181_179:
	s_or_b32 exec_lo, exec_lo, s13
                                        ; implicit-def: $vgpr4
                                        ; implicit-def: $vgpr6
	s_and_saveexec_b32 s2, s1
	s_delay_alu instid0(SALU_CYCLE_1)
	s_xor_b32 s1, exec_lo, s2
	s_cbranch_execz .LBB181_181
; %bb.180:
	v_mul_f32_e32 v4, 0.5, v8
	v_mul_f32_e32 v10, 0.5, v9
	s_delay_alu instid0(VALU_DEP_2) | instskip(NEXT) | instid1(VALU_DEP_2)
	v_cndmask_b32_e64 v6, v8, v4, s12
	v_cndmask_b32_e64 v4, v9, v10, s12
                                        ; implicit-def: $vgpr8
                                        ; implicit-def: $vgpr9
	s_and_not1_saveexec_b32 s1, s1
	s_cbranch_execnz .LBB181_182
	s_branch .LBB181_183
.LBB181_181:
	s_and_not1_saveexec_b32 s1, s1
.LBB181_182:
	v_add_f32_e32 v6, v8, v8
	v_add_f32_e32 v4, v9, v9
.LBB181_183:
	s_or_b32 exec_lo, exec_lo, s1
                                        ; implicit-def: $vgpr8
.LBB181_184:
	s_and_not1_saveexec_b32 s1, s11
	s_cbranch_execz .LBB181_190
; %bb.185:
	v_cmp_lt_i16_e32 vcc_lo, -1, v8
	v_sub_f32_e32 v8, v4, v4
	s_and_saveexec_b32 s2, vcc_lo
	s_delay_alu instid0(SALU_CYCLE_1)
	s_xor_b32 s2, exec_lo, s2
; %bb.186:
	s_delay_alu instid0(VALU_DEP_1)
	v_bfi_b32 v4, 0x7fffffff, v8, v4
                                        ; implicit-def: $vgpr8
; %bb.187:
	s_and_not1_saveexec_b32 s2, s2
; %bb.188:
	v_and_b32_e32 v8, 0x7fffffff, v8
	s_delay_alu instid0(VALU_DEP_2) | instskip(NEXT) | instid1(VALU_DEP_2)
	v_bfi_b32 v4, 0x7fffffff, v6, v4
	v_mov_b32_e32 v6, v8
; %bb.189:
	s_or_b32 exec_lo, exec_lo, s2
.LBB181_190:
	s_delay_alu instid0(SALU_CYCLE_1)
	s_or_b32 exec_lo, exec_lo, s1
.LBB181_191:
	s_and_not1_saveexec_b32 s1, s9
; %bb.192:
	v_sub_f32_e32 v4, v4, v4
	s_delay_alu instid0(VALU_DEP_1) | instskip(NEXT) | instid1(VALU_DEP_1)
	v_div_scale_f32 v8, vcc_lo, v4, v4, v4
	v_rcp_f32_e32 v9, v8
	s_waitcnt_depctr 0xfff
	v_fma_f32 v10, -v8, v9, 1.0
	s_delay_alu instid0(VALU_DEP_1) | instskip(NEXT) | instid1(VALU_DEP_1)
	v_fmac_f32_e32 v9, v10, v9
	v_mul_f32_e32 v10, v8, v9
	s_delay_alu instid0(VALU_DEP_1) | instskip(NEXT) | instid1(VALU_DEP_1)
	v_fma_f32 v11, -v8, v10, v8
	v_fmac_f32_e32 v10, v11, v9
	s_delay_alu instid0(VALU_DEP_1) | instskip(NEXT) | instid1(VALU_DEP_1)
	v_fma_f32 v8, -v8, v10, v8
	v_div_fmas_f32 v8, v8, v9, v10
	s_delay_alu instid0(VALU_DEP_1)
	v_div_fixup_f32 v4, v8, v4, v4
; %bb.193:
	s_or_b32 exec_lo, exec_lo, s1
.LBB181_194:
	s_delay_alu instid0(SALU_CYCLE_1)
	s_or_b32 exec_lo, exec_lo, s7
.LBB181_195:
	s_delay_alu instid0(SALU_CYCLE_1)
	s_or_b32 exec_lo, exec_lo, s6
	v_cmp_gt_f32_e32 vcc_lo, 0, v6
                                        ; implicit-def: $vgpr11
                                        ; implicit-def: $vgpr10
	s_mov_b32 s1, exec_lo
	v_cndmask_b32_e64 v8, v6, -v6, vcc_lo
	v_cmp_gt_f32_e32 vcc_lo, 0, v4
	v_cndmask_b32_e64 v9, v4, -v4, vcc_lo
	s_delay_alu instid0(VALU_DEP_1)
	v_cmpx_ge_f32_e32 v8, v9
	s_xor_b32 s2, exec_lo, s1
	s_cbranch_execz .LBB181_201
; %bb.196:
	v_cmp_neq_f32_e32 vcc_lo, 0, v6
	v_cmp_neq_f32_e64 s1, 0, v4
                                        ; implicit-def: $vgpr11
                                        ; implicit-def: $vgpr10
	s_delay_alu instid0(VALU_DEP_1) | instskip(NEXT) | instid1(SALU_CYCLE_1)
	s_or_b32 s1, vcc_lo, s1
	s_and_saveexec_b32 s6, s1
	s_delay_alu instid0(SALU_CYCLE_1)
	s_xor_b32 s1, exec_lo, s6
	s_cbranch_execz .LBB181_198
; %bb.197:
	v_div_scale_f32 v8, null, v6, v6, v4
	v_div_scale_f32 v11, vcc_lo, v4, v6, v4
	s_delay_alu instid0(VALU_DEP_2) | instskip(SKIP_2) | instid1(VALU_DEP_1)
	v_rcp_f32_e32 v9, v8
	s_waitcnt_depctr 0xfff
	v_fma_f32 v10, -v8, v9, 1.0
	v_fmac_f32_e32 v9, v10, v9
	s_delay_alu instid0(VALU_DEP_1) | instskip(NEXT) | instid1(VALU_DEP_1)
	v_mul_f32_e32 v10, v11, v9
	v_fma_f32 v12, -v8, v10, v11
	s_delay_alu instid0(VALU_DEP_1) | instskip(NEXT) | instid1(VALU_DEP_1)
	v_fmac_f32_e32 v10, v12, v9
	v_fma_f32 v8, -v8, v10, v11
	s_delay_alu instid0(VALU_DEP_1) | instskip(NEXT) | instid1(VALU_DEP_1)
	v_div_fmas_f32 v8, v8, v9, v10
	v_div_fixup_f32 v8, v8, v6, v4
	s_delay_alu instid0(VALU_DEP_1) | instskip(NEXT) | instid1(VALU_DEP_1)
	v_fmac_f32_e32 v6, v4, v8
	v_div_scale_f32 v4, null, v6, v6, 1.0
	v_div_scale_f32 v11, vcc_lo, 1.0, v6, 1.0
	s_delay_alu instid0(VALU_DEP_2) | instskip(SKIP_2) | instid1(VALU_DEP_1)
	v_rcp_f32_e32 v9, v4
	s_waitcnt_depctr 0xfff
	v_fma_f32 v10, -v4, v9, 1.0
	v_fmac_f32_e32 v9, v10, v9
	s_delay_alu instid0(VALU_DEP_1) | instskip(NEXT) | instid1(VALU_DEP_1)
	v_mul_f32_e32 v10, v11, v9
	v_fma_f32 v12, -v4, v10, v11
	s_delay_alu instid0(VALU_DEP_1) | instskip(NEXT) | instid1(VALU_DEP_1)
	v_fmac_f32_e32 v10, v12, v9
	v_fma_f32 v4, -v4, v10, v11
	s_delay_alu instid0(VALU_DEP_1) | instskip(SKIP_1) | instid1(VALU_DEP_2)
	v_div_fmas_f32 v4, v4, v9, v10
	v_fma_f32 v9, v8, 0, 1.0
	v_div_fixup_f32 v4, v4, v6, 1.0
	s_delay_alu instid0(VALU_DEP_1)
	v_mul_f32_e32 v10, v9, v4
	v_mul_f32_e64 v11, -v8, v4
                                        ; implicit-def: $vgpr8
                                        ; implicit-def: $vgpr9
.LBB181_198:
	s_and_not1_saveexec_b32 s6, s1
	s_cbranch_execz .LBB181_200
; %bb.199:
	v_div_scale_f32 v4, null, v8, v8, 1.0
	v_div_scale_f32 v6, null, v9, v9, 0
	v_div_scale_f32 v14, vcc_lo, 1.0, v8, 1.0
	s_delay_alu instid0(VALU_DEP_3) | instskip(NEXT) | instid1(VALU_DEP_2)
	v_rcp_f32_e32 v10, v4
	v_rcp_f32_e32 v11, v6
	s_waitcnt_depctr 0xfff
	v_fma_f32 v12, -v4, v10, 1.0
	v_fma_f32 v13, -v6, v11, 1.0
	s_delay_alu instid0(VALU_DEP_1) | instskip(SKIP_1) | instid1(VALU_DEP_2)
	v_dual_fmac_f32 v10, v12, v10 :: v_dual_fmac_f32 v11, v13, v11
	v_div_scale_f32 v12, s1, 0, v9, 0
	v_mul_f32_e32 v13, v14, v10
	s_delay_alu instid0(VALU_DEP_2) | instskip(NEXT) | instid1(VALU_DEP_2)
	v_mul_f32_e32 v15, v12, v11
	v_fma_f32 v16, -v4, v13, v14
	s_delay_alu instid0(VALU_DEP_2) | instskip(NEXT) | instid1(VALU_DEP_2)
	v_fma_f32 v17, -v6, v15, v12
	v_fmac_f32_e32 v13, v16, v10
	s_delay_alu instid0(VALU_DEP_2) | instskip(NEXT) | instid1(VALU_DEP_2)
	v_fmac_f32_e32 v15, v17, v11
	v_fma_f32 v4, -v4, v13, v14
	s_delay_alu instid0(VALU_DEP_2) | instskip(NEXT) | instid1(VALU_DEP_2)
	v_fma_f32 v6, -v6, v15, v12
	v_div_fmas_f32 v4, v4, v10, v13
	s_mov_b32 vcc_lo, s1
	s_delay_alu instid0(VALU_DEP_2) | instskip(NEXT) | instid1(VALU_DEP_2)
	v_div_fmas_f32 v6, v6, v11, v15
	v_div_fixup_f32 v10, v4, v8, 1.0
	s_delay_alu instid0(VALU_DEP_2)
	v_div_fixup_f32 v11, v6, v9, 0
.LBB181_200:
	s_or_b32 exec_lo, exec_lo, s6
                                        ; implicit-def: $vgpr4
                                        ; implicit-def: $vgpr6
.LBB181_201:
	s_and_not1_saveexec_b32 s1, s2
	s_cbranch_execz .LBB181_203
; %bb.202:
	v_div_scale_f32 v8, null, v4, v4, v6
	v_div_scale_f32 v11, vcc_lo, v6, v4, v6
	s_delay_alu instid0(VALU_DEP_2) | instskip(SKIP_2) | instid1(VALU_DEP_1)
	v_rcp_f32_e32 v9, v8
	s_waitcnt_depctr 0xfff
	v_fma_f32 v10, -v8, v9, 1.0
	v_fmac_f32_e32 v9, v10, v9
	s_delay_alu instid0(VALU_DEP_1) | instskip(NEXT) | instid1(VALU_DEP_1)
	v_mul_f32_e32 v10, v11, v9
	v_fma_f32 v12, -v8, v10, v11
	s_delay_alu instid0(VALU_DEP_1) | instskip(NEXT) | instid1(VALU_DEP_1)
	v_fmac_f32_e32 v10, v12, v9
	v_fma_f32 v8, -v8, v10, v11
	s_delay_alu instid0(VALU_DEP_1) | instskip(NEXT) | instid1(VALU_DEP_1)
	v_div_fmas_f32 v8, v8, v9, v10
	v_div_fixup_f32 v8, v8, v4, v6
	s_delay_alu instid0(VALU_DEP_1) | instskip(NEXT) | instid1(VALU_DEP_1)
	v_fmac_f32_e32 v4, v6, v8
	v_div_scale_f32 v6, null, v4, v4, 1.0
	v_div_scale_f32 v11, vcc_lo, 1.0, v4, 1.0
	s_delay_alu instid0(VALU_DEP_2) | instskip(SKIP_2) | instid1(VALU_DEP_1)
	v_rcp_f32_e32 v9, v6
	s_waitcnt_depctr 0xfff
	v_fma_f32 v10, -v6, v9, 1.0
	v_fmac_f32_e32 v9, v10, v9
	s_delay_alu instid0(VALU_DEP_1) | instskip(NEXT) | instid1(VALU_DEP_1)
	v_mul_f32_e32 v10, v11, v9
	v_fma_f32 v12, -v6, v10, v11
	s_delay_alu instid0(VALU_DEP_1) | instskip(NEXT) | instid1(VALU_DEP_1)
	v_fmac_f32_e32 v10, v12, v9
	v_fma_f32 v6, -v6, v10, v11
	s_delay_alu instid0(VALU_DEP_1) | instskip(SKIP_1) | instid1(VALU_DEP_2)
	v_div_fmas_f32 v6, v6, v9, v10
	v_add_f32_e32 v9, 0, v8
	v_div_fixup_f32 v4, v6, v4, 1.0
	v_fma_f32 v6, v8, 0, -1.0
	s_delay_alu instid0(VALU_DEP_2) | instskip(NEXT) | instid1(VALU_DEP_2)
	v_mul_f32_e32 v10, v9, v4
	v_mul_f32_e32 v11, v6, v4
.LBB181_203:
	s_or_b32 exec_lo, exec_lo, s1
	s_delay_alu instid0(VALU_DEP_1) | instskip(NEXT) | instid1(VALU_DEP_3)
	v_cvt_f16_f32_e32 v4, v11
	v_cvt_f16_f32_e32 v6, v10
	s_delay_alu instid0(VALU_DEP_2) | instskip(NEXT) | instid1(VALU_DEP_2)
	v_lshlrev_b32_e32 v4, 16, v4
	v_and_b32_e32 v6, 0xffff, v6
	s_delay_alu instid0(VALU_DEP_1) | instskip(SKIP_1) | instid1(SALU_CYCLE_1)
	v_or_b32_e32 v4, v4, v6
	s_or_b32 exec_lo, exec_lo, s3
	s_mov_b32 s3, exec_lo
                                        ; implicit-def: $vgpr6
	v_cmpx_gt_i32_e64 s10, v3
	s_cbranch_execz .LBB181_243
.LBB181_204:
	s_waitcnt vmcnt(0)
	v_lshrrev_b32_e32 v6, 16, v7
	v_cmp_neq_f16_e32 vcc_lo, 0, v7
	v_mov_b32_e32 v8, 0
	s_delay_alu instid0(VALU_DEP_3) | instskip(SKIP_1) | instid1(VALU_DEP_2)
	v_cmp_neq_f16_e64 s1, 0, v6
	v_cvt_f32_f16_e32 v6, v6
	s_or_b32 s1, vcc_lo, s1
	s_delay_alu instid0(SALU_CYCLE_1)
	s_and_saveexec_b32 s6, s1
	s_cbranch_execz .LBB181_234
; %bb.205:
	v_mov_b32_e32 v8, 0x7f800000
	s_mov_b32 s7, exec_lo
	v_cmpx_neq_f32_e64 0x7f800000, |v6|
	s_cbranch_execz .LBB181_233
; %bb.206:
	v_cvt_f32_f16_e32 v8, v7
	s_mov_b32 s1, exec_lo
	v_cmpx_o_f16_e32 v7, v7
	s_xor_b32 s9, exec_lo, s1
	s_cbranch_execz .LBB181_230
; %bb.207:
	s_mov_b32 s2, exec_lo
	v_cmpx_neq_f32_e64 0x7f800000, |v8|
	s_xor_b32 s11, exec_lo, s2
	s_cbranch_execz .LBB181_223
; %bb.208:
	v_max_f32_e64 v7, |v6|, |v6|
	v_max_f32_e64 v9, |v8|, |v8|
                                        ; implicit-def: $sgpr12
	s_delay_alu instid0(VALU_DEP_1) | instskip(NEXT) | instid1(VALU_DEP_1)
	v_max_f32_e32 v7, v9, v7
	v_cmp_nle_f32_e64 s1, 0x7ed413cb, v7
	s_delay_alu instid0(VALU_DEP_1) | instskip(NEXT) | instid1(SALU_CYCLE_1)
	s_and_saveexec_b32 s2, s1
	s_xor_b32 s2, exec_lo, s2
	s_cbranch_execz .LBB181_212
; %bb.209:
	v_cmp_ge_f32_e64 s12, 0x1000000, |v8|
	v_cmp_ge_f32_e64 s13, 0x1000000, |v6|
	s_delay_alu instid0(VALU_DEP_1)
	s_and_b32 s14, s12, s13
	s_mov_b32 s12, 0
	s_and_saveexec_b32 s13, s14
; %bb.210:
	v_mul_f32_e32 v8, 4.0, v8
	v_mul_f32_e32 v6, 4.0, v6
	s_mov_b32 s12, exec_lo
; %bb.211:
	s_or_b32 exec_lo, exec_lo, s13
	s_delay_alu instid0(SALU_CYCLE_1)
	s_and_b32 s12, s12, exec_lo
.LBB181_212:
	s_and_not1_saveexec_b32 s2, s2
; %bb.213:
	v_mul_f32_e32 v8, 0x3e800000, v8
	v_mul_f32_e32 v6, 0x3e800000, v6
	s_and_not1_b32 s12, s12, exec_lo
; %bb.214:
	s_or_b32 exec_lo, exec_lo, s2
	s_delay_alu instid0(VALU_DEP_1) | instskip(SKIP_1) | instid1(VALU_DEP_1)
	v_max_f32_e64 v7, |v6|, |v6|
	v_max_f32_e64 v9, |v8|, |v8|
	v_max_f32_e32 v7, v9, v7
	s_delay_alu instid0(VALU_DEP_1) | instskip(SKIP_1) | instid1(VALU_DEP_2)
	v_cvt_f64_f32_e32 v[9:10], v7
	v_cmp_neq_f32_e64 s2, 0x7f800000, v7
                                        ; implicit-def: $vgpr7
	v_frexp_exp_i32_f64_e32 v9, v[9:10]
	s_delay_alu instid0(VALU_DEP_1) | instskip(NEXT) | instid1(VALU_DEP_1)
	v_sub_nc_u32_e32 v10, 0, v9
	v_ldexp_f32 v11, |v6|, v10
	v_ldexp_f32 v10, |v8|, v10
	s_delay_alu instid0(VALU_DEP_2) | instskip(NEXT) | instid1(VALU_DEP_1)
	v_mul_f32_e32 v11, v11, v11
	v_fmac_f32_e32 v11, v10, v10
	s_delay_alu instid0(VALU_DEP_1) | instskip(SKIP_2) | instid1(VALU_DEP_1)
	v_sqrt_f32_e32 v10, v11
	s_waitcnt_depctr 0xfff
	v_ldexp_f32 v9, v10, v9
	v_cndmask_b32_e64 v10, 0x7f800000, v9, s2
                                        ; implicit-def: $vgpr9
	s_mov_b32 s2, exec_lo
	v_cmpx_le_f32_e32 0, v8
	s_xor_b32 s13, exec_lo, s2
	s_cbranch_execz .LBB181_216
; %bb.215:
	v_add_f32_e32 v7, v8, v10
	s_delay_alu instid0(VALU_DEP_1) | instskip(NEXT) | instid1(VALU_DEP_1)
	v_mul_f32_e32 v7, 0.5, v7
	v_mul_f32_e32 v8, 0x4f800000, v7
	v_cmp_gt_f32_e32 vcc_lo, 0xf800000, v7
	s_delay_alu instid0(VALU_DEP_2) | instskip(NEXT) | instid1(VALU_DEP_1)
	v_cndmask_b32_e32 v7, v7, v8, vcc_lo
	v_sqrt_f32_e32 v8, v7
	s_waitcnt_depctr 0xfff
	v_add_nc_u32_e32 v9, -1, v8
	v_add_nc_u32_e32 v10, 1, v8
	s_delay_alu instid0(VALU_DEP_2) | instskip(NEXT) | instid1(VALU_DEP_2)
	v_fma_f32 v11, -v9, v8, v7
	v_fma_f32 v12, -v10, v8, v7
	s_delay_alu instid0(VALU_DEP_2) | instskip(NEXT) | instid1(VALU_DEP_1)
	v_cmp_ge_f32_e64 s2, 0, v11
	v_cndmask_b32_e64 v8, v8, v9, s2
	s_delay_alu instid0(VALU_DEP_3) | instskip(NEXT) | instid1(VALU_DEP_1)
	v_cmp_lt_f32_e64 s2, 0, v12
	v_cndmask_b32_e64 v8, v8, v10, s2
	s_delay_alu instid0(VALU_DEP_1) | instskip(NEXT) | instid1(VALU_DEP_1)
	v_mul_f32_e32 v9, 0x37800000, v8
	v_cndmask_b32_e32 v8, v8, v9, vcc_lo
	v_cmp_class_f32_e64 vcc_lo, v7, 0x260
	s_delay_alu instid0(VALU_DEP_2) | instskip(NEXT) | instid1(VALU_DEP_1)
	v_cndmask_b32_e32 v7, v8, v7, vcc_lo
	v_add_f32_e32 v8, v7, v7
	s_delay_alu instid0(VALU_DEP_1) | instskip(NEXT) | instid1(VALU_DEP_1)
	v_div_scale_f32 v9, null, v8, v8, v6
	v_rcp_f32_e32 v10, v9
	s_waitcnt_depctr 0xfff
	v_fma_f32 v11, -v9, v10, 1.0
	s_delay_alu instid0(VALU_DEP_1) | instskip(SKIP_1) | instid1(VALU_DEP_1)
	v_fmac_f32_e32 v10, v11, v10
	v_div_scale_f32 v11, vcc_lo, v6, v8, v6
	v_mul_f32_e32 v12, v11, v10
	s_delay_alu instid0(VALU_DEP_1) | instskip(NEXT) | instid1(VALU_DEP_1)
	v_fma_f32 v13, -v9, v12, v11
	v_fmac_f32_e32 v12, v13, v10
	s_delay_alu instid0(VALU_DEP_1) | instskip(NEXT) | instid1(VALU_DEP_1)
	v_fma_f32 v9, -v9, v12, v11
	v_div_fmas_f32 v9, v9, v10, v12
                                        ; implicit-def: $vgpr10
	s_delay_alu instid0(VALU_DEP_1)
	v_div_fixup_f32 v9, v9, v8, v6
                                        ; implicit-def: $vgpr8
                                        ; implicit-def: $vgpr6
	s_and_not1_saveexec_b32 s13, s13
	s_cbranch_execz .LBB181_218
	s_branch .LBB181_217
.LBB181_216:
	s_and_not1_saveexec_b32 s13, s13
	s_cbranch_execz .LBB181_218
.LBB181_217:
	v_sub_f32_e32 v7, v10, v8
	s_delay_alu instid0(VALU_DEP_1) | instskip(NEXT) | instid1(VALU_DEP_1)
	v_mul_f32_e32 v7, 0.5, v7
	v_mul_f32_e32 v8, 0x4f800000, v7
	v_cmp_gt_f32_e32 vcc_lo, 0xf800000, v7
	s_delay_alu instid0(VALU_DEP_2) | instskip(NEXT) | instid1(VALU_DEP_1)
	v_cndmask_b32_e32 v7, v7, v8, vcc_lo
	v_sqrt_f32_e32 v8, v7
	s_waitcnt_depctr 0xfff
	v_add_nc_u32_e32 v9, -1, v8
	v_add_nc_u32_e32 v10, 1, v8
	s_delay_alu instid0(VALU_DEP_2) | instskip(NEXT) | instid1(VALU_DEP_2)
	v_fma_f32 v11, -v9, v8, v7
	v_fma_f32 v12, -v10, v8, v7
	s_delay_alu instid0(VALU_DEP_2) | instskip(NEXT) | instid1(VALU_DEP_1)
	v_cmp_ge_f32_e64 s2, 0, v11
	v_cndmask_b32_e64 v8, v8, v9, s2
	s_delay_alu instid0(VALU_DEP_3) | instskip(NEXT) | instid1(VALU_DEP_1)
	v_cmp_lt_f32_e64 s2, 0, v12
	v_cndmask_b32_e64 v8, v8, v10, s2
	s_delay_alu instid0(VALU_DEP_1) | instskip(NEXT) | instid1(VALU_DEP_1)
	v_mul_f32_e32 v9, 0x37800000, v8
	v_cndmask_b32_e32 v8, v8, v9, vcc_lo
	v_cmp_class_f32_e64 vcc_lo, v7, 0x260
	s_delay_alu instid0(VALU_DEP_2) | instskip(NEXT) | instid1(VALU_DEP_1)
	v_dual_cndmask_b32 v8, v8, v7 :: v_dual_and_b32 v7, 0x7fffffff, v6
	v_add_f32_e32 v9, v8, v8
	s_delay_alu instid0(VALU_DEP_1) | instskip(SKIP_1) | instid1(VALU_DEP_2)
	v_div_scale_f32 v10, null, v9, v9, v7
	v_div_scale_f32 v7, vcc_lo, v7, v9, v7
	v_rcp_f32_e32 v11, v10
	s_waitcnt_depctr 0xfff
	v_fma_f32 v12, -v10, v11, 1.0
	s_delay_alu instid0(VALU_DEP_1) | instskip(NEXT) | instid1(VALU_DEP_1)
	v_fmac_f32_e32 v11, v12, v11
	v_mul_f32_e32 v12, v7, v11
	s_delay_alu instid0(VALU_DEP_1) | instskip(NEXT) | instid1(VALU_DEP_1)
	v_fma_f32 v13, -v10, v12, v7
	v_fmac_f32_e32 v12, v13, v11
	s_delay_alu instid0(VALU_DEP_1) | instskip(NEXT) | instid1(VALU_DEP_1)
	v_fma_f32 v7, -v10, v12, v7
	v_div_fmas_f32 v7, v7, v11, v12
	s_delay_alu instid0(VALU_DEP_1)
	v_div_fixup_f32 v7, v7, v9, |v6|
	v_bfi_b32 v9, 0x7fffffff, v8, v6
.LBB181_218:
	s_or_b32 exec_lo, exec_lo, s13
                                        ; implicit-def: $vgpr6
                                        ; implicit-def: $vgpr8
	s_and_saveexec_b32 s2, s1
	s_delay_alu instid0(SALU_CYCLE_1)
	s_xor_b32 s1, exec_lo, s2
	s_cbranch_execz .LBB181_220
; %bb.219:
	v_mul_f32_e32 v6, 0.5, v7
	v_mul_f32_e32 v10, 0.5, v9
	s_delay_alu instid0(VALU_DEP_2) | instskip(NEXT) | instid1(VALU_DEP_2)
	v_cndmask_b32_e64 v8, v7, v6, s12
	v_cndmask_b32_e64 v6, v9, v10, s12
                                        ; implicit-def: $vgpr7
                                        ; implicit-def: $vgpr9
	s_and_not1_saveexec_b32 s1, s1
	s_cbranch_execnz .LBB181_221
	s_branch .LBB181_222
.LBB181_220:
	s_and_not1_saveexec_b32 s1, s1
.LBB181_221:
	v_add_f32_e32 v8, v7, v7
	v_add_f32_e32 v6, v9, v9
.LBB181_222:
	s_or_b32 exec_lo, exec_lo, s1
                                        ; implicit-def: $vgpr7
.LBB181_223:
	s_and_not1_saveexec_b32 s1, s11
	s_cbranch_execz .LBB181_229
; %bb.224:
	v_cmp_lt_i16_e32 vcc_lo, -1, v7
	v_sub_f32_e32 v7, v6, v6
	s_and_saveexec_b32 s2, vcc_lo
	s_delay_alu instid0(SALU_CYCLE_1)
	s_xor_b32 s2, exec_lo, s2
; %bb.225:
	s_delay_alu instid0(VALU_DEP_1)
	v_bfi_b32 v6, 0x7fffffff, v7, v6
                                        ; implicit-def: $vgpr7
; %bb.226:
	s_and_not1_saveexec_b32 s2, s2
; %bb.227:
	v_and_b32_e32 v7, 0x7fffffff, v7
	s_delay_alu instid0(VALU_DEP_2) | instskip(NEXT) | instid1(VALU_DEP_2)
	v_bfi_b32 v6, 0x7fffffff, v8, v6
	v_mov_b32_e32 v8, v7
; %bb.228:
	s_or_b32 exec_lo, exec_lo, s2
.LBB181_229:
	s_delay_alu instid0(SALU_CYCLE_1)
	s_or_b32 exec_lo, exec_lo, s1
.LBB181_230:
	s_and_not1_saveexec_b32 s1, s9
; %bb.231:
	v_sub_f32_e32 v6, v6, v6
	s_delay_alu instid0(VALU_DEP_1) | instskip(NEXT) | instid1(VALU_DEP_1)
	v_div_scale_f32 v7, vcc_lo, v6, v6, v6
	v_rcp_f32_e32 v9, v7
	s_waitcnt_depctr 0xfff
	v_fma_f32 v10, -v7, v9, 1.0
	s_delay_alu instid0(VALU_DEP_1) | instskip(NEXT) | instid1(VALU_DEP_1)
	v_fmac_f32_e32 v9, v10, v9
	v_mul_f32_e32 v10, v7, v9
	s_delay_alu instid0(VALU_DEP_1) | instskip(NEXT) | instid1(VALU_DEP_1)
	v_fma_f32 v11, -v7, v10, v7
	v_fmac_f32_e32 v10, v11, v9
	s_delay_alu instid0(VALU_DEP_1) | instskip(NEXT) | instid1(VALU_DEP_1)
	v_fma_f32 v7, -v7, v10, v7
	v_div_fmas_f32 v7, v7, v9, v10
	s_delay_alu instid0(VALU_DEP_1)
	v_div_fixup_f32 v6, v7, v6, v6
; %bb.232:
	s_or_b32 exec_lo, exec_lo, s1
.LBB181_233:
	s_delay_alu instid0(SALU_CYCLE_1)
	s_or_b32 exec_lo, exec_lo, s7
.LBB181_234:
	s_delay_alu instid0(SALU_CYCLE_1)
	s_or_b32 exec_lo, exec_lo, s6
	v_cmp_gt_f32_e32 vcc_lo, 0, v8
                                        ; implicit-def: $vgpr11
                                        ; implicit-def: $vgpr10
	s_mov_b32 s1, exec_lo
	v_cndmask_b32_e64 v7, v8, -v8, vcc_lo
	v_cmp_gt_f32_e32 vcc_lo, 0, v6
	v_cndmask_b32_e64 v9, v6, -v6, vcc_lo
	s_delay_alu instid0(VALU_DEP_1)
	v_cmpx_ge_f32_e32 v7, v9
	s_xor_b32 s2, exec_lo, s1
	s_cbranch_execz .LBB181_240
; %bb.235:
	v_cmp_neq_f32_e32 vcc_lo, 0, v8
	v_cmp_neq_f32_e64 s1, 0, v6
                                        ; implicit-def: $vgpr11
                                        ; implicit-def: $vgpr10
	s_delay_alu instid0(VALU_DEP_1) | instskip(NEXT) | instid1(SALU_CYCLE_1)
	s_or_b32 s1, vcc_lo, s1
	s_and_saveexec_b32 s6, s1
	s_delay_alu instid0(SALU_CYCLE_1)
	s_xor_b32 s1, exec_lo, s6
	s_cbranch_execz .LBB181_237
; %bb.236:
	v_div_scale_f32 v7, null, v8, v8, v6
	v_div_scale_f32 v11, vcc_lo, v6, v8, v6
	s_delay_alu instid0(VALU_DEP_2) | instskip(SKIP_2) | instid1(VALU_DEP_1)
	v_rcp_f32_e32 v9, v7
	s_waitcnt_depctr 0xfff
	v_fma_f32 v10, -v7, v9, 1.0
	v_fmac_f32_e32 v9, v10, v9
	s_delay_alu instid0(VALU_DEP_1) | instskip(NEXT) | instid1(VALU_DEP_1)
	v_mul_f32_e32 v10, v11, v9
	v_fma_f32 v12, -v7, v10, v11
	s_delay_alu instid0(VALU_DEP_1) | instskip(NEXT) | instid1(VALU_DEP_1)
	v_fmac_f32_e32 v10, v12, v9
	v_fma_f32 v7, -v7, v10, v11
	s_delay_alu instid0(VALU_DEP_1) | instskip(NEXT) | instid1(VALU_DEP_1)
	v_div_fmas_f32 v7, v7, v9, v10
	v_div_fixup_f32 v7, v7, v8, v6
	s_delay_alu instid0(VALU_DEP_1) | instskip(NEXT) | instid1(VALU_DEP_1)
	v_fmac_f32_e32 v8, v6, v7
	v_div_scale_f32 v6, null, v8, v8, 1.0
	v_div_scale_f32 v11, vcc_lo, 1.0, v8, 1.0
	s_delay_alu instid0(VALU_DEP_2) | instskip(SKIP_2) | instid1(VALU_DEP_1)
	v_rcp_f32_e32 v9, v6
	s_waitcnt_depctr 0xfff
	v_fma_f32 v10, -v6, v9, 1.0
	v_fmac_f32_e32 v9, v10, v9
	s_delay_alu instid0(VALU_DEP_1) | instskip(NEXT) | instid1(VALU_DEP_1)
	v_mul_f32_e32 v10, v11, v9
	v_fma_f32 v12, -v6, v10, v11
	s_delay_alu instid0(VALU_DEP_1) | instskip(NEXT) | instid1(VALU_DEP_1)
	v_fmac_f32_e32 v10, v12, v9
	v_fma_f32 v6, -v6, v10, v11
	s_delay_alu instid0(VALU_DEP_1) | instskip(SKIP_1) | instid1(VALU_DEP_2)
	v_div_fmas_f32 v6, v6, v9, v10
	v_fma_f32 v9, v7, 0, 1.0
	v_div_fixup_f32 v6, v6, v8, 1.0
	s_delay_alu instid0(VALU_DEP_1)
	v_mul_f32_e32 v10, v9, v6
	v_mul_f32_e64 v11, -v7, v6
                                        ; implicit-def: $vgpr7
                                        ; implicit-def: $vgpr9
.LBB181_237:
	s_and_not1_saveexec_b32 s6, s1
	s_cbranch_execz .LBB181_239
; %bb.238:
	v_div_scale_f32 v6, null, v7, v7, 1.0
	v_div_scale_f32 v8, null, v9, v9, 0
	v_div_scale_f32 v14, vcc_lo, 1.0, v7, 1.0
	s_delay_alu instid0(VALU_DEP_3) | instskip(NEXT) | instid1(VALU_DEP_2)
	v_rcp_f32_e32 v10, v6
	v_rcp_f32_e32 v11, v8
	s_waitcnt_depctr 0xfff
	v_fma_f32 v12, -v6, v10, 1.0
	v_fma_f32 v13, -v8, v11, 1.0
	s_delay_alu instid0(VALU_DEP_1) | instskip(SKIP_1) | instid1(VALU_DEP_2)
	v_dual_fmac_f32 v10, v12, v10 :: v_dual_fmac_f32 v11, v13, v11
	v_div_scale_f32 v12, s1, 0, v9, 0
	v_mul_f32_e32 v13, v14, v10
	s_delay_alu instid0(VALU_DEP_2) | instskip(NEXT) | instid1(VALU_DEP_2)
	v_mul_f32_e32 v15, v12, v11
	v_fma_f32 v16, -v6, v13, v14
	s_delay_alu instid0(VALU_DEP_2) | instskip(NEXT) | instid1(VALU_DEP_2)
	v_fma_f32 v17, -v8, v15, v12
	v_fmac_f32_e32 v13, v16, v10
	s_delay_alu instid0(VALU_DEP_2) | instskip(NEXT) | instid1(VALU_DEP_2)
	v_fmac_f32_e32 v15, v17, v11
	v_fma_f32 v6, -v6, v13, v14
	s_delay_alu instid0(VALU_DEP_2) | instskip(NEXT) | instid1(VALU_DEP_2)
	v_fma_f32 v8, -v8, v15, v12
	v_div_fmas_f32 v6, v6, v10, v13
	s_mov_b32 vcc_lo, s1
	s_delay_alu instid0(VALU_DEP_2) | instskip(NEXT) | instid1(VALU_DEP_2)
	v_div_fmas_f32 v8, v8, v11, v15
	v_div_fixup_f32 v10, v6, v7, 1.0
	s_delay_alu instid0(VALU_DEP_2)
	v_div_fixup_f32 v11, v8, v9, 0
.LBB181_239:
	s_or_b32 exec_lo, exec_lo, s6
                                        ; implicit-def: $vgpr6
                                        ; implicit-def: $vgpr8
.LBB181_240:
	s_and_not1_saveexec_b32 s1, s2
	s_cbranch_execz .LBB181_242
; %bb.241:
	v_div_scale_f32 v7, null, v6, v6, v8
	v_div_scale_f32 v11, vcc_lo, v8, v6, v8
	s_delay_alu instid0(VALU_DEP_2) | instskip(SKIP_2) | instid1(VALU_DEP_1)
	v_rcp_f32_e32 v9, v7
	s_waitcnt_depctr 0xfff
	v_fma_f32 v10, -v7, v9, 1.0
	v_fmac_f32_e32 v9, v10, v9
	s_delay_alu instid0(VALU_DEP_1) | instskip(NEXT) | instid1(VALU_DEP_1)
	v_mul_f32_e32 v10, v11, v9
	v_fma_f32 v12, -v7, v10, v11
	s_delay_alu instid0(VALU_DEP_1) | instskip(NEXT) | instid1(VALU_DEP_1)
	v_fmac_f32_e32 v10, v12, v9
	v_fma_f32 v7, -v7, v10, v11
	s_delay_alu instid0(VALU_DEP_1) | instskip(NEXT) | instid1(VALU_DEP_1)
	v_div_fmas_f32 v7, v7, v9, v10
	v_div_fixup_f32 v7, v7, v6, v8
	s_delay_alu instid0(VALU_DEP_1) | instskip(NEXT) | instid1(VALU_DEP_1)
	v_fmac_f32_e32 v6, v8, v7
	v_div_scale_f32 v8, null, v6, v6, 1.0
	v_div_scale_f32 v11, vcc_lo, 1.0, v6, 1.0
	s_delay_alu instid0(VALU_DEP_2) | instskip(SKIP_2) | instid1(VALU_DEP_1)
	v_rcp_f32_e32 v9, v8
	s_waitcnt_depctr 0xfff
	v_fma_f32 v10, -v8, v9, 1.0
	v_fmac_f32_e32 v9, v10, v9
	s_delay_alu instid0(VALU_DEP_1) | instskip(NEXT) | instid1(VALU_DEP_1)
	v_mul_f32_e32 v10, v11, v9
	v_fma_f32 v12, -v8, v10, v11
	s_delay_alu instid0(VALU_DEP_1) | instskip(NEXT) | instid1(VALU_DEP_1)
	v_fmac_f32_e32 v10, v12, v9
	v_fma_f32 v8, -v8, v10, v11
	s_delay_alu instid0(VALU_DEP_1) | instskip(SKIP_2) | instid1(VALU_DEP_3)
	v_div_fmas_f32 v8, v8, v9, v10
	v_add_f32_e32 v9, 0, v7
	v_fma_f32 v7, v7, 0, -1.0
	v_div_fixup_f32 v6, v8, v6, 1.0
	s_delay_alu instid0(VALU_DEP_1) | instskip(NEXT) | instid1(VALU_DEP_4)
	v_mul_f32_e32 v11, v7, v6
	v_mul_f32_e32 v10, v9, v6
.LBB181_242:
	s_or_b32 exec_lo, exec_lo, s1
	s_delay_alu instid0(VALU_DEP_1) | instskip(NEXT) | instid1(VALU_DEP_2)
	v_cvt_f16_f32_e32 v6, v11
	v_cvt_f16_f32_e32 v7, v10
	s_delay_alu instid0(VALU_DEP_2) | instskip(NEXT) | instid1(VALU_DEP_2)
	v_lshlrev_b32_e32 v6, 16, v6
	v_and_b32_e32 v7, 0xffff, v7
	s_delay_alu instid0(VALU_DEP_1)
	v_or_b32_e32 v6, v6, v7
.LBB181_243:
	s_or_b32 exec_lo, exec_lo, s3
	s_waitcnt vmcnt(0)
	v_or_b32_e32 v7, 0x200, v0
	s_delay_alu instid0(VALU_DEP_1)
	v_cmp_gt_i32_e32 vcc_lo, s10, v7
                                        ; implicit-def: $vgpr7
	s_and_saveexec_b32 s3, vcc_lo
	s_cbranch_execz .LBB181_283
; %bb.244:
	v_lshrrev_b32_e32 v7, 16, v5
	v_cmp_neq_f16_e32 vcc_lo, 0, v5
	v_mov_b32_e32 v8, 0
	s_delay_alu instid0(VALU_DEP_3) | instskip(SKIP_1) | instid1(VALU_DEP_2)
	v_cmp_neq_f16_e64 s1, 0, v7
	v_cvt_f32_f16_e32 v7, v7
	s_or_b32 s1, vcc_lo, s1
	s_delay_alu instid0(SALU_CYCLE_1)
	s_and_saveexec_b32 s6, s1
	s_cbranch_execz .LBB181_274
; %bb.245:
	v_mov_b32_e32 v8, 0x7f800000
	s_mov_b32 s7, exec_lo
	v_cmpx_neq_f32_e64 0x7f800000, |v7|
	s_cbranch_execz .LBB181_273
; %bb.246:
	v_cvt_f32_f16_e32 v8, v5
	s_mov_b32 s1, exec_lo
	v_cmpx_o_f16_e32 v5, v5
	s_xor_b32 s9, exec_lo, s1
	s_cbranch_execz .LBB181_270
; %bb.247:
	s_mov_b32 s2, exec_lo
	v_cmpx_neq_f32_e64 0x7f800000, |v8|
	s_xor_b32 s11, exec_lo, s2
	s_cbranch_execz .LBB181_263
; %bb.248:
	v_max_f32_e64 v5, |v7|, |v7|
	v_max_f32_e64 v9, |v8|, |v8|
                                        ; implicit-def: $sgpr12
	s_delay_alu instid0(VALU_DEP_1) | instskip(NEXT) | instid1(VALU_DEP_1)
	v_max_f32_e32 v5, v9, v5
	v_cmp_nle_f32_e64 s1, 0x7ed413cb, v5
	s_delay_alu instid0(VALU_DEP_1) | instskip(NEXT) | instid1(SALU_CYCLE_1)
	s_and_saveexec_b32 s2, s1
	s_xor_b32 s2, exec_lo, s2
	s_cbranch_execz .LBB181_252
; %bb.249:
	v_cmp_ge_f32_e64 s12, 0x1000000, |v8|
	v_cmp_ge_f32_e64 s13, 0x1000000, |v7|
	s_delay_alu instid0(VALU_DEP_1)
	s_and_b32 s14, s12, s13
	s_mov_b32 s12, 0
	s_and_saveexec_b32 s13, s14
; %bb.250:
	v_dual_mul_f32 v8, 4.0, v8 :: v_dual_mul_f32 v7, 4.0, v7
	s_mov_b32 s12, exec_lo
; %bb.251:
	s_or_b32 exec_lo, exec_lo, s13
	s_delay_alu instid0(SALU_CYCLE_1)
	s_and_b32 s12, s12, exec_lo
.LBB181_252:
	s_and_not1_saveexec_b32 s2, s2
; %bb.253:
	v_dual_mul_f32 v8, 0x3e800000, v8 :: v_dual_mul_f32 v7, 0x3e800000, v7
	s_and_not1_b32 s12, s12, exec_lo
; %bb.254:
	s_or_b32 exec_lo, exec_lo, s2
	s_delay_alu instid0(VALU_DEP_1) | instskip(NEXT) | instid1(VALU_DEP_2)
	v_max_f32_e64 v5, |v7|, |v7|
	v_max_f32_e64 v9, |v8|, |v8|
	s_delay_alu instid0(VALU_DEP_1) | instskip(NEXT) | instid1(VALU_DEP_1)
	v_max_f32_e32 v5, v9, v5
	v_cvt_f64_f32_e32 v[9:10], v5
	v_cmp_neq_f32_e64 s2, 0x7f800000, v5
                                        ; implicit-def: $vgpr5
	s_delay_alu instid0(VALU_DEP_2) | instskip(NEXT) | instid1(VALU_DEP_1)
	v_frexp_exp_i32_f64_e32 v9, v[9:10]
	v_sub_nc_u32_e32 v10, 0, v9
	s_delay_alu instid0(VALU_DEP_1) | instskip(SKIP_1) | instid1(VALU_DEP_2)
	v_ldexp_f32 v11, |v7|, v10
	v_ldexp_f32 v10, |v8|, v10
	v_mul_f32_e32 v11, v11, v11
	s_delay_alu instid0(VALU_DEP_1) | instskip(NEXT) | instid1(VALU_DEP_1)
	v_fmac_f32_e32 v11, v10, v10
	v_sqrt_f32_e32 v10, v11
	s_waitcnt_depctr 0xfff
	v_ldexp_f32 v9, v10, v9
	s_delay_alu instid0(VALU_DEP_1)
	v_cndmask_b32_e64 v10, 0x7f800000, v9, s2
                                        ; implicit-def: $vgpr9
	s_mov_b32 s2, exec_lo
	v_cmpx_le_f32_e32 0, v8
	s_xor_b32 s13, exec_lo, s2
	s_cbranch_execz .LBB181_256
; %bb.255:
	v_add_f32_e32 v5, v8, v10
	s_delay_alu instid0(VALU_DEP_1) | instskip(NEXT) | instid1(VALU_DEP_1)
	v_mul_f32_e32 v5, 0.5, v5
	v_mul_f32_e32 v8, 0x4f800000, v5
	v_cmp_gt_f32_e32 vcc_lo, 0xf800000, v5
	s_delay_alu instid0(VALU_DEP_2) | instskip(NEXT) | instid1(VALU_DEP_1)
	v_cndmask_b32_e32 v5, v5, v8, vcc_lo
	v_sqrt_f32_e32 v8, v5
	s_waitcnt_depctr 0xfff
	v_add_nc_u32_e32 v9, -1, v8
	v_add_nc_u32_e32 v10, 1, v8
	s_delay_alu instid0(VALU_DEP_2) | instskip(NEXT) | instid1(VALU_DEP_2)
	v_fma_f32 v11, -v9, v8, v5
	v_fma_f32 v12, -v10, v8, v5
	s_delay_alu instid0(VALU_DEP_2) | instskip(NEXT) | instid1(VALU_DEP_1)
	v_cmp_ge_f32_e64 s2, 0, v11
	v_cndmask_b32_e64 v8, v8, v9, s2
	s_delay_alu instid0(VALU_DEP_3) | instskip(NEXT) | instid1(VALU_DEP_1)
	v_cmp_lt_f32_e64 s2, 0, v12
	v_cndmask_b32_e64 v8, v8, v10, s2
	s_delay_alu instid0(VALU_DEP_1) | instskip(NEXT) | instid1(VALU_DEP_1)
	v_mul_f32_e32 v9, 0x37800000, v8
	v_cndmask_b32_e32 v8, v8, v9, vcc_lo
	v_cmp_class_f32_e64 vcc_lo, v5, 0x260
	s_delay_alu instid0(VALU_DEP_2) | instskip(NEXT) | instid1(VALU_DEP_1)
	v_cndmask_b32_e32 v5, v8, v5, vcc_lo
	v_add_f32_e32 v8, v5, v5
	s_delay_alu instid0(VALU_DEP_1) | instskip(NEXT) | instid1(VALU_DEP_1)
	v_div_scale_f32 v9, null, v8, v8, v7
	v_rcp_f32_e32 v10, v9
	s_waitcnt_depctr 0xfff
	v_fma_f32 v11, -v9, v10, 1.0
	s_delay_alu instid0(VALU_DEP_1) | instskip(SKIP_1) | instid1(VALU_DEP_1)
	v_fmac_f32_e32 v10, v11, v10
	v_div_scale_f32 v11, vcc_lo, v7, v8, v7
	v_mul_f32_e32 v12, v11, v10
	s_delay_alu instid0(VALU_DEP_1) | instskip(NEXT) | instid1(VALU_DEP_1)
	v_fma_f32 v13, -v9, v12, v11
	v_fmac_f32_e32 v12, v13, v10
	s_delay_alu instid0(VALU_DEP_1) | instskip(NEXT) | instid1(VALU_DEP_1)
	v_fma_f32 v9, -v9, v12, v11
	v_div_fmas_f32 v9, v9, v10, v12
                                        ; implicit-def: $vgpr10
	s_delay_alu instid0(VALU_DEP_1)
	v_div_fixup_f32 v9, v9, v8, v7
                                        ; implicit-def: $vgpr8
                                        ; implicit-def: $vgpr7
	s_and_not1_saveexec_b32 s13, s13
	s_cbranch_execz .LBB181_258
	s_branch .LBB181_257
.LBB181_256:
	s_and_not1_saveexec_b32 s13, s13
	s_cbranch_execz .LBB181_258
.LBB181_257:
	v_sub_f32_e32 v5, v10, v8
	s_delay_alu instid0(VALU_DEP_1) | instskip(NEXT) | instid1(VALU_DEP_1)
	v_mul_f32_e32 v5, 0.5, v5
	v_mul_f32_e32 v8, 0x4f800000, v5
	v_cmp_gt_f32_e32 vcc_lo, 0xf800000, v5
	s_delay_alu instid0(VALU_DEP_2) | instskip(NEXT) | instid1(VALU_DEP_1)
	v_cndmask_b32_e32 v5, v5, v8, vcc_lo
	v_sqrt_f32_e32 v8, v5
	s_waitcnt_depctr 0xfff
	v_add_nc_u32_e32 v9, -1, v8
	v_add_nc_u32_e32 v10, 1, v8
	s_delay_alu instid0(VALU_DEP_2) | instskip(NEXT) | instid1(VALU_DEP_2)
	v_fma_f32 v11, -v9, v8, v5
	v_fma_f32 v12, -v10, v8, v5
	s_delay_alu instid0(VALU_DEP_2) | instskip(NEXT) | instid1(VALU_DEP_1)
	v_cmp_ge_f32_e64 s2, 0, v11
	v_cndmask_b32_e64 v8, v8, v9, s2
	s_delay_alu instid0(VALU_DEP_3) | instskip(NEXT) | instid1(VALU_DEP_1)
	v_cmp_lt_f32_e64 s2, 0, v12
	v_cndmask_b32_e64 v8, v8, v10, s2
	s_delay_alu instid0(VALU_DEP_1) | instskip(NEXT) | instid1(VALU_DEP_1)
	v_mul_f32_e32 v9, 0x37800000, v8
	v_cndmask_b32_e32 v8, v8, v9, vcc_lo
	v_cmp_class_f32_e64 vcc_lo, v5, 0x260
	s_delay_alu instid0(VALU_DEP_2) | instskip(NEXT) | instid1(VALU_DEP_1)
	v_dual_cndmask_b32 v8, v8, v5 :: v_dual_and_b32 v5, 0x7fffffff, v7
	v_add_f32_e32 v9, v8, v8
	s_delay_alu instid0(VALU_DEP_1) | instskip(SKIP_1) | instid1(VALU_DEP_2)
	v_div_scale_f32 v10, null, v9, v9, v5
	v_div_scale_f32 v5, vcc_lo, v5, v9, v5
	v_rcp_f32_e32 v11, v10
	s_waitcnt_depctr 0xfff
	v_fma_f32 v12, -v10, v11, 1.0
	s_delay_alu instid0(VALU_DEP_1) | instskip(NEXT) | instid1(VALU_DEP_1)
	v_fmac_f32_e32 v11, v12, v11
	v_mul_f32_e32 v12, v5, v11
	s_delay_alu instid0(VALU_DEP_1) | instskip(NEXT) | instid1(VALU_DEP_1)
	v_fma_f32 v13, -v10, v12, v5
	v_fmac_f32_e32 v12, v13, v11
	s_delay_alu instid0(VALU_DEP_1) | instskip(NEXT) | instid1(VALU_DEP_1)
	v_fma_f32 v5, -v10, v12, v5
	v_div_fmas_f32 v5, v5, v11, v12
	s_delay_alu instid0(VALU_DEP_1)
	v_div_fixup_f32 v5, v5, v9, |v7|
	v_bfi_b32 v9, 0x7fffffff, v8, v7
.LBB181_258:
	s_or_b32 exec_lo, exec_lo, s13
                                        ; implicit-def: $vgpr7
                                        ; implicit-def: $vgpr8
	s_and_saveexec_b32 s2, s1
	s_delay_alu instid0(SALU_CYCLE_1)
	s_xor_b32 s1, exec_lo, s2
	s_cbranch_execz .LBB181_260
; %bb.259:
	v_mul_f32_e32 v7, 0.5, v5
	v_mul_f32_e32 v10, 0.5, v9
	s_delay_alu instid0(VALU_DEP_2) | instskip(NEXT) | instid1(VALU_DEP_2)
	v_cndmask_b32_e64 v8, v5, v7, s12
	v_cndmask_b32_e64 v7, v9, v10, s12
                                        ; implicit-def: $vgpr5
                                        ; implicit-def: $vgpr9
	s_and_not1_saveexec_b32 s1, s1
	s_cbranch_execnz .LBB181_261
	s_branch .LBB181_262
.LBB181_260:
	s_and_not1_saveexec_b32 s1, s1
.LBB181_261:
	v_add_f32_e32 v8, v5, v5
	v_add_f32_e32 v7, v9, v9
.LBB181_262:
	s_or_b32 exec_lo, exec_lo, s1
                                        ; implicit-def: $vgpr5
.LBB181_263:
	s_and_not1_saveexec_b32 s1, s11
	s_cbranch_execz .LBB181_269
; %bb.264:
	v_cmp_lt_i16_e32 vcc_lo, -1, v5
	v_sub_f32_e32 v5, v7, v7
	s_and_saveexec_b32 s2, vcc_lo
	s_delay_alu instid0(SALU_CYCLE_1)
	s_xor_b32 s2, exec_lo, s2
; %bb.265:
	s_delay_alu instid0(VALU_DEP_1)
	v_bfi_b32 v7, 0x7fffffff, v5, v7
                                        ; implicit-def: $vgpr5
; %bb.266:
	s_and_not1_saveexec_b32 s2, s2
; %bb.267:
	v_and_b32_e32 v5, 0x7fffffff, v5
	s_delay_alu instid0(VALU_DEP_2) | instskip(NEXT) | instid1(VALU_DEP_2)
	v_bfi_b32 v7, 0x7fffffff, v8, v7
	v_mov_b32_e32 v8, v5
; %bb.268:
	s_or_b32 exec_lo, exec_lo, s2
.LBB181_269:
	s_delay_alu instid0(SALU_CYCLE_1)
	s_or_b32 exec_lo, exec_lo, s1
.LBB181_270:
	s_and_not1_saveexec_b32 s1, s9
; %bb.271:
	v_sub_f32_e32 v5, v7, v7
	s_delay_alu instid0(VALU_DEP_1) | instskip(NEXT) | instid1(VALU_DEP_1)
	v_div_scale_f32 v7, vcc_lo, v5, v5, v5
	v_rcp_f32_e32 v9, v7
	s_waitcnt_depctr 0xfff
	v_fma_f32 v10, -v7, v9, 1.0
	s_delay_alu instid0(VALU_DEP_1) | instskip(NEXT) | instid1(VALU_DEP_1)
	v_fmac_f32_e32 v9, v10, v9
	v_mul_f32_e32 v10, v7, v9
	s_delay_alu instid0(VALU_DEP_1) | instskip(NEXT) | instid1(VALU_DEP_1)
	v_fma_f32 v11, -v7, v10, v7
	v_fmac_f32_e32 v10, v11, v9
	s_delay_alu instid0(VALU_DEP_1) | instskip(NEXT) | instid1(VALU_DEP_1)
	v_fma_f32 v7, -v7, v10, v7
	v_div_fmas_f32 v7, v7, v9, v10
	s_delay_alu instid0(VALU_DEP_1)
	v_div_fixup_f32 v7, v7, v5, v5
; %bb.272:
	s_or_b32 exec_lo, exec_lo, s1
.LBB181_273:
	s_delay_alu instid0(SALU_CYCLE_1)
	s_or_b32 exec_lo, exec_lo, s7
.LBB181_274:
	s_delay_alu instid0(SALU_CYCLE_1)
	s_or_b32 exec_lo, exec_lo, s6
	v_cmp_gt_f32_e32 vcc_lo, 0, v8
                                        ; implicit-def: $vgpr11
                                        ; implicit-def: $vgpr10
	s_mov_b32 s1, exec_lo
	v_cndmask_b32_e64 v5, v8, -v8, vcc_lo
	v_cmp_gt_f32_e32 vcc_lo, 0, v7
	v_cndmask_b32_e64 v9, v7, -v7, vcc_lo
	s_delay_alu instid0(VALU_DEP_1)
	v_cmpx_ge_f32_e32 v5, v9
	s_xor_b32 s2, exec_lo, s1
	s_cbranch_execz .LBB181_280
; %bb.275:
	v_cmp_neq_f32_e32 vcc_lo, 0, v8
	v_cmp_neq_f32_e64 s1, 0, v7
                                        ; implicit-def: $vgpr11
                                        ; implicit-def: $vgpr10
	s_delay_alu instid0(VALU_DEP_1) | instskip(NEXT) | instid1(SALU_CYCLE_1)
	s_or_b32 s1, vcc_lo, s1
	s_and_saveexec_b32 s6, s1
	s_delay_alu instid0(SALU_CYCLE_1)
	s_xor_b32 s1, exec_lo, s6
	s_cbranch_execz .LBB181_277
; %bb.276:
	v_div_scale_f32 v5, null, v8, v8, v7
	v_div_scale_f32 v11, vcc_lo, v7, v8, v7
	s_delay_alu instid0(VALU_DEP_2) | instskip(SKIP_2) | instid1(VALU_DEP_1)
	v_rcp_f32_e32 v9, v5
	s_waitcnt_depctr 0xfff
	v_fma_f32 v10, -v5, v9, 1.0
	v_fmac_f32_e32 v9, v10, v9
	s_delay_alu instid0(VALU_DEP_1) | instskip(NEXT) | instid1(VALU_DEP_1)
	v_mul_f32_e32 v10, v11, v9
	v_fma_f32 v12, -v5, v10, v11
	s_delay_alu instid0(VALU_DEP_1) | instskip(NEXT) | instid1(VALU_DEP_1)
	v_fmac_f32_e32 v10, v12, v9
	v_fma_f32 v5, -v5, v10, v11
	s_delay_alu instid0(VALU_DEP_1) | instskip(NEXT) | instid1(VALU_DEP_1)
	v_div_fmas_f32 v5, v5, v9, v10
	v_div_fixup_f32 v5, v5, v8, v7
	s_delay_alu instid0(VALU_DEP_1) | instskip(NEXT) | instid1(VALU_DEP_1)
	v_fmac_f32_e32 v8, v7, v5
	v_div_scale_f32 v7, null, v8, v8, 1.0
	v_div_scale_f32 v11, vcc_lo, 1.0, v8, 1.0
	s_delay_alu instid0(VALU_DEP_2) | instskip(SKIP_2) | instid1(VALU_DEP_1)
	v_rcp_f32_e32 v9, v7
	s_waitcnt_depctr 0xfff
	v_fma_f32 v10, -v7, v9, 1.0
	v_fmac_f32_e32 v9, v10, v9
	s_delay_alu instid0(VALU_DEP_1) | instskip(NEXT) | instid1(VALU_DEP_1)
	v_mul_f32_e32 v10, v11, v9
	v_fma_f32 v12, -v7, v10, v11
	s_delay_alu instid0(VALU_DEP_1) | instskip(NEXT) | instid1(VALU_DEP_1)
	v_fmac_f32_e32 v10, v12, v9
	v_fma_f32 v7, -v7, v10, v11
	s_delay_alu instid0(VALU_DEP_1) | instskip(SKIP_1) | instid1(VALU_DEP_2)
	v_div_fmas_f32 v7, v7, v9, v10
	v_fma_f32 v9, v5, 0, 1.0
	v_div_fixup_f32 v7, v7, v8, 1.0
	s_delay_alu instid0(VALU_DEP_1)
	v_mul_f32_e32 v10, v9, v7
	v_mul_f32_e64 v11, -v5, v7
                                        ; implicit-def: $vgpr5
                                        ; implicit-def: $vgpr9
.LBB181_277:
	s_and_not1_saveexec_b32 s6, s1
	s_cbranch_execz .LBB181_279
; %bb.278:
	v_div_scale_f32 v7, null, v5, v5, 1.0
	v_div_scale_f32 v8, null, v9, v9, 0
	v_div_scale_f32 v14, vcc_lo, 1.0, v5, 1.0
	s_delay_alu instid0(VALU_DEP_3) | instskip(NEXT) | instid1(VALU_DEP_2)
	v_rcp_f32_e32 v10, v7
	v_rcp_f32_e32 v11, v8
	s_waitcnt_depctr 0xfff
	v_fma_f32 v12, -v7, v10, 1.0
	v_fma_f32 v13, -v8, v11, 1.0
	s_delay_alu instid0(VALU_DEP_1) | instskip(SKIP_1) | instid1(VALU_DEP_2)
	v_dual_fmac_f32 v10, v12, v10 :: v_dual_fmac_f32 v11, v13, v11
	v_div_scale_f32 v12, s1, 0, v9, 0
	v_mul_f32_e32 v13, v14, v10
	s_delay_alu instid0(VALU_DEP_2) | instskip(NEXT) | instid1(VALU_DEP_2)
	v_mul_f32_e32 v15, v12, v11
	v_fma_f32 v16, -v7, v13, v14
	s_delay_alu instid0(VALU_DEP_2) | instskip(NEXT) | instid1(VALU_DEP_2)
	v_fma_f32 v17, -v8, v15, v12
	v_fmac_f32_e32 v13, v16, v10
	s_delay_alu instid0(VALU_DEP_2) | instskip(NEXT) | instid1(VALU_DEP_2)
	v_fmac_f32_e32 v15, v17, v11
	v_fma_f32 v7, -v7, v13, v14
	s_delay_alu instid0(VALU_DEP_2) | instskip(NEXT) | instid1(VALU_DEP_2)
	v_fma_f32 v8, -v8, v15, v12
	v_div_fmas_f32 v7, v7, v10, v13
	s_mov_b32 vcc_lo, s1
	s_delay_alu instid0(VALU_DEP_2) | instskip(NEXT) | instid1(VALU_DEP_2)
	v_div_fmas_f32 v8, v8, v11, v15
	v_div_fixup_f32 v10, v7, v5, 1.0
	s_delay_alu instid0(VALU_DEP_2)
	v_div_fixup_f32 v11, v8, v9, 0
.LBB181_279:
	s_or_b32 exec_lo, exec_lo, s6
                                        ; implicit-def: $vgpr7
                                        ; implicit-def: $vgpr8
.LBB181_280:
	s_and_not1_saveexec_b32 s1, s2
	s_cbranch_execz .LBB181_282
; %bb.281:
	v_div_scale_f32 v5, null, v7, v7, v8
	v_div_scale_f32 v11, vcc_lo, v8, v7, v8
	s_delay_alu instid0(VALU_DEP_2) | instskip(SKIP_2) | instid1(VALU_DEP_1)
	v_rcp_f32_e32 v9, v5
	s_waitcnt_depctr 0xfff
	v_fma_f32 v10, -v5, v9, 1.0
	v_fmac_f32_e32 v9, v10, v9
	s_delay_alu instid0(VALU_DEP_1) | instskip(NEXT) | instid1(VALU_DEP_1)
	v_mul_f32_e32 v10, v11, v9
	v_fma_f32 v12, -v5, v10, v11
	s_delay_alu instid0(VALU_DEP_1) | instskip(NEXT) | instid1(VALU_DEP_1)
	v_fmac_f32_e32 v10, v12, v9
	v_fma_f32 v5, -v5, v10, v11
	s_delay_alu instid0(VALU_DEP_1) | instskip(NEXT) | instid1(VALU_DEP_1)
	v_div_fmas_f32 v5, v5, v9, v10
	v_div_fixup_f32 v5, v5, v7, v8
	s_delay_alu instid0(VALU_DEP_1) | instskip(NEXT) | instid1(VALU_DEP_1)
	v_fmac_f32_e32 v7, v8, v5
	v_div_scale_f32 v8, null, v7, v7, 1.0
	v_div_scale_f32 v11, vcc_lo, 1.0, v7, 1.0
	s_delay_alu instid0(VALU_DEP_2) | instskip(SKIP_2) | instid1(VALU_DEP_1)
	v_rcp_f32_e32 v9, v8
	s_waitcnt_depctr 0xfff
	v_fma_f32 v10, -v8, v9, 1.0
	v_fmac_f32_e32 v9, v10, v9
	s_delay_alu instid0(VALU_DEP_1) | instskip(NEXT) | instid1(VALU_DEP_1)
	v_mul_f32_e32 v10, v11, v9
	v_fma_f32 v12, -v8, v10, v11
	s_delay_alu instid0(VALU_DEP_1) | instskip(NEXT) | instid1(VALU_DEP_1)
	v_fmac_f32_e32 v10, v12, v9
	v_fma_f32 v8, -v8, v10, v11
	s_delay_alu instid0(VALU_DEP_1) | instskip(SKIP_2) | instid1(VALU_DEP_3)
	v_div_fmas_f32 v8, v8, v9, v10
	v_add_f32_e32 v9, 0, v5
	v_fma_f32 v5, v5, 0, -1.0
	v_div_fixup_f32 v7, v8, v7, 1.0
	s_delay_alu instid0(VALU_DEP_1) | instskip(NEXT) | instid1(VALU_DEP_4)
	v_mul_f32_e32 v11, v5, v7
	v_mul_f32_e32 v10, v9, v7
.LBB181_282:
	s_or_b32 exec_lo, exec_lo, s1
	s_delay_alu instid0(VALU_DEP_1) | instskip(NEXT) | instid1(VALU_DEP_2)
	v_cvt_f16_f32_e32 v5, v11
	v_cvt_f16_f32_e32 v7, v10
	s_delay_alu instid0(VALU_DEP_2) | instskip(NEXT) | instid1(VALU_DEP_2)
	v_lshlrev_b32_e32 v5, 16, v5
	v_and_b32_e32 v7, 0xffff, v7
	s_delay_alu instid0(VALU_DEP_1)
	v_or_b32_e32 v7, v5, v7
.LBB181_283:
	s_or_b32 exec_lo, exec_lo, s3
	v_or_b32_e32 v5, 0x300, v0
	s_delay_alu instid0(VALU_DEP_1)
	v_cmp_gt_i32_e32 vcc_lo, s10, v5
                                        ; implicit-def: $vgpr5
	s_and_saveexec_b32 s3, vcc_lo
	s_cbranch_execz .LBB181_296
; %bb.284:
	v_lshrrev_b32_e32 v5, 16, v2
	v_cmp_neq_f16_e32 vcc_lo, 0, v2
	v_mov_b32_e32 v8, 0
	s_delay_alu instid0(VALU_DEP_3) | instskip(SKIP_1) | instid1(VALU_DEP_2)
	v_cmp_neq_f16_e64 s1, 0, v5
	v_cvt_f32_f16_e32 v5, v5
	s_or_b32 s1, vcc_lo, s1
	s_delay_alu instid0(SALU_CYCLE_1)
	s_and_saveexec_b32 s6, s1
	s_cbranch_execz .LBB181_318
; %bb.285:
	v_mov_b32_e32 v8, 0x7f800000
	s_mov_b32 s7, exec_lo
	v_cmpx_neq_f32_e64 0x7f800000, |v5|
	s_cbranch_execz .LBB181_317
; %bb.286:
	v_cvt_f32_f16_e32 v8, v2
	s_mov_b32 s1, exec_lo
	v_cmpx_o_f16_e32 v2, v2
	s_xor_b32 s9, exec_lo, s1
	s_cbranch_execz .LBB181_314
; %bb.287:
	s_mov_b32 s2, exec_lo
	v_cmpx_neq_f32_e64 0x7f800000, |v8|
	s_xor_b32 s11, exec_lo, s2
	s_cbranch_execz .LBB181_307
; %bb.288:
	v_max_f32_e64 v2, |v5|, |v5|
	v_max_f32_e64 v9, |v8|, |v8|
                                        ; implicit-def: $sgpr12
	s_delay_alu instid0(VALU_DEP_1) | instskip(NEXT) | instid1(VALU_DEP_1)
	v_max_f32_e32 v2, v9, v2
	v_cmp_nle_f32_e64 s1, 0x7ed413cb, v2
	s_delay_alu instid0(VALU_DEP_1) | instskip(NEXT) | instid1(SALU_CYCLE_1)
	s_and_saveexec_b32 s2, s1
	s_xor_b32 s2, exec_lo, s2
	s_cbranch_execz .LBB181_292
; %bb.289:
	v_cmp_ge_f32_e64 s12, 0x1000000, |v8|
	v_cmp_ge_f32_e64 s13, 0x1000000, |v5|
	s_delay_alu instid0(VALU_DEP_1)
	s_and_b32 s14, s12, s13
	s_mov_b32 s12, 0
	s_and_saveexec_b32 s13, s14
; %bb.290:
	v_dual_mul_f32 v8, 4.0, v8 :: v_dual_mul_f32 v5, 4.0, v5
	s_mov_b32 s12, exec_lo
; %bb.291:
	s_or_b32 exec_lo, exec_lo, s13
	s_delay_alu instid0(SALU_CYCLE_1)
	s_and_b32 s12, s12, exec_lo
.LBB181_292:
	s_and_not1_saveexec_b32 s2, s2
; %bb.293:
	v_dual_mul_f32 v8, 0x3e800000, v8 :: v_dual_mul_f32 v5, 0x3e800000, v5
	s_and_not1_b32 s12, s12, exec_lo
; %bb.294:
	s_or_b32 exec_lo, exec_lo, s2
	s_delay_alu instid0(VALU_DEP_1) | instskip(NEXT) | instid1(VALU_DEP_2)
	v_max_f32_e64 v2, |v5|, |v5|
	v_max_f32_e64 v9, |v8|, |v8|
	s_delay_alu instid0(VALU_DEP_1) | instskip(NEXT) | instid1(VALU_DEP_1)
	v_max_f32_e32 v2, v9, v2
	v_cvt_f64_f32_e32 v[9:10], v2
	s_delay_alu instid0(VALU_DEP_1) | instskip(NEXT) | instid1(VALU_DEP_1)
	v_frexp_exp_i32_f64_e32 v9, v[9:10]
	v_sub_nc_u32_e32 v10, 0, v9
	s_delay_alu instid0(VALU_DEP_1) | instskip(SKIP_1) | instid1(VALU_DEP_2)
	v_ldexp_f32 v11, |v5|, v10
	v_ldexp_f32 v10, |v8|, v10
	v_mul_f32_e32 v11, v11, v11
	v_cmp_neq_f32_e64 s2, 0x7f800000, v2
                                        ; implicit-def: $vgpr2
	s_delay_alu instid0(VALU_DEP_2) | instskip(NEXT) | instid1(VALU_DEP_1)
	v_fmac_f32_e32 v11, v10, v10
	v_sqrt_f32_e32 v10, v11
	s_waitcnt_depctr 0xfff
	v_ldexp_f32 v9, v10, v9
	s_delay_alu instid0(VALU_DEP_1)
	v_cndmask_b32_e64 v10, 0x7f800000, v9, s2
                                        ; implicit-def: $vgpr9
	s_mov_b32 s2, exec_lo
	v_cmpx_le_f32_e32 0, v8
	s_xor_b32 s13, exec_lo, s2
	s_cbranch_execz .LBB181_300
; %bb.295:
	v_add_f32_e32 v2, v8, v10
	s_delay_alu instid0(VALU_DEP_1) | instskip(NEXT) | instid1(VALU_DEP_1)
	v_mul_f32_e32 v2, 0.5, v2
	v_mul_f32_e32 v8, 0x4f800000, v2
	v_cmp_gt_f32_e32 vcc_lo, 0xf800000, v2
	s_delay_alu instid0(VALU_DEP_2) | instskip(NEXT) | instid1(VALU_DEP_1)
	v_cndmask_b32_e32 v2, v2, v8, vcc_lo
	v_sqrt_f32_e32 v8, v2
	s_waitcnt_depctr 0xfff
	v_add_nc_u32_e32 v9, -1, v8
	v_add_nc_u32_e32 v10, 1, v8
	s_delay_alu instid0(VALU_DEP_2) | instskip(NEXT) | instid1(VALU_DEP_2)
	v_fma_f32 v11, -v9, v8, v2
	v_fma_f32 v12, -v10, v8, v2
	s_delay_alu instid0(VALU_DEP_2) | instskip(NEXT) | instid1(VALU_DEP_1)
	v_cmp_ge_f32_e64 s2, 0, v11
	v_cndmask_b32_e64 v8, v8, v9, s2
	s_delay_alu instid0(VALU_DEP_3) | instskip(NEXT) | instid1(VALU_DEP_1)
	v_cmp_lt_f32_e64 s2, 0, v12
	v_cndmask_b32_e64 v8, v8, v10, s2
	s_delay_alu instid0(VALU_DEP_1) | instskip(NEXT) | instid1(VALU_DEP_1)
	v_mul_f32_e32 v9, 0x37800000, v8
	v_cndmask_b32_e32 v8, v8, v9, vcc_lo
	v_cmp_class_f32_e64 vcc_lo, v2, 0x260
	s_delay_alu instid0(VALU_DEP_2) | instskip(NEXT) | instid1(VALU_DEP_1)
	v_cndmask_b32_e32 v2, v8, v2, vcc_lo
	v_add_f32_e32 v8, v2, v2
	s_delay_alu instid0(VALU_DEP_1) | instskip(NEXT) | instid1(VALU_DEP_1)
	v_div_scale_f32 v9, null, v8, v8, v5
	v_rcp_f32_e32 v10, v9
	s_waitcnt_depctr 0xfff
	v_fma_f32 v11, -v9, v10, 1.0
	s_delay_alu instid0(VALU_DEP_1) | instskip(SKIP_1) | instid1(VALU_DEP_1)
	v_fmac_f32_e32 v10, v11, v10
	v_div_scale_f32 v11, vcc_lo, v5, v8, v5
	v_mul_f32_e32 v12, v11, v10
	s_delay_alu instid0(VALU_DEP_1) | instskip(NEXT) | instid1(VALU_DEP_1)
	v_fma_f32 v13, -v9, v12, v11
	v_fmac_f32_e32 v12, v13, v10
	s_delay_alu instid0(VALU_DEP_1) | instskip(NEXT) | instid1(VALU_DEP_1)
	v_fma_f32 v9, -v9, v12, v11
	v_div_fmas_f32 v9, v9, v10, v12
                                        ; implicit-def: $vgpr10
	s_delay_alu instid0(VALU_DEP_1)
	v_div_fixup_f32 v9, v9, v8, v5
                                        ; implicit-def: $vgpr8
                                        ; implicit-def: $vgpr5
	s_and_not1_saveexec_b32 s13, s13
	s_cbranch_execz .LBB181_302
	s_branch .LBB181_301
.LBB181_296:
	s_or_b32 exec_lo, exec_lo, s3
	s_and_saveexec_b32 s1, s0
	s_delay_alu instid0(SALU_CYCLE_1)
	s_xor_b32 s0, exec_lo, s1
	s_cbranch_execz .LBB181_327
.LBB181_297:
	v_mov_b32_e32 v2, 0
	s_delay_alu instid0(VALU_DEP_1) | instskip(NEXT) | instid1(VALU_DEP_1)
	v_lshlrev_b64 v[0:1], 2, v[1:2]
	v_add_co_u32 v8, vcc_lo, s4, v0
	s_delay_alu instid0(VALU_DEP_2) | instskip(SKIP_3) | instid1(SALU_CYCLE_1)
	v_add_co_ci_u32_e32 v9, vcc_lo, s5, v1, vcc_lo
	v_mov_b32_e32 v0, v3
	global_store_b32 v[8:9], v4, off
	s_or_b32 exec_lo, exec_lo, s0
	s_mov_b32 s0, exec_lo
	v_cmpx_gt_i32_e64 s10, v0
	s_cbranch_execnz .LBB181_328
.LBB181_298:
	s_or_b32 exec_lo, exec_lo, s0
	s_delay_alu instid0(SALU_CYCLE_1)
	s_mov_b32 s0, exec_lo
	v_cmpx_gt_i32_e64 s10, v0
	s_cbranch_execz .LBB181_329
.LBB181_299:
	v_dual_mov_b32 v2, 0 :: v_dual_add_nc_u32 v1, s8, v0
	v_add_nc_u32_e32 v0, 0x100, v0
	s_delay_alu instid0(VALU_DEP_2) | instskip(NEXT) | instid1(VALU_DEP_1)
	v_lshlrev_b64 v[1:2], 2, v[1:2]
	v_add_co_u32 v1, vcc_lo, s4, v1
	s_delay_alu instid0(VALU_DEP_2) | instskip(SKIP_2) | instid1(SALU_CYCLE_1)
	v_add_co_ci_u32_e32 v2, vcc_lo, s5, v2, vcc_lo
	global_store_b32 v[1:2], v7, off
	s_or_b32 exec_lo, exec_lo, s0
	s_mov_b32 s0, exec_lo
	v_cmpx_gt_i32_e64 s10, v0
	s_cbranch_execnz .LBB181_330
	s_branch .LBB181_331
.LBB181_300:
	s_and_not1_saveexec_b32 s13, s13
	s_cbranch_execz .LBB181_302
.LBB181_301:
	v_sub_f32_e32 v2, v10, v8
	s_delay_alu instid0(VALU_DEP_1) | instskip(NEXT) | instid1(VALU_DEP_1)
	v_mul_f32_e32 v2, 0.5, v2
	v_mul_f32_e32 v8, 0x4f800000, v2
	v_cmp_gt_f32_e32 vcc_lo, 0xf800000, v2
	s_delay_alu instid0(VALU_DEP_2) | instskip(NEXT) | instid1(VALU_DEP_1)
	v_cndmask_b32_e32 v2, v2, v8, vcc_lo
	v_sqrt_f32_e32 v8, v2
	s_waitcnt_depctr 0xfff
	v_add_nc_u32_e32 v9, -1, v8
	v_add_nc_u32_e32 v10, 1, v8
	s_delay_alu instid0(VALU_DEP_2) | instskip(NEXT) | instid1(VALU_DEP_2)
	v_fma_f32 v11, -v9, v8, v2
	v_fma_f32 v12, -v10, v8, v2
	s_delay_alu instid0(VALU_DEP_2) | instskip(NEXT) | instid1(VALU_DEP_1)
	v_cmp_ge_f32_e64 s2, 0, v11
	v_cndmask_b32_e64 v8, v8, v9, s2
	s_delay_alu instid0(VALU_DEP_3) | instskip(NEXT) | instid1(VALU_DEP_1)
	v_cmp_lt_f32_e64 s2, 0, v12
	v_cndmask_b32_e64 v8, v8, v10, s2
	s_delay_alu instid0(VALU_DEP_1) | instskip(NEXT) | instid1(VALU_DEP_1)
	v_mul_f32_e32 v9, 0x37800000, v8
	v_cndmask_b32_e32 v8, v8, v9, vcc_lo
	v_cmp_class_f32_e64 vcc_lo, v2, 0x260
	s_delay_alu instid0(VALU_DEP_2) | instskip(NEXT) | instid1(VALU_DEP_1)
	v_cndmask_b32_e32 v8, v8, v2, vcc_lo
	v_dual_add_f32 v9, v8, v8 :: v_dual_and_b32 v2, 0x7fffffff, v5
	s_delay_alu instid0(VALU_DEP_1) | instskip(SKIP_1) | instid1(VALU_DEP_2)
	v_div_scale_f32 v10, null, v9, v9, v2
	v_div_scale_f32 v2, vcc_lo, v2, v9, v2
	v_rcp_f32_e32 v11, v10
	s_waitcnt_depctr 0xfff
	v_fma_f32 v12, -v10, v11, 1.0
	s_delay_alu instid0(VALU_DEP_1) | instskip(NEXT) | instid1(VALU_DEP_1)
	v_fmac_f32_e32 v11, v12, v11
	v_mul_f32_e32 v12, v2, v11
	s_delay_alu instid0(VALU_DEP_1) | instskip(NEXT) | instid1(VALU_DEP_1)
	v_fma_f32 v13, -v10, v12, v2
	v_fmac_f32_e32 v12, v13, v11
	s_delay_alu instid0(VALU_DEP_1) | instskip(NEXT) | instid1(VALU_DEP_1)
	v_fma_f32 v2, -v10, v12, v2
	v_div_fmas_f32 v2, v2, v11, v12
	s_delay_alu instid0(VALU_DEP_1)
	v_div_fixup_f32 v2, v2, v9, |v5|
	v_bfi_b32 v9, 0x7fffffff, v8, v5
.LBB181_302:
	s_or_b32 exec_lo, exec_lo, s13
                                        ; implicit-def: $vgpr5
                                        ; implicit-def: $vgpr8
	s_and_saveexec_b32 s2, s1
	s_delay_alu instid0(SALU_CYCLE_1)
	s_xor_b32 s1, exec_lo, s2
	s_cbranch_execz .LBB181_304
; %bb.303:
	v_dual_mul_f32 v5, 0.5, v2 :: v_dual_mul_f32 v10, 0.5, v9
	s_delay_alu instid0(VALU_DEP_1) | instskip(NEXT) | instid1(VALU_DEP_2)
	v_cndmask_b32_e64 v8, v2, v5, s12
	v_cndmask_b32_e64 v5, v9, v10, s12
                                        ; implicit-def: $vgpr2
                                        ; implicit-def: $vgpr9
	s_and_not1_saveexec_b32 s1, s1
	s_cbranch_execnz .LBB181_305
	s_branch .LBB181_306
.LBB181_304:
	s_and_not1_saveexec_b32 s1, s1
.LBB181_305:
	v_dual_add_f32 v8, v2, v2 :: v_dual_add_f32 v5, v9, v9
.LBB181_306:
	s_or_b32 exec_lo, exec_lo, s1
                                        ; implicit-def: $vgpr2
.LBB181_307:
	s_and_not1_saveexec_b32 s1, s11
	s_cbranch_execz .LBB181_313
; %bb.308:
	v_cmp_lt_i16_e32 vcc_lo, -1, v2
	v_sub_f32_e32 v2, v5, v5
	s_and_saveexec_b32 s2, vcc_lo
	s_delay_alu instid0(SALU_CYCLE_1)
	s_xor_b32 s2, exec_lo, s2
; %bb.309:
	s_delay_alu instid0(VALU_DEP_1)
	v_bfi_b32 v5, 0x7fffffff, v2, v5
                                        ; implicit-def: $vgpr2
; %bb.310:
	s_and_not1_saveexec_b32 s2, s2
; %bb.311:
	v_and_b32_e32 v2, 0x7fffffff, v2
	s_delay_alu instid0(VALU_DEP_2) | instskip(NEXT) | instid1(VALU_DEP_2)
	v_bfi_b32 v5, 0x7fffffff, v8, v5
	v_mov_b32_e32 v8, v2
; %bb.312:
	s_or_b32 exec_lo, exec_lo, s2
.LBB181_313:
	s_delay_alu instid0(SALU_CYCLE_1)
	s_or_b32 exec_lo, exec_lo, s1
.LBB181_314:
	s_and_not1_saveexec_b32 s1, s9
; %bb.315:
	v_sub_f32_e32 v2, v5, v5
	s_delay_alu instid0(VALU_DEP_1) | instskip(NEXT) | instid1(VALU_DEP_1)
	v_div_scale_f32 v5, vcc_lo, v2, v2, v2
	v_rcp_f32_e32 v9, v5
	s_waitcnt_depctr 0xfff
	v_fma_f32 v10, -v5, v9, 1.0
	s_delay_alu instid0(VALU_DEP_1) | instskip(NEXT) | instid1(VALU_DEP_1)
	v_fmac_f32_e32 v9, v10, v9
	v_mul_f32_e32 v10, v5, v9
	s_delay_alu instid0(VALU_DEP_1) | instskip(NEXT) | instid1(VALU_DEP_1)
	v_fma_f32 v11, -v5, v10, v5
	v_fmac_f32_e32 v10, v11, v9
	s_delay_alu instid0(VALU_DEP_1) | instskip(NEXT) | instid1(VALU_DEP_1)
	v_fma_f32 v5, -v5, v10, v5
	v_div_fmas_f32 v5, v5, v9, v10
	s_delay_alu instid0(VALU_DEP_1)
	v_div_fixup_f32 v5, v5, v2, v2
; %bb.316:
	s_or_b32 exec_lo, exec_lo, s1
.LBB181_317:
	s_delay_alu instid0(SALU_CYCLE_1)
	s_or_b32 exec_lo, exec_lo, s7
.LBB181_318:
	s_delay_alu instid0(SALU_CYCLE_1)
	s_or_b32 exec_lo, exec_lo, s6
	v_cmp_gt_f32_e32 vcc_lo, 0, v8
                                        ; implicit-def: $vgpr11
                                        ; implicit-def: $vgpr10
	s_mov_b32 s1, exec_lo
	v_cndmask_b32_e64 v2, v8, -v8, vcc_lo
	v_cmp_gt_f32_e32 vcc_lo, 0, v5
	v_cndmask_b32_e64 v9, v5, -v5, vcc_lo
	s_delay_alu instid0(VALU_DEP_1)
	v_cmpx_ge_f32_e32 v2, v9
	s_xor_b32 s2, exec_lo, s1
	s_cbranch_execz .LBB181_324
; %bb.319:
	v_cmp_neq_f32_e32 vcc_lo, 0, v8
	v_cmp_neq_f32_e64 s1, 0, v5
                                        ; implicit-def: $vgpr11
                                        ; implicit-def: $vgpr10
	s_delay_alu instid0(VALU_DEP_1) | instskip(NEXT) | instid1(SALU_CYCLE_1)
	s_or_b32 s1, vcc_lo, s1
	s_and_saveexec_b32 s6, s1
	s_delay_alu instid0(SALU_CYCLE_1)
	s_xor_b32 s1, exec_lo, s6
	s_cbranch_execz .LBB181_321
; %bb.320:
	v_div_scale_f32 v2, null, v8, v8, v5
	v_div_scale_f32 v11, vcc_lo, v5, v8, v5
	s_delay_alu instid0(VALU_DEP_2) | instskip(SKIP_2) | instid1(VALU_DEP_1)
	v_rcp_f32_e32 v9, v2
	s_waitcnt_depctr 0xfff
	v_fma_f32 v10, -v2, v9, 1.0
	v_fmac_f32_e32 v9, v10, v9
	s_delay_alu instid0(VALU_DEP_1) | instskip(NEXT) | instid1(VALU_DEP_1)
	v_mul_f32_e32 v10, v11, v9
	v_fma_f32 v12, -v2, v10, v11
	s_delay_alu instid0(VALU_DEP_1) | instskip(NEXT) | instid1(VALU_DEP_1)
	v_fmac_f32_e32 v10, v12, v9
	v_fma_f32 v2, -v2, v10, v11
	s_delay_alu instid0(VALU_DEP_1) | instskip(NEXT) | instid1(VALU_DEP_1)
	v_div_fmas_f32 v2, v2, v9, v10
	v_div_fixup_f32 v2, v2, v8, v5
	s_delay_alu instid0(VALU_DEP_1) | instskip(NEXT) | instid1(VALU_DEP_1)
	v_fmac_f32_e32 v8, v5, v2
	v_div_scale_f32 v5, null, v8, v8, 1.0
	v_div_scale_f32 v11, vcc_lo, 1.0, v8, 1.0
	s_delay_alu instid0(VALU_DEP_2) | instskip(SKIP_2) | instid1(VALU_DEP_1)
	v_rcp_f32_e32 v9, v5
	s_waitcnt_depctr 0xfff
	v_fma_f32 v10, -v5, v9, 1.0
	v_fmac_f32_e32 v9, v10, v9
	s_delay_alu instid0(VALU_DEP_1) | instskip(NEXT) | instid1(VALU_DEP_1)
	v_mul_f32_e32 v10, v11, v9
	v_fma_f32 v12, -v5, v10, v11
	s_delay_alu instid0(VALU_DEP_1) | instskip(NEXT) | instid1(VALU_DEP_1)
	v_fmac_f32_e32 v10, v12, v9
	v_fma_f32 v5, -v5, v10, v11
	s_delay_alu instid0(VALU_DEP_1) | instskip(SKIP_1) | instid1(VALU_DEP_2)
	v_div_fmas_f32 v5, v5, v9, v10
	v_fma_f32 v9, v2, 0, 1.0
	v_div_fixup_f32 v5, v5, v8, 1.0
	s_delay_alu instid0(VALU_DEP_1)
	v_mul_f32_e32 v10, v9, v5
	v_mul_f32_e64 v11, -v2, v5
                                        ; implicit-def: $vgpr2
                                        ; implicit-def: $vgpr9
.LBB181_321:
	s_and_not1_saveexec_b32 s6, s1
	s_cbranch_execz .LBB181_323
; %bb.322:
	v_div_scale_f32 v5, null, v2, v2, 1.0
	v_div_scale_f32 v8, null, v9, v9, 0
	v_div_scale_f32 v14, vcc_lo, 1.0, v2, 1.0
	s_delay_alu instid0(VALU_DEP_3) | instskip(NEXT) | instid1(VALU_DEP_2)
	v_rcp_f32_e32 v10, v5
	v_rcp_f32_e32 v11, v8
	s_waitcnt_depctr 0xfff
	v_fma_f32 v12, -v5, v10, 1.0
	v_fma_f32 v13, -v8, v11, 1.0
	s_delay_alu instid0(VALU_DEP_1) | instskip(SKIP_1) | instid1(VALU_DEP_2)
	v_dual_fmac_f32 v10, v12, v10 :: v_dual_fmac_f32 v11, v13, v11
	v_div_scale_f32 v12, s1, 0, v9, 0
	v_mul_f32_e32 v13, v14, v10
	s_delay_alu instid0(VALU_DEP_2) | instskip(NEXT) | instid1(VALU_DEP_2)
	v_mul_f32_e32 v15, v12, v11
	v_fma_f32 v16, -v5, v13, v14
	s_delay_alu instid0(VALU_DEP_2) | instskip(NEXT) | instid1(VALU_DEP_2)
	v_fma_f32 v17, -v8, v15, v12
	v_fmac_f32_e32 v13, v16, v10
	s_delay_alu instid0(VALU_DEP_2) | instskip(NEXT) | instid1(VALU_DEP_2)
	v_fmac_f32_e32 v15, v17, v11
	v_fma_f32 v5, -v5, v13, v14
	s_delay_alu instid0(VALU_DEP_2) | instskip(NEXT) | instid1(VALU_DEP_2)
	v_fma_f32 v8, -v8, v15, v12
	v_div_fmas_f32 v5, v5, v10, v13
	s_mov_b32 vcc_lo, s1
	s_delay_alu instid0(VALU_DEP_2) | instskip(NEXT) | instid1(VALU_DEP_2)
	v_div_fmas_f32 v8, v8, v11, v15
	v_div_fixup_f32 v10, v5, v2, 1.0
	s_delay_alu instid0(VALU_DEP_2)
	v_div_fixup_f32 v11, v8, v9, 0
.LBB181_323:
	s_or_b32 exec_lo, exec_lo, s6
                                        ; implicit-def: $vgpr5
                                        ; implicit-def: $vgpr8
.LBB181_324:
	s_and_not1_saveexec_b32 s1, s2
	s_cbranch_execz .LBB181_326
; %bb.325:
	v_div_scale_f32 v2, null, v5, v5, v8
	v_div_scale_f32 v11, vcc_lo, v8, v5, v8
	s_delay_alu instid0(VALU_DEP_2) | instskip(SKIP_2) | instid1(VALU_DEP_1)
	v_rcp_f32_e32 v9, v2
	s_waitcnt_depctr 0xfff
	v_fma_f32 v10, -v2, v9, 1.0
	v_fmac_f32_e32 v9, v10, v9
	s_delay_alu instid0(VALU_DEP_1) | instskip(NEXT) | instid1(VALU_DEP_1)
	v_mul_f32_e32 v10, v11, v9
	v_fma_f32 v12, -v2, v10, v11
	s_delay_alu instid0(VALU_DEP_1) | instskip(NEXT) | instid1(VALU_DEP_1)
	v_fmac_f32_e32 v10, v12, v9
	v_fma_f32 v2, -v2, v10, v11
	s_delay_alu instid0(VALU_DEP_1) | instskip(NEXT) | instid1(VALU_DEP_1)
	v_div_fmas_f32 v2, v2, v9, v10
	v_div_fixup_f32 v2, v2, v5, v8
	s_delay_alu instid0(VALU_DEP_1) | instskip(NEXT) | instid1(VALU_DEP_1)
	v_fmac_f32_e32 v5, v8, v2
	v_div_scale_f32 v8, null, v5, v5, 1.0
	v_div_scale_f32 v11, vcc_lo, 1.0, v5, 1.0
	s_delay_alu instid0(VALU_DEP_2) | instskip(SKIP_2) | instid1(VALU_DEP_1)
	v_rcp_f32_e32 v9, v8
	s_waitcnt_depctr 0xfff
	v_fma_f32 v10, -v8, v9, 1.0
	v_fmac_f32_e32 v9, v10, v9
	s_delay_alu instid0(VALU_DEP_1) | instskip(NEXT) | instid1(VALU_DEP_1)
	v_mul_f32_e32 v10, v11, v9
	v_fma_f32 v12, -v8, v10, v11
	s_delay_alu instid0(VALU_DEP_1) | instskip(NEXT) | instid1(VALU_DEP_1)
	v_fmac_f32_e32 v10, v12, v9
	v_fma_f32 v8, -v8, v10, v11
	s_delay_alu instid0(VALU_DEP_1) | instskip(SKIP_2) | instid1(VALU_DEP_3)
	v_div_fmas_f32 v8, v8, v9, v10
	v_add_f32_e32 v9, 0, v2
	v_fma_f32 v2, v2, 0, -1.0
	v_div_fixup_f32 v5, v8, v5, 1.0
	s_delay_alu instid0(VALU_DEP_1) | instskip(NEXT) | instid1(VALU_DEP_3)
	v_mul_f32_e32 v10, v9, v5
	v_mul_f32_e32 v11, v2, v5
.LBB181_326:
	s_or_b32 exec_lo, exec_lo, s1
	s_delay_alu instid0(VALU_DEP_1) | instskip(NEXT) | instid1(VALU_DEP_3)
	v_cvt_f16_f32_e32 v2, v11
	v_cvt_f16_f32_e32 v5, v10
	s_delay_alu instid0(VALU_DEP_2) | instskip(NEXT) | instid1(VALU_DEP_2)
	v_lshlrev_b32_e32 v2, 16, v2
	v_and_b32_e32 v5, 0xffff, v5
	s_delay_alu instid0(VALU_DEP_1) | instskip(SKIP_2) | instid1(SALU_CYCLE_1)
	v_or_b32_e32 v5, v2, v5
	s_or_b32 exec_lo, exec_lo, s3
	s_and_saveexec_b32 s1, s0
	s_xor_b32 s0, exec_lo, s1
	s_cbranch_execnz .LBB181_297
.LBB181_327:
	s_or_b32 exec_lo, exec_lo, s0
	s_delay_alu instid0(SALU_CYCLE_1)
	s_mov_b32 s0, exec_lo
	v_cmpx_gt_i32_e64 s10, v0
	s_cbranch_execz .LBB181_298
.LBB181_328:
	v_dual_mov_b32 v2, 0 :: v_dual_add_nc_u32 v1, s8, v0
	v_add_nc_u32_e32 v0, 0x100, v0
	s_delay_alu instid0(VALU_DEP_2) | instskip(NEXT) | instid1(VALU_DEP_1)
	v_lshlrev_b64 v[1:2], 2, v[1:2]
	v_add_co_u32 v1, vcc_lo, s4, v1
	s_delay_alu instid0(VALU_DEP_2) | instskip(SKIP_2) | instid1(SALU_CYCLE_1)
	v_add_co_ci_u32_e32 v2, vcc_lo, s5, v2, vcc_lo
	global_store_b32 v[1:2], v6, off
	s_or_b32 exec_lo, exec_lo, s0
	s_mov_b32 s0, exec_lo
	v_cmpx_gt_i32_e64 s10, v0
	s_cbranch_execnz .LBB181_299
.LBB181_329:
	s_or_b32 exec_lo, exec_lo, s0
	s_delay_alu instid0(SALU_CYCLE_1)
	s_mov_b32 s0, exec_lo
	v_cmpx_gt_i32_e64 s10, v0
	s_cbranch_execz .LBB181_331
.LBB181_330:
	v_dual_mov_b32 v1, 0 :: v_dual_add_nc_u32 v0, s8, v0
	s_delay_alu instid0(VALU_DEP_1) | instskip(NEXT) | instid1(VALU_DEP_1)
	v_lshlrev_b64 v[0:1], 2, v[0:1]
	v_add_co_u32 v0, vcc_lo, s4, v0
	s_delay_alu instid0(VALU_DEP_2)
	v_add_co_ci_u32_e32 v1, vcc_lo, s5, v1, vcc_lo
	global_store_b32 v[0:1], v5, off
.LBB181_331:
	s_nop 0
	s_sendmsg sendmsg(MSG_DEALLOC_VGPRS)
	s_endpgm
	.section	.rodata,"a",@progbits
	.p2align	6, 0x0
	.amdhsa_kernel _ZN2at6native29vectorized_elementwise_kernelILi2EZZZNS0_17rsqrt_kernel_cudaERNS_18TensorIteratorBaseEENKUlvE_clEvENKUlvE1_clEvEUlN3c107complexINS6_4HalfEEEE_St5arrayIPcLm2EEEEviT0_T1_
		.amdhsa_group_segment_fixed_size 0
		.amdhsa_private_segment_fixed_size 0
		.amdhsa_kernarg_size 24
		.amdhsa_user_sgpr_count 15
		.amdhsa_user_sgpr_dispatch_ptr 0
		.amdhsa_user_sgpr_queue_ptr 0
		.amdhsa_user_sgpr_kernarg_segment_ptr 1
		.amdhsa_user_sgpr_dispatch_id 0
		.amdhsa_user_sgpr_private_segment_size 0
		.amdhsa_wavefront_size32 1
		.amdhsa_uses_dynamic_stack 0
		.amdhsa_enable_private_segment 0
		.amdhsa_system_sgpr_workgroup_id_x 1
		.amdhsa_system_sgpr_workgroup_id_y 0
		.amdhsa_system_sgpr_workgroup_id_z 0
		.amdhsa_system_sgpr_workgroup_info 0
		.amdhsa_system_vgpr_workitem_id 0
		.amdhsa_next_free_vgpr 20
		.amdhsa_next_free_sgpr 17
		.amdhsa_reserve_vcc 1
		.amdhsa_float_round_mode_32 0
		.amdhsa_float_round_mode_16_64 0
		.amdhsa_float_denorm_mode_32 3
		.amdhsa_float_denorm_mode_16_64 3
		.amdhsa_dx10_clamp 1
		.amdhsa_ieee_mode 1
		.amdhsa_fp16_overflow 0
		.amdhsa_workgroup_processor_mode 1
		.amdhsa_memory_ordered 1
		.amdhsa_forward_progress 0
		.amdhsa_shared_vgpr_count 0
		.amdhsa_exception_fp_ieee_invalid_op 0
		.amdhsa_exception_fp_denorm_src 0
		.amdhsa_exception_fp_ieee_div_zero 0
		.amdhsa_exception_fp_ieee_overflow 0
		.amdhsa_exception_fp_ieee_underflow 0
		.amdhsa_exception_fp_ieee_inexact 0
		.amdhsa_exception_int_div_zero 0
	.end_amdhsa_kernel
	.section	.text._ZN2at6native29vectorized_elementwise_kernelILi2EZZZNS0_17rsqrt_kernel_cudaERNS_18TensorIteratorBaseEENKUlvE_clEvENKUlvE1_clEvEUlN3c107complexINS6_4HalfEEEE_St5arrayIPcLm2EEEEviT0_T1_,"axG",@progbits,_ZN2at6native29vectorized_elementwise_kernelILi2EZZZNS0_17rsqrt_kernel_cudaERNS_18TensorIteratorBaseEENKUlvE_clEvENKUlvE1_clEvEUlN3c107complexINS6_4HalfEEEE_St5arrayIPcLm2EEEEviT0_T1_,comdat
.Lfunc_end181:
	.size	_ZN2at6native29vectorized_elementwise_kernelILi2EZZZNS0_17rsqrt_kernel_cudaERNS_18TensorIteratorBaseEENKUlvE_clEvENKUlvE1_clEvEUlN3c107complexINS6_4HalfEEEE_St5arrayIPcLm2EEEEviT0_T1_, .Lfunc_end181-_ZN2at6native29vectorized_elementwise_kernelILi2EZZZNS0_17rsqrt_kernel_cudaERNS_18TensorIteratorBaseEENKUlvE_clEvENKUlvE1_clEvEUlN3c107complexINS6_4HalfEEEE_St5arrayIPcLm2EEEEviT0_T1_
                                        ; -- End function
	.section	.AMDGPU.csdata,"",@progbits
; Kernel info:
; codeLenInByte = 16672
; NumSgprs: 19
; NumVgprs: 20
; ScratchSize: 0
; MemoryBound: 0
; FloatMode: 240
; IeeeMode: 1
; LDSByteSize: 0 bytes/workgroup (compile time only)
; SGPRBlocks: 2
; VGPRBlocks: 2
; NumSGPRsForWavesPerEU: 19
; NumVGPRsForWavesPerEU: 20
; Occupancy: 16
; WaveLimiterHint : 1
; COMPUTE_PGM_RSRC2:SCRATCH_EN: 0
; COMPUTE_PGM_RSRC2:USER_SGPR: 15
; COMPUTE_PGM_RSRC2:TRAP_HANDLER: 0
; COMPUTE_PGM_RSRC2:TGID_X_EN: 1
; COMPUTE_PGM_RSRC2:TGID_Y_EN: 0
; COMPUTE_PGM_RSRC2:TGID_Z_EN: 0
; COMPUTE_PGM_RSRC2:TIDIG_COMP_CNT: 0
	.section	.text._ZN2at6native27unrolled_elementwise_kernelIZZZNS0_17rsqrt_kernel_cudaERNS_18TensorIteratorBaseEENKUlvE_clEvENKUlvE1_clEvEUlN3c107complexINS6_4HalfEEEE_St5arrayIPcLm2EELi4E23TrivialOffsetCalculatorILi1EjESF_NS0_6memory15LoadWithoutCastENSG_16StoreWithoutCastEEEviT_T0_T2_T3_T4_T5_,"axG",@progbits,_ZN2at6native27unrolled_elementwise_kernelIZZZNS0_17rsqrt_kernel_cudaERNS_18TensorIteratorBaseEENKUlvE_clEvENKUlvE1_clEvEUlN3c107complexINS6_4HalfEEEE_St5arrayIPcLm2EELi4E23TrivialOffsetCalculatorILi1EjESF_NS0_6memory15LoadWithoutCastENSG_16StoreWithoutCastEEEviT_T0_T2_T3_T4_T5_,comdat
	.globl	_ZN2at6native27unrolled_elementwise_kernelIZZZNS0_17rsqrt_kernel_cudaERNS_18TensorIteratorBaseEENKUlvE_clEvENKUlvE1_clEvEUlN3c107complexINS6_4HalfEEEE_St5arrayIPcLm2EELi4E23TrivialOffsetCalculatorILi1EjESF_NS0_6memory15LoadWithoutCastENSG_16StoreWithoutCastEEEviT_T0_T2_T3_T4_T5_ ; -- Begin function _ZN2at6native27unrolled_elementwise_kernelIZZZNS0_17rsqrt_kernel_cudaERNS_18TensorIteratorBaseEENKUlvE_clEvENKUlvE1_clEvEUlN3c107complexINS6_4HalfEEEE_St5arrayIPcLm2EELi4E23TrivialOffsetCalculatorILi1EjESF_NS0_6memory15LoadWithoutCastENSG_16StoreWithoutCastEEEviT_T0_T2_T3_T4_T5_
	.p2align	8
	.type	_ZN2at6native27unrolled_elementwise_kernelIZZZNS0_17rsqrt_kernel_cudaERNS_18TensorIteratorBaseEENKUlvE_clEvENKUlvE1_clEvEUlN3c107complexINS6_4HalfEEEE_St5arrayIPcLm2EELi4E23TrivialOffsetCalculatorILi1EjESF_NS0_6memory15LoadWithoutCastENSG_16StoreWithoutCastEEEviT_T0_T2_T3_T4_T5_,@function
_ZN2at6native27unrolled_elementwise_kernelIZZZNS0_17rsqrt_kernel_cudaERNS_18TensorIteratorBaseEENKUlvE_clEvENKUlvE1_clEvEUlN3c107complexINS6_4HalfEEEE_St5arrayIPcLm2EELi4E23TrivialOffsetCalculatorILi1EjESF_NS0_6memory15LoadWithoutCastENSG_16StoreWithoutCastEEEviT_T0_T2_T3_T4_T5_: ; @_ZN2at6native27unrolled_elementwise_kernelIZZZNS0_17rsqrt_kernel_cudaERNS_18TensorIteratorBaseEENKUlvE_clEvENKUlvE1_clEvEUlN3c107complexINS6_4HalfEEEE_St5arrayIPcLm2EELi4E23TrivialOffsetCalculatorILi1EjESF_NS0_6memory15LoadWithoutCastENSG_16StoreWithoutCastEEEviT_T0_T2_T3_T4_T5_
; %bb.0:
	s_clause 0x1
	s_load_b32 s2, s[0:1], 0x0
	s_load_b128 s[4:7], s[0:1], 0x8
	s_lshl_b32 s3, s15, 10
	v_dual_mov_b32 v7, 0 :: v_dual_mov_b32 v8, 0
	v_or_b32_e32 v1, s3, v0
	v_or_b32_e32 v3, 0x100, v0
	v_mov_b32_e32 v4, v0
	s_waitcnt lgkmcnt(0)
	s_sub_i32 s8, s2, s3
	s_delay_alu instid0(SALU_CYCLE_1) | instskip(NEXT) | instid1(VALU_DEP_1)
	v_cmp_gt_i32_e64 s0, s8, v0
	s_and_saveexec_b32 s1, s0
	s_cbranch_execz .LBB182_2
; %bb.1:
	v_mov_b32_e32 v2, 0
	s_delay_alu instid0(VALU_DEP_1) | instskip(NEXT) | instid1(VALU_DEP_1)
	v_lshlrev_b64 v[4:5], 2, v[1:2]
	v_add_co_u32 v4, vcc_lo, s6, v4
	s_delay_alu instid0(VALU_DEP_2)
	v_add_co_ci_u32_e32 v5, vcc_lo, s7, v5, vcc_lo
	global_load_b32 v8, v[4:5], off
	v_or_b32_e32 v4, 0x100, v0
.LBB182_2:
	s_or_b32 exec_lo, exec_lo, s1
	s_delay_alu instid0(SALU_CYCLE_1) | instskip(NEXT) | instid1(VALU_DEP_1)
	s_mov_b32 s1, exec_lo
	v_cmpx_gt_i32_e64 s8, v4
	s_cbranch_execz .LBB182_4
; %bb.3:
	v_dual_mov_b32 v6, 0 :: v_dual_add_nc_u32 v5, s3, v4
	v_add_nc_u32_e32 v4, 0x100, v4
	s_delay_alu instid0(VALU_DEP_2) | instskip(NEXT) | instid1(VALU_DEP_1)
	v_lshlrev_b64 v[5:6], 2, v[5:6]
	v_add_co_u32 v5, vcc_lo, s6, v5
	s_delay_alu instid0(VALU_DEP_2)
	v_add_co_ci_u32_e32 v6, vcc_lo, s7, v6, vcc_lo
	global_load_b32 v7, v[5:6], off
.LBB182_4:
	s_or_b32 exec_lo, exec_lo, s1
	v_dual_mov_b32 v2, 0 :: v_dual_mov_b32 v5, 0
	s_mov_b32 s1, exec_lo
	v_cmpx_gt_i32_e64 s8, v4
	s_cbranch_execz .LBB182_8
; %bb.5:
	v_dual_mov_b32 v6, 0 :: v_dual_add_nc_u32 v5, s3, v4
	v_add_nc_u32_e32 v4, 0x100, v4
	s_delay_alu instid0(VALU_DEP_2) | instskip(NEXT) | instid1(VALU_DEP_1)
	v_lshlrev_b64 v[5:6], 2, v[5:6]
	v_add_co_u32 v5, vcc_lo, s6, v5
	s_delay_alu instid0(VALU_DEP_2) | instskip(SKIP_2) | instid1(SALU_CYCLE_1)
	v_add_co_ci_u32_e32 v6, vcc_lo, s7, v6, vcc_lo
	global_load_b32 v5, v[5:6], off
	s_or_b32 exec_lo, exec_lo, s1
	s_mov_b32 s1, exec_lo
	v_cmpx_gt_i32_e64 s8, v4
	s_cbranch_execnz .LBB182_9
.LBB182_6:
	s_or_b32 exec_lo, exec_lo, s1
                                        ; implicit-def: $vgpr4
	s_and_saveexec_b32 s6, s0
	s_cbranch_execnz .LBB182_10
.LBB182_7:
	s_or_b32 exec_lo, exec_lo, s6
	s_delay_alu instid0(SALU_CYCLE_1)
	s_mov_b32 s6, exec_lo
                                        ; implicit-def: $vgpr6
	v_cmpx_gt_i32_e64 s8, v3
	s_cbranch_execz .LBB182_88
	s_branch .LBB182_49
.LBB182_8:
	s_or_b32 exec_lo, exec_lo, s1
	s_delay_alu instid0(SALU_CYCLE_1)
	s_mov_b32 s1, exec_lo
	v_cmpx_gt_i32_e64 s8, v4
	s_cbranch_execz .LBB182_6
.LBB182_9:
	v_dual_mov_b32 v10, 0 :: v_dual_add_nc_u32 v9, s3, v4
	s_delay_alu instid0(VALU_DEP_1) | instskip(NEXT) | instid1(VALU_DEP_1)
	v_lshlrev_b64 v[9:10], 2, v[9:10]
	v_add_co_u32 v9, vcc_lo, s6, v9
	s_delay_alu instid0(VALU_DEP_2)
	v_add_co_ci_u32_e32 v10, vcc_lo, s7, v10, vcc_lo
	global_load_b32 v2, v[9:10], off
	s_or_b32 exec_lo, exec_lo, s1
                                        ; implicit-def: $vgpr4
	s_and_saveexec_b32 s6, s0
	s_cbranch_execz .LBB182_7
.LBB182_10:
	s_waitcnt vmcnt(0)
	v_lshrrev_b32_e32 v4, 16, v8
	v_cmp_neq_f16_e32 vcc_lo, 0, v8
	v_mov_b32_e32 v6, 0
	s_delay_alu instid0(VALU_DEP_3) | instskip(SKIP_1) | instid1(VALU_DEP_2)
	v_cmp_neq_f16_e64 s1, 0, v4
	v_cvt_f32_f16_e32 v4, v4
	s_or_b32 s1, vcc_lo, s1
	s_delay_alu instid0(SALU_CYCLE_1)
	s_and_saveexec_b32 s7, s1
	s_cbranch_execz .LBB182_40
; %bb.11:
	v_mov_b32_e32 v6, 0x7f800000
	s_mov_b32 s9, exec_lo
	v_cmpx_neq_f32_e64 0x7f800000, |v4|
	s_cbranch_execz .LBB182_39
; %bb.12:
	v_cvt_f32_f16_e32 v6, v8
	s_mov_b32 s1, exec_lo
	v_cmpx_o_f16_e32 v8, v8
	s_xor_b32 s10, exec_lo, s1
	s_cbranch_execz .LBB182_36
; %bb.13:
	s_mov_b32 s2, exec_lo
	v_cmpx_neq_f32_e64 0x7f800000, |v6|
	s_xor_b32 s11, exec_lo, s2
	s_cbranch_execz .LBB182_29
; %bb.14:
	v_max_f32_e64 v8, |v4|, |v4|
	v_max_f32_e64 v9, |v6|, |v6|
                                        ; implicit-def: $sgpr12
	s_delay_alu instid0(VALU_DEP_1) | instskip(NEXT) | instid1(VALU_DEP_1)
	v_max_f32_e32 v8, v9, v8
	v_cmp_nle_f32_e64 s1, 0x7ed413cb, v8
	s_delay_alu instid0(VALU_DEP_1) | instskip(NEXT) | instid1(SALU_CYCLE_1)
	s_and_saveexec_b32 s2, s1
	s_xor_b32 s2, exec_lo, s2
	s_cbranch_execz .LBB182_18
; %bb.15:
	v_cmp_ge_f32_e64 s12, 0x1000000, |v6|
	v_cmp_ge_f32_e64 s13, 0x1000000, |v4|
	s_delay_alu instid0(VALU_DEP_1)
	s_and_b32 s14, s12, s13
	s_mov_b32 s12, 0
	s_and_saveexec_b32 s13, s14
; %bb.16:
	v_mul_f32_e32 v4, 4.0, v4
	v_mul_f32_e32 v6, 4.0, v6
	s_mov_b32 s12, exec_lo
; %bb.17:
	s_or_b32 exec_lo, exec_lo, s13
	s_delay_alu instid0(SALU_CYCLE_1)
	s_and_b32 s12, s12, exec_lo
.LBB182_18:
	s_and_not1_saveexec_b32 s2, s2
; %bb.19:
	v_mul_f32_e32 v6, 0x3e800000, v6
	v_mul_f32_e32 v4, 0x3e800000, v4
	s_and_not1_b32 s12, s12, exec_lo
; %bb.20:
	s_or_b32 exec_lo, exec_lo, s2
	s_delay_alu instid0(VALU_DEP_1) | instskip(SKIP_1) | instid1(VALU_DEP_1)
	v_max_f32_e64 v8, |v4|, |v4|
	v_max_f32_e64 v9, |v6|, |v6|
	v_max_f32_e32 v10, v9, v8
	s_delay_alu instid0(VALU_DEP_1) | instskip(NEXT) | instid1(VALU_DEP_1)
	v_cvt_f64_f32_e32 v[8:9], v10
	v_frexp_exp_i32_f64_e32 v8, v[8:9]
	s_delay_alu instid0(VALU_DEP_1) | instskip(NEXT) | instid1(VALU_DEP_1)
	v_sub_nc_u32_e32 v9, 0, v8
	v_ldexp_f32 v11, |v4|, v9
	v_ldexp_f32 v9, |v6|, v9
	s_delay_alu instid0(VALU_DEP_2) | instskip(SKIP_1) | instid1(VALU_DEP_2)
	v_mul_f32_e32 v11, v11, v11
	v_cmp_neq_f32_e64 s2, 0x7f800000, v10
	v_fmac_f32_e32 v11, v9, v9
	s_delay_alu instid0(VALU_DEP_1) | instskip(SKIP_2) | instid1(VALU_DEP_1)
	v_sqrt_f32_e32 v9, v11
	s_waitcnt_depctr 0xfff
	v_ldexp_f32 v8, v9, v8
                                        ; implicit-def: $vgpr9
	v_cndmask_b32_e64 v10, 0x7f800000, v8, s2
                                        ; implicit-def: $vgpr8
	s_mov_b32 s2, exec_lo
	v_cmpx_le_f32_e32 0, v6
	s_xor_b32 s13, exec_lo, s2
	s_cbranch_execz .LBB182_22
; %bb.21:
	v_add_f32_e32 v6, v6, v10
	s_delay_alu instid0(VALU_DEP_1) | instskip(NEXT) | instid1(VALU_DEP_1)
	v_mul_f32_e32 v6, 0.5, v6
	v_mul_f32_e32 v8, 0x4f800000, v6
	v_cmp_gt_f32_e32 vcc_lo, 0xf800000, v6
	s_delay_alu instid0(VALU_DEP_2) | instskip(NEXT) | instid1(VALU_DEP_1)
	v_cndmask_b32_e32 v6, v6, v8, vcc_lo
	v_sqrt_f32_e32 v8, v6
	s_waitcnt_depctr 0xfff
	v_add_nc_u32_e32 v9, -1, v8
	v_add_nc_u32_e32 v10, 1, v8
	s_delay_alu instid0(VALU_DEP_2) | instskip(NEXT) | instid1(VALU_DEP_2)
	v_fma_f32 v11, -v9, v8, v6
	v_fma_f32 v12, -v10, v8, v6
	s_delay_alu instid0(VALU_DEP_2) | instskip(NEXT) | instid1(VALU_DEP_1)
	v_cmp_ge_f32_e64 s2, 0, v11
	v_cndmask_b32_e64 v8, v8, v9, s2
	s_delay_alu instid0(VALU_DEP_3) | instskip(NEXT) | instid1(VALU_DEP_1)
	v_cmp_lt_f32_e64 s2, 0, v12
	v_cndmask_b32_e64 v8, v8, v10, s2
	s_delay_alu instid0(VALU_DEP_1) | instskip(NEXT) | instid1(VALU_DEP_1)
	v_mul_f32_e32 v9, 0x37800000, v8
	v_cndmask_b32_e32 v8, v8, v9, vcc_lo
	v_cmp_class_f32_e64 vcc_lo, v6, 0x260
	s_delay_alu instid0(VALU_DEP_2) | instskip(NEXT) | instid1(VALU_DEP_1)
	v_cndmask_b32_e32 v8, v8, v6, vcc_lo
	v_add_f32_e32 v6, v8, v8
	s_delay_alu instid0(VALU_DEP_1) | instskip(NEXT) | instid1(VALU_DEP_1)
	v_div_scale_f32 v9, null, v6, v6, v4
	v_rcp_f32_e32 v10, v9
	s_waitcnt_depctr 0xfff
	v_fma_f32 v11, -v9, v10, 1.0
	s_delay_alu instid0(VALU_DEP_1) | instskip(SKIP_1) | instid1(VALU_DEP_1)
	v_fmac_f32_e32 v10, v11, v10
	v_div_scale_f32 v11, vcc_lo, v4, v6, v4
	v_mul_f32_e32 v12, v11, v10
	s_delay_alu instid0(VALU_DEP_1) | instskip(NEXT) | instid1(VALU_DEP_1)
	v_fma_f32 v13, -v9, v12, v11
	v_fmac_f32_e32 v12, v13, v10
	s_delay_alu instid0(VALU_DEP_1) | instskip(NEXT) | instid1(VALU_DEP_1)
	v_fma_f32 v9, -v9, v12, v11
	v_div_fmas_f32 v9, v9, v10, v12
                                        ; implicit-def: $vgpr10
	s_delay_alu instid0(VALU_DEP_1)
	v_div_fixup_f32 v9, v9, v6, v4
                                        ; implicit-def: $vgpr6
                                        ; implicit-def: $vgpr4
	s_and_not1_saveexec_b32 s13, s13
	s_cbranch_execz .LBB182_24
	s_branch .LBB182_23
.LBB182_22:
	s_and_not1_saveexec_b32 s13, s13
	s_cbranch_execz .LBB182_24
.LBB182_23:
	v_sub_f32_e32 v6, v10, v6
	s_delay_alu instid0(VALU_DEP_1) | instskip(NEXT) | instid1(VALU_DEP_1)
	v_mul_f32_e32 v6, 0.5, v6
	v_mul_f32_e32 v8, 0x4f800000, v6
	v_cmp_gt_f32_e32 vcc_lo, 0xf800000, v6
	s_delay_alu instid0(VALU_DEP_2) | instskip(NEXT) | instid1(VALU_DEP_1)
	v_cndmask_b32_e32 v6, v6, v8, vcc_lo
	v_sqrt_f32_e32 v8, v6
	s_waitcnt_depctr 0xfff
	v_add_nc_u32_e32 v9, -1, v8
	v_add_nc_u32_e32 v10, 1, v8
	s_delay_alu instid0(VALU_DEP_2) | instskip(NEXT) | instid1(VALU_DEP_2)
	v_fma_f32 v11, -v9, v8, v6
	v_fma_f32 v12, -v10, v8, v6
	s_delay_alu instid0(VALU_DEP_2) | instskip(NEXT) | instid1(VALU_DEP_1)
	v_cmp_ge_f32_e64 s2, 0, v11
	v_cndmask_b32_e64 v8, v8, v9, s2
	s_delay_alu instid0(VALU_DEP_3) | instskip(NEXT) | instid1(VALU_DEP_1)
	v_cmp_lt_f32_e64 s2, 0, v12
	v_cndmask_b32_e64 v8, v8, v10, s2
	s_delay_alu instid0(VALU_DEP_1) | instskip(NEXT) | instid1(VALU_DEP_1)
	v_mul_f32_e32 v9, 0x37800000, v8
	v_cndmask_b32_e32 v8, v8, v9, vcc_lo
	v_cmp_class_f32_e64 vcc_lo, v6, 0x260
	s_delay_alu instid0(VALU_DEP_2) | instskip(NEXT) | instid1(VALU_DEP_1)
	v_cndmask_b32_e32 v6, v8, v6, vcc_lo
	v_dual_add_f32 v9, v6, v6 :: v_dual_and_b32 v8, 0x7fffffff, v4
	s_delay_alu instid0(VALU_DEP_1) | instskip(SKIP_1) | instid1(VALU_DEP_2)
	v_div_scale_f32 v10, null, v9, v9, v8
	v_div_scale_f32 v8, vcc_lo, v8, v9, v8
	v_rcp_f32_e32 v11, v10
	s_waitcnt_depctr 0xfff
	v_fma_f32 v12, -v10, v11, 1.0
	s_delay_alu instid0(VALU_DEP_1) | instskip(NEXT) | instid1(VALU_DEP_1)
	v_fmac_f32_e32 v11, v12, v11
	v_mul_f32_e32 v12, v8, v11
	s_delay_alu instid0(VALU_DEP_1) | instskip(NEXT) | instid1(VALU_DEP_1)
	v_fma_f32 v13, -v10, v12, v8
	v_fmac_f32_e32 v12, v13, v11
	s_delay_alu instid0(VALU_DEP_1) | instskip(NEXT) | instid1(VALU_DEP_1)
	v_fma_f32 v8, -v10, v12, v8
	v_div_fmas_f32 v8, v8, v11, v12
	s_delay_alu instid0(VALU_DEP_1)
	v_div_fixup_f32 v8, v8, v9, |v4|
	v_bfi_b32 v9, 0x7fffffff, v6, v4
.LBB182_24:
	s_or_b32 exec_lo, exec_lo, s13
                                        ; implicit-def: $vgpr4
                                        ; implicit-def: $vgpr6
	s_and_saveexec_b32 s2, s1
	s_delay_alu instid0(SALU_CYCLE_1)
	s_xor_b32 s1, exec_lo, s2
	s_cbranch_execz .LBB182_26
; %bb.25:
	v_mul_f32_e32 v4, 0.5, v8
	v_mul_f32_e32 v10, 0.5, v9
	s_delay_alu instid0(VALU_DEP_2) | instskip(NEXT) | instid1(VALU_DEP_2)
	v_cndmask_b32_e64 v6, v8, v4, s12
	v_cndmask_b32_e64 v4, v9, v10, s12
                                        ; implicit-def: $vgpr8
                                        ; implicit-def: $vgpr9
	s_and_not1_saveexec_b32 s1, s1
	s_cbranch_execnz .LBB182_27
	s_branch .LBB182_28
.LBB182_26:
	s_and_not1_saveexec_b32 s1, s1
.LBB182_27:
	v_add_f32_e32 v6, v8, v8
	v_add_f32_e32 v4, v9, v9
.LBB182_28:
	s_or_b32 exec_lo, exec_lo, s1
                                        ; implicit-def: $vgpr8
.LBB182_29:
	s_and_not1_saveexec_b32 s1, s11
	s_cbranch_execz .LBB182_35
; %bb.30:
	v_cmp_lt_i16_e32 vcc_lo, -1, v8
	v_sub_f32_e32 v8, v4, v4
	s_and_saveexec_b32 s2, vcc_lo
	s_delay_alu instid0(SALU_CYCLE_1)
	s_xor_b32 s2, exec_lo, s2
; %bb.31:
	s_delay_alu instid0(VALU_DEP_1)
	v_bfi_b32 v4, 0x7fffffff, v8, v4
                                        ; implicit-def: $vgpr8
; %bb.32:
	s_and_not1_saveexec_b32 s2, s2
; %bb.33:
	v_and_b32_e32 v8, 0x7fffffff, v8
	s_delay_alu instid0(VALU_DEP_2) | instskip(NEXT) | instid1(VALU_DEP_2)
	v_bfi_b32 v4, 0x7fffffff, v6, v4
	v_mov_b32_e32 v6, v8
; %bb.34:
	s_or_b32 exec_lo, exec_lo, s2
.LBB182_35:
	s_delay_alu instid0(SALU_CYCLE_1)
	s_or_b32 exec_lo, exec_lo, s1
.LBB182_36:
	s_and_not1_saveexec_b32 s1, s10
; %bb.37:
	v_sub_f32_e32 v4, v4, v4
	s_delay_alu instid0(VALU_DEP_1) | instskip(NEXT) | instid1(VALU_DEP_1)
	v_div_scale_f32 v8, vcc_lo, v4, v4, v4
	v_rcp_f32_e32 v9, v8
	s_waitcnt_depctr 0xfff
	v_fma_f32 v10, -v8, v9, 1.0
	s_delay_alu instid0(VALU_DEP_1) | instskip(NEXT) | instid1(VALU_DEP_1)
	v_fmac_f32_e32 v9, v10, v9
	v_mul_f32_e32 v10, v8, v9
	s_delay_alu instid0(VALU_DEP_1) | instskip(NEXT) | instid1(VALU_DEP_1)
	v_fma_f32 v11, -v8, v10, v8
	v_fmac_f32_e32 v10, v11, v9
	s_delay_alu instid0(VALU_DEP_1) | instskip(NEXT) | instid1(VALU_DEP_1)
	v_fma_f32 v8, -v8, v10, v8
	v_div_fmas_f32 v8, v8, v9, v10
	s_delay_alu instid0(VALU_DEP_1)
	v_div_fixup_f32 v4, v8, v4, v4
; %bb.38:
	s_or_b32 exec_lo, exec_lo, s1
.LBB182_39:
	s_delay_alu instid0(SALU_CYCLE_1)
	s_or_b32 exec_lo, exec_lo, s9
.LBB182_40:
	s_delay_alu instid0(SALU_CYCLE_1)
	s_or_b32 exec_lo, exec_lo, s7
	v_cmp_gt_f32_e32 vcc_lo, 0, v6
                                        ; implicit-def: $vgpr11
                                        ; implicit-def: $vgpr10
	s_mov_b32 s1, exec_lo
	v_cndmask_b32_e64 v8, v6, -v6, vcc_lo
	v_cmp_gt_f32_e32 vcc_lo, 0, v4
	v_cndmask_b32_e64 v9, v4, -v4, vcc_lo
	s_delay_alu instid0(VALU_DEP_1)
	v_cmpx_ge_f32_e32 v8, v9
	s_xor_b32 s2, exec_lo, s1
	s_cbranch_execz .LBB182_46
; %bb.41:
	v_cmp_neq_f32_e32 vcc_lo, 0, v6
	v_cmp_neq_f32_e64 s1, 0, v4
                                        ; implicit-def: $vgpr11
                                        ; implicit-def: $vgpr10
	s_delay_alu instid0(VALU_DEP_1) | instskip(NEXT) | instid1(SALU_CYCLE_1)
	s_or_b32 s1, vcc_lo, s1
	s_and_saveexec_b32 s7, s1
	s_delay_alu instid0(SALU_CYCLE_1)
	s_xor_b32 s1, exec_lo, s7
	s_cbranch_execz .LBB182_43
; %bb.42:
	v_div_scale_f32 v8, null, v6, v6, v4
	v_div_scale_f32 v11, vcc_lo, v4, v6, v4
	s_delay_alu instid0(VALU_DEP_2) | instskip(SKIP_2) | instid1(VALU_DEP_1)
	v_rcp_f32_e32 v9, v8
	s_waitcnt_depctr 0xfff
	v_fma_f32 v10, -v8, v9, 1.0
	v_fmac_f32_e32 v9, v10, v9
	s_delay_alu instid0(VALU_DEP_1) | instskip(NEXT) | instid1(VALU_DEP_1)
	v_mul_f32_e32 v10, v11, v9
	v_fma_f32 v12, -v8, v10, v11
	s_delay_alu instid0(VALU_DEP_1) | instskip(NEXT) | instid1(VALU_DEP_1)
	v_fmac_f32_e32 v10, v12, v9
	v_fma_f32 v8, -v8, v10, v11
	s_delay_alu instid0(VALU_DEP_1) | instskip(NEXT) | instid1(VALU_DEP_1)
	v_div_fmas_f32 v8, v8, v9, v10
	v_div_fixup_f32 v8, v8, v6, v4
	s_delay_alu instid0(VALU_DEP_1) | instskip(NEXT) | instid1(VALU_DEP_1)
	v_fmac_f32_e32 v6, v4, v8
	v_div_scale_f32 v4, null, v6, v6, 1.0
	v_div_scale_f32 v11, vcc_lo, 1.0, v6, 1.0
	s_delay_alu instid0(VALU_DEP_2) | instskip(SKIP_2) | instid1(VALU_DEP_1)
	v_rcp_f32_e32 v9, v4
	s_waitcnt_depctr 0xfff
	v_fma_f32 v10, -v4, v9, 1.0
	v_fmac_f32_e32 v9, v10, v9
	s_delay_alu instid0(VALU_DEP_1) | instskip(NEXT) | instid1(VALU_DEP_1)
	v_mul_f32_e32 v10, v11, v9
	v_fma_f32 v12, -v4, v10, v11
	s_delay_alu instid0(VALU_DEP_1) | instskip(NEXT) | instid1(VALU_DEP_1)
	v_fmac_f32_e32 v10, v12, v9
	v_fma_f32 v4, -v4, v10, v11
	s_delay_alu instid0(VALU_DEP_1) | instskip(SKIP_1) | instid1(VALU_DEP_2)
	v_div_fmas_f32 v4, v4, v9, v10
	v_fma_f32 v9, v8, 0, 1.0
	v_div_fixup_f32 v4, v4, v6, 1.0
	s_delay_alu instid0(VALU_DEP_1)
	v_mul_f32_e32 v10, v9, v4
	v_mul_f32_e64 v11, -v8, v4
                                        ; implicit-def: $vgpr8
                                        ; implicit-def: $vgpr9
.LBB182_43:
	s_and_not1_saveexec_b32 s7, s1
	s_cbranch_execz .LBB182_45
; %bb.44:
	v_div_scale_f32 v4, null, v8, v8, 1.0
	v_div_scale_f32 v6, null, v9, v9, 0
	v_div_scale_f32 v14, vcc_lo, 1.0, v8, 1.0
	s_delay_alu instid0(VALU_DEP_3) | instskip(NEXT) | instid1(VALU_DEP_2)
	v_rcp_f32_e32 v10, v4
	v_rcp_f32_e32 v11, v6
	s_waitcnt_depctr 0xfff
	v_fma_f32 v12, -v4, v10, 1.0
	v_fma_f32 v13, -v6, v11, 1.0
	s_delay_alu instid0(VALU_DEP_1) | instskip(SKIP_1) | instid1(VALU_DEP_2)
	v_dual_fmac_f32 v10, v12, v10 :: v_dual_fmac_f32 v11, v13, v11
	v_div_scale_f32 v12, s1, 0, v9, 0
	v_mul_f32_e32 v13, v14, v10
	s_delay_alu instid0(VALU_DEP_2) | instskip(NEXT) | instid1(VALU_DEP_2)
	v_mul_f32_e32 v15, v12, v11
	v_fma_f32 v16, -v4, v13, v14
	s_delay_alu instid0(VALU_DEP_2) | instskip(NEXT) | instid1(VALU_DEP_2)
	v_fma_f32 v17, -v6, v15, v12
	v_fmac_f32_e32 v13, v16, v10
	s_delay_alu instid0(VALU_DEP_2) | instskip(NEXT) | instid1(VALU_DEP_2)
	v_fmac_f32_e32 v15, v17, v11
	v_fma_f32 v4, -v4, v13, v14
	s_delay_alu instid0(VALU_DEP_2) | instskip(NEXT) | instid1(VALU_DEP_2)
	v_fma_f32 v6, -v6, v15, v12
	v_div_fmas_f32 v4, v4, v10, v13
	s_mov_b32 vcc_lo, s1
	s_delay_alu instid0(VALU_DEP_2) | instskip(NEXT) | instid1(VALU_DEP_2)
	v_div_fmas_f32 v6, v6, v11, v15
	v_div_fixup_f32 v10, v4, v8, 1.0
	s_delay_alu instid0(VALU_DEP_2)
	v_div_fixup_f32 v11, v6, v9, 0
.LBB182_45:
	s_or_b32 exec_lo, exec_lo, s7
                                        ; implicit-def: $vgpr4
                                        ; implicit-def: $vgpr6
.LBB182_46:
	s_and_not1_saveexec_b32 s1, s2
	s_cbranch_execz .LBB182_48
; %bb.47:
	v_div_scale_f32 v8, null, v4, v4, v6
	v_div_scale_f32 v11, vcc_lo, v6, v4, v6
	s_delay_alu instid0(VALU_DEP_2) | instskip(SKIP_2) | instid1(VALU_DEP_1)
	v_rcp_f32_e32 v9, v8
	s_waitcnt_depctr 0xfff
	v_fma_f32 v10, -v8, v9, 1.0
	v_fmac_f32_e32 v9, v10, v9
	s_delay_alu instid0(VALU_DEP_1) | instskip(NEXT) | instid1(VALU_DEP_1)
	v_mul_f32_e32 v10, v11, v9
	v_fma_f32 v12, -v8, v10, v11
	s_delay_alu instid0(VALU_DEP_1) | instskip(NEXT) | instid1(VALU_DEP_1)
	v_fmac_f32_e32 v10, v12, v9
	v_fma_f32 v8, -v8, v10, v11
	s_delay_alu instid0(VALU_DEP_1) | instskip(NEXT) | instid1(VALU_DEP_1)
	v_div_fmas_f32 v8, v8, v9, v10
	v_div_fixup_f32 v8, v8, v4, v6
	s_delay_alu instid0(VALU_DEP_1) | instskip(NEXT) | instid1(VALU_DEP_1)
	v_fmac_f32_e32 v4, v6, v8
	v_div_scale_f32 v6, null, v4, v4, 1.0
	v_div_scale_f32 v11, vcc_lo, 1.0, v4, 1.0
	s_delay_alu instid0(VALU_DEP_2) | instskip(SKIP_2) | instid1(VALU_DEP_1)
	v_rcp_f32_e32 v9, v6
	s_waitcnt_depctr 0xfff
	v_fma_f32 v10, -v6, v9, 1.0
	v_fmac_f32_e32 v9, v10, v9
	s_delay_alu instid0(VALU_DEP_1) | instskip(NEXT) | instid1(VALU_DEP_1)
	v_mul_f32_e32 v10, v11, v9
	v_fma_f32 v12, -v6, v10, v11
	s_delay_alu instid0(VALU_DEP_1) | instskip(NEXT) | instid1(VALU_DEP_1)
	v_fmac_f32_e32 v10, v12, v9
	v_fma_f32 v6, -v6, v10, v11
	s_delay_alu instid0(VALU_DEP_1) | instskip(SKIP_1) | instid1(VALU_DEP_2)
	v_div_fmas_f32 v6, v6, v9, v10
	v_add_f32_e32 v9, 0, v8
	v_div_fixup_f32 v4, v6, v4, 1.0
	v_fma_f32 v6, v8, 0, -1.0
	s_delay_alu instid0(VALU_DEP_2) | instskip(NEXT) | instid1(VALU_DEP_2)
	v_mul_f32_e32 v10, v9, v4
	v_mul_f32_e32 v11, v6, v4
.LBB182_48:
	s_or_b32 exec_lo, exec_lo, s1
	s_delay_alu instid0(VALU_DEP_1) | instskip(NEXT) | instid1(VALU_DEP_3)
	v_cvt_f16_f32_e32 v4, v11
	v_cvt_f16_f32_e32 v6, v10
	s_delay_alu instid0(VALU_DEP_2) | instskip(NEXT) | instid1(VALU_DEP_2)
	v_lshlrev_b32_e32 v4, 16, v4
	v_and_b32_e32 v6, 0xffff, v6
	s_delay_alu instid0(VALU_DEP_1) | instskip(SKIP_1) | instid1(SALU_CYCLE_1)
	v_or_b32_e32 v4, v4, v6
	s_or_b32 exec_lo, exec_lo, s6
	s_mov_b32 s6, exec_lo
                                        ; implicit-def: $vgpr6
	v_cmpx_gt_i32_e64 s8, v3
	s_cbranch_execz .LBB182_88
.LBB182_49:
	s_waitcnt vmcnt(0)
	v_lshrrev_b32_e32 v6, 16, v7
	v_cmp_neq_f16_e32 vcc_lo, 0, v7
	v_mov_b32_e32 v8, 0
	s_delay_alu instid0(VALU_DEP_3) | instskip(SKIP_1) | instid1(VALU_DEP_2)
	v_cmp_neq_f16_e64 s1, 0, v6
	v_cvt_f32_f16_e32 v6, v6
	s_or_b32 s1, vcc_lo, s1
	s_delay_alu instid0(SALU_CYCLE_1)
	s_and_saveexec_b32 s7, s1
	s_cbranch_execz .LBB182_79
; %bb.50:
	v_mov_b32_e32 v8, 0x7f800000
	s_mov_b32 s9, exec_lo
	v_cmpx_neq_f32_e64 0x7f800000, |v6|
	s_cbranch_execz .LBB182_78
; %bb.51:
	v_cvt_f32_f16_e32 v8, v7
	s_mov_b32 s1, exec_lo
	v_cmpx_o_f16_e32 v7, v7
	s_xor_b32 s10, exec_lo, s1
	s_cbranch_execz .LBB182_75
; %bb.52:
	s_mov_b32 s2, exec_lo
	v_cmpx_neq_f32_e64 0x7f800000, |v8|
	s_xor_b32 s11, exec_lo, s2
	s_cbranch_execz .LBB182_68
; %bb.53:
	v_max_f32_e64 v7, |v6|, |v6|
	v_max_f32_e64 v9, |v8|, |v8|
                                        ; implicit-def: $sgpr12
	s_delay_alu instid0(VALU_DEP_1) | instskip(NEXT) | instid1(VALU_DEP_1)
	v_max_f32_e32 v7, v9, v7
	v_cmp_nle_f32_e64 s1, 0x7ed413cb, v7
	s_delay_alu instid0(VALU_DEP_1) | instskip(NEXT) | instid1(SALU_CYCLE_1)
	s_and_saveexec_b32 s2, s1
	s_xor_b32 s2, exec_lo, s2
	s_cbranch_execz .LBB182_57
; %bb.54:
	v_cmp_ge_f32_e64 s12, 0x1000000, |v8|
	v_cmp_ge_f32_e64 s13, 0x1000000, |v6|
	s_delay_alu instid0(VALU_DEP_1)
	s_and_b32 s14, s12, s13
	s_mov_b32 s12, 0
	s_and_saveexec_b32 s13, s14
; %bb.55:
	v_mul_f32_e32 v6, 4.0, v6
	v_mul_f32_e32 v8, 4.0, v8
	s_mov_b32 s12, exec_lo
; %bb.56:
	s_or_b32 exec_lo, exec_lo, s13
	s_delay_alu instid0(SALU_CYCLE_1)
	s_and_b32 s12, s12, exec_lo
.LBB182_57:
	s_and_not1_saveexec_b32 s2, s2
; %bb.58:
	v_mul_f32_e32 v8, 0x3e800000, v8
	v_mul_f32_e32 v6, 0x3e800000, v6
	s_and_not1_b32 s12, s12, exec_lo
; %bb.59:
	s_or_b32 exec_lo, exec_lo, s2
	s_delay_alu instid0(VALU_DEP_1) | instskip(SKIP_1) | instid1(VALU_DEP_1)
	v_max_f32_e64 v7, |v6|, |v6|
	v_max_f32_e64 v9, |v8|, |v8|
	v_max_f32_e32 v7, v9, v7
	s_delay_alu instid0(VALU_DEP_1) | instskip(SKIP_1) | instid1(VALU_DEP_2)
	v_cvt_f64_f32_e32 v[9:10], v7
	v_cmp_neq_f32_e64 s2, 0x7f800000, v7
                                        ; implicit-def: $vgpr7
	v_frexp_exp_i32_f64_e32 v9, v[9:10]
	s_delay_alu instid0(VALU_DEP_1) | instskip(NEXT) | instid1(VALU_DEP_1)
	v_sub_nc_u32_e32 v10, 0, v9
	v_ldexp_f32 v11, |v6|, v10
	v_ldexp_f32 v10, |v8|, v10
	s_delay_alu instid0(VALU_DEP_2) | instskip(NEXT) | instid1(VALU_DEP_1)
	v_mul_f32_e32 v11, v11, v11
	v_fmac_f32_e32 v11, v10, v10
	s_delay_alu instid0(VALU_DEP_1) | instskip(SKIP_2) | instid1(VALU_DEP_1)
	v_sqrt_f32_e32 v10, v11
	s_waitcnt_depctr 0xfff
	v_ldexp_f32 v9, v10, v9
	v_cndmask_b32_e64 v10, 0x7f800000, v9, s2
                                        ; implicit-def: $vgpr9
	s_mov_b32 s2, exec_lo
	v_cmpx_le_f32_e32 0, v8
	s_xor_b32 s13, exec_lo, s2
	s_cbranch_execz .LBB182_61
; %bb.60:
	v_add_f32_e32 v7, v8, v10
	s_delay_alu instid0(VALU_DEP_1) | instskip(NEXT) | instid1(VALU_DEP_1)
	v_mul_f32_e32 v7, 0.5, v7
	v_mul_f32_e32 v8, 0x4f800000, v7
	v_cmp_gt_f32_e32 vcc_lo, 0xf800000, v7
	s_delay_alu instid0(VALU_DEP_2) | instskip(NEXT) | instid1(VALU_DEP_1)
	v_cndmask_b32_e32 v7, v7, v8, vcc_lo
	v_sqrt_f32_e32 v8, v7
	s_waitcnt_depctr 0xfff
	v_add_nc_u32_e32 v9, -1, v8
	v_add_nc_u32_e32 v10, 1, v8
	s_delay_alu instid0(VALU_DEP_2) | instskip(NEXT) | instid1(VALU_DEP_2)
	v_fma_f32 v11, -v9, v8, v7
	v_fma_f32 v12, -v10, v8, v7
	s_delay_alu instid0(VALU_DEP_2) | instskip(NEXT) | instid1(VALU_DEP_1)
	v_cmp_ge_f32_e64 s2, 0, v11
	v_cndmask_b32_e64 v8, v8, v9, s2
	s_delay_alu instid0(VALU_DEP_3) | instskip(NEXT) | instid1(VALU_DEP_1)
	v_cmp_lt_f32_e64 s2, 0, v12
	v_cndmask_b32_e64 v8, v8, v10, s2
	s_delay_alu instid0(VALU_DEP_1) | instskip(NEXT) | instid1(VALU_DEP_1)
	v_mul_f32_e32 v9, 0x37800000, v8
	v_cndmask_b32_e32 v8, v8, v9, vcc_lo
	v_cmp_class_f32_e64 vcc_lo, v7, 0x260
	s_delay_alu instid0(VALU_DEP_2) | instskip(NEXT) | instid1(VALU_DEP_1)
	v_cndmask_b32_e32 v7, v8, v7, vcc_lo
	v_add_f32_e32 v8, v7, v7
	s_delay_alu instid0(VALU_DEP_1) | instskip(NEXT) | instid1(VALU_DEP_1)
	v_div_scale_f32 v9, null, v8, v8, v6
	v_rcp_f32_e32 v10, v9
	s_waitcnt_depctr 0xfff
	v_fma_f32 v11, -v9, v10, 1.0
	s_delay_alu instid0(VALU_DEP_1) | instskip(SKIP_1) | instid1(VALU_DEP_1)
	v_fmac_f32_e32 v10, v11, v10
	v_div_scale_f32 v11, vcc_lo, v6, v8, v6
	v_mul_f32_e32 v12, v11, v10
	s_delay_alu instid0(VALU_DEP_1) | instskip(NEXT) | instid1(VALU_DEP_1)
	v_fma_f32 v13, -v9, v12, v11
	v_fmac_f32_e32 v12, v13, v10
	s_delay_alu instid0(VALU_DEP_1) | instskip(NEXT) | instid1(VALU_DEP_1)
	v_fma_f32 v9, -v9, v12, v11
	v_div_fmas_f32 v9, v9, v10, v12
                                        ; implicit-def: $vgpr10
	s_delay_alu instid0(VALU_DEP_1)
	v_div_fixup_f32 v9, v9, v8, v6
                                        ; implicit-def: $vgpr8
                                        ; implicit-def: $vgpr6
	s_and_not1_saveexec_b32 s13, s13
	s_cbranch_execz .LBB182_63
	s_branch .LBB182_62
.LBB182_61:
	s_and_not1_saveexec_b32 s13, s13
	s_cbranch_execz .LBB182_63
.LBB182_62:
	v_sub_f32_e32 v7, v10, v8
	s_delay_alu instid0(VALU_DEP_1) | instskip(NEXT) | instid1(VALU_DEP_1)
	v_mul_f32_e32 v7, 0.5, v7
	v_mul_f32_e32 v8, 0x4f800000, v7
	v_cmp_gt_f32_e32 vcc_lo, 0xf800000, v7
	s_delay_alu instid0(VALU_DEP_2) | instskip(NEXT) | instid1(VALU_DEP_1)
	v_cndmask_b32_e32 v7, v7, v8, vcc_lo
	v_sqrt_f32_e32 v8, v7
	s_waitcnt_depctr 0xfff
	v_add_nc_u32_e32 v9, -1, v8
	v_add_nc_u32_e32 v10, 1, v8
	s_delay_alu instid0(VALU_DEP_2) | instskip(NEXT) | instid1(VALU_DEP_2)
	v_fma_f32 v11, -v9, v8, v7
	v_fma_f32 v12, -v10, v8, v7
	s_delay_alu instid0(VALU_DEP_2) | instskip(NEXT) | instid1(VALU_DEP_1)
	v_cmp_ge_f32_e64 s2, 0, v11
	v_cndmask_b32_e64 v8, v8, v9, s2
	s_delay_alu instid0(VALU_DEP_3) | instskip(NEXT) | instid1(VALU_DEP_1)
	v_cmp_lt_f32_e64 s2, 0, v12
	v_cndmask_b32_e64 v8, v8, v10, s2
	s_delay_alu instid0(VALU_DEP_1) | instskip(NEXT) | instid1(VALU_DEP_1)
	v_mul_f32_e32 v9, 0x37800000, v8
	v_cndmask_b32_e32 v8, v8, v9, vcc_lo
	v_cmp_class_f32_e64 vcc_lo, v7, 0x260
	s_delay_alu instid0(VALU_DEP_2) | instskip(NEXT) | instid1(VALU_DEP_1)
	v_dual_cndmask_b32 v8, v8, v7 :: v_dual_and_b32 v7, 0x7fffffff, v6
	v_add_f32_e32 v9, v8, v8
	s_delay_alu instid0(VALU_DEP_1) | instskip(SKIP_1) | instid1(VALU_DEP_2)
	v_div_scale_f32 v10, null, v9, v9, v7
	v_div_scale_f32 v7, vcc_lo, v7, v9, v7
	v_rcp_f32_e32 v11, v10
	s_waitcnt_depctr 0xfff
	v_fma_f32 v12, -v10, v11, 1.0
	s_delay_alu instid0(VALU_DEP_1) | instskip(NEXT) | instid1(VALU_DEP_1)
	v_fmac_f32_e32 v11, v12, v11
	v_mul_f32_e32 v12, v7, v11
	s_delay_alu instid0(VALU_DEP_1) | instskip(NEXT) | instid1(VALU_DEP_1)
	v_fma_f32 v13, -v10, v12, v7
	v_fmac_f32_e32 v12, v13, v11
	s_delay_alu instid0(VALU_DEP_1) | instskip(NEXT) | instid1(VALU_DEP_1)
	v_fma_f32 v7, -v10, v12, v7
	v_div_fmas_f32 v7, v7, v11, v12
	s_delay_alu instid0(VALU_DEP_1)
	v_div_fixup_f32 v7, v7, v9, |v6|
	v_bfi_b32 v9, 0x7fffffff, v8, v6
.LBB182_63:
	s_or_b32 exec_lo, exec_lo, s13
                                        ; implicit-def: $vgpr6
                                        ; implicit-def: $vgpr8
	s_and_saveexec_b32 s2, s1
	s_delay_alu instid0(SALU_CYCLE_1)
	s_xor_b32 s1, exec_lo, s2
	s_cbranch_execz .LBB182_65
; %bb.64:
	v_mul_f32_e32 v6, 0.5, v7
	v_mul_f32_e32 v10, 0.5, v9
	s_delay_alu instid0(VALU_DEP_2) | instskip(NEXT) | instid1(VALU_DEP_2)
	v_cndmask_b32_e64 v8, v7, v6, s12
	v_cndmask_b32_e64 v6, v9, v10, s12
                                        ; implicit-def: $vgpr7
                                        ; implicit-def: $vgpr9
	s_and_not1_saveexec_b32 s1, s1
	s_cbranch_execnz .LBB182_66
	s_branch .LBB182_67
.LBB182_65:
	s_and_not1_saveexec_b32 s1, s1
.LBB182_66:
	v_add_f32_e32 v8, v7, v7
	v_add_f32_e32 v6, v9, v9
.LBB182_67:
	s_or_b32 exec_lo, exec_lo, s1
                                        ; implicit-def: $vgpr7
.LBB182_68:
	s_and_not1_saveexec_b32 s1, s11
	s_cbranch_execz .LBB182_74
; %bb.69:
	v_cmp_lt_i16_e32 vcc_lo, -1, v7
	v_sub_f32_e32 v7, v6, v6
	s_and_saveexec_b32 s2, vcc_lo
	s_delay_alu instid0(SALU_CYCLE_1)
	s_xor_b32 s2, exec_lo, s2
; %bb.70:
	s_delay_alu instid0(VALU_DEP_1)
	v_bfi_b32 v6, 0x7fffffff, v7, v6
                                        ; implicit-def: $vgpr7
; %bb.71:
	s_and_not1_saveexec_b32 s2, s2
; %bb.72:
	v_and_b32_e32 v7, 0x7fffffff, v7
	s_delay_alu instid0(VALU_DEP_2) | instskip(NEXT) | instid1(VALU_DEP_2)
	v_bfi_b32 v6, 0x7fffffff, v8, v6
	v_mov_b32_e32 v8, v7
; %bb.73:
	s_or_b32 exec_lo, exec_lo, s2
.LBB182_74:
	s_delay_alu instid0(SALU_CYCLE_1)
	s_or_b32 exec_lo, exec_lo, s1
.LBB182_75:
	s_and_not1_saveexec_b32 s1, s10
; %bb.76:
	v_sub_f32_e32 v6, v6, v6
	s_delay_alu instid0(VALU_DEP_1) | instskip(NEXT) | instid1(VALU_DEP_1)
	v_div_scale_f32 v7, vcc_lo, v6, v6, v6
	v_rcp_f32_e32 v9, v7
	s_waitcnt_depctr 0xfff
	v_fma_f32 v10, -v7, v9, 1.0
	s_delay_alu instid0(VALU_DEP_1) | instskip(NEXT) | instid1(VALU_DEP_1)
	v_fmac_f32_e32 v9, v10, v9
	v_mul_f32_e32 v10, v7, v9
	s_delay_alu instid0(VALU_DEP_1) | instskip(NEXT) | instid1(VALU_DEP_1)
	v_fma_f32 v11, -v7, v10, v7
	v_fmac_f32_e32 v10, v11, v9
	s_delay_alu instid0(VALU_DEP_1) | instskip(NEXT) | instid1(VALU_DEP_1)
	v_fma_f32 v7, -v7, v10, v7
	v_div_fmas_f32 v7, v7, v9, v10
	s_delay_alu instid0(VALU_DEP_1)
	v_div_fixup_f32 v6, v7, v6, v6
; %bb.77:
	s_or_b32 exec_lo, exec_lo, s1
.LBB182_78:
	s_delay_alu instid0(SALU_CYCLE_1)
	s_or_b32 exec_lo, exec_lo, s9
.LBB182_79:
	s_delay_alu instid0(SALU_CYCLE_1)
	s_or_b32 exec_lo, exec_lo, s7
	v_cmp_gt_f32_e32 vcc_lo, 0, v8
                                        ; implicit-def: $vgpr11
                                        ; implicit-def: $vgpr10
	s_mov_b32 s1, exec_lo
	v_cndmask_b32_e64 v7, v8, -v8, vcc_lo
	v_cmp_gt_f32_e32 vcc_lo, 0, v6
	v_cndmask_b32_e64 v9, v6, -v6, vcc_lo
	s_delay_alu instid0(VALU_DEP_1)
	v_cmpx_ge_f32_e32 v7, v9
	s_xor_b32 s2, exec_lo, s1
	s_cbranch_execz .LBB182_85
; %bb.80:
	v_cmp_neq_f32_e32 vcc_lo, 0, v8
	v_cmp_neq_f32_e64 s1, 0, v6
                                        ; implicit-def: $vgpr11
                                        ; implicit-def: $vgpr10
	s_delay_alu instid0(VALU_DEP_1) | instskip(NEXT) | instid1(SALU_CYCLE_1)
	s_or_b32 s1, vcc_lo, s1
	s_and_saveexec_b32 s7, s1
	s_delay_alu instid0(SALU_CYCLE_1)
	s_xor_b32 s1, exec_lo, s7
	s_cbranch_execz .LBB182_82
; %bb.81:
	v_div_scale_f32 v7, null, v8, v8, v6
	v_div_scale_f32 v11, vcc_lo, v6, v8, v6
	s_delay_alu instid0(VALU_DEP_2) | instskip(SKIP_2) | instid1(VALU_DEP_1)
	v_rcp_f32_e32 v9, v7
	s_waitcnt_depctr 0xfff
	v_fma_f32 v10, -v7, v9, 1.0
	v_fmac_f32_e32 v9, v10, v9
	s_delay_alu instid0(VALU_DEP_1) | instskip(NEXT) | instid1(VALU_DEP_1)
	v_mul_f32_e32 v10, v11, v9
	v_fma_f32 v12, -v7, v10, v11
	s_delay_alu instid0(VALU_DEP_1) | instskip(NEXT) | instid1(VALU_DEP_1)
	v_fmac_f32_e32 v10, v12, v9
	v_fma_f32 v7, -v7, v10, v11
	s_delay_alu instid0(VALU_DEP_1) | instskip(NEXT) | instid1(VALU_DEP_1)
	v_div_fmas_f32 v7, v7, v9, v10
	v_div_fixup_f32 v7, v7, v8, v6
	s_delay_alu instid0(VALU_DEP_1) | instskip(NEXT) | instid1(VALU_DEP_1)
	v_fmac_f32_e32 v8, v6, v7
	v_div_scale_f32 v6, null, v8, v8, 1.0
	v_div_scale_f32 v11, vcc_lo, 1.0, v8, 1.0
	s_delay_alu instid0(VALU_DEP_2) | instskip(SKIP_2) | instid1(VALU_DEP_1)
	v_rcp_f32_e32 v9, v6
	s_waitcnt_depctr 0xfff
	v_fma_f32 v10, -v6, v9, 1.0
	v_fmac_f32_e32 v9, v10, v9
	s_delay_alu instid0(VALU_DEP_1) | instskip(NEXT) | instid1(VALU_DEP_1)
	v_mul_f32_e32 v10, v11, v9
	v_fma_f32 v12, -v6, v10, v11
	s_delay_alu instid0(VALU_DEP_1) | instskip(NEXT) | instid1(VALU_DEP_1)
	v_fmac_f32_e32 v10, v12, v9
	v_fma_f32 v6, -v6, v10, v11
	s_delay_alu instid0(VALU_DEP_1) | instskip(SKIP_1) | instid1(VALU_DEP_2)
	v_div_fmas_f32 v6, v6, v9, v10
	v_fma_f32 v9, v7, 0, 1.0
	v_div_fixup_f32 v6, v6, v8, 1.0
	s_delay_alu instid0(VALU_DEP_1)
	v_mul_f32_e32 v10, v9, v6
	v_mul_f32_e64 v11, -v7, v6
                                        ; implicit-def: $vgpr7
                                        ; implicit-def: $vgpr9
.LBB182_82:
	s_and_not1_saveexec_b32 s7, s1
	s_cbranch_execz .LBB182_84
; %bb.83:
	v_div_scale_f32 v6, null, v7, v7, 1.0
	v_div_scale_f32 v8, null, v9, v9, 0
	v_div_scale_f32 v14, vcc_lo, 1.0, v7, 1.0
	s_delay_alu instid0(VALU_DEP_3) | instskip(NEXT) | instid1(VALU_DEP_2)
	v_rcp_f32_e32 v10, v6
	v_rcp_f32_e32 v11, v8
	s_waitcnt_depctr 0xfff
	v_fma_f32 v12, -v6, v10, 1.0
	v_fma_f32 v13, -v8, v11, 1.0
	s_delay_alu instid0(VALU_DEP_1) | instskip(SKIP_1) | instid1(VALU_DEP_2)
	v_dual_fmac_f32 v10, v12, v10 :: v_dual_fmac_f32 v11, v13, v11
	v_div_scale_f32 v12, s1, 0, v9, 0
	v_mul_f32_e32 v13, v14, v10
	s_delay_alu instid0(VALU_DEP_2) | instskip(NEXT) | instid1(VALU_DEP_2)
	v_mul_f32_e32 v15, v12, v11
	v_fma_f32 v16, -v6, v13, v14
	s_delay_alu instid0(VALU_DEP_2) | instskip(NEXT) | instid1(VALU_DEP_2)
	v_fma_f32 v17, -v8, v15, v12
	v_fmac_f32_e32 v13, v16, v10
	s_delay_alu instid0(VALU_DEP_2) | instskip(NEXT) | instid1(VALU_DEP_2)
	v_fmac_f32_e32 v15, v17, v11
	v_fma_f32 v6, -v6, v13, v14
	s_delay_alu instid0(VALU_DEP_2) | instskip(NEXT) | instid1(VALU_DEP_2)
	v_fma_f32 v8, -v8, v15, v12
	v_div_fmas_f32 v6, v6, v10, v13
	s_mov_b32 vcc_lo, s1
	s_delay_alu instid0(VALU_DEP_2) | instskip(NEXT) | instid1(VALU_DEP_2)
	v_div_fmas_f32 v8, v8, v11, v15
	v_div_fixup_f32 v10, v6, v7, 1.0
	s_delay_alu instid0(VALU_DEP_2)
	v_div_fixup_f32 v11, v8, v9, 0
.LBB182_84:
	s_or_b32 exec_lo, exec_lo, s7
                                        ; implicit-def: $vgpr6
                                        ; implicit-def: $vgpr8
.LBB182_85:
	s_and_not1_saveexec_b32 s1, s2
	s_cbranch_execz .LBB182_87
; %bb.86:
	v_div_scale_f32 v7, null, v6, v6, v8
	v_div_scale_f32 v11, vcc_lo, v8, v6, v8
	s_delay_alu instid0(VALU_DEP_2) | instskip(SKIP_2) | instid1(VALU_DEP_1)
	v_rcp_f32_e32 v9, v7
	s_waitcnt_depctr 0xfff
	v_fma_f32 v10, -v7, v9, 1.0
	v_fmac_f32_e32 v9, v10, v9
	s_delay_alu instid0(VALU_DEP_1) | instskip(NEXT) | instid1(VALU_DEP_1)
	v_mul_f32_e32 v10, v11, v9
	v_fma_f32 v12, -v7, v10, v11
	s_delay_alu instid0(VALU_DEP_1) | instskip(NEXT) | instid1(VALU_DEP_1)
	v_fmac_f32_e32 v10, v12, v9
	v_fma_f32 v7, -v7, v10, v11
	s_delay_alu instid0(VALU_DEP_1) | instskip(NEXT) | instid1(VALU_DEP_1)
	v_div_fmas_f32 v7, v7, v9, v10
	v_div_fixup_f32 v7, v7, v6, v8
	s_delay_alu instid0(VALU_DEP_1) | instskip(NEXT) | instid1(VALU_DEP_1)
	v_fmac_f32_e32 v6, v8, v7
	v_div_scale_f32 v8, null, v6, v6, 1.0
	v_div_scale_f32 v11, vcc_lo, 1.0, v6, 1.0
	s_delay_alu instid0(VALU_DEP_2) | instskip(SKIP_2) | instid1(VALU_DEP_1)
	v_rcp_f32_e32 v9, v8
	s_waitcnt_depctr 0xfff
	v_fma_f32 v10, -v8, v9, 1.0
	v_fmac_f32_e32 v9, v10, v9
	s_delay_alu instid0(VALU_DEP_1) | instskip(NEXT) | instid1(VALU_DEP_1)
	v_mul_f32_e32 v10, v11, v9
	v_fma_f32 v12, -v8, v10, v11
	s_delay_alu instid0(VALU_DEP_1) | instskip(NEXT) | instid1(VALU_DEP_1)
	v_fmac_f32_e32 v10, v12, v9
	v_fma_f32 v8, -v8, v10, v11
	s_delay_alu instid0(VALU_DEP_1) | instskip(SKIP_2) | instid1(VALU_DEP_3)
	v_div_fmas_f32 v8, v8, v9, v10
	v_add_f32_e32 v9, 0, v7
	v_fma_f32 v7, v7, 0, -1.0
	v_div_fixup_f32 v6, v8, v6, 1.0
	s_delay_alu instid0(VALU_DEP_1) | instskip(NEXT) | instid1(VALU_DEP_4)
	v_mul_f32_e32 v11, v7, v6
	v_mul_f32_e32 v10, v9, v6
.LBB182_87:
	s_or_b32 exec_lo, exec_lo, s1
	s_delay_alu instid0(VALU_DEP_1) | instskip(NEXT) | instid1(VALU_DEP_2)
	v_cvt_f16_f32_e32 v6, v11
	v_cvt_f16_f32_e32 v7, v10
	s_delay_alu instid0(VALU_DEP_2) | instskip(NEXT) | instid1(VALU_DEP_2)
	v_lshlrev_b32_e32 v6, 16, v6
	v_and_b32_e32 v7, 0xffff, v7
	s_delay_alu instid0(VALU_DEP_1)
	v_or_b32_e32 v6, v6, v7
.LBB182_88:
	s_or_b32 exec_lo, exec_lo, s6
	s_waitcnt vmcnt(0)
	v_or_b32_e32 v7, 0x200, v0
	s_delay_alu instid0(VALU_DEP_1)
	v_cmp_gt_i32_e32 vcc_lo, s8, v7
                                        ; implicit-def: $vgpr7
	s_and_saveexec_b32 s6, vcc_lo
	s_cbranch_execz .LBB182_128
; %bb.89:
	v_lshrrev_b32_e32 v7, 16, v5
	v_cmp_neq_f16_e32 vcc_lo, 0, v5
	v_mov_b32_e32 v8, 0
	s_delay_alu instid0(VALU_DEP_3) | instskip(SKIP_1) | instid1(VALU_DEP_2)
	v_cmp_neq_f16_e64 s1, 0, v7
	v_cvt_f32_f16_e32 v7, v7
	s_or_b32 s1, vcc_lo, s1
	s_delay_alu instid0(SALU_CYCLE_1)
	s_and_saveexec_b32 s7, s1
	s_cbranch_execz .LBB182_119
; %bb.90:
	v_mov_b32_e32 v8, 0x7f800000
	s_mov_b32 s9, exec_lo
	v_cmpx_neq_f32_e64 0x7f800000, |v7|
	s_cbranch_execz .LBB182_118
; %bb.91:
	v_cvt_f32_f16_e32 v8, v5
	s_mov_b32 s1, exec_lo
	v_cmpx_o_f16_e32 v5, v5
	s_xor_b32 s10, exec_lo, s1
	s_cbranch_execz .LBB182_115
; %bb.92:
	s_mov_b32 s2, exec_lo
	v_cmpx_neq_f32_e64 0x7f800000, |v8|
	s_xor_b32 s11, exec_lo, s2
	s_cbranch_execz .LBB182_108
; %bb.93:
	v_max_f32_e64 v5, |v7|, |v7|
	v_max_f32_e64 v9, |v8|, |v8|
                                        ; implicit-def: $sgpr12
	s_delay_alu instid0(VALU_DEP_1) | instskip(NEXT) | instid1(VALU_DEP_1)
	v_max_f32_e32 v5, v9, v5
	v_cmp_nle_f32_e64 s1, 0x7ed413cb, v5
	s_delay_alu instid0(VALU_DEP_1) | instskip(NEXT) | instid1(SALU_CYCLE_1)
	s_and_saveexec_b32 s2, s1
	s_xor_b32 s2, exec_lo, s2
	s_cbranch_execz .LBB182_97
; %bb.94:
	v_cmp_ge_f32_e64 s12, 0x1000000, |v8|
	v_cmp_ge_f32_e64 s13, 0x1000000, |v7|
	s_delay_alu instid0(VALU_DEP_1)
	s_and_b32 s14, s12, s13
	s_mov_b32 s12, 0
	s_and_saveexec_b32 s13, s14
; %bb.95:
	v_dual_mul_f32 v7, 4.0, v7 :: v_dual_mul_f32 v8, 4.0, v8
	s_mov_b32 s12, exec_lo
; %bb.96:
	s_or_b32 exec_lo, exec_lo, s13
	s_delay_alu instid0(SALU_CYCLE_1)
	s_and_b32 s12, s12, exec_lo
.LBB182_97:
	s_and_not1_saveexec_b32 s2, s2
; %bb.98:
	v_dual_mul_f32 v8, 0x3e800000, v8 :: v_dual_mul_f32 v7, 0x3e800000, v7
	s_and_not1_b32 s12, s12, exec_lo
; %bb.99:
	s_or_b32 exec_lo, exec_lo, s2
	s_delay_alu instid0(VALU_DEP_1) | instskip(NEXT) | instid1(VALU_DEP_2)
	v_max_f32_e64 v5, |v7|, |v7|
	v_max_f32_e64 v9, |v8|, |v8|
	s_delay_alu instid0(VALU_DEP_1) | instskip(NEXT) | instid1(VALU_DEP_1)
	v_max_f32_e32 v5, v9, v5
	v_cvt_f64_f32_e32 v[9:10], v5
	v_cmp_neq_f32_e64 s2, 0x7f800000, v5
                                        ; implicit-def: $vgpr5
	s_delay_alu instid0(VALU_DEP_2) | instskip(NEXT) | instid1(VALU_DEP_1)
	v_frexp_exp_i32_f64_e32 v9, v[9:10]
	v_sub_nc_u32_e32 v10, 0, v9
	s_delay_alu instid0(VALU_DEP_1) | instskip(SKIP_1) | instid1(VALU_DEP_2)
	v_ldexp_f32 v11, |v7|, v10
	v_ldexp_f32 v10, |v8|, v10
	v_mul_f32_e32 v11, v11, v11
	s_delay_alu instid0(VALU_DEP_1) | instskip(NEXT) | instid1(VALU_DEP_1)
	v_fmac_f32_e32 v11, v10, v10
	v_sqrt_f32_e32 v10, v11
	s_waitcnt_depctr 0xfff
	v_ldexp_f32 v9, v10, v9
	s_delay_alu instid0(VALU_DEP_1)
	v_cndmask_b32_e64 v10, 0x7f800000, v9, s2
                                        ; implicit-def: $vgpr9
	s_mov_b32 s2, exec_lo
	v_cmpx_le_f32_e32 0, v8
	s_xor_b32 s13, exec_lo, s2
	s_cbranch_execz .LBB182_101
; %bb.100:
	v_add_f32_e32 v5, v8, v10
	s_delay_alu instid0(VALU_DEP_1) | instskip(NEXT) | instid1(VALU_DEP_1)
	v_mul_f32_e32 v5, 0.5, v5
	v_mul_f32_e32 v8, 0x4f800000, v5
	v_cmp_gt_f32_e32 vcc_lo, 0xf800000, v5
	s_delay_alu instid0(VALU_DEP_2) | instskip(NEXT) | instid1(VALU_DEP_1)
	v_cndmask_b32_e32 v5, v5, v8, vcc_lo
	v_sqrt_f32_e32 v8, v5
	s_waitcnt_depctr 0xfff
	v_add_nc_u32_e32 v9, -1, v8
	v_add_nc_u32_e32 v10, 1, v8
	s_delay_alu instid0(VALU_DEP_2) | instskip(NEXT) | instid1(VALU_DEP_2)
	v_fma_f32 v11, -v9, v8, v5
	v_fma_f32 v12, -v10, v8, v5
	s_delay_alu instid0(VALU_DEP_2) | instskip(NEXT) | instid1(VALU_DEP_1)
	v_cmp_ge_f32_e64 s2, 0, v11
	v_cndmask_b32_e64 v8, v8, v9, s2
	s_delay_alu instid0(VALU_DEP_3) | instskip(NEXT) | instid1(VALU_DEP_1)
	v_cmp_lt_f32_e64 s2, 0, v12
	v_cndmask_b32_e64 v8, v8, v10, s2
	s_delay_alu instid0(VALU_DEP_1) | instskip(NEXT) | instid1(VALU_DEP_1)
	v_mul_f32_e32 v9, 0x37800000, v8
	v_cndmask_b32_e32 v8, v8, v9, vcc_lo
	v_cmp_class_f32_e64 vcc_lo, v5, 0x260
	s_delay_alu instid0(VALU_DEP_2) | instskip(NEXT) | instid1(VALU_DEP_1)
	v_cndmask_b32_e32 v5, v8, v5, vcc_lo
	v_add_f32_e32 v8, v5, v5
	s_delay_alu instid0(VALU_DEP_1) | instskip(NEXT) | instid1(VALU_DEP_1)
	v_div_scale_f32 v9, null, v8, v8, v7
	v_rcp_f32_e32 v10, v9
	s_waitcnt_depctr 0xfff
	v_fma_f32 v11, -v9, v10, 1.0
	s_delay_alu instid0(VALU_DEP_1) | instskip(SKIP_1) | instid1(VALU_DEP_1)
	v_fmac_f32_e32 v10, v11, v10
	v_div_scale_f32 v11, vcc_lo, v7, v8, v7
	v_mul_f32_e32 v12, v11, v10
	s_delay_alu instid0(VALU_DEP_1) | instskip(NEXT) | instid1(VALU_DEP_1)
	v_fma_f32 v13, -v9, v12, v11
	v_fmac_f32_e32 v12, v13, v10
	s_delay_alu instid0(VALU_DEP_1) | instskip(NEXT) | instid1(VALU_DEP_1)
	v_fma_f32 v9, -v9, v12, v11
	v_div_fmas_f32 v9, v9, v10, v12
                                        ; implicit-def: $vgpr10
	s_delay_alu instid0(VALU_DEP_1)
	v_div_fixup_f32 v9, v9, v8, v7
                                        ; implicit-def: $vgpr8
                                        ; implicit-def: $vgpr7
	s_and_not1_saveexec_b32 s13, s13
	s_cbranch_execz .LBB182_103
	s_branch .LBB182_102
.LBB182_101:
	s_and_not1_saveexec_b32 s13, s13
	s_cbranch_execz .LBB182_103
.LBB182_102:
	v_sub_f32_e32 v5, v10, v8
	s_delay_alu instid0(VALU_DEP_1) | instskip(NEXT) | instid1(VALU_DEP_1)
	v_mul_f32_e32 v5, 0.5, v5
	v_mul_f32_e32 v8, 0x4f800000, v5
	v_cmp_gt_f32_e32 vcc_lo, 0xf800000, v5
	s_delay_alu instid0(VALU_DEP_2) | instskip(NEXT) | instid1(VALU_DEP_1)
	v_cndmask_b32_e32 v5, v5, v8, vcc_lo
	v_sqrt_f32_e32 v8, v5
	s_waitcnt_depctr 0xfff
	v_add_nc_u32_e32 v9, -1, v8
	v_add_nc_u32_e32 v10, 1, v8
	s_delay_alu instid0(VALU_DEP_2) | instskip(NEXT) | instid1(VALU_DEP_2)
	v_fma_f32 v11, -v9, v8, v5
	v_fma_f32 v12, -v10, v8, v5
	s_delay_alu instid0(VALU_DEP_2) | instskip(NEXT) | instid1(VALU_DEP_1)
	v_cmp_ge_f32_e64 s2, 0, v11
	v_cndmask_b32_e64 v8, v8, v9, s2
	s_delay_alu instid0(VALU_DEP_3) | instskip(NEXT) | instid1(VALU_DEP_1)
	v_cmp_lt_f32_e64 s2, 0, v12
	v_cndmask_b32_e64 v8, v8, v10, s2
	s_delay_alu instid0(VALU_DEP_1) | instskip(NEXT) | instid1(VALU_DEP_1)
	v_mul_f32_e32 v9, 0x37800000, v8
	v_cndmask_b32_e32 v8, v8, v9, vcc_lo
	v_cmp_class_f32_e64 vcc_lo, v5, 0x260
	s_delay_alu instid0(VALU_DEP_2) | instskip(NEXT) | instid1(VALU_DEP_1)
	v_dual_cndmask_b32 v8, v8, v5 :: v_dual_and_b32 v5, 0x7fffffff, v7
	v_add_f32_e32 v9, v8, v8
	s_delay_alu instid0(VALU_DEP_1) | instskip(SKIP_1) | instid1(VALU_DEP_2)
	v_div_scale_f32 v10, null, v9, v9, v5
	v_div_scale_f32 v5, vcc_lo, v5, v9, v5
	v_rcp_f32_e32 v11, v10
	s_waitcnt_depctr 0xfff
	v_fma_f32 v12, -v10, v11, 1.0
	s_delay_alu instid0(VALU_DEP_1) | instskip(NEXT) | instid1(VALU_DEP_1)
	v_fmac_f32_e32 v11, v12, v11
	v_mul_f32_e32 v12, v5, v11
	s_delay_alu instid0(VALU_DEP_1) | instskip(NEXT) | instid1(VALU_DEP_1)
	v_fma_f32 v13, -v10, v12, v5
	v_fmac_f32_e32 v12, v13, v11
	s_delay_alu instid0(VALU_DEP_1) | instskip(NEXT) | instid1(VALU_DEP_1)
	v_fma_f32 v5, -v10, v12, v5
	v_div_fmas_f32 v5, v5, v11, v12
	s_delay_alu instid0(VALU_DEP_1)
	v_div_fixup_f32 v5, v5, v9, |v7|
	v_bfi_b32 v9, 0x7fffffff, v8, v7
.LBB182_103:
	s_or_b32 exec_lo, exec_lo, s13
                                        ; implicit-def: $vgpr7
                                        ; implicit-def: $vgpr8
	s_and_saveexec_b32 s2, s1
	s_delay_alu instid0(SALU_CYCLE_1)
	s_xor_b32 s1, exec_lo, s2
	s_cbranch_execz .LBB182_105
; %bb.104:
	v_mul_f32_e32 v7, 0.5, v5
	v_mul_f32_e32 v10, 0.5, v9
	s_delay_alu instid0(VALU_DEP_2) | instskip(NEXT) | instid1(VALU_DEP_2)
	v_cndmask_b32_e64 v8, v5, v7, s12
	v_cndmask_b32_e64 v7, v9, v10, s12
                                        ; implicit-def: $vgpr5
                                        ; implicit-def: $vgpr9
	s_and_not1_saveexec_b32 s1, s1
	s_cbranch_execnz .LBB182_106
	s_branch .LBB182_107
.LBB182_105:
	s_and_not1_saveexec_b32 s1, s1
.LBB182_106:
	v_add_f32_e32 v8, v5, v5
	v_add_f32_e32 v7, v9, v9
.LBB182_107:
	s_or_b32 exec_lo, exec_lo, s1
                                        ; implicit-def: $vgpr5
.LBB182_108:
	s_and_not1_saveexec_b32 s1, s11
	s_cbranch_execz .LBB182_114
; %bb.109:
	v_cmp_lt_i16_e32 vcc_lo, -1, v5
	v_sub_f32_e32 v5, v7, v7
	s_and_saveexec_b32 s2, vcc_lo
	s_delay_alu instid0(SALU_CYCLE_1)
	s_xor_b32 s2, exec_lo, s2
; %bb.110:
	s_delay_alu instid0(VALU_DEP_1)
	v_bfi_b32 v7, 0x7fffffff, v5, v7
                                        ; implicit-def: $vgpr5
; %bb.111:
	s_and_not1_saveexec_b32 s2, s2
; %bb.112:
	v_and_b32_e32 v5, 0x7fffffff, v5
	s_delay_alu instid0(VALU_DEP_2) | instskip(NEXT) | instid1(VALU_DEP_2)
	v_bfi_b32 v7, 0x7fffffff, v8, v7
	v_mov_b32_e32 v8, v5
; %bb.113:
	s_or_b32 exec_lo, exec_lo, s2
.LBB182_114:
	s_delay_alu instid0(SALU_CYCLE_1)
	s_or_b32 exec_lo, exec_lo, s1
.LBB182_115:
	s_and_not1_saveexec_b32 s1, s10
; %bb.116:
	v_sub_f32_e32 v5, v7, v7
	s_delay_alu instid0(VALU_DEP_1) | instskip(NEXT) | instid1(VALU_DEP_1)
	v_div_scale_f32 v7, vcc_lo, v5, v5, v5
	v_rcp_f32_e32 v9, v7
	s_waitcnt_depctr 0xfff
	v_fma_f32 v10, -v7, v9, 1.0
	s_delay_alu instid0(VALU_DEP_1) | instskip(NEXT) | instid1(VALU_DEP_1)
	v_fmac_f32_e32 v9, v10, v9
	v_mul_f32_e32 v10, v7, v9
	s_delay_alu instid0(VALU_DEP_1) | instskip(NEXT) | instid1(VALU_DEP_1)
	v_fma_f32 v11, -v7, v10, v7
	v_fmac_f32_e32 v10, v11, v9
	s_delay_alu instid0(VALU_DEP_1) | instskip(NEXT) | instid1(VALU_DEP_1)
	v_fma_f32 v7, -v7, v10, v7
	v_div_fmas_f32 v7, v7, v9, v10
	s_delay_alu instid0(VALU_DEP_1)
	v_div_fixup_f32 v7, v7, v5, v5
; %bb.117:
	s_or_b32 exec_lo, exec_lo, s1
.LBB182_118:
	s_delay_alu instid0(SALU_CYCLE_1)
	s_or_b32 exec_lo, exec_lo, s9
.LBB182_119:
	s_delay_alu instid0(SALU_CYCLE_1)
	s_or_b32 exec_lo, exec_lo, s7
	v_cmp_gt_f32_e32 vcc_lo, 0, v8
                                        ; implicit-def: $vgpr11
                                        ; implicit-def: $vgpr10
	s_mov_b32 s1, exec_lo
	v_cndmask_b32_e64 v5, v8, -v8, vcc_lo
	v_cmp_gt_f32_e32 vcc_lo, 0, v7
	v_cndmask_b32_e64 v9, v7, -v7, vcc_lo
	s_delay_alu instid0(VALU_DEP_1)
	v_cmpx_ge_f32_e32 v5, v9
	s_xor_b32 s2, exec_lo, s1
	s_cbranch_execz .LBB182_125
; %bb.120:
	v_cmp_neq_f32_e32 vcc_lo, 0, v8
	v_cmp_neq_f32_e64 s1, 0, v7
                                        ; implicit-def: $vgpr11
                                        ; implicit-def: $vgpr10
	s_delay_alu instid0(VALU_DEP_1) | instskip(NEXT) | instid1(SALU_CYCLE_1)
	s_or_b32 s1, vcc_lo, s1
	s_and_saveexec_b32 s7, s1
	s_delay_alu instid0(SALU_CYCLE_1)
	s_xor_b32 s1, exec_lo, s7
	s_cbranch_execz .LBB182_122
; %bb.121:
	v_div_scale_f32 v5, null, v8, v8, v7
	v_div_scale_f32 v11, vcc_lo, v7, v8, v7
	s_delay_alu instid0(VALU_DEP_2) | instskip(SKIP_2) | instid1(VALU_DEP_1)
	v_rcp_f32_e32 v9, v5
	s_waitcnt_depctr 0xfff
	v_fma_f32 v10, -v5, v9, 1.0
	v_fmac_f32_e32 v9, v10, v9
	s_delay_alu instid0(VALU_DEP_1) | instskip(NEXT) | instid1(VALU_DEP_1)
	v_mul_f32_e32 v10, v11, v9
	v_fma_f32 v12, -v5, v10, v11
	s_delay_alu instid0(VALU_DEP_1) | instskip(NEXT) | instid1(VALU_DEP_1)
	v_fmac_f32_e32 v10, v12, v9
	v_fma_f32 v5, -v5, v10, v11
	s_delay_alu instid0(VALU_DEP_1) | instskip(NEXT) | instid1(VALU_DEP_1)
	v_div_fmas_f32 v5, v5, v9, v10
	v_div_fixup_f32 v5, v5, v8, v7
	s_delay_alu instid0(VALU_DEP_1) | instskip(NEXT) | instid1(VALU_DEP_1)
	v_fmac_f32_e32 v8, v7, v5
	v_div_scale_f32 v7, null, v8, v8, 1.0
	v_div_scale_f32 v11, vcc_lo, 1.0, v8, 1.0
	s_delay_alu instid0(VALU_DEP_2) | instskip(SKIP_2) | instid1(VALU_DEP_1)
	v_rcp_f32_e32 v9, v7
	s_waitcnt_depctr 0xfff
	v_fma_f32 v10, -v7, v9, 1.0
	v_fmac_f32_e32 v9, v10, v9
	s_delay_alu instid0(VALU_DEP_1) | instskip(NEXT) | instid1(VALU_DEP_1)
	v_mul_f32_e32 v10, v11, v9
	v_fma_f32 v12, -v7, v10, v11
	s_delay_alu instid0(VALU_DEP_1) | instskip(NEXT) | instid1(VALU_DEP_1)
	v_fmac_f32_e32 v10, v12, v9
	v_fma_f32 v7, -v7, v10, v11
	s_delay_alu instid0(VALU_DEP_1) | instskip(SKIP_1) | instid1(VALU_DEP_2)
	v_div_fmas_f32 v7, v7, v9, v10
	v_fma_f32 v9, v5, 0, 1.0
	v_div_fixup_f32 v7, v7, v8, 1.0
	s_delay_alu instid0(VALU_DEP_1)
	v_mul_f32_e32 v10, v9, v7
	v_mul_f32_e64 v11, -v5, v7
                                        ; implicit-def: $vgpr5
                                        ; implicit-def: $vgpr9
.LBB182_122:
	s_and_not1_saveexec_b32 s7, s1
	s_cbranch_execz .LBB182_124
; %bb.123:
	v_div_scale_f32 v7, null, v5, v5, 1.0
	v_div_scale_f32 v8, null, v9, v9, 0
	v_div_scale_f32 v14, vcc_lo, 1.0, v5, 1.0
	s_delay_alu instid0(VALU_DEP_3) | instskip(NEXT) | instid1(VALU_DEP_2)
	v_rcp_f32_e32 v10, v7
	v_rcp_f32_e32 v11, v8
	s_waitcnt_depctr 0xfff
	v_fma_f32 v12, -v7, v10, 1.0
	v_fma_f32 v13, -v8, v11, 1.0
	s_delay_alu instid0(VALU_DEP_1) | instskip(SKIP_1) | instid1(VALU_DEP_2)
	v_dual_fmac_f32 v10, v12, v10 :: v_dual_fmac_f32 v11, v13, v11
	v_div_scale_f32 v12, s1, 0, v9, 0
	v_mul_f32_e32 v13, v14, v10
	s_delay_alu instid0(VALU_DEP_2) | instskip(NEXT) | instid1(VALU_DEP_2)
	v_mul_f32_e32 v15, v12, v11
	v_fma_f32 v16, -v7, v13, v14
	s_delay_alu instid0(VALU_DEP_2) | instskip(NEXT) | instid1(VALU_DEP_2)
	v_fma_f32 v17, -v8, v15, v12
	v_fmac_f32_e32 v13, v16, v10
	s_delay_alu instid0(VALU_DEP_2) | instskip(NEXT) | instid1(VALU_DEP_2)
	v_fmac_f32_e32 v15, v17, v11
	v_fma_f32 v7, -v7, v13, v14
	s_delay_alu instid0(VALU_DEP_2) | instskip(NEXT) | instid1(VALU_DEP_2)
	v_fma_f32 v8, -v8, v15, v12
	v_div_fmas_f32 v7, v7, v10, v13
	s_mov_b32 vcc_lo, s1
	s_delay_alu instid0(VALU_DEP_2) | instskip(NEXT) | instid1(VALU_DEP_2)
	v_div_fmas_f32 v8, v8, v11, v15
	v_div_fixup_f32 v10, v7, v5, 1.0
	s_delay_alu instid0(VALU_DEP_2)
	v_div_fixup_f32 v11, v8, v9, 0
.LBB182_124:
	s_or_b32 exec_lo, exec_lo, s7
                                        ; implicit-def: $vgpr7
                                        ; implicit-def: $vgpr8
.LBB182_125:
	s_and_not1_saveexec_b32 s1, s2
	s_cbranch_execz .LBB182_127
; %bb.126:
	v_div_scale_f32 v5, null, v7, v7, v8
	v_div_scale_f32 v11, vcc_lo, v8, v7, v8
	s_delay_alu instid0(VALU_DEP_2) | instskip(SKIP_2) | instid1(VALU_DEP_1)
	v_rcp_f32_e32 v9, v5
	s_waitcnt_depctr 0xfff
	v_fma_f32 v10, -v5, v9, 1.0
	v_fmac_f32_e32 v9, v10, v9
	s_delay_alu instid0(VALU_DEP_1) | instskip(NEXT) | instid1(VALU_DEP_1)
	v_mul_f32_e32 v10, v11, v9
	v_fma_f32 v12, -v5, v10, v11
	s_delay_alu instid0(VALU_DEP_1) | instskip(NEXT) | instid1(VALU_DEP_1)
	v_fmac_f32_e32 v10, v12, v9
	v_fma_f32 v5, -v5, v10, v11
	s_delay_alu instid0(VALU_DEP_1) | instskip(NEXT) | instid1(VALU_DEP_1)
	v_div_fmas_f32 v5, v5, v9, v10
	v_div_fixup_f32 v5, v5, v7, v8
	s_delay_alu instid0(VALU_DEP_1) | instskip(NEXT) | instid1(VALU_DEP_1)
	v_fmac_f32_e32 v7, v8, v5
	v_div_scale_f32 v8, null, v7, v7, 1.0
	v_div_scale_f32 v11, vcc_lo, 1.0, v7, 1.0
	s_delay_alu instid0(VALU_DEP_2) | instskip(SKIP_2) | instid1(VALU_DEP_1)
	v_rcp_f32_e32 v9, v8
	s_waitcnt_depctr 0xfff
	v_fma_f32 v10, -v8, v9, 1.0
	v_fmac_f32_e32 v9, v10, v9
	s_delay_alu instid0(VALU_DEP_1) | instskip(NEXT) | instid1(VALU_DEP_1)
	v_mul_f32_e32 v10, v11, v9
	v_fma_f32 v12, -v8, v10, v11
	s_delay_alu instid0(VALU_DEP_1) | instskip(NEXT) | instid1(VALU_DEP_1)
	v_fmac_f32_e32 v10, v12, v9
	v_fma_f32 v8, -v8, v10, v11
	s_delay_alu instid0(VALU_DEP_1) | instskip(SKIP_2) | instid1(VALU_DEP_3)
	v_div_fmas_f32 v8, v8, v9, v10
	v_add_f32_e32 v9, 0, v5
	v_fma_f32 v5, v5, 0, -1.0
	v_div_fixup_f32 v7, v8, v7, 1.0
	s_delay_alu instid0(VALU_DEP_1) | instskip(NEXT) | instid1(VALU_DEP_4)
	v_mul_f32_e32 v11, v5, v7
	v_mul_f32_e32 v10, v9, v7
.LBB182_127:
	s_or_b32 exec_lo, exec_lo, s1
	s_delay_alu instid0(VALU_DEP_1) | instskip(NEXT) | instid1(VALU_DEP_2)
	v_cvt_f16_f32_e32 v5, v11
	v_cvt_f16_f32_e32 v7, v10
	s_delay_alu instid0(VALU_DEP_2) | instskip(NEXT) | instid1(VALU_DEP_2)
	v_lshlrev_b32_e32 v5, 16, v5
	v_and_b32_e32 v7, 0xffff, v7
	s_delay_alu instid0(VALU_DEP_1)
	v_or_b32_e32 v7, v5, v7
.LBB182_128:
	s_or_b32 exec_lo, exec_lo, s6
	v_or_b32_e32 v5, 0x300, v0
	s_delay_alu instid0(VALU_DEP_1)
	v_cmp_gt_i32_e32 vcc_lo, s8, v5
                                        ; implicit-def: $vgpr5
	s_and_saveexec_b32 s6, vcc_lo
	s_cbranch_execz .LBB182_141
; %bb.129:
	v_lshrrev_b32_e32 v5, 16, v2
	v_cmp_neq_f16_e32 vcc_lo, 0, v2
	v_mov_b32_e32 v8, 0
	s_delay_alu instid0(VALU_DEP_3) | instskip(SKIP_1) | instid1(VALU_DEP_2)
	v_cmp_neq_f16_e64 s1, 0, v5
	v_cvt_f32_f16_e32 v5, v5
	s_or_b32 s1, vcc_lo, s1
	s_delay_alu instid0(SALU_CYCLE_1)
	s_and_saveexec_b32 s7, s1
	s_cbranch_execz .LBB182_164
; %bb.130:
	v_mov_b32_e32 v8, 0x7f800000
	s_mov_b32 s9, exec_lo
	v_cmpx_neq_f32_e64 0x7f800000, |v5|
	s_cbranch_execz .LBB182_163
; %bb.131:
	v_cvt_f32_f16_e32 v8, v2
	s_mov_b32 s1, exec_lo
	v_cmpx_o_f16_e32 v2, v2
	s_xor_b32 s10, exec_lo, s1
	s_cbranch_execz .LBB182_160
; %bb.132:
	s_mov_b32 s2, exec_lo
	v_cmpx_neq_f32_e64 0x7f800000, |v8|
	s_xor_b32 s11, exec_lo, s2
	s_cbranch_execz .LBB182_153
; %bb.133:
	v_max_f32_e64 v2, |v5|, |v5|
	v_max_f32_e64 v9, |v8|, |v8|
                                        ; implicit-def: $sgpr12
	s_delay_alu instid0(VALU_DEP_1) | instskip(NEXT) | instid1(VALU_DEP_1)
	v_max_f32_e32 v2, v9, v2
	v_cmp_nle_f32_e64 s1, 0x7ed413cb, v2
	s_delay_alu instid0(VALU_DEP_1) | instskip(NEXT) | instid1(SALU_CYCLE_1)
	s_and_saveexec_b32 s2, s1
	s_xor_b32 s2, exec_lo, s2
	s_cbranch_execz .LBB182_137
; %bb.134:
	v_cmp_ge_f32_e64 s12, 0x1000000, |v8|
	v_cmp_ge_f32_e64 s13, 0x1000000, |v5|
	s_delay_alu instid0(VALU_DEP_1)
	s_and_b32 s14, s12, s13
	s_mov_b32 s12, 0
	s_and_saveexec_b32 s13, s14
; %bb.135:
	v_dual_mul_f32 v5, 4.0, v5 :: v_dual_mul_f32 v8, 4.0, v8
	s_mov_b32 s12, exec_lo
; %bb.136:
	s_or_b32 exec_lo, exec_lo, s13
	s_delay_alu instid0(SALU_CYCLE_1)
	s_and_b32 s12, s12, exec_lo
.LBB182_137:
	s_and_not1_saveexec_b32 s2, s2
; %bb.138:
	v_dual_mul_f32 v8, 0x3e800000, v8 :: v_dual_mul_f32 v5, 0x3e800000, v5
	s_and_not1_b32 s12, s12, exec_lo
; %bb.139:
	s_or_b32 exec_lo, exec_lo, s2
	s_delay_alu instid0(VALU_DEP_1) | instskip(NEXT) | instid1(VALU_DEP_2)
	v_max_f32_e64 v2, |v5|, |v5|
	v_max_f32_e64 v9, |v8|, |v8|
	s_delay_alu instid0(VALU_DEP_1) | instskip(NEXT) | instid1(VALU_DEP_1)
	v_max_f32_e32 v2, v9, v2
	v_cvt_f64_f32_e32 v[9:10], v2
	s_delay_alu instid0(VALU_DEP_1) | instskip(NEXT) | instid1(VALU_DEP_1)
	v_frexp_exp_i32_f64_e32 v9, v[9:10]
	v_sub_nc_u32_e32 v10, 0, v9
	s_delay_alu instid0(VALU_DEP_1) | instskip(SKIP_1) | instid1(VALU_DEP_2)
	v_ldexp_f32 v11, |v5|, v10
	v_ldexp_f32 v10, |v8|, v10
	v_mul_f32_e32 v11, v11, v11
	v_cmp_neq_f32_e64 s2, 0x7f800000, v2
                                        ; implicit-def: $vgpr2
	s_delay_alu instid0(VALU_DEP_2) | instskip(NEXT) | instid1(VALU_DEP_1)
	v_fmac_f32_e32 v11, v10, v10
	v_sqrt_f32_e32 v10, v11
	s_waitcnt_depctr 0xfff
	v_ldexp_f32 v9, v10, v9
	s_delay_alu instid0(VALU_DEP_1)
	v_cndmask_b32_e64 v10, 0x7f800000, v9, s2
                                        ; implicit-def: $vgpr9
	s_mov_b32 s2, exec_lo
	v_cmpx_le_f32_e32 0, v8
	s_xor_b32 s13, exec_lo, s2
	s_cbranch_execz .LBB182_146
; %bb.140:
	v_add_f32_e32 v2, v8, v10
	s_delay_alu instid0(VALU_DEP_1) | instskip(NEXT) | instid1(VALU_DEP_1)
	v_mul_f32_e32 v2, 0.5, v2
	v_mul_f32_e32 v8, 0x4f800000, v2
	v_cmp_gt_f32_e32 vcc_lo, 0xf800000, v2
	s_delay_alu instid0(VALU_DEP_2) | instskip(NEXT) | instid1(VALU_DEP_1)
	v_cndmask_b32_e32 v2, v2, v8, vcc_lo
	v_sqrt_f32_e32 v8, v2
	s_waitcnt_depctr 0xfff
	v_add_nc_u32_e32 v9, -1, v8
	v_add_nc_u32_e32 v10, 1, v8
	s_delay_alu instid0(VALU_DEP_2) | instskip(NEXT) | instid1(VALU_DEP_2)
	v_fma_f32 v11, -v9, v8, v2
	v_fma_f32 v12, -v10, v8, v2
	s_delay_alu instid0(VALU_DEP_2) | instskip(NEXT) | instid1(VALU_DEP_1)
	v_cmp_ge_f32_e64 s2, 0, v11
	v_cndmask_b32_e64 v8, v8, v9, s2
	s_delay_alu instid0(VALU_DEP_3) | instskip(NEXT) | instid1(VALU_DEP_1)
	v_cmp_lt_f32_e64 s2, 0, v12
	v_cndmask_b32_e64 v8, v8, v10, s2
	s_delay_alu instid0(VALU_DEP_1) | instskip(NEXT) | instid1(VALU_DEP_1)
	v_mul_f32_e32 v9, 0x37800000, v8
	v_cndmask_b32_e32 v8, v8, v9, vcc_lo
	v_cmp_class_f32_e64 vcc_lo, v2, 0x260
	s_delay_alu instid0(VALU_DEP_2) | instskip(NEXT) | instid1(VALU_DEP_1)
	v_cndmask_b32_e32 v2, v8, v2, vcc_lo
	v_add_f32_e32 v8, v2, v2
	s_delay_alu instid0(VALU_DEP_1) | instskip(NEXT) | instid1(VALU_DEP_1)
	v_div_scale_f32 v9, null, v8, v8, v5
	v_rcp_f32_e32 v10, v9
	s_waitcnt_depctr 0xfff
	v_fma_f32 v11, -v9, v10, 1.0
	s_delay_alu instid0(VALU_DEP_1) | instskip(SKIP_1) | instid1(VALU_DEP_1)
	v_fmac_f32_e32 v10, v11, v10
	v_div_scale_f32 v11, vcc_lo, v5, v8, v5
	v_mul_f32_e32 v12, v11, v10
	s_delay_alu instid0(VALU_DEP_1) | instskip(NEXT) | instid1(VALU_DEP_1)
	v_fma_f32 v13, -v9, v12, v11
	v_fmac_f32_e32 v12, v13, v10
	s_delay_alu instid0(VALU_DEP_1) | instskip(NEXT) | instid1(VALU_DEP_1)
	v_fma_f32 v9, -v9, v12, v11
	v_div_fmas_f32 v9, v9, v10, v12
                                        ; implicit-def: $vgpr10
	s_delay_alu instid0(VALU_DEP_1)
	v_div_fixup_f32 v9, v9, v8, v5
                                        ; implicit-def: $vgpr8
                                        ; implicit-def: $vgpr5
	s_and_not1_saveexec_b32 s13, s13
	s_cbranch_execz .LBB182_148
	s_branch .LBB182_147
.LBB182_141:
	s_or_b32 exec_lo, exec_lo, s6
	s_and_saveexec_b32 s1, s0
	s_delay_alu instid0(SALU_CYCLE_1)
	s_xor_b32 s0, exec_lo, s1
	s_cbranch_execz .LBB182_173
.LBB182_142:
	v_mov_b32_e32 v2, 0
	s_delay_alu instid0(VALU_DEP_1) | instskip(NEXT) | instid1(VALU_DEP_1)
	v_lshlrev_b64 v[0:1], 2, v[1:2]
	v_add_co_u32 v8, vcc_lo, s4, v0
	s_delay_alu instid0(VALU_DEP_2) | instskip(SKIP_3) | instid1(SALU_CYCLE_1)
	v_add_co_ci_u32_e32 v9, vcc_lo, s5, v1, vcc_lo
	v_mov_b32_e32 v0, v3
	global_store_b32 v[8:9], v4, off
	s_or_b32 exec_lo, exec_lo, s0
	s_mov_b32 s0, exec_lo
	v_cmpx_gt_i32_e64 s8, v0
	s_cbranch_execnz .LBB182_174
.LBB182_143:
	s_or_b32 exec_lo, exec_lo, s0
	s_delay_alu instid0(SALU_CYCLE_1)
	s_mov_b32 s0, exec_lo
	v_cmpx_gt_i32_e64 s8, v0
	s_cbranch_execz .LBB182_175
.LBB182_144:
	v_dual_mov_b32 v2, 0 :: v_dual_add_nc_u32 v1, s3, v0
	v_add_nc_u32_e32 v0, 0x100, v0
	s_delay_alu instid0(VALU_DEP_2) | instskip(NEXT) | instid1(VALU_DEP_1)
	v_lshlrev_b64 v[1:2], 2, v[1:2]
	v_add_co_u32 v1, vcc_lo, s4, v1
	s_delay_alu instid0(VALU_DEP_2) | instskip(SKIP_2) | instid1(SALU_CYCLE_1)
	v_add_co_ci_u32_e32 v2, vcc_lo, s5, v2, vcc_lo
	global_store_b32 v[1:2], v7, off
	s_or_b32 exec_lo, exec_lo, s0
	s_mov_b32 s0, exec_lo
	v_cmpx_gt_i32_e64 s8, v0
	s_cbranch_execnz .LBB182_176
.LBB182_145:
	s_nop 0
	s_sendmsg sendmsg(MSG_DEALLOC_VGPRS)
	s_endpgm
.LBB182_146:
	s_and_not1_saveexec_b32 s13, s13
	s_cbranch_execz .LBB182_148
.LBB182_147:
	v_sub_f32_e32 v2, v10, v8
	s_delay_alu instid0(VALU_DEP_1) | instskip(NEXT) | instid1(VALU_DEP_1)
	v_mul_f32_e32 v2, 0.5, v2
	v_mul_f32_e32 v8, 0x4f800000, v2
	v_cmp_gt_f32_e32 vcc_lo, 0xf800000, v2
	s_delay_alu instid0(VALU_DEP_2) | instskip(NEXT) | instid1(VALU_DEP_1)
	v_cndmask_b32_e32 v2, v2, v8, vcc_lo
	v_sqrt_f32_e32 v8, v2
	s_waitcnt_depctr 0xfff
	v_add_nc_u32_e32 v9, -1, v8
	v_add_nc_u32_e32 v10, 1, v8
	s_delay_alu instid0(VALU_DEP_2) | instskip(NEXT) | instid1(VALU_DEP_2)
	v_fma_f32 v11, -v9, v8, v2
	v_fma_f32 v12, -v10, v8, v2
	s_delay_alu instid0(VALU_DEP_2) | instskip(NEXT) | instid1(VALU_DEP_1)
	v_cmp_ge_f32_e64 s2, 0, v11
	v_cndmask_b32_e64 v8, v8, v9, s2
	s_delay_alu instid0(VALU_DEP_3) | instskip(NEXT) | instid1(VALU_DEP_1)
	v_cmp_lt_f32_e64 s2, 0, v12
	v_cndmask_b32_e64 v8, v8, v10, s2
	s_delay_alu instid0(VALU_DEP_1) | instskip(NEXT) | instid1(VALU_DEP_1)
	v_mul_f32_e32 v9, 0x37800000, v8
	v_cndmask_b32_e32 v8, v8, v9, vcc_lo
	v_cmp_class_f32_e64 vcc_lo, v2, 0x260
	s_delay_alu instid0(VALU_DEP_2) | instskip(NEXT) | instid1(VALU_DEP_1)
	v_cndmask_b32_e32 v8, v8, v2, vcc_lo
	v_dual_add_f32 v9, v8, v8 :: v_dual_and_b32 v2, 0x7fffffff, v5
	s_delay_alu instid0(VALU_DEP_1) | instskip(SKIP_1) | instid1(VALU_DEP_2)
	v_div_scale_f32 v10, null, v9, v9, v2
	v_div_scale_f32 v2, vcc_lo, v2, v9, v2
	v_rcp_f32_e32 v11, v10
	s_waitcnt_depctr 0xfff
	v_fma_f32 v12, -v10, v11, 1.0
	s_delay_alu instid0(VALU_DEP_1) | instskip(NEXT) | instid1(VALU_DEP_1)
	v_fmac_f32_e32 v11, v12, v11
	v_mul_f32_e32 v12, v2, v11
	s_delay_alu instid0(VALU_DEP_1) | instskip(NEXT) | instid1(VALU_DEP_1)
	v_fma_f32 v13, -v10, v12, v2
	v_fmac_f32_e32 v12, v13, v11
	s_delay_alu instid0(VALU_DEP_1) | instskip(NEXT) | instid1(VALU_DEP_1)
	v_fma_f32 v2, -v10, v12, v2
	v_div_fmas_f32 v2, v2, v11, v12
	s_delay_alu instid0(VALU_DEP_1)
	v_div_fixup_f32 v2, v2, v9, |v5|
	v_bfi_b32 v9, 0x7fffffff, v8, v5
.LBB182_148:
	s_or_b32 exec_lo, exec_lo, s13
                                        ; implicit-def: $vgpr5
                                        ; implicit-def: $vgpr8
	s_and_saveexec_b32 s2, s1
	s_delay_alu instid0(SALU_CYCLE_1)
	s_xor_b32 s1, exec_lo, s2
	s_cbranch_execz .LBB182_150
; %bb.149:
	v_dual_mul_f32 v5, 0.5, v2 :: v_dual_mul_f32 v10, 0.5, v9
	s_delay_alu instid0(VALU_DEP_1) | instskip(NEXT) | instid1(VALU_DEP_2)
	v_cndmask_b32_e64 v8, v2, v5, s12
	v_cndmask_b32_e64 v5, v9, v10, s12
                                        ; implicit-def: $vgpr2
                                        ; implicit-def: $vgpr9
	s_and_not1_saveexec_b32 s1, s1
	s_cbranch_execnz .LBB182_151
	s_branch .LBB182_152
.LBB182_150:
	s_and_not1_saveexec_b32 s1, s1
.LBB182_151:
	v_dual_add_f32 v8, v2, v2 :: v_dual_add_f32 v5, v9, v9
.LBB182_152:
	s_or_b32 exec_lo, exec_lo, s1
                                        ; implicit-def: $vgpr2
.LBB182_153:
	s_and_not1_saveexec_b32 s1, s11
	s_cbranch_execz .LBB182_159
; %bb.154:
	v_cmp_lt_i16_e32 vcc_lo, -1, v2
	v_sub_f32_e32 v2, v5, v5
	s_and_saveexec_b32 s2, vcc_lo
	s_delay_alu instid0(SALU_CYCLE_1)
	s_xor_b32 s2, exec_lo, s2
; %bb.155:
	s_delay_alu instid0(VALU_DEP_1)
	v_bfi_b32 v5, 0x7fffffff, v2, v5
                                        ; implicit-def: $vgpr2
; %bb.156:
	s_and_not1_saveexec_b32 s2, s2
; %bb.157:
	v_and_b32_e32 v2, 0x7fffffff, v2
	s_delay_alu instid0(VALU_DEP_2) | instskip(NEXT) | instid1(VALU_DEP_2)
	v_bfi_b32 v5, 0x7fffffff, v8, v5
	v_mov_b32_e32 v8, v2
; %bb.158:
	s_or_b32 exec_lo, exec_lo, s2
.LBB182_159:
	s_delay_alu instid0(SALU_CYCLE_1)
	s_or_b32 exec_lo, exec_lo, s1
.LBB182_160:
	s_and_not1_saveexec_b32 s1, s10
; %bb.161:
	v_sub_f32_e32 v2, v5, v5
	s_delay_alu instid0(VALU_DEP_1) | instskip(NEXT) | instid1(VALU_DEP_1)
	v_div_scale_f32 v5, vcc_lo, v2, v2, v2
	v_rcp_f32_e32 v9, v5
	s_waitcnt_depctr 0xfff
	v_fma_f32 v10, -v5, v9, 1.0
	s_delay_alu instid0(VALU_DEP_1) | instskip(NEXT) | instid1(VALU_DEP_1)
	v_fmac_f32_e32 v9, v10, v9
	v_mul_f32_e32 v10, v5, v9
	s_delay_alu instid0(VALU_DEP_1) | instskip(NEXT) | instid1(VALU_DEP_1)
	v_fma_f32 v11, -v5, v10, v5
	v_fmac_f32_e32 v10, v11, v9
	s_delay_alu instid0(VALU_DEP_1) | instskip(NEXT) | instid1(VALU_DEP_1)
	v_fma_f32 v5, -v5, v10, v5
	v_div_fmas_f32 v5, v5, v9, v10
	s_delay_alu instid0(VALU_DEP_1)
	v_div_fixup_f32 v5, v5, v2, v2
; %bb.162:
	s_or_b32 exec_lo, exec_lo, s1
.LBB182_163:
	s_delay_alu instid0(SALU_CYCLE_1)
	s_or_b32 exec_lo, exec_lo, s9
.LBB182_164:
	s_delay_alu instid0(SALU_CYCLE_1)
	s_or_b32 exec_lo, exec_lo, s7
	v_cmp_gt_f32_e32 vcc_lo, 0, v8
                                        ; implicit-def: $vgpr11
                                        ; implicit-def: $vgpr10
	s_mov_b32 s1, exec_lo
	v_cndmask_b32_e64 v2, v8, -v8, vcc_lo
	v_cmp_gt_f32_e32 vcc_lo, 0, v5
	v_cndmask_b32_e64 v9, v5, -v5, vcc_lo
	s_delay_alu instid0(VALU_DEP_1)
	v_cmpx_ge_f32_e32 v2, v9
	s_xor_b32 s2, exec_lo, s1
	s_cbranch_execz .LBB182_170
; %bb.165:
	v_cmp_neq_f32_e32 vcc_lo, 0, v8
	v_cmp_neq_f32_e64 s1, 0, v5
                                        ; implicit-def: $vgpr11
                                        ; implicit-def: $vgpr10
	s_delay_alu instid0(VALU_DEP_1) | instskip(NEXT) | instid1(SALU_CYCLE_1)
	s_or_b32 s1, vcc_lo, s1
	s_and_saveexec_b32 s7, s1
	s_delay_alu instid0(SALU_CYCLE_1)
	s_xor_b32 s1, exec_lo, s7
	s_cbranch_execz .LBB182_167
; %bb.166:
	v_div_scale_f32 v2, null, v8, v8, v5
	v_div_scale_f32 v11, vcc_lo, v5, v8, v5
	s_delay_alu instid0(VALU_DEP_2) | instskip(SKIP_2) | instid1(VALU_DEP_1)
	v_rcp_f32_e32 v9, v2
	s_waitcnt_depctr 0xfff
	v_fma_f32 v10, -v2, v9, 1.0
	v_fmac_f32_e32 v9, v10, v9
	s_delay_alu instid0(VALU_DEP_1) | instskip(NEXT) | instid1(VALU_DEP_1)
	v_mul_f32_e32 v10, v11, v9
	v_fma_f32 v12, -v2, v10, v11
	s_delay_alu instid0(VALU_DEP_1) | instskip(NEXT) | instid1(VALU_DEP_1)
	v_fmac_f32_e32 v10, v12, v9
	v_fma_f32 v2, -v2, v10, v11
	s_delay_alu instid0(VALU_DEP_1) | instskip(NEXT) | instid1(VALU_DEP_1)
	v_div_fmas_f32 v2, v2, v9, v10
	v_div_fixup_f32 v2, v2, v8, v5
	s_delay_alu instid0(VALU_DEP_1) | instskip(NEXT) | instid1(VALU_DEP_1)
	v_fmac_f32_e32 v8, v5, v2
	v_div_scale_f32 v5, null, v8, v8, 1.0
	v_div_scale_f32 v11, vcc_lo, 1.0, v8, 1.0
	s_delay_alu instid0(VALU_DEP_2) | instskip(SKIP_2) | instid1(VALU_DEP_1)
	v_rcp_f32_e32 v9, v5
	s_waitcnt_depctr 0xfff
	v_fma_f32 v10, -v5, v9, 1.0
	v_fmac_f32_e32 v9, v10, v9
	s_delay_alu instid0(VALU_DEP_1) | instskip(NEXT) | instid1(VALU_DEP_1)
	v_mul_f32_e32 v10, v11, v9
	v_fma_f32 v12, -v5, v10, v11
	s_delay_alu instid0(VALU_DEP_1) | instskip(NEXT) | instid1(VALU_DEP_1)
	v_fmac_f32_e32 v10, v12, v9
	v_fma_f32 v5, -v5, v10, v11
	s_delay_alu instid0(VALU_DEP_1) | instskip(SKIP_1) | instid1(VALU_DEP_2)
	v_div_fmas_f32 v5, v5, v9, v10
	v_fma_f32 v9, v2, 0, 1.0
	v_div_fixup_f32 v5, v5, v8, 1.0
	s_delay_alu instid0(VALU_DEP_1)
	v_mul_f32_e32 v10, v9, v5
	v_mul_f32_e64 v11, -v2, v5
                                        ; implicit-def: $vgpr2
                                        ; implicit-def: $vgpr9
.LBB182_167:
	s_and_not1_saveexec_b32 s7, s1
	s_cbranch_execz .LBB182_169
; %bb.168:
	v_div_scale_f32 v5, null, v2, v2, 1.0
	v_div_scale_f32 v8, null, v9, v9, 0
	v_div_scale_f32 v14, vcc_lo, 1.0, v2, 1.0
	s_delay_alu instid0(VALU_DEP_3) | instskip(NEXT) | instid1(VALU_DEP_2)
	v_rcp_f32_e32 v10, v5
	v_rcp_f32_e32 v11, v8
	s_waitcnt_depctr 0xfff
	v_fma_f32 v12, -v5, v10, 1.0
	v_fma_f32 v13, -v8, v11, 1.0
	s_delay_alu instid0(VALU_DEP_1) | instskip(SKIP_1) | instid1(VALU_DEP_2)
	v_dual_fmac_f32 v10, v12, v10 :: v_dual_fmac_f32 v11, v13, v11
	v_div_scale_f32 v12, s1, 0, v9, 0
	v_mul_f32_e32 v13, v14, v10
	s_delay_alu instid0(VALU_DEP_2) | instskip(NEXT) | instid1(VALU_DEP_2)
	v_mul_f32_e32 v15, v12, v11
	v_fma_f32 v16, -v5, v13, v14
	s_delay_alu instid0(VALU_DEP_2) | instskip(NEXT) | instid1(VALU_DEP_2)
	v_fma_f32 v17, -v8, v15, v12
	v_fmac_f32_e32 v13, v16, v10
	s_delay_alu instid0(VALU_DEP_2) | instskip(NEXT) | instid1(VALU_DEP_2)
	v_fmac_f32_e32 v15, v17, v11
	v_fma_f32 v5, -v5, v13, v14
	s_delay_alu instid0(VALU_DEP_2) | instskip(NEXT) | instid1(VALU_DEP_2)
	v_fma_f32 v8, -v8, v15, v12
	v_div_fmas_f32 v5, v5, v10, v13
	s_mov_b32 vcc_lo, s1
	s_delay_alu instid0(VALU_DEP_2) | instskip(NEXT) | instid1(VALU_DEP_2)
	v_div_fmas_f32 v8, v8, v11, v15
	v_div_fixup_f32 v10, v5, v2, 1.0
	s_delay_alu instid0(VALU_DEP_2)
	v_div_fixup_f32 v11, v8, v9, 0
.LBB182_169:
	s_or_b32 exec_lo, exec_lo, s7
                                        ; implicit-def: $vgpr5
                                        ; implicit-def: $vgpr8
.LBB182_170:
	s_and_not1_saveexec_b32 s1, s2
	s_cbranch_execz .LBB182_172
; %bb.171:
	v_div_scale_f32 v2, null, v5, v5, v8
	v_div_scale_f32 v11, vcc_lo, v8, v5, v8
	s_delay_alu instid0(VALU_DEP_2) | instskip(SKIP_2) | instid1(VALU_DEP_1)
	v_rcp_f32_e32 v9, v2
	s_waitcnt_depctr 0xfff
	v_fma_f32 v10, -v2, v9, 1.0
	v_fmac_f32_e32 v9, v10, v9
	s_delay_alu instid0(VALU_DEP_1) | instskip(NEXT) | instid1(VALU_DEP_1)
	v_mul_f32_e32 v10, v11, v9
	v_fma_f32 v12, -v2, v10, v11
	s_delay_alu instid0(VALU_DEP_1) | instskip(NEXT) | instid1(VALU_DEP_1)
	v_fmac_f32_e32 v10, v12, v9
	v_fma_f32 v2, -v2, v10, v11
	s_delay_alu instid0(VALU_DEP_1) | instskip(NEXT) | instid1(VALU_DEP_1)
	v_div_fmas_f32 v2, v2, v9, v10
	v_div_fixup_f32 v2, v2, v5, v8
	s_delay_alu instid0(VALU_DEP_1) | instskip(NEXT) | instid1(VALU_DEP_1)
	v_fmac_f32_e32 v5, v8, v2
	v_div_scale_f32 v8, null, v5, v5, 1.0
	v_div_scale_f32 v11, vcc_lo, 1.0, v5, 1.0
	s_delay_alu instid0(VALU_DEP_2) | instskip(SKIP_2) | instid1(VALU_DEP_1)
	v_rcp_f32_e32 v9, v8
	s_waitcnt_depctr 0xfff
	v_fma_f32 v10, -v8, v9, 1.0
	v_fmac_f32_e32 v9, v10, v9
	s_delay_alu instid0(VALU_DEP_1) | instskip(NEXT) | instid1(VALU_DEP_1)
	v_mul_f32_e32 v10, v11, v9
	v_fma_f32 v12, -v8, v10, v11
	s_delay_alu instid0(VALU_DEP_1) | instskip(NEXT) | instid1(VALU_DEP_1)
	v_fmac_f32_e32 v10, v12, v9
	v_fma_f32 v8, -v8, v10, v11
	s_delay_alu instid0(VALU_DEP_1) | instskip(SKIP_2) | instid1(VALU_DEP_3)
	v_div_fmas_f32 v8, v8, v9, v10
	v_add_f32_e32 v9, 0, v2
	v_fma_f32 v2, v2, 0, -1.0
	v_div_fixup_f32 v5, v8, v5, 1.0
	s_delay_alu instid0(VALU_DEP_1) | instskip(NEXT) | instid1(VALU_DEP_3)
	v_mul_f32_e32 v10, v9, v5
	v_mul_f32_e32 v11, v2, v5
.LBB182_172:
	s_or_b32 exec_lo, exec_lo, s1
	s_delay_alu instid0(VALU_DEP_1) | instskip(NEXT) | instid1(VALU_DEP_3)
	v_cvt_f16_f32_e32 v2, v11
	v_cvt_f16_f32_e32 v5, v10
	s_delay_alu instid0(VALU_DEP_2) | instskip(NEXT) | instid1(VALU_DEP_2)
	v_lshlrev_b32_e32 v2, 16, v2
	v_and_b32_e32 v5, 0xffff, v5
	s_delay_alu instid0(VALU_DEP_1) | instskip(SKIP_2) | instid1(SALU_CYCLE_1)
	v_or_b32_e32 v5, v2, v5
	s_or_b32 exec_lo, exec_lo, s6
	s_and_saveexec_b32 s1, s0
	s_xor_b32 s0, exec_lo, s1
	s_cbranch_execnz .LBB182_142
.LBB182_173:
	s_or_b32 exec_lo, exec_lo, s0
	s_delay_alu instid0(SALU_CYCLE_1)
	s_mov_b32 s0, exec_lo
	v_cmpx_gt_i32_e64 s8, v0
	s_cbranch_execz .LBB182_143
.LBB182_174:
	v_dual_mov_b32 v2, 0 :: v_dual_add_nc_u32 v1, s3, v0
	v_add_nc_u32_e32 v0, 0x100, v0
	s_delay_alu instid0(VALU_DEP_2) | instskip(NEXT) | instid1(VALU_DEP_1)
	v_lshlrev_b64 v[1:2], 2, v[1:2]
	v_add_co_u32 v1, vcc_lo, s4, v1
	s_delay_alu instid0(VALU_DEP_2) | instskip(SKIP_2) | instid1(SALU_CYCLE_1)
	v_add_co_ci_u32_e32 v2, vcc_lo, s5, v2, vcc_lo
	global_store_b32 v[1:2], v6, off
	s_or_b32 exec_lo, exec_lo, s0
	s_mov_b32 s0, exec_lo
	v_cmpx_gt_i32_e64 s8, v0
	s_cbranch_execnz .LBB182_144
.LBB182_175:
	s_or_b32 exec_lo, exec_lo, s0
	s_delay_alu instid0(SALU_CYCLE_1)
	s_mov_b32 s0, exec_lo
	v_cmpx_gt_i32_e64 s8, v0
	s_cbranch_execz .LBB182_145
.LBB182_176:
	v_dual_mov_b32 v1, 0 :: v_dual_add_nc_u32 v0, s3, v0
	s_delay_alu instid0(VALU_DEP_1) | instskip(NEXT) | instid1(VALU_DEP_1)
	v_lshlrev_b64 v[0:1], 2, v[0:1]
	v_add_co_u32 v0, vcc_lo, s4, v0
	s_delay_alu instid0(VALU_DEP_2)
	v_add_co_ci_u32_e32 v1, vcc_lo, s5, v1, vcc_lo
	global_store_b32 v[0:1], v5, off
	s_nop 0
	s_sendmsg sendmsg(MSG_DEALLOC_VGPRS)
	s_endpgm
	.section	.rodata,"a",@progbits
	.p2align	6, 0x0
	.amdhsa_kernel _ZN2at6native27unrolled_elementwise_kernelIZZZNS0_17rsqrt_kernel_cudaERNS_18TensorIteratorBaseEENKUlvE_clEvENKUlvE1_clEvEUlN3c107complexINS6_4HalfEEEE_St5arrayIPcLm2EELi4E23TrivialOffsetCalculatorILi1EjESF_NS0_6memory15LoadWithoutCastENSG_16StoreWithoutCastEEEviT_T0_T2_T3_T4_T5_
		.amdhsa_group_segment_fixed_size 0
		.amdhsa_private_segment_fixed_size 0
		.amdhsa_kernarg_size 28
		.amdhsa_user_sgpr_count 15
		.amdhsa_user_sgpr_dispatch_ptr 0
		.amdhsa_user_sgpr_queue_ptr 0
		.amdhsa_user_sgpr_kernarg_segment_ptr 1
		.amdhsa_user_sgpr_dispatch_id 0
		.amdhsa_user_sgpr_private_segment_size 0
		.amdhsa_wavefront_size32 1
		.amdhsa_uses_dynamic_stack 0
		.amdhsa_enable_private_segment 0
		.amdhsa_system_sgpr_workgroup_id_x 1
		.amdhsa_system_sgpr_workgroup_id_y 0
		.amdhsa_system_sgpr_workgroup_id_z 0
		.amdhsa_system_sgpr_workgroup_info 0
		.amdhsa_system_vgpr_workitem_id 0
		.amdhsa_next_free_vgpr 18
		.amdhsa_next_free_sgpr 16
		.amdhsa_reserve_vcc 1
		.amdhsa_float_round_mode_32 0
		.amdhsa_float_round_mode_16_64 0
		.amdhsa_float_denorm_mode_32 3
		.amdhsa_float_denorm_mode_16_64 3
		.amdhsa_dx10_clamp 1
		.amdhsa_ieee_mode 1
		.amdhsa_fp16_overflow 0
		.amdhsa_workgroup_processor_mode 1
		.amdhsa_memory_ordered 1
		.amdhsa_forward_progress 0
		.amdhsa_shared_vgpr_count 0
		.amdhsa_exception_fp_ieee_invalid_op 0
		.amdhsa_exception_fp_denorm_src 0
		.amdhsa_exception_fp_ieee_div_zero 0
		.amdhsa_exception_fp_ieee_overflow 0
		.amdhsa_exception_fp_ieee_underflow 0
		.amdhsa_exception_fp_ieee_inexact 0
		.amdhsa_exception_int_div_zero 0
	.end_amdhsa_kernel
	.section	.text._ZN2at6native27unrolled_elementwise_kernelIZZZNS0_17rsqrt_kernel_cudaERNS_18TensorIteratorBaseEENKUlvE_clEvENKUlvE1_clEvEUlN3c107complexINS6_4HalfEEEE_St5arrayIPcLm2EELi4E23TrivialOffsetCalculatorILi1EjESF_NS0_6memory15LoadWithoutCastENSG_16StoreWithoutCastEEEviT_T0_T2_T3_T4_T5_,"axG",@progbits,_ZN2at6native27unrolled_elementwise_kernelIZZZNS0_17rsqrt_kernel_cudaERNS_18TensorIteratorBaseEENKUlvE_clEvENKUlvE1_clEvEUlN3c107complexINS6_4HalfEEEE_St5arrayIPcLm2EELi4E23TrivialOffsetCalculatorILi1EjESF_NS0_6memory15LoadWithoutCastENSG_16StoreWithoutCastEEEviT_T0_T2_T3_T4_T5_,comdat
.Lfunc_end182:
	.size	_ZN2at6native27unrolled_elementwise_kernelIZZZNS0_17rsqrt_kernel_cudaERNS_18TensorIteratorBaseEENKUlvE_clEvENKUlvE1_clEvEUlN3c107complexINS6_4HalfEEEE_St5arrayIPcLm2EELi4E23TrivialOffsetCalculatorILi1EjESF_NS0_6memory15LoadWithoutCastENSG_16StoreWithoutCastEEEviT_T0_T2_T3_T4_T5_, .Lfunc_end182-_ZN2at6native27unrolled_elementwise_kernelIZZZNS0_17rsqrt_kernel_cudaERNS_18TensorIteratorBaseEENKUlvE_clEvENKUlvE1_clEvEUlN3c107complexINS6_4HalfEEEE_St5arrayIPcLm2EELi4E23TrivialOffsetCalculatorILi1EjESF_NS0_6memory15LoadWithoutCastENSG_16StoreWithoutCastEEEviT_T0_T2_T3_T4_T5_
                                        ; -- End function
	.section	.AMDGPU.csdata,"",@progbits
; Kernel info:
; codeLenInByte = 8748
; NumSgprs: 18
; NumVgprs: 18
; ScratchSize: 0
; MemoryBound: 0
; FloatMode: 240
; IeeeMode: 1
; LDSByteSize: 0 bytes/workgroup (compile time only)
; SGPRBlocks: 2
; VGPRBlocks: 2
; NumSGPRsForWavesPerEU: 18
; NumVGPRsForWavesPerEU: 18
; Occupancy: 16
; WaveLimiterHint : 0
; COMPUTE_PGM_RSRC2:SCRATCH_EN: 0
; COMPUTE_PGM_RSRC2:USER_SGPR: 15
; COMPUTE_PGM_RSRC2:TRAP_HANDLER: 0
; COMPUTE_PGM_RSRC2:TGID_X_EN: 1
; COMPUTE_PGM_RSRC2:TGID_Y_EN: 0
; COMPUTE_PGM_RSRC2:TGID_Z_EN: 0
; COMPUTE_PGM_RSRC2:TIDIG_COMP_CNT: 0
	.section	.text._ZN2at6native32elementwise_kernel_manual_unrollILi128ELi4EZNS0_22gpu_kernel_impl_nocastIZZZNS0_17rsqrt_kernel_cudaERNS_18TensorIteratorBaseEENKUlvE_clEvENKUlvE1_clEvEUlN3c107complexINS7_4HalfEEEE_EEvS4_RKT_EUlibE_EEviT1_,"axG",@progbits,_ZN2at6native32elementwise_kernel_manual_unrollILi128ELi4EZNS0_22gpu_kernel_impl_nocastIZZZNS0_17rsqrt_kernel_cudaERNS_18TensorIteratorBaseEENKUlvE_clEvENKUlvE1_clEvEUlN3c107complexINS7_4HalfEEEE_EEvS4_RKT_EUlibE_EEviT1_,comdat
	.globl	_ZN2at6native32elementwise_kernel_manual_unrollILi128ELi4EZNS0_22gpu_kernel_impl_nocastIZZZNS0_17rsqrt_kernel_cudaERNS_18TensorIteratorBaseEENKUlvE_clEvENKUlvE1_clEvEUlN3c107complexINS7_4HalfEEEE_EEvS4_RKT_EUlibE_EEviT1_ ; -- Begin function _ZN2at6native32elementwise_kernel_manual_unrollILi128ELi4EZNS0_22gpu_kernel_impl_nocastIZZZNS0_17rsqrt_kernel_cudaERNS_18TensorIteratorBaseEENKUlvE_clEvENKUlvE1_clEvEUlN3c107complexINS7_4HalfEEEE_EEvS4_RKT_EUlibE_EEviT1_
	.p2align	8
	.type	_ZN2at6native32elementwise_kernel_manual_unrollILi128ELi4EZNS0_22gpu_kernel_impl_nocastIZZZNS0_17rsqrt_kernel_cudaERNS_18TensorIteratorBaseEENKUlvE_clEvENKUlvE1_clEvEUlN3c107complexINS7_4HalfEEEE_EEvS4_RKT_EUlibE_EEviT1_,@function
_ZN2at6native32elementwise_kernel_manual_unrollILi128ELi4EZNS0_22gpu_kernel_impl_nocastIZZZNS0_17rsqrt_kernel_cudaERNS_18TensorIteratorBaseEENKUlvE_clEvENKUlvE1_clEvEUlN3c107complexINS7_4HalfEEEE_EEvS4_RKT_EUlibE_EEviT1_: ; @_ZN2at6native32elementwise_kernel_manual_unrollILi128ELi4EZNS0_22gpu_kernel_impl_nocastIZZZNS0_17rsqrt_kernel_cudaERNS_18TensorIteratorBaseEENKUlvE_clEvENKUlvE1_clEvEUlN3c107complexINS7_4HalfEEEE_EEvS4_RKT_EUlibE_EEviT1_
; %bb.0:
	s_clause 0x1
	s_load_b32 s22, s[0:1], 0x8
	s_load_b32 s27, s[0:1], 0x0
	v_lshl_or_b32 v2, s15, 9, v0
	s_or_b32 s0, s0, 8
	s_mov_b32 s2, exec_lo
	s_delay_alu instid0(VALU_DEP_1) | instskip(SKIP_2) | instid1(SALU_CYCLE_1)
	v_or_b32_e32 v8, 0x180, v2
	s_waitcnt lgkmcnt(0)
	s_add_i32 s23, s22, -1
	s_cmp_gt_u32 s23, 1
	s_cselect_b32 s24, -1, 0
	v_cmpx_le_i32_e64 s27, v8
	s_xor_b32 s25, exec_lo, s2
	s_cbranch_execz .LBB183_7
; %bb.1:
	s_clause 0x3
	s_load_b128 s[12:15], s[0:1], 0x4
	s_load_b64 s[16:17], s[0:1], 0x14
	s_load_b128 s[8:11], s[0:1], 0xc4
	s_load_b128 s[4:7], s[0:1], 0x148
	s_cmp_lg_u32 s22, 0
	s_mov_b32 s30, exec_lo
	s_cselect_b32 s29, -1, 0
	s_add_u32 s18, s0, 0xc4
	s_addc_u32 s19, s1, 0
	s_min_u32 s28, s23, 15
	s_cmp_gt_u32 s22, 1
	s_cselect_b32 s26, -1, 0
	v_cmpx_gt_i32_e64 s27, v2
	s_cbranch_execz .LBB183_14
; %bb.2:
	s_and_not1_b32 vcc_lo, exec_lo, s24
	s_cbranch_vccnz .LBB183_21
; %bb.3:
	v_dual_mov_b32 v0, 0 :: v_dual_mov_b32 v1, 0
	s_and_not1_b32 vcc_lo, exec_lo, s29
	s_mov_b32 s31, 0
	s_cbranch_vccnz .LBB183_84
; %bb.4:
	v_mov_b32_e32 v0, 0
	s_add_i32 s34, s28, 1
	s_cmp_eq_u32 s23, 2
	s_mov_b32 s33, 0
	s_cbranch_scc1 .LBB183_80
; %bb.5:
	v_dual_mov_b32 v1, 0 :: v_dual_mov_b32 v0, 0
	v_mov_b32_e32 v3, v2
	s_and_b32 s33, s34, 28
	s_mov_b32 s35, 0
	s_mov_b64 s[2:3], s[18:19]
	s_mov_b64 s[20:21], s[0:1]
.LBB183_6:                              ; =>This Inner Loop Header: Depth=1
	s_clause 0x1
	s_load_b256 s[36:43], s[20:21], 0x4
	s_load_b128 s[52:55], s[20:21], 0x24
	s_load_b256 s[44:51], s[2:3], 0x0
	s_add_u32 s20, s20, 48
	s_addc_u32 s21, s21, 0
	s_add_i32 s35, s35, 4
	s_add_u32 s2, s2, 32
	s_addc_u32 s3, s3, 0
	s_cmp_lg_u32 s33, s35
	s_waitcnt lgkmcnt(0)
	v_mul_hi_u32 v4, s37, v3
	s_delay_alu instid0(VALU_DEP_1) | instskip(NEXT) | instid1(VALU_DEP_1)
	v_add_nc_u32_e32 v4, v3, v4
	v_lshrrev_b32_e32 v4, s38, v4
	s_delay_alu instid0(VALU_DEP_1) | instskip(SKIP_1) | instid1(VALU_DEP_2)
	v_mul_hi_u32 v5, s40, v4
	v_mul_lo_u32 v7, v4, s36
	v_add_nc_u32_e32 v5, v4, v5
	s_delay_alu instid0(VALU_DEP_2) | instskip(NEXT) | instid1(VALU_DEP_2)
	v_sub_nc_u32_e32 v3, v3, v7
	v_lshrrev_b32_e32 v5, s41, v5
	s_delay_alu instid0(VALU_DEP_2) | instskip(SKIP_1) | instid1(VALU_DEP_3)
	v_mul_lo_u32 v7, v3, s44
	v_mul_lo_u32 v9, v3, s45
	v_mul_hi_u32 v6, s43, v5
	s_delay_alu instid0(VALU_DEP_1) | instskip(NEXT) | instid1(VALU_DEP_1)
	v_add_nc_u32_e32 v6, v5, v6
	v_lshrrev_b32_e32 v6, s52, v6
	s_delay_alu instid0(VALU_DEP_1) | instskip(SKIP_1) | instid1(VALU_DEP_2)
	v_mul_hi_u32 v8, s54, v6
	v_mul_lo_u32 v10, v6, s42
	v_add_nc_u32_e32 v3, v6, v8
	v_mul_lo_u32 v8, v5, s39
	s_delay_alu instid0(VALU_DEP_3) | instskip(NEXT) | instid1(VALU_DEP_3)
	v_sub_nc_u32_e32 v5, v5, v10
	v_lshrrev_b32_e32 v3, s55, v3
	s_delay_alu instid0(VALU_DEP_2) | instskip(SKIP_2) | instid1(VALU_DEP_4)
	v_mul_lo_u32 v10, v5, s48
	v_mul_lo_u32 v5, v5, s49
	v_sub_nc_u32_e32 v4, v4, v8
	v_mul_lo_u32 v11, v3, s53
	s_delay_alu instid0(VALU_DEP_2) | instskip(SKIP_1) | instid1(VALU_DEP_3)
	v_mul_lo_u32 v8, v4, s46
	v_mul_lo_u32 v4, v4, s47
	v_sub_nc_u32_e32 v6, v6, v11
	s_delay_alu instid0(VALU_DEP_3) | instskip(NEXT) | instid1(VALU_DEP_2)
	v_add3_u32 v0, v7, v0, v8
	v_mul_lo_u32 v11, v6, s50
	v_mul_lo_u32 v6, v6, s51
	v_add3_u32 v1, v9, v1, v4
	s_delay_alu instid0(VALU_DEP_3) | instskip(NEXT) | instid1(VALU_DEP_2)
	v_add3_u32 v0, v10, v0, v11
	v_add3_u32 v1, v5, v1, v6
	s_cbranch_scc1 .LBB183_6
	s_branch .LBB183_81
.LBB183_7:
	s_and_not1_saveexec_b32 s2, s25
	s_cbranch_execz .LBB183_341
.LBB183_8:
	v_cndmask_b32_e64 v3, 0, 1, s24
	s_and_not1_b32 vcc_lo, exec_lo, s24
	s_cbranch_vccnz .LBB183_20
; %bb.9:
	v_dual_mov_b32 v0, 0 :: v_dual_mov_b32 v7, 0
	s_cmp_lg_u32 s22, 0
	s_waitcnt lgkmcnt(0)
	s_mov_b32 s6, 0
	s_cbranch_scc0 .LBB183_26
; %bb.10:
	s_min_u32 s7, s23, 15
	v_mov_b32_e32 v0, 0
	s_add_i32 s7, s7, 1
	s_cmp_eq_u32 s23, 2
	s_mov_b32 s8, 0
	s_cbranch_scc1 .LBB183_23
; %bb.11:
	v_dual_mov_b32 v7, 0 :: v_dual_mov_b32 v0, 0
	v_mov_b32_e32 v1, v2
	s_add_u32 s2, s0, 0xc4
	s_addc_u32 s3, s1, 0
	s_and_b32 s8, s7, 28
	s_mov_b32 s9, 0
	s_mov_b64 s[4:5], s[0:1]
.LBB183_12:                             ; =>This Inner Loop Header: Depth=1
	s_clause 0x1
	s_load_b256 s[12:19], s[4:5], 0x4
	s_load_b128 s[36:39], s[4:5], 0x24
	s_load_b256 s[24:31], s[2:3], 0x0
	s_add_u32 s4, s4, 48
	s_addc_u32 s5, s5, 0
	s_add_i32 s9, s9, 4
	s_add_u32 s2, s2, 32
	s_addc_u32 s3, s3, 0
	s_cmp_lg_u32 s8, s9
	s_waitcnt lgkmcnt(0)
	v_mul_hi_u32 v4, s13, v1
	s_delay_alu instid0(VALU_DEP_1) | instskip(NEXT) | instid1(VALU_DEP_1)
	v_add_nc_u32_e32 v4, v1, v4
	v_lshrrev_b32_e32 v4, s14, v4
	s_delay_alu instid0(VALU_DEP_1) | instskip(SKIP_1) | instid1(VALU_DEP_2)
	v_mul_hi_u32 v5, s16, v4
	v_mul_lo_u32 v9, v4, s12
	v_add_nc_u32_e32 v5, v4, v5
	s_delay_alu instid0(VALU_DEP_2) | instskip(NEXT) | instid1(VALU_DEP_2)
	v_sub_nc_u32_e32 v1, v1, v9
	v_lshrrev_b32_e32 v5, s17, v5
	s_delay_alu instid0(VALU_DEP_2) | instskip(SKIP_1) | instid1(VALU_DEP_3)
	v_mul_lo_u32 v9, v1, s24
	v_mul_lo_u32 v11, v1, s25
	v_mul_hi_u32 v6, s19, v5
	s_delay_alu instid0(VALU_DEP_1) | instskip(NEXT) | instid1(VALU_DEP_1)
	v_add_nc_u32_e32 v6, v5, v6
	v_lshrrev_b32_e32 v6, s36, v6
	s_delay_alu instid0(VALU_DEP_1) | instskip(SKIP_1) | instid1(VALU_DEP_2)
	v_mul_hi_u32 v10, s38, v6
	v_mul_lo_u32 v12, v6, s18
	v_add_nc_u32_e32 v1, v6, v10
	v_mul_lo_u32 v10, v5, s15
	s_delay_alu instid0(VALU_DEP_3) | instskip(NEXT) | instid1(VALU_DEP_3)
	v_sub_nc_u32_e32 v5, v5, v12
	v_lshrrev_b32_e32 v1, s39, v1
	s_delay_alu instid0(VALU_DEP_2) | instskip(SKIP_2) | instid1(VALU_DEP_4)
	v_mul_lo_u32 v12, v5, s28
	v_mul_lo_u32 v5, v5, s29
	v_sub_nc_u32_e32 v4, v4, v10
	v_mul_lo_u32 v13, v1, s37
	s_delay_alu instid0(VALU_DEP_2) | instskip(SKIP_1) | instid1(VALU_DEP_3)
	v_mul_lo_u32 v10, v4, s26
	v_mul_lo_u32 v4, v4, s27
	v_sub_nc_u32_e32 v6, v6, v13
	s_delay_alu instid0(VALU_DEP_3) | instskip(NEXT) | instid1(VALU_DEP_2)
	v_add3_u32 v0, v9, v0, v10
	v_mul_lo_u32 v13, v6, s30
	v_mul_lo_u32 v6, v6, s31
	v_add3_u32 v4, v11, v7, v4
	s_delay_alu instid0(VALU_DEP_3) | instskip(NEXT) | instid1(VALU_DEP_2)
	v_add3_u32 v0, v12, v0, v13
	v_add3_u32 v7, v5, v4, v6
	s_cbranch_scc1 .LBB183_12
; %bb.13:
	s_and_b32 s7, s7, 3
	s_delay_alu instid0(SALU_CYCLE_1)
	s_cmp_eq_u32 s7, 0
	s_cbranch_scc0 .LBB183_24
	s_branch .LBB183_26
.LBB183_14:
	s_or_b32 exec_lo, exec_lo, s30
	s_delay_alu instid0(SALU_CYCLE_1)
	s_mov_b32 s30, exec_lo
	v_cmpx_gt_i32_e64 s27, v2
	s_cbranch_execz .LBB183_290
.LBB183_15:
	s_and_not1_b32 vcc_lo, exec_lo, s24
	s_cbranch_vccnz .LBB183_22
; %bb.16:
	v_dual_mov_b32 v0, 0 :: v_dual_mov_b32 v1, 0
	s_and_not1_b32 vcc_lo, exec_lo, s29
	s_mov_b32 s31, 0
	s_cbranch_vccnz .LBB183_103
; %bb.17:
	v_mov_b32_e32 v0, 0
	s_add_i32 s34, s28, 1
	s_cmp_eq_u32 s23, 2
	s_mov_b32 s33, 0
	s_cbranch_scc1 .LBB183_99
; %bb.18:
	v_dual_mov_b32 v1, 0 :: v_dual_mov_b32 v0, 0
	v_mov_b32_e32 v3, v2
	s_and_b32 s33, s34, 28
	s_mov_b32 s35, 0
	s_mov_b64 s[2:3], s[18:19]
	s_mov_b64 s[20:21], s[0:1]
.LBB183_19:                             ; =>This Inner Loop Header: Depth=1
	s_clause 0x1
	s_load_b256 s[36:43], s[20:21], 0x4
	s_load_b128 s[52:55], s[20:21], 0x24
	s_load_b256 s[44:51], s[2:3], 0x0
	s_add_u32 s20, s20, 48
	s_addc_u32 s21, s21, 0
	s_add_i32 s35, s35, 4
	s_add_u32 s2, s2, 32
	s_addc_u32 s3, s3, 0
	s_cmp_eq_u32 s33, s35
	s_waitcnt lgkmcnt(0)
	v_mul_hi_u32 v4, s37, v3
	s_delay_alu instid0(VALU_DEP_1) | instskip(NEXT) | instid1(VALU_DEP_1)
	v_add_nc_u32_e32 v4, v3, v4
	v_lshrrev_b32_e32 v4, s38, v4
	s_delay_alu instid0(VALU_DEP_1) | instskip(SKIP_1) | instid1(VALU_DEP_2)
	v_mul_hi_u32 v5, s40, v4
	v_mul_lo_u32 v7, v4, s36
	v_add_nc_u32_e32 v5, v4, v5
	s_delay_alu instid0(VALU_DEP_2) | instskip(NEXT) | instid1(VALU_DEP_2)
	v_sub_nc_u32_e32 v3, v3, v7
	v_lshrrev_b32_e32 v5, s41, v5
	s_delay_alu instid0(VALU_DEP_2) | instskip(SKIP_1) | instid1(VALU_DEP_3)
	v_mul_lo_u32 v7, v3, s44
	v_mul_lo_u32 v9, v3, s45
	v_mul_hi_u32 v6, s43, v5
	s_delay_alu instid0(VALU_DEP_1) | instskip(NEXT) | instid1(VALU_DEP_1)
	v_add_nc_u32_e32 v6, v5, v6
	v_lshrrev_b32_e32 v6, s52, v6
	s_delay_alu instid0(VALU_DEP_1) | instskip(SKIP_1) | instid1(VALU_DEP_2)
	v_mul_hi_u32 v8, s54, v6
	v_mul_lo_u32 v10, v6, s42
	v_add_nc_u32_e32 v3, v6, v8
	v_mul_lo_u32 v8, v5, s39
	s_delay_alu instid0(VALU_DEP_3) | instskip(NEXT) | instid1(VALU_DEP_3)
	v_sub_nc_u32_e32 v5, v5, v10
	v_lshrrev_b32_e32 v3, s55, v3
	s_delay_alu instid0(VALU_DEP_2) | instskip(SKIP_2) | instid1(VALU_DEP_4)
	v_mul_lo_u32 v10, v5, s48
	v_mul_lo_u32 v5, v5, s49
	v_sub_nc_u32_e32 v4, v4, v8
	v_mul_lo_u32 v11, v3, s53
	s_delay_alu instid0(VALU_DEP_2) | instskip(SKIP_1) | instid1(VALU_DEP_3)
	v_mul_lo_u32 v8, v4, s46
	v_mul_lo_u32 v4, v4, s47
	v_sub_nc_u32_e32 v6, v6, v11
	s_delay_alu instid0(VALU_DEP_3) | instskip(NEXT) | instid1(VALU_DEP_2)
	v_add3_u32 v0, v7, v0, v8
	v_mul_lo_u32 v11, v6, s50
	v_mul_lo_u32 v6, v6, s51
	v_add3_u32 v1, v9, v1, v4
	s_delay_alu instid0(VALU_DEP_3) | instskip(NEXT) | instid1(VALU_DEP_2)
	v_add3_u32 v0, v10, v0, v11
	v_add3_u32 v1, v5, v1, v6
	s_cbranch_scc0 .LBB183_19
	s_branch .LBB183_100
.LBB183_20:
	s_waitcnt lgkmcnt(0)
	s_mov_b32 s6, -1
                                        ; implicit-def: $vgpr0
                                        ; implicit-def: $vgpr7
	s_branch .LBB183_26
.LBB183_21:
	s_mov_b32 s31, -1
                                        ; implicit-def: $vgpr0
                                        ; implicit-def: $vgpr1
	s_branch .LBB183_84
.LBB183_22:
	s_mov_b32 s31, -1
                                        ; implicit-def: $vgpr0
                                        ; implicit-def: $vgpr1
	s_branch .LBB183_103
.LBB183_23:
	v_mov_b32_e32 v1, v2
	v_mov_b32_e32 v7, 0
	s_and_b32 s7, s7, 3
	s_delay_alu instid0(SALU_CYCLE_1)
	s_cmp_eq_u32 s7, 0
	s_cbranch_scc1 .LBB183_26
.LBB183_24:
	s_lshl_b32 s2, s8, 3
	s_mul_i32 s4, s8, 12
	s_add_u32 s2, s2, s0
	s_addc_u32 s3, 0, s1
	s_add_u32 s2, s2, 0xc4
	s_addc_u32 s3, s3, 0
	;; [unrolled: 2-line block ×3, first 2 shown]
	.p2align	6
.LBB183_25:                             ; =>This Inner Loop Header: Depth=1
	s_clause 0x1
	s_load_b64 s[8:9], s[4:5], 0x4
	s_load_b32 s12, s[4:5], 0xc
	s_load_b64 s[10:11], s[2:3], 0x0
	s_add_u32 s4, s4, 12
	s_addc_u32 s5, s5, 0
	s_add_u32 s2, s2, 8
	s_addc_u32 s3, s3, 0
	s_add_i32 s7, s7, -1
	s_delay_alu instid0(SALU_CYCLE_1) | instskip(SKIP_2) | instid1(VALU_DEP_1)
	s_cmp_lg_u32 s7, 0
	s_waitcnt lgkmcnt(0)
	v_mul_hi_u32 v4, s9, v1
	v_add_nc_u32_e32 v4, v1, v4
	s_delay_alu instid0(VALU_DEP_1) | instskip(NEXT) | instid1(VALU_DEP_1)
	v_lshrrev_b32_e32 v9, s12, v4
	v_mul_lo_u32 v4, v9, s8
	s_delay_alu instid0(VALU_DEP_1) | instskip(NEXT) | instid1(VALU_DEP_1)
	v_sub_nc_u32_e32 v1, v1, v4
	v_mad_u64_u32 v[4:5], null, v1, s10, v[0:1]
	v_mad_u64_u32 v[5:6], null, v1, s11, v[7:8]
	s_delay_alu instid0(VALU_DEP_2) | instskip(NEXT) | instid1(VALU_DEP_2)
	v_dual_mov_b32 v1, v9 :: v_dual_mov_b32 v0, v4
	v_mov_b32_e32 v7, v5
	s_cbranch_scc1 .LBB183_25
.LBB183_26:
	s_and_not1_b32 vcc_lo, exec_lo, s6
	s_cbranch_vccnz .LBB183_29
; %bb.27:
	s_clause 0x1
	s_load_b128 s[4:7], s[0:1], 0x4
	s_load_b64 s[2:3], s[0:1], 0xc4
	s_cmp_lt_u32 s22, 2
	s_waitcnt lgkmcnt(0)
	v_mul_hi_u32 v0, s5, v2
	s_delay_alu instid0(VALU_DEP_1) | instskip(NEXT) | instid1(VALU_DEP_1)
	v_add_nc_u32_e32 v0, v2, v0
	v_lshrrev_b32_e32 v1, s6, v0
	s_delay_alu instid0(VALU_DEP_1) | instskip(NEXT) | instid1(VALU_DEP_1)
	v_mul_lo_u32 v0, v1, s4
	v_sub_nc_u32_e32 v4, v2, v0
	s_delay_alu instid0(VALU_DEP_1)
	v_mul_lo_u32 v0, v4, s2
	v_mul_lo_u32 v7, v4, s3
	s_cbranch_scc1 .LBB183_29
; %bb.28:
	s_clause 0x1
	s_load_b128 s[4:7], s[0:1], 0x10
	s_load_b64 s[2:3], s[0:1], 0xcc
	s_waitcnt lgkmcnt(0)
	v_mul_hi_u32 v4, s5, v1
	s_delay_alu instid0(VALU_DEP_1) | instskip(NEXT) | instid1(VALU_DEP_1)
	v_add_nc_u32_e32 v4, v1, v4
	v_lshrrev_b32_e32 v4, s6, v4
	s_delay_alu instid0(VALU_DEP_1) | instskip(NEXT) | instid1(VALU_DEP_1)
	v_mul_lo_u32 v4, v4, s4
	v_sub_nc_u32_e32 v1, v1, v4
	s_delay_alu instid0(VALU_DEP_1) | instskip(SKIP_1) | instid1(VALU_DEP_1)
	v_mad_u64_u32 v[4:5], null, v1, s2, v[0:1]
	v_mad_u64_u32 v[5:6], null, v1, s3, v[7:8]
	v_dual_mov_b32 v0, v4 :: v_dual_mov_b32 v7, v5
.LBB183_29:
	v_cmp_ne_u32_e32 vcc_lo, 1, v3
	v_add_nc_u32_e32 v4, 0x80, v2
	s_cbranch_vccnz .LBB183_35
; %bb.30:
	v_dual_mov_b32 v1, 0 :: v_dual_mov_b32 v6, 0
	s_cmp_lg_u32 s22, 0
	s_mov_b32 s6, 0
	s_cbranch_scc0 .LBB183_39
; %bb.31:
	s_min_u32 s7, s23, 15
	v_mov_b32_e32 v1, 0
	s_add_i32 s7, s7, 1
	s_cmp_eq_u32 s23, 2
	s_mov_b32 s8, 0
	s_cbranch_scc1 .LBB183_36
; %bb.32:
	v_dual_mov_b32 v6, 0 :: v_dual_mov_b32 v1, 0
	v_mov_b32_e32 v5, v4
	s_add_u32 s2, s0, 0xc4
	s_addc_u32 s3, s1, 0
	s_and_b32 s8, s7, 28
	s_mov_b32 s9, 0
	s_mov_b64 s[4:5], s[0:1]
.LBB183_33:                             ; =>This Inner Loop Header: Depth=1
	s_clause 0x1
	s_load_b256 s[12:19], s[4:5], 0x4
	s_load_b128 s[36:39], s[4:5], 0x24
	s_load_b256 s[24:31], s[2:3], 0x0
	s_add_u32 s4, s4, 48
	s_addc_u32 s5, s5, 0
	s_add_i32 s9, s9, 4
	s_add_u32 s2, s2, 32
	s_addc_u32 s3, s3, 0
	s_cmp_lg_u32 s8, s9
	s_waitcnt lgkmcnt(0)
	v_mul_hi_u32 v9, s13, v5
	s_delay_alu instid0(VALU_DEP_1) | instskip(NEXT) | instid1(VALU_DEP_1)
	v_add_nc_u32_e32 v9, v5, v9
	v_lshrrev_b32_e32 v9, s14, v9
	s_delay_alu instid0(VALU_DEP_1) | instskip(SKIP_1) | instid1(VALU_DEP_2)
	v_mul_hi_u32 v10, s16, v9
	v_mul_lo_u32 v12, v9, s12
	v_add_nc_u32_e32 v10, v9, v10
	s_delay_alu instid0(VALU_DEP_2) | instskip(NEXT) | instid1(VALU_DEP_2)
	v_sub_nc_u32_e32 v5, v5, v12
	v_lshrrev_b32_e32 v10, s17, v10
	s_delay_alu instid0(VALU_DEP_2) | instskip(SKIP_1) | instid1(VALU_DEP_3)
	v_mul_lo_u32 v12, v5, s24
	v_mul_lo_u32 v14, v5, s25
	v_mul_hi_u32 v11, s19, v10
	s_delay_alu instid0(VALU_DEP_1) | instskip(NEXT) | instid1(VALU_DEP_1)
	v_add_nc_u32_e32 v11, v10, v11
	v_lshrrev_b32_e32 v11, s36, v11
	s_delay_alu instid0(VALU_DEP_1) | instskip(SKIP_1) | instid1(VALU_DEP_2)
	v_mul_hi_u32 v13, s38, v11
	v_mul_lo_u32 v15, v11, s18
	v_add_nc_u32_e32 v5, v11, v13
	v_mul_lo_u32 v13, v10, s15
	s_delay_alu instid0(VALU_DEP_3) | instskip(NEXT) | instid1(VALU_DEP_3)
	v_sub_nc_u32_e32 v10, v10, v15
	v_lshrrev_b32_e32 v5, s39, v5
	s_delay_alu instid0(VALU_DEP_2) | instskip(SKIP_2) | instid1(VALU_DEP_4)
	v_mul_lo_u32 v15, v10, s28
	v_mul_lo_u32 v10, v10, s29
	v_sub_nc_u32_e32 v9, v9, v13
	v_mul_lo_u32 v16, v5, s37
	s_delay_alu instid0(VALU_DEP_2) | instskip(SKIP_1) | instid1(VALU_DEP_3)
	v_mul_lo_u32 v13, v9, s26
	v_mul_lo_u32 v9, v9, s27
	v_sub_nc_u32_e32 v11, v11, v16
	s_delay_alu instid0(VALU_DEP_3) | instskip(NEXT) | instid1(VALU_DEP_2)
	v_add3_u32 v1, v12, v1, v13
	v_mul_lo_u32 v16, v11, s30
	v_mul_lo_u32 v11, v11, s31
	v_add3_u32 v6, v14, v6, v9
	s_delay_alu instid0(VALU_DEP_3) | instskip(NEXT) | instid1(VALU_DEP_2)
	v_add3_u32 v1, v15, v1, v16
	v_add3_u32 v6, v10, v6, v11
	s_cbranch_scc1 .LBB183_33
; %bb.34:
	s_and_b32 s7, s7, 3
	s_delay_alu instid0(SALU_CYCLE_1)
	s_cmp_eq_u32 s7, 0
	s_cbranch_scc0 .LBB183_37
	s_branch .LBB183_39
.LBB183_35:
	s_mov_b32 s6, -1
                                        ; implicit-def: $vgpr1
                                        ; implicit-def: $vgpr6
	s_branch .LBB183_39
.LBB183_36:
	v_dual_mov_b32 v5, v4 :: v_dual_mov_b32 v6, 0
	s_and_b32 s7, s7, 3
	s_delay_alu instid0(SALU_CYCLE_1)
	s_cmp_eq_u32 s7, 0
	s_cbranch_scc1 .LBB183_39
.LBB183_37:
	s_lshl_b32 s2, s8, 3
	s_mul_i32 s4, s8, 12
	s_add_u32 s2, s2, s0
	s_addc_u32 s3, 0, s1
	s_add_u32 s2, s2, 0xc4
	s_addc_u32 s3, s3, 0
	;; [unrolled: 2-line block ×3, first 2 shown]
	.p2align	6
.LBB183_38:                             ; =>This Inner Loop Header: Depth=1
	s_clause 0x1
	s_load_b64 s[8:9], s[4:5], 0x4
	s_load_b32 s12, s[4:5], 0xc
	s_load_b64 s[10:11], s[2:3], 0x0
	s_add_u32 s4, s4, 12
	s_addc_u32 s5, s5, 0
	s_add_u32 s2, s2, 8
	s_addc_u32 s3, s3, 0
	s_add_i32 s7, s7, -1
	s_delay_alu instid0(SALU_CYCLE_1) | instskip(SKIP_2) | instid1(VALU_DEP_1)
	s_cmp_lg_u32 s7, 0
	s_waitcnt lgkmcnt(0)
	v_mul_hi_u32 v9, s9, v5
	v_add_nc_u32_e32 v9, v5, v9
	s_delay_alu instid0(VALU_DEP_1) | instskip(NEXT) | instid1(VALU_DEP_1)
	v_lshrrev_b32_e32 v12, s12, v9
	v_mul_lo_u32 v9, v12, s8
	s_delay_alu instid0(VALU_DEP_1) | instskip(NEXT) | instid1(VALU_DEP_1)
	v_sub_nc_u32_e32 v5, v5, v9
	v_mad_u64_u32 v[9:10], null, v5, s10, v[1:2]
	v_mad_u64_u32 v[10:11], null, v5, s11, v[6:7]
	v_mov_b32_e32 v5, v12
	s_delay_alu instid0(VALU_DEP_2)
	v_dual_mov_b32 v1, v9 :: v_dual_mov_b32 v6, v10
	s_cbranch_scc1 .LBB183_38
.LBB183_39:
	s_and_not1_b32 vcc_lo, exec_lo, s6
	s_cbranch_vccnz .LBB183_42
; %bb.40:
	s_clause 0x1
	s_load_b128 s[4:7], s[0:1], 0x4
	s_load_b64 s[2:3], s[0:1], 0xc4
	s_cmp_lt_u32 s22, 2
	s_waitcnt lgkmcnt(0)
	v_mul_hi_u32 v1, s5, v4
	s_delay_alu instid0(VALU_DEP_1) | instskip(NEXT) | instid1(VALU_DEP_1)
	v_add_nc_u32_e32 v1, v4, v1
	v_lshrrev_b32_e32 v5, s6, v1
	s_delay_alu instid0(VALU_DEP_1) | instskip(NEXT) | instid1(VALU_DEP_1)
	v_mul_lo_u32 v1, v5, s4
	v_sub_nc_u32_e32 v4, v4, v1
	s_delay_alu instid0(VALU_DEP_1)
	v_mul_lo_u32 v1, v4, s2
	v_mul_lo_u32 v6, v4, s3
	s_cbranch_scc1 .LBB183_42
; %bb.41:
	s_clause 0x1
	s_load_b128 s[4:7], s[0:1], 0x10
	s_load_b64 s[2:3], s[0:1], 0xcc
	s_waitcnt lgkmcnt(0)
	v_mul_hi_u32 v4, s5, v5
	s_delay_alu instid0(VALU_DEP_1) | instskip(NEXT) | instid1(VALU_DEP_1)
	v_add_nc_u32_e32 v4, v5, v4
	v_lshrrev_b32_e32 v4, s6, v4
	s_delay_alu instid0(VALU_DEP_1) | instskip(NEXT) | instid1(VALU_DEP_1)
	v_mul_lo_u32 v4, v4, s4
	v_sub_nc_u32_e32 v11, v5, v4
	s_delay_alu instid0(VALU_DEP_1) | instskip(SKIP_1) | instid1(VALU_DEP_1)
	v_mad_u64_u32 v[4:5], null, v11, s2, v[1:2]
	v_mad_u64_u32 v[9:10], null, v11, s3, v[6:7]
	v_dual_mov_b32 v1, v4 :: v_dual_mov_b32 v6, v9
.LBB183_42:
	v_cmp_ne_u32_e32 vcc_lo, 1, v3
	v_add_nc_u32_e32 v4, 0x100, v2
	s_cbranch_vccnz .LBB183_48
; %bb.43:
	v_dual_mov_b32 v2, 0 :: v_dual_mov_b32 v5, 0
	s_cmp_lg_u32 s22, 0
	s_mov_b32 s6, 0
	s_cbranch_scc0 .LBB183_52
; %bb.44:
	s_min_u32 s7, s23, 15
	v_mov_b32_e32 v2, 0
	s_add_i32 s7, s7, 1
	s_cmp_eq_u32 s23, 2
	s_mov_b32 s8, 0
	s_cbranch_scc1 .LBB183_49
; %bb.45:
	v_dual_mov_b32 v5, 0 :: v_dual_mov_b32 v2, 0
	v_mov_b32_e32 v9, v4
	s_add_u32 s2, s0, 0xc4
	s_addc_u32 s3, s1, 0
	s_and_b32 s8, s7, 28
	s_mov_b32 s9, 0
	s_mov_b64 s[4:5], s[0:1]
.LBB183_46:                             ; =>This Inner Loop Header: Depth=1
	s_clause 0x1
	s_load_b256 s[12:19], s[4:5], 0x4
	s_load_b128 s[36:39], s[4:5], 0x24
	s_load_b256 s[24:31], s[2:3], 0x0
	s_add_u32 s4, s4, 48
	s_addc_u32 s5, s5, 0
	s_add_i32 s9, s9, 4
	s_add_u32 s2, s2, 32
	s_addc_u32 s3, s3, 0
	s_cmp_lg_u32 s8, s9
	s_waitcnt lgkmcnt(0)
	v_mul_hi_u32 v10, s13, v9
	s_delay_alu instid0(VALU_DEP_1) | instskip(NEXT) | instid1(VALU_DEP_1)
	v_add_nc_u32_e32 v10, v9, v10
	v_lshrrev_b32_e32 v10, s14, v10
	s_delay_alu instid0(VALU_DEP_1) | instskip(SKIP_1) | instid1(VALU_DEP_2)
	v_mul_hi_u32 v11, s16, v10
	v_mul_lo_u32 v13, v10, s12
	v_add_nc_u32_e32 v11, v10, v11
	s_delay_alu instid0(VALU_DEP_2) | instskip(NEXT) | instid1(VALU_DEP_2)
	v_sub_nc_u32_e32 v9, v9, v13
	v_lshrrev_b32_e32 v11, s17, v11
	s_delay_alu instid0(VALU_DEP_2) | instskip(SKIP_1) | instid1(VALU_DEP_3)
	v_mul_lo_u32 v13, v9, s24
	v_mul_lo_u32 v15, v9, s25
	v_mul_hi_u32 v12, s19, v11
	s_delay_alu instid0(VALU_DEP_1) | instskip(NEXT) | instid1(VALU_DEP_1)
	v_add_nc_u32_e32 v12, v11, v12
	v_lshrrev_b32_e32 v12, s36, v12
	s_delay_alu instid0(VALU_DEP_1) | instskip(SKIP_1) | instid1(VALU_DEP_2)
	v_mul_hi_u32 v14, s38, v12
	v_mul_lo_u32 v16, v12, s18
	v_add_nc_u32_e32 v9, v12, v14
	v_mul_lo_u32 v14, v11, s15
	s_delay_alu instid0(VALU_DEP_3) | instskip(NEXT) | instid1(VALU_DEP_3)
	v_sub_nc_u32_e32 v11, v11, v16
	v_lshrrev_b32_e32 v9, s39, v9
	s_delay_alu instid0(VALU_DEP_2) | instskip(SKIP_2) | instid1(VALU_DEP_4)
	v_mul_lo_u32 v16, v11, s28
	v_mul_lo_u32 v11, v11, s29
	v_sub_nc_u32_e32 v10, v10, v14
	v_mul_lo_u32 v17, v9, s37
	s_delay_alu instid0(VALU_DEP_2) | instskip(SKIP_1) | instid1(VALU_DEP_3)
	v_mul_lo_u32 v14, v10, s26
	v_mul_lo_u32 v10, v10, s27
	v_sub_nc_u32_e32 v12, v12, v17
	s_delay_alu instid0(VALU_DEP_3) | instskip(NEXT) | instid1(VALU_DEP_2)
	v_add3_u32 v2, v13, v2, v14
	v_mul_lo_u32 v17, v12, s30
	v_mul_lo_u32 v12, v12, s31
	v_add3_u32 v5, v15, v5, v10
	s_delay_alu instid0(VALU_DEP_3) | instskip(NEXT) | instid1(VALU_DEP_2)
	v_add3_u32 v2, v16, v2, v17
	v_add3_u32 v5, v11, v5, v12
	s_cbranch_scc1 .LBB183_46
; %bb.47:
	s_and_b32 s7, s7, 3
	s_delay_alu instid0(SALU_CYCLE_1)
	s_cmp_eq_u32 s7, 0
	s_cbranch_scc0 .LBB183_50
	s_branch .LBB183_52
.LBB183_48:
	s_mov_b32 s6, -1
                                        ; implicit-def: $vgpr2
                                        ; implicit-def: $vgpr5
	s_branch .LBB183_52
.LBB183_49:
	v_mov_b32_e32 v9, v4
	v_mov_b32_e32 v5, 0
	s_and_b32 s7, s7, 3
	s_delay_alu instid0(SALU_CYCLE_1)
	s_cmp_eq_u32 s7, 0
	s_cbranch_scc1 .LBB183_52
.LBB183_50:
	s_lshl_b32 s2, s8, 3
	s_mul_i32 s4, s8, 12
	s_add_u32 s2, s2, s0
	s_addc_u32 s3, 0, s1
	s_add_u32 s2, s2, 0xc4
	s_addc_u32 s3, s3, 0
	;; [unrolled: 2-line block ×3, first 2 shown]
	.p2align	6
.LBB183_51:                             ; =>This Inner Loop Header: Depth=1
	s_clause 0x1
	s_load_b64 s[8:9], s[4:5], 0x4
	s_load_b32 s12, s[4:5], 0xc
	s_load_b64 s[10:11], s[2:3], 0x0
	s_add_u32 s4, s4, 12
	s_addc_u32 s5, s5, 0
	s_add_u32 s2, s2, 8
	s_addc_u32 s3, s3, 0
	s_add_i32 s7, s7, -1
	s_delay_alu instid0(SALU_CYCLE_1) | instskip(SKIP_2) | instid1(VALU_DEP_1)
	s_cmp_lg_u32 s7, 0
	s_waitcnt lgkmcnt(0)
	v_mul_hi_u32 v10, s9, v9
	v_add_nc_u32_e32 v10, v9, v10
	s_delay_alu instid0(VALU_DEP_1) | instskip(NEXT) | instid1(VALU_DEP_1)
	v_lshrrev_b32_e32 v13, s12, v10
	v_mul_lo_u32 v10, v13, s8
	s_delay_alu instid0(VALU_DEP_1) | instskip(NEXT) | instid1(VALU_DEP_1)
	v_sub_nc_u32_e32 v9, v9, v10
	v_mad_u64_u32 v[10:11], null, v9, s10, v[2:3]
	v_mad_u64_u32 v[11:12], null, v9, s11, v[5:6]
	s_delay_alu instid0(VALU_DEP_2) | instskip(NEXT) | instid1(VALU_DEP_2)
	v_dual_mov_b32 v9, v13 :: v_dual_mov_b32 v2, v10
	v_mov_b32_e32 v5, v11
	s_cbranch_scc1 .LBB183_51
.LBB183_52:
	s_and_not1_b32 vcc_lo, exec_lo, s6
	s_cbranch_vccnz .LBB183_55
; %bb.53:
	s_clause 0x1
	s_load_b128 s[4:7], s[0:1], 0x4
	s_load_b64 s[2:3], s[0:1], 0xc4
	s_cmp_lt_u32 s22, 2
	s_waitcnt lgkmcnt(0)
	v_mul_hi_u32 v2, s5, v4
	s_delay_alu instid0(VALU_DEP_1) | instskip(NEXT) | instid1(VALU_DEP_1)
	v_add_nc_u32_e32 v2, v4, v2
	v_lshrrev_b32_e32 v9, s6, v2
	s_delay_alu instid0(VALU_DEP_1) | instskip(NEXT) | instid1(VALU_DEP_1)
	v_mul_lo_u32 v2, v9, s4
	v_sub_nc_u32_e32 v4, v4, v2
	s_delay_alu instid0(VALU_DEP_1)
	v_mul_lo_u32 v2, v4, s2
	v_mul_lo_u32 v5, v4, s3
	s_cbranch_scc1 .LBB183_55
; %bb.54:
	s_clause 0x1
	s_load_b128 s[4:7], s[0:1], 0x10
	s_load_b64 s[2:3], s[0:1], 0xcc
	s_waitcnt lgkmcnt(0)
	v_mul_hi_u32 v4, s5, v9
	s_delay_alu instid0(VALU_DEP_1) | instskip(NEXT) | instid1(VALU_DEP_1)
	v_add_nc_u32_e32 v4, v9, v4
	v_lshrrev_b32_e32 v4, s6, v4
	s_delay_alu instid0(VALU_DEP_1) | instskip(NEXT) | instid1(VALU_DEP_1)
	v_mul_lo_u32 v4, v4, s4
	v_sub_nc_u32_e32 v4, v9, v4
	s_delay_alu instid0(VALU_DEP_1) | instskip(SKIP_1) | instid1(VALU_DEP_1)
	v_mad_u64_u32 v[9:10], null, v4, s2, v[2:3]
	v_mad_u64_u32 v[10:11], null, v4, s3, v[5:6]
	v_dual_mov_b32 v2, v9 :: v_dual_mov_b32 v5, v10
.LBB183_55:
	v_cmp_ne_u32_e32 vcc_lo, 1, v3
	s_cbranch_vccnz .LBB183_61
; %bb.56:
	v_dual_mov_b32 v3, 0 :: v_dual_mov_b32 v4, 0
	s_cmp_lg_u32 s22, 0
	s_mov_b32 s6, 0
	s_cbranch_scc0 .LBB183_65
; %bb.57:
	s_min_u32 s7, s23, 15
	v_mov_b32_e32 v3, 0
	s_add_i32 s7, s7, 1
	s_cmp_eq_u32 s23, 2
	s_mov_b32 s8, 0
	s_cbranch_scc1 .LBB183_62
; %bb.58:
	v_dual_mov_b32 v4, 0 :: v_dual_mov_b32 v3, 0
	v_mov_b32_e32 v9, v8
	s_add_u32 s2, s0, 0xc4
	s_addc_u32 s3, s1, 0
	s_and_b32 s8, s7, 28
	s_mov_b32 s9, 0
	s_mov_b64 s[4:5], s[0:1]
.LBB183_59:                             ; =>This Inner Loop Header: Depth=1
	s_clause 0x1
	s_load_b256 s[12:19], s[4:5], 0x4
	s_load_b128 s[36:39], s[4:5], 0x24
	s_load_b256 s[24:31], s[2:3], 0x0
	s_add_u32 s4, s4, 48
	s_addc_u32 s5, s5, 0
	s_add_i32 s9, s9, 4
	s_add_u32 s2, s2, 32
	s_addc_u32 s3, s3, 0
	s_cmp_lg_u32 s8, s9
	s_waitcnt lgkmcnt(0)
	v_mul_hi_u32 v10, s13, v9
	s_delay_alu instid0(VALU_DEP_1) | instskip(NEXT) | instid1(VALU_DEP_1)
	v_add_nc_u32_e32 v10, v9, v10
	v_lshrrev_b32_e32 v10, s14, v10
	s_delay_alu instid0(VALU_DEP_1) | instskip(SKIP_1) | instid1(VALU_DEP_2)
	v_mul_hi_u32 v11, s16, v10
	v_mul_lo_u32 v13, v10, s12
	v_add_nc_u32_e32 v11, v10, v11
	s_delay_alu instid0(VALU_DEP_2) | instskip(NEXT) | instid1(VALU_DEP_2)
	v_sub_nc_u32_e32 v9, v9, v13
	v_lshrrev_b32_e32 v11, s17, v11
	s_delay_alu instid0(VALU_DEP_2) | instskip(SKIP_1) | instid1(VALU_DEP_3)
	v_mul_lo_u32 v13, v9, s24
	v_mul_lo_u32 v15, v9, s25
	v_mul_hi_u32 v12, s19, v11
	s_delay_alu instid0(VALU_DEP_1) | instskip(NEXT) | instid1(VALU_DEP_1)
	v_add_nc_u32_e32 v12, v11, v12
	v_lshrrev_b32_e32 v12, s36, v12
	s_delay_alu instid0(VALU_DEP_1) | instskip(SKIP_1) | instid1(VALU_DEP_2)
	v_mul_hi_u32 v14, s38, v12
	v_mul_lo_u32 v16, v12, s18
	v_add_nc_u32_e32 v9, v12, v14
	v_mul_lo_u32 v14, v11, s15
	s_delay_alu instid0(VALU_DEP_3) | instskip(NEXT) | instid1(VALU_DEP_3)
	v_sub_nc_u32_e32 v11, v11, v16
	v_lshrrev_b32_e32 v9, s39, v9
	s_delay_alu instid0(VALU_DEP_2) | instskip(SKIP_2) | instid1(VALU_DEP_4)
	v_mul_lo_u32 v16, v11, s28
	v_mul_lo_u32 v11, v11, s29
	v_sub_nc_u32_e32 v10, v10, v14
	v_mul_lo_u32 v17, v9, s37
	s_delay_alu instid0(VALU_DEP_2) | instskip(SKIP_1) | instid1(VALU_DEP_3)
	v_mul_lo_u32 v14, v10, s26
	v_mul_lo_u32 v10, v10, s27
	v_sub_nc_u32_e32 v12, v12, v17
	s_delay_alu instid0(VALU_DEP_3) | instskip(NEXT) | instid1(VALU_DEP_2)
	v_add3_u32 v3, v13, v3, v14
	v_mul_lo_u32 v17, v12, s30
	v_mul_lo_u32 v12, v12, s31
	v_add3_u32 v4, v15, v4, v10
	s_delay_alu instid0(VALU_DEP_3) | instskip(NEXT) | instid1(VALU_DEP_2)
	v_add3_u32 v3, v16, v3, v17
	v_add3_u32 v4, v11, v4, v12
	s_cbranch_scc1 .LBB183_59
; %bb.60:
	s_and_b32 s7, s7, 3
	s_delay_alu instid0(SALU_CYCLE_1)
	s_cmp_eq_u32 s7, 0
	s_cbranch_scc0 .LBB183_63
	s_branch .LBB183_65
.LBB183_61:
	s_mov_b32 s6, -1
                                        ; implicit-def: $vgpr3
                                        ; implicit-def: $vgpr4
	s_branch .LBB183_65
.LBB183_62:
	v_dual_mov_b32 v9, v8 :: v_dual_mov_b32 v4, 0
	s_and_b32 s7, s7, 3
	s_delay_alu instid0(SALU_CYCLE_1)
	s_cmp_eq_u32 s7, 0
	s_cbranch_scc1 .LBB183_65
.LBB183_63:
	s_lshl_b32 s2, s8, 3
	s_mul_i32 s4, s8, 12
	s_add_u32 s2, s2, s0
	s_addc_u32 s3, 0, s1
	s_add_u32 s2, s2, 0xc4
	s_addc_u32 s3, s3, 0
	;; [unrolled: 2-line block ×3, first 2 shown]
	.p2align	6
.LBB183_64:                             ; =>This Inner Loop Header: Depth=1
	s_clause 0x1
	s_load_b64 s[8:9], s[4:5], 0x4
	s_load_b32 s12, s[4:5], 0xc
	s_load_b64 s[10:11], s[2:3], 0x0
	s_add_u32 s4, s4, 12
	s_addc_u32 s5, s5, 0
	s_add_u32 s2, s2, 8
	s_addc_u32 s3, s3, 0
	s_add_i32 s7, s7, -1
	s_delay_alu instid0(SALU_CYCLE_1) | instskip(SKIP_2) | instid1(VALU_DEP_1)
	s_cmp_lg_u32 s7, 0
	s_waitcnt lgkmcnt(0)
	v_mul_hi_u32 v10, s9, v9
	v_add_nc_u32_e32 v10, v9, v10
	s_delay_alu instid0(VALU_DEP_1) | instskip(NEXT) | instid1(VALU_DEP_1)
	v_lshrrev_b32_e32 v13, s12, v10
	v_mul_lo_u32 v10, v13, s8
	s_delay_alu instid0(VALU_DEP_1) | instskip(NEXT) | instid1(VALU_DEP_1)
	v_sub_nc_u32_e32 v9, v9, v10
	v_mad_u64_u32 v[10:11], null, v9, s10, v[3:4]
	v_mad_u64_u32 v[11:12], null, v9, s11, v[4:5]
	v_mov_b32_e32 v9, v13
	s_delay_alu instid0(VALU_DEP_2)
	v_dual_mov_b32 v3, v10 :: v_dual_mov_b32 v4, v11
	s_cbranch_scc1 .LBB183_64
.LBB183_65:
	s_and_not1_b32 vcc_lo, exec_lo, s6
	s_cbranch_vccnz .LBB183_68
; %bb.66:
	s_clause 0x1
	s_load_b128 s[4:7], s[0:1], 0x4
	s_load_b64 s[2:3], s[0:1], 0xc4
	s_cmp_lt_u32 s22, 2
	s_waitcnt lgkmcnt(0)
	v_mul_hi_u32 v3, s5, v8
	s_delay_alu instid0(VALU_DEP_1) | instskip(NEXT) | instid1(VALU_DEP_1)
	v_add_nc_u32_e32 v3, v8, v3
	v_lshrrev_b32_e32 v9, s6, v3
	s_delay_alu instid0(VALU_DEP_1) | instskip(NEXT) | instid1(VALU_DEP_1)
	v_mul_lo_u32 v3, v9, s4
	v_sub_nc_u32_e32 v4, v8, v3
	s_delay_alu instid0(VALU_DEP_1)
	v_mul_lo_u32 v3, v4, s2
	v_mul_lo_u32 v4, v4, s3
	s_cbranch_scc1 .LBB183_68
; %bb.67:
	s_clause 0x1
	s_load_b128 s[4:7], s[0:1], 0x10
	s_load_b64 s[2:3], s[0:1], 0xcc
	s_waitcnt lgkmcnt(0)
	v_mul_hi_u32 v8, s5, v9
	s_delay_alu instid0(VALU_DEP_1) | instskip(NEXT) | instid1(VALU_DEP_1)
	v_add_nc_u32_e32 v8, v9, v8
	v_lshrrev_b32_e32 v8, s6, v8
	s_delay_alu instid0(VALU_DEP_1) | instskip(NEXT) | instid1(VALU_DEP_1)
	v_mul_lo_u32 v8, v8, s4
	v_sub_nc_u32_e32 v11, v9, v8
	s_delay_alu instid0(VALU_DEP_1) | instskip(SKIP_1) | instid1(VALU_DEP_1)
	v_mad_u64_u32 v[8:9], null, v11, s2, v[3:4]
	v_mad_u64_u32 v[9:10], null, v11, s3, v[4:5]
	v_dual_mov_b32 v3, v8 :: v_dual_mov_b32 v4, v9
.LBB183_68:
	s_load_b128 s[4:7], s[0:1], 0x148
	v_mov_b32_e32 v10, 0
	s_waitcnt lgkmcnt(0)
	global_load_b32 v7, v7, s[6:7]
	s_waitcnt vmcnt(0)
	v_lshrrev_b32_e32 v8, 16, v7
	v_cmp_neq_f16_e32 vcc_lo, 0, v7
	s_delay_alu instid0(VALU_DEP_2) | instskip(SKIP_1) | instid1(VALU_DEP_2)
	v_cmp_neq_f16_e64 s0, 0, v8
	v_cvt_f32_f16_e32 v9, v8
	s_or_b32 s0, vcc_lo, s0
	s_delay_alu instid0(SALU_CYCLE_1)
	s_and_saveexec_b32 s2, s0
	s_cbranch_execz .LBB183_136
; %bb.69:
	v_mov_b32_e32 v10, 0x7f800000
	s_mov_b32 s3, exec_lo
	v_cmpx_neq_f32_e64 0x7f800000, |v9|
	s_cbranch_execz .LBB183_135
; %bb.70:
	v_cvt_f32_f16_e32 v10, v7
	s_mov_b32 s0, exec_lo
	v_cmpx_o_f16_e32 v7, v7
	s_xor_b32 s8, exec_lo, s0
	s_cbranch_execz .LBB183_132
; %bb.71:
	s_mov_b32 s1, exec_lo
	v_cmpx_neq_f32_e64 0x7f800000, |v10|
	s_xor_b32 s9, exec_lo, s1
	s_cbranch_execz .LBB183_125
; %bb.72:
	v_max_f32_e64 v7, |v9|, |v9|
	v_max_f32_e64 v8, |v10|, |v10|
                                        ; implicit-def: $sgpr10
	s_delay_alu instid0(VALU_DEP_1) | instskip(NEXT) | instid1(VALU_DEP_1)
	v_max_f32_e32 v7, v8, v7
	v_cmp_nle_f32_e64 s0, 0x7ed413cb, v7
	s_delay_alu instid0(VALU_DEP_1) | instskip(NEXT) | instid1(SALU_CYCLE_1)
	s_and_saveexec_b32 s1, s0
	s_xor_b32 s1, exec_lo, s1
	s_cbranch_execz .LBB183_76
; %bb.73:
	v_cmp_ge_f32_e64 s10, 0x1000000, |v10|
	v_cmp_ge_f32_e64 s11, 0x1000000, |v9|
	s_delay_alu instid0(VALU_DEP_1)
	s_and_b32 s12, s10, s11
	s_mov_b32 s10, 0
	s_and_saveexec_b32 s11, s12
; %bb.74:
	v_dual_mul_f32 v9, 4.0, v9 :: v_dual_mul_f32 v10, 4.0, v10
	s_mov_b32 s10, exec_lo
; %bb.75:
	s_or_b32 exec_lo, exec_lo, s11
	s_delay_alu instid0(SALU_CYCLE_1)
	s_and_b32 s10, s10, exec_lo
.LBB183_76:
	s_and_not1_saveexec_b32 s1, s1
; %bb.77:
	v_dual_mul_f32 v10, 0x3e800000, v10 :: v_dual_mul_f32 v9, 0x3e800000, v9
	s_and_not1_b32 s10, s10, exec_lo
; %bb.78:
	s_or_b32 exec_lo, exec_lo, s1
	s_delay_alu instid0(VALU_DEP_1) | instskip(NEXT) | instid1(VALU_DEP_2)
	v_max_f32_e64 v7, |v9|, |v9|
	v_max_f32_e64 v8, |v10|, |v10|
	s_delay_alu instid0(VALU_DEP_1) | instskip(NEXT) | instid1(VALU_DEP_1)
	v_max_f32_e32 v11, v8, v7
	v_cvt_f64_f32_e32 v[7:8], v11
	v_cmp_neq_f32_e64 s1, 0x7f800000, v11
	s_delay_alu instid0(VALU_DEP_2) | instskip(NEXT) | instid1(VALU_DEP_1)
	v_frexp_exp_i32_f64_e32 v7, v[7:8]
	v_sub_nc_u32_e32 v8, 0, v7
	s_delay_alu instid0(VALU_DEP_1) | instskip(SKIP_1) | instid1(VALU_DEP_2)
	v_ldexp_f32 v12, |v9|, v8
	v_ldexp_f32 v8, |v10|, v8
	v_mul_f32_e32 v12, v12, v12
	s_delay_alu instid0(VALU_DEP_1) | instskip(NEXT) | instid1(VALU_DEP_1)
	v_fmac_f32_e32 v12, v8, v8
	v_sqrt_f32_e32 v8, v12
	s_waitcnt_depctr 0xfff
	v_ldexp_f32 v7, v8, v7
                                        ; implicit-def: $vgpr8
	s_delay_alu instid0(VALU_DEP_1)
	v_cndmask_b32_e64 v11, 0x7f800000, v7, s1
                                        ; implicit-def: $vgpr7
	s_mov_b32 s1, exec_lo
	v_cmpx_le_f32_e32 0, v10
	s_xor_b32 s11, exec_lo, s1
	s_cbranch_execz .LBB183_118
; %bb.79:
	v_add_f32_e32 v7, v10, v11
	s_delay_alu instid0(VALU_DEP_1) | instskip(NEXT) | instid1(VALU_DEP_1)
	v_mul_f32_e32 v7, 0.5, v7
	v_mul_f32_e32 v8, 0x4f800000, v7
	v_cmp_gt_f32_e32 vcc_lo, 0xf800000, v7
	s_delay_alu instid0(VALU_DEP_2) | instskip(NEXT) | instid1(VALU_DEP_1)
	v_cndmask_b32_e32 v7, v7, v8, vcc_lo
	v_sqrt_f32_e32 v8, v7
	s_waitcnt_depctr 0xfff
	v_add_nc_u32_e32 v10, -1, v8
	v_add_nc_u32_e32 v11, 1, v8
	s_delay_alu instid0(VALU_DEP_2) | instskip(NEXT) | instid1(VALU_DEP_2)
	v_fma_f32 v12, -v10, v8, v7
	v_fma_f32 v13, -v11, v8, v7
	s_delay_alu instid0(VALU_DEP_2) | instskip(NEXT) | instid1(VALU_DEP_1)
	v_cmp_ge_f32_e64 s1, 0, v12
	v_cndmask_b32_e64 v8, v8, v10, s1
	s_delay_alu instid0(VALU_DEP_3) | instskip(NEXT) | instid1(VALU_DEP_1)
	v_cmp_lt_f32_e64 s1, 0, v13
	v_cndmask_b32_e64 v8, v8, v11, s1
	s_delay_alu instid0(VALU_DEP_1) | instskip(NEXT) | instid1(VALU_DEP_1)
	v_mul_f32_e32 v10, 0x37800000, v8
	v_cndmask_b32_e32 v8, v8, v10, vcc_lo
	v_cmp_class_f32_e64 vcc_lo, v7, 0x260
	s_delay_alu instid0(VALU_DEP_2) | instskip(NEXT) | instid1(VALU_DEP_1)
	v_cndmask_b32_e32 v7, v8, v7, vcc_lo
	v_add_f32_e32 v8, v7, v7
	s_delay_alu instid0(VALU_DEP_1) | instskip(NEXT) | instid1(VALU_DEP_1)
	v_div_scale_f32 v10, null, v8, v8, v9
	v_rcp_f32_e32 v11, v10
	s_waitcnt_depctr 0xfff
	v_fma_f32 v12, -v10, v11, 1.0
	s_delay_alu instid0(VALU_DEP_1) | instskip(SKIP_1) | instid1(VALU_DEP_1)
	v_fmac_f32_e32 v11, v12, v11
	v_div_scale_f32 v12, vcc_lo, v9, v8, v9
	v_mul_f32_e32 v13, v12, v11
	s_delay_alu instid0(VALU_DEP_1) | instskip(NEXT) | instid1(VALU_DEP_1)
	v_fma_f32 v14, -v10, v13, v12
	v_fmac_f32_e32 v13, v14, v11
	s_delay_alu instid0(VALU_DEP_1) | instskip(NEXT) | instid1(VALU_DEP_1)
	v_fma_f32 v10, -v10, v13, v12
	v_div_fmas_f32 v10, v10, v11, v13
                                        ; implicit-def: $vgpr11
	s_delay_alu instid0(VALU_DEP_1)
	v_div_fixup_f32 v8, v10, v8, v9
                                        ; implicit-def: $vgpr10
                                        ; implicit-def: $vgpr9
	s_and_not1_saveexec_b32 s11, s11
	s_cbranch_execz .LBB183_120
	s_branch .LBB183_119
.LBB183_80:
	v_mov_b32_e32 v3, v2
	v_mov_b32_e32 v1, 0
.LBB183_81:
	s_and_b32 s34, s34, 3
	s_delay_alu instid0(SALU_CYCLE_1)
	s_cmp_eq_u32 s34, 0
	s_cbranch_scc1 .LBB183_84
; %bb.82:
	s_lshl_b32 s2, s33, 3
	s_mul_i32 s20, s33, 12
	s_add_u32 s2, s2, s0
	s_addc_u32 s3, s1, 0
	s_add_u32 s2, s2, 0xc4
	s_addc_u32 s3, s3, 0
	;; [unrolled: 2-line block ×3, first 2 shown]
	.p2align	6
.LBB183_83:                             ; =>This Inner Loop Header: Depth=1
	s_clause 0x1
	s_load_b64 s[36:37], s[20:21], 0x4
	s_load_b32 s33, s[20:21], 0xc
	s_load_b64 s[38:39], s[2:3], 0x0
	s_add_u32 s20, s20, 12
	s_addc_u32 s21, s21, 0
	s_add_u32 s2, s2, 8
	s_addc_u32 s3, s3, 0
	s_add_i32 s34, s34, -1
	s_delay_alu instid0(SALU_CYCLE_1) | instskip(SKIP_2) | instid1(VALU_DEP_1)
	s_cmp_lg_u32 s34, 0
	s_waitcnt lgkmcnt(0)
	v_mul_hi_u32 v4, s37, v3
	v_add_nc_u32_e32 v4, v3, v4
	s_delay_alu instid0(VALU_DEP_1) | instskip(NEXT) | instid1(VALU_DEP_1)
	v_lshrrev_b32_e32 v7, s33, v4
	v_mul_lo_u32 v4, v7, s36
	s_delay_alu instid0(VALU_DEP_1) | instskip(NEXT) | instid1(VALU_DEP_1)
	v_sub_nc_u32_e32 v3, v3, v4
	v_mad_u64_u32 v[4:5], null, v3, s38, v[0:1]
	v_mad_u64_u32 v[5:6], null, v3, s39, v[1:2]
	s_delay_alu instid0(VALU_DEP_2) | instskip(NEXT) | instid1(VALU_DEP_2)
	v_dual_mov_b32 v3, v7 :: v_dual_mov_b32 v0, v4
	v_mov_b32_e32 v1, v5
	s_cbranch_scc1 .LBB183_83
.LBB183_84:
	s_and_not1_b32 vcc_lo, exec_lo, s31
	s_cbranch_vccnz .LBB183_87
; %bb.85:
	s_waitcnt lgkmcnt(0)
	v_mul_hi_u32 v0, s13, v2
	s_and_not1_b32 vcc_lo, exec_lo, s26
	s_delay_alu instid0(VALU_DEP_1) | instskip(NEXT) | instid1(VALU_DEP_1)
	v_add_nc_u32_e32 v0, v2, v0
	v_lshrrev_b32_e32 v3, s14, v0
	s_delay_alu instid0(VALU_DEP_1) | instskip(NEXT) | instid1(VALU_DEP_1)
	v_mul_lo_u32 v0, v3, s12
	v_sub_nc_u32_e32 v1, v2, v0
	s_delay_alu instid0(VALU_DEP_1)
	v_mul_lo_u32 v0, v1, s8
	v_mul_lo_u32 v1, v1, s9
	s_cbranch_vccnz .LBB183_87
; %bb.86:
	v_mul_hi_u32 v4, s16, v3
	s_delay_alu instid0(VALU_DEP_1) | instskip(NEXT) | instid1(VALU_DEP_1)
	v_add_nc_u32_e32 v4, v3, v4
	v_lshrrev_b32_e32 v4, s17, v4
	s_delay_alu instid0(VALU_DEP_1) | instskip(NEXT) | instid1(VALU_DEP_1)
	v_mul_lo_u32 v4, v4, s15
	v_sub_nc_u32_e32 v6, v3, v4
	s_delay_alu instid0(VALU_DEP_1) | instskip(SKIP_1) | instid1(VALU_DEP_1)
	v_mad_u64_u32 v[3:4], null, v6, s10, v[0:1]
	v_mad_u64_u32 v[4:5], null, v6, s11, v[1:2]
	v_dual_mov_b32 v0, v3 :: v_dual_mov_b32 v1, v4
.LBB183_87:
	s_waitcnt lgkmcnt(0)
	global_load_b32 v4, v1, s[6:7]
	v_mov_b32_e32 v3, 0
	s_waitcnt vmcnt(0)
	v_lshrrev_b32_e32 v1, 16, v4
	v_cmp_neq_f16_e32 vcc_lo, 0, v4
	s_delay_alu instid0(VALU_DEP_2) | instskip(SKIP_1) | instid1(VALU_DEP_2)
	v_cmp_neq_f16_e64 s2, 0, v1
	v_cvt_f32_f16_e32 v1, v1
	s_or_b32 s2, vcc_lo, s2
	s_delay_alu instid0(SALU_CYCLE_1)
	s_and_saveexec_b32 s20, s2
	s_cbranch_execz .LBB183_281
; %bb.88:
	v_mov_b32_e32 v3, 0x7f800000
	s_mov_b32 s21, exec_lo
	v_cmpx_neq_f32_e64 0x7f800000, |v1|
	s_cbranch_execz .LBB183_280
; %bb.89:
	v_cvt_f32_f16_e32 v3, v4
	s_mov_b32 s2, exec_lo
	v_cmpx_o_f16_e32 v4, v4
	s_xor_b32 s31, exec_lo, s2
	s_cbranch_execz .LBB183_277
; %bb.90:
	s_mov_b32 s3, exec_lo
	v_cmpx_neq_f32_e64 0x7f800000, |v3|
	s_xor_b32 s33, exec_lo, s3
	s_cbranch_execz .LBB183_270
; %bb.91:
	v_max_f32_e64 v4, |v1|, |v1|
	v_max_f32_e64 v5, |v3|, |v3|
                                        ; implicit-def: $sgpr34
	s_delay_alu instid0(VALU_DEP_1) | instskip(NEXT) | instid1(VALU_DEP_1)
	v_max_f32_e32 v4, v5, v4
	v_cmp_nle_f32_e64 s2, 0x7ed413cb, v4
	s_delay_alu instid0(VALU_DEP_1) | instskip(NEXT) | instid1(SALU_CYCLE_1)
	s_and_saveexec_b32 s3, s2
	s_xor_b32 s3, exec_lo, s3
	s_cbranch_execz .LBB183_95
; %bb.92:
	v_cmp_ge_f32_e64 s34, 0x1000000, |v3|
	v_cmp_ge_f32_e64 s35, 0x1000000, |v1|
	s_delay_alu instid0(VALU_DEP_1)
	s_and_b32 s36, s34, s35
	s_mov_b32 s34, 0
	s_and_saveexec_b32 s35, s36
; %bb.93:
	v_mul_f32_e32 v1, 4.0, v1
	v_mul_f32_e32 v3, 4.0, v3
	s_mov_b32 s34, exec_lo
; %bb.94:
	s_or_b32 exec_lo, exec_lo, s35
	s_delay_alu instid0(SALU_CYCLE_1)
	s_and_b32 s34, s34, exec_lo
.LBB183_95:
	s_and_not1_saveexec_b32 s3, s3
; %bb.96:
	v_mul_f32_e32 v3, 0x3e800000, v3
	v_mul_f32_e32 v1, 0x3e800000, v1
	s_and_not1_b32 s34, s34, exec_lo
; %bb.97:
	s_or_b32 exec_lo, exec_lo, s3
	s_delay_alu instid0(VALU_DEP_1) | instskip(SKIP_1) | instid1(VALU_DEP_1)
	v_max_f32_e64 v4, |v1|, |v1|
	v_max_f32_e64 v5, |v3|, |v3|
	v_max_f32_e32 v6, v5, v4
	s_delay_alu instid0(VALU_DEP_1) | instskip(NEXT) | instid1(VALU_DEP_1)
	v_cvt_f64_f32_e32 v[4:5], v6
	v_frexp_exp_i32_f64_e32 v4, v[4:5]
	s_delay_alu instid0(VALU_DEP_1) | instskip(NEXT) | instid1(VALU_DEP_1)
	v_sub_nc_u32_e32 v5, 0, v4
	v_ldexp_f32 v7, |v1|, v5
	v_ldexp_f32 v5, |v3|, v5
	s_delay_alu instid0(VALU_DEP_2) | instskip(SKIP_1) | instid1(VALU_DEP_2)
	v_mul_f32_e32 v7, v7, v7
	v_cmp_neq_f32_e64 s3, 0x7f800000, v6
	v_fmac_f32_e32 v7, v5, v5
	s_delay_alu instid0(VALU_DEP_1) | instskip(SKIP_2) | instid1(VALU_DEP_1)
	v_sqrt_f32_e32 v5, v7
	s_waitcnt_depctr 0xfff
	v_ldexp_f32 v4, v5, v4
                                        ; implicit-def: $vgpr5
	v_cndmask_b32_e64 v6, 0x7f800000, v4, s3
                                        ; implicit-def: $vgpr4
	s_mov_b32 s3, exec_lo
	v_cmpx_le_f32_e32 0, v3
	s_xor_b32 s35, exec_lo, s3
	s_cbranch_execz .LBB183_259
; %bb.98:
	v_add_f32_e32 v3, v3, v6
	s_delay_alu instid0(VALU_DEP_1) | instskip(NEXT) | instid1(VALU_DEP_1)
	v_mul_f32_e32 v3, 0.5, v3
	v_mul_f32_e32 v4, 0x4f800000, v3
	v_cmp_gt_f32_e32 vcc_lo, 0xf800000, v3
	s_delay_alu instid0(VALU_DEP_2) | instskip(NEXT) | instid1(VALU_DEP_1)
	v_cndmask_b32_e32 v3, v3, v4, vcc_lo
	v_sqrt_f32_e32 v4, v3
	s_waitcnt_depctr 0xfff
	v_add_nc_u32_e32 v5, -1, v4
	v_add_nc_u32_e32 v6, 1, v4
	s_delay_alu instid0(VALU_DEP_2) | instskip(NEXT) | instid1(VALU_DEP_2)
	v_fma_f32 v7, -v5, v4, v3
	v_fma_f32 v8, -v6, v4, v3
	s_delay_alu instid0(VALU_DEP_2) | instskip(NEXT) | instid1(VALU_DEP_1)
	v_cmp_ge_f32_e64 s3, 0, v7
	v_cndmask_b32_e64 v4, v4, v5, s3
	s_delay_alu instid0(VALU_DEP_3) | instskip(NEXT) | instid1(VALU_DEP_1)
	v_cmp_lt_f32_e64 s3, 0, v8
	v_cndmask_b32_e64 v4, v4, v6, s3
	s_delay_alu instid0(VALU_DEP_1) | instskip(NEXT) | instid1(VALU_DEP_1)
	v_mul_f32_e32 v5, 0x37800000, v4
	v_cndmask_b32_e32 v4, v4, v5, vcc_lo
	v_cmp_class_f32_e64 vcc_lo, v3, 0x260
	s_delay_alu instid0(VALU_DEP_2) | instskip(NEXT) | instid1(VALU_DEP_1)
	v_cndmask_b32_e32 v4, v4, v3, vcc_lo
	v_add_f32_e32 v3, v4, v4
	s_delay_alu instid0(VALU_DEP_1) | instskip(NEXT) | instid1(VALU_DEP_1)
	v_div_scale_f32 v5, null, v3, v3, v1
	v_rcp_f32_e32 v6, v5
	s_waitcnt_depctr 0xfff
	v_fma_f32 v7, -v5, v6, 1.0
	s_delay_alu instid0(VALU_DEP_1) | instskip(SKIP_1) | instid1(VALU_DEP_1)
	v_fmac_f32_e32 v6, v7, v6
	v_div_scale_f32 v7, vcc_lo, v1, v3, v1
	v_mul_f32_e32 v8, v7, v6
	s_delay_alu instid0(VALU_DEP_1) | instskip(NEXT) | instid1(VALU_DEP_1)
	v_fma_f32 v9, -v5, v8, v7
	v_fmac_f32_e32 v8, v9, v6
	s_delay_alu instid0(VALU_DEP_1) | instskip(NEXT) | instid1(VALU_DEP_1)
	v_fma_f32 v5, -v5, v8, v7
	v_div_fmas_f32 v5, v5, v6, v8
                                        ; implicit-def: $vgpr6
	s_delay_alu instid0(VALU_DEP_1)
	v_div_fixup_f32 v5, v5, v3, v1
                                        ; implicit-def: $vgpr3
                                        ; implicit-def: $vgpr1
	s_and_not1_saveexec_b32 s35, s35
	s_cbranch_execz .LBB183_261
	s_branch .LBB183_260
.LBB183_99:
	v_mov_b32_e32 v3, v2
	v_mov_b32_e32 v1, 0
.LBB183_100:
	s_and_b32 s34, s34, 3
	s_delay_alu instid0(SALU_CYCLE_1)
	s_cmp_eq_u32 s34, 0
	s_cbranch_scc1 .LBB183_103
; %bb.101:
	s_lshl_b32 s2, s33, 3
	s_mul_i32 s20, s33, 12
	s_add_u32 s2, s2, s0
	s_addc_u32 s3, s1, 0
	s_add_u32 s2, s2, 0xc4
	s_addc_u32 s3, s3, 0
	s_add_u32 s20, s0, s20
	s_addc_u32 s21, s1, 0
	.p2align	6
.LBB183_102:                            ; =>This Inner Loop Header: Depth=1
	s_clause 0x1
	s_load_b64 s[36:37], s[20:21], 0x4
	s_load_b32 s33, s[20:21], 0xc
	s_load_b64 s[38:39], s[2:3], 0x0
	s_add_u32 s20, s20, 12
	s_addc_u32 s21, s21, 0
	s_add_u32 s2, s2, 8
	s_addc_u32 s3, s3, 0
	s_add_i32 s34, s34, -1
	s_delay_alu instid0(SALU_CYCLE_1) | instskip(SKIP_2) | instid1(VALU_DEP_1)
	s_cmp_lg_u32 s34, 0
	s_waitcnt lgkmcnt(0)
	v_mul_hi_u32 v4, s37, v3
	v_add_nc_u32_e32 v4, v3, v4
	s_delay_alu instid0(VALU_DEP_1) | instskip(NEXT) | instid1(VALU_DEP_1)
	v_lshrrev_b32_e32 v7, s33, v4
	v_mul_lo_u32 v4, v7, s36
	s_delay_alu instid0(VALU_DEP_1) | instskip(NEXT) | instid1(VALU_DEP_1)
	v_sub_nc_u32_e32 v3, v3, v4
	v_mad_u64_u32 v[4:5], null, v3, s38, v[0:1]
	v_mad_u64_u32 v[5:6], null, v3, s39, v[1:2]
	s_delay_alu instid0(VALU_DEP_2) | instskip(NEXT) | instid1(VALU_DEP_2)
	v_dual_mov_b32 v3, v7 :: v_dual_mov_b32 v0, v4
	v_mov_b32_e32 v1, v5
	s_cbranch_scc1 .LBB183_102
.LBB183_103:
	s_and_not1_b32 vcc_lo, exec_lo, s31
	s_cbranch_vccnz .LBB183_106
; %bb.104:
	s_waitcnt lgkmcnt(0)
	v_mul_hi_u32 v0, s13, v2
	s_and_not1_b32 vcc_lo, exec_lo, s26
	s_delay_alu instid0(VALU_DEP_1) | instskip(NEXT) | instid1(VALU_DEP_1)
	v_add_nc_u32_e32 v0, v2, v0
	v_lshrrev_b32_e32 v3, s14, v0
	s_delay_alu instid0(VALU_DEP_1) | instskip(NEXT) | instid1(VALU_DEP_1)
	v_mul_lo_u32 v0, v3, s12
	v_sub_nc_u32_e32 v1, v2, v0
	s_delay_alu instid0(VALU_DEP_1)
	v_mul_lo_u32 v0, v1, s8
	v_mul_lo_u32 v1, v1, s9
	s_cbranch_vccnz .LBB183_106
; %bb.105:
	v_mul_hi_u32 v4, s16, v3
	s_delay_alu instid0(VALU_DEP_1) | instskip(NEXT) | instid1(VALU_DEP_1)
	v_add_nc_u32_e32 v4, v3, v4
	v_lshrrev_b32_e32 v4, s17, v4
	s_delay_alu instid0(VALU_DEP_1) | instskip(NEXT) | instid1(VALU_DEP_1)
	v_mul_lo_u32 v4, v4, s15
	v_sub_nc_u32_e32 v6, v3, v4
	s_delay_alu instid0(VALU_DEP_1) | instskip(SKIP_1) | instid1(VALU_DEP_1)
	v_mad_u64_u32 v[3:4], null, v6, s10, v[0:1]
	v_mad_u64_u32 v[4:5], null, v6, s11, v[1:2]
	v_dual_mov_b32 v0, v3 :: v_dual_mov_b32 v1, v4
.LBB183_106:
	s_waitcnt lgkmcnt(0)
	global_load_b32 v4, v1, s[6:7]
	v_mov_b32_e32 v3, 0
	s_waitcnt vmcnt(0)
	v_lshrrev_b32_e32 v1, 16, v4
	v_cmp_neq_f16_e32 vcc_lo, 0, v4
	s_delay_alu instid0(VALU_DEP_2) | instskip(SKIP_1) | instid1(VALU_DEP_2)
	v_cmp_neq_f16_e64 s2, 0, v1
	v_cvt_f32_f16_e32 v1, v1
	s_or_b32 s2, vcc_lo, s2
	s_delay_alu instid0(SALU_CYCLE_1)
	s_and_saveexec_b32 s20, s2
	s_cbranch_execz .LBB183_330
; %bb.107:
	v_mov_b32_e32 v3, 0x7f800000
	s_mov_b32 s21, exec_lo
	v_cmpx_neq_f32_e64 0x7f800000, |v1|
	s_cbranch_execz .LBB183_329
; %bb.108:
	v_cvt_f32_f16_e32 v3, v4
	s_mov_b32 s2, exec_lo
	v_cmpx_o_f16_e32 v4, v4
	s_xor_b32 s31, exec_lo, s2
	s_cbranch_execz .LBB183_326
; %bb.109:
	s_mov_b32 s3, exec_lo
	v_cmpx_neq_f32_e64 0x7f800000, |v3|
	s_xor_b32 s33, exec_lo, s3
	s_cbranch_execz .LBB183_319
; %bb.110:
	v_max_f32_e64 v4, |v1|, |v1|
	v_max_f32_e64 v5, |v3|, |v3|
                                        ; implicit-def: $sgpr34
	s_delay_alu instid0(VALU_DEP_1) | instskip(NEXT) | instid1(VALU_DEP_1)
	v_max_f32_e32 v4, v5, v4
	v_cmp_nle_f32_e64 s2, 0x7ed413cb, v4
	s_delay_alu instid0(VALU_DEP_1) | instskip(NEXT) | instid1(SALU_CYCLE_1)
	s_and_saveexec_b32 s3, s2
	s_xor_b32 s3, exec_lo, s3
	s_cbranch_execz .LBB183_114
; %bb.111:
	v_cmp_ge_f32_e64 s34, 0x1000000, |v3|
	v_cmp_ge_f32_e64 s35, 0x1000000, |v1|
	s_delay_alu instid0(VALU_DEP_1)
	s_and_b32 s36, s34, s35
	s_mov_b32 s34, 0
	s_and_saveexec_b32 s35, s36
; %bb.112:
	v_mul_f32_e32 v1, 4.0, v1
	v_mul_f32_e32 v3, 4.0, v3
	s_mov_b32 s34, exec_lo
; %bb.113:
	s_or_b32 exec_lo, exec_lo, s35
	s_delay_alu instid0(SALU_CYCLE_1)
	s_and_b32 s34, s34, exec_lo
.LBB183_114:
	s_and_not1_saveexec_b32 s3, s3
; %bb.115:
	v_mul_f32_e32 v3, 0x3e800000, v3
	v_mul_f32_e32 v1, 0x3e800000, v1
	s_and_not1_b32 s34, s34, exec_lo
; %bb.116:
	s_or_b32 exec_lo, exec_lo, s3
	s_delay_alu instid0(VALU_DEP_1) | instskip(SKIP_1) | instid1(VALU_DEP_1)
	v_max_f32_e64 v4, |v1|, |v1|
	v_max_f32_e64 v5, |v3|, |v3|
	v_max_f32_e32 v6, v5, v4
	s_delay_alu instid0(VALU_DEP_1) | instskip(NEXT) | instid1(VALU_DEP_1)
	v_cvt_f64_f32_e32 v[4:5], v6
	v_frexp_exp_i32_f64_e32 v4, v[4:5]
	s_delay_alu instid0(VALU_DEP_1) | instskip(NEXT) | instid1(VALU_DEP_1)
	v_sub_nc_u32_e32 v5, 0, v4
	v_ldexp_f32 v7, |v1|, v5
	v_ldexp_f32 v5, |v3|, v5
	s_delay_alu instid0(VALU_DEP_2) | instskip(SKIP_1) | instid1(VALU_DEP_2)
	v_mul_f32_e32 v7, v7, v7
	v_cmp_neq_f32_e64 s3, 0x7f800000, v6
	v_fmac_f32_e32 v7, v5, v5
	s_delay_alu instid0(VALU_DEP_1) | instskip(SKIP_2) | instid1(VALU_DEP_1)
	v_sqrt_f32_e32 v5, v7
	s_waitcnt_depctr 0xfff
	v_ldexp_f32 v4, v5, v4
                                        ; implicit-def: $vgpr5
	v_cndmask_b32_e64 v6, 0x7f800000, v4, s3
                                        ; implicit-def: $vgpr4
	s_mov_b32 s3, exec_lo
	v_cmpx_le_f32_e32 0, v3
	s_xor_b32 s35, exec_lo, s3
	s_cbranch_execz .LBB183_263
; %bb.117:
	v_add_f32_e32 v3, v3, v6
	s_delay_alu instid0(VALU_DEP_1) | instskip(NEXT) | instid1(VALU_DEP_1)
	v_mul_f32_e32 v3, 0.5, v3
	v_mul_f32_e32 v4, 0x4f800000, v3
	v_cmp_gt_f32_e32 vcc_lo, 0xf800000, v3
	s_delay_alu instid0(VALU_DEP_2) | instskip(NEXT) | instid1(VALU_DEP_1)
	v_cndmask_b32_e32 v3, v3, v4, vcc_lo
	v_sqrt_f32_e32 v4, v3
	s_waitcnt_depctr 0xfff
	v_add_nc_u32_e32 v5, -1, v4
	v_add_nc_u32_e32 v6, 1, v4
	s_delay_alu instid0(VALU_DEP_2) | instskip(NEXT) | instid1(VALU_DEP_2)
	v_fma_f32 v7, -v5, v4, v3
	v_fma_f32 v8, -v6, v4, v3
	s_delay_alu instid0(VALU_DEP_2) | instskip(NEXT) | instid1(VALU_DEP_1)
	v_cmp_ge_f32_e64 s3, 0, v7
	v_cndmask_b32_e64 v4, v4, v5, s3
	s_delay_alu instid0(VALU_DEP_3) | instskip(NEXT) | instid1(VALU_DEP_1)
	v_cmp_lt_f32_e64 s3, 0, v8
	v_cndmask_b32_e64 v4, v4, v6, s3
	s_delay_alu instid0(VALU_DEP_1) | instskip(NEXT) | instid1(VALU_DEP_1)
	v_mul_f32_e32 v5, 0x37800000, v4
	v_cndmask_b32_e32 v4, v4, v5, vcc_lo
	v_cmp_class_f32_e64 vcc_lo, v3, 0x260
	s_delay_alu instid0(VALU_DEP_2) | instskip(NEXT) | instid1(VALU_DEP_1)
	v_cndmask_b32_e32 v4, v4, v3, vcc_lo
	v_add_f32_e32 v3, v4, v4
	s_delay_alu instid0(VALU_DEP_1) | instskip(NEXT) | instid1(VALU_DEP_1)
	v_div_scale_f32 v5, null, v3, v3, v1
	v_rcp_f32_e32 v6, v5
	s_waitcnt_depctr 0xfff
	v_fma_f32 v7, -v5, v6, 1.0
	s_delay_alu instid0(VALU_DEP_1) | instskip(SKIP_1) | instid1(VALU_DEP_1)
	v_fmac_f32_e32 v6, v7, v6
	v_div_scale_f32 v7, vcc_lo, v1, v3, v1
	v_mul_f32_e32 v8, v7, v6
	s_delay_alu instid0(VALU_DEP_1) | instskip(NEXT) | instid1(VALU_DEP_1)
	v_fma_f32 v9, -v5, v8, v7
	v_fmac_f32_e32 v8, v9, v6
	s_delay_alu instid0(VALU_DEP_1) | instskip(NEXT) | instid1(VALU_DEP_1)
	v_fma_f32 v5, -v5, v8, v7
	v_div_fmas_f32 v5, v5, v6, v8
                                        ; implicit-def: $vgpr6
	s_delay_alu instid0(VALU_DEP_1)
	v_div_fixup_f32 v5, v5, v3, v1
                                        ; implicit-def: $vgpr3
                                        ; implicit-def: $vgpr1
	s_and_not1_saveexec_b32 s35, s35
	s_cbranch_execz .LBB183_265
	s_branch .LBB183_264
.LBB183_118:
	s_and_not1_saveexec_b32 s11, s11
	s_cbranch_execz .LBB183_120
.LBB183_119:
	v_sub_f32_e32 v7, v11, v10
	s_delay_alu instid0(VALU_DEP_1) | instskip(NEXT) | instid1(VALU_DEP_1)
	v_mul_f32_e32 v7, 0.5, v7
	v_mul_f32_e32 v8, 0x4f800000, v7
	v_cmp_gt_f32_e32 vcc_lo, 0xf800000, v7
	s_delay_alu instid0(VALU_DEP_2) | instskip(NEXT) | instid1(VALU_DEP_1)
	v_cndmask_b32_e32 v7, v7, v8, vcc_lo
	v_sqrt_f32_e32 v8, v7
	s_waitcnt_depctr 0xfff
	v_add_nc_u32_e32 v10, -1, v8
	v_add_nc_u32_e32 v11, 1, v8
	s_delay_alu instid0(VALU_DEP_2) | instskip(NEXT) | instid1(VALU_DEP_2)
	v_fma_f32 v12, -v10, v8, v7
	v_fma_f32 v13, -v11, v8, v7
	s_delay_alu instid0(VALU_DEP_2) | instskip(NEXT) | instid1(VALU_DEP_1)
	v_cmp_ge_f32_e64 s1, 0, v12
	v_cndmask_b32_e64 v8, v8, v10, s1
	s_delay_alu instid0(VALU_DEP_3) | instskip(NEXT) | instid1(VALU_DEP_1)
	v_cmp_lt_f32_e64 s1, 0, v13
	v_cndmask_b32_e64 v8, v8, v11, s1
	s_delay_alu instid0(VALU_DEP_1) | instskip(NEXT) | instid1(VALU_DEP_1)
	v_mul_f32_e32 v10, 0x37800000, v8
	v_cndmask_b32_e32 v8, v8, v10, vcc_lo
	v_cmp_class_f32_e64 vcc_lo, v7, 0x260
	s_delay_alu instid0(VALU_DEP_2) | instskip(NEXT) | instid1(VALU_DEP_1)
	v_dual_cndmask_b32 v8, v8, v7 :: v_dual_and_b32 v7, 0x7fffffff, v9
	v_add_f32_e32 v10, v8, v8
	v_bfi_b32 v8, 0x7fffffff, v8, v9
	s_delay_alu instid0(VALU_DEP_2) | instskip(SKIP_1) | instid1(VALU_DEP_2)
	v_div_scale_f32 v11, null, v10, v10, v7
	v_div_scale_f32 v7, vcc_lo, v7, v10, v7
	v_rcp_f32_e32 v12, v11
	s_waitcnt_depctr 0xfff
	v_fma_f32 v13, -v11, v12, 1.0
	s_delay_alu instid0(VALU_DEP_1) | instskip(NEXT) | instid1(VALU_DEP_1)
	v_fmac_f32_e32 v12, v13, v12
	v_mul_f32_e32 v13, v7, v12
	s_delay_alu instid0(VALU_DEP_1) | instskip(NEXT) | instid1(VALU_DEP_1)
	v_fma_f32 v14, -v11, v13, v7
	v_fmac_f32_e32 v13, v14, v12
	s_delay_alu instid0(VALU_DEP_1) | instskip(NEXT) | instid1(VALU_DEP_1)
	v_fma_f32 v7, -v11, v13, v7
	v_div_fmas_f32 v7, v7, v12, v13
	s_delay_alu instid0(VALU_DEP_1)
	v_div_fixup_f32 v7, v7, v10, |v9|
.LBB183_120:
	s_or_b32 exec_lo, exec_lo, s11
                                        ; implicit-def: $vgpr9
                                        ; implicit-def: $vgpr10
	s_and_saveexec_b32 s1, s0
	s_delay_alu instid0(SALU_CYCLE_1)
	s_xor_b32 s0, exec_lo, s1
	s_cbranch_execz .LBB183_122
; %bb.121:
	v_mul_f32_e32 v9, 0.5, v7
	v_mul_f32_e32 v11, 0.5, v8
	s_delay_alu instid0(VALU_DEP_2) | instskip(NEXT) | instid1(VALU_DEP_2)
	v_cndmask_b32_e64 v10, v7, v9, s10
	v_cndmask_b32_e64 v9, v8, v11, s10
                                        ; implicit-def: $vgpr7
                                        ; implicit-def: $vgpr8
	s_and_not1_saveexec_b32 s0, s0
	s_cbranch_execnz .LBB183_123
	s_branch .LBB183_124
.LBB183_122:
	s_and_not1_saveexec_b32 s0, s0
.LBB183_123:
	v_dual_add_f32 v10, v7, v7 :: v_dual_add_f32 v9, v8, v8
.LBB183_124:
	s_or_b32 exec_lo, exec_lo, s0
                                        ; implicit-def: $vgpr7
.LBB183_125:
	s_and_not1_saveexec_b32 s0, s9
	s_cbranch_execz .LBB183_131
; %bb.126:
	v_cmp_lt_i16_e32 vcc_lo, -1, v7
	v_sub_f32_e32 v7, v9, v9
	s_and_saveexec_b32 s1, vcc_lo
	s_delay_alu instid0(SALU_CYCLE_1)
	s_xor_b32 s1, exec_lo, s1
; %bb.127:
	s_delay_alu instid0(VALU_DEP_1)
	v_bfi_b32 v9, 0x7fffffff, v7, v9
                                        ; implicit-def: $vgpr7
; %bb.128:
	s_and_not1_saveexec_b32 s1, s1
; %bb.129:
	v_and_b32_e32 v7, 0x7fffffff, v7
	s_delay_alu instid0(VALU_DEP_2) | instskip(NEXT) | instid1(VALU_DEP_2)
	v_bfi_b32 v9, 0x7fffffff, v10, v9
	v_mov_b32_e32 v10, v7
; %bb.130:
	s_or_b32 exec_lo, exec_lo, s1
.LBB183_131:
	s_delay_alu instid0(SALU_CYCLE_1)
	s_or_b32 exec_lo, exec_lo, s0
.LBB183_132:
	s_and_not1_saveexec_b32 s0, s8
; %bb.133:
	v_sub_f32_e32 v7, v9, v9
	s_delay_alu instid0(VALU_DEP_1) | instskip(NEXT) | instid1(VALU_DEP_1)
	v_div_scale_f32 v8, vcc_lo, v7, v7, v7
	v_rcp_f32_e32 v9, v8
	s_waitcnt_depctr 0xfff
	v_fma_f32 v11, -v8, v9, 1.0
	s_delay_alu instid0(VALU_DEP_1) | instskip(NEXT) | instid1(VALU_DEP_1)
	v_fmac_f32_e32 v9, v11, v9
	v_mul_f32_e32 v11, v8, v9
	s_delay_alu instid0(VALU_DEP_1) | instskip(NEXT) | instid1(VALU_DEP_1)
	v_fma_f32 v12, -v8, v11, v8
	v_fmac_f32_e32 v11, v12, v9
	s_delay_alu instid0(VALU_DEP_1) | instskip(NEXT) | instid1(VALU_DEP_1)
	v_fma_f32 v8, -v8, v11, v8
	v_div_fmas_f32 v8, v8, v9, v11
	s_delay_alu instid0(VALU_DEP_1)
	v_div_fixup_f32 v9, v8, v7, v7
; %bb.134:
	s_or_b32 exec_lo, exec_lo, s0
.LBB183_135:
	s_delay_alu instid0(SALU_CYCLE_1)
	s_or_b32 exec_lo, exec_lo, s3
.LBB183_136:
	s_delay_alu instid0(SALU_CYCLE_1)
	s_or_b32 exec_lo, exec_lo, s2
	v_cmp_gt_f32_e32 vcc_lo, 0, v10
                                        ; implicit-def: $vgpr8
                                        ; implicit-def: $vgpr7
	s_mov_b32 s0, exec_lo
	v_cndmask_b32_e64 v11, v10, -v10, vcc_lo
	v_cmp_gt_f32_e32 vcc_lo, 0, v9
	v_cndmask_b32_e64 v12, v9, -v9, vcc_lo
	s_delay_alu instid0(VALU_DEP_1)
	v_cmpx_ge_f32_e32 v11, v12
	s_xor_b32 s1, exec_lo, s0
	s_cbranch_execz .LBB183_142
; %bb.137:
	v_cmp_neq_f32_e32 vcc_lo, 0, v10
	v_cmp_neq_f32_e64 s0, 0, v9
                                        ; implicit-def: $vgpr8
                                        ; implicit-def: $vgpr7
	s_delay_alu instid0(VALU_DEP_1) | instskip(NEXT) | instid1(SALU_CYCLE_1)
	s_or_b32 s0, vcc_lo, s0
	s_and_saveexec_b32 s2, s0
	s_delay_alu instid0(SALU_CYCLE_1)
	s_xor_b32 s0, exec_lo, s2
	s_cbranch_execz .LBB183_139
; %bb.138:
	v_div_scale_f32 v7, null, v10, v10, v9
	v_div_scale_f32 v12, vcc_lo, v9, v10, v9
	s_delay_alu instid0(VALU_DEP_2) | instskip(SKIP_2) | instid1(VALU_DEP_1)
	v_rcp_f32_e32 v8, v7
	s_waitcnt_depctr 0xfff
	v_fma_f32 v11, -v7, v8, 1.0
	v_fmac_f32_e32 v8, v11, v8
	s_delay_alu instid0(VALU_DEP_1) | instskip(NEXT) | instid1(VALU_DEP_1)
	v_mul_f32_e32 v11, v12, v8
	v_fma_f32 v13, -v7, v11, v12
	s_delay_alu instid0(VALU_DEP_1) | instskip(NEXT) | instid1(VALU_DEP_1)
	v_fmac_f32_e32 v11, v13, v8
	v_fma_f32 v7, -v7, v11, v12
	s_delay_alu instid0(VALU_DEP_1) | instskip(NEXT) | instid1(VALU_DEP_1)
	v_div_fmas_f32 v7, v7, v8, v11
	v_div_fixup_f32 v8, v7, v10, v9
	s_delay_alu instid0(VALU_DEP_1) | instskip(NEXT) | instid1(VALU_DEP_1)
	v_fmac_f32_e32 v10, v9, v8
	v_div_scale_f32 v7, null, v10, v10, 1.0
	s_delay_alu instid0(VALU_DEP_1) | instskip(SKIP_2) | instid1(VALU_DEP_1)
	v_rcp_f32_e32 v9, v7
	s_waitcnt_depctr 0xfff
	v_fma_f32 v11, -v7, v9, 1.0
	v_fmac_f32_e32 v9, v11, v9
	v_div_scale_f32 v12, vcc_lo, 1.0, v10, 1.0
	s_delay_alu instid0(VALU_DEP_1) | instskip(NEXT) | instid1(VALU_DEP_1)
	v_mul_f32_e32 v11, v12, v9
	v_fma_f32 v13, -v7, v11, v12
	s_delay_alu instid0(VALU_DEP_1) | instskip(NEXT) | instid1(VALU_DEP_1)
	v_fmac_f32_e32 v11, v13, v9
	v_fma_f32 v7, -v7, v11, v12
                                        ; implicit-def: $vgpr12
	s_delay_alu instid0(VALU_DEP_1) | instskip(SKIP_1) | instid1(VALU_DEP_2)
	v_div_fmas_f32 v7, v7, v9, v11
	v_fma_f32 v9, v8, 0, 1.0
                                        ; implicit-def: $vgpr11
	v_div_fixup_f32 v10, v7, v10, 1.0
	s_delay_alu instid0(VALU_DEP_1)
	v_mul_f32_e32 v7, v9, v10
	v_mul_f32_e64 v8, -v8, v10
.LBB183_139:
	s_and_not1_saveexec_b32 s2, s0
	s_cbranch_execz .LBB183_141
; %bb.140:
	v_div_scale_f32 v7, null, v11, v11, 1.0
	v_div_scale_f32 v8, null, v12, v12, 0
	v_div_scale_f32 v15, vcc_lo, 1.0, v11, 1.0
	s_delay_alu instid0(VALU_DEP_3) | instskip(NEXT) | instid1(VALU_DEP_2)
	v_rcp_f32_e32 v9, v7
	v_rcp_f32_e32 v10, v8
	s_waitcnt_depctr 0xfff
	v_fma_f32 v13, -v7, v9, 1.0
	v_fma_f32 v14, -v8, v10, 1.0
	s_delay_alu instid0(VALU_DEP_1) | instskip(SKIP_1) | instid1(VALU_DEP_2)
	v_dual_fmac_f32 v9, v13, v9 :: v_dual_fmac_f32 v10, v14, v10
	v_div_scale_f32 v13, s0, 0, v12, 0
	v_mul_f32_e32 v14, v15, v9
	s_delay_alu instid0(VALU_DEP_2) | instskip(NEXT) | instid1(VALU_DEP_2)
	v_mul_f32_e32 v16, v13, v10
	v_fma_f32 v17, -v7, v14, v15
	s_delay_alu instid0(VALU_DEP_2) | instskip(NEXT) | instid1(VALU_DEP_2)
	v_fma_f32 v18, -v8, v16, v13
	v_fmac_f32_e32 v14, v17, v9
	s_delay_alu instid0(VALU_DEP_2) | instskip(NEXT) | instid1(VALU_DEP_2)
	v_fmac_f32_e32 v16, v18, v10
	v_fma_f32 v7, -v7, v14, v15
	s_delay_alu instid0(VALU_DEP_2) | instskip(NEXT) | instid1(VALU_DEP_2)
	v_fma_f32 v8, -v8, v16, v13
	v_div_fmas_f32 v7, v7, v9, v14
	s_mov_b32 vcc_lo, s0
	s_delay_alu instid0(VALU_DEP_2) | instskip(NEXT) | instid1(VALU_DEP_2)
	v_div_fmas_f32 v8, v8, v10, v16
	v_div_fixup_f32 v7, v7, v11, 1.0
	s_delay_alu instid0(VALU_DEP_2)
	v_div_fixup_f32 v8, v8, v12, 0
.LBB183_141:
	s_or_b32 exec_lo, exec_lo, s2
                                        ; implicit-def: $vgpr9
                                        ; implicit-def: $vgpr10
.LBB183_142:
	s_and_not1_saveexec_b32 s0, s1
	s_cbranch_execz .LBB183_144
; %bb.143:
	v_div_scale_f32 v7, null, v9, v9, v10
	v_div_scale_f32 v12, vcc_lo, v10, v9, v10
	s_delay_alu instid0(VALU_DEP_2) | instskip(SKIP_2) | instid1(VALU_DEP_1)
	v_rcp_f32_e32 v8, v7
	s_waitcnt_depctr 0xfff
	v_fma_f32 v11, -v7, v8, 1.0
	v_fmac_f32_e32 v8, v11, v8
	s_delay_alu instid0(VALU_DEP_1) | instskip(NEXT) | instid1(VALU_DEP_1)
	v_mul_f32_e32 v11, v12, v8
	v_fma_f32 v13, -v7, v11, v12
	s_delay_alu instid0(VALU_DEP_1) | instskip(NEXT) | instid1(VALU_DEP_1)
	v_fmac_f32_e32 v11, v13, v8
	v_fma_f32 v7, -v7, v11, v12
	s_delay_alu instid0(VALU_DEP_1) | instskip(NEXT) | instid1(VALU_DEP_1)
	v_div_fmas_f32 v7, v7, v8, v11
	v_div_fixup_f32 v7, v7, v9, v10
	s_delay_alu instid0(VALU_DEP_1) | instskip(NEXT) | instid1(VALU_DEP_1)
	v_fmac_f32_e32 v9, v10, v7
	v_div_scale_f32 v8, null, v9, v9, 1.0
	v_div_scale_f32 v12, vcc_lo, 1.0, v9, 1.0
	s_delay_alu instid0(VALU_DEP_2) | instskip(SKIP_2) | instid1(VALU_DEP_1)
	v_rcp_f32_e32 v10, v8
	s_waitcnt_depctr 0xfff
	v_fma_f32 v11, -v8, v10, 1.0
	v_fmac_f32_e32 v10, v11, v10
	s_delay_alu instid0(VALU_DEP_1) | instskip(NEXT) | instid1(VALU_DEP_1)
	v_mul_f32_e32 v11, v12, v10
	v_fma_f32 v13, -v8, v11, v12
	s_delay_alu instid0(VALU_DEP_1) | instskip(NEXT) | instid1(VALU_DEP_1)
	v_fmac_f32_e32 v11, v13, v10
	v_fma_f32 v8, -v8, v11, v12
	s_delay_alu instid0(VALU_DEP_1) | instskip(SKIP_1) | instid1(VALU_DEP_2)
	v_div_fmas_f32 v8, v8, v10, v11
	v_add_f32_e32 v10, 0, v7
	v_div_fixup_f32 v8, v8, v9, 1.0
	v_fma_f32 v9, v7, 0, -1.0
	s_delay_alu instid0(VALU_DEP_2) | instskip(NEXT) | instid1(VALU_DEP_2)
	v_mul_f32_e32 v7, v10, v8
	v_mul_f32_e32 v8, v9, v8
.LBB183_144:
	s_or_b32 exec_lo, exec_lo, s0
	global_load_b32 v6, v6, s[6:7]
	v_mov_b32_e32 v11, 0
	s_waitcnt vmcnt(0)
	v_lshrrev_b32_e32 v9, 16, v6
	v_cmp_neq_f16_e32 vcc_lo, 0, v6
	s_delay_alu instid0(VALU_DEP_2) | instskip(SKIP_1) | instid1(VALU_DEP_2)
	v_cmp_neq_f16_e64 s0, 0, v9
	v_cvt_f32_f16_e32 v10, v9
	s_or_b32 s0, vcc_lo, s0
	s_delay_alu instid0(SALU_CYCLE_1)
	s_and_saveexec_b32 s2, s0
	s_cbranch_execz .LBB183_174
; %bb.145:
	v_mov_b32_e32 v11, 0x7f800000
	s_mov_b32 s3, exec_lo
	v_cmpx_neq_f32_e64 0x7f800000, |v10|
	s_cbranch_execz .LBB183_173
; %bb.146:
	v_cvt_f32_f16_e32 v11, v6
	s_mov_b32 s0, exec_lo
	v_cmpx_o_f16_e32 v6, v6
	s_xor_b32 s8, exec_lo, s0
	s_cbranch_execz .LBB183_170
; %bb.147:
	s_mov_b32 s1, exec_lo
	v_cmpx_neq_f32_e64 0x7f800000, |v11|
	s_xor_b32 s9, exec_lo, s1
	s_cbranch_execz .LBB183_163
; %bb.148:
	v_max_f32_e64 v6, |v10|, |v10|
	v_max_f32_e64 v9, |v11|, |v11|
                                        ; implicit-def: $sgpr10
	s_delay_alu instid0(VALU_DEP_1) | instskip(NEXT) | instid1(VALU_DEP_1)
	v_max_f32_e32 v6, v9, v6
	v_cmp_nle_f32_e64 s0, 0x7ed413cb, v6
	s_delay_alu instid0(VALU_DEP_1) | instskip(NEXT) | instid1(SALU_CYCLE_1)
	s_and_saveexec_b32 s1, s0
	s_xor_b32 s1, exec_lo, s1
	s_cbranch_execz .LBB183_152
; %bb.149:
	v_cmp_ge_f32_e64 s10, 0x1000000, |v11|
	v_cmp_ge_f32_e64 s11, 0x1000000, |v10|
	s_delay_alu instid0(VALU_DEP_1)
	s_and_b32 s12, s10, s11
	s_mov_b32 s10, 0
	s_and_saveexec_b32 s11, s12
; %bb.150:
	v_dual_mul_f32 v10, 4.0, v10 :: v_dual_mul_f32 v11, 4.0, v11
	s_mov_b32 s10, exec_lo
; %bb.151:
	s_or_b32 exec_lo, exec_lo, s11
	s_delay_alu instid0(SALU_CYCLE_1)
	s_and_b32 s10, s10, exec_lo
.LBB183_152:
	s_and_not1_saveexec_b32 s1, s1
; %bb.153:
	v_dual_mul_f32 v11, 0x3e800000, v11 :: v_dual_mul_f32 v10, 0x3e800000, v10
	s_and_not1_b32 s10, s10, exec_lo
; %bb.154:
	s_or_b32 exec_lo, exec_lo, s1
	s_delay_alu instid0(VALU_DEP_1) | instskip(NEXT) | instid1(VALU_DEP_2)
	v_max_f32_e64 v6, |v10|, |v10|
	v_max_f32_e64 v9, |v11|, |v11|
	s_delay_alu instid0(VALU_DEP_1) | instskip(NEXT) | instid1(VALU_DEP_1)
	v_max_f32_e32 v6, v9, v6
	v_cvt_f64_f32_e32 v[12:13], v6
	s_delay_alu instid0(VALU_DEP_1) | instskip(NEXT) | instid1(VALU_DEP_1)
	v_frexp_exp_i32_f64_e32 v9, v[12:13]
	v_sub_nc_u32_e32 v12, 0, v9
	s_delay_alu instid0(VALU_DEP_1) | instskip(SKIP_1) | instid1(VALU_DEP_2)
	v_ldexp_f32 v13, |v10|, v12
	v_ldexp_f32 v12, |v11|, v12
	v_mul_f32_e32 v13, v13, v13
	s_delay_alu instid0(VALU_DEP_1) | instskip(SKIP_1) | instid1(VALU_DEP_2)
	v_fmac_f32_e32 v13, v12, v12
	v_cmp_neq_f32_e64 s1, 0x7f800000, v6
                                        ; implicit-def: $vgpr6
	v_sqrt_f32_e32 v12, v13
	s_waitcnt_depctr 0xfff
	v_ldexp_f32 v9, v12, v9
	s_delay_alu instid0(VALU_DEP_1)
	v_cndmask_b32_e64 v12, 0x7f800000, v9, s1
                                        ; implicit-def: $vgpr9
	s_mov_b32 s1, exec_lo
	v_cmpx_le_f32_e32 0, v11
	s_xor_b32 s11, exec_lo, s1
	s_cbranch_execz .LBB183_156
; %bb.155:
	v_add_f32_e32 v6, v11, v12
	s_delay_alu instid0(VALU_DEP_1) | instskip(NEXT) | instid1(VALU_DEP_1)
	v_mul_f32_e32 v6, 0.5, v6
	v_mul_f32_e32 v9, 0x4f800000, v6
	v_cmp_gt_f32_e32 vcc_lo, 0xf800000, v6
	s_delay_alu instid0(VALU_DEP_2) | instskip(NEXT) | instid1(VALU_DEP_1)
	v_cndmask_b32_e32 v6, v6, v9, vcc_lo
	v_sqrt_f32_e32 v9, v6
	s_waitcnt_depctr 0xfff
	v_add_nc_u32_e32 v11, -1, v9
	v_add_nc_u32_e32 v12, 1, v9
	s_delay_alu instid0(VALU_DEP_2) | instskip(NEXT) | instid1(VALU_DEP_2)
	v_fma_f32 v13, -v11, v9, v6
	v_fma_f32 v14, -v12, v9, v6
	s_delay_alu instid0(VALU_DEP_2) | instskip(NEXT) | instid1(VALU_DEP_1)
	v_cmp_ge_f32_e64 s1, 0, v13
	v_cndmask_b32_e64 v9, v9, v11, s1
	s_delay_alu instid0(VALU_DEP_3) | instskip(NEXT) | instid1(VALU_DEP_1)
	v_cmp_lt_f32_e64 s1, 0, v14
	v_cndmask_b32_e64 v9, v9, v12, s1
	s_delay_alu instid0(VALU_DEP_1) | instskip(NEXT) | instid1(VALU_DEP_1)
	v_mul_f32_e32 v11, 0x37800000, v9
	v_cndmask_b32_e32 v9, v9, v11, vcc_lo
	v_cmp_class_f32_e64 vcc_lo, v6, 0x260
	s_delay_alu instid0(VALU_DEP_2) | instskip(NEXT) | instid1(VALU_DEP_1)
	v_cndmask_b32_e32 v6, v9, v6, vcc_lo
	v_add_f32_e32 v9, v6, v6
	s_delay_alu instid0(VALU_DEP_1) | instskip(NEXT) | instid1(VALU_DEP_1)
	v_div_scale_f32 v11, null, v9, v9, v10
	v_rcp_f32_e32 v12, v11
	s_waitcnt_depctr 0xfff
	v_fma_f32 v13, -v11, v12, 1.0
	s_delay_alu instid0(VALU_DEP_1) | instskip(SKIP_1) | instid1(VALU_DEP_1)
	v_fmac_f32_e32 v12, v13, v12
	v_div_scale_f32 v13, vcc_lo, v10, v9, v10
	v_mul_f32_e32 v14, v13, v12
	s_delay_alu instid0(VALU_DEP_1) | instskip(NEXT) | instid1(VALU_DEP_1)
	v_fma_f32 v15, -v11, v14, v13
	v_fmac_f32_e32 v14, v15, v12
	s_delay_alu instid0(VALU_DEP_1) | instskip(NEXT) | instid1(VALU_DEP_1)
	v_fma_f32 v11, -v11, v14, v13
	v_div_fmas_f32 v11, v11, v12, v14
                                        ; implicit-def: $vgpr12
	s_delay_alu instid0(VALU_DEP_1)
	v_div_fixup_f32 v9, v11, v9, v10
                                        ; implicit-def: $vgpr11
                                        ; implicit-def: $vgpr10
	s_and_not1_saveexec_b32 s11, s11
	s_cbranch_execz .LBB183_158
	s_branch .LBB183_157
.LBB183_156:
	s_and_not1_saveexec_b32 s11, s11
	s_cbranch_execz .LBB183_158
.LBB183_157:
	v_sub_f32_e32 v6, v12, v11
	s_delay_alu instid0(VALU_DEP_1) | instskip(NEXT) | instid1(VALU_DEP_1)
	v_mul_f32_e32 v6, 0.5, v6
	v_mul_f32_e32 v9, 0x4f800000, v6
	v_cmp_gt_f32_e32 vcc_lo, 0xf800000, v6
	s_delay_alu instid0(VALU_DEP_2) | instskip(NEXT) | instid1(VALU_DEP_1)
	v_cndmask_b32_e32 v6, v6, v9, vcc_lo
	v_sqrt_f32_e32 v9, v6
	s_waitcnt_depctr 0xfff
	v_add_nc_u32_e32 v11, -1, v9
	v_add_nc_u32_e32 v12, 1, v9
	s_delay_alu instid0(VALU_DEP_2) | instskip(NEXT) | instid1(VALU_DEP_2)
	v_fma_f32 v13, -v11, v9, v6
	v_fma_f32 v14, -v12, v9, v6
	s_delay_alu instid0(VALU_DEP_2) | instskip(NEXT) | instid1(VALU_DEP_1)
	v_cmp_ge_f32_e64 s1, 0, v13
	v_cndmask_b32_e64 v9, v9, v11, s1
	s_delay_alu instid0(VALU_DEP_3) | instskip(NEXT) | instid1(VALU_DEP_1)
	v_cmp_lt_f32_e64 s1, 0, v14
	v_cndmask_b32_e64 v9, v9, v12, s1
	s_delay_alu instid0(VALU_DEP_1) | instskip(NEXT) | instid1(VALU_DEP_1)
	v_mul_f32_e32 v11, 0x37800000, v9
	v_cndmask_b32_e32 v9, v9, v11, vcc_lo
	v_cmp_class_f32_e64 vcc_lo, v6, 0x260
	s_delay_alu instid0(VALU_DEP_2) | instskip(NEXT) | instid1(VALU_DEP_1)
	v_cndmask_b32_e32 v9, v9, v6, vcc_lo
	v_dual_add_f32 v11, v9, v9 :: v_dual_and_b32 v6, 0x7fffffff, v10
	v_bfi_b32 v9, 0x7fffffff, v9, v10
	s_delay_alu instid0(VALU_DEP_2) | instskip(SKIP_1) | instid1(VALU_DEP_2)
	v_div_scale_f32 v12, null, v11, v11, v6
	v_div_scale_f32 v6, vcc_lo, v6, v11, v6
	v_rcp_f32_e32 v13, v12
	s_waitcnt_depctr 0xfff
	v_fma_f32 v14, -v12, v13, 1.0
	s_delay_alu instid0(VALU_DEP_1) | instskip(NEXT) | instid1(VALU_DEP_1)
	v_fmac_f32_e32 v13, v14, v13
	v_mul_f32_e32 v14, v6, v13
	s_delay_alu instid0(VALU_DEP_1) | instskip(NEXT) | instid1(VALU_DEP_1)
	v_fma_f32 v15, -v12, v14, v6
	v_fmac_f32_e32 v14, v15, v13
	s_delay_alu instid0(VALU_DEP_1) | instskip(NEXT) | instid1(VALU_DEP_1)
	v_fma_f32 v6, -v12, v14, v6
	v_div_fmas_f32 v6, v6, v13, v14
	s_delay_alu instid0(VALU_DEP_1)
	v_div_fixup_f32 v6, v6, v11, |v10|
.LBB183_158:
	s_or_b32 exec_lo, exec_lo, s11
                                        ; implicit-def: $vgpr10
                                        ; implicit-def: $vgpr11
	s_and_saveexec_b32 s1, s0
	s_delay_alu instid0(SALU_CYCLE_1)
	s_xor_b32 s0, exec_lo, s1
	s_cbranch_execz .LBB183_160
; %bb.159:
	v_mul_f32_e32 v10, 0.5, v6
	v_mul_f32_e32 v12, 0.5, v9
	s_delay_alu instid0(VALU_DEP_2) | instskip(NEXT) | instid1(VALU_DEP_2)
	v_cndmask_b32_e64 v11, v6, v10, s10
	v_cndmask_b32_e64 v10, v9, v12, s10
                                        ; implicit-def: $vgpr6
                                        ; implicit-def: $vgpr9
	s_and_not1_saveexec_b32 s0, s0
	s_cbranch_execnz .LBB183_161
	s_branch .LBB183_162
.LBB183_160:
	s_and_not1_saveexec_b32 s0, s0
.LBB183_161:
	v_dual_add_f32 v11, v6, v6 :: v_dual_add_f32 v10, v9, v9
.LBB183_162:
	s_or_b32 exec_lo, exec_lo, s0
                                        ; implicit-def: $vgpr6
.LBB183_163:
	s_and_not1_saveexec_b32 s0, s9
	s_cbranch_execz .LBB183_169
; %bb.164:
	v_cmp_lt_i16_e32 vcc_lo, -1, v6
	v_sub_f32_e32 v6, v10, v10
	s_and_saveexec_b32 s1, vcc_lo
	s_delay_alu instid0(SALU_CYCLE_1)
	s_xor_b32 s1, exec_lo, s1
; %bb.165:
	s_delay_alu instid0(VALU_DEP_1)
	v_bfi_b32 v10, 0x7fffffff, v6, v10
                                        ; implicit-def: $vgpr6
; %bb.166:
	s_and_not1_saveexec_b32 s1, s1
; %bb.167:
	v_and_b32_e32 v6, 0x7fffffff, v6
	s_delay_alu instid0(VALU_DEP_2) | instskip(NEXT) | instid1(VALU_DEP_2)
	v_bfi_b32 v10, 0x7fffffff, v11, v10
	v_mov_b32_e32 v11, v6
; %bb.168:
	s_or_b32 exec_lo, exec_lo, s1
.LBB183_169:
	s_delay_alu instid0(SALU_CYCLE_1)
	s_or_b32 exec_lo, exec_lo, s0
.LBB183_170:
	s_and_not1_saveexec_b32 s0, s8
; %bb.171:
	v_sub_f32_e32 v6, v10, v10
	s_delay_alu instid0(VALU_DEP_1) | instskip(NEXT) | instid1(VALU_DEP_1)
	v_div_scale_f32 v9, vcc_lo, v6, v6, v6
	v_rcp_f32_e32 v10, v9
	s_waitcnt_depctr 0xfff
	v_fma_f32 v12, -v9, v10, 1.0
	s_delay_alu instid0(VALU_DEP_1) | instskip(NEXT) | instid1(VALU_DEP_1)
	v_fmac_f32_e32 v10, v12, v10
	v_mul_f32_e32 v12, v9, v10
	s_delay_alu instid0(VALU_DEP_1) | instskip(NEXT) | instid1(VALU_DEP_1)
	v_fma_f32 v13, -v9, v12, v9
	v_fmac_f32_e32 v12, v13, v10
	s_delay_alu instid0(VALU_DEP_1) | instskip(NEXT) | instid1(VALU_DEP_1)
	v_fma_f32 v9, -v9, v12, v9
	v_div_fmas_f32 v9, v9, v10, v12
	s_delay_alu instid0(VALU_DEP_1)
	v_div_fixup_f32 v10, v9, v6, v6
; %bb.172:
	s_or_b32 exec_lo, exec_lo, s0
.LBB183_173:
	s_delay_alu instid0(SALU_CYCLE_1)
	s_or_b32 exec_lo, exec_lo, s3
.LBB183_174:
	s_delay_alu instid0(SALU_CYCLE_1)
	s_or_b32 exec_lo, exec_lo, s2
	v_cmp_gt_f32_e32 vcc_lo, 0, v11
                                        ; implicit-def: $vgpr9
                                        ; implicit-def: $vgpr6
	s_mov_b32 s0, exec_lo
	v_cndmask_b32_e64 v12, v11, -v11, vcc_lo
	v_cmp_gt_f32_e32 vcc_lo, 0, v10
	v_cndmask_b32_e64 v13, v10, -v10, vcc_lo
	s_delay_alu instid0(VALU_DEP_1)
	v_cmpx_ge_f32_e32 v12, v13
	s_xor_b32 s1, exec_lo, s0
	s_cbranch_execz .LBB183_180
; %bb.175:
	v_cmp_neq_f32_e32 vcc_lo, 0, v11
	v_cmp_neq_f32_e64 s0, 0, v10
                                        ; implicit-def: $vgpr9
                                        ; implicit-def: $vgpr6
	s_delay_alu instid0(VALU_DEP_1) | instskip(NEXT) | instid1(SALU_CYCLE_1)
	s_or_b32 s0, vcc_lo, s0
	s_and_saveexec_b32 s2, s0
	s_delay_alu instid0(SALU_CYCLE_1)
	s_xor_b32 s0, exec_lo, s2
	s_cbranch_execz .LBB183_177
; %bb.176:
	v_div_scale_f32 v6, null, v11, v11, v10
	v_div_scale_f32 v13, vcc_lo, v10, v11, v10
	s_delay_alu instid0(VALU_DEP_2) | instskip(SKIP_2) | instid1(VALU_DEP_1)
	v_rcp_f32_e32 v9, v6
	s_waitcnt_depctr 0xfff
	v_fma_f32 v12, -v6, v9, 1.0
	v_fmac_f32_e32 v9, v12, v9
	s_delay_alu instid0(VALU_DEP_1) | instskip(NEXT) | instid1(VALU_DEP_1)
	v_mul_f32_e32 v12, v13, v9
	v_fma_f32 v14, -v6, v12, v13
	s_delay_alu instid0(VALU_DEP_1) | instskip(NEXT) | instid1(VALU_DEP_1)
	v_fmac_f32_e32 v12, v14, v9
	v_fma_f32 v6, -v6, v12, v13
	s_delay_alu instid0(VALU_DEP_1) | instskip(NEXT) | instid1(VALU_DEP_1)
	v_div_fmas_f32 v6, v6, v9, v12
	v_div_fixup_f32 v9, v6, v11, v10
	s_delay_alu instid0(VALU_DEP_1) | instskip(NEXT) | instid1(VALU_DEP_1)
	v_fmac_f32_e32 v11, v10, v9
	v_div_scale_f32 v6, null, v11, v11, 1.0
	s_delay_alu instid0(VALU_DEP_1) | instskip(SKIP_2) | instid1(VALU_DEP_1)
	v_rcp_f32_e32 v10, v6
	s_waitcnt_depctr 0xfff
	v_fma_f32 v12, -v6, v10, 1.0
	v_fmac_f32_e32 v10, v12, v10
	v_div_scale_f32 v13, vcc_lo, 1.0, v11, 1.0
	s_delay_alu instid0(VALU_DEP_1) | instskip(NEXT) | instid1(VALU_DEP_1)
	v_mul_f32_e32 v12, v13, v10
	v_fma_f32 v14, -v6, v12, v13
	s_delay_alu instid0(VALU_DEP_1) | instskip(NEXT) | instid1(VALU_DEP_1)
	v_fmac_f32_e32 v12, v14, v10
	v_fma_f32 v6, -v6, v12, v13
                                        ; implicit-def: $vgpr13
	s_delay_alu instid0(VALU_DEP_1) | instskip(SKIP_1) | instid1(VALU_DEP_2)
	v_div_fmas_f32 v6, v6, v10, v12
	v_fma_f32 v10, v9, 0, 1.0
                                        ; implicit-def: $vgpr12
	v_div_fixup_f32 v11, v6, v11, 1.0
	s_delay_alu instid0(VALU_DEP_1)
	v_mul_f32_e32 v6, v10, v11
	v_mul_f32_e64 v9, -v9, v11
.LBB183_177:
	s_and_not1_saveexec_b32 s2, s0
	s_cbranch_execz .LBB183_179
; %bb.178:
	v_div_scale_f32 v6, null, v12, v12, 1.0
	v_div_scale_f32 v9, null, v13, v13, 0
	v_div_scale_f32 v16, vcc_lo, 1.0, v12, 1.0
	s_delay_alu instid0(VALU_DEP_3) | instskip(NEXT) | instid1(VALU_DEP_2)
	v_rcp_f32_e32 v10, v6
	v_rcp_f32_e32 v11, v9
	s_waitcnt_depctr 0xfff
	v_fma_f32 v14, -v6, v10, 1.0
	v_fma_f32 v15, -v9, v11, 1.0
	s_delay_alu instid0(VALU_DEP_1) | instskip(SKIP_1) | instid1(VALU_DEP_2)
	v_dual_fmac_f32 v10, v14, v10 :: v_dual_fmac_f32 v11, v15, v11
	v_div_scale_f32 v14, s0, 0, v13, 0
	v_mul_f32_e32 v15, v16, v10
	s_delay_alu instid0(VALU_DEP_2) | instskip(NEXT) | instid1(VALU_DEP_2)
	v_mul_f32_e32 v17, v14, v11
	v_fma_f32 v18, -v6, v15, v16
	s_delay_alu instid0(VALU_DEP_2) | instskip(NEXT) | instid1(VALU_DEP_2)
	v_fma_f32 v19, -v9, v17, v14
	v_fmac_f32_e32 v15, v18, v10
	s_delay_alu instid0(VALU_DEP_2) | instskip(NEXT) | instid1(VALU_DEP_2)
	v_fmac_f32_e32 v17, v19, v11
	v_fma_f32 v6, -v6, v15, v16
	s_delay_alu instid0(VALU_DEP_2) | instskip(NEXT) | instid1(VALU_DEP_2)
	v_fma_f32 v9, -v9, v17, v14
	v_div_fmas_f32 v6, v6, v10, v15
	s_mov_b32 vcc_lo, s0
	s_delay_alu instid0(VALU_DEP_2) | instskip(NEXT) | instid1(VALU_DEP_2)
	v_div_fmas_f32 v9, v9, v11, v17
	v_div_fixup_f32 v6, v6, v12, 1.0
	s_delay_alu instid0(VALU_DEP_2)
	v_div_fixup_f32 v9, v9, v13, 0
.LBB183_179:
	s_or_b32 exec_lo, exec_lo, s2
                                        ; implicit-def: $vgpr10
                                        ; implicit-def: $vgpr11
.LBB183_180:
	s_and_not1_saveexec_b32 s0, s1
	s_cbranch_execz .LBB183_182
; %bb.181:
	v_div_scale_f32 v6, null, v10, v10, v11
	v_div_scale_f32 v13, vcc_lo, v11, v10, v11
	s_delay_alu instid0(VALU_DEP_2) | instskip(SKIP_2) | instid1(VALU_DEP_1)
	v_rcp_f32_e32 v9, v6
	s_waitcnt_depctr 0xfff
	v_fma_f32 v12, -v6, v9, 1.0
	v_fmac_f32_e32 v9, v12, v9
	s_delay_alu instid0(VALU_DEP_1) | instskip(NEXT) | instid1(VALU_DEP_1)
	v_mul_f32_e32 v12, v13, v9
	v_fma_f32 v14, -v6, v12, v13
	s_delay_alu instid0(VALU_DEP_1) | instskip(NEXT) | instid1(VALU_DEP_1)
	v_fmac_f32_e32 v12, v14, v9
	v_fma_f32 v6, -v6, v12, v13
	s_delay_alu instid0(VALU_DEP_1) | instskip(NEXT) | instid1(VALU_DEP_1)
	v_div_fmas_f32 v6, v6, v9, v12
	v_div_fixup_f32 v6, v6, v10, v11
	s_delay_alu instid0(VALU_DEP_1) | instskip(NEXT) | instid1(VALU_DEP_1)
	v_fmac_f32_e32 v10, v11, v6
	v_div_scale_f32 v9, null, v10, v10, 1.0
	v_div_scale_f32 v13, vcc_lo, 1.0, v10, 1.0
	s_delay_alu instid0(VALU_DEP_2) | instskip(SKIP_2) | instid1(VALU_DEP_1)
	v_rcp_f32_e32 v11, v9
	s_waitcnt_depctr 0xfff
	v_fma_f32 v12, -v9, v11, 1.0
	v_fmac_f32_e32 v11, v12, v11
	s_delay_alu instid0(VALU_DEP_1) | instskip(NEXT) | instid1(VALU_DEP_1)
	v_mul_f32_e32 v12, v13, v11
	v_fma_f32 v14, -v9, v12, v13
	s_delay_alu instid0(VALU_DEP_1) | instskip(NEXT) | instid1(VALU_DEP_1)
	v_fmac_f32_e32 v12, v14, v11
	v_fma_f32 v9, -v9, v12, v13
	s_delay_alu instid0(VALU_DEP_1) | instskip(SKIP_1) | instid1(VALU_DEP_2)
	v_div_fmas_f32 v9, v9, v11, v12
	v_add_f32_e32 v11, 0, v6
	v_div_fixup_f32 v9, v9, v10, 1.0
	v_fma_f32 v10, v6, 0, -1.0
	s_delay_alu instid0(VALU_DEP_2) | instskip(NEXT) | instid1(VALU_DEP_2)
	v_mul_f32_e32 v6, v11, v9
	v_mul_f32_e32 v9, v10, v9
.LBB183_182:
	s_or_b32 exec_lo, exec_lo, s0
	global_load_b32 v5, v5, s[6:7]
	v_mov_b32_e32 v12, 0
	s_waitcnt vmcnt(0)
	v_lshrrev_b32_e32 v10, 16, v5
	v_cmp_neq_f16_e32 vcc_lo, 0, v5
	s_delay_alu instid0(VALU_DEP_2) | instskip(SKIP_1) | instid1(VALU_DEP_2)
	v_cmp_neq_f16_e64 s0, 0, v10
	v_cvt_f32_f16_e32 v11, v10
	s_or_b32 s0, vcc_lo, s0
	s_delay_alu instid0(SALU_CYCLE_1)
	s_and_saveexec_b32 s2, s0
	s_cbranch_execz .LBB183_212
; %bb.183:
	v_mov_b32_e32 v12, 0x7f800000
	s_mov_b32 s3, exec_lo
	v_cmpx_neq_f32_e64 0x7f800000, |v11|
	s_cbranch_execz .LBB183_211
; %bb.184:
	v_cvt_f32_f16_e32 v12, v5
	s_mov_b32 s0, exec_lo
	v_cmpx_o_f16_e32 v5, v5
	s_xor_b32 s8, exec_lo, s0
	s_cbranch_execz .LBB183_208
; %bb.185:
	s_mov_b32 s1, exec_lo
	v_cmpx_neq_f32_e64 0x7f800000, |v12|
	s_xor_b32 s9, exec_lo, s1
	s_cbranch_execz .LBB183_201
; %bb.186:
	v_max_f32_e64 v5, |v11|, |v11|
	v_max_f32_e64 v10, |v12|, |v12|
                                        ; implicit-def: $sgpr10
	s_delay_alu instid0(VALU_DEP_1) | instskip(NEXT) | instid1(VALU_DEP_1)
	v_max_f32_e32 v5, v10, v5
	v_cmp_nle_f32_e64 s0, 0x7ed413cb, v5
	s_delay_alu instid0(VALU_DEP_1) | instskip(NEXT) | instid1(SALU_CYCLE_1)
	s_and_saveexec_b32 s1, s0
	s_xor_b32 s1, exec_lo, s1
	s_cbranch_execz .LBB183_190
; %bb.187:
	v_cmp_ge_f32_e64 s10, 0x1000000, |v12|
	v_cmp_ge_f32_e64 s11, 0x1000000, |v11|
	s_delay_alu instid0(VALU_DEP_1)
	s_and_b32 s12, s10, s11
	s_mov_b32 s10, 0
	s_and_saveexec_b32 s11, s12
; %bb.188:
	v_dual_mul_f32 v11, 4.0, v11 :: v_dual_mul_f32 v12, 4.0, v12
	s_mov_b32 s10, exec_lo
; %bb.189:
	s_or_b32 exec_lo, exec_lo, s11
	s_delay_alu instid0(SALU_CYCLE_1)
	s_and_b32 s10, s10, exec_lo
.LBB183_190:
	s_and_not1_saveexec_b32 s1, s1
; %bb.191:
	v_dual_mul_f32 v12, 0x3e800000, v12 :: v_dual_mul_f32 v11, 0x3e800000, v11
	s_and_not1_b32 s10, s10, exec_lo
; %bb.192:
	s_or_b32 exec_lo, exec_lo, s1
	s_delay_alu instid0(VALU_DEP_1) | instskip(NEXT) | instid1(VALU_DEP_2)
	v_max_f32_e64 v5, |v11|, |v11|
	v_max_f32_e64 v10, |v12|, |v12|
	s_delay_alu instid0(VALU_DEP_1) | instskip(NEXT) | instid1(VALU_DEP_1)
	v_max_f32_e32 v5, v10, v5
	v_cvt_f64_f32_e32 v[13:14], v5
	v_cmp_neq_f32_e64 s1, 0x7f800000, v5
                                        ; implicit-def: $vgpr5
	s_delay_alu instid0(VALU_DEP_2) | instskip(NEXT) | instid1(VALU_DEP_1)
	v_frexp_exp_i32_f64_e32 v10, v[13:14]
	v_sub_nc_u32_e32 v13, 0, v10
	s_delay_alu instid0(VALU_DEP_1) | instskip(SKIP_1) | instid1(VALU_DEP_2)
	v_ldexp_f32 v14, |v11|, v13
	v_ldexp_f32 v13, |v12|, v13
	v_mul_f32_e32 v14, v14, v14
	s_delay_alu instid0(VALU_DEP_1) | instskip(NEXT) | instid1(VALU_DEP_1)
	v_fmac_f32_e32 v14, v13, v13
	v_sqrt_f32_e32 v13, v14
	s_waitcnt_depctr 0xfff
	v_ldexp_f32 v10, v13, v10
	s_delay_alu instid0(VALU_DEP_1)
	v_cndmask_b32_e64 v13, 0x7f800000, v10, s1
                                        ; implicit-def: $vgpr10
	s_mov_b32 s1, exec_lo
	v_cmpx_le_f32_e32 0, v12
	s_xor_b32 s11, exec_lo, s1
	s_cbranch_execz .LBB183_194
; %bb.193:
	v_add_f32_e32 v5, v12, v13
	s_delay_alu instid0(VALU_DEP_1) | instskip(NEXT) | instid1(VALU_DEP_1)
	v_mul_f32_e32 v5, 0.5, v5
	v_mul_f32_e32 v10, 0x4f800000, v5
	v_cmp_gt_f32_e32 vcc_lo, 0xf800000, v5
	s_delay_alu instid0(VALU_DEP_2) | instskip(NEXT) | instid1(VALU_DEP_1)
	v_cndmask_b32_e32 v5, v5, v10, vcc_lo
	v_sqrt_f32_e32 v10, v5
	s_waitcnt_depctr 0xfff
	v_add_nc_u32_e32 v12, -1, v10
	v_add_nc_u32_e32 v13, 1, v10
	s_delay_alu instid0(VALU_DEP_2) | instskip(NEXT) | instid1(VALU_DEP_2)
	v_fma_f32 v14, -v12, v10, v5
	v_fma_f32 v15, -v13, v10, v5
	s_delay_alu instid0(VALU_DEP_2) | instskip(NEXT) | instid1(VALU_DEP_1)
	v_cmp_ge_f32_e64 s1, 0, v14
	v_cndmask_b32_e64 v10, v10, v12, s1
	s_delay_alu instid0(VALU_DEP_3) | instskip(NEXT) | instid1(VALU_DEP_1)
	v_cmp_lt_f32_e64 s1, 0, v15
	v_cndmask_b32_e64 v10, v10, v13, s1
	s_delay_alu instid0(VALU_DEP_1) | instskip(NEXT) | instid1(VALU_DEP_1)
	v_mul_f32_e32 v12, 0x37800000, v10
	v_cndmask_b32_e32 v10, v10, v12, vcc_lo
	v_cmp_class_f32_e64 vcc_lo, v5, 0x260
	s_delay_alu instid0(VALU_DEP_2) | instskip(NEXT) | instid1(VALU_DEP_1)
	v_cndmask_b32_e32 v5, v10, v5, vcc_lo
	v_add_f32_e32 v10, v5, v5
	s_delay_alu instid0(VALU_DEP_1) | instskip(NEXT) | instid1(VALU_DEP_1)
	v_div_scale_f32 v12, null, v10, v10, v11
	v_rcp_f32_e32 v13, v12
	s_waitcnt_depctr 0xfff
	v_fma_f32 v14, -v12, v13, 1.0
	s_delay_alu instid0(VALU_DEP_1) | instskip(SKIP_1) | instid1(VALU_DEP_1)
	v_fmac_f32_e32 v13, v14, v13
	v_div_scale_f32 v14, vcc_lo, v11, v10, v11
	v_mul_f32_e32 v15, v14, v13
	s_delay_alu instid0(VALU_DEP_1) | instskip(NEXT) | instid1(VALU_DEP_1)
	v_fma_f32 v16, -v12, v15, v14
	v_fmac_f32_e32 v15, v16, v13
	s_delay_alu instid0(VALU_DEP_1) | instskip(NEXT) | instid1(VALU_DEP_1)
	v_fma_f32 v12, -v12, v15, v14
	v_div_fmas_f32 v12, v12, v13, v15
                                        ; implicit-def: $vgpr13
	s_delay_alu instid0(VALU_DEP_1)
	v_div_fixup_f32 v10, v12, v10, v11
                                        ; implicit-def: $vgpr12
                                        ; implicit-def: $vgpr11
	s_and_not1_saveexec_b32 s11, s11
	s_cbranch_execz .LBB183_196
	s_branch .LBB183_195
.LBB183_194:
	s_and_not1_saveexec_b32 s11, s11
	s_cbranch_execz .LBB183_196
.LBB183_195:
	v_sub_f32_e32 v5, v13, v12
	s_delay_alu instid0(VALU_DEP_1) | instskip(NEXT) | instid1(VALU_DEP_1)
	v_mul_f32_e32 v5, 0.5, v5
	v_mul_f32_e32 v10, 0x4f800000, v5
	v_cmp_gt_f32_e32 vcc_lo, 0xf800000, v5
	s_delay_alu instid0(VALU_DEP_2) | instskip(NEXT) | instid1(VALU_DEP_1)
	v_cndmask_b32_e32 v5, v5, v10, vcc_lo
	v_sqrt_f32_e32 v10, v5
	s_waitcnt_depctr 0xfff
	v_add_nc_u32_e32 v12, -1, v10
	v_add_nc_u32_e32 v13, 1, v10
	s_delay_alu instid0(VALU_DEP_2) | instskip(NEXT) | instid1(VALU_DEP_2)
	v_fma_f32 v14, -v12, v10, v5
	v_fma_f32 v15, -v13, v10, v5
	s_delay_alu instid0(VALU_DEP_2) | instskip(NEXT) | instid1(VALU_DEP_1)
	v_cmp_ge_f32_e64 s1, 0, v14
	v_cndmask_b32_e64 v10, v10, v12, s1
	s_delay_alu instid0(VALU_DEP_3) | instskip(NEXT) | instid1(VALU_DEP_1)
	v_cmp_lt_f32_e64 s1, 0, v15
	v_cndmask_b32_e64 v10, v10, v13, s1
	s_delay_alu instid0(VALU_DEP_1) | instskip(NEXT) | instid1(VALU_DEP_1)
	v_mul_f32_e32 v12, 0x37800000, v10
	v_cndmask_b32_e32 v10, v10, v12, vcc_lo
	v_cmp_class_f32_e64 vcc_lo, v5, 0x260
	s_delay_alu instid0(VALU_DEP_2) | instskip(NEXT) | instid1(VALU_DEP_1)
	v_dual_cndmask_b32 v10, v10, v5 :: v_dual_and_b32 v5, 0x7fffffff, v11
	v_add_f32_e32 v12, v10, v10
	v_bfi_b32 v10, 0x7fffffff, v10, v11
	s_delay_alu instid0(VALU_DEP_2) | instskip(SKIP_1) | instid1(VALU_DEP_2)
	v_div_scale_f32 v13, null, v12, v12, v5
	v_div_scale_f32 v5, vcc_lo, v5, v12, v5
	v_rcp_f32_e32 v14, v13
	s_waitcnt_depctr 0xfff
	v_fma_f32 v15, -v13, v14, 1.0
	s_delay_alu instid0(VALU_DEP_1) | instskip(NEXT) | instid1(VALU_DEP_1)
	v_fmac_f32_e32 v14, v15, v14
	v_mul_f32_e32 v15, v5, v14
	s_delay_alu instid0(VALU_DEP_1) | instskip(NEXT) | instid1(VALU_DEP_1)
	v_fma_f32 v16, -v13, v15, v5
	v_fmac_f32_e32 v15, v16, v14
	s_delay_alu instid0(VALU_DEP_1) | instskip(NEXT) | instid1(VALU_DEP_1)
	v_fma_f32 v5, -v13, v15, v5
	v_div_fmas_f32 v5, v5, v14, v15
	s_delay_alu instid0(VALU_DEP_1)
	v_div_fixup_f32 v5, v5, v12, |v11|
.LBB183_196:
	s_or_b32 exec_lo, exec_lo, s11
                                        ; implicit-def: $vgpr11
                                        ; implicit-def: $vgpr12
	s_and_saveexec_b32 s1, s0
	s_delay_alu instid0(SALU_CYCLE_1)
	s_xor_b32 s0, exec_lo, s1
	s_cbranch_execz .LBB183_198
; %bb.197:
	v_mul_f32_e32 v11, 0.5, v5
	v_mul_f32_e32 v13, 0.5, v10
	s_delay_alu instid0(VALU_DEP_2) | instskip(NEXT) | instid1(VALU_DEP_2)
	v_cndmask_b32_e64 v12, v5, v11, s10
	v_cndmask_b32_e64 v11, v10, v13, s10
                                        ; implicit-def: $vgpr5
                                        ; implicit-def: $vgpr10
	s_and_not1_saveexec_b32 s0, s0
	s_cbranch_execnz .LBB183_199
	s_branch .LBB183_200
.LBB183_198:
	s_and_not1_saveexec_b32 s0, s0
.LBB183_199:
	v_dual_add_f32 v12, v5, v5 :: v_dual_add_f32 v11, v10, v10
.LBB183_200:
	s_or_b32 exec_lo, exec_lo, s0
                                        ; implicit-def: $vgpr5
.LBB183_201:
	s_and_not1_saveexec_b32 s0, s9
	s_cbranch_execz .LBB183_207
; %bb.202:
	v_cmp_lt_i16_e32 vcc_lo, -1, v5
	v_sub_f32_e32 v5, v11, v11
	s_and_saveexec_b32 s1, vcc_lo
	s_delay_alu instid0(SALU_CYCLE_1)
	s_xor_b32 s1, exec_lo, s1
; %bb.203:
	s_delay_alu instid0(VALU_DEP_1)
	v_bfi_b32 v11, 0x7fffffff, v5, v11
                                        ; implicit-def: $vgpr5
; %bb.204:
	s_and_not1_saveexec_b32 s1, s1
; %bb.205:
	v_and_b32_e32 v5, 0x7fffffff, v5
	s_delay_alu instid0(VALU_DEP_2) | instskip(NEXT) | instid1(VALU_DEP_2)
	v_bfi_b32 v11, 0x7fffffff, v12, v11
	v_mov_b32_e32 v12, v5
; %bb.206:
	s_or_b32 exec_lo, exec_lo, s1
.LBB183_207:
	s_delay_alu instid0(SALU_CYCLE_1)
	s_or_b32 exec_lo, exec_lo, s0
.LBB183_208:
	s_and_not1_saveexec_b32 s0, s8
; %bb.209:
	v_sub_f32_e32 v5, v11, v11
	s_delay_alu instid0(VALU_DEP_1) | instskip(NEXT) | instid1(VALU_DEP_1)
	v_div_scale_f32 v10, vcc_lo, v5, v5, v5
	v_rcp_f32_e32 v11, v10
	s_waitcnt_depctr 0xfff
	v_fma_f32 v13, -v10, v11, 1.0
	s_delay_alu instid0(VALU_DEP_1) | instskip(NEXT) | instid1(VALU_DEP_1)
	v_fmac_f32_e32 v11, v13, v11
	v_mul_f32_e32 v13, v10, v11
	s_delay_alu instid0(VALU_DEP_1) | instskip(NEXT) | instid1(VALU_DEP_1)
	v_fma_f32 v14, -v10, v13, v10
	v_fmac_f32_e32 v13, v14, v11
	s_delay_alu instid0(VALU_DEP_1) | instskip(NEXT) | instid1(VALU_DEP_1)
	v_fma_f32 v10, -v10, v13, v10
	v_div_fmas_f32 v10, v10, v11, v13
	s_delay_alu instid0(VALU_DEP_1)
	v_div_fixup_f32 v11, v10, v5, v5
; %bb.210:
	s_or_b32 exec_lo, exec_lo, s0
.LBB183_211:
	s_delay_alu instid0(SALU_CYCLE_1)
	s_or_b32 exec_lo, exec_lo, s3
.LBB183_212:
	s_delay_alu instid0(SALU_CYCLE_1)
	s_or_b32 exec_lo, exec_lo, s2
	v_cmp_gt_f32_e32 vcc_lo, 0, v12
                                        ; implicit-def: $vgpr10
                                        ; implicit-def: $vgpr5
	s_mov_b32 s0, exec_lo
	v_cndmask_b32_e64 v13, v12, -v12, vcc_lo
	v_cmp_gt_f32_e32 vcc_lo, 0, v11
	v_cndmask_b32_e64 v14, v11, -v11, vcc_lo
	s_delay_alu instid0(VALU_DEP_1)
	v_cmpx_ge_f32_e32 v13, v14
	s_xor_b32 s1, exec_lo, s0
	s_cbranch_execz .LBB183_218
; %bb.213:
	v_cmp_neq_f32_e32 vcc_lo, 0, v12
	v_cmp_neq_f32_e64 s0, 0, v11
                                        ; implicit-def: $vgpr10
                                        ; implicit-def: $vgpr5
	s_delay_alu instid0(VALU_DEP_1) | instskip(NEXT) | instid1(SALU_CYCLE_1)
	s_or_b32 s0, vcc_lo, s0
	s_and_saveexec_b32 s2, s0
	s_delay_alu instid0(SALU_CYCLE_1)
	s_xor_b32 s0, exec_lo, s2
	s_cbranch_execz .LBB183_215
; %bb.214:
	v_div_scale_f32 v5, null, v12, v12, v11
	v_div_scale_f32 v14, vcc_lo, v11, v12, v11
	s_delay_alu instid0(VALU_DEP_2) | instskip(SKIP_2) | instid1(VALU_DEP_1)
	v_rcp_f32_e32 v10, v5
	s_waitcnt_depctr 0xfff
	v_fma_f32 v13, -v5, v10, 1.0
	v_fmac_f32_e32 v10, v13, v10
	s_delay_alu instid0(VALU_DEP_1) | instskip(NEXT) | instid1(VALU_DEP_1)
	v_mul_f32_e32 v13, v14, v10
	v_fma_f32 v15, -v5, v13, v14
	s_delay_alu instid0(VALU_DEP_1) | instskip(NEXT) | instid1(VALU_DEP_1)
	v_fmac_f32_e32 v13, v15, v10
	v_fma_f32 v5, -v5, v13, v14
	s_delay_alu instid0(VALU_DEP_1) | instskip(NEXT) | instid1(VALU_DEP_1)
	v_div_fmas_f32 v5, v5, v10, v13
	v_div_fixup_f32 v10, v5, v12, v11
	s_delay_alu instid0(VALU_DEP_1) | instskip(NEXT) | instid1(VALU_DEP_1)
	v_fmac_f32_e32 v12, v11, v10
	v_div_scale_f32 v5, null, v12, v12, 1.0
	s_delay_alu instid0(VALU_DEP_1) | instskip(SKIP_2) | instid1(VALU_DEP_1)
	v_rcp_f32_e32 v11, v5
	s_waitcnt_depctr 0xfff
	v_fma_f32 v13, -v5, v11, 1.0
	v_fmac_f32_e32 v11, v13, v11
	v_div_scale_f32 v14, vcc_lo, 1.0, v12, 1.0
	s_delay_alu instid0(VALU_DEP_1) | instskip(NEXT) | instid1(VALU_DEP_1)
	v_mul_f32_e32 v13, v14, v11
	v_fma_f32 v15, -v5, v13, v14
	s_delay_alu instid0(VALU_DEP_1) | instskip(NEXT) | instid1(VALU_DEP_1)
	v_fmac_f32_e32 v13, v15, v11
	v_fma_f32 v5, -v5, v13, v14
                                        ; implicit-def: $vgpr14
	s_delay_alu instid0(VALU_DEP_1) | instskip(SKIP_1) | instid1(VALU_DEP_2)
	v_div_fmas_f32 v5, v5, v11, v13
	v_fma_f32 v11, v10, 0, 1.0
                                        ; implicit-def: $vgpr13
	v_div_fixup_f32 v12, v5, v12, 1.0
	s_delay_alu instid0(VALU_DEP_1)
	v_mul_f32_e32 v5, v11, v12
	v_mul_f32_e64 v10, -v10, v12
.LBB183_215:
	s_and_not1_saveexec_b32 s2, s0
	s_cbranch_execz .LBB183_217
; %bb.216:
	v_div_scale_f32 v5, null, v13, v13, 1.0
	v_div_scale_f32 v10, null, v14, v14, 0
	v_div_scale_f32 v17, vcc_lo, 1.0, v13, 1.0
	s_delay_alu instid0(VALU_DEP_3) | instskip(NEXT) | instid1(VALU_DEP_2)
	v_rcp_f32_e32 v11, v5
	v_rcp_f32_e32 v12, v10
	s_waitcnt_depctr 0xfff
	v_fma_f32 v15, -v5, v11, 1.0
	v_fma_f32 v16, -v10, v12, 1.0
	s_delay_alu instid0(VALU_DEP_1) | instskip(SKIP_1) | instid1(VALU_DEP_2)
	v_dual_fmac_f32 v11, v15, v11 :: v_dual_fmac_f32 v12, v16, v12
	v_div_scale_f32 v15, s0, 0, v14, 0
	v_mul_f32_e32 v16, v17, v11
	s_delay_alu instid0(VALU_DEP_2) | instskip(NEXT) | instid1(VALU_DEP_2)
	v_mul_f32_e32 v18, v15, v12
	v_fma_f32 v19, -v5, v16, v17
	s_delay_alu instid0(VALU_DEP_2) | instskip(NEXT) | instid1(VALU_DEP_2)
	v_fma_f32 v20, -v10, v18, v15
	v_fmac_f32_e32 v16, v19, v11
	s_delay_alu instid0(VALU_DEP_2) | instskip(NEXT) | instid1(VALU_DEP_2)
	v_fmac_f32_e32 v18, v20, v12
	v_fma_f32 v5, -v5, v16, v17
	s_delay_alu instid0(VALU_DEP_2) | instskip(NEXT) | instid1(VALU_DEP_2)
	v_fma_f32 v10, -v10, v18, v15
	v_div_fmas_f32 v5, v5, v11, v16
	s_mov_b32 vcc_lo, s0
	s_delay_alu instid0(VALU_DEP_2) | instskip(NEXT) | instid1(VALU_DEP_2)
	v_div_fmas_f32 v10, v10, v12, v18
	v_div_fixup_f32 v5, v5, v13, 1.0
	s_delay_alu instid0(VALU_DEP_2)
	v_div_fixup_f32 v10, v10, v14, 0
.LBB183_217:
	s_or_b32 exec_lo, exec_lo, s2
                                        ; implicit-def: $vgpr11
                                        ; implicit-def: $vgpr12
.LBB183_218:
	s_and_not1_saveexec_b32 s0, s1
	s_cbranch_execz .LBB183_220
; %bb.219:
	v_div_scale_f32 v5, null, v11, v11, v12
	v_div_scale_f32 v14, vcc_lo, v12, v11, v12
	s_delay_alu instid0(VALU_DEP_2) | instskip(SKIP_2) | instid1(VALU_DEP_1)
	v_rcp_f32_e32 v10, v5
	s_waitcnt_depctr 0xfff
	v_fma_f32 v13, -v5, v10, 1.0
	v_fmac_f32_e32 v10, v13, v10
	s_delay_alu instid0(VALU_DEP_1) | instskip(NEXT) | instid1(VALU_DEP_1)
	v_mul_f32_e32 v13, v14, v10
	v_fma_f32 v15, -v5, v13, v14
	s_delay_alu instid0(VALU_DEP_1) | instskip(NEXT) | instid1(VALU_DEP_1)
	v_fmac_f32_e32 v13, v15, v10
	v_fma_f32 v5, -v5, v13, v14
	s_delay_alu instid0(VALU_DEP_1) | instskip(NEXT) | instid1(VALU_DEP_1)
	v_div_fmas_f32 v5, v5, v10, v13
	v_div_fixup_f32 v5, v5, v11, v12
	s_delay_alu instid0(VALU_DEP_1) | instskip(NEXT) | instid1(VALU_DEP_1)
	v_fmac_f32_e32 v11, v12, v5
	v_div_scale_f32 v10, null, v11, v11, 1.0
	v_div_scale_f32 v14, vcc_lo, 1.0, v11, 1.0
	s_delay_alu instid0(VALU_DEP_2) | instskip(SKIP_2) | instid1(VALU_DEP_1)
	v_rcp_f32_e32 v12, v10
	s_waitcnt_depctr 0xfff
	v_fma_f32 v13, -v10, v12, 1.0
	v_fmac_f32_e32 v12, v13, v12
	s_delay_alu instid0(VALU_DEP_1) | instskip(NEXT) | instid1(VALU_DEP_1)
	v_mul_f32_e32 v13, v14, v12
	v_fma_f32 v15, -v10, v13, v14
	s_delay_alu instid0(VALU_DEP_1) | instskip(NEXT) | instid1(VALU_DEP_1)
	v_fmac_f32_e32 v13, v15, v12
	v_fma_f32 v10, -v10, v13, v14
	s_delay_alu instid0(VALU_DEP_1) | instskip(SKIP_1) | instid1(VALU_DEP_2)
	v_div_fmas_f32 v10, v10, v12, v13
	v_add_f32_e32 v12, 0, v5
	v_div_fixup_f32 v10, v10, v11, 1.0
	v_fma_f32 v11, v5, 0, -1.0
	s_delay_alu instid0(VALU_DEP_2) | instskip(NEXT) | instid1(VALU_DEP_2)
	v_mul_f32_e32 v5, v12, v10
	v_mul_f32_e32 v10, v11, v10
.LBB183_220:
	s_or_b32 exec_lo, exec_lo, s0
	global_load_b32 v12, v4, s[6:7]
	v_mov_b32_e32 v11, 0
	s_waitcnt vmcnt(0)
	v_lshrrev_b32_e32 v4, 16, v12
	v_cmp_neq_f16_e32 vcc_lo, 0, v12
	s_delay_alu instid0(VALU_DEP_2) | instskip(SKIP_1) | instid1(VALU_DEP_2)
	v_cmp_neq_f16_e64 s0, 0, v4
	v_cvt_f32_f16_e32 v4, v4
	s_or_b32 s0, vcc_lo, s0
	s_delay_alu instid0(SALU_CYCLE_1)
	s_and_saveexec_b32 s2, s0
	s_cbranch_execz .LBB183_250
; %bb.221:
	v_mov_b32_e32 v11, 0x7f800000
	s_mov_b32 s3, exec_lo
	v_cmpx_neq_f32_e64 0x7f800000, |v4|
	s_cbranch_execz .LBB183_249
; %bb.222:
	v_cvt_f32_f16_e32 v11, v12
	s_mov_b32 s0, exec_lo
	v_cmpx_o_f16_e32 v12, v12
	s_xor_b32 s6, exec_lo, s0
	s_cbranch_execz .LBB183_246
; %bb.223:
	s_mov_b32 s1, exec_lo
	v_cmpx_neq_f32_e64 0x7f800000, |v11|
	s_xor_b32 s7, exec_lo, s1
	s_cbranch_execz .LBB183_239
; %bb.224:
	v_max_f32_e64 v12, |v4|, |v4|
	v_max_f32_e64 v13, |v11|, |v11|
                                        ; implicit-def: $sgpr8
	s_delay_alu instid0(VALU_DEP_1) | instskip(NEXT) | instid1(VALU_DEP_1)
	v_max_f32_e32 v12, v13, v12
	v_cmp_nle_f32_e64 s0, 0x7ed413cb, v12
	s_delay_alu instid0(VALU_DEP_1) | instskip(NEXT) | instid1(SALU_CYCLE_1)
	s_and_saveexec_b32 s1, s0
	s_xor_b32 s1, exec_lo, s1
	s_cbranch_execz .LBB183_228
; %bb.225:
	v_cmp_ge_f32_e64 s8, 0x1000000, |v11|
	v_cmp_ge_f32_e64 s9, 0x1000000, |v4|
	s_delay_alu instid0(VALU_DEP_1)
	s_and_b32 s10, s8, s9
	s_mov_b32 s8, 0
	s_and_saveexec_b32 s9, s10
; %bb.226:
	v_dual_mul_f32 v4, 4.0, v4 :: v_dual_mul_f32 v11, 4.0, v11
	s_mov_b32 s8, exec_lo
; %bb.227:
	s_or_b32 exec_lo, exec_lo, s9
	s_delay_alu instid0(SALU_CYCLE_1)
	s_and_b32 s8, s8, exec_lo
.LBB183_228:
	s_and_not1_saveexec_b32 s1, s1
; %bb.229:
	v_dual_mul_f32 v11, 0x3e800000, v11 :: v_dual_mul_f32 v4, 0x3e800000, v4
	s_and_not1_b32 s8, s8, exec_lo
; %bb.230:
	s_or_b32 exec_lo, exec_lo, s1
	s_delay_alu instid0(VALU_DEP_1) | instskip(NEXT) | instid1(VALU_DEP_2)
	v_max_f32_e64 v12, |v4|, |v4|
	v_max_f32_e64 v13, |v11|, |v11|
	s_delay_alu instid0(VALU_DEP_1) | instskip(NEXT) | instid1(VALU_DEP_1)
	v_max_f32_e32 v14, v13, v12
	v_cvt_f64_f32_e32 v[12:13], v14
	s_delay_alu instid0(VALU_DEP_1) | instskip(NEXT) | instid1(VALU_DEP_1)
	v_frexp_exp_i32_f64_e32 v12, v[12:13]
	v_sub_nc_u32_e32 v13, 0, v12
	s_delay_alu instid0(VALU_DEP_1) | instskip(SKIP_1) | instid1(VALU_DEP_2)
	v_ldexp_f32 v15, |v4|, v13
	v_ldexp_f32 v13, |v11|, v13
	v_mul_f32_e32 v15, v15, v15
	v_cmp_neq_f32_e64 s1, 0x7f800000, v14
	s_delay_alu instid0(VALU_DEP_2) | instskip(NEXT) | instid1(VALU_DEP_1)
	v_fmac_f32_e32 v15, v13, v13
	v_sqrt_f32_e32 v13, v15
	s_waitcnt_depctr 0xfff
	v_ldexp_f32 v12, v13, v12
                                        ; implicit-def: $vgpr13
	s_delay_alu instid0(VALU_DEP_1)
	v_cndmask_b32_e64 v14, 0x7f800000, v12, s1
                                        ; implicit-def: $vgpr12
	s_mov_b32 s1, exec_lo
	v_cmpx_le_f32_e32 0, v11
	s_xor_b32 s9, exec_lo, s1
	s_cbranch_execz .LBB183_232
; %bb.231:
	v_add_f32_e32 v11, v11, v14
	s_delay_alu instid0(VALU_DEP_1) | instskip(NEXT) | instid1(VALU_DEP_1)
	v_mul_f32_e32 v11, 0.5, v11
	v_mul_f32_e32 v12, 0x4f800000, v11
	v_cmp_gt_f32_e32 vcc_lo, 0xf800000, v11
	s_delay_alu instid0(VALU_DEP_2) | instskip(NEXT) | instid1(VALU_DEP_1)
	v_cndmask_b32_e32 v11, v11, v12, vcc_lo
	v_sqrt_f32_e32 v12, v11
	s_waitcnt_depctr 0xfff
	v_add_nc_u32_e32 v13, -1, v12
	v_add_nc_u32_e32 v14, 1, v12
	s_delay_alu instid0(VALU_DEP_2) | instskip(NEXT) | instid1(VALU_DEP_2)
	v_fma_f32 v15, -v13, v12, v11
	v_fma_f32 v16, -v14, v12, v11
	s_delay_alu instid0(VALU_DEP_2) | instskip(NEXT) | instid1(VALU_DEP_1)
	v_cmp_ge_f32_e64 s1, 0, v15
	v_cndmask_b32_e64 v12, v12, v13, s1
	s_delay_alu instid0(VALU_DEP_3) | instskip(NEXT) | instid1(VALU_DEP_1)
	v_cmp_lt_f32_e64 s1, 0, v16
	v_cndmask_b32_e64 v12, v12, v14, s1
	s_delay_alu instid0(VALU_DEP_1) | instskip(NEXT) | instid1(VALU_DEP_1)
	v_mul_f32_e32 v13, 0x37800000, v12
	v_cndmask_b32_e32 v12, v12, v13, vcc_lo
	v_cmp_class_f32_e64 vcc_lo, v11, 0x260
	s_delay_alu instid0(VALU_DEP_2) | instskip(NEXT) | instid1(VALU_DEP_1)
	v_cndmask_b32_e32 v12, v12, v11, vcc_lo
	v_add_f32_e32 v11, v12, v12
	s_delay_alu instid0(VALU_DEP_1) | instskip(NEXT) | instid1(VALU_DEP_1)
	v_div_scale_f32 v13, null, v11, v11, v4
	v_rcp_f32_e32 v14, v13
	s_waitcnt_depctr 0xfff
	v_fma_f32 v15, -v13, v14, 1.0
	s_delay_alu instid0(VALU_DEP_1) | instskip(SKIP_1) | instid1(VALU_DEP_1)
	v_fmac_f32_e32 v14, v15, v14
	v_div_scale_f32 v15, vcc_lo, v4, v11, v4
	v_mul_f32_e32 v16, v15, v14
	s_delay_alu instid0(VALU_DEP_1) | instskip(NEXT) | instid1(VALU_DEP_1)
	v_fma_f32 v17, -v13, v16, v15
	v_fmac_f32_e32 v16, v17, v14
	s_delay_alu instid0(VALU_DEP_1) | instskip(NEXT) | instid1(VALU_DEP_1)
	v_fma_f32 v13, -v13, v16, v15
	v_div_fmas_f32 v13, v13, v14, v16
                                        ; implicit-def: $vgpr14
	s_delay_alu instid0(VALU_DEP_1)
	v_div_fixup_f32 v13, v13, v11, v4
                                        ; implicit-def: $vgpr11
                                        ; implicit-def: $vgpr4
	s_and_not1_saveexec_b32 s9, s9
	s_cbranch_execz .LBB183_234
	s_branch .LBB183_233
.LBB183_232:
	s_and_not1_saveexec_b32 s9, s9
	s_cbranch_execz .LBB183_234
.LBB183_233:
	v_sub_f32_e32 v11, v14, v11
	s_delay_alu instid0(VALU_DEP_1) | instskip(NEXT) | instid1(VALU_DEP_1)
	v_mul_f32_e32 v11, 0.5, v11
	v_mul_f32_e32 v12, 0x4f800000, v11
	v_cmp_gt_f32_e32 vcc_lo, 0xf800000, v11
	s_delay_alu instid0(VALU_DEP_2) | instskip(NEXT) | instid1(VALU_DEP_1)
	v_cndmask_b32_e32 v11, v11, v12, vcc_lo
	v_sqrt_f32_e32 v12, v11
	s_waitcnt_depctr 0xfff
	v_add_nc_u32_e32 v13, -1, v12
	v_add_nc_u32_e32 v14, 1, v12
	s_delay_alu instid0(VALU_DEP_2) | instskip(NEXT) | instid1(VALU_DEP_2)
	v_fma_f32 v15, -v13, v12, v11
	v_fma_f32 v16, -v14, v12, v11
	s_delay_alu instid0(VALU_DEP_2) | instskip(NEXT) | instid1(VALU_DEP_1)
	v_cmp_ge_f32_e64 s1, 0, v15
	v_cndmask_b32_e64 v12, v12, v13, s1
	s_delay_alu instid0(VALU_DEP_3) | instskip(NEXT) | instid1(VALU_DEP_1)
	v_cmp_lt_f32_e64 s1, 0, v16
	v_cndmask_b32_e64 v12, v12, v14, s1
	s_delay_alu instid0(VALU_DEP_1) | instskip(NEXT) | instid1(VALU_DEP_1)
	v_mul_f32_e32 v13, 0x37800000, v12
	v_cndmask_b32_e32 v12, v12, v13, vcc_lo
	v_cmp_class_f32_e64 vcc_lo, v11, 0x260
	s_delay_alu instid0(VALU_DEP_2) | instskip(NEXT) | instid1(VALU_DEP_1)
	v_dual_cndmask_b32 v11, v12, v11 :: v_dual_and_b32 v12, 0x7fffffff, v4
	v_add_f32_e32 v13, v11, v11
	s_delay_alu instid0(VALU_DEP_1) | instskip(SKIP_1) | instid1(VALU_DEP_2)
	v_div_scale_f32 v14, null, v13, v13, v12
	v_div_scale_f32 v12, vcc_lo, v12, v13, v12
	v_rcp_f32_e32 v15, v14
	s_waitcnt_depctr 0xfff
	v_fma_f32 v16, -v14, v15, 1.0
	s_delay_alu instid0(VALU_DEP_1) | instskip(NEXT) | instid1(VALU_DEP_1)
	v_fmac_f32_e32 v15, v16, v15
	v_mul_f32_e32 v16, v12, v15
	s_delay_alu instid0(VALU_DEP_1) | instskip(NEXT) | instid1(VALU_DEP_1)
	v_fma_f32 v17, -v14, v16, v12
	v_fmac_f32_e32 v16, v17, v15
	s_delay_alu instid0(VALU_DEP_1) | instskip(NEXT) | instid1(VALU_DEP_1)
	v_fma_f32 v12, -v14, v16, v12
	v_div_fmas_f32 v12, v12, v15, v16
	s_delay_alu instid0(VALU_DEP_1)
	v_div_fixup_f32 v12, v12, v13, |v4|
	v_bfi_b32 v13, 0x7fffffff, v11, v4
.LBB183_234:
	s_or_b32 exec_lo, exec_lo, s9
                                        ; implicit-def: $vgpr4
                                        ; implicit-def: $vgpr11
	s_and_saveexec_b32 s1, s0
	s_delay_alu instid0(SALU_CYCLE_1)
	s_xor_b32 s0, exec_lo, s1
	s_cbranch_execz .LBB183_236
; %bb.235:
	v_mul_f32_e32 v4, 0.5, v12
	v_mul_f32_e32 v14, 0.5, v13
	s_delay_alu instid0(VALU_DEP_2) | instskip(NEXT) | instid1(VALU_DEP_2)
	v_cndmask_b32_e64 v11, v12, v4, s8
	v_cndmask_b32_e64 v4, v13, v14, s8
                                        ; implicit-def: $vgpr12
                                        ; implicit-def: $vgpr13
	s_and_not1_saveexec_b32 s0, s0
	s_cbranch_execnz .LBB183_237
	s_branch .LBB183_238
.LBB183_236:
	s_and_not1_saveexec_b32 s0, s0
.LBB183_237:
	v_dual_add_f32 v11, v12, v12 :: v_dual_add_f32 v4, v13, v13
.LBB183_238:
	s_or_b32 exec_lo, exec_lo, s0
                                        ; implicit-def: $vgpr12
.LBB183_239:
	s_and_not1_saveexec_b32 s0, s7
	s_cbranch_execz .LBB183_245
; %bb.240:
	v_cmp_lt_i16_e32 vcc_lo, -1, v12
	v_sub_f32_e32 v12, v4, v4
	s_and_saveexec_b32 s1, vcc_lo
	s_delay_alu instid0(SALU_CYCLE_1)
	s_xor_b32 s1, exec_lo, s1
; %bb.241:
	s_delay_alu instid0(VALU_DEP_1)
	v_bfi_b32 v4, 0x7fffffff, v12, v4
                                        ; implicit-def: $vgpr12
; %bb.242:
	s_and_not1_saveexec_b32 s1, s1
; %bb.243:
	v_and_b32_e32 v12, 0x7fffffff, v12
	s_delay_alu instid0(VALU_DEP_2) | instskip(NEXT) | instid1(VALU_DEP_2)
	v_bfi_b32 v4, 0x7fffffff, v11, v4
	v_mov_b32_e32 v11, v12
; %bb.244:
	s_or_b32 exec_lo, exec_lo, s1
.LBB183_245:
	s_delay_alu instid0(SALU_CYCLE_1)
	s_or_b32 exec_lo, exec_lo, s0
.LBB183_246:
	s_and_not1_saveexec_b32 s0, s6
; %bb.247:
	v_sub_f32_e32 v4, v4, v4
	s_delay_alu instid0(VALU_DEP_1) | instskip(NEXT) | instid1(VALU_DEP_1)
	v_div_scale_f32 v12, vcc_lo, v4, v4, v4
	v_rcp_f32_e32 v13, v12
	s_waitcnt_depctr 0xfff
	v_fma_f32 v14, -v12, v13, 1.0
	s_delay_alu instid0(VALU_DEP_1) | instskip(NEXT) | instid1(VALU_DEP_1)
	v_fmac_f32_e32 v13, v14, v13
	v_mul_f32_e32 v14, v12, v13
	s_delay_alu instid0(VALU_DEP_1) | instskip(NEXT) | instid1(VALU_DEP_1)
	v_fma_f32 v15, -v12, v14, v12
	v_fmac_f32_e32 v14, v15, v13
	s_delay_alu instid0(VALU_DEP_1) | instskip(NEXT) | instid1(VALU_DEP_1)
	v_fma_f32 v12, -v12, v14, v12
	v_div_fmas_f32 v12, v12, v13, v14
	s_delay_alu instid0(VALU_DEP_1)
	v_div_fixup_f32 v4, v12, v4, v4
; %bb.248:
	s_or_b32 exec_lo, exec_lo, s0
.LBB183_249:
	s_delay_alu instid0(SALU_CYCLE_1)
	s_or_b32 exec_lo, exec_lo, s3
.LBB183_250:
	s_delay_alu instid0(SALU_CYCLE_1)
	s_or_b32 exec_lo, exec_lo, s2
	v_cmp_gt_f32_e32 vcc_lo, 0, v11
                                        ; implicit-def: $vgpr13
                                        ; implicit-def: $vgpr12
	s_mov_b32 s0, exec_lo
	v_cndmask_b32_e64 v14, v11, -v11, vcc_lo
	v_cmp_gt_f32_e32 vcc_lo, 0, v4
	v_cndmask_b32_e64 v15, v4, -v4, vcc_lo
	s_delay_alu instid0(VALU_DEP_1)
	v_cmpx_ge_f32_e32 v14, v15
	s_xor_b32 s1, exec_lo, s0
	s_cbranch_execz .LBB183_256
; %bb.251:
	v_cmp_neq_f32_e32 vcc_lo, 0, v11
	v_cmp_neq_f32_e64 s0, 0, v4
                                        ; implicit-def: $vgpr13
                                        ; implicit-def: $vgpr12
	s_delay_alu instid0(VALU_DEP_1) | instskip(NEXT) | instid1(SALU_CYCLE_1)
	s_or_b32 s0, vcc_lo, s0
	s_and_saveexec_b32 s2, s0
	s_delay_alu instid0(SALU_CYCLE_1)
	s_xor_b32 s0, exec_lo, s2
	s_cbranch_execz .LBB183_253
; %bb.252:
	v_div_scale_f32 v12, null, v11, v11, v4
	v_div_scale_f32 v15, vcc_lo, v4, v11, v4
	s_delay_alu instid0(VALU_DEP_2) | instskip(SKIP_2) | instid1(VALU_DEP_1)
	v_rcp_f32_e32 v13, v12
	s_waitcnt_depctr 0xfff
	v_fma_f32 v14, -v12, v13, 1.0
	v_fmac_f32_e32 v13, v14, v13
	s_delay_alu instid0(VALU_DEP_1) | instskip(NEXT) | instid1(VALU_DEP_1)
	v_mul_f32_e32 v14, v15, v13
	v_fma_f32 v16, -v12, v14, v15
	s_delay_alu instid0(VALU_DEP_1) | instskip(NEXT) | instid1(VALU_DEP_1)
	v_fmac_f32_e32 v14, v16, v13
	v_fma_f32 v12, -v12, v14, v15
	s_delay_alu instid0(VALU_DEP_1) | instskip(NEXT) | instid1(VALU_DEP_1)
	v_div_fmas_f32 v12, v12, v13, v14
	v_div_fixup_f32 v13, v12, v11, v4
	s_delay_alu instid0(VALU_DEP_1) | instskip(NEXT) | instid1(VALU_DEP_1)
	v_fmac_f32_e32 v11, v4, v13
	v_div_scale_f32 v4, null, v11, v11, 1.0
	s_delay_alu instid0(VALU_DEP_1) | instskip(SKIP_2) | instid1(VALU_DEP_1)
	v_rcp_f32_e32 v12, v4
	s_waitcnt_depctr 0xfff
	v_fma_f32 v14, -v4, v12, 1.0
	v_fmac_f32_e32 v12, v14, v12
	v_div_scale_f32 v15, vcc_lo, 1.0, v11, 1.0
	s_delay_alu instid0(VALU_DEP_1) | instskip(NEXT) | instid1(VALU_DEP_1)
	v_mul_f32_e32 v14, v15, v12
	v_fma_f32 v16, -v4, v14, v15
	s_delay_alu instid0(VALU_DEP_1) | instskip(NEXT) | instid1(VALU_DEP_1)
	v_fmac_f32_e32 v14, v16, v12
	v_fma_f32 v4, -v4, v14, v15
                                        ; implicit-def: $vgpr15
	s_delay_alu instid0(VALU_DEP_1) | instskip(SKIP_1) | instid1(VALU_DEP_2)
	v_div_fmas_f32 v4, v4, v12, v14
	v_fma_f32 v12, v13, 0, 1.0
                                        ; implicit-def: $vgpr14
	v_div_fixup_f32 v4, v4, v11, 1.0
	s_delay_alu instid0(VALU_DEP_1)
	v_mul_f32_e32 v12, v12, v4
	v_mul_f32_e64 v13, -v13, v4
.LBB183_253:
	s_and_not1_saveexec_b32 s2, s0
	s_cbranch_execz .LBB183_255
; %bb.254:
	v_div_scale_f32 v4, null, v14, v14, 1.0
	v_div_scale_f32 v11, null, v15, v15, 0
	v_div_scale_f32 v18, vcc_lo, 1.0, v14, 1.0
	s_delay_alu instid0(VALU_DEP_3) | instskip(NEXT) | instid1(VALU_DEP_2)
	v_rcp_f32_e32 v12, v4
	v_rcp_f32_e32 v13, v11
	s_waitcnt_depctr 0xfff
	v_fma_f32 v16, -v4, v12, 1.0
	v_fma_f32 v17, -v11, v13, 1.0
	s_delay_alu instid0(VALU_DEP_1) | instskip(SKIP_1) | instid1(VALU_DEP_2)
	v_dual_fmac_f32 v12, v16, v12 :: v_dual_fmac_f32 v13, v17, v13
	v_div_scale_f32 v16, s0, 0, v15, 0
	v_mul_f32_e32 v17, v18, v12
	s_delay_alu instid0(VALU_DEP_2) | instskip(NEXT) | instid1(VALU_DEP_2)
	v_mul_f32_e32 v19, v16, v13
	v_fma_f32 v20, -v4, v17, v18
	s_delay_alu instid0(VALU_DEP_2) | instskip(NEXT) | instid1(VALU_DEP_2)
	v_fma_f32 v21, -v11, v19, v16
	v_fmac_f32_e32 v17, v20, v12
	s_delay_alu instid0(VALU_DEP_2) | instskip(NEXT) | instid1(VALU_DEP_2)
	v_fmac_f32_e32 v19, v21, v13
	v_fma_f32 v4, -v4, v17, v18
	s_delay_alu instid0(VALU_DEP_2) | instskip(NEXT) | instid1(VALU_DEP_2)
	v_fma_f32 v11, -v11, v19, v16
	v_div_fmas_f32 v4, v4, v12, v17
	s_mov_b32 vcc_lo, s0
	s_delay_alu instid0(VALU_DEP_2) | instskip(NEXT) | instid1(VALU_DEP_2)
	v_div_fmas_f32 v11, v11, v13, v19
	v_div_fixup_f32 v12, v4, v14, 1.0
	s_delay_alu instid0(VALU_DEP_2)
	v_div_fixup_f32 v13, v11, v15, 0
.LBB183_255:
	s_or_b32 exec_lo, exec_lo, s2
                                        ; implicit-def: $vgpr4
                                        ; implicit-def: $vgpr11
.LBB183_256:
	s_and_not1_saveexec_b32 s0, s1
	s_cbranch_execz .LBB183_258
; %bb.257:
	v_div_scale_f32 v12, null, v4, v4, v11
	v_div_scale_f32 v15, vcc_lo, v11, v4, v11
	s_delay_alu instid0(VALU_DEP_2) | instskip(SKIP_2) | instid1(VALU_DEP_1)
	v_rcp_f32_e32 v13, v12
	s_waitcnt_depctr 0xfff
	v_fma_f32 v14, -v12, v13, 1.0
	v_fmac_f32_e32 v13, v14, v13
	s_delay_alu instid0(VALU_DEP_1) | instskip(NEXT) | instid1(VALU_DEP_1)
	v_mul_f32_e32 v14, v15, v13
	v_fma_f32 v16, -v12, v14, v15
	s_delay_alu instid0(VALU_DEP_1) | instskip(NEXT) | instid1(VALU_DEP_1)
	v_fmac_f32_e32 v14, v16, v13
	v_fma_f32 v12, -v12, v14, v15
	s_delay_alu instid0(VALU_DEP_1) | instskip(NEXT) | instid1(VALU_DEP_1)
	v_div_fmas_f32 v12, v12, v13, v14
	v_div_fixup_f32 v12, v12, v4, v11
	s_delay_alu instid0(VALU_DEP_1) | instskip(NEXT) | instid1(VALU_DEP_1)
	v_fmac_f32_e32 v4, v11, v12
	v_div_scale_f32 v11, null, v4, v4, 1.0
	v_div_scale_f32 v15, vcc_lo, 1.0, v4, 1.0
	s_delay_alu instid0(VALU_DEP_2) | instskip(SKIP_2) | instid1(VALU_DEP_1)
	v_rcp_f32_e32 v13, v11
	s_waitcnt_depctr 0xfff
	v_fma_f32 v14, -v11, v13, 1.0
	v_fmac_f32_e32 v13, v14, v13
	s_delay_alu instid0(VALU_DEP_1) | instskip(NEXT) | instid1(VALU_DEP_1)
	v_mul_f32_e32 v14, v15, v13
	v_fma_f32 v16, -v11, v14, v15
	s_delay_alu instid0(VALU_DEP_1) | instskip(NEXT) | instid1(VALU_DEP_1)
	v_fmac_f32_e32 v14, v16, v13
	v_fma_f32 v11, -v11, v14, v15
	s_delay_alu instid0(VALU_DEP_1) | instskip(SKIP_1) | instid1(VALU_DEP_2)
	v_div_fmas_f32 v11, v11, v13, v14
	v_add_f32_e32 v13, 0, v12
	v_div_fixup_f32 v4, v11, v4, 1.0
	v_fma_f32 v11, v12, 0, -1.0
	s_delay_alu instid0(VALU_DEP_2) | instskip(NEXT) | instid1(VALU_DEP_2)
	v_mul_f32_e32 v12, v13, v4
	v_mul_f32_e32 v13, v11, v4
.LBB183_258:
	s_or_b32 exec_lo, exec_lo, s0
	v_cvt_f16_f32_e32 v8, v8
	v_cvt_f16_f32_e32 v7, v7
	;; [unrolled: 1-line block ×8, first 2 shown]
	v_lshlrev_b32_e32 v8, 16, v8
	v_and_b32_e32 v7, 0xffff, v7
	v_lshlrev_b32_e32 v9, 16, v9
	v_and_b32_e32 v6, 0xffff, v6
	;; [unrolled: 2-line block ×4, first 2 shown]
	v_or_b32_e32 v7, v8, v7
	v_or_b32_e32 v6, v9, v6
	;; [unrolled: 1-line block ×3, first 2 shown]
	s_delay_alu instid0(VALU_DEP_4)
	v_or_b32_e32 v5, v10, v11
	s_clause 0x3
	global_store_b32 v0, v7, s[4:5]
	global_store_b32 v1, v6, s[4:5]
	;; [unrolled: 1-line block ×4, first 2 shown]
	s_nop 0
	s_sendmsg sendmsg(MSG_DEALLOC_VGPRS)
	s_endpgm
.LBB183_259:
	s_and_not1_saveexec_b32 s35, s35
	s_cbranch_execz .LBB183_261
.LBB183_260:
	v_sub_f32_e32 v3, v6, v3
	s_delay_alu instid0(VALU_DEP_1) | instskip(NEXT) | instid1(VALU_DEP_1)
	v_mul_f32_e32 v3, 0.5, v3
	v_mul_f32_e32 v4, 0x4f800000, v3
	v_cmp_gt_f32_e32 vcc_lo, 0xf800000, v3
	s_delay_alu instid0(VALU_DEP_2) | instskip(NEXT) | instid1(VALU_DEP_1)
	v_cndmask_b32_e32 v3, v3, v4, vcc_lo
	v_sqrt_f32_e32 v4, v3
	s_waitcnt_depctr 0xfff
	v_add_nc_u32_e32 v5, -1, v4
	v_add_nc_u32_e32 v6, 1, v4
	s_delay_alu instid0(VALU_DEP_2) | instskip(NEXT) | instid1(VALU_DEP_2)
	v_fma_f32 v7, -v5, v4, v3
	v_fma_f32 v8, -v6, v4, v3
	s_delay_alu instid0(VALU_DEP_2) | instskip(NEXT) | instid1(VALU_DEP_1)
	v_cmp_ge_f32_e64 s3, 0, v7
	v_cndmask_b32_e64 v4, v4, v5, s3
	s_delay_alu instid0(VALU_DEP_3) | instskip(NEXT) | instid1(VALU_DEP_1)
	v_cmp_lt_f32_e64 s3, 0, v8
	v_cndmask_b32_e64 v4, v4, v6, s3
	s_delay_alu instid0(VALU_DEP_1) | instskip(NEXT) | instid1(VALU_DEP_1)
	v_mul_f32_e32 v5, 0x37800000, v4
	v_cndmask_b32_e32 v4, v4, v5, vcc_lo
	v_cmp_class_f32_e64 vcc_lo, v3, 0x260
	s_delay_alu instid0(VALU_DEP_2) | instskip(NEXT) | instid1(VALU_DEP_1)
	v_dual_cndmask_b32 v3, v4, v3 :: v_dual_and_b32 v4, 0x7fffffff, v1
	v_add_f32_e32 v5, v3, v3
	s_delay_alu instid0(VALU_DEP_1) | instskip(SKIP_1) | instid1(VALU_DEP_2)
	v_div_scale_f32 v6, null, v5, v5, v4
	v_div_scale_f32 v4, vcc_lo, v4, v5, v4
	v_rcp_f32_e32 v7, v6
	s_waitcnt_depctr 0xfff
	v_fma_f32 v8, -v6, v7, 1.0
	s_delay_alu instid0(VALU_DEP_1) | instskip(NEXT) | instid1(VALU_DEP_1)
	v_fmac_f32_e32 v7, v8, v7
	v_mul_f32_e32 v8, v4, v7
	s_delay_alu instid0(VALU_DEP_1) | instskip(NEXT) | instid1(VALU_DEP_1)
	v_fma_f32 v9, -v6, v8, v4
	v_fmac_f32_e32 v8, v9, v7
	s_delay_alu instid0(VALU_DEP_1) | instskip(NEXT) | instid1(VALU_DEP_1)
	v_fma_f32 v4, -v6, v8, v4
	v_div_fmas_f32 v4, v4, v7, v8
	s_delay_alu instid0(VALU_DEP_1)
	v_div_fixup_f32 v4, v4, v5, |v1|
	v_bfi_b32 v5, 0x7fffffff, v3, v1
.LBB183_261:
	s_or_b32 exec_lo, exec_lo, s35
                                        ; implicit-def: $vgpr1
                                        ; implicit-def: $vgpr3
	s_and_saveexec_b32 s3, s2
	s_delay_alu instid0(SALU_CYCLE_1)
	s_xor_b32 s2, exec_lo, s3
	s_cbranch_execz .LBB183_267
; %bb.262:
	v_dual_mul_f32 v1, 0.5, v4 :: v_dual_mul_f32 v6, 0.5, v5
	s_delay_alu instid0(VALU_DEP_1) | instskip(NEXT) | instid1(VALU_DEP_2)
	v_cndmask_b32_e64 v3, v4, v1, s34
	v_cndmask_b32_e64 v1, v5, v6, s34
                                        ; implicit-def: $vgpr4
                                        ; implicit-def: $vgpr5
	s_and_not1_saveexec_b32 s2, s2
	s_cbranch_execnz .LBB183_268
	s_branch .LBB183_269
.LBB183_263:
	s_and_not1_saveexec_b32 s35, s35
	s_cbranch_execz .LBB183_265
.LBB183_264:
	v_sub_f32_e32 v3, v6, v3
	s_delay_alu instid0(VALU_DEP_1) | instskip(NEXT) | instid1(VALU_DEP_1)
	v_mul_f32_e32 v3, 0.5, v3
	v_mul_f32_e32 v4, 0x4f800000, v3
	v_cmp_gt_f32_e32 vcc_lo, 0xf800000, v3
	s_delay_alu instid0(VALU_DEP_2) | instskip(NEXT) | instid1(VALU_DEP_1)
	v_cndmask_b32_e32 v3, v3, v4, vcc_lo
	v_sqrt_f32_e32 v4, v3
	s_waitcnt_depctr 0xfff
	v_add_nc_u32_e32 v5, -1, v4
	v_add_nc_u32_e32 v6, 1, v4
	s_delay_alu instid0(VALU_DEP_2) | instskip(NEXT) | instid1(VALU_DEP_2)
	v_fma_f32 v7, -v5, v4, v3
	v_fma_f32 v8, -v6, v4, v3
	s_delay_alu instid0(VALU_DEP_2) | instskip(NEXT) | instid1(VALU_DEP_1)
	v_cmp_ge_f32_e64 s3, 0, v7
	v_cndmask_b32_e64 v4, v4, v5, s3
	s_delay_alu instid0(VALU_DEP_3) | instskip(NEXT) | instid1(VALU_DEP_1)
	v_cmp_lt_f32_e64 s3, 0, v8
	v_cndmask_b32_e64 v4, v4, v6, s3
	s_delay_alu instid0(VALU_DEP_1) | instskip(NEXT) | instid1(VALU_DEP_1)
	v_mul_f32_e32 v5, 0x37800000, v4
	v_cndmask_b32_e32 v4, v4, v5, vcc_lo
	v_cmp_class_f32_e64 vcc_lo, v3, 0x260
	s_delay_alu instid0(VALU_DEP_2) | instskip(NEXT) | instid1(VALU_DEP_1)
	v_dual_cndmask_b32 v3, v4, v3 :: v_dual_and_b32 v4, 0x7fffffff, v1
	v_add_f32_e32 v5, v3, v3
	s_delay_alu instid0(VALU_DEP_1) | instskip(SKIP_1) | instid1(VALU_DEP_2)
	v_div_scale_f32 v6, null, v5, v5, v4
	v_div_scale_f32 v4, vcc_lo, v4, v5, v4
	v_rcp_f32_e32 v7, v6
	s_waitcnt_depctr 0xfff
	v_fma_f32 v8, -v6, v7, 1.0
	s_delay_alu instid0(VALU_DEP_1) | instskip(NEXT) | instid1(VALU_DEP_1)
	v_fmac_f32_e32 v7, v8, v7
	v_mul_f32_e32 v8, v4, v7
	s_delay_alu instid0(VALU_DEP_1) | instskip(NEXT) | instid1(VALU_DEP_1)
	v_fma_f32 v9, -v6, v8, v4
	v_fmac_f32_e32 v8, v9, v7
	s_delay_alu instid0(VALU_DEP_1) | instskip(NEXT) | instid1(VALU_DEP_1)
	v_fma_f32 v4, -v6, v8, v4
	v_div_fmas_f32 v4, v4, v7, v8
	s_delay_alu instid0(VALU_DEP_1)
	v_div_fixup_f32 v4, v4, v5, |v1|
	v_bfi_b32 v5, 0x7fffffff, v3, v1
.LBB183_265:
	s_or_b32 exec_lo, exec_lo, s35
                                        ; implicit-def: $vgpr1
                                        ; implicit-def: $vgpr3
	s_and_saveexec_b32 s3, s2
	s_delay_alu instid0(SALU_CYCLE_1)
	s_xor_b32 s2, exec_lo, s3
	s_cbranch_execz .LBB183_316
; %bb.266:
	v_dual_mul_f32 v1, 0.5, v4 :: v_dual_mul_f32 v6, 0.5, v5
	s_delay_alu instid0(VALU_DEP_1) | instskip(NEXT) | instid1(VALU_DEP_2)
	v_cndmask_b32_e64 v3, v4, v1, s34
	v_cndmask_b32_e64 v1, v5, v6, s34
                                        ; implicit-def: $vgpr4
                                        ; implicit-def: $vgpr5
	s_and_not1_saveexec_b32 s2, s2
	s_cbranch_execnz .LBB183_317
	s_branch .LBB183_318
.LBB183_267:
	s_and_not1_saveexec_b32 s2, s2
.LBB183_268:
	v_add_f32_e32 v3, v4, v4
	v_add_f32_e32 v1, v5, v5
.LBB183_269:
	s_or_b32 exec_lo, exec_lo, s2
                                        ; implicit-def: $vgpr4
.LBB183_270:
	s_and_not1_saveexec_b32 s2, s33
	s_cbranch_execz .LBB183_276
; %bb.271:
	v_cmp_lt_i16_e32 vcc_lo, -1, v4
	v_sub_f32_e32 v4, v1, v1
	s_and_saveexec_b32 s3, vcc_lo
	s_delay_alu instid0(SALU_CYCLE_1)
	s_xor_b32 s3, exec_lo, s3
; %bb.272:
	s_delay_alu instid0(VALU_DEP_1)
	v_bfi_b32 v1, 0x7fffffff, v4, v1
                                        ; implicit-def: $vgpr4
; %bb.273:
	s_and_not1_saveexec_b32 s3, s3
; %bb.274:
	v_and_b32_e32 v4, 0x7fffffff, v4
	s_delay_alu instid0(VALU_DEP_2) | instskip(NEXT) | instid1(VALU_DEP_2)
	v_bfi_b32 v1, 0x7fffffff, v3, v1
	v_mov_b32_e32 v3, v4
; %bb.275:
	s_or_b32 exec_lo, exec_lo, s3
.LBB183_276:
	s_delay_alu instid0(SALU_CYCLE_1)
	s_or_b32 exec_lo, exec_lo, s2
.LBB183_277:
	s_and_not1_saveexec_b32 s2, s31
; %bb.278:
	v_sub_f32_e32 v1, v1, v1
	s_delay_alu instid0(VALU_DEP_1) | instskip(NEXT) | instid1(VALU_DEP_1)
	v_div_scale_f32 v4, vcc_lo, v1, v1, v1
	v_rcp_f32_e32 v5, v4
	s_waitcnt_depctr 0xfff
	v_fma_f32 v6, -v4, v5, 1.0
	s_delay_alu instid0(VALU_DEP_1) | instskip(NEXT) | instid1(VALU_DEP_1)
	v_fmac_f32_e32 v5, v6, v5
	v_mul_f32_e32 v6, v4, v5
	s_delay_alu instid0(VALU_DEP_1) | instskip(NEXT) | instid1(VALU_DEP_1)
	v_fma_f32 v7, -v4, v6, v4
	v_fmac_f32_e32 v6, v7, v5
	s_delay_alu instid0(VALU_DEP_1) | instskip(NEXT) | instid1(VALU_DEP_1)
	v_fma_f32 v4, -v4, v6, v4
	v_div_fmas_f32 v4, v4, v5, v6
	s_delay_alu instid0(VALU_DEP_1)
	v_div_fixup_f32 v1, v4, v1, v1
; %bb.279:
	s_or_b32 exec_lo, exec_lo, s2
.LBB183_280:
	s_delay_alu instid0(SALU_CYCLE_1)
	s_or_b32 exec_lo, exec_lo, s21
.LBB183_281:
	s_delay_alu instid0(SALU_CYCLE_1)
	s_or_b32 exec_lo, exec_lo, s20
	v_cmp_gt_f32_e32 vcc_lo, 0, v3
                                        ; implicit-def: $vgpr7
                                        ; implicit-def: $vgpr6
	s_mov_b32 s2, exec_lo
	v_cndmask_b32_e64 v4, v3, -v3, vcc_lo
	v_cmp_gt_f32_e32 vcc_lo, 0, v1
	v_cndmask_b32_e64 v5, v1, -v1, vcc_lo
	s_delay_alu instid0(VALU_DEP_1)
	v_cmpx_ge_f32_e32 v4, v5
	s_xor_b32 s3, exec_lo, s2
	s_cbranch_execz .LBB183_287
; %bb.282:
	v_cmp_neq_f32_e32 vcc_lo, 0, v3
	v_cmp_neq_f32_e64 s2, 0, v1
                                        ; implicit-def: $vgpr7
                                        ; implicit-def: $vgpr6
	s_delay_alu instid0(VALU_DEP_1) | instskip(NEXT) | instid1(SALU_CYCLE_1)
	s_or_b32 s2, vcc_lo, s2
	s_and_saveexec_b32 s20, s2
	s_delay_alu instid0(SALU_CYCLE_1)
	s_xor_b32 s2, exec_lo, s20
	s_cbranch_execz .LBB183_284
; %bb.283:
	v_div_scale_f32 v4, null, v3, v3, v1
	v_div_scale_f32 v7, vcc_lo, v1, v3, v1
	s_delay_alu instid0(VALU_DEP_2) | instskip(SKIP_2) | instid1(VALU_DEP_1)
	v_rcp_f32_e32 v5, v4
	s_waitcnt_depctr 0xfff
	v_fma_f32 v6, -v4, v5, 1.0
	v_fmac_f32_e32 v5, v6, v5
	s_delay_alu instid0(VALU_DEP_1) | instskip(NEXT) | instid1(VALU_DEP_1)
	v_mul_f32_e32 v6, v7, v5
	v_fma_f32 v8, -v4, v6, v7
	s_delay_alu instid0(VALU_DEP_1) | instskip(NEXT) | instid1(VALU_DEP_1)
	v_fmac_f32_e32 v6, v8, v5
	v_fma_f32 v4, -v4, v6, v7
	s_delay_alu instid0(VALU_DEP_1) | instskip(NEXT) | instid1(VALU_DEP_1)
	v_div_fmas_f32 v4, v4, v5, v6
	v_div_fixup_f32 v4, v4, v3, v1
	s_delay_alu instid0(VALU_DEP_1) | instskip(NEXT) | instid1(VALU_DEP_1)
	v_fmac_f32_e32 v3, v1, v4
	v_div_scale_f32 v1, null, v3, v3, 1.0
	v_div_scale_f32 v7, vcc_lo, 1.0, v3, 1.0
	s_delay_alu instid0(VALU_DEP_2) | instskip(SKIP_2) | instid1(VALU_DEP_1)
	v_rcp_f32_e32 v5, v1
	s_waitcnt_depctr 0xfff
	v_fma_f32 v6, -v1, v5, 1.0
	v_fmac_f32_e32 v5, v6, v5
	s_delay_alu instid0(VALU_DEP_1) | instskip(NEXT) | instid1(VALU_DEP_1)
	v_mul_f32_e32 v6, v7, v5
	v_fma_f32 v8, -v1, v6, v7
	s_delay_alu instid0(VALU_DEP_1) | instskip(NEXT) | instid1(VALU_DEP_1)
	v_fmac_f32_e32 v6, v8, v5
	v_fma_f32 v1, -v1, v6, v7
	s_delay_alu instid0(VALU_DEP_1) | instskip(SKIP_1) | instid1(VALU_DEP_2)
	v_div_fmas_f32 v1, v1, v5, v6
	v_fma_f32 v5, v4, 0, 1.0
	v_div_fixup_f32 v1, v1, v3, 1.0
	s_delay_alu instid0(VALU_DEP_1)
	v_mul_f32_e32 v6, v5, v1
	v_mul_f32_e64 v7, -v4, v1
                                        ; implicit-def: $vgpr4
                                        ; implicit-def: $vgpr5
.LBB183_284:
	s_and_not1_saveexec_b32 s20, s2
	s_cbranch_execz .LBB183_286
; %bb.285:
	v_div_scale_f32 v1, null, v4, v4, 1.0
	v_div_scale_f32 v3, null, v5, v5, 0
	v_div_scale_f32 v10, vcc_lo, 1.0, v4, 1.0
	s_delay_alu instid0(VALU_DEP_3) | instskip(NEXT) | instid1(VALU_DEP_2)
	v_rcp_f32_e32 v6, v1
	v_rcp_f32_e32 v7, v3
	s_waitcnt_depctr 0xfff
	v_fma_f32 v8, -v1, v6, 1.0
	v_fma_f32 v9, -v3, v7, 1.0
	s_delay_alu instid0(VALU_DEP_1) | instskip(SKIP_1) | instid1(VALU_DEP_2)
	v_dual_fmac_f32 v6, v8, v6 :: v_dual_fmac_f32 v7, v9, v7
	v_div_scale_f32 v8, s2, 0, v5, 0
	v_mul_f32_e32 v9, v10, v6
	s_delay_alu instid0(VALU_DEP_2) | instskip(NEXT) | instid1(VALU_DEP_2)
	v_mul_f32_e32 v11, v8, v7
	v_fma_f32 v12, -v1, v9, v10
	s_delay_alu instid0(VALU_DEP_2) | instskip(NEXT) | instid1(VALU_DEP_2)
	v_fma_f32 v13, -v3, v11, v8
	v_fmac_f32_e32 v9, v12, v6
	s_delay_alu instid0(VALU_DEP_2) | instskip(NEXT) | instid1(VALU_DEP_2)
	v_fmac_f32_e32 v11, v13, v7
	v_fma_f32 v1, -v1, v9, v10
	s_delay_alu instid0(VALU_DEP_2) | instskip(NEXT) | instid1(VALU_DEP_2)
	v_fma_f32 v3, -v3, v11, v8
	v_div_fmas_f32 v1, v1, v6, v9
	s_mov_b32 vcc_lo, s2
	s_delay_alu instid0(VALU_DEP_2) | instskip(NEXT) | instid1(VALU_DEP_2)
	v_div_fmas_f32 v3, v3, v7, v11
	v_div_fixup_f32 v6, v1, v4, 1.0
	s_delay_alu instid0(VALU_DEP_2)
	v_div_fixup_f32 v7, v3, v5, 0
.LBB183_286:
	s_or_b32 exec_lo, exec_lo, s20
                                        ; implicit-def: $vgpr1
                                        ; implicit-def: $vgpr3
.LBB183_287:
	s_and_not1_saveexec_b32 s2, s3
	s_cbranch_execz .LBB183_289
; %bb.288:
	v_div_scale_f32 v4, null, v1, v1, v3
	v_div_scale_f32 v7, vcc_lo, v3, v1, v3
	s_delay_alu instid0(VALU_DEP_2) | instskip(SKIP_2) | instid1(VALU_DEP_1)
	v_rcp_f32_e32 v5, v4
	s_waitcnt_depctr 0xfff
	v_fma_f32 v6, -v4, v5, 1.0
	v_fmac_f32_e32 v5, v6, v5
	s_delay_alu instid0(VALU_DEP_1) | instskip(NEXT) | instid1(VALU_DEP_1)
	v_mul_f32_e32 v6, v7, v5
	v_fma_f32 v8, -v4, v6, v7
	s_delay_alu instid0(VALU_DEP_1) | instskip(NEXT) | instid1(VALU_DEP_1)
	v_fmac_f32_e32 v6, v8, v5
	v_fma_f32 v4, -v4, v6, v7
	s_delay_alu instid0(VALU_DEP_1) | instskip(NEXT) | instid1(VALU_DEP_1)
	v_div_fmas_f32 v4, v4, v5, v6
	v_div_fixup_f32 v4, v4, v1, v3
	s_delay_alu instid0(VALU_DEP_1) | instskip(NEXT) | instid1(VALU_DEP_1)
	v_fmac_f32_e32 v1, v3, v4
	v_div_scale_f32 v3, null, v1, v1, 1.0
	v_div_scale_f32 v7, vcc_lo, 1.0, v1, 1.0
	s_delay_alu instid0(VALU_DEP_2) | instskip(SKIP_2) | instid1(VALU_DEP_1)
	v_rcp_f32_e32 v5, v3
	s_waitcnt_depctr 0xfff
	v_fma_f32 v6, -v3, v5, 1.0
	v_fmac_f32_e32 v5, v6, v5
	s_delay_alu instid0(VALU_DEP_1) | instskip(NEXT) | instid1(VALU_DEP_1)
	v_mul_f32_e32 v6, v7, v5
	v_fma_f32 v8, -v3, v6, v7
	s_delay_alu instid0(VALU_DEP_1) | instskip(NEXT) | instid1(VALU_DEP_1)
	v_fmac_f32_e32 v6, v8, v5
	v_fma_f32 v3, -v3, v6, v7
	s_delay_alu instid0(VALU_DEP_1) | instskip(SKIP_1) | instid1(VALU_DEP_2)
	v_div_fmas_f32 v3, v3, v5, v6
	v_add_f32_e32 v5, 0, v4
	v_div_fixup_f32 v1, v3, v1, 1.0
	v_fma_f32 v3, v4, 0, -1.0
	s_delay_alu instid0(VALU_DEP_2) | instskip(NEXT) | instid1(VALU_DEP_2)
	v_mul_f32_e32 v6, v5, v1
	v_mul_f32_e32 v7, v3, v1
.LBB183_289:
	s_or_b32 exec_lo, exec_lo, s2
	s_delay_alu instid0(VALU_DEP_1) | instskip(NEXT) | instid1(VALU_DEP_3)
	v_cvt_f16_f32_e32 v1, v7
	v_cvt_f16_f32_e32 v3, v6
	v_add_nc_u32_e32 v2, 0x80, v2
	s_delay_alu instid0(VALU_DEP_3) | instskip(NEXT) | instid1(VALU_DEP_3)
	v_lshlrev_b32_e32 v1, 16, v1
	v_and_b32_e32 v3, 0xffff, v3
	s_delay_alu instid0(VALU_DEP_1) | instskip(SKIP_2) | instid1(SALU_CYCLE_1)
	v_or_b32_e32 v1, v1, v3
	global_store_b32 v0, v1, s[4:5]
	s_or_b32 exec_lo, exec_lo, s30
	s_mov_b32 s30, exec_lo
	v_cmpx_gt_i32_e64 s27, v2
	s_cbranch_execnz .LBB183_15
.LBB183_290:
	s_or_b32 exec_lo, exec_lo, s30
	s_delay_alu instid0(SALU_CYCLE_1)
	s_mov_b32 s30, exec_lo
	v_cmpx_gt_i32_e64 s27, v2
	s_cbranch_execz .LBB183_339
.LBB183_291:
	s_and_not1_b32 vcc_lo, exec_lo, s24
	s_cbranch_vccnz .LBB183_296
; %bb.292:
	v_dual_mov_b32 v0, 0 :: v_dual_mov_b32 v1, 0
	s_and_not1_b32 vcc_lo, exec_lo, s29
	s_mov_b32 s31, 0
	s_cbranch_vccnz .LBB183_301
; %bb.293:
	v_mov_b32_e32 v0, 0
	s_add_i32 s34, s28, 1
	s_cmp_eq_u32 s23, 2
	s_mov_b32 s33, 0
	s_cbranch_scc1 .LBB183_297
; %bb.294:
	v_dual_mov_b32 v1, 0 :: v_dual_mov_b32 v0, 0
	v_mov_b32_e32 v3, v2
	s_and_b32 s33, s34, 28
	s_mov_b32 s35, 0
	s_mov_b64 s[2:3], s[18:19]
	s_mov_b64 s[20:21], s[0:1]
.LBB183_295:                            ; =>This Inner Loop Header: Depth=1
	s_clause 0x1
	s_load_b256 s[36:43], s[20:21], 0x4
	s_load_b128 s[52:55], s[20:21], 0x24
	s_load_b256 s[44:51], s[2:3], 0x0
	s_add_u32 s20, s20, 48
	s_addc_u32 s21, s21, 0
	s_add_i32 s35, s35, 4
	s_add_u32 s2, s2, 32
	s_addc_u32 s3, s3, 0
	s_cmp_eq_u32 s33, s35
	s_waitcnt lgkmcnt(0)
	v_mul_hi_u32 v4, s37, v3
	s_delay_alu instid0(VALU_DEP_1) | instskip(NEXT) | instid1(VALU_DEP_1)
	v_add_nc_u32_e32 v4, v3, v4
	v_lshrrev_b32_e32 v4, s38, v4
	s_delay_alu instid0(VALU_DEP_1) | instskip(SKIP_1) | instid1(VALU_DEP_2)
	v_mul_hi_u32 v5, s40, v4
	v_mul_lo_u32 v7, v4, s36
	v_add_nc_u32_e32 v5, v4, v5
	s_delay_alu instid0(VALU_DEP_2) | instskip(NEXT) | instid1(VALU_DEP_2)
	v_sub_nc_u32_e32 v3, v3, v7
	v_lshrrev_b32_e32 v5, s41, v5
	s_delay_alu instid0(VALU_DEP_2) | instskip(SKIP_1) | instid1(VALU_DEP_3)
	v_mul_lo_u32 v7, v3, s44
	v_mul_lo_u32 v9, v3, s45
	v_mul_hi_u32 v6, s43, v5
	s_delay_alu instid0(VALU_DEP_1) | instskip(NEXT) | instid1(VALU_DEP_1)
	v_add_nc_u32_e32 v6, v5, v6
	v_lshrrev_b32_e32 v6, s52, v6
	s_delay_alu instid0(VALU_DEP_1) | instskip(SKIP_1) | instid1(VALU_DEP_2)
	v_mul_hi_u32 v8, s54, v6
	v_mul_lo_u32 v10, v6, s42
	v_add_nc_u32_e32 v3, v6, v8
	v_mul_lo_u32 v8, v5, s39
	s_delay_alu instid0(VALU_DEP_3) | instskip(NEXT) | instid1(VALU_DEP_3)
	v_sub_nc_u32_e32 v5, v5, v10
	v_lshrrev_b32_e32 v3, s55, v3
	s_delay_alu instid0(VALU_DEP_2) | instskip(SKIP_2) | instid1(VALU_DEP_4)
	v_mul_lo_u32 v10, v5, s48
	v_mul_lo_u32 v5, v5, s49
	v_sub_nc_u32_e32 v4, v4, v8
	v_mul_lo_u32 v11, v3, s53
	s_delay_alu instid0(VALU_DEP_2) | instskip(SKIP_1) | instid1(VALU_DEP_3)
	v_mul_lo_u32 v8, v4, s46
	v_mul_lo_u32 v4, v4, s47
	v_sub_nc_u32_e32 v6, v6, v11
	s_delay_alu instid0(VALU_DEP_3) | instskip(NEXT) | instid1(VALU_DEP_2)
	v_add3_u32 v0, v7, v0, v8
	v_mul_lo_u32 v11, v6, s50
	v_mul_lo_u32 v6, v6, s51
	v_add3_u32 v1, v9, v1, v4
	s_delay_alu instid0(VALU_DEP_3) | instskip(NEXT) | instid1(VALU_DEP_2)
	v_add3_u32 v0, v10, v0, v11
	v_add3_u32 v1, v5, v1, v6
	s_cbranch_scc0 .LBB183_295
	s_branch .LBB183_298
.LBB183_296:
	s_mov_b32 s31, -1
                                        ; implicit-def: $vgpr0
                                        ; implicit-def: $vgpr1
	s_branch .LBB183_301
.LBB183_297:
	v_mov_b32_e32 v3, v2
	v_mov_b32_e32 v1, 0
.LBB183_298:
	s_and_b32 s34, s34, 3
	s_delay_alu instid0(SALU_CYCLE_1)
	s_cmp_eq_u32 s34, 0
	s_cbranch_scc1 .LBB183_301
; %bb.299:
	s_lshl_b32 s2, s33, 3
	s_mul_i32 s20, s33, 12
	s_add_u32 s2, s2, s0
	s_addc_u32 s3, s1, 0
	s_add_u32 s2, s2, 0xc4
	s_addc_u32 s3, s3, 0
	;; [unrolled: 2-line block ×3, first 2 shown]
	.p2align	6
.LBB183_300:                            ; =>This Inner Loop Header: Depth=1
	s_clause 0x1
	s_load_b64 s[36:37], s[20:21], 0x4
	s_load_b32 s33, s[20:21], 0xc
	s_load_b64 s[38:39], s[2:3], 0x0
	s_add_u32 s20, s20, 12
	s_addc_u32 s21, s21, 0
	s_add_u32 s2, s2, 8
	s_addc_u32 s3, s3, 0
	s_add_i32 s34, s34, -1
	s_delay_alu instid0(SALU_CYCLE_1) | instskip(SKIP_2) | instid1(VALU_DEP_1)
	s_cmp_lg_u32 s34, 0
	s_waitcnt lgkmcnt(0)
	v_mul_hi_u32 v4, s37, v3
	v_add_nc_u32_e32 v4, v3, v4
	s_delay_alu instid0(VALU_DEP_1) | instskip(NEXT) | instid1(VALU_DEP_1)
	v_lshrrev_b32_e32 v7, s33, v4
	v_mul_lo_u32 v4, v7, s36
	s_delay_alu instid0(VALU_DEP_1) | instskip(NEXT) | instid1(VALU_DEP_1)
	v_sub_nc_u32_e32 v3, v3, v4
	v_mad_u64_u32 v[4:5], null, v3, s38, v[0:1]
	v_mad_u64_u32 v[5:6], null, v3, s39, v[1:2]
	s_delay_alu instid0(VALU_DEP_2) | instskip(NEXT) | instid1(VALU_DEP_2)
	v_dual_mov_b32 v3, v7 :: v_dual_mov_b32 v0, v4
	v_mov_b32_e32 v1, v5
	s_cbranch_scc1 .LBB183_300
.LBB183_301:
	s_and_not1_b32 vcc_lo, exec_lo, s31
	s_cbranch_vccnz .LBB183_304
; %bb.302:
	s_waitcnt lgkmcnt(0)
	v_mul_hi_u32 v0, s13, v2
	s_and_not1_b32 vcc_lo, exec_lo, s26
	s_delay_alu instid0(VALU_DEP_1) | instskip(NEXT) | instid1(VALU_DEP_1)
	v_add_nc_u32_e32 v0, v2, v0
	v_lshrrev_b32_e32 v3, s14, v0
	s_delay_alu instid0(VALU_DEP_1) | instskip(NEXT) | instid1(VALU_DEP_1)
	v_mul_lo_u32 v0, v3, s12
	v_sub_nc_u32_e32 v1, v2, v0
	s_delay_alu instid0(VALU_DEP_1)
	v_mul_lo_u32 v0, v1, s8
	v_mul_lo_u32 v1, v1, s9
	s_cbranch_vccnz .LBB183_304
; %bb.303:
	v_mul_hi_u32 v4, s16, v3
	s_delay_alu instid0(VALU_DEP_1) | instskip(NEXT) | instid1(VALU_DEP_1)
	v_add_nc_u32_e32 v4, v3, v4
	v_lshrrev_b32_e32 v4, s17, v4
	s_delay_alu instid0(VALU_DEP_1) | instskip(NEXT) | instid1(VALU_DEP_1)
	v_mul_lo_u32 v4, v4, s15
	v_sub_nc_u32_e32 v6, v3, v4
	s_delay_alu instid0(VALU_DEP_1) | instskip(SKIP_1) | instid1(VALU_DEP_1)
	v_mad_u64_u32 v[3:4], null, v6, s10, v[0:1]
	v_mad_u64_u32 v[4:5], null, v6, s11, v[1:2]
	v_dual_mov_b32 v0, v3 :: v_dual_mov_b32 v1, v4
.LBB183_304:
	s_waitcnt lgkmcnt(0)
	global_load_b32 v4, v1, s[6:7]
	v_mov_b32_e32 v3, 0
	s_waitcnt vmcnt(0)
	v_lshrrev_b32_e32 v1, 16, v4
	v_cmp_neq_f16_e32 vcc_lo, 0, v4
	s_delay_alu instid0(VALU_DEP_2) | instskip(SKIP_1) | instid1(VALU_DEP_2)
	v_cmp_neq_f16_e64 s2, 0, v1
	v_cvt_f32_f16_e32 v1, v1
	s_or_b32 s2, vcc_lo, s2
	s_delay_alu instid0(SALU_CYCLE_1)
	s_and_saveexec_b32 s20, s2
	s_cbranch_execz .LBB183_360
; %bb.305:
	v_mov_b32_e32 v3, 0x7f800000
	s_mov_b32 s21, exec_lo
	v_cmpx_neq_f32_e64 0x7f800000, |v1|
	s_cbranch_execz .LBB183_359
; %bb.306:
	v_cvt_f32_f16_e32 v3, v4
	s_mov_b32 s2, exec_lo
	v_cmpx_o_f16_e32 v4, v4
	s_xor_b32 s31, exec_lo, s2
	s_cbranch_execz .LBB183_356
; %bb.307:
	s_mov_b32 s3, exec_lo
	v_cmpx_neq_f32_e64 0x7f800000, |v3|
	s_xor_b32 s33, exec_lo, s3
	s_cbranch_execz .LBB183_349
; %bb.308:
	v_max_f32_e64 v4, |v1|, |v1|
	v_max_f32_e64 v5, |v3|, |v3|
                                        ; implicit-def: $sgpr34
	s_delay_alu instid0(VALU_DEP_1) | instskip(NEXT) | instid1(VALU_DEP_1)
	v_max_f32_e32 v4, v5, v4
	v_cmp_nle_f32_e64 s2, 0x7ed413cb, v4
	s_delay_alu instid0(VALU_DEP_1) | instskip(NEXT) | instid1(SALU_CYCLE_1)
	s_and_saveexec_b32 s3, s2
	s_xor_b32 s3, exec_lo, s3
	s_cbranch_execz .LBB183_312
; %bb.309:
	v_cmp_ge_f32_e64 s34, 0x1000000, |v3|
	v_cmp_ge_f32_e64 s35, 0x1000000, |v1|
	s_delay_alu instid0(VALU_DEP_1)
	s_and_b32 s36, s34, s35
	s_mov_b32 s34, 0
	s_and_saveexec_b32 s35, s36
; %bb.310:
	v_mul_f32_e32 v1, 4.0, v1
	v_mul_f32_e32 v3, 4.0, v3
	s_mov_b32 s34, exec_lo
; %bb.311:
	s_or_b32 exec_lo, exec_lo, s35
	s_delay_alu instid0(SALU_CYCLE_1)
	s_and_b32 s34, s34, exec_lo
.LBB183_312:
	s_and_not1_saveexec_b32 s3, s3
; %bb.313:
	v_mul_f32_e32 v3, 0x3e800000, v3
	v_mul_f32_e32 v1, 0x3e800000, v1
	s_and_not1_b32 s34, s34, exec_lo
; %bb.314:
	s_or_b32 exec_lo, exec_lo, s3
	s_delay_alu instid0(VALU_DEP_1) | instskip(SKIP_1) | instid1(VALU_DEP_1)
	v_max_f32_e64 v4, |v1|, |v1|
	v_max_f32_e64 v5, |v3|, |v3|
	v_max_f32_e32 v6, v5, v4
	s_delay_alu instid0(VALU_DEP_1) | instskip(NEXT) | instid1(VALU_DEP_1)
	v_cvt_f64_f32_e32 v[4:5], v6
	v_frexp_exp_i32_f64_e32 v4, v[4:5]
	s_delay_alu instid0(VALU_DEP_1) | instskip(NEXT) | instid1(VALU_DEP_1)
	v_sub_nc_u32_e32 v5, 0, v4
	v_ldexp_f32 v7, |v1|, v5
	v_ldexp_f32 v5, |v3|, v5
	s_delay_alu instid0(VALU_DEP_2) | instskip(SKIP_1) | instid1(VALU_DEP_2)
	v_mul_f32_e32 v7, v7, v7
	v_cmp_neq_f32_e64 s3, 0x7f800000, v6
	v_fmac_f32_e32 v7, v5, v5
	s_delay_alu instid0(VALU_DEP_1) | instskip(SKIP_2) | instid1(VALU_DEP_1)
	v_sqrt_f32_e32 v5, v7
	s_waitcnt_depctr 0xfff
	v_ldexp_f32 v4, v5, v4
                                        ; implicit-def: $vgpr5
	v_cndmask_b32_e64 v6, 0x7f800000, v4, s3
                                        ; implicit-def: $vgpr4
	s_mov_b32 s3, exec_lo
	v_cmpx_le_f32_e32 0, v3
	s_xor_b32 s35, exec_lo, s3
	s_cbranch_execz .LBB183_342
; %bb.315:
	v_add_f32_e32 v3, v3, v6
	s_delay_alu instid0(VALU_DEP_1) | instskip(NEXT) | instid1(VALU_DEP_1)
	v_mul_f32_e32 v3, 0.5, v3
	v_mul_f32_e32 v4, 0x4f800000, v3
	v_cmp_gt_f32_e32 vcc_lo, 0xf800000, v3
	s_delay_alu instid0(VALU_DEP_2) | instskip(NEXT) | instid1(VALU_DEP_1)
	v_cndmask_b32_e32 v3, v3, v4, vcc_lo
	v_sqrt_f32_e32 v4, v3
	s_waitcnt_depctr 0xfff
	v_add_nc_u32_e32 v5, -1, v4
	v_add_nc_u32_e32 v6, 1, v4
	s_delay_alu instid0(VALU_DEP_2) | instskip(NEXT) | instid1(VALU_DEP_2)
	v_fma_f32 v7, -v5, v4, v3
	v_fma_f32 v8, -v6, v4, v3
	s_delay_alu instid0(VALU_DEP_2) | instskip(NEXT) | instid1(VALU_DEP_1)
	v_cmp_ge_f32_e64 s3, 0, v7
	v_cndmask_b32_e64 v4, v4, v5, s3
	s_delay_alu instid0(VALU_DEP_3) | instskip(NEXT) | instid1(VALU_DEP_1)
	v_cmp_lt_f32_e64 s3, 0, v8
	v_cndmask_b32_e64 v4, v4, v6, s3
	s_delay_alu instid0(VALU_DEP_1) | instskip(NEXT) | instid1(VALU_DEP_1)
	v_mul_f32_e32 v5, 0x37800000, v4
	v_cndmask_b32_e32 v4, v4, v5, vcc_lo
	v_cmp_class_f32_e64 vcc_lo, v3, 0x260
	s_delay_alu instid0(VALU_DEP_2) | instskip(NEXT) | instid1(VALU_DEP_1)
	v_cndmask_b32_e32 v4, v4, v3, vcc_lo
	v_add_f32_e32 v3, v4, v4
	s_delay_alu instid0(VALU_DEP_1) | instskip(NEXT) | instid1(VALU_DEP_1)
	v_div_scale_f32 v5, null, v3, v3, v1
	v_rcp_f32_e32 v6, v5
	s_waitcnt_depctr 0xfff
	v_fma_f32 v7, -v5, v6, 1.0
	s_delay_alu instid0(VALU_DEP_1) | instskip(SKIP_1) | instid1(VALU_DEP_1)
	v_fmac_f32_e32 v6, v7, v6
	v_div_scale_f32 v7, vcc_lo, v1, v3, v1
	v_mul_f32_e32 v8, v7, v6
	s_delay_alu instid0(VALU_DEP_1) | instskip(NEXT) | instid1(VALU_DEP_1)
	v_fma_f32 v9, -v5, v8, v7
	v_fmac_f32_e32 v8, v9, v6
	s_delay_alu instid0(VALU_DEP_1) | instskip(NEXT) | instid1(VALU_DEP_1)
	v_fma_f32 v5, -v5, v8, v7
	v_div_fmas_f32 v5, v5, v6, v8
                                        ; implicit-def: $vgpr6
	s_delay_alu instid0(VALU_DEP_1)
	v_div_fixup_f32 v5, v5, v3, v1
                                        ; implicit-def: $vgpr3
                                        ; implicit-def: $vgpr1
	s_and_not1_saveexec_b32 s35, s35
	s_cbranch_execz .LBB183_344
	s_branch .LBB183_343
.LBB183_316:
	s_and_not1_saveexec_b32 s2, s2
.LBB183_317:
	v_add_f32_e32 v3, v4, v4
	v_add_f32_e32 v1, v5, v5
.LBB183_318:
	s_or_b32 exec_lo, exec_lo, s2
                                        ; implicit-def: $vgpr4
.LBB183_319:
	s_and_not1_saveexec_b32 s2, s33
	s_cbranch_execz .LBB183_325
; %bb.320:
	v_cmp_lt_i16_e32 vcc_lo, -1, v4
	v_sub_f32_e32 v4, v1, v1
	s_and_saveexec_b32 s3, vcc_lo
	s_delay_alu instid0(SALU_CYCLE_1)
	s_xor_b32 s3, exec_lo, s3
; %bb.321:
	s_delay_alu instid0(VALU_DEP_1)
	v_bfi_b32 v1, 0x7fffffff, v4, v1
                                        ; implicit-def: $vgpr4
; %bb.322:
	s_and_not1_saveexec_b32 s3, s3
; %bb.323:
	v_and_b32_e32 v4, 0x7fffffff, v4
	s_delay_alu instid0(VALU_DEP_2) | instskip(NEXT) | instid1(VALU_DEP_2)
	v_bfi_b32 v1, 0x7fffffff, v3, v1
	v_mov_b32_e32 v3, v4
; %bb.324:
	s_or_b32 exec_lo, exec_lo, s3
.LBB183_325:
	s_delay_alu instid0(SALU_CYCLE_1)
	s_or_b32 exec_lo, exec_lo, s2
.LBB183_326:
	s_and_not1_saveexec_b32 s2, s31
; %bb.327:
	v_sub_f32_e32 v1, v1, v1
	s_delay_alu instid0(VALU_DEP_1) | instskip(NEXT) | instid1(VALU_DEP_1)
	v_div_scale_f32 v4, vcc_lo, v1, v1, v1
	v_rcp_f32_e32 v5, v4
	s_waitcnt_depctr 0xfff
	v_fma_f32 v6, -v4, v5, 1.0
	s_delay_alu instid0(VALU_DEP_1) | instskip(NEXT) | instid1(VALU_DEP_1)
	v_fmac_f32_e32 v5, v6, v5
	v_mul_f32_e32 v6, v4, v5
	s_delay_alu instid0(VALU_DEP_1) | instskip(NEXT) | instid1(VALU_DEP_1)
	v_fma_f32 v7, -v4, v6, v4
	v_fmac_f32_e32 v6, v7, v5
	s_delay_alu instid0(VALU_DEP_1) | instskip(NEXT) | instid1(VALU_DEP_1)
	v_fma_f32 v4, -v4, v6, v4
	v_div_fmas_f32 v4, v4, v5, v6
	s_delay_alu instid0(VALU_DEP_1)
	v_div_fixup_f32 v1, v4, v1, v1
; %bb.328:
	s_or_b32 exec_lo, exec_lo, s2
.LBB183_329:
	s_delay_alu instid0(SALU_CYCLE_1)
	s_or_b32 exec_lo, exec_lo, s21
.LBB183_330:
	s_delay_alu instid0(SALU_CYCLE_1)
	s_or_b32 exec_lo, exec_lo, s20
	v_cmp_gt_f32_e32 vcc_lo, 0, v3
                                        ; implicit-def: $vgpr7
                                        ; implicit-def: $vgpr6
	s_mov_b32 s2, exec_lo
	v_cndmask_b32_e64 v4, v3, -v3, vcc_lo
	v_cmp_gt_f32_e32 vcc_lo, 0, v1
	v_cndmask_b32_e64 v5, v1, -v1, vcc_lo
	s_delay_alu instid0(VALU_DEP_1)
	v_cmpx_ge_f32_e32 v4, v5
	s_xor_b32 s3, exec_lo, s2
	s_cbranch_execz .LBB183_336
; %bb.331:
	v_cmp_neq_f32_e32 vcc_lo, 0, v3
	v_cmp_neq_f32_e64 s2, 0, v1
                                        ; implicit-def: $vgpr7
                                        ; implicit-def: $vgpr6
	s_delay_alu instid0(VALU_DEP_1) | instskip(NEXT) | instid1(SALU_CYCLE_1)
	s_or_b32 s2, vcc_lo, s2
	s_and_saveexec_b32 s20, s2
	s_delay_alu instid0(SALU_CYCLE_1)
	s_xor_b32 s2, exec_lo, s20
	s_cbranch_execz .LBB183_333
; %bb.332:
	v_div_scale_f32 v4, null, v3, v3, v1
	v_div_scale_f32 v7, vcc_lo, v1, v3, v1
	s_delay_alu instid0(VALU_DEP_2) | instskip(SKIP_2) | instid1(VALU_DEP_1)
	v_rcp_f32_e32 v5, v4
	s_waitcnt_depctr 0xfff
	v_fma_f32 v6, -v4, v5, 1.0
	v_fmac_f32_e32 v5, v6, v5
	s_delay_alu instid0(VALU_DEP_1) | instskip(NEXT) | instid1(VALU_DEP_1)
	v_mul_f32_e32 v6, v7, v5
	v_fma_f32 v8, -v4, v6, v7
	s_delay_alu instid0(VALU_DEP_1) | instskip(NEXT) | instid1(VALU_DEP_1)
	v_fmac_f32_e32 v6, v8, v5
	v_fma_f32 v4, -v4, v6, v7
	s_delay_alu instid0(VALU_DEP_1) | instskip(NEXT) | instid1(VALU_DEP_1)
	v_div_fmas_f32 v4, v4, v5, v6
	v_div_fixup_f32 v4, v4, v3, v1
	s_delay_alu instid0(VALU_DEP_1) | instskip(NEXT) | instid1(VALU_DEP_1)
	v_fmac_f32_e32 v3, v1, v4
	v_div_scale_f32 v1, null, v3, v3, 1.0
	v_div_scale_f32 v7, vcc_lo, 1.0, v3, 1.0
	s_delay_alu instid0(VALU_DEP_2) | instskip(SKIP_2) | instid1(VALU_DEP_1)
	v_rcp_f32_e32 v5, v1
	s_waitcnt_depctr 0xfff
	v_fma_f32 v6, -v1, v5, 1.0
	v_fmac_f32_e32 v5, v6, v5
	s_delay_alu instid0(VALU_DEP_1) | instskip(NEXT) | instid1(VALU_DEP_1)
	v_mul_f32_e32 v6, v7, v5
	v_fma_f32 v8, -v1, v6, v7
	s_delay_alu instid0(VALU_DEP_1) | instskip(NEXT) | instid1(VALU_DEP_1)
	v_fmac_f32_e32 v6, v8, v5
	v_fma_f32 v1, -v1, v6, v7
	s_delay_alu instid0(VALU_DEP_1) | instskip(SKIP_1) | instid1(VALU_DEP_2)
	v_div_fmas_f32 v1, v1, v5, v6
	v_fma_f32 v5, v4, 0, 1.0
	v_div_fixup_f32 v1, v1, v3, 1.0
	s_delay_alu instid0(VALU_DEP_1)
	v_mul_f32_e32 v6, v5, v1
	v_mul_f32_e64 v7, -v4, v1
                                        ; implicit-def: $vgpr4
                                        ; implicit-def: $vgpr5
.LBB183_333:
	s_and_not1_saveexec_b32 s20, s2
	s_cbranch_execz .LBB183_335
; %bb.334:
	v_div_scale_f32 v1, null, v4, v4, 1.0
	v_div_scale_f32 v3, null, v5, v5, 0
	v_div_scale_f32 v10, vcc_lo, 1.0, v4, 1.0
	s_delay_alu instid0(VALU_DEP_3) | instskip(NEXT) | instid1(VALU_DEP_2)
	v_rcp_f32_e32 v6, v1
	v_rcp_f32_e32 v7, v3
	s_waitcnt_depctr 0xfff
	v_fma_f32 v8, -v1, v6, 1.0
	v_fma_f32 v9, -v3, v7, 1.0
	s_delay_alu instid0(VALU_DEP_1) | instskip(SKIP_1) | instid1(VALU_DEP_2)
	v_dual_fmac_f32 v6, v8, v6 :: v_dual_fmac_f32 v7, v9, v7
	v_div_scale_f32 v8, s2, 0, v5, 0
	v_mul_f32_e32 v9, v10, v6
	s_delay_alu instid0(VALU_DEP_2) | instskip(NEXT) | instid1(VALU_DEP_2)
	v_mul_f32_e32 v11, v8, v7
	v_fma_f32 v12, -v1, v9, v10
	s_delay_alu instid0(VALU_DEP_2) | instskip(NEXT) | instid1(VALU_DEP_2)
	v_fma_f32 v13, -v3, v11, v8
	v_fmac_f32_e32 v9, v12, v6
	s_delay_alu instid0(VALU_DEP_2) | instskip(NEXT) | instid1(VALU_DEP_2)
	v_fmac_f32_e32 v11, v13, v7
	v_fma_f32 v1, -v1, v9, v10
	s_delay_alu instid0(VALU_DEP_2) | instskip(NEXT) | instid1(VALU_DEP_2)
	v_fma_f32 v3, -v3, v11, v8
	v_div_fmas_f32 v1, v1, v6, v9
	s_mov_b32 vcc_lo, s2
	s_delay_alu instid0(VALU_DEP_2) | instskip(NEXT) | instid1(VALU_DEP_2)
	v_div_fmas_f32 v3, v3, v7, v11
	v_div_fixup_f32 v6, v1, v4, 1.0
	s_delay_alu instid0(VALU_DEP_2)
	v_div_fixup_f32 v7, v3, v5, 0
.LBB183_335:
	s_or_b32 exec_lo, exec_lo, s20
                                        ; implicit-def: $vgpr1
                                        ; implicit-def: $vgpr3
.LBB183_336:
	s_and_not1_saveexec_b32 s2, s3
	s_cbranch_execz .LBB183_338
; %bb.337:
	v_div_scale_f32 v4, null, v1, v1, v3
	v_div_scale_f32 v7, vcc_lo, v3, v1, v3
	s_delay_alu instid0(VALU_DEP_2) | instskip(SKIP_2) | instid1(VALU_DEP_1)
	v_rcp_f32_e32 v5, v4
	s_waitcnt_depctr 0xfff
	v_fma_f32 v6, -v4, v5, 1.0
	v_fmac_f32_e32 v5, v6, v5
	s_delay_alu instid0(VALU_DEP_1) | instskip(NEXT) | instid1(VALU_DEP_1)
	v_mul_f32_e32 v6, v7, v5
	v_fma_f32 v8, -v4, v6, v7
	s_delay_alu instid0(VALU_DEP_1) | instskip(NEXT) | instid1(VALU_DEP_1)
	v_fmac_f32_e32 v6, v8, v5
	v_fma_f32 v4, -v4, v6, v7
	s_delay_alu instid0(VALU_DEP_1) | instskip(NEXT) | instid1(VALU_DEP_1)
	v_div_fmas_f32 v4, v4, v5, v6
	v_div_fixup_f32 v4, v4, v1, v3
	s_delay_alu instid0(VALU_DEP_1) | instskip(NEXT) | instid1(VALU_DEP_1)
	v_fmac_f32_e32 v1, v3, v4
	v_div_scale_f32 v3, null, v1, v1, 1.0
	v_div_scale_f32 v7, vcc_lo, 1.0, v1, 1.0
	s_delay_alu instid0(VALU_DEP_2) | instskip(SKIP_2) | instid1(VALU_DEP_1)
	v_rcp_f32_e32 v5, v3
	s_waitcnt_depctr 0xfff
	v_fma_f32 v6, -v3, v5, 1.0
	v_fmac_f32_e32 v5, v6, v5
	s_delay_alu instid0(VALU_DEP_1) | instskip(NEXT) | instid1(VALU_DEP_1)
	v_mul_f32_e32 v6, v7, v5
	v_fma_f32 v8, -v3, v6, v7
	s_delay_alu instid0(VALU_DEP_1) | instskip(NEXT) | instid1(VALU_DEP_1)
	v_fmac_f32_e32 v6, v8, v5
	v_fma_f32 v3, -v3, v6, v7
	s_delay_alu instid0(VALU_DEP_1) | instskip(SKIP_1) | instid1(VALU_DEP_2)
	v_div_fmas_f32 v3, v3, v5, v6
	v_add_f32_e32 v5, 0, v4
	v_div_fixup_f32 v1, v3, v1, 1.0
	v_fma_f32 v3, v4, 0, -1.0
	s_delay_alu instid0(VALU_DEP_2) | instskip(NEXT) | instid1(VALU_DEP_2)
	v_mul_f32_e32 v6, v5, v1
	v_mul_f32_e32 v7, v3, v1
.LBB183_338:
	s_or_b32 exec_lo, exec_lo, s2
	s_delay_alu instid0(VALU_DEP_1) | instskip(NEXT) | instid1(VALU_DEP_3)
	v_cvt_f16_f32_e32 v1, v7
	v_cvt_f16_f32_e32 v3, v6
	v_add_nc_u32_e32 v2, 0x80, v2
	s_delay_alu instid0(VALU_DEP_3) | instskip(NEXT) | instid1(VALU_DEP_3)
	v_lshlrev_b32_e32 v1, 16, v1
	v_and_b32_e32 v3, 0xffff, v3
	s_delay_alu instid0(VALU_DEP_1) | instskip(SKIP_2) | instid1(SALU_CYCLE_1)
	v_or_b32_e32 v1, v1, v3
	global_store_b32 v0, v1, s[4:5]
	s_or_b32 exec_lo, exec_lo, s30
	s_mov_b32 s30, exec_lo
	v_cmpx_gt_i32_e64 s27, v2
	s_cbranch_execnz .LBB183_291
.LBB183_339:
	s_or_b32 exec_lo, exec_lo, s30
	s_delay_alu instid0(SALU_CYCLE_1)
	s_mov_b32 s20, exec_lo
	v_cmpx_gt_i32_e64 s27, v2
	s_cbranch_execnz .LBB183_369
.LBB183_340:
	s_or_b32 exec_lo, exec_lo, s20
                                        ; implicit-def: $vgpr8
                                        ; implicit-def: $vgpr2
	s_and_not1_saveexec_b32 s2, s25
	s_cbranch_execnz .LBB183_8
.LBB183_341:
	s_nop 0
	s_sendmsg sendmsg(MSG_DEALLOC_VGPRS)
	s_endpgm
.LBB183_342:
	s_and_not1_saveexec_b32 s35, s35
	s_cbranch_execz .LBB183_344
.LBB183_343:
	v_sub_f32_e32 v3, v6, v3
	s_delay_alu instid0(VALU_DEP_1) | instskip(NEXT) | instid1(VALU_DEP_1)
	v_mul_f32_e32 v3, 0.5, v3
	v_mul_f32_e32 v4, 0x4f800000, v3
	v_cmp_gt_f32_e32 vcc_lo, 0xf800000, v3
	s_delay_alu instid0(VALU_DEP_2) | instskip(NEXT) | instid1(VALU_DEP_1)
	v_cndmask_b32_e32 v3, v3, v4, vcc_lo
	v_sqrt_f32_e32 v4, v3
	s_waitcnt_depctr 0xfff
	v_add_nc_u32_e32 v5, -1, v4
	v_add_nc_u32_e32 v6, 1, v4
	s_delay_alu instid0(VALU_DEP_2) | instskip(NEXT) | instid1(VALU_DEP_2)
	v_fma_f32 v7, -v5, v4, v3
	v_fma_f32 v8, -v6, v4, v3
	s_delay_alu instid0(VALU_DEP_2) | instskip(NEXT) | instid1(VALU_DEP_1)
	v_cmp_ge_f32_e64 s3, 0, v7
	v_cndmask_b32_e64 v4, v4, v5, s3
	s_delay_alu instid0(VALU_DEP_3) | instskip(NEXT) | instid1(VALU_DEP_1)
	v_cmp_lt_f32_e64 s3, 0, v8
	v_cndmask_b32_e64 v4, v4, v6, s3
	s_delay_alu instid0(VALU_DEP_1) | instskip(NEXT) | instid1(VALU_DEP_1)
	v_mul_f32_e32 v5, 0x37800000, v4
	v_cndmask_b32_e32 v4, v4, v5, vcc_lo
	v_cmp_class_f32_e64 vcc_lo, v3, 0x260
	s_delay_alu instid0(VALU_DEP_2) | instskip(NEXT) | instid1(VALU_DEP_1)
	v_dual_cndmask_b32 v3, v4, v3 :: v_dual_and_b32 v4, 0x7fffffff, v1
	v_add_f32_e32 v5, v3, v3
	s_delay_alu instid0(VALU_DEP_1) | instskip(SKIP_1) | instid1(VALU_DEP_2)
	v_div_scale_f32 v6, null, v5, v5, v4
	v_div_scale_f32 v4, vcc_lo, v4, v5, v4
	v_rcp_f32_e32 v7, v6
	s_waitcnt_depctr 0xfff
	v_fma_f32 v8, -v6, v7, 1.0
	s_delay_alu instid0(VALU_DEP_1) | instskip(NEXT) | instid1(VALU_DEP_1)
	v_fmac_f32_e32 v7, v8, v7
	v_mul_f32_e32 v8, v4, v7
	s_delay_alu instid0(VALU_DEP_1) | instskip(NEXT) | instid1(VALU_DEP_1)
	v_fma_f32 v9, -v6, v8, v4
	v_fmac_f32_e32 v8, v9, v7
	s_delay_alu instid0(VALU_DEP_1) | instskip(NEXT) | instid1(VALU_DEP_1)
	v_fma_f32 v4, -v6, v8, v4
	v_div_fmas_f32 v4, v4, v7, v8
	s_delay_alu instid0(VALU_DEP_1)
	v_div_fixup_f32 v4, v4, v5, |v1|
	v_bfi_b32 v5, 0x7fffffff, v3, v1
.LBB183_344:
	s_or_b32 exec_lo, exec_lo, s35
                                        ; implicit-def: $vgpr1
                                        ; implicit-def: $vgpr3
	s_and_saveexec_b32 s3, s2
	s_delay_alu instid0(SALU_CYCLE_1)
	s_xor_b32 s2, exec_lo, s3
	s_cbranch_execz .LBB183_346
; %bb.345:
	v_dual_mul_f32 v1, 0.5, v4 :: v_dual_mul_f32 v6, 0.5, v5
	s_delay_alu instid0(VALU_DEP_1) | instskip(NEXT) | instid1(VALU_DEP_2)
	v_cndmask_b32_e64 v3, v4, v1, s34
	v_cndmask_b32_e64 v1, v5, v6, s34
                                        ; implicit-def: $vgpr4
                                        ; implicit-def: $vgpr5
	s_and_not1_saveexec_b32 s2, s2
	s_cbranch_execnz .LBB183_347
	s_branch .LBB183_348
.LBB183_346:
	s_and_not1_saveexec_b32 s2, s2
.LBB183_347:
	v_add_f32_e32 v3, v4, v4
	v_add_f32_e32 v1, v5, v5
.LBB183_348:
	s_or_b32 exec_lo, exec_lo, s2
                                        ; implicit-def: $vgpr4
.LBB183_349:
	s_and_not1_saveexec_b32 s2, s33
	s_cbranch_execz .LBB183_355
; %bb.350:
	v_cmp_lt_i16_e32 vcc_lo, -1, v4
	v_sub_f32_e32 v4, v1, v1
	s_and_saveexec_b32 s3, vcc_lo
	s_delay_alu instid0(SALU_CYCLE_1)
	s_xor_b32 s3, exec_lo, s3
; %bb.351:
	s_delay_alu instid0(VALU_DEP_1)
	v_bfi_b32 v1, 0x7fffffff, v4, v1
                                        ; implicit-def: $vgpr4
; %bb.352:
	s_and_not1_saveexec_b32 s3, s3
; %bb.353:
	v_and_b32_e32 v4, 0x7fffffff, v4
	s_delay_alu instid0(VALU_DEP_2) | instskip(NEXT) | instid1(VALU_DEP_2)
	v_bfi_b32 v1, 0x7fffffff, v3, v1
	v_mov_b32_e32 v3, v4
; %bb.354:
	s_or_b32 exec_lo, exec_lo, s3
.LBB183_355:
	s_delay_alu instid0(SALU_CYCLE_1)
	s_or_b32 exec_lo, exec_lo, s2
.LBB183_356:
	s_and_not1_saveexec_b32 s2, s31
; %bb.357:
	v_sub_f32_e32 v1, v1, v1
	s_delay_alu instid0(VALU_DEP_1) | instskip(NEXT) | instid1(VALU_DEP_1)
	v_div_scale_f32 v4, vcc_lo, v1, v1, v1
	v_rcp_f32_e32 v5, v4
	s_waitcnt_depctr 0xfff
	v_fma_f32 v6, -v4, v5, 1.0
	s_delay_alu instid0(VALU_DEP_1) | instskip(NEXT) | instid1(VALU_DEP_1)
	v_fmac_f32_e32 v5, v6, v5
	v_mul_f32_e32 v6, v4, v5
	s_delay_alu instid0(VALU_DEP_1) | instskip(NEXT) | instid1(VALU_DEP_1)
	v_fma_f32 v7, -v4, v6, v4
	v_fmac_f32_e32 v6, v7, v5
	s_delay_alu instid0(VALU_DEP_1) | instskip(NEXT) | instid1(VALU_DEP_1)
	v_fma_f32 v4, -v4, v6, v4
	v_div_fmas_f32 v4, v4, v5, v6
	s_delay_alu instid0(VALU_DEP_1)
	v_div_fixup_f32 v1, v4, v1, v1
; %bb.358:
	s_or_b32 exec_lo, exec_lo, s2
.LBB183_359:
	s_delay_alu instid0(SALU_CYCLE_1)
	s_or_b32 exec_lo, exec_lo, s21
.LBB183_360:
	s_delay_alu instid0(SALU_CYCLE_1)
	s_or_b32 exec_lo, exec_lo, s20
	v_cmp_gt_f32_e32 vcc_lo, 0, v3
                                        ; implicit-def: $vgpr7
                                        ; implicit-def: $vgpr6
	s_mov_b32 s2, exec_lo
	v_cndmask_b32_e64 v4, v3, -v3, vcc_lo
	v_cmp_gt_f32_e32 vcc_lo, 0, v1
	v_cndmask_b32_e64 v5, v1, -v1, vcc_lo
	s_delay_alu instid0(VALU_DEP_1)
	v_cmpx_ge_f32_e32 v4, v5
	s_xor_b32 s3, exec_lo, s2
	s_cbranch_execz .LBB183_366
; %bb.361:
	v_cmp_neq_f32_e32 vcc_lo, 0, v3
	v_cmp_neq_f32_e64 s2, 0, v1
                                        ; implicit-def: $vgpr7
                                        ; implicit-def: $vgpr6
	s_delay_alu instid0(VALU_DEP_1) | instskip(NEXT) | instid1(SALU_CYCLE_1)
	s_or_b32 s2, vcc_lo, s2
	s_and_saveexec_b32 s20, s2
	s_delay_alu instid0(SALU_CYCLE_1)
	s_xor_b32 s2, exec_lo, s20
	s_cbranch_execz .LBB183_363
; %bb.362:
	v_div_scale_f32 v4, null, v3, v3, v1
	v_div_scale_f32 v7, vcc_lo, v1, v3, v1
	s_delay_alu instid0(VALU_DEP_2) | instskip(SKIP_2) | instid1(VALU_DEP_1)
	v_rcp_f32_e32 v5, v4
	s_waitcnt_depctr 0xfff
	v_fma_f32 v6, -v4, v5, 1.0
	v_fmac_f32_e32 v5, v6, v5
	s_delay_alu instid0(VALU_DEP_1) | instskip(NEXT) | instid1(VALU_DEP_1)
	v_mul_f32_e32 v6, v7, v5
	v_fma_f32 v8, -v4, v6, v7
	s_delay_alu instid0(VALU_DEP_1) | instskip(NEXT) | instid1(VALU_DEP_1)
	v_fmac_f32_e32 v6, v8, v5
	v_fma_f32 v4, -v4, v6, v7
	s_delay_alu instid0(VALU_DEP_1) | instskip(NEXT) | instid1(VALU_DEP_1)
	v_div_fmas_f32 v4, v4, v5, v6
	v_div_fixup_f32 v4, v4, v3, v1
	s_delay_alu instid0(VALU_DEP_1) | instskip(NEXT) | instid1(VALU_DEP_1)
	v_fmac_f32_e32 v3, v1, v4
	v_div_scale_f32 v1, null, v3, v3, 1.0
	v_div_scale_f32 v7, vcc_lo, 1.0, v3, 1.0
	s_delay_alu instid0(VALU_DEP_2) | instskip(SKIP_2) | instid1(VALU_DEP_1)
	v_rcp_f32_e32 v5, v1
	s_waitcnt_depctr 0xfff
	v_fma_f32 v6, -v1, v5, 1.0
	v_fmac_f32_e32 v5, v6, v5
	s_delay_alu instid0(VALU_DEP_1) | instskip(NEXT) | instid1(VALU_DEP_1)
	v_mul_f32_e32 v6, v7, v5
	v_fma_f32 v8, -v1, v6, v7
	s_delay_alu instid0(VALU_DEP_1) | instskip(NEXT) | instid1(VALU_DEP_1)
	v_fmac_f32_e32 v6, v8, v5
	v_fma_f32 v1, -v1, v6, v7
	s_delay_alu instid0(VALU_DEP_1) | instskip(SKIP_1) | instid1(VALU_DEP_2)
	v_div_fmas_f32 v1, v1, v5, v6
	v_fma_f32 v5, v4, 0, 1.0
	v_div_fixup_f32 v1, v1, v3, 1.0
	s_delay_alu instid0(VALU_DEP_1)
	v_mul_f32_e32 v6, v5, v1
	v_mul_f32_e64 v7, -v4, v1
                                        ; implicit-def: $vgpr4
                                        ; implicit-def: $vgpr5
.LBB183_363:
	s_and_not1_saveexec_b32 s20, s2
	s_cbranch_execz .LBB183_365
; %bb.364:
	v_div_scale_f32 v1, null, v4, v4, 1.0
	v_div_scale_f32 v3, null, v5, v5, 0
	v_div_scale_f32 v10, vcc_lo, 1.0, v4, 1.0
	s_delay_alu instid0(VALU_DEP_3) | instskip(NEXT) | instid1(VALU_DEP_2)
	v_rcp_f32_e32 v6, v1
	v_rcp_f32_e32 v7, v3
	s_waitcnt_depctr 0xfff
	v_fma_f32 v8, -v1, v6, 1.0
	v_fma_f32 v9, -v3, v7, 1.0
	s_delay_alu instid0(VALU_DEP_1) | instskip(SKIP_1) | instid1(VALU_DEP_2)
	v_dual_fmac_f32 v6, v8, v6 :: v_dual_fmac_f32 v7, v9, v7
	v_div_scale_f32 v8, s2, 0, v5, 0
	v_mul_f32_e32 v9, v10, v6
	s_delay_alu instid0(VALU_DEP_2) | instskip(NEXT) | instid1(VALU_DEP_2)
	v_mul_f32_e32 v11, v8, v7
	v_fma_f32 v12, -v1, v9, v10
	s_delay_alu instid0(VALU_DEP_2) | instskip(NEXT) | instid1(VALU_DEP_2)
	v_fma_f32 v13, -v3, v11, v8
	v_fmac_f32_e32 v9, v12, v6
	s_delay_alu instid0(VALU_DEP_2) | instskip(NEXT) | instid1(VALU_DEP_2)
	v_fmac_f32_e32 v11, v13, v7
	v_fma_f32 v1, -v1, v9, v10
	s_delay_alu instid0(VALU_DEP_2) | instskip(NEXT) | instid1(VALU_DEP_2)
	v_fma_f32 v3, -v3, v11, v8
	v_div_fmas_f32 v1, v1, v6, v9
	s_mov_b32 vcc_lo, s2
	s_delay_alu instid0(VALU_DEP_2) | instskip(NEXT) | instid1(VALU_DEP_2)
	v_div_fmas_f32 v3, v3, v7, v11
	v_div_fixup_f32 v6, v1, v4, 1.0
	s_delay_alu instid0(VALU_DEP_2)
	v_div_fixup_f32 v7, v3, v5, 0
.LBB183_365:
	s_or_b32 exec_lo, exec_lo, s20
                                        ; implicit-def: $vgpr1
                                        ; implicit-def: $vgpr3
.LBB183_366:
	s_and_not1_saveexec_b32 s2, s3
	s_cbranch_execz .LBB183_368
; %bb.367:
	v_div_scale_f32 v4, null, v1, v1, v3
	v_div_scale_f32 v7, vcc_lo, v3, v1, v3
	s_delay_alu instid0(VALU_DEP_2) | instskip(SKIP_2) | instid1(VALU_DEP_1)
	v_rcp_f32_e32 v5, v4
	s_waitcnt_depctr 0xfff
	v_fma_f32 v6, -v4, v5, 1.0
	v_fmac_f32_e32 v5, v6, v5
	s_delay_alu instid0(VALU_DEP_1) | instskip(NEXT) | instid1(VALU_DEP_1)
	v_mul_f32_e32 v6, v7, v5
	v_fma_f32 v8, -v4, v6, v7
	s_delay_alu instid0(VALU_DEP_1) | instskip(NEXT) | instid1(VALU_DEP_1)
	v_fmac_f32_e32 v6, v8, v5
	v_fma_f32 v4, -v4, v6, v7
	s_delay_alu instid0(VALU_DEP_1) | instskip(NEXT) | instid1(VALU_DEP_1)
	v_div_fmas_f32 v4, v4, v5, v6
	v_div_fixup_f32 v4, v4, v1, v3
	s_delay_alu instid0(VALU_DEP_1) | instskip(NEXT) | instid1(VALU_DEP_1)
	v_fmac_f32_e32 v1, v3, v4
	v_div_scale_f32 v3, null, v1, v1, 1.0
	v_div_scale_f32 v7, vcc_lo, 1.0, v1, 1.0
	s_delay_alu instid0(VALU_DEP_2) | instskip(SKIP_2) | instid1(VALU_DEP_1)
	v_rcp_f32_e32 v5, v3
	s_waitcnt_depctr 0xfff
	v_fma_f32 v6, -v3, v5, 1.0
	v_fmac_f32_e32 v5, v6, v5
	s_delay_alu instid0(VALU_DEP_1) | instskip(NEXT) | instid1(VALU_DEP_1)
	v_mul_f32_e32 v6, v7, v5
	v_fma_f32 v8, -v3, v6, v7
	s_delay_alu instid0(VALU_DEP_1) | instskip(NEXT) | instid1(VALU_DEP_1)
	v_fmac_f32_e32 v6, v8, v5
	v_fma_f32 v3, -v3, v6, v7
	s_delay_alu instid0(VALU_DEP_1) | instskip(SKIP_1) | instid1(VALU_DEP_2)
	v_div_fmas_f32 v3, v3, v5, v6
	v_add_f32_e32 v5, 0, v4
	v_div_fixup_f32 v1, v3, v1, 1.0
	v_fma_f32 v3, v4, 0, -1.0
	s_delay_alu instid0(VALU_DEP_2) | instskip(NEXT) | instid1(VALU_DEP_2)
	v_mul_f32_e32 v6, v5, v1
	v_mul_f32_e32 v7, v3, v1
.LBB183_368:
	s_or_b32 exec_lo, exec_lo, s2
	s_delay_alu instid0(VALU_DEP_1) | instskip(NEXT) | instid1(VALU_DEP_3)
	v_cvt_f16_f32_e32 v1, v7
	v_cvt_f16_f32_e32 v3, v6
	v_add_nc_u32_e32 v2, 0x80, v2
	s_delay_alu instid0(VALU_DEP_3) | instskip(NEXT) | instid1(VALU_DEP_3)
	v_lshlrev_b32_e32 v1, 16, v1
	v_and_b32_e32 v3, 0xffff, v3
	s_delay_alu instid0(VALU_DEP_1) | instskip(SKIP_2) | instid1(SALU_CYCLE_1)
	v_or_b32_e32 v1, v1, v3
	global_store_b32 v0, v1, s[4:5]
	s_or_b32 exec_lo, exec_lo, s30
	s_mov_b32 s20, exec_lo
	v_cmpx_gt_i32_e64 s27, v2
	s_cbranch_execz .LBB183_340
.LBB183_369:
	s_and_not1_b32 vcc_lo, exec_lo, s24
	s_cbranch_vccnz .LBB183_374
; %bb.370:
	v_dual_mov_b32 v0, 0 :: v_dual_mov_b32 v1, 0
	s_and_not1_b32 vcc_lo, exec_lo, s29
	s_mov_b32 s21, 0
	s_cbranch_vccnz .LBB183_379
; %bb.371:
	v_mov_b32_e32 v0, 0
	s_add_i32 s28, s28, 1
	s_cmp_eq_u32 s23, 2
	s_mov_b32 s27, 0
	s_cbranch_scc1 .LBB183_375
; %bb.372:
	v_dual_mov_b32 v1, 0 :: v_dual_mov_b32 v0, 0
	v_mov_b32_e32 v3, v2
	s_and_b32 s27, s28, 28
	s_mov_b32 s29, 0
	s_mov_b64 s[2:3], s[0:1]
.LBB183_373:                            ; =>This Inner Loop Header: Depth=1
	s_clause 0x1
	s_load_b256 s[36:43], s[2:3], 0x4
	s_load_b128 s[52:55], s[2:3], 0x24
	s_load_b256 s[44:51], s[18:19], 0x0
	s_add_u32 s2, s2, 48
	s_addc_u32 s3, s3, 0
	s_add_i32 s29, s29, 4
	s_add_u32 s18, s18, 32
	s_addc_u32 s19, s19, 0
	s_cmp_eq_u32 s27, s29
	s_waitcnt lgkmcnt(0)
	v_mul_hi_u32 v4, s37, v3
	s_delay_alu instid0(VALU_DEP_1) | instskip(NEXT) | instid1(VALU_DEP_1)
	v_add_nc_u32_e32 v4, v3, v4
	v_lshrrev_b32_e32 v4, s38, v4
	s_delay_alu instid0(VALU_DEP_1) | instskip(SKIP_1) | instid1(VALU_DEP_2)
	v_mul_hi_u32 v5, s40, v4
	v_mul_lo_u32 v7, v4, s36
	v_add_nc_u32_e32 v5, v4, v5
	s_delay_alu instid0(VALU_DEP_2) | instskip(NEXT) | instid1(VALU_DEP_2)
	v_sub_nc_u32_e32 v3, v3, v7
	v_lshrrev_b32_e32 v5, s41, v5
	s_delay_alu instid0(VALU_DEP_2) | instskip(SKIP_1) | instid1(VALU_DEP_3)
	v_mul_lo_u32 v7, v3, s44
	v_mul_lo_u32 v9, v3, s45
	v_mul_hi_u32 v6, s43, v5
	s_delay_alu instid0(VALU_DEP_1) | instskip(NEXT) | instid1(VALU_DEP_1)
	v_add_nc_u32_e32 v6, v5, v6
	v_lshrrev_b32_e32 v6, s52, v6
	s_delay_alu instid0(VALU_DEP_1) | instskip(SKIP_1) | instid1(VALU_DEP_2)
	v_mul_hi_u32 v8, s54, v6
	v_mul_lo_u32 v10, v6, s42
	v_add_nc_u32_e32 v3, v6, v8
	v_mul_lo_u32 v8, v5, s39
	s_delay_alu instid0(VALU_DEP_3) | instskip(NEXT) | instid1(VALU_DEP_3)
	v_sub_nc_u32_e32 v5, v5, v10
	v_lshrrev_b32_e32 v3, s55, v3
	s_delay_alu instid0(VALU_DEP_2) | instskip(SKIP_2) | instid1(VALU_DEP_4)
	v_mul_lo_u32 v10, v5, s48
	v_mul_lo_u32 v5, v5, s49
	v_sub_nc_u32_e32 v4, v4, v8
	v_mul_lo_u32 v11, v3, s53
	s_delay_alu instid0(VALU_DEP_2) | instskip(SKIP_1) | instid1(VALU_DEP_3)
	v_mul_lo_u32 v8, v4, s46
	v_mul_lo_u32 v4, v4, s47
	v_sub_nc_u32_e32 v6, v6, v11
	s_delay_alu instid0(VALU_DEP_3) | instskip(NEXT) | instid1(VALU_DEP_2)
	v_add3_u32 v0, v7, v0, v8
	v_mul_lo_u32 v11, v6, s50
	v_mul_lo_u32 v6, v6, s51
	v_add3_u32 v1, v9, v1, v4
	s_delay_alu instid0(VALU_DEP_3) | instskip(NEXT) | instid1(VALU_DEP_2)
	v_add3_u32 v0, v10, v0, v11
	v_add3_u32 v1, v5, v1, v6
	s_cbranch_scc0 .LBB183_373
	s_branch .LBB183_376
.LBB183_374:
	s_mov_b32 s21, -1
                                        ; implicit-def: $vgpr0
                                        ; implicit-def: $vgpr1
	s_branch .LBB183_379
.LBB183_375:
	v_mov_b32_e32 v3, v2
	v_mov_b32_e32 v1, 0
.LBB183_376:
	s_and_b32 s28, s28, 3
	s_delay_alu instid0(SALU_CYCLE_1)
	s_cmp_eq_u32 s28, 0
	s_cbranch_scc1 .LBB183_379
; %bb.377:
	s_lshl_b32 s2, s27, 3
	s_mul_i32 s18, s27, 12
	s_add_u32 s2, s2, s0
	s_addc_u32 s3, s1, 0
	s_add_u32 s2, s2, 0xc4
	s_addc_u32 s3, s3, 0
	;; [unrolled: 2-line block ×3, first 2 shown]
	.p2align	6
.LBB183_378:                            ; =>This Inner Loop Header: Depth=1
	s_clause 0x1
	s_load_b64 s[30:31], s[18:19], 0x4
	s_load_b32 s27, s[18:19], 0xc
	s_load_b64 s[34:35], s[2:3], 0x0
	s_add_u32 s18, s18, 12
	s_addc_u32 s19, s19, 0
	s_add_u32 s2, s2, 8
	s_addc_u32 s3, s3, 0
	s_add_i32 s28, s28, -1
	s_delay_alu instid0(SALU_CYCLE_1) | instskip(SKIP_2) | instid1(VALU_DEP_1)
	s_cmp_lg_u32 s28, 0
	s_waitcnt lgkmcnt(0)
	v_mul_hi_u32 v4, s31, v3
	v_add_nc_u32_e32 v4, v3, v4
	s_delay_alu instid0(VALU_DEP_1) | instskip(NEXT) | instid1(VALU_DEP_1)
	v_lshrrev_b32_e32 v7, s27, v4
	v_mul_lo_u32 v4, v7, s30
	s_delay_alu instid0(VALU_DEP_1) | instskip(NEXT) | instid1(VALU_DEP_1)
	v_sub_nc_u32_e32 v3, v3, v4
	v_mad_u64_u32 v[4:5], null, v3, s34, v[0:1]
	v_mad_u64_u32 v[5:6], null, v3, s35, v[1:2]
	s_delay_alu instid0(VALU_DEP_2) | instskip(NEXT) | instid1(VALU_DEP_2)
	v_dual_mov_b32 v3, v7 :: v_dual_mov_b32 v0, v4
	v_mov_b32_e32 v1, v5
	s_cbranch_scc1 .LBB183_378
.LBB183_379:
	s_and_not1_b32 vcc_lo, exec_lo, s21
	s_cbranch_vccnz .LBB183_382
; %bb.380:
	s_waitcnt lgkmcnt(0)
	v_mul_hi_u32 v0, s13, v2
	s_and_not1_b32 vcc_lo, exec_lo, s26
	s_delay_alu instid0(VALU_DEP_1) | instskip(NEXT) | instid1(VALU_DEP_1)
	v_add_nc_u32_e32 v0, v2, v0
	v_lshrrev_b32_e32 v3, s14, v0
	s_delay_alu instid0(VALU_DEP_1) | instskip(NEXT) | instid1(VALU_DEP_1)
	v_mul_lo_u32 v0, v3, s12
	v_sub_nc_u32_e32 v1, v2, v0
	s_delay_alu instid0(VALU_DEP_1)
	v_mul_lo_u32 v0, v1, s8
	v_mul_lo_u32 v1, v1, s9
	s_cbranch_vccnz .LBB183_382
; %bb.381:
	v_mul_hi_u32 v2, s16, v3
	s_delay_alu instid0(VALU_DEP_1) | instskip(NEXT) | instid1(VALU_DEP_1)
	v_add_nc_u32_e32 v2, v3, v2
	v_lshrrev_b32_e32 v2, s17, v2
	s_delay_alu instid0(VALU_DEP_1) | instskip(NEXT) | instid1(VALU_DEP_1)
	v_mul_lo_u32 v2, v2, s15
	v_sub_nc_u32_e32 v5, v3, v2
	s_delay_alu instid0(VALU_DEP_1) | instskip(NEXT) | instid1(VALU_DEP_1)
	v_mad_u64_u32 v[2:3], null, v5, s10, v[0:1]
	v_mad_u64_u32 v[3:4], null, v5, s11, v[1:2]
	s_delay_alu instid0(VALU_DEP_1)
	v_dual_mov_b32 v0, v2 :: v_dual_mov_b32 v1, v3
.LBB183_382:
	s_waitcnt lgkmcnt(0)
	global_load_b32 v3, v1, s[6:7]
	v_mov_b32_e32 v2, 0
	s_waitcnt vmcnt(0)
	v_lshrrev_b32_e32 v1, 16, v3
	v_cmp_neq_f16_e32 vcc_lo, 0, v3
	s_delay_alu instid0(VALU_DEP_2) | instskip(SKIP_1) | instid1(VALU_DEP_2)
	v_cmp_neq_f16_e64 s2, 0, v1
	v_cvt_f32_f16_e32 v1, v1
	s_or_b32 s2, vcc_lo, s2
	s_delay_alu instid0(SALU_CYCLE_1)
	s_and_saveexec_b32 s6, s2
	s_cbranch_execz .LBB183_412
; %bb.383:
	v_mov_b32_e32 v2, 0x7f800000
	s_mov_b32 s7, exec_lo
	v_cmpx_neq_f32_e64 0x7f800000, |v1|
	s_cbranch_execz .LBB183_411
; %bb.384:
	v_cvt_f32_f16_e32 v2, v3
	s_mov_b32 s2, exec_lo
	v_cmpx_o_f16_e32 v3, v3
	s_xor_b32 s8, exec_lo, s2
	s_cbranch_execz .LBB183_408
; %bb.385:
	s_mov_b32 s3, exec_lo
	v_cmpx_neq_f32_e64 0x7f800000, |v2|
	s_xor_b32 s9, exec_lo, s3
	s_cbranch_execz .LBB183_401
; %bb.386:
	v_max_f32_e64 v3, |v1|, |v1|
	v_max_f32_e64 v4, |v2|, |v2|
                                        ; implicit-def: $sgpr10
	s_delay_alu instid0(VALU_DEP_1) | instskip(NEXT) | instid1(VALU_DEP_1)
	v_max_f32_e32 v3, v4, v3
	v_cmp_nle_f32_e64 s2, 0x7ed413cb, v3
	s_delay_alu instid0(VALU_DEP_1) | instskip(NEXT) | instid1(SALU_CYCLE_1)
	s_and_saveexec_b32 s3, s2
	s_xor_b32 s3, exec_lo, s3
	s_cbranch_execz .LBB183_390
; %bb.387:
	v_cmp_ge_f32_e64 s10, 0x1000000, |v2|
	v_cmp_ge_f32_e64 s11, 0x1000000, |v1|
	s_delay_alu instid0(VALU_DEP_1)
	s_and_b32 s12, s10, s11
	s_mov_b32 s10, 0
	s_and_saveexec_b32 s11, s12
; %bb.388:
	v_dual_mul_f32 v1, 4.0, v1 :: v_dual_mul_f32 v2, 4.0, v2
	s_mov_b32 s10, exec_lo
; %bb.389:
	s_or_b32 exec_lo, exec_lo, s11
	s_delay_alu instid0(SALU_CYCLE_1)
	s_and_b32 s10, s10, exec_lo
.LBB183_390:
	s_and_not1_saveexec_b32 s3, s3
; %bb.391:
	v_dual_mul_f32 v2, 0x3e800000, v2 :: v_dual_mul_f32 v1, 0x3e800000, v1
	s_and_not1_b32 s10, s10, exec_lo
; %bb.392:
	s_or_b32 exec_lo, exec_lo, s3
	s_delay_alu instid0(VALU_DEP_1) | instskip(NEXT) | instid1(VALU_DEP_2)
	v_max_f32_e64 v3, |v1|, |v1|
	v_max_f32_e64 v4, |v2|, |v2|
	s_delay_alu instid0(VALU_DEP_1) | instskip(NEXT) | instid1(VALU_DEP_1)
	v_max_f32_e32 v5, v4, v3
	v_cvt_f64_f32_e32 v[3:4], v5
	s_delay_alu instid0(VALU_DEP_1) | instskip(NEXT) | instid1(VALU_DEP_1)
	v_frexp_exp_i32_f64_e32 v3, v[3:4]
	v_sub_nc_u32_e32 v4, 0, v3
	s_delay_alu instid0(VALU_DEP_1) | instskip(SKIP_1) | instid1(VALU_DEP_2)
	v_ldexp_f32 v6, |v1|, v4
	v_ldexp_f32 v4, |v2|, v4
	v_mul_f32_e32 v6, v6, v6
	v_cmp_neq_f32_e64 s3, 0x7f800000, v5
	s_delay_alu instid0(VALU_DEP_2) | instskip(NEXT) | instid1(VALU_DEP_1)
	v_fmac_f32_e32 v6, v4, v4
	v_sqrt_f32_e32 v4, v6
	s_waitcnt_depctr 0xfff
	v_ldexp_f32 v3, v4, v3
                                        ; implicit-def: $vgpr4
	s_delay_alu instid0(VALU_DEP_1)
	v_cndmask_b32_e64 v5, 0x7f800000, v3, s3
                                        ; implicit-def: $vgpr3
	s_mov_b32 s3, exec_lo
	v_cmpx_le_f32_e32 0, v2
	s_xor_b32 s11, exec_lo, s3
	s_cbranch_execz .LBB183_394
; %bb.393:
	v_add_f32_e32 v2, v2, v5
	s_delay_alu instid0(VALU_DEP_1) | instskip(NEXT) | instid1(VALU_DEP_1)
	v_mul_f32_e32 v2, 0.5, v2
	v_mul_f32_e32 v3, 0x4f800000, v2
	v_cmp_gt_f32_e32 vcc_lo, 0xf800000, v2
	s_delay_alu instid0(VALU_DEP_2) | instskip(NEXT) | instid1(VALU_DEP_1)
	v_cndmask_b32_e32 v2, v2, v3, vcc_lo
	v_sqrt_f32_e32 v3, v2
	s_waitcnt_depctr 0xfff
	v_add_nc_u32_e32 v4, -1, v3
	v_add_nc_u32_e32 v5, 1, v3
	s_delay_alu instid0(VALU_DEP_2) | instskip(NEXT) | instid1(VALU_DEP_2)
	v_fma_f32 v6, -v4, v3, v2
	v_fma_f32 v7, -v5, v3, v2
	s_delay_alu instid0(VALU_DEP_2) | instskip(NEXT) | instid1(VALU_DEP_1)
	v_cmp_ge_f32_e64 s3, 0, v6
	v_cndmask_b32_e64 v3, v3, v4, s3
	s_delay_alu instid0(VALU_DEP_3) | instskip(NEXT) | instid1(VALU_DEP_1)
	v_cmp_lt_f32_e64 s3, 0, v7
	v_cndmask_b32_e64 v3, v3, v5, s3
	s_delay_alu instid0(VALU_DEP_1) | instskip(NEXT) | instid1(VALU_DEP_1)
	v_mul_f32_e32 v4, 0x37800000, v3
	v_cndmask_b32_e32 v3, v3, v4, vcc_lo
	v_cmp_class_f32_e64 vcc_lo, v2, 0x260
	s_delay_alu instid0(VALU_DEP_2) | instskip(NEXT) | instid1(VALU_DEP_1)
	v_cndmask_b32_e32 v3, v3, v2, vcc_lo
	v_add_f32_e32 v2, v3, v3
	s_delay_alu instid0(VALU_DEP_1) | instskip(NEXT) | instid1(VALU_DEP_1)
	v_div_scale_f32 v4, null, v2, v2, v1
	v_rcp_f32_e32 v5, v4
	s_waitcnt_depctr 0xfff
	v_fma_f32 v6, -v4, v5, 1.0
	s_delay_alu instid0(VALU_DEP_1) | instskip(SKIP_1) | instid1(VALU_DEP_1)
	v_fmac_f32_e32 v5, v6, v5
	v_div_scale_f32 v6, vcc_lo, v1, v2, v1
	v_mul_f32_e32 v7, v6, v5
	s_delay_alu instid0(VALU_DEP_1) | instskip(NEXT) | instid1(VALU_DEP_1)
	v_fma_f32 v8, -v4, v7, v6
	v_fmac_f32_e32 v7, v8, v5
	s_delay_alu instid0(VALU_DEP_1) | instskip(NEXT) | instid1(VALU_DEP_1)
	v_fma_f32 v4, -v4, v7, v6
	v_div_fmas_f32 v4, v4, v5, v7
                                        ; implicit-def: $vgpr5
	s_delay_alu instid0(VALU_DEP_1)
	v_div_fixup_f32 v4, v4, v2, v1
                                        ; implicit-def: $vgpr2
                                        ; implicit-def: $vgpr1
	s_and_not1_saveexec_b32 s11, s11
	s_cbranch_execz .LBB183_396
	s_branch .LBB183_395
.LBB183_394:
	s_and_not1_saveexec_b32 s11, s11
	s_cbranch_execz .LBB183_396
.LBB183_395:
	v_sub_f32_e32 v2, v5, v2
	s_delay_alu instid0(VALU_DEP_1) | instskip(NEXT) | instid1(VALU_DEP_1)
	v_mul_f32_e32 v2, 0.5, v2
	v_mul_f32_e32 v3, 0x4f800000, v2
	v_cmp_gt_f32_e32 vcc_lo, 0xf800000, v2
	s_delay_alu instid0(VALU_DEP_2) | instskip(NEXT) | instid1(VALU_DEP_1)
	v_cndmask_b32_e32 v2, v2, v3, vcc_lo
	v_sqrt_f32_e32 v3, v2
	s_waitcnt_depctr 0xfff
	v_add_nc_u32_e32 v4, -1, v3
	v_add_nc_u32_e32 v5, 1, v3
	s_delay_alu instid0(VALU_DEP_2) | instskip(NEXT) | instid1(VALU_DEP_2)
	v_fma_f32 v6, -v4, v3, v2
	v_fma_f32 v7, -v5, v3, v2
	s_delay_alu instid0(VALU_DEP_2) | instskip(NEXT) | instid1(VALU_DEP_1)
	v_cmp_ge_f32_e64 s3, 0, v6
	v_cndmask_b32_e64 v3, v3, v4, s3
	s_delay_alu instid0(VALU_DEP_3) | instskip(NEXT) | instid1(VALU_DEP_1)
	v_cmp_lt_f32_e64 s3, 0, v7
	v_cndmask_b32_e64 v3, v3, v5, s3
	s_delay_alu instid0(VALU_DEP_1) | instskip(NEXT) | instid1(VALU_DEP_1)
	v_mul_f32_e32 v4, 0x37800000, v3
	v_cndmask_b32_e32 v3, v3, v4, vcc_lo
	v_cmp_class_f32_e64 vcc_lo, v2, 0x260
	s_delay_alu instid0(VALU_DEP_2) | instskip(NEXT) | instid1(VALU_DEP_1)
	v_dual_cndmask_b32 v2, v3, v2 :: v_dual_and_b32 v3, 0x7fffffff, v1
	v_add_f32_e32 v4, v2, v2
	s_delay_alu instid0(VALU_DEP_1) | instskip(SKIP_1) | instid1(VALU_DEP_2)
	v_div_scale_f32 v5, null, v4, v4, v3
	v_div_scale_f32 v3, vcc_lo, v3, v4, v3
	v_rcp_f32_e32 v6, v5
	s_waitcnt_depctr 0xfff
	v_fma_f32 v7, -v5, v6, 1.0
	s_delay_alu instid0(VALU_DEP_1) | instskip(NEXT) | instid1(VALU_DEP_1)
	v_fmac_f32_e32 v6, v7, v6
	v_mul_f32_e32 v7, v3, v6
	s_delay_alu instid0(VALU_DEP_1) | instskip(NEXT) | instid1(VALU_DEP_1)
	v_fma_f32 v8, -v5, v7, v3
	v_fmac_f32_e32 v7, v8, v6
	s_delay_alu instid0(VALU_DEP_1) | instskip(NEXT) | instid1(VALU_DEP_1)
	v_fma_f32 v3, -v5, v7, v3
	v_div_fmas_f32 v3, v3, v6, v7
	s_delay_alu instid0(VALU_DEP_1)
	v_div_fixup_f32 v3, v3, v4, |v1|
	v_bfi_b32 v4, 0x7fffffff, v2, v1
.LBB183_396:
	s_or_b32 exec_lo, exec_lo, s11
                                        ; implicit-def: $vgpr1
                                        ; implicit-def: $vgpr2
	s_and_saveexec_b32 s3, s2
	s_delay_alu instid0(SALU_CYCLE_1)
	s_xor_b32 s2, exec_lo, s3
	s_cbranch_execz .LBB183_398
; %bb.397:
	v_mul_f32_e32 v1, 0.5, v3
	v_mul_f32_e32 v5, 0.5, v4
	s_delay_alu instid0(VALU_DEP_2) | instskip(NEXT) | instid1(VALU_DEP_2)
	v_cndmask_b32_e64 v2, v3, v1, s10
	v_cndmask_b32_e64 v1, v4, v5, s10
                                        ; implicit-def: $vgpr3
                                        ; implicit-def: $vgpr4
	s_and_not1_saveexec_b32 s2, s2
	s_cbranch_execnz .LBB183_399
	s_branch .LBB183_400
.LBB183_398:
	s_and_not1_saveexec_b32 s2, s2
.LBB183_399:
	v_dual_add_f32 v2, v3, v3 :: v_dual_add_f32 v1, v4, v4
.LBB183_400:
	s_or_b32 exec_lo, exec_lo, s2
                                        ; implicit-def: $vgpr3
.LBB183_401:
	s_and_not1_saveexec_b32 s2, s9
	s_cbranch_execz .LBB183_407
; %bb.402:
	v_cmp_lt_i16_e32 vcc_lo, -1, v3
	v_sub_f32_e32 v3, v1, v1
	s_and_saveexec_b32 s3, vcc_lo
	s_delay_alu instid0(SALU_CYCLE_1)
	s_xor_b32 s3, exec_lo, s3
; %bb.403:
	s_delay_alu instid0(VALU_DEP_1)
	v_bfi_b32 v1, 0x7fffffff, v3, v1
                                        ; implicit-def: $vgpr3
; %bb.404:
	s_and_not1_saveexec_b32 s3, s3
; %bb.405:
	v_and_b32_e32 v3, 0x7fffffff, v3
	s_delay_alu instid0(VALU_DEP_2) | instskip(NEXT) | instid1(VALU_DEP_2)
	v_bfi_b32 v1, 0x7fffffff, v2, v1
	v_mov_b32_e32 v2, v3
; %bb.406:
	s_or_b32 exec_lo, exec_lo, s3
.LBB183_407:
	s_delay_alu instid0(SALU_CYCLE_1)
	s_or_b32 exec_lo, exec_lo, s2
.LBB183_408:
	s_and_not1_saveexec_b32 s2, s8
; %bb.409:
	v_sub_f32_e32 v1, v1, v1
	s_delay_alu instid0(VALU_DEP_1) | instskip(NEXT) | instid1(VALU_DEP_1)
	v_div_scale_f32 v3, vcc_lo, v1, v1, v1
	v_rcp_f32_e32 v4, v3
	s_waitcnt_depctr 0xfff
	v_fma_f32 v5, -v3, v4, 1.0
	s_delay_alu instid0(VALU_DEP_1) | instskip(NEXT) | instid1(VALU_DEP_1)
	v_fmac_f32_e32 v4, v5, v4
	v_mul_f32_e32 v5, v3, v4
	s_delay_alu instid0(VALU_DEP_1) | instskip(NEXT) | instid1(VALU_DEP_1)
	v_fma_f32 v6, -v3, v5, v3
	v_fmac_f32_e32 v5, v6, v4
	s_delay_alu instid0(VALU_DEP_1) | instskip(NEXT) | instid1(VALU_DEP_1)
	v_fma_f32 v3, -v3, v5, v3
	v_div_fmas_f32 v3, v3, v4, v5
	s_delay_alu instid0(VALU_DEP_1)
	v_div_fixup_f32 v1, v3, v1, v1
; %bb.410:
	s_or_b32 exec_lo, exec_lo, s2
.LBB183_411:
	s_delay_alu instid0(SALU_CYCLE_1)
	s_or_b32 exec_lo, exec_lo, s7
.LBB183_412:
	s_delay_alu instid0(SALU_CYCLE_1)
	s_or_b32 exec_lo, exec_lo, s6
	v_cmp_gt_f32_e32 vcc_lo, 0, v2
                                        ; implicit-def: $vgpr6
                                        ; implicit-def: $vgpr5
	s_mov_b32 s2, exec_lo
	v_cndmask_b32_e64 v3, v2, -v2, vcc_lo
	v_cmp_gt_f32_e32 vcc_lo, 0, v1
	v_cndmask_b32_e64 v4, v1, -v1, vcc_lo
	s_delay_alu instid0(VALU_DEP_1)
	v_cmpx_ge_f32_e32 v3, v4
	s_xor_b32 s3, exec_lo, s2
	s_cbranch_execz .LBB183_418
; %bb.413:
	v_cmp_neq_f32_e32 vcc_lo, 0, v2
	v_cmp_neq_f32_e64 s2, 0, v1
                                        ; implicit-def: $vgpr6
                                        ; implicit-def: $vgpr5
	s_delay_alu instid0(VALU_DEP_1) | instskip(NEXT) | instid1(SALU_CYCLE_1)
	s_or_b32 s2, vcc_lo, s2
	s_and_saveexec_b32 s6, s2
	s_delay_alu instid0(SALU_CYCLE_1)
	s_xor_b32 s2, exec_lo, s6
	s_cbranch_execz .LBB183_415
; %bb.414:
	v_div_scale_f32 v3, null, v2, v2, v1
	v_div_scale_f32 v6, vcc_lo, v1, v2, v1
	s_delay_alu instid0(VALU_DEP_2) | instskip(SKIP_2) | instid1(VALU_DEP_1)
	v_rcp_f32_e32 v4, v3
	s_waitcnt_depctr 0xfff
	v_fma_f32 v5, -v3, v4, 1.0
	v_fmac_f32_e32 v4, v5, v4
	s_delay_alu instid0(VALU_DEP_1) | instskip(NEXT) | instid1(VALU_DEP_1)
	v_mul_f32_e32 v5, v6, v4
	v_fma_f32 v7, -v3, v5, v6
	s_delay_alu instid0(VALU_DEP_1) | instskip(NEXT) | instid1(VALU_DEP_1)
	v_fmac_f32_e32 v5, v7, v4
	v_fma_f32 v3, -v3, v5, v6
	s_delay_alu instid0(VALU_DEP_1) | instskip(NEXT) | instid1(VALU_DEP_1)
	v_div_fmas_f32 v3, v3, v4, v5
	v_div_fixup_f32 v3, v3, v2, v1
	s_delay_alu instid0(VALU_DEP_1) | instskip(NEXT) | instid1(VALU_DEP_1)
	v_fmac_f32_e32 v2, v1, v3
	v_div_scale_f32 v1, null, v2, v2, 1.0
	v_div_scale_f32 v6, vcc_lo, 1.0, v2, 1.0
	s_delay_alu instid0(VALU_DEP_2) | instskip(SKIP_2) | instid1(VALU_DEP_1)
	v_rcp_f32_e32 v4, v1
	s_waitcnt_depctr 0xfff
	v_fma_f32 v5, -v1, v4, 1.0
	v_fmac_f32_e32 v4, v5, v4
	s_delay_alu instid0(VALU_DEP_1) | instskip(NEXT) | instid1(VALU_DEP_1)
	v_mul_f32_e32 v5, v6, v4
	v_fma_f32 v7, -v1, v5, v6
	s_delay_alu instid0(VALU_DEP_1) | instskip(NEXT) | instid1(VALU_DEP_1)
	v_fmac_f32_e32 v5, v7, v4
	v_fma_f32 v1, -v1, v5, v6
	s_delay_alu instid0(VALU_DEP_1) | instskip(SKIP_1) | instid1(VALU_DEP_2)
	v_div_fmas_f32 v1, v1, v4, v5
	v_fma_f32 v4, v3, 0, 1.0
	v_div_fixup_f32 v1, v1, v2, 1.0
	s_delay_alu instid0(VALU_DEP_1)
	v_mul_f32_e32 v5, v4, v1
	v_mul_f32_e64 v6, -v3, v1
                                        ; implicit-def: $vgpr3
                                        ; implicit-def: $vgpr4
.LBB183_415:
	s_and_not1_saveexec_b32 s6, s2
	s_cbranch_execz .LBB183_417
; %bb.416:
	v_div_scale_f32 v1, null, v3, v3, 1.0
	v_div_scale_f32 v2, null, v4, v4, 0
	v_div_scale_f32 v9, vcc_lo, 1.0, v3, 1.0
	s_delay_alu instid0(VALU_DEP_3) | instskip(NEXT) | instid1(VALU_DEP_2)
	v_rcp_f32_e32 v5, v1
	v_rcp_f32_e32 v6, v2
	s_waitcnt_depctr 0xfff
	v_fma_f32 v7, -v1, v5, 1.0
	v_fma_f32 v8, -v2, v6, 1.0
	s_delay_alu instid0(VALU_DEP_1) | instskip(SKIP_1) | instid1(VALU_DEP_2)
	v_dual_fmac_f32 v5, v7, v5 :: v_dual_fmac_f32 v6, v8, v6
	v_div_scale_f32 v7, s2, 0, v4, 0
	v_mul_f32_e32 v8, v9, v5
	s_delay_alu instid0(VALU_DEP_2) | instskip(NEXT) | instid1(VALU_DEP_2)
	v_mul_f32_e32 v10, v7, v6
	v_fma_f32 v11, -v1, v8, v9
	s_delay_alu instid0(VALU_DEP_2) | instskip(NEXT) | instid1(VALU_DEP_2)
	v_fma_f32 v12, -v2, v10, v7
	v_fmac_f32_e32 v8, v11, v5
	s_delay_alu instid0(VALU_DEP_2) | instskip(NEXT) | instid1(VALU_DEP_2)
	v_fmac_f32_e32 v10, v12, v6
	v_fma_f32 v1, -v1, v8, v9
	s_delay_alu instid0(VALU_DEP_2) | instskip(NEXT) | instid1(VALU_DEP_2)
	v_fma_f32 v2, -v2, v10, v7
	v_div_fmas_f32 v1, v1, v5, v8
	s_mov_b32 vcc_lo, s2
	s_delay_alu instid0(VALU_DEP_2) | instskip(NEXT) | instid1(VALU_DEP_2)
	v_div_fmas_f32 v2, v2, v6, v10
	v_div_fixup_f32 v5, v1, v3, 1.0
	s_delay_alu instid0(VALU_DEP_2)
	v_div_fixup_f32 v6, v2, v4, 0
.LBB183_417:
	s_or_b32 exec_lo, exec_lo, s6
                                        ; implicit-def: $vgpr1
                                        ; implicit-def: $vgpr2
.LBB183_418:
	s_and_not1_saveexec_b32 s2, s3
	s_cbranch_execz .LBB183_420
; %bb.419:
	v_div_scale_f32 v3, null, v1, v1, v2
	v_div_scale_f32 v6, vcc_lo, v2, v1, v2
	s_delay_alu instid0(VALU_DEP_2) | instskip(SKIP_2) | instid1(VALU_DEP_1)
	v_rcp_f32_e32 v4, v3
	s_waitcnt_depctr 0xfff
	v_fma_f32 v5, -v3, v4, 1.0
	v_fmac_f32_e32 v4, v5, v4
	s_delay_alu instid0(VALU_DEP_1) | instskip(NEXT) | instid1(VALU_DEP_1)
	v_mul_f32_e32 v5, v6, v4
	v_fma_f32 v7, -v3, v5, v6
	s_delay_alu instid0(VALU_DEP_1) | instskip(NEXT) | instid1(VALU_DEP_1)
	v_fmac_f32_e32 v5, v7, v4
	v_fma_f32 v3, -v3, v5, v6
	s_delay_alu instid0(VALU_DEP_1) | instskip(NEXT) | instid1(VALU_DEP_1)
	v_div_fmas_f32 v3, v3, v4, v5
	v_div_fixup_f32 v3, v3, v1, v2
	s_delay_alu instid0(VALU_DEP_1) | instskip(NEXT) | instid1(VALU_DEP_1)
	v_fmac_f32_e32 v1, v2, v3
	v_div_scale_f32 v2, null, v1, v1, 1.0
	v_div_scale_f32 v6, vcc_lo, 1.0, v1, 1.0
	s_delay_alu instid0(VALU_DEP_2) | instskip(SKIP_2) | instid1(VALU_DEP_1)
	v_rcp_f32_e32 v4, v2
	s_waitcnt_depctr 0xfff
	v_fma_f32 v5, -v2, v4, 1.0
	v_fmac_f32_e32 v4, v5, v4
	s_delay_alu instid0(VALU_DEP_1) | instskip(NEXT) | instid1(VALU_DEP_1)
	v_mul_f32_e32 v5, v6, v4
	v_fma_f32 v7, -v2, v5, v6
	s_delay_alu instid0(VALU_DEP_1) | instskip(NEXT) | instid1(VALU_DEP_1)
	v_fmac_f32_e32 v5, v7, v4
	v_fma_f32 v2, -v2, v5, v6
	s_delay_alu instid0(VALU_DEP_1) | instskip(SKIP_1) | instid1(VALU_DEP_2)
	v_div_fmas_f32 v2, v2, v4, v5
	v_add_f32_e32 v4, 0, v3
	v_div_fixup_f32 v1, v2, v1, 1.0
	v_fma_f32 v2, v3, 0, -1.0
	s_delay_alu instid0(VALU_DEP_2) | instskip(NEXT) | instid1(VALU_DEP_2)
	v_mul_f32_e32 v5, v4, v1
	v_mul_f32_e32 v6, v2, v1
.LBB183_420:
	s_or_b32 exec_lo, exec_lo, s2
	s_delay_alu instid0(VALU_DEP_1) | instskip(NEXT) | instid1(VALU_DEP_3)
	v_cvt_f16_f32_e32 v1, v6
	v_cvt_f16_f32_e32 v2, v5
	s_delay_alu instid0(VALU_DEP_2) | instskip(NEXT) | instid1(VALU_DEP_2)
	v_lshlrev_b32_e32 v1, 16, v1
	v_and_b32_e32 v2, 0xffff, v2
	s_delay_alu instid0(VALU_DEP_1)
	v_or_b32_e32 v1, v1, v2
	global_store_b32 v0, v1, s[4:5]
	s_or_b32 exec_lo, exec_lo, s20
                                        ; implicit-def: $vgpr8
                                        ; implicit-def: $vgpr2
	s_and_not1_saveexec_b32 s2, s25
	s_cbranch_execz .LBB183_341
	s_branch .LBB183_8
	.section	.rodata,"a",@progbits
	.p2align	6, 0x0
	.amdhsa_kernel _ZN2at6native32elementwise_kernel_manual_unrollILi128ELi4EZNS0_22gpu_kernel_impl_nocastIZZZNS0_17rsqrt_kernel_cudaERNS_18TensorIteratorBaseEENKUlvE_clEvENKUlvE1_clEvEUlN3c107complexINS7_4HalfEEEE_EEvS4_RKT_EUlibE_EEviT1_
		.amdhsa_group_segment_fixed_size 0
		.amdhsa_private_segment_fixed_size 0
		.amdhsa_kernarg_size 360
		.amdhsa_user_sgpr_count 15
		.amdhsa_user_sgpr_dispatch_ptr 0
		.amdhsa_user_sgpr_queue_ptr 0
		.amdhsa_user_sgpr_kernarg_segment_ptr 1
		.amdhsa_user_sgpr_dispatch_id 0
		.amdhsa_user_sgpr_private_segment_size 0
		.amdhsa_wavefront_size32 1
		.amdhsa_uses_dynamic_stack 0
		.amdhsa_enable_private_segment 0
		.amdhsa_system_sgpr_workgroup_id_x 1
		.amdhsa_system_sgpr_workgroup_id_y 0
		.amdhsa_system_sgpr_workgroup_id_z 0
		.amdhsa_system_sgpr_workgroup_info 0
		.amdhsa_system_vgpr_workitem_id 0
		.amdhsa_next_free_vgpr 22
		.amdhsa_next_free_sgpr 56
		.amdhsa_reserve_vcc 1
		.amdhsa_float_round_mode_32 0
		.amdhsa_float_round_mode_16_64 0
		.amdhsa_float_denorm_mode_32 3
		.amdhsa_float_denorm_mode_16_64 3
		.amdhsa_dx10_clamp 1
		.amdhsa_ieee_mode 1
		.amdhsa_fp16_overflow 0
		.amdhsa_workgroup_processor_mode 1
		.amdhsa_memory_ordered 1
		.amdhsa_forward_progress 0
		.amdhsa_shared_vgpr_count 0
		.amdhsa_exception_fp_ieee_invalid_op 0
		.amdhsa_exception_fp_denorm_src 0
		.amdhsa_exception_fp_ieee_div_zero 0
		.amdhsa_exception_fp_ieee_overflow 0
		.amdhsa_exception_fp_ieee_underflow 0
		.amdhsa_exception_fp_ieee_inexact 0
		.amdhsa_exception_int_div_zero 0
	.end_amdhsa_kernel
	.section	.text._ZN2at6native32elementwise_kernel_manual_unrollILi128ELi4EZNS0_22gpu_kernel_impl_nocastIZZZNS0_17rsqrt_kernel_cudaERNS_18TensorIteratorBaseEENKUlvE_clEvENKUlvE1_clEvEUlN3c107complexINS7_4HalfEEEE_EEvS4_RKT_EUlibE_EEviT1_,"axG",@progbits,_ZN2at6native32elementwise_kernel_manual_unrollILi128ELi4EZNS0_22gpu_kernel_impl_nocastIZZZNS0_17rsqrt_kernel_cudaERNS_18TensorIteratorBaseEENKUlvE_clEvENKUlvE1_clEvEUlN3c107complexINS7_4HalfEEEE_EEvS4_RKT_EUlibE_EEviT1_,comdat
.Lfunc_end183:
	.size	_ZN2at6native32elementwise_kernel_manual_unrollILi128ELi4EZNS0_22gpu_kernel_impl_nocastIZZZNS0_17rsqrt_kernel_cudaERNS_18TensorIteratorBaseEENKUlvE_clEvENKUlvE1_clEvEUlN3c107complexINS7_4HalfEEEE_EEvS4_RKT_EUlibE_EEviT1_, .Lfunc_end183-_ZN2at6native32elementwise_kernel_manual_unrollILi128ELi4EZNS0_22gpu_kernel_impl_nocastIZZZNS0_17rsqrt_kernel_cudaERNS_18TensorIteratorBaseEENKUlvE_clEvENKUlvE1_clEvEUlN3c107complexINS7_4HalfEEEE_EEvS4_RKT_EUlibE_EEviT1_
                                        ; -- End function
	.section	.AMDGPU.csdata,"",@progbits
; Kernel info:
; codeLenInByte = 22416
; NumSgprs: 58
; NumVgprs: 22
; ScratchSize: 0
; MemoryBound: 0
; FloatMode: 240
; IeeeMode: 1
; LDSByteSize: 0 bytes/workgroup (compile time only)
; SGPRBlocks: 7
; VGPRBlocks: 2
; NumSGPRsForWavesPerEU: 58
; NumVGPRsForWavesPerEU: 22
; Occupancy: 16
; WaveLimiterHint : 1
; COMPUTE_PGM_RSRC2:SCRATCH_EN: 0
; COMPUTE_PGM_RSRC2:USER_SGPR: 15
; COMPUTE_PGM_RSRC2:TRAP_HANDLER: 0
; COMPUTE_PGM_RSRC2:TGID_X_EN: 1
; COMPUTE_PGM_RSRC2:TGID_Y_EN: 0
; COMPUTE_PGM_RSRC2:TGID_Z_EN: 0
; COMPUTE_PGM_RSRC2:TIDIG_COMP_CNT: 0
	.section	.text._ZN2at6native32elementwise_kernel_manual_unrollILi128ELi4EZNS0_15gpu_kernel_implIZZZNS0_17rsqrt_kernel_cudaERNS_18TensorIteratorBaseEENKUlvE_clEvENKUlvE1_clEvEUlN3c107complexINS7_4HalfEEEE_EEvS4_RKT_EUlibE_EEviT1_,"axG",@progbits,_ZN2at6native32elementwise_kernel_manual_unrollILi128ELi4EZNS0_15gpu_kernel_implIZZZNS0_17rsqrt_kernel_cudaERNS_18TensorIteratorBaseEENKUlvE_clEvENKUlvE1_clEvEUlN3c107complexINS7_4HalfEEEE_EEvS4_RKT_EUlibE_EEviT1_,comdat
	.globl	_ZN2at6native32elementwise_kernel_manual_unrollILi128ELi4EZNS0_15gpu_kernel_implIZZZNS0_17rsqrt_kernel_cudaERNS_18TensorIteratorBaseEENKUlvE_clEvENKUlvE1_clEvEUlN3c107complexINS7_4HalfEEEE_EEvS4_RKT_EUlibE_EEviT1_ ; -- Begin function _ZN2at6native32elementwise_kernel_manual_unrollILi128ELi4EZNS0_15gpu_kernel_implIZZZNS0_17rsqrt_kernel_cudaERNS_18TensorIteratorBaseEENKUlvE_clEvENKUlvE1_clEvEUlN3c107complexINS7_4HalfEEEE_EEvS4_RKT_EUlibE_EEviT1_
	.p2align	8
	.type	_ZN2at6native32elementwise_kernel_manual_unrollILi128ELi4EZNS0_15gpu_kernel_implIZZZNS0_17rsqrt_kernel_cudaERNS_18TensorIteratorBaseEENKUlvE_clEvENKUlvE1_clEvEUlN3c107complexINS7_4HalfEEEE_EEvS4_RKT_EUlibE_EEviT1_,@function
_ZN2at6native32elementwise_kernel_manual_unrollILi128ELi4EZNS0_15gpu_kernel_implIZZZNS0_17rsqrt_kernel_cudaERNS_18TensorIteratorBaseEENKUlvE_clEvENKUlvE1_clEvEUlN3c107complexINS7_4HalfEEEE_EEvS4_RKT_EUlibE_EEviT1_: ; @_ZN2at6native32elementwise_kernel_manual_unrollILi128ELi4EZNS0_15gpu_kernel_implIZZZNS0_17rsqrt_kernel_cudaERNS_18TensorIteratorBaseEENKUlvE_clEvENKUlvE1_clEvEUlN3c107complexINS7_4HalfEEEE_EEvS4_RKT_EUlibE_EEviT1_
; %bb.0:
	v_mov_b32_e32 v1, 0
	s_clause 0x2
	s_load_b32 s11, s[0:1], 0x0
	s_load_b64 s[2:3], s[0:1], 0x18
	s_load_b128 s[4:7], s[0:1], 0x8
	v_lshl_or_b32 v3, s15, 9, v0
	s_mov_b32 s8, 0
	s_mov_b32 s10, 0
	global_load_u16 v2, v1, s[0:1] offset:33
	s_mov_b32 s0, exec_lo
	v_or_b32_e32 v0, 0x180, v3
	s_waitcnt vmcnt(0)
	v_lshrrev_b16 v4, 8, v2
	s_waitcnt lgkmcnt(0)
	s_delay_alu instid0(VALU_DEP_2)
	v_cmpx_le_i32_e64 s11, v0
	s_xor_b32 s9, exec_lo, s0
	s_cbranch_execz .LBB184_1204
; %bb.1:
	s_mov_b32 s1, -1
	s_mov_b32 s14, 0
	s_mov_b32 s12, 0
	s_mov_b32 s13, exec_lo
	v_cmpx_gt_i32_e64 s11, v3
	s_cbranch_execz .LBB184_294
; %bb.2:
	v_mul_lo_u32 v0, v3, s3
	v_cmp_gt_i16_e32 vcc_lo, 11, v4
	s_delay_alu instid0(VALU_DEP_2) | instskip(SKIP_1) | instid1(VALU_DEP_1)
	v_ashrrev_i32_e32 v1, 31, v0
	v_add_co_u32 v0, s0, s6, v0
	v_add_co_ci_u32_e64 v1, s0, s7, v1, s0
	s_cbranch_vccnz .LBB184_9
; %bb.3:
	v_cmp_lt_i16_e32 vcc_lo, 25, v4
	s_cbranch_vccz .LBB184_23
; %bb.4:
	v_cmp_lt_i16_e32 vcc_lo, 28, v4
	s_cbranch_vccz .LBB184_24
	;; [unrolled: 3-line block ×4, first 2 shown]
; %bb.7:
	v_cmp_eq_u16_e32 vcc_lo, 46, v4
	s_mov_b32 s1, 0
	s_cbranch_vccz .LBB184_64
; %bb.8:
	global_load_b32 v5, v[0:1], off
	s_mov_b32 s0, -1
	s_waitcnt vmcnt(0)
	v_lshlrev_b32_e32 v6, 16, v5
	v_and_b32_e32 v7, 0xffff0000, v5
	s_delay_alu instid0(VALU_DEP_2) | instskip(NEXT) | instid1(VALU_DEP_2)
	v_cvt_f16_f32_e32 v5, v6
	v_cvt_f16_f32_e32 v6, v7
	s_branch .LBB184_66
.LBB184_9:
	s_mov_b32 s0, 0
                                        ; implicit-def: $vgpr6
                                        ; implicit-def: $vgpr5
	s_and_b32 vcc_lo, exec_lo, s1
	s_cbranch_vccnz .LBB184_242
.LBB184_10:
	s_and_not1_b32 vcc_lo, exec_lo, s0
	s_cbranch_vccnz .LBB184_291
.LBB184_11:
	s_waitcnt vmcnt(0)
	s_delay_alu instid0(VALU_DEP_2) | instskip(NEXT) | instid1(VALU_DEP_2)
	v_cmp_neq_f16_e32 vcc_lo, 0, v5
	v_cmp_neq_f16_e64 s0, 0, v6
	v_cvt_f32_f16_e32 v0, v6
	v_mov_b32_e32 v1, 0
	s_delay_alu instid0(VALU_DEP_3) | instskip(NEXT) | instid1(SALU_CYCLE_1)
	s_or_b32 s0, vcc_lo, s0
	s_and_saveexec_b32 s10, s0
	s_cbranch_execz .LBB184_44
; %bb.12:
	v_mov_b32_e32 v1, 0x7f800000
	s_mov_b32 s15, exec_lo
	v_cmpx_neq_f32_e64 0x7f800000, |v0|
	s_cbranch_execz .LBB184_43
; %bb.13:
	v_cvt_f32_f16_e32 v1, v5
	s_mov_b32 s0, exec_lo
	v_cmpx_o_f16_e32 v5, v5
	s_xor_b32 s16, exec_lo, s0
	s_cbranch_execz .LBB184_40
; %bb.14:
	s_mov_b32 s1, exec_lo
	v_cmpx_neq_f32_e64 0x7f800000, |v1|
	s_xor_b32 s17, exec_lo, s1
	s_cbranch_execz .LBB184_33
; %bb.15:
	v_max_f32_e64 v5, |v0|, |v0|
	v_max_f32_e64 v6, |v1|, |v1|
                                        ; implicit-def: $sgpr18
	s_delay_alu instid0(VALU_DEP_1) | instskip(NEXT) | instid1(VALU_DEP_1)
	v_max_f32_e32 v5, v6, v5
	v_cmp_nle_f32_e64 s0, 0x7ed413cb, v5
	s_delay_alu instid0(VALU_DEP_1) | instskip(NEXT) | instid1(SALU_CYCLE_1)
	s_and_saveexec_b32 s1, s0
	s_xor_b32 s1, exec_lo, s1
	s_cbranch_execz .LBB184_19
; %bb.16:
	v_cmp_ge_f32_e64 s18, 0x1000000, |v1|
	v_cmp_ge_f32_e64 s19, 0x1000000, |v0|
	s_delay_alu instid0(VALU_DEP_1)
	s_and_b32 s20, s18, s19
	s_mov_b32 s18, 0
	s_and_saveexec_b32 s19, s20
; %bb.17:
	v_dual_mul_f32 v0, 4.0, v0 :: v_dual_mul_f32 v1, 4.0, v1
	s_mov_b32 s18, exec_lo
; %bb.18:
	s_or_b32 exec_lo, exec_lo, s19
	s_delay_alu instid0(SALU_CYCLE_1)
	s_and_b32 s18, s18, exec_lo
.LBB184_19:
	s_and_not1_saveexec_b32 s1, s1
; %bb.20:
	v_dual_mul_f32 v1, 0x3e800000, v1 :: v_dual_mul_f32 v0, 0x3e800000, v0
	s_and_not1_b32 s18, s18, exec_lo
; %bb.21:
	s_or_b32 exec_lo, exec_lo, s1
	s_delay_alu instid0(VALU_DEP_1) | instskip(NEXT) | instid1(VALU_DEP_2)
	v_max_f32_e64 v5, |v0|, |v0|
	v_max_f32_e64 v6, |v1|, |v1|
	s_delay_alu instid0(VALU_DEP_1) | instskip(NEXT) | instid1(VALU_DEP_1)
	v_max_f32_e32 v7, v6, v5
	v_cvt_f64_f32_e32 v[5:6], v7
	s_delay_alu instid0(VALU_DEP_1) | instskip(NEXT) | instid1(VALU_DEP_1)
	v_frexp_exp_i32_f64_e32 v5, v[5:6]
	v_sub_nc_u32_e32 v6, 0, v5
	s_delay_alu instid0(VALU_DEP_1) | instskip(SKIP_1) | instid1(VALU_DEP_2)
	v_ldexp_f32 v8, |v0|, v6
	v_ldexp_f32 v6, |v1|, v6
	v_mul_f32_e32 v8, v8, v8
	v_cmp_neq_f32_e64 s1, 0x7f800000, v7
	s_delay_alu instid0(VALU_DEP_2) | instskip(NEXT) | instid1(VALU_DEP_1)
	v_fmac_f32_e32 v8, v6, v6
	v_sqrt_f32_e32 v6, v8
	s_waitcnt_depctr 0xfff
	v_ldexp_f32 v5, v6, v5
                                        ; implicit-def: $vgpr6
	s_delay_alu instid0(VALU_DEP_1)
	v_cndmask_b32_e64 v7, 0x7f800000, v5, s1
                                        ; implicit-def: $vgpr5
	s_mov_b32 s1, exec_lo
	v_cmpx_le_f32_e32 0, v1
	s_xor_b32 s19, exec_lo, s1
	s_cbranch_execz .LBB184_26
; %bb.22:
	v_add_f32_e32 v1, v1, v7
	s_delay_alu instid0(VALU_DEP_1) | instskip(NEXT) | instid1(VALU_DEP_1)
	v_mul_f32_e32 v1, 0.5, v1
	v_mul_f32_e32 v5, 0x4f800000, v1
	v_cmp_gt_f32_e32 vcc_lo, 0xf800000, v1
	s_delay_alu instid0(VALU_DEP_2) | instskip(NEXT) | instid1(VALU_DEP_1)
	v_cndmask_b32_e32 v1, v1, v5, vcc_lo
	v_sqrt_f32_e32 v5, v1
	s_waitcnt_depctr 0xfff
	v_add_nc_u32_e32 v6, -1, v5
	v_add_nc_u32_e32 v7, 1, v5
	s_delay_alu instid0(VALU_DEP_2) | instskip(NEXT) | instid1(VALU_DEP_2)
	v_fma_f32 v8, -v6, v5, v1
	v_fma_f32 v9, -v7, v5, v1
	s_delay_alu instid0(VALU_DEP_2) | instskip(NEXT) | instid1(VALU_DEP_1)
	v_cmp_ge_f32_e64 s1, 0, v8
	v_cndmask_b32_e64 v5, v5, v6, s1
	s_delay_alu instid0(VALU_DEP_3) | instskip(NEXT) | instid1(VALU_DEP_1)
	v_cmp_lt_f32_e64 s1, 0, v9
	v_cndmask_b32_e64 v5, v5, v7, s1
	s_delay_alu instid0(VALU_DEP_1) | instskip(NEXT) | instid1(VALU_DEP_1)
	v_mul_f32_e32 v6, 0x37800000, v5
	v_cndmask_b32_e32 v5, v5, v6, vcc_lo
	v_cmp_class_f32_e64 vcc_lo, v1, 0x260
	s_delay_alu instid0(VALU_DEP_2) | instskip(NEXT) | instid1(VALU_DEP_1)
	v_cndmask_b32_e32 v5, v5, v1, vcc_lo
	v_add_f32_e32 v1, v5, v5
	s_delay_alu instid0(VALU_DEP_1) | instskip(NEXT) | instid1(VALU_DEP_1)
	v_div_scale_f32 v6, null, v1, v1, v0
	v_rcp_f32_e32 v7, v6
	s_waitcnt_depctr 0xfff
	v_fma_f32 v8, -v6, v7, 1.0
	s_delay_alu instid0(VALU_DEP_1) | instskip(SKIP_1) | instid1(VALU_DEP_1)
	v_fmac_f32_e32 v7, v8, v7
	v_div_scale_f32 v8, vcc_lo, v0, v1, v0
	v_mul_f32_e32 v9, v8, v7
	s_delay_alu instid0(VALU_DEP_1) | instskip(NEXT) | instid1(VALU_DEP_1)
	v_fma_f32 v10, -v6, v9, v8
	v_fmac_f32_e32 v9, v10, v7
	s_delay_alu instid0(VALU_DEP_1) | instskip(NEXT) | instid1(VALU_DEP_1)
	v_fma_f32 v6, -v6, v9, v8
	v_div_fmas_f32 v6, v6, v7, v9
                                        ; implicit-def: $vgpr7
	s_delay_alu instid0(VALU_DEP_1)
	v_div_fixup_f32 v6, v6, v1, v0
                                        ; implicit-def: $vgpr1
                                        ; implicit-def: $vgpr0
	s_and_not1_saveexec_b32 s19, s19
	s_cbranch_execz .LBB184_28
	s_branch .LBB184_27
.LBB184_23:
	s_mov_b32 s0, 0
                                        ; implicit-def: $vgpr6
                                        ; implicit-def: $vgpr5
	s_and_b32 vcc_lo, exec_lo, s1
	s_cbranch_vccnz .LBB184_208
	s_branch .LBB184_241
.LBB184_24:
	s_mov_b32 s0, 0
                                        ; implicit-def: $vgpr6
                                        ; implicit-def: $vgpr5
	s_branch .LBB184_187
.LBB184_25:
	s_mov_b32 s0, 0
                                        ; implicit-def: $vgpr6
                                        ; implicit-def: $vgpr5
	s_branch .LBB184_181
.LBB184_26:
	s_and_not1_saveexec_b32 s19, s19
	s_cbranch_execz .LBB184_28
.LBB184_27:
	v_sub_f32_e32 v1, v7, v1
	s_delay_alu instid0(VALU_DEP_1) | instskip(NEXT) | instid1(VALU_DEP_1)
	v_mul_f32_e32 v1, 0.5, v1
	v_mul_f32_e32 v5, 0x4f800000, v1
	v_cmp_gt_f32_e32 vcc_lo, 0xf800000, v1
	s_delay_alu instid0(VALU_DEP_2) | instskip(NEXT) | instid1(VALU_DEP_1)
	v_cndmask_b32_e32 v1, v1, v5, vcc_lo
	v_sqrt_f32_e32 v5, v1
	s_waitcnt_depctr 0xfff
	v_add_nc_u32_e32 v6, -1, v5
	v_add_nc_u32_e32 v7, 1, v5
	s_delay_alu instid0(VALU_DEP_2) | instskip(NEXT) | instid1(VALU_DEP_2)
	v_fma_f32 v8, -v6, v5, v1
	v_fma_f32 v9, -v7, v5, v1
	s_delay_alu instid0(VALU_DEP_2) | instskip(NEXT) | instid1(VALU_DEP_1)
	v_cmp_ge_f32_e64 s1, 0, v8
	v_cndmask_b32_e64 v5, v5, v6, s1
	s_delay_alu instid0(VALU_DEP_3) | instskip(NEXT) | instid1(VALU_DEP_1)
	v_cmp_lt_f32_e64 s1, 0, v9
	v_cndmask_b32_e64 v5, v5, v7, s1
	s_delay_alu instid0(VALU_DEP_1) | instskip(NEXT) | instid1(VALU_DEP_1)
	v_mul_f32_e32 v6, 0x37800000, v5
	v_cndmask_b32_e32 v5, v5, v6, vcc_lo
	v_cmp_class_f32_e64 vcc_lo, v1, 0x260
	s_delay_alu instid0(VALU_DEP_2) | instskip(NEXT) | instid1(VALU_DEP_1)
	v_cndmask_b32_e32 v1, v5, v1, vcc_lo
	v_dual_add_f32 v6, v1, v1 :: v_dual_and_b32 v5, 0x7fffffff, v0
	s_delay_alu instid0(VALU_DEP_1) | instskip(SKIP_1) | instid1(VALU_DEP_2)
	v_div_scale_f32 v7, null, v6, v6, v5
	v_div_scale_f32 v5, vcc_lo, v5, v6, v5
	v_rcp_f32_e32 v8, v7
	s_waitcnt_depctr 0xfff
	v_fma_f32 v9, -v7, v8, 1.0
	s_delay_alu instid0(VALU_DEP_1) | instskip(NEXT) | instid1(VALU_DEP_1)
	v_fmac_f32_e32 v8, v9, v8
	v_mul_f32_e32 v9, v5, v8
	s_delay_alu instid0(VALU_DEP_1) | instskip(NEXT) | instid1(VALU_DEP_1)
	v_fma_f32 v10, -v7, v9, v5
	v_fmac_f32_e32 v9, v10, v8
	s_delay_alu instid0(VALU_DEP_1) | instskip(NEXT) | instid1(VALU_DEP_1)
	v_fma_f32 v5, -v7, v9, v5
	v_div_fmas_f32 v5, v5, v8, v9
	s_delay_alu instid0(VALU_DEP_1)
	v_div_fixup_f32 v5, v5, v6, |v0|
	v_bfi_b32 v6, 0x7fffffff, v1, v0
.LBB184_28:
	s_or_b32 exec_lo, exec_lo, s19
                                        ; implicit-def: $vgpr0
                                        ; implicit-def: $vgpr1
	s_and_saveexec_b32 s1, s0
	s_delay_alu instid0(SALU_CYCLE_1)
	s_xor_b32 s0, exec_lo, s1
	s_cbranch_execz .LBB184_30
; %bb.29:
	v_dual_mul_f32 v0, 0.5, v5 :: v_dual_mul_f32 v7, 0.5, v6
	s_delay_alu instid0(VALU_DEP_1) | instskip(NEXT) | instid1(VALU_DEP_2)
	v_cndmask_b32_e64 v1, v5, v0, s18
	v_cndmask_b32_e64 v0, v6, v7, s18
                                        ; implicit-def: $vgpr5
                                        ; implicit-def: $vgpr6
	s_and_not1_saveexec_b32 s0, s0
	s_cbranch_execnz .LBB184_31
	s_branch .LBB184_32
.LBB184_30:
	s_and_not1_saveexec_b32 s0, s0
.LBB184_31:
	v_dual_add_f32 v1, v5, v5 :: v_dual_add_f32 v0, v6, v6
.LBB184_32:
	s_or_b32 exec_lo, exec_lo, s0
                                        ; implicit-def: $vgpr5
.LBB184_33:
	s_and_not1_saveexec_b32 s0, s17
	s_cbranch_execz .LBB184_39
; %bb.34:
	v_cmp_lt_i16_e32 vcc_lo, -1, v5
	v_sub_f32_e32 v5, v0, v0
	s_and_saveexec_b32 s1, vcc_lo
	s_delay_alu instid0(SALU_CYCLE_1)
	s_xor_b32 s1, exec_lo, s1
; %bb.35:
	s_delay_alu instid0(VALU_DEP_1)
	v_bfi_b32 v0, 0x7fffffff, v5, v0
                                        ; implicit-def: $vgpr5
; %bb.36:
	s_and_not1_saveexec_b32 s1, s1
; %bb.37:
	v_and_b32_e32 v5, 0x7fffffff, v5
	s_delay_alu instid0(VALU_DEP_2) | instskip(NEXT) | instid1(VALU_DEP_2)
	v_bfi_b32 v0, 0x7fffffff, v1, v0
	v_mov_b32_e32 v1, v5
; %bb.38:
	s_or_b32 exec_lo, exec_lo, s1
.LBB184_39:
	s_delay_alu instid0(SALU_CYCLE_1)
	s_or_b32 exec_lo, exec_lo, s0
.LBB184_40:
	s_and_not1_saveexec_b32 s0, s16
; %bb.41:
	v_sub_f32_e32 v0, v0, v0
	s_delay_alu instid0(VALU_DEP_1) | instskip(NEXT) | instid1(VALU_DEP_1)
	v_div_scale_f32 v5, vcc_lo, v0, v0, v0
	v_rcp_f32_e32 v6, v5
	s_waitcnt_depctr 0xfff
	v_fma_f32 v7, -v5, v6, 1.0
	s_delay_alu instid0(VALU_DEP_1) | instskip(NEXT) | instid1(VALU_DEP_1)
	v_fmac_f32_e32 v6, v7, v6
	v_mul_f32_e32 v7, v5, v6
	s_delay_alu instid0(VALU_DEP_1) | instskip(NEXT) | instid1(VALU_DEP_1)
	v_fma_f32 v8, -v5, v7, v5
	v_fmac_f32_e32 v7, v8, v6
	s_delay_alu instid0(VALU_DEP_1) | instskip(NEXT) | instid1(VALU_DEP_1)
	v_fma_f32 v5, -v5, v7, v5
	v_div_fmas_f32 v5, v5, v6, v7
	s_delay_alu instid0(VALU_DEP_1)
	v_div_fixup_f32 v0, v5, v0, v0
; %bb.42:
	s_or_b32 exec_lo, exec_lo, s0
.LBB184_43:
	s_delay_alu instid0(SALU_CYCLE_1)
	s_or_b32 exec_lo, exec_lo, s15
.LBB184_44:
	s_delay_alu instid0(SALU_CYCLE_1)
	s_or_b32 exec_lo, exec_lo, s10
	v_cmp_gt_f32_e32 vcc_lo, 0, v1
                                        ; implicit-def: $vgpr8
                                        ; implicit-def: $vgpr7
	s_mov_b32 s0, exec_lo
	v_cndmask_b32_e64 v5, v1, -v1, vcc_lo
	v_cmp_gt_f32_e32 vcc_lo, 0, v0
	v_cndmask_b32_e64 v6, v0, -v0, vcc_lo
	s_delay_alu instid0(VALU_DEP_1)
	v_cmpx_ge_f32_e32 v5, v6
	s_xor_b32 s1, exec_lo, s0
	s_cbranch_execz .LBB184_50
; %bb.45:
	v_cmp_neq_f32_e32 vcc_lo, 0, v1
	v_cmp_neq_f32_e64 s0, 0, v0
                                        ; implicit-def: $vgpr8
                                        ; implicit-def: $vgpr7
	s_delay_alu instid0(VALU_DEP_1) | instskip(NEXT) | instid1(SALU_CYCLE_1)
	s_or_b32 s0, vcc_lo, s0
	s_and_saveexec_b32 s10, s0
	s_delay_alu instid0(SALU_CYCLE_1)
	s_xor_b32 s0, exec_lo, s10
	s_cbranch_execz .LBB184_47
; %bb.46:
	v_div_scale_f32 v5, null, v1, v1, v0
	v_div_scale_f32 v8, vcc_lo, v0, v1, v0
	s_delay_alu instid0(VALU_DEP_2) | instskip(SKIP_2) | instid1(VALU_DEP_1)
	v_rcp_f32_e32 v6, v5
	s_waitcnt_depctr 0xfff
	v_fma_f32 v7, -v5, v6, 1.0
	v_fmac_f32_e32 v6, v7, v6
	s_delay_alu instid0(VALU_DEP_1) | instskip(NEXT) | instid1(VALU_DEP_1)
	v_mul_f32_e32 v7, v8, v6
	v_fma_f32 v9, -v5, v7, v8
	s_delay_alu instid0(VALU_DEP_1) | instskip(NEXT) | instid1(VALU_DEP_1)
	v_fmac_f32_e32 v7, v9, v6
	v_fma_f32 v5, -v5, v7, v8
	s_delay_alu instid0(VALU_DEP_1) | instskip(NEXT) | instid1(VALU_DEP_1)
	v_div_fmas_f32 v5, v5, v6, v7
	v_div_fixup_f32 v5, v5, v1, v0
	s_delay_alu instid0(VALU_DEP_1) | instskip(NEXT) | instid1(VALU_DEP_1)
	v_fmac_f32_e32 v1, v0, v5
	v_div_scale_f32 v0, null, v1, v1, 1.0
	v_div_scale_f32 v8, vcc_lo, 1.0, v1, 1.0
	s_delay_alu instid0(VALU_DEP_2) | instskip(SKIP_2) | instid1(VALU_DEP_1)
	v_rcp_f32_e32 v6, v0
	s_waitcnt_depctr 0xfff
	v_fma_f32 v7, -v0, v6, 1.0
	v_fmac_f32_e32 v6, v7, v6
	s_delay_alu instid0(VALU_DEP_1) | instskip(NEXT) | instid1(VALU_DEP_1)
	v_mul_f32_e32 v7, v8, v6
	v_fma_f32 v9, -v0, v7, v8
	s_delay_alu instid0(VALU_DEP_1) | instskip(NEXT) | instid1(VALU_DEP_1)
	v_fmac_f32_e32 v7, v9, v6
	v_fma_f32 v0, -v0, v7, v8
	s_delay_alu instid0(VALU_DEP_1) | instskip(SKIP_1) | instid1(VALU_DEP_2)
	v_div_fmas_f32 v0, v0, v6, v7
	v_fma_f32 v6, v5, 0, 1.0
	v_div_fixup_f32 v0, v0, v1, 1.0
	s_delay_alu instid0(VALU_DEP_1)
	v_mul_f32_e32 v7, v6, v0
	v_mul_f32_e64 v8, -v5, v0
                                        ; implicit-def: $vgpr5
                                        ; implicit-def: $vgpr6
.LBB184_47:
	s_and_not1_saveexec_b32 s10, s0
	s_cbranch_execz .LBB184_49
; %bb.48:
	v_div_scale_f32 v0, null, v5, v5, 1.0
	v_div_scale_f32 v1, null, v6, v6, 0
	v_div_scale_f32 v11, vcc_lo, 1.0, v5, 1.0
	s_delay_alu instid0(VALU_DEP_3) | instskip(NEXT) | instid1(VALU_DEP_2)
	v_rcp_f32_e32 v7, v0
	v_rcp_f32_e32 v8, v1
	s_waitcnt_depctr 0xfff
	v_fma_f32 v9, -v0, v7, 1.0
	v_fma_f32 v10, -v1, v8, 1.0
	s_delay_alu instid0(VALU_DEP_1) | instskip(SKIP_1) | instid1(VALU_DEP_2)
	v_dual_fmac_f32 v7, v9, v7 :: v_dual_fmac_f32 v8, v10, v8
	v_div_scale_f32 v9, s0, 0, v6, 0
	v_mul_f32_e32 v10, v11, v7
	s_delay_alu instid0(VALU_DEP_2) | instskip(NEXT) | instid1(VALU_DEP_2)
	v_mul_f32_e32 v12, v9, v8
	v_fma_f32 v13, -v0, v10, v11
	s_delay_alu instid0(VALU_DEP_2) | instskip(NEXT) | instid1(VALU_DEP_2)
	v_fma_f32 v14, -v1, v12, v9
	v_fmac_f32_e32 v10, v13, v7
	s_delay_alu instid0(VALU_DEP_2) | instskip(NEXT) | instid1(VALU_DEP_2)
	v_fmac_f32_e32 v12, v14, v8
	v_fma_f32 v0, -v0, v10, v11
	s_delay_alu instid0(VALU_DEP_2) | instskip(NEXT) | instid1(VALU_DEP_2)
	v_fma_f32 v1, -v1, v12, v9
	v_div_fmas_f32 v0, v0, v7, v10
	s_mov_b32 vcc_lo, s0
	s_delay_alu instid0(VALU_DEP_2) | instskip(NEXT) | instid1(VALU_DEP_2)
	v_div_fmas_f32 v1, v1, v8, v12
	v_div_fixup_f32 v7, v0, v5, 1.0
	s_delay_alu instid0(VALU_DEP_2)
	v_div_fixup_f32 v8, v1, v6, 0
.LBB184_49:
	s_or_b32 exec_lo, exec_lo, s10
                                        ; implicit-def: $vgpr0
                                        ; implicit-def: $vgpr1
.LBB184_50:
	s_and_not1_saveexec_b32 s0, s1
	s_cbranch_execz .LBB184_52
; %bb.51:
	v_div_scale_f32 v5, null, v0, v0, v1
	v_div_scale_f32 v8, vcc_lo, v1, v0, v1
	s_delay_alu instid0(VALU_DEP_2) | instskip(SKIP_2) | instid1(VALU_DEP_1)
	v_rcp_f32_e32 v6, v5
	s_waitcnt_depctr 0xfff
	v_fma_f32 v7, -v5, v6, 1.0
	v_fmac_f32_e32 v6, v7, v6
	s_delay_alu instid0(VALU_DEP_1) | instskip(NEXT) | instid1(VALU_DEP_1)
	v_mul_f32_e32 v7, v8, v6
	v_fma_f32 v9, -v5, v7, v8
	s_delay_alu instid0(VALU_DEP_1) | instskip(NEXT) | instid1(VALU_DEP_1)
	v_fmac_f32_e32 v7, v9, v6
	v_fma_f32 v5, -v5, v7, v8
	s_delay_alu instid0(VALU_DEP_1) | instskip(NEXT) | instid1(VALU_DEP_1)
	v_div_fmas_f32 v5, v5, v6, v7
	v_div_fixup_f32 v5, v5, v0, v1
	s_delay_alu instid0(VALU_DEP_1) | instskip(NEXT) | instid1(VALU_DEP_1)
	v_fmac_f32_e32 v0, v1, v5
	v_div_scale_f32 v1, null, v0, v0, 1.0
	v_div_scale_f32 v8, vcc_lo, 1.0, v0, 1.0
	s_delay_alu instid0(VALU_DEP_2) | instskip(SKIP_2) | instid1(VALU_DEP_1)
	v_rcp_f32_e32 v6, v1
	s_waitcnt_depctr 0xfff
	v_fma_f32 v7, -v1, v6, 1.0
	v_fmac_f32_e32 v6, v7, v6
	s_delay_alu instid0(VALU_DEP_1) | instskip(NEXT) | instid1(VALU_DEP_1)
	v_mul_f32_e32 v7, v8, v6
	v_fma_f32 v9, -v1, v7, v8
	s_delay_alu instid0(VALU_DEP_1) | instskip(NEXT) | instid1(VALU_DEP_1)
	v_fmac_f32_e32 v7, v9, v6
	v_fma_f32 v1, -v1, v7, v8
	s_delay_alu instid0(VALU_DEP_1) | instskip(SKIP_1) | instid1(VALU_DEP_2)
	v_div_fmas_f32 v1, v1, v6, v7
	v_add_f32_e32 v6, 0, v5
	v_div_fixup_f32 v0, v1, v0, 1.0
	v_fma_f32 v1, v5, 0, -1.0
	s_delay_alu instid0(VALU_DEP_2) | instskip(NEXT) | instid1(VALU_DEP_2)
	v_mul_f32_e32 v7, v6, v0
	v_mul_f32_e32 v8, v1, v0
.LBB184_52:
	s_or_b32 exec_lo, exec_lo, s0
	v_mul_lo_u32 v0, v3, s2
	s_delay_alu instid0(VALU_DEP_2) | instskip(SKIP_2) | instid1(VALU_DEP_3)
	v_cvt_f16_f32_e32 v8, v8
	v_cvt_f16_f32_e32 v5, v7
	v_and_b32_e32 v6, 0xff, v2
	v_lshlrev_b32_e32 v1, 16, v8
	s_delay_alu instid0(VALU_DEP_3) | instskip(SKIP_1) | instid1(VALU_DEP_4)
	v_and_b32_e32 v7, 0xffff, v5
	v_ashrrev_i32_e32 v9, 31, v0
	v_cmp_gt_i16_e32 vcc_lo, 11, v6
	v_add_co_u32 v0, s0, s4, v0
	s_delay_alu instid0(VALU_DEP_4) | instskip(NEXT) | instid1(VALU_DEP_4)
	v_or_b32_e32 v7, v1, v7
	v_add_co_ci_u32_e64 v1, s0, s5, v9, s0
	s_cbranch_vccnz .LBB184_59
; %bb.53:
	v_cmp_lt_i16_e32 vcc_lo, 25, v6
	s_cbranch_vccz .LBB184_61
; %bb.54:
	v_cmp_lt_i16_e32 vcc_lo, 28, v6
	s_cbranch_vccz .LBB184_62
	;; [unrolled: 3-line block ×4, first 2 shown]
; %bb.57:
	v_cmp_eq_u16_e32 vcc_lo, 46, v6
	s_mov_b32 s10, 0
	s_mov_b32 s0, -1
	s_mov_b32 s1, 0
	s_cbranch_vccz .LBB184_70
; %bb.58:
	v_cvt_f32_f16_e32 v9, v8
	v_cvt_f32_f16_e32 v10, v5
	v_cmp_o_f16_e32 vcc_lo, v8, v8
	s_mov_b32 s1, -1
	s_mov_b32 s0, 0
	v_bfe_u32 v11, v9, 16, 1
	v_bfe_u32 v12, v10, 16, 1
	s_delay_alu instid0(VALU_DEP_2) | instskip(NEXT) | instid1(VALU_DEP_2)
	v_add3_u32 v9, v9, v11, 0x7fff
	v_add3_u32 v10, v10, v12, 0x7fff
	s_delay_alu instid0(VALU_DEP_2) | instskip(NEXT) | instid1(VALU_DEP_2)
	v_and_b32_e32 v9, 0xffff0000, v9
	v_lshrrev_b32_e32 v10, 16, v10
	s_delay_alu instid0(VALU_DEP_2) | instskip(SKIP_1) | instid1(VALU_DEP_3)
	v_cndmask_b32_e32 v9, 0x7fc00000, v9, vcc_lo
	v_cmp_o_f16_e32 vcc_lo, v5, v5
	v_cndmask_b32_e32 v10, 0x7fc0, v10, vcc_lo
	s_delay_alu instid0(VALU_DEP_1)
	v_or_b32_e32 v9, v9, v10
	global_store_b32 v[0:1], v9, off
	s_branch .LBB184_70
.LBB184_59:
	s_mov_b32 s0, 0
	s_mov_b32 s1, 0
	s_cbranch_execnz .LBB184_139
.LBB184_60:
	s_and_not1_b32 vcc_lo, exec_lo, s1
	s_cbranch_vccnz .LBB184_292
	s_branch .LBB184_177
.LBB184_61:
	s_mov_b32 s10, -1
	s_mov_b32 s0, 0
	s_mov_b32 s1, 0
	s_branch .LBB184_97
.LBB184_62:
	s_mov_b32 s10, -1
	s_mov_b32 s0, 0
	s_mov_b32 s1, 0
	s_branch .LBB184_80
.LBB184_63:
	s_mov_b32 s10, -1
	s_mov_b32 s0, 0
	s_mov_b32 s1, 0
	s_branch .LBB184_76
.LBB184_64:
	s_mov_b32 s12, -1
.LBB184_65:
	s_mov_b32 s0, 0
                                        ; implicit-def: $vgpr6
                                        ; implicit-def: $vgpr5
.LBB184_66:
	s_and_b32 vcc_lo, exec_lo, s1
	s_cbranch_vccz .LBB184_180
; %bb.67:
	v_cmp_eq_u16_e32 vcc_lo, 44, v4
	s_cbranch_vccz .LBB184_178
; %bb.68:
	global_load_u8 v5, v[0:1], off
	s_mov_b32 s12, 0
	s_mov_b32 s0, -1
	s_waitcnt vmcnt(0)
	v_lshlrev_b32_e32 v6, 23, v5
	v_cmp_ne_u32_e32 vcc_lo, 0xff, v5
	s_delay_alu instid0(VALU_DEP_2) | instskip(NEXT) | instid1(VALU_DEP_1)
	v_cvt_f16_f32_e32 v6, v6
	v_cndmask_b32_e32 v6, 0x7e00, v6, vcc_lo
	v_cmp_ne_u32_e32 vcc_lo, 0, v5
	s_delay_alu instid0(VALU_DEP_2)
	v_cndmask_b32_e32 v5, 0, v6, vcc_lo
	s_branch .LBB184_179
.LBB184_69:
	s_mov_b32 s10, -1
	s_mov_b32 s0, 0
	s_mov_b32 s1, 0
.LBB184_70:
	s_and_b32 vcc_lo, exec_lo, s10
	s_cbranch_vccz .LBB184_75
; %bb.71:
	v_cmp_eq_u16_e32 vcc_lo, 44, v6
	s_mov_b32 s0, -1
	s_cbranch_vccz .LBB184_75
; %bb.72:
	v_cvt_f32_f16_e32 v9, v5
	v_mov_b32_e32 v10, 0xff
	s_mov_b32 s1, exec_lo
	s_delay_alu instid0(VALU_DEP_2) | instskip(NEXT) | instid1(VALU_DEP_1)
	v_bfe_u32 v11, v9, 23, 8
	v_cmpx_ne_u32_e32 0xff, v11
; %bb.73:
	v_and_b32_e32 v10, 0x400000, v9
	v_and_or_b32 v11, 0x3fffff, v9, v11
	v_lshrrev_b32_e32 v9, 23, v9
	s_delay_alu instid0(VALU_DEP_3) | instskip(NEXT) | instid1(VALU_DEP_3)
	v_cmp_ne_u32_e32 vcc_lo, 0, v10
	v_cmp_ne_u32_e64 s0, 0, v11
	s_delay_alu instid0(VALU_DEP_1) | instskip(NEXT) | instid1(SALU_CYCLE_1)
	s_and_b32 s0, vcc_lo, s0
	v_cndmask_b32_e64 v10, 0, 1, s0
	s_delay_alu instid0(VALU_DEP_1)
	v_add_nc_u32_e32 v10, v9, v10
; %bb.74:
	s_or_b32 exec_lo, exec_lo, s1
	s_mov_b32 s1, -1
	s_mov_b32 s0, 0
	global_store_b8 v[0:1], v10, off
.LBB184_75:
	s_mov_b32 s10, 0
.LBB184_76:
	s_delay_alu instid0(SALU_CYCLE_1)
	s_and_b32 vcc_lo, exec_lo, s10
	s_cbranch_vccz .LBB184_79
; %bb.77:
	v_cmp_eq_u16_e32 vcc_lo, 29, v6
	s_mov_b32 s0, -1
	s_cbranch_vccz .LBB184_79
; %bb.78:
	v_cvt_f32_f16_e32 v9, v5
	v_mov_b32_e32 v10, 0
	s_mov_b32 s0, 0
	s_mov_b32 s1, -1
	s_mov_b32 s10, 0
	v_cvt_u32_f32_e32 v9, v9
	global_store_b64 v[0:1], v[9:10], off
	s_branch .LBB184_80
.LBB184_79:
	s_mov_b32 s10, 0
.LBB184_80:
	s_delay_alu instid0(SALU_CYCLE_1)
	s_and_b32 vcc_lo, exec_lo, s10
	s_cbranch_vccz .LBB184_96
; %bb.81:
	v_cmp_gt_i16_e32 vcc_lo, 27, v6
	s_mov_b32 s1, -1
	s_cbranch_vccnz .LBB184_87
; %bb.82:
	v_cmp_lt_i16_e32 vcc_lo, 27, v6
	s_cbranch_vccz .LBB184_84
; %bb.83:
	v_cvt_f32_f16_e32 v9, v5
	s_mov_b32 s1, 0
	s_delay_alu instid0(VALU_DEP_1)
	v_cvt_u32_f32_e32 v9, v9
	global_store_b32 v[0:1], v9, off
.LBB184_84:
	s_and_not1_b32 vcc_lo, exec_lo, s1
	s_cbranch_vccnz .LBB184_86
; %bb.85:
	v_cvt_u16_f16_e32 v9, v5
	global_store_b16 v[0:1], v9, off
.LBB184_86:
	s_mov_b32 s1, 0
.LBB184_87:
	s_delay_alu instid0(SALU_CYCLE_1)
	s_and_not1_b32 vcc_lo, exec_lo, s1
	s_cbranch_vccnz .LBB184_95
; %bb.88:
	v_cvt_f32_f16_e32 v9, v5
	v_mov_b32_e32 v11, 0x80
	s_mov_b32 s1, exec_lo
	s_delay_alu instid0(VALU_DEP_2) | instskip(NEXT) | instid1(VALU_DEP_1)
	v_and_b32_e32 v10, 0x7fffffff, v9
	v_cmpx_gt_u32_e32 0x43800000, v10
	s_cbranch_execz .LBB184_94
; %bb.89:
	v_cmp_lt_u32_e32 vcc_lo, 0x3bffffff, v10
	s_mov_b32 s10, 0
                                        ; implicit-def: $vgpr10
	s_and_saveexec_b32 s15, vcc_lo
	s_delay_alu instid0(SALU_CYCLE_1)
	s_xor_b32 s15, exec_lo, s15
	s_cbranch_execz .LBB184_320
; %bb.90:
	v_bfe_u32 v10, v9, 20, 1
	s_mov_b32 s10, exec_lo
	s_delay_alu instid0(VALU_DEP_1) | instskip(NEXT) | instid1(VALU_DEP_1)
	v_add3_u32 v10, v9, v10, 0x487ffff
	v_lshrrev_b32_e32 v10, 20, v10
	s_or_saveexec_b32 s15, s15
                                        ; implicit-def: $sgpr16
	s_delay_alu instid0(SALU_CYCLE_1)
	s_xor_b32 exec_lo, exec_lo, s15
	s_cbranch_execnz .LBB184_321
.LBB184_91:
	s_or_b32 exec_lo, exec_lo, s15
	v_mov_b32_e32 v11, s16
	s_and_saveexec_b32 s15, s10
.LBB184_92:
	v_lshrrev_b32_e32 v9, 24, v9
	s_delay_alu instid0(VALU_DEP_1)
	v_and_or_b32 v11, 0x80, v9, v10
.LBB184_93:
	s_or_b32 exec_lo, exec_lo, s15
.LBB184_94:
	s_delay_alu instid0(SALU_CYCLE_1)
	s_or_b32 exec_lo, exec_lo, s1
	global_store_b8 v[0:1], v11, off
.LBB184_95:
	s_mov_b32 s1, -1
.LBB184_96:
	s_mov_b32 s10, 0
.LBB184_97:
	s_delay_alu instid0(SALU_CYCLE_1)
	s_and_b32 vcc_lo, exec_lo, s10
	s_cbranch_vccz .LBB184_138
; %bb.98:
	v_cmp_lt_i16_e32 vcc_lo, 22, v6
	s_mov_b32 s10, -1
	s_cbranch_vccz .LBB184_130
; %bb.99:
	v_cmp_gt_i16_e32 vcc_lo, 24, v6
	s_mov_b32 s1, -1
	s_cbranch_vccnz .LBB184_119
; %bb.100:
	v_cmp_lt_i16_e32 vcc_lo, 24, v6
	s_cbranch_vccz .LBB184_108
; %bb.101:
	v_cvt_f32_f16_e32 v9, v5
	v_mov_b32_e32 v11, 0x80
	s_mov_b32 s1, exec_lo
	s_delay_alu instid0(VALU_DEP_2) | instskip(NEXT) | instid1(VALU_DEP_1)
	v_and_b32_e32 v10, 0x7fffffff, v9
	v_cmpx_gt_u32_e32 0x47800000, v10
	s_cbranch_execz .LBB184_107
; %bb.102:
	v_cmp_lt_u32_e32 vcc_lo, 0x37ffffff, v10
	s_mov_b32 s10, 0
                                        ; implicit-def: $vgpr10
	s_and_saveexec_b32 s15, vcc_lo
	s_delay_alu instid0(SALU_CYCLE_1)
	s_xor_b32 s15, exec_lo, s15
	s_cbranch_execz .LBB184_360
; %bb.103:
	v_bfe_u32 v10, v9, 21, 1
	s_mov_b32 s10, exec_lo
	s_delay_alu instid0(VALU_DEP_1) | instskip(NEXT) | instid1(VALU_DEP_1)
	v_add3_u32 v10, v9, v10, 0x88fffff
	v_lshrrev_b32_e32 v10, 21, v10
	s_or_saveexec_b32 s15, s15
                                        ; implicit-def: $sgpr16
	s_delay_alu instid0(SALU_CYCLE_1)
	s_xor_b32 exec_lo, exec_lo, s15
	s_cbranch_execnz .LBB184_361
.LBB184_104:
	s_or_b32 exec_lo, exec_lo, s15
	v_mov_b32_e32 v11, s16
	s_and_saveexec_b32 s15, s10
.LBB184_105:
	v_lshrrev_b32_e32 v9, 24, v9
	s_delay_alu instid0(VALU_DEP_1)
	v_and_or_b32 v11, 0x80, v9, v10
.LBB184_106:
	s_or_b32 exec_lo, exec_lo, s15
.LBB184_107:
	s_delay_alu instid0(SALU_CYCLE_1)
	s_or_b32 exec_lo, exec_lo, s1
	s_mov_b32 s1, 0
	global_store_b8 v[0:1], v11, off
.LBB184_108:
	s_and_b32 vcc_lo, exec_lo, s1
	s_cbranch_vccz .LBB184_118
; %bb.109:
	v_cvt_f32_f16_e32 v9, v5
	s_mov_b32 s1, exec_lo
                                        ; implicit-def: $vgpr10
	s_delay_alu instid0(VALU_DEP_1) | instskip(NEXT) | instid1(VALU_DEP_1)
	v_and_b32_e32 v11, 0x7fffffff, v9
	v_cmpx_gt_u32_e32 0x43f00000, v11
	s_xor_b32 s1, exec_lo, s1
	s_cbranch_execz .LBB184_115
; %bb.110:
	s_mov_b32 s10, exec_lo
                                        ; implicit-def: $vgpr10
	v_cmpx_lt_u32_e32 0x3c7fffff, v11
	s_xor_b32 s10, exec_lo, s10
; %bb.111:
	v_bfe_u32 v10, v9, 20, 1
	s_delay_alu instid0(VALU_DEP_1) | instskip(NEXT) | instid1(VALU_DEP_1)
	v_add3_u32 v10, v9, v10, 0x407ffff
	v_and_b32_e32 v11, 0xff00000, v10
	v_lshrrev_b32_e32 v10, 20, v10
	s_delay_alu instid0(VALU_DEP_2) | instskip(NEXT) | instid1(VALU_DEP_2)
	v_cmp_ne_u32_e32 vcc_lo, 0x7f00000, v11
	v_cndmask_b32_e32 v10, 0x7e, v10, vcc_lo
; %bb.112:
	s_and_not1_saveexec_b32 s10, s10
; %bb.113:
	v_add_f32_e64 v10, 0x46800000, |v9|
; %bb.114:
	s_or_b32 exec_lo, exec_lo, s10
                                        ; implicit-def: $vgpr11
.LBB184_115:
	s_and_not1_saveexec_b32 s1, s1
; %bb.116:
	v_mov_b32_e32 v10, 0x7f
	v_cmp_lt_u32_e32 vcc_lo, 0x7f800000, v11
	s_delay_alu instid0(VALU_DEP_2)
	v_cndmask_b32_e32 v10, 0x7e, v10, vcc_lo
; %bb.117:
	s_or_b32 exec_lo, exec_lo, s1
	v_lshrrev_b32_e32 v9, 24, v9
	s_delay_alu instid0(VALU_DEP_1)
	v_and_or_b32 v9, 0x80, v9, v10
	global_store_b8 v[0:1], v9, off
.LBB184_118:
	s_mov_b32 s1, 0
.LBB184_119:
	s_delay_alu instid0(SALU_CYCLE_1)
	s_and_not1_b32 vcc_lo, exec_lo, s1
	s_cbranch_vccnz .LBB184_129
; %bb.120:
	v_cvt_f32_f16_e32 v9, v5
	s_mov_b32 s1, exec_lo
                                        ; implicit-def: $vgpr10
	s_delay_alu instid0(VALU_DEP_1) | instskip(NEXT) | instid1(VALU_DEP_1)
	v_and_b32_e32 v11, 0x7fffffff, v9
	v_cmpx_gt_u32_e32 0x47800000, v11
	s_xor_b32 s1, exec_lo, s1
	s_cbranch_execz .LBB184_126
; %bb.121:
	s_mov_b32 s10, exec_lo
                                        ; implicit-def: $vgpr10
	v_cmpx_lt_u32_e32 0x387fffff, v11
	s_xor_b32 s10, exec_lo, s10
; %bb.122:
	v_bfe_u32 v10, v9, 21, 1
	s_delay_alu instid0(VALU_DEP_1) | instskip(NEXT) | instid1(VALU_DEP_1)
	v_add3_u32 v10, v9, v10, 0x80fffff
	v_lshrrev_b32_e32 v10, 21, v10
; %bb.123:
	s_and_not1_saveexec_b32 s10, s10
; %bb.124:
	v_add_f32_e64 v10, 0x43000000, |v9|
; %bb.125:
	s_or_b32 exec_lo, exec_lo, s10
                                        ; implicit-def: $vgpr11
.LBB184_126:
	s_and_not1_saveexec_b32 s1, s1
; %bb.127:
	v_mov_b32_e32 v10, 0x7f
	v_cmp_lt_u32_e32 vcc_lo, 0x7f800000, v11
	s_delay_alu instid0(VALU_DEP_2)
	v_cndmask_b32_e32 v10, 0x7c, v10, vcc_lo
; %bb.128:
	s_or_b32 exec_lo, exec_lo, s1
	v_lshrrev_b32_e32 v9, 24, v9
	s_delay_alu instid0(VALU_DEP_1)
	v_and_or_b32 v9, 0x80, v9, v10
	global_store_b8 v[0:1], v9, off
.LBB184_129:
	s_mov_b32 s10, 0
	s_mov_b32 s1, -1
.LBB184_130:
	s_and_not1_b32 vcc_lo, exec_lo, s10
	s_cbranch_vccnz .LBB184_138
; %bb.131:
	v_cmp_lt_i16_e32 vcc_lo, 14, v6
	s_mov_b32 s10, -1
	s_cbranch_vccz .LBB184_135
; %bb.132:
	v_cmp_eq_u16_e32 vcc_lo, 15, v6
	s_mov_b32 s0, -1
	s_cbranch_vccz .LBB184_134
; %bb.133:
	v_cvt_f32_f16_e32 v9, v5
	v_cmp_o_f16_e32 vcc_lo, v5, v5
	s_mov_b32 s1, -1
	s_mov_b32 s0, 0
	s_delay_alu instid0(VALU_DEP_2) | instskip(NEXT) | instid1(VALU_DEP_1)
	v_bfe_u32 v10, v9, 16, 1
	v_add3_u32 v9, v9, v10, 0x7fff
	s_delay_alu instid0(VALU_DEP_1) | instskip(NEXT) | instid1(VALU_DEP_1)
	v_lshrrev_b32_e32 v9, 16, v9
	v_cndmask_b32_e32 v9, 0x7fc0, v9, vcc_lo
	global_store_b16 v[0:1], v9, off
.LBB184_134:
	s_mov_b32 s10, 0
.LBB184_135:
	s_delay_alu instid0(SALU_CYCLE_1)
	s_and_b32 vcc_lo, exec_lo, s10
	s_cbranch_vccz .LBB184_138
; %bb.136:
	v_cmp_eq_u16_e32 vcc_lo, 11, v6
	s_mov_b32 s0, -1
	s_cbranch_vccz .LBB184_138
; %bb.137:
	v_and_b32_e32 v9, 0x7fff7fff, v7
	s_mov_b32 s0, 0
	s_mov_b32 s1, -1
	s_delay_alu instid0(VALU_DEP_1)
	v_cmp_ne_u32_e32 vcc_lo, 0, v9
	v_cndmask_b32_e64 v9, 0, 1, vcc_lo
	global_store_b8 v[0:1], v9, off
.LBB184_138:
	s_branch .LBB184_60
.LBB184_139:
	v_cmp_gt_i16_e32 vcc_lo, 5, v6
	s_mov_b32 s1, -1
	s_cbranch_vccnz .LBB184_160
; %bb.140:
	v_cmp_gt_i16_e32 vcc_lo, 8, v6
	s_cbranch_vccnz .LBB184_150
; %bb.141:
	v_cmp_gt_i16_e32 vcc_lo, 9, v6
	s_cbranch_vccnz .LBB184_147
; %bb.142:
	v_cmp_lt_i16_e32 vcc_lo, 9, v6
	s_cbranch_vccz .LBB184_144
; %bb.143:
	v_cvt_f32_f16_e32 v9, v5
	v_cvt_f32_f16_e32 v11, v8
	s_mov_b32 s1, 0
	s_delay_alu instid0(VALU_DEP_2) | instskip(NEXT) | instid1(VALU_DEP_2)
	v_cvt_f64_f32_e32 v[9:10], v9
	v_cvt_f64_f32_e32 v[11:12], v11
	global_store_b128 v[0:1], v[9:12], off
.LBB184_144:
	s_and_not1_b32 vcc_lo, exec_lo, s1
	s_cbranch_vccnz .LBB184_146
; %bb.145:
	v_cvt_f32_f16_e32 v9, v5
	v_cvt_f32_f16_e32 v10, v8
	global_store_b64 v[0:1], v[9:10], off
.LBB184_146:
	s_mov_b32 s1, 0
.LBB184_147:
	s_delay_alu instid0(SALU_CYCLE_1)
	s_and_not1_b32 vcc_lo, exec_lo, s1
	s_cbranch_vccnz .LBB184_149
; %bb.148:
	global_store_b32 v[0:1], v7, off
.LBB184_149:
	s_mov_b32 s1, 0
.LBB184_150:
	s_delay_alu instid0(SALU_CYCLE_1)
	s_and_not1_b32 vcc_lo, exec_lo, s1
	s_cbranch_vccnz .LBB184_159
; %bb.151:
	v_cmp_gt_i16_e32 vcc_lo, 6, v6
	s_mov_b32 s1, -1
	s_cbranch_vccnz .LBB184_157
; %bb.152:
	v_cmp_lt_i16_e32 vcc_lo, 6, v6
	s_cbranch_vccz .LBB184_154
; %bb.153:
	v_cvt_f32_f16_e32 v7, v5
	s_mov_b32 s1, 0
	s_delay_alu instid0(VALU_DEP_1)
	v_cvt_f64_f32_e32 v[7:8], v7
	global_store_b64 v[0:1], v[7:8], off
.LBB184_154:
	s_and_not1_b32 vcc_lo, exec_lo, s1
	s_cbranch_vccnz .LBB184_156
; %bb.155:
	v_cvt_f32_f16_e32 v7, v5
	global_store_b32 v[0:1], v7, off
.LBB184_156:
	s_mov_b32 s1, 0
.LBB184_157:
	s_delay_alu instid0(SALU_CYCLE_1)
	s_and_not1_b32 vcc_lo, exec_lo, s1
	s_cbranch_vccnz .LBB184_159
; %bb.158:
	global_store_b16 v[0:1], v5, off
.LBB184_159:
	s_mov_b32 s1, 0
.LBB184_160:
	s_delay_alu instid0(SALU_CYCLE_1)
	s_and_not1_b32 vcc_lo, exec_lo, s1
	s_cbranch_vccnz .LBB184_176
; %bb.161:
	v_cmp_gt_i16_e32 vcc_lo, 2, v6
	s_mov_b32 s1, -1
	s_cbranch_vccnz .LBB184_171
; %bb.162:
	v_cmp_gt_i16_e32 vcc_lo, 3, v6
	s_cbranch_vccnz .LBB184_168
; %bb.163:
	v_cmp_lt_i16_e32 vcc_lo, 3, v6
	s_cbranch_vccz .LBB184_165
; %bb.164:
	v_cvt_f32_f16_e32 v7, v5
	s_mov_b32 s1, 0
	s_delay_alu instid0(VALU_DEP_1) | instskip(NEXT) | instid1(VALU_DEP_1)
	v_cvt_i32_f32_e32 v7, v7
	v_ashrrev_i32_e32 v8, 31, v7
	global_store_b64 v[0:1], v[7:8], off
.LBB184_165:
	s_and_not1_b32 vcc_lo, exec_lo, s1
	s_cbranch_vccnz .LBB184_167
; %bb.166:
	v_cvt_f32_f16_e32 v7, v5
	s_delay_alu instid0(VALU_DEP_1)
	v_cvt_i32_f32_e32 v7, v7
	global_store_b32 v[0:1], v7, off
.LBB184_167:
	s_mov_b32 s1, 0
.LBB184_168:
	s_delay_alu instid0(SALU_CYCLE_1)
	s_and_not1_b32 vcc_lo, exec_lo, s1
	s_cbranch_vccnz .LBB184_170
; %bb.169:
	v_cvt_i16_f16_e32 v7, v5
	global_store_b16 v[0:1], v7, off
.LBB184_170:
	s_mov_b32 s1, 0
.LBB184_171:
	s_delay_alu instid0(SALU_CYCLE_1)
	s_and_not1_b32 vcc_lo, exec_lo, s1
	s_cbranch_vccnz .LBB184_176
; %bb.172:
	v_cmp_lt_i16_e32 vcc_lo, 0, v6
	s_mov_b32 s1, -1
	s_cbranch_vccz .LBB184_174
; %bb.173:
	v_cvt_i16_f16_e32 v6, v5
	s_mov_b32 s1, 0
	global_store_b8 v[0:1], v6, off
.LBB184_174:
	s_and_not1_b32 vcc_lo, exec_lo, s1
	s_cbranch_vccnz .LBB184_176
; %bb.175:
	v_cvt_f32_f16_e32 v5, v5
	s_delay_alu instid0(VALU_DEP_1)
	v_cvt_i32_f32_e32 v5, v5
	global_store_b8 v[0:1], v5, off
.LBB184_176:
.LBB184_177:
	v_add_nc_u32_e32 v3, 0x80, v3
	s_mov_b32 s1, -1
	s_branch .LBB184_293
.LBB184_178:
	s_mov_b32 s12, -1
                                        ; implicit-def: $vgpr5
.LBB184_179:
	s_delay_alu instid0(SALU_CYCLE_1)
	v_mov_b32_e32 v6, s12
.LBB184_180:
	s_mov_b32 s1, 0
.LBB184_181:
	s_delay_alu instid0(SALU_CYCLE_1)
	s_and_b32 vcc_lo, exec_lo, s1
	s_cbranch_vccz .LBB184_186
; %bb.182:
	v_cmp_eq_u16_e32 vcc_lo, 29, v4
	s_cbranch_vccz .LBB184_184
; %bb.183:
	global_load_b64 v[5:6], v[0:1], off
	s_mov_b32 s0, -1
	s_mov_b32 s12, 0
	s_mov_b32 s1, 0
	s_waitcnt vmcnt(0)
	v_clz_i32_u32_e32 v7, v6
	s_delay_alu instid0(VALU_DEP_1) | instskip(NEXT) | instid1(VALU_DEP_1)
	v_min_u32_e32 v7, 32, v7
	v_lshlrev_b64 v[5:6], v7, v[5:6]
	s_delay_alu instid0(VALU_DEP_1) | instskip(NEXT) | instid1(VALU_DEP_1)
	v_min_u32_e32 v5, 1, v5
	v_or_b32_e32 v5, v6, v5
	v_sub_nc_u32_e32 v6, 32, v7
	s_delay_alu instid0(VALU_DEP_2) | instskip(NEXT) | instid1(VALU_DEP_1)
	v_cvt_f32_u32_e32 v5, v5
	v_ldexp_f32 v5, v5, v6
	s_delay_alu instid0(VALU_DEP_1)
	v_cvt_f16_f32_e32 v5, v5
	s_branch .LBB184_185
.LBB184_184:
	s_mov_b32 s12, -1
                                        ; implicit-def: $sgpr1
                                        ; implicit-def: $vgpr5
.LBB184_185:
	v_mov_b32_e32 v6, s1
.LBB184_186:
	s_mov_b32 s1, 0
.LBB184_187:
	s_delay_alu instid0(SALU_CYCLE_1)
	s_and_b32 vcc_lo, exec_lo, s1
	s_cbranch_vccz .LBB184_207
; %bb.188:
	v_cmp_gt_i16_e32 vcc_lo, 27, v4
	s_cbranch_vccnz .LBB184_191
; %bb.189:
	v_cmp_lt_i16_e32 vcc_lo, 27, v4
	s_cbranch_vccz .LBB184_192
; %bb.190:
	global_load_b32 v5, v[0:1], off
	s_mov_b32 s1, 0
	s_mov_b32 s0, 0
	s_waitcnt vmcnt(0)
	v_cvt_f32_u32_e32 v5, v5
	s_delay_alu instid0(VALU_DEP_1)
	v_cvt_f16_f32_e32 v5, v5
	s_branch .LBB184_193
.LBB184_191:
	s_mov_b32 s1, -1
                                        ; implicit-def: $sgpr0
                                        ; implicit-def: $vgpr5
	s_branch .LBB184_196
.LBB184_192:
	s_mov_b32 s1, -1
                                        ; implicit-def: $sgpr0
                                        ; implicit-def: $vgpr5
.LBB184_193:
	s_delay_alu instid0(SALU_CYCLE_1)
	s_and_not1_b32 vcc_lo, exec_lo, s1
	s_cbranch_vccnz .LBB184_195
; %bb.194:
	global_load_u16 v5, v[0:1], off
	s_mov_b32 s0, 0
	s_waitcnt vmcnt(0)
	v_cvt_f16_u16_e32 v5, v5
.LBB184_195:
	s_mov_b32 s1, 0
.LBB184_196:
	v_mov_b32_e32 v6, s0
	s_and_not1_b32 vcc_lo, exec_lo, s1
	s_cbranch_vccnz .LBB184_206
; %bb.197:
	global_load_u8 v7, v[0:1], off
	s_mov_b32 s0, 0
	s_mov_b32 s15, exec_lo
                                        ; implicit-def: $sgpr10
                                        ; implicit-def: $sgpr1
	s_waitcnt vmcnt(0)
	v_cmpx_lt_i16_e32 0x7f, v7
	s_xor_b32 s15, exec_lo, s15
	s_cbranch_execz .LBB184_201
; %bb.198:
	s_mov_b32 s0, -1
	s_mov_b32 s16, exec_lo
                                        ; implicit-def: $sgpr10
                                        ; implicit-def: $sgpr1
	v_cmpx_eq_u16_e32 0x80, v7
; %bb.199:
	s_movk_i32 s1, 0x7e00
	s_mov_b32 s10, 0
	s_xor_b32 s0, exec_lo, -1
; %bb.200:
	s_or_b32 exec_lo, exec_lo, s16
	s_delay_alu instid0(SALU_CYCLE_1)
	s_and_b32 s0, s0, exec_lo
.LBB184_201:
	s_or_saveexec_b32 s15, s15
	v_dual_mov_b32 v6, s10 :: v_dual_mov_b32 v5, s1
	s_xor_b32 exec_lo, exec_lo, s15
; %bb.202:
	v_cmp_ne_u16_e32 vcc_lo, 0, v7
	v_dual_mov_b32 v6, 0 :: v_dual_mov_b32 v5, v7
	s_and_not1_b32 s0, s0, exec_lo
	s_and_b32 s1, vcc_lo, exec_lo
	s_delay_alu instid0(SALU_CYCLE_1)
	s_or_b32 s0, s0, s1
; %bb.203:
	s_or_b32 exec_lo, exec_lo, s15
	s_and_saveexec_b32 s1, s0
	s_cbranch_execz .LBB184_205
; %bb.204:
	v_and_b32_e32 v5, 0xffff, v7
	v_lshlrev_b32_e32 v7, 24, v7
	s_delay_alu instid0(VALU_DEP_2) | instskip(NEXT) | instid1(VALU_DEP_2)
	v_and_b32_e32 v6, 7, v5
	v_and_b32_e32 v7, 0x80000000, v7
	s_delay_alu instid0(VALU_DEP_2) | instskip(NEXT) | instid1(VALU_DEP_1)
	v_clz_i32_u32_e32 v8, v6
	v_min_u32_e32 v8, 32, v8
	s_delay_alu instid0(VALU_DEP_1) | instskip(SKIP_1) | instid1(VALU_DEP_2)
	v_subrev_nc_u32_e32 v9, 28, v8
	v_sub_nc_u32_e32 v8, 29, v8
	v_lshlrev_b32_e32 v9, v9, v5
	v_bfe_u32 v5, v5, 3, 4
	s_delay_alu instid0(VALU_DEP_2) | instskip(NEXT) | instid1(VALU_DEP_2)
	v_and_b32_e32 v9, 7, v9
	v_cmp_eq_u32_e32 vcc_lo, 0, v5
	s_delay_alu instid0(VALU_DEP_2) | instskip(NEXT) | instid1(VALU_DEP_1)
	v_dual_cndmask_b32 v5, v5, v8 :: v_dual_cndmask_b32 v6, v6, v9
	v_lshl_add_u32 v5, v5, 23, 0x3b800000
	s_delay_alu instid0(VALU_DEP_2) | instskip(NEXT) | instid1(VALU_DEP_1)
	v_lshlrev_b32_e32 v6, 20, v6
	v_or3_b32 v5, v7, v5, v6
	v_mov_b32_e32 v6, 0
	s_delay_alu instid0(VALU_DEP_2)
	v_cvt_f16_f32_e32 v5, v5
.LBB184_205:
	s_or_b32 exec_lo, exec_lo, s1
.LBB184_206:
	s_mov_b32 s0, -1
.LBB184_207:
	s_branch .LBB184_241
.LBB184_208:
	v_cmp_lt_i16_e32 vcc_lo, 22, v4
	s_cbranch_vccz .LBB184_220
; %bb.209:
	v_cmp_gt_i16_e32 vcc_lo, 24, v4
	s_cbranch_vccnz .LBB184_221
; %bb.210:
	v_cmp_lt_i16_e32 vcc_lo, 24, v4
	s_cbranch_vccz .LBB184_222
; %bb.211:
	global_load_u8 v7, v[0:1], off
	s_mov_b32 s0, 0
	s_mov_b32 s15, exec_lo
                                        ; implicit-def: $sgpr10
                                        ; implicit-def: $sgpr1
	s_waitcnt vmcnt(0)
	v_cmpx_lt_i16_e32 0x7f, v7
	s_xor_b32 s15, exec_lo, s15
	s_cbranch_execz .LBB184_215
; %bb.212:
	s_mov_b32 s0, -1
	s_mov_b32 s16, exec_lo
                                        ; implicit-def: $sgpr10
                                        ; implicit-def: $sgpr1
	v_cmpx_eq_u16_e32 0x80, v7
; %bb.213:
	s_movk_i32 s1, 0x7e00
	s_mov_b32 s10, 0
	s_xor_b32 s0, exec_lo, -1
; %bb.214:
	s_or_b32 exec_lo, exec_lo, s16
	s_delay_alu instid0(SALU_CYCLE_1)
	s_and_b32 s0, s0, exec_lo
.LBB184_215:
	s_or_saveexec_b32 s15, s15
	v_dual_mov_b32 v6, s10 :: v_dual_mov_b32 v5, s1
	s_xor_b32 exec_lo, exec_lo, s15
; %bb.216:
	v_cmp_ne_u16_e32 vcc_lo, 0, v7
	v_dual_mov_b32 v6, 0 :: v_dual_mov_b32 v5, v7
	s_and_not1_b32 s0, s0, exec_lo
	s_and_b32 s1, vcc_lo, exec_lo
	s_delay_alu instid0(SALU_CYCLE_1)
	s_or_b32 s0, s0, s1
; %bb.217:
	s_or_b32 exec_lo, exec_lo, s15
	s_and_saveexec_b32 s1, s0
	s_cbranch_execz .LBB184_219
; %bb.218:
	v_and_b32_e32 v5, 0xffff, v7
	v_lshlrev_b32_e32 v7, 24, v7
	s_delay_alu instid0(VALU_DEP_2) | instskip(NEXT) | instid1(VALU_DEP_2)
	v_and_b32_e32 v6, 3, v5
	v_and_b32_e32 v7, 0x80000000, v7
	s_delay_alu instid0(VALU_DEP_2) | instskip(NEXT) | instid1(VALU_DEP_1)
	v_clz_i32_u32_e32 v8, v6
	v_min_u32_e32 v8, 32, v8
	s_delay_alu instid0(VALU_DEP_1) | instskip(SKIP_1) | instid1(VALU_DEP_2)
	v_subrev_nc_u32_e32 v9, 29, v8
	v_sub_nc_u32_e32 v8, 30, v8
	v_lshlrev_b32_e32 v9, v9, v5
	v_bfe_u32 v5, v5, 2, 5
	s_delay_alu instid0(VALU_DEP_2) | instskip(NEXT) | instid1(VALU_DEP_2)
	v_and_b32_e32 v9, 3, v9
	v_cmp_eq_u32_e32 vcc_lo, 0, v5
	s_delay_alu instid0(VALU_DEP_2) | instskip(NEXT) | instid1(VALU_DEP_1)
	v_dual_cndmask_b32 v5, v5, v8 :: v_dual_cndmask_b32 v6, v6, v9
	v_lshl_add_u32 v5, v5, 23, 0x37800000
	s_delay_alu instid0(VALU_DEP_2) | instskip(NEXT) | instid1(VALU_DEP_1)
	v_lshlrev_b32_e32 v6, 21, v6
	v_or3_b32 v5, v7, v5, v6
	v_mov_b32_e32 v6, 0
	s_delay_alu instid0(VALU_DEP_2)
	v_cvt_f16_f32_e32 v5, v5
.LBB184_219:
	s_or_b32 exec_lo, exec_lo, s1
	s_mov_b32 s0, 0
	s_branch .LBB184_223
.LBB184_220:
	s_mov_b32 s1, -1
                                        ; implicit-def: $vgpr6
                                        ; implicit-def: $vgpr5
	s_branch .LBB184_229
.LBB184_221:
	s_mov_b32 s0, -1
                                        ; implicit-def: $vgpr6
                                        ; implicit-def: $vgpr5
	s_branch .LBB184_226
.LBB184_222:
	s_mov_b32 s0, -1
                                        ; implicit-def: $vgpr6
                                        ; implicit-def: $vgpr5
.LBB184_223:
	s_delay_alu instid0(SALU_CYCLE_1)
	s_and_b32 vcc_lo, exec_lo, s0
	s_cbranch_vccz .LBB184_225
; %bb.224:
	global_load_u8 v5, v[0:1], off
	s_waitcnt vmcnt(0)
	v_lshlrev_b32_e32 v5, 24, v5
	s_delay_alu instid0(VALU_DEP_1) | instskip(NEXT) | instid1(VALU_DEP_1)
	v_and_b32_e32 v6, 0x7f000000, v5
	v_clz_i32_u32_e32 v7, v6
	v_add_nc_u32_e32 v9, 0x1000000, v6
	v_cmp_ne_u32_e32 vcc_lo, 0, v6
	s_delay_alu instid0(VALU_DEP_3) | instskip(NEXT) | instid1(VALU_DEP_1)
	v_min_u32_e32 v7, 32, v7
	v_sub_nc_u32_e64 v7, v7, 4 clamp
	s_delay_alu instid0(VALU_DEP_1) | instskip(SKIP_1) | instid1(VALU_DEP_2)
	v_lshlrev_b32_e32 v8, v7, v6
	v_lshlrev_b32_e32 v7, 23, v7
	v_lshrrev_b32_e32 v8, 4, v8
	s_delay_alu instid0(VALU_DEP_1) | instskip(SKIP_1) | instid1(VALU_DEP_2)
	v_sub_nc_u32_e32 v7, v8, v7
	v_ashrrev_i32_e32 v8, 8, v9
	v_add_nc_u32_e32 v7, 0x3c000000, v7
	s_delay_alu instid0(VALU_DEP_1) | instskip(NEXT) | instid1(VALU_DEP_1)
	v_and_or_b32 v7, 0x7f800000, v8, v7
	v_cndmask_b32_e32 v6, 0, v7, vcc_lo
	s_delay_alu instid0(VALU_DEP_1) | instskip(SKIP_1) | instid1(VALU_DEP_2)
	v_and_or_b32 v5, 0x80000000, v5, v6
	v_mov_b32_e32 v6, 0
	v_cvt_f16_f32_e32 v5, v5
.LBB184_225:
	s_mov_b32 s0, 0
.LBB184_226:
	s_delay_alu instid0(SALU_CYCLE_1)
	s_and_not1_b32 vcc_lo, exec_lo, s0
	s_cbranch_vccnz .LBB184_228
; %bb.227:
	global_load_u8 v5, v[0:1], off
	s_waitcnt vmcnt(0)
	v_lshlrev_b32_e32 v6, 25, v5
	v_lshlrev_b16 v5, 8, v5
	s_delay_alu instid0(VALU_DEP_2) | instskip(NEXT) | instid1(VALU_DEP_2)
	v_lshrrev_b32_e32 v7, 4, v6
	v_and_or_b32 v8, 0x7f00, v5, 0.5
	v_bfe_i32 v5, v5, 0, 16
	s_delay_alu instid0(VALU_DEP_3) | instskip(NEXT) | instid1(VALU_DEP_1)
	v_or_b32_e32 v7, 0x70000000, v7
	v_dual_add_f32 v8, -0.5, v8 :: v_dual_mul_f32 v7, 0x7800000, v7
	v_cmp_gt_u32_e32 vcc_lo, 0x8000000, v6
	s_delay_alu instid0(VALU_DEP_2) | instskip(NEXT) | instid1(VALU_DEP_1)
	v_cndmask_b32_e32 v6, v7, v8, vcc_lo
	v_and_or_b32 v5, 0x80000000, v5, v6
	v_mov_b32_e32 v6, 0
	s_delay_alu instid0(VALU_DEP_2)
	v_cvt_f16_f32_e32 v5, v5
.LBB184_228:
	s_mov_b32 s1, 0
	s_mov_b32 s0, -1
.LBB184_229:
	s_and_not1_b32 vcc_lo, exec_lo, s1
	s_cbranch_vccnz .LBB184_241
; %bb.230:
	v_cmp_lt_i16_e32 vcc_lo, 14, v4
	s_cbranch_vccz .LBB184_233
; %bb.231:
	v_cmp_eq_u16_e32 vcc_lo, 15, v4
	s_cbranch_vccz .LBB184_234
; %bb.232:
	global_load_u16 v5, v[0:1], off
	s_mov_b32 s0, -1
	s_mov_b32 s12, 0
	s_mov_b32 s1, 0
	s_waitcnt vmcnt(0)
	v_lshlrev_b32_e32 v5, 16, v5
	s_delay_alu instid0(VALU_DEP_1)
	v_cvt_f16_f32_e32 v5, v5
	s_branch .LBB184_235
.LBB184_233:
	s_mov_b32 s10, -1
                                        ; implicit-def: $sgpr1
                                        ; implicit-def: $vgpr5
	s_branch .LBB184_236
.LBB184_234:
	s_mov_b32 s12, -1
                                        ; implicit-def: $sgpr1
                                        ; implicit-def: $vgpr5
.LBB184_235:
	s_mov_b32 s10, 0
.LBB184_236:
	s_delay_alu instid0(SALU_CYCLE_1)
	s_and_b32 vcc_lo, exec_lo, s10
	s_cbranch_vccz .LBB184_240
; %bb.237:
	v_cmp_eq_u16_e32 vcc_lo, 11, v4
	s_cbranch_vccz .LBB184_239
; %bb.238:
	global_load_u8 v5, v[0:1], off
	s_mov_b32 s1, 0
	s_mov_b32 s0, -1
	s_mov_b32 s12, 0
	s_waitcnt vmcnt(0)
	v_cmp_ne_u16_e32 vcc_lo, 0, v5
	v_cndmask_b32_e64 v5, 0, 0x3c00, vcc_lo
	s_branch .LBB184_240
.LBB184_239:
	s_mov_b32 s12, -1
                                        ; implicit-def: $sgpr1
                                        ; implicit-def: $vgpr5
.LBB184_240:
	v_mov_b32_e32 v6, s1
.LBB184_241:
	s_branch .LBB184_10
.LBB184_242:
	v_cmp_gt_i16_e32 vcc_lo, 5, v4
	s_cbranch_vccnz .LBB184_247
; %bb.243:
	v_cmp_gt_i16_e32 vcc_lo, 8, v4
	s_cbranch_vccnz .LBB184_248
; %bb.244:
	;; [unrolled: 3-line block ×3, first 2 shown]
	v_cmp_lt_i16_e32 vcc_lo, 9, v4
	s_cbranch_vccz .LBB184_250
; %bb.246:
	global_load_b128 v[5:8], v[0:1], off
	s_mov_b32 s0, 0
	s_waitcnt vmcnt(0)
	v_cvt_f32_f64_e32 v5, v[5:6]
	v_cvt_f32_f64_e32 v6, v[7:8]
	s_delay_alu instid0(VALU_DEP_2) | instskip(NEXT) | instid1(VALU_DEP_2)
	v_cvt_f16_f32_e32 v5, v5
	v_cvt_f16_f32_e32 v6, v6
	s_branch .LBB184_251
.LBB184_247:
                                        ; implicit-def: $vgpr6
                                        ; implicit-def: $vgpr5
	s_branch .LBB184_270
.LBB184_248:
	s_mov_b32 s0, -1
                                        ; implicit-def: $vgpr6
                                        ; implicit-def: $vgpr5
	s_branch .LBB184_257
.LBB184_249:
	s_mov_b32 s0, -1
                                        ; implicit-def: $vgpr6
                                        ; implicit-def: $vgpr5
	s_branch .LBB184_254
.LBB184_250:
	s_mov_b32 s0, -1
                                        ; implicit-def: $vgpr6
                                        ; implicit-def: $vgpr5
.LBB184_251:
	s_delay_alu instid0(SALU_CYCLE_1)
	s_and_not1_b32 vcc_lo, exec_lo, s0
	s_cbranch_vccnz .LBB184_253
; %bb.252:
	global_load_b64 v[5:6], v[0:1], off
	s_waitcnt vmcnt(0)
	v_cvt_f16_f32_e32 v5, v5
	v_cvt_f16_f32_e32 v6, v6
.LBB184_253:
	s_mov_b32 s0, 0
.LBB184_254:
	s_delay_alu instid0(SALU_CYCLE_1)
	s_and_not1_b32 vcc_lo, exec_lo, s0
	s_cbranch_vccnz .LBB184_256
; %bb.255:
	global_load_b32 v5, v[0:1], off
	s_waitcnt vmcnt(0)
	v_lshrrev_b32_e32 v6, 16, v5
.LBB184_256:
	s_mov_b32 s0, 0
.LBB184_257:
	s_delay_alu instid0(SALU_CYCLE_1)
	s_and_not1_b32 vcc_lo, exec_lo, s0
	s_cbranch_vccnz .LBB184_269
; %bb.258:
	v_cmp_gt_i16_e32 vcc_lo, 6, v4
	s_cbranch_vccnz .LBB184_261
; %bb.259:
	v_cmp_lt_i16_e32 vcc_lo, 6, v4
	s_cbranch_vccz .LBB184_262
; %bb.260:
	global_load_b64 v[5:6], v[0:1], off
	s_mov_b32 s1, 0
	s_mov_b32 s0, 0
	s_waitcnt vmcnt(0)
	v_cvt_f32_f64_e32 v5, v[5:6]
	s_delay_alu instid0(VALU_DEP_1)
	v_cvt_f16_f32_e32 v5, v5
	s_branch .LBB184_263
.LBB184_261:
	s_mov_b32 s1, -1
                                        ; implicit-def: $sgpr0
                                        ; implicit-def: $vgpr5
	s_branch .LBB184_266
.LBB184_262:
	s_mov_b32 s1, -1
                                        ; implicit-def: $sgpr0
                                        ; implicit-def: $vgpr5
.LBB184_263:
	s_delay_alu instid0(SALU_CYCLE_1)
	s_and_not1_b32 vcc_lo, exec_lo, s1
	s_cbranch_vccnz .LBB184_265
; %bb.264:
	global_load_b32 v5, v[0:1], off
	s_mov_b32 s0, 0
	s_waitcnt vmcnt(0)
	v_cvt_f16_f32_e32 v5, v5
.LBB184_265:
	s_mov_b32 s1, 0
.LBB184_266:
	s_delay_alu instid0(SALU_CYCLE_1)
	s_and_not1_b32 vcc_lo, exec_lo, s1
	s_cbranch_vccnz .LBB184_268
; %bb.267:
	global_load_u16 v5, v[0:1], off
	s_mov_b32 s0, 0
.LBB184_268:
	s_delay_alu instid0(SALU_CYCLE_1)
	v_mov_b32_e32 v6, s0
.LBB184_269:
	s_cbranch_execnz .LBB184_290
.LBB184_270:
	v_cmp_gt_i16_e32 vcc_lo, 2, v4
	s_cbranch_vccnz .LBB184_274
; %bb.271:
	v_cmp_gt_i16_e32 vcc_lo, 3, v4
	s_cbranch_vccnz .LBB184_275
; %bb.272:
	v_cmp_lt_i16_e32 vcc_lo, 3, v4
	s_cbranch_vccz .LBB184_276
; %bb.273:
	global_load_b64 v[5:6], v[0:1], off
	s_mov_b32 s1, 0
	s_mov_b32 s0, 0
	s_waitcnt vmcnt(0)
	v_xor_b32_e32 v7, v5, v6
	v_cls_i32_e32 v8, v6
	s_delay_alu instid0(VALU_DEP_2) | instskip(NEXT) | instid1(VALU_DEP_2)
	v_ashrrev_i32_e32 v7, 31, v7
	v_add_nc_u32_e32 v8, -1, v8
	s_delay_alu instid0(VALU_DEP_2) | instskip(NEXT) | instid1(VALU_DEP_1)
	v_add_nc_u32_e32 v7, 32, v7
	v_min_u32_e32 v7, v8, v7
	s_delay_alu instid0(VALU_DEP_1) | instskip(NEXT) | instid1(VALU_DEP_1)
	v_lshlrev_b64 v[5:6], v7, v[5:6]
	v_min_u32_e32 v5, 1, v5
	s_delay_alu instid0(VALU_DEP_1) | instskip(SKIP_1) | instid1(VALU_DEP_2)
	v_or_b32_e32 v5, v6, v5
	v_sub_nc_u32_e32 v6, 32, v7
	v_cvt_f32_i32_e32 v5, v5
	s_delay_alu instid0(VALU_DEP_1) | instskip(NEXT) | instid1(VALU_DEP_1)
	v_ldexp_f32 v5, v5, v6
	v_cvt_f16_f32_e32 v5, v5
	s_branch .LBB184_277
.LBB184_274:
	s_mov_b32 s1, -1
                                        ; implicit-def: $sgpr0
                                        ; implicit-def: $vgpr5
	s_branch .LBB184_283
.LBB184_275:
	s_mov_b32 s1, -1
                                        ; implicit-def: $sgpr0
                                        ; implicit-def: $vgpr5
	s_branch .LBB184_280
.LBB184_276:
	s_mov_b32 s1, -1
                                        ; implicit-def: $sgpr0
                                        ; implicit-def: $vgpr5
.LBB184_277:
	s_delay_alu instid0(SALU_CYCLE_1)
	s_and_not1_b32 vcc_lo, exec_lo, s1
	s_cbranch_vccnz .LBB184_279
; %bb.278:
	global_load_b32 v5, v[0:1], off
	s_mov_b32 s0, 0
	s_waitcnt vmcnt(0)
	v_cvt_f32_i32_e32 v5, v5
	s_delay_alu instid0(VALU_DEP_1)
	v_cvt_f16_f32_e32 v5, v5
.LBB184_279:
	s_mov_b32 s1, 0
.LBB184_280:
	s_delay_alu instid0(SALU_CYCLE_1)
	s_and_not1_b32 vcc_lo, exec_lo, s1
	s_cbranch_vccnz .LBB184_282
; %bb.281:
	global_load_u16 v5, v[0:1], off
	s_mov_b32 s0, 0
	s_waitcnt vmcnt(0)
	v_cvt_f16_i16_e32 v5, v5
.LBB184_282:
	s_mov_b32 s1, 0
.LBB184_283:
	s_delay_alu instid0(SALU_CYCLE_1)
	s_and_not1_b32 vcc_lo, exec_lo, s1
	s_cbranch_vccnz .LBB184_289
; %bb.284:
	v_cmp_lt_i16_e32 vcc_lo, 0, v4
	s_mov_b32 s1, 0
	s_cbranch_vccz .LBB184_286
; %bb.285:
	global_load_i8 v5, v[0:1], off
	s_mov_b32 s0, 0
	s_waitcnt vmcnt(0)
	v_cvt_f16_i16_e32 v5, v5
	s_branch .LBB184_287
.LBB184_286:
	s_mov_b32 s1, -1
                                        ; implicit-def: $sgpr0
                                        ; implicit-def: $vgpr5
.LBB184_287:
	s_delay_alu instid0(SALU_CYCLE_1)
	s_and_not1_b32 vcc_lo, exec_lo, s1
	s_cbranch_vccnz .LBB184_289
; %bb.288:
	global_load_u8 v0, v[0:1], off
	s_mov_b32 s0, 0
	s_waitcnt vmcnt(0)
	v_cvt_f16_u16_e32 v5, v0
.LBB184_289:
	v_mov_b32_e32 v6, s0
.LBB184_290:
	s_branch .LBB184_11
.LBB184_291:
	s_mov_b32 s0, 0
.LBB184_292:
	s_mov_b32 s1, 0
                                        ; implicit-def: $vgpr3
.LBB184_293:
	s_and_b32 s10, s0, exec_lo
	s_and_b32 s12, s12, exec_lo
	s_or_not1_b32 s1, s1, exec_lo
.LBB184_294:
	s_or_b32 exec_lo, exec_lo, s13
	s_mov_b32 s15, 0
	s_mov_b32 s0, 0
                                        ; implicit-def: $vgpr0_vgpr1
                                        ; implicit-def: $vgpr8
                                        ; implicit-def: $vgpr6
	s_and_saveexec_b32 s13, s1
	s_cbranch_execz .LBB184_991
; %bb.295:
	s_mov_b32 s18, -1
	s_mov_b32 s14, s12
	s_mov_b32 s15, s10
	s_mov_b32 s16, exec_lo
	v_cmpx_gt_i32_e64 s11, v3
	s_cbranch_execz .LBB184_597
; %bb.296:
	v_mul_lo_u32 v0, v3, s3
	v_cmp_gt_i16_e32 vcc_lo, 11, v4
	s_delay_alu instid0(VALU_DEP_2) | instskip(SKIP_1) | instid1(VALU_DEP_1)
	v_ashrrev_i32_e32 v1, 31, v0
	v_add_co_u32 v0, s0, s6, v0
	v_add_co_ci_u32_e64 v1, s0, s7, v1, s0
	s_cbranch_vccnz .LBB184_303
; %bb.297:
	v_cmp_lt_i16_e32 vcc_lo, 25, v4
	s_cbranch_vccz .LBB184_317
; %bb.298:
	v_cmp_lt_i16_e32 vcc_lo, 28, v4
	s_cbranch_vccz .LBB184_318
	;; [unrolled: 3-line block ×4, first 2 shown]
; %bb.301:
	v_cmp_eq_u16_e32 vcc_lo, 46, v4
	s_mov_b32 s1, 0
	s_cbranch_vccz .LBB184_362
; %bb.302:
	global_load_b32 v5, v[0:1], off
	s_mov_b32 s0, -1
	s_mov_b32 s14, 0
	s_waitcnt vmcnt(0)
	v_lshlrev_b32_e32 v6, 16, v5
	v_and_b32_e32 v7, 0xffff0000, v5
	s_delay_alu instid0(VALU_DEP_2) | instskip(NEXT) | instid1(VALU_DEP_2)
	v_cvt_f16_f32_e32 v5, v6
	v_cvt_f16_f32_e32 v6, v7
	s_branch .LBB184_364
.LBB184_303:
	s_mov_b32 s0, 0
	s_mov_b32 s14, s12
                                        ; implicit-def: $vgpr6
                                        ; implicit-def: $vgpr5
	s_cbranch_execnz .LBB184_544
.LBB184_304:
	s_and_not1_b32 vcc_lo, exec_lo, s0
	s_cbranch_vccnz .LBB184_594
.LBB184_305:
	s_waitcnt vmcnt(0)
	s_delay_alu instid0(VALU_DEP_2) | instskip(NEXT) | instid1(VALU_DEP_2)
	v_cmp_neq_f16_e32 vcc_lo, 0, v5
	v_cmp_neq_f16_e64 s0, 0, v6
	v_cvt_f32_f16_e32 v0, v6
	v_mov_b32_e32 v1, 0
	s_delay_alu instid0(VALU_DEP_3) | instskip(NEXT) | instid1(SALU_CYCLE_1)
	s_or_b32 s0, vcc_lo, s0
	s_and_saveexec_b32 s15, s0
	s_cbranch_execz .LBB184_341
; %bb.306:
	v_mov_b32_e32 v1, 0x7f800000
	s_mov_b32 s17, exec_lo
	v_cmpx_neq_f32_e64 0x7f800000, |v0|
	s_cbranch_execz .LBB184_340
; %bb.307:
	v_cvt_f32_f16_e32 v1, v5
	s_mov_b32 s0, exec_lo
	v_cmpx_o_f16_e32 v5, v5
	s_xor_b32 s18, exec_lo, s0
	s_cbranch_execz .LBB184_337
; %bb.308:
	s_mov_b32 s1, exec_lo
	v_cmpx_neq_f32_e64 0x7f800000, |v1|
	s_xor_b32 s19, exec_lo, s1
	s_cbranch_execz .LBB184_330
; %bb.309:
	v_max_f32_e64 v5, |v0|, |v0|
	v_max_f32_e64 v6, |v1|, |v1|
                                        ; implicit-def: $sgpr20
	s_delay_alu instid0(VALU_DEP_1) | instskip(NEXT) | instid1(VALU_DEP_1)
	v_max_f32_e32 v5, v6, v5
	v_cmp_nle_f32_e64 s0, 0x7ed413cb, v5
	s_delay_alu instid0(VALU_DEP_1) | instskip(NEXT) | instid1(SALU_CYCLE_1)
	s_and_saveexec_b32 s1, s0
	s_xor_b32 s1, exec_lo, s1
	s_cbranch_execz .LBB184_313
; %bb.310:
	v_cmp_ge_f32_e64 s20, 0x1000000, |v1|
	v_cmp_ge_f32_e64 s21, 0x1000000, |v0|
	s_delay_alu instid0(VALU_DEP_1)
	s_and_b32 s22, s20, s21
	s_mov_b32 s20, 0
	s_and_saveexec_b32 s21, s22
; %bb.311:
	v_dual_mul_f32 v0, 4.0, v0 :: v_dual_mul_f32 v1, 4.0, v1
	s_mov_b32 s20, exec_lo
; %bb.312:
	s_or_b32 exec_lo, exec_lo, s21
	s_delay_alu instid0(SALU_CYCLE_1)
	s_and_b32 s20, s20, exec_lo
.LBB184_313:
	s_and_not1_saveexec_b32 s1, s1
; %bb.314:
	v_dual_mul_f32 v1, 0x3e800000, v1 :: v_dual_mul_f32 v0, 0x3e800000, v0
	s_and_not1_b32 s20, s20, exec_lo
; %bb.315:
	s_or_b32 exec_lo, exec_lo, s1
	s_delay_alu instid0(VALU_DEP_1) | instskip(NEXT) | instid1(VALU_DEP_2)
	v_max_f32_e64 v5, |v0|, |v0|
	v_max_f32_e64 v6, |v1|, |v1|
	s_delay_alu instid0(VALU_DEP_1) | instskip(NEXT) | instid1(VALU_DEP_1)
	v_max_f32_e32 v7, v6, v5
	v_cvt_f64_f32_e32 v[5:6], v7
	s_delay_alu instid0(VALU_DEP_1) | instskip(NEXT) | instid1(VALU_DEP_1)
	v_frexp_exp_i32_f64_e32 v5, v[5:6]
	v_sub_nc_u32_e32 v6, 0, v5
	s_delay_alu instid0(VALU_DEP_1) | instskip(SKIP_1) | instid1(VALU_DEP_2)
	v_ldexp_f32 v8, |v0|, v6
	v_ldexp_f32 v6, |v1|, v6
	v_mul_f32_e32 v8, v8, v8
	v_cmp_neq_f32_e64 s1, 0x7f800000, v7
	s_delay_alu instid0(VALU_DEP_2) | instskip(NEXT) | instid1(VALU_DEP_1)
	v_fmac_f32_e32 v8, v6, v6
	v_sqrt_f32_e32 v6, v8
	s_waitcnt_depctr 0xfff
	v_ldexp_f32 v5, v6, v5
                                        ; implicit-def: $vgpr6
	s_delay_alu instid0(VALU_DEP_1)
	v_cndmask_b32_e64 v7, 0x7f800000, v5, s1
                                        ; implicit-def: $vgpr5
	s_mov_b32 s1, exec_lo
	v_cmpx_le_f32_e32 0, v1
	s_xor_b32 s21, exec_lo, s1
	s_cbranch_execz .LBB184_323
; %bb.316:
	v_add_f32_e32 v1, v1, v7
	s_delay_alu instid0(VALU_DEP_1) | instskip(NEXT) | instid1(VALU_DEP_1)
	v_mul_f32_e32 v1, 0.5, v1
	v_mul_f32_e32 v5, 0x4f800000, v1
	v_cmp_gt_f32_e32 vcc_lo, 0xf800000, v1
	s_delay_alu instid0(VALU_DEP_2) | instskip(NEXT) | instid1(VALU_DEP_1)
	v_cndmask_b32_e32 v1, v1, v5, vcc_lo
	v_sqrt_f32_e32 v5, v1
	s_waitcnt_depctr 0xfff
	v_add_nc_u32_e32 v6, -1, v5
	v_add_nc_u32_e32 v7, 1, v5
	s_delay_alu instid0(VALU_DEP_2) | instskip(NEXT) | instid1(VALU_DEP_2)
	v_fma_f32 v8, -v6, v5, v1
	v_fma_f32 v9, -v7, v5, v1
	s_delay_alu instid0(VALU_DEP_2) | instskip(NEXT) | instid1(VALU_DEP_1)
	v_cmp_ge_f32_e64 s1, 0, v8
	v_cndmask_b32_e64 v5, v5, v6, s1
	s_delay_alu instid0(VALU_DEP_3) | instskip(NEXT) | instid1(VALU_DEP_1)
	v_cmp_lt_f32_e64 s1, 0, v9
	v_cndmask_b32_e64 v5, v5, v7, s1
	s_delay_alu instid0(VALU_DEP_1) | instskip(NEXT) | instid1(VALU_DEP_1)
	v_mul_f32_e32 v6, 0x37800000, v5
	v_cndmask_b32_e32 v5, v5, v6, vcc_lo
	v_cmp_class_f32_e64 vcc_lo, v1, 0x260
	s_delay_alu instid0(VALU_DEP_2) | instskip(NEXT) | instid1(VALU_DEP_1)
	v_cndmask_b32_e32 v5, v5, v1, vcc_lo
	v_add_f32_e32 v1, v5, v5
	s_delay_alu instid0(VALU_DEP_1) | instskip(NEXT) | instid1(VALU_DEP_1)
	v_div_scale_f32 v6, null, v1, v1, v0
	v_rcp_f32_e32 v7, v6
	s_waitcnt_depctr 0xfff
	v_fma_f32 v8, -v6, v7, 1.0
	s_delay_alu instid0(VALU_DEP_1) | instskip(SKIP_1) | instid1(VALU_DEP_1)
	v_fmac_f32_e32 v7, v8, v7
	v_div_scale_f32 v8, vcc_lo, v0, v1, v0
	v_mul_f32_e32 v9, v8, v7
	s_delay_alu instid0(VALU_DEP_1) | instskip(NEXT) | instid1(VALU_DEP_1)
	v_fma_f32 v10, -v6, v9, v8
	v_fmac_f32_e32 v9, v10, v7
	s_delay_alu instid0(VALU_DEP_1) | instskip(NEXT) | instid1(VALU_DEP_1)
	v_fma_f32 v6, -v6, v9, v8
	v_div_fmas_f32 v6, v6, v7, v9
                                        ; implicit-def: $vgpr7
	s_delay_alu instid0(VALU_DEP_1)
	v_div_fixup_f32 v6, v6, v1, v0
                                        ; implicit-def: $vgpr1
                                        ; implicit-def: $vgpr0
	s_and_not1_saveexec_b32 s21, s21
	s_cbranch_execz .LBB184_325
	s_branch .LBB184_324
.LBB184_317:
	s_mov_b32 s1, -1
	s_mov_b32 s0, 0
	s_mov_b32 s14, s12
                                        ; implicit-def: $vgpr6
                                        ; implicit-def: $vgpr5
	s_branch .LBB184_509
.LBB184_318:
	s_mov_b32 s1, -1
	s_mov_b32 s0, 0
	s_mov_b32 s14, s12
                                        ; implicit-def: $vgpr6
                                        ; implicit-def: $vgpr5
	s_branch .LBB184_488
.LBB184_319:
	s_mov_b32 s1, -1
	s_mov_b32 s0, 0
	s_mov_b32 s14, s12
                                        ; implicit-def: $vgpr6
                                        ; implicit-def: $vgpr5
	s_branch .LBB184_482
.LBB184_320:
	s_or_saveexec_b32 s15, s15
                                        ; implicit-def: $sgpr16
	s_delay_alu instid0(SALU_CYCLE_1)
	s_xor_b32 exec_lo, exec_lo, s15
	s_cbranch_execz .LBB184_91
.LBB184_321:
	v_add_f32_e64 v10, 0x46000000, |v9|
	s_and_not1_b32 s10, s10, exec_lo
	s_mov_b32 s16, 0
	s_delay_alu instid0(VALU_DEP_1) | instskip(NEXT) | instid1(VALU_DEP_1)
	v_and_b32_e32 v10, 0xff, v10
	v_cmp_ne_u32_e32 vcc_lo, 0, v10
	s_and_b32 s17, vcc_lo, exec_lo
	s_delay_alu instid0(SALU_CYCLE_1)
	s_or_b32 s10, s10, s17
	s_or_b32 exec_lo, exec_lo, s15
	v_mov_b32_e32 v11, s16
	s_and_saveexec_b32 s15, s10
	s_cbranch_execnz .LBB184_92
	s_branch .LBB184_93
.LBB184_322:
	s_mov_b32 s1, -1
	s_mov_b32 s0, 0
	s_mov_b32 s14, s12
	s_branch .LBB184_363
.LBB184_323:
	s_and_not1_saveexec_b32 s21, s21
	s_cbranch_execz .LBB184_325
.LBB184_324:
	v_sub_f32_e32 v1, v7, v1
	s_delay_alu instid0(VALU_DEP_1) | instskip(NEXT) | instid1(VALU_DEP_1)
	v_mul_f32_e32 v1, 0.5, v1
	v_mul_f32_e32 v5, 0x4f800000, v1
	v_cmp_gt_f32_e32 vcc_lo, 0xf800000, v1
	s_delay_alu instid0(VALU_DEP_2) | instskip(NEXT) | instid1(VALU_DEP_1)
	v_cndmask_b32_e32 v1, v1, v5, vcc_lo
	v_sqrt_f32_e32 v5, v1
	s_waitcnt_depctr 0xfff
	v_add_nc_u32_e32 v6, -1, v5
	v_add_nc_u32_e32 v7, 1, v5
	s_delay_alu instid0(VALU_DEP_2) | instskip(NEXT) | instid1(VALU_DEP_2)
	v_fma_f32 v8, -v6, v5, v1
	v_fma_f32 v9, -v7, v5, v1
	s_delay_alu instid0(VALU_DEP_2) | instskip(NEXT) | instid1(VALU_DEP_1)
	v_cmp_ge_f32_e64 s1, 0, v8
	v_cndmask_b32_e64 v5, v5, v6, s1
	s_delay_alu instid0(VALU_DEP_3) | instskip(NEXT) | instid1(VALU_DEP_1)
	v_cmp_lt_f32_e64 s1, 0, v9
	v_cndmask_b32_e64 v5, v5, v7, s1
	s_delay_alu instid0(VALU_DEP_1) | instskip(NEXT) | instid1(VALU_DEP_1)
	v_mul_f32_e32 v6, 0x37800000, v5
	v_cndmask_b32_e32 v5, v5, v6, vcc_lo
	v_cmp_class_f32_e64 vcc_lo, v1, 0x260
	s_delay_alu instid0(VALU_DEP_2) | instskip(NEXT) | instid1(VALU_DEP_1)
	v_cndmask_b32_e32 v1, v5, v1, vcc_lo
	v_dual_add_f32 v6, v1, v1 :: v_dual_and_b32 v5, 0x7fffffff, v0
	s_delay_alu instid0(VALU_DEP_1) | instskip(SKIP_1) | instid1(VALU_DEP_2)
	v_div_scale_f32 v7, null, v6, v6, v5
	v_div_scale_f32 v5, vcc_lo, v5, v6, v5
	v_rcp_f32_e32 v8, v7
	s_waitcnt_depctr 0xfff
	v_fma_f32 v9, -v7, v8, 1.0
	s_delay_alu instid0(VALU_DEP_1) | instskip(NEXT) | instid1(VALU_DEP_1)
	v_fmac_f32_e32 v8, v9, v8
	v_mul_f32_e32 v9, v5, v8
	s_delay_alu instid0(VALU_DEP_1) | instskip(NEXT) | instid1(VALU_DEP_1)
	v_fma_f32 v10, -v7, v9, v5
	v_fmac_f32_e32 v9, v10, v8
	s_delay_alu instid0(VALU_DEP_1) | instskip(NEXT) | instid1(VALU_DEP_1)
	v_fma_f32 v5, -v7, v9, v5
	v_div_fmas_f32 v5, v5, v8, v9
	s_delay_alu instid0(VALU_DEP_1)
	v_div_fixup_f32 v5, v5, v6, |v0|
	v_bfi_b32 v6, 0x7fffffff, v1, v0
.LBB184_325:
	s_or_b32 exec_lo, exec_lo, s21
                                        ; implicit-def: $vgpr0
                                        ; implicit-def: $vgpr1
	s_and_saveexec_b32 s1, s0
	s_delay_alu instid0(SALU_CYCLE_1)
	s_xor_b32 s0, exec_lo, s1
	s_cbranch_execz .LBB184_327
; %bb.326:
	v_dual_mul_f32 v0, 0.5, v5 :: v_dual_mul_f32 v7, 0.5, v6
	s_delay_alu instid0(VALU_DEP_1) | instskip(NEXT) | instid1(VALU_DEP_2)
	v_cndmask_b32_e64 v1, v5, v0, s20
	v_cndmask_b32_e64 v0, v6, v7, s20
                                        ; implicit-def: $vgpr5
                                        ; implicit-def: $vgpr6
	s_and_not1_saveexec_b32 s0, s0
	s_cbranch_execnz .LBB184_328
	s_branch .LBB184_329
.LBB184_327:
	s_and_not1_saveexec_b32 s0, s0
.LBB184_328:
	v_dual_add_f32 v1, v5, v5 :: v_dual_add_f32 v0, v6, v6
.LBB184_329:
	s_or_b32 exec_lo, exec_lo, s0
                                        ; implicit-def: $vgpr5
.LBB184_330:
	s_and_not1_saveexec_b32 s0, s19
	s_cbranch_execz .LBB184_336
; %bb.331:
	v_cmp_lt_i16_e32 vcc_lo, -1, v5
	v_sub_f32_e32 v5, v0, v0
	s_and_saveexec_b32 s1, vcc_lo
	s_delay_alu instid0(SALU_CYCLE_1)
	s_xor_b32 s1, exec_lo, s1
; %bb.332:
	s_delay_alu instid0(VALU_DEP_1)
	v_bfi_b32 v0, 0x7fffffff, v5, v0
                                        ; implicit-def: $vgpr5
; %bb.333:
	s_and_not1_saveexec_b32 s1, s1
; %bb.334:
	v_and_b32_e32 v5, 0x7fffffff, v5
	s_delay_alu instid0(VALU_DEP_2) | instskip(NEXT) | instid1(VALU_DEP_2)
	v_bfi_b32 v0, 0x7fffffff, v1, v0
	v_mov_b32_e32 v1, v5
; %bb.335:
	s_or_b32 exec_lo, exec_lo, s1
.LBB184_336:
	s_delay_alu instid0(SALU_CYCLE_1)
	s_or_b32 exec_lo, exec_lo, s0
.LBB184_337:
	s_and_not1_saveexec_b32 s0, s18
; %bb.338:
	v_sub_f32_e32 v0, v0, v0
	s_delay_alu instid0(VALU_DEP_1) | instskip(NEXT) | instid1(VALU_DEP_1)
	v_div_scale_f32 v5, vcc_lo, v0, v0, v0
	v_rcp_f32_e32 v6, v5
	s_waitcnt_depctr 0xfff
	v_fma_f32 v7, -v5, v6, 1.0
	s_delay_alu instid0(VALU_DEP_1) | instskip(NEXT) | instid1(VALU_DEP_1)
	v_fmac_f32_e32 v6, v7, v6
	v_mul_f32_e32 v7, v5, v6
	s_delay_alu instid0(VALU_DEP_1) | instskip(NEXT) | instid1(VALU_DEP_1)
	v_fma_f32 v8, -v5, v7, v5
	v_fmac_f32_e32 v7, v8, v6
	s_delay_alu instid0(VALU_DEP_1) | instskip(NEXT) | instid1(VALU_DEP_1)
	v_fma_f32 v5, -v5, v7, v5
	v_div_fmas_f32 v5, v5, v6, v7
	s_delay_alu instid0(VALU_DEP_1)
	v_div_fixup_f32 v0, v5, v0, v0
; %bb.339:
	s_or_b32 exec_lo, exec_lo, s0
.LBB184_340:
	s_delay_alu instid0(SALU_CYCLE_1)
	s_or_b32 exec_lo, exec_lo, s17
.LBB184_341:
	s_delay_alu instid0(SALU_CYCLE_1)
	s_or_b32 exec_lo, exec_lo, s15
	v_cmp_gt_f32_e32 vcc_lo, 0, v1
                                        ; implicit-def: $vgpr8
                                        ; implicit-def: $vgpr7
	s_mov_b32 s0, exec_lo
	v_cndmask_b32_e64 v5, v1, -v1, vcc_lo
	v_cmp_gt_f32_e32 vcc_lo, 0, v0
	v_cndmask_b32_e64 v6, v0, -v0, vcc_lo
	s_delay_alu instid0(VALU_DEP_1)
	v_cmpx_ge_f32_e32 v5, v6
	s_xor_b32 s1, exec_lo, s0
	s_cbranch_execz .LBB184_347
; %bb.342:
	v_cmp_neq_f32_e32 vcc_lo, 0, v1
	v_cmp_neq_f32_e64 s0, 0, v0
                                        ; implicit-def: $vgpr8
                                        ; implicit-def: $vgpr7
	s_delay_alu instid0(VALU_DEP_1) | instskip(NEXT) | instid1(SALU_CYCLE_1)
	s_or_b32 s0, vcc_lo, s0
	s_and_saveexec_b32 s15, s0
	s_delay_alu instid0(SALU_CYCLE_1)
	s_xor_b32 s0, exec_lo, s15
	s_cbranch_execz .LBB184_344
; %bb.343:
	v_div_scale_f32 v5, null, v1, v1, v0
	v_div_scale_f32 v8, vcc_lo, v0, v1, v0
	s_delay_alu instid0(VALU_DEP_2) | instskip(SKIP_2) | instid1(VALU_DEP_1)
	v_rcp_f32_e32 v6, v5
	s_waitcnt_depctr 0xfff
	v_fma_f32 v7, -v5, v6, 1.0
	v_fmac_f32_e32 v6, v7, v6
	s_delay_alu instid0(VALU_DEP_1) | instskip(NEXT) | instid1(VALU_DEP_1)
	v_mul_f32_e32 v7, v8, v6
	v_fma_f32 v9, -v5, v7, v8
	s_delay_alu instid0(VALU_DEP_1) | instskip(NEXT) | instid1(VALU_DEP_1)
	v_fmac_f32_e32 v7, v9, v6
	v_fma_f32 v5, -v5, v7, v8
	s_delay_alu instid0(VALU_DEP_1) | instskip(NEXT) | instid1(VALU_DEP_1)
	v_div_fmas_f32 v5, v5, v6, v7
	v_div_fixup_f32 v5, v5, v1, v0
	s_delay_alu instid0(VALU_DEP_1) | instskip(NEXT) | instid1(VALU_DEP_1)
	v_fmac_f32_e32 v1, v0, v5
	v_div_scale_f32 v0, null, v1, v1, 1.0
	v_div_scale_f32 v8, vcc_lo, 1.0, v1, 1.0
	s_delay_alu instid0(VALU_DEP_2) | instskip(SKIP_2) | instid1(VALU_DEP_1)
	v_rcp_f32_e32 v6, v0
	s_waitcnt_depctr 0xfff
	v_fma_f32 v7, -v0, v6, 1.0
	v_fmac_f32_e32 v6, v7, v6
	s_delay_alu instid0(VALU_DEP_1) | instskip(NEXT) | instid1(VALU_DEP_1)
	v_mul_f32_e32 v7, v8, v6
	v_fma_f32 v9, -v0, v7, v8
	s_delay_alu instid0(VALU_DEP_1) | instskip(NEXT) | instid1(VALU_DEP_1)
	v_fmac_f32_e32 v7, v9, v6
	v_fma_f32 v0, -v0, v7, v8
	s_delay_alu instid0(VALU_DEP_1) | instskip(SKIP_1) | instid1(VALU_DEP_2)
	v_div_fmas_f32 v0, v0, v6, v7
	v_fma_f32 v6, v5, 0, 1.0
	v_div_fixup_f32 v0, v0, v1, 1.0
	s_delay_alu instid0(VALU_DEP_1)
	v_mul_f32_e32 v7, v6, v0
	v_mul_f32_e64 v8, -v5, v0
                                        ; implicit-def: $vgpr5
                                        ; implicit-def: $vgpr6
.LBB184_344:
	s_and_not1_saveexec_b32 s15, s0
	s_cbranch_execz .LBB184_346
; %bb.345:
	v_div_scale_f32 v0, null, v5, v5, 1.0
	v_div_scale_f32 v1, null, v6, v6, 0
	v_div_scale_f32 v11, vcc_lo, 1.0, v5, 1.0
	s_delay_alu instid0(VALU_DEP_3) | instskip(NEXT) | instid1(VALU_DEP_2)
	v_rcp_f32_e32 v7, v0
	v_rcp_f32_e32 v8, v1
	s_waitcnt_depctr 0xfff
	v_fma_f32 v9, -v0, v7, 1.0
	v_fma_f32 v10, -v1, v8, 1.0
	s_delay_alu instid0(VALU_DEP_1) | instskip(SKIP_1) | instid1(VALU_DEP_2)
	v_dual_fmac_f32 v7, v9, v7 :: v_dual_fmac_f32 v8, v10, v8
	v_div_scale_f32 v9, s0, 0, v6, 0
	v_mul_f32_e32 v10, v11, v7
	s_delay_alu instid0(VALU_DEP_2) | instskip(NEXT) | instid1(VALU_DEP_2)
	v_mul_f32_e32 v12, v9, v8
	v_fma_f32 v13, -v0, v10, v11
	s_delay_alu instid0(VALU_DEP_2) | instskip(NEXT) | instid1(VALU_DEP_2)
	v_fma_f32 v14, -v1, v12, v9
	v_fmac_f32_e32 v10, v13, v7
	s_delay_alu instid0(VALU_DEP_2) | instskip(NEXT) | instid1(VALU_DEP_2)
	v_fmac_f32_e32 v12, v14, v8
	v_fma_f32 v0, -v0, v10, v11
	s_delay_alu instid0(VALU_DEP_2) | instskip(NEXT) | instid1(VALU_DEP_2)
	v_fma_f32 v1, -v1, v12, v9
	v_div_fmas_f32 v0, v0, v7, v10
	s_mov_b32 vcc_lo, s0
	s_delay_alu instid0(VALU_DEP_2) | instskip(NEXT) | instid1(VALU_DEP_2)
	v_div_fmas_f32 v1, v1, v8, v12
	v_div_fixup_f32 v7, v0, v5, 1.0
	s_delay_alu instid0(VALU_DEP_2)
	v_div_fixup_f32 v8, v1, v6, 0
.LBB184_346:
	s_or_b32 exec_lo, exec_lo, s15
                                        ; implicit-def: $vgpr0
                                        ; implicit-def: $vgpr1
.LBB184_347:
	s_and_not1_saveexec_b32 s0, s1
	s_cbranch_execz .LBB184_349
; %bb.348:
	v_div_scale_f32 v5, null, v0, v0, v1
	v_div_scale_f32 v8, vcc_lo, v1, v0, v1
	s_delay_alu instid0(VALU_DEP_2) | instskip(SKIP_2) | instid1(VALU_DEP_1)
	v_rcp_f32_e32 v6, v5
	s_waitcnt_depctr 0xfff
	v_fma_f32 v7, -v5, v6, 1.0
	v_fmac_f32_e32 v6, v7, v6
	s_delay_alu instid0(VALU_DEP_1) | instskip(NEXT) | instid1(VALU_DEP_1)
	v_mul_f32_e32 v7, v8, v6
	v_fma_f32 v9, -v5, v7, v8
	s_delay_alu instid0(VALU_DEP_1) | instskip(NEXT) | instid1(VALU_DEP_1)
	v_fmac_f32_e32 v7, v9, v6
	v_fma_f32 v5, -v5, v7, v8
	s_delay_alu instid0(VALU_DEP_1) | instskip(NEXT) | instid1(VALU_DEP_1)
	v_div_fmas_f32 v5, v5, v6, v7
	v_div_fixup_f32 v5, v5, v0, v1
	s_delay_alu instid0(VALU_DEP_1) | instskip(NEXT) | instid1(VALU_DEP_1)
	v_fmac_f32_e32 v0, v1, v5
	v_div_scale_f32 v1, null, v0, v0, 1.0
	v_div_scale_f32 v8, vcc_lo, 1.0, v0, 1.0
	s_delay_alu instid0(VALU_DEP_2) | instskip(SKIP_2) | instid1(VALU_DEP_1)
	v_rcp_f32_e32 v6, v1
	s_waitcnt_depctr 0xfff
	v_fma_f32 v7, -v1, v6, 1.0
	v_fmac_f32_e32 v6, v7, v6
	s_delay_alu instid0(VALU_DEP_1) | instskip(NEXT) | instid1(VALU_DEP_1)
	v_mul_f32_e32 v7, v8, v6
	v_fma_f32 v9, -v1, v7, v8
	s_delay_alu instid0(VALU_DEP_1) | instskip(NEXT) | instid1(VALU_DEP_1)
	v_fmac_f32_e32 v7, v9, v6
	v_fma_f32 v1, -v1, v7, v8
	s_delay_alu instid0(VALU_DEP_1) | instskip(SKIP_1) | instid1(VALU_DEP_2)
	v_div_fmas_f32 v1, v1, v6, v7
	v_add_f32_e32 v6, 0, v5
	v_div_fixup_f32 v0, v1, v0, 1.0
	v_fma_f32 v1, v5, 0, -1.0
	s_delay_alu instid0(VALU_DEP_2) | instskip(NEXT) | instid1(VALU_DEP_2)
	v_mul_f32_e32 v7, v6, v0
	v_mul_f32_e32 v8, v1, v0
.LBB184_349:
	s_or_b32 exec_lo, exec_lo, s0
	v_mul_lo_u32 v0, v3, s2
	s_delay_alu instid0(VALU_DEP_2) | instskip(SKIP_2) | instid1(VALU_DEP_3)
	v_cvt_f16_f32_e32 v8, v8
	v_cvt_f16_f32_e32 v5, v7
	v_and_b32_e32 v6, 0xff, v2
	v_lshlrev_b32_e32 v1, 16, v8
	s_delay_alu instid0(VALU_DEP_3) | instskip(SKIP_1) | instid1(VALU_DEP_4)
	v_and_b32_e32 v7, 0xffff, v5
	v_ashrrev_i32_e32 v9, 31, v0
	v_cmp_gt_i16_e32 vcc_lo, 11, v6
	v_add_co_u32 v0, s0, s4, v0
	s_delay_alu instid0(VALU_DEP_4) | instskip(NEXT) | instid1(VALU_DEP_4)
	v_or_b32_e32 v7, v1, v7
	v_add_co_ci_u32_e64 v1, s0, s5, v9, s0
	s_cbranch_vccnz .LBB184_356
; %bb.350:
	v_cmp_lt_i16_e32 vcc_lo, 25, v6
	s_cbranch_vccz .LBB184_357
; %bb.351:
	v_cmp_lt_i16_e32 vcc_lo, 28, v6
	s_cbranch_vccz .LBB184_358
	;; [unrolled: 3-line block ×4, first 2 shown]
; %bb.354:
	v_cmp_eq_u16_e32 vcc_lo, 46, v6
	s_mov_b32 s15, 0
	s_mov_b32 s0, -1
	s_mov_b32 s1, 0
	s_cbranch_vccz .LBB184_368
; %bb.355:
	v_cvt_f32_f16_e32 v9, v8
	v_cvt_f32_f16_e32 v10, v5
	v_cmp_o_f16_e32 vcc_lo, v8, v8
	s_mov_b32 s1, -1
	s_mov_b32 s0, 0
	v_bfe_u32 v11, v9, 16, 1
	v_bfe_u32 v12, v10, 16, 1
	s_delay_alu instid0(VALU_DEP_2) | instskip(NEXT) | instid1(VALU_DEP_2)
	v_add3_u32 v9, v9, v11, 0x7fff
	v_add3_u32 v10, v10, v12, 0x7fff
	s_delay_alu instid0(VALU_DEP_2) | instskip(NEXT) | instid1(VALU_DEP_2)
	v_and_b32_e32 v9, 0xffff0000, v9
	v_lshrrev_b32_e32 v10, 16, v10
	s_delay_alu instid0(VALU_DEP_2) | instskip(SKIP_1) | instid1(VALU_DEP_3)
	v_cndmask_b32_e32 v9, 0x7fc00000, v9, vcc_lo
	v_cmp_o_f16_e32 vcc_lo, v5, v5
	v_cndmask_b32_e32 v10, 0x7fc0, v10, vcc_lo
	s_delay_alu instid0(VALU_DEP_1)
	v_or_b32_e32 v9, v9, v10
	global_store_b32 v[0:1], v9, off
	s_branch .LBB184_368
.LBB184_356:
	s_mov_b32 s15, -1
	s_mov_b32 s1, 0
	s_mov_b32 s0, s10
	s_branch .LBB184_437
.LBB184_357:
	s_mov_b32 s15, -1
	s_mov_b32 s1, 0
	s_mov_b32 s0, s10
	s_branch .LBB184_395
.LBB184_358:
	s_mov_b32 s15, -1
	s_mov_b32 s1, 0
	s_mov_b32 s0, s10
	s_branch .LBB184_378
.LBB184_359:
	s_mov_b32 s15, -1
	s_mov_b32 s1, 0
	s_mov_b32 s0, s10
	s_branch .LBB184_374
.LBB184_360:
	s_or_saveexec_b32 s15, s15
                                        ; implicit-def: $sgpr16
	s_delay_alu instid0(SALU_CYCLE_1)
	s_xor_b32 exec_lo, exec_lo, s15
	s_cbranch_execz .LBB184_104
.LBB184_361:
	v_add_f32_e64 v10, 0x42800000, |v9|
	s_and_not1_b32 s10, s10, exec_lo
	s_mov_b32 s16, 0
	s_delay_alu instid0(VALU_DEP_1) | instskip(NEXT) | instid1(VALU_DEP_1)
	v_and_b32_e32 v10, 0xff, v10
	v_cmp_ne_u32_e32 vcc_lo, 0, v10
	s_and_b32 s17, vcc_lo, exec_lo
	s_delay_alu instid0(SALU_CYCLE_1)
	s_or_b32 s10, s10, s17
	s_or_b32 exec_lo, exec_lo, s15
	v_mov_b32_e32 v11, s16
	s_and_saveexec_b32 s15, s10
	s_cbranch_execnz .LBB184_105
	s_branch .LBB184_106
.LBB184_362:
	s_mov_b32 s14, -1
	s_mov_b32 s0, 0
.LBB184_363:
                                        ; implicit-def: $vgpr6
                                        ; implicit-def: $vgpr5
.LBB184_364:
	s_and_b32 vcc_lo, exec_lo, s1
	s_cbranch_vccz .LBB184_481
; %bb.365:
	v_cmp_eq_u16_e32 vcc_lo, 44, v4
	s_cbranch_vccz .LBB184_479
; %bb.366:
	global_load_u8 v5, v[0:1], off
	s_mov_b32 s14, 0
	s_mov_b32 s0, -1
	s_waitcnt vmcnt(0)
	v_lshlrev_b32_e32 v6, 23, v5
	v_cmp_ne_u32_e32 vcc_lo, 0xff, v5
	s_delay_alu instid0(VALU_DEP_2) | instskip(NEXT) | instid1(VALU_DEP_1)
	v_cvt_f16_f32_e32 v6, v6
	v_cndmask_b32_e32 v6, 0x7e00, v6, vcc_lo
	v_cmp_ne_u32_e32 vcc_lo, 0, v5
	s_delay_alu instid0(VALU_DEP_2)
	v_cndmask_b32_e32 v5, 0, v6, vcc_lo
	s_branch .LBB184_480
.LBB184_367:
	s_mov_b32 s15, -1
	s_mov_b32 s1, 0
	s_mov_b32 s0, s10
.LBB184_368:
	s_and_b32 vcc_lo, exec_lo, s15
	s_cbranch_vccz .LBB184_373
; %bb.369:
	v_cmp_eq_u16_e32 vcc_lo, 44, v6
	s_mov_b32 s0, -1
	s_cbranch_vccz .LBB184_373
; %bb.370:
	v_cvt_f32_f16_e32 v9, v5
	v_mov_b32_e32 v10, 0xff
	s_mov_b32 s1, exec_lo
	s_delay_alu instid0(VALU_DEP_2) | instskip(NEXT) | instid1(VALU_DEP_1)
	v_bfe_u32 v11, v9, 23, 8
	v_cmpx_ne_u32_e32 0xff, v11
; %bb.371:
	v_and_b32_e32 v10, 0x400000, v9
	v_and_or_b32 v11, 0x3fffff, v9, v11
	v_lshrrev_b32_e32 v9, 23, v9
	s_delay_alu instid0(VALU_DEP_3) | instskip(NEXT) | instid1(VALU_DEP_3)
	v_cmp_ne_u32_e32 vcc_lo, 0, v10
	v_cmp_ne_u32_e64 s0, 0, v11
	s_delay_alu instid0(VALU_DEP_1) | instskip(NEXT) | instid1(SALU_CYCLE_1)
	s_and_b32 s0, vcc_lo, s0
	v_cndmask_b32_e64 v10, 0, 1, s0
	s_delay_alu instid0(VALU_DEP_1)
	v_add_nc_u32_e32 v10, v9, v10
; %bb.372:
	s_or_b32 exec_lo, exec_lo, s1
	s_mov_b32 s1, -1
	s_mov_b32 s0, 0
	global_store_b8 v[0:1], v10, off
.LBB184_373:
	s_mov_b32 s15, 0
.LBB184_374:
	s_delay_alu instid0(SALU_CYCLE_1)
	s_and_b32 vcc_lo, exec_lo, s15
	s_cbranch_vccz .LBB184_377
; %bb.375:
	v_cmp_eq_u16_e32 vcc_lo, 29, v6
	s_mov_b32 s0, -1
	s_cbranch_vccz .LBB184_377
; %bb.376:
	v_cvt_f32_f16_e32 v9, v5
	v_mov_b32_e32 v10, 0
	s_mov_b32 s0, 0
	s_mov_b32 s1, -1
	s_mov_b32 s15, 0
	v_cvt_u32_f32_e32 v9, v9
	global_store_b64 v[0:1], v[9:10], off
	s_branch .LBB184_378
.LBB184_377:
	s_mov_b32 s15, 0
.LBB184_378:
	s_delay_alu instid0(SALU_CYCLE_1)
	s_and_b32 vcc_lo, exec_lo, s15
	s_cbranch_vccz .LBB184_394
; %bb.379:
	v_cmp_gt_i16_e32 vcc_lo, 27, v6
	s_mov_b32 s1, -1
	s_cbranch_vccnz .LBB184_385
; %bb.380:
	v_cmp_lt_i16_e32 vcc_lo, 27, v6
	s_cbranch_vccz .LBB184_382
; %bb.381:
	v_cvt_f32_f16_e32 v9, v5
	s_mov_b32 s1, 0
	s_delay_alu instid0(VALU_DEP_1)
	v_cvt_u32_f32_e32 v9, v9
	global_store_b32 v[0:1], v9, off
.LBB184_382:
	s_and_not1_b32 vcc_lo, exec_lo, s1
	s_cbranch_vccnz .LBB184_384
; %bb.383:
	v_cvt_u16_f16_e32 v9, v5
	global_store_b16 v[0:1], v9, off
.LBB184_384:
	s_mov_b32 s1, 0
.LBB184_385:
	s_delay_alu instid0(SALU_CYCLE_1)
	s_and_not1_b32 vcc_lo, exec_lo, s1
	s_cbranch_vccnz .LBB184_393
; %bb.386:
	v_cvt_f32_f16_e32 v9, v5
	v_mov_b32_e32 v11, 0x80
	s_mov_b32 s1, exec_lo
	s_delay_alu instid0(VALU_DEP_2) | instskip(NEXT) | instid1(VALU_DEP_1)
	v_and_b32_e32 v10, 0x7fffffff, v9
	v_cmpx_gt_u32_e32 0x43800000, v10
	s_cbranch_execz .LBB184_392
; %bb.387:
	v_cmp_lt_u32_e32 vcc_lo, 0x3bffffff, v10
	s_mov_b32 s15, 0
                                        ; implicit-def: $vgpr10
	s_and_saveexec_b32 s17, vcc_lo
	s_delay_alu instid0(SALU_CYCLE_1)
	s_xor_b32 s17, exec_lo, s17
	s_cbranch_execz .LBB184_610
; %bb.388:
	v_bfe_u32 v10, v9, 20, 1
	s_mov_b32 s15, exec_lo
	s_delay_alu instid0(VALU_DEP_1) | instskip(NEXT) | instid1(VALU_DEP_1)
	v_add3_u32 v10, v9, v10, 0x487ffff
	v_lshrrev_b32_e32 v10, 20, v10
	s_or_saveexec_b32 s17, s17
                                        ; implicit-def: $sgpr18
	s_delay_alu instid0(SALU_CYCLE_1)
	s_xor_b32 exec_lo, exec_lo, s17
	s_cbranch_execnz .LBB184_611
.LBB184_389:
	s_or_b32 exec_lo, exec_lo, s17
	v_mov_b32_e32 v11, s18
	s_and_saveexec_b32 s17, s15
.LBB184_390:
	v_lshrrev_b32_e32 v9, 24, v9
	s_delay_alu instid0(VALU_DEP_1)
	v_and_or_b32 v11, 0x80, v9, v10
.LBB184_391:
	s_or_b32 exec_lo, exec_lo, s17
.LBB184_392:
	s_delay_alu instid0(SALU_CYCLE_1)
	s_or_b32 exec_lo, exec_lo, s1
	global_store_b8 v[0:1], v11, off
.LBB184_393:
	s_mov_b32 s1, -1
.LBB184_394:
	s_mov_b32 s15, 0
.LBB184_395:
	s_delay_alu instid0(SALU_CYCLE_1)
	s_and_b32 vcc_lo, exec_lo, s15
	s_cbranch_vccz .LBB184_436
; %bb.396:
	v_cmp_lt_i16_e32 vcc_lo, 22, v6
	s_mov_b32 s15, -1
	s_cbranch_vccz .LBB184_428
; %bb.397:
	v_cmp_gt_i16_e32 vcc_lo, 24, v6
	s_mov_b32 s1, -1
	s_cbranch_vccnz .LBB184_417
; %bb.398:
	v_cmp_lt_i16_e32 vcc_lo, 24, v6
	s_cbranch_vccz .LBB184_406
; %bb.399:
	v_cvt_f32_f16_e32 v9, v5
	v_mov_b32_e32 v11, 0x80
	s_mov_b32 s1, exec_lo
	s_delay_alu instid0(VALU_DEP_2) | instskip(NEXT) | instid1(VALU_DEP_1)
	v_and_b32_e32 v10, 0x7fffffff, v9
	v_cmpx_gt_u32_e32 0x47800000, v10
	s_cbranch_execz .LBB184_405
; %bb.400:
	v_cmp_lt_u32_e32 vcc_lo, 0x37ffffff, v10
	s_mov_b32 s15, 0
                                        ; implicit-def: $vgpr10
	s_and_saveexec_b32 s17, vcc_lo
	s_delay_alu instid0(SALU_CYCLE_1)
	s_xor_b32 s17, exec_lo, s17
	s_cbranch_execz .LBB184_613
; %bb.401:
	v_bfe_u32 v10, v9, 21, 1
	s_mov_b32 s15, exec_lo
	s_delay_alu instid0(VALU_DEP_1) | instskip(NEXT) | instid1(VALU_DEP_1)
	v_add3_u32 v10, v9, v10, 0x88fffff
	v_lshrrev_b32_e32 v10, 21, v10
	s_or_saveexec_b32 s17, s17
                                        ; implicit-def: $sgpr18
	s_delay_alu instid0(SALU_CYCLE_1)
	s_xor_b32 exec_lo, exec_lo, s17
	s_cbranch_execnz .LBB184_614
.LBB184_402:
	s_or_b32 exec_lo, exec_lo, s17
	v_mov_b32_e32 v11, s18
	s_and_saveexec_b32 s17, s15
.LBB184_403:
	v_lshrrev_b32_e32 v9, 24, v9
	s_delay_alu instid0(VALU_DEP_1)
	v_and_or_b32 v11, 0x80, v9, v10
.LBB184_404:
	s_or_b32 exec_lo, exec_lo, s17
.LBB184_405:
	s_delay_alu instid0(SALU_CYCLE_1)
	s_or_b32 exec_lo, exec_lo, s1
	s_mov_b32 s1, 0
	global_store_b8 v[0:1], v11, off
.LBB184_406:
	s_and_b32 vcc_lo, exec_lo, s1
	s_cbranch_vccz .LBB184_416
; %bb.407:
	v_cvt_f32_f16_e32 v9, v5
	s_mov_b32 s1, exec_lo
                                        ; implicit-def: $vgpr10
	s_delay_alu instid0(VALU_DEP_1) | instskip(NEXT) | instid1(VALU_DEP_1)
	v_and_b32_e32 v11, 0x7fffffff, v9
	v_cmpx_gt_u32_e32 0x43f00000, v11
	s_xor_b32 s1, exec_lo, s1
	s_cbranch_execz .LBB184_413
; %bb.408:
	s_mov_b32 s15, exec_lo
                                        ; implicit-def: $vgpr10
	v_cmpx_lt_u32_e32 0x3c7fffff, v11
	s_xor_b32 s15, exec_lo, s15
; %bb.409:
	v_bfe_u32 v10, v9, 20, 1
	s_delay_alu instid0(VALU_DEP_1) | instskip(NEXT) | instid1(VALU_DEP_1)
	v_add3_u32 v10, v9, v10, 0x407ffff
	v_and_b32_e32 v11, 0xff00000, v10
	v_lshrrev_b32_e32 v10, 20, v10
	s_delay_alu instid0(VALU_DEP_2) | instskip(NEXT) | instid1(VALU_DEP_2)
	v_cmp_ne_u32_e32 vcc_lo, 0x7f00000, v11
	v_cndmask_b32_e32 v10, 0x7e, v10, vcc_lo
; %bb.410:
	s_and_not1_saveexec_b32 s15, s15
; %bb.411:
	v_add_f32_e64 v10, 0x46800000, |v9|
; %bb.412:
	s_or_b32 exec_lo, exec_lo, s15
                                        ; implicit-def: $vgpr11
.LBB184_413:
	s_and_not1_saveexec_b32 s1, s1
; %bb.414:
	v_mov_b32_e32 v10, 0x7f
	v_cmp_lt_u32_e32 vcc_lo, 0x7f800000, v11
	s_delay_alu instid0(VALU_DEP_2)
	v_cndmask_b32_e32 v10, 0x7e, v10, vcc_lo
; %bb.415:
	s_or_b32 exec_lo, exec_lo, s1
	v_lshrrev_b32_e32 v9, 24, v9
	s_delay_alu instid0(VALU_DEP_1)
	v_and_or_b32 v9, 0x80, v9, v10
	global_store_b8 v[0:1], v9, off
.LBB184_416:
	s_mov_b32 s1, 0
.LBB184_417:
	s_delay_alu instid0(SALU_CYCLE_1)
	s_and_not1_b32 vcc_lo, exec_lo, s1
	s_cbranch_vccnz .LBB184_427
; %bb.418:
	v_cvt_f32_f16_e32 v9, v5
	s_mov_b32 s1, exec_lo
                                        ; implicit-def: $vgpr10
	s_delay_alu instid0(VALU_DEP_1) | instskip(NEXT) | instid1(VALU_DEP_1)
	v_and_b32_e32 v11, 0x7fffffff, v9
	v_cmpx_gt_u32_e32 0x47800000, v11
	s_xor_b32 s1, exec_lo, s1
	s_cbranch_execz .LBB184_424
; %bb.419:
	s_mov_b32 s15, exec_lo
                                        ; implicit-def: $vgpr10
	v_cmpx_lt_u32_e32 0x387fffff, v11
	s_xor_b32 s15, exec_lo, s15
; %bb.420:
	v_bfe_u32 v10, v9, 21, 1
	s_delay_alu instid0(VALU_DEP_1) | instskip(NEXT) | instid1(VALU_DEP_1)
	v_add3_u32 v10, v9, v10, 0x80fffff
	v_lshrrev_b32_e32 v10, 21, v10
; %bb.421:
	s_and_not1_saveexec_b32 s15, s15
; %bb.422:
	v_add_f32_e64 v10, 0x43000000, |v9|
; %bb.423:
	s_or_b32 exec_lo, exec_lo, s15
                                        ; implicit-def: $vgpr11
.LBB184_424:
	s_and_not1_saveexec_b32 s1, s1
; %bb.425:
	v_mov_b32_e32 v10, 0x7f
	v_cmp_lt_u32_e32 vcc_lo, 0x7f800000, v11
	s_delay_alu instid0(VALU_DEP_2)
	v_cndmask_b32_e32 v10, 0x7c, v10, vcc_lo
; %bb.426:
	s_or_b32 exec_lo, exec_lo, s1
	v_lshrrev_b32_e32 v9, 24, v9
	s_delay_alu instid0(VALU_DEP_1)
	v_and_or_b32 v9, 0x80, v9, v10
	global_store_b8 v[0:1], v9, off
.LBB184_427:
	s_mov_b32 s15, 0
	s_mov_b32 s1, -1
.LBB184_428:
	s_and_not1_b32 vcc_lo, exec_lo, s15
	s_cbranch_vccnz .LBB184_436
; %bb.429:
	v_cmp_lt_i16_e32 vcc_lo, 14, v6
	s_mov_b32 s15, -1
	s_cbranch_vccz .LBB184_433
; %bb.430:
	v_cmp_eq_u16_e32 vcc_lo, 15, v6
	s_mov_b32 s0, -1
	s_cbranch_vccz .LBB184_432
; %bb.431:
	v_cvt_f32_f16_e32 v9, v5
	v_cmp_o_f16_e32 vcc_lo, v5, v5
	s_mov_b32 s1, -1
	s_mov_b32 s0, 0
	s_delay_alu instid0(VALU_DEP_2) | instskip(NEXT) | instid1(VALU_DEP_1)
	v_bfe_u32 v10, v9, 16, 1
	v_add3_u32 v9, v9, v10, 0x7fff
	s_delay_alu instid0(VALU_DEP_1) | instskip(NEXT) | instid1(VALU_DEP_1)
	v_lshrrev_b32_e32 v9, 16, v9
	v_cndmask_b32_e32 v9, 0x7fc0, v9, vcc_lo
	global_store_b16 v[0:1], v9, off
.LBB184_432:
	s_mov_b32 s15, 0
.LBB184_433:
	s_delay_alu instid0(SALU_CYCLE_1)
	s_and_b32 vcc_lo, exec_lo, s15
	s_cbranch_vccz .LBB184_436
; %bb.434:
	v_cmp_eq_u16_e32 vcc_lo, 11, v6
	s_mov_b32 s0, -1
	s_cbranch_vccz .LBB184_436
; %bb.435:
	v_and_b32_e32 v9, 0x7fff7fff, v7
	s_mov_b32 s0, 0
	s_mov_b32 s1, -1
	s_delay_alu instid0(VALU_DEP_1)
	v_cmp_ne_u32_e32 vcc_lo, 0, v9
	v_cndmask_b32_e64 v9, 0, 1, vcc_lo
	global_store_b8 v[0:1], v9, off
.LBB184_436:
	s_mov_b32 s15, 0
.LBB184_437:
	s_delay_alu instid0(SALU_CYCLE_1)
	s_and_b32 vcc_lo, exec_lo, s15
	s_cbranch_vccz .LBB184_476
; %bb.438:
	v_cmp_gt_i16_e32 vcc_lo, 5, v6
	s_mov_b32 s1, -1
	s_cbranch_vccnz .LBB184_459
; %bb.439:
	v_cmp_gt_i16_e32 vcc_lo, 8, v6
	s_cbranch_vccnz .LBB184_449
; %bb.440:
	v_cmp_gt_i16_e32 vcc_lo, 9, v6
	s_cbranch_vccnz .LBB184_446
; %bb.441:
	v_cmp_lt_i16_e32 vcc_lo, 9, v6
	s_cbranch_vccz .LBB184_443
; %bb.442:
	v_cvt_f32_f16_e32 v9, v5
	v_cvt_f32_f16_e32 v11, v8
	s_mov_b32 s1, 0
	s_delay_alu instid0(VALU_DEP_2) | instskip(NEXT) | instid1(VALU_DEP_2)
	v_cvt_f64_f32_e32 v[9:10], v9
	v_cvt_f64_f32_e32 v[11:12], v11
	global_store_b128 v[0:1], v[9:12], off
.LBB184_443:
	s_and_not1_b32 vcc_lo, exec_lo, s1
	s_cbranch_vccnz .LBB184_445
; %bb.444:
	v_cvt_f32_f16_e32 v9, v5
	v_cvt_f32_f16_e32 v10, v8
	global_store_b64 v[0:1], v[9:10], off
.LBB184_445:
	s_mov_b32 s1, 0
.LBB184_446:
	s_delay_alu instid0(SALU_CYCLE_1)
	s_and_not1_b32 vcc_lo, exec_lo, s1
	s_cbranch_vccnz .LBB184_448
; %bb.447:
	global_store_b32 v[0:1], v7, off
.LBB184_448:
	s_mov_b32 s1, 0
.LBB184_449:
	s_delay_alu instid0(SALU_CYCLE_1)
	s_and_not1_b32 vcc_lo, exec_lo, s1
	s_cbranch_vccnz .LBB184_458
; %bb.450:
	v_cmp_gt_i16_e32 vcc_lo, 6, v6
	s_mov_b32 s1, -1
	s_cbranch_vccnz .LBB184_456
; %bb.451:
	v_cmp_lt_i16_e32 vcc_lo, 6, v6
	s_cbranch_vccz .LBB184_453
; %bb.452:
	v_cvt_f32_f16_e32 v7, v5
	s_mov_b32 s1, 0
	s_delay_alu instid0(VALU_DEP_1)
	v_cvt_f64_f32_e32 v[7:8], v7
	global_store_b64 v[0:1], v[7:8], off
.LBB184_453:
	s_and_not1_b32 vcc_lo, exec_lo, s1
	s_cbranch_vccnz .LBB184_455
; %bb.454:
	v_cvt_f32_f16_e32 v7, v5
	global_store_b32 v[0:1], v7, off
.LBB184_455:
	s_mov_b32 s1, 0
.LBB184_456:
	s_delay_alu instid0(SALU_CYCLE_1)
	s_and_not1_b32 vcc_lo, exec_lo, s1
	s_cbranch_vccnz .LBB184_458
; %bb.457:
	global_store_b16 v[0:1], v5, off
.LBB184_458:
	s_mov_b32 s1, 0
.LBB184_459:
	s_delay_alu instid0(SALU_CYCLE_1)
	s_and_not1_b32 vcc_lo, exec_lo, s1
	s_cbranch_vccnz .LBB184_475
; %bb.460:
	v_cmp_gt_i16_e32 vcc_lo, 2, v6
	s_mov_b32 s1, -1
	s_cbranch_vccnz .LBB184_470
; %bb.461:
	v_cmp_gt_i16_e32 vcc_lo, 3, v6
	s_cbranch_vccnz .LBB184_467
; %bb.462:
	v_cmp_lt_i16_e32 vcc_lo, 3, v6
	s_cbranch_vccz .LBB184_464
; %bb.463:
	v_cvt_f32_f16_e32 v7, v5
	s_mov_b32 s1, 0
	s_delay_alu instid0(VALU_DEP_1) | instskip(NEXT) | instid1(VALU_DEP_1)
	v_cvt_i32_f32_e32 v7, v7
	v_ashrrev_i32_e32 v8, 31, v7
	global_store_b64 v[0:1], v[7:8], off
.LBB184_464:
	s_and_not1_b32 vcc_lo, exec_lo, s1
	s_cbranch_vccnz .LBB184_466
; %bb.465:
	v_cvt_f32_f16_e32 v7, v5
	s_delay_alu instid0(VALU_DEP_1)
	v_cvt_i32_f32_e32 v7, v7
	global_store_b32 v[0:1], v7, off
.LBB184_466:
	s_mov_b32 s1, 0
.LBB184_467:
	s_delay_alu instid0(SALU_CYCLE_1)
	s_and_not1_b32 vcc_lo, exec_lo, s1
	s_cbranch_vccnz .LBB184_469
; %bb.468:
	v_cvt_i16_f16_e32 v7, v5
	global_store_b16 v[0:1], v7, off
.LBB184_469:
	s_mov_b32 s1, 0
.LBB184_470:
	s_delay_alu instid0(SALU_CYCLE_1)
	s_and_not1_b32 vcc_lo, exec_lo, s1
	s_cbranch_vccnz .LBB184_475
; %bb.471:
	v_cmp_lt_i16_e32 vcc_lo, 0, v6
	s_mov_b32 s1, -1
	s_cbranch_vccz .LBB184_473
; %bb.472:
	v_cvt_i16_f16_e32 v6, v5
	s_mov_b32 s1, 0
	global_store_b8 v[0:1], v6, off
.LBB184_473:
	s_and_not1_b32 vcc_lo, exec_lo, s1
	s_cbranch_vccnz .LBB184_475
; %bb.474:
	v_cvt_f32_f16_e32 v5, v5
	s_delay_alu instid0(VALU_DEP_1)
	v_cvt_i32_f32_e32 v5, v5
	global_store_b8 v[0:1], v5, off
.LBB184_475:
	s_mov_b32 s1, -1
.LBB184_476:
	s_delay_alu instid0(SALU_CYCLE_1)
	s_and_not1_b32 vcc_lo, exec_lo, s1
	s_cbranch_vccnz .LBB184_478
; %bb.477:
	v_add_nc_u32_e32 v3, 0x80, v3
	s_mov_b32 s1, -1
	s_branch .LBB184_596
.LBB184_478:
	s_mov_b32 s1, 0
	s_branch .LBB184_595
.LBB184_479:
	s_mov_b32 s14, -1
                                        ; implicit-def: $vgpr5
.LBB184_480:
	s_delay_alu instid0(SALU_CYCLE_1)
	v_mov_b32_e32 v6, s14
.LBB184_481:
	s_mov_b32 s1, 0
.LBB184_482:
	s_delay_alu instid0(SALU_CYCLE_1)
	s_and_b32 vcc_lo, exec_lo, s1
	s_cbranch_vccz .LBB184_487
; %bb.483:
	v_cmp_eq_u16_e32 vcc_lo, 29, v4
	s_cbranch_vccz .LBB184_485
; %bb.484:
	global_load_b64 v[5:6], v[0:1], off
	s_mov_b32 s0, -1
	s_mov_b32 s14, 0
	s_mov_b32 s1, 0
	s_waitcnt vmcnt(0)
	v_clz_i32_u32_e32 v7, v6
	s_delay_alu instid0(VALU_DEP_1) | instskip(NEXT) | instid1(VALU_DEP_1)
	v_min_u32_e32 v7, 32, v7
	v_lshlrev_b64 v[5:6], v7, v[5:6]
	s_delay_alu instid0(VALU_DEP_1) | instskip(NEXT) | instid1(VALU_DEP_1)
	v_min_u32_e32 v5, 1, v5
	v_or_b32_e32 v5, v6, v5
	v_sub_nc_u32_e32 v6, 32, v7
	s_delay_alu instid0(VALU_DEP_2) | instskip(NEXT) | instid1(VALU_DEP_1)
	v_cvt_f32_u32_e32 v5, v5
	v_ldexp_f32 v5, v5, v6
	s_delay_alu instid0(VALU_DEP_1)
	v_cvt_f16_f32_e32 v5, v5
	s_branch .LBB184_486
.LBB184_485:
	s_mov_b32 s14, -1
                                        ; implicit-def: $sgpr1
                                        ; implicit-def: $vgpr5
.LBB184_486:
	v_mov_b32_e32 v6, s1
.LBB184_487:
	s_mov_b32 s1, 0
.LBB184_488:
	s_delay_alu instid0(SALU_CYCLE_1)
	s_and_b32 vcc_lo, exec_lo, s1
	s_cbranch_vccz .LBB184_508
; %bb.489:
	v_cmp_gt_i16_e32 vcc_lo, 27, v4
	s_cbranch_vccnz .LBB184_492
; %bb.490:
	v_cmp_lt_i16_e32 vcc_lo, 27, v4
	s_cbranch_vccz .LBB184_493
; %bb.491:
	global_load_b32 v5, v[0:1], off
	s_mov_b32 s1, 0
	s_mov_b32 s0, 0
	s_waitcnt vmcnt(0)
	v_cvt_f32_u32_e32 v5, v5
	s_delay_alu instid0(VALU_DEP_1)
	v_cvt_f16_f32_e32 v5, v5
	s_branch .LBB184_494
.LBB184_492:
	s_mov_b32 s1, -1
                                        ; implicit-def: $sgpr0
                                        ; implicit-def: $vgpr5
	s_branch .LBB184_497
.LBB184_493:
	s_mov_b32 s1, -1
                                        ; implicit-def: $sgpr0
                                        ; implicit-def: $vgpr5
.LBB184_494:
	s_delay_alu instid0(SALU_CYCLE_1)
	s_and_not1_b32 vcc_lo, exec_lo, s1
	s_cbranch_vccnz .LBB184_496
; %bb.495:
	global_load_u16 v5, v[0:1], off
	s_mov_b32 s0, 0
	s_waitcnt vmcnt(0)
	v_cvt_f16_u16_e32 v5, v5
.LBB184_496:
	s_mov_b32 s1, 0
.LBB184_497:
	v_mov_b32_e32 v6, s0
	s_and_not1_b32 vcc_lo, exec_lo, s1
	s_cbranch_vccnz .LBB184_507
; %bb.498:
	global_load_u8 v7, v[0:1], off
	s_mov_b32 s0, 0
	s_mov_b32 s17, exec_lo
                                        ; implicit-def: $sgpr15
                                        ; implicit-def: $sgpr1
	s_waitcnt vmcnt(0)
	v_cmpx_lt_i16_e32 0x7f, v7
	s_xor_b32 s17, exec_lo, s17
	s_cbranch_execz .LBB184_502
; %bb.499:
	s_mov_b32 s0, -1
	s_mov_b32 s18, exec_lo
                                        ; implicit-def: $sgpr15
                                        ; implicit-def: $sgpr1
	v_cmpx_eq_u16_e32 0x80, v7
; %bb.500:
	s_movk_i32 s1, 0x7e00
	s_mov_b32 s15, 0
	s_xor_b32 s0, exec_lo, -1
; %bb.501:
	s_or_b32 exec_lo, exec_lo, s18
	s_delay_alu instid0(SALU_CYCLE_1)
	s_and_b32 s0, s0, exec_lo
.LBB184_502:
	s_or_saveexec_b32 s17, s17
	v_dual_mov_b32 v6, s15 :: v_dual_mov_b32 v5, s1
	s_xor_b32 exec_lo, exec_lo, s17
; %bb.503:
	v_cmp_ne_u16_e32 vcc_lo, 0, v7
	v_dual_mov_b32 v6, 0 :: v_dual_mov_b32 v5, v7
	s_and_not1_b32 s0, s0, exec_lo
	s_and_b32 s1, vcc_lo, exec_lo
	s_delay_alu instid0(SALU_CYCLE_1)
	s_or_b32 s0, s0, s1
; %bb.504:
	s_or_b32 exec_lo, exec_lo, s17
	s_and_saveexec_b32 s1, s0
	s_cbranch_execz .LBB184_506
; %bb.505:
	v_and_b32_e32 v5, 0xffff, v7
	v_lshlrev_b32_e32 v7, 24, v7
	s_delay_alu instid0(VALU_DEP_2) | instskip(NEXT) | instid1(VALU_DEP_2)
	v_and_b32_e32 v6, 7, v5
	v_and_b32_e32 v7, 0x80000000, v7
	s_delay_alu instid0(VALU_DEP_2) | instskip(NEXT) | instid1(VALU_DEP_1)
	v_clz_i32_u32_e32 v8, v6
	v_min_u32_e32 v8, 32, v8
	s_delay_alu instid0(VALU_DEP_1) | instskip(SKIP_1) | instid1(VALU_DEP_2)
	v_subrev_nc_u32_e32 v9, 28, v8
	v_sub_nc_u32_e32 v8, 29, v8
	v_lshlrev_b32_e32 v9, v9, v5
	v_bfe_u32 v5, v5, 3, 4
	s_delay_alu instid0(VALU_DEP_2) | instskip(NEXT) | instid1(VALU_DEP_2)
	v_and_b32_e32 v9, 7, v9
	v_cmp_eq_u32_e32 vcc_lo, 0, v5
	s_delay_alu instid0(VALU_DEP_2) | instskip(NEXT) | instid1(VALU_DEP_1)
	v_dual_cndmask_b32 v5, v5, v8 :: v_dual_cndmask_b32 v6, v6, v9
	v_lshl_add_u32 v5, v5, 23, 0x3b800000
	s_delay_alu instid0(VALU_DEP_2) | instskip(NEXT) | instid1(VALU_DEP_1)
	v_lshlrev_b32_e32 v6, 20, v6
	v_or3_b32 v5, v7, v5, v6
	v_mov_b32_e32 v6, 0
	s_delay_alu instid0(VALU_DEP_2)
	v_cvt_f16_f32_e32 v5, v5
.LBB184_506:
	s_or_b32 exec_lo, exec_lo, s1
.LBB184_507:
	s_mov_b32 s0, -1
.LBB184_508:
	s_mov_b32 s1, 0
.LBB184_509:
	s_delay_alu instid0(SALU_CYCLE_1)
	s_and_b32 vcc_lo, exec_lo, s1
	s_cbranch_vccz .LBB184_543
; %bb.510:
	v_cmp_lt_i16_e32 vcc_lo, 22, v4
	s_cbranch_vccz .LBB184_522
; %bb.511:
	v_cmp_gt_i16_e32 vcc_lo, 24, v4
	s_cbranch_vccnz .LBB184_523
; %bb.512:
	v_cmp_lt_i16_e32 vcc_lo, 24, v4
	s_cbranch_vccz .LBB184_524
; %bb.513:
	global_load_u8 v7, v[0:1], off
	s_mov_b32 s0, 0
	s_mov_b32 s17, exec_lo
                                        ; implicit-def: $sgpr15
                                        ; implicit-def: $sgpr1
	s_waitcnt vmcnt(0)
	v_cmpx_lt_i16_e32 0x7f, v7
	s_xor_b32 s17, exec_lo, s17
	s_cbranch_execz .LBB184_517
; %bb.514:
	s_mov_b32 s0, -1
	s_mov_b32 s18, exec_lo
                                        ; implicit-def: $sgpr15
                                        ; implicit-def: $sgpr1
	v_cmpx_eq_u16_e32 0x80, v7
; %bb.515:
	s_movk_i32 s1, 0x7e00
	s_mov_b32 s15, 0
	s_xor_b32 s0, exec_lo, -1
; %bb.516:
	s_or_b32 exec_lo, exec_lo, s18
	s_delay_alu instid0(SALU_CYCLE_1)
	s_and_b32 s0, s0, exec_lo
.LBB184_517:
	s_or_saveexec_b32 s17, s17
	v_dual_mov_b32 v6, s15 :: v_dual_mov_b32 v5, s1
	s_xor_b32 exec_lo, exec_lo, s17
; %bb.518:
	v_cmp_ne_u16_e32 vcc_lo, 0, v7
	v_dual_mov_b32 v6, 0 :: v_dual_mov_b32 v5, v7
	s_and_not1_b32 s0, s0, exec_lo
	s_and_b32 s1, vcc_lo, exec_lo
	s_delay_alu instid0(SALU_CYCLE_1)
	s_or_b32 s0, s0, s1
; %bb.519:
	s_or_b32 exec_lo, exec_lo, s17
	s_and_saveexec_b32 s1, s0
	s_cbranch_execz .LBB184_521
; %bb.520:
	v_and_b32_e32 v5, 0xffff, v7
	v_lshlrev_b32_e32 v7, 24, v7
	s_delay_alu instid0(VALU_DEP_2) | instskip(NEXT) | instid1(VALU_DEP_2)
	v_and_b32_e32 v6, 3, v5
	v_and_b32_e32 v7, 0x80000000, v7
	s_delay_alu instid0(VALU_DEP_2) | instskip(NEXT) | instid1(VALU_DEP_1)
	v_clz_i32_u32_e32 v8, v6
	v_min_u32_e32 v8, 32, v8
	s_delay_alu instid0(VALU_DEP_1) | instskip(SKIP_1) | instid1(VALU_DEP_2)
	v_subrev_nc_u32_e32 v9, 29, v8
	v_sub_nc_u32_e32 v8, 30, v8
	v_lshlrev_b32_e32 v9, v9, v5
	v_bfe_u32 v5, v5, 2, 5
	s_delay_alu instid0(VALU_DEP_2) | instskip(NEXT) | instid1(VALU_DEP_2)
	v_and_b32_e32 v9, 3, v9
	v_cmp_eq_u32_e32 vcc_lo, 0, v5
	s_delay_alu instid0(VALU_DEP_2) | instskip(NEXT) | instid1(VALU_DEP_1)
	v_dual_cndmask_b32 v5, v5, v8 :: v_dual_cndmask_b32 v6, v6, v9
	v_lshl_add_u32 v5, v5, 23, 0x37800000
	s_delay_alu instid0(VALU_DEP_2) | instskip(NEXT) | instid1(VALU_DEP_1)
	v_lshlrev_b32_e32 v6, 21, v6
	v_or3_b32 v5, v7, v5, v6
	v_mov_b32_e32 v6, 0
	s_delay_alu instid0(VALU_DEP_2)
	v_cvt_f16_f32_e32 v5, v5
.LBB184_521:
	s_or_b32 exec_lo, exec_lo, s1
	s_mov_b32 s0, 0
	s_branch .LBB184_525
.LBB184_522:
	s_mov_b32 s1, -1
                                        ; implicit-def: $vgpr6
                                        ; implicit-def: $vgpr5
	s_branch .LBB184_531
.LBB184_523:
	s_mov_b32 s0, -1
                                        ; implicit-def: $vgpr6
                                        ; implicit-def: $vgpr5
	s_branch .LBB184_528
.LBB184_524:
	s_mov_b32 s0, -1
                                        ; implicit-def: $vgpr6
                                        ; implicit-def: $vgpr5
.LBB184_525:
	s_delay_alu instid0(SALU_CYCLE_1)
	s_and_b32 vcc_lo, exec_lo, s0
	s_cbranch_vccz .LBB184_527
; %bb.526:
	global_load_u8 v5, v[0:1], off
	s_waitcnt vmcnt(0)
	v_lshlrev_b32_e32 v5, 24, v5
	s_delay_alu instid0(VALU_DEP_1) | instskip(NEXT) | instid1(VALU_DEP_1)
	v_and_b32_e32 v6, 0x7f000000, v5
	v_clz_i32_u32_e32 v7, v6
	v_add_nc_u32_e32 v9, 0x1000000, v6
	v_cmp_ne_u32_e32 vcc_lo, 0, v6
	s_delay_alu instid0(VALU_DEP_3) | instskip(NEXT) | instid1(VALU_DEP_1)
	v_min_u32_e32 v7, 32, v7
	v_sub_nc_u32_e64 v7, v7, 4 clamp
	s_delay_alu instid0(VALU_DEP_1) | instskip(SKIP_1) | instid1(VALU_DEP_2)
	v_lshlrev_b32_e32 v8, v7, v6
	v_lshlrev_b32_e32 v7, 23, v7
	v_lshrrev_b32_e32 v8, 4, v8
	s_delay_alu instid0(VALU_DEP_1) | instskip(SKIP_1) | instid1(VALU_DEP_2)
	v_sub_nc_u32_e32 v7, v8, v7
	v_ashrrev_i32_e32 v8, 8, v9
	v_add_nc_u32_e32 v7, 0x3c000000, v7
	s_delay_alu instid0(VALU_DEP_1) | instskip(NEXT) | instid1(VALU_DEP_1)
	v_and_or_b32 v7, 0x7f800000, v8, v7
	v_cndmask_b32_e32 v6, 0, v7, vcc_lo
	s_delay_alu instid0(VALU_DEP_1) | instskip(SKIP_1) | instid1(VALU_DEP_2)
	v_and_or_b32 v5, 0x80000000, v5, v6
	v_mov_b32_e32 v6, 0
	v_cvt_f16_f32_e32 v5, v5
.LBB184_527:
	s_mov_b32 s0, 0
.LBB184_528:
	s_delay_alu instid0(SALU_CYCLE_1)
	s_and_not1_b32 vcc_lo, exec_lo, s0
	s_cbranch_vccnz .LBB184_530
; %bb.529:
	global_load_u8 v5, v[0:1], off
	s_waitcnt vmcnt(0)
	v_lshlrev_b32_e32 v6, 25, v5
	v_lshlrev_b16 v5, 8, v5
	s_delay_alu instid0(VALU_DEP_2) | instskip(NEXT) | instid1(VALU_DEP_2)
	v_lshrrev_b32_e32 v7, 4, v6
	v_and_or_b32 v8, 0x7f00, v5, 0.5
	v_bfe_i32 v5, v5, 0, 16
	s_delay_alu instid0(VALU_DEP_3) | instskip(NEXT) | instid1(VALU_DEP_1)
	v_or_b32_e32 v7, 0x70000000, v7
	v_dual_add_f32 v8, -0.5, v8 :: v_dual_mul_f32 v7, 0x7800000, v7
	v_cmp_gt_u32_e32 vcc_lo, 0x8000000, v6
	s_delay_alu instid0(VALU_DEP_2) | instskip(NEXT) | instid1(VALU_DEP_1)
	v_cndmask_b32_e32 v6, v7, v8, vcc_lo
	v_and_or_b32 v5, 0x80000000, v5, v6
	v_mov_b32_e32 v6, 0
	s_delay_alu instid0(VALU_DEP_2)
	v_cvt_f16_f32_e32 v5, v5
.LBB184_530:
	s_mov_b32 s1, 0
	s_mov_b32 s0, -1
.LBB184_531:
	s_and_not1_b32 vcc_lo, exec_lo, s1
	s_cbranch_vccnz .LBB184_543
; %bb.532:
	v_cmp_lt_i16_e32 vcc_lo, 14, v4
	s_cbranch_vccz .LBB184_535
; %bb.533:
	v_cmp_eq_u16_e32 vcc_lo, 15, v4
	s_cbranch_vccz .LBB184_536
; %bb.534:
	global_load_u16 v5, v[0:1], off
	s_mov_b32 s0, -1
	s_mov_b32 s14, 0
	s_mov_b32 s1, 0
	s_waitcnt vmcnt(0)
	v_lshlrev_b32_e32 v5, 16, v5
	s_delay_alu instid0(VALU_DEP_1)
	v_cvt_f16_f32_e32 v5, v5
	s_branch .LBB184_537
.LBB184_535:
	s_mov_b32 s15, -1
                                        ; implicit-def: $sgpr1
                                        ; implicit-def: $vgpr5
	s_branch .LBB184_538
.LBB184_536:
	s_mov_b32 s14, -1
                                        ; implicit-def: $sgpr1
                                        ; implicit-def: $vgpr5
.LBB184_537:
	s_mov_b32 s15, 0
.LBB184_538:
	s_delay_alu instid0(SALU_CYCLE_1)
	s_and_b32 vcc_lo, exec_lo, s15
	s_cbranch_vccz .LBB184_542
; %bb.539:
	v_cmp_eq_u16_e32 vcc_lo, 11, v4
	s_cbranch_vccz .LBB184_541
; %bb.540:
	global_load_u8 v5, v[0:1], off
	s_mov_b32 s1, 0
	s_mov_b32 s0, -1
	s_mov_b32 s14, 0
	s_waitcnt vmcnt(0)
	v_cmp_ne_u16_e32 vcc_lo, 0, v5
	v_cndmask_b32_e64 v5, 0, 0x3c00, vcc_lo
	s_branch .LBB184_542
.LBB184_541:
	s_mov_b32 s14, -1
                                        ; implicit-def: $sgpr1
                                        ; implicit-def: $vgpr5
.LBB184_542:
	v_mov_b32_e32 v6, s1
.LBB184_543:
	s_branch .LBB184_304
.LBB184_544:
	v_cmp_gt_i16_e32 vcc_lo, 5, v4
	s_cbranch_vccnz .LBB184_549
; %bb.545:
	v_cmp_gt_i16_e32 vcc_lo, 8, v4
	s_cbranch_vccnz .LBB184_550
; %bb.546:
	;; [unrolled: 3-line block ×3, first 2 shown]
	v_cmp_lt_i16_e32 vcc_lo, 9, v4
	s_cbranch_vccz .LBB184_552
; %bb.548:
	global_load_b128 v[5:8], v[0:1], off
	s_mov_b32 s0, 0
	s_waitcnt vmcnt(0)
	v_cvt_f32_f64_e32 v5, v[5:6]
	v_cvt_f32_f64_e32 v6, v[7:8]
	s_delay_alu instid0(VALU_DEP_2) | instskip(NEXT) | instid1(VALU_DEP_2)
	v_cvt_f16_f32_e32 v5, v5
	v_cvt_f16_f32_e32 v6, v6
	s_branch .LBB184_553
.LBB184_549:
	s_mov_b32 s0, -1
                                        ; implicit-def: $vgpr6
                                        ; implicit-def: $vgpr5
	s_branch .LBB184_572
.LBB184_550:
	s_mov_b32 s0, -1
                                        ; implicit-def: $vgpr6
                                        ; implicit-def: $vgpr5
	s_branch .LBB184_559
.LBB184_551:
	s_mov_b32 s0, -1
                                        ; implicit-def: $vgpr6
                                        ; implicit-def: $vgpr5
	s_branch .LBB184_556
.LBB184_552:
	s_mov_b32 s0, -1
                                        ; implicit-def: $vgpr6
                                        ; implicit-def: $vgpr5
.LBB184_553:
	s_delay_alu instid0(SALU_CYCLE_1)
	s_and_not1_b32 vcc_lo, exec_lo, s0
	s_cbranch_vccnz .LBB184_555
; %bb.554:
	global_load_b64 v[5:6], v[0:1], off
	s_waitcnt vmcnt(0)
	v_cvt_f16_f32_e32 v5, v5
	v_cvt_f16_f32_e32 v6, v6
.LBB184_555:
	s_mov_b32 s0, 0
.LBB184_556:
	s_delay_alu instid0(SALU_CYCLE_1)
	s_and_not1_b32 vcc_lo, exec_lo, s0
	s_cbranch_vccnz .LBB184_558
; %bb.557:
	global_load_b32 v5, v[0:1], off
	s_waitcnt vmcnt(0)
	v_lshrrev_b32_e32 v6, 16, v5
.LBB184_558:
	s_mov_b32 s0, 0
.LBB184_559:
	s_delay_alu instid0(SALU_CYCLE_1)
	s_and_not1_b32 vcc_lo, exec_lo, s0
	s_cbranch_vccnz .LBB184_571
; %bb.560:
	v_cmp_gt_i16_e32 vcc_lo, 6, v4
	s_cbranch_vccnz .LBB184_563
; %bb.561:
	v_cmp_lt_i16_e32 vcc_lo, 6, v4
	s_cbranch_vccz .LBB184_564
; %bb.562:
	global_load_b64 v[5:6], v[0:1], off
	s_mov_b32 s1, 0
	s_mov_b32 s0, 0
	s_waitcnt vmcnt(0)
	v_cvt_f32_f64_e32 v5, v[5:6]
	s_delay_alu instid0(VALU_DEP_1)
	v_cvt_f16_f32_e32 v5, v5
	s_branch .LBB184_565
.LBB184_563:
	s_mov_b32 s1, -1
                                        ; implicit-def: $sgpr0
                                        ; implicit-def: $vgpr5
	s_branch .LBB184_568
.LBB184_564:
	s_mov_b32 s1, -1
                                        ; implicit-def: $sgpr0
                                        ; implicit-def: $vgpr5
.LBB184_565:
	s_delay_alu instid0(SALU_CYCLE_1)
	s_and_not1_b32 vcc_lo, exec_lo, s1
	s_cbranch_vccnz .LBB184_567
; %bb.566:
	global_load_b32 v5, v[0:1], off
	s_mov_b32 s0, 0
	s_waitcnt vmcnt(0)
	v_cvt_f16_f32_e32 v5, v5
.LBB184_567:
	s_mov_b32 s1, 0
.LBB184_568:
	s_delay_alu instid0(SALU_CYCLE_1)
	s_and_not1_b32 vcc_lo, exec_lo, s1
	s_cbranch_vccnz .LBB184_570
; %bb.569:
	global_load_u16 v5, v[0:1], off
	s_mov_b32 s0, 0
.LBB184_570:
	s_delay_alu instid0(SALU_CYCLE_1)
	v_mov_b32_e32 v6, s0
.LBB184_571:
	s_mov_b32 s0, 0
.LBB184_572:
	s_delay_alu instid0(SALU_CYCLE_1)
	s_and_not1_b32 vcc_lo, exec_lo, s0
	s_cbranch_vccnz .LBB184_593
; %bb.573:
	v_cmp_gt_i16_e32 vcc_lo, 2, v4
	s_cbranch_vccnz .LBB184_577
; %bb.574:
	v_cmp_gt_i16_e32 vcc_lo, 3, v4
	s_cbranch_vccnz .LBB184_578
; %bb.575:
	v_cmp_lt_i16_e32 vcc_lo, 3, v4
	s_cbranch_vccz .LBB184_579
; %bb.576:
	global_load_b64 v[5:6], v[0:1], off
	s_mov_b32 s1, 0
	s_mov_b32 s0, 0
	s_waitcnt vmcnt(0)
	v_xor_b32_e32 v7, v5, v6
	v_cls_i32_e32 v8, v6
	s_delay_alu instid0(VALU_DEP_2) | instskip(NEXT) | instid1(VALU_DEP_2)
	v_ashrrev_i32_e32 v7, 31, v7
	v_add_nc_u32_e32 v8, -1, v8
	s_delay_alu instid0(VALU_DEP_2) | instskip(NEXT) | instid1(VALU_DEP_1)
	v_add_nc_u32_e32 v7, 32, v7
	v_min_u32_e32 v7, v8, v7
	s_delay_alu instid0(VALU_DEP_1) | instskip(NEXT) | instid1(VALU_DEP_1)
	v_lshlrev_b64 v[5:6], v7, v[5:6]
	v_min_u32_e32 v5, 1, v5
	s_delay_alu instid0(VALU_DEP_1) | instskip(SKIP_1) | instid1(VALU_DEP_2)
	v_or_b32_e32 v5, v6, v5
	v_sub_nc_u32_e32 v6, 32, v7
	v_cvt_f32_i32_e32 v5, v5
	s_delay_alu instid0(VALU_DEP_1) | instskip(NEXT) | instid1(VALU_DEP_1)
	v_ldexp_f32 v5, v5, v6
	v_cvt_f16_f32_e32 v5, v5
	s_branch .LBB184_580
.LBB184_577:
	s_mov_b32 s1, -1
                                        ; implicit-def: $sgpr0
                                        ; implicit-def: $vgpr5
	s_branch .LBB184_586
.LBB184_578:
	s_mov_b32 s1, -1
                                        ; implicit-def: $sgpr0
                                        ; implicit-def: $vgpr5
	s_branch .LBB184_583
.LBB184_579:
	s_mov_b32 s1, -1
                                        ; implicit-def: $sgpr0
                                        ; implicit-def: $vgpr5
.LBB184_580:
	s_delay_alu instid0(SALU_CYCLE_1)
	s_and_not1_b32 vcc_lo, exec_lo, s1
	s_cbranch_vccnz .LBB184_582
; %bb.581:
	global_load_b32 v5, v[0:1], off
	s_mov_b32 s0, 0
	s_waitcnt vmcnt(0)
	v_cvt_f32_i32_e32 v5, v5
	s_delay_alu instid0(VALU_DEP_1)
	v_cvt_f16_f32_e32 v5, v5
.LBB184_582:
	s_mov_b32 s1, 0
.LBB184_583:
	s_delay_alu instid0(SALU_CYCLE_1)
	s_and_not1_b32 vcc_lo, exec_lo, s1
	s_cbranch_vccnz .LBB184_585
; %bb.584:
	global_load_u16 v5, v[0:1], off
	s_mov_b32 s0, 0
	s_waitcnt vmcnt(0)
	v_cvt_f16_i16_e32 v5, v5
.LBB184_585:
	s_mov_b32 s1, 0
.LBB184_586:
	s_delay_alu instid0(SALU_CYCLE_1)
	s_and_not1_b32 vcc_lo, exec_lo, s1
	s_cbranch_vccnz .LBB184_592
; %bb.587:
	v_cmp_lt_i16_e32 vcc_lo, 0, v4
	s_mov_b32 s1, 0
	s_cbranch_vccz .LBB184_589
; %bb.588:
	global_load_i8 v5, v[0:1], off
	s_mov_b32 s0, 0
	s_waitcnt vmcnt(0)
	v_cvt_f16_i16_e32 v5, v5
	s_branch .LBB184_590
.LBB184_589:
	s_mov_b32 s1, -1
                                        ; implicit-def: $sgpr0
                                        ; implicit-def: $vgpr5
.LBB184_590:
	s_delay_alu instid0(SALU_CYCLE_1)
	s_and_not1_b32 vcc_lo, exec_lo, s1
	s_cbranch_vccnz .LBB184_592
; %bb.591:
	global_load_u8 v0, v[0:1], off
	s_mov_b32 s0, 0
	s_waitcnt vmcnt(0)
	v_cvt_f16_u16_e32 v5, v0
.LBB184_592:
	v_mov_b32_e32 v6, s0
.LBB184_593:
	s_branch .LBB184_305
.LBB184_594:
	s_mov_b32 s1, 0
	s_mov_b32 s0, s10
.LBB184_595:
                                        ; implicit-def: $vgpr3
.LBB184_596:
	s_and_not1_b32 s15, s10, exec_lo
	s_and_b32 s0, s0, exec_lo
	s_and_not1_b32 s17, s12, exec_lo
	s_and_b32 s14, s14, exec_lo
	s_or_b32 s15, s15, s0
	s_or_b32 s14, s17, s14
	s_or_not1_b32 s18, s1, exec_lo
.LBB184_597:
	s_or_b32 exec_lo, exec_lo, s16
	s_mov_b32 s1, 0
	s_mov_b32 s17, 0
	;; [unrolled: 1-line block ×3, first 2 shown]
                                        ; implicit-def: $vgpr0_vgpr1
                                        ; implicit-def: $vgpr8
                                        ; implicit-def: $vgpr6
	s_and_saveexec_b32 s16, s18
	s_cbranch_execz .LBB184_990
; %bb.598:
	s_mov_b32 s0, -1
	s_mov_b32 s1, s14
	s_mov_b32 s18, s15
	s_mov_b32 s17, exec_lo
	v_cmpx_gt_i32_e64 s11, v3
	s_cbranch_execz .LBB184_901
; %bb.599:
	v_mul_lo_u32 v0, v3, s3
	v_cmp_gt_i16_e32 vcc_lo, 11, v4
	s_delay_alu instid0(VALU_DEP_2) | instskip(SKIP_1) | instid1(VALU_DEP_1)
	v_ashrrev_i32_e32 v1, 31, v0
	v_add_co_u32 v0, s0, s6, v0
	v_add_co_ci_u32_e64 v1, s0, s7, v1, s0
	s_cbranch_vccnz .LBB184_606
; %bb.600:
	v_cmp_lt_i16_e32 vcc_lo, 25, v4
	s_cbranch_vccz .LBB184_607
; %bb.601:
	v_cmp_lt_i16_e32 vcc_lo, 28, v4
	s_cbranch_vccz .LBB184_608
	;; [unrolled: 3-line block ×4, first 2 shown]
; %bb.604:
	v_cmp_eq_u16_e32 vcc_lo, 46, v4
	s_mov_b32 s1, 0
	s_cbranch_vccz .LBB184_615
; %bb.605:
	global_load_b32 v5, v[0:1], off
	s_mov_b32 s0, -1
	s_mov_b32 s18, 0
	s_waitcnt vmcnt(0)
	v_lshlrev_b32_e32 v6, 16, v5
	v_and_b32_e32 v7, 0xffff0000, v5
	s_delay_alu instid0(VALU_DEP_2) | instskip(NEXT) | instid1(VALU_DEP_2)
	v_cvt_f16_f32_e32 v5, v6
	v_cvt_f16_f32_e32 v6, v7
	s_branch .LBB184_617
.LBB184_606:
	s_mov_b32 s1, -1
	s_mov_b32 s0, 0
	s_mov_b32 s18, s14
                                        ; implicit-def: $vgpr6
                                        ; implicit-def: $vgpr5
	s_branch .LBB184_685
.LBB184_607:
	s_mov_b32 s1, -1
	s_mov_b32 s0, 0
	s_mov_b32 s18, s14
                                        ; implicit-def: $vgpr6
                                        ; implicit-def: $vgpr5
	s_branch .LBB184_650
.LBB184_608:
	s_mov_b32 s1, -1
	s_mov_b32 s0, 0
	s_mov_b32 s18, s14
                                        ; implicit-def: $vgpr6
                                        ; implicit-def: $vgpr5
	s_branch .LBB184_629
.LBB184_609:
	s_mov_b32 s1, -1
	s_mov_b32 s0, 0
	s_mov_b32 s18, s14
                                        ; implicit-def: $vgpr6
                                        ; implicit-def: $vgpr5
	s_branch .LBB184_623
.LBB184_610:
	s_or_saveexec_b32 s17, s17
                                        ; implicit-def: $sgpr18
	s_delay_alu instid0(SALU_CYCLE_1)
	s_xor_b32 exec_lo, exec_lo, s17
	s_cbranch_execz .LBB184_389
.LBB184_611:
	v_add_f32_e64 v10, 0x46000000, |v9|
	s_and_not1_b32 s15, s15, exec_lo
	s_mov_b32 s18, 0
	s_delay_alu instid0(VALU_DEP_1) | instskip(NEXT) | instid1(VALU_DEP_1)
	v_and_b32_e32 v10, 0xff, v10
	v_cmp_ne_u32_e32 vcc_lo, 0, v10
	s_and_b32 s19, vcc_lo, exec_lo
	s_delay_alu instid0(SALU_CYCLE_1)
	s_or_b32 s15, s15, s19
	s_or_b32 exec_lo, exec_lo, s17
	v_mov_b32_e32 v11, s18
	s_and_saveexec_b32 s17, s15
	s_cbranch_execnz .LBB184_390
	s_branch .LBB184_391
.LBB184_612:
	s_mov_b32 s1, -1
	s_mov_b32 s0, 0
	s_mov_b32 s18, s14
	s_branch .LBB184_616
.LBB184_613:
	s_or_saveexec_b32 s17, s17
                                        ; implicit-def: $sgpr18
	s_delay_alu instid0(SALU_CYCLE_1)
	s_xor_b32 exec_lo, exec_lo, s17
	s_cbranch_execz .LBB184_402
.LBB184_614:
	v_add_f32_e64 v10, 0x42800000, |v9|
	s_and_not1_b32 s15, s15, exec_lo
	s_mov_b32 s18, 0
	s_delay_alu instid0(VALU_DEP_1) | instskip(NEXT) | instid1(VALU_DEP_1)
	v_and_b32_e32 v10, 0xff, v10
	v_cmp_ne_u32_e32 vcc_lo, 0, v10
	s_and_b32 s19, vcc_lo, exec_lo
	s_delay_alu instid0(SALU_CYCLE_1)
	s_or_b32 s15, s15, s19
	s_or_b32 exec_lo, exec_lo, s17
	v_mov_b32_e32 v11, s18
	s_and_saveexec_b32 s17, s15
	s_cbranch_execnz .LBB184_403
	s_branch .LBB184_404
.LBB184_615:
	s_mov_b32 s18, -1
	s_mov_b32 s0, 0
.LBB184_616:
                                        ; implicit-def: $vgpr6
                                        ; implicit-def: $vgpr5
.LBB184_617:
	s_and_b32 vcc_lo, exec_lo, s1
	s_cbranch_vccz .LBB184_622
; %bb.618:
	v_cmp_eq_u16_e32 vcc_lo, 44, v4
	s_cbranch_vccz .LBB184_620
; %bb.619:
	global_load_u8 v5, v[0:1], off
	s_mov_b32 s18, 0
	s_mov_b32 s0, -1
	s_waitcnt vmcnt(0)
	v_lshlrev_b32_e32 v6, 23, v5
	v_cmp_ne_u32_e32 vcc_lo, 0xff, v5
	s_delay_alu instid0(VALU_DEP_2) | instskip(NEXT) | instid1(VALU_DEP_1)
	v_cvt_f16_f32_e32 v6, v6
	v_cndmask_b32_e32 v6, 0x7e00, v6, vcc_lo
	v_cmp_ne_u32_e32 vcc_lo, 0, v5
	s_delay_alu instid0(VALU_DEP_2)
	v_cndmask_b32_e32 v5, 0, v6, vcc_lo
	s_branch .LBB184_621
.LBB184_620:
	s_mov_b32 s18, -1
                                        ; implicit-def: $vgpr5
.LBB184_621:
	s_delay_alu instid0(SALU_CYCLE_1)
	v_mov_b32_e32 v6, s18
.LBB184_622:
	s_mov_b32 s1, 0
.LBB184_623:
	s_delay_alu instid0(SALU_CYCLE_1)
	s_and_b32 vcc_lo, exec_lo, s1
	s_cbranch_vccz .LBB184_628
; %bb.624:
	v_cmp_eq_u16_e32 vcc_lo, 29, v4
	s_cbranch_vccz .LBB184_626
; %bb.625:
	global_load_b64 v[5:6], v[0:1], off
	s_mov_b32 s0, -1
	s_mov_b32 s18, 0
	s_mov_b32 s1, 0
	s_waitcnt vmcnt(0)
	v_clz_i32_u32_e32 v7, v6
	s_delay_alu instid0(VALU_DEP_1) | instskip(NEXT) | instid1(VALU_DEP_1)
	v_min_u32_e32 v7, 32, v7
	v_lshlrev_b64 v[5:6], v7, v[5:6]
	s_delay_alu instid0(VALU_DEP_1) | instskip(NEXT) | instid1(VALU_DEP_1)
	v_min_u32_e32 v5, 1, v5
	v_or_b32_e32 v5, v6, v5
	v_sub_nc_u32_e32 v6, 32, v7
	s_delay_alu instid0(VALU_DEP_2) | instskip(NEXT) | instid1(VALU_DEP_1)
	v_cvt_f32_u32_e32 v5, v5
	v_ldexp_f32 v5, v5, v6
	s_delay_alu instid0(VALU_DEP_1)
	v_cvt_f16_f32_e32 v5, v5
	s_branch .LBB184_627
.LBB184_626:
	s_mov_b32 s18, -1
                                        ; implicit-def: $sgpr1
                                        ; implicit-def: $vgpr5
.LBB184_627:
	v_mov_b32_e32 v6, s1
.LBB184_628:
	s_mov_b32 s1, 0
.LBB184_629:
	s_delay_alu instid0(SALU_CYCLE_1)
	s_and_b32 vcc_lo, exec_lo, s1
	s_cbranch_vccz .LBB184_649
; %bb.630:
	v_cmp_gt_i16_e32 vcc_lo, 27, v4
	s_cbranch_vccnz .LBB184_633
; %bb.631:
	v_cmp_lt_i16_e32 vcc_lo, 27, v4
	s_cbranch_vccz .LBB184_634
; %bb.632:
	global_load_b32 v5, v[0:1], off
	s_mov_b32 s1, 0
	s_mov_b32 s0, 0
	s_waitcnt vmcnt(0)
	v_cvt_f32_u32_e32 v5, v5
	s_delay_alu instid0(VALU_DEP_1)
	v_cvt_f16_f32_e32 v5, v5
	s_branch .LBB184_635
.LBB184_633:
	s_mov_b32 s1, -1
                                        ; implicit-def: $sgpr0
                                        ; implicit-def: $vgpr5
	s_branch .LBB184_638
.LBB184_634:
	s_mov_b32 s1, -1
                                        ; implicit-def: $sgpr0
                                        ; implicit-def: $vgpr5
.LBB184_635:
	s_delay_alu instid0(SALU_CYCLE_1)
	s_and_not1_b32 vcc_lo, exec_lo, s1
	s_cbranch_vccnz .LBB184_637
; %bb.636:
	global_load_u16 v5, v[0:1], off
	s_mov_b32 s0, 0
	s_waitcnt vmcnt(0)
	v_cvt_f16_u16_e32 v5, v5
.LBB184_637:
	s_mov_b32 s1, 0
.LBB184_638:
	v_mov_b32_e32 v6, s0
	s_and_not1_b32 vcc_lo, exec_lo, s1
	s_cbranch_vccnz .LBB184_648
; %bb.639:
	global_load_u8 v7, v[0:1], off
	s_mov_b32 s0, 0
	s_mov_b32 s20, exec_lo
                                        ; implicit-def: $sgpr19
                                        ; implicit-def: $sgpr1
	s_waitcnt vmcnt(0)
	v_cmpx_lt_i16_e32 0x7f, v7
	s_xor_b32 s20, exec_lo, s20
	s_cbranch_execz .LBB184_643
; %bb.640:
	s_mov_b32 s0, -1
	s_mov_b32 s21, exec_lo
                                        ; implicit-def: $sgpr19
                                        ; implicit-def: $sgpr1
	v_cmpx_eq_u16_e32 0x80, v7
; %bb.641:
	s_movk_i32 s1, 0x7e00
	s_mov_b32 s19, 0
	s_xor_b32 s0, exec_lo, -1
; %bb.642:
	s_or_b32 exec_lo, exec_lo, s21
	s_delay_alu instid0(SALU_CYCLE_1)
	s_and_b32 s0, s0, exec_lo
.LBB184_643:
	s_or_saveexec_b32 s20, s20
	v_dual_mov_b32 v6, s19 :: v_dual_mov_b32 v5, s1
	s_xor_b32 exec_lo, exec_lo, s20
; %bb.644:
	v_cmp_ne_u16_e32 vcc_lo, 0, v7
	v_dual_mov_b32 v6, 0 :: v_dual_mov_b32 v5, v7
	s_and_not1_b32 s0, s0, exec_lo
	s_and_b32 s1, vcc_lo, exec_lo
	s_delay_alu instid0(SALU_CYCLE_1)
	s_or_b32 s0, s0, s1
; %bb.645:
	s_or_b32 exec_lo, exec_lo, s20
	s_and_saveexec_b32 s1, s0
	s_cbranch_execz .LBB184_647
; %bb.646:
	v_and_b32_e32 v5, 0xffff, v7
	v_lshlrev_b32_e32 v7, 24, v7
	s_delay_alu instid0(VALU_DEP_2) | instskip(NEXT) | instid1(VALU_DEP_2)
	v_and_b32_e32 v6, 7, v5
	v_and_b32_e32 v7, 0x80000000, v7
	s_delay_alu instid0(VALU_DEP_2) | instskip(NEXT) | instid1(VALU_DEP_1)
	v_clz_i32_u32_e32 v8, v6
	v_min_u32_e32 v8, 32, v8
	s_delay_alu instid0(VALU_DEP_1) | instskip(SKIP_1) | instid1(VALU_DEP_2)
	v_subrev_nc_u32_e32 v9, 28, v8
	v_sub_nc_u32_e32 v8, 29, v8
	v_lshlrev_b32_e32 v9, v9, v5
	v_bfe_u32 v5, v5, 3, 4
	s_delay_alu instid0(VALU_DEP_2) | instskip(NEXT) | instid1(VALU_DEP_2)
	v_and_b32_e32 v9, 7, v9
	v_cmp_eq_u32_e32 vcc_lo, 0, v5
	s_delay_alu instid0(VALU_DEP_2) | instskip(NEXT) | instid1(VALU_DEP_1)
	v_dual_cndmask_b32 v5, v5, v8 :: v_dual_cndmask_b32 v6, v6, v9
	v_lshl_add_u32 v5, v5, 23, 0x3b800000
	s_delay_alu instid0(VALU_DEP_2) | instskip(NEXT) | instid1(VALU_DEP_1)
	v_lshlrev_b32_e32 v6, 20, v6
	v_or3_b32 v5, v7, v5, v6
	v_mov_b32_e32 v6, 0
	s_delay_alu instid0(VALU_DEP_2)
	v_cvt_f16_f32_e32 v5, v5
.LBB184_647:
	s_or_b32 exec_lo, exec_lo, s1
.LBB184_648:
	s_mov_b32 s0, -1
.LBB184_649:
	s_mov_b32 s1, 0
.LBB184_650:
	s_delay_alu instid0(SALU_CYCLE_1)
	s_and_b32 vcc_lo, exec_lo, s1
	s_cbranch_vccz .LBB184_684
; %bb.651:
	v_cmp_lt_i16_e32 vcc_lo, 22, v4
	s_cbranch_vccz .LBB184_663
; %bb.652:
	v_cmp_gt_i16_e32 vcc_lo, 24, v4
	s_cbranch_vccnz .LBB184_664
; %bb.653:
	v_cmp_lt_i16_e32 vcc_lo, 24, v4
	s_cbranch_vccz .LBB184_665
; %bb.654:
	global_load_u8 v7, v[0:1], off
	s_mov_b32 s0, 0
	s_mov_b32 s20, exec_lo
                                        ; implicit-def: $sgpr19
                                        ; implicit-def: $sgpr1
	s_waitcnt vmcnt(0)
	v_cmpx_lt_i16_e32 0x7f, v7
	s_xor_b32 s20, exec_lo, s20
	s_cbranch_execz .LBB184_658
; %bb.655:
	s_mov_b32 s0, -1
	s_mov_b32 s21, exec_lo
                                        ; implicit-def: $sgpr19
                                        ; implicit-def: $sgpr1
	v_cmpx_eq_u16_e32 0x80, v7
; %bb.656:
	s_movk_i32 s1, 0x7e00
	s_mov_b32 s19, 0
	s_xor_b32 s0, exec_lo, -1
; %bb.657:
	s_or_b32 exec_lo, exec_lo, s21
	s_delay_alu instid0(SALU_CYCLE_1)
	s_and_b32 s0, s0, exec_lo
.LBB184_658:
	s_or_saveexec_b32 s20, s20
	v_dual_mov_b32 v6, s19 :: v_dual_mov_b32 v5, s1
	s_xor_b32 exec_lo, exec_lo, s20
; %bb.659:
	v_cmp_ne_u16_e32 vcc_lo, 0, v7
	v_dual_mov_b32 v6, 0 :: v_dual_mov_b32 v5, v7
	s_and_not1_b32 s0, s0, exec_lo
	s_and_b32 s1, vcc_lo, exec_lo
	s_delay_alu instid0(SALU_CYCLE_1)
	s_or_b32 s0, s0, s1
; %bb.660:
	s_or_b32 exec_lo, exec_lo, s20
	s_and_saveexec_b32 s1, s0
	s_cbranch_execz .LBB184_662
; %bb.661:
	v_and_b32_e32 v5, 0xffff, v7
	v_lshlrev_b32_e32 v7, 24, v7
	s_delay_alu instid0(VALU_DEP_2) | instskip(NEXT) | instid1(VALU_DEP_2)
	v_and_b32_e32 v6, 3, v5
	v_and_b32_e32 v7, 0x80000000, v7
	s_delay_alu instid0(VALU_DEP_2) | instskip(NEXT) | instid1(VALU_DEP_1)
	v_clz_i32_u32_e32 v8, v6
	v_min_u32_e32 v8, 32, v8
	s_delay_alu instid0(VALU_DEP_1) | instskip(SKIP_1) | instid1(VALU_DEP_2)
	v_subrev_nc_u32_e32 v9, 29, v8
	v_sub_nc_u32_e32 v8, 30, v8
	v_lshlrev_b32_e32 v9, v9, v5
	v_bfe_u32 v5, v5, 2, 5
	s_delay_alu instid0(VALU_DEP_2) | instskip(NEXT) | instid1(VALU_DEP_2)
	v_and_b32_e32 v9, 3, v9
	v_cmp_eq_u32_e32 vcc_lo, 0, v5
	s_delay_alu instid0(VALU_DEP_2) | instskip(NEXT) | instid1(VALU_DEP_1)
	v_dual_cndmask_b32 v5, v5, v8 :: v_dual_cndmask_b32 v6, v6, v9
	v_lshl_add_u32 v5, v5, 23, 0x37800000
	s_delay_alu instid0(VALU_DEP_2) | instskip(NEXT) | instid1(VALU_DEP_1)
	v_lshlrev_b32_e32 v6, 21, v6
	v_or3_b32 v5, v7, v5, v6
	v_mov_b32_e32 v6, 0
	s_delay_alu instid0(VALU_DEP_2)
	v_cvt_f16_f32_e32 v5, v5
.LBB184_662:
	s_or_b32 exec_lo, exec_lo, s1
	s_mov_b32 s0, 0
	s_branch .LBB184_666
.LBB184_663:
	s_mov_b32 s1, -1
                                        ; implicit-def: $vgpr6
                                        ; implicit-def: $vgpr5
	s_branch .LBB184_672
.LBB184_664:
	s_mov_b32 s0, -1
                                        ; implicit-def: $vgpr6
                                        ; implicit-def: $vgpr5
	s_branch .LBB184_669
.LBB184_665:
	s_mov_b32 s0, -1
                                        ; implicit-def: $vgpr6
                                        ; implicit-def: $vgpr5
.LBB184_666:
	s_delay_alu instid0(SALU_CYCLE_1)
	s_and_b32 vcc_lo, exec_lo, s0
	s_cbranch_vccz .LBB184_668
; %bb.667:
	global_load_u8 v5, v[0:1], off
	s_waitcnt vmcnt(0)
	v_lshlrev_b32_e32 v5, 24, v5
	s_delay_alu instid0(VALU_DEP_1) | instskip(NEXT) | instid1(VALU_DEP_1)
	v_and_b32_e32 v6, 0x7f000000, v5
	v_clz_i32_u32_e32 v7, v6
	v_add_nc_u32_e32 v9, 0x1000000, v6
	v_cmp_ne_u32_e32 vcc_lo, 0, v6
	s_delay_alu instid0(VALU_DEP_3) | instskip(NEXT) | instid1(VALU_DEP_1)
	v_min_u32_e32 v7, 32, v7
	v_sub_nc_u32_e64 v7, v7, 4 clamp
	s_delay_alu instid0(VALU_DEP_1) | instskip(SKIP_1) | instid1(VALU_DEP_2)
	v_lshlrev_b32_e32 v8, v7, v6
	v_lshlrev_b32_e32 v7, 23, v7
	v_lshrrev_b32_e32 v8, 4, v8
	s_delay_alu instid0(VALU_DEP_1) | instskip(SKIP_1) | instid1(VALU_DEP_2)
	v_sub_nc_u32_e32 v7, v8, v7
	v_ashrrev_i32_e32 v8, 8, v9
	v_add_nc_u32_e32 v7, 0x3c000000, v7
	s_delay_alu instid0(VALU_DEP_1) | instskip(NEXT) | instid1(VALU_DEP_1)
	v_and_or_b32 v7, 0x7f800000, v8, v7
	v_cndmask_b32_e32 v6, 0, v7, vcc_lo
	s_delay_alu instid0(VALU_DEP_1) | instskip(SKIP_1) | instid1(VALU_DEP_2)
	v_and_or_b32 v5, 0x80000000, v5, v6
	v_mov_b32_e32 v6, 0
	v_cvt_f16_f32_e32 v5, v5
.LBB184_668:
	s_mov_b32 s0, 0
.LBB184_669:
	s_delay_alu instid0(SALU_CYCLE_1)
	s_and_not1_b32 vcc_lo, exec_lo, s0
	s_cbranch_vccnz .LBB184_671
; %bb.670:
	global_load_u8 v5, v[0:1], off
	s_waitcnt vmcnt(0)
	v_lshlrev_b32_e32 v6, 25, v5
	v_lshlrev_b16 v5, 8, v5
	s_delay_alu instid0(VALU_DEP_2) | instskip(NEXT) | instid1(VALU_DEP_2)
	v_lshrrev_b32_e32 v7, 4, v6
	v_and_or_b32 v8, 0x7f00, v5, 0.5
	v_bfe_i32 v5, v5, 0, 16
	s_delay_alu instid0(VALU_DEP_3) | instskip(NEXT) | instid1(VALU_DEP_1)
	v_or_b32_e32 v7, 0x70000000, v7
	v_dual_add_f32 v8, -0.5, v8 :: v_dual_mul_f32 v7, 0x7800000, v7
	v_cmp_gt_u32_e32 vcc_lo, 0x8000000, v6
	s_delay_alu instid0(VALU_DEP_2) | instskip(NEXT) | instid1(VALU_DEP_1)
	v_cndmask_b32_e32 v6, v7, v8, vcc_lo
	v_and_or_b32 v5, 0x80000000, v5, v6
	v_mov_b32_e32 v6, 0
	s_delay_alu instid0(VALU_DEP_2)
	v_cvt_f16_f32_e32 v5, v5
.LBB184_671:
	s_mov_b32 s1, 0
	s_mov_b32 s0, -1
.LBB184_672:
	s_and_not1_b32 vcc_lo, exec_lo, s1
	s_cbranch_vccnz .LBB184_684
; %bb.673:
	v_cmp_lt_i16_e32 vcc_lo, 14, v4
	s_cbranch_vccz .LBB184_676
; %bb.674:
	v_cmp_eq_u16_e32 vcc_lo, 15, v4
	s_cbranch_vccz .LBB184_677
; %bb.675:
	global_load_u16 v5, v[0:1], off
	s_mov_b32 s0, -1
	s_mov_b32 s18, 0
	s_mov_b32 s1, 0
	s_waitcnt vmcnt(0)
	v_lshlrev_b32_e32 v5, 16, v5
	s_delay_alu instid0(VALU_DEP_1)
	v_cvt_f16_f32_e32 v5, v5
	s_branch .LBB184_678
.LBB184_676:
	s_mov_b32 s19, -1
                                        ; implicit-def: $sgpr1
                                        ; implicit-def: $vgpr5
	s_branch .LBB184_679
.LBB184_677:
	s_mov_b32 s18, -1
                                        ; implicit-def: $sgpr1
                                        ; implicit-def: $vgpr5
.LBB184_678:
	s_mov_b32 s19, 0
.LBB184_679:
	s_delay_alu instid0(SALU_CYCLE_1)
	s_and_b32 vcc_lo, exec_lo, s19
	s_cbranch_vccz .LBB184_683
; %bb.680:
	v_cmp_eq_u16_e32 vcc_lo, 11, v4
	s_cbranch_vccz .LBB184_682
; %bb.681:
	global_load_u8 v5, v[0:1], off
	s_mov_b32 s1, 0
	s_mov_b32 s0, -1
	s_mov_b32 s18, 0
	s_waitcnt vmcnt(0)
	v_cmp_ne_u16_e32 vcc_lo, 0, v5
	v_cndmask_b32_e64 v5, 0, 0x3c00, vcc_lo
	s_branch .LBB184_683
.LBB184_682:
	s_mov_b32 s18, -1
                                        ; implicit-def: $sgpr1
                                        ; implicit-def: $vgpr5
.LBB184_683:
	v_mov_b32_e32 v6, s1
.LBB184_684:
	s_mov_b32 s1, 0
.LBB184_685:
	s_delay_alu instid0(SALU_CYCLE_1)
	s_and_b32 vcc_lo, exec_lo, s1
	s_cbranch_vccz .LBB184_736
; %bb.686:
	v_cmp_gt_i16_e32 vcc_lo, 5, v4
	s_cbranch_vccnz .LBB184_691
; %bb.687:
	v_cmp_gt_i16_e32 vcc_lo, 8, v4
	s_cbranch_vccnz .LBB184_692
	;; [unrolled: 3-line block ×3, first 2 shown]
; %bb.689:
	v_cmp_lt_i16_e32 vcc_lo, 9, v4
	s_cbranch_vccz .LBB184_694
; %bb.690:
	global_load_b128 v[5:8], v[0:1], off
	s_mov_b32 s0, 0
	s_waitcnt vmcnt(0)
	v_cvt_f32_f64_e32 v5, v[5:6]
	v_cvt_f32_f64_e32 v6, v[7:8]
	s_delay_alu instid0(VALU_DEP_2) | instskip(NEXT) | instid1(VALU_DEP_2)
	v_cvt_f16_f32_e32 v5, v5
	v_cvt_f16_f32_e32 v6, v6
	s_branch .LBB184_695
.LBB184_691:
	s_mov_b32 s0, -1
                                        ; implicit-def: $vgpr6
                                        ; implicit-def: $vgpr5
	s_branch .LBB184_714
.LBB184_692:
	s_mov_b32 s0, -1
                                        ; implicit-def: $vgpr6
                                        ; implicit-def: $vgpr5
	s_branch .LBB184_701
.LBB184_693:
	s_mov_b32 s0, -1
                                        ; implicit-def: $vgpr6
                                        ; implicit-def: $vgpr5
	s_branch .LBB184_698
.LBB184_694:
	s_mov_b32 s0, -1
                                        ; implicit-def: $vgpr6
                                        ; implicit-def: $vgpr5
.LBB184_695:
	s_delay_alu instid0(SALU_CYCLE_1)
	s_and_not1_b32 vcc_lo, exec_lo, s0
	s_cbranch_vccnz .LBB184_697
; %bb.696:
	global_load_b64 v[5:6], v[0:1], off
	s_waitcnt vmcnt(0)
	v_cvt_f16_f32_e32 v5, v5
	v_cvt_f16_f32_e32 v6, v6
.LBB184_697:
	s_mov_b32 s0, 0
.LBB184_698:
	s_delay_alu instid0(SALU_CYCLE_1)
	s_and_not1_b32 vcc_lo, exec_lo, s0
	s_cbranch_vccnz .LBB184_700
; %bb.699:
	global_load_b32 v5, v[0:1], off
	s_waitcnt vmcnt(0)
	v_lshrrev_b32_e32 v6, 16, v5
.LBB184_700:
	s_mov_b32 s0, 0
.LBB184_701:
	s_delay_alu instid0(SALU_CYCLE_1)
	s_and_not1_b32 vcc_lo, exec_lo, s0
	s_cbranch_vccnz .LBB184_713
; %bb.702:
	v_cmp_gt_i16_e32 vcc_lo, 6, v4
	s_cbranch_vccnz .LBB184_705
; %bb.703:
	v_cmp_lt_i16_e32 vcc_lo, 6, v4
	s_cbranch_vccz .LBB184_706
; %bb.704:
	global_load_b64 v[5:6], v[0:1], off
	s_mov_b32 s1, 0
	s_mov_b32 s0, 0
	s_waitcnt vmcnt(0)
	v_cvt_f32_f64_e32 v5, v[5:6]
	s_delay_alu instid0(VALU_DEP_1)
	v_cvt_f16_f32_e32 v5, v5
	s_branch .LBB184_707
.LBB184_705:
	s_mov_b32 s1, -1
                                        ; implicit-def: $sgpr0
                                        ; implicit-def: $vgpr5
	s_branch .LBB184_710
.LBB184_706:
	s_mov_b32 s1, -1
                                        ; implicit-def: $sgpr0
                                        ; implicit-def: $vgpr5
.LBB184_707:
	s_delay_alu instid0(SALU_CYCLE_1)
	s_and_not1_b32 vcc_lo, exec_lo, s1
	s_cbranch_vccnz .LBB184_709
; %bb.708:
	global_load_b32 v5, v[0:1], off
	s_mov_b32 s0, 0
	s_waitcnt vmcnt(0)
	v_cvt_f16_f32_e32 v5, v5
.LBB184_709:
	s_mov_b32 s1, 0
.LBB184_710:
	s_delay_alu instid0(SALU_CYCLE_1)
	s_and_not1_b32 vcc_lo, exec_lo, s1
	s_cbranch_vccnz .LBB184_712
; %bb.711:
	global_load_u16 v5, v[0:1], off
	s_mov_b32 s0, 0
.LBB184_712:
	s_delay_alu instid0(SALU_CYCLE_1)
	v_mov_b32_e32 v6, s0
.LBB184_713:
	s_mov_b32 s0, 0
.LBB184_714:
	s_delay_alu instid0(SALU_CYCLE_1)
	s_and_not1_b32 vcc_lo, exec_lo, s0
	s_cbranch_vccnz .LBB184_735
; %bb.715:
	v_cmp_gt_i16_e32 vcc_lo, 2, v4
	s_cbranch_vccnz .LBB184_719
; %bb.716:
	v_cmp_gt_i16_e32 vcc_lo, 3, v4
	s_cbranch_vccnz .LBB184_720
; %bb.717:
	v_cmp_lt_i16_e32 vcc_lo, 3, v4
	s_cbranch_vccz .LBB184_721
; %bb.718:
	global_load_b64 v[5:6], v[0:1], off
	s_mov_b32 s1, 0
	s_mov_b32 s0, 0
	s_waitcnt vmcnt(0)
	v_xor_b32_e32 v7, v5, v6
	v_cls_i32_e32 v8, v6
	s_delay_alu instid0(VALU_DEP_2) | instskip(NEXT) | instid1(VALU_DEP_2)
	v_ashrrev_i32_e32 v7, 31, v7
	v_add_nc_u32_e32 v8, -1, v8
	s_delay_alu instid0(VALU_DEP_2) | instskip(NEXT) | instid1(VALU_DEP_1)
	v_add_nc_u32_e32 v7, 32, v7
	v_min_u32_e32 v7, v8, v7
	s_delay_alu instid0(VALU_DEP_1) | instskip(NEXT) | instid1(VALU_DEP_1)
	v_lshlrev_b64 v[5:6], v7, v[5:6]
	v_min_u32_e32 v5, 1, v5
	s_delay_alu instid0(VALU_DEP_1) | instskip(SKIP_1) | instid1(VALU_DEP_2)
	v_or_b32_e32 v5, v6, v5
	v_sub_nc_u32_e32 v6, 32, v7
	v_cvt_f32_i32_e32 v5, v5
	s_delay_alu instid0(VALU_DEP_1) | instskip(NEXT) | instid1(VALU_DEP_1)
	v_ldexp_f32 v5, v5, v6
	v_cvt_f16_f32_e32 v5, v5
	s_branch .LBB184_722
.LBB184_719:
	s_mov_b32 s1, -1
                                        ; implicit-def: $sgpr0
                                        ; implicit-def: $vgpr5
	s_branch .LBB184_728
.LBB184_720:
	s_mov_b32 s1, -1
                                        ; implicit-def: $sgpr0
                                        ; implicit-def: $vgpr5
	s_branch .LBB184_725
.LBB184_721:
	s_mov_b32 s1, -1
                                        ; implicit-def: $sgpr0
                                        ; implicit-def: $vgpr5
.LBB184_722:
	s_delay_alu instid0(SALU_CYCLE_1)
	s_and_not1_b32 vcc_lo, exec_lo, s1
	s_cbranch_vccnz .LBB184_724
; %bb.723:
	global_load_b32 v5, v[0:1], off
	s_mov_b32 s0, 0
	s_waitcnt vmcnt(0)
	v_cvt_f32_i32_e32 v5, v5
	s_delay_alu instid0(VALU_DEP_1)
	v_cvt_f16_f32_e32 v5, v5
.LBB184_724:
	s_mov_b32 s1, 0
.LBB184_725:
	s_delay_alu instid0(SALU_CYCLE_1)
	s_and_not1_b32 vcc_lo, exec_lo, s1
	s_cbranch_vccnz .LBB184_727
; %bb.726:
	global_load_u16 v5, v[0:1], off
	s_mov_b32 s0, 0
	s_waitcnt vmcnt(0)
	v_cvt_f16_i16_e32 v5, v5
.LBB184_727:
	s_mov_b32 s1, 0
.LBB184_728:
	s_delay_alu instid0(SALU_CYCLE_1)
	s_and_not1_b32 vcc_lo, exec_lo, s1
	s_cbranch_vccnz .LBB184_734
; %bb.729:
	v_cmp_lt_i16_e32 vcc_lo, 0, v4
	s_mov_b32 s1, 0
	s_cbranch_vccz .LBB184_731
; %bb.730:
	global_load_i8 v5, v[0:1], off
	s_mov_b32 s0, 0
	s_waitcnt vmcnt(0)
	v_cvt_f16_i16_e32 v5, v5
	s_branch .LBB184_732
.LBB184_731:
	s_mov_b32 s1, -1
                                        ; implicit-def: $sgpr0
                                        ; implicit-def: $vgpr5
.LBB184_732:
	s_delay_alu instid0(SALU_CYCLE_1)
	s_and_not1_b32 vcc_lo, exec_lo, s1
	s_cbranch_vccnz .LBB184_734
; %bb.733:
	global_load_u8 v0, v[0:1], off
	s_mov_b32 s0, 0
	s_waitcnt vmcnt(0)
	v_cvt_f16_u16_e32 v5, v0
.LBB184_734:
	v_mov_b32_e32 v6, s0
.LBB184_735:
	s_mov_b32 s0, -1
.LBB184_736:
	s_delay_alu instid0(SALU_CYCLE_1)
	s_and_not1_b32 vcc_lo, exec_lo, s0
	s_cbranch_vccnz .LBB184_749
; %bb.737:
	s_waitcnt vmcnt(0)
	v_cmp_neq_f16_e32 vcc_lo, 0, v5
	v_cmp_neq_f16_e64 s0, 0, v6
	v_cvt_f32_f16_e32 v0, v6
	v_mov_b32_e32 v1, 0
	s_delay_alu instid0(VALU_DEP_3) | instskip(NEXT) | instid1(SALU_CYCLE_1)
	s_or_b32 s0, vcc_lo, s0
	s_and_saveexec_b32 s19, s0
	s_cbranch_execz .LBB184_768
; %bb.738:
	v_mov_b32_e32 v1, 0x7f800000
	s_mov_b32 s20, exec_lo
	v_cmpx_neq_f32_e64 0x7f800000, |v0|
	s_cbranch_execz .LBB184_767
; %bb.739:
	v_cvt_f32_f16_e32 v1, v5
	s_mov_b32 s0, exec_lo
	v_cmpx_o_f16_e32 v5, v5
	s_xor_b32 s21, exec_lo, s0
	s_cbranch_execz .LBB184_764
; %bb.740:
	s_mov_b32 s1, exec_lo
	v_cmpx_neq_f32_e64 0x7f800000, |v1|
	s_xor_b32 s22, exec_lo, s1
	s_cbranch_execz .LBB184_757
; %bb.741:
	v_max_f32_e64 v5, |v0|, |v0|
	v_max_f32_e64 v6, |v1|, |v1|
                                        ; implicit-def: $sgpr23
	s_delay_alu instid0(VALU_DEP_1) | instskip(NEXT) | instid1(VALU_DEP_1)
	v_max_f32_e32 v5, v6, v5
	v_cmp_nle_f32_e64 s0, 0x7ed413cb, v5
	s_delay_alu instid0(VALU_DEP_1) | instskip(NEXT) | instid1(SALU_CYCLE_1)
	s_and_saveexec_b32 s1, s0
	s_xor_b32 s1, exec_lo, s1
	s_cbranch_execz .LBB184_745
; %bb.742:
	v_cmp_ge_f32_e64 s23, 0x1000000, |v1|
	v_cmp_ge_f32_e64 s24, 0x1000000, |v0|
	s_delay_alu instid0(VALU_DEP_1)
	s_and_b32 s25, s23, s24
	s_mov_b32 s23, 0
	s_and_saveexec_b32 s24, s25
; %bb.743:
	v_dual_mul_f32 v0, 4.0, v0 :: v_dual_mul_f32 v1, 4.0, v1
	s_mov_b32 s23, exec_lo
; %bb.744:
	s_or_b32 exec_lo, exec_lo, s24
	s_delay_alu instid0(SALU_CYCLE_1)
	s_and_b32 s23, s23, exec_lo
.LBB184_745:
	s_and_not1_saveexec_b32 s1, s1
; %bb.746:
	v_dual_mul_f32 v1, 0x3e800000, v1 :: v_dual_mul_f32 v0, 0x3e800000, v0
	s_and_not1_b32 s23, s23, exec_lo
; %bb.747:
	s_or_b32 exec_lo, exec_lo, s1
	s_delay_alu instid0(VALU_DEP_1) | instskip(NEXT) | instid1(VALU_DEP_2)
	v_max_f32_e64 v5, |v0|, |v0|
	v_max_f32_e64 v6, |v1|, |v1|
	s_delay_alu instid0(VALU_DEP_1) | instskip(NEXT) | instid1(VALU_DEP_1)
	v_max_f32_e32 v7, v6, v5
	v_cvt_f64_f32_e32 v[5:6], v7
	s_delay_alu instid0(VALU_DEP_1) | instskip(NEXT) | instid1(VALU_DEP_1)
	v_frexp_exp_i32_f64_e32 v5, v[5:6]
	v_sub_nc_u32_e32 v6, 0, v5
	s_delay_alu instid0(VALU_DEP_1) | instskip(SKIP_1) | instid1(VALU_DEP_2)
	v_ldexp_f32 v8, |v0|, v6
	v_ldexp_f32 v6, |v1|, v6
	v_mul_f32_e32 v8, v8, v8
	v_cmp_neq_f32_e64 s1, 0x7f800000, v7
	s_delay_alu instid0(VALU_DEP_2) | instskip(NEXT) | instid1(VALU_DEP_1)
	v_fmac_f32_e32 v8, v6, v6
	v_sqrt_f32_e32 v6, v8
	s_waitcnt_depctr 0xfff
	v_ldexp_f32 v5, v6, v5
                                        ; implicit-def: $vgpr6
	s_delay_alu instid0(VALU_DEP_1)
	v_cndmask_b32_e64 v7, 0x7f800000, v5, s1
                                        ; implicit-def: $vgpr5
	s_mov_b32 s1, exec_lo
	v_cmpx_le_f32_e32 0, v1
	s_xor_b32 s24, exec_lo, s1
	s_cbranch_execz .LBB184_750
; %bb.748:
	v_add_f32_e32 v1, v1, v7
	s_delay_alu instid0(VALU_DEP_1) | instskip(NEXT) | instid1(VALU_DEP_1)
	v_mul_f32_e32 v1, 0.5, v1
	v_mul_f32_e32 v5, 0x4f800000, v1
	v_cmp_gt_f32_e32 vcc_lo, 0xf800000, v1
	s_delay_alu instid0(VALU_DEP_2) | instskip(NEXT) | instid1(VALU_DEP_1)
	v_cndmask_b32_e32 v1, v1, v5, vcc_lo
	v_sqrt_f32_e32 v5, v1
	s_waitcnt_depctr 0xfff
	v_add_nc_u32_e32 v6, -1, v5
	v_add_nc_u32_e32 v7, 1, v5
	s_delay_alu instid0(VALU_DEP_2) | instskip(NEXT) | instid1(VALU_DEP_2)
	v_fma_f32 v8, -v6, v5, v1
	v_fma_f32 v9, -v7, v5, v1
	s_delay_alu instid0(VALU_DEP_2) | instskip(NEXT) | instid1(VALU_DEP_1)
	v_cmp_ge_f32_e64 s1, 0, v8
	v_cndmask_b32_e64 v5, v5, v6, s1
	s_delay_alu instid0(VALU_DEP_3) | instskip(NEXT) | instid1(VALU_DEP_1)
	v_cmp_lt_f32_e64 s1, 0, v9
	v_cndmask_b32_e64 v5, v5, v7, s1
	s_delay_alu instid0(VALU_DEP_1) | instskip(NEXT) | instid1(VALU_DEP_1)
	v_mul_f32_e32 v6, 0x37800000, v5
	v_cndmask_b32_e32 v5, v5, v6, vcc_lo
	v_cmp_class_f32_e64 vcc_lo, v1, 0x260
	s_delay_alu instid0(VALU_DEP_2) | instskip(NEXT) | instid1(VALU_DEP_1)
	v_cndmask_b32_e32 v5, v5, v1, vcc_lo
	v_add_f32_e32 v1, v5, v5
	s_delay_alu instid0(VALU_DEP_1) | instskip(NEXT) | instid1(VALU_DEP_1)
	v_div_scale_f32 v6, null, v1, v1, v0
	v_rcp_f32_e32 v7, v6
	s_waitcnt_depctr 0xfff
	v_fma_f32 v8, -v6, v7, 1.0
	s_delay_alu instid0(VALU_DEP_1) | instskip(SKIP_1) | instid1(VALU_DEP_1)
	v_fmac_f32_e32 v7, v8, v7
	v_div_scale_f32 v8, vcc_lo, v0, v1, v0
	v_mul_f32_e32 v9, v8, v7
	s_delay_alu instid0(VALU_DEP_1) | instskip(NEXT) | instid1(VALU_DEP_1)
	v_fma_f32 v10, -v6, v9, v8
	v_fmac_f32_e32 v9, v10, v7
	s_delay_alu instid0(VALU_DEP_1) | instskip(NEXT) | instid1(VALU_DEP_1)
	v_fma_f32 v6, -v6, v9, v8
	v_div_fmas_f32 v6, v6, v7, v9
                                        ; implicit-def: $vgpr7
	s_delay_alu instid0(VALU_DEP_1)
	v_div_fixup_f32 v6, v6, v1, v0
                                        ; implicit-def: $vgpr1
                                        ; implicit-def: $vgpr0
	s_and_not1_saveexec_b32 s24, s24
	s_cbranch_execz .LBB184_752
	s_branch .LBB184_751
.LBB184_749:
	s_mov_b32 s19, 0
	s_mov_b32 s0, s15
	s_branch .LBB184_899
.LBB184_750:
	s_and_not1_saveexec_b32 s24, s24
	s_cbranch_execz .LBB184_752
.LBB184_751:
	v_sub_f32_e32 v1, v7, v1
	s_delay_alu instid0(VALU_DEP_1) | instskip(NEXT) | instid1(VALU_DEP_1)
	v_mul_f32_e32 v1, 0.5, v1
	v_mul_f32_e32 v5, 0x4f800000, v1
	v_cmp_gt_f32_e32 vcc_lo, 0xf800000, v1
	s_delay_alu instid0(VALU_DEP_2) | instskip(NEXT) | instid1(VALU_DEP_1)
	v_cndmask_b32_e32 v1, v1, v5, vcc_lo
	v_sqrt_f32_e32 v5, v1
	s_waitcnt_depctr 0xfff
	v_add_nc_u32_e32 v6, -1, v5
	v_add_nc_u32_e32 v7, 1, v5
	s_delay_alu instid0(VALU_DEP_2) | instskip(NEXT) | instid1(VALU_DEP_2)
	v_fma_f32 v8, -v6, v5, v1
	v_fma_f32 v9, -v7, v5, v1
	s_delay_alu instid0(VALU_DEP_2) | instskip(NEXT) | instid1(VALU_DEP_1)
	v_cmp_ge_f32_e64 s1, 0, v8
	v_cndmask_b32_e64 v5, v5, v6, s1
	s_delay_alu instid0(VALU_DEP_3) | instskip(NEXT) | instid1(VALU_DEP_1)
	v_cmp_lt_f32_e64 s1, 0, v9
	v_cndmask_b32_e64 v5, v5, v7, s1
	s_delay_alu instid0(VALU_DEP_1) | instskip(NEXT) | instid1(VALU_DEP_1)
	v_mul_f32_e32 v6, 0x37800000, v5
	v_cndmask_b32_e32 v5, v5, v6, vcc_lo
	v_cmp_class_f32_e64 vcc_lo, v1, 0x260
	s_delay_alu instid0(VALU_DEP_2) | instskip(NEXT) | instid1(VALU_DEP_1)
	v_cndmask_b32_e32 v1, v5, v1, vcc_lo
	v_dual_add_f32 v6, v1, v1 :: v_dual_and_b32 v5, 0x7fffffff, v0
	s_delay_alu instid0(VALU_DEP_1) | instskip(SKIP_1) | instid1(VALU_DEP_2)
	v_div_scale_f32 v7, null, v6, v6, v5
	v_div_scale_f32 v5, vcc_lo, v5, v6, v5
	v_rcp_f32_e32 v8, v7
	s_waitcnt_depctr 0xfff
	v_fma_f32 v9, -v7, v8, 1.0
	s_delay_alu instid0(VALU_DEP_1) | instskip(NEXT) | instid1(VALU_DEP_1)
	v_fmac_f32_e32 v8, v9, v8
	v_mul_f32_e32 v9, v5, v8
	s_delay_alu instid0(VALU_DEP_1) | instskip(NEXT) | instid1(VALU_DEP_1)
	v_fma_f32 v10, -v7, v9, v5
	v_fmac_f32_e32 v9, v10, v8
	s_delay_alu instid0(VALU_DEP_1) | instskip(NEXT) | instid1(VALU_DEP_1)
	v_fma_f32 v5, -v7, v9, v5
	v_div_fmas_f32 v5, v5, v8, v9
	s_delay_alu instid0(VALU_DEP_1)
	v_div_fixup_f32 v5, v5, v6, |v0|
	v_bfi_b32 v6, 0x7fffffff, v1, v0
.LBB184_752:
	s_or_b32 exec_lo, exec_lo, s24
                                        ; implicit-def: $vgpr0
                                        ; implicit-def: $vgpr1
	s_and_saveexec_b32 s1, s0
	s_delay_alu instid0(SALU_CYCLE_1)
	s_xor_b32 s0, exec_lo, s1
	s_cbranch_execz .LBB184_754
; %bb.753:
	v_dual_mul_f32 v0, 0.5, v5 :: v_dual_mul_f32 v7, 0.5, v6
	s_delay_alu instid0(VALU_DEP_1) | instskip(NEXT) | instid1(VALU_DEP_2)
	v_cndmask_b32_e64 v1, v5, v0, s23
	v_cndmask_b32_e64 v0, v6, v7, s23
                                        ; implicit-def: $vgpr5
                                        ; implicit-def: $vgpr6
	s_and_not1_saveexec_b32 s0, s0
	s_cbranch_execnz .LBB184_755
	s_branch .LBB184_756
.LBB184_754:
	s_and_not1_saveexec_b32 s0, s0
.LBB184_755:
	v_dual_add_f32 v1, v5, v5 :: v_dual_add_f32 v0, v6, v6
.LBB184_756:
	s_or_b32 exec_lo, exec_lo, s0
                                        ; implicit-def: $vgpr5
.LBB184_757:
	s_and_not1_saveexec_b32 s0, s22
	s_cbranch_execz .LBB184_763
; %bb.758:
	v_cmp_lt_i16_e32 vcc_lo, -1, v5
	v_sub_f32_e32 v5, v0, v0
	s_and_saveexec_b32 s1, vcc_lo
	s_delay_alu instid0(SALU_CYCLE_1)
	s_xor_b32 s1, exec_lo, s1
; %bb.759:
	s_delay_alu instid0(VALU_DEP_1)
	v_bfi_b32 v0, 0x7fffffff, v5, v0
                                        ; implicit-def: $vgpr5
; %bb.760:
	s_and_not1_saveexec_b32 s1, s1
; %bb.761:
	v_and_b32_e32 v5, 0x7fffffff, v5
	s_delay_alu instid0(VALU_DEP_2) | instskip(NEXT) | instid1(VALU_DEP_2)
	v_bfi_b32 v0, 0x7fffffff, v1, v0
	v_mov_b32_e32 v1, v5
; %bb.762:
	s_or_b32 exec_lo, exec_lo, s1
.LBB184_763:
	s_delay_alu instid0(SALU_CYCLE_1)
	s_or_b32 exec_lo, exec_lo, s0
.LBB184_764:
	s_and_not1_saveexec_b32 s0, s21
; %bb.765:
	v_sub_f32_e32 v0, v0, v0
	s_delay_alu instid0(VALU_DEP_1) | instskip(NEXT) | instid1(VALU_DEP_1)
	v_div_scale_f32 v5, vcc_lo, v0, v0, v0
	v_rcp_f32_e32 v6, v5
	s_waitcnt_depctr 0xfff
	v_fma_f32 v7, -v5, v6, 1.0
	s_delay_alu instid0(VALU_DEP_1) | instskip(NEXT) | instid1(VALU_DEP_1)
	v_fmac_f32_e32 v6, v7, v6
	v_mul_f32_e32 v7, v5, v6
	s_delay_alu instid0(VALU_DEP_1) | instskip(NEXT) | instid1(VALU_DEP_1)
	v_fma_f32 v8, -v5, v7, v5
	v_fmac_f32_e32 v7, v8, v6
	s_delay_alu instid0(VALU_DEP_1) | instskip(NEXT) | instid1(VALU_DEP_1)
	v_fma_f32 v5, -v5, v7, v5
	v_div_fmas_f32 v5, v5, v6, v7
	s_delay_alu instid0(VALU_DEP_1)
	v_div_fixup_f32 v0, v5, v0, v0
; %bb.766:
	s_or_b32 exec_lo, exec_lo, s0
.LBB184_767:
	s_delay_alu instid0(SALU_CYCLE_1)
	s_or_b32 exec_lo, exec_lo, s20
.LBB184_768:
	s_delay_alu instid0(SALU_CYCLE_1)
	s_or_b32 exec_lo, exec_lo, s19
	v_cmp_gt_f32_e32 vcc_lo, 0, v1
                                        ; implicit-def: $vgpr8
                                        ; implicit-def: $vgpr7
	s_mov_b32 s0, exec_lo
	v_cndmask_b32_e64 v5, v1, -v1, vcc_lo
	v_cmp_gt_f32_e32 vcc_lo, 0, v0
	v_cndmask_b32_e64 v6, v0, -v0, vcc_lo
	s_delay_alu instid0(VALU_DEP_1)
	v_cmpx_ge_f32_e32 v5, v6
	s_xor_b32 s1, exec_lo, s0
	s_cbranch_execz .LBB184_774
; %bb.769:
	v_cmp_neq_f32_e32 vcc_lo, 0, v1
	v_cmp_neq_f32_e64 s0, 0, v0
                                        ; implicit-def: $vgpr8
                                        ; implicit-def: $vgpr7
	s_delay_alu instid0(VALU_DEP_1) | instskip(NEXT) | instid1(SALU_CYCLE_1)
	s_or_b32 s0, vcc_lo, s0
	s_and_saveexec_b32 s19, s0
	s_delay_alu instid0(SALU_CYCLE_1)
	s_xor_b32 s0, exec_lo, s19
	s_cbranch_execz .LBB184_771
; %bb.770:
	v_div_scale_f32 v5, null, v1, v1, v0
	v_div_scale_f32 v8, vcc_lo, v0, v1, v0
	s_delay_alu instid0(VALU_DEP_2) | instskip(SKIP_2) | instid1(VALU_DEP_1)
	v_rcp_f32_e32 v6, v5
	s_waitcnt_depctr 0xfff
	v_fma_f32 v7, -v5, v6, 1.0
	v_fmac_f32_e32 v6, v7, v6
	s_delay_alu instid0(VALU_DEP_1) | instskip(NEXT) | instid1(VALU_DEP_1)
	v_mul_f32_e32 v7, v8, v6
	v_fma_f32 v9, -v5, v7, v8
	s_delay_alu instid0(VALU_DEP_1) | instskip(NEXT) | instid1(VALU_DEP_1)
	v_fmac_f32_e32 v7, v9, v6
	v_fma_f32 v5, -v5, v7, v8
	s_delay_alu instid0(VALU_DEP_1) | instskip(NEXT) | instid1(VALU_DEP_1)
	v_div_fmas_f32 v5, v5, v6, v7
	v_div_fixup_f32 v5, v5, v1, v0
	s_delay_alu instid0(VALU_DEP_1) | instskip(NEXT) | instid1(VALU_DEP_1)
	v_fmac_f32_e32 v1, v0, v5
	v_div_scale_f32 v0, null, v1, v1, 1.0
	v_div_scale_f32 v8, vcc_lo, 1.0, v1, 1.0
	s_delay_alu instid0(VALU_DEP_2) | instskip(SKIP_2) | instid1(VALU_DEP_1)
	v_rcp_f32_e32 v6, v0
	s_waitcnt_depctr 0xfff
	v_fma_f32 v7, -v0, v6, 1.0
	v_fmac_f32_e32 v6, v7, v6
	s_delay_alu instid0(VALU_DEP_1) | instskip(NEXT) | instid1(VALU_DEP_1)
	v_mul_f32_e32 v7, v8, v6
	v_fma_f32 v9, -v0, v7, v8
	s_delay_alu instid0(VALU_DEP_1) | instskip(NEXT) | instid1(VALU_DEP_1)
	v_fmac_f32_e32 v7, v9, v6
	v_fma_f32 v0, -v0, v7, v8
	s_delay_alu instid0(VALU_DEP_1) | instskip(SKIP_1) | instid1(VALU_DEP_2)
	v_div_fmas_f32 v0, v0, v6, v7
	v_fma_f32 v6, v5, 0, 1.0
	v_div_fixup_f32 v0, v0, v1, 1.0
	s_delay_alu instid0(VALU_DEP_1)
	v_mul_f32_e32 v7, v6, v0
	v_mul_f32_e64 v8, -v5, v0
                                        ; implicit-def: $vgpr5
                                        ; implicit-def: $vgpr6
.LBB184_771:
	s_and_not1_saveexec_b32 s19, s0
	s_cbranch_execz .LBB184_773
; %bb.772:
	v_div_scale_f32 v0, null, v5, v5, 1.0
	v_div_scale_f32 v1, null, v6, v6, 0
	v_div_scale_f32 v11, vcc_lo, 1.0, v5, 1.0
	s_delay_alu instid0(VALU_DEP_3) | instskip(NEXT) | instid1(VALU_DEP_2)
	v_rcp_f32_e32 v7, v0
	v_rcp_f32_e32 v8, v1
	s_waitcnt_depctr 0xfff
	v_fma_f32 v9, -v0, v7, 1.0
	v_fma_f32 v10, -v1, v8, 1.0
	s_delay_alu instid0(VALU_DEP_1) | instskip(SKIP_1) | instid1(VALU_DEP_2)
	v_dual_fmac_f32 v7, v9, v7 :: v_dual_fmac_f32 v8, v10, v8
	v_div_scale_f32 v9, s0, 0, v6, 0
	v_mul_f32_e32 v10, v11, v7
	s_delay_alu instid0(VALU_DEP_2) | instskip(NEXT) | instid1(VALU_DEP_2)
	v_mul_f32_e32 v12, v9, v8
	v_fma_f32 v13, -v0, v10, v11
	s_delay_alu instid0(VALU_DEP_2) | instskip(NEXT) | instid1(VALU_DEP_2)
	v_fma_f32 v14, -v1, v12, v9
	v_fmac_f32_e32 v10, v13, v7
	s_delay_alu instid0(VALU_DEP_2) | instskip(NEXT) | instid1(VALU_DEP_2)
	v_fmac_f32_e32 v12, v14, v8
	v_fma_f32 v0, -v0, v10, v11
	s_delay_alu instid0(VALU_DEP_2) | instskip(NEXT) | instid1(VALU_DEP_2)
	v_fma_f32 v1, -v1, v12, v9
	v_div_fmas_f32 v0, v0, v7, v10
	s_mov_b32 vcc_lo, s0
	s_delay_alu instid0(VALU_DEP_2) | instskip(NEXT) | instid1(VALU_DEP_2)
	v_div_fmas_f32 v1, v1, v8, v12
	v_div_fixup_f32 v7, v0, v5, 1.0
	s_delay_alu instid0(VALU_DEP_2)
	v_div_fixup_f32 v8, v1, v6, 0
.LBB184_773:
	s_or_b32 exec_lo, exec_lo, s19
                                        ; implicit-def: $vgpr0
                                        ; implicit-def: $vgpr1
.LBB184_774:
	s_and_not1_saveexec_b32 s0, s1
	s_cbranch_execz .LBB184_776
; %bb.775:
	v_div_scale_f32 v5, null, v0, v0, v1
	v_div_scale_f32 v8, vcc_lo, v1, v0, v1
	s_delay_alu instid0(VALU_DEP_2) | instskip(SKIP_2) | instid1(VALU_DEP_1)
	v_rcp_f32_e32 v6, v5
	s_waitcnt_depctr 0xfff
	v_fma_f32 v7, -v5, v6, 1.0
	v_fmac_f32_e32 v6, v7, v6
	s_delay_alu instid0(VALU_DEP_1) | instskip(NEXT) | instid1(VALU_DEP_1)
	v_mul_f32_e32 v7, v8, v6
	v_fma_f32 v9, -v5, v7, v8
	s_delay_alu instid0(VALU_DEP_1) | instskip(NEXT) | instid1(VALU_DEP_1)
	v_fmac_f32_e32 v7, v9, v6
	v_fma_f32 v5, -v5, v7, v8
	s_delay_alu instid0(VALU_DEP_1) | instskip(NEXT) | instid1(VALU_DEP_1)
	v_div_fmas_f32 v5, v5, v6, v7
	v_div_fixup_f32 v5, v5, v0, v1
	s_delay_alu instid0(VALU_DEP_1) | instskip(NEXT) | instid1(VALU_DEP_1)
	v_fmac_f32_e32 v0, v1, v5
	v_div_scale_f32 v1, null, v0, v0, 1.0
	v_div_scale_f32 v8, vcc_lo, 1.0, v0, 1.0
	s_delay_alu instid0(VALU_DEP_2) | instskip(SKIP_2) | instid1(VALU_DEP_1)
	v_rcp_f32_e32 v6, v1
	s_waitcnt_depctr 0xfff
	v_fma_f32 v7, -v1, v6, 1.0
	v_fmac_f32_e32 v6, v7, v6
	s_delay_alu instid0(VALU_DEP_1) | instskip(NEXT) | instid1(VALU_DEP_1)
	v_mul_f32_e32 v7, v8, v6
	v_fma_f32 v9, -v1, v7, v8
	s_delay_alu instid0(VALU_DEP_1) | instskip(NEXT) | instid1(VALU_DEP_1)
	v_fmac_f32_e32 v7, v9, v6
	v_fma_f32 v1, -v1, v7, v8
	s_delay_alu instid0(VALU_DEP_1) | instskip(SKIP_1) | instid1(VALU_DEP_2)
	v_div_fmas_f32 v1, v1, v6, v7
	v_add_f32_e32 v6, 0, v5
	v_div_fixup_f32 v0, v1, v0, 1.0
	v_fma_f32 v1, v5, 0, -1.0
	s_delay_alu instid0(VALU_DEP_2) | instskip(NEXT) | instid1(VALU_DEP_2)
	v_mul_f32_e32 v7, v6, v0
	v_mul_f32_e32 v8, v1, v0
.LBB184_776:
	s_or_b32 exec_lo, exec_lo, s0
	v_mul_lo_u32 v0, v3, s2
	s_delay_alu instid0(VALU_DEP_2) | instskip(SKIP_2) | instid1(VALU_DEP_3)
	v_cvt_f16_f32_e32 v8, v8
	v_cvt_f16_f32_e32 v5, v7
	v_and_b32_e32 v6, 0xff, v2
	v_lshlrev_b32_e32 v1, 16, v8
	s_delay_alu instid0(VALU_DEP_3) | instskip(SKIP_1) | instid1(VALU_DEP_4)
	v_and_b32_e32 v7, 0xffff, v5
	v_ashrrev_i32_e32 v9, 31, v0
	v_cmp_gt_i16_e32 vcc_lo, 11, v6
	v_add_co_u32 v0, s0, s4, v0
	s_delay_alu instid0(VALU_DEP_4) | instskip(NEXT) | instid1(VALU_DEP_4)
	v_or_b32_e32 v7, v1, v7
	v_add_co_ci_u32_e64 v1, s0, s5, v9, s0
	s_cbranch_vccnz .LBB184_783
; %bb.777:
	v_cmp_lt_i16_e32 vcc_lo, 25, v6
	s_cbranch_vccz .LBB184_784
; %bb.778:
	v_cmp_lt_i16_e32 vcc_lo, 28, v6
	s_cbranch_vccz .LBB184_785
	;; [unrolled: 3-line block ×4, first 2 shown]
; %bb.781:
	v_cmp_eq_u16_e32 vcc_lo, 46, v6
	s_mov_b32 s19, 0
	s_mov_b32 s0, -1
	s_mov_b32 s1, 0
	s_cbranch_vccz .LBB184_788
; %bb.782:
	v_cvt_f32_f16_e32 v9, v8
	v_cvt_f32_f16_e32 v10, v5
	v_cmp_o_f16_e32 vcc_lo, v8, v8
	s_mov_b32 s1, -1
	s_mov_b32 s0, 0
	v_bfe_u32 v11, v9, 16, 1
	v_bfe_u32 v12, v10, 16, 1
	s_delay_alu instid0(VALU_DEP_2) | instskip(NEXT) | instid1(VALU_DEP_2)
	v_add3_u32 v9, v9, v11, 0x7fff
	v_add3_u32 v10, v10, v12, 0x7fff
	s_delay_alu instid0(VALU_DEP_2) | instskip(NEXT) | instid1(VALU_DEP_2)
	v_and_b32_e32 v9, 0xffff0000, v9
	v_lshrrev_b32_e32 v10, 16, v10
	s_delay_alu instid0(VALU_DEP_2) | instskip(SKIP_1) | instid1(VALU_DEP_3)
	v_cndmask_b32_e32 v9, 0x7fc00000, v9, vcc_lo
	v_cmp_o_f16_e32 vcc_lo, v5, v5
	v_cndmask_b32_e32 v10, 0x7fc0, v10, vcc_lo
	s_delay_alu instid0(VALU_DEP_1)
	v_or_b32_e32 v9, v9, v10
	global_store_b32 v[0:1], v9, off
	s_branch .LBB184_788
.LBB184_783:
	s_mov_b32 s19, -1
	s_mov_b32 s1, 0
	s_mov_b32 s0, s15
	s_branch .LBB184_857
.LBB184_784:
	s_mov_b32 s19, -1
	s_mov_b32 s1, 0
	s_mov_b32 s0, s15
	s_branch .LBB184_815
.LBB184_785:
	s_mov_b32 s19, -1
	s_mov_b32 s1, 0
	s_mov_b32 s0, s15
	s_branch .LBB184_798
.LBB184_786:
	s_mov_b32 s19, -1
	s_mov_b32 s1, 0
	s_mov_b32 s0, s15
	s_branch .LBB184_794
.LBB184_787:
	s_mov_b32 s19, -1
	s_mov_b32 s1, 0
	s_mov_b32 s0, s15
.LBB184_788:
	s_and_b32 vcc_lo, exec_lo, s19
	s_cbranch_vccz .LBB184_793
; %bb.789:
	v_cmp_eq_u16_e32 vcc_lo, 44, v6
	s_mov_b32 s0, -1
	s_cbranch_vccz .LBB184_793
; %bb.790:
	v_cvt_f32_f16_e32 v9, v5
	v_mov_b32_e32 v10, 0xff
	s_mov_b32 s1, exec_lo
	s_delay_alu instid0(VALU_DEP_2) | instskip(NEXT) | instid1(VALU_DEP_1)
	v_bfe_u32 v11, v9, 23, 8
	v_cmpx_ne_u32_e32 0xff, v11
; %bb.791:
	v_and_b32_e32 v10, 0x400000, v9
	v_and_or_b32 v11, 0x3fffff, v9, v11
	v_lshrrev_b32_e32 v9, 23, v9
	s_delay_alu instid0(VALU_DEP_3) | instskip(NEXT) | instid1(VALU_DEP_3)
	v_cmp_ne_u32_e32 vcc_lo, 0, v10
	v_cmp_ne_u32_e64 s0, 0, v11
	s_delay_alu instid0(VALU_DEP_1) | instskip(NEXT) | instid1(SALU_CYCLE_1)
	s_and_b32 s0, vcc_lo, s0
	v_cndmask_b32_e64 v10, 0, 1, s0
	s_delay_alu instid0(VALU_DEP_1)
	v_add_nc_u32_e32 v10, v9, v10
; %bb.792:
	s_or_b32 exec_lo, exec_lo, s1
	s_mov_b32 s1, -1
	s_mov_b32 s0, 0
	global_store_b8 v[0:1], v10, off
.LBB184_793:
	s_mov_b32 s19, 0
.LBB184_794:
	s_delay_alu instid0(SALU_CYCLE_1)
	s_and_b32 vcc_lo, exec_lo, s19
	s_cbranch_vccz .LBB184_797
; %bb.795:
	v_cmp_eq_u16_e32 vcc_lo, 29, v6
	s_mov_b32 s0, -1
	s_cbranch_vccz .LBB184_797
; %bb.796:
	v_cvt_f32_f16_e32 v9, v5
	v_mov_b32_e32 v10, 0
	s_mov_b32 s0, 0
	s_mov_b32 s1, -1
	s_mov_b32 s19, 0
	v_cvt_u32_f32_e32 v9, v9
	global_store_b64 v[0:1], v[9:10], off
	s_branch .LBB184_798
.LBB184_797:
	s_mov_b32 s19, 0
.LBB184_798:
	s_delay_alu instid0(SALU_CYCLE_1)
	s_and_b32 vcc_lo, exec_lo, s19
	s_cbranch_vccz .LBB184_814
; %bb.799:
	v_cmp_gt_i16_e32 vcc_lo, 27, v6
	s_mov_b32 s1, -1
	s_cbranch_vccnz .LBB184_805
; %bb.800:
	v_cmp_lt_i16_e32 vcc_lo, 27, v6
	s_cbranch_vccz .LBB184_802
; %bb.801:
	v_cvt_f32_f16_e32 v9, v5
	s_mov_b32 s1, 0
	s_delay_alu instid0(VALU_DEP_1)
	v_cvt_u32_f32_e32 v9, v9
	global_store_b32 v[0:1], v9, off
.LBB184_802:
	s_and_not1_b32 vcc_lo, exec_lo, s1
	s_cbranch_vccnz .LBB184_804
; %bb.803:
	v_cvt_u16_f16_e32 v9, v5
	global_store_b16 v[0:1], v9, off
.LBB184_804:
	s_mov_b32 s1, 0
.LBB184_805:
	s_delay_alu instid0(SALU_CYCLE_1)
	s_and_not1_b32 vcc_lo, exec_lo, s1
	s_cbranch_vccnz .LBB184_813
; %bb.806:
	v_cvt_f32_f16_e32 v9, v5
	v_mov_b32_e32 v11, 0x80
	s_mov_b32 s1, exec_lo
	s_delay_alu instid0(VALU_DEP_2) | instskip(NEXT) | instid1(VALU_DEP_1)
	v_and_b32_e32 v10, 0x7fffffff, v9
	v_cmpx_gt_u32_e32 0x43800000, v10
	s_cbranch_execz .LBB184_812
; %bb.807:
	v_cmp_lt_u32_e32 vcc_lo, 0x3bffffff, v10
	s_mov_b32 s19, 0
                                        ; implicit-def: $vgpr10
	s_and_saveexec_b32 s20, vcc_lo
	s_delay_alu instid0(SALU_CYCLE_1)
	s_xor_b32 s20, exec_lo, s20
	s_cbranch_execz .LBB184_914
; %bb.808:
	v_bfe_u32 v10, v9, 20, 1
	s_mov_b32 s19, exec_lo
	s_delay_alu instid0(VALU_DEP_1) | instskip(NEXT) | instid1(VALU_DEP_1)
	v_add3_u32 v10, v9, v10, 0x487ffff
	v_lshrrev_b32_e32 v10, 20, v10
	s_or_saveexec_b32 s20, s20
                                        ; implicit-def: $sgpr21
	s_delay_alu instid0(SALU_CYCLE_1)
	s_xor_b32 exec_lo, exec_lo, s20
	s_cbranch_execnz .LBB184_915
.LBB184_809:
	s_or_b32 exec_lo, exec_lo, s20
	v_mov_b32_e32 v11, s21
	s_and_saveexec_b32 s20, s19
.LBB184_810:
	v_lshrrev_b32_e32 v9, 24, v9
	s_delay_alu instid0(VALU_DEP_1)
	v_and_or_b32 v11, 0x80, v9, v10
.LBB184_811:
	s_or_b32 exec_lo, exec_lo, s20
.LBB184_812:
	s_delay_alu instid0(SALU_CYCLE_1)
	s_or_b32 exec_lo, exec_lo, s1
	global_store_b8 v[0:1], v11, off
.LBB184_813:
	s_mov_b32 s1, -1
.LBB184_814:
	s_mov_b32 s19, 0
.LBB184_815:
	s_delay_alu instid0(SALU_CYCLE_1)
	s_and_b32 vcc_lo, exec_lo, s19
	s_cbranch_vccz .LBB184_856
; %bb.816:
	v_cmp_lt_i16_e32 vcc_lo, 22, v6
	s_mov_b32 s19, -1
	s_cbranch_vccz .LBB184_848
; %bb.817:
	v_cmp_gt_i16_e32 vcc_lo, 24, v6
	s_mov_b32 s1, -1
	s_cbranch_vccnz .LBB184_837
; %bb.818:
	v_cmp_lt_i16_e32 vcc_lo, 24, v6
	s_cbranch_vccz .LBB184_826
; %bb.819:
	v_cvt_f32_f16_e32 v9, v5
	v_mov_b32_e32 v11, 0x80
	s_mov_b32 s1, exec_lo
	s_delay_alu instid0(VALU_DEP_2) | instskip(NEXT) | instid1(VALU_DEP_1)
	v_and_b32_e32 v10, 0x7fffffff, v9
	v_cmpx_gt_u32_e32 0x47800000, v10
	s_cbranch_execz .LBB184_825
; %bb.820:
	v_cmp_lt_u32_e32 vcc_lo, 0x37ffffff, v10
	s_mov_b32 s19, 0
                                        ; implicit-def: $vgpr10
	s_and_saveexec_b32 s20, vcc_lo
	s_delay_alu instid0(SALU_CYCLE_1)
	s_xor_b32 s20, exec_lo, s20
	s_cbranch_execz .LBB184_917
; %bb.821:
	v_bfe_u32 v10, v9, 21, 1
	s_mov_b32 s19, exec_lo
	s_delay_alu instid0(VALU_DEP_1) | instskip(NEXT) | instid1(VALU_DEP_1)
	v_add3_u32 v10, v9, v10, 0x88fffff
	v_lshrrev_b32_e32 v10, 21, v10
	s_or_saveexec_b32 s20, s20
                                        ; implicit-def: $sgpr21
	s_delay_alu instid0(SALU_CYCLE_1)
	s_xor_b32 exec_lo, exec_lo, s20
	s_cbranch_execnz .LBB184_918
.LBB184_822:
	s_or_b32 exec_lo, exec_lo, s20
	v_mov_b32_e32 v11, s21
	s_and_saveexec_b32 s20, s19
.LBB184_823:
	v_lshrrev_b32_e32 v9, 24, v9
	s_delay_alu instid0(VALU_DEP_1)
	v_and_or_b32 v11, 0x80, v9, v10
.LBB184_824:
	s_or_b32 exec_lo, exec_lo, s20
.LBB184_825:
	s_delay_alu instid0(SALU_CYCLE_1)
	s_or_b32 exec_lo, exec_lo, s1
	s_mov_b32 s1, 0
	global_store_b8 v[0:1], v11, off
.LBB184_826:
	s_and_b32 vcc_lo, exec_lo, s1
	s_cbranch_vccz .LBB184_836
; %bb.827:
	v_cvt_f32_f16_e32 v9, v5
	s_mov_b32 s1, exec_lo
                                        ; implicit-def: $vgpr10
	s_delay_alu instid0(VALU_DEP_1) | instskip(NEXT) | instid1(VALU_DEP_1)
	v_and_b32_e32 v11, 0x7fffffff, v9
	v_cmpx_gt_u32_e32 0x43f00000, v11
	s_xor_b32 s1, exec_lo, s1
	s_cbranch_execz .LBB184_833
; %bb.828:
	s_mov_b32 s19, exec_lo
                                        ; implicit-def: $vgpr10
	v_cmpx_lt_u32_e32 0x3c7fffff, v11
	s_xor_b32 s19, exec_lo, s19
; %bb.829:
	v_bfe_u32 v10, v9, 20, 1
	s_delay_alu instid0(VALU_DEP_1) | instskip(NEXT) | instid1(VALU_DEP_1)
	v_add3_u32 v10, v9, v10, 0x407ffff
	v_and_b32_e32 v11, 0xff00000, v10
	v_lshrrev_b32_e32 v10, 20, v10
	s_delay_alu instid0(VALU_DEP_2) | instskip(NEXT) | instid1(VALU_DEP_2)
	v_cmp_ne_u32_e32 vcc_lo, 0x7f00000, v11
	v_cndmask_b32_e32 v10, 0x7e, v10, vcc_lo
; %bb.830:
	s_and_not1_saveexec_b32 s19, s19
; %bb.831:
	v_add_f32_e64 v10, 0x46800000, |v9|
; %bb.832:
	s_or_b32 exec_lo, exec_lo, s19
                                        ; implicit-def: $vgpr11
.LBB184_833:
	s_and_not1_saveexec_b32 s1, s1
; %bb.834:
	v_mov_b32_e32 v10, 0x7f
	v_cmp_lt_u32_e32 vcc_lo, 0x7f800000, v11
	s_delay_alu instid0(VALU_DEP_2)
	v_cndmask_b32_e32 v10, 0x7e, v10, vcc_lo
; %bb.835:
	s_or_b32 exec_lo, exec_lo, s1
	v_lshrrev_b32_e32 v9, 24, v9
	s_delay_alu instid0(VALU_DEP_1)
	v_and_or_b32 v9, 0x80, v9, v10
	global_store_b8 v[0:1], v9, off
.LBB184_836:
	s_mov_b32 s1, 0
.LBB184_837:
	s_delay_alu instid0(SALU_CYCLE_1)
	s_and_not1_b32 vcc_lo, exec_lo, s1
	s_cbranch_vccnz .LBB184_847
; %bb.838:
	v_cvt_f32_f16_e32 v9, v5
	s_mov_b32 s1, exec_lo
                                        ; implicit-def: $vgpr10
	s_delay_alu instid0(VALU_DEP_1) | instskip(NEXT) | instid1(VALU_DEP_1)
	v_and_b32_e32 v11, 0x7fffffff, v9
	v_cmpx_gt_u32_e32 0x47800000, v11
	s_xor_b32 s1, exec_lo, s1
	s_cbranch_execz .LBB184_844
; %bb.839:
	s_mov_b32 s19, exec_lo
                                        ; implicit-def: $vgpr10
	v_cmpx_lt_u32_e32 0x387fffff, v11
	s_xor_b32 s19, exec_lo, s19
; %bb.840:
	v_bfe_u32 v10, v9, 21, 1
	s_delay_alu instid0(VALU_DEP_1) | instskip(NEXT) | instid1(VALU_DEP_1)
	v_add3_u32 v10, v9, v10, 0x80fffff
	v_lshrrev_b32_e32 v10, 21, v10
; %bb.841:
	s_and_not1_saveexec_b32 s19, s19
; %bb.842:
	v_add_f32_e64 v10, 0x43000000, |v9|
; %bb.843:
	s_or_b32 exec_lo, exec_lo, s19
                                        ; implicit-def: $vgpr11
.LBB184_844:
	s_and_not1_saveexec_b32 s1, s1
; %bb.845:
	v_mov_b32_e32 v10, 0x7f
	v_cmp_lt_u32_e32 vcc_lo, 0x7f800000, v11
	s_delay_alu instid0(VALU_DEP_2)
	v_cndmask_b32_e32 v10, 0x7c, v10, vcc_lo
; %bb.846:
	s_or_b32 exec_lo, exec_lo, s1
	v_lshrrev_b32_e32 v9, 24, v9
	s_delay_alu instid0(VALU_DEP_1)
	v_and_or_b32 v9, 0x80, v9, v10
	global_store_b8 v[0:1], v9, off
.LBB184_847:
	s_mov_b32 s19, 0
	s_mov_b32 s1, -1
.LBB184_848:
	s_and_not1_b32 vcc_lo, exec_lo, s19
	s_cbranch_vccnz .LBB184_856
; %bb.849:
	v_cmp_lt_i16_e32 vcc_lo, 14, v6
	s_mov_b32 s19, -1
	s_cbranch_vccz .LBB184_853
; %bb.850:
	v_cmp_eq_u16_e32 vcc_lo, 15, v6
	s_mov_b32 s0, -1
	s_cbranch_vccz .LBB184_852
; %bb.851:
	v_cvt_f32_f16_e32 v9, v5
	v_cmp_o_f16_e32 vcc_lo, v5, v5
	s_mov_b32 s1, -1
	s_mov_b32 s0, 0
	s_delay_alu instid0(VALU_DEP_2) | instskip(NEXT) | instid1(VALU_DEP_1)
	v_bfe_u32 v10, v9, 16, 1
	v_add3_u32 v9, v9, v10, 0x7fff
	s_delay_alu instid0(VALU_DEP_1) | instskip(NEXT) | instid1(VALU_DEP_1)
	v_lshrrev_b32_e32 v9, 16, v9
	v_cndmask_b32_e32 v9, 0x7fc0, v9, vcc_lo
	global_store_b16 v[0:1], v9, off
.LBB184_852:
	s_mov_b32 s19, 0
.LBB184_853:
	s_delay_alu instid0(SALU_CYCLE_1)
	s_and_b32 vcc_lo, exec_lo, s19
	s_cbranch_vccz .LBB184_856
; %bb.854:
	v_cmp_eq_u16_e32 vcc_lo, 11, v6
	s_mov_b32 s0, -1
	s_cbranch_vccz .LBB184_856
; %bb.855:
	v_and_b32_e32 v9, 0x7fff7fff, v7
	s_mov_b32 s0, 0
	s_mov_b32 s1, -1
	s_delay_alu instid0(VALU_DEP_1)
	v_cmp_ne_u32_e32 vcc_lo, 0, v9
	v_cndmask_b32_e64 v9, 0, 1, vcc_lo
	global_store_b8 v[0:1], v9, off
.LBB184_856:
	s_mov_b32 s19, 0
.LBB184_857:
	s_delay_alu instid0(SALU_CYCLE_1)
	s_and_b32 vcc_lo, exec_lo, s19
	s_cbranch_vccz .LBB184_896
; %bb.858:
	v_cmp_gt_i16_e32 vcc_lo, 5, v6
	s_mov_b32 s1, -1
	s_cbranch_vccnz .LBB184_879
; %bb.859:
	v_cmp_gt_i16_e32 vcc_lo, 8, v6
	s_cbranch_vccnz .LBB184_869
; %bb.860:
	v_cmp_gt_i16_e32 vcc_lo, 9, v6
	s_cbranch_vccnz .LBB184_866
; %bb.861:
	v_cmp_lt_i16_e32 vcc_lo, 9, v6
	s_cbranch_vccz .LBB184_863
; %bb.862:
	v_cvt_f32_f16_e32 v9, v5
	v_cvt_f32_f16_e32 v11, v8
	s_mov_b32 s1, 0
	s_delay_alu instid0(VALU_DEP_2) | instskip(NEXT) | instid1(VALU_DEP_2)
	v_cvt_f64_f32_e32 v[9:10], v9
	v_cvt_f64_f32_e32 v[11:12], v11
	global_store_b128 v[0:1], v[9:12], off
.LBB184_863:
	s_and_not1_b32 vcc_lo, exec_lo, s1
	s_cbranch_vccnz .LBB184_865
; %bb.864:
	v_cvt_f32_f16_e32 v9, v5
	v_cvt_f32_f16_e32 v10, v8
	global_store_b64 v[0:1], v[9:10], off
.LBB184_865:
	s_mov_b32 s1, 0
.LBB184_866:
	s_delay_alu instid0(SALU_CYCLE_1)
	s_and_not1_b32 vcc_lo, exec_lo, s1
	s_cbranch_vccnz .LBB184_868
; %bb.867:
	global_store_b32 v[0:1], v7, off
.LBB184_868:
	s_mov_b32 s1, 0
.LBB184_869:
	s_delay_alu instid0(SALU_CYCLE_1)
	s_and_not1_b32 vcc_lo, exec_lo, s1
	s_cbranch_vccnz .LBB184_878
; %bb.870:
	v_cmp_gt_i16_e32 vcc_lo, 6, v6
	s_mov_b32 s1, -1
	s_cbranch_vccnz .LBB184_876
; %bb.871:
	v_cmp_lt_i16_e32 vcc_lo, 6, v6
	s_cbranch_vccz .LBB184_873
; %bb.872:
	v_cvt_f32_f16_e32 v7, v5
	s_mov_b32 s1, 0
	s_delay_alu instid0(VALU_DEP_1)
	v_cvt_f64_f32_e32 v[7:8], v7
	global_store_b64 v[0:1], v[7:8], off
.LBB184_873:
	s_and_not1_b32 vcc_lo, exec_lo, s1
	s_cbranch_vccnz .LBB184_875
; %bb.874:
	v_cvt_f32_f16_e32 v7, v5
	global_store_b32 v[0:1], v7, off
.LBB184_875:
	s_mov_b32 s1, 0
.LBB184_876:
	s_delay_alu instid0(SALU_CYCLE_1)
	s_and_not1_b32 vcc_lo, exec_lo, s1
	s_cbranch_vccnz .LBB184_878
; %bb.877:
	global_store_b16 v[0:1], v5, off
.LBB184_878:
	s_mov_b32 s1, 0
.LBB184_879:
	s_delay_alu instid0(SALU_CYCLE_1)
	s_and_not1_b32 vcc_lo, exec_lo, s1
	s_cbranch_vccnz .LBB184_895
; %bb.880:
	v_cmp_gt_i16_e32 vcc_lo, 2, v6
	s_mov_b32 s1, -1
	s_cbranch_vccnz .LBB184_890
; %bb.881:
	v_cmp_gt_i16_e32 vcc_lo, 3, v6
	s_cbranch_vccnz .LBB184_887
; %bb.882:
	v_cmp_lt_i16_e32 vcc_lo, 3, v6
	s_cbranch_vccz .LBB184_884
; %bb.883:
	v_cvt_f32_f16_e32 v7, v5
	s_mov_b32 s1, 0
	s_delay_alu instid0(VALU_DEP_1) | instskip(NEXT) | instid1(VALU_DEP_1)
	v_cvt_i32_f32_e32 v7, v7
	v_ashrrev_i32_e32 v8, 31, v7
	global_store_b64 v[0:1], v[7:8], off
.LBB184_884:
	s_and_not1_b32 vcc_lo, exec_lo, s1
	s_cbranch_vccnz .LBB184_886
; %bb.885:
	v_cvt_f32_f16_e32 v7, v5
	s_delay_alu instid0(VALU_DEP_1)
	v_cvt_i32_f32_e32 v7, v7
	global_store_b32 v[0:1], v7, off
.LBB184_886:
	s_mov_b32 s1, 0
.LBB184_887:
	s_delay_alu instid0(SALU_CYCLE_1)
	s_and_not1_b32 vcc_lo, exec_lo, s1
	s_cbranch_vccnz .LBB184_889
; %bb.888:
	v_cvt_i16_f16_e32 v7, v5
	global_store_b16 v[0:1], v7, off
.LBB184_889:
	s_mov_b32 s1, 0
.LBB184_890:
	s_delay_alu instid0(SALU_CYCLE_1)
	s_and_not1_b32 vcc_lo, exec_lo, s1
	s_cbranch_vccnz .LBB184_895
; %bb.891:
	v_cmp_lt_i16_e32 vcc_lo, 0, v6
	s_mov_b32 s1, -1
	s_cbranch_vccz .LBB184_893
; %bb.892:
	v_cvt_i16_f16_e32 v6, v5
	s_mov_b32 s1, 0
	global_store_b8 v[0:1], v6, off
.LBB184_893:
	s_and_not1_b32 vcc_lo, exec_lo, s1
	s_cbranch_vccnz .LBB184_895
; %bb.894:
	v_cvt_f32_f16_e32 v5, v5
	s_delay_alu instid0(VALU_DEP_1)
	v_cvt_i32_f32_e32 v5, v5
	global_store_b8 v[0:1], v5, off
.LBB184_895:
	s_mov_b32 s1, -1
.LBB184_896:
	s_delay_alu instid0(SALU_CYCLE_1)
	s_and_not1_b32 vcc_lo, exec_lo, s1
	s_cbranch_vccnz .LBB184_898
; %bb.897:
	v_add_nc_u32_e32 v3, 0x80, v3
	s_mov_b32 s19, -1
	s_branch .LBB184_900
.LBB184_898:
	s_mov_b32 s19, 0
.LBB184_899:
                                        ; implicit-def: $vgpr3
.LBB184_900:
	s_and_not1_b32 s1, s15, exec_lo
	s_and_b32 s0, s0, exec_lo
	s_and_not1_b32 s20, s14, exec_lo
	s_and_b32 s21, s18, exec_lo
	s_or_b32 s18, s1, s0
	s_or_b32 s1, s20, s21
	s_or_not1_b32 s0, s19, exec_lo
.LBB184_901:
	s_or_b32 exec_lo, exec_lo, s17
	s_mov_b32 s19, 0
	s_mov_b32 s20, 0
	;; [unrolled: 1-line block ×3, first 2 shown]
                                        ; implicit-def: $vgpr0_vgpr1
                                        ; implicit-def: $vgpr8
                                        ; implicit-def: $vgpr6
	s_and_saveexec_b32 s17, s0
	s_cbranch_execz .LBB184_989
; %bb.902:
	v_cmp_gt_i32_e32 vcc_lo, s11, v3
	s_mov_b32 s0, 0
	s_mov_b32 s19, s1
                                        ; implicit-def: $vgpr0_vgpr1
                                        ; implicit-def: $vgpr8
                                        ; implicit-def: $vgpr6
	s_and_saveexec_b32 s11, vcc_lo
	s_cbranch_execz .LBB184_988
; %bb.903:
	v_mul_lo_u32 v0, v3, s3
	v_cmp_gt_i16_e32 vcc_lo, 11, v4
	s_delay_alu instid0(VALU_DEP_2) | instskip(SKIP_1) | instid1(VALU_DEP_1)
	v_ashrrev_i32_e32 v1, 31, v0
	v_add_co_u32 v0, s0, s6, v0
	v_add_co_ci_u32_e64 v1, s0, s7, v1, s0
	s_cbranch_vccnz .LBB184_910
; %bb.904:
	v_cmp_lt_i16_e32 vcc_lo, 25, v4
	s_mov_b32 s19, 0
	s_cbranch_vccz .LBB184_911
; %bb.905:
	v_cmp_lt_i16_e32 vcc_lo, 28, v4
	s_cbranch_vccz .LBB184_912
; %bb.906:
	v_cmp_lt_i16_e32 vcc_lo, 43, v4
	;; [unrolled: 3-line block ×3, first 2 shown]
	s_cbranch_vccz .LBB184_916
; %bb.908:
	v_cmp_eq_u16_e32 vcc_lo, 46, v4
	s_cbranch_vccz .LBB184_919
; %bb.909:
	global_load_b32 v5, v[0:1], off
	s_mov_b32 s0, 0
	s_mov_b32 s20, -1
	s_waitcnt vmcnt(0)
	v_lshlrev_b32_e32 v6, 16, v5
	v_and_b32_e32 v5, 0xffff0000, v5
	s_delay_alu instid0(VALU_DEP_2) | instskip(NEXT) | instid1(VALU_DEP_2)
	v_cvt_f16_f32_e32 v6, v6
	v_cvt_f16_f32_e32 v8, v5
	s_branch .LBB184_921
.LBB184_910:
	s_mov_b32 s22, -1
	s_mov_b32 s19, 0
	s_mov_b32 s0, s1
                                        ; implicit-def: $vgpr8
                                        ; implicit-def: $vgpr6
	s_branch .LBB184_987
.LBB184_911:
	s_mov_b32 s21, -1
	s_mov_b32 s0, s1
                                        ; implicit-def: $vgpr8
                                        ; implicit-def: $vgpr6
	s_branch .LBB184_954
.LBB184_912:
	s_mov_b32 s21, -1
	s_mov_b32 s0, s1
                                        ; implicit-def: $vgpr8
                                        ; implicit-def: $vgpr6
	s_branch .LBB184_933
.LBB184_913:
	s_mov_b32 s21, -1
	s_mov_b32 s0, s1
                                        ; implicit-def: $vgpr8
                                        ; implicit-def: $vgpr6
	s_branch .LBB184_927
.LBB184_914:
	s_or_saveexec_b32 s20, s20
                                        ; implicit-def: $sgpr21
	s_delay_alu instid0(SALU_CYCLE_1)
	s_xor_b32 exec_lo, exec_lo, s20
	s_cbranch_execz .LBB184_809
.LBB184_915:
	v_add_f32_e64 v10, 0x46000000, |v9|
	s_and_not1_b32 s19, s19, exec_lo
	s_mov_b32 s21, 0
	s_delay_alu instid0(VALU_DEP_1) | instskip(NEXT) | instid1(VALU_DEP_1)
	v_and_b32_e32 v10, 0xff, v10
	v_cmp_ne_u32_e32 vcc_lo, 0, v10
	s_and_b32 s22, vcc_lo, exec_lo
	s_delay_alu instid0(SALU_CYCLE_1)
	s_or_b32 s19, s19, s22
	s_or_b32 exec_lo, exec_lo, s20
	v_mov_b32_e32 v11, s21
	s_and_saveexec_b32 s20, s19
	s_cbranch_execnz .LBB184_810
	s_branch .LBB184_811
.LBB184_916:
	s_mov_b32 s21, -1
	s_mov_b32 s0, s1
	s_branch .LBB184_920
.LBB184_917:
	s_or_saveexec_b32 s20, s20
                                        ; implicit-def: $sgpr21
	s_delay_alu instid0(SALU_CYCLE_1)
	s_xor_b32 exec_lo, exec_lo, s20
	s_cbranch_execz .LBB184_822
.LBB184_918:
	v_add_f32_e64 v10, 0x42800000, |v9|
	s_and_not1_b32 s19, s19, exec_lo
	s_mov_b32 s21, 0
	s_delay_alu instid0(VALU_DEP_1) | instskip(NEXT) | instid1(VALU_DEP_1)
	v_and_b32_e32 v10, 0xff, v10
	v_cmp_ne_u32_e32 vcc_lo, 0, v10
	s_and_b32 s22, vcc_lo, exec_lo
	s_delay_alu instid0(SALU_CYCLE_1)
	s_or_b32 s19, s19, s22
	s_or_b32 exec_lo, exec_lo, s20
	v_mov_b32_e32 v11, s21
	s_and_saveexec_b32 s20, s19
	s_cbranch_execnz .LBB184_823
	s_branch .LBB184_824
.LBB184_919:
	s_mov_b32 s0, -1
.LBB184_920:
                                        ; implicit-def: $vgpr8
                                        ; implicit-def: $vgpr6
.LBB184_921:
	s_and_b32 vcc_lo, exec_lo, s21
	s_cbranch_vccz .LBB184_926
; %bb.922:
	v_cmp_eq_u16_e32 vcc_lo, 44, v4
	s_cbranch_vccz .LBB184_924
; %bb.923:
	global_load_u8 v5, v[0:1], off
	s_mov_b32 s0, 0
	s_mov_b32 s20, -1
	s_waitcnt vmcnt(0)
	v_lshlrev_b32_e32 v6, 23, v5
	v_cmp_ne_u32_e32 vcc_lo, 0xff, v5
	s_delay_alu instid0(VALU_DEP_2) | instskip(NEXT) | instid1(VALU_DEP_1)
	v_cvt_f16_f32_e32 v6, v6
	v_cndmask_b32_e32 v6, 0x7e00, v6, vcc_lo
	v_cmp_ne_u32_e32 vcc_lo, 0, v5
	s_delay_alu instid0(VALU_DEP_2)
	v_cndmask_b32_e32 v6, 0, v6, vcc_lo
	s_branch .LBB184_925
.LBB184_924:
	s_mov_b32 s0, -1
                                        ; implicit-def: $vgpr6
.LBB184_925:
	s_delay_alu instid0(SALU_CYCLE_1)
	v_mov_b32_e32 v8, s0
.LBB184_926:
	s_mov_b32 s21, 0
.LBB184_927:
	s_delay_alu instid0(SALU_CYCLE_1)
	s_and_b32 vcc_lo, exec_lo, s21
	s_cbranch_vccz .LBB184_932
; %bb.928:
	v_cmp_eq_u16_e32 vcc_lo, 29, v4
	s_cbranch_vccz .LBB184_930
; %bb.929:
	global_load_b64 v[5:6], v[0:1], off
	s_mov_b32 s0, 0
	s_mov_b32 s20, -1
	s_mov_b32 s21, 0
	s_waitcnt vmcnt(0)
	v_clz_i32_u32_e32 v7, v6
	s_delay_alu instid0(VALU_DEP_1) | instskip(NEXT) | instid1(VALU_DEP_1)
	v_min_u32_e32 v7, 32, v7
	v_lshlrev_b64 v[5:6], v7, v[5:6]
	s_delay_alu instid0(VALU_DEP_1) | instskip(NEXT) | instid1(VALU_DEP_1)
	v_min_u32_e32 v5, 1, v5
	v_or_b32_e32 v5, v6, v5
	v_sub_nc_u32_e32 v6, 32, v7
	s_delay_alu instid0(VALU_DEP_2) | instskip(NEXT) | instid1(VALU_DEP_1)
	v_cvt_f32_u32_e32 v5, v5
	v_ldexp_f32 v5, v5, v6
	s_delay_alu instid0(VALU_DEP_1)
	v_cvt_f16_f32_e32 v6, v5
	s_branch .LBB184_931
.LBB184_930:
	s_mov_b32 s0, -1
                                        ; implicit-def: $sgpr21
                                        ; implicit-def: $vgpr6
.LBB184_931:
	v_mov_b32_e32 v8, s21
.LBB184_932:
	s_mov_b32 s21, 0
.LBB184_933:
	s_delay_alu instid0(SALU_CYCLE_1)
	s_and_b32 vcc_lo, exec_lo, s21
	s_cbranch_vccz .LBB184_953
; %bb.934:
	v_cmp_gt_i16_e32 vcc_lo, 27, v4
	s_cbranch_vccnz .LBB184_937
; %bb.935:
	v_cmp_lt_i16_e32 vcc_lo, 27, v4
	s_cbranch_vccz .LBB184_938
; %bb.936:
	global_load_b32 v5, v[0:1], off
	s_mov_b32 s21, 0
	s_mov_b32 s20, 0
	s_waitcnt vmcnt(0)
	v_cvt_f32_u32_e32 v5, v5
	s_delay_alu instid0(VALU_DEP_1)
	v_cvt_f16_f32_e32 v6, v5
	s_branch .LBB184_939
.LBB184_937:
	s_mov_b32 s21, -1
                                        ; implicit-def: $sgpr20
                                        ; implicit-def: $vgpr6
	s_branch .LBB184_942
.LBB184_938:
	s_mov_b32 s21, -1
                                        ; implicit-def: $sgpr20
                                        ; implicit-def: $vgpr6
.LBB184_939:
	s_delay_alu instid0(SALU_CYCLE_1)
	s_and_not1_b32 vcc_lo, exec_lo, s21
	s_cbranch_vccnz .LBB184_941
; %bb.940:
	global_load_u16 v5, v[0:1], off
	s_mov_b32 s20, 0
	s_waitcnt vmcnt(0)
	v_cvt_f16_u16_e32 v6, v5
.LBB184_941:
	s_mov_b32 s21, 0
.LBB184_942:
	v_mov_b32_e32 v8, s20
	s_and_not1_b32 vcc_lo, exec_lo, s21
	s_cbranch_vccnz .LBB184_952
; %bb.943:
	global_load_u8 v5, v[0:1], off
	s_mov_b32 s20, 0
	s_mov_b32 s23, exec_lo
                                        ; implicit-def: $sgpr22
                                        ; implicit-def: $sgpr21
	s_waitcnt vmcnt(0)
	v_cmpx_lt_i16_e32 0x7f, v5
	s_xor_b32 s23, exec_lo, s23
	s_cbranch_execz .LBB184_947
; %bb.944:
	s_mov_b32 s20, -1
	s_mov_b32 s24, exec_lo
                                        ; implicit-def: $sgpr22
                                        ; implicit-def: $sgpr21
	v_cmpx_eq_u16_e32 0x80, v5
; %bb.945:
	s_movk_i32 s21, 0x7e00
	s_mov_b32 s22, 0
	s_xor_b32 s20, exec_lo, -1
; %bb.946:
	s_or_b32 exec_lo, exec_lo, s24
	s_delay_alu instid0(SALU_CYCLE_1)
	s_and_b32 s20, s20, exec_lo
.LBB184_947:
	s_or_saveexec_b32 s23, s23
	v_mov_b32_e32 v8, s22
	v_mov_b32_e32 v6, s21
	s_xor_b32 exec_lo, exec_lo, s23
; %bb.948:
	v_cmp_ne_u16_e32 vcc_lo, 0, v5
	v_mov_b32_e32 v8, 0
	v_mov_b32_e32 v6, v5
	s_and_not1_b32 s20, s20, exec_lo
	s_and_b32 s21, vcc_lo, exec_lo
	s_delay_alu instid0(SALU_CYCLE_1)
	s_or_b32 s20, s20, s21
; %bb.949:
	s_or_b32 exec_lo, exec_lo, s23
	s_and_saveexec_b32 s21, s20
	s_cbranch_execz .LBB184_951
; %bb.950:
	v_and_b32_e32 v6, 0xffff, v5
	v_lshlrev_b32_e32 v5, 24, v5
	s_delay_alu instid0(VALU_DEP_2) | instskip(NEXT) | instid1(VALU_DEP_2)
	v_and_b32_e32 v7, 7, v6
	v_and_b32_e32 v5, 0x80000000, v5
	s_delay_alu instid0(VALU_DEP_2) | instskip(NEXT) | instid1(VALU_DEP_1)
	v_clz_i32_u32_e32 v8, v7
	v_min_u32_e32 v8, 32, v8
	s_delay_alu instid0(VALU_DEP_1) | instskip(SKIP_1) | instid1(VALU_DEP_2)
	v_subrev_nc_u32_e32 v9, 28, v8
	v_sub_nc_u32_e32 v8, 29, v8
	v_lshlrev_b32_e32 v9, v9, v6
	v_bfe_u32 v6, v6, 3, 4
	s_delay_alu instid0(VALU_DEP_1) | instskip(NEXT) | instid1(VALU_DEP_4)
	v_cmp_eq_u32_e32 vcc_lo, 0, v6
	v_cndmask_b32_e32 v6, v6, v8, vcc_lo
	s_delay_alu instid0(VALU_DEP_4) | instskip(NEXT) | instid1(VALU_DEP_2)
	v_dual_mov_b32 v8, 0 :: v_dual_and_b32 v9, 7, v9
	v_lshl_add_u32 v6, v6, 23, 0x3b800000
	s_delay_alu instid0(VALU_DEP_2) | instskip(NEXT) | instid1(VALU_DEP_1)
	v_cndmask_b32_e32 v7, v7, v9, vcc_lo
	v_lshlrev_b32_e32 v7, 20, v7
	s_delay_alu instid0(VALU_DEP_1) | instskip(NEXT) | instid1(VALU_DEP_1)
	v_or3_b32 v5, v5, v6, v7
	v_cvt_f16_f32_e32 v6, v5
.LBB184_951:
	s_or_b32 exec_lo, exec_lo, s21
.LBB184_952:
	s_mov_b32 s20, -1
.LBB184_953:
	s_mov_b32 s21, 0
.LBB184_954:
	s_delay_alu instid0(SALU_CYCLE_1)
	s_and_b32 vcc_lo, exec_lo, s21
	s_cbranch_vccz .LBB184_986
; %bb.955:
	v_cmp_lt_i16_e32 vcc_lo, 22, v4
	s_cbranch_vccz .LBB184_967
; %bb.956:
	v_cmp_gt_i16_e32 vcc_lo, 24, v4
	s_cbranch_vccnz .LBB184_968
; %bb.957:
	v_cmp_lt_i16_e32 vcc_lo, 24, v4
	s_cbranch_vccz .LBB184_969
; %bb.958:
	global_load_u8 v5, v[0:1], off
	s_mov_b32 s22, exec_lo
                                        ; implicit-def: $sgpr21
                                        ; implicit-def: $sgpr20
	s_waitcnt vmcnt(0)
	v_cmpx_lt_i16_e32 0x7f, v5
	s_xor_b32 s22, exec_lo, s22
	s_cbranch_execz .LBB184_962
; %bb.959:
	s_mov_b32 s19, -1
	s_mov_b32 s23, exec_lo
                                        ; implicit-def: $sgpr21
                                        ; implicit-def: $sgpr20
	v_cmpx_eq_u16_e32 0x80, v5
; %bb.960:
	s_movk_i32 s20, 0x7e00
	s_mov_b32 s21, 0
	s_xor_b32 s19, exec_lo, -1
; %bb.961:
	s_or_b32 exec_lo, exec_lo, s23
	s_delay_alu instid0(SALU_CYCLE_1)
	s_and_b32 s19, s19, exec_lo
.LBB184_962:
	s_or_saveexec_b32 s22, s22
	v_mov_b32_e32 v8, s21
	v_mov_b32_e32 v6, s20
	s_xor_b32 exec_lo, exec_lo, s22
; %bb.963:
	v_cmp_ne_u16_e32 vcc_lo, 0, v5
	v_mov_b32_e32 v8, 0
	v_mov_b32_e32 v6, v5
	s_and_not1_b32 s19, s19, exec_lo
	s_and_b32 s20, vcc_lo, exec_lo
	s_delay_alu instid0(SALU_CYCLE_1)
	s_or_b32 s19, s19, s20
; %bb.964:
	s_or_b32 exec_lo, exec_lo, s22
	s_and_saveexec_b32 s20, s19
	s_cbranch_execz .LBB184_966
; %bb.965:
	v_and_b32_e32 v6, 0xffff, v5
	v_lshlrev_b32_e32 v5, 24, v5
	s_delay_alu instid0(VALU_DEP_2) | instskip(NEXT) | instid1(VALU_DEP_2)
	v_and_b32_e32 v7, 3, v6
	v_and_b32_e32 v5, 0x80000000, v5
	s_delay_alu instid0(VALU_DEP_2) | instskip(NEXT) | instid1(VALU_DEP_1)
	v_clz_i32_u32_e32 v8, v7
	v_min_u32_e32 v8, 32, v8
	s_delay_alu instid0(VALU_DEP_1) | instskip(SKIP_1) | instid1(VALU_DEP_2)
	v_subrev_nc_u32_e32 v9, 29, v8
	v_sub_nc_u32_e32 v8, 30, v8
	v_lshlrev_b32_e32 v9, v9, v6
	v_bfe_u32 v6, v6, 2, 5
	s_delay_alu instid0(VALU_DEP_1) | instskip(NEXT) | instid1(VALU_DEP_4)
	v_cmp_eq_u32_e32 vcc_lo, 0, v6
	v_cndmask_b32_e32 v6, v6, v8, vcc_lo
	s_delay_alu instid0(VALU_DEP_4) | instskip(NEXT) | instid1(VALU_DEP_2)
	v_dual_mov_b32 v8, 0 :: v_dual_and_b32 v9, 3, v9
	v_lshl_add_u32 v6, v6, 23, 0x37800000
	s_delay_alu instid0(VALU_DEP_2) | instskip(NEXT) | instid1(VALU_DEP_1)
	v_cndmask_b32_e32 v7, v7, v9, vcc_lo
	v_lshlrev_b32_e32 v7, 21, v7
	s_delay_alu instid0(VALU_DEP_1) | instskip(NEXT) | instid1(VALU_DEP_1)
	v_or3_b32 v5, v5, v6, v7
	v_cvt_f16_f32_e32 v6, v5
.LBB184_966:
	s_or_b32 exec_lo, exec_lo, s20
	s_mov_b32 s19, 0
	s_branch .LBB184_970
.LBB184_967:
	s_mov_b32 s19, -1
                                        ; implicit-def: $vgpr8
                                        ; implicit-def: $vgpr6
	s_branch .LBB184_976
.LBB184_968:
	s_mov_b32 s19, -1
                                        ; implicit-def: $vgpr8
                                        ; implicit-def: $vgpr6
	s_branch .LBB184_973
.LBB184_969:
	s_mov_b32 s19, -1
                                        ; implicit-def: $vgpr8
                                        ; implicit-def: $vgpr6
.LBB184_970:
	s_delay_alu instid0(SALU_CYCLE_1)
	s_and_b32 vcc_lo, exec_lo, s19
	s_cbranch_vccz .LBB184_972
; %bb.971:
	global_load_u8 v5, v[0:1], off
	s_waitcnt vmcnt(0)
	v_lshlrev_b32_e32 v5, 24, v5
	s_delay_alu instid0(VALU_DEP_1) | instskip(NEXT) | instid1(VALU_DEP_1)
	v_and_b32_e32 v6, 0x7f000000, v5
	v_clz_i32_u32_e32 v7, v6
	v_add_nc_u32_e32 v9, 0x1000000, v6
	v_cmp_ne_u32_e32 vcc_lo, 0, v6
	s_delay_alu instid0(VALU_DEP_3) | instskip(NEXT) | instid1(VALU_DEP_1)
	v_min_u32_e32 v7, 32, v7
	v_sub_nc_u32_e64 v7, v7, 4 clamp
	s_delay_alu instid0(VALU_DEP_1) | instskip(SKIP_1) | instid1(VALU_DEP_2)
	v_lshlrev_b32_e32 v8, v7, v6
	v_lshlrev_b32_e32 v7, 23, v7
	v_lshrrev_b32_e32 v8, 4, v8
	s_delay_alu instid0(VALU_DEP_1) | instskip(SKIP_1) | instid1(VALU_DEP_2)
	v_sub_nc_u32_e32 v7, v8, v7
	v_ashrrev_i32_e32 v8, 8, v9
	v_add_nc_u32_e32 v7, 0x3c000000, v7
	s_delay_alu instid0(VALU_DEP_1) | instskip(SKIP_1) | instid1(VALU_DEP_2)
	v_and_or_b32 v7, 0x7f800000, v8, v7
	v_mov_b32_e32 v8, 0
	v_cndmask_b32_e32 v6, 0, v7, vcc_lo
	s_delay_alu instid0(VALU_DEP_1) | instskip(NEXT) | instid1(VALU_DEP_1)
	v_and_or_b32 v5, 0x80000000, v5, v6
	v_cvt_f16_f32_e32 v6, v5
.LBB184_972:
	s_mov_b32 s19, 0
.LBB184_973:
	s_delay_alu instid0(SALU_CYCLE_1)
	s_and_not1_b32 vcc_lo, exec_lo, s19
	s_cbranch_vccnz .LBB184_975
; %bb.974:
	global_load_u8 v5, v[0:1], off
	s_waitcnt vmcnt(0)
	v_lshlrev_b32_e32 v6, 25, v5
	v_lshlrev_b16 v5, 8, v5
	s_delay_alu instid0(VALU_DEP_2) | instskip(NEXT) | instid1(VALU_DEP_2)
	v_lshrrev_b32_e32 v7, 4, v6
	v_and_or_b32 v8, 0x7f00, v5, 0.5
	v_bfe_i32 v5, v5, 0, 16
	s_delay_alu instid0(VALU_DEP_3) | instskip(NEXT) | instid1(VALU_DEP_1)
	v_or_b32_e32 v7, 0x70000000, v7
	v_dual_add_f32 v8, -0.5, v8 :: v_dual_mul_f32 v7, 0x7800000, v7
	v_cmp_gt_u32_e32 vcc_lo, 0x8000000, v6
	s_delay_alu instid0(VALU_DEP_2) | instskip(SKIP_1) | instid1(VALU_DEP_2)
	v_cndmask_b32_e32 v6, v7, v8, vcc_lo
	v_mov_b32_e32 v8, 0
	v_and_or_b32 v5, 0x80000000, v5, v6
	s_delay_alu instid0(VALU_DEP_1)
	v_cvt_f16_f32_e32 v6, v5
.LBB184_975:
	s_mov_b32 s19, 0
	s_mov_b32 s20, -1
.LBB184_976:
	s_and_not1_b32 vcc_lo, exec_lo, s19
	s_mov_b32 s19, 0
	s_cbranch_vccnz .LBB184_986
; %bb.977:
	v_cmp_lt_i16_e32 vcc_lo, 14, v4
	s_cbranch_vccz .LBB184_980
; %bb.978:
	v_cmp_eq_u16_e32 vcc_lo, 15, v4
	s_cbranch_vccz .LBB184_981
; %bb.979:
	global_load_u16 v5, v[0:1], off
	s_mov_b32 s0, 0
	s_mov_b32 s20, -1
	s_mov_b32 s21, 0
	s_waitcnt vmcnt(0)
	v_lshlrev_b32_e32 v5, 16, v5
	s_delay_alu instid0(VALU_DEP_1)
	v_cvt_f16_f32_e32 v6, v5
	s_branch .LBB184_983
.LBB184_980:
	s_mov_b32 s19, -1
	s_branch .LBB184_982
.LBB184_981:
	s_mov_b32 s0, -1
.LBB184_982:
                                        ; implicit-def: $sgpr21
                                        ; implicit-def: $vgpr6
.LBB184_983:
	s_and_b32 vcc_lo, exec_lo, s19
	s_mov_b32 s19, 0
	s_cbranch_vccz .LBB184_985
; %bb.984:
	v_cmp_ne_u16_e32 vcc_lo, 11, v4
	s_and_not1_b32 s0, s0, exec_lo
	s_mov_b32 s19, -1
                                        ; implicit-def: $vgpr6
	s_and_b32 s21, vcc_lo, exec_lo
	s_delay_alu instid0(SALU_CYCLE_1)
	s_or_b32 s0, s0, s21
                                        ; implicit-def: $sgpr21
.LBB184_985:
	v_mov_b32_e32 v8, s21
.LBB184_986:
	s_mov_b32 s22, 0
.LBB184_987:
	s_and_b32 s21, s20, exec_lo
	s_and_b32 s20, s22, exec_lo
	s_and_not1_b32 s22, s1, exec_lo
	s_and_b32 s23, s0, exec_lo
	s_and_b32 s0, s19, exec_lo
	s_or_b32 s19, s22, s23
.LBB184_988:
	s_or_b32 exec_lo, exec_lo, s11
	s_delay_alu instid0(SALU_CYCLE_1)
	s_and_not1_b32 s1, s1, exec_lo
	s_and_b32 s11, s19, exec_lo
	s_and_b32 s21, s21, exec_lo
	s_and_b32 s20, s20, exec_lo
	s_and_b32 s19, s0, exec_lo
	s_or_b32 s1, s1, s11
.LBB184_989:
	s_or_b32 exec_lo, exec_lo, s17
	s_delay_alu instid0(SALU_CYCLE_1)
	s_and_not1_b32 s0, s15, exec_lo
	s_and_b32 s11, s18, exec_lo
	s_and_b32 s17, s20, exec_lo
	s_or_b32 s15, s0, s11
	s_and_not1_b32 s11, s14, exec_lo
	s_and_b32 s14, s1, exec_lo
	s_and_b32 s0, s21, exec_lo
	;; [unrolled: 1-line block ×3, first 2 shown]
	s_or_b32 s14, s11, s14
.LBB184_990:
	s_or_b32 exec_lo, exec_lo, s16
	s_delay_alu instid0(SALU_CYCLE_1)
	s_and_not1_b32 s10, s10, exec_lo
	s_and_b32 s11, s15, exec_lo
	s_and_b32 s0, s0, exec_lo
	s_or_b32 s10, s10, s11
	s_and_not1_b32 s11, s12, exec_lo
	s_and_b32 s12, s14, exec_lo
	s_and_b32 s15, s17, exec_lo
	;; [unrolled: 1-line block ×3, first 2 shown]
	s_or_b32 s12, s11, s12
.LBB184_991:
	s_or_b32 exec_lo, exec_lo, s13
	s_mov_b32 s11, 0
	s_and_saveexec_b32 s1, s12
	s_cbranch_execnz .LBB184_1003
; %bb.992:
	s_or_b32 exec_lo, exec_lo, s1
	s_and_saveexec_b32 s1, s14
	s_delay_alu instid0(SALU_CYCLE_1)
	s_xor_b32 s1, exec_lo, s1
	s_cbranch_execz .LBB184_994
.LBB184_993:
	global_load_u8 v5, v[0:1], off
	v_mov_b32_e32 v8, 0
	s_or_b32 s0, s0, exec_lo
	s_waitcnt vmcnt(0)
	v_cmp_ne_u16_e32 vcc_lo, 0, v5
	v_cndmask_b32_e64 v6, 0, 0x3c00, vcc_lo
.LBB184_994:
	s_or_b32 exec_lo, exec_lo, s1
	s_and_saveexec_b32 s1, s15
	s_cbranch_execz .LBB184_1044
; %bb.995:
	v_cmp_gt_i16_e32 vcc_lo, 5, v4
	s_cbranch_vccnz .LBB184_1000
; %bb.996:
	v_cmp_gt_i16_e32 vcc_lo, 8, v4
	s_cbranch_vccnz .LBB184_1001
	;; [unrolled: 3-line block ×3, first 2 shown]
; %bb.998:
	v_cmp_lt_i16_e32 vcc_lo, 9, v4
	s_cbranch_vccz .LBB184_1005
; %bb.999:
	global_load_b128 v[5:8], v[0:1], off
	s_mov_b32 s12, 0
	s_waitcnt vmcnt(0)
	v_cvt_f32_f64_e32 v5, v[5:6]
	v_cvt_f32_f64_e32 v7, v[7:8]
	s_delay_alu instid0(VALU_DEP_2) | instskip(NEXT) | instid1(VALU_DEP_2)
	v_cvt_f16_f32_e32 v6, v5
	v_cvt_f16_f32_e32 v8, v7
	s_branch .LBB184_1006
.LBB184_1000:
                                        ; implicit-def: $vgpr8
                                        ; implicit-def: $vgpr6
	s_branch .LBB184_1024
.LBB184_1001:
                                        ; implicit-def: $vgpr8
                                        ; implicit-def: $vgpr6
	s_branch .LBB184_1012
.LBB184_1002:
	s_mov_b32 s12, -1
                                        ; implicit-def: $vgpr8
                                        ; implicit-def: $vgpr6
	s_branch .LBB184_1009
.LBB184_1003:
	s_cbranch_execnz .LBB184_1091
; %bb.1004:
	s_mov_b32 s11, exec_lo
	s_and_not1_b32 s14, s14, exec_lo
                                        ; implicit-def: $vgpr8
                                        ; implicit-def: $vgpr6
	s_or_b32 exec_lo, exec_lo, s1
	s_and_saveexec_b32 s1, s14
	s_delay_alu instid0(SALU_CYCLE_1)
	s_xor_b32 s1, exec_lo, s1
	s_cbranch_execnz .LBB184_993
	s_branch .LBB184_994
.LBB184_1005:
	s_mov_b32 s12, -1
                                        ; implicit-def: $vgpr8
                                        ; implicit-def: $vgpr6
.LBB184_1006:
	s_delay_alu instid0(SALU_CYCLE_1)
	s_and_not1_b32 vcc_lo, exec_lo, s12
	s_cbranch_vccnz .LBB184_1008
; %bb.1007:
	global_load_b64 v[6:7], v[0:1], off
	s_waitcnt vmcnt(0)
	v_cvt_f16_f32_e32 v6, v6
	v_cvt_f16_f32_e32 v8, v7
.LBB184_1008:
	s_mov_b32 s12, 0
.LBB184_1009:
	s_delay_alu instid0(SALU_CYCLE_1)
	s_and_not1_b32 vcc_lo, exec_lo, s12
	s_cbranch_vccnz .LBB184_1011
; %bb.1010:
	global_load_b32 v6, v[0:1], off
	s_waitcnt vmcnt(0)
	v_lshrrev_b32_e32 v8, 16, v6
.LBB184_1011:
	s_cbranch_execnz .LBB184_1023
.LBB184_1012:
	v_cmp_gt_i16_e32 vcc_lo, 6, v4
	s_cbranch_vccnz .LBB184_1015
; %bb.1013:
	v_cmp_lt_i16_e32 vcc_lo, 6, v4
	s_cbranch_vccz .LBB184_1016
; %bb.1014:
	global_load_b64 v[5:6], v[0:1], off
	s_mov_b32 s13, 0
	s_mov_b32 s12, 0
	s_waitcnt vmcnt(0)
	v_cvt_f32_f64_e32 v5, v[5:6]
	s_delay_alu instid0(VALU_DEP_1)
	v_cvt_f16_f32_e32 v6, v5
	s_branch .LBB184_1017
.LBB184_1015:
	s_mov_b32 s13, -1
                                        ; implicit-def: $sgpr12
                                        ; implicit-def: $vgpr6
	s_branch .LBB184_1020
.LBB184_1016:
	s_mov_b32 s13, -1
                                        ; implicit-def: $sgpr12
                                        ; implicit-def: $vgpr6
.LBB184_1017:
	s_delay_alu instid0(SALU_CYCLE_1)
	s_and_not1_b32 vcc_lo, exec_lo, s13
	s_cbranch_vccnz .LBB184_1019
; %bb.1018:
	global_load_b32 v5, v[0:1], off
	s_mov_b32 s12, 0
	s_waitcnt vmcnt(0)
	v_cvt_f16_f32_e32 v6, v5
.LBB184_1019:
	s_mov_b32 s13, 0
.LBB184_1020:
	s_delay_alu instid0(SALU_CYCLE_1)
	s_and_not1_b32 vcc_lo, exec_lo, s13
	s_cbranch_vccnz .LBB184_1022
; %bb.1021:
	global_load_u16 v6, v[0:1], off
	s_mov_b32 s12, 0
.LBB184_1022:
	s_delay_alu instid0(SALU_CYCLE_1)
	v_mov_b32_e32 v8, s12
.LBB184_1023:
	s_cbranch_execnz .LBB184_1043
.LBB184_1024:
	v_cmp_gt_i16_e32 vcc_lo, 2, v4
	s_cbranch_vccnz .LBB184_1028
; %bb.1025:
	v_cmp_gt_i16_e32 vcc_lo, 3, v4
	s_cbranch_vccnz .LBB184_1029
; %bb.1026:
	v_cmp_lt_i16_e32 vcc_lo, 3, v4
	s_cbranch_vccz .LBB184_1030
; %bb.1027:
	global_load_b64 v[5:6], v[0:1], off
	s_mov_b32 s13, 0
	s_mov_b32 s12, 0
	s_waitcnt vmcnt(0)
	v_xor_b32_e32 v7, v5, v6
	v_cls_i32_e32 v8, v6
	s_delay_alu instid0(VALU_DEP_2) | instskip(NEXT) | instid1(VALU_DEP_2)
	v_ashrrev_i32_e32 v7, 31, v7
	v_add_nc_u32_e32 v8, -1, v8
	s_delay_alu instid0(VALU_DEP_2) | instskip(NEXT) | instid1(VALU_DEP_1)
	v_add_nc_u32_e32 v7, 32, v7
	v_min_u32_e32 v7, v8, v7
	s_delay_alu instid0(VALU_DEP_1) | instskip(NEXT) | instid1(VALU_DEP_1)
	v_lshlrev_b64 v[5:6], v7, v[5:6]
	v_min_u32_e32 v5, 1, v5
	s_delay_alu instid0(VALU_DEP_1) | instskip(SKIP_1) | instid1(VALU_DEP_2)
	v_or_b32_e32 v5, v6, v5
	v_sub_nc_u32_e32 v6, 32, v7
	v_cvt_f32_i32_e32 v5, v5
	s_delay_alu instid0(VALU_DEP_1) | instskip(NEXT) | instid1(VALU_DEP_1)
	v_ldexp_f32 v5, v5, v6
	v_cvt_f16_f32_e32 v6, v5
	s_branch .LBB184_1031
.LBB184_1028:
                                        ; implicit-def: $sgpr12
                                        ; implicit-def: $vgpr6
	s_branch .LBB184_1037
.LBB184_1029:
	s_mov_b32 s13, -1
                                        ; implicit-def: $sgpr12
                                        ; implicit-def: $vgpr6
	s_branch .LBB184_1034
.LBB184_1030:
	s_mov_b32 s13, -1
                                        ; implicit-def: $sgpr12
                                        ; implicit-def: $vgpr6
.LBB184_1031:
	s_delay_alu instid0(SALU_CYCLE_1)
	s_and_not1_b32 vcc_lo, exec_lo, s13
	s_cbranch_vccnz .LBB184_1033
; %bb.1032:
	global_load_b32 v5, v[0:1], off
	s_mov_b32 s12, 0
	s_waitcnt vmcnt(0)
	v_cvt_f32_i32_e32 v5, v5
	s_delay_alu instid0(VALU_DEP_1)
	v_cvt_f16_f32_e32 v6, v5
.LBB184_1033:
	s_mov_b32 s13, 0
.LBB184_1034:
	s_delay_alu instid0(SALU_CYCLE_1)
	s_and_not1_b32 vcc_lo, exec_lo, s13
	s_cbranch_vccnz .LBB184_1036
; %bb.1035:
	global_load_u16 v5, v[0:1], off
	s_mov_b32 s12, 0
	s_waitcnt vmcnt(0)
	v_cvt_f16_i16_e32 v6, v5
.LBB184_1036:
	s_cbranch_execnz .LBB184_1042
.LBB184_1037:
	v_cmp_lt_i16_e32 vcc_lo, 0, v4
	s_mov_b32 s13, 0
	s_cbranch_vccz .LBB184_1039
; %bb.1038:
	global_load_i8 v4, v[0:1], off
	s_mov_b32 s12, 0
	s_waitcnt vmcnt(0)
	v_cvt_f16_i16_e32 v6, v4
	s_branch .LBB184_1040
.LBB184_1039:
	s_mov_b32 s13, -1
                                        ; implicit-def: $sgpr12
                                        ; implicit-def: $vgpr6
.LBB184_1040:
	s_delay_alu instid0(SALU_CYCLE_1)
	s_and_not1_b32 vcc_lo, exec_lo, s13
	s_cbranch_vccnz .LBB184_1042
; %bb.1041:
	global_load_u8 v0, v[0:1], off
	s_mov_b32 s12, 0
	s_waitcnt vmcnt(0)
	v_cvt_f16_u16_e32 v6, v0
.LBB184_1042:
	v_mov_b32_e32 v8, s12
.LBB184_1043:
	s_or_b32 s0, s0, exec_lo
.LBB184_1044:
	s_or_b32 exec_lo, exec_lo, s1
	s_mov_b32 s13, 0
	s_mov_b32 s1, 0
                                        ; implicit-def: $vgpr5
                                        ; implicit-def: $vgpr0_vgpr1
                                        ; implicit-def: $vgpr9
                                        ; implicit-def: $vgpr7
                                        ; implicit-def: $vgpr4
	s_and_saveexec_b32 s12, s0
	s_cbranch_execz .LBB184_1162
; %bb.1045:
	s_waitcnt vmcnt(0)
	v_cmp_neq_f16_e32 vcc_lo, 0, v6
	v_cmp_neq_f16_e64 s0, 0, v8
	v_cvt_f32_f16_e32 v0, v8
	v_mov_b32_e32 v1, 0
	s_delay_alu instid0(VALU_DEP_3) | instskip(NEXT) | instid1(SALU_CYCLE_1)
	s_or_b32 s0, vcc_lo, s0
	s_and_saveexec_b32 s13, s0
	s_cbranch_execz .LBB184_1075
; %bb.1046:
	v_mov_b32_e32 v1, 0x7f800000
	s_mov_b32 s14, exec_lo
	v_cmpx_neq_f32_e64 0x7f800000, |v0|
	s_cbranch_execz .LBB184_1074
; %bb.1047:
	v_cvt_f32_f16_e32 v1, v6
	s_mov_b32 s0, exec_lo
	v_cmpx_o_f16_e32 v6, v6
	s_xor_b32 s15, exec_lo, s0
	s_cbranch_execz .LBB184_1071
; %bb.1048:
	s_mov_b32 s1, exec_lo
	v_cmpx_neq_f32_e64 0x7f800000, |v1|
	s_xor_b32 s16, exec_lo, s1
	s_cbranch_execz .LBB184_1064
; %bb.1049:
	v_max_f32_e64 v4, |v0|, |v0|
	v_max_f32_e64 v5, |v1|, |v1|
                                        ; implicit-def: $sgpr17
	s_delay_alu instid0(VALU_DEP_1) | instskip(NEXT) | instid1(VALU_DEP_1)
	v_max_f32_e32 v4, v5, v4
	v_cmp_nle_f32_e64 s0, 0x7ed413cb, v4
	s_delay_alu instid0(VALU_DEP_1) | instskip(NEXT) | instid1(SALU_CYCLE_1)
	s_and_saveexec_b32 s1, s0
	s_xor_b32 s1, exec_lo, s1
	s_cbranch_execz .LBB184_1053
; %bb.1050:
	v_cmp_ge_f32_e64 s17, 0x1000000, |v1|
	v_cmp_ge_f32_e64 s18, 0x1000000, |v0|
	s_delay_alu instid0(VALU_DEP_1)
	s_and_b32 s19, s17, s18
	s_mov_b32 s17, 0
	s_and_saveexec_b32 s18, s19
; %bb.1051:
	v_dual_mul_f32 v0, 4.0, v0 :: v_dual_mul_f32 v1, 4.0, v1
	s_mov_b32 s17, exec_lo
; %bb.1052:
	s_or_b32 exec_lo, exec_lo, s18
	s_delay_alu instid0(SALU_CYCLE_1)
	s_and_b32 s17, s17, exec_lo
.LBB184_1053:
	s_and_not1_saveexec_b32 s1, s1
; %bb.1054:
	v_dual_mul_f32 v1, 0x3e800000, v1 :: v_dual_mul_f32 v0, 0x3e800000, v0
	s_and_not1_b32 s17, s17, exec_lo
; %bb.1055:
	s_or_b32 exec_lo, exec_lo, s1
	s_delay_alu instid0(VALU_DEP_1) | instskip(NEXT) | instid1(VALU_DEP_2)
	v_max_f32_e64 v4, |v0|, |v0|
	v_max_f32_e64 v5, |v1|, |v1|
	s_delay_alu instid0(VALU_DEP_1) | instskip(NEXT) | instid1(VALU_DEP_1)
	v_max_f32_e32 v6, v5, v4
	v_cvt_f64_f32_e32 v[4:5], v6
	s_delay_alu instid0(VALU_DEP_1) | instskip(NEXT) | instid1(VALU_DEP_1)
	v_frexp_exp_i32_f64_e32 v4, v[4:5]
	v_sub_nc_u32_e32 v5, 0, v4
	s_delay_alu instid0(VALU_DEP_1) | instskip(SKIP_1) | instid1(VALU_DEP_2)
	v_ldexp_f32 v7, |v0|, v5
	v_ldexp_f32 v5, |v1|, v5
	v_mul_f32_e32 v7, v7, v7
	v_cmp_neq_f32_e64 s1, 0x7f800000, v6
	s_delay_alu instid0(VALU_DEP_2) | instskip(NEXT) | instid1(VALU_DEP_1)
	v_fmac_f32_e32 v7, v5, v5
	v_sqrt_f32_e32 v5, v7
	s_waitcnt_depctr 0xfff
	v_ldexp_f32 v4, v5, v4
                                        ; implicit-def: $vgpr5
	s_delay_alu instid0(VALU_DEP_1)
	v_cndmask_b32_e64 v6, 0x7f800000, v4, s1
                                        ; implicit-def: $vgpr4
	s_mov_b32 s1, exec_lo
	v_cmpx_le_f32_e32 0, v1
	s_xor_b32 s18, exec_lo, s1
	s_cbranch_execz .LBB184_1057
; %bb.1056:
	v_add_f32_e32 v1, v1, v6
	s_delay_alu instid0(VALU_DEP_1) | instskip(NEXT) | instid1(VALU_DEP_1)
	v_mul_f32_e32 v1, 0.5, v1
	v_mul_f32_e32 v4, 0x4f800000, v1
	v_cmp_gt_f32_e32 vcc_lo, 0xf800000, v1
	s_delay_alu instid0(VALU_DEP_2) | instskip(NEXT) | instid1(VALU_DEP_1)
	v_cndmask_b32_e32 v1, v1, v4, vcc_lo
	v_sqrt_f32_e32 v4, v1
	s_waitcnt_depctr 0xfff
	v_add_nc_u32_e32 v5, -1, v4
	v_add_nc_u32_e32 v6, 1, v4
	s_delay_alu instid0(VALU_DEP_2) | instskip(NEXT) | instid1(VALU_DEP_2)
	v_fma_f32 v7, -v5, v4, v1
	v_fma_f32 v8, -v6, v4, v1
	s_delay_alu instid0(VALU_DEP_2) | instskip(NEXT) | instid1(VALU_DEP_1)
	v_cmp_ge_f32_e64 s1, 0, v7
	v_cndmask_b32_e64 v4, v4, v5, s1
	s_delay_alu instid0(VALU_DEP_3) | instskip(NEXT) | instid1(VALU_DEP_1)
	v_cmp_lt_f32_e64 s1, 0, v8
	v_cndmask_b32_e64 v4, v4, v6, s1
	s_delay_alu instid0(VALU_DEP_1) | instskip(NEXT) | instid1(VALU_DEP_1)
	v_mul_f32_e32 v5, 0x37800000, v4
	v_cndmask_b32_e32 v4, v4, v5, vcc_lo
	v_cmp_class_f32_e64 vcc_lo, v1, 0x260
	s_delay_alu instid0(VALU_DEP_2) | instskip(NEXT) | instid1(VALU_DEP_1)
	v_cndmask_b32_e32 v4, v4, v1, vcc_lo
	v_add_f32_e32 v1, v4, v4
	s_delay_alu instid0(VALU_DEP_1) | instskip(NEXT) | instid1(VALU_DEP_1)
	v_div_scale_f32 v5, null, v1, v1, v0
	v_rcp_f32_e32 v6, v5
	s_waitcnt_depctr 0xfff
	v_fma_f32 v7, -v5, v6, 1.0
	s_delay_alu instid0(VALU_DEP_1) | instskip(SKIP_1) | instid1(VALU_DEP_1)
	v_fmac_f32_e32 v6, v7, v6
	v_div_scale_f32 v7, vcc_lo, v0, v1, v0
	v_mul_f32_e32 v8, v7, v6
	s_delay_alu instid0(VALU_DEP_1) | instskip(NEXT) | instid1(VALU_DEP_1)
	v_fma_f32 v9, -v5, v8, v7
	v_fmac_f32_e32 v8, v9, v6
	s_delay_alu instid0(VALU_DEP_1) | instskip(NEXT) | instid1(VALU_DEP_1)
	v_fma_f32 v5, -v5, v8, v7
	v_div_fmas_f32 v5, v5, v6, v8
                                        ; implicit-def: $vgpr6
	s_delay_alu instid0(VALU_DEP_1)
	v_div_fixup_f32 v5, v5, v1, v0
                                        ; implicit-def: $vgpr1
                                        ; implicit-def: $vgpr0
	s_and_not1_saveexec_b32 s18, s18
	s_cbranch_execz .LBB184_1059
	s_branch .LBB184_1058
.LBB184_1057:
	s_and_not1_saveexec_b32 s18, s18
	s_cbranch_execz .LBB184_1059
.LBB184_1058:
	v_sub_f32_e32 v1, v6, v1
	s_delay_alu instid0(VALU_DEP_1) | instskip(NEXT) | instid1(VALU_DEP_1)
	v_mul_f32_e32 v1, 0.5, v1
	v_mul_f32_e32 v4, 0x4f800000, v1
	v_cmp_gt_f32_e32 vcc_lo, 0xf800000, v1
	s_delay_alu instid0(VALU_DEP_2) | instskip(NEXT) | instid1(VALU_DEP_1)
	v_cndmask_b32_e32 v1, v1, v4, vcc_lo
	v_sqrt_f32_e32 v4, v1
	s_waitcnt_depctr 0xfff
	v_add_nc_u32_e32 v5, -1, v4
	v_add_nc_u32_e32 v6, 1, v4
	s_delay_alu instid0(VALU_DEP_2) | instskip(NEXT) | instid1(VALU_DEP_2)
	v_fma_f32 v7, -v5, v4, v1
	v_fma_f32 v8, -v6, v4, v1
	s_delay_alu instid0(VALU_DEP_2) | instskip(NEXT) | instid1(VALU_DEP_1)
	v_cmp_ge_f32_e64 s1, 0, v7
	v_cndmask_b32_e64 v4, v4, v5, s1
	s_delay_alu instid0(VALU_DEP_3) | instskip(NEXT) | instid1(VALU_DEP_1)
	v_cmp_lt_f32_e64 s1, 0, v8
	v_cndmask_b32_e64 v4, v4, v6, s1
	s_delay_alu instid0(VALU_DEP_1) | instskip(NEXT) | instid1(VALU_DEP_1)
	v_mul_f32_e32 v5, 0x37800000, v4
	v_cndmask_b32_e32 v4, v4, v5, vcc_lo
	v_cmp_class_f32_e64 vcc_lo, v1, 0x260
	s_delay_alu instid0(VALU_DEP_2) | instskip(NEXT) | instid1(VALU_DEP_1)
	v_dual_cndmask_b32 v1, v4, v1 :: v_dual_and_b32 v4, 0x7fffffff, v0
	v_add_f32_e32 v5, v1, v1
	s_delay_alu instid0(VALU_DEP_1) | instskip(SKIP_1) | instid1(VALU_DEP_2)
	v_div_scale_f32 v6, null, v5, v5, v4
	v_div_scale_f32 v4, vcc_lo, v4, v5, v4
	v_rcp_f32_e32 v7, v6
	s_waitcnt_depctr 0xfff
	v_fma_f32 v8, -v6, v7, 1.0
	s_delay_alu instid0(VALU_DEP_1) | instskip(NEXT) | instid1(VALU_DEP_1)
	v_fmac_f32_e32 v7, v8, v7
	v_mul_f32_e32 v8, v4, v7
	s_delay_alu instid0(VALU_DEP_1) | instskip(NEXT) | instid1(VALU_DEP_1)
	v_fma_f32 v9, -v6, v8, v4
	v_fmac_f32_e32 v8, v9, v7
	s_delay_alu instid0(VALU_DEP_1) | instskip(NEXT) | instid1(VALU_DEP_1)
	v_fma_f32 v4, -v6, v8, v4
	v_div_fmas_f32 v4, v4, v7, v8
	s_delay_alu instid0(VALU_DEP_1)
	v_div_fixup_f32 v4, v4, v5, |v0|
	v_bfi_b32 v5, 0x7fffffff, v1, v0
.LBB184_1059:
	s_or_b32 exec_lo, exec_lo, s18
                                        ; implicit-def: $vgpr0
                                        ; implicit-def: $vgpr1
	s_and_saveexec_b32 s1, s0
	s_delay_alu instid0(SALU_CYCLE_1)
	s_xor_b32 s0, exec_lo, s1
	s_cbranch_execz .LBB184_1061
; %bb.1060:
	v_mul_f32_e32 v0, 0.5, v4
	v_mul_f32_e32 v6, 0.5, v5
	s_delay_alu instid0(VALU_DEP_2) | instskip(NEXT) | instid1(VALU_DEP_2)
	v_cndmask_b32_e64 v1, v4, v0, s17
	v_cndmask_b32_e64 v0, v5, v6, s17
                                        ; implicit-def: $vgpr4
                                        ; implicit-def: $vgpr5
	s_and_not1_saveexec_b32 s0, s0
	s_cbranch_execnz .LBB184_1062
	s_branch .LBB184_1063
.LBB184_1061:
	s_and_not1_saveexec_b32 s0, s0
.LBB184_1062:
	v_dual_add_f32 v1, v4, v4 :: v_dual_add_f32 v0, v5, v5
.LBB184_1063:
	s_or_b32 exec_lo, exec_lo, s0
                                        ; implicit-def: $vgpr6
.LBB184_1064:
	s_and_not1_saveexec_b32 s0, s16
	s_cbranch_execz .LBB184_1070
; %bb.1065:
	s_delay_alu instid0(VALU_DEP_1)
	v_sub_f32_e32 v4, v0, v0
	s_mov_b32 s1, exec_lo
	v_cmpx_lt_i16_e32 -1, v6
	s_xor_b32 s1, exec_lo, s1
; %bb.1066:
	s_delay_alu instid0(VALU_DEP_2)
	v_bfi_b32 v0, 0x7fffffff, v4, v0
                                        ; implicit-def: $vgpr4
; %bb.1067:
	s_and_not1_saveexec_b32 s1, s1
; %bb.1068:
	v_and_b32_e32 v4, 0x7fffffff, v4
	s_delay_alu instid0(VALU_DEP_2) | instskip(NEXT) | instid1(VALU_DEP_2)
	v_bfi_b32 v0, 0x7fffffff, v1, v0
	v_mov_b32_e32 v1, v4
; %bb.1069:
	s_or_b32 exec_lo, exec_lo, s1
.LBB184_1070:
	s_delay_alu instid0(SALU_CYCLE_1)
	s_or_b32 exec_lo, exec_lo, s0
.LBB184_1071:
	s_and_not1_saveexec_b32 s0, s15
; %bb.1072:
	v_sub_f32_e32 v0, v0, v0
	s_delay_alu instid0(VALU_DEP_1) | instskip(NEXT) | instid1(VALU_DEP_1)
	v_div_scale_f32 v4, vcc_lo, v0, v0, v0
	v_rcp_f32_e32 v5, v4
	s_waitcnt_depctr 0xfff
	v_fma_f32 v6, -v4, v5, 1.0
	s_delay_alu instid0(VALU_DEP_1) | instskip(NEXT) | instid1(VALU_DEP_1)
	v_fmac_f32_e32 v5, v6, v5
	v_mul_f32_e32 v6, v4, v5
	s_delay_alu instid0(VALU_DEP_1) | instskip(NEXT) | instid1(VALU_DEP_1)
	v_fma_f32 v7, -v4, v6, v4
	v_fmac_f32_e32 v6, v7, v5
	s_delay_alu instid0(VALU_DEP_1) | instskip(NEXT) | instid1(VALU_DEP_1)
	v_fma_f32 v4, -v4, v6, v4
	v_div_fmas_f32 v4, v4, v5, v6
	s_delay_alu instid0(VALU_DEP_1)
	v_div_fixup_f32 v0, v4, v0, v0
; %bb.1073:
	s_or_b32 exec_lo, exec_lo, s0
.LBB184_1074:
	s_delay_alu instid0(SALU_CYCLE_1)
	s_or_b32 exec_lo, exec_lo, s14
.LBB184_1075:
	s_delay_alu instid0(SALU_CYCLE_1)
	s_or_b32 exec_lo, exec_lo, s13
	v_cmp_gt_f32_e32 vcc_lo, 0, v1
                                        ; implicit-def: $vgpr7
                                        ; implicit-def: $vgpr6
	s_mov_b32 s0, exec_lo
	v_cndmask_b32_e64 v4, v1, -v1, vcc_lo
	v_cmp_gt_f32_e32 vcc_lo, 0, v0
	v_cndmask_b32_e64 v5, v0, -v0, vcc_lo
	s_delay_alu instid0(VALU_DEP_1)
	v_cmpx_ge_f32_e32 v4, v5
	s_xor_b32 s1, exec_lo, s0
	s_cbranch_execz .LBB184_1081
; %bb.1076:
	v_cmp_neq_f32_e32 vcc_lo, 0, v1
	v_cmp_neq_f32_e64 s0, 0, v0
                                        ; implicit-def: $vgpr7
                                        ; implicit-def: $vgpr6
	s_delay_alu instid0(VALU_DEP_1) | instskip(NEXT) | instid1(SALU_CYCLE_1)
	s_or_b32 s0, vcc_lo, s0
	s_and_saveexec_b32 s13, s0
	s_delay_alu instid0(SALU_CYCLE_1)
	s_xor_b32 s0, exec_lo, s13
	s_cbranch_execz .LBB184_1078
; %bb.1077:
	v_div_scale_f32 v4, null, v1, v1, v0
	v_div_scale_f32 v7, vcc_lo, v0, v1, v0
	s_delay_alu instid0(VALU_DEP_2) | instskip(SKIP_2) | instid1(VALU_DEP_1)
	v_rcp_f32_e32 v5, v4
	s_waitcnt_depctr 0xfff
	v_fma_f32 v6, -v4, v5, 1.0
	v_fmac_f32_e32 v5, v6, v5
	s_delay_alu instid0(VALU_DEP_1) | instskip(NEXT) | instid1(VALU_DEP_1)
	v_mul_f32_e32 v6, v7, v5
	v_fma_f32 v8, -v4, v6, v7
	s_delay_alu instid0(VALU_DEP_1) | instskip(NEXT) | instid1(VALU_DEP_1)
	v_fmac_f32_e32 v6, v8, v5
	v_fma_f32 v4, -v4, v6, v7
	s_delay_alu instid0(VALU_DEP_1) | instskip(NEXT) | instid1(VALU_DEP_1)
	v_div_fmas_f32 v4, v4, v5, v6
	v_div_fixup_f32 v4, v4, v1, v0
	s_delay_alu instid0(VALU_DEP_1) | instskip(NEXT) | instid1(VALU_DEP_1)
	v_fmac_f32_e32 v1, v0, v4
	v_div_scale_f32 v0, null, v1, v1, 1.0
	v_div_scale_f32 v7, vcc_lo, 1.0, v1, 1.0
	s_delay_alu instid0(VALU_DEP_2) | instskip(SKIP_2) | instid1(VALU_DEP_1)
	v_rcp_f32_e32 v5, v0
	s_waitcnt_depctr 0xfff
	v_fma_f32 v6, -v0, v5, 1.0
	v_fmac_f32_e32 v5, v6, v5
	s_delay_alu instid0(VALU_DEP_1) | instskip(NEXT) | instid1(VALU_DEP_1)
	v_mul_f32_e32 v6, v7, v5
	v_fma_f32 v8, -v0, v6, v7
	s_delay_alu instid0(VALU_DEP_1) | instskip(NEXT) | instid1(VALU_DEP_1)
	v_fmac_f32_e32 v6, v8, v5
	v_fma_f32 v0, -v0, v6, v7
	s_delay_alu instid0(VALU_DEP_1) | instskip(SKIP_1) | instid1(VALU_DEP_2)
	v_div_fmas_f32 v0, v0, v5, v6
	v_fma_f32 v5, v4, 0, 1.0
	v_div_fixup_f32 v0, v0, v1, 1.0
	s_delay_alu instid0(VALU_DEP_1)
	v_mul_f32_e32 v6, v5, v0
	v_mul_f32_e64 v7, -v4, v0
                                        ; implicit-def: $vgpr4
                                        ; implicit-def: $vgpr5
.LBB184_1078:
	s_and_not1_saveexec_b32 s13, s0
	s_cbranch_execz .LBB184_1080
; %bb.1079:
	v_div_scale_f32 v0, null, v4, v4, 1.0
	v_div_scale_f32 v1, null, v5, v5, 0
	v_div_scale_f32 v10, vcc_lo, 1.0, v4, 1.0
	s_delay_alu instid0(VALU_DEP_3) | instskip(NEXT) | instid1(VALU_DEP_2)
	v_rcp_f32_e32 v6, v0
	v_rcp_f32_e32 v7, v1
	s_waitcnt_depctr 0xfff
	v_fma_f32 v8, -v0, v6, 1.0
	v_fma_f32 v9, -v1, v7, 1.0
	s_delay_alu instid0(VALU_DEP_1) | instskip(SKIP_1) | instid1(VALU_DEP_2)
	v_dual_fmac_f32 v6, v8, v6 :: v_dual_fmac_f32 v7, v9, v7
	v_div_scale_f32 v8, s0, 0, v5, 0
	v_mul_f32_e32 v9, v10, v6
	s_delay_alu instid0(VALU_DEP_2) | instskip(NEXT) | instid1(VALU_DEP_2)
	v_mul_f32_e32 v11, v8, v7
	v_fma_f32 v12, -v0, v9, v10
	s_delay_alu instid0(VALU_DEP_2) | instskip(NEXT) | instid1(VALU_DEP_2)
	v_fma_f32 v13, -v1, v11, v8
	v_fmac_f32_e32 v9, v12, v6
	s_delay_alu instid0(VALU_DEP_2) | instskip(NEXT) | instid1(VALU_DEP_2)
	v_fmac_f32_e32 v11, v13, v7
	v_fma_f32 v0, -v0, v9, v10
	s_delay_alu instid0(VALU_DEP_2) | instskip(NEXT) | instid1(VALU_DEP_2)
	v_fma_f32 v1, -v1, v11, v8
	v_div_fmas_f32 v0, v0, v6, v9
	s_mov_b32 vcc_lo, s0
	s_delay_alu instid0(VALU_DEP_2) | instskip(NEXT) | instid1(VALU_DEP_2)
	v_div_fmas_f32 v1, v1, v7, v11
	v_div_fixup_f32 v6, v0, v4, 1.0
	s_delay_alu instid0(VALU_DEP_2)
	v_div_fixup_f32 v7, v1, v5, 0
.LBB184_1080:
	s_or_b32 exec_lo, exec_lo, s13
                                        ; implicit-def: $vgpr0
                                        ; implicit-def: $vgpr1
.LBB184_1081:
	s_and_not1_saveexec_b32 s0, s1
	s_cbranch_execz .LBB184_1083
; %bb.1082:
	v_div_scale_f32 v4, null, v0, v0, v1
	v_div_scale_f32 v7, vcc_lo, v1, v0, v1
	s_delay_alu instid0(VALU_DEP_2) | instskip(SKIP_2) | instid1(VALU_DEP_1)
	v_rcp_f32_e32 v5, v4
	s_waitcnt_depctr 0xfff
	v_fma_f32 v6, -v4, v5, 1.0
	v_fmac_f32_e32 v5, v6, v5
	s_delay_alu instid0(VALU_DEP_1) | instskip(NEXT) | instid1(VALU_DEP_1)
	v_mul_f32_e32 v6, v7, v5
	v_fma_f32 v8, -v4, v6, v7
	s_delay_alu instid0(VALU_DEP_1) | instskip(NEXT) | instid1(VALU_DEP_1)
	v_fmac_f32_e32 v6, v8, v5
	v_fma_f32 v4, -v4, v6, v7
	s_delay_alu instid0(VALU_DEP_1) | instskip(NEXT) | instid1(VALU_DEP_1)
	v_div_fmas_f32 v4, v4, v5, v6
	v_div_fixup_f32 v4, v4, v0, v1
	s_delay_alu instid0(VALU_DEP_1) | instskip(NEXT) | instid1(VALU_DEP_1)
	v_fmac_f32_e32 v0, v1, v4
	v_div_scale_f32 v1, null, v0, v0, 1.0
	v_div_scale_f32 v7, vcc_lo, 1.0, v0, 1.0
	s_delay_alu instid0(VALU_DEP_2) | instskip(SKIP_2) | instid1(VALU_DEP_1)
	v_rcp_f32_e32 v5, v1
	s_waitcnt_depctr 0xfff
	v_fma_f32 v6, -v1, v5, 1.0
	v_fmac_f32_e32 v5, v6, v5
	s_delay_alu instid0(VALU_DEP_1) | instskip(NEXT) | instid1(VALU_DEP_1)
	v_mul_f32_e32 v6, v7, v5
	v_fma_f32 v8, -v1, v6, v7
	s_delay_alu instid0(VALU_DEP_1) | instskip(NEXT) | instid1(VALU_DEP_1)
	v_fmac_f32_e32 v6, v8, v5
	v_fma_f32 v1, -v1, v6, v7
	s_delay_alu instid0(VALU_DEP_1) | instskip(SKIP_1) | instid1(VALU_DEP_2)
	v_div_fmas_f32 v1, v1, v5, v6
	v_add_f32_e32 v5, 0, v4
	v_div_fixup_f32 v0, v1, v0, 1.0
	v_fma_f32 v1, v4, 0, -1.0
	s_delay_alu instid0(VALU_DEP_2) | instskip(NEXT) | instid1(VALU_DEP_2)
	v_mul_f32_e32 v6, v5, v0
	v_mul_f32_e32 v7, v1, v0
.LBB184_1083:
	s_or_b32 exec_lo, exec_lo, s0
	v_mul_lo_u32 v0, v3, s2
	v_and_b32_e32 v5, 0xff, v2
	s_delay_alu instid0(VALU_DEP_3) | instskip(SKIP_1) | instid1(VALU_DEP_3)
	v_cvt_f16_f32_e32 v7, v7
	v_cvt_f16_f32_e32 v4, v6
	v_cmp_gt_i16_e32 vcc_lo, 11, v5
	s_delay_alu instid0(VALU_DEP_3) | instskip(SKIP_3) | instid1(VALU_DEP_3)
	v_lshlrev_b32_e32 v2, 16, v7
	v_ashrrev_i32_e32 v1, 31, v0
	v_add_co_u32 v0, s0, s4, v0
	v_and_b32_e32 v3, 0xffff, v4
	v_add_co_ci_u32_e64 v1, s0, s5, v1, s0
	s_cbranch_vccnz .LBB184_1090
; %bb.1084:
	v_cmp_lt_i16_e32 vcc_lo, 25, v5
	s_mov_b32 s1, -1
	s_mov_b32 s0, s10
	s_cbranch_vccz .LBB184_1120
; %bb.1085:
	v_cmp_lt_i16_e32 vcc_lo, 28, v5
	s_mov_b32 s0, s10
	s_cbranch_vccz .LBB184_1104
; %bb.1086:
	v_cmp_lt_i16_e32 vcc_lo, 43, v5
	;; [unrolled: 4-line block ×3, first 2 shown]
	s_mov_b32 s0, s10
	s_cbranch_vccz .LBB184_1094
; %bb.1088:
	v_cmp_eq_u16_e32 vcc_lo, 46, v5
	s_mov_b32 s0, -1
	s_cbranch_vccz .LBB184_1093
; %bb.1089:
	v_cvt_f32_f16_e32 v6, v7
	v_cvt_f32_f16_e32 v8, v4
	v_cmp_o_f16_e32 vcc_lo, v7, v7
	s_mov_b32 s0, 0
	s_mov_b32 s1, 0
	v_bfe_u32 v9, v6, 16, 1
	v_bfe_u32 v10, v8, 16, 1
	s_delay_alu instid0(VALU_DEP_2) | instskip(NEXT) | instid1(VALU_DEP_2)
	v_add3_u32 v6, v6, v9, 0x7fff
	v_add3_u32 v8, v8, v10, 0x7fff
	s_delay_alu instid0(VALU_DEP_2) | instskip(NEXT) | instid1(VALU_DEP_2)
	v_and_b32_e32 v6, 0xffff0000, v6
	v_lshrrev_b32_e32 v8, 16, v8
	s_delay_alu instid0(VALU_DEP_2) | instskip(SKIP_1) | instid1(VALU_DEP_3)
	v_cndmask_b32_e32 v6, 0x7fc00000, v6, vcc_lo
	v_cmp_o_f16_e32 vcc_lo, v4, v4
	v_cndmask_b32_e32 v8, 0x7fc0, v8, vcc_lo
	s_delay_alu instid0(VALU_DEP_1)
	v_or_b32_e32 v6, v6, v8
	global_store_b32 v[0:1], v6, off
	s_branch .LBB184_1094
.LBB184_1090:
	s_mov_b32 s13, 0
	s_mov_b32 s1, -1
	s_mov_b32 s0, s10
	s_branch .LBB184_1161
.LBB184_1091:
	s_trap 2
	s_sendmsg_rtn_b32 s0, sendmsg(MSG_RTN_GET_DOORBELL)
	s_mov_b32 ttmp2, m0
	s_waitcnt lgkmcnt(0)
	s_and_b32 s0, s0, 0x3ff
	s_delay_alu instid0(SALU_CYCLE_1) | instskip(NEXT) | instid1(SALU_CYCLE_1)
	s_bitset1_b32 s0, 10
	s_mov_b32 m0, s0
	s_sendmsg sendmsg(MSG_INTERRUPT)
	s_mov_b32 m0, ttmp2
.LBB184_1092:                           ; =>This Inner Loop Header: Depth=1
	s_sethalt 5
	s_branch .LBB184_1092
.LBB184_1093:
	s_mov_b32 s1, 0
.LBB184_1094:
	s_delay_alu instid0(SALU_CYCLE_1)
	s_and_b32 vcc_lo, exec_lo, s1
	s_cbranch_vccz .LBB184_1099
; %bb.1095:
	v_cmp_eq_u16_e32 vcc_lo, 44, v5
	s_mov_b32 s0, -1
	s_cbranch_vccz .LBB184_1099
; %bb.1096:
	v_cvt_f32_f16_e32 v6, v4
	v_mov_b32_e32 v8, 0xff
	s_mov_b32 s1, exec_lo
	s_delay_alu instid0(VALU_DEP_2) | instskip(NEXT) | instid1(VALU_DEP_1)
	v_bfe_u32 v9, v6, 23, 8
	v_cmpx_ne_u32_e32 0xff, v9
; %bb.1097:
	v_and_b32_e32 v8, 0x400000, v6
	v_and_or_b32 v9, 0x3fffff, v6, v9
	v_lshrrev_b32_e32 v6, 23, v6
	s_delay_alu instid0(VALU_DEP_3) | instskip(NEXT) | instid1(VALU_DEP_3)
	v_cmp_ne_u32_e32 vcc_lo, 0, v8
	v_cmp_ne_u32_e64 s0, 0, v9
	s_delay_alu instid0(VALU_DEP_1) | instskip(NEXT) | instid1(SALU_CYCLE_1)
	s_and_b32 s0, vcc_lo, s0
	v_cndmask_b32_e64 v8, 0, 1, s0
	s_delay_alu instid0(VALU_DEP_1)
	v_add_nc_u32_e32 v8, v6, v8
; %bb.1098:
	s_or_b32 exec_lo, exec_lo, s1
	s_mov_b32 s0, 0
	global_store_b8 v[0:1], v8, off
.LBB184_1099:
	s_mov_b32 s1, 0
.LBB184_1100:
	s_delay_alu instid0(SALU_CYCLE_1)
	s_and_b32 vcc_lo, exec_lo, s1
	s_cbranch_vccz .LBB184_1103
; %bb.1101:
	v_cmp_eq_u16_e32 vcc_lo, 29, v5
	s_mov_b32 s0, -1
	s_cbranch_vccz .LBB184_1103
; %bb.1102:
	v_cvt_f32_f16_e32 v6, v4
	v_mov_b32_e32 v9, 0
	s_mov_b32 s0, 0
	s_mov_b32 s1, 0
	s_delay_alu instid0(VALU_DEP_2)
	v_cvt_u32_f32_e32 v8, v6
	global_store_b64 v[0:1], v[8:9], off
	s_branch .LBB184_1104
.LBB184_1103:
	s_mov_b32 s1, 0
.LBB184_1104:
	s_delay_alu instid0(SALU_CYCLE_1)
	s_and_b32 vcc_lo, exec_lo, s1
	s_cbranch_vccz .LBB184_1119
; %bb.1105:
	v_cmp_gt_i16_e32 vcc_lo, 27, v5
	s_mov_b32 s1, -1
	s_cbranch_vccnz .LBB184_1111
; %bb.1106:
	v_cmp_lt_i16_e32 vcc_lo, 27, v5
	s_cbranch_vccz .LBB184_1108
; %bb.1107:
	v_cvt_f32_f16_e32 v6, v4
	s_mov_b32 s1, 0
	s_delay_alu instid0(VALU_DEP_1)
	v_cvt_u32_f32_e32 v6, v6
	global_store_b32 v[0:1], v6, off
.LBB184_1108:
	s_and_not1_b32 vcc_lo, exec_lo, s1
	s_cbranch_vccnz .LBB184_1110
; %bb.1109:
	v_cvt_u16_f16_e32 v6, v4
	global_store_b16 v[0:1], v6, off
.LBB184_1110:
	s_mov_b32 s1, 0
.LBB184_1111:
	s_delay_alu instid0(SALU_CYCLE_1)
	s_and_not1_b32 vcc_lo, exec_lo, s1
	s_cbranch_vccnz .LBB184_1119
; %bb.1112:
	v_cvt_f32_f16_e32 v6, v4
	v_mov_b32_e32 v9, 0x80
	s_mov_b32 s1, exec_lo
	s_delay_alu instid0(VALU_DEP_2) | instskip(NEXT) | instid1(VALU_DEP_1)
	v_and_b32_e32 v8, 0x7fffffff, v6
	v_cmpx_gt_u32_e32 0x43800000, v8
	s_cbranch_execz .LBB184_1118
; %bb.1113:
	v_cmp_lt_u32_e32 vcc_lo, 0x3bffffff, v8
	s_mov_b32 s13, 0
                                        ; implicit-def: $vgpr8
	s_and_saveexec_b32 s14, vcc_lo
	s_delay_alu instid0(SALU_CYCLE_1)
	s_xor_b32 s14, exec_lo, s14
	s_cbranch_execz .LBB184_1397
; %bb.1114:
	v_bfe_u32 v8, v6, 20, 1
	s_mov_b32 s13, exec_lo
	s_delay_alu instid0(VALU_DEP_1) | instskip(NEXT) | instid1(VALU_DEP_1)
	v_add3_u32 v8, v6, v8, 0x487ffff
	v_lshrrev_b32_e32 v8, 20, v8
	s_or_saveexec_b32 s14, s14
                                        ; implicit-def: $sgpr15
	s_delay_alu instid0(SALU_CYCLE_1)
	s_xor_b32 exec_lo, exec_lo, s14
	s_cbranch_execnz .LBB184_1398
.LBB184_1115:
	s_or_b32 exec_lo, exec_lo, s14
	v_mov_b32_e32 v9, s15
	s_and_saveexec_b32 s14, s13
.LBB184_1116:
	v_lshrrev_b32_e32 v6, 24, v6
	s_delay_alu instid0(VALU_DEP_1)
	v_and_or_b32 v9, 0x80, v6, v8
.LBB184_1117:
	s_or_b32 exec_lo, exec_lo, s14
.LBB184_1118:
	s_delay_alu instid0(SALU_CYCLE_1)
	s_or_b32 exec_lo, exec_lo, s1
	global_store_b8 v[0:1], v9, off
.LBB184_1119:
	s_mov_b32 s1, 0
.LBB184_1120:
	s_delay_alu instid0(SALU_CYCLE_1)
	s_and_b32 vcc_lo, exec_lo, s1
	s_mov_b32 s1, 0
	s_cbranch_vccz .LBB184_1160
; %bb.1121:
	v_cmp_lt_i16_e32 vcc_lo, 22, v5
	s_mov_b32 s13, -1
	s_cbranch_vccz .LBB184_1153
; %bb.1122:
	v_cmp_gt_i16_e32 vcc_lo, 24, v5
	s_cbranch_vccnz .LBB184_1142
; %bb.1123:
	v_cmp_lt_i16_e32 vcc_lo, 24, v5
	s_cbranch_vccz .LBB184_1131
; %bb.1124:
	v_cvt_f32_f16_e32 v6, v4
	v_mov_b32_e32 v9, 0x80
	s_mov_b32 s13, exec_lo
	s_delay_alu instid0(VALU_DEP_2) | instskip(NEXT) | instid1(VALU_DEP_1)
	v_and_b32_e32 v8, 0x7fffffff, v6
	v_cmpx_gt_u32_e32 0x47800000, v8
	s_cbranch_execz .LBB184_1130
; %bb.1125:
	v_cmp_lt_u32_e32 vcc_lo, 0x37ffffff, v8
	s_mov_b32 s14, 0
                                        ; implicit-def: $vgpr8
	s_and_saveexec_b32 s15, vcc_lo
	s_delay_alu instid0(SALU_CYCLE_1)
	s_xor_b32 s15, exec_lo, s15
	s_cbranch_execz .LBB184_1442
; %bb.1126:
	v_bfe_u32 v8, v6, 21, 1
	s_mov_b32 s14, exec_lo
	s_delay_alu instid0(VALU_DEP_1) | instskip(NEXT) | instid1(VALU_DEP_1)
	v_add3_u32 v8, v6, v8, 0x88fffff
	v_lshrrev_b32_e32 v8, 21, v8
	s_or_saveexec_b32 s15, s15
                                        ; implicit-def: $sgpr16
	s_delay_alu instid0(SALU_CYCLE_1)
	s_xor_b32 exec_lo, exec_lo, s15
	s_cbranch_execnz .LBB184_1443
.LBB184_1127:
	s_or_b32 exec_lo, exec_lo, s15
	v_mov_b32_e32 v9, s16
	s_and_saveexec_b32 s15, s14
.LBB184_1128:
	v_lshrrev_b32_e32 v6, 24, v6
	s_delay_alu instid0(VALU_DEP_1)
	v_and_or_b32 v9, 0x80, v6, v8
.LBB184_1129:
	s_or_b32 exec_lo, exec_lo, s15
.LBB184_1130:
	s_delay_alu instid0(SALU_CYCLE_1)
	s_or_b32 exec_lo, exec_lo, s13
	s_mov_b32 s13, 0
	global_store_b8 v[0:1], v9, off
.LBB184_1131:
	s_and_b32 vcc_lo, exec_lo, s13
	s_cbranch_vccz .LBB184_1141
; %bb.1132:
	v_cvt_f32_f16_e32 v6, v4
	s_mov_b32 s13, exec_lo
                                        ; implicit-def: $vgpr8
	s_delay_alu instid0(VALU_DEP_1) | instskip(NEXT) | instid1(VALU_DEP_1)
	v_and_b32_e32 v9, 0x7fffffff, v6
	v_cmpx_gt_u32_e32 0x43f00000, v9
	s_xor_b32 s13, exec_lo, s13
	s_cbranch_execz .LBB184_1138
; %bb.1133:
	s_mov_b32 s14, exec_lo
                                        ; implicit-def: $vgpr8
	v_cmpx_lt_u32_e32 0x3c7fffff, v9
	s_xor_b32 s14, exec_lo, s14
; %bb.1134:
	v_bfe_u32 v8, v6, 20, 1
	s_delay_alu instid0(VALU_DEP_1) | instskip(NEXT) | instid1(VALU_DEP_1)
	v_add3_u32 v8, v6, v8, 0x407ffff
	v_and_b32_e32 v9, 0xff00000, v8
	v_lshrrev_b32_e32 v8, 20, v8
	s_delay_alu instid0(VALU_DEP_2) | instskip(NEXT) | instid1(VALU_DEP_2)
	v_cmp_ne_u32_e32 vcc_lo, 0x7f00000, v9
	v_cndmask_b32_e32 v8, 0x7e, v8, vcc_lo
; %bb.1135:
	s_and_not1_saveexec_b32 s14, s14
; %bb.1136:
	v_add_f32_e64 v8, 0x46800000, |v6|
; %bb.1137:
	s_or_b32 exec_lo, exec_lo, s14
                                        ; implicit-def: $vgpr9
.LBB184_1138:
	s_and_not1_saveexec_b32 s13, s13
; %bb.1139:
	v_mov_b32_e32 v8, 0x7f
	v_cmp_lt_u32_e32 vcc_lo, 0x7f800000, v9
	s_delay_alu instid0(VALU_DEP_2)
	v_cndmask_b32_e32 v8, 0x7e, v8, vcc_lo
; %bb.1140:
	s_or_b32 exec_lo, exec_lo, s13
	v_lshrrev_b32_e32 v6, 24, v6
	s_delay_alu instid0(VALU_DEP_1)
	v_and_or_b32 v6, 0x80, v6, v8
	global_store_b8 v[0:1], v6, off
.LBB184_1141:
	s_mov_b32 s13, 0
.LBB184_1142:
	s_delay_alu instid0(SALU_CYCLE_1)
	s_and_not1_b32 vcc_lo, exec_lo, s13
	s_cbranch_vccnz .LBB184_1152
; %bb.1143:
	v_cvt_f32_f16_e32 v6, v4
	s_mov_b32 s13, exec_lo
                                        ; implicit-def: $vgpr8
	s_delay_alu instid0(VALU_DEP_1) | instskip(NEXT) | instid1(VALU_DEP_1)
	v_and_b32_e32 v9, 0x7fffffff, v6
	v_cmpx_gt_u32_e32 0x47800000, v9
	s_xor_b32 s13, exec_lo, s13
	s_cbranch_execz .LBB184_1149
; %bb.1144:
	s_mov_b32 s14, exec_lo
                                        ; implicit-def: $vgpr8
	v_cmpx_lt_u32_e32 0x387fffff, v9
	s_xor_b32 s14, exec_lo, s14
; %bb.1145:
	v_bfe_u32 v8, v6, 21, 1
	s_delay_alu instid0(VALU_DEP_1) | instskip(NEXT) | instid1(VALU_DEP_1)
	v_add3_u32 v8, v6, v8, 0x80fffff
	v_lshrrev_b32_e32 v8, 21, v8
; %bb.1146:
	s_and_not1_saveexec_b32 s14, s14
; %bb.1147:
	v_add_f32_e64 v8, 0x43000000, |v6|
; %bb.1148:
	s_or_b32 exec_lo, exec_lo, s14
                                        ; implicit-def: $vgpr9
.LBB184_1149:
	s_and_not1_saveexec_b32 s13, s13
; %bb.1150:
	v_mov_b32_e32 v8, 0x7f
	v_cmp_lt_u32_e32 vcc_lo, 0x7f800000, v9
	s_delay_alu instid0(VALU_DEP_2)
	v_cndmask_b32_e32 v8, 0x7c, v8, vcc_lo
; %bb.1151:
	s_or_b32 exec_lo, exec_lo, s13
	v_lshrrev_b32_e32 v6, 24, v6
	s_delay_alu instid0(VALU_DEP_1)
	v_and_or_b32 v6, 0x80, v6, v8
	global_store_b8 v[0:1], v6, off
.LBB184_1152:
	s_mov_b32 s13, 0
.LBB184_1153:
	s_delay_alu instid0(SALU_CYCLE_1)
	s_and_not1_b32 vcc_lo, exec_lo, s13
	s_mov_b32 s13, 0
	s_cbranch_vccnz .LBB184_1161
; %bb.1154:
	v_cmp_lt_i16_e32 vcc_lo, 14, v5
	s_mov_b32 s13, -1
	s_cbranch_vccz .LBB184_1158
; %bb.1155:
	v_cmp_eq_u16_e32 vcc_lo, 15, v5
	s_mov_b32 s0, -1
	s_cbranch_vccz .LBB184_1157
; %bb.1156:
	v_cvt_f32_f16_e32 v6, v4
	v_cmp_o_f16_e32 vcc_lo, v4, v4
	s_mov_b32 s0, 0
	s_delay_alu instid0(VALU_DEP_2) | instskip(NEXT) | instid1(VALU_DEP_1)
	v_bfe_u32 v8, v6, 16, 1
	v_add3_u32 v6, v6, v8, 0x7fff
	s_delay_alu instid0(VALU_DEP_1) | instskip(NEXT) | instid1(VALU_DEP_1)
	v_lshrrev_b32_e32 v6, 16, v6
	v_cndmask_b32_e32 v6, 0x7fc0, v6, vcc_lo
	global_store_b16 v[0:1], v6, off
.LBB184_1157:
	s_mov_b32 s13, 0
.LBB184_1158:
	s_delay_alu instid0(SALU_CYCLE_1)
	s_and_b32 vcc_lo, exec_lo, s13
	s_mov_b32 s13, 0
	s_cbranch_vccz .LBB184_1161
; %bb.1159:
	v_cmp_ne_u16_e32 vcc_lo, 11, v5
	s_and_not1_b32 s0, s0, exec_lo
	s_mov_b32 s13, -1
	s_and_b32 s14, vcc_lo, exec_lo
	s_delay_alu instid0(SALU_CYCLE_1)
	s_or_b32 s0, s0, s14
	s_branch .LBB184_1161
.LBB184_1160:
	s_mov_b32 s13, 0
.LBB184_1161:
	v_or_b32_e32 v9, v2, v3
	s_and_not1_b32 s10, s10, exec_lo
	s_and_b32 s0, s0, exec_lo
	s_and_b32 s1, s1, exec_lo
	;; [unrolled: 1-line block ×3, first 2 shown]
	s_or_b32 s10, s10, s0
.LBB184_1162:
	s_or_b32 exec_lo, exec_lo, s12
	s_and_saveexec_b32 s0, s10
	s_cbranch_execnz .LBB184_1225
; %bb.1163:
	s_or_b32 exec_lo, exec_lo, s0
	s_and_saveexec_b32 s0, s13
	s_delay_alu instid0(SALU_CYCLE_1)
	s_xor_b32 s0, exec_lo, s0
	s_cbranch_execz .LBB184_1165
.LBB184_1164:
	v_and_b32_e32 v2, 0x7fff7fff, v9
	s_delay_alu instid0(VALU_DEP_1)
	v_cmp_ne_u32_e32 vcc_lo, 0, v2
	v_cndmask_b32_e64 v2, 0, 1, vcc_lo
	global_store_b8 v[0:1], v2, off
.LBB184_1165:
	s_or_b32 exec_lo, exec_lo, s0
	s_and_saveexec_b32 s0, s1
	s_delay_alu instid0(SALU_CYCLE_1)
	s_xor_b32 s0, exec_lo, s0
	s_cbranch_execz .LBB184_1203
; %bb.1166:
	s_waitcnt vmcnt(0)
	v_cmp_gt_i16_e32 vcc_lo, 5, v5
	s_mov_b32 s1, -1
	s_cbranch_vccnz .LBB184_1187
; %bb.1167:
	v_cmp_gt_i16_e32 vcc_lo, 8, v5
	s_cbranch_vccnz .LBB184_1177
; %bb.1168:
	v_cmp_gt_i16_e32 vcc_lo, 9, v5
	s_cbranch_vccnz .LBB184_1174
; %bb.1169:
	v_cmp_lt_i16_e32 vcc_lo, 9, v5
	s_cbranch_vccz .LBB184_1171
; %bb.1170:
	v_cvt_f32_f16_e32 v2, v4
	v_cvt_f32_f16_e32 v3, v7
	s_mov_b32 s1, 0
	s_delay_alu instid0(VALU_DEP_2) | instskip(NEXT) | instid1(VALU_DEP_2)
	v_cvt_f64_f32_e32 v[10:11], v2
	v_cvt_f64_f32_e32 v[12:13], v3
	global_store_b128 v[0:1], v[10:13], off
.LBB184_1171:
	s_and_not1_b32 vcc_lo, exec_lo, s1
	s_cbranch_vccnz .LBB184_1173
; %bb.1172:
	v_cvt_f32_f16_e32 v2, v4
	v_cvt_f32_f16_e32 v3, v7
	global_store_b64 v[0:1], v[2:3], off
.LBB184_1173:
	s_mov_b32 s1, 0
.LBB184_1174:
	s_delay_alu instid0(SALU_CYCLE_1)
	s_and_not1_b32 vcc_lo, exec_lo, s1
	s_cbranch_vccnz .LBB184_1176
; %bb.1175:
	global_store_b32 v[0:1], v9, off
.LBB184_1176:
	s_mov_b32 s1, 0
.LBB184_1177:
	s_delay_alu instid0(SALU_CYCLE_1)
	s_and_not1_b32 vcc_lo, exec_lo, s1
	s_cbranch_vccnz .LBB184_1186
; %bb.1178:
	v_cmp_gt_i16_e32 vcc_lo, 6, v5
	s_mov_b32 s1, -1
	s_cbranch_vccnz .LBB184_1184
; %bb.1179:
	v_cmp_lt_i16_e32 vcc_lo, 6, v5
	s_cbranch_vccz .LBB184_1181
; %bb.1180:
	v_cvt_f32_f16_e32 v2, v4
	s_mov_b32 s1, 0
	s_delay_alu instid0(VALU_DEP_1)
	v_cvt_f64_f32_e32 v[2:3], v2
	global_store_b64 v[0:1], v[2:3], off
.LBB184_1181:
	s_and_not1_b32 vcc_lo, exec_lo, s1
	s_cbranch_vccnz .LBB184_1183
; %bb.1182:
	v_cvt_f32_f16_e32 v2, v4
	global_store_b32 v[0:1], v2, off
.LBB184_1183:
	s_mov_b32 s1, 0
.LBB184_1184:
	s_delay_alu instid0(SALU_CYCLE_1)
	s_and_not1_b32 vcc_lo, exec_lo, s1
	s_cbranch_vccnz .LBB184_1186
; %bb.1185:
	global_store_b16 v[0:1], v4, off
.LBB184_1186:
	s_mov_b32 s1, 0
.LBB184_1187:
	s_delay_alu instid0(SALU_CYCLE_1)
	s_and_not1_b32 vcc_lo, exec_lo, s1
	s_cbranch_vccnz .LBB184_1203
; %bb.1188:
	v_cmp_gt_i16_e32 vcc_lo, 2, v5
	s_mov_b32 s1, -1
	s_cbranch_vccnz .LBB184_1198
; %bb.1189:
	v_cmp_gt_i16_e32 vcc_lo, 3, v5
	s_cbranch_vccnz .LBB184_1195
; %bb.1190:
	v_cmp_lt_i16_e32 vcc_lo, 3, v5
	s_cbranch_vccz .LBB184_1192
; %bb.1191:
	v_cvt_f32_f16_e32 v2, v4
	s_mov_b32 s1, 0
	s_delay_alu instid0(VALU_DEP_1) | instskip(NEXT) | instid1(VALU_DEP_1)
	v_cvt_i32_f32_e32 v2, v2
	v_ashrrev_i32_e32 v3, 31, v2
	global_store_b64 v[0:1], v[2:3], off
.LBB184_1192:
	s_and_not1_b32 vcc_lo, exec_lo, s1
	s_cbranch_vccnz .LBB184_1194
; %bb.1193:
	v_cvt_f32_f16_e32 v2, v4
	s_delay_alu instid0(VALU_DEP_1)
	v_cvt_i32_f32_e32 v2, v2
	global_store_b32 v[0:1], v2, off
.LBB184_1194:
	s_mov_b32 s1, 0
.LBB184_1195:
	s_delay_alu instid0(SALU_CYCLE_1)
	s_and_not1_b32 vcc_lo, exec_lo, s1
	s_cbranch_vccnz .LBB184_1197
; %bb.1196:
	v_cvt_i16_f16_e32 v2, v4
	global_store_b16 v[0:1], v2, off
.LBB184_1197:
	s_mov_b32 s1, 0
.LBB184_1198:
	s_delay_alu instid0(SALU_CYCLE_1)
	s_and_not1_b32 vcc_lo, exec_lo, s1
	s_cbranch_vccnz .LBB184_1203
; %bb.1199:
	v_cmp_lt_i16_e32 vcc_lo, 0, v5
	s_mov_b32 s1, -1
	s_cbranch_vccz .LBB184_1201
; %bb.1200:
	v_cvt_i16_f16_e32 v2, v4
	s_mov_b32 s1, 0
	global_store_b8 v[0:1], v2, off
.LBB184_1201:
	s_and_not1_b32 vcc_lo, exec_lo, s1
	s_cbranch_vccnz .LBB184_1203
; %bb.1202:
	v_cvt_f32_f16_e32 v2, v4
	s_delay_alu instid0(VALU_DEP_1)
	v_cvt_i32_f32_e32 v2, v2
	global_store_b8 v[0:1], v2, off
.LBB184_1203:
	s_or_b32 exec_lo, exec_lo, s0
	s_delay_alu instid0(SALU_CYCLE_1)
	s_and_b32 s10, s11, exec_lo
                                        ; implicit-def: $vgpr3
                                        ; implicit-def: $vgpr4
                                        ; implicit-def: $vgpr2
.LBB184_1204:
	s_or_saveexec_b32 s9, s9
	s_mov_b32 s0, 0
                                        ; implicit-def: $vgpr5
                                        ; implicit-def: $vgpr0_vgpr1
                                        ; implicit-def: $vgpr8
                                        ; implicit-def: $vgpr7
                                        ; implicit-def: $vgpr6
	s_xor_b32 exec_lo, exec_lo, s9
	s_cbranch_execz .LBB184_2341
; %bb.1205:
	v_mul_lo_u32 v7, s3, v3
	v_cmp_gt_i16_e32 vcc_lo, 11, v4
	s_delay_alu instid0(VALU_DEP_2) | instskip(SKIP_1) | instid1(VALU_DEP_1)
	v_ashrrev_i32_e32 v1, 31, v7
	v_add_co_u32 v0, s0, s6, v7
	v_add_co_ci_u32_e64 v1, s0, s7, v1, s0
	s_cbranch_vccnz .LBB184_1212
; %bb.1206:
	v_cmp_lt_i16_e32 vcc_lo, 25, v4
	s_mov_b32 s1, 0
	s_cbranch_vccz .LBB184_1218
; %bb.1207:
	v_cmp_lt_i16_e32 vcc_lo, 28, v4
	s_cbranch_vccz .LBB184_1221
; %bb.1208:
	v_cmp_lt_i16_e32 vcc_lo, 43, v4
	;; [unrolled: 3-line block ×3, first 2 shown]
	s_cbranch_vccz .LBB184_1227
; %bb.1210:
	v_cmp_eq_u16_e32 vcc_lo, 46, v4
	s_cbranch_vccz .LBB184_1268
; %bb.1211:
	global_load_b32 v5, v[0:1], off
	s_mov_b32 s0, 0
	s_mov_b32 s11, -1
	s_waitcnt vmcnt(0)
	v_lshlrev_b32_e32 v6, 16, v5
	v_and_b32_e32 v8, 0xffff0000, v5
	s_delay_alu instid0(VALU_DEP_2) | instskip(NEXT) | instid1(VALU_DEP_2)
	v_cvt_f16_f32_e32 v5, v6
	v_cvt_f16_f32_e32 v6, v8
	s_branch .LBB184_1270
.LBB184_1212:
	s_mov_b32 s11, 0
	s_mov_b32 s8, s10
                                        ; implicit-def: $vgpr6
                                        ; implicit-def: $vgpr5
	s_cbranch_execz .LBB184_1336
; %bb.1213:
	v_cmp_gt_i16_e32 vcc_lo, 5, v4
	s_cbranch_vccnz .LBB184_1219
; %bb.1214:
	v_cmp_gt_i16_e32 vcc_lo, 8, v4
	s_cbranch_vccnz .LBB184_1222
	;; [unrolled: 3-line block ×3, first 2 shown]
; %bb.1216:
	v_cmp_lt_i16_e32 vcc_lo, 9, v4
	s_cbranch_vccz .LBB184_1228
; %bb.1217:
	global_load_b128 v[8:11], v[0:1], off
	s_mov_b32 s0, 0
	s_waitcnt vmcnt(0)
	v_cvt_f32_f64_e32 v5, v[8:9]
	v_cvt_f32_f64_e32 v6, v[10:11]
	s_delay_alu instid0(VALU_DEP_2) | instskip(NEXT) | instid1(VALU_DEP_2)
	v_cvt_f16_f32_e32 v5, v5
	v_cvt_f16_f32_e32 v6, v6
	s_branch .LBB184_1229
.LBB184_1218:
	s_mov_b32 s11, 0
	s_mov_b32 s0, 0
                                        ; implicit-def: $vgpr6
                                        ; implicit-def: $vgpr5
	s_cbranch_execnz .LBB184_1302
	s_branch .LBB184_1332
.LBB184_1219:
                                        ; implicit-def: $vgpr6
                                        ; implicit-def: $vgpr5
	s_branch .LBB184_1247
.LBB184_1220:
	s_branch .LBB184_1337
.LBB184_1221:
	s_mov_b32 s11, 0
	s_mov_b32 s0, 0
                                        ; implicit-def: $vgpr6
                                        ; implicit-def: $vgpr5
	s_cbranch_execnz .LBB184_1282
	s_branch .LBB184_1301
.LBB184_1222:
                                        ; implicit-def: $vgpr6
                                        ; implicit-def: $vgpr5
	s_branch .LBB184_1235
.LBB184_1223:
	s_mov_b32 s8, -1
	s_mov_b32 s11, 0
	s_mov_b32 s0, 0
                                        ; implicit-def: $vgpr6
                                        ; implicit-def: $vgpr5
	s_branch .LBB184_1276
.LBB184_1224:
	s_mov_b32 s0, -1
                                        ; implicit-def: $vgpr6
                                        ; implicit-def: $vgpr5
	s_branch .LBB184_1232
.LBB184_1225:
	s_cbranch_execnz .LBB184_1266
; %bb.1226:
	s_or_b32 s11, s11, exec_lo
	s_and_not1_b32 s13, s13, exec_lo
	s_or_b32 exec_lo, exec_lo, s0
	s_and_saveexec_b32 s0, s13
	s_delay_alu instid0(SALU_CYCLE_1)
	s_xor_b32 s0, exec_lo, s0
	s_cbranch_execnz .LBB184_1164
	s_branch .LBB184_1165
.LBB184_1227:
	s_mov_b32 s8, -1
	s_mov_b32 s11, 0
	s_mov_b32 s0, 0
	s_branch .LBB184_1269
.LBB184_1228:
	s_mov_b32 s0, -1
                                        ; implicit-def: $vgpr6
                                        ; implicit-def: $vgpr5
.LBB184_1229:
	s_delay_alu instid0(SALU_CYCLE_1)
	s_and_not1_b32 vcc_lo, exec_lo, s0
	s_cbranch_vccnz .LBB184_1231
; %bb.1230:
	global_load_b64 v[5:6], v[0:1], off
	s_waitcnt vmcnt(0)
	v_cvt_f16_f32_e32 v5, v5
	v_cvt_f16_f32_e32 v6, v6
.LBB184_1231:
	s_mov_b32 s0, 0
.LBB184_1232:
	s_delay_alu instid0(SALU_CYCLE_1)
	s_and_not1_b32 vcc_lo, exec_lo, s0
	s_cbranch_vccnz .LBB184_1234
; %bb.1233:
	global_load_b32 v5, v[0:1], off
	s_waitcnt vmcnt(0)
	v_lshrrev_b32_e32 v6, 16, v5
.LBB184_1234:
	s_cbranch_execnz .LBB184_1246
.LBB184_1235:
	v_cmp_gt_i16_e32 vcc_lo, 6, v4
	s_cbranch_vccnz .LBB184_1238
; %bb.1236:
	v_cmp_lt_i16_e32 vcc_lo, 6, v4
	s_cbranch_vccz .LBB184_1239
; %bb.1237:
	global_load_b64 v[5:6], v[0:1], off
	s_mov_b32 s1, 0
	s_mov_b32 s0, 0
	s_waitcnt vmcnt(0)
	v_cvt_f32_f64_e32 v5, v[5:6]
	s_delay_alu instid0(VALU_DEP_1)
	v_cvt_f16_f32_e32 v5, v5
	s_branch .LBB184_1240
.LBB184_1238:
	s_mov_b32 s1, -1
                                        ; implicit-def: $sgpr0
                                        ; implicit-def: $vgpr5
	s_branch .LBB184_1243
.LBB184_1239:
	s_mov_b32 s1, -1
                                        ; implicit-def: $sgpr0
                                        ; implicit-def: $vgpr5
.LBB184_1240:
	s_delay_alu instid0(SALU_CYCLE_1)
	s_and_not1_b32 vcc_lo, exec_lo, s1
	s_cbranch_vccnz .LBB184_1242
; %bb.1241:
	global_load_b32 v5, v[0:1], off
	s_mov_b32 s0, 0
	s_waitcnt vmcnt(0)
	v_cvt_f16_f32_e32 v5, v5
.LBB184_1242:
	s_mov_b32 s1, 0
.LBB184_1243:
	s_delay_alu instid0(SALU_CYCLE_1)
	s_and_not1_b32 vcc_lo, exec_lo, s1
	s_cbranch_vccnz .LBB184_1245
; %bb.1244:
	global_load_u16 v5, v[0:1], off
	s_mov_b32 s0, 0
.LBB184_1245:
	s_waitcnt vmcnt(0)
	v_mov_b32_e32 v6, s0
.LBB184_1246:
	s_cbranch_execnz .LBB184_1220
.LBB184_1247:
	v_cmp_gt_i16_e32 vcc_lo, 2, v4
	s_cbranch_vccnz .LBB184_1251
; %bb.1248:
	v_cmp_gt_i16_e32 vcc_lo, 3, v4
	s_cbranch_vccnz .LBB184_1252
; %bb.1249:
	v_cmp_lt_i16_e32 vcc_lo, 3, v4
	s_cbranch_vccz .LBB184_1253
; %bb.1250:
	global_load_b64 v[5:6], v[0:1], off
	s_mov_b32 s1, 0
	s_mov_b32 s0, 0
	s_waitcnt vmcnt(0)
	v_xor_b32_e32 v8, v5, v6
	v_cls_i32_e32 v9, v6
	s_delay_alu instid0(VALU_DEP_2) | instskip(NEXT) | instid1(VALU_DEP_2)
	v_ashrrev_i32_e32 v8, 31, v8
	v_add_nc_u32_e32 v9, -1, v9
	s_delay_alu instid0(VALU_DEP_2) | instskip(NEXT) | instid1(VALU_DEP_1)
	v_add_nc_u32_e32 v8, 32, v8
	v_min_u32_e32 v8, v9, v8
	s_delay_alu instid0(VALU_DEP_1) | instskip(NEXT) | instid1(VALU_DEP_1)
	v_lshlrev_b64 v[5:6], v8, v[5:6]
	v_min_u32_e32 v5, 1, v5
	s_delay_alu instid0(VALU_DEP_1) | instskip(SKIP_1) | instid1(VALU_DEP_2)
	v_or_b32_e32 v5, v6, v5
	v_sub_nc_u32_e32 v6, 32, v8
	v_cvt_f32_i32_e32 v5, v5
	s_delay_alu instid0(VALU_DEP_1) | instskip(NEXT) | instid1(VALU_DEP_1)
	v_ldexp_f32 v5, v5, v6
	v_cvt_f16_f32_e32 v5, v5
	s_branch .LBB184_1254
.LBB184_1251:
                                        ; implicit-def: $sgpr0
                                        ; implicit-def: $vgpr5
	s_branch .LBB184_1260
.LBB184_1252:
	s_mov_b32 s1, -1
                                        ; implicit-def: $sgpr0
                                        ; implicit-def: $vgpr5
	s_branch .LBB184_1257
.LBB184_1253:
	s_mov_b32 s1, -1
                                        ; implicit-def: $sgpr0
                                        ; implicit-def: $vgpr5
.LBB184_1254:
	s_delay_alu instid0(SALU_CYCLE_1)
	s_and_not1_b32 vcc_lo, exec_lo, s1
	s_cbranch_vccnz .LBB184_1256
; %bb.1255:
	global_load_b32 v5, v[0:1], off
	s_mov_b32 s0, 0
	s_waitcnt vmcnt(0)
	v_cvt_f32_i32_e32 v5, v5
	s_delay_alu instid0(VALU_DEP_1)
	v_cvt_f16_f32_e32 v5, v5
.LBB184_1256:
	s_mov_b32 s1, 0
.LBB184_1257:
	s_delay_alu instid0(SALU_CYCLE_1)
	s_and_not1_b32 vcc_lo, exec_lo, s1
	s_cbranch_vccnz .LBB184_1259
; %bb.1258:
	global_load_u16 v5, v[0:1], off
	s_mov_b32 s0, 0
	s_waitcnt vmcnt(0)
	v_cvt_f16_i16_e32 v5, v5
.LBB184_1259:
	s_cbranch_execnz .LBB184_1265
.LBB184_1260:
	v_cmp_lt_i16_e32 vcc_lo, 0, v4
	s_mov_b32 s1, 0
	s_cbranch_vccz .LBB184_1262
; %bb.1261:
	global_load_i8 v5, v[0:1], off
	s_mov_b32 s0, 0
	s_waitcnt vmcnt(0)
	v_cvt_f16_i16_e32 v5, v5
	s_branch .LBB184_1263
.LBB184_1262:
	s_mov_b32 s1, -1
                                        ; implicit-def: $sgpr0
                                        ; implicit-def: $vgpr5
.LBB184_1263:
	s_delay_alu instid0(SALU_CYCLE_1)
	s_and_not1_b32 vcc_lo, exec_lo, s1
	s_cbranch_vccnz .LBB184_1265
; %bb.1264:
	global_load_u8 v0, v[0:1], off
	s_mov_b32 s0, 0
	s_waitcnt vmcnt(0)
	v_cvt_f16_u16_e32 v5, v0
.LBB184_1265:
	s_waitcnt vmcnt(0)
	v_mov_b32_e32 v6, s0
	s_branch .LBB184_1337
.LBB184_1266:
	s_trap 2
	s_sendmsg_rtn_b32 s0, sendmsg(MSG_RTN_GET_DOORBELL)
	s_mov_b32 ttmp2, m0
	s_waitcnt lgkmcnt(0)
	s_and_b32 s0, s0, 0x3ff
	s_delay_alu instid0(SALU_CYCLE_1) | instskip(NEXT) | instid1(SALU_CYCLE_1)
	s_bitset1_b32 s0, 10
	s_mov_b32 m0, s0
	s_sendmsg sendmsg(MSG_INTERRUPT)
	s_mov_b32 m0, ttmp2
.LBB184_1267:                           ; =>This Inner Loop Header: Depth=1
	s_sethalt 5
	s_branch .LBB184_1267
.LBB184_1268:
	s_mov_b32 s0, -1
	s_mov_b32 s11, 0
.LBB184_1269:
                                        ; implicit-def: $vgpr6
                                        ; implicit-def: $vgpr5
.LBB184_1270:
	s_and_b32 vcc_lo, exec_lo, s8
	s_cbranch_vccz .LBB184_1275
; %bb.1271:
	v_cmp_eq_u16_e32 vcc_lo, 44, v4
	s_cbranch_vccz .LBB184_1273
; %bb.1272:
	global_load_u8 v5, v[0:1], off
	s_mov_b32 s0, 0
	s_mov_b32 s11, -1
	s_waitcnt vmcnt(0)
	v_lshlrev_b32_e32 v6, 23, v5
	v_cmp_ne_u32_e32 vcc_lo, 0xff, v5
	s_delay_alu instid0(VALU_DEP_2) | instskip(NEXT) | instid1(VALU_DEP_1)
	v_cvt_f16_f32_e32 v6, v6
	v_cndmask_b32_e32 v6, 0x7e00, v6, vcc_lo
	v_cmp_ne_u32_e32 vcc_lo, 0, v5
	s_delay_alu instid0(VALU_DEP_2)
	v_cndmask_b32_e32 v5, 0, v6, vcc_lo
	s_branch .LBB184_1274
.LBB184_1273:
	s_mov_b32 s0, -1
                                        ; implicit-def: $vgpr5
.LBB184_1274:
	s_waitcnt vmcnt(0)
	v_mov_b32_e32 v6, s0
.LBB184_1275:
	s_mov_b32 s8, 0
.LBB184_1276:
	s_delay_alu instid0(SALU_CYCLE_1)
	s_and_b32 vcc_lo, exec_lo, s8
	s_cbranch_vccz .LBB184_1281
; %bb.1277:
	v_cmp_eq_u16_e32 vcc_lo, 29, v4
	s_cbranch_vccz .LBB184_1279
; %bb.1278:
	global_load_b64 v[5:6], v[0:1], off
	s_mov_b32 s0, 0
	s_mov_b32 s11, -1
	s_mov_b32 s8, 0
	s_waitcnt vmcnt(0)
	v_clz_i32_u32_e32 v8, v6
	s_delay_alu instid0(VALU_DEP_1) | instskip(NEXT) | instid1(VALU_DEP_1)
	v_min_u32_e32 v8, 32, v8
	v_lshlrev_b64 v[5:6], v8, v[5:6]
	s_delay_alu instid0(VALU_DEP_1) | instskip(NEXT) | instid1(VALU_DEP_1)
	v_min_u32_e32 v5, 1, v5
	v_or_b32_e32 v5, v6, v5
	v_sub_nc_u32_e32 v6, 32, v8
	s_delay_alu instid0(VALU_DEP_2) | instskip(NEXT) | instid1(VALU_DEP_1)
	v_cvt_f32_u32_e32 v5, v5
	v_ldexp_f32 v5, v5, v6
	s_delay_alu instid0(VALU_DEP_1)
	v_cvt_f16_f32_e32 v5, v5
	s_branch .LBB184_1280
.LBB184_1279:
	s_mov_b32 s0, -1
                                        ; implicit-def: $sgpr8
                                        ; implicit-def: $vgpr5
.LBB184_1280:
	s_waitcnt vmcnt(0)
	v_mov_b32_e32 v6, s8
.LBB184_1281:
	s_branch .LBB184_1301
.LBB184_1282:
	v_cmp_gt_i16_e32 vcc_lo, 27, v4
	s_cbranch_vccnz .LBB184_1285
; %bb.1283:
	v_cmp_lt_i16_e32 vcc_lo, 27, v4
	s_cbranch_vccz .LBB184_1286
; %bb.1284:
	global_load_b32 v5, v[0:1], off
	s_mov_b32 s11, 0
	s_mov_b32 s8, 0
	s_waitcnt vmcnt(0)
	v_cvt_f32_u32_e32 v5, v5
	s_delay_alu instid0(VALU_DEP_1)
	v_cvt_f16_f32_e32 v5, v5
	s_branch .LBB184_1287
.LBB184_1285:
	s_mov_b32 s11, -1
                                        ; implicit-def: $sgpr8
                                        ; implicit-def: $vgpr5
	s_branch .LBB184_1290
.LBB184_1286:
	s_mov_b32 s11, -1
                                        ; implicit-def: $sgpr8
                                        ; implicit-def: $vgpr5
.LBB184_1287:
	s_delay_alu instid0(SALU_CYCLE_1)
	s_and_not1_b32 vcc_lo, exec_lo, s11
	s_cbranch_vccnz .LBB184_1289
; %bb.1288:
	global_load_u16 v5, v[0:1], off
	s_mov_b32 s8, 0
	s_waitcnt vmcnt(0)
	v_cvt_f16_u16_e32 v5, v5
.LBB184_1289:
	s_mov_b32 s11, 0
.LBB184_1290:
	s_waitcnt vmcnt(0)
	v_mov_b32_e32 v6, s8
	s_and_not1_b32 vcc_lo, exec_lo, s11
	s_cbranch_vccnz .LBB184_1300
; %bb.1291:
	global_load_u8 v8, v[0:1], off
	s_mov_b32 s8, 0
	s_mov_b32 s13, exec_lo
                                        ; implicit-def: $sgpr12
                                        ; implicit-def: $sgpr11
	s_waitcnt vmcnt(0)
	v_cmpx_lt_i16_e32 0x7f, v8
	s_xor_b32 s13, exec_lo, s13
	s_cbranch_execz .LBB184_1295
; %bb.1292:
	s_mov_b32 s8, -1
	s_mov_b32 s14, exec_lo
                                        ; implicit-def: $sgpr12
                                        ; implicit-def: $sgpr11
	v_cmpx_eq_u16_e32 0x80, v8
; %bb.1293:
	s_movk_i32 s11, 0x7e00
	s_mov_b32 s12, 0
	s_xor_b32 s8, exec_lo, -1
; %bb.1294:
	s_or_b32 exec_lo, exec_lo, s14
	s_delay_alu instid0(SALU_CYCLE_1)
	s_and_b32 s8, s8, exec_lo
.LBB184_1295:
	s_or_saveexec_b32 s13, s13
	v_dual_mov_b32 v6, s12 :: v_dual_mov_b32 v5, s11
	s_xor_b32 exec_lo, exec_lo, s13
; %bb.1296:
	v_cmp_ne_u16_e32 vcc_lo, 0, v8
	v_dual_mov_b32 v6, 0 :: v_dual_mov_b32 v5, v8
	s_and_not1_b32 s8, s8, exec_lo
	s_and_b32 s11, vcc_lo, exec_lo
	s_delay_alu instid0(SALU_CYCLE_1)
	s_or_b32 s8, s8, s11
; %bb.1297:
	s_or_b32 exec_lo, exec_lo, s13
	s_and_saveexec_b32 s11, s8
	s_cbranch_execz .LBB184_1299
; %bb.1298:
	v_and_b32_e32 v5, 0xffff, v8
	v_lshlrev_b32_e32 v8, 24, v8
	s_delay_alu instid0(VALU_DEP_2) | instskip(NEXT) | instid1(VALU_DEP_2)
	v_and_b32_e32 v6, 7, v5
	v_and_b32_e32 v8, 0x80000000, v8
	s_delay_alu instid0(VALU_DEP_2) | instskip(NEXT) | instid1(VALU_DEP_1)
	v_clz_i32_u32_e32 v9, v6
	v_min_u32_e32 v9, 32, v9
	s_delay_alu instid0(VALU_DEP_1) | instskip(SKIP_1) | instid1(VALU_DEP_2)
	v_subrev_nc_u32_e32 v10, 28, v9
	v_sub_nc_u32_e32 v9, 29, v9
	v_lshlrev_b32_e32 v10, v10, v5
	v_bfe_u32 v5, v5, 3, 4
	s_delay_alu instid0(VALU_DEP_1) | instskip(NEXT) | instid1(VALU_DEP_3)
	v_cmp_eq_u32_e32 vcc_lo, 0, v5
	v_dual_cndmask_b32 v5, v5, v9 :: v_dual_and_b32 v10, 7, v10
	s_delay_alu instid0(VALU_DEP_1) | instskip(NEXT) | instid1(VALU_DEP_2)
	v_cndmask_b32_e32 v6, v6, v10, vcc_lo
	v_lshl_add_u32 v5, v5, 23, 0x3b800000
	s_delay_alu instid0(VALU_DEP_2) | instskip(NEXT) | instid1(VALU_DEP_1)
	v_lshlrev_b32_e32 v6, 20, v6
	v_or3_b32 v5, v8, v5, v6
	v_mov_b32_e32 v6, 0
	s_delay_alu instid0(VALU_DEP_2)
	v_cvt_f16_f32_e32 v5, v5
.LBB184_1299:
	s_or_b32 exec_lo, exec_lo, s11
.LBB184_1300:
	s_mov_b32 s11, -1
.LBB184_1301:
	s_branch .LBB184_1332
.LBB184_1302:
	v_cmp_lt_i16_e32 vcc_lo, 22, v4
	s_cbranch_vccz .LBB184_1314
; %bb.1303:
	v_cmp_gt_i16_e32 vcc_lo, 24, v4
	s_cbranch_vccnz .LBB184_1315
; %bb.1304:
	v_cmp_lt_i16_e32 vcc_lo, 24, v4
	s_cbranch_vccz .LBB184_1316
; %bb.1305:
	global_load_u8 v8, v[0:1], off
	s_mov_b32 s12, exec_lo
                                        ; implicit-def: $sgpr11
                                        ; implicit-def: $sgpr8
	s_waitcnt vmcnt(0)
	v_cmpx_lt_i16_e32 0x7f, v8
	s_xor_b32 s12, exec_lo, s12
	s_cbranch_execz .LBB184_1309
; %bb.1306:
	s_mov_b32 s1, -1
	s_mov_b32 s13, exec_lo
                                        ; implicit-def: $sgpr11
                                        ; implicit-def: $sgpr8
	v_cmpx_eq_u16_e32 0x80, v8
; %bb.1307:
	s_movk_i32 s8, 0x7e00
	s_mov_b32 s11, 0
	s_xor_b32 s1, exec_lo, -1
; %bb.1308:
	s_or_b32 exec_lo, exec_lo, s13
	s_delay_alu instid0(SALU_CYCLE_1)
	s_and_b32 s1, s1, exec_lo
.LBB184_1309:
	s_or_saveexec_b32 s12, s12
	v_dual_mov_b32 v6, s11 :: v_dual_mov_b32 v5, s8
	s_xor_b32 exec_lo, exec_lo, s12
; %bb.1310:
	v_cmp_ne_u16_e32 vcc_lo, 0, v8
	v_dual_mov_b32 v6, 0 :: v_dual_mov_b32 v5, v8
	s_and_not1_b32 s1, s1, exec_lo
	s_and_b32 s8, vcc_lo, exec_lo
	s_delay_alu instid0(SALU_CYCLE_1)
	s_or_b32 s1, s1, s8
; %bb.1311:
	s_or_b32 exec_lo, exec_lo, s12
	s_and_saveexec_b32 s8, s1
	s_cbranch_execz .LBB184_1313
; %bb.1312:
	v_and_b32_e32 v5, 0xffff, v8
	v_lshlrev_b32_e32 v8, 24, v8
	s_delay_alu instid0(VALU_DEP_2) | instskip(NEXT) | instid1(VALU_DEP_2)
	v_and_b32_e32 v6, 3, v5
	v_and_b32_e32 v8, 0x80000000, v8
	s_delay_alu instid0(VALU_DEP_2) | instskip(NEXT) | instid1(VALU_DEP_1)
	v_clz_i32_u32_e32 v9, v6
	v_min_u32_e32 v9, 32, v9
	s_delay_alu instid0(VALU_DEP_1) | instskip(SKIP_1) | instid1(VALU_DEP_2)
	v_subrev_nc_u32_e32 v10, 29, v9
	v_sub_nc_u32_e32 v9, 30, v9
	v_lshlrev_b32_e32 v10, v10, v5
	v_bfe_u32 v5, v5, 2, 5
	s_delay_alu instid0(VALU_DEP_1) | instskip(NEXT) | instid1(VALU_DEP_3)
	v_cmp_eq_u32_e32 vcc_lo, 0, v5
	v_dual_cndmask_b32 v5, v5, v9 :: v_dual_and_b32 v10, 3, v10
	s_delay_alu instid0(VALU_DEP_1) | instskip(NEXT) | instid1(VALU_DEP_2)
	v_cndmask_b32_e32 v6, v6, v10, vcc_lo
	v_lshl_add_u32 v5, v5, 23, 0x37800000
	s_delay_alu instid0(VALU_DEP_2) | instskip(NEXT) | instid1(VALU_DEP_1)
	v_lshlrev_b32_e32 v6, 21, v6
	v_or3_b32 v5, v8, v5, v6
	v_mov_b32_e32 v6, 0
	s_delay_alu instid0(VALU_DEP_2)
	v_cvt_f16_f32_e32 v5, v5
.LBB184_1313:
	s_or_b32 exec_lo, exec_lo, s8
	s_mov_b32 s1, 0
	s_branch .LBB184_1317
.LBB184_1314:
                                        ; implicit-def: $vgpr6
                                        ; implicit-def: $vgpr5
	s_mov_b32 s1, 0
	s_branch .LBB184_1323
.LBB184_1315:
	s_mov_b32 s1, -1
                                        ; implicit-def: $vgpr6
                                        ; implicit-def: $vgpr5
	s_branch .LBB184_1320
.LBB184_1316:
	s_mov_b32 s1, -1
                                        ; implicit-def: $vgpr6
                                        ; implicit-def: $vgpr5
.LBB184_1317:
	s_delay_alu instid0(SALU_CYCLE_1)
	s_and_b32 vcc_lo, exec_lo, s1
	s_cbranch_vccz .LBB184_1319
; %bb.1318:
	global_load_u8 v5, v[0:1], off
	s_waitcnt vmcnt(0)
	v_lshlrev_b32_e32 v5, 24, v5
	s_delay_alu instid0(VALU_DEP_1) | instskip(NEXT) | instid1(VALU_DEP_1)
	v_and_b32_e32 v6, 0x7f000000, v5
	v_clz_i32_u32_e32 v8, v6
	v_add_nc_u32_e32 v10, 0x1000000, v6
	v_cmp_ne_u32_e32 vcc_lo, 0, v6
	s_delay_alu instid0(VALU_DEP_3) | instskip(NEXT) | instid1(VALU_DEP_1)
	v_min_u32_e32 v8, 32, v8
	v_sub_nc_u32_e64 v8, v8, 4 clamp
	s_delay_alu instid0(VALU_DEP_1) | instskip(SKIP_1) | instid1(VALU_DEP_2)
	v_lshlrev_b32_e32 v9, v8, v6
	v_lshlrev_b32_e32 v8, 23, v8
	v_lshrrev_b32_e32 v9, 4, v9
	s_delay_alu instid0(VALU_DEP_1) | instskip(SKIP_1) | instid1(VALU_DEP_2)
	v_sub_nc_u32_e32 v8, v9, v8
	v_ashrrev_i32_e32 v9, 8, v10
	v_add_nc_u32_e32 v8, 0x3c000000, v8
	s_delay_alu instid0(VALU_DEP_1) | instskip(NEXT) | instid1(VALU_DEP_1)
	v_and_or_b32 v8, 0x7f800000, v9, v8
	v_cndmask_b32_e32 v6, 0, v8, vcc_lo
	s_delay_alu instid0(VALU_DEP_1) | instskip(SKIP_1) | instid1(VALU_DEP_2)
	v_and_or_b32 v5, 0x80000000, v5, v6
	v_mov_b32_e32 v6, 0
	v_cvt_f16_f32_e32 v5, v5
.LBB184_1319:
	s_mov_b32 s1, 0
.LBB184_1320:
	s_delay_alu instid0(SALU_CYCLE_1)
	s_and_not1_b32 vcc_lo, exec_lo, s1
	s_cbranch_vccnz .LBB184_1322
; %bb.1321:
	global_load_u8 v5, v[0:1], off
	s_waitcnt vmcnt(0)
	v_lshlrev_b32_e32 v6, 25, v5
	v_lshlrev_b16 v5, 8, v5
	s_delay_alu instid0(VALU_DEP_2) | instskip(NEXT) | instid1(VALU_DEP_2)
	v_lshrrev_b32_e32 v8, 4, v6
	v_and_or_b32 v9, 0x7f00, v5, 0.5
	v_cmp_gt_u32_e32 vcc_lo, 0x8000000, v6
	v_bfe_i32 v5, v5, 0, 16
	s_delay_alu instid0(VALU_DEP_4) | instskip(NEXT) | instid1(VALU_DEP_1)
	v_or_b32_e32 v8, 0x70000000, v8
	v_dual_add_f32 v9, -0.5, v9 :: v_dual_mul_f32 v8, 0x7800000, v8
	s_delay_alu instid0(VALU_DEP_1) | instskip(NEXT) | instid1(VALU_DEP_1)
	v_cndmask_b32_e32 v6, v8, v9, vcc_lo
	v_and_or_b32 v5, 0x80000000, v5, v6
	v_mov_b32_e32 v6, 0
	s_delay_alu instid0(VALU_DEP_2)
	v_cvt_f16_f32_e32 v5, v5
.LBB184_1322:
	s_mov_b32 s11, -1
	s_mov_b32 s1, 0
	s_cbranch_execnz .LBB184_1332
.LBB184_1323:
	v_cmp_lt_i16_e32 vcc_lo, 14, v4
	s_cbranch_vccz .LBB184_1326
; %bb.1324:
	v_cmp_eq_u16_e32 vcc_lo, 15, v4
	s_cbranch_vccz .LBB184_1327
; %bb.1325:
	global_load_u16 v5, v[0:1], off
	s_mov_b32 s0, 0
	s_mov_b32 s11, -1
	s_mov_b32 s8, 0
	s_waitcnt vmcnt(0)
	v_lshlrev_b32_e32 v5, 16, v5
	s_delay_alu instid0(VALU_DEP_1)
	v_cvt_f16_f32_e32 v5, v5
	s_branch .LBB184_1329
.LBB184_1326:
	s_mov_b32 s1, -1
	s_branch .LBB184_1328
.LBB184_1327:
	s_mov_b32 s0, -1
.LBB184_1328:
                                        ; implicit-def: $sgpr8
                                        ; implicit-def: $vgpr5
.LBB184_1329:
	s_and_b32 vcc_lo, exec_lo, s1
	s_mov_b32 s1, 0
	s_cbranch_vccz .LBB184_1331
; %bb.1330:
	v_cmp_ne_u16_e64 s0, 11, v4
	s_mov_b32 s1, -1
                                        ; implicit-def: $sgpr8
                                        ; implicit-def: $vgpr5
.LBB184_1331:
	s_waitcnt vmcnt(0)
	v_mov_b32_e32 v6, s8
.LBB184_1332:
	s_delay_alu instid0(VALU_DEP_2)
	s_and_b32 vcc_lo, exec_lo, s0
	s_mov_b32 s8, s10
	s_cbranch_vccnz .LBB184_1395
; %bb.1333:
	s_and_not1_b32 vcc_lo, exec_lo, s1
	s_cbranch_vccnz .LBB184_1335
.LBB184_1334:
	global_load_u8 v5, v[0:1], off
	s_waitcnt vmcnt(1)
	v_mov_b32_e32 v6, 0
	s_mov_b32 s11, -1
	s_waitcnt vmcnt(0)
	v_cmp_ne_u16_e32 vcc_lo, 0, v5
	v_cndmask_b32_e64 v5, 0, 0x3c00, vcc_lo
.LBB184_1335:
.LBB184_1336:
	s_and_not1_b32 vcc_lo, exec_lo, s11
	s_cbranch_vccnz .LBB184_2339
.LBB184_1337:
	s_waitcnt vmcnt(0)
	s_delay_alu instid0(VALU_DEP_1) | instskip(NEXT) | instid1(VALU_DEP_2)
	v_cmp_neq_f16_e32 vcc_lo, 0, v5
	v_cmp_neq_f16_e64 s0, 0, v6
	v_cvt_f32_f16_e32 v0, v6
	v_mov_b32_e32 v1, 0
	s_delay_alu instid0(VALU_DEP_3) | instskip(NEXT) | instid1(SALU_CYCLE_1)
	s_or_b32 s0, vcc_lo, s0
	s_and_saveexec_b32 s11, s0
	s_cbranch_execz .LBB184_1367
; %bb.1338:
	v_mov_b32_e32 v1, 0x7f800000
	s_mov_b32 s12, exec_lo
	v_cmpx_neq_f32_e64 0x7f800000, |v0|
	s_cbranch_execz .LBB184_1366
; %bb.1339:
	v_cvt_f32_f16_e32 v1, v5
	s_mov_b32 s0, exec_lo
	v_cmpx_o_f16_e32 v5, v5
	s_xor_b32 s13, exec_lo, s0
	s_cbranch_execz .LBB184_1363
; %bb.1340:
	s_mov_b32 s1, exec_lo
	v_cmpx_neq_f32_e64 0x7f800000, |v1|
	s_xor_b32 s14, exec_lo, s1
	s_cbranch_execz .LBB184_1356
; %bb.1341:
	v_max_f32_e64 v5, |v0|, |v0|
	v_max_f32_e64 v6, |v1|, |v1|
                                        ; implicit-def: $sgpr15
	s_delay_alu instid0(VALU_DEP_1) | instskip(NEXT) | instid1(VALU_DEP_1)
	v_max_f32_e32 v5, v6, v5
	v_cmp_nle_f32_e64 s0, 0x7ed413cb, v5
	s_delay_alu instid0(VALU_DEP_1) | instskip(NEXT) | instid1(SALU_CYCLE_1)
	s_and_saveexec_b32 s1, s0
	s_xor_b32 s1, exec_lo, s1
	s_cbranch_execz .LBB184_1345
; %bb.1342:
	v_cmp_ge_f32_e64 s15, 0x1000000, |v1|
	v_cmp_ge_f32_e64 s16, 0x1000000, |v0|
	s_delay_alu instid0(VALU_DEP_1)
	s_and_b32 s17, s15, s16
	s_mov_b32 s15, 0
	s_and_saveexec_b32 s16, s17
; %bb.1343:
	v_dual_mul_f32 v0, 4.0, v0 :: v_dual_mul_f32 v1, 4.0, v1
	s_mov_b32 s15, exec_lo
; %bb.1344:
	s_or_b32 exec_lo, exec_lo, s16
	s_delay_alu instid0(SALU_CYCLE_1)
	s_and_b32 s15, s15, exec_lo
.LBB184_1345:
	s_and_not1_saveexec_b32 s1, s1
; %bb.1346:
	v_dual_mul_f32 v1, 0x3e800000, v1 :: v_dual_mul_f32 v0, 0x3e800000, v0
	s_and_not1_b32 s15, s15, exec_lo
; %bb.1347:
	s_or_b32 exec_lo, exec_lo, s1
	s_delay_alu instid0(VALU_DEP_1) | instskip(NEXT) | instid1(VALU_DEP_2)
	v_max_f32_e64 v5, |v0|, |v0|
	v_max_f32_e64 v6, |v1|, |v1|
	s_delay_alu instid0(VALU_DEP_1) | instskip(NEXT) | instid1(VALU_DEP_1)
	v_max_f32_e32 v8, v6, v5
	v_cvt_f64_f32_e32 v[5:6], v8
	v_cmp_neq_f32_e64 s1, 0x7f800000, v8
	s_delay_alu instid0(VALU_DEP_2) | instskip(NEXT) | instid1(VALU_DEP_1)
	v_frexp_exp_i32_f64_e32 v5, v[5:6]
	v_sub_nc_u32_e32 v6, 0, v5
	s_delay_alu instid0(VALU_DEP_1) | instskip(SKIP_1) | instid1(VALU_DEP_2)
	v_ldexp_f32 v9, |v0|, v6
	v_ldexp_f32 v6, |v1|, v6
	v_mul_f32_e32 v9, v9, v9
	s_delay_alu instid0(VALU_DEP_1) | instskip(NEXT) | instid1(VALU_DEP_1)
	v_fmac_f32_e32 v9, v6, v6
	v_sqrt_f32_e32 v6, v9
	s_waitcnt_depctr 0xfff
	v_ldexp_f32 v5, v6, v5
                                        ; implicit-def: $vgpr6
	s_delay_alu instid0(VALU_DEP_1)
	v_cndmask_b32_e64 v8, 0x7f800000, v5, s1
                                        ; implicit-def: $vgpr5
	s_mov_b32 s1, exec_lo
	v_cmpx_le_f32_e32 0, v1
	s_xor_b32 s16, exec_lo, s1
	s_cbranch_execz .LBB184_1349
; %bb.1348:
	v_add_f32_e32 v1, v1, v8
	s_delay_alu instid0(VALU_DEP_1) | instskip(NEXT) | instid1(VALU_DEP_1)
	v_mul_f32_e32 v1, 0.5, v1
	v_mul_f32_e32 v5, 0x4f800000, v1
	v_cmp_gt_f32_e32 vcc_lo, 0xf800000, v1
	s_delay_alu instid0(VALU_DEP_2) | instskip(NEXT) | instid1(VALU_DEP_1)
	v_cndmask_b32_e32 v1, v1, v5, vcc_lo
	v_sqrt_f32_e32 v5, v1
	s_waitcnt_depctr 0xfff
	v_add_nc_u32_e32 v6, -1, v5
	v_add_nc_u32_e32 v8, 1, v5
	s_delay_alu instid0(VALU_DEP_2) | instskip(NEXT) | instid1(VALU_DEP_2)
	v_fma_f32 v9, -v6, v5, v1
	v_fma_f32 v10, -v8, v5, v1
	s_delay_alu instid0(VALU_DEP_2) | instskip(NEXT) | instid1(VALU_DEP_1)
	v_cmp_ge_f32_e64 s1, 0, v9
	v_cndmask_b32_e64 v5, v5, v6, s1
	s_delay_alu instid0(VALU_DEP_3) | instskip(NEXT) | instid1(VALU_DEP_1)
	v_cmp_lt_f32_e64 s1, 0, v10
	v_cndmask_b32_e64 v5, v5, v8, s1
	s_delay_alu instid0(VALU_DEP_1) | instskip(NEXT) | instid1(VALU_DEP_1)
	v_mul_f32_e32 v6, 0x37800000, v5
	v_cndmask_b32_e32 v5, v5, v6, vcc_lo
	v_cmp_class_f32_e64 vcc_lo, v1, 0x260
	s_delay_alu instid0(VALU_DEP_2) | instskip(NEXT) | instid1(VALU_DEP_1)
	v_cndmask_b32_e32 v5, v5, v1, vcc_lo
	v_add_f32_e32 v1, v5, v5
	s_delay_alu instid0(VALU_DEP_1) | instskip(NEXT) | instid1(VALU_DEP_1)
	v_div_scale_f32 v6, null, v1, v1, v0
	v_rcp_f32_e32 v8, v6
	s_waitcnt_depctr 0xfff
	v_fma_f32 v9, -v6, v8, 1.0
	s_delay_alu instid0(VALU_DEP_1) | instskip(SKIP_1) | instid1(VALU_DEP_1)
	v_fmac_f32_e32 v8, v9, v8
	v_div_scale_f32 v9, vcc_lo, v0, v1, v0
	v_mul_f32_e32 v10, v9, v8
	s_delay_alu instid0(VALU_DEP_1) | instskip(NEXT) | instid1(VALU_DEP_1)
	v_fma_f32 v11, -v6, v10, v9
	v_fmac_f32_e32 v10, v11, v8
	s_delay_alu instid0(VALU_DEP_1) | instskip(NEXT) | instid1(VALU_DEP_1)
	v_fma_f32 v6, -v6, v10, v9
	v_div_fmas_f32 v6, v6, v8, v10
                                        ; implicit-def: $vgpr8
	s_delay_alu instid0(VALU_DEP_1)
	v_div_fixup_f32 v6, v6, v1, v0
                                        ; implicit-def: $vgpr1
                                        ; implicit-def: $vgpr0
	s_and_not1_saveexec_b32 s16, s16
	s_cbranch_execz .LBB184_1351
	s_branch .LBB184_1350
.LBB184_1349:
	s_and_not1_saveexec_b32 s16, s16
	s_cbranch_execz .LBB184_1351
.LBB184_1350:
	v_sub_f32_e32 v1, v8, v1
	s_delay_alu instid0(VALU_DEP_1) | instskip(NEXT) | instid1(VALU_DEP_1)
	v_mul_f32_e32 v1, 0.5, v1
	v_mul_f32_e32 v5, 0x4f800000, v1
	v_cmp_gt_f32_e32 vcc_lo, 0xf800000, v1
	s_delay_alu instid0(VALU_DEP_2) | instskip(NEXT) | instid1(VALU_DEP_1)
	v_cndmask_b32_e32 v1, v1, v5, vcc_lo
	v_sqrt_f32_e32 v5, v1
	s_waitcnt_depctr 0xfff
	v_add_nc_u32_e32 v6, -1, v5
	v_add_nc_u32_e32 v8, 1, v5
	s_delay_alu instid0(VALU_DEP_2) | instskip(NEXT) | instid1(VALU_DEP_2)
	v_fma_f32 v9, -v6, v5, v1
	v_fma_f32 v10, -v8, v5, v1
	s_delay_alu instid0(VALU_DEP_2) | instskip(NEXT) | instid1(VALU_DEP_1)
	v_cmp_ge_f32_e64 s1, 0, v9
	v_cndmask_b32_e64 v5, v5, v6, s1
	s_delay_alu instid0(VALU_DEP_3) | instskip(NEXT) | instid1(VALU_DEP_1)
	v_cmp_lt_f32_e64 s1, 0, v10
	v_cndmask_b32_e64 v5, v5, v8, s1
	s_delay_alu instid0(VALU_DEP_1) | instskip(NEXT) | instid1(VALU_DEP_1)
	v_mul_f32_e32 v6, 0x37800000, v5
	v_cndmask_b32_e32 v5, v5, v6, vcc_lo
	v_cmp_class_f32_e64 vcc_lo, v1, 0x260
	s_delay_alu instid0(VALU_DEP_2) | instskip(NEXT) | instid1(VALU_DEP_1)
	v_cndmask_b32_e32 v1, v5, v1, vcc_lo
	v_dual_add_f32 v6, v1, v1 :: v_dual_and_b32 v5, 0x7fffffff, v0
	s_delay_alu instid0(VALU_DEP_1) | instskip(SKIP_1) | instid1(VALU_DEP_2)
	v_div_scale_f32 v8, null, v6, v6, v5
	v_div_scale_f32 v5, vcc_lo, v5, v6, v5
	v_rcp_f32_e32 v9, v8
	s_waitcnt_depctr 0xfff
	v_fma_f32 v10, -v8, v9, 1.0
	s_delay_alu instid0(VALU_DEP_1) | instskip(NEXT) | instid1(VALU_DEP_1)
	v_fmac_f32_e32 v9, v10, v9
	v_mul_f32_e32 v10, v5, v9
	s_delay_alu instid0(VALU_DEP_1) | instskip(NEXT) | instid1(VALU_DEP_1)
	v_fma_f32 v11, -v8, v10, v5
	v_fmac_f32_e32 v10, v11, v9
	s_delay_alu instid0(VALU_DEP_1) | instskip(NEXT) | instid1(VALU_DEP_1)
	v_fma_f32 v5, -v8, v10, v5
	v_div_fmas_f32 v5, v5, v9, v10
	s_delay_alu instid0(VALU_DEP_1)
	v_div_fixup_f32 v5, v5, v6, |v0|
	v_bfi_b32 v6, 0x7fffffff, v1, v0
.LBB184_1351:
	s_or_b32 exec_lo, exec_lo, s16
                                        ; implicit-def: $vgpr0
                                        ; implicit-def: $vgpr1
	s_and_saveexec_b32 s1, s0
	s_delay_alu instid0(SALU_CYCLE_1)
	s_xor_b32 s0, exec_lo, s1
	s_cbranch_execz .LBB184_1353
; %bb.1352:
	v_mul_f32_e32 v0, 0.5, v5
	v_mul_f32_e32 v8, 0.5, v6
	s_delay_alu instid0(VALU_DEP_2) | instskip(NEXT) | instid1(VALU_DEP_2)
	v_cndmask_b32_e64 v1, v5, v0, s15
	v_cndmask_b32_e64 v0, v6, v8, s15
                                        ; implicit-def: $vgpr5
                                        ; implicit-def: $vgpr6
	s_and_not1_saveexec_b32 s0, s0
	s_cbranch_execnz .LBB184_1354
	s_branch .LBB184_1355
.LBB184_1353:
	s_and_not1_saveexec_b32 s0, s0
.LBB184_1354:
	v_dual_add_f32 v1, v5, v5 :: v_dual_add_f32 v0, v6, v6
.LBB184_1355:
	s_or_b32 exec_lo, exec_lo, s0
                                        ; implicit-def: $vgpr5
.LBB184_1356:
	s_and_not1_saveexec_b32 s0, s14
	s_cbranch_execz .LBB184_1362
; %bb.1357:
	v_cmp_lt_i16_e32 vcc_lo, -1, v5
	v_sub_f32_e32 v5, v0, v0
	s_and_saveexec_b32 s1, vcc_lo
	s_delay_alu instid0(SALU_CYCLE_1)
	s_xor_b32 s1, exec_lo, s1
; %bb.1358:
	s_delay_alu instid0(VALU_DEP_1)
	v_bfi_b32 v0, 0x7fffffff, v5, v0
                                        ; implicit-def: $vgpr5
; %bb.1359:
	s_and_not1_saveexec_b32 s1, s1
; %bb.1360:
	v_and_b32_e32 v5, 0x7fffffff, v5
	s_delay_alu instid0(VALU_DEP_2) | instskip(NEXT) | instid1(VALU_DEP_2)
	v_bfi_b32 v0, 0x7fffffff, v1, v0
	v_mov_b32_e32 v1, v5
; %bb.1361:
	s_or_b32 exec_lo, exec_lo, s1
.LBB184_1362:
	s_delay_alu instid0(SALU_CYCLE_1)
	s_or_b32 exec_lo, exec_lo, s0
.LBB184_1363:
	s_and_not1_saveexec_b32 s0, s13
; %bb.1364:
	v_sub_f32_e32 v0, v0, v0
	s_delay_alu instid0(VALU_DEP_1) | instskip(NEXT) | instid1(VALU_DEP_1)
	v_div_scale_f32 v5, vcc_lo, v0, v0, v0
	v_rcp_f32_e32 v6, v5
	s_waitcnt_depctr 0xfff
	v_fma_f32 v8, -v5, v6, 1.0
	s_delay_alu instid0(VALU_DEP_1) | instskip(NEXT) | instid1(VALU_DEP_1)
	v_fmac_f32_e32 v6, v8, v6
	v_mul_f32_e32 v8, v5, v6
	s_delay_alu instid0(VALU_DEP_1) | instskip(NEXT) | instid1(VALU_DEP_1)
	v_fma_f32 v9, -v5, v8, v5
	v_fmac_f32_e32 v8, v9, v6
	s_delay_alu instid0(VALU_DEP_1) | instskip(NEXT) | instid1(VALU_DEP_1)
	v_fma_f32 v5, -v5, v8, v5
	v_div_fmas_f32 v5, v5, v6, v8
	s_delay_alu instid0(VALU_DEP_1)
	v_div_fixup_f32 v0, v5, v0, v0
; %bb.1365:
	s_or_b32 exec_lo, exec_lo, s0
.LBB184_1366:
	s_delay_alu instid0(SALU_CYCLE_1)
	s_or_b32 exec_lo, exec_lo, s12
.LBB184_1367:
	s_delay_alu instid0(SALU_CYCLE_1)
	s_or_b32 exec_lo, exec_lo, s11
	v_cmp_gt_f32_e32 vcc_lo, 0, v1
                                        ; implicit-def: $vgpr6
                                        ; implicit-def: $vgpr5
	s_mov_b32 s0, exec_lo
	v_cndmask_b32_e64 v8, v1, -v1, vcc_lo
	v_cmp_gt_f32_e32 vcc_lo, 0, v0
	v_cndmask_b32_e64 v9, v0, -v0, vcc_lo
	s_delay_alu instid0(VALU_DEP_1)
	v_cmpx_ge_f32_e32 v8, v9
	s_xor_b32 s1, exec_lo, s0
	s_cbranch_execz .LBB184_1373
; %bb.1368:
	v_cmp_neq_f32_e32 vcc_lo, 0, v1
	v_cmp_neq_f32_e64 s0, 0, v0
                                        ; implicit-def: $vgpr6
                                        ; implicit-def: $vgpr5
	s_delay_alu instid0(VALU_DEP_1) | instskip(NEXT) | instid1(SALU_CYCLE_1)
	s_or_b32 s0, vcc_lo, s0
	s_and_saveexec_b32 s11, s0
	s_delay_alu instid0(SALU_CYCLE_1)
	s_xor_b32 s0, exec_lo, s11
	s_cbranch_execz .LBB184_1370
; %bb.1369:
	v_div_scale_f32 v5, null, v1, v1, v0
	v_div_scale_f32 v9, vcc_lo, v0, v1, v0
	s_delay_alu instid0(VALU_DEP_2) | instskip(SKIP_2) | instid1(VALU_DEP_1)
	v_rcp_f32_e32 v6, v5
	s_waitcnt_depctr 0xfff
	v_fma_f32 v8, -v5, v6, 1.0
	v_fmac_f32_e32 v6, v8, v6
	s_delay_alu instid0(VALU_DEP_1) | instskip(NEXT) | instid1(VALU_DEP_1)
	v_mul_f32_e32 v8, v9, v6
	v_fma_f32 v10, -v5, v8, v9
	s_delay_alu instid0(VALU_DEP_1) | instskip(NEXT) | instid1(VALU_DEP_1)
	v_fmac_f32_e32 v8, v10, v6
	v_fma_f32 v5, -v5, v8, v9
	s_delay_alu instid0(VALU_DEP_1) | instskip(NEXT) | instid1(VALU_DEP_1)
	v_div_fmas_f32 v5, v5, v6, v8
	v_div_fixup_f32 v6, v5, v1, v0
	s_delay_alu instid0(VALU_DEP_1) | instskip(NEXT) | instid1(VALU_DEP_1)
	v_fmac_f32_e32 v1, v0, v6
	v_div_scale_f32 v0, null, v1, v1, 1.0
	v_div_scale_f32 v9, vcc_lo, 1.0, v1, 1.0
	s_delay_alu instid0(VALU_DEP_2) | instskip(SKIP_2) | instid1(VALU_DEP_1)
	v_rcp_f32_e32 v5, v0
	s_waitcnt_depctr 0xfff
	v_fma_f32 v8, -v0, v5, 1.0
	v_fmac_f32_e32 v5, v8, v5
	s_delay_alu instid0(VALU_DEP_1) | instskip(NEXT) | instid1(VALU_DEP_1)
	v_mul_f32_e32 v8, v9, v5
	v_fma_f32 v10, -v0, v8, v9
	s_delay_alu instid0(VALU_DEP_1) | instskip(NEXT) | instid1(VALU_DEP_1)
	v_fmac_f32_e32 v8, v10, v5
	v_fma_f32 v0, -v0, v8, v9
                                        ; implicit-def: $vgpr9
	s_delay_alu instid0(VALU_DEP_1) | instskip(SKIP_1) | instid1(VALU_DEP_2)
	v_div_fmas_f32 v0, v0, v5, v8
	v_fma_f32 v5, v6, 0, 1.0
                                        ; implicit-def: $vgpr8
	v_div_fixup_f32 v0, v0, v1, 1.0
	s_delay_alu instid0(VALU_DEP_1)
	v_mul_f32_e32 v5, v5, v0
	v_mul_f32_e64 v6, -v6, v0
.LBB184_1370:
	s_and_not1_saveexec_b32 s11, s0
	s_cbranch_execz .LBB184_1372
; %bb.1371:
	v_div_scale_f32 v0, null, v8, v8, 1.0
	v_div_scale_f32 v1, null, v9, v9, 0
	v_div_scale_f32 v12, vcc_lo, 1.0, v8, 1.0
	s_delay_alu instid0(VALU_DEP_3) | instskip(NEXT) | instid1(VALU_DEP_2)
	v_rcp_f32_e32 v5, v0
	v_rcp_f32_e32 v6, v1
	s_waitcnt_depctr 0xfff
	v_fma_f32 v10, -v0, v5, 1.0
	v_fma_f32 v11, -v1, v6, 1.0
	s_delay_alu instid0(VALU_DEP_1) | instskip(SKIP_1) | instid1(VALU_DEP_2)
	v_dual_fmac_f32 v5, v10, v5 :: v_dual_fmac_f32 v6, v11, v6
	v_div_scale_f32 v10, s0, 0, v9, 0
	v_mul_f32_e32 v11, v12, v5
	s_delay_alu instid0(VALU_DEP_2) | instskip(NEXT) | instid1(VALU_DEP_2)
	v_mul_f32_e32 v13, v10, v6
	v_fma_f32 v14, -v0, v11, v12
	s_delay_alu instid0(VALU_DEP_2) | instskip(NEXT) | instid1(VALU_DEP_2)
	v_fma_f32 v15, -v1, v13, v10
	v_fmac_f32_e32 v11, v14, v5
	s_delay_alu instid0(VALU_DEP_2) | instskip(NEXT) | instid1(VALU_DEP_2)
	v_fmac_f32_e32 v13, v15, v6
	v_fma_f32 v0, -v0, v11, v12
	s_delay_alu instid0(VALU_DEP_2) | instskip(NEXT) | instid1(VALU_DEP_2)
	v_fma_f32 v1, -v1, v13, v10
	v_div_fmas_f32 v0, v0, v5, v11
	s_mov_b32 vcc_lo, s0
	s_delay_alu instid0(VALU_DEP_2) | instskip(NEXT) | instid1(VALU_DEP_2)
	v_div_fmas_f32 v1, v1, v6, v13
	v_div_fixup_f32 v5, v0, v8, 1.0
	s_delay_alu instid0(VALU_DEP_2)
	v_div_fixup_f32 v6, v1, v9, 0
.LBB184_1372:
	s_or_b32 exec_lo, exec_lo, s11
                                        ; implicit-def: $vgpr0
                                        ; implicit-def: $vgpr1
.LBB184_1373:
	s_and_not1_saveexec_b32 s0, s1
	s_cbranch_execz .LBB184_1375
; %bb.1374:
	v_div_scale_f32 v5, null, v0, v0, v1
	v_div_scale_f32 v9, vcc_lo, v1, v0, v1
	s_delay_alu instid0(VALU_DEP_2) | instskip(SKIP_2) | instid1(VALU_DEP_1)
	v_rcp_f32_e32 v6, v5
	s_waitcnt_depctr 0xfff
	v_fma_f32 v8, -v5, v6, 1.0
	v_fmac_f32_e32 v6, v8, v6
	s_delay_alu instid0(VALU_DEP_1) | instskip(NEXT) | instid1(VALU_DEP_1)
	v_mul_f32_e32 v8, v9, v6
	v_fma_f32 v10, -v5, v8, v9
	s_delay_alu instid0(VALU_DEP_1) | instskip(NEXT) | instid1(VALU_DEP_1)
	v_fmac_f32_e32 v8, v10, v6
	v_fma_f32 v5, -v5, v8, v9
	s_delay_alu instid0(VALU_DEP_1) | instskip(NEXT) | instid1(VALU_DEP_1)
	v_div_fmas_f32 v5, v5, v6, v8
	v_div_fixup_f32 v5, v5, v0, v1
	s_delay_alu instid0(VALU_DEP_1) | instskip(NEXT) | instid1(VALU_DEP_1)
	v_fmac_f32_e32 v0, v1, v5
	v_div_scale_f32 v1, null, v0, v0, 1.0
	v_div_scale_f32 v9, vcc_lo, 1.0, v0, 1.0
	s_delay_alu instid0(VALU_DEP_2) | instskip(SKIP_2) | instid1(VALU_DEP_1)
	v_rcp_f32_e32 v6, v1
	s_waitcnt_depctr 0xfff
	v_fma_f32 v8, -v1, v6, 1.0
	v_fmac_f32_e32 v6, v8, v6
	s_delay_alu instid0(VALU_DEP_1) | instskip(NEXT) | instid1(VALU_DEP_1)
	v_mul_f32_e32 v8, v9, v6
	v_fma_f32 v10, -v1, v8, v9
	s_delay_alu instid0(VALU_DEP_1) | instskip(NEXT) | instid1(VALU_DEP_1)
	v_fmac_f32_e32 v8, v10, v6
	v_fma_f32 v1, -v1, v8, v9
	s_delay_alu instid0(VALU_DEP_1) | instskip(SKIP_1) | instid1(VALU_DEP_2)
	v_div_fmas_f32 v1, v1, v6, v8
	v_add_f32_e32 v6, 0, v5
	v_div_fixup_f32 v0, v1, v0, 1.0
	v_fma_f32 v1, v5, 0, -1.0
	s_delay_alu instid0(VALU_DEP_2) | instskip(NEXT) | instid1(VALU_DEP_2)
	v_mul_f32_e32 v5, v6, v0
	v_mul_f32_e32 v6, v1, v0
.LBB184_1375:
	s_or_b32 exec_lo, exec_lo, s0
	s_lshl_b32 s3, s3, 7
	v_cmp_gt_i16_e32 vcc_lo, 11, v4
	v_add_nc_u32_e32 v9, s3, v7
	s_delay_alu instid0(VALU_DEP_1) | instskip(SKIP_1) | instid1(VALU_DEP_1)
	v_ashrrev_i32_e32 v1, 31, v9
	v_add_co_u32 v0, s0, s6, v9
	v_add_co_ci_u32_e64 v1, s0, s7, v1, s0
	s_cbranch_vccnz .LBB184_1382
; %bb.1376:
	v_cmp_lt_i16_e32 vcc_lo, 25, v4
	s_mov_b32 s1, 0
	s_cbranch_vccz .LBB184_1388
; %bb.1377:
	v_cmp_lt_i16_e32 vcc_lo, 28, v4
	s_cbranch_vccz .LBB184_1391
; %bb.1378:
	v_cmp_lt_i16_e32 vcc_lo, 43, v4
	;; [unrolled: 3-line block ×3, first 2 shown]
	s_cbranch_vccz .LBB184_1399
; %bb.1380:
	v_cmp_eq_u16_e32 vcc_lo, 46, v4
	s_mov_b32 s12, 0
	s_cbranch_vccz .LBB184_1444
; %bb.1381:
	global_load_b32 v7, v[0:1], off
	s_mov_b32 s0, 0
	s_mov_b32 s11, -1
	s_waitcnt vmcnt(0)
	v_lshlrev_b32_e32 v8, 16, v7
	v_and_b32_e32 v10, 0xffff0000, v7
	s_delay_alu instid0(VALU_DEP_2) | instskip(NEXT) | instid1(VALU_DEP_2)
	v_cvt_f16_f32_e32 v7, v8
	v_cvt_f16_f32_e32 v8, v10
	s_branch .LBB184_1446
.LBB184_1382:
	s_mov_b32 s11, 0
                                        ; implicit-def: $vgpr8
                                        ; implicit-def: $vgpr7
	s_cbranch_execz .LBB184_1514
; %bb.1383:
	v_cmp_gt_i16_e32 vcc_lo, 5, v4
	s_cbranch_vccnz .LBB184_1389
; %bb.1384:
	v_cmp_gt_i16_e32 vcc_lo, 8, v4
	s_cbranch_vccnz .LBB184_1392
	;; [unrolled: 3-line block ×3, first 2 shown]
; %bb.1386:
	v_cmp_lt_i16_e32 vcc_lo, 9, v4
	s_cbranch_vccz .LBB184_1400
; %bb.1387:
	global_load_b128 v[10:13], v[0:1], off
	s_mov_b32 s0, 0
	s_waitcnt vmcnt(0)
	v_cvt_f32_f64_e32 v7, v[10:11]
	v_cvt_f32_f64_e32 v8, v[12:13]
	s_delay_alu instid0(VALU_DEP_2) | instskip(NEXT) | instid1(VALU_DEP_2)
	v_cvt_f16_f32_e32 v7, v7
	v_cvt_f16_f32_e32 v8, v8
	s_branch .LBB184_1401
.LBB184_1388:
	s_mov_b32 s11, 0
	s_mov_b32 s0, 0
                                        ; implicit-def: $vgpr8
                                        ; implicit-def: $vgpr7
	s_cbranch_execnz .LBB184_1479
	s_branch .LBB184_1510
.LBB184_1389:
                                        ; implicit-def: $vgpr8
                                        ; implicit-def: $vgpr7
	s_branch .LBB184_1420
.LBB184_1390:
	s_branch .LBB184_1515
.LBB184_1391:
	s_mov_b32 s12, -1
	s_mov_b32 s11, 0
	s_mov_b32 s0, 0
                                        ; implicit-def: $vgpr8
                                        ; implicit-def: $vgpr7
	s_branch .LBB184_1458
.LBB184_1392:
	s_mov_b32 s0, -1
                                        ; implicit-def: $vgpr8
                                        ; implicit-def: $vgpr7
	s_branch .LBB184_1407
.LBB184_1393:
	s_mov_b32 s12, -1
	s_mov_b32 s11, 0
	s_mov_b32 s0, 0
                                        ; implicit-def: $vgpr8
                                        ; implicit-def: $vgpr7
	s_branch .LBB184_1452
.LBB184_1394:
	s_mov_b32 s0, -1
                                        ; implicit-def: $vgpr8
                                        ; implicit-def: $vgpr7
	s_branch .LBB184_1404
.LBB184_1395:
	s_cbranch_execnz .LBB184_1440
; %bb.1396:
	s_or_b32 s8, s10, exec_lo
                                        ; implicit-def: $vgpr6
                                        ; implicit-def: $vgpr5
	s_cbranch_execz .LBB184_1334
	s_branch .LBB184_1335
.LBB184_1397:
	s_or_saveexec_b32 s14, s14
                                        ; implicit-def: $sgpr15
	s_delay_alu instid0(SALU_CYCLE_1)
	s_xor_b32 exec_lo, exec_lo, s14
	s_cbranch_execz .LBB184_1115
.LBB184_1398:
	v_add_f32_e64 v8, 0x46000000, |v6|
	s_and_not1_b32 s13, s13, exec_lo
	s_mov_b32 s15, 0
	s_delay_alu instid0(VALU_DEP_1) | instskip(NEXT) | instid1(VALU_DEP_1)
	v_and_b32_e32 v8, 0xff, v8
	v_cmp_ne_u32_e32 vcc_lo, 0, v8
	s_and_b32 s16, vcc_lo, exec_lo
	s_delay_alu instid0(SALU_CYCLE_1)
	s_or_b32 s13, s13, s16
	s_or_b32 exec_lo, exec_lo, s14
	v_mov_b32_e32 v9, s15
	s_and_saveexec_b32 s14, s13
	s_cbranch_execnz .LBB184_1116
	s_branch .LBB184_1117
.LBB184_1399:
	s_mov_b32 s12, -1
	s_mov_b32 s11, 0
	s_mov_b32 s0, 0
	s_branch .LBB184_1445
.LBB184_1400:
	s_mov_b32 s0, -1
                                        ; implicit-def: $vgpr8
                                        ; implicit-def: $vgpr7
.LBB184_1401:
	s_delay_alu instid0(SALU_CYCLE_1)
	s_and_not1_b32 vcc_lo, exec_lo, s0
	s_cbranch_vccnz .LBB184_1403
; %bb.1402:
	global_load_b64 v[7:8], v[0:1], off
	s_waitcnt vmcnt(0)
	v_cvt_f16_f32_e32 v7, v7
	v_cvt_f16_f32_e32 v8, v8
.LBB184_1403:
	s_mov_b32 s0, 0
.LBB184_1404:
	s_delay_alu instid0(SALU_CYCLE_1)
	s_and_not1_b32 vcc_lo, exec_lo, s0
	s_cbranch_vccnz .LBB184_1406
; %bb.1405:
	global_load_b32 v7, v[0:1], off
	s_waitcnt vmcnt(0)
	v_lshrrev_b32_e32 v8, 16, v7
.LBB184_1406:
	s_mov_b32 s0, 0
.LBB184_1407:
	s_delay_alu instid0(SALU_CYCLE_1)
	s_and_not1_b32 vcc_lo, exec_lo, s0
	s_cbranch_vccnz .LBB184_1419
; %bb.1408:
	v_cmp_gt_i16_e32 vcc_lo, 6, v4
	s_cbranch_vccnz .LBB184_1411
; %bb.1409:
	v_cmp_lt_i16_e32 vcc_lo, 6, v4
	s_cbranch_vccz .LBB184_1412
; %bb.1410:
	global_load_b64 v[7:8], v[0:1], off
	s_mov_b32 s1, 0
	s_mov_b32 s0, 0
	s_waitcnt vmcnt(0)
	v_cvt_f32_f64_e32 v7, v[7:8]
	s_delay_alu instid0(VALU_DEP_1)
	v_cvt_f16_f32_e32 v7, v7
	s_branch .LBB184_1413
.LBB184_1411:
	s_mov_b32 s1, -1
                                        ; implicit-def: $sgpr0
                                        ; implicit-def: $vgpr7
	s_branch .LBB184_1416
.LBB184_1412:
	s_mov_b32 s1, -1
                                        ; implicit-def: $sgpr0
                                        ; implicit-def: $vgpr7
.LBB184_1413:
	s_delay_alu instid0(SALU_CYCLE_1)
	s_and_not1_b32 vcc_lo, exec_lo, s1
	s_cbranch_vccnz .LBB184_1415
; %bb.1414:
	global_load_b32 v7, v[0:1], off
	s_mov_b32 s0, 0
	s_waitcnt vmcnt(0)
	v_cvt_f16_f32_e32 v7, v7
.LBB184_1415:
	s_mov_b32 s1, 0
.LBB184_1416:
	s_delay_alu instid0(SALU_CYCLE_1)
	s_and_not1_b32 vcc_lo, exec_lo, s1
	s_cbranch_vccnz .LBB184_1418
; %bb.1417:
	global_load_u16 v7, v[0:1], off
	s_mov_b32 s0, 0
.LBB184_1418:
	s_delay_alu instid0(SALU_CYCLE_1)
	v_mov_b32_e32 v8, s0
.LBB184_1419:
	s_cbranch_execnz .LBB184_1390
.LBB184_1420:
	v_cmp_gt_i16_e32 vcc_lo, 2, v4
	s_cbranch_vccnz .LBB184_1424
; %bb.1421:
	v_cmp_gt_i16_e32 vcc_lo, 3, v4
	s_cbranch_vccnz .LBB184_1425
; %bb.1422:
	v_cmp_lt_i16_e32 vcc_lo, 3, v4
	s_cbranch_vccz .LBB184_1426
; %bb.1423:
	global_load_b64 v[7:8], v[0:1], off
	s_mov_b32 s1, 0
	s_mov_b32 s0, 0
	s_waitcnt vmcnt(0)
	v_xor_b32_e32 v10, v7, v8
	v_cls_i32_e32 v11, v8
	s_delay_alu instid0(VALU_DEP_2) | instskip(NEXT) | instid1(VALU_DEP_2)
	v_ashrrev_i32_e32 v10, 31, v10
	v_add_nc_u32_e32 v11, -1, v11
	s_delay_alu instid0(VALU_DEP_2) | instskip(NEXT) | instid1(VALU_DEP_1)
	v_add_nc_u32_e32 v10, 32, v10
	v_min_u32_e32 v10, v11, v10
	s_delay_alu instid0(VALU_DEP_1) | instskip(NEXT) | instid1(VALU_DEP_1)
	v_lshlrev_b64 v[7:8], v10, v[7:8]
	v_min_u32_e32 v7, 1, v7
	s_delay_alu instid0(VALU_DEP_1) | instskip(SKIP_1) | instid1(VALU_DEP_2)
	v_or_b32_e32 v7, v8, v7
	v_sub_nc_u32_e32 v8, 32, v10
	v_cvt_f32_i32_e32 v7, v7
	s_delay_alu instid0(VALU_DEP_1) | instskip(NEXT) | instid1(VALU_DEP_1)
	v_ldexp_f32 v7, v7, v8
	v_cvt_f16_f32_e32 v7, v7
	s_branch .LBB184_1427
.LBB184_1424:
	s_mov_b32 s1, -1
                                        ; implicit-def: $sgpr0
                                        ; implicit-def: $vgpr7
	s_branch .LBB184_1433
.LBB184_1425:
	s_mov_b32 s1, -1
                                        ; implicit-def: $sgpr0
                                        ; implicit-def: $vgpr7
	s_branch .LBB184_1430
.LBB184_1426:
	s_mov_b32 s1, -1
                                        ; implicit-def: $sgpr0
                                        ; implicit-def: $vgpr7
.LBB184_1427:
	s_delay_alu instid0(SALU_CYCLE_1)
	s_and_not1_b32 vcc_lo, exec_lo, s1
	s_cbranch_vccnz .LBB184_1429
; %bb.1428:
	global_load_b32 v7, v[0:1], off
	s_mov_b32 s0, 0
	s_waitcnt vmcnt(0)
	v_cvt_f32_i32_e32 v7, v7
	s_delay_alu instid0(VALU_DEP_1)
	v_cvt_f16_f32_e32 v7, v7
.LBB184_1429:
	s_mov_b32 s1, 0
.LBB184_1430:
	s_delay_alu instid0(SALU_CYCLE_1)
	s_and_not1_b32 vcc_lo, exec_lo, s1
	s_cbranch_vccnz .LBB184_1432
; %bb.1431:
	global_load_u16 v7, v[0:1], off
	s_mov_b32 s0, 0
	s_waitcnt vmcnt(0)
	v_cvt_f16_i16_e32 v7, v7
.LBB184_1432:
	s_mov_b32 s1, 0
.LBB184_1433:
	s_delay_alu instid0(SALU_CYCLE_1)
	s_and_not1_b32 vcc_lo, exec_lo, s1
	s_cbranch_vccnz .LBB184_1439
; %bb.1434:
	v_cmp_lt_i16_e32 vcc_lo, 0, v4
	s_mov_b32 s1, 0
	s_cbranch_vccz .LBB184_1436
; %bb.1435:
	global_load_i8 v7, v[0:1], off
	s_mov_b32 s0, 0
	s_waitcnt vmcnt(0)
	v_cvt_f16_i16_e32 v7, v7
	s_branch .LBB184_1437
.LBB184_1436:
	s_mov_b32 s1, -1
                                        ; implicit-def: $sgpr0
                                        ; implicit-def: $vgpr7
.LBB184_1437:
	s_delay_alu instid0(SALU_CYCLE_1)
	s_and_not1_b32 vcc_lo, exec_lo, s1
	s_cbranch_vccnz .LBB184_1439
; %bb.1438:
	global_load_u8 v0, v[0:1], off
	s_mov_b32 s0, 0
	s_waitcnt vmcnt(0)
	v_cvt_f16_u16_e32 v7, v0
.LBB184_1439:
	v_mov_b32_e32 v8, s0
	s_branch .LBB184_1515
.LBB184_1440:
	s_trap 2
	s_sendmsg_rtn_b32 s0, sendmsg(MSG_RTN_GET_DOORBELL)
	s_mov_b32 ttmp2, m0
	s_waitcnt lgkmcnt(0)
	s_and_b32 s0, s0, 0x3ff
	s_delay_alu instid0(SALU_CYCLE_1) | instskip(NEXT) | instid1(SALU_CYCLE_1)
	s_bitset1_b32 s0, 10
	s_mov_b32 m0, s0
	s_sendmsg sendmsg(MSG_INTERRUPT)
	s_mov_b32 m0, ttmp2
.LBB184_1441:                           ; =>This Inner Loop Header: Depth=1
	s_sethalt 5
	s_branch .LBB184_1441
.LBB184_1442:
	s_or_saveexec_b32 s15, s15
                                        ; implicit-def: $sgpr16
	s_delay_alu instid0(SALU_CYCLE_1)
	s_xor_b32 exec_lo, exec_lo, s15
	s_cbranch_execz .LBB184_1127
.LBB184_1443:
	v_add_f32_e64 v8, 0x42800000, |v6|
	s_and_not1_b32 s14, s14, exec_lo
	s_mov_b32 s16, 0
	s_delay_alu instid0(VALU_DEP_1) | instskip(NEXT) | instid1(VALU_DEP_1)
	v_and_b32_e32 v8, 0xff, v8
	v_cmp_ne_u32_e32 vcc_lo, 0, v8
	s_and_b32 s17, vcc_lo, exec_lo
	s_delay_alu instid0(SALU_CYCLE_1)
	s_or_b32 s14, s14, s17
	s_or_b32 exec_lo, exec_lo, s15
	v_mov_b32_e32 v9, s16
	s_and_saveexec_b32 s15, s14
	s_cbranch_execnz .LBB184_1128
	s_branch .LBB184_1129
.LBB184_1444:
	s_mov_b32 s0, -1
	s_mov_b32 s11, 0
.LBB184_1445:
                                        ; implicit-def: $vgpr8
                                        ; implicit-def: $vgpr7
.LBB184_1446:
	s_and_b32 vcc_lo, exec_lo, s12
	s_cbranch_vccz .LBB184_1451
; %bb.1447:
	v_cmp_eq_u16_e32 vcc_lo, 44, v4
	s_cbranch_vccz .LBB184_1449
; %bb.1448:
	global_load_u8 v7, v[0:1], off
	s_mov_b32 s0, 0
	s_mov_b32 s11, -1
	s_waitcnt vmcnt(0)
	v_lshlrev_b32_e32 v8, 23, v7
	v_cmp_ne_u32_e32 vcc_lo, 0xff, v7
	s_delay_alu instid0(VALU_DEP_2) | instskip(NEXT) | instid1(VALU_DEP_1)
	v_cvt_f16_f32_e32 v8, v8
	v_cndmask_b32_e32 v8, 0x7e00, v8, vcc_lo
	v_cmp_ne_u32_e32 vcc_lo, 0, v7
	s_delay_alu instid0(VALU_DEP_2)
	v_cndmask_b32_e32 v7, 0, v8, vcc_lo
	s_branch .LBB184_1450
.LBB184_1449:
	s_mov_b32 s0, -1
                                        ; implicit-def: $vgpr7
.LBB184_1450:
	s_delay_alu instid0(SALU_CYCLE_1)
	v_mov_b32_e32 v8, s0
.LBB184_1451:
	s_mov_b32 s12, 0
.LBB184_1452:
	s_delay_alu instid0(SALU_CYCLE_1)
	s_and_b32 vcc_lo, exec_lo, s12
	s_cbranch_vccz .LBB184_1457
; %bb.1453:
	v_cmp_eq_u16_e32 vcc_lo, 29, v4
	s_cbranch_vccz .LBB184_1455
; %bb.1454:
	global_load_b64 v[7:8], v[0:1], off
	s_mov_b32 s0, 0
	s_mov_b32 s11, -1
	s_mov_b32 s12, 0
	s_waitcnt vmcnt(0)
	v_clz_i32_u32_e32 v10, v8
	s_delay_alu instid0(VALU_DEP_1) | instskip(NEXT) | instid1(VALU_DEP_1)
	v_min_u32_e32 v10, 32, v10
	v_lshlrev_b64 v[7:8], v10, v[7:8]
	s_delay_alu instid0(VALU_DEP_1) | instskip(NEXT) | instid1(VALU_DEP_1)
	v_min_u32_e32 v7, 1, v7
	v_or_b32_e32 v7, v8, v7
	v_sub_nc_u32_e32 v8, 32, v10
	s_delay_alu instid0(VALU_DEP_2) | instskip(NEXT) | instid1(VALU_DEP_1)
	v_cvt_f32_u32_e32 v7, v7
	v_ldexp_f32 v7, v7, v8
	s_delay_alu instid0(VALU_DEP_1)
	v_cvt_f16_f32_e32 v7, v7
	s_branch .LBB184_1456
.LBB184_1455:
	s_mov_b32 s0, -1
                                        ; implicit-def: $sgpr12
                                        ; implicit-def: $vgpr7
.LBB184_1456:
	v_mov_b32_e32 v8, s12
.LBB184_1457:
	s_mov_b32 s12, 0
.LBB184_1458:
	s_delay_alu instid0(SALU_CYCLE_1)
	s_and_b32 vcc_lo, exec_lo, s12
	s_cbranch_vccz .LBB184_1478
; %bb.1459:
	v_cmp_gt_i16_e32 vcc_lo, 27, v4
	s_cbranch_vccnz .LBB184_1462
; %bb.1460:
	v_cmp_lt_i16_e32 vcc_lo, 27, v4
	s_cbranch_vccz .LBB184_1463
; %bb.1461:
	global_load_b32 v7, v[0:1], off
	s_mov_b32 s12, 0
	s_mov_b32 s11, 0
	s_waitcnt vmcnt(0)
	v_cvt_f32_u32_e32 v7, v7
	s_delay_alu instid0(VALU_DEP_1)
	v_cvt_f16_f32_e32 v7, v7
	s_branch .LBB184_1464
.LBB184_1462:
	s_mov_b32 s12, -1
                                        ; implicit-def: $sgpr11
                                        ; implicit-def: $vgpr7
	s_branch .LBB184_1467
.LBB184_1463:
	s_mov_b32 s12, -1
                                        ; implicit-def: $sgpr11
                                        ; implicit-def: $vgpr7
.LBB184_1464:
	s_delay_alu instid0(SALU_CYCLE_1)
	s_and_not1_b32 vcc_lo, exec_lo, s12
	s_cbranch_vccnz .LBB184_1466
; %bb.1465:
	global_load_u16 v7, v[0:1], off
	s_mov_b32 s11, 0
	s_waitcnt vmcnt(0)
	v_cvt_f16_u16_e32 v7, v7
.LBB184_1466:
	s_mov_b32 s12, 0
.LBB184_1467:
	v_mov_b32_e32 v8, s11
	s_and_not1_b32 vcc_lo, exec_lo, s12
	s_cbranch_vccnz .LBB184_1477
; %bb.1468:
	global_load_u8 v10, v[0:1], off
	s_mov_b32 s11, 0
	s_mov_b32 s14, exec_lo
                                        ; implicit-def: $sgpr13
                                        ; implicit-def: $sgpr12
	s_waitcnt vmcnt(0)
	v_cmpx_lt_i16_e32 0x7f, v10
	s_xor_b32 s14, exec_lo, s14
	s_cbranch_execz .LBB184_1472
; %bb.1469:
	s_mov_b32 s11, -1
	s_mov_b32 s15, exec_lo
                                        ; implicit-def: $sgpr13
                                        ; implicit-def: $sgpr12
	v_cmpx_eq_u16_e32 0x80, v10
; %bb.1470:
	s_movk_i32 s12, 0x7e00
	s_mov_b32 s13, 0
	s_xor_b32 s11, exec_lo, -1
; %bb.1471:
	s_or_b32 exec_lo, exec_lo, s15
	s_delay_alu instid0(SALU_CYCLE_1)
	s_and_b32 s11, s11, exec_lo
.LBB184_1472:
	s_or_saveexec_b32 s14, s14
	v_dual_mov_b32 v8, s13 :: v_dual_mov_b32 v7, s12
	s_xor_b32 exec_lo, exec_lo, s14
; %bb.1473:
	v_cmp_ne_u16_e32 vcc_lo, 0, v10
	v_dual_mov_b32 v8, 0 :: v_dual_mov_b32 v7, v10
	s_and_not1_b32 s11, s11, exec_lo
	s_and_b32 s12, vcc_lo, exec_lo
	s_delay_alu instid0(SALU_CYCLE_1)
	s_or_b32 s11, s11, s12
; %bb.1474:
	s_or_b32 exec_lo, exec_lo, s14
	s_and_saveexec_b32 s12, s11
	s_cbranch_execz .LBB184_1476
; %bb.1475:
	v_and_b32_e32 v7, 0xffff, v10
	v_lshlrev_b32_e32 v10, 24, v10
	s_delay_alu instid0(VALU_DEP_2) | instskip(NEXT) | instid1(VALU_DEP_2)
	v_and_b32_e32 v8, 7, v7
	v_and_b32_e32 v10, 0x80000000, v10
	s_delay_alu instid0(VALU_DEP_2) | instskip(NEXT) | instid1(VALU_DEP_1)
	v_clz_i32_u32_e32 v11, v8
	v_min_u32_e32 v11, 32, v11
	s_delay_alu instid0(VALU_DEP_1) | instskip(SKIP_1) | instid1(VALU_DEP_2)
	v_subrev_nc_u32_e32 v12, 28, v11
	v_sub_nc_u32_e32 v11, 29, v11
	v_lshlrev_b32_e32 v12, v12, v7
	v_bfe_u32 v7, v7, 3, 4
	s_delay_alu instid0(VALU_DEP_1) | instskip(NEXT) | instid1(VALU_DEP_3)
	v_cmp_eq_u32_e32 vcc_lo, 0, v7
	v_dual_cndmask_b32 v7, v7, v11 :: v_dual_and_b32 v12, 7, v12
	s_delay_alu instid0(VALU_DEP_1) | instskip(NEXT) | instid1(VALU_DEP_2)
	v_cndmask_b32_e32 v8, v8, v12, vcc_lo
	v_lshl_add_u32 v7, v7, 23, 0x3b800000
	s_delay_alu instid0(VALU_DEP_2) | instskip(NEXT) | instid1(VALU_DEP_1)
	v_lshlrev_b32_e32 v8, 20, v8
	v_or3_b32 v7, v10, v7, v8
	v_mov_b32_e32 v8, 0
	s_delay_alu instid0(VALU_DEP_2)
	v_cvt_f16_f32_e32 v7, v7
.LBB184_1476:
	s_or_b32 exec_lo, exec_lo, s12
.LBB184_1477:
	s_mov_b32 s11, -1
.LBB184_1478:
	s_branch .LBB184_1510
.LBB184_1479:
	v_cmp_lt_i16_e32 vcc_lo, 22, v4
	s_cbranch_vccz .LBB184_1491
; %bb.1480:
	v_cmp_gt_i16_e32 vcc_lo, 24, v4
	s_cbranch_vccnz .LBB184_1492
; %bb.1481:
	v_cmp_lt_i16_e32 vcc_lo, 24, v4
	s_cbranch_vccz .LBB184_1493
; %bb.1482:
	global_load_u8 v10, v[0:1], off
	s_mov_b32 s13, exec_lo
                                        ; implicit-def: $sgpr12
                                        ; implicit-def: $sgpr11
	s_waitcnt vmcnt(0)
	v_cmpx_lt_i16_e32 0x7f, v10
	s_xor_b32 s13, exec_lo, s13
	s_cbranch_execz .LBB184_1486
; %bb.1483:
	s_mov_b32 s1, -1
	s_mov_b32 s14, exec_lo
                                        ; implicit-def: $sgpr12
                                        ; implicit-def: $sgpr11
	v_cmpx_eq_u16_e32 0x80, v10
; %bb.1484:
	s_movk_i32 s11, 0x7e00
	s_mov_b32 s12, 0
	s_xor_b32 s1, exec_lo, -1
; %bb.1485:
	s_or_b32 exec_lo, exec_lo, s14
	s_delay_alu instid0(SALU_CYCLE_1)
	s_and_b32 s1, s1, exec_lo
.LBB184_1486:
	s_or_saveexec_b32 s13, s13
	v_dual_mov_b32 v8, s12 :: v_dual_mov_b32 v7, s11
	s_xor_b32 exec_lo, exec_lo, s13
; %bb.1487:
	v_cmp_ne_u16_e32 vcc_lo, 0, v10
	v_dual_mov_b32 v8, 0 :: v_dual_mov_b32 v7, v10
	s_and_not1_b32 s1, s1, exec_lo
	s_and_b32 s11, vcc_lo, exec_lo
	s_delay_alu instid0(SALU_CYCLE_1)
	s_or_b32 s1, s1, s11
; %bb.1488:
	s_or_b32 exec_lo, exec_lo, s13
	s_and_saveexec_b32 s11, s1
	s_cbranch_execz .LBB184_1490
; %bb.1489:
	v_and_b32_e32 v7, 0xffff, v10
	v_lshlrev_b32_e32 v10, 24, v10
	s_delay_alu instid0(VALU_DEP_2) | instskip(NEXT) | instid1(VALU_DEP_2)
	v_and_b32_e32 v8, 3, v7
	v_and_b32_e32 v10, 0x80000000, v10
	s_delay_alu instid0(VALU_DEP_2) | instskip(NEXT) | instid1(VALU_DEP_1)
	v_clz_i32_u32_e32 v11, v8
	v_min_u32_e32 v11, 32, v11
	s_delay_alu instid0(VALU_DEP_1) | instskip(SKIP_1) | instid1(VALU_DEP_2)
	v_subrev_nc_u32_e32 v12, 29, v11
	v_sub_nc_u32_e32 v11, 30, v11
	v_lshlrev_b32_e32 v12, v12, v7
	v_bfe_u32 v7, v7, 2, 5
	s_delay_alu instid0(VALU_DEP_1) | instskip(NEXT) | instid1(VALU_DEP_3)
	v_cmp_eq_u32_e32 vcc_lo, 0, v7
	v_dual_cndmask_b32 v7, v7, v11 :: v_dual_and_b32 v12, 3, v12
	s_delay_alu instid0(VALU_DEP_1) | instskip(NEXT) | instid1(VALU_DEP_2)
	v_cndmask_b32_e32 v8, v8, v12, vcc_lo
	v_lshl_add_u32 v7, v7, 23, 0x37800000
	s_delay_alu instid0(VALU_DEP_2) | instskip(NEXT) | instid1(VALU_DEP_1)
	v_lshlrev_b32_e32 v8, 21, v8
	v_or3_b32 v7, v10, v7, v8
	v_mov_b32_e32 v8, 0
	s_delay_alu instid0(VALU_DEP_2)
	v_cvt_f16_f32_e32 v7, v7
.LBB184_1490:
	s_or_b32 exec_lo, exec_lo, s11
	s_mov_b32 s1, 0
	s_branch .LBB184_1494
.LBB184_1491:
	s_mov_b32 s1, -1
                                        ; implicit-def: $vgpr8
                                        ; implicit-def: $vgpr7
	s_branch .LBB184_1500
.LBB184_1492:
	s_mov_b32 s1, -1
                                        ; implicit-def: $vgpr8
                                        ; implicit-def: $vgpr7
	s_branch .LBB184_1497
.LBB184_1493:
	s_mov_b32 s1, -1
                                        ; implicit-def: $vgpr8
                                        ; implicit-def: $vgpr7
.LBB184_1494:
	s_delay_alu instid0(SALU_CYCLE_1)
	s_and_b32 vcc_lo, exec_lo, s1
	s_cbranch_vccz .LBB184_1496
; %bb.1495:
	global_load_u8 v7, v[0:1], off
	s_waitcnt vmcnt(0)
	v_lshlrev_b32_e32 v7, 24, v7
	s_delay_alu instid0(VALU_DEP_1) | instskip(NEXT) | instid1(VALU_DEP_1)
	v_and_b32_e32 v8, 0x7f000000, v7
	v_clz_i32_u32_e32 v10, v8
	v_add_nc_u32_e32 v12, 0x1000000, v8
	v_cmp_ne_u32_e32 vcc_lo, 0, v8
	s_delay_alu instid0(VALU_DEP_3) | instskip(NEXT) | instid1(VALU_DEP_1)
	v_min_u32_e32 v10, 32, v10
	v_sub_nc_u32_e64 v10, v10, 4 clamp
	s_delay_alu instid0(VALU_DEP_1) | instskip(SKIP_1) | instid1(VALU_DEP_2)
	v_lshlrev_b32_e32 v11, v10, v8
	v_lshlrev_b32_e32 v10, 23, v10
	v_lshrrev_b32_e32 v11, 4, v11
	s_delay_alu instid0(VALU_DEP_1) | instskip(SKIP_1) | instid1(VALU_DEP_2)
	v_sub_nc_u32_e32 v10, v11, v10
	v_ashrrev_i32_e32 v11, 8, v12
	v_add_nc_u32_e32 v10, 0x3c000000, v10
	s_delay_alu instid0(VALU_DEP_1) | instskip(NEXT) | instid1(VALU_DEP_1)
	v_and_or_b32 v10, 0x7f800000, v11, v10
	v_cndmask_b32_e32 v8, 0, v10, vcc_lo
	s_delay_alu instid0(VALU_DEP_1) | instskip(SKIP_1) | instid1(VALU_DEP_2)
	v_and_or_b32 v7, 0x80000000, v7, v8
	v_mov_b32_e32 v8, 0
	v_cvt_f16_f32_e32 v7, v7
.LBB184_1496:
	s_mov_b32 s1, 0
.LBB184_1497:
	s_delay_alu instid0(SALU_CYCLE_1)
	s_and_not1_b32 vcc_lo, exec_lo, s1
	s_cbranch_vccnz .LBB184_1499
; %bb.1498:
	global_load_u8 v7, v[0:1], off
	s_waitcnt vmcnt(0)
	v_lshlrev_b32_e32 v8, 25, v7
	v_lshlrev_b16 v7, 8, v7
	s_delay_alu instid0(VALU_DEP_2) | instskip(NEXT) | instid1(VALU_DEP_2)
	v_lshrrev_b32_e32 v10, 4, v8
	v_and_or_b32 v11, 0x7f00, v7, 0.5
	v_cmp_gt_u32_e32 vcc_lo, 0x8000000, v8
	v_bfe_i32 v7, v7, 0, 16
	s_delay_alu instid0(VALU_DEP_4) | instskip(NEXT) | instid1(VALU_DEP_1)
	v_or_b32_e32 v10, 0x70000000, v10
	v_dual_add_f32 v11, -0.5, v11 :: v_dual_mul_f32 v10, 0x7800000, v10
	s_delay_alu instid0(VALU_DEP_1) | instskip(NEXT) | instid1(VALU_DEP_1)
	v_cndmask_b32_e32 v8, v10, v11, vcc_lo
	v_and_or_b32 v7, 0x80000000, v7, v8
	v_mov_b32_e32 v8, 0
	s_delay_alu instid0(VALU_DEP_2)
	v_cvt_f16_f32_e32 v7, v7
.LBB184_1499:
	s_mov_b32 s1, 0
	s_mov_b32 s11, -1
.LBB184_1500:
	s_and_not1_b32 vcc_lo, exec_lo, s1
	s_mov_b32 s1, 0
	s_cbranch_vccnz .LBB184_1510
; %bb.1501:
	v_cmp_lt_i16_e32 vcc_lo, 14, v4
	s_cbranch_vccz .LBB184_1504
; %bb.1502:
	v_cmp_eq_u16_e32 vcc_lo, 15, v4
	s_cbranch_vccz .LBB184_1505
; %bb.1503:
	global_load_u16 v7, v[0:1], off
	s_mov_b32 s0, 0
	s_mov_b32 s11, -1
	s_mov_b32 s12, 0
	s_waitcnt vmcnt(0)
	v_lshlrev_b32_e32 v7, 16, v7
	s_delay_alu instid0(VALU_DEP_1)
	v_cvt_f16_f32_e32 v7, v7
	s_branch .LBB184_1507
.LBB184_1504:
	s_mov_b32 s1, -1
	s_branch .LBB184_1506
.LBB184_1505:
	s_mov_b32 s0, -1
.LBB184_1506:
                                        ; implicit-def: $sgpr12
                                        ; implicit-def: $vgpr7
.LBB184_1507:
	s_and_b32 vcc_lo, exec_lo, s1
	s_mov_b32 s1, 0
	s_cbranch_vccz .LBB184_1509
; %bb.1508:
	v_cmp_ne_u16_e64 s0, 11, v4
	s_mov_b32 s1, -1
                                        ; implicit-def: $sgpr12
                                        ; implicit-def: $vgpr7
.LBB184_1509:
	v_mov_b32_e32 v8, s12
.LBB184_1510:
	s_delay_alu instid0(VALU_DEP_2)
	s_and_b32 vcc_lo, exec_lo, s0
	s_cbranch_vccnz .LBB184_1572
; %bb.1511:
	s_and_not1_b32 vcc_lo, exec_lo, s1
	s_cbranch_vccnz .LBB184_1513
.LBB184_1512:
	global_load_u8 v7, v[0:1], off
	v_mov_b32_e32 v8, 0
	s_mov_b32 s11, -1
	s_waitcnt vmcnt(0)
	v_cmp_ne_u16_e32 vcc_lo, 0, v7
	v_cndmask_b32_e64 v7, 0, 0x3c00, vcc_lo
.LBB184_1513:
.LBB184_1514:
	s_and_not1_b32 vcc_lo, exec_lo, s11
	s_cbranch_vccnz .LBB184_2339
.LBB184_1515:
	s_waitcnt vmcnt(0)
	s_delay_alu instid0(VALU_DEP_1) | instskip(NEXT) | instid1(VALU_DEP_2)
	v_cmp_neq_f16_e32 vcc_lo, 0, v7
	v_cmp_neq_f16_e64 s0, 0, v8
	v_cvt_f32_f16_e32 v0, v8
	v_mov_b32_e32 v1, 0
	s_delay_alu instid0(VALU_DEP_3) | instskip(NEXT) | instid1(SALU_CYCLE_1)
	s_or_b32 s0, vcc_lo, s0
	s_and_saveexec_b32 s11, s0
	s_cbranch_execz .LBB184_1545
; %bb.1516:
	v_mov_b32_e32 v1, 0x7f800000
	s_mov_b32 s12, exec_lo
	v_cmpx_neq_f32_e64 0x7f800000, |v0|
	s_cbranch_execz .LBB184_1544
; %bb.1517:
	v_cvt_f32_f16_e32 v1, v7
	s_mov_b32 s0, exec_lo
	v_cmpx_o_f16_e32 v7, v7
	s_xor_b32 s13, exec_lo, s0
	s_cbranch_execz .LBB184_1541
; %bb.1518:
	s_mov_b32 s1, exec_lo
	v_cmpx_neq_f32_e64 0x7f800000, |v1|
	s_xor_b32 s14, exec_lo, s1
	s_cbranch_execz .LBB184_1534
; %bb.1519:
	v_max_f32_e64 v7, |v0|, |v0|
	v_max_f32_e64 v8, |v1|, |v1|
                                        ; implicit-def: $sgpr15
	s_delay_alu instid0(VALU_DEP_1) | instskip(NEXT) | instid1(VALU_DEP_1)
	v_max_f32_e32 v7, v8, v7
	v_cmp_nle_f32_e64 s0, 0x7ed413cb, v7
	s_delay_alu instid0(VALU_DEP_1) | instskip(NEXT) | instid1(SALU_CYCLE_1)
	s_and_saveexec_b32 s1, s0
	s_xor_b32 s1, exec_lo, s1
	s_cbranch_execz .LBB184_1523
; %bb.1520:
	v_cmp_ge_f32_e64 s15, 0x1000000, |v1|
	v_cmp_ge_f32_e64 s16, 0x1000000, |v0|
	s_delay_alu instid0(VALU_DEP_1)
	s_and_b32 s17, s15, s16
	s_mov_b32 s15, 0
	s_and_saveexec_b32 s16, s17
; %bb.1521:
	v_dual_mul_f32 v0, 4.0, v0 :: v_dual_mul_f32 v1, 4.0, v1
	s_mov_b32 s15, exec_lo
; %bb.1522:
	s_or_b32 exec_lo, exec_lo, s16
	s_delay_alu instid0(SALU_CYCLE_1)
	s_and_b32 s15, s15, exec_lo
.LBB184_1523:
	s_and_not1_saveexec_b32 s1, s1
; %bb.1524:
	v_dual_mul_f32 v1, 0x3e800000, v1 :: v_dual_mul_f32 v0, 0x3e800000, v0
	s_and_not1_b32 s15, s15, exec_lo
; %bb.1525:
	s_or_b32 exec_lo, exec_lo, s1
	s_delay_alu instid0(VALU_DEP_1) | instskip(NEXT) | instid1(VALU_DEP_2)
	v_max_f32_e64 v7, |v0|, |v0|
	v_max_f32_e64 v8, |v1|, |v1|
	s_delay_alu instid0(VALU_DEP_1) | instskip(NEXT) | instid1(VALU_DEP_1)
	v_max_f32_e32 v10, v8, v7
	v_cvt_f64_f32_e32 v[7:8], v10
	v_cmp_neq_f32_e64 s1, 0x7f800000, v10
	s_delay_alu instid0(VALU_DEP_2) | instskip(NEXT) | instid1(VALU_DEP_1)
	v_frexp_exp_i32_f64_e32 v7, v[7:8]
	v_sub_nc_u32_e32 v8, 0, v7
	s_delay_alu instid0(VALU_DEP_1) | instskip(SKIP_1) | instid1(VALU_DEP_2)
	v_ldexp_f32 v11, |v0|, v8
	v_ldexp_f32 v8, |v1|, v8
	v_mul_f32_e32 v11, v11, v11
	s_delay_alu instid0(VALU_DEP_1) | instskip(NEXT) | instid1(VALU_DEP_1)
	v_fmac_f32_e32 v11, v8, v8
	v_sqrt_f32_e32 v8, v11
	s_waitcnt_depctr 0xfff
	v_ldexp_f32 v7, v8, v7
                                        ; implicit-def: $vgpr8
	s_delay_alu instid0(VALU_DEP_1)
	v_cndmask_b32_e64 v10, 0x7f800000, v7, s1
                                        ; implicit-def: $vgpr7
	s_mov_b32 s1, exec_lo
	v_cmpx_le_f32_e32 0, v1
	s_xor_b32 s16, exec_lo, s1
	s_cbranch_execz .LBB184_1527
; %bb.1526:
	v_add_f32_e32 v1, v1, v10
	s_delay_alu instid0(VALU_DEP_1) | instskip(NEXT) | instid1(VALU_DEP_1)
	v_mul_f32_e32 v1, 0.5, v1
	v_mul_f32_e32 v7, 0x4f800000, v1
	v_cmp_gt_f32_e32 vcc_lo, 0xf800000, v1
	s_delay_alu instid0(VALU_DEP_2) | instskip(NEXT) | instid1(VALU_DEP_1)
	v_cndmask_b32_e32 v1, v1, v7, vcc_lo
	v_sqrt_f32_e32 v7, v1
	s_waitcnt_depctr 0xfff
	v_add_nc_u32_e32 v8, -1, v7
	v_add_nc_u32_e32 v10, 1, v7
	s_delay_alu instid0(VALU_DEP_2) | instskip(NEXT) | instid1(VALU_DEP_2)
	v_fma_f32 v11, -v8, v7, v1
	v_fma_f32 v12, -v10, v7, v1
	s_delay_alu instid0(VALU_DEP_2) | instskip(NEXT) | instid1(VALU_DEP_1)
	v_cmp_ge_f32_e64 s1, 0, v11
	v_cndmask_b32_e64 v7, v7, v8, s1
	s_delay_alu instid0(VALU_DEP_3) | instskip(NEXT) | instid1(VALU_DEP_1)
	v_cmp_lt_f32_e64 s1, 0, v12
	v_cndmask_b32_e64 v7, v7, v10, s1
	s_delay_alu instid0(VALU_DEP_1) | instskip(NEXT) | instid1(VALU_DEP_1)
	v_mul_f32_e32 v8, 0x37800000, v7
	v_cndmask_b32_e32 v7, v7, v8, vcc_lo
	v_cmp_class_f32_e64 vcc_lo, v1, 0x260
	s_delay_alu instid0(VALU_DEP_2) | instskip(NEXT) | instid1(VALU_DEP_1)
	v_cndmask_b32_e32 v7, v7, v1, vcc_lo
	v_add_f32_e32 v1, v7, v7
	s_delay_alu instid0(VALU_DEP_1) | instskip(NEXT) | instid1(VALU_DEP_1)
	v_div_scale_f32 v8, null, v1, v1, v0
	v_rcp_f32_e32 v10, v8
	s_waitcnt_depctr 0xfff
	v_fma_f32 v11, -v8, v10, 1.0
	s_delay_alu instid0(VALU_DEP_1) | instskip(SKIP_1) | instid1(VALU_DEP_1)
	v_fmac_f32_e32 v10, v11, v10
	v_div_scale_f32 v11, vcc_lo, v0, v1, v0
	v_mul_f32_e32 v12, v11, v10
	s_delay_alu instid0(VALU_DEP_1) | instskip(NEXT) | instid1(VALU_DEP_1)
	v_fma_f32 v13, -v8, v12, v11
	v_fmac_f32_e32 v12, v13, v10
	s_delay_alu instid0(VALU_DEP_1) | instskip(NEXT) | instid1(VALU_DEP_1)
	v_fma_f32 v8, -v8, v12, v11
	v_div_fmas_f32 v8, v8, v10, v12
                                        ; implicit-def: $vgpr10
	s_delay_alu instid0(VALU_DEP_1)
	v_div_fixup_f32 v8, v8, v1, v0
                                        ; implicit-def: $vgpr1
                                        ; implicit-def: $vgpr0
	s_and_not1_saveexec_b32 s16, s16
	s_cbranch_execz .LBB184_1529
	s_branch .LBB184_1528
.LBB184_1527:
	s_and_not1_saveexec_b32 s16, s16
	s_cbranch_execz .LBB184_1529
.LBB184_1528:
	v_sub_f32_e32 v1, v10, v1
	s_delay_alu instid0(VALU_DEP_1) | instskip(NEXT) | instid1(VALU_DEP_1)
	v_mul_f32_e32 v1, 0.5, v1
	v_mul_f32_e32 v7, 0x4f800000, v1
	v_cmp_gt_f32_e32 vcc_lo, 0xf800000, v1
	s_delay_alu instid0(VALU_DEP_2) | instskip(NEXT) | instid1(VALU_DEP_1)
	v_cndmask_b32_e32 v1, v1, v7, vcc_lo
	v_sqrt_f32_e32 v7, v1
	s_waitcnt_depctr 0xfff
	v_add_nc_u32_e32 v8, -1, v7
	v_add_nc_u32_e32 v10, 1, v7
	s_delay_alu instid0(VALU_DEP_2) | instskip(NEXT) | instid1(VALU_DEP_2)
	v_fma_f32 v11, -v8, v7, v1
	v_fma_f32 v12, -v10, v7, v1
	s_delay_alu instid0(VALU_DEP_2) | instskip(NEXT) | instid1(VALU_DEP_1)
	v_cmp_ge_f32_e64 s1, 0, v11
	v_cndmask_b32_e64 v7, v7, v8, s1
	s_delay_alu instid0(VALU_DEP_3) | instskip(NEXT) | instid1(VALU_DEP_1)
	v_cmp_lt_f32_e64 s1, 0, v12
	v_cndmask_b32_e64 v7, v7, v10, s1
	s_delay_alu instid0(VALU_DEP_1) | instskip(NEXT) | instid1(VALU_DEP_1)
	v_mul_f32_e32 v8, 0x37800000, v7
	v_cndmask_b32_e32 v7, v7, v8, vcc_lo
	v_cmp_class_f32_e64 vcc_lo, v1, 0x260
	s_delay_alu instid0(VALU_DEP_2) | instskip(NEXT) | instid1(VALU_DEP_1)
	v_cndmask_b32_e32 v1, v7, v1, vcc_lo
	v_dual_add_f32 v8, v1, v1 :: v_dual_and_b32 v7, 0x7fffffff, v0
	s_delay_alu instid0(VALU_DEP_1) | instskip(SKIP_1) | instid1(VALU_DEP_2)
	v_div_scale_f32 v10, null, v8, v8, v7
	v_div_scale_f32 v7, vcc_lo, v7, v8, v7
	v_rcp_f32_e32 v11, v10
	s_waitcnt_depctr 0xfff
	v_fma_f32 v12, -v10, v11, 1.0
	s_delay_alu instid0(VALU_DEP_1) | instskip(NEXT) | instid1(VALU_DEP_1)
	v_fmac_f32_e32 v11, v12, v11
	v_mul_f32_e32 v12, v7, v11
	s_delay_alu instid0(VALU_DEP_1) | instskip(NEXT) | instid1(VALU_DEP_1)
	v_fma_f32 v13, -v10, v12, v7
	v_fmac_f32_e32 v12, v13, v11
	s_delay_alu instid0(VALU_DEP_1) | instskip(NEXT) | instid1(VALU_DEP_1)
	v_fma_f32 v7, -v10, v12, v7
	v_div_fmas_f32 v7, v7, v11, v12
	s_delay_alu instid0(VALU_DEP_1)
	v_div_fixup_f32 v7, v7, v8, |v0|
	v_bfi_b32 v8, 0x7fffffff, v1, v0
.LBB184_1529:
	s_or_b32 exec_lo, exec_lo, s16
                                        ; implicit-def: $vgpr0
                                        ; implicit-def: $vgpr1
	s_and_saveexec_b32 s1, s0
	s_delay_alu instid0(SALU_CYCLE_1)
	s_xor_b32 s0, exec_lo, s1
	s_cbranch_execz .LBB184_1531
; %bb.1530:
	v_mul_f32_e32 v0, 0.5, v7
	v_mul_f32_e32 v10, 0.5, v8
	s_delay_alu instid0(VALU_DEP_2) | instskip(NEXT) | instid1(VALU_DEP_2)
	v_cndmask_b32_e64 v1, v7, v0, s15
	v_cndmask_b32_e64 v0, v8, v10, s15
                                        ; implicit-def: $vgpr7
                                        ; implicit-def: $vgpr8
	s_and_not1_saveexec_b32 s0, s0
	s_cbranch_execnz .LBB184_1532
	s_branch .LBB184_1533
.LBB184_1531:
	s_and_not1_saveexec_b32 s0, s0
.LBB184_1532:
	v_dual_add_f32 v1, v7, v7 :: v_dual_add_f32 v0, v8, v8
.LBB184_1533:
	s_or_b32 exec_lo, exec_lo, s0
                                        ; implicit-def: $vgpr7
.LBB184_1534:
	s_and_not1_saveexec_b32 s0, s14
	s_cbranch_execz .LBB184_1540
; %bb.1535:
	v_cmp_lt_i16_e32 vcc_lo, -1, v7
	v_sub_f32_e32 v7, v0, v0
	s_and_saveexec_b32 s1, vcc_lo
	s_delay_alu instid0(SALU_CYCLE_1)
	s_xor_b32 s1, exec_lo, s1
; %bb.1536:
	s_delay_alu instid0(VALU_DEP_1)
	v_bfi_b32 v0, 0x7fffffff, v7, v0
                                        ; implicit-def: $vgpr7
; %bb.1537:
	s_and_not1_saveexec_b32 s1, s1
; %bb.1538:
	v_and_b32_e32 v7, 0x7fffffff, v7
	s_delay_alu instid0(VALU_DEP_2) | instskip(NEXT) | instid1(VALU_DEP_2)
	v_bfi_b32 v0, 0x7fffffff, v1, v0
	v_mov_b32_e32 v1, v7
; %bb.1539:
	s_or_b32 exec_lo, exec_lo, s1
.LBB184_1540:
	s_delay_alu instid0(SALU_CYCLE_1)
	s_or_b32 exec_lo, exec_lo, s0
.LBB184_1541:
	s_and_not1_saveexec_b32 s0, s13
; %bb.1542:
	v_sub_f32_e32 v0, v0, v0
	s_delay_alu instid0(VALU_DEP_1) | instskip(NEXT) | instid1(VALU_DEP_1)
	v_div_scale_f32 v7, vcc_lo, v0, v0, v0
	v_rcp_f32_e32 v8, v7
	s_waitcnt_depctr 0xfff
	v_fma_f32 v10, -v7, v8, 1.0
	s_delay_alu instid0(VALU_DEP_1) | instskip(NEXT) | instid1(VALU_DEP_1)
	v_fmac_f32_e32 v8, v10, v8
	v_mul_f32_e32 v10, v7, v8
	s_delay_alu instid0(VALU_DEP_1) | instskip(NEXT) | instid1(VALU_DEP_1)
	v_fma_f32 v11, -v7, v10, v7
	v_fmac_f32_e32 v10, v11, v8
	s_delay_alu instid0(VALU_DEP_1) | instskip(NEXT) | instid1(VALU_DEP_1)
	v_fma_f32 v7, -v7, v10, v7
	v_div_fmas_f32 v7, v7, v8, v10
	s_delay_alu instid0(VALU_DEP_1)
	v_div_fixup_f32 v0, v7, v0, v0
; %bb.1543:
	s_or_b32 exec_lo, exec_lo, s0
.LBB184_1544:
	s_delay_alu instid0(SALU_CYCLE_1)
	s_or_b32 exec_lo, exec_lo, s12
.LBB184_1545:
	s_delay_alu instid0(SALU_CYCLE_1)
	s_or_b32 exec_lo, exec_lo, s11
	v_cmp_gt_f32_e32 vcc_lo, 0, v1
                                        ; implicit-def: $vgpr8
                                        ; implicit-def: $vgpr7
	s_mov_b32 s0, exec_lo
	v_cndmask_b32_e64 v10, v1, -v1, vcc_lo
	v_cmp_gt_f32_e32 vcc_lo, 0, v0
	v_cndmask_b32_e64 v11, v0, -v0, vcc_lo
	s_delay_alu instid0(VALU_DEP_1)
	v_cmpx_ge_f32_e32 v10, v11
	s_xor_b32 s1, exec_lo, s0
	s_cbranch_execz .LBB184_1551
; %bb.1546:
	v_cmp_neq_f32_e32 vcc_lo, 0, v1
	v_cmp_neq_f32_e64 s0, 0, v0
                                        ; implicit-def: $vgpr8
                                        ; implicit-def: $vgpr7
	s_delay_alu instid0(VALU_DEP_1) | instskip(NEXT) | instid1(SALU_CYCLE_1)
	s_or_b32 s0, vcc_lo, s0
	s_and_saveexec_b32 s11, s0
	s_delay_alu instid0(SALU_CYCLE_1)
	s_xor_b32 s0, exec_lo, s11
	s_cbranch_execz .LBB184_1548
; %bb.1547:
	v_div_scale_f32 v7, null, v1, v1, v0
	v_div_scale_f32 v11, vcc_lo, v0, v1, v0
	s_delay_alu instid0(VALU_DEP_2) | instskip(SKIP_2) | instid1(VALU_DEP_1)
	v_rcp_f32_e32 v8, v7
	s_waitcnt_depctr 0xfff
	v_fma_f32 v10, -v7, v8, 1.0
	v_fmac_f32_e32 v8, v10, v8
	s_delay_alu instid0(VALU_DEP_1) | instskip(NEXT) | instid1(VALU_DEP_1)
	v_mul_f32_e32 v10, v11, v8
	v_fma_f32 v12, -v7, v10, v11
	s_delay_alu instid0(VALU_DEP_1) | instskip(NEXT) | instid1(VALU_DEP_1)
	v_fmac_f32_e32 v10, v12, v8
	v_fma_f32 v7, -v7, v10, v11
	s_delay_alu instid0(VALU_DEP_1) | instskip(NEXT) | instid1(VALU_DEP_1)
	v_div_fmas_f32 v7, v7, v8, v10
	v_div_fixup_f32 v8, v7, v1, v0
	s_delay_alu instid0(VALU_DEP_1) | instskip(NEXT) | instid1(VALU_DEP_1)
	v_fmac_f32_e32 v1, v0, v8
	v_div_scale_f32 v0, null, v1, v1, 1.0
	v_div_scale_f32 v11, vcc_lo, 1.0, v1, 1.0
	s_delay_alu instid0(VALU_DEP_2) | instskip(SKIP_2) | instid1(VALU_DEP_1)
	v_rcp_f32_e32 v7, v0
	s_waitcnt_depctr 0xfff
	v_fma_f32 v10, -v0, v7, 1.0
	v_fmac_f32_e32 v7, v10, v7
	s_delay_alu instid0(VALU_DEP_1) | instskip(NEXT) | instid1(VALU_DEP_1)
	v_mul_f32_e32 v10, v11, v7
	v_fma_f32 v12, -v0, v10, v11
	s_delay_alu instid0(VALU_DEP_1) | instskip(NEXT) | instid1(VALU_DEP_1)
	v_fmac_f32_e32 v10, v12, v7
	v_fma_f32 v0, -v0, v10, v11
                                        ; implicit-def: $vgpr11
	s_delay_alu instid0(VALU_DEP_1) | instskip(SKIP_1) | instid1(VALU_DEP_2)
	v_div_fmas_f32 v0, v0, v7, v10
	v_fma_f32 v7, v8, 0, 1.0
                                        ; implicit-def: $vgpr10
	v_div_fixup_f32 v0, v0, v1, 1.0
	s_delay_alu instid0(VALU_DEP_1)
	v_mul_f32_e32 v7, v7, v0
	v_mul_f32_e64 v8, -v8, v0
.LBB184_1548:
	s_and_not1_saveexec_b32 s11, s0
	s_cbranch_execz .LBB184_1550
; %bb.1549:
	v_div_scale_f32 v0, null, v10, v10, 1.0
	v_div_scale_f32 v1, null, v11, v11, 0
	v_div_scale_f32 v14, vcc_lo, 1.0, v10, 1.0
	s_delay_alu instid0(VALU_DEP_3) | instskip(NEXT) | instid1(VALU_DEP_2)
	v_rcp_f32_e32 v7, v0
	v_rcp_f32_e32 v8, v1
	s_waitcnt_depctr 0xfff
	v_fma_f32 v12, -v0, v7, 1.0
	v_fma_f32 v13, -v1, v8, 1.0
	s_delay_alu instid0(VALU_DEP_1) | instskip(SKIP_1) | instid1(VALU_DEP_2)
	v_dual_fmac_f32 v7, v12, v7 :: v_dual_fmac_f32 v8, v13, v8
	v_div_scale_f32 v12, s0, 0, v11, 0
	v_mul_f32_e32 v13, v14, v7
	s_delay_alu instid0(VALU_DEP_2) | instskip(NEXT) | instid1(VALU_DEP_2)
	v_mul_f32_e32 v15, v12, v8
	v_fma_f32 v16, -v0, v13, v14
	s_delay_alu instid0(VALU_DEP_2) | instskip(NEXT) | instid1(VALU_DEP_2)
	v_fma_f32 v17, -v1, v15, v12
	v_fmac_f32_e32 v13, v16, v7
	s_delay_alu instid0(VALU_DEP_2) | instskip(NEXT) | instid1(VALU_DEP_2)
	v_fmac_f32_e32 v15, v17, v8
	v_fma_f32 v0, -v0, v13, v14
	s_delay_alu instid0(VALU_DEP_2) | instskip(NEXT) | instid1(VALU_DEP_2)
	v_fma_f32 v1, -v1, v15, v12
	v_div_fmas_f32 v0, v0, v7, v13
	s_mov_b32 vcc_lo, s0
	s_delay_alu instid0(VALU_DEP_2) | instskip(NEXT) | instid1(VALU_DEP_2)
	v_div_fmas_f32 v1, v1, v8, v15
	v_div_fixup_f32 v7, v0, v10, 1.0
	s_delay_alu instid0(VALU_DEP_2)
	v_div_fixup_f32 v8, v1, v11, 0
.LBB184_1550:
	s_or_b32 exec_lo, exec_lo, s11
                                        ; implicit-def: $vgpr0
                                        ; implicit-def: $vgpr1
.LBB184_1551:
	s_and_not1_saveexec_b32 s0, s1
	s_cbranch_execz .LBB184_1553
; %bb.1552:
	v_div_scale_f32 v7, null, v0, v0, v1
	v_div_scale_f32 v11, vcc_lo, v1, v0, v1
	s_delay_alu instid0(VALU_DEP_2) | instskip(SKIP_2) | instid1(VALU_DEP_1)
	v_rcp_f32_e32 v8, v7
	s_waitcnt_depctr 0xfff
	v_fma_f32 v10, -v7, v8, 1.0
	v_fmac_f32_e32 v8, v10, v8
	s_delay_alu instid0(VALU_DEP_1) | instskip(NEXT) | instid1(VALU_DEP_1)
	v_mul_f32_e32 v10, v11, v8
	v_fma_f32 v12, -v7, v10, v11
	s_delay_alu instid0(VALU_DEP_1) | instskip(NEXT) | instid1(VALU_DEP_1)
	v_fmac_f32_e32 v10, v12, v8
	v_fma_f32 v7, -v7, v10, v11
	s_delay_alu instid0(VALU_DEP_1) | instskip(NEXT) | instid1(VALU_DEP_1)
	v_div_fmas_f32 v7, v7, v8, v10
	v_div_fixup_f32 v7, v7, v0, v1
	s_delay_alu instid0(VALU_DEP_1) | instskip(NEXT) | instid1(VALU_DEP_1)
	v_fmac_f32_e32 v0, v1, v7
	v_div_scale_f32 v1, null, v0, v0, 1.0
	v_div_scale_f32 v11, vcc_lo, 1.0, v0, 1.0
	s_delay_alu instid0(VALU_DEP_2) | instskip(SKIP_2) | instid1(VALU_DEP_1)
	v_rcp_f32_e32 v8, v1
	s_waitcnt_depctr 0xfff
	v_fma_f32 v10, -v1, v8, 1.0
	v_fmac_f32_e32 v8, v10, v8
	s_delay_alu instid0(VALU_DEP_1) | instskip(NEXT) | instid1(VALU_DEP_1)
	v_mul_f32_e32 v10, v11, v8
	v_fma_f32 v12, -v1, v10, v11
	s_delay_alu instid0(VALU_DEP_1) | instskip(NEXT) | instid1(VALU_DEP_1)
	v_fmac_f32_e32 v10, v12, v8
	v_fma_f32 v1, -v1, v10, v11
	s_delay_alu instid0(VALU_DEP_1) | instskip(SKIP_1) | instid1(VALU_DEP_2)
	v_div_fmas_f32 v1, v1, v8, v10
	v_add_f32_e32 v8, 0, v7
	v_div_fixup_f32 v0, v1, v0, 1.0
	v_fma_f32 v1, v7, 0, -1.0
	s_delay_alu instid0(VALU_DEP_2) | instskip(NEXT) | instid1(VALU_DEP_2)
	v_mul_f32_e32 v7, v8, v0
	v_mul_f32_e32 v8, v1, v0
.LBB184_1553:
	s_or_b32 exec_lo, exec_lo, s0
	v_add_nc_u32_e32 v11, s3, v9
	v_cmp_gt_i16_e32 vcc_lo, 11, v4
	s_delay_alu instid0(VALU_DEP_2) | instskip(SKIP_1) | instid1(VALU_DEP_1)
	v_ashrrev_i32_e32 v1, 31, v11
	v_add_co_u32 v0, s0, s6, v11
	v_add_co_ci_u32_e64 v1, s0, s7, v1, s0
	s_cbranch_vccnz .LBB184_1560
; %bb.1554:
	v_cmp_lt_i16_e32 vcc_lo, 25, v4
	s_mov_b32 s1, 0
	s_cbranch_vccz .LBB184_1566
; %bb.1555:
	v_cmp_lt_i16_e32 vcc_lo, 28, v4
	s_cbranch_vccz .LBB184_1568
; %bb.1556:
	v_cmp_lt_i16_e32 vcc_lo, 43, v4
	;; [unrolled: 3-line block ×3, first 2 shown]
	s_cbranch_vccz .LBB184_1574
; %bb.1558:
	v_cmp_eq_u16_e32 vcc_lo, 46, v4
	s_mov_b32 s12, 0
	s_cbranch_vccz .LBB184_1619
; %bb.1559:
	global_load_b32 v9, v[0:1], off
	s_mov_b32 s0, 0
	s_mov_b32 s11, -1
	s_waitcnt vmcnt(0)
	v_lshlrev_b32_e32 v10, 16, v9
	v_and_b32_e32 v12, 0xffff0000, v9
	s_delay_alu instid0(VALU_DEP_2) | instskip(NEXT) | instid1(VALU_DEP_2)
	v_cvt_f16_f32_e32 v9, v10
	v_cvt_f16_f32_e32 v10, v12
	s_branch .LBB184_1621
.LBB184_1560:
	s_mov_b32 s11, 0
                                        ; implicit-def: $vgpr10
                                        ; implicit-def: $vgpr9
	s_cbranch_execz .LBB184_1690
; %bb.1561:
	v_cmp_gt_i16_e32 vcc_lo, 5, v4
	s_cbranch_vccnz .LBB184_1567
; %bb.1562:
	v_cmp_gt_i16_e32 vcc_lo, 8, v4
	s_cbranch_vccnz .LBB184_1569
	;; [unrolled: 3-line block ×3, first 2 shown]
; %bb.1564:
	v_cmp_lt_i16_e32 vcc_lo, 9, v4
	s_cbranch_vccz .LBB184_1575
; %bb.1565:
	global_load_b128 v[12:15], v[0:1], off
	s_mov_b32 s0, 0
	s_waitcnt vmcnt(0)
	v_cvt_f32_f64_e32 v9, v[12:13]
	v_cvt_f32_f64_e32 v10, v[14:15]
	s_delay_alu instid0(VALU_DEP_2) | instskip(NEXT) | instid1(VALU_DEP_2)
	v_cvt_f16_f32_e32 v9, v9
	v_cvt_f16_f32_e32 v10, v10
	s_branch .LBB184_1576
.LBB184_1566:
	s_mov_b32 s12, -1
	s_mov_b32 s11, 0
	s_mov_b32 s0, 0
                                        ; implicit-def: $vgpr10
                                        ; implicit-def: $vgpr9
	s_branch .LBB184_1654
.LBB184_1567:
	s_mov_b32 s0, -1
                                        ; implicit-def: $vgpr10
                                        ; implicit-def: $vgpr9
	s_branch .LBB184_1595
.LBB184_1568:
	s_mov_b32 s12, -1
	s_mov_b32 s11, 0
	s_mov_b32 s0, 0
                                        ; implicit-def: $vgpr10
                                        ; implicit-def: $vgpr9
	s_branch .LBB184_1633
.LBB184_1569:
	s_mov_b32 s0, -1
                                        ; implicit-def: $vgpr10
                                        ; implicit-def: $vgpr9
	s_branch .LBB184_1582
.LBB184_1570:
	s_mov_b32 s12, -1
	s_mov_b32 s11, 0
	s_mov_b32 s0, 0
                                        ; implicit-def: $vgpr10
                                        ; implicit-def: $vgpr9
	s_branch .LBB184_1627
.LBB184_1571:
	s_mov_b32 s0, -1
                                        ; implicit-def: $vgpr10
                                        ; implicit-def: $vgpr9
	s_branch .LBB184_1579
.LBB184_1572:
	s_cbranch_execnz .LBB184_1617
; %bb.1573:
	s_or_b32 s8, s8, exec_lo
                                        ; implicit-def: $vgpr8
                                        ; implicit-def: $vgpr7
	s_cbranch_execz .LBB184_1512
	s_branch .LBB184_1513
.LBB184_1574:
	s_mov_b32 s12, -1
	s_mov_b32 s11, 0
	s_mov_b32 s0, 0
	s_branch .LBB184_1620
.LBB184_1575:
	s_mov_b32 s0, -1
                                        ; implicit-def: $vgpr10
                                        ; implicit-def: $vgpr9
.LBB184_1576:
	s_delay_alu instid0(SALU_CYCLE_1)
	s_and_not1_b32 vcc_lo, exec_lo, s0
	s_cbranch_vccnz .LBB184_1578
; %bb.1577:
	global_load_b64 v[9:10], v[0:1], off
	s_waitcnt vmcnt(0)
	v_cvt_f16_f32_e32 v9, v9
	v_cvt_f16_f32_e32 v10, v10
.LBB184_1578:
	s_mov_b32 s0, 0
.LBB184_1579:
	s_delay_alu instid0(SALU_CYCLE_1)
	s_and_not1_b32 vcc_lo, exec_lo, s0
	s_cbranch_vccnz .LBB184_1581
; %bb.1580:
	global_load_b32 v9, v[0:1], off
	s_waitcnt vmcnt(0)
	v_lshrrev_b32_e32 v10, 16, v9
.LBB184_1581:
	s_mov_b32 s0, 0
.LBB184_1582:
	s_delay_alu instid0(SALU_CYCLE_1)
	s_and_not1_b32 vcc_lo, exec_lo, s0
	s_cbranch_vccnz .LBB184_1594
; %bb.1583:
	v_cmp_gt_i16_e32 vcc_lo, 6, v4
	s_cbranch_vccnz .LBB184_1586
; %bb.1584:
	v_cmp_lt_i16_e32 vcc_lo, 6, v4
	s_cbranch_vccz .LBB184_1587
; %bb.1585:
	global_load_b64 v[9:10], v[0:1], off
	s_mov_b32 s1, 0
	s_mov_b32 s0, 0
	s_waitcnt vmcnt(0)
	v_cvt_f32_f64_e32 v9, v[9:10]
	s_delay_alu instid0(VALU_DEP_1)
	v_cvt_f16_f32_e32 v9, v9
	s_branch .LBB184_1588
.LBB184_1586:
	s_mov_b32 s1, -1
                                        ; implicit-def: $sgpr0
                                        ; implicit-def: $vgpr9
	s_branch .LBB184_1591
.LBB184_1587:
	s_mov_b32 s1, -1
                                        ; implicit-def: $sgpr0
                                        ; implicit-def: $vgpr9
.LBB184_1588:
	s_delay_alu instid0(SALU_CYCLE_1)
	s_and_not1_b32 vcc_lo, exec_lo, s1
	s_cbranch_vccnz .LBB184_1590
; %bb.1589:
	global_load_b32 v9, v[0:1], off
	s_mov_b32 s0, 0
	s_waitcnt vmcnt(0)
	v_cvt_f16_f32_e32 v9, v9
.LBB184_1590:
	s_mov_b32 s1, 0
.LBB184_1591:
	s_delay_alu instid0(SALU_CYCLE_1)
	s_and_not1_b32 vcc_lo, exec_lo, s1
	s_cbranch_vccnz .LBB184_1593
; %bb.1592:
	global_load_u16 v9, v[0:1], off
	s_mov_b32 s0, 0
.LBB184_1593:
	s_delay_alu instid0(SALU_CYCLE_1)
	v_mov_b32_e32 v10, s0
.LBB184_1594:
	s_mov_b32 s0, 0
.LBB184_1595:
	s_delay_alu instid0(SALU_CYCLE_1)
	s_and_not1_b32 vcc_lo, exec_lo, s0
	s_cbranch_vccnz .LBB184_1616
; %bb.1596:
	v_cmp_gt_i16_e32 vcc_lo, 2, v4
	s_cbranch_vccnz .LBB184_1600
; %bb.1597:
	v_cmp_gt_i16_e32 vcc_lo, 3, v4
	s_cbranch_vccnz .LBB184_1601
; %bb.1598:
	v_cmp_lt_i16_e32 vcc_lo, 3, v4
	s_cbranch_vccz .LBB184_1602
; %bb.1599:
	global_load_b64 v[9:10], v[0:1], off
	s_mov_b32 s1, 0
	s_mov_b32 s0, 0
	s_waitcnt vmcnt(0)
	v_xor_b32_e32 v12, v9, v10
	v_cls_i32_e32 v13, v10
	s_delay_alu instid0(VALU_DEP_2) | instskip(NEXT) | instid1(VALU_DEP_2)
	v_ashrrev_i32_e32 v12, 31, v12
	v_add_nc_u32_e32 v13, -1, v13
	s_delay_alu instid0(VALU_DEP_2) | instskip(NEXT) | instid1(VALU_DEP_1)
	v_add_nc_u32_e32 v12, 32, v12
	v_min_u32_e32 v12, v13, v12
	s_delay_alu instid0(VALU_DEP_1) | instskip(NEXT) | instid1(VALU_DEP_1)
	v_lshlrev_b64 v[9:10], v12, v[9:10]
	v_min_u32_e32 v9, 1, v9
	s_delay_alu instid0(VALU_DEP_1) | instskip(SKIP_1) | instid1(VALU_DEP_2)
	v_or_b32_e32 v9, v10, v9
	v_sub_nc_u32_e32 v10, 32, v12
	v_cvt_f32_i32_e32 v9, v9
	s_delay_alu instid0(VALU_DEP_1) | instskip(NEXT) | instid1(VALU_DEP_1)
	v_ldexp_f32 v9, v9, v10
	v_cvt_f16_f32_e32 v9, v9
	s_branch .LBB184_1603
.LBB184_1600:
	s_mov_b32 s1, -1
                                        ; implicit-def: $sgpr0
                                        ; implicit-def: $vgpr9
	s_branch .LBB184_1609
.LBB184_1601:
	s_mov_b32 s1, -1
                                        ; implicit-def: $sgpr0
                                        ; implicit-def: $vgpr9
	s_branch .LBB184_1606
.LBB184_1602:
	s_mov_b32 s1, -1
                                        ; implicit-def: $sgpr0
                                        ; implicit-def: $vgpr9
.LBB184_1603:
	s_delay_alu instid0(SALU_CYCLE_1)
	s_and_not1_b32 vcc_lo, exec_lo, s1
	s_cbranch_vccnz .LBB184_1605
; %bb.1604:
	global_load_b32 v9, v[0:1], off
	s_mov_b32 s0, 0
	s_waitcnt vmcnt(0)
	v_cvt_f32_i32_e32 v9, v9
	s_delay_alu instid0(VALU_DEP_1)
	v_cvt_f16_f32_e32 v9, v9
.LBB184_1605:
	s_mov_b32 s1, 0
.LBB184_1606:
	s_delay_alu instid0(SALU_CYCLE_1)
	s_and_not1_b32 vcc_lo, exec_lo, s1
	s_cbranch_vccnz .LBB184_1608
; %bb.1607:
	global_load_u16 v9, v[0:1], off
	s_mov_b32 s0, 0
	s_waitcnt vmcnt(0)
	v_cvt_f16_i16_e32 v9, v9
.LBB184_1608:
	s_mov_b32 s1, 0
.LBB184_1609:
	s_delay_alu instid0(SALU_CYCLE_1)
	s_and_not1_b32 vcc_lo, exec_lo, s1
	s_cbranch_vccnz .LBB184_1615
; %bb.1610:
	v_cmp_lt_i16_e32 vcc_lo, 0, v4
	s_mov_b32 s1, 0
	s_cbranch_vccz .LBB184_1612
; %bb.1611:
	global_load_i8 v9, v[0:1], off
	s_mov_b32 s0, 0
	s_waitcnt vmcnt(0)
	v_cvt_f16_i16_e32 v9, v9
	s_branch .LBB184_1613
.LBB184_1612:
	s_mov_b32 s1, -1
                                        ; implicit-def: $sgpr0
                                        ; implicit-def: $vgpr9
.LBB184_1613:
	s_delay_alu instid0(SALU_CYCLE_1)
	s_and_not1_b32 vcc_lo, exec_lo, s1
	s_cbranch_vccnz .LBB184_1615
; %bb.1614:
	global_load_u8 v0, v[0:1], off
	s_mov_b32 s0, 0
	s_waitcnt vmcnt(0)
	v_cvt_f16_u16_e32 v9, v0
.LBB184_1615:
	v_mov_b32_e32 v10, s0
.LBB184_1616:
	s_branch .LBB184_1691
.LBB184_1617:
	s_trap 2
	s_sendmsg_rtn_b32 s0, sendmsg(MSG_RTN_GET_DOORBELL)
	s_mov_b32 ttmp2, m0
	s_waitcnt lgkmcnt(0)
	s_and_b32 s0, s0, 0x3ff
	s_delay_alu instid0(SALU_CYCLE_1) | instskip(NEXT) | instid1(SALU_CYCLE_1)
	s_bitset1_b32 s0, 10
	s_mov_b32 m0, s0
	s_sendmsg sendmsg(MSG_INTERRUPT)
	s_mov_b32 m0, ttmp2
.LBB184_1618:                           ; =>This Inner Loop Header: Depth=1
	s_sethalt 5
	s_branch .LBB184_1618
.LBB184_1619:
	s_mov_b32 s0, -1
	s_mov_b32 s11, 0
.LBB184_1620:
                                        ; implicit-def: $vgpr10
                                        ; implicit-def: $vgpr9
.LBB184_1621:
	s_and_b32 vcc_lo, exec_lo, s12
	s_cbranch_vccz .LBB184_1626
; %bb.1622:
	v_cmp_eq_u16_e32 vcc_lo, 44, v4
	s_cbranch_vccz .LBB184_1624
; %bb.1623:
	global_load_u8 v9, v[0:1], off
	s_mov_b32 s0, 0
	s_mov_b32 s11, -1
	s_waitcnt vmcnt(0)
	v_lshlrev_b32_e32 v10, 23, v9
	v_cmp_ne_u32_e32 vcc_lo, 0xff, v9
	s_delay_alu instid0(VALU_DEP_2) | instskip(NEXT) | instid1(VALU_DEP_1)
	v_cvt_f16_f32_e32 v10, v10
	v_cndmask_b32_e32 v10, 0x7e00, v10, vcc_lo
	v_cmp_ne_u32_e32 vcc_lo, 0, v9
	s_delay_alu instid0(VALU_DEP_2)
	v_cndmask_b32_e32 v9, 0, v10, vcc_lo
	s_branch .LBB184_1625
.LBB184_1624:
	s_mov_b32 s0, -1
                                        ; implicit-def: $vgpr9
.LBB184_1625:
	s_delay_alu instid0(SALU_CYCLE_1)
	v_mov_b32_e32 v10, s0
.LBB184_1626:
	s_mov_b32 s12, 0
.LBB184_1627:
	s_delay_alu instid0(SALU_CYCLE_1)
	s_and_b32 vcc_lo, exec_lo, s12
	s_cbranch_vccz .LBB184_1632
; %bb.1628:
	v_cmp_eq_u16_e32 vcc_lo, 29, v4
	s_cbranch_vccz .LBB184_1630
; %bb.1629:
	global_load_b64 v[9:10], v[0:1], off
	s_mov_b32 s0, 0
	s_mov_b32 s11, -1
	s_mov_b32 s12, 0
	s_waitcnt vmcnt(0)
	v_clz_i32_u32_e32 v12, v10
	s_delay_alu instid0(VALU_DEP_1) | instskip(NEXT) | instid1(VALU_DEP_1)
	v_min_u32_e32 v12, 32, v12
	v_lshlrev_b64 v[9:10], v12, v[9:10]
	s_delay_alu instid0(VALU_DEP_1) | instskip(NEXT) | instid1(VALU_DEP_1)
	v_min_u32_e32 v9, 1, v9
	v_or_b32_e32 v9, v10, v9
	v_sub_nc_u32_e32 v10, 32, v12
	s_delay_alu instid0(VALU_DEP_2) | instskip(NEXT) | instid1(VALU_DEP_1)
	v_cvt_f32_u32_e32 v9, v9
	v_ldexp_f32 v9, v9, v10
	s_delay_alu instid0(VALU_DEP_1)
	v_cvt_f16_f32_e32 v9, v9
	s_branch .LBB184_1631
.LBB184_1630:
	s_mov_b32 s0, -1
                                        ; implicit-def: $sgpr12
                                        ; implicit-def: $vgpr9
.LBB184_1631:
	v_mov_b32_e32 v10, s12
.LBB184_1632:
	s_mov_b32 s12, 0
.LBB184_1633:
	s_delay_alu instid0(SALU_CYCLE_1)
	s_and_b32 vcc_lo, exec_lo, s12
	s_cbranch_vccz .LBB184_1653
; %bb.1634:
	v_cmp_gt_i16_e32 vcc_lo, 27, v4
	s_cbranch_vccnz .LBB184_1637
; %bb.1635:
	v_cmp_lt_i16_e32 vcc_lo, 27, v4
	s_cbranch_vccz .LBB184_1638
; %bb.1636:
	global_load_b32 v9, v[0:1], off
	s_mov_b32 s12, 0
	s_mov_b32 s11, 0
	s_waitcnt vmcnt(0)
	v_cvt_f32_u32_e32 v9, v9
	s_delay_alu instid0(VALU_DEP_1)
	v_cvt_f16_f32_e32 v9, v9
	s_branch .LBB184_1639
.LBB184_1637:
	s_mov_b32 s12, -1
                                        ; implicit-def: $sgpr11
                                        ; implicit-def: $vgpr9
	s_branch .LBB184_1642
.LBB184_1638:
	s_mov_b32 s12, -1
                                        ; implicit-def: $sgpr11
                                        ; implicit-def: $vgpr9
.LBB184_1639:
	s_delay_alu instid0(SALU_CYCLE_1)
	s_and_not1_b32 vcc_lo, exec_lo, s12
	s_cbranch_vccnz .LBB184_1641
; %bb.1640:
	global_load_u16 v9, v[0:1], off
	s_mov_b32 s11, 0
	s_waitcnt vmcnt(0)
	v_cvt_f16_u16_e32 v9, v9
.LBB184_1641:
	s_mov_b32 s12, 0
.LBB184_1642:
	v_mov_b32_e32 v10, s11
	s_and_not1_b32 vcc_lo, exec_lo, s12
	s_cbranch_vccnz .LBB184_1652
; %bb.1643:
	global_load_u8 v12, v[0:1], off
	s_mov_b32 s11, 0
	s_mov_b32 s14, exec_lo
                                        ; implicit-def: $sgpr13
                                        ; implicit-def: $sgpr12
	s_waitcnt vmcnt(0)
	v_cmpx_lt_i16_e32 0x7f, v12
	s_xor_b32 s14, exec_lo, s14
	s_cbranch_execz .LBB184_1647
; %bb.1644:
	s_mov_b32 s11, -1
	s_mov_b32 s15, exec_lo
                                        ; implicit-def: $sgpr13
                                        ; implicit-def: $sgpr12
	v_cmpx_eq_u16_e32 0x80, v12
; %bb.1645:
	s_movk_i32 s12, 0x7e00
	s_mov_b32 s13, 0
	s_xor_b32 s11, exec_lo, -1
; %bb.1646:
	s_or_b32 exec_lo, exec_lo, s15
	s_delay_alu instid0(SALU_CYCLE_1)
	s_and_b32 s11, s11, exec_lo
.LBB184_1647:
	s_or_saveexec_b32 s14, s14
	v_dual_mov_b32 v10, s13 :: v_dual_mov_b32 v9, s12
	s_xor_b32 exec_lo, exec_lo, s14
; %bb.1648:
	v_cmp_ne_u16_e32 vcc_lo, 0, v12
	v_dual_mov_b32 v10, 0 :: v_dual_mov_b32 v9, v12
	s_and_not1_b32 s11, s11, exec_lo
	s_and_b32 s12, vcc_lo, exec_lo
	s_delay_alu instid0(SALU_CYCLE_1)
	s_or_b32 s11, s11, s12
; %bb.1649:
	s_or_b32 exec_lo, exec_lo, s14
	s_and_saveexec_b32 s12, s11
	s_cbranch_execz .LBB184_1651
; %bb.1650:
	v_and_b32_e32 v9, 0xffff, v12
	v_lshlrev_b32_e32 v12, 24, v12
	s_delay_alu instid0(VALU_DEP_2) | instskip(NEXT) | instid1(VALU_DEP_2)
	v_and_b32_e32 v10, 7, v9
	v_and_b32_e32 v12, 0x80000000, v12
	s_delay_alu instid0(VALU_DEP_2) | instskip(NEXT) | instid1(VALU_DEP_1)
	v_clz_i32_u32_e32 v13, v10
	v_min_u32_e32 v13, 32, v13
	s_delay_alu instid0(VALU_DEP_1) | instskip(SKIP_1) | instid1(VALU_DEP_2)
	v_subrev_nc_u32_e32 v14, 28, v13
	v_sub_nc_u32_e32 v13, 29, v13
	v_lshlrev_b32_e32 v14, v14, v9
	v_bfe_u32 v9, v9, 3, 4
	s_delay_alu instid0(VALU_DEP_1) | instskip(NEXT) | instid1(VALU_DEP_3)
	v_cmp_eq_u32_e32 vcc_lo, 0, v9
	v_dual_cndmask_b32 v9, v9, v13 :: v_dual_and_b32 v14, 7, v14
	s_delay_alu instid0(VALU_DEP_1) | instskip(NEXT) | instid1(VALU_DEP_2)
	v_cndmask_b32_e32 v10, v10, v14, vcc_lo
	v_lshl_add_u32 v9, v9, 23, 0x3b800000
	s_delay_alu instid0(VALU_DEP_2) | instskip(NEXT) | instid1(VALU_DEP_1)
	v_lshlrev_b32_e32 v10, 20, v10
	v_or3_b32 v9, v12, v9, v10
	v_mov_b32_e32 v10, 0
	s_delay_alu instid0(VALU_DEP_2)
	v_cvt_f16_f32_e32 v9, v9
.LBB184_1651:
	s_or_b32 exec_lo, exec_lo, s12
.LBB184_1652:
	s_mov_b32 s11, -1
.LBB184_1653:
	s_mov_b32 s12, 0
.LBB184_1654:
	s_delay_alu instid0(SALU_CYCLE_1)
	s_and_b32 vcc_lo, exec_lo, s12
	s_cbranch_vccz .LBB184_1686
; %bb.1655:
	v_cmp_lt_i16_e32 vcc_lo, 22, v4
	s_cbranch_vccz .LBB184_1667
; %bb.1656:
	v_cmp_gt_i16_e32 vcc_lo, 24, v4
	s_cbranch_vccnz .LBB184_1668
; %bb.1657:
	v_cmp_lt_i16_e32 vcc_lo, 24, v4
	s_cbranch_vccz .LBB184_1669
; %bb.1658:
	global_load_u8 v12, v[0:1], off
	s_mov_b32 s13, exec_lo
                                        ; implicit-def: $sgpr12
                                        ; implicit-def: $sgpr11
	s_waitcnt vmcnt(0)
	v_cmpx_lt_i16_e32 0x7f, v12
	s_xor_b32 s13, exec_lo, s13
	s_cbranch_execz .LBB184_1662
; %bb.1659:
	s_mov_b32 s1, -1
	s_mov_b32 s14, exec_lo
                                        ; implicit-def: $sgpr12
                                        ; implicit-def: $sgpr11
	v_cmpx_eq_u16_e32 0x80, v12
; %bb.1660:
	s_movk_i32 s11, 0x7e00
	s_mov_b32 s12, 0
	s_xor_b32 s1, exec_lo, -1
; %bb.1661:
	s_or_b32 exec_lo, exec_lo, s14
	s_delay_alu instid0(SALU_CYCLE_1)
	s_and_b32 s1, s1, exec_lo
.LBB184_1662:
	s_or_saveexec_b32 s13, s13
	v_dual_mov_b32 v10, s12 :: v_dual_mov_b32 v9, s11
	s_xor_b32 exec_lo, exec_lo, s13
; %bb.1663:
	v_cmp_ne_u16_e32 vcc_lo, 0, v12
	v_dual_mov_b32 v10, 0 :: v_dual_mov_b32 v9, v12
	s_and_not1_b32 s1, s1, exec_lo
	s_and_b32 s11, vcc_lo, exec_lo
	s_delay_alu instid0(SALU_CYCLE_1)
	s_or_b32 s1, s1, s11
; %bb.1664:
	s_or_b32 exec_lo, exec_lo, s13
	s_and_saveexec_b32 s11, s1
	s_cbranch_execz .LBB184_1666
; %bb.1665:
	v_and_b32_e32 v9, 0xffff, v12
	v_lshlrev_b32_e32 v12, 24, v12
	s_delay_alu instid0(VALU_DEP_2) | instskip(NEXT) | instid1(VALU_DEP_2)
	v_and_b32_e32 v10, 3, v9
	v_and_b32_e32 v12, 0x80000000, v12
	s_delay_alu instid0(VALU_DEP_2) | instskip(NEXT) | instid1(VALU_DEP_1)
	v_clz_i32_u32_e32 v13, v10
	v_min_u32_e32 v13, 32, v13
	s_delay_alu instid0(VALU_DEP_1) | instskip(SKIP_1) | instid1(VALU_DEP_2)
	v_subrev_nc_u32_e32 v14, 29, v13
	v_sub_nc_u32_e32 v13, 30, v13
	v_lshlrev_b32_e32 v14, v14, v9
	v_bfe_u32 v9, v9, 2, 5
	s_delay_alu instid0(VALU_DEP_1) | instskip(NEXT) | instid1(VALU_DEP_3)
	v_cmp_eq_u32_e32 vcc_lo, 0, v9
	v_dual_cndmask_b32 v9, v9, v13 :: v_dual_and_b32 v14, 3, v14
	s_delay_alu instid0(VALU_DEP_1) | instskip(NEXT) | instid1(VALU_DEP_2)
	v_cndmask_b32_e32 v10, v10, v14, vcc_lo
	v_lshl_add_u32 v9, v9, 23, 0x37800000
	s_delay_alu instid0(VALU_DEP_2) | instskip(NEXT) | instid1(VALU_DEP_1)
	v_lshlrev_b32_e32 v10, 21, v10
	v_or3_b32 v9, v12, v9, v10
	v_mov_b32_e32 v10, 0
	s_delay_alu instid0(VALU_DEP_2)
	v_cvt_f16_f32_e32 v9, v9
.LBB184_1666:
	s_or_b32 exec_lo, exec_lo, s11
	s_mov_b32 s1, 0
	s_branch .LBB184_1670
.LBB184_1667:
	s_mov_b32 s1, -1
                                        ; implicit-def: $vgpr10
                                        ; implicit-def: $vgpr9
	s_branch .LBB184_1676
.LBB184_1668:
	s_mov_b32 s1, -1
                                        ; implicit-def: $vgpr10
                                        ; implicit-def: $vgpr9
	s_branch .LBB184_1673
.LBB184_1669:
	s_mov_b32 s1, -1
                                        ; implicit-def: $vgpr10
                                        ; implicit-def: $vgpr9
.LBB184_1670:
	s_delay_alu instid0(SALU_CYCLE_1)
	s_and_b32 vcc_lo, exec_lo, s1
	s_cbranch_vccz .LBB184_1672
; %bb.1671:
	global_load_u8 v9, v[0:1], off
	s_waitcnt vmcnt(0)
	v_lshlrev_b32_e32 v9, 24, v9
	s_delay_alu instid0(VALU_DEP_1) | instskip(NEXT) | instid1(VALU_DEP_1)
	v_and_b32_e32 v10, 0x7f000000, v9
	v_clz_i32_u32_e32 v12, v10
	v_add_nc_u32_e32 v14, 0x1000000, v10
	v_cmp_ne_u32_e32 vcc_lo, 0, v10
	s_delay_alu instid0(VALU_DEP_3) | instskip(NEXT) | instid1(VALU_DEP_1)
	v_min_u32_e32 v12, 32, v12
	v_sub_nc_u32_e64 v12, v12, 4 clamp
	s_delay_alu instid0(VALU_DEP_1) | instskip(SKIP_1) | instid1(VALU_DEP_2)
	v_lshlrev_b32_e32 v13, v12, v10
	v_lshlrev_b32_e32 v12, 23, v12
	v_lshrrev_b32_e32 v13, 4, v13
	s_delay_alu instid0(VALU_DEP_1) | instskip(SKIP_1) | instid1(VALU_DEP_2)
	v_sub_nc_u32_e32 v12, v13, v12
	v_ashrrev_i32_e32 v13, 8, v14
	v_add_nc_u32_e32 v12, 0x3c000000, v12
	s_delay_alu instid0(VALU_DEP_1) | instskip(NEXT) | instid1(VALU_DEP_1)
	v_and_or_b32 v12, 0x7f800000, v13, v12
	v_cndmask_b32_e32 v10, 0, v12, vcc_lo
	s_delay_alu instid0(VALU_DEP_1) | instskip(SKIP_1) | instid1(VALU_DEP_2)
	v_and_or_b32 v9, 0x80000000, v9, v10
	v_mov_b32_e32 v10, 0
	v_cvt_f16_f32_e32 v9, v9
.LBB184_1672:
	s_mov_b32 s1, 0
.LBB184_1673:
	s_delay_alu instid0(SALU_CYCLE_1)
	s_and_not1_b32 vcc_lo, exec_lo, s1
	s_cbranch_vccnz .LBB184_1675
; %bb.1674:
	global_load_u8 v9, v[0:1], off
	s_waitcnt vmcnt(0)
	v_lshlrev_b32_e32 v10, 25, v9
	v_lshlrev_b16 v9, 8, v9
	s_delay_alu instid0(VALU_DEP_2) | instskip(NEXT) | instid1(VALU_DEP_2)
	v_lshrrev_b32_e32 v12, 4, v10
	v_and_or_b32 v13, 0x7f00, v9, 0.5
	v_cmp_gt_u32_e32 vcc_lo, 0x8000000, v10
	v_bfe_i32 v9, v9, 0, 16
	s_delay_alu instid0(VALU_DEP_4) | instskip(NEXT) | instid1(VALU_DEP_1)
	v_or_b32_e32 v12, 0x70000000, v12
	v_dual_add_f32 v13, -0.5, v13 :: v_dual_mul_f32 v12, 0x7800000, v12
	s_delay_alu instid0(VALU_DEP_1) | instskip(NEXT) | instid1(VALU_DEP_1)
	v_cndmask_b32_e32 v10, v12, v13, vcc_lo
	v_and_or_b32 v9, 0x80000000, v9, v10
	v_mov_b32_e32 v10, 0
	s_delay_alu instid0(VALU_DEP_2)
	v_cvt_f16_f32_e32 v9, v9
.LBB184_1675:
	s_mov_b32 s1, 0
	s_mov_b32 s11, -1
.LBB184_1676:
	s_and_not1_b32 vcc_lo, exec_lo, s1
	s_mov_b32 s1, 0
	s_cbranch_vccnz .LBB184_1686
; %bb.1677:
	v_cmp_lt_i16_e32 vcc_lo, 14, v4
	s_cbranch_vccz .LBB184_1680
; %bb.1678:
	v_cmp_eq_u16_e32 vcc_lo, 15, v4
	s_cbranch_vccz .LBB184_1681
; %bb.1679:
	global_load_u16 v9, v[0:1], off
	s_mov_b32 s0, 0
	s_mov_b32 s11, -1
	s_mov_b32 s12, 0
	s_waitcnt vmcnt(0)
	v_lshlrev_b32_e32 v9, 16, v9
	s_delay_alu instid0(VALU_DEP_1)
	v_cvt_f16_f32_e32 v9, v9
	s_branch .LBB184_1683
.LBB184_1680:
	s_mov_b32 s1, -1
	s_branch .LBB184_1682
.LBB184_1681:
	s_mov_b32 s0, -1
.LBB184_1682:
                                        ; implicit-def: $sgpr12
                                        ; implicit-def: $vgpr9
.LBB184_1683:
	s_and_b32 vcc_lo, exec_lo, s1
	s_mov_b32 s1, 0
	s_cbranch_vccz .LBB184_1685
; %bb.1684:
	v_cmp_ne_u16_e64 s0, 11, v4
	s_mov_b32 s1, -1
                                        ; implicit-def: $sgpr12
                                        ; implicit-def: $vgpr9
.LBB184_1685:
	v_mov_b32_e32 v10, s12
.LBB184_1686:
	s_delay_alu instid0(VALU_DEP_2)
	s_and_b32 vcc_lo, exec_lo, s0
	s_cbranch_vccnz .LBB184_1740
; %bb.1687:
	s_and_not1_b32 vcc_lo, exec_lo, s1
	s_cbranch_vccnz .LBB184_1689
.LBB184_1688:
	global_load_u8 v9, v[0:1], off
	v_mov_b32_e32 v10, 0
	s_mov_b32 s11, -1
	s_waitcnt vmcnt(0)
	v_cmp_ne_u16_e32 vcc_lo, 0, v9
	v_cndmask_b32_e64 v9, 0, 0x3c00, vcc_lo
.LBB184_1689:
.LBB184_1690:
	s_and_not1_b32 vcc_lo, exec_lo, s11
	s_cbranch_vccnz .LBB184_2339
.LBB184_1691:
	s_waitcnt vmcnt(0)
	s_delay_alu instid0(VALU_DEP_1) | instskip(NEXT) | instid1(VALU_DEP_2)
	v_cmp_neq_f16_e32 vcc_lo, 0, v9
	v_cmp_neq_f16_e64 s0, 0, v10
	v_cvt_f32_f16_e32 v0, v10
	v_mov_b32_e32 v1, 0
	s_delay_alu instid0(VALU_DEP_3) | instskip(NEXT) | instid1(SALU_CYCLE_1)
	s_or_b32 s0, vcc_lo, s0
	s_and_saveexec_b32 s11, s0
	s_cbranch_execz .LBB184_1721
; %bb.1692:
	v_mov_b32_e32 v1, 0x7f800000
	s_mov_b32 s12, exec_lo
	v_cmpx_neq_f32_e64 0x7f800000, |v0|
	s_cbranch_execz .LBB184_1720
; %bb.1693:
	v_cvt_f32_f16_e32 v1, v9
	s_mov_b32 s0, exec_lo
	v_cmpx_o_f16_e32 v9, v9
	s_xor_b32 s13, exec_lo, s0
	s_cbranch_execz .LBB184_1717
; %bb.1694:
	s_mov_b32 s1, exec_lo
	v_cmpx_neq_f32_e64 0x7f800000, |v1|
	s_xor_b32 s14, exec_lo, s1
	s_cbranch_execz .LBB184_1710
; %bb.1695:
	v_max_f32_e64 v9, |v0|, |v0|
	v_max_f32_e64 v10, |v1|, |v1|
                                        ; implicit-def: $sgpr15
	s_delay_alu instid0(VALU_DEP_1) | instskip(NEXT) | instid1(VALU_DEP_1)
	v_max_f32_e32 v9, v10, v9
	v_cmp_nle_f32_e64 s0, 0x7ed413cb, v9
	s_delay_alu instid0(VALU_DEP_1) | instskip(NEXT) | instid1(SALU_CYCLE_1)
	s_and_saveexec_b32 s1, s0
	s_xor_b32 s1, exec_lo, s1
	s_cbranch_execz .LBB184_1699
; %bb.1696:
	v_cmp_ge_f32_e64 s15, 0x1000000, |v1|
	v_cmp_ge_f32_e64 s16, 0x1000000, |v0|
	s_delay_alu instid0(VALU_DEP_1)
	s_and_b32 s17, s15, s16
	s_mov_b32 s15, 0
	s_and_saveexec_b32 s16, s17
; %bb.1697:
	v_dual_mul_f32 v0, 4.0, v0 :: v_dual_mul_f32 v1, 4.0, v1
	s_mov_b32 s15, exec_lo
; %bb.1698:
	s_or_b32 exec_lo, exec_lo, s16
	s_delay_alu instid0(SALU_CYCLE_1)
	s_and_b32 s15, s15, exec_lo
.LBB184_1699:
	s_and_not1_saveexec_b32 s1, s1
; %bb.1700:
	v_dual_mul_f32 v1, 0x3e800000, v1 :: v_dual_mul_f32 v0, 0x3e800000, v0
	s_and_not1_b32 s15, s15, exec_lo
; %bb.1701:
	s_or_b32 exec_lo, exec_lo, s1
	s_delay_alu instid0(VALU_DEP_1) | instskip(NEXT) | instid1(VALU_DEP_2)
	v_max_f32_e64 v9, |v0|, |v0|
	v_max_f32_e64 v10, |v1|, |v1|
	s_delay_alu instid0(VALU_DEP_1) | instskip(NEXT) | instid1(VALU_DEP_1)
	v_max_f32_e32 v12, v10, v9
	v_cvt_f64_f32_e32 v[9:10], v12
	v_cmp_neq_f32_e64 s1, 0x7f800000, v12
	s_delay_alu instid0(VALU_DEP_2) | instskip(NEXT) | instid1(VALU_DEP_1)
	v_frexp_exp_i32_f64_e32 v9, v[9:10]
	v_sub_nc_u32_e32 v10, 0, v9
	s_delay_alu instid0(VALU_DEP_1) | instskip(SKIP_1) | instid1(VALU_DEP_2)
	v_ldexp_f32 v13, |v0|, v10
	v_ldexp_f32 v10, |v1|, v10
	v_mul_f32_e32 v13, v13, v13
	s_delay_alu instid0(VALU_DEP_1) | instskip(NEXT) | instid1(VALU_DEP_1)
	v_fmac_f32_e32 v13, v10, v10
	v_sqrt_f32_e32 v10, v13
	s_waitcnt_depctr 0xfff
	v_ldexp_f32 v9, v10, v9
                                        ; implicit-def: $vgpr10
	s_delay_alu instid0(VALU_DEP_1)
	v_cndmask_b32_e64 v12, 0x7f800000, v9, s1
                                        ; implicit-def: $vgpr9
	s_mov_b32 s1, exec_lo
	v_cmpx_le_f32_e32 0, v1
	s_xor_b32 s16, exec_lo, s1
	s_cbranch_execz .LBB184_1703
; %bb.1702:
	v_add_f32_e32 v1, v1, v12
	s_delay_alu instid0(VALU_DEP_1) | instskip(NEXT) | instid1(VALU_DEP_1)
	v_mul_f32_e32 v1, 0.5, v1
	v_mul_f32_e32 v9, 0x4f800000, v1
	v_cmp_gt_f32_e32 vcc_lo, 0xf800000, v1
	s_delay_alu instid0(VALU_DEP_2) | instskip(NEXT) | instid1(VALU_DEP_1)
	v_cndmask_b32_e32 v1, v1, v9, vcc_lo
	v_sqrt_f32_e32 v9, v1
	s_waitcnt_depctr 0xfff
	v_add_nc_u32_e32 v10, -1, v9
	v_add_nc_u32_e32 v12, 1, v9
	s_delay_alu instid0(VALU_DEP_2) | instskip(NEXT) | instid1(VALU_DEP_2)
	v_fma_f32 v13, -v10, v9, v1
	v_fma_f32 v14, -v12, v9, v1
	s_delay_alu instid0(VALU_DEP_2) | instskip(NEXT) | instid1(VALU_DEP_1)
	v_cmp_ge_f32_e64 s1, 0, v13
	v_cndmask_b32_e64 v9, v9, v10, s1
	s_delay_alu instid0(VALU_DEP_3) | instskip(NEXT) | instid1(VALU_DEP_1)
	v_cmp_lt_f32_e64 s1, 0, v14
	v_cndmask_b32_e64 v9, v9, v12, s1
	s_delay_alu instid0(VALU_DEP_1) | instskip(NEXT) | instid1(VALU_DEP_1)
	v_mul_f32_e32 v10, 0x37800000, v9
	v_cndmask_b32_e32 v9, v9, v10, vcc_lo
	v_cmp_class_f32_e64 vcc_lo, v1, 0x260
	s_delay_alu instid0(VALU_DEP_2) | instskip(NEXT) | instid1(VALU_DEP_1)
	v_cndmask_b32_e32 v9, v9, v1, vcc_lo
	v_add_f32_e32 v1, v9, v9
	s_delay_alu instid0(VALU_DEP_1) | instskip(NEXT) | instid1(VALU_DEP_1)
	v_div_scale_f32 v10, null, v1, v1, v0
	v_rcp_f32_e32 v12, v10
	s_waitcnt_depctr 0xfff
	v_fma_f32 v13, -v10, v12, 1.0
	s_delay_alu instid0(VALU_DEP_1) | instskip(SKIP_1) | instid1(VALU_DEP_1)
	v_fmac_f32_e32 v12, v13, v12
	v_div_scale_f32 v13, vcc_lo, v0, v1, v0
	v_mul_f32_e32 v14, v13, v12
	s_delay_alu instid0(VALU_DEP_1) | instskip(NEXT) | instid1(VALU_DEP_1)
	v_fma_f32 v15, -v10, v14, v13
	v_fmac_f32_e32 v14, v15, v12
	s_delay_alu instid0(VALU_DEP_1) | instskip(NEXT) | instid1(VALU_DEP_1)
	v_fma_f32 v10, -v10, v14, v13
	v_div_fmas_f32 v10, v10, v12, v14
                                        ; implicit-def: $vgpr12
	s_delay_alu instid0(VALU_DEP_1)
	v_div_fixup_f32 v10, v10, v1, v0
                                        ; implicit-def: $vgpr1
                                        ; implicit-def: $vgpr0
	s_and_not1_saveexec_b32 s16, s16
	s_cbranch_execz .LBB184_1705
	s_branch .LBB184_1704
.LBB184_1703:
	s_and_not1_saveexec_b32 s16, s16
	s_cbranch_execz .LBB184_1705
.LBB184_1704:
	v_sub_f32_e32 v1, v12, v1
	s_delay_alu instid0(VALU_DEP_1) | instskip(NEXT) | instid1(VALU_DEP_1)
	v_mul_f32_e32 v1, 0.5, v1
	v_mul_f32_e32 v9, 0x4f800000, v1
	v_cmp_gt_f32_e32 vcc_lo, 0xf800000, v1
	s_delay_alu instid0(VALU_DEP_2) | instskip(NEXT) | instid1(VALU_DEP_1)
	v_cndmask_b32_e32 v1, v1, v9, vcc_lo
	v_sqrt_f32_e32 v9, v1
	s_waitcnt_depctr 0xfff
	v_add_nc_u32_e32 v10, -1, v9
	v_add_nc_u32_e32 v12, 1, v9
	s_delay_alu instid0(VALU_DEP_2) | instskip(NEXT) | instid1(VALU_DEP_2)
	v_fma_f32 v13, -v10, v9, v1
	v_fma_f32 v14, -v12, v9, v1
	s_delay_alu instid0(VALU_DEP_2) | instskip(NEXT) | instid1(VALU_DEP_1)
	v_cmp_ge_f32_e64 s1, 0, v13
	v_cndmask_b32_e64 v9, v9, v10, s1
	s_delay_alu instid0(VALU_DEP_3) | instskip(NEXT) | instid1(VALU_DEP_1)
	v_cmp_lt_f32_e64 s1, 0, v14
	v_cndmask_b32_e64 v9, v9, v12, s1
	s_delay_alu instid0(VALU_DEP_1) | instskip(NEXT) | instid1(VALU_DEP_1)
	v_mul_f32_e32 v10, 0x37800000, v9
	v_cndmask_b32_e32 v9, v9, v10, vcc_lo
	v_cmp_class_f32_e64 vcc_lo, v1, 0x260
	s_delay_alu instid0(VALU_DEP_2) | instskip(NEXT) | instid1(VALU_DEP_1)
	v_cndmask_b32_e32 v1, v9, v1, vcc_lo
	v_dual_add_f32 v10, v1, v1 :: v_dual_and_b32 v9, 0x7fffffff, v0
	s_delay_alu instid0(VALU_DEP_1) | instskip(SKIP_1) | instid1(VALU_DEP_2)
	v_div_scale_f32 v12, null, v10, v10, v9
	v_div_scale_f32 v9, vcc_lo, v9, v10, v9
	v_rcp_f32_e32 v13, v12
	s_waitcnt_depctr 0xfff
	v_fma_f32 v14, -v12, v13, 1.0
	s_delay_alu instid0(VALU_DEP_1) | instskip(NEXT) | instid1(VALU_DEP_1)
	v_fmac_f32_e32 v13, v14, v13
	v_mul_f32_e32 v14, v9, v13
	s_delay_alu instid0(VALU_DEP_1) | instskip(NEXT) | instid1(VALU_DEP_1)
	v_fma_f32 v15, -v12, v14, v9
	v_fmac_f32_e32 v14, v15, v13
	s_delay_alu instid0(VALU_DEP_1) | instskip(NEXT) | instid1(VALU_DEP_1)
	v_fma_f32 v9, -v12, v14, v9
	v_div_fmas_f32 v9, v9, v13, v14
	s_delay_alu instid0(VALU_DEP_1)
	v_div_fixup_f32 v9, v9, v10, |v0|
	v_bfi_b32 v10, 0x7fffffff, v1, v0
.LBB184_1705:
	s_or_b32 exec_lo, exec_lo, s16
                                        ; implicit-def: $vgpr0
                                        ; implicit-def: $vgpr1
	s_and_saveexec_b32 s1, s0
	s_delay_alu instid0(SALU_CYCLE_1)
	s_xor_b32 s0, exec_lo, s1
	s_cbranch_execz .LBB184_1707
; %bb.1706:
	v_mul_f32_e32 v0, 0.5, v9
	v_mul_f32_e32 v12, 0.5, v10
	s_delay_alu instid0(VALU_DEP_2) | instskip(NEXT) | instid1(VALU_DEP_2)
	v_cndmask_b32_e64 v1, v9, v0, s15
	v_cndmask_b32_e64 v0, v10, v12, s15
                                        ; implicit-def: $vgpr9
                                        ; implicit-def: $vgpr10
	s_and_not1_saveexec_b32 s0, s0
	s_cbranch_execnz .LBB184_1708
	s_branch .LBB184_1709
.LBB184_1707:
	s_and_not1_saveexec_b32 s0, s0
.LBB184_1708:
	v_dual_add_f32 v1, v9, v9 :: v_dual_add_f32 v0, v10, v10
.LBB184_1709:
	s_or_b32 exec_lo, exec_lo, s0
                                        ; implicit-def: $vgpr9
.LBB184_1710:
	s_and_not1_saveexec_b32 s0, s14
	s_cbranch_execz .LBB184_1716
; %bb.1711:
	v_cmp_lt_i16_e32 vcc_lo, -1, v9
	v_sub_f32_e32 v9, v0, v0
	s_and_saveexec_b32 s1, vcc_lo
	s_delay_alu instid0(SALU_CYCLE_1)
	s_xor_b32 s1, exec_lo, s1
; %bb.1712:
	s_delay_alu instid0(VALU_DEP_1)
	v_bfi_b32 v0, 0x7fffffff, v9, v0
                                        ; implicit-def: $vgpr9
; %bb.1713:
	s_and_not1_saveexec_b32 s1, s1
; %bb.1714:
	v_and_b32_e32 v9, 0x7fffffff, v9
	s_delay_alu instid0(VALU_DEP_2) | instskip(NEXT) | instid1(VALU_DEP_2)
	v_bfi_b32 v0, 0x7fffffff, v1, v0
	v_mov_b32_e32 v1, v9
; %bb.1715:
	s_or_b32 exec_lo, exec_lo, s1
.LBB184_1716:
	s_delay_alu instid0(SALU_CYCLE_1)
	s_or_b32 exec_lo, exec_lo, s0
.LBB184_1717:
	s_and_not1_saveexec_b32 s0, s13
; %bb.1718:
	v_sub_f32_e32 v0, v0, v0
	s_delay_alu instid0(VALU_DEP_1) | instskip(NEXT) | instid1(VALU_DEP_1)
	v_div_scale_f32 v9, vcc_lo, v0, v0, v0
	v_rcp_f32_e32 v10, v9
	s_waitcnt_depctr 0xfff
	v_fma_f32 v12, -v9, v10, 1.0
	s_delay_alu instid0(VALU_DEP_1) | instskip(NEXT) | instid1(VALU_DEP_1)
	v_fmac_f32_e32 v10, v12, v10
	v_mul_f32_e32 v12, v9, v10
	s_delay_alu instid0(VALU_DEP_1) | instskip(NEXT) | instid1(VALU_DEP_1)
	v_fma_f32 v13, -v9, v12, v9
	v_fmac_f32_e32 v12, v13, v10
	s_delay_alu instid0(VALU_DEP_1) | instskip(NEXT) | instid1(VALU_DEP_1)
	v_fma_f32 v9, -v9, v12, v9
	v_div_fmas_f32 v9, v9, v10, v12
	s_delay_alu instid0(VALU_DEP_1)
	v_div_fixup_f32 v0, v9, v0, v0
; %bb.1719:
	s_or_b32 exec_lo, exec_lo, s0
.LBB184_1720:
	s_delay_alu instid0(SALU_CYCLE_1)
	s_or_b32 exec_lo, exec_lo, s12
.LBB184_1721:
	s_delay_alu instid0(SALU_CYCLE_1)
	s_or_b32 exec_lo, exec_lo, s11
	v_cmp_gt_f32_e32 vcc_lo, 0, v1
                                        ; implicit-def: $vgpr10
                                        ; implicit-def: $vgpr9
	s_mov_b32 s0, exec_lo
	v_cndmask_b32_e64 v12, v1, -v1, vcc_lo
	v_cmp_gt_f32_e32 vcc_lo, 0, v0
	v_cndmask_b32_e64 v13, v0, -v0, vcc_lo
	s_delay_alu instid0(VALU_DEP_1)
	v_cmpx_ge_f32_e32 v12, v13
	s_xor_b32 s1, exec_lo, s0
	s_cbranch_execz .LBB184_1727
; %bb.1722:
	v_cmp_neq_f32_e32 vcc_lo, 0, v1
	v_cmp_neq_f32_e64 s0, 0, v0
                                        ; implicit-def: $vgpr10
                                        ; implicit-def: $vgpr9
	s_delay_alu instid0(VALU_DEP_1) | instskip(NEXT) | instid1(SALU_CYCLE_1)
	s_or_b32 s0, vcc_lo, s0
	s_and_saveexec_b32 s11, s0
	s_delay_alu instid0(SALU_CYCLE_1)
	s_xor_b32 s0, exec_lo, s11
	s_cbranch_execz .LBB184_1724
; %bb.1723:
	v_div_scale_f32 v9, null, v1, v1, v0
	v_div_scale_f32 v13, vcc_lo, v0, v1, v0
	s_delay_alu instid0(VALU_DEP_2) | instskip(SKIP_2) | instid1(VALU_DEP_1)
	v_rcp_f32_e32 v10, v9
	s_waitcnt_depctr 0xfff
	v_fma_f32 v12, -v9, v10, 1.0
	v_fmac_f32_e32 v10, v12, v10
	s_delay_alu instid0(VALU_DEP_1) | instskip(NEXT) | instid1(VALU_DEP_1)
	v_mul_f32_e32 v12, v13, v10
	v_fma_f32 v14, -v9, v12, v13
	s_delay_alu instid0(VALU_DEP_1) | instskip(NEXT) | instid1(VALU_DEP_1)
	v_fmac_f32_e32 v12, v14, v10
	v_fma_f32 v9, -v9, v12, v13
	s_delay_alu instid0(VALU_DEP_1) | instskip(NEXT) | instid1(VALU_DEP_1)
	v_div_fmas_f32 v9, v9, v10, v12
	v_div_fixup_f32 v10, v9, v1, v0
	s_delay_alu instid0(VALU_DEP_1) | instskip(NEXT) | instid1(VALU_DEP_1)
	v_fmac_f32_e32 v1, v0, v10
	v_div_scale_f32 v0, null, v1, v1, 1.0
	v_div_scale_f32 v13, vcc_lo, 1.0, v1, 1.0
	s_delay_alu instid0(VALU_DEP_2) | instskip(SKIP_2) | instid1(VALU_DEP_1)
	v_rcp_f32_e32 v9, v0
	s_waitcnt_depctr 0xfff
	v_fma_f32 v12, -v0, v9, 1.0
	v_fmac_f32_e32 v9, v12, v9
	s_delay_alu instid0(VALU_DEP_1) | instskip(NEXT) | instid1(VALU_DEP_1)
	v_mul_f32_e32 v12, v13, v9
	v_fma_f32 v14, -v0, v12, v13
	s_delay_alu instid0(VALU_DEP_1) | instskip(NEXT) | instid1(VALU_DEP_1)
	v_fmac_f32_e32 v12, v14, v9
	v_fma_f32 v0, -v0, v12, v13
                                        ; implicit-def: $vgpr13
	s_delay_alu instid0(VALU_DEP_1) | instskip(SKIP_1) | instid1(VALU_DEP_2)
	v_div_fmas_f32 v0, v0, v9, v12
	v_fma_f32 v9, v10, 0, 1.0
                                        ; implicit-def: $vgpr12
	v_div_fixup_f32 v0, v0, v1, 1.0
	s_delay_alu instid0(VALU_DEP_1)
	v_mul_f32_e32 v9, v9, v0
	v_mul_f32_e64 v10, -v10, v0
.LBB184_1724:
	s_and_not1_saveexec_b32 s11, s0
	s_cbranch_execz .LBB184_1726
; %bb.1725:
	v_div_scale_f32 v0, null, v12, v12, 1.0
	v_div_scale_f32 v1, null, v13, v13, 0
	v_div_scale_f32 v16, vcc_lo, 1.0, v12, 1.0
	s_delay_alu instid0(VALU_DEP_3) | instskip(NEXT) | instid1(VALU_DEP_2)
	v_rcp_f32_e32 v9, v0
	v_rcp_f32_e32 v10, v1
	s_waitcnt_depctr 0xfff
	v_fma_f32 v14, -v0, v9, 1.0
	v_fma_f32 v15, -v1, v10, 1.0
	s_delay_alu instid0(VALU_DEP_1) | instskip(SKIP_1) | instid1(VALU_DEP_2)
	v_dual_fmac_f32 v9, v14, v9 :: v_dual_fmac_f32 v10, v15, v10
	v_div_scale_f32 v14, s0, 0, v13, 0
	v_mul_f32_e32 v15, v16, v9
	s_delay_alu instid0(VALU_DEP_2) | instskip(NEXT) | instid1(VALU_DEP_2)
	v_mul_f32_e32 v17, v14, v10
	v_fma_f32 v18, -v0, v15, v16
	s_delay_alu instid0(VALU_DEP_2) | instskip(NEXT) | instid1(VALU_DEP_2)
	v_fma_f32 v19, -v1, v17, v14
	v_fmac_f32_e32 v15, v18, v9
	s_delay_alu instid0(VALU_DEP_2) | instskip(NEXT) | instid1(VALU_DEP_2)
	v_fmac_f32_e32 v17, v19, v10
	v_fma_f32 v0, -v0, v15, v16
	s_delay_alu instid0(VALU_DEP_2) | instskip(NEXT) | instid1(VALU_DEP_2)
	v_fma_f32 v1, -v1, v17, v14
	v_div_fmas_f32 v0, v0, v9, v15
	s_mov_b32 vcc_lo, s0
	s_delay_alu instid0(VALU_DEP_2) | instskip(NEXT) | instid1(VALU_DEP_2)
	v_div_fmas_f32 v1, v1, v10, v17
	v_div_fixup_f32 v9, v0, v12, 1.0
	s_delay_alu instid0(VALU_DEP_2)
	v_div_fixup_f32 v10, v1, v13, 0
.LBB184_1726:
	s_or_b32 exec_lo, exec_lo, s11
                                        ; implicit-def: $vgpr0
                                        ; implicit-def: $vgpr1
.LBB184_1727:
	s_and_not1_saveexec_b32 s0, s1
	s_cbranch_execz .LBB184_1729
; %bb.1728:
	v_div_scale_f32 v9, null, v0, v0, v1
	v_div_scale_f32 v13, vcc_lo, v1, v0, v1
	s_delay_alu instid0(VALU_DEP_2) | instskip(SKIP_2) | instid1(VALU_DEP_1)
	v_rcp_f32_e32 v10, v9
	s_waitcnt_depctr 0xfff
	v_fma_f32 v12, -v9, v10, 1.0
	v_fmac_f32_e32 v10, v12, v10
	s_delay_alu instid0(VALU_DEP_1) | instskip(NEXT) | instid1(VALU_DEP_1)
	v_mul_f32_e32 v12, v13, v10
	v_fma_f32 v14, -v9, v12, v13
	s_delay_alu instid0(VALU_DEP_1) | instskip(NEXT) | instid1(VALU_DEP_1)
	v_fmac_f32_e32 v12, v14, v10
	v_fma_f32 v9, -v9, v12, v13
	s_delay_alu instid0(VALU_DEP_1) | instskip(NEXT) | instid1(VALU_DEP_1)
	v_div_fmas_f32 v9, v9, v10, v12
	v_div_fixup_f32 v9, v9, v0, v1
	s_delay_alu instid0(VALU_DEP_1) | instskip(NEXT) | instid1(VALU_DEP_1)
	v_fmac_f32_e32 v0, v1, v9
	v_div_scale_f32 v1, null, v0, v0, 1.0
	v_div_scale_f32 v13, vcc_lo, 1.0, v0, 1.0
	s_delay_alu instid0(VALU_DEP_2) | instskip(SKIP_2) | instid1(VALU_DEP_1)
	v_rcp_f32_e32 v10, v1
	s_waitcnt_depctr 0xfff
	v_fma_f32 v12, -v1, v10, 1.0
	v_fmac_f32_e32 v10, v12, v10
	s_delay_alu instid0(VALU_DEP_1) | instskip(NEXT) | instid1(VALU_DEP_1)
	v_mul_f32_e32 v12, v13, v10
	v_fma_f32 v14, -v1, v12, v13
	s_delay_alu instid0(VALU_DEP_1) | instskip(NEXT) | instid1(VALU_DEP_1)
	v_fmac_f32_e32 v12, v14, v10
	v_fma_f32 v1, -v1, v12, v13
	s_delay_alu instid0(VALU_DEP_1) | instskip(SKIP_1) | instid1(VALU_DEP_2)
	v_div_fmas_f32 v1, v1, v10, v12
	v_add_f32_e32 v10, 0, v9
	v_div_fixup_f32 v0, v1, v0, 1.0
	v_fma_f32 v1, v9, 0, -1.0
	s_delay_alu instid0(VALU_DEP_2) | instskip(NEXT) | instid1(VALU_DEP_2)
	v_mul_f32_e32 v9, v10, v0
	v_mul_f32_e32 v10, v1, v0
.LBB184_1729:
	s_or_b32 exec_lo, exec_lo, s0
	v_add_nc_u32_e32 v0, s3, v11
	v_cmp_gt_i16_e32 vcc_lo, 11, v4
	s_delay_alu instid0(VALU_DEP_2) | instskip(SKIP_1) | instid1(VALU_DEP_1)
	v_ashrrev_i32_e32 v1, 31, v0
	v_add_co_u32 v0, s0, s6, v0
	v_add_co_ci_u32_e64 v1, s0, s7, v1, s0
	s_cbranch_vccnz .LBB184_1736
; %bb.1730:
	v_cmp_lt_i16_e32 vcc_lo, 25, v4
	s_mov_b32 s1, 0
	s_cbranch_vccz .LBB184_1737
; %bb.1731:
	v_cmp_lt_i16_e32 vcc_lo, 28, v4
	s_cbranch_vccz .LBB184_1738
; %bb.1732:
	v_cmp_lt_i16_e32 vcc_lo, 43, v4
	;; [unrolled: 3-line block ×3, first 2 shown]
	s_cbranch_vccz .LBB184_1742
; %bb.1734:
	v_cmp_eq_u16_e32 vcc_lo, 46, v4
	s_mov_b32 s6, 0
	s_cbranch_vccz .LBB184_1745
; %bb.1735:
	global_load_b32 v11, v[0:1], off
	s_mov_b32 s0, 0
	s_mov_b32 s3, -1
	s_waitcnt vmcnt(0)
	v_lshlrev_b32_e32 v12, 16, v11
	v_and_b32_e32 v13, 0xffff0000, v11
	s_delay_alu instid0(VALU_DEP_2) | instskip(NEXT) | instid1(VALU_DEP_2)
	v_cvt_f16_f32_e32 v11, v12
	v_cvt_f16_f32_e32 v12, v13
	s_branch .LBB184_1747
.LBB184_1736:
	s_mov_b32 s0, -1
	s_mov_b32 s3, 0
                                        ; implicit-def: $vgpr12
                                        ; implicit-def: $vgpr11
	s_branch .LBB184_1816
.LBB184_1737:
	s_mov_b32 s6, -1
	s_mov_b32 s3, 0
	s_mov_b32 s0, 0
                                        ; implicit-def: $vgpr12
                                        ; implicit-def: $vgpr11
	s_branch .LBB184_1780
.LBB184_1738:
	s_mov_b32 s6, -1
	s_mov_b32 s3, 0
	s_mov_b32 s0, 0
                                        ; implicit-def: $vgpr12
                                        ; implicit-def: $vgpr11
	s_branch .LBB184_1759
.LBB184_1739:
	s_mov_b32 s6, -1
	s_mov_b32 s3, 0
	s_mov_b32 s0, 0
                                        ; implicit-def: $vgpr12
                                        ; implicit-def: $vgpr11
	s_branch .LBB184_1753
.LBB184_1740:
	s_cbranch_execnz .LBB184_1743
; %bb.1741:
	s_or_b32 s8, s8, exec_lo
                                        ; implicit-def: $vgpr10
                                        ; implicit-def: $vgpr9
	s_cbranch_execz .LBB184_1688
	s_branch .LBB184_1689
.LBB184_1742:
	s_mov_b32 s6, -1
	s_mov_b32 s3, 0
	s_mov_b32 s0, 0
	s_branch .LBB184_1746
.LBB184_1743:
	s_trap 2
	s_sendmsg_rtn_b32 s0, sendmsg(MSG_RTN_GET_DOORBELL)
	s_mov_b32 ttmp2, m0
	s_waitcnt lgkmcnt(0)
	s_and_b32 s0, s0, 0x3ff
	s_delay_alu instid0(SALU_CYCLE_1) | instskip(NEXT) | instid1(SALU_CYCLE_1)
	s_bitset1_b32 s0, 10
	s_mov_b32 m0, s0
	s_sendmsg sendmsg(MSG_INTERRUPT)
	s_mov_b32 m0, ttmp2
.LBB184_1744:                           ; =>This Inner Loop Header: Depth=1
	s_sethalt 5
	s_branch .LBB184_1744
.LBB184_1745:
	s_mov_b32 s0, -1
	s_mov_b32 s3, 0
.LBB184_1746:
                                        ; implicit-def: $vgpr12
                                        ; implicit-def: $vgpr11
.LBB184_1747:
	s_and_b32 vcc_lo, exec_lo, s6
	s_cbranch_vccz .LBB184_1752
; %bb.1748:
	v_cmp_eq_u16_e32 vcc_lo, 44, v4
	s_cbranch_vccz .LBB184_1750
; %bb.1749:
	global_load_u8 v11, v[0:1], off
	s_mov_b32 s0, 0
	s_mov_b32 s3, -1
	s_waitcnt vmcnt(0)
	v_lshlrev_b32_e32 v12, 23, v11
	v_cmp_ne_u32_e32 vcc_lo, 0xff, v11
	s_delay_alu instid0(VALU_DEP_2) | instskip(NEXT) | instid1(VALU_DEP_1)
	v_cvt_f16_f32_e32 v12, v12
	v_cndmask_b32_e32 v12, 0x7e00, v12, vcc_lo
	v_cmp_ne_u32_e32 vcc_lo, 0, v11
	s_delay_alu instid0(VALU_DEP_2)
	v_cndmask_b32_e32 v11, 0, v12, vcc_lo
	s_branch .LBB184_1751
.LBB184_1750:
	s_mov_b32 s0, -1
                                        ; implicit-def: $vgpr11
.LBB184_1751:
	s_delay_alu instid0(SALU_CYCLE_1)
	v_mov_b32_e32 v12, s0
.LBB184_1752:
	s_mov_b32 s6, 0
.LBB184_1753:
	s_delay_alu instid0(SALU_CYCLE_1)
	s_and_b32 vcc_lo, exec_lo, s6
	s_cbranch_vccz .LBB184_1758
; %bb.1754:
	v_cmp_eq_u16_e32 vcc_lo, 29, v4
	s_cbranch_vccz .LBB184_1756
; %bb.1755:
	global_load_b64 v[11:12], v[0:1], off
	s_mov_b32 s0, 0
	s_mov_b32 s3, -1
	s_mov_b32 s6, 0
	s_waitcnt vmcnt(0)
	v_clz_i32_u32_e32 v13, v12
	s_delay_alu instid0(VALU_DEP_1) | instskip(NEXT) | instid1(VALU_DEP_1)
	v_min_u32_e32 v13, 32, v13
	v_lshlrev_b64 v[11:12], v13, v[11:12]
	s_delay_alu instid0(VALU_DEP_1) | instskip(NEXT) | instid1(VALU_DEP_1)
	v_min_u32_e32 v11, 1, v11
	v_or_b32_e32 v11, v12, v11
	v_sub_nc_u32_e32 v12, 32, v13
	s_delay_alu instid0(VALU_DEP_2) | instskip(NEXT) | instid1(VALU_DEP_1)
	v_cvt_f32_u32_e32 v11, v11
	v_ldexp_f32 v11, v11, v12
	s_delay_alu instid0(VALU_DEP_1)
	v_cvt_f16_f32_e32 v11, v11
	s_branch .LBB184_1757
.LBB184_1756:
	s_mov_b32 s0, -1
                                        ; implicit-def: $sgpr6
                                        ; implicit-def: $vgpr11
.LBB184_1757:
	v_mov_b32_e32 v12, s6
.LBB184_1758:
	s_mov_b32 s6, 0
.LBB184_1759:
	s_delay_alu instid0(SALU_CYCLE_1)
	s_and_b32 vcc_lo, exec_lo, s6
	s_cbranch_vccz .LBB184_1779
; %bb.1760:
	v_cmp_gt_i16_e32 vcc_lo, 27, v4
	s_cbranch_vccnz .LBB184_1763
; %bb.1761:
	v_cmp_lt_i16_e32 vcc_lo, 27, v4
	s_cbranch_vccz .LBB184_1764
; %bb.1762:
	global_load_b32 v11, v[0:1], off
	s_mov_b32 s6, 0
	s_mov_b32 s3, 0
	s_waitcnt vmcnt(0)
	v_cvt_f32_u32_e32 v11, v11
	s_delay_alu instid0(VALU_DEP_1)
	v_cvt_f16_f32_e32 v11, v11
	s_branch .LBB184_1765
.LBB184_1763:
	s_mov_b32 s6, -1
                                        ; implicit-def: $sgpr3
                                        ; implicit-def: $vgpr11
	s_branch .LBB184_1768
.LBB184_1764:
	s_mov_b32 s6, -1
                                        ; implicit-def: $sgpr3
                                        ; implicit-def: $vgpr11
.LBB184_1765:
	s_delay_alu instid0(SALU_CYCLE_1)
	s_and_not1_b32 vcc_lo, exec_lo, s6
	s_cbranch_vccnz .LBB184_1767
; %bb.1766:
	global_load_u16 v11, v[0:1], off
	s_mov_b32 s3, 0
	s_waitcnt vmcnt(0)
	v_cvt_f16_u16_e32 v11, v11
.LBB184_1767:
	s_mov_b32 s6, 0
.LBB184_1768:
	v_mov_b32_e32 v12, s3
	s_and_not1_b32 vcc_lo, exec_lo, s6
	s_cbranch_vccnz .LBB184_1778
; %bb.1769:
	global_load_u8 v13, v[0:1], off
	s_mov_b32 s3, 0
	s_mov_b32 s11, exec_lo
                                        ; implicit-def: $sgpr7
                                        ; implicit-def: $sgpr6
	s_waitcnt vmcnt(0)
	v_cmpx_lt_i16_e32 0x7f, v13
	s_xor_b32 s11, exec_lo, s11
	s_cbranch_execz .LBB184_1773
; %bb.1770:
	s_mov_b32 s3, -1
	s_mov_b32 s12, exec_lo
                                        ; implicit-def: $sgpr7
                                        ; implicit-def: $sgpr6
	v_cmpx_eq_u16_e32 0x80, v13
; %bb.1771:
	s_movk_i32 s6, 0x7e00
	s_mov_b32 s7, 0
	s_xor_b32 s3, exec_lo, -1
; %bb.1772:
	s_or_b32 exec_lo, exec_lo, s12
	s_delay_alu instid0(SALU_CYCLE_1)
	s_and_b32 s3, s3, exec_lo
.LBB184_1773:
	s_or_saveexec_b32 s11, s11
	v_dual_mov_b32 v12, s7 :: v_dual_mov_b32 v11, s6
	s_xor_b32 exec_lo, exec_lo, s11
; %bb.1774:
	v_cmp_ne_u16_e32 vcc_lo, 0, v13
	v_dual_mov_b32 v12, 0 :: v_dual_mov_b32 v11, v13
	s_and_not1_b32 s3, s3, exec_lo
	s_and_b32 s6, vcc_lo, exec_lo
	s_delay_alu instid0(SALU_CYCLE_1)
	s_or_b32 s3, s3, s6
; %bb.1775:
	s_or_b32 exec_lo, exec_lo, s11
	s_and_saveexec_b32 s6, s3
	s_cbranch_execz .LBB184_1777
; %bb.1776:
	v_and_b32_e32 v11, 0xffff, v13
	v_lshlrev_b32_e32 v13, 24, v13
	s_delay_alu instid0(VALU_DEP_2) | instskip(NEXT) | instid1(VALU_DEP_2)
	v_and_b32_e32 v12, 7, v11
	v_and_b32_e32 v13, 0x80000000, v13
	s_delay_alu instid0(VALU_DEP_2) | instskip(NEXT) | instid1(VALU_DEP_1)
	v_clz_i32_u32_e32 v14, v12
	v_min_u32_e32 v14, 32, v14
	s_delay_alu instid0(VALU_DEP_1) | instskip(SKIP_1) | instid1(VALU_DEP_2)
	v_subrev_nc_u32_e32 v15, 28, v14
	v_sub_nc_u32_e32 v14, 29, v14
	v_lshlrev_b32_e32 v15, v15, v11
	v_bfe_u32 v11, v11, 3, 4
	s_delay_alu instid0(VALU_DEP_2) | instskip(NEXT) | instid1(VALU_DEP_2)
	v_and_b32_e32 v15, 7, v15
	v_cmp_eq_u32_e32 vcc_lo, 0, v11
	s_delay_alu instid0(VALU_DEP_2) | instskip(NEXT) | instid1(VALU_DEP_1)
	v_dual_cndmask_b32 v11, v11, v14 :: v_dual_cndmask_b32 v12, v12, v15
	v_lshl_add_u32 v11, v11, 23, 0x3b800000
	s_delay_alu instid0(VALU_DEP_2) | instskip(NEXT) | instid1(VALU_DEP_1)
	v_lshlrev_b32_e32 v12, 20, v12
	v_or3_b32 v11, v13, v11, v12
	v_mov_b32_e32 v12, 0
	s_delay_alu instid0(VALU_DEP_2)
	v_cvt_f16_f32_e32 v11, v11
.LBB184_1777:
	s_or_b32 exec_lo, exec_lo, s6
.LBB184_1778:
	s_mov_b32 s3, -1
.LBB184_1779:
	s_mov_b32 s6, 0
.LBB184_1780:
	s_delay_alu instid0(SALU_CYCLE_1)
	s_and_b32 vcc_lo, exec_lo, s6
	s_cbranch_vccz .LBB184_1812
; %bb.1781:
	v_cmp_lt_i16_e32 vcc_lo, 22, v4
	s_cbranch_vccz .LBB184_1793
; %bb.1782:
	v_cmp_gt_i16_e32 vcc_lo, 24, v4
	s_cbranch_vccnz .LBB184_1794
; %bb.1783:
	v_cmp_lt_i16_e32 vcc_lo, 24, v4
	s_cbranch_vccz .LBB184_1795
; %bb.1784:
	global_load_u8 v13, v[0:1], off
	s_mov_b32 s7, exec_lo
                                        ; implicit-def: $sgpr6
                                        ; implicit-def: $sgpr3
	s_waitcnt vmcnt(0)
	v_cmpx_lt_i16_e32 0x7f, v13
	s_xor_b32 s7, exec_lo, s7
	s_cbranch_execz .LBB184_1788
; %bb.1785:
	s_mov_b32 s1, -1
	s_mov_b32 s11, exec_lo
                                        ; implicit-def: $sgpr6
                                        ; implicit-def: $sgpr3
	v_cmpx_eq_u16_e32 0x80, v13
; %bb.1786:
	s_movk_i32 s3, 0x7e00
	s_mov_b32 s6, 0
	s_xor_b32 s1, exec_lo, -1
; %bb.1787:
	s_or_b32 exec_lo, exec_lo, s11
	s_delay_alu instid0(SALU_CYCLE_1)
	s_and_b32 s1, s1, exec_lo
.LBB184_1788:
	s_or_saveexec_b32 s7, s7
	v_dual_mov_b32 v12, s6 :: v_dual_mov_b32 v11, s3
	s_xor_b32 exec_lo, exec_lo, s7
; %bb.1789:
	v_cmp_ne_u16_e32 vcc_lo, 0, v13
	v_dual_mov_b32 v12, 0 :: v_dual_mov_b32 v11, v13
	s_and_not1_b32 s1, s1, exec_lo
	s_and_b32 s3, vcc_lo, exec_lo
	s_delay_alu instid0(SALU_CYCLE_1)
	s_or_b32 s1, s1, s3
; %bb.1790:
	s_or_b32 exec_lo, exec_lo, s7
	s_and_saveexec_b32 s3, s1
	s_cbranch_execz .LBB184_1792
; %bb.1791:
	v_and_b32_e32 v11, 0xffff, v13
	v_lshlrev_b32_e32 v13, 24, v13
	s_delay_alu instid0(VALU_DEP_2) | instskip(NEXT) | instid1(VALU_DEP_2)
	v_and_b32_e32 v12, 3, v11
	v_and_b32_e32 v13, 0x80000000, v13
	s_delay_alu instid0(VALU_DEP_2) | instskip(NEXT) | instid1(VALU_DEP_1)
	v_clz_i32_u32_e32 v14, v12
	v_min_u32_e32 v14, 32, v14
	s_delay_alu instid0(VALU_DEP_1) | instskip(SKIP_1) | instid1(VALU_DEP_2)
	v_subrev_nc_u32_e32 v15, 29, v14
	v_sub_nc_u32_e32 v14, 30, v14
	v_lshlrev_b32_e32 v15, v15, v11
	v_bfe_u32 v11, v11, 2, 5
	s_delay_alu instid0(VALU_DEP_2) | instskip(NEXT) | instid1(VALU_DEP_2)
	v_and_b32_e32 v15, 3, v15
	v_cmp_eq_u32_e32 vcc_lo, 0, v11
	s_delay_alu instid0(VALU_DEP_2) | instskip(NEXT) | instid1(VALU_DEP_1)
	v_dual_cndmask_b32 v11, v11, v14 :: v_dual_cndmask_b32 v12, v12, v15
	v_lshl_add_u32 v11, v11, 23, 0x37800000
	s_delay_alu instid0(VALU_DEP_2) | instskip(NEXT) | instid1(VALU_DEP_1)
	v_lshlrev_b32_e32 v12, 21, v12
	v_or3_b32 v11, v13, v11, v12
	v_mov_b32_e32 v12, 0
	s_delay_alu instid0(VALU_DEP_2)
	v_cvt_f16_f32_e32 v11, v11
.LBB184_1792:
	s_or_b32 exec_lo, exec_lo, s3
	s_mov_b32 s1, 0
	s_branch .LBB184_1796
.LBB184_1793:
	s_mov_b32 s1, -1
                                        ; implicit-def: $vgpr12
                                        ; implicit-def: $vgpr11
	s_branch .LBB184_1802
.LBB184_1794:
	s_mov_b32 s1, -1
                                        ; implicit-def: $vgpr12
                                        ; implicit-def: $vgpr11
	s_branch .LBB184_1799
.LBB184_1795:
	s_mov_b32 s1, -1
                                        ; implicit-def: $vgpr12
                                        ; implicit-def: $vgpr11
.LBB184_1796:
	s_delay_alu instid0(SALU_CYCLE_1)
	s_and_b32 vcc_lo, exec_lo, s1
	s_cbranch_vccz .LBB184_1798
; %bb.1797:
	global_load_u8 v11, v[0:1], off
	s_waitcnt vmcnt(0)
	v_lshlrev_b32_e32 v11, 24, v11
	s_delay_alu instid0(VALU_DEP_1) | instskip(NEXT) | instid1(VALU_DEP_1)
	v_and_b32_e32 v12, 0x7f000000, v11
	v_clz_i32_u32_e32 v13, v12
	v_add_nc_u32_e32 v15, 0x1000000, v12
	v_cmp_ne_u32_e32 vcc_lo, 0, v12
	s_delay_alu instid0(VALU_DEP_3) | instskip(NEXT) | instid1(VALU_DEP_1)
	v_min_u32_e32 v13, 32, v13
	v_sub_nc_u32_e64 v13, v13, 4 clamp
	s_delay_alu instid0(VALU_DEP_1) | instskip(SKIP_1) | instid1(VALU_DEP_2)
	v_lshlrev_b32_e32 v14, v13, v12
	v_lshlrev_b32_e32 v13, 23, v13
	v_lshrrev_b32_e32 v14, 4, v14
	s_delay_alu instid0(VALU_DEP_1) | instskip(SKIP_1) | instid1(VALU_DEP_2)
	v_sub_nc_u32_e32 v13, v14, v13
	v_ashrrev_i32_e32 v14, 8, v15
	v_add_nc_u32_e32 v13, 0x3c000000, v13
	s_delay_alu instid0(VALU_DEP_1) | instskip(NEXT) | instid1(VALU_DEP_1)
	v_and_or_b32 v13, 0x7f800000, v14, v13
	v_cndmask_b32_e32 v12, 0, v13, vcc_lo
	s_delay_alu instid0(VALU_DEP_1) | instskip(SKIP_1) | instid1(VALU_DEP_2)
	v_and_or_b32 v11, 0x80000000, v11, v12
	v_mov_b32_e32 v12, 0
	v_cvt_f16_f32_e32 v11, v11
.LBB184_1798:
	s_mov_b32 s1, 0
.LBB184_1799:
	s_delay_alu instid0(SALU_CYCLE_1)
	s_and_not1_b32 vcc_lo, exec_lo, s1
	s_cbranch_vccnz .LBB184_1801
; %bb.1800:
	global_load_u8 v11, v[0:1], off
	s_waitcnt vmcnt(0)
	v_lshlrev_b32_e32 v12, 25, v11
	v_lshlrev_b16 v11, 8, v11
	s_delay_alu instid0(VALU_DEP_2) | instskip(NEXT) | instid1(VALU_DEP_2)
	v_lshrrev_b32_e32 v13, 4, v12
	v_and_or_b32 v14, 0x7f00, v11, 0.5
	v_bfe_i32 v11, v11, 0, 16
	s_delay_alu instid0(VALU_DEP_3) | instskip(NEXT) | instid1(VALU_DEP_1)
	v_or_b32_e32 v13, 0x70000000, v13
	v_dual_add_f32 v14, -0.5, v14 :: v_dual_mul_f32 v13, 0x7800000, v13
	v_cmp_gt_u32_e32 vcc_lo, 0x8000000, v12
	s_delay_alu instid0(VALU_DEP_2) | instskip(NEXT) | instid1(VALU_DEP_1)
	v_cndmask_b32_e32 v12, v13, v14, vcc_lo
	v_and_or_b32 v11, 0x80000000, v11, v12
	v_mov_b32_e32 v12, 0
	s_delay_alu instid0(VALU_DEP_2)
	v_cvt_f16_f32_e32 v11, v11
.LBB184_1801:
	s_mov_b32 s1, 0
	s_mov_b32 s3, -1
.LBB184_1802:
	s_and_not1_b32 vcc_lo, exec_lo, s1
	s_mov_b32 s1, 0
	s_cbranch_vccnz .LBB184_1812
; %bb.1803:
	v_cmp_lt_i16_e32 vcc_lo, 14, v4
	s_cbranch_vccz .LBB184_1806
; %bb.1804:
	v_cmp_eq_u16_e32 vcc_lo, 15, v4
	s_cbranch_vccz .LBB184_1807
; %bb.1805:
	global_load_u16 v11, v[0:1], off
	s_mov_b32 s0, 0
	s_mov_b32 s3, -1
	s_mov_b32 s6, 0
	s_waitcnt vmcnt(0)
	v_lshlrev_b32_e32 v11, 16, v11
	s_delay_alu instid0(VALU_DEP_1)
	v_cvt_f16_f32_e32 v11, v11
	s_branch .LBB184_1809
.LBB184_1806:
	s_mov_b32 s1, -1
	s_branch .LBB184_1808
.LBB184_1807:
	s_mov_b32 s0, -1
.LBB184_1808:
                                        ; implicit-def: $sgpr6
                                        ; implicit-def: $vgpr11
.LBB184_1809:
	s_and_b32 vcc_lo, exec_lo, s1
	s_mov_b32 s1, 0
	s_cbranch_vccz .LBB184_1811
; %bb.1810:
	v_cmp_ne_u16_e64 s0, 11, v4
	s_mov_b32 s1, -1
                                        ; implicit-def: $sgpr6
                                        ; implicit-def: $vgpr11
.LBB184_1811:
	v_mov_b32_e32 v12, s6
.LBB184_1812:
	s_delay_alu instid0(VALU_DEP_2)
	s_and_b32 vcc_lo, exec_lo, s0
	s_cbranch_vccnz .LBB184_2386
; %bb.1813:
	s_and_not1_b32 vcc_lo, exec_lo, s1
	s_cbranch_vccnz .LBB184_1815
.LBB184_1814:
	global_load_u8 v11, v[0:1], off
	v_mov_b32_e32 v12, 0
	s_mov_b32 s3, -1
	s_waitcnt vmcnt(0)
	v_cmp_ne_u16_e32 vcc_lo, 0, v11
	v_cndmask_b32_e64 v11, 0, 0x3c00, vcc_lo
.LBB184_1815:
	s_mov_b32 s0, 0
.LBB184_1816:
	s_delay_alu instid0(SALU_CYCLE_1)
	s_and_b32 vcc_lo, exec_lo, s0
	s_cbranch_vccz .LBB184_1867
; %bb.1817:
	v_cmp_gt_i16_e32 vcc_lo, 5, v4
	s_cbranch_vccnz .LBB184_1822
; %bb.1818:
	v_cmp_gt_i16_e32 vcc_lo, 8, v4
	s_cbranch_vccnz .LBB184_1823
	;; [unrolled: 3-line block ×3, first 2 shown]
; %bb.1820:
	v_cmp_lt_i16_e32 vcc_lo, 9, v4
	s_cbranch_vccz .LBB184_1825
; %bb.1821:
	global_load_b128 v[11:14], v[0:1], off
	s_mov_b32 s0, 0
	s_waitcnt vmcnt(0)
	v_cvt_f32_f64_e32 v11, v[11:12]
	v_cvt_f32_f64_e32 v12, v[13:14]
	s_delay_alu instid0(VALU_DEP_2) | instskip(NEXT) | instid1(VALU_DEP_2)
	v_cvt_f16_f32_e32 v11, v11
	v_cvt_f16_f32_e32 v12, v12
	s_branch .LBB184_1826
.LBB184_1822:
	s_mov_b32 s0, -1
                                        ; implicit-def: $vgpr12
                                        ; implicit-def: $vgpr11
	s_branch .LBB184_1845
.LBB184_1823:
	s_mov_b32 s0, -1
                                        ; implicit-def: $vgpr12
                                        ; implicit-def: $vgpr11
	s_branch .LBB184_1832
.LBB184_1824:
	s_mov_b32 s0, -1
                                        ; implicit-def: $vgpr12
                                        ; implicit-def: $vgpr11
	s_branch .LBB184_1829
.LBB184_1825:
	s_mov_b32 s0, -1
                                        ; implicit-def: $vgpr12
                                        ; implicit-def: $vgpr11
.LBB184_1826:
	s_delay_alu instid0(SALU_CYCLE_1)
	s_and_not1_b32 vcc_lo, exec_lo, s0
	s_cbranch_vccnz .LBB184_1828
; %bb.1827:
	global_load_b64 v[11:12], v[0:1], off
	s_waitcnt vmcnt(0)
	v_cvt_f16_f32_e32 v11, v11
	v_cvt_f16_f32_e32 v12, v12
.LBB184_1828:
	s_mov_b32 s0, 0
.LBB184_1829:
	s_delay_alu instid0(SALU_CYCLE_1)
	s_and_not1_b32 vcc_lo, exec_lo, s0
	s_cbranch_vccnz .LBB184_1831
; %bb.1830:
	global_load_b32 v11, v[0:1], off
	s_waitcnt vmcnt(0)
	v_lshrrev_b32_e32 v12, 16, v11
.LBB184_1831:
	s_mov_b32 s0, 0
.LBB184_1832:
	s_delay_alu instid0(SALU_CYCLE_1)
	s_and_not1_b32 vcc_lo, exec_lo, s0
	s_cbranch_vccnz .LBB184_1844
; %bb.1833:
	v_cmp_gt_i16_e32 vcc_lo, 6, v4
	s_cbranch_vccnz .LBB184_1836
; %bb.1834:
	v_cmp_lt_i16_e32 vcc_lo, 6, v4
	s_cbranch_vccz .LBB184_1837
; %bb.1835:
	global_load_b64 v[11:12], v[0:1], off
	s_mov_b32 s1, 0
	s_mov_b32 s0, 0
	s_waitcnt vmcnt(0)
	v_cvt_f32_f64_e32 v11, v[11:12]
	s_delay_alu instid0(VALU_DEP_1)
	v_cvt_f16_f32_e32 v11, v11
	s_branch .LBB184_1838
.LBB184_1836:
	s_mov_b32 s1, -1
                                        ; implicit-def: $sgpr0
                                        ; implicit-def: $vgpr11
	s_branch .LBB184_1841
.LBB184_1837:
	s_mov_b32 s1, -1
                                        ; implicit-def: $sgpr0
                                        ; implicit-def: $vgpr11
.LBB184_1838:
	s_delay_alu instid0(SALU_CYCLE_1)
	s_and_not1_b32 vcc_lo, exec_lo, s1
	s_cbranch_vccnz .LBB184_1840
; %bb.1839:
	global_load_b32 v11, v[0:1], off
	s_mov_b32 s0, 0
	s_waitcnt vmcnt(0)
	v_cvt_f16_f32_e32 v11, v11
.LBB184_1840:
	s_mov_b32 s1, 0
.LBB184_1841:
	s_delay_alu instid0(SALU_CYCLE_1)
	s_and_not1_b32 vcc_lo, exec_lo, s1
	s_cbranch_vccnz .LBB184_1843
; %bb.1842:
	global_load_u16 v11, v[0:1], off
	s_mov_b32 s0, 0
.LBB184_1843:
	s_delay_alu instid0(SALU_CYCLE_1)
	v_mov_b32_e32 v12, s0
.LBB184_1844:
	s_mov_b32 s0, 0
.LBB184_1845:
	s_delay_alu instid0(SALU_CYCLE_1)
	s_and_not1_b32 vcc_lo, exec_lo, s0
	s_cbranch_vccnz .LBB184_1866
; %bb.1846:
	v_cmp_gt_i16_e32 vcc_lo, 2, v4
	s_cbranch_vccnz .LBB184_1850
; %bb.1847:
	v_cmp_gt_i16_e32 vcc_lo, 3, v4
	s_cbranch_vccnz .LBB184_1851
; %bb.1848:
	v_cmp_lt_i16_e32 vcc_lo, 3, v4
	s_cbranch_vccz .LBB184_1852
; %bb.1849:
	global_load_b64 v[11:12], v[0:1], off
	s_mov_b32 s1, 0
	s_mov_b32 s0, 0
	s_waitcnt vmcnt(0)
	v_xor_b32_e32 v13, v11, v12
	v_cls_i32_e32 v14, v12
	s_delay_alu instid0(VALU_DEP_2) | instskip(NEXT) | instid1(VALU_DEP_2)
	v_ashrrev_i32_e32 v13, 31, v13
	v_add_nc_u32_e32 v14, -1, v14
	s_delay_alu instid0(VALU_DEP_2) | instskip(NEXT) | instid1(VALU_DEP_1)
	v_add_nc_u32_e32 v13, 32, v13
	v_min_u32_e32 v13, v14, v13
	s_delay_alu instid0(VALU_DEP_1) | instskip(NEXT) | instid1(VALU_DEP_1)
	v_lshlrev_b64 v[11:12], v13, v[11:12]
	v_min_u32_e32 v11, 1, v11
	s_delay_alu instid0(VALU_DEP_1) | instskip(SKIP_1) | instid1(VALU_DEP_2)
	v_or_b32_e32 v11, v12, v11
	v_sub_nc_u32_e32 v12, 32, v13
	v_cvt_f32_i32_e32 v11, v11
	s_delay_alu instid0(VALU_DEP_1) | instskip(NEXT) | instid1(VALU_DEP_1)
	v_ldexp_f32 v11, v11, v12
	v_cvt_f16_f32_e32 v11, v11
	s_branch .LBB184_1853
.LBB184_1850:
	s_mov_b32 s1, -1
                                        ; implicit-def: $sgpr0
                                        ; implicit-def: $vgpr11
	s_branch .LBB184_1859
.LBB184_1851:
	s_mov_b32 s1, -1
                                        ; implicit-def: $sgpr0
                                        ; implicit-def: $vgpr11
	s_branch .LBB184_1856
.LBB184_1852:
	s_mov_b32 s1, -1
                                        ; implicit-def: $sgpr0
                                        ; implicit-def: $vgpr11
.LBB184_1853:
	s_delay_alu instid0(SALU_CYCLE_1)
	s_and_not1_b32 vcc_lo, exec_lo, s1
	s_cbranch_vccnz .LBB184_1855
; %bb.1854:
	global_load_b32 v11, v[0:1], off
	s_mov_b32 s0, 0
	s_waitcnt vmcnt(0)
	v_cvt_f32_i32_e32 v11, v11
	s_delay_alu instid0(VALU_DEP_1)
	v_cvt_f16_f32_e32 v11, v11
.LBB184_1855:
	s_mov_b32 s1, 0
.LBB184_1856:
	s_delay_alu instid0(SALU_CYCLE_1)
	s_and_not1_b32 vcc_lo, exec_lo, s1
	s_cbranch_vccnz .LBB184_1858
; %bb.1857:
	global_load_u16 v11, v[0:1], off
	s_mov_b32 s0, 0
	s_waitcnt vmcnt(0)
	v_cvt_f16_i16_e32 v11, v11
.LBB184_1858:
	s_mov_b32 s1, 0
.LBB184_1859:
	s_delay_alu instid0(SALU_CYCLE_1)
	s_and_not1_b32 vcc_lo, exec_lo, s1
	s_cbranch_vccnz .LBB184_1865
; %bb.1860:
	v_cmp_lt_i16_e32 vcc_lo, 0, v4
	s_mov_b32 s1, 0
	s_cbranch_vccz .LBB184_1862
; %bb.1861:
	global_load_i8 v4, v[0:1], off
	s_mov_b32 s0, 0
	s_waitcnt vmcnt(0)
	v_cvt_f16_i16_e32 v11, v4
	s_branch .LBB184_1863
.LBB184_1862:
	s_mov_b32 s1, -1
                                        ; implicit-def: $sgpr0
                                        ; implicit-def: $vgpr11
.LBB184_1863:
	s_delay_alu instid0(SALU_CYCLE_1)
	s_and_not1_b32 vcc_lo, exec_lo, s1
	s_cbranch_vccnz .LBB184_1865
; %bb.1864:
	global_load_u8 v0, v[0:1], off
	s_mov_b32 s0, 0
	s_waitcnt vmcnt(0)
	v_cvt_f16_u16_e32 v11, v0
.LBB184_1865:
	v_mov_b32_e32 v12, s0
.LBB184_1866:
	s_mov_b32 s3, -1
.LBB184_1867:
	s_delay_alu instid0(SALU_CYCLE_1)
	s_and_not1_b32 vcc_lo, exec_lo, s3
	s_cbranch_vccnz .LBB184_2339
; %bb.1868:
	s_waitcnt vmcnt(0)
	v_cmp_neq_f16_e32 vcc_lo, 0, v11
	v_cmp_neq_f16_e64 s0, 0, v12
	v_cvt_f32_f16_e32 v0, v12
	v_mov_b32_e32 v1, 0
	s_delay_alu instid0(VALU_DEP_3) | instskip(NEXT) | instid1(SALU_CYCLE_1)
	s_or_b32 s0, vcc_lo, s0
	s_and_saveexec_b32 s3, s0
	s_cbranch_execz .LBB184_1898
; %bb.1869:
	v_mov_b32_e32 v1, 0x7f800000
	s_mov_b32 s6, exec_lo
	v_cmpx_neq_f32_e64 0x7f800000, |v0|
	s_cbranch_execz .LBB184_1897
; %bb.1870:
	v_cvt_f32_f16_e32 v1, v11
	s_mov_b32 s0, exec_lo
	v_cmpx_o_f16_e32 v11, v11
	s_xor_b32 s7, exec_lo, s0
	s_cbranch_execz .LBB184_1894
; %bb.1871:
	s_mov_b32 s1, exec_lo
	v_cmpx_neq_f32_e64 0x7f800000, |v1|
	s_xor_b32 s11, exec_lo, s1
	s_cbranch_execz .LBB184_1887
; %bb.1872:
	v_max_f32_e64 v4, |v0|, |v0|
	v_max_f32_e64 v11, |v1|, |v1|
                                        ; implicit-def: $sgpr12
	s_delay_alu instid0(VALU_DEP_1) | instskip(NEXT) | instid1(VALU_DEP_1)
	v_max_f32_e32 v4, v11, v4
	v_cmp_nle_f32_e64 s0, 0x7ed413cb, v4
	s_delay_alu instid0(VALU_DEP_1) | instskip(NEXT) | instid1(SALU_CYCLE_1)
	s_and_saveexec_b32 s1, s0
	s_xor_b32 s1, exec_lo, s1
	s_cbranch_execz .LBB184_1876
; %bb.1873:
	v_cmp_ge_f32_e64 s12, 0x1000000, |v1|
	v_cmp_ge_f32_e64 s13, 0x1000000, |v0|
	s_delay_alu instid0(VALU_DEP_1)
	s_and_b32 s14, s12, s13
	s_mov_b32 s12, 0
	s_and_saveexec_b32 s13, s14
; %bb.1874:
	v_dual_mul_f32 v0, 4.0, v0 :: v_dual_mul_f32 v1, 4.0, v1
	s_mov_b32 s12, exec_lo
; %bb.1875:
	s_or_b32 exec_lo, exec_lo, s13
	s_delay_alu instid0(SALU_CYCLE_1)
	s_and_b32 s12, s12, exec_lo
.LBB184_1876:
	s_and_not1_saveexec_b32 s1, s1
; %bb.1877:
	v_dual_mul_f32 v1, 0x3e800000, v1 :: v_dual_mul_f32 v0, 0x3e800000, v0
	s_and_not1_b32 s12, s12, exec_lo
; %bb.1878:
	s_or_b32 exec_lo, exec_lo, s1
	s_delay_alu instid0(VALU_DEP_1) | instskip(NEXT) | instid1(VALU_DEP_2)
	v_max_f32_e64 v4, |v0|, |v0|
	v_max_f32_e64 v11, |v1|, |v1|
	s_delay_alu instid0(VALU_DEP_1) | instskip(NEXT) | instid1(VALU_DEP_1)
	v_max_f32_e32 v4, v11, v4
	v_cvt_f64_f32_e32 v[11:12], v4
	s_delay_alu instid0(VALU_DEP_1) | instskip(NEXT) | instid1(VALU_DEP_1)
	v_frexp_exp_i32_f64_e32 v11, v[11:12]
	v_sub_nc_u32_e32 v12, 0, v11
	s_delay_alu instid0(VALU_DEP_1) | instskip(SKIP_1) | instid1(VALU_DEP_2)
	v_ldexp_f32 v13, |v0|, v12
	v_ldexp_f32 v12, |v1|, v12
	v_mul_f32_e32 v13, v13, v13
	v_cmp_neq_f32_e64 s1, 0x7f800000, v4
                                        ; implicit-def: $vgpr4
	s_delay_alu instid0(VALU_DEP_2) | instskip(NEXT) | instid1(VALU_DEP_1)
	v_fmac_f32_e32 v13, v12, v12
	v_sqrt_f32_e32 v12, v13
	s_waitcnt_depctr 0xfff
	v_ldexp_f32 v11, v12, v11
	s_delay_alu instid0(VALU_DEP_1)
	v_cndmask_b32_e64 v12, 0x7f800000, v11, s1
                                        ; implicit-def: $vgpr11
	s_mov_b32 s1, exec_lo
	v_cmpx_le_f32_e32 0, v1
	s_xor_b32 s13, exec_lo, s1
	s_cbranch_execz .LBB184_1880
; %bb.1879:
	v_add_f32_e32 v1, v1, v12
	s_delay_alu instid0(VALU_DEP_1) | instskip(NEXT) | instid1(VALU_DEP_1)
	v_mul_f32_e32 v1, 0.5, v1
	v_mul_f32_e32 v4, 0x4f800000, v1
	v_cmp_gt_f32_e32 vcc_lo, 0xf800000, v1
	s_delay_alu instid0(VALU_DEP_2) | instskip(NEXT) | instid1(VALU_DEP_1)
	v_cndmask_b32_e32 v1, v1, v4, vcc_lo
	v_sqrt_f32_e32 v4, v1
	s_waitcnt_depctr 0xfff
	v_add_nc_u32_e32 v12, 1, v4
	v_add_nc_u32_e32 v11, -1, v4
	s_delay_alu instid0(VALU_DEP_2) | instskip(NEXT) | instid1(VALU_DEP_2)
	v_fma_f32 v14, -v12, v4, v1
	v_fma_f32 v13, -v11, v4, v1
	s_delay_alu instid0(VALU_DEP_1) | instskip(NEXT) | instid1(VALU_DEP_1)
	v_cmp_ge_f32_e64 s1, 0, v13
	v_cndmask_b32_e64 v4, v4, v11, s1
	s_delay_alu instid0(VALU_DEP_4) | instskip(NEXT) | instid1(VALU_DEP_1)
	v_cmp_lt_f32_e64 s1, 0, v14
	v_cndmask_b32_e64 v4, v4, v12, s1
	s_delay_alu instid0(VALU_DEP_1) | instskip(NEXT) | instid1(VALU_DEP_1)
	v_mul_f32_e32 v11, 0x37800000, v4
	v_cndmask_b32_e32 v4, v4, v11, vcc_lo
	v_cmp_class_f32_e64 vcc_lo, v1, 0x260
	s_delay_alu instid0(VALU_DEP_2) | instskip(NEXT) | instid1(VALU_DEP_1)
	v_cndmask_b32_e32 v4, v4, v1, vcc_lo
	v_add_f32_e32 v1, v4, v4
	s_delay_alu instid0(VALU_DEP_1) | instskip(NEXT) | instid1(VALU_DEP_1)
	v_div_scale_f32 v11, null, v1, v1, v0
	v_rcp_f32_e32 v12, v11
	s_waitcnt_depctr 0xfff
	v_fma_f32 v13, -v11, v12, 1.0
	s_delay_alu instid0(VALU_DEP_1) | instskip(SKIP_1) | instid1(VALU_DEP_1)
	v_fmac_f32_e32 v12, v13, v12
	v_div_scale_f32 v13, vcc_lo, v0, v1, v0
	v_mul_f32_e32 v14, v13, v12
	s_delay_alu instid0(VALU_DEP_1) | instskip(NEXT) | instid1(VALU_DEP_1)
	v_fma_f32 v15, -v11, v14, v13
	v_fmac_f32_e32 v14, v15, v12
	s_delay_alu instid0(VALU_DEP_1) | instskip(NEXT) | instid1(VALU_DEP_1)
	v_fma_f32 v11, -v11, v14, v13
	v_div_fmas_f32 v11, v11, v12, v14
                                        ; implicit-def: $vgpr12
	s_delay_alu instid0(VALU_DEP_1)
	v_div_fixup_f32 v11, v11, v1, v0
                                        ; implicit-def: $vgpr1
                                        ; implicit-def: $vgpr0
	s_and_not1_saveexec_b32 s13, s13
	s_cbranch_execz .LBB184_1882
	s_branch .LBB184_1881
.LBB184_1880:
	s_and_not1_saveexec_b32 s13, s13
	s_cbranch_execz .LBB184_1882
.LBB184_1881:
	v_sub_f32_e32 v1, v12, v1
	s_delay_alu instid0(VALU_DEP_1) | instskip(NEXT) | instid1(VALU_DEP_1)
	v_mul_f32_e32 v1, 0.5, v1
	v_mul_f32_e32 v4, 0x4f800000, v1
	v_cmp_gt_f32_e32 vcc_lo, 0xf800000, v1
	s_delay_alu instid0(VALU_DEP_2) | instskip(NEXT) | instid1(VALU_DEP_1)
	v_cndmask_b32_e32 v1, v1, v4, vcc_lo
	v_sqrt_f32_e32 v4, v1
	s_waitcnt_depctr 0xfff
	v_add_nc_u32_e32 v11, -1, v4
	v_add_nc_u32_e32 v12, 1, v4
	s_delay_alu instid0(VALU_DEP_2) | instskip(NEXT) | instid1(VALU_DEP_2)
	v_fma_f32 v13, -v11, v4, v1
	v_fma_f32 v14, -v12, v4, v1
	s_delay_alu instid0(VALU_DEP_2) | instskip(NEXT) | instid1(VALU_DEP_1)
	v_cmp_ge_f32_e64 s1, 0, v13
	v_cndmask_b32_e64 v4, v4, v11, s1
	s_delay_alu instid0(VALU_DEP_3) | instskip(NEXT) | instid1(VALU_DEP_1)
	v_cmp_lt_f32_e64 s1, 0, v14
	v_cndmask_b32_e64 v4, v4, v12, s1
	s_delay_alu instid0(VALU_DEP_1) | instskip(NEXT) | instid1(VALU_DEP_1)
	v_mul_f32_e32 v11, 0x37800000, v4
	v_cndmask_b32_e32 v4, v4, v11, vcc_lo
	v_cmp_class_f32_e64 vcc_lo, v1, 0x260
	s_delay_alu instid0(VALU_DEP_2) | instskip(NEXT) | instid1(VALU_DEP_1)
	v_dual_cndmask_b32 v1, v4, v1 :: v_dual_and_b32 v4, 0x7fffffff, v0
	v_add_f32_e32 v11, v1, v1
	s_delay_alu instid0(VALU_DEP_1) | instskip(SKIP_1) | instid1(VALU_DEP_2)
	v_div_scale_f32 v12, null, v11, v11, v4
	v_div_scale_f32 v4, vcc_lo, v4, v11, v4
	v_rcp_f32_e32 v13, v12
	s_waitcnt_depctr 0xfff
	v_fma_f32 v14, -v12, v13, 1.0
	s_delay_alu instid0(VALU_DEP_1) | instskip(NEXT) | instid1(VALU_DEP_1)
	v_fmac_f32_e32 v13, v14, v13
	v_mul_f32_e32 v14, v4, v13
	s_delay_alu instid0(VALU_DEP_1) | instskip(NEXT) | instid1(VALU_DEP_1)
	v_fma_f32 v15, -v12, v14, v4
	v_fmac_f32_e32 v14, v15, v13
	s_delay_alu instid0(VALU_DEP_1) | instskip(NEXT) | instid1(VALU_DEP_1)
	v_fma_f32 v4, -v12, v14, v4
	v_div_fmas_f32 v4, v4, v13, v14
	s_delay_alu instid0(VALU_DEP_1)
	v_div_fixup_f32 v4, v4, v11, |v0|
	v_bfi_b32 v11, 0x7fffffff, v1, v0
.LBB184_1882:
	s_or_b32 exec_lo, exec_lo, s13
                                        ; implicit-def: $vgpr0
                                        ; implicit-def: $vgpr1
	s_and_saveexec_b32 s1, s0
	s_delay_alu instid0(SALU_CYCLE_1)
	s_xor_b32 s0, exec_lo, s1
	s_cbranch_execz .LBB184_1884
; %bb.1883:
	v_mul_f32_e32 v0, 0.5, v4
	v_mul_f32_e32 v12, 0.5, v11
	s_delay_alu instid0(VALU_DEP_2) | instskip(NEXT) | instid1(VALU_DEP_2)
	v_cndmask_b32_e64 v1, v4, v0, s12
	v_cndmask_b32_e64 v0, v11, v12, s12
                                        ; implicit-def: $vgpr4
                                        ; implicit-def: $vgpr11
	s_and_not1_saveexec_b32 s0, s0
	s_cbranch_execnz .LBB184_1885
	s_branch .LBB184_1886
.LBB184_1884:
	s_and_not1_saveexec_b32 s0, s0
.LBB184_1885:
	v_dual_add_f32 v1, v4, v4 :: v_dual_add_f32 v0, v11, v11
.LBB184_1886:
	s_or_b32 exec_lo, exec_lo, s0
                                        ; implicit-def: $vgpr11
.LBB184_1887:
	s_and_not1_saveexec_b32 s0, s11
	s_cbranch_execz .LBB184_1893
; %bb.1888:
	s_delay_alu instid0(VALU_DEP_1)
	v_sub_f32_e32 v4, v0, v0
	s_mov_b32 s1, exec_lo
	v_cmpx_lt_i16_e32 -1, v11
	s_xor_b32 s1, exec_lo, s1
; %bb.1889:
	s_delay_alu instid0(VALU_DEP_2)
	v_bfi_b32 v0, 0x7fffffff, v4, v0
                                        ; implicit-def: $vgpr4
; %bb.1890:
	s_and_not1_saveexec_b32 s1, s1
; %bb.1891:
	v_and_b32_e32 v4, 0x7fffffff, v4
	s_delay_alu instid0(VALU_DEP_2) | instskip(NEXT) | instid1(VALU_DEP_2)
	v_bfi_b32 v0, 0x7fffffff, v1, v0
	v_mov_b32_e32 v1, v4
; %bb.1892:
	s_or_b32 exec_lo, exec_lo, s1
.LBB184_1893:
	s_delay_alu instid0(SALU_CYCLE_1)
	s_or_b32 exec_lo, exec_lo, s0
.LBB184_1894:
	s_and_not1_saveexec_b32 s0, s7
; %bb.1895:
	v_sub_f32_e32 v0, v0, v0
	s_delay_alu instid0(VALU_DEP_1) | instskip(NEXT) | instid1(VALU_DEP_1)
	v_div_scale_f32 v4, vcc_lo, v0, v0, v0
	v_rcp_f32_e32 v11, v4
	s_waitcnt_depctr 0xfff
	v_fma_f32 v12, -v4, v11, 1.0
	s_delay_alu instid0(VALU_DEP_1) | instskip(NEXT) | instid1(VALU_DEP_1)
	v_fmac_f32_e32 v11, v12, v11
	v_mul_f32_e32 v12, v4, v11
	s_delay_alu instid0(VALU_DEP_1) | instskip(NEXT) | instid1(VALU_DEP_1)
	v_fma_f32 v13, -v4, v12, v4
	v_fmac_f32_e32 v12, v13, v11
	s_delay_alu instid0(VALU_DEP_1) | instskip(NEXT) | instid1(VALU_DEP_1)
	v_fma_f32 v4, -v4, v12, v4
	v_div_fmas_f32 v4, v4, v11, v12
	s_delay_alu instid0(VALU_DEP_1)
	v_div_fixup_f32 v0, v4, v0, v0
; %bb.1896:
	s_or_b32 exec_lo, exec_lo, s0
.LBB184_1897:
	s_delay_alu instid0(SALU_CYCLE_1)
	s_or_b32 exec_lo, exec_lo, s6
.LBB184_1898:
	s_delay_alu instid0(SALU_CYCLE_1)
	s_or_b32 exec_lo, exec_lo, s3
	v_cmp_gt_f32_e32 vcc_lo, 0, v1
                                        ; implicit-def: $vgpr11
                                        ; implicit-def: $vgpr4
	s_mov_b32 s0, exec_lo
	v_cndmask_b32_e64 v12, v1, -v1, vcc_lo
	v_cmp_gt_f32_e32 vcc_lo, 0, v0
	v_cndmask_b32_e64 v13, v0, -v0, vcc_lo
	s_delay_alu instid0(VALU_DEP_1)
	v_cmpx_ge_f32_e32 v12, v13
	s_xor_b32 s1, exec_lo, s0
	s_cbranch_execz .LBB184_1904
; %bb.1899:
	v_cmp_neq_f32_e32 vcc_lo, 0, v1
	v_cmp_neq_f32_e64 s0, 0, v0
                                        ; implicit-def: $vgpr11
                                        ; implicit-def: $vgpr4
	s_delay_alu instid0(VALU_DEP_1) | instskip(NEXT) | instid1(SALU_CYCLE_1)
	s_or_b32 s0, vcc_lo, s0
	s_and_saveexec_b32 s3, s0
	s_delay_alu instid0(SALU_CYCLE_1)
	s_xor_b32 s0, exec_lo, s3
	s_cbranch_execz .LBB184_1901
; %bb.1900:
	v_div_scale_f32 v4, null, v1, v1, v0
	v_div_scale_f32 v13, vcc_lo, v0, v1, v0
	s_delay_alu instid0(VALU_DEP_2) | instskip(SKIP_2) | instid1(VALU_DEP_1)
	v_rcp_f32_e32 v11, v4
	s_waitcnt_depctr 0xfff
	v_fma_f32 v12, -v4, v11, 1.0
	v_fmac_f32_e32 v11, v12, v11
	s_delay_alu instid0(VALU_DEP_1) | instskip(NEXT) | instid1(VALU_DEP_1)
	v_mul_f32_e32 v12, v13, v11
	v_fma_f32 v14, -v4, v12, v13
	s_delay_alu instid0(VALU_DEP_1) | instskip(NEXT) | instid1(VALU_DEP_1)
	v_fmac_f32_e32 v12, v14, v11
	v_fma_f32 v4, -v4, v12, v13
	s_delay_alu instid0(VALU_DEP_1) | instskip(NEXT) | instid1(VALU_DEP_1)
	v_div_fmas_f32 v4, v4, v11, v12
	v_div_fixup_f32 v11, v4, v1, v0
	s_delay_alu instid0(VALU_DEP_1) | instskip(NEXT) | instid1(VALU_DEP_1)
	v_fmac_f32_e32 v1, v0, v11
	v_div_scale_f32 v0, null, v1, v1, 1.0
	v_div_scale_f32 v13, vcc_lo, 1.0, v1, 1.0
	s_delay_alu instid0(VALU_DEP_2) | instskip(SKIP_2) | instid1(VALU_DEP_1)
	v_rcp_f32_e32 v4, v0
	s_waitcnt_depctr 0xfff
	v_fma_f32 v12, -v0, v4, 1.0
	v_fmac_f32_e32 v4, v12, v4
	s_delay_alu instid0(VALU_DEP_1) | instskip(NEXT) | instid1(VALU_DEP_1)
	v_mul_f32_e32 v12, v13, v4
	v_fma_f32 v14, -v0, v12, v13
	s_delay_alu instid0(VALU_DEP_1) | instskip(NEXT) | instid1(VALU_DEP_1)
	v_fmac_f32_e32 v12, v14, v4
	v_fma_f32 v0, -v0, v12, v13
                                        ; implicit-def: $vgpr13
	s_delay_alu instid0(VALU_DEP_1) | instskip(SKIP_1) | instid1(VALU_DEP_2)
	v_div_fmas_f32 v0, v0, v4, v12
	v_fma_f32 v4, v11, 0, 1.0
                                        ; implicit-def: $vgpr12
	v_div_fixup_f32 v0, v0, v1, 1.0
	s_delay_alu instid0(VALU_DEP_1)
	v_mul_f32_e32 v4, v4, v0
	v_mul_f32_e64 v11, -v11, v0
.LBB184_1901:
	s_and_not1_saveexec_b32 s3, s0
	s_cbranch_execz .LBB184_1903
; %bb.1902:
	v_div_scale_f32 v0, null, v12, v12, 1.0
	v_div_scale_f32 v1, null, v13, v13, 0
	v_div_scale_f32 v16, vcc_lo, 1.0, v12, 1.0
	s_delay_alu instid0(VALU_DEP_3) | instskip(NEXT) | instid1(VALU_DEP_2)
	v_rcp_f32_e32 v4, v0
	v_rcp_f32_e32 v11, v1
	s_waitcnt_depctr 0xfff
	v_fma_f32 v14, -v0, v4, 1.0
	v_fma_f32 v15, -v1, v11, 1.0
	s_delay_alu instid0(VALU_DEP_1) | instskip(SKIP_1) | instid1(VALU_DEP_2)
	v_dual_fmac_f32 v4, v14, v4 :: v_dual_fmac_f32 v11, v15, v11
	v_div_scale_f32 v14, s0, 0, v13, 0
	v_mul_f32_e32 v15, v16, v4
	s_delay_alu instid0(VALU_DEP_2) | instskip(NEXT) | instid1(VALU_DEP_2)
	v_mul_f32_e32 v17, v14, v11
	v_fma_f32 v18, -v0, v15, v16
	s_delay_alu instid0(VALU_DEP_2) | instskip(NEXT) | instid1(VALU_DEP_2)
	v_fma_f32 v19, -v1, v17, v14
	v_fmac_f32_e32 v15, v18, v4
	s_delay_alu instid0(VALU_DEP_2) | instskip(NEXT) | instid1(VALU_DEP_2)
	v_fmac_f32_e32 v17, v19, v11
	v_fma_f32 v0, -v0, v15, v16
	s_delay_alu instid0(VALU_DEP_2) | instskip(NEXT) | instid1(VALU_DEP_2)
	v_fma_f32 v1, -v1, v17, v14
	v_div_fmas_f32 v0, v0, v4, v15
	s_mov_b32 vcc_lo, s0
	s_delay_alu instid0(VALU_DEP_2) | instskip(NEXT) | instid1(VALU_DEP_2)
	v_div_fmas_f32 v1, v1, v11, v17
	v_div_fixup_f32 v4, v0, v12, 1.0
	s_delay_alu instid0(VALU_DEP_2)
	v_div_fixup_f32 v11, v1, v13, 0
.LBB184_1903:
	s_or_b32 exec_lo, exec_lo, s3
                                        ; implicit-def: $vgpr0
                                        ; implicit-def: $vgpr1
.LBB184_1904:
	s_and_not1_saveexec_b32 s0, s1
	s_cbranch_execz .LBB184_1906
; %bb.1905:
	v_div_scale_f32 v4, null, v0, v0, v1
	v_div_scale_f32 v13, vcc_lo, v1, v0, v1
	s_delay_alu instid0(VALU_DEP_2) | instskip(SKIP_2) | instid1(VALU_DEP_1)
	v_rcp_f32_e32 v11, v4
	s_waitcnt_depctr 0xfff
	v_fma_f32 v12, -v4, v11, 1.0
	v_fmac_f32_e32 v11, v12, v11
	s_delay_alu instid0(VALU_DEP_1) | instskip(NEXT) | instid1(VALU_DEP_1)
	v_mul_f32_e32 v12, v13, v11
	v_fma_f32 v14, -v4, v12, v13
	s_delay_alu instid0(VALU_DEP_1) | instskip(NEXT) | instid1(VALU_DEP_1)
	v_fmac_f32_e32 v12, v14, v11
	v_fma_f32 v4, -v4, v12, v13
	s_delay_alu instid0(VALU_DEP_1) | instskip(NEXT) | instid1(VALU_DEP_1)
	v_div_fmas_f32 v4, v4, v11, v12
	v_div_fixup_f32 v4, v4, v0, v1
	s_delay_alu instid0(VALU_DEP_1) | instskip(NEXT) | instid1(VALU_DEP_1)
	v_fmac_f32_e32 v0, v1, v4
	v_div_scale_f32 v1, null, v0, v0, 1.0
	v_div_scale_f32 v13, vcc_lo, 1.0, v0, 1.0
	s_delay_alu instid0(VALU_DEP_2) | instskip(SKIP_2) | instid1(VALU_DEP_1)
	v_rcp_f32_e32 v11, v1
	s_waitcnt_depctr 0xfff
	v_fma_f32 v12, -v1, v11, 1.0
	v_fmac_f32_e32 v11, v12, v11
	s_delay_alu instid0(VALU_DEP_1) | instskip(NEXT) | instid1(VALU_DEP_1)
	v_mul_f32_e32 v12, v13, v11
	v_fma_f32 v14, -v1, v12, v13
	s_delay_alu instid0(VALU_DEP_1) | instskip(NEXT) | instid1(VALU_DEP_1)
	v_fmac_f32_e32 v12, v14, v11
	v_fma_f32 v1, -v1, v12, v13
	s_delay_alu instid0(VALU_DEP_1) | instskip(SKIP_1) | instid1(VALU_DEP_2)
	v_div_fmas_f32 v1, v1, v11, v12
	v_add_f32_e32 v11, 0, v4
	v_div_fixup_f32 v0, v1, v0, 1.0
	v_fma_f32 v1, v4, 0, -1.0
	s_delay_alu instid0(VALU_DEP_2) | instskip(NEXT) | instid1(VALU_DEP_2)
	v_mul_f32_e32 v4, v11, v0
	v_mul_f32_e32 v11, v1, v0
.LBB184_1906:
	s_or_b32 exec_lo, exec_lo, s0
	v_mul_lo_u32 v3, s2, v3
	v_cvt_f16_f32_e32 v12, v6
	v_cvt_f16_f32_e32 v6, v5
	v_and_b32_e32 v5, 0xff, v2
	s_delay_alu instid0(VALU_DEP_3) | instskip(NEXT) | instid1(VALU_DEP_3)
	v_lshlrev_b32_e32 v0, 16, v12
	v_and_b32_e32 v1, 0xffff, v6
	v_ashrrev_i32_e32 v13, 31, v3
	s_delay_alu instid0(VALU_DEP_4) | instskip(NEXT) | instid1(VALU_DEP_3)
	v_cmp_gt_i16_e32 vcc_lo, 11, v5
	v_or_b32_e32 v2, v0, v1
	v_add_co_u32 v0, s0, s4, v3
	s_delay_alu instid0(VALU_DEP_1)
	v_add_co_ci_u32_e64 v1, s0, s5, v13, s0
	s_cbranch_vccnz .LBB184_1984
; %bb.1907:
	v_cmp_lt_i16_e32 vcc_lo, 25, v5
	s_mov_b32 s6, -1
	s_mov_b32 s1, 0
	s_mov_b32 s3, 0
	;; [unrolled: 1-line block ×3, first 2 shown]
	s_cbranch_vccz .LBB184_1940
; %bb.1908:
	v_cmp_lt_i16_e32 vcc_lo, 28, v5
	s_cbranch_vccz .LBB184_1923
; %bb.1909:
	v_cmp_lt_i16_e32 vcc_lo, 43, v5
	;; [unrolled: 3-line block ×3, first 2 shown]
	s_cbranch_vccz .LBB184_1913
; %bb.1911:
	v_cmp_eq_u16_e32 vcc_lo, 46, v5
	s_mov_b32 s0, -1
	s_mov_b32 s6, 0
	s_cbranch_vccz .LBB184_1913
; %bb.1912:
	v_cvt_f32_f16_e32 v13, v12
	v_cvt_f32_f16_e32 v14, v6
	v_cmp_o_f16_e32 vcc_lo, v12, v12
	s_mov_b32 s0, 0
	s_mov_b32 s3, -1
	v_bfe_u32 v15, v13, 16, 1
	v_bfe_u32 v16, v14, 16, 1
	s_delay_alu instid0(VALU_DEP_2) | instskip(NEXT) | instid1(VALU_DEP_2)
	v_add3_u32 v13, v13, v15, 0x7fff
	v_add3_u32 v14, v14, v16, 0x7fff
	s_delay_alu instid0(VALU_DEP_2) | instskip(NEXT) | instid1(VALU_DEP_2)
	v_and_b32_e32 v13, 0xffff0000, v13
	v_lshrrev_b32_e32 v14, 16, v14
	s_delay_alu instid0(VALU_DEP_2) | instskip(SKIP_1) | instid1(VALU_DEP_3)
	v_cndmask_b32_e32 v13, 0x7fc00000, v13, vcc_lo
	v_cmp_o_f16_e32 vcc_lo, v6, v6
	v_cndmask_b32_e32 v14, 0x7fc0, v14, vcc_lo
	s_delay_alu instid0(VALU_DEP_1)
	v_or_b32_e32 v13, v13, v14
	global_store_b32 v[0:1], v13, off
.LBB184_1913:
	s_and_b32 vcc_lo, exec_lo, s6
	s_cbranch_vccz .LBB184_1918
; %bb.1914:
	v_cmp_eq_u16_e32 vcc_lo, 44, v5
	s_mov_b32 s0, -1
	s_cbranch_vccz .LBB184_1918
; %bb.1915:
	v_cvt_f32_f16_e32 v13, v6
	v_mov_b32_e32 v14, 0xff
	s_mov_b32 s3, exec_lo
	s_delay_alu instid0(VALU_DEP_2) | instskip(NEXT) | instid1(VALU_DEP_1)
	v_bfe_u32 v15, v13, 23, 8
	v_cmpx_ne_u32_e32 0xff, v15
; %bb.1916:
	v_and_b32_e32 v14, 0x400000, v13
	v_and_or_b32 v15, 0x3fffff, v13, v15
	v_lshrrev_b32_e32 v13, 23, v13
	s_delay_alu instid0(VALU_DEP_3) | instskip(NEXT) | instid1(VALU_DEP_3)
	v_cmp_ne_u32_e32 vcc_lo, 0, v14
	v_cmp_ne_u32_e64 s0, 0, v15
	s_delay_alu instid0(VALU_DEP_1) | instskip(NEXT) | instid1(SALU_CYCLE_1)
	s_and_b32 s0, vcc_lo, s0
	v_cndmask_b32_e64 v14, 0, 1, s0
	s_delay_alu instid0(VALU_DEP_1)
	v_add_nc_u32_e32 v14, v13, v14
; %bb.1917:
	s_or_b32 exec_lo, exec_lo, s3
	s_mov_b32 s0, 0
	s_mov_b32 s3, -1
	global_store_b8 v[0:1], v14, off
.LBB184_1918:
	s_mov_b32 s6, 0
.LBB184_1919:
	s_delay_alu instid0(SALU_CYCLE_1)
	s_and_b32 vcc_lo, exec_lo, s6
	s_cbranch_vccz .LBB184_1922
; %bb.1920:
	v_cmp_eq_u16_e32 vcc_lo, 29, v5
	s_mov_b32 s0, -1
	s_cbranch_vccz .LBB184_1922
; %bb.1921:
	v_cvt_f32_f16_e32 v13, v6
	v_mov_b32_e32 v14, 0
	s_mov_b32 s0, 0
	s_mov_b32 s3, -1
	s_delay_alu instid0(VALU_DEP_2)
	v_cvt_u32_f32_e32 v13, v13
	global_store_b64 v[0:1], v[13:14], off
.LBB184_1922:
	s_mov_b32 s6, 0
.LBB184_1923:
	s_delay_alu instid0(SALU_CYCLE_1)
	s_and_b32 vcc_lo, exec_lo, s6
	s_cbranch_vccz .LBB184_1939
; %bb.1924:
	v_cmp_gt_i16_e32 vcc_lo, 27, v5
	s_mov_b32 s3, -1
	s_cbranch_vccnz .LBB184_1930
; %bb.1925:
	v_cmp_lt_i16_e32 vcc_lo, 27, v5
	s_cbranch_vccz .LBB184_1927
; %bb.1926:
	v_cvt_f32_f16_e32 v13, v6
	s_mov_b32 s3, 0
	s_delay_alu instid0(VALU_DEP_1)
	v_cvt_u32_f32_e32 v13, v13
	global_store_b32 v[0:1], v13, off
.LBB184_1927:
	s_and_not1_b32 vcc_lo, exec_lo, s3
	s_cbranch_vccnz .LBB184_1929
; %bb.1928:
	v_cvt_u16_f16_e32 v13, v6
	global_store_b16 v[0:1], v13, off
.LBB184_1929:
	s_mov_b32 s3, 0
.LBB184_1930:
	s_delay_alu instid0(SALU_CYCLE_1)
	s_and_not1_b32 vcc_lo, exec_lo, s3
	s_cbranch_vccnz .LBB184_1938
; %bb.1931:
	v_cvt_f32_f16_e32 v13, v6
	v_mov_b32_e32 v15, 0x80
	s_mov_b32 s3, exec_lo
	s_delay_alu instid0(VALU_DEP_2) | instskip(NEXT) | instid1(VALU_DEP_1)
	v_and_b32_e32 v14, 0x7fffffff, v13
	v_cmpx_gt_u32_e32 0x43800000, v14
	s_cbranch_execz .LBB184_1937
; %bb.1932:
	v_cmp_lt_u32_e32 vcc_lo, 0x3bffffff, v14
	s_mov_b32 s6, 0
                                        ; implicit-def: $vgpr14
	s_and_saveexec_b32 s7, vcc_lo
	s_delay_alu instid0(SALU_CYCLE_1)
	s_xor_b32 s7, exec_lo, s7
	s_cbranch_execz .LBB184_2388
; %bb.1933:
	v_bfe_u32 v14, v13, 20, 1
	s_mov_b32 s6, exec_lo
	s_delay_alu instid0(VALU_DEP_1) | instskip(NEXT) | instid1(VALU_DEP_1)
	v_add3_u32 v14, v13, v14, 0x487ffff
	v_lshrrev_b32_e32 v14, 20, v14
	s_or_saveexec_b32 s7, s7
                                        ; implicit-def: $sgpr11
	s_delay_alu instid0(SALU_CYCLE_1)
	s_xor_b32 exec_lo, exec_lo, s7
	s_cbranch_execnz .LBB184_2389
.LBB184_1934:
	s_or_b32 exec_lo, exec_lo, s7
	v_mov_b32_e32 v15, s11
	s_and_saveexec_b32 s7, s6
.LBB184_1935:
	v_lshrrev_b32_e32 v13, 24, v13
	s_delay_alu instid0(VALU_DEP_1)
	v_and_or_b32 v15, 0x80, v13, v14
.LBB184_1936:
	s_or_b32 exec_lo, exec_lo, s7
.LBB184_1937:
	s_delay_alu instid0(SALU_CYCLE_1)
	s_or_b32 exec_lo, exec_lo, s3
	global_store_b8 v[0:1], v15, off
.LBB184_1938:
	s_mov_b32 s3, -1
.LBB184_1939:
	s_mov_b32 s6, 0
.LBB184_1940:
	s_delay_alu instid0(SALU_CYCLE_1)
	s_and_b32 vcc_lo, exec_lo, s6
	s_cbranch_vccz .LBB184_1980
; %bb.1941:
	v_cmp_lt_i16_e32 vcc_lo, 22, v5
	s_mov_b32 s1, -1
	s_cbranch_vccz .LBB184_1973
; %bb.1942:
	v_cmp_gt_i16_e32 vcc_lo, 24, v5
	s_cbranch_vccnz .LBB184_1962
; %bb.1943:
	v_cmp_lt_i16_e32 vcc_lo, 24, v5
	s_cbranch_vccz .LBB184_1951
; %bb.1944:
	v_cvt_f32_f16_e32 v13, v6
	v_mov_b32_e32 v15, 0x80
	s_mov_b32 s1, exec_lo
	s_delay_alu instid0(VALU_DEP_2) | instskip(NEXT) | instid1(VALU_DEP_1)
	v_and_b32_e32 v14, 0x7fffffff, v13
	v_cmpx_gt_u32_e32 0x47800000, v14
	s_cbranch_execz .LBB184_1950
; %bb.1945:
	v_cmp_lt_u32_e32 vcc_lo, 0x37ffffff, v14
	s_mov_b32 s3, 0
                                        ; implicit-def: $vgpr14
	s_and_saveexec_b32 s6, vcc_lo
	s_delay_alu instid0(SALU_CYCLE_1)
	s_xor_b32 s6, exec_lo, s6
	s_cbranch_execz .LBB184_2394
; %bb.1946:
	v_bfe_u32 v14, v13, 21, 1
	s_mov_b32 s3, exec_lo
	s_delay_alu instid0(VALU_DEP_1) | instskip(NEXT) | instid1(VALU_DEP_1)
	v_add3_u32 v14, v13, v14, 0x88fffff
	v_lshrrev_b32_e32 v14, 21, v14
	s_or_saveexec_b32 s6, s6
                                        ; implicit-def: $sgpr7
	s_delay_alu instid0(SALU_CYCLE_1)
	s_xor_b32 exec_lo, exec_lo, s6
	s_cbranch_execnz .LBB184_2395
.LBB184_1947:
	s_or_b32 exec_lo, exec_lo, s6
	v_mov_b32_e32 v15, s7
	s_and_saveexec_b32 s6, s3
.LBB184_1948:
	v_lshrrev_b32_e32 v13, 24, v13
	s_delay_alu instid0(VALU_DEP_1)
	v_and_or_b32 v15, 0x80, v13, v14
.LBB184_1949:
	s_or_b32 exec_lo, exec_lo, s6
.LBB184_1950:
	s_delay_alu instid0(SALU_CYCLE_1)
	s_or_b32 exec_lo, exec_lo, s1
	s_mov_b32 s1, 0
	global_store_b8 v[0:1], v15, off
.LBB184_1951:
	s_and_b32 vcc_lo, exec_lo, s1
	s_cbranch_vccz .LBB184_1961
; %bb.1952:
	v_cvt_f32_f16_e32 v13, v6
	s_mov_b32 s1, exec_lo
                                        ; implicit-def: $vgpr14
	s_delay_alu instid0(VALU_DEP_1) | instskip(NEXT) | instid1(VALU_DEP_1)
	v_and_b32_e32 v15, 0x7fffffff, v13
	v_cmpx_gt_u32_e32 0x43f00000, v15
	s_xor_b32 s1, exec_lo, s1
	s_cbranch_execz .LBB184_1958
; %bb.1953:
	s_mov_b32 s3, exec_lo
                                        ; implicit-def: $vgpr14
	v_cmpx_lt_u32_e32 0x3c7fffff, v15
	s_xor_b32 s3, exec_lo, s3
; %bb.1954:
	v_bfe_u32 v14, v13, 20, 1
	s_delay_alu instid0(VALU_DEP_1) | instskip(NEXT) | instid1(VALU_DEP_1)
	v_add3_u32 v14, v13, v14, 0x407ffff
	v_and_b32_e32 v15, 0xff00000, v14
	v_lshrrev_b32_e32 v14, 20, v14
	s_delay_alu instid0(VALU_DEP_2) | instskip(NEXT) | instid1(VALU_DEP_2)
	v_cmp_ne_u32_e32 vcc_lo, 0x7f00000, v15
	v_cndmask_b32_e32 v14, 0x7e, v14, vcc_lo
; %bb.1955:
	s_and_not1_saveexec_b32 s3, s3
; %bb.1956:
	v_add_f32_e64 v14, 0x46800000, |v13|
; %bb.1957:
	s_or_b32 exec_lo, exec_lo, s3
                                        ; implicit-def: $vgpr15
.LBB184_1958:
	s_and_not1_saveexec_b32 s1, s1
; %bb.1959:
	v_mov_b32_e32 v14, 0x7f
	v_cmp_lt_u32_e32 vcc_lo, 0x7f800000, v15
	s_delay_alu instid0(VALU_DEP_2)
	v_cndmask_b32_e32 v14, 0x7e, v14, vcc_lo
; %bb.1960:
	s_or_b32 exec_lo, exec_lo, s1
	v_lshrrev_b32_e32 v13, 24, v13
	s_delay_alu instid0(VALU_DEP_1)
	v_and_or_b32 v13, 0x80, v13, v14
	global_store_b8 v[0:1], v13, off
.LBB184_1961:
	s_mov_b32 s1, 0
.LBB184_1962:
	s_delay_alu instid0(SALU_CYCLE_1)
	s_and_not1_b32 vcc_lo, exec_lo, s1
	s_cbranch_vccnz .LBB184_1972
; %bb.1963:
	v_cvt_f32_f16_e32 v13, v6
	s_mov_b32 s1, exec_lo
                                        ; implicit-def: $vgpr14
	s_delay_alu instid0(VALU_DEP_1) | instskip(NEXT) | instid1(VALU_DEP_1)
	v_and_b32_e32 v15, 0x7fffffff, v13
	v_cmpx_gt_u32_e32 0x47800000, v15
	s_xor_b32 s1, exec_lo, s1
	s_cbranch_execz .LBB184_1969
; %bb.1964:
	s_mov_b32 s3, exec_lo
                                        ; implicit-def: $vgpr14
	v_cmpx_lt_u32_e32 0x387fffff, v15
	s_xor_b32 s3, exec_lo, s3
; %bb.1965:
	v_bfe_u32 v14, v13, 21, 1
	s_delay_alu instid0(VALU_DEP_1) | instskip(NEXT) | instid1(VALU_DEP_1)
	v_add3_u32 v14, v13, v14, 0x80fffff
	v_lshrrev_b32_e32 v14, 21, v14
; %bb.1966:
	s_and_not1_saveexec_b32 s3, s3
; %bb.1967:
	v_add_f32_e64 v14, 0x43000000, |v13|
; %bb.1968:
	s_or_b32 exec_lo, exec_lo, s3
                                        ; implicit-def: $vgpr15
.LBB184_1969:
	s_and_not1_saveexec_b32 s1, s1
; %bb.1970:
	v_mov_b32_e32 v14, 0x7f
	v_cmp_lt_u32_e32 vcc_lo, 0x7f800000, v15
	s_delay_alu instid0(VALU_DEP_2)
	v_cndmask_b32_e32 v14, 0x7c, v14, vcc_lo
; %bb.1971:
	s_or_b32 exec_lo, exec_lo, s1
	v_lshrrev_b32_e32 v13, 24, v13
	s_delay_alu instid0(VALU_DEP_1)
	v_and_or_b32 v13, 0x80, v13, v14
	global_store_b8 v[0:1], v13, off
.LBB184_1972:
	s_mov_b32 s1, 0
	s_mov_b32 s3, -1
.LBB184_1973:
	s_and_not1_b32 vcc_lo, exec_lo, s1
	s_mov_b32 s1, 0
	s_cbranch_vccnz .LBB184_1980
; %bb.1974:
	v_cmp_lt_i16_e32 vcc_lo, 14, v5
	s_mov_b32 s1, -1
	s_cbranch_vccz .LBB184_1978
; %bb.1975:
	v_cmp_eq_u16_e32 vcc_lo, 15, v5
	s_mov_b32 s0, -1
	s_cbranch_vccz .LBB184_1977
; %bb.1976:
	v_cvt_f32_f16_e32 v13, v6
	v_cmp_o_f16_e32 vcc_lo, v6, v6
	s_mov_b32 s0, 0
	s_mov_b32 s3, -1
	s_delay_alu instid0(VALU_DEP_2) | instskip(NEXT) | instid1(VALU_DEP_1)
	v_bfe_u32 v14, v13, 16, 1
	v_add3_u32 v13, v13, v14, 0x7fff
	s_delay_alu instid0(VALU_DEP_1) | instskip(NEXT) | instid1(VALU_DEP_1)
	v_lshrrev_b32_e32 v13, 16, v13
	v_cndmask_b32_e32 v13, 0x7fc0, v13, vcc_lo
	global_store_b16 v[0:1], v13, off
.LBB184_1977:
	s_mov_b32 s1, 0
.LBB184_1978:
	s_delay_alu instid0(SALU_CYCLE_1)
	s_and_b32 vcc_lo, exec_lo, s1
	s_mov_b32 s1, 0
	s_cbranch_vccz .LBB184_1980
; %bb.1979:
	v_cmp_ne_u16_e64 s0, 11, v5
	s_mov_b32 s1, -1
.LBB184_1980:
	s_delay_alu instid0(VALU_DEP_1)
	s_and_b32 vcc_lo, exec_lo, s0
	s_cbranch_vccnz .LBB184_2392
; %bb.1981:
	s_and_not1_b32 vcc_lo, exec_lo, s1
	s_cbranch_vccnz .LBB184_1983
.LBB184_1982:
	v_and_b32_e32 v13, 0x7fff7fff, v2
	s_mov_b32 s3, -1
	s_delay_alu instid0(VALU_DEP_1)
	v_cmp_ne_u32_e32 vcc_lo, 0, v13
	v_cndmask_b32_e64 v13, 0, 1, vcc_lo
	global_store_b8 v[0:1], v13, off
.LBB184_1983:
	s_mov_b32 s0, 0
	s_branch .LBB184_1985
.LBB184_1984:
	s_mov_b32 s0, -1
	s_mov_b32 s3, 0
.LBB184_1985:
	s_and_b32 vcc_lo, exec_lo, s0
	s_cbranch_vccz .LBB184_2024
; %bb.1986:
	v_cmp_gt_i16_e32 vcc_lo, 5, v5
	s_mov_b32 s0, -1
	s_cbranch_vccnz .LBB184_2007
; %bb.1987:
	v_cmp_gt_i16_e32 vcc_lo, 8, v5
	s_cbranch_vccnz .LBB184_1997
; %bb.1988:
	v_cmp_gt_i16_e32 vcc_lo, 9, v5
	s_cbranch_vccnz .LBB184_1994
; %bb.1989:
	v_cmp_lt_i16_e32 vcc_lo, 9, v5
	s_cbranch_vccz .LBB184_1991
; %bb.1990:
	v_cvt_f32_f16_e32 v13, v6
	v_cvt_f32_f16_e32 v15, v12
	s_mov_b32 s0, 0
	s_delay_alu instid0(VALU_DEP_2) | instskip(NEXT) | instid1(VALU_DEP_2)
	v_cvt_f64_f32_e32 v[13:14], v13
	v_cvt_f64_f32_e32 v[15:16], v15
	global_store_b128 v[0:1], v[13:16], off
.LBB184_1991:
	s_and_not1_b32 vcc_lo, exec_lo, s0
	s_cbranch_vccnz .LBB184_1993
; %bb.1992:
	v_cvt_f32_f16_e32 v13, v6
	v_cvt_f32_f16_e32 v14, v12
	global_store_b64 v[0:1], v[13:14], off
.LBB184_1993:
	s_mov_b32 s0, 0
.LBB184_1994:
	s_delay_alu instid0(SALU_CYCLE_1)
	s_and_not1_b32 vcc_lo, exec_lo, s0
	s_cbranch_vccnz .LBB184_1996
; %bb.1995:
	global_store_b32 v[0:1], v2, off
.LBB184_1996:
	s_mov_b32 s0, 0
.LBB184_1997:
	s_delay_alu instid0(SALU_CYCLE_1)
	s_and_not1_b32 vcc_lo, exec_lo, s0
	s_cbranch_vccnz .LBB184_2006
; %bb.1998:
	v_cmp_gt_i16_e32 vcc_lo, 6, v5
	s_mov_b32 s0, -1
	s_cbranch_vccnz .LBB184_2004
; %bb.1999:
	v_cmp_lt_i16_e32 vcc_lo, 6, v5
	s_cbranch_vccz .LBB184_2001
; %bb.2000:
	v_cvt_f32_f16_e32 v2, v6
	s_mov_b32 s0, 0
	s_delay_alu instid0(VALU_DEP_1)
	v_cvt_f64_f32_e32 v[12:13], v2
	global_store_b64 v[0:1], v[12:13], off
.LBB184_2001:
	s_and_not1_b32 vcc_lo, exec_lo, s0
	s_cbranch_vccnz .LBB184_2003
; %bb.2002:
	v_cvt_f32_f16_e32 v2, v6
	global_store_b32 v[0:1], v2, off
.LBB184_2003:
	s_mov_b32 s0, 0
.LBB184_2004:
	s_delay_alu instid0(SALU_CYCLE_1)
	s_and_not1_b32 vcc_lo, exec_lo, s0
	s_cbranch_vccnz .LBB184_2006
; %bb.2005:
	global_store_b16 v[0:1], v6, off
.LBB184_2006:
	s_mov_b32 s0, 0
.LBB184_2007:
	s_delay_alu instid0(SALU_CYCLE_1)
	s_and_not1_b32 vcc_lo, exec_lo, s0
	s_cbranch_vccnz .LBB184_2023
; %bb.2008:
	v_cmp_gt_i16_e32 vcc_lo, 2, v5
	s_mov_b32 s0, -1
	s_cbranch_vccnz .LBB184_2018
; %bb.2009:
	v_cmp_gt_i16_e32 vcc_lo, 3, v5
	s_cbranch_vccnz .LBB184_2015
; %bb.2010:
	v_cmp_lt_i16_e32 vcc_lo, 3, v5
	s_cbranch_vccz .LBB184_2012
; %bb.2011:
	v_cvt_f32_f16_e32 v2, v6
	s_mov_b32 s0, 0
	s_delay_alu instid0(VALU_DEP_1) | instskip(NEXT) | instid1(VALU_DEP_1)
	v_cvt_i32_f32_e32 v12, v2
	v_ashrrev_i32_e32 v13, 31, v12
	global_store_b64 v[0:1], v[12:13], off
.LBB184_2012:
	s_and_not1_b32 vcc_lo, exec_lo, s0
	s_cbranch_vccnz .LBB184_2014
; %bb.2013:
	v_cvt_f32_f16_e32 v2, v6
	s_delay_alu instid0(VALU_DEP_1)
	v_cvt_i32_f32_e32 v2, v2
	global_store_b32 v[0:1], v2, off
.LBB184_2014:
	s_mov_b32 s0, 0
.LBB184_2015:
	s_delay_alu instid0(SALU_CYCLE_1)
	s_and_not1_b32 vcc_lo, exec_lo, s0
	s_cbranch_vccnz .LBB184_2017
; %bb.2016:
	v_cvt_i16_f16_e32 v2, v6
	global_store_b16 v[0:1], v2, off
.LBB184_2017:
	s_mov_b32 s0, 0
.LBB184_2018:
	s_delay_alu instid0(SALU_CYCLE_1)
	s_and_not1_b32 vcc_lo, exec_lo, s0
	s_cbranch_vccnz .LBB184_2023
; %bb.2019:
	v_cmp_lt_i16_e32 vcc_lo, 0, v5
	s_mov_b32 s0, -1
	s_cbranch_vccz .LBB184_2021
; %bb.2020:
	v_cvt_i16_f16_e32 v2, v6
	s_mov_b32 s0, 0
	global_store_b8 v[0:1], v2, off
.LBB184_2021:
	s_and_not1_b32 vcc_lo, exec_lo, s0
	s_cbranch_vccnz .LBB184_2023
; %bb.2022:
	v_cvt_f32_f16_e32 v2, v6
	s_delay_alu instid0(VALU_DEP_1)
	v_cvt_i32_f32_e32 v2, v2
	global_store_b8 v[0:1], v2, off
.LBB184_2023:
	s_mov_b32 s3, -1
.LBB184_2024:
	s_delay_alu instid0(SALU_CYCLE_1)
	s_and_not1_b32 vcc_lo, exec_lo, s3
	s_cbranch_vccnz .LBB184_2339
; %bb.2025:
	v_cvt_f16_f32_e32 v2, v8
	v_cvt_f16_f32_e32 v7, v7
	s_lshl_b32 s1, s2, 7
	v_cmp_gt_i16_e32 vcc_lo, 11, v5
	v_add_nc_u32_e32 v6, s1, v3
	v_lshlrev_b32_e32 v0, 16, v2
	v_and_b32_e32 v1, 0xffff, v7
	s_and_b32 vcc_lo, exec_lo, vcc_lo
	s_delay_alu instid0(VALU_DEP_3) | instskip(NEXT) | instid1(VALU_DEP_2)
	v_ashrrev_i32_e32 v3, 31, v6
	v_or_b32_e32 v8, v0, v1
	v_add_co_u32 v0, s0, s4, v6
	s_delay_alu instid0(VALU_DEP_1)
	v_add_co_ci_u32_e64 v1, s0, s5, v3, s0
	s_cbranch_vccnz .LBB184_2103
; %bb.2026:
	v_cmp_lt_i16_e32 vcc_lo, 25, v5
	s_mov_b32 s6, -1
	s_mov_b32 s2, 0
	s_mov_b32 s3, 0
	;; [unrolled: 1-line block ×3, first 2 shown]
	s_cbranch_vccz .LBB184_2059
; %bb.2027:
	v_cmp_lt_i16_e32 vcc_lo, 28, v5
	s_cbranch_vccz .LBB184_2042
; %bb.2028:
	v_cmp_lt_i16_e32 vcc_lo, 43, v5
	;; [unrolled: 3-line block ×3, first 2 shown]
	s_cbranch_vccz .LBB184_2032
; %bb.2030:
	v_cmp_eq_u16_e32 vcc_lo, 46, v5
	s_mov_b32 s0, -1
	s_mov_b32 s6, 0
	s_cbranch_vccz .LBB184_2032
; %bb.2031:
	v_cvt_f32_f16_e32 v3, v2
	v_cvt_f32_f16_e32 v12, v7
	v_cmp_o_f16_e32 vcc_lo, v2, v2
	s_mov_b32 s0, 0
	s_mov_b32 s3, -1
	v_bfe_u32 v13, v3, 16, 1
	v_bfe_u32 v14, v12, 16, 1
	s_delay_alu instid0(VALU_DEP_2) | instskip(NEXT) | instid1(VALU_DEP_2)
	v_add3_u32 v3, v3, v13, 0x7fff
	v_add3_u32 v12, v12, v14, 0x7fff
	s_delay_alu instid0(VALU_DEP_2) | instskip(NEXT) | instid1(VALU_DEP_2)
	v_and_b32_e32 v3, 0xffff0000, v3
	v_lshrrev_b32_e32 v12, 16, v12
	s_delay_alu instid0(VALU_DEP_2) | instskip(SKIP_1) | instid1(VALU_DEP_3)
	v_cndmask_b32_e32 v3, 0x7fc00000, v3, vcc_lo
	v_cmp_o_f16_e32 vcc_lo, v7, v7
	v_cndmask_b32_e32 v12, 0x7fc0, v12, vcc_lo
	s_delay_alu instid0(VALU_DEP_1)
	v_or_b32_e32 v3, v3, v12
	global_store_b32 v[0:1], v3, off
.LBB184_2032:
	s_and_b32 vcc_lo, exec_lo, s6
	s_cbranch_vccz .LBB184_2037
; %bb.2033:
	v_cmp_eq_u16_e32 vcc_lo, 44, v5
	s_mov_b32 s0, -1
	s_cbranch_vccz .LBB184_2037
; %bb.2034:
	v_cvt_f32_f16_e32 v3, v7
	v_mov_b32_e32 v12, 0xff
	s_mov_b32 s3, exec_lo
	s_delay_alu instid0(VALU_DEP_2) | instskip(NEXT) | instid1(VALU_DEP_1)
	v_bfe_u32 v13, v3, 23, 8
	v_cmpx_ne_u32_e32 0xff, v13
; %bb.2035:
	v_and_b32_e32 v12, 0x400000, v3
	v_and_or_b32 v13, 0x3fffff, v3, v13
	v_lshrrev_b32_e32 v3, 23, v3
	s_delay_alu instid0(VALU_DEP_3) | instskip(NEXT) | instid1(VALU_DEP_3)
	v_cmp_ne_u32_e32 vcc_lo, 0, v12
	v_cmp_ne_u32_e64 s0, 0, v13
	s_delay_alu instid0(VALU_DEP_1) | instskip(NEXT) | instid1(SALU_CYCLE_1)
	s_and_b32 s0, vcc_lo, s0
	v_cndmask_b32_e64 v12, 0, 1, s0
	s_delay_alu instid0(VALU_DEP_1)
	v_add_nc_u32_e32 v12, v3, v12
; %bb.2036:
	s_or_b32 exec_lo, exec_lo, s3
	s_mov_b32 s0, 0
	s_mov_b32 s3, -1
	global_store_b8 v[0:1], v12, off
.LBB184_2037:
	s_mov_b32 s6, 0
.LBB184_2038:
	s_delay_alu instid0(SALU_CYCLE_1)
	s_and_b32 vcc_lo, exec_lo, s6
	s_cbranch_vccz .LBB184_2041
; %bb.2039:
	v_cmp_eq_u16_e32 vcc_lo, 29, v5
	s_mov_b32 s0, -1
	s_cbranch_vccz .LBB184_2041
; %bb.2040:
	v_cvt_f32_f16_e32 v3, v7
	v_mov_b32_e32 v13, 0
	s_mov_b32 s0, 0
	s_mov_b32 s3, -1
	s_delay_alu instid0(VALU_DEP_2)
	v_cvt_u32_f32_e32 v12, v3
	global_store_b64 v[0:1], v[12:13], off
.LBB184_2041:
	s_mov_b32 s6, 0
.LBB184_2042:
	s_delay_alu instid0(SALU_CYCLE_1)
	s_and_b32 vcc_lo, exec_lo, s6
	s_cbranch_vccz .LBB184_2058
; %bb.2043:
	v_cmp_gt_i16_e32 vcc_lo, 27, v5
	s_mov_b32 s3, -1
	s_cbranch_vccnz .LBB184_2049
; %bb.2044:
	v_cmp_lt_i16_e32 vcc_lo, 27, v5
	s_cbranch_vccz .LBB184_2046
; %bb.2045:
	v_cvt_f32_f16_e32 v3, v7
	s_mov_b32 s3, 0
	s_delay_alu instid0(VALU_DEP_1)
	v_cvt_u32_f32_e32 v3, v3
	global_store_b32 v[0:1], v3, off
.LBB184_2046:
	s_and_not1_b32 vcc_lo, exec_lo, s3
	s_cbranch_vccnz .LBB184_2048
; %bb.2047:
	v_cvt_u16_f16_e32 v3, v7
	global_store_b16 v[0:1], v3, off
.LBB184_2048:
	s_mov_b32 s3, 0
.LBB184_2049:
	s_delay_alu instid0(SALU_CYCLE_1)
	s_and_not1_b32 vcc_lo, exec_lo, s3
	s_cbranch_vccnz .LBB184_2057
; %bb.2050:
	v_cvt_f32_f16_e32 v3, v7
	v_mov_b32_e32 v13, 0x80
	s_mov_b32 s3, exec_lo
	s_delay_alu instid0(VALU_DEP_2) | instskip(NEXT) | instid1(VALU_DEP_1)
	v_and_b32_e32 v12, 0x7fffffff, v3
	v_cmpx_gt_u32_e32 0x43800000, v12
	s_cbranch_execz .LBB184_2056
; %bb.2051:
	v_cmp_lt_u32_e32 vcc_lo, 0x3bffffff, v12
	s_mov_b32 s6, 0
                                        ; implicit-def: $vgpr12
	s_and_saveexec_b32 s7, vcc_lo
	s_delay_alu instid0(SALU_CYCLE_1)
	s_xor_b32 s7, exec_lo, s7
	s_cbranch_execz .LBB184_2396
; %bb.2052:
	v_bfe_u32 v12, v3, 20, 1
	s_mov_b32 s6, exec_lo
	s_delay_alu instid0(VALU_DEP_1) | instskip(NEXT) | instid1(VALU_DEP_1)
	v_add3_u32 v12, v3, v12, 0x487ffff
	v_lshrrev_b32_e32 v12, 20, v12
	s_or_saveexec_b32 s7, s7
                                        ; implicit-def: $sgpr11
	s_delay_alu instid0(SALU_CYCLE_1)
	s_xor_b32 exec_lo, exec_lo, s7
	s_cbranch_execnz .LBB184_2397
.LBB184_2053:
	s_or_b32 exec_lo, exec_lo, s7
	v_mov_b32_e32 v13, s11
	s_and_saveexec_b32 s7, s6
.LBB184_2054:
	v_lshrrev_b32_e32 v3, 24, v3
	s_delay_alu instid0(VALU_DEP_1)
	v_and_or_b32 v13, 0x80, v3, v12
.LBB184_2055:
	s_or_b32 exec_lo, exec_lo, s7
.LBB184_2056:
	s_delay_alu instid0(SALU_CYCLE_1)
	s_or_b32 exec_lo, exec_lo, s3
	global_store_b8 v[0:1], v13, off
.LBB184_2057:
	s_mov_b32 s3, -1
.LBB184_2058:
	s_mov_b32 s6, 0
.LBB184_2059:
	s_delay_alu instid0(SALU_CYCLE_1)
	s_and_b32 vcc_lo, exec_lo, s6
	s_cbranch_vccz .LBB184_2099
; %bb.2060:
	v_cmp_lt_i16_e32 vcc_lo, 22, v5
	s_mov_b32 s2, -1
	s_cbranch_vccz .LBB184_2092
; %bb.2061:
	v_cmp_gt_i16_e32 vcc_lo, 24, v5
	s_cbranch_vccnz .LBB184_2081
; %bb.2062:
	v_cmp_lt_i16_e32 vcc_lo, 24, v5
	s_cbranch_vccz .LBB184_2070
; %bb.2063:
	v_cvt_f32_f16_e32 v3, v7
	v_mov_b32_e32 v13, 0x80
	s_mov_b32 s2, exec_lo
	s_delay_alu instid0(VALU_DEP_2) | instskip(NEXT) | instid1(VALU_DEP_1)
	v_and_b32_e32 v12, 0x7fffffff, v3
	v_cmpx_gt_u32_e32 0x47800000, v12
	s_cbranch_execz .LBB184_2069
; %bb.2064:
	v_cmp_lt_u32_e32 vcc_lo, 0x37ffffff, v12
	s_mov_b32 s3, 0
                                        ; implicit-def: $vgpr12
	s_and_saveexec_b32 s6, vcc_lo
	s_delay_alu instid0(SALU_CYCLE_1)
	s_xor_b32 s6, exec_lo, s6
	s_cbranch_execz .LBB184_2402
; %bb.2065:
	v_bfe_u32 v12, v3, 21, 1
	s_mov_b32 s3, exec_lo
	s_delay_alu instid0(VALU_DEP_1) | instskip(NEXT) | instid1(VALU_DEP_1)
	v_add3_u32 v12, v3, v12, 0x88fffff
	v_lshrrev_b32_e32 v12, 21, v12
	s_or_saveexec_b32 s6, s6
                                        ; implicit-def: $sgpr7
	s_delay_alu instid0(SALU_CYCLE_1)
	s_xor_b32 exec_lo, exec_lo, s6
	s_cbranch_execnz .LBB184_2403
.LBB184_2066:
	s_or_b32 exec_lo, exec_lo, s6
	v_mov_b32_e32 v13, s7
	s_and_saveexec_b32 s6, s3
.LBB184_2067:
	v_lshrrev_b32_e32 v3, 24, v3
	s_delay_alu instid0(VALU_DEP_1)
	v_and_or_b32 v13, 0x80, v3, v12
.LBB184_2068:
	s_or_b32 exec_lo, exec_lo, s6
.LBB184_2069:
	s_delay_alu instid0(SALU_CYCLE_1)
	s_or_b32 exec_lo, exec_lo, s2
	s_mov_b32 s2, 0
	global_store_b8 v[0:1], v13, off
.LBB184_2070:
	s_and_b32 vcc_lo, exec_lo, s2
	s_cbranch_vccz .LBB184_2080
; %bb.2071:
	v_cvt_f32_f16_e32 v3, v7
	s_mov_b32 s2, exec_lo
                                        ; implicit-def: $vgpr12
	s_delay_alu instid0(VALU_DEP_1) | instskip(NEXT) | instid1(VALU_DEP_1)
	v_and_b32_e32 v13, 0x7fffffff, v3
	v_cmpx_gt_u32_e32 0x43f00000, v13
	s_xor_b32 s2, exec_lo, s2
	s_cbranch_execz .LBB184_2077
; %bb.2072:
	s_mov_b32 s3, exec_lo
                                        ; implicit-def: $vgpr12
	v_cmpx_lt_u32_e32 0x3c7fffff, v13
	s_xor_b32 s3, exec_lo, s3
; %bb.2073:
	v_bfe_u32 v12, v3, 20, 1
	s_delay_alu instid0(VALU_DEP_1) | instskip(NEXT) | instid1(VALU_DEP_1)
	v_add3_u32 v12, v3, v12, 0x407ffff
	v_and_b32_e32 v13, 0xff00000, v12
	v_lshrrev_b32_e32 v12, 20, v12
	s_delay_alu instid0(VALU_DEP_2) | instskip(NEXT) | instid1(VALU_DEP_2)
	v_cmp_ne_u32_e32 vcc_lo, 0x7f00000, v13
	v_cndmask_b32_e32 v12, 0x7e, v12, vcc_lo
; %bb.2074:
	s_and_not1_saveexec_b32 s3, s3
; %bb.2075:
	v_add_f32_e64 v12, 0x46800000, |v3|
; %bb.2076:
	s_or_b32 exec_lo, exec_lo, s3
                                        ; implicit-def: $vgpr13
.LBB184_2077:
	s_and_not1_saveexec_b32 s2, s2
; %bb.2078:
	v_mov_b32_e32 v12, 0x7f
	v_cmp_lt_u32_e32 vcc_lo, 0x7f800000, v13
	s_delay_alu instid0(VALU_DEP_2)
	v_cndmask_b32_e32 v12, 0x7e, v12, vcc_lo
; %bb.2079:
	s_or_b32 exec_lo, exec_lo, s2
	v_lshrrev_b32_e32 v3, 24, v3
	s_delay_alu instid0(VALU_DEP_1)
	v_and_or_b32 v3, 0x80, v3, v12
	global_store_b8 v[0:1], v3, off
.LBB184_2080:
	s_mov_b32 s2, 0
.LBB184_2081:
	s_delay_alu instid0(SALU_CYCLE_1)
	s_and_not1_b32 vcc_lo, exec_lo, s2
	s_cbranch_vccnz .LBB184_2091
; %bb.2082:
	v_cvt_f32_f16_e32 v3, v7
	s_mov_b32 s2, exec_lo
                                        ; implicit-def: $vgpr12
	s_delay_alu instid0(VALU_DEP_1) | instskip(NEXT) | instid1(VALU_DEP_1)
	v_and_b32_e32 v13, 0x7fffffff, v3
	v_cmpx_gt_u32_e32 0x47800000, v13
	s_xor_b32 s2, exec_lo, s2
	s_cbranch_execz .LBB184_2088
; %bb.2083:
	s_mov_b32 s3, exec_lo
                                        ; implicit-def: $vgpr12
	v_cmpx_lt_u32_e32 0x387fffff, v13
	s_xor_b32 s3, exec_lo, s3
; %bb.2084:
	v_bfe_u32 v12, v3, 21, 1
	s_delay_alu instid0(VALU_DEP_1) | instskip(NEXT) | instid1(VALU_DEP_1)
	v_add3_u32 v12, v3, v12, 0x80fffff
	v_lshrrev_b32_e32 v12, 21, v12
; %bb.2085:
	s_and_not1_saveexec_b32 s3, s3
; %bb.2086:
	v_add_f32_e64 v12, 0x43000000, |v3|
; %bb.2087:
	s_or_b32 exec_lo, exec_lo, s3
                                        ; implicit-def: $vgpr13
.LBB184_2088:
	s_and_not1_saveexec_b32 s2, s2
; %bb.2089:
	v_mov_b32_e32 v12, 0x7f
	v_cmp_lt_u32_e32 vcc_lo, 0x7f800000, v13
	s_delay_alu instid0(VALU_DEP_2)
	v_cndmask_b32_e32 v12, 0x7c, v12, vcc_lo
; %bb.2090:
	s_or_b32 exec_lo, exec_lo, s2
	v_lshrrev_b32_e32 v3, 24, v3
	s_delay_alu instid0(VALU_DEP_1)
	v_and_or_b32 v3, 0x80, v3, v12
	global_store_b8 v[0:1], v3, off
.LBB184_2091:
	s_mov_b32 s2, 0
	s_mov_b32 s3, -1
.LBB184_2092:
	s_and_not1_b32 vcc_lo, exec_lo, s2
	s_mov_b32 s2, 0
	s_cbranch_vccnz .LBB184_2099
; %bb.2093:
	v_cmp_lt_i16_e32 vcc_lo, 14, v5
	s_mov_b32 s2, -1
	s_cbranch_vccz .LBB184_2097
; %bb.2094:
	v_cmp_eq_u16_e32 vcc_lo, 15, v5
	s_mov_b32 s0, -1
	s_cbranch_vccz .LBB184_2096
; %bb.2095:
	v_cvt_f32_f16_e32 v3, v7
	v_cmp_o_f16_e32 vcc_lo, v7, v7
	s_mov_b32 s0, 0
	s_mov_b32 s3, -1
	s_delay_alu instid0(VALU_DEP_2) | instskip(NEXT) | instid1(VALU_DEP_1)
	v_bfe_u32 v12, v3, 16, 1
	v_add3_u32 v3, v3, v12, 0x7fff
	s_delay_alu instid0(VALU_DEP_1) | instskip(NEXT) | instid1(VALU_DEP_1)
	v_lshrrev_b32_e32 v3, 16, v3
	v_cndmask_b32_e32 v3, 0x7fc0, v3, vcc_lo
	global_store_b16 v[0:1], v3, off
.LBB184_2096:
	s_mov_b32 s2, 0
.LBB184_2097:
	s_delay_alu instid0(SALU_CYCLE_1)
	s_and_b32 vcc_lo, exec_lo, s2
	s_mov_b32 s2, 0
	s_cbranch_vccz .LBB184_2099
; %bb.2098:
	v_cmp_ne_u16_e64 s0, 11, v5
	s_mov_b32 s2, -1
.LBB184_2099:
	s_delay_alu instid0(VALU_DEP_1)
	s_and_b32 vcc_lo, exec_lo, s0
	s_cbranch_vccnz .LBB184_2400
; %bb.2100:
	s_and_not1_b32 vcc_lo, exec_lo, s2
	s_cbranch_vccnz .LBB184_2102
.LBB184_2101:
	v_and_b32_e32 v3, 0x7fff7fff, v8
	s_mov_b32 s3, -1
	s_delay_alu instid0(VALU_DEP_1)
	v_cmp_ne_u32_e32 vcc_lo, 0, v3
	v_cndmask_b32_e64 v3, 0, 1, vcc_lo
	global_store_b8 v[0:1], v3, off
.LBB184_2102:
	s_mov_b32 s0, 0
	s_branch .LBB184_2104
.LBB184_2103:
	s_mov_b32 s0, -1
	s_mov_b32 s3, 0
.LBB184_2104:
	s_and_b32 vcc_lo, exec_lo, s0
	s_cbranch_vccz .LBB184_2143
; %bb.2105:
	v_cmp_gt_i16_e32 vcc_lo, 5, v5
	s_mov_b32 s0, -1
	s_cbranch_vccnz .LBB184_2126
; %bb.2106:
	v_cmp_gt_i16_e32 vcc_lo, 8, v5
	s_cbranch_vccnz .LBB184_2116
; %bb.2107:
	v_cmp_gt_i16_e32 vcc_lo, 9, v5
	s_cbranch_vccnz .LBB184_2113
; %bb.2108:
	v_cmp_lt_i16_e32 vcc_lo, 9, v5
	v_cvt_f32_f16_e32 v3, v2
	s_cbranch_vccz .LBB184_2110
; %bb.2109:
	v_cvt_f32_f16_e32 v2, v7
	s_delay_alu instid0(VALU_DEP_2) | instskip(SKIP_1) | instid1(VALU_DEP_2)
	v_cvt_f64_f32_e32 v[14:15], v3
	s_mov_b32 s0, 0
	v_cvt_f64_f32_e32 v[12:13], v2
	global_store_b128 v[0:1], v[12:15], off
.LBB184_2110:
	s_and_not1_b32 vcc_lo, exec_lo, s0
	s_cbranch_vccnz .LBB184_2112
; %bb.2111:
	v_cvt_f32_f16_e32 v2, v7
	global_store_b64 v[0:1], v[2:3], off
.LBB184_2112:
	s_mov_b32 s0, 0
.LBB184_2113:
	s_delay_alu instid0(SALU_CYCLE_1)
	s_and_not1_b32 vcc_lo, exec_lo, s0
	s_cbranch_vccnz .LBB184_2115
; %bb.2114:
	global_store_b32 v[0:1], v8, off
.LBB184_2115:
	s_mov_b32 s0, 0
.LBB184_2116:
	s_delay_alu instid0(SALU_CYCLE_1)
	s_and_not1_b32 vcc_lo, exec_lo, s0
	s_cbranch_vccnz .LBB184_2125
; %bb.2117:
	v_cmp_gt_i16_e32 vcc_lo, 6, v5
	s_mov_b32 s0, -1
	s_cbranch_vccnz .LBB184_2123
; %bb.2118:
	v_cmp_lt_i16_e32 vcc_lo, 6, v5
	s_cbranch_vccz .LBB184_2120
; %bb.2119:
	v_cvt_f32_f16_e32 v2, v7
	s_mov_b32 s0, 0
	s_delay_alu instid0(VALU_DEP_1)
	v_cvt_f64_f32_e32 v[2:3], v2
	global_store_b64 v[0:1], v[2:3], off
.LBB184_2120:
	s_and_not1_b32 vcc_lo, exec_lo, s0
	s_cbranch_vccnz .LBB184_2122
; %bb.2121:
	v_cvt_f32_f16_e32 v2, v7
	global_store_b32 v[0:1], v2, off
.LBB184_2122:
	s_mov_b32 s0, 0
.LBB184_2123:
	s_delay_alu instid0(SALU_CYCLE_1)
	s_and_not1_b32 vcc_lo, exec_lo, s0
	s_cbranch_vccnz .LBB184_2125
; %bb.2124:
	global_store_b16 v[0:1], v7, off
.LBB184_2125:
	s_mov_b32 s0, 0
.LBB184_2126:
	s_delay_alu instid0(SALU_CYCLE_1)
	s_and_not1_b32 vcc_lo, exec_lo, s0
	s_cbranch_vccnz .LBB184_2142
; %bb.2127:
	v_cmp_gt_i16_e32 vcc_lo, 2, v5
	s_mov_b32 s0, -1
	s_cbranch_vccnz .LBB184_2137
; %bb.2128:
	v_cmp_gt_i16_e32 vcc_lo, 3, v5
	s_cbranch_vccnz .LBB184_2134
; %bb.2129:
	v_cmp_lt_i16_e32 vcc_lo, 3, v5
	s_cbranch_vccz .LBB184_2131
; %bb.2130:
	v_cvt_f32_f16_e32 v2, v7
	s_mov_b32 s0, 0
	s_delay_alu instid0(VALU_DEP_1) | instskip(NEXT) | instid1(VALU_DEP_1)
	v_cvt_i32_f32_e32 v2, v2
	v_ashrrev_i32_e32 v3, 31, v2
	global_store_b64 v[0:1], v[2:3], off
.LBB184_2131:
	s_and_not1_b32 vcc_lo, exec_lo, s0
	s_cbranch_vccnz .LBB184_2133
; %bb.2132:
	v_cvt_f32_f16_e32 v2, v7
	s_delay_alu instid0(VALU_DEP_1)
	v_cvt_i32_f32_e32 v2, v2
	global_store_b32 v[0:1], v2, off
.LBB184_2133:
	s_mov_b32 s0, 0
.LBB184_2134:
	s_delay_alu instid0(SALU_CYCLE_1)
	s_and_not1_b32 vcc_lo, exec_lo, s0
	s_cbranch_vccnz .LBB184_2136
; %bb.2135:
	v_cvt_i16_f16_e32 v2, v7
	global_store_b16 v[0:1], v2, off
.LBB184_2136:
	s_mov_b32 s0, 0
.LBB184_2137:
	s_delay_alu instid0(SALU_CYCLE_1)
	s_and_not1_b32 vcc_lo, exec_lo, s0
	s_cbranch_vccnz .LBB184_2142
; %bb.2138:
	v_cmp_lt_i16_e32 vcc_lo, 0, v5
	s_mov_b32 s0, -1
	s_cbranch_vccz .LBB184_2140
; %bb.2139:
	v_cvt_i16_f16_e32 v2, v7
	s_mov_b32 s0, 0
	global_store_b8 v[0:1], v2, off
.LBB184_2140:
	s_and_not1_b32 vcc_lo, exec_lo, s0
	s_cbranch_vccnz .LBB184_2142
; %bb.2141:
	v_cvt_f32_f16_e32 v2, v7
	s_delay_alu instid0(VALU_DEP_1)
	v_cvt_i32_f32_e32 v2, v2
	global_store_b8 v[0:1], v2, off
.LBB184_2142:
	s_mov_b32 s3, -1
.LBB184_2143:
	s_delay_alu instid0(SALU_CYCLE_1)
	s_and_not1_b32 vcc_lo, exec_lo, s3
	s_cbranch_vccnz .LBB184_2339
; %bb.2144:
	v_cvt_f16_f32_e32 v2, v10
	v_cvt_f16_f32_e32 v7, v9
	v_add_nc_u32_e32 v6, s1, v6
	v_cmp_gt_i16_e32 vcc_lo, 11, v5
	s_delay_alu instid0(VALU_DEP_4) | instskip(NEXT) | instid1(VALU_DEP_4)
	v_lshlrev_b32_e32 v0, 16, v2
	v_and_b32_e32 v1, 0xffff, v7
	s_delay_alu instid0(VALU_DEP_4) | instskip(NEXT) | instid1(VALU_DEP_2)
	v_ashrrev_i32_e32 v3, 31, v6
	v_or_b32_e32 v8, v0, v1
	v_add_co_u32 v0, s0, s4, v6
	s_delay_alu instid0(VALU_DEP_1)
	v_add_co_ci_u32_e64 v1, s0, s5, v3, s0
	s_cbranch_vccnz .LBB184_2222
; %bb.2145:
	v_cmp_lt_i16_e32 vcc_lo, 25, v5
	s_mov_b32 s6, -1
	s_mov_b32 s2, 0
	s_mov_b32 s3, 0
	;; [unrolled: 1-line block ×3, first 2 shown]
	s_cbranch_vccz .LBB184_2178
; %bb.2146:
	v_cmp_lt_i16_e32 vcc_lo, 28, v5
	s_cbranch_vccz .LBB184_2161
; %bb.2147:
	v_cmp_lt_i16_e32 vcc_lo, 43, v5
	;; [unrolled: 3-line block ×3, first 2 shown]
	s_cbranch_vccz .LBB184_2151
; %bb.2149:
	v_cmp_eq_u16_e32 vcc_lo, 46, v5
	s_mov_b32 s0, -1
	s_mov_b32 s6, 0
	s_cbranch_vccz .LBB184_2151
; %bb.2150:
	v_cvt_f32_f16_e32 v3, v2
	v_cvt_f32_f16_e32 v9, v7
	v_cmp_o_f16_e32 vcc_lo, v2, v2
	s_mov_b32 s0, 0
	s_mov_b32 s3, -1
	v_bfe_u32 v10, v3, 16, 1
	v_bfe_u32 v12, v9, 16, 1
	s_delay_alu instid0(VALU_DEP_2) | instskip(NEXT) | instid1(VALU_DEP_2)
	v_add3_u32 v3, v3, v10, 0x7fff
	v_add3_u32 v9, v9, v12, 0x7fff
	s_delay_alu instid0(VALU_DEP_2) | instskip(NEXT) | instid1(VALU_DEP_2)
	v_and_b32_e32 v3, 0xffff0000, v3
	v_lshrrev_b32_e32 v9, 16, v9
	s_delay_alu instid0(VALU_DEP_2) | instskip(SKIP_1) | instid1(VALU_DEP_3)
	v_cndmask_b32_e32 v3, 0x7fc00000, v3, vcc_lo
	v_cmp_o_f16_e32 vcc_lo, v7, v7
	v_cndmask_b32_e32 v9, 0x7fc0, v9, vcc_lo
	s_delay_alu instid0(VALU_DEP_1)
	v_or_b32_e32 v3, v3, v9
	global_store_b32 v[0:1], v3, off
.LBB184_2151:
	s_and_b32 vcc_lo, exec_lo, s6
	s_cbranch_vccz .LBB184_2156
; %bb.2152:
	v_cmp_eq_u16_e32 vcc_lo, 44, v5
	s_mov_b32 s0, -1
	s_cbranch_vccz .LBB184_2156
; %bb.2153:
	v_cvt_f32_f16_e32 v3, v7
	v_mov_b32_e32 v9, 0xff
	s_mov_b32 s3, exec_lo
	s_delay_alu instid0(VALU_DEP_2) | instskip(NEXT) | instid1(VALU_DEP_1)
	v_bfe_u32 v10, v3, 23, 8
	v_cmpx_ne_u32_e32 0xff, v10
; %bb.2154:
	v_and_b32_e32 v9, 0x400000, v3
	v_and_or_b32 v10, 0x3fffff, v3, v10
	v_lshrrev_b32_e32 v3, 23, v3
	s_delay_alu instid0(VALU_DEP_3) | instskip(NEXT) | instid1(VALU_DEP_3)
	v_cmp_ne_u32_e32 vcc_lo, 0, v9
	v_cmp_ne_u32_e64 s0, 0, v10
	s_delay_alu instid0(VALU_DEP_1) | instskip(NEXT) | instid1(SALU_CYCLE_1)
	s_and_b32 s0, vcc_lo, s0
	v_cndmask_b32_e64 v9, 0, 1, s0
	s_delay_alu instid0(VALU_DEP_1)
	v_add_nc_u32_e32 v9, v3, v9
; %bb.2155:
	s_or_b32 exec_lo, exec_lo, s3
	s_mov_b32 s0, 0
	s_mov_b32 s3, -1
	global_store_b8 v[0:1], v9, off
.LBB184_2156:
	s_mov_b32 s6, 0
.LBB184_2157:
	s_delay_alu instid0(SALU_CYCLE_1)
	s_and_b32 vcc_lo, exec_lo, s6
	s_cbranch_vccz .LBB184_2160
; %bb.2158:
	v_cmp_eq_u16_e32 vcc_lo, 29, v5
	s_mov_b32 s0, -1
	s_cbranch_vccz .LBB184_2160
; %bb.2159:
	v_cvt_f32_f16_e32 v3, v7
	v_mov_b32_e32 v10, 0
	s_mov_b32 s0, 0
	s_mov_b32 s3, -1
	s_delay_alu instid0(VALU_DEP_2)
	v_cvt_u32_f32_e32 v9, v3
	global_store_b64 v[0:1], v[9:10], off
.LBB184_2160:
	s_mov_b32 s6, 0
.LBB184_2161:
	s_delay_alu instid0(SALU_CYCLE_1)
	s_and_b32 vcc_lo, exec_lo, s6
	s_cbranch_vccz .LBB184_2177
; %bb.2162:
	v_cmp_gt_i16_e32 vcc_lo, 27, v5
	s_mov_b32 s3, -1
	s_cbranch_vccnz .LBB184_2168
; %bb.2163:
	v_cmp_lt_i16_e32 vcc_lo, 27, v5
	s_cbranch_vccz .LBB184_2165
; %bb.2164:
	v_cvt_f32_f16_e32 v3, v7
	s_mov_b32 s3, 0
	s_delay_alu instid0(VALU_DEP_1)
	v_cvt_u32_f32_e32 v3, v3
	global_store_b32 v[0:1], v3, off
.LBB184_2165:
	s_and_not1_b32 vcc_lo, exec_lo, s3
	s_cbranch_vccnz .LBB184_2167
; %bb.2166:
	v_cvt_u16_f16_e32 v3, v7
	global_store_b16 v[0:1], v3, off
.LBB184_2167:
	s_mov_b32 s3, 0
.LBB184_2168:
	s_delay_alu instid0(SALU_CYCLE_1)
	s_and_not1_b32 vcc_lo, exec_lo, s3
	s_cbranch_vccnz .LBB184_2176
; %bb.2169:
	v_cvt_f32_f16_e32 v3, v7
	v_mov_b32_e32 v10, 0x80
	s_mov_b32 s3, exec_lo
	s_delay_alu instid0(VALU_DEP_2) | instskip(NEXT) | instid1(VALU_DEP_1)
	v_and_b32_e32 v9, 0x7fffffff, v3
	v_cmpx_gt_u32_e32 0x43800000, v9
	s_cbranch_execz .LBB184_2175
; %bb.2170:
	v_cmp_lt_u32_e32 vcc_lo, 0x3bffffff, v9
	s_mov_b32 s6, 0
                                        ; implicit-def: $vgpr9
	s_and_saveexec_b32 s7, vcc_lo
	s_delay_alu instid0(SALU_CYCLE_1)
	s_xor_b32 s7, exec_lo, s7
	s_cbranch_execz .LBB184_2404
; %bb.2171:
	v_bfe_u32 v9, v3, 20, 1
	s_mov_b32 s6, exec_lo
	s_delay_alu instid0(VALU_DEP_1) | instskip(NEXT) | instid1(VALU_DEP_1)
	v_add3_u32 v9, v3, v9, 0x487ffff
	v_lshrrev_b32_e32 v9, 20, v9
	s_or_saveexec_b32 s7, s7
                                        ; implicit-def: $sgpr11
	s_delay_alu instid0(SALU_CYCLE_1)
	s_xor_b32 exec_lo, exec_lo, s7
	s_cbranch_execnz .LBB184_2405
.LBB184_2172:
	s_or_b32 exec_lo, exec_lo, s7
	v_mov_b32_e32 v10, s11
	s_and_saveexec_b32 s7, s6
.LBB184_2173:
	v_lshrrev_b32_e32 v3, 24, v3
	s_delay_alu instid0(VALU_DEP_1)
	v_and_or_b32 v10, 0x80, v3, v9
.LBB184_2174:
	s_or_b32 exec_lo, exec_lo, s7
.LBB184_2175:
	s_delay_alu instid0(SALU_CYCLE_1)
	s_or_b32 exec_lo, exec_lo, s3
	global_store_b8 v[0:1], v10, off
.LBB184_2176:
	s_mov_b32 s3, -1
.LBB184_2177:
	s_mov_b32 s6, 0
.LBB184_2178:
	s_delay_alu instid0(SALU_CYCLE_1)
	s_and_b32 vcc_lo, exec_lo, s6
	s_cbranch_vccz .LBB184_2218
; %bb.2179:
	v_cmp_lt_i16_e32 vcc_lo, 22, v5
	s_mov_b32 s2, -1
	s_cbranch_vccz .LBB184_2211
; %bb.2180:
	v_cmp_gt_i16_e32 vcc_lo, 24, v5
	s_cbranch_vccnz .LBB184_2200
; %bb.2181:
	v_cmp_lt_i16_e32 vcc_lo, 24, v5
	s_cbranch_vccz .LBB184_2189
; %bb.2182:
	v_cvt_f32_f16_e32 v3, v7
	v_mov_b32_e32 v10, 0x80
	s_mov_b32 s2, exec_lo
	s_delay_alu instid0(VALU_DEP_2) | instskip(NEXT) | instid1(VALU_DEP_1)
	v_and_b32_e32 v9, 0x7fffffff, v3
	v_cmpx_gt_u32_e32 0x47800000, v9
	s_cbranch_execz .LBB184_2188
; %bb.2183:
	v_cmp_lt_u32_e32 vcc_lo, 0x37ffffff, v9
	s_mov_b32 s3, 0
                                        ; implicit-def: $vgpr9
	s_and_saveexec_b32 s6, vcc_lo
	s_delay_alu instid0(SALU_CYCLE_1)
	s_xor_b32 s6, exec_lo, s6
	s_cbranch_execz .LBB184_2410
; %bb.2184:
	v_bfe_u32 v9, v3, 21, 1
	s_mov_b32 s3, exec_lo
	s_delay_alu instid0(VALU_DEP_1) | instskip(NEXT) | instid1(VALU_DEP_1)
	v_add3_u32 v9, v3, v9, 0x88fffff
	v_lshrrev_b32_e32 v9, 21, v9
	s_or_saveexec_b32 s6, s6
                                        ; implicit-def: $sgpr7
	s_delay_alu instid0(SALU_CYCLE_1)
	s_xor_b32 exec_lo, exec_lo, s6
	s_cbranch_execnz .LBB184_2411
.LBB184_2185:
	s_or_b32 exec_lo, exec_lo, s6
	v_mov_b32_e32 v10, s7
	s_and_saveexec_b32 s6, s3
.LBB184_2186:
	v_lshrrev_b32_e32 v3, 24, v3
	s_delay_alu instid0(VALU_DEP_1)
	v_and_or_b32 v10, 0x80, v3, v9
.LBB184_2187:
	s_or_b32 exec_lo, exec_lo, s6
.LBB184_2188:
	s_delay_alu instid0(SALU_CYCLE_1)
	s_or_b32 exec_lo, exec_lo, s2
	s_mov_b32 s2, 0
	global_store_b8 v[0:1], v10, off
.LBB184_2189:
	s_and_b32 vcc_lo, exec_lo, s2
	s_cbranch_vccz .LBB184_2199
; %bb.2190:
	v_cvt_f32_f16_e32 v3, v7
	s_mov_b32 s2, exec_lo
                                        ; implicit-def: $vgpr9
	s_delay_alu instid0(VALU_DEP_1) | instskip(NEXT) | instid1(VALU_DEP_1)
	v_and_b32_e32 v10, 0x7fffffff, v3
	v_cmpx_gt_u32_e32 0x43f00000, v10
	s_xor_b32 s2, exec_lo, s2
	s_cbranch_execz .LBB184_2196
; %bb.2191:
	s_mov_b32 s3, exec_lo
                                        ; implicit-def: $vgpr9
	v_cmpx_lt_u32_e32 0x3c7fffff, v10
	s_xor_b32 s3, exec_lo, s3
; %bb.2192:
	v_bfe_u32 v9, v3, 20, 1
	s_delay_alu instid0(VALU_DEP_1) | instskip(NEXT) | instid1(VALU_DEP_1)
	v_add3_u32 v9, v3, v9, 0x407ffff
	v_and_b32_e32 v10, 0xff00000, v9
	v_lshrrev_b32_e32 v9, 20, v9
	s_delay_alu instid0(VALU_DEP_2) | instskip(NEXT) | instid1(VALU_DEP_2)
	v_cmp_ne_u32_e32 vcc_lo, 0x7f00000, v10
	v_cndmask_b32_e32 v9, 0x7e, v9, vcc_lo
; %bb.2193:
	s_and_not1_saveexec_b32 s3, s3
; %bb.2194:
	v_add_f32_e64 v9, 0x46800000, |v3|
; %bb.2195:
	s_or_b32 exec_lo, exec_lo, s3
                                        ; implicit-def: $vgpr10
.LBB184_2196:
	s_and_not1_saveexec_b32 s2, s2
; %bb.2197:
	v_mov_b32_e32 v9, 0x7f
	v_cmp_lt_u32_e32 vcc_lo, 0x7f800000, v10
	s_delay_alu instid0(VALU_DEP_2)
	v_cndmask_b32_e32 v9, 0x7e, v9, vcc_lo
; %bb.2198:
	s_or_b32 exec_lo, exec_lo, s2
	v_lshrrev_b32_e32 v3, 24, v3
	s_delay_alu instid0(VALU_DEP_1)
	v_and_or_b32 v3, 0x80, v3, v9
	global_store_b8 v[0:1], v3, off
.LBB184_2199:
	s_mov_b32 s2, 0
.LBB184_2200:
	s_delay_alu instid0(SALU_CYCLE_1)
	s_and_not1_b32 vcc_lo, exec_lo, s2
	s_cbranch_vccnz .LBB184_2210
; %bb.2201:
	v_cvt_f32_f16_e32 v3, v7
	s_mov_b32 s2, exec_lo
                                        ; implicit-def: $vgpr9
	s_delay_alu instid0(VALU_DEP_1) | instskip(NEXT) | instid1(VALU_DEP_1)
	v_and_b32_e32 v10, 0x7fffffff, v3
	v_cmpx_gt_u32_e32 0x47800000, v10
	s_xor_b32 s2, exec_lo, s2
	s_cbranch_execz .LBB184_2207
; %bb.2202:
	s_mov_b32 s3, exec_lo
                                        ; implicit-def: $vgpr9
	v_cmpx_lt_u32_e32 0x387fffff, v10
	s_xor_b32 s3, exec_lo, s3
; %bb.2203:
	v_bfe_u32 v9, v3, 21, 1
	s_delay_alu instid0(VALU_DEP_1) | instskip(NEXT) | instid1(VALU_DEP_1)
	v_add3_u32 v9, v3, v9, 0x80fffff
	v_lshrrev_b32_e32 v9, 21, v9
; %bb.2204:
	s_and_not1_saveexec_b32 s3, s3
; %bb.2205:
	v_add_f32_e64 v9, 0x43000000, |v3|
; %bb.2206:
	s_or_b32 exec_lo, exec_lo, s3
                                        ; implicit-def: $vgpr10
.LBB184_2207:
	s_and_not1_saveexec_b32 s2, s2
; %bb.2208:
	v_mov_b32_e32 v9, 0x7f
	v_cmp_lt_u32_e32 vcc_lo, 0x7f800000, v10
	s_delay_alu instid0(VALU_DEP_2)
	v_cndmask_b32_e32 v9, 0x7c, v9, vcc_lo
; %bb.2209:
	s_or_b32 exec_lo, exec_lo, s2
	v_lshrrev_b32_e32 v3, 24, v3
	s_delay_alu instid0(VALU_DEP_1)
	v_and_or_b32 v3, 0x80, v3, v9
	global_store_b8 v[0:1], v3, off
.LBB184_2210:
	s_mov_b32 s2, 0
	s_mov_b32 s3, -1
.LBB184_2211:
	s_and_not1_b32 vcc_lo, exec_lo, s2
	s_mov_b32 s2, 0
	s_cbranch_vccnz .LBB184_2218
; %bb.2212:
	v_cmp_lt_i16_e32 vcc_lo, 14, v5
	s_mov_b32 s2, -1
	s_cbranch_vccz .LBB184_2216
; %bb.2213:
	v_cmp_eq_u16_e32 vcc_lo, 15, v5
	s_mov_b32 s0, -1
	s_cbranch_vccz .LBB184_2215
; %bb.2214:
	v_cvt_f32_f16_e32 v3, v7
	v_cmp_o_f16_e32 vcc_lo, v7, v7
	s_mov_b32 s0, 0
	s_mov_b32 s3, -1
	s_delay_alu instid0(VALU_DEP_2) | instskip(NEXT) | instid1(VALU_DEP_1)
	v_bfe_u32 v9, v3, 16, 1
	v_add3_u32 v3, v3, v9, 0x7fff
	s_delay_alu instid0(VALU_DEP_1) | instskip(NEXT) | instid1(VALU_DEP_1)
	v_lshrrev_b32_e32 v3, 16, v3
	v_cndmask_b32_e32 v3, 0x7fc0, v3, vcc_lo
	global_store_b16 v[0:1], v3, off
.LBB184_2215:
	s_mov_b32 s2, 0
.LBB184_2216:
	s_delay_alu instid0(SALU_CYCLE_1)
	s_and_b32 vcc_lo, exec_lo, s2
	s_mov_b32 s2, 0
	s_cbranch_vccz .LBB184_2218
; %bb.2217:
	v_cmp_ne_u16_e64 s0, 11, v5
	s_mov_b32 s2, -1
.LBB184_2218:
	s_delay_alu instid0(VALU_DEP_1)
	s_and_b32 vcc_lo, exec_lo, s0
	s_cbranch_vccnz .LBB184_2408
; %bb.2219:
	s_and_not1_b32 vcc_lo, exec_lo, s2
	s_cbranch_vccnz .LBB184_2221
.LBB184_2220:
	v_and_b32_e32 v3, 0x7fff7fff, v8
	s_mov_b32 s3, -1
	s_delay_alu instid0(VALU_DEP_1)
	v_cmp_ne_u32_e32 vcc_lo, 0, v3
	v_cndmask_b32_e64 v3, 0, 1, vcc_lo
	global_store_b8 v[0:1], v3, off
.LBB184_2221:
	s_mov_b32 s0, 0
	s_branch .LBB184_2223
.LBB184_2222:
	s_mov_b32 s0, -1
	s_mov_b32 s3, 0
.LBB184_2223:
	s_and_b32 vcc_lo, exec_lo, s0
	s_cbranch_vccz .LBB184_2262
; %bb.2224:
	v_cmp_gt_i16_e32 vcc_lo, 5, v5
	s_mov_b32 s0, -1
	s_cbranch_vccnz .LBB184_2245
; %bb.2225:
	v_cmp_gt_i16_e32 vcc_lo, 8, v5
	s_cbranch_vccnz .LBB184_2235
; %bb.2226:
	v_cmp_gt_i16_e32 vcc_lo, 9, v5
	s_cbranch_vccnz .LBB184_2232
; %bb.2227:
	v_cmp_lt_i16_e32 vcc_lo, 9, v5
	v_cvt_f32_f16_e32 v3, v2
	s_cbranch_vccz .LBB184_2229
; %bb.2228:
	v_cvt_f32_f16_e32 v2, v7
	s_delay_alu instid0(VALU_DEP_2) | instskip(SKIP_1) | instid1(VALU_DEP_2)
	v_cvt_f64_f32_e32 v[14:15], v3
	s_mov_b32 s0, 0
	v_cvt_f64_f32_e32 v[12:13], v2
	global_store_b128 v[0:1], v[12:15], off
.LBB184_2229:
	s_and_not1_b32 vcc_lo, exec_lo, s0
	s_cbranch_vccnz .LBB184_2231
; %bb.2230:
	v_cvt_f32_f16_e32 v2, v7
	global_store_b64 v[0:1], v[2:3], off
.LBB184_2231:
	s_mov_b32 s0, 0
.LBB184_2232:
	s_delay_alu instid0(SALU_CYCLE_1)
	s_and_not1_b32 vcc_lo, exec_lo, s0
	s_cbranch_vccnz .LBB184_2234
; %bb.2233:
	global_store_b32 v[0:1], v8, off
.LBB184_2234:
	s_mov_b32 s0, 0
.LBB184_2235:
	s_delay_alu instid0(SALU_CYCLE_1)
	s_and_not1_b32 vcc_lo, exec_lo, s0
	s_cbranch_vccnz .LBB184_2244
; %bb.2236:
	v_cmp_gt_i16_e32 vcc_lo, 6, v5
	s_mov_b32 s0, -1
	s_cbranch_vccnz .LBB184_2242
; %bb.2237:
	v_cmp_lt_i16_e32 vcc_lo, 6, v5
	s_cbranch_vccz .LBB184_2239
; %bb.2238:
	v_cvt_f32_f16_e32 v2, v7
	s_mov_b32 s0, 0
	s_delay_alu instid0(VALU_DEP_1)
	v_cvt_f64_f32_e32 v[2:3], v2
	global_store_b64 v[0:1], v[2:3], off
.LBB184_2239:
	s_and_not1_b32 vcc_lo, exec_lo, s0
	s_cbranch_vccnz .LBB184_2241
; %bb.2240:
	v_cvt_f32_f16_e32 v2, v7
	global_store_b32 v[0:1], v2, off
.LBB184_2241:
	s_mov_b32 s0, 0
.LBB184_2242:
	s_delay_alu instid0(SALU_CYCLE_1)
	s_and_not1_b32 vcc_lo, exec_lo, s0
	s_cbranch_vccnz .LBB184_2244
; %bb.2243:
	global_store_b16 v[0:1], v7, off
.LBB184_2244:
	s_mov_b32 s0, 0
.LBB184_2245:
	s_delay_alu instid0(SALU_CYCLE_1)
	s_and_not1_b32 vcc_lo, exec_lo, s0
	s_cbranch_vccnz .LBB184_2261
; %bb.2246:
	v_cmp_gt_i16_e32 vcc_lo, 2, v5
	s_mov_b32 s0, -1
	s_cbranch_vccnz .LBB184_2256
; %bb.2247:
	v_cmp_gt_i16_e32 vcc_lo, 3, v5
	s_cbranch_vccnz .LBB184_2253
; %bb.2248:
	v_cmp_lt_i16_e32 vcc_lo, 3, v5
	s_cbranch_vccz .LBB184_2250
; %bb.2249:
	v_cvt_f32_f16_e32 v2, v7
	s_mov_b32 s0, 0
	s_delay_alu instid0(VALU_DEP_1) | instskip(NEXT) | instid1(VALU_DEP_1)
	v_cvt_i32_f32_e32 v2, v2
	v_ashrrev_i32_e32 v3, 31, v2
	global_store_b64 v[0:1], v[2:3], off
.LBB184_2250:
	s_and_not1_b32 vcc_lo, exec_lo, s0
	s_cbranch_vccnz .LBB184_2252
; %bb.2251:
	v_cvt_f32_f16_e32 v2, v7
	s_delay_alu instid0(VALU_DEP_1)
	v_cvt_i32_f32_e32 v2, v2
	global_store_b32 v[0:1], v2, off
.LBB184_2252:
	s_mov_b32 s0, 0
.LBB184_2253:
	s_delay_alu instid0(SALU_CYCLE_1)
	s_and_not1_b32 vcc_lo, exec_lo, s0
	s_cbranch_vccnz .LBB184_2255
; %bb.2254:
	v_cvt_i16_f16_e32 v2, v7
	global_store_b16 v[0:1], v2, off
.LBB184_2255:
	s_mov_b32 s0, 0
.LBB184_2256:
	s_delay_alu instid0(SALU_CYCLE_1)
	s_and_not1_b32 vcc_lo, exec_lo, s0
	s_cbranch_vccnz .LBB184_2261
; %bb.2257:
	v_cmp_lt_i16_e32 vcc_lo, 0, v5
	s_mov_b32 s0, -1
	s_cbranch_vccz .LBB184_2259
; %bb.2258:
	v_cvt_i16_f16_e32 v2, v7
	s_mov_b32 s0, 0
	global_store_b8 v[0:1], v2, off
.LBB184_2259:
	s_and_not1_b32 vcc_lo, exec_lo, s0
	s_cbranch_vccnz .LBB184_2261
; %bb.2260:
	v_cvt_f32_f16_e32 v2, v7
	s_delay_alu instid0(VALU_DEP_1)
	v_cvt_i32_f32_e32 v2, v2
	global_store_b8 v[0:1], v2, off
.LBB184_2261:
	s_mov_b32 s3, -1
.LBB184_2262:
	s_delay_alu instid0(SALU_CYCLE_1)
	s_and_not1_b32 vcc_lo, exec_lo, s3
	s_cbranch_vccnz .LBB184_2339
; %bb.2263:
	v_add_nc_u32_e32 v0, s1, v6
	v_cmp_gt_i16_e32 vcc_lo, 11, v5
	v_cvt_f16_f32_e32 v6, v4
	v_cvt_f16_f32_e32 v7, v11
	s_delay_alu instid0(VALU_DEP_4) | instskip(SKIP_1) | instid1(VALU_DEP_1)
	v_ashrrev_i32_e32 v1, 31, v0
	v_add_co_u32 v0, s0, s4, v0
	v_add_co_ci_u32_e64 v1, s0, s5, v1, s0
	s_cbranch_vccnz .LBB184_2384
; %bb.2264:
	v_cmp_lt_i16_e32 vcc_lo, 25, v5
	s_mov_b32 s2, -1
	s_mov_b32 s1, 0
	s_mov_b32 s0, 0
	s_cbranch_vccz .LBB184_2297
; %bb.2265:
	v_cmp_lt_i16_e32 vcc_lo, 28, v5
	s_cbranch_vccz .LBB184_2281
; %bb.2266:
	v_cmp_lt_i16_e32 vcc_lo, 43, v5
	;; [unrolled: 3-line block ×3, first 2 shown]
	s_cbranch_vccz .LBB184_2271
; %bb.2268:
	v_cmp_eq_u16_e32 vcc_lo, 46, v5
	s_mov_b32 s0, -1
	s_cbranch_vccz .LBB184_2270
; %bb.2269:
	v_cvt_f32_f16_e32 v2, v7
	v_cvt_f32_f16_e32 v3, v6
	v_cmp_o_f16_e32 vcc_lo, v7, v7
	s_mov_b32 s0, 0
	s_delay_alu instid0(VALU_DEP_3) | instskip(NEXT) | instid1(VALU_DEP_3)
	v_bfe_u32 v4, v2, 16, 1
	v_bfe_u32 v8, v3, 16, 1
	s_delay_alu instid0(VALU_DEP_2) | instskip(NEXT) | instid1(VALU_DEP_2)
	v_add3_u32 v2, v2, v4, 0x7fff
	v_add3_u32 v3, v3, v8, 0x7fff
	s_delay_alu instid0(VALU_DEP_2) | instskip(NEXT) | instid1(VALU_DEP_2)
	v_and_b32_e32 v2, 0xffff0000, v2
	v_lshrrev_b32_e32 v3, 16, v3
	s_delay_alu instid0(VALU_DEP_2) | instskip(SKIP_1) | instid1(VALU_DEP_3)
	v_cndmask_b32_e32 v2, 0x7fc00000, v2, vcc_lo
	v_cmp_o_f16_e32 vcc_lo, v6, v6
	v_cndmask_b32_e32 v3, 0x7fc0, v3, vcc_lo
	s_delay_alu instid0(VALU_DEP_1)
	v_or_b32_e32 v2, v2, v3
	global_store_b32 v[0:1], v2, off
.LBB184_2270:
	s_mov_b32 s2, 0
.LBB184_2271:
	s_delay_alu instid0(SALU_CYCLE_1)
	s_and_b32 vcc_lo, exec_lo, s2
	s_cbranch_vccz .LBB184_2276
; %bb.2272:
	v_cmp_eq_u16_e32 vcc_lo, 44, v5
	s_mov_b32 s0, -1
	s_cbranch_vccz .LBB184_2276
; %bb.2273:
	v_cvt_f32_f16_e32 v2, v6
	v_mov_b32_e32 v3, 0xff
	s_mov_b32 s2, exec_lo
	s_delay_alu instid0(VALU_DEP_2) | instskip(NEXT) | instid1(VALU_DEP_1)
	v_bfe_u32 v4, v2, 23, 8
	v_cmpx_ne_u32_e32 0xff, v4
; %bb.2274:
	v_and_b32_e32 v3, 0x400000, v2
	v_and_or_b32 v4, 0x3fffff, v2, v4
	v_lshrrev_b32_e32 v2, 23, v2
	s_delay_alu instid0(VALU_DEP_3) | instskip(NEXT) | instid1(VALU_DEP_3)
	v_cmp_ne_u32_e32 vcc_lo, 0, v3
	v_cmp_ne_u32_e64 s0, 0, v4
	s_delay_alu instid0(VALU_DEP_1) | instskip(NEXT) | instid1(SALU_CYCLE_1)
	s_and_b32 s0, vcc_lo, s0
	v_cndmask_b32_e64 v3, 0, 1, s0
	s_delay_alu instid0(VALU_DEP_1)
	v_add_nc_u32_e32 v3, v2, v3
; %bb.2275:
	s_or_b32 exec_lo, exec_lo, s2
	s_mov_b32 s0, 0
	global_store_b8 v[0:1], v3, off
.LBB184_2276:
	s_mov_b32 s2, 0
.LBB184_2277:
	s_delay_alu instid0(SALU_CYCLE_1)
	s_and_b32 vcc_lo, exec_lo, s2
	s_cbranch_vccz .LBB184_2280
; %bb.2278:
	v_cmp_eq_u16_e32 vcc_lo, 29, v5
	s_mov_b32 s0, -1
	s_cbranch_vccz .LBB184_2280
; %bb.2279:
	v_cvt_f32_f16_e32 v2, v6
	v_mov_b32_e32 v3, 0
	s_mov_b32 s0, 0
	s_delay_alu instid0(VALU_DEP_2)
	v_cvt_u32_f32_e32 v2, v2
	global_store_b64 v[0:1], v[2:3], off
.LBB184_2280:
	s_mov_b32 s2, 0
.LBB184_2281:
	s_delay_alu instid0(SALU_CYCLE_1)
	s_and_b32 vcc_lo, exec_lo, s2
	s_cbranch_vccz .LBB184_2296
; %bb.2282:
	v_cmp_gt_i16_e32 vcc_lo, 27, v5
	s_mov_b32 s2, -1
	s_cbranch_vccnz .LBB184_2288
; %bb.2283:
	v_cmp_lt_i16_e32 vcc_lo, 27, v5
	s_cbranch_vccz .LBB184_2285
; %bb.2284:
	v_cvt_f32_f16_e32 v2, v6
	s_mov_b32 s2, 0
	s_delay_alu instid0(VALU_DEP_1)
	v_cvt_u32_f32_e32 v2, v2
	global_store_b32 v[0:1], v2, off
.LBB184_2285:
	s_and_not1_b32 vcc_lo, exec_lo, s2
	s_cbranch_vccnz .LBB184_2287
; %bb.2286:
	v_cvt_u16_f16_e32 v2, v6
	global_store_b16 v[0:1], v2, off
.LBB184_2287:
	s_mov_b32 s2, 0
.LBB184_2288:
	s_delay_alu instid0(SALU_CYCLE_1)
	s_and_not1_b32 vcc_lo, exec_lo, s2
	s_cbranch_vccnz .LBB184_2296
; %bb.2289:
	v_cvt_f32_f16_e32 v2, v6
	v_mov_b32_e32 v4, 0x80
	s_mov_b32 s2, exec_lo
	s_delay_alu instid0(VALU_DEP_2) | instskip(NEXT) | instid1(VALU_DEP_1)
	v_and_b32_e32 v3, 0x7fffffff, v2
	v_cmpx_gt_u32_e32 0x43800000, v3
	s_cbranch_execz .LBB184_2295
; %bb.2290:
	v_cmp_lt_u32_e32 vcc_lo, 0x3bffffff, v3
	s_mov_b32 s3, 0
                                        ; implicit-def: $vgpr3
	s_and_saveexec_b32 s4, vcc_lo
	s_delay_alu instid0(SALU_CYCLE_1)
	s_xor_b32 s4, exec_lo, s4
	s_cbranch_execz .LBB184_2412
; %bb.2291:
	v_bfe_u32 v3, v2, 20, 1
	s_mov_b32 s3, exec_lo
	s_delay_alu instid0(VALU_DEP_1) | instskip(NEXT) | instid1(VALU_DEP_1)
	v_add3_u32 v3, v2, v3, 0x487ffff
	v_lshrrev_b32_e32 v3, 20, v3
	s_or_saveexec_b32 s4, s4
                                        ; implicit-def: $sgpr5
	s_delay_alu instid0(SALU_CYCLE_1)
	s_xor_b32 exec_lo, exec_lo, s4
	s_cbranch_execnz .LBB184_2413
.LBB184_2292:
	s_or_b32 exec_lo, exec_lo, s4
	v_mov_b32_e32 v4, s5
	s_and_saveexec_b32 s4, s3
.LBB184_2293:
	v_lshrrev_b32_e32 v2, 24, v2
	s_delay_alu instid0(VALU_DEP_1)
	v_and_or_b32 v4, 0x80, v2, v3
.LBB184_2294:
	s_or_b32 exec_lo, exec_lo, s4
.LBB184_2295:
	s_delay_alu instid0(SALU_CYCLE_1)
	s_or_b32 exec_lo, exec_lo, s2
	global_store_b8 v[0:1], v4, off
.LBB184_2296:
	s_mov_b32 s2, 0
.LBB184_2297:
	s_delay_alu instid0(SALU_CYCLE_1)
	s_and_b32 vcc_lo, exec_lo, s2
	s_cbranch_vccz .LBB184_2337
; %bb.2298:
	v_cmp_lt_i16_e32 vcc_lo, 22, v5
	s_mov_b32 s1, -1
	s_cbranch_vccz .LBB184_2330
; %bb.2299:
	v_cmp_gt_i16_e32 vcc_lo, 24, v5
	s_cbranch_vccnz .LBB184_2319
; %bb.2300:
	v_cmp_lt_i16_e32 vcc_lo, 24, v5
	s_cbranch_vccz .LBB184_2308
; %bb.2301:
	v_cvt_f32_f16_e32 v2, v6
	v_mov_b32_e32 v4, 0x80
	s_mov_b32 s1, exec_lo
	s_delay_alu instid0(VALU_DEP_2) | instskip(NEXT) | instid1(VALU_DEP_1)
	v_and_b32_e32 v3, 0x7fffffff, v2
	v_cmpx_gt_u32_e32 0x47800000, v3
	s_cbranch_execz .LBB184_2307
; %bb.2302:
	v_cmp_lt_u32_e32 vcc_lo, 0x37ffffff, v3
	s_mov_b32 s2, 0
                                        ; implicit-def: $vgpr3
	s_and_saveexec_b32 s3, vcc_lo
	s_delay_alu instid0(SALU_CYCLE_1)
	s_xor_b32 s3, exec_lo, s3
	s_cbranch_execz .LBB184_2418
; %bb.2303:
	v_bfe_u32 v3, v2, 21, 1
	s_mov_b32 s2, exec_lo
	s_delay_alu instid0(VALU_DEP_1) | instskip(NEXT) | instid1(VALU_DEP_1)
	v_add3_u32 v3, v2, v3, 0x88fffff
	v_lshrrev_b32_e32 v3, 21, v3
	s_or_saveexec_b32 s3, s3
                                        ; implicit-def: $sgpr4
	s_delay_alu instid0(SALU_CYCLE_1)
	s_xor_b32 exec_lo, exec_lo, s3
	s_cbranch_execnz .LBB184_2419
.LBB184_2304:
	s_or_b32 exec_lo, exec_lo, s3
	v_mov_b32_e32 v4, s4
	s_and_saveexec_b32 s3, s2
.LBB184_2305:
	v_lshrrev_b32_e32 v2, 24, v2
	s_delay_alu instid0(VALU_DEP_1)
	v_and_or_b32 v4, 0x80, v2, v3
.LBB184_2306:
	s_or_b32 exec_lo, exec_lo, s3
.LBB184_2307:
	s_delay_alu instid0(SALU_CYCLE_1)
	s_or_b32 exec_lo, exec_lo, s1
	s_mov_b32 s1, 0
	global_store_b8 v[0:1], v4, off
.LBB184_2308:
	s_and_b32 vcc_lo, exec_lo, s1
	s_cbranch_vccz .LBB184_2318
; %bb.2309:
	v_cvt_f32_f16_e32 v2, v6
	s_mov_b32 s1, exec_lo
                                        ; implicit-def: $vgpr3
	s_delay_alu instid0(VALU_DEP_1) | instskip(NEXT) | instid1(VALU_DEP_1)
	v_and_b32_e32 v4, 0x7fffffff, v2
	v_cmpx_gt_u32_e32 0x43f00000, v4
	s_xor_b32 s1, exec_lo, s1
	s_cbranch_execz .LBB184_2315
; %bb.2310:
	s_mov_b32 s2, exec_lo
                                        ; implicit-def: $vgpr3
	v_cmpx_lt_u32_e32 0x3c7fffff, v4
	s_xor_b32 s2, exec_lo, s2
; %bb.2311:
	v_bfe_u32 v3, v2, 20, 1
	s_delay_alu instid0(VALU_DEP_1) | instskip(NEXT) | instid1(VALU_DEP_1)
	v_add3_u32 v3, v2, v3, 0x407ffff
	v_and_b32_e32 v4, 0xff00000, v3
	v_lshrrev_b32_e32 v3, 20, v3
	s_delay_alu instid0(VALU_DEP_2) | instskip(NEXT) | instid1(VALU_DEP_2)
	v_cmp_ne_u32_e32 vcc_lo, 0x7f00000, v4
	v_cndmask_b32_e32 v3, 0x7e, v3, vcc_lo
; %bb.2312:
	s_and_not1_saveexec_b32 s2, s2
; %bb.2313:
	v_add_f32_e64 v3, 0x46800000, |v2|
; %bb.2314:
	s_or_b32 exec_lo, exec_lo, s2
                                        ; implicit-def: $vgpr4
.LBB184_2315:
	s_and_not1_saveexec_b32 s1, s1
; %bb.2316:
	v_mov_b32_e32 v3, 0x7f
	v_cmp_lt_u32_e32 vcc_lo, 0x7f800000, v4
	s_delay_alu instid0(VALU_DEP_2)
	v_cndmask_b32_e32 v3, 0x7e, v3, vcc_lo
; %bb.2317:
	s_or_b32 exec_lo, exec_lo, s1
	v_lshrrev_b32_e32 v2, 24, v2
	s_delay_alu instid0(VALU_DEP_1)
	v_and_or_b32 v2, 0x80, v2, v3
	global_store_b8 v[0:1], v2, off
.LBB184_2318:
	s_mov_b32 s1, 0
.LBB184_2319:
	s_delay_alu instid0(SALU_CYCLE_1)
	s_and_not1_b32 vcc_lo, exec_lo, s1
	s_cbranch_vccnz .LBB184_2329
; %bb.2320:
	v_cvt_f32_f16_e32 v2, v6
	s_mov_b32 s1, exec_lo
                                        ; implicit-def: $vgpr3
	s_delay_alu instid0(VALU_DEP_1) | instskip(NEXT) | instid1(VALU_DEP_1)
	v_and_b32_e32 v4, 0x7fffffff, v2
	v_cmpx_gt_u32_e32 0x47800000, v4
	s_xor_b32 s1, exec_lo, s1
	s_cbranch_execz .LBB184_2326
; %bb.2321:
	s_mov_b32 s2, exec_lo
                                        ; implicit-def: $vgpr3
	v_cmpx_lt_u32_e32 0x387fffff, v4
	s_xor_b32 s2, exec_lo, s2
; %bb.2322:
	v_bfe_u32 v3, v2, 21, 1
	s_delay_alu instid0(VALU_DEP_1) | instskip(NEXT) | instid1(VALU_DEP_1)
	v_add3_u32 v3, v2, v3, 0x80fffff
	v_lshrrev_b32_e32 v3, 21, v3
; %bb.2323:
	s_and_not1_saveexec_b32 s2, s2
; %bb.2324:
	v_add_f32_e64 v3, 0x43000000, |v2|
; %bb.2325:
	s_or_b32 exec_lo, exec_lo, s2
                                        ; implicit-def: $vgpr4
.LBB184_2326:
	s_and_not1_saveexec_b32 s1, s1
; %bb.2327:
	v_mov_b32_e32 v3, 0x7f
	v_cmp_lt_u32_e32 vcc_lo, 0x7f800000, v4
	s_delay_alu instid0(VALU_DEP_2)
	v_cndmask_b32_e32 v3, 0x7c, v3, vcc_lo
; %bb.2328:
	s_or_b32 exec_lo, exec_lo, s1
	v_lshrrev_b32_e32 v2, 24, v2
	s_delay_alu instid0(VALU_DEP_1)
	v_and_or_b32 v2, 0x80, v2, v3
	global_store_b8 v[0:1], v2, off
.LBB184_2329:
	s_mov_b32 s1, 0
.LBB184_2330:
	s_delay_alu instid0(SALU_CYCLE_1)
	s_and_not1_b32 vcc_lo, exec_lo, s1
	s_mov_b32 s1, 0
	s_cbranch_vccnz .LBB184_2337
; %bb.2331:
	v_cmp_lt_i16_e32 vcc_lo, 14, v5
	s_mov_b32 s1, -1
	s_cbranch_vccz .LBB184_2335
; %bb.2332:
	v_cmp_eq_u16_e32 vcc_lo, 15, v5
	s_mov_b32 s0, -1
	s_cbranch_vccz .LBB184_2334
; %bb.2333:
	v_cvt_f32_f16_e32 v2, v6
	v_cmp_o_f16_e32 vcc_lo, v6, v6
	s_mov_b32 s0, 0
	s_delay_alu instid0(VALU_DEP_2) | instskip(NEXT) | instid1(VALU_DEP_1)
	v_bfe_u32 v3, v2, 16, 1
	v_add3_u32 v2, v2, v3, 0x7fff
	s_delay_alu instid0(VALU_DEP_1) | instskip(NEXT) | instid1(VALU_DEP_1)
	v_lshrrev_b32_e32 v2, 16, v2
	v_cndmask_b32_e32 v2, 0x7fc0, v2, vcc_lo
	global_store_b16 v[0:1], v2, off
.LBB184_2334:
	s_mov_b32 s1, 0
.LBB184_2335:
	s_delay_alu instid0(SALU_CYCLE_1)
	s_and_b32 vcc_lo, exec_lo, s1
	s_mov_b32 s1, 0
	s_cbranch_vccz .LBB184_2337
; %bb.2336:
	v_cmp_ne_u16_e64 s0, 11, v5
	s_mov_b32 s1, -1
.LBB184_2337:
	s_delay_alu instid0(VALU_DEP_1)
	s_and_b32 vcc_lo, exec_lo, s0
	s_cbranch_vccnz .LBB184_2416
.LBB184_2338:
	s_mov_b32 s0, 0
	s_branch .LBB184_2385
.LBB184_2339:
	s_mov_b32 s0, 0
	s_mov_b32 s1, 0
                                        ; implicit-def: $vgpr5
                                        ; implicit-def: $vgpr0_vgpr1
                                        ; implicit-def: $vgpr8
                                        ; implicit-def: $vgpr7
                                        ; implicit-def: $vgpr6
.LBB184_2340:
	s_and_not1_b32 s2, s10, exec_lo
	s_and_b32 s3, s8, exec_lo
	s_and_b32 s0, s0, exec_lo
	;; [unrolled: 1-line block ×3, first 2 shown]
	s_or_b32 s10, s2, s3
.LBB184_2341:
	s_or_b32 exec_lo, exec_lo, s9
	s_and_saveexec_b32 s1, s10
	s_cbranch_execz .LBB184_2344
; %bb.2342:
	; divergent unreachable
	s_or_b32 exec_lo, exec_lo, s1
	s_and_saveexec_b32 s1, s8
	s_delay_alu instid0(SALU_CYCLE_1)
	s_xor_b32 s1, exec_lo, s1
	s_cbranch_execnz .LBB184_2345
.LBB184_2343:
	s_or_b32 exec_lo, exec_lo, s1
	s_and_saveexec_b32 s1, s0
	s_cbranch_execnz .LBB184_2346
	s_branch .LBB184_2383
.LBB184_2344:
	s_or_b32 exec_lo, exec_lo, s1
	s_and_saveexec_b32 s1, s8
	s_delay_alu instid0(SALU_CYCLE_1)
	s_xor_b32 s1, exec_lo, s1
	s_cbranch_execz .LBB184_2343
.LBB184_2345:
	v_and_b32_e32 v2, 0x7fff7fff, v8
	s_delay_alu instid0(VALU_DEP_1)
	v_cmp_ne_u32_e32 vcc_lo, 0, v2
	v_cndmask_b32_e64 v2, 0, 1, vcc_lo
	global_store_b8 v[0:1], v2, off
	s_or_b32 exec_lo, exec_lo, s1
	s_and_saveexec_b32 s1, s0
	s_cbranch_execz .LBB184_2383
.LBB184_2346:
	s_waitcnt vmcnt(0)
	v_cmp_gt_i16_e32 vcc_lo, 5, v5
	s_mov_b32 s0, -1
	s_cbranch_vccnz .LBB184_2367
; %bb.2347:
	v_cmp_gt_i16_e32 vcc_lo, 8, v5
	s_cbranch_vccnz .LBB184_2357
; %bb.2348:
	v_cmp_gt_i16_e32 vcc_lo, 9, v5
	s_cbranch_vccnz .LBB184_2354
; %bb.2349:
	v_cmp_lt_i16_e32 vcc_lo, 9, v5
	s_cbranch_vccz .LBB184_2351
; %bb.2350:
	v_cvt_f32_f16_e32 v2, v6
	v_cvt_f32_f16_e32 v3, v7
	s_mov_b32 s0, 0
	s_delay_alu instid0(VALU_DEP_2) | instskip(NEXT) | instid1(VALU_DEP_2)
	v_cvt_f64_f32_e32 v[9:10], v2
	v_cvt_f64_f32_e32 v[11:12], v3
	global_store_b128 v[0:1], v[9:12], off
.LBB184_2351:
	s_and_not1_b32 vcc_lo, exec_lo, s0
	s_cbranch_vccnz .LBB184_2353
; %bb.2352:
	v_cvt_f32_f16_e32 v2, v6
	v_cvt_f32_f16_e32 v3, v7
	global_store_b64 v[0:1], v[2:3], off
.LBB184_2353:
	s_mov_b32 s0, 0
.LBB184_2354:
	s_delay_alu instid0(SALU_CYCLE_1)
	s_and_not1_b32 vcc_lo, exec_lo, s0
	s_cbranch_vccnz .LBB184_2356
; %bb.2355:
	global_store_b32 v[0:1], v8, off
.LBB184_2356:
	s_mov_b32 s0, 0
.LBB184_2357:
	s_delay_alu instid0(SALU_CYCLE_1)
	s_and_not1_b32 vcc_lo, exec_lo, s0
	s_cbranch_vccnz .LBB184_2366
; %bb.2358:
	v_cmp_gt_i16_e32 vcc_lo, 6, v5
	s_mov_b32 s0, -1
	s_cbranch_vccnz .LBB184_2364
; %bb.2359:
	v_cmp_lt_i16_e32 vcc_lo, 6, v5
	s_cbranch_vccz .LBB184_2361
; %bb.2360:
	v_cvt_f32_f16_e32 v2, v6
	s_mov_b32 s0, 0
	s_delay_alu instid0(VALU_DEP_1)
	v_cvt_f64_f32_e32 v[2:3], v2
	global_store_b64 v[0:1], v[2:3], off
.LBB184_2361:
	s_and_not1_b32 vcc_lo, exec_lo, s0
	s_cbranch_vccnz .LBB184_2363
; %bb.2362:
	v_cvt_f32_f16_e32 v2, v6
	global_store_b32 v[0:1], v2, off
.LBB184_2363:
	s_mov_b32 s0, 0
.LBB184_2364:
	s_delay_alu instid0(SALU_CYCLE_1)
	s_and_not1_b32 vcc_lo, exec_lo, s0
	s_cbranch_vccnz .LBB184_2366
; %bb.2365:
	global_store_b16 v[0:1], v6, off
.LBB184_2366:
	s_mov_b32 s0, 0
.LBB184_2367:
	s_delay_alu instid0(SALU_CYCLE_1)
	s_and_not1_b32 vcc_lo, exec_lo, s0
	s_cbranch_vccnz .LBB184_2383
; %bb.2368:
	v_cmp_gt_i16_e32 vcc_lo, 2, v5
	s_mov_b32 s0, -1
	s_cbranch_vccnz .LBB184_2378
; %bb.2369:
	v_cmp_gt_i16_e32 vcc_lo, 3, v5
	s_cbranch_vccnz .LBB184_2375
; %bb.2370:
	v_cmp_lt_i16_e32 vcc_lo, 3, v5
	s_cbranch_vccz .LBB184_2372
; %bb.2371:
	v_cvt_f32_f16_e32 v2, v6
	s_mov_b32 s0, 0
	s_delay_alu instid0(VALU_DEP_1) | instskip(NEXT) | instid1(VALU_DEP_1)
	v_cvt_i32_f32_e32 v2, v2
	v_ashrrev_i32_e32 v3, 31, v2
	global_store_b64 v[0:1], v[2:3], off
.LBB184_2372:
	s_and_not1_b32 vcc_lo, exec_lo, s0
	s_cbranch_vccnz .LBB184_2374
; %bb.2373:
	v_cvt_f32_f16_e32 v2, v6
	s_delay_alu instid0(VALU_DEP_1)
	v_cvt_i32_f32_e32 v2, v2
	global_store_b32 v[0:1], v2, off
.LBB184_2374:
	s_mov_b32 s0, 0
.LBB184_2375:
	s_delay_alu instid0(SALU_CYCLE_1)
	s_and_not1_b32 vcc_lo, exec_lo, s0
	s_cbranch_vccnz .LBB184_2377
; %bb.2376:
	v_cvt_i16_f16_e32 v2, v6
	global_store_b16 v[0:1], v2, off
.LBB184_2377:
	s_mov_b32 s0, 0
.LBB184_2378:
	s_delay_alu instid0(SALU_CYCLE_1)
	s_and_not1_b32 vcc_lo, exec_lo, s0
	s_cbranch_vccnz .LBB184_2383
; %bb.2379:
	v_cmp_lt_i16_e32 vcc_lo, 0, v5
	s_mov_b32 s0, -1
	s_cbranch_vccz .LBB184_2381
; %bb.2380:
	v_cvt_i16_f16_e32 v2, v6
	s_mov_b32 s0, 0
	global_store_b8 v[0:1], v2, off
.LBB184_2381:
	s_and_not1_b32 vcc_lo, exec_lo, s0
	s_cbranch_vccnz .LBB184_2383
; %bb.2382:
	v_cvt_f32_f16_e32 v2, v6
	s_delay_alu instid0(VALU_DEP_1)
	v_cvt_i32_f32_e32 v2, v2
	global_store_b8 v[0:1], v2, off
	s_nop 0
	s_sendmsg sendmsg(MSG_DEALLOC_VGPRS)
	s_endpgm
.LBB184_2383:
	s_nop 0
	s_sendmsg sendmsg(MSG_DEALLOC_VGPRS)
	s_endpgm
.LBB184_2384:
	s_mov_b32 s1, 0
	s_mov_b32 s0, -1
.LBB184_2385:
	v_lshlrev_b32_e32 v2, 16, v7
	v_and_b32_e32 v3, 0xffff, v6
	s_delay_alu instid0(VALU_DEP_1)
	v_or_b32_e32 v8, v2, v3
	s_branch .LBB184_2340
.LBB184_2386:
	s_cbranch_execnz .LBB184_2390
; %bb.2387:
	s_or_b32 s8, s8, exec_lo
                                        ; implicit-def: $vgpr12
                                        ; implicit-def: $vgpr11
	s_cbranch_execz .LBB184_1814
	s_branch .LBB184_1815
.LBB184_2388:
	s_or_saveexec_b32 s7, s7
                                        ; implicit-def: $sgpr11
	s_delay_alu instid0(SALU_CYCLE_1)
	s_xor_b32 exec_lo, exec_lo, s7
	s_cbranch_execz .LBB184_1934
.LBB184_2389:
	v_add_f32_e64 v14, 0x46000000, |v13|
	s_and_not1_b32 s6, s6, exec_lo
	s_mov_b32 s11, 0
	s_delay_alu instid0(VALU_DEP_1) | instskip(NEXT) | instid1(VALU_DEP_1)
	v_and_b32_e32 v14, 0xff, v14
	v_cmp_ne_u32_e32 vcc_lo, 0, v14
	s_and_b32 s12, vcc_lo, exec_lo
	s_delay_alu instid0(SALU_CYCLE_1)
	s_or_b32 s6, s6, s12
	s_or_b32 exec_lo, exec_lo, s7
	v_mov_b32_e32 v15, s11
	s_and_saveexec_b32 s7, s6
	s_cbranch_execnz .LBB184_1935
	s_branch .LBB184_1936
.LBB184_2390:
	s_trap 2
	s_sendmsg_rtn_b32 s0, sendmsg(MSG_RTN_GET_DOORBELL)
	s_mov_b32 ttmp2, m0
	s_waitcnt lgkmcnt(0)
	s_and_b32 s0, s0, 0x3ff
	s_delay_alu instid0(SALU_CYCLE_1) | instskip(NEXT) | instid1(SALU_CYCLE_1)
	s_bitset1_b32 s0, 10
	s_mov_b32 m0, s0
	s_sendmsg sendmsg(MSG_INTERRUPT)
	s_mov_b32 m0, ttmp2
.LBB184_2391:                           ; =>This Inner Loop Header: Depth=1
	s_sethalt 5
	s_branch .LBB184_2391
.LBB184_2392:
	s_cbranch_execnz .LBB184_2398
; %bb.2393:
	s_or_b32 s8, s8, exec_lo
	s_cbranch_execz .LBB184_1982
	s_branch .LBB184_1983
.LBB184_2394:
	s_or_saveexec_b32 s6, s6
                                        ; implicit-def: $sgpr7
	s_delay_alu instid0(SALU_CYCLE_1)
	s_xor_b32 exec_lo, exec_lo, s6
	s_cbranch_execz .LBB184_1947
.LBB184_2395:
	v_add_f32_e64 v14, 0x42800000, |v13|
	s_and_not1_b32 s3, s3, exec_lo
	s_mov_b32 s7, 0
	s_delay_alu instid0(VALU_DEP_1) | instskip(NEXT) | instid1(VALU_DEP_1)
	v_and_b32_e32 v14, 0xff, v14
	v_cmp_ne_u32_e32 vcc_lo, 0, v14
	s_and_b32 s11, vcc_lo, exec_lo
	s_delay_alu instid0(SALU_CYCLE_1)
	s_or_b32 s3, s3, s11
	s_or_b32 exec_lo, exec_lo, s6
	v_mov_b32_e32 v15, s7
	s_and_saveexec_b32 s6, s3
	s_cbranch_execnz .LBB184_1948
	s_branch .LBB184_1949
.LBB184_2396:
	s_or_saveexec_b32 s7, s7
                                        ; implicit-def: $sgpr11
	s_delay_alu instid0(SALU_CYCLE_1)
	s_xor_b32 exec_lo, exec_lo, s7
	s_cbranch_execz .LBB184_2053
.LBB184_2397:
	v_add_f32_e64 v12, 0x46000000, |v3|
	s_and_not1_b32 s6, s6, exec_lo
	s_mov_b32 s11, 0
	s_delay_alu instid0(VALU_DEP_1) | instskip(NEXT) | instid1(VALU_DEP_1)
	v_and_b32_e32 v12, 0xff, v12
	v_cmp_ne_u32_e32 vcc_lo, 0, v12
	s_and_b32 s12, vcc_lo, exec_lo
	s_delay_alu instid0(SALU_CYCLE_1)
	s_or_b32 s6, s6, s12
	s_or_b32 exec_lo, exec_lo, s7
	v_mov_b32_e32 v13, s11
	s_and_saveexec_b32 s7, s6
	s_cbranch_execnz .LBB184_2054
	s_branch .LBB184_2055
.LBB184_2398:
	s_trap 2
	s_sendmsg_rtn_b32 s0, sendmsg(MSG_RTN_GET_DOORBELL)
	s_mov_b32 ttmp2, m0
	s_waitcnt lgkmcnt(0)
	s_and_b32 s0, s0, 0x3ff
	s_delay_alu instid0(SALU_CYCLE_1) | instskip(NEXT) | instid1(SALU_CYCLE_1)
	s_bitset1_b32 s0, 10
	s_mov_b32 m0, s0
	s_sendmsg sendmsg(MSG_INTERRUPT)
	s_mov_b32 m0, ttmp2
.LBB184_2399:                           ; =>This Inner Loop Header: Depth=1
	s_sethalt 5
	s_branch .LBB184_2399
.LBB184_2400:
	s_cbranch_execnz .LBB184_2406
; %bb.2401:
	s_or_b32 s8, s8, exec_lo
	s_cbranch_execz .LBB184_2101
	s_branch .LBB184_2102
.LBB184_2402:
	s_or_saveexec_b32 s6, s6
                                        ; implicit-def: $sgpr7
	s_delay_alu instid0(SALU_CYCLE_1)
	s_xor_b32 exec_lo, exec_lo, s6
	s_cbranch_execz .LBB184_2066
.LBB184_2403:
	v_add_f32_e64 v12, 0x42800000, |v3|
	s_and_not1_b32 s3, s3, exec_lo
	s_mov_b32 s7, 0
	s_delay_alu instid0(VALU_DEP_1) | instskip(NEXT) | instid1(VALU_DEP_1)
	v_and_b32_e32 v12, 0xff, v12
	v_cmp_ne_u32_e32 vcc_lo, 0, v12
	s_and_b32 s11, vcc_lo, exec_lo
	s_delay_alu instid0(SALU_CYCLE_1)
	s_or_b32 s3, s3, s11
	s_or_b32 exec_lo, exec_lo, s6
	v_mov_b32_e32 v13, s7
	s_and_saveexec_b32 s6, s3
	s_cbranch_execnz .LBB184_2067
	s_branch .LBB184_2068
.LBB184_2404:
	s_or_saveexec_b32 s7, s7
                                        ; implicit-def: $sgpr11
	s_delay_alu instid0(SALU_CYCLE_1)
	s_xor_b32 exec_lo, exec_lo, s7
	s_cbranch_execz .LBB184_2172
.LBB184_2405:
	v_add_f32_e64 v9, 0x46000000, |v3|
	s_and_not1_b32 s6, s6, exec_lo
	s_mov_b32 s11, 0
	s_delay_alu instid0(VALU_DEP_1) | instskip(NEXT) | instid1(VALU_DEP_1)
	v_and_b32_e32 v9, 0xff, v9
	v_cmp_ne_u32_e32 vcc_lo, 0, v9
	s_and_b32 s12, vcc_lo, exec_lo
	s_delay_alu instid0(SALU_CYCLE_1)
	s_or_b32 s6, s6, s12
	s_or_b32 exec_lo, exec_lo, s7
	v_mov_b32_e32 v10, s11
	s_and_saveexec_b32 s7, s6
	s_cbranch_execnz .LBB184_2173
	s_branch .LBB184_2174
.LBB184_2406:
	s_trap 2
	s_sendmsg_rtn_b32 s0, sendmsg(MSG_RTN_GET_DOORBELL)
	s_mov_b32 ttmp2, m0
	s_waitcnt lgkmcnt(0)
	s_and_b32 s0, s0, 0x3ff
	s_delay_alu instid0(SALU_CYCLE_1) | instskip(NEXT) | instid1(SALU_CYCLE_1)
	s_bitset1_b32 s0, 10
	s_mov_b32 m0, s0
	s_sendmsg sendmsg(MSG_INTERRUPT)
	s_mov_b32 m0, ttmp2
.LBB184_2407:                           ; =>This Inner Loop Header: Depth=1
	s_sethalt 5
	s_branch .LBB184_2407
.LBB184_2408:
	s_cbranch_execnz .LBB184_2414
; %bb.2409:
	s_or_b32 s8, s8, exec_lo
	s_cbranch_execz .LBB184_2220
	s_branch .LBB184_2221
.LBB184_2410:
	s_or_saveexec_b32 s6, s6
                                        ; implicit-def: $sgpr7
	s_delay_alu instid0(SALU_CYCLE_1)
	s_xor_b32 exec_lo, exec_lo, s6
	s_cbranch_execz .LBB184_2185
.LBB184_2411:
	v_add_f32_e64 v9, 0x42800000, |v3|
	s_and_not1_b32 s3, s3, exec_lo
	s_mov_b32 s7, 0
	s_delay_alu instid0(VALU_DEP_1) | instskip(NEXT) | instid1(VALU_DEP_1)
	v_and_b32_e32 v9, 0xff, v9
	v_cmp_ne_u32_e32 vcc_lo, 0, v9
	s_and_b32 s11, vcc_lo, exec_lo
	s_delay_alu instid0(SALU_CYCLE_1)
	s_or_b32 s3, s3, s11
	s_or_b32 exec_lo, exec_lo, s6
	v_mov_b32_e32 v10, s7
	s_and_saveexec_b32 s6, s3
	s_cbranch_execnz .LBB184_2186
	s_branch .LBB184_2187
.LBB184_2412:
	s_or_saveexec_b32 s4, s4
                                        ; implicit-def: $sgpr5
	s_delay_alu instid0(SALU_CYCLE_1)
	s_xor_b32 exec_lo, exec_lo, s4
	s_cbranch_execz .LBB184_2292
.LBB184_2413:
	v_add_f32_e64 v3, 0x46000000, |v2|
	s_and_not1_b32 s3, s3, exec_lo
	s_mov_b32 s5, 0
	s_delay_alu instid0(VALU_DEP_1) | instskip(NEXT) | instid1(VALU_DEP_1)
	v_and_b32_e32 v3, 0xff, v3
	v_cmp_ne_u32_e32 vcc_lo, 0, v3
	s_and_b32 s6, vcc_lo, exec_lo
	s_delay_alu instid0(SALU_CYCLE_1)
	s_or_b32 s3, s3, s6
	s_or_b32 exec_lo, exec_lo, s4
	v_mov_b32_e32 v4, s5
	s_and_saveexec_b32 s4, s3
	s_cbranch_execnz .LBB184_2293
	s_branch .LBB184_2294
.LBB184_2414:
	s_trap 2
	s_sendmsg_rtn_b32 s0, sendmsg(MSG_RTN_GET_DOORBELL)
	s_mov_b32 ttmp2, m0
	s_waitcnt lgkmcnt(0)
	s_and_b32 s0, s0, 0x3ff
	s_delay_alu instid0(SALU_CYCLE_1) | instskip(NEXT) | instid1(SALU_CYCLE_1)
	s_bitset1_b32 s0, 10
	s_mov_b32 m0, s0
	s_sendmsg sendmsg(MSG_INTERRUPT)
	s_mov_b32 m0, ttmp2
.LBB184_2415:                           ; =>This Inner Loop Header: Depth=1
	s_sethalt 5
	s_branch .LBB184_2415
.LBB184_2416:
	s_cbranch_execnz .LBB184_2420
; %bb.2417:
	s_mov_b32 s1, 0
	s_or_b32 s8, s8, exec_lo
	s_branch .LBB184_2338
.LBB184_2418:
	s_or_saveexec_b32 s3, s3
                                        ; implicit-def: $sgpr4
	s_delay_alu instid0(SALU_CYCLE_1)
	s_xor_b32 exec_lo, exec_lo, s3
	s_cbranch_execz .LBB184_2304
.LBB184_2419:
	v_add_f32_e64 v3, 0x42800000, |v2|
	s_and_not1_b32 s2, s2, exec_lo
	s_mov_b32 s4, 0
	s_delay_alu instid0(VALU_DEP_1) | instskip(NEXT) | instid1(VALU_DEP_1)
	v_and_b32_e32 v3, 0xff, v3
	v_cmp_ne_u32_e32 vcc_lo, 0, v3
	s_and_b32 s5, vcc_lo, exec_lo
	s_delay_alu instid0(SALU_CYCLE_1)
	s_or_b32 s2, s2, s5
	s_or_b32 exec_lo, exec_lo, s3
	v_mov_b32_e32 v4, s4
	s_and_saveexec_b32 s3, s2
	s_cbranch_execnz .LBB184_2305
	s_branch .LBB184_2306
.LBB184_2420:
	s_trap 2
	s_sendmsg_rtn_b32 s0, sendmsg(MSG_RTN_GET_DOORBELL)
	s_mov_b32 ttmp2, m0
	s_waitcnt lgkmcnt(0)
	s_and_b32 s0, s0, 0x3ff
	s_delay_alu instid0(SALU_CYCLE_1) | instskip(NEXT) | instid1(SALU_CYCLE_1)
	s_bitset1_b32 s0, 10
	s_mov_b32 m0, s0
	s_sendmsg sendmsg(MSG_INTERRUPT)
	s_mov_b32 m0, ttmp2
.LBB184_2421:                           ; =>This Inner Loop Header: Depth=1
	s_sethalt 5
	s_branch .LBB184_2421
	.section	.rodata,"a",@progbits
	.p2align	6, 0x0
	.amdhsa_kernel _ZN2at6native32elementwise_kernel_manual_unrollILi128ELi4EZNS0_15gpu_kernel_implIZZZNS0_17rsqrt_kernel_cudaERNS_18TensorIteratorBaseEENKUlvE_clEvENKUlvE1_clEvEUlN3c107complexINS7_4HalfEEEE_EEvS4_RKT_EUlibE_EEviT1_
		.amdhsa_group_segment_fixed_size 0
		.amdhsa_private_segment_fixed_size 0
		.amdhsa_kernarg_size 40
		.amdhsa_user_sgpr_count 15
		.amdhsa_user_sgpr_dispatch_ptr 0
		.amdhsa_user_sgpr_queue_ptr 0
		.amdhsa_user_sgpr_kernarg_segment_ptr 1
		.amdhsa_user_sgpr_dispatch_id 0
		.amdhsa_user_sgpr_private_segment_size 0
		.amdhsa_wavefront_size32 1
		.amdhsa_uses_dynamic_stack 0
		.amdhsa_enable_private_segment 0
		.amdhsa_system_sgpr_workgroup_id_x 1
		.amdhsa_system_sgpr_workgroup_id_y 0
		.amdhsa_system_sgpr_workgroup_id_z 0
		.amdhsa_system_sgpr_workgroup_info 0
		.amdhsa_system_vgpr_workitem_id 0
		.amdhsa_next_free_vgpr 20
		.amdhsa_next_free_sgpr 26
		.amdhsa_reserve_vcc 1
		.amdhsa_float_round_mode_32 0
		.amdhsa_float_round_mode_16_64 0
		.amdhsa_float_denorm_mode_32 3
		.amdhsa_float_denorm_mode_16_64 3
		.amdhsa_dx10_clamp 1
		.amdhsa_ieee_mode 1
		.amdhsa_fp16_overflow 0
		.amdhsa_workgroup_processor_mode 1
		.amdhsa_memory_ordered 1
		.amdhsa_forward_progress 0
		.amdhsa_shared_vgpr_count 0
		.amdhsa_exception_fp_ieee_invalid_op 0
		.amdhsa_exception_fp_denorm_src 0
		.amdhsa_exception_fp_ieee_div_zero 0
		.amdhsa_exception_fp_ieee_overflow 0
		.amdhsa_exception_fp_ieee_underflow 0
		.amdhsa_exception_fp_ieee_inexact 0
		.amdhsa_exception_int_div_zero 0
	.end_amdhsa_kernel
	.section	.text._ZN2at6native32elementwise_kernel_manual_unrollILi128ELi4EZNS0_15gpu_kernel_implIZZZNS0_17rsqrt_kernel_cudaERNS_18TensorIteratorBaseEENKUlvE_clEvENKUlvE1_clEvEUlN3c107complexINS7_4HalfEEEE_EEvS4_RKT_EUlibE_EEviT1_,"axG",@progbits,_ZN2at6native32elementwise_kernel_manual_unrollILi128ELi4EZNS0_15gpu_kernel_implIZZZNS0_17rsqrt_kernel_cudaERNS_18TensorIteratorBaseEENKUlvE_clEvENKUlvE1_clEvEUlN3c107complexINS7_4HalfEEEE_EEvS4_RKT_EUlibE_EEviT1_,comdat
.Lfunc_end184:
	.size	_ZN2at6native32elementwise_kernel_manual_unrollILi128ELi4EZNS0_15gpu_kernel_implIZZZNS0_17rsqrt_kernel_cudaERNS_18TensorIteratorBaseEENKUlvE_clEvENKUlvE1_clEvEUlN3c107complexINS7_4HalfEEEE_EEvS4_RKT_EUlibE_EEviT1_, .Lfunc_end184-_ZN2at6native32elementwise_kernel_manual_unrollILi128ELi4EZNS0_15gpu_kernel_implIZZZNS0_17rsqrt_kernel_cudaERNS_18TensorIteratorBaseEENKUlvE_clEvENKUlvE1_clEvEUlN3c107complexINS7_4HalfEEEE_EEvS4_RKT_EUlibE_EEviT1_
                                        ; -- End function
	.section	.AMDGPU.csdata,"",@progbits
; Kernel info:
; codeLenInByte = 52148
; NumSgprs: 28
; NumVgprs: 20
; ScratchSize: 0
; MemoryBound: 0
; FloatMode: 240
; IeeeMode: 1
; LDSByteSize: 0 bytes/workgroup (compile time only)
; SGPRBlocks: 3
; VGPRBlocks: 2
; NumSGPRsForWavesPerEU: 28
; NumVGPRsForWavesPerEU: 20
; Occupancy: 16
; WaveLimiterHint : 0
; COMPUTE_PGM_RSRC2:SCRATCH_EN: 0
; COMPUTE_PGM_RSRC2:USER_SGPR: 15
; COMPUTE_PGM_RSRC2:TRAP_HANDLER: 0
; COMPUTE_PGM_RSRC2:TGID_X_EN: 1
; COMPUTE_PGM_RSRC2:TGID_Y_EN: 0
; COMPUTE_PGM_RSRC2:TGID_Z_EN: 0
; COMPUTE_PGM_RSRC2:TIDIG_COMP_CNT: 0
	.section	.text._ZN2at6native32elementwise_kernel_manual_unrollILi128ELi4EZNS0_15gpu_kernel_implIZZZNS0_17rsqrt_kernel_cudaERNS_18TensorIteratorBaseEENKUlvE_clEvENKUlvE1_clEvEUlN3c107complexINS7_4HalfEEEE_EEvS4_RKT_EUlibE0_EEviT1_,"axG",@progbits,_ZN2at6native32elementwise_kernel_manual_unrollILi128ELi4EZNS0_15gpu_kernel_implIZZZNS0_17rsqrt_kernel_cudaERNS_18TensorIteratorBaseEENKUlvE_clEvENKUlvE1_clEvEUlN3c107complexINS7_4HalfEEEE_EEvS4_RKT_EUlibE0_EEviT1_,comdat
	.globl	_ZN2at6native32elementwise_kernel_manual_unrollILi128ELi4EZNS0_15gpu_kernel_implIZZZNS0_17rsqrt_kernel_cudaERNS_18TensorIteratorBaseEENKUlvE_clEvENKUlvE1_clEvEUlN3c107complexINS7_4HalfEEEE_EEvS4_RKT_EUlibE0_EEviT1_ ; -- Begin function _ZN2at6native32elementwise_kernel_manual_unrollILi128ELi4EZNS0_15gpu_kernel_implIZZZNS0_17rsqrt_kernel_cudaERNS_18TensorIteratorBaseEENKUlvE_clEvENKUlvE1_clEvEUlN3c107complexINS7_4HalfEEEE_EEvS4_RKT_EUlibE0_EEviT1_
	.p2align	8
	.type	_ZN2at6native32elementwise_kernel_manual_unrollILi128ELi4EZNS0_15gpu_kernel_implIZZZNS0_17rsqrt_kernel_cudaERNS_18TensorIteratorBaseEENKUlvE_clEvENKUlvE1_clEvEUlN3c107complexINS7_4HalfEEEE_EEvS4_RKT_EUlibE0_EEviT1_,@function
_ZN2at6native32elementwise_kernel_manual_unrollILi128ELi4EZNS0_15gpu_kernel_implIZZZNS0_17rsqrt_kernel_cudaERNS_18TensorIteratorBaseEENKUlvE_clEvENKUlvE1_clEvEUlN3c107complexINS7_4HalfEEEE_EEvS4_RKT_EUlibE0_EEviT1_: ; @_ZN2at6native32elementwise_kernel_manual_unrollILi128ELi4EZNS0_15gpu_kernel_implIZZZNS0_17rsqrt_kernel_cudaERNS_18TensorIteratorBaseEENKUlvE_clEvENKUlvE1_clEvEUlN3c107complexINS7_4HalfEEEE_EEvS4_RKT_EUlibE0_EEviT1_
; %bb.0:
	s_clause 0x1
	s_load_b32 s24, s[0:1], 0x8
	s_load_b32 s30, s[0:1], 0x0
	v_lshl_or_b32 v5, s15, 9, v0
	s_or_b32 s16, s0, 8
	s_mov_b32 s3, -1
	s_mov_b32 s26, 0
	s_mov_b32 s17, s1
	v_or_b32_e32 v8, 0x180, v5
	s_mov_b32 s8, 0
	s_mov_b32 s2, exec_lo
	s_waitcnt lgkmcnt(0)
	s_add_i32 s25, s24, -1
	s_delay_alu instid0(SALU_CYCLE_1)
	s_cmp_gt_u32 s25, 1
	s_cselect_b32 s27, -1, 0
	v_cmpx_le_i32_e64 s30, v8
	s_xor_b32 s28, exec_lo, s2
	s_cbranch_execz .LBB185_1248
; %bb.1:
	v_mov_b32_e32 v0, 0
	s_clause 0x3
	s_load_b128 s[12:15], s[16:17], 0x4
	s_load_b64 s[18:19], s[16:17], 0x14
	s_load_b128 s[8:11], s[16:17], 0xc4
	s_load_b128 s[4:7], s[16:17], 0x148
	s_cmp_lg_u32 s24, 0
	s_mov_b32 s37, 0
	s_cselect_b32 s33, -1, 0
	global_load_u16 v3, v0, s[16:17] offset:345
	s_add_u32 s20, s16, 0xc4
	s_addc_u32 s21, s17, 0
	s_min_u32 s31, s25, 15
	s_cmp_gt_u32 s24, 1
	s_mov_b32 s35, 0
	s_cselect_b32 s29, -1, 0
	s_mov_b32 s34, 0
	s_mov_b32 s36, exec_lo
	s_waitcnt vmcnt(0)
	v_lshrrev_b16 v4, 8, v3
	v_cmpx_gt_i32_e64 s30, v5
	s_cbranch_execz .LBB185_306
; %bb.2:
	s_and_not1_b32 vcc_lo, exec_lo, s27
	s_cbranch_vccnz .LBB185_7
; %bb.3:
	v_dual_mov_b32 v0, 0 :: v_dual_mov_b32 v1, 0
	s_and_not1_b32 vcc_lo, exec_lo, s33
	s_cbranch_vccnz .LBB185_12
; %bb.4:
	v_mov_b32_e32 v0, 0
	s_add_i32 s38, s31, 1
	s_cmp_eq_u32 s25, 2
	s_cbranch_scc1 .LBB185_8
; %bb.5:
	v_dual_mov_b32 v1, 0 :: v_dual_mov_b32 v0, 0
	v_mov_b32_e32 v2, v5
	s_and_b32 s35, s38, 28
	s_mov_b32 s39, 0
	s_mov_b64 s[2:3], s[20:21]
	s_mov_b64 s[22:23], s[16:17]
.LBB185_6:                              ; =>This Inner Loop Header: Depth=1
	s_clause 0x1
	s_load_b256 s[40:47], s[22:23], 0x4
	s_load_b128 s[56:59], s[22:23], 0x24
	s_load_b256 s[48:55], s[2:3], 0x0
	s_add_u32 s22, s22, 48
	s_addc_u32 s23, s23, 0
	s_add_i32 s39, s39, 4
	s_add_u32 s2, s2, 32
	s_addc_u32 s3, s3, 0
	s_cmp_lg_u32 s35, s39
	s_waitcnt lgkmcnt(0)
	v_mul_hi_u32 v6, s41, v2
	s_delay_alu instid0(VALU_DEP_1) | instskip(NEXT) | instid1(VALU_DEP_1)
	v_add_nc_u32_e32 v6, v2, v6
	v_lshrrev_b32_e32 v6, s42, v6
	s_delay_alu instid0(VALU_DEP_1) | instskip(SKIP_1) | instid1(VALU_DEP_2)
	v_mul_hi_u32 v7, s44, v6
	v_mul_lo_u32 v9, v6, s40
	v_add_nc_u32_e32 v7, v6, v7
	s_delay_alu instid0(VALU_DEP_2) | instskip(NEXT) | instid1(VALU_DEP_2)
	v_sub_nc_u32_e32 v2, v2, v9
	v_lshrrev_b32_e32 v7, s45, v7
	s_delay_alu instid0(VALU_DEP_2) | instskip(SKIP_1) | instid1(VALU_DEP_3)
	v_mul_lo_u32 v9, v2, s48
	v_mul_lo_u32 v11, v2, s49
	v_mul_hi_u32 v8, s47, v7
	s_delay_alu instid0(VALU_DEP_1) | instskip(NEXT) | instid1(VALU_DEP_1)
	v_add_nc_u32_e32 v8, v7, v8
	v_lshrrev_b32_e32 v8, s56, v8
	s_delay_alu instid0(VALU_DEP_1) | instskip(SKIP_1) | instid1(VALU_DEP_2)
	v_mul_hi_u32 v10, s58, v8
	v_mul_lo_u32 v12, v8, s46
	v_add_nc_u32_e32 v2, v8, v10
	v_mul_lo_u32 v10, v7, s43
	s_delay_alu instid0(VALU_DEP_3) | instskip(NEXT) | instid1(VALU_DEP_3)
	v_sub_nc_u32_e32 v7, v7, v12
	v_lshrrev_b32_e32 v2, s59, v2
	s_delay_alu instid0(VALU_DEP_2) | instskip(SKIP_2) | instid1(VALU_DEP_4)
	v_mul_lo_u32 v12, v7, s52
	v_mul_lo_u32 v7, v7, s53
	v_sub_nc_u32_e32 v6, v6, v10
	v_mul_lo_u32 v13, v2, s57
	s_delay_alu instid0(VALU_DEP_2) | instskip(SKIP_1) | instid1(VALU_DEP_3)
	v_mul_lo_u32 v10, v6, s50
	v_mul_lo_u32 v6, v6, s51
	v_sub_nc_u32_e32 v8, v8, v13
	s_delay_alu instid0(VALU_DEP_3) | instskip(NEXT) | instid1(VALU_DEP_2)
	v_add3_u32 v0, v9, v0, v10
	v_mul_lo_u32 v13, v8, s54
	v_mul_lo_u32 v8, v8, s55
	v_add3_u32 v1, v11, v1, v6
	s_delay_alu instid0(VALU_DEP_3) | instskip(NEXT) | instid1(VALU_DEP_2)
	v_add3_u32 v0, v12, v0, v13
	v_add3_u32 v1, v7, v1, v8
	s_cbranch_scc1 .LBB185_6
	s_branch .LBB185_9
.LBB185_7:
	s_mov_b32 s34, -1
                                        ; implicit-def: $vgpr0
                                        ; implicit-def: $vgpr1
	s_branch .LBB185_12
.LBB185_8:
	v_dual_mov_b32 v2, v5 :: v_dual_mov_b32 v1, 0
.LBB185_9:
	s_and_b32 s38, s38, 3
	s_delay_alu instid0(SALU_CYCLE_1)
	s_cmp_eq_u32 s38, 0
	s_cbranch_scc1 .LBB185_12
; %bb.10:
	s_lshl_b32 s2, s35, 3
	s_mul_i32 s22, s35, 12
	s_add_u32 s2, s2, s16
	s_addc_u32 s3, s17, 0
	s_add_u32 s2, s2, 0xc4
	s_addc_u32 s3, s3, 0
	;; [unrolled: 2-line block ×3, first 2 shown]
	.p2align	6
.LBB185_11:                             ; =>This Inner Loop Header: Depth=1
	s_clause 0x1
	s_load_b64 s[40:41], s[22:23], 0x4
	s_load_b32 s35, s[22:23], 0xc
	s_load_b64 s[42:43], s[2:3], 0x0
	s_add_u32 s22, s22, 12
	s_addc_u32 s23, s23, 0
	s_add_u32 s2, s2, 8
	s_addc_u32 s3, s3, 0
	s_add_i32 s38, s38, -1
	s_delay_alu instid0(SALU_CYCLE_1) | instskip(SKIP_2) | instid1(VALU_DEP_1)
	s_cmp_lg_u32 s38, 0
	s_waitcnt lgkmcnt(0)
	v_mul_hi_u32 v6, s41, v2
	v_add_nc_u32_e32 v6, v2, v6
	s_delay_alu instid0(VALU_DEP_1) | instskip(NEXT) | instid1(VALU_DEP_1)
	v_lshrrev_b32_e32 v9, s35, v6
	v_mul_lo_u32 v6, v9, s40
	s_delay_alu instid0(VALU_DEP_1) | instskip(NEXT) | instid1(VALU_DEP_1)
	v_sub_nc_u32_e32 v2, v2, v6
	v_mad_u64_u32 v[6:7], null, v2, s42, v[0:1]
	v_mad_u64_u32 v[7:8], null, v2, s43, v[1:2]
	v_mov_b32_e32 v2, v9
	s_delay_alu instid0(VALU_DEP_2)
	v_dual_mov_b32 v0, v6 :: v_dual_mov_b32 v1, v7
	s_cbranch_scc1 .LBB185_11
.LBB185_12:
	s_and_not1_b32 vcc_lo, exec_lo, s34
	s_cbranch_vccnz .LBB185_15
; %bb.13:
	s_waitcnt lgkmcnt(0)
	v_mul_hi_u32 v0, s13, v5
	s_and_not1_b32 vcc_lo, exec_lo, s29
	s_delay_alu instid0(VALU_DEP_1) | instskip(NEXT) | instid1(VALU_DEP_1)
	v_add_nc_u32_e32 v0, v5, v0
	v_lshrrev_b32_e32 v2, s14, v0
	s_delay_alu instid0(VALU_DEP_1) | instskip(NEXT) | instid1(VALU_DEP_1)
	v_mul_lo_u32 v0, v2, s12
	v_sub_nc_u32_e32 v1, v5, v0
	s_delay_alu instid0(VALU_DEP_1)
	v_mul_lo_u32 v0, v1, s8
	v_mul_lo_u32 v1, v1, s9
	s_cbranch_vccnz .LBB185_15
; %bb.14:
	v_mul_hi_u32 v6, s18, v2
	s_delay_alu instid0(VALU_DEP_1) | instskip(NEXT) | instid1(VALU_DEP_1)
	v_add_nc_u32_e32 v6, v2, v6
	v_lshrrev_b32_e32 v6, s19, v6
	s_delay_alu instid0(VALU_DEP_1) | instskip(NEXT) | instid1(VALU_DEP_1)
	v_mul_lo_u32 v6, v6, s15
	v_sub_nc_u32_e32 v2, v2, v6
	s_delay_alu instid0(VALU_DEP_1) | instskip(SKIP_1) | instid1(VALU_DEP_1)
	v_mad_u64_u32 v[6:7], null, v2, s10, v[0:1]
	v_mad_u64_u32 v[7:8], null, v2, s11, v[1:2]
	v_dual_mov_b32 v0, v6 :: v_dual_mov_b32 v1, v7
.LBB185_15:
	v_cmp_gt_i16_e32 vcc_lo, 11, v4
	s_waitcnt lgkmcnt(0)
	s_delay_alu instid0(VALU_DEP_2) | instskip(NEXT) | instid1(VALU_DEP_1)
	v_add_co_u32 v1, s2, s6, v1
	v_add_co_ci_u32_e64 v2, null, s7, 0, s2
	s_mov_b32 s22, 0
	s_cbranch_vccnz .LBB185_22
; %bb.16:
	v_cmp_lt_i16_e32 vcc_lo, 25, v4
	s_cbranch_vccz .LBB185_36
; %bb.17:
	v_cmp_lt_i16_e32 vcc_lo, 28, v4
	s_cbranch_vccz .LBB185_37
	;; [unrolled: 3-line block ×4, first 2 shown]
; %bb.20:
	v_cmp_eq_u16_e32 vcc_lo, 46, v4
	s_mov_b32 s3, 0
	s_cbranch_vccz .LBB185_183
; %bb.21:
	global_load_b32 v6, v[1:2], off
	s_mov_b32 s2, -1
	s_waitcnt vmcnt(0)
	v_lshlrev_b32_e32 v7, 16, v6
	v_and_b32_e32 v8, 0xffff0000, v6
	s_delay_alu instid0(VALU_DEP_2) | instskip(NEXT) | instid1(VALU_DEP_2)
	v_cvt_f16_f32_e32 v6, v7
	v_cvt_f16_f32_e32 v7, v8
	s_branch .LBB185_185
.LBB185_22:
	s_mov_b32 s2, 0
                                        ; implicit-def: $vgpr7
                                        ; implicit-def: $vgpr6
	s_cbranch_execnz .LBB185_254
.LBB185_23:
	s_and_not1_b32 vcc_lo, exec_lo, s2
	s_cbranch_vccnz .LBB185_303
.LBB185_24:
	s_waitcnt vmcnt(0)
	s_delay_alu instid0(VALU_DEP_2) | instskip(NEXT) | instid1(VALU_DEP_2)
	v_cmp_neq_f16_e32 vcc_lo, 0, v6
	v_cmp_neq_f16_e64 s2, 0, v7
	v_cvt_f32_f16_e32 v1, v7
	v_mov_b32_e32 v2, 0
	s_delay_alu instid0(VALU_DEP_3) | instskip(NEXT) | instid1(SALU_CYCLE_1)
	s_or_b32 s2, vcc_lo, s2
	s_and_saveexec_b32 s23, s2
	s_cbranch_execz .LBB185_58
; %bb.25:
	v_mov_b32_e32 v2, 0x7f800000
	s_mov_b32 s34, exec_lo
	v_cmpx_neq_f32_e64 0x7f800000, |v1|
	s_cbranch_execz .LBB185_57
; %bb.26:
	v_cvt_f32_f16_e32 v2, v6
	s_mov_b32 s2, exec_lo
	v_cmpx_o_f16_e32 v6, v6
	s_xor_b32 s35, exec_lo, s2
	s_cbranch_execz .LBB185_54
; %bb.27:
	s_mov_b32 s3, exec_lo
	v_cmpx_neq_f32_e64 0x7f800000, |v2|
	s_xor_b32 s38, exec_lo, s3
	s_cbranch_execz .LBB185_47
; %bb.28:
	v_max_f32_e64 v6, |v1|, |v1|
	v_max_f32_e64 v7, |v2|, |v2|
                                        ; implicit-def: $sgpr39
	s_delay_alu instid0(VALU_DEP_1) | instskip(NEXT) | instid1(VALU_DEP_1)
	v_max_f32_e32 v6, v7, v6
	v_cmp_nle_f32_e64 s2, 0x7ed413cb, v6
	s_delay_alu instid0(VALU_DEP_1) | instskip(NEXT) | instid1(SALU_CYCLE_1)
	s_and_saveexec_b32 s3, s2
	s_xor_b32 s3, exec_lo, s3
	s_cbranch_execz .LBB185_32
; %bb.29:
	v_cmp_ge_f32_e64 s39, 0x1000000, |v2|
	v_cmp_ge_f32_e64 s40, 0x1000000, |v1|
	s_delay_alu instid0(VALU_DEP_1)
	s_and_b32 s41, s39, s40
	s_mov_b32 s39, 0
	s_and_saveexec_b32 s40, s41
; %bb.30:
	v_dual_mul_f32 v1, 4.0, v1 :: v_dual_mul_f32 v2, 4.0, v2
	s_mov_b32 s39, exec_lo
; %bb.31:
	s_or_b32 exec_lo, exec_lo, s40
	s_delay_alu instid0(SALU_CYCLE_1)
	s_and_b32 s39, s39, exec_lo
.LBB185_32:
	s_and_not1_saveexec_b32 s3, s3
; %bb.33:
	v_dual_mul_f32 v2, 0x3e800000, v2 :: v_dual_mul_f32 v1, 0x3e800000, v1
	s_and_not1_b32 s39, s39, exec_lo
; %bb.34:
	s_or_b32 exec_lo, exec_lo, s3
	s_delay_alu instid0(VALU_DEP_1) | instskip(NEXT) | instid1(VALU_DEP_2)
	v_max_f32_e64 v6, |v1|, |v1|
	v_max_f32_e64 v7, |v2|, |v2|
	s_delay_alu instid0(VALU_DEP_1) | instskip(NEXT) | instid1(VALU_DEP_1)
	v_max_f32_e32 v8, v7, v6
	v_cvt_f64_f32_e32 v[6:7], v8
	s_delay_alu instid0(VALU_DEP_1) | instskip(NEXT) | instid1(VALU_DEP_1)
	v_frexp_exp_i32_f64_e32 v6, v[6:7]
	v_sub_nc_u32_e32 v7, 0, v6
	s_delay_alu instid0(VALU_DEP_1) | instskip(SKIP_1) | instid1(VALU_DEP_2)
	v_ldexp_f32 v9, |v1|, v7
	v_ldexp_f32 v7, |v2|, v7
	v_mul_f32_e32 v9, v9, v9
	v_cmp_neq_f32_e64 s3, 0x7f800000, v8
	s_delay_alu instid0(VALU_DEP_2) | instskip(NEXT) | instid1(VALU_DEP_1)
	v_fmac_f32_e32 v9, v7, v7
	v_sqrt_f32_e32 v7, v9
	s_waitcnt_depctr 0xfff
	v_ldexp_f32 v6, v7, v6
                                        ; implicit-def: $vgpr7
	s_delay_alu instid0(VALU_DEP_1)
	v_cndmask_b32_e64 v8, 0x7f800000, v6, s3
                                        ; implicit-def: $vgpr6
	s_mov_b32 s3, exec_lo
	v_cmpx_le_f32_e32 0, v2
	s_xor_b32 s40, exec_lo, s3
	s_cbranch_execz .LBB185_40
; %bb.35:
	v_add_f32_e32 v2, v2, v8
	s_delay_alu instid0(VALU_DEP_1) | instskip(NEXT) | instid1(VALU_DEP_1)
	v_mul_f32_e32 v2, 0.5, v2
	v_mul_f32_e32 v6, 0x4f800000, v2
	v_cmp_gt_f32_e32 vcc_lo, 0xf800000, v2
	s_delay_alu instid0(VALU_DEP_2) | instskip(NEXT) | instid1(VALU_DEP_1)
	v_cndmask_b32_e32 v2, v2, v6, vcc_lo
	v_sqrt_f32_e32 v6, v2
	s_waitcnt_depctr 0xfff
	v_add_nc_u32_e32 v7, -1, v6
	v_add_nc_u32_e32 v8, 1, v6
	s_delay_alu instid0(VALU_DEP_2) | instskip(NEXT) | instid1(VALU_DEP_2)
	v_fma_f32 v9, -v7, v6, v2
	v_fma_f32 v10, -v8, v6, v2
	s_delay_alu instid0(VALU_DEP_2) | instskip(NEXT) | instid1(VALU_DEP_1)
	v_cmp_ge_f32_e64 s3, 0, v9
	v_cndmask_b32_e64 v6, v6, v7, s3
	s_delay_alu instid0(VALU_DEP_3) | instskip(NEXT) | instid1(VALU_DEP_1)
	v_cmp_lt_f32_e64 s3, 0, v10
	v_cndmask_b32_e64 v6, v6, v8, s3
	s_delay_alu instid0(VALU_DEP_1) | instskip(NEXT) | instid1(VALU_DEP_1)
	v_mul_f32_e32 v7, 0x37800000, v6
	v_cndmask_b32_e32 v6, v6, v7, vcc_lo
	v_cmp_class_f32_e64 vcc_lo, v2, 0x260
	s_delay_alu instid0(VALU_DEP_2) | instskip(NEXT) | instid1(VALU_DEP_1)
	v_cndmask_b32_e32 v6, v6, v2, vcc_lo
	v_add_f32_e32 v2, v6, v6
	s_delay_alu instid0(VALU_DEP_1) | instskip(NEXT) | instid1(VALU_DEP_1)
	v_div_scale_f32 v7, null, v2, v2, v1
	v_rcp_f32_e32 v8, v7
	s_waitcnt_depctr 0xfff
	v_fma_f32 v9, -v7, v8, 1.0
	s_delay_alu instid0(VALU_DEP_1) | instskip(SKIP_1) | instid1(VALU_DEP_1)
	v_fmac_f32_e32 v8, v9, v8
	v_div_scale_f32 v9, vcc_lo, v1, v2, v1
	v_mul_f32_e32 v10, v9, v8
	s_delay_alu instid0(VALU_DEP_1) | instskip(NEXT) | instid1(VALU_DEP_1)
	v_fma_f32 v11, -v7, v10, v9
	v_fmac_f32_e32 v10, v11, v8
	s_delay_alu instid0(VALU_DEP_1) | instskip(NEXT) | instid1(VALU_DEP_1)
	v_fma_f32 v7, -v7, v10, v9
	v_div_fmas_f32 v7, v7, v8, v10
                                        ; implicit-def: $vgpr8
	s_delay_alu instid0(VALU_DEP_1)
	v_div_fixup_f32 v7, v7, v2, v1
                                        ; implicit-def: $vgpr2
                                        ; implicit-def: $vgpr1
	s_and_not1_saveexec_b32 s40, s40
	s_cbranch_execz .LBB185_42
	s_branch .LBB185_41
.LBB185_36:
	s_mov_b32 s2, 0
                                        ; implicit-def: $vgpr7
                                        ; implicit-def: $vgpr6
	s_cbranch_execnz .LBB185_220
	s_branch .LBB185_253
.LBB185_37:
	s_mov_b32 s3, -1
	s_mov_b32 s2, 0
                                        ; implicit-def: $vgpr7
                                        ; implicit-def: $vgpr6
	s_branch .LBB185_199
.LBB185_38:
	s_mov_b32 s3, -1
	s_mov_b32 s2, 0
                                        ; implicit-def: $vgpr7
                                        ; implicit-def: $vgpr6
	s_branch .LBB185_193
.LBB185_39:
	s_mov_b32 s3, -1
	s_branch .LBB185_184
.LBB185_40:
	s_and_not1_saveexec_b32 s40, s40
	s_cbranch_execz .LBB185_42
.LBB185_41:
	v_sub_f32_e32 v2, v8, v2
	s_delay_alu instid0(VALU_DEP_1) | instskip(NEXT) | instid1(VALU_DEP_1)
	v_mul_f32_e32 v2, 0.5, v2
	v_mul_f32_e32 v6, 0x4f800000, v2
	v_cmp_gt_f32_e32 vcc_lo, 0xf800000, v2
	s_delay_alu instid0(VALU_DEP_2) | instskip(NEXT) | instid1(VALU_DEP_1)
	v_cndmask_b32_e32 v2, v2, v6, vcc_lo
	v_sqrt_f32_e32 v6, v2
	s_waitcnt_depctr 0xfff
	v_add_nc_u32_e32 v7, -1, v6
	v_add_nc_u32_e32 v8, 1, v6
	s_delay_alu instid0(VALU_DEP_2) | instskip(NEXT) | instid1(VALU_DEP_2)
	v_fma_f32 v9, -v7, v6, v2
	v_fma_f32 v10, -v8, v6, v2
	s_delay_alu instid0(VALU_DEP_2) | instskip(NEXT) | instid1(VALU_DEP_1)
	v_cmp_ge_f32_e64 s3, 0, v9
	v_cndmask_b32_e64 v6, v6, v7, s3
	s_delay_alu instid0(VALU_DEP_3) | instskip(NEXT) | instid1(VALU_DEP_1)
	v_cmp_lt_f32_e64 s3, 0, v10
	v_cndmask_b32_e64 v6, v6, v8, s3
	s_delay_alu instid0(VALU_DEP_1) | instskip(NEXT) | instid1(VALU_DEP_1)
	v_mul_f32_e32 v7, 0x37800000, v6
	v_cndmask_b32_e32 v6, v6, v7, vcc_lo
	v_cmp_class_f32_e64 vcc_lo, v2, 0x260
	s_delay_alu instid0(VALU_DEP_2) | instskip(NEXT) | instid1(VALU_DEP_1)
	v_cndmask_b32_e32 v2, v6, v2, vcc_lo
	v_dual_add_f32 v7, v2, v2 :: v_dual_and_b32 v6, 0x7fffffff, v1
	s_delay_alu instid0(VALU_DEP_1) | instskip(SKIP_1) | instid1(VALU_DEP_2)
	v_div_scale_f32 v8, null, v7, v7, v6
	v_div_scale_f32 v6, vcc_lo, v6, v7, v6
	v_rcp_f32_e32 v9, v8
	s_waitcnt_depctr 0xfff
	v_fma_f32 v10, -v8, v9, 1.0
	s_delay_alu instid0(VALU_DEP_1) | instskip(NEXT) | instid1(VALU_DEP_1)
	v_fmac_f32_e32 v9, v10, v9
	v_mul_f32_e32 v10, v6, v9
	s_delay_alu instid0(VALU_DEP_1) | instskip(NEXT) | instid1(VALU_DEP_1)
	v_fma_f32 v11, -v8, v10, v6
	v_fmac_f32_e32 v10, v11, v9
	s_delay_alu instid0(VALU_DEP_1) | instskip(NEXT) | instid1(VALU_DEP_1)
	v_fma_f32 v6, -v8, v10, v6
	v_div_fmas_f32 v6, v6, v9, v10
	s_delay_alu instid0(VALU_DEP_1)
	v_div_fixup_f32 v6, v6, v7, |v1|
	v_bfi_b32 v7, 0x7fffffff, v2, v1
.LBB185_42:
	s_or_b32 exec_lo, exec_lo, s40
                                        ; implicit-def: $vgpr1
                                        ; implicit-def: $vgpr2
	s_and_saveexec_b32 s3, s2
	s_delay_alu instid0(SALU_CYCLE_1)
	s_xor_b32 s2, exec_lo, s3
	s_cbranch_execz .LBB185_44
; %bb.43:
	v_dual_mul_f32 v1, 0.5, v6 :: v_dual_mul_f32 v8, 0.5, v7
	s_delay_alu instid0(VALU_DEP_1) | instskip(NEXT) | instid1(VALU_DEP_2)
	v_cndmask_b32_e64 v2, v6, v1, s39
	v_cndmask_b32_e64 v1, v7, v8, s39
                                        ; implicit-def: $vgpr6
                                        ; implicit-def: $vgpr7
	s_and_not1_saveexec_b32 s2, s2
	s_cbranch_execnz .LBB185_45
	s_branch .LBB185_46
.LBB185_44:
	s_and_not1_saveexec_b32 s2, s2
.LBB185_45:
	v_dual_add_f32 v2, v6, v6 :: v_dual_add_f32 v1, v7, v7
.LBB185_46:
	s_or_b32 exec_lo, exec_lo, s2
                                        ; implicit-def: $vgpr6
.LBB185_47:
	s_and_not1_saveexec_b32 s2, s38
	s_cbranch_execz .LBB185_53
; %bb.48:
	v_cmp_lt_i16_e32 vcc_lo, -1, v6
	v_sub_f32_e32 v6, v1, v1
	s_and_saveexec_b32 s3, vcc_lo
	s_delay_alu instid0(SALU_CYCLE_1)
	s_xor_b32 s3, exec_lo, s3
; %bb.49:
	s_delay_alu instid0(VALU_DEP_1)
	v_bfi_b32 v1, 0x7fffffff, v6, v1
                                        ; implicit-def: $vgpr6
; %bb.50:
	s_and_not1_saveexec_b32 s3, s3
; %bb.51:
	v_and_b32_e32 v6, 0x7fffffff, v6
	s_delay_alu instid0(VALU_DEP_2) | instskip(NEXT) | instid1(VALU_DEP_2)
	v_bfi_b32 v1, 0x7fffffff, v2, v1
	v_mov_b32_e32 v2, v6
; %bb.52:
	s_or_b32 exec_lo, exec_lo, s3
.LBB185_53:
	s_delay_alu instid0(SALU_CYCLE_1)
	s_or_b32 exec_lo, exec_lo, s2
.LBB185_54:
	s_and_not1_saveexec_b32 s2, s35
; %bb.55:
	v_sub_f32_e32 v1, v1, v1
	s_delay_alu instid0(VALU_DEP_1) | instskip(NEXT) | instid1(VALU_DEP_1)
	v_div_scale_f32 v6, vcc_lo, v1, v1, v1
	v_rcp_f32_e32 v7, v6
	s_waitcnt_depctr 0xfff
	v_fma_f32 v8, -v6, v7, 1.0
	s_delay_alu instid0(VALU_DEP_1) | instskip(NEXT) | instid1(VALU_DEP_1)
	v_fmac_f32_e32 v7, v8, v7
	v_mul_f32_e32 v8, v6, v7
	s_delay_alu instid0(VALU_DEP_1) | instskip(NEXT) | instid1(VALU_DEP_1)
	v_fma_f32 v9, -v6, v8, v6
	v_fmac_f32_e32 v8, v9, v7
	s_delay_alu instid0(VALU_DEP_1) | instskip(NEXT) | instid1(VALU_DEP_1)
	v_fma_f32 v6, -v6, v8, v6
	v_div_fmas_f32 v6, v6, v7, v8
	s_delay_alu instid0(VALU_DEP_1)
	v_div_fixup_f32 v1, v6, v1, v1
; %bb.56:
	s_or_b32 exec_lo, exec_lo, s2
.LBB185_57:
	s_delay_alu instid0(SALU_CYCLE_1)
	s_or_b32 exec_lo, exec_lo, s34
.LBB185_58:
	s_delay_alu instid0(SALU_CYCLE_1)
	s_or_b32 exec_lo, exec_lo, s23
	v_cmp_gt_f32_e32 vcc_lo, 0, v2
                                        ; implicit-def: $vgpr8
                                        ; implicit-def: $vgpr9
	s_mov_b32 s2, exec_lo
	v_cndmask_b32_e64 v6, v2, -v2, vcc_lo
	v_cmp_gt_f32_e32 vcc_lo, 0, v1
	v_cndmask_b32_e64 v7, v1, -v1, vcc_lo
	s_delay_alu instid0(VALU_DEP_1)
	v_cmpx_ge_f32_e32 v6, v7
	s_xor_b32 s3, exec_lo, s2
	s_cbranch_execz .LBB185_64
; %bb.59:
	v_cmp_neq_f32_e32 vcc_lo, 0, v2
	v_cmp_neq_f32_e64 s2, 0, v1
                                        ; implicit-def: $vgpr8
                                        ; implicit-def: $vgpr9
	s_delay_alu instid0(VALU_DEP_1) | instskip(NEXT) | instid1(SALU_CYCLE_1)
	s_or_b32 s2, vcc_lo, s2
	s_and_saveexec_b32 s23, s2
	s_delay_alu instid0(SALU_CYCLE_1)
	s_xor_b32 s2, exec_lo, s23
	s_cbranch_execz .LBB185_61
; %bb.60:
	v_div_scale_f32 v6, null, v2, v2, v1
	v_div_scale_f32 v9, vcc_lo, v1, v2, v1
	s_delay_alu instid0(VALU_DEP_2) | instskip(SKIP_2) | instid1(VALU_DEP_1)
	v_rcp_f32_e32 v7, v6
	s_waitcnt_depctr 0xfff
	v_fma_f32 v8, -v6, v7, 1.0
	v_fmac_f32_e32 v7, v8, v7
	s_delay_alu instid0(VALU_DEP_1) | instskip(NEXT) | instid1(VALU_DEP_1)
	v_mul_f32_e32 v8, v9, v7
	v_fma_f32 v10, -v6, v8, v9
	s_delay_alu instid0(VALU_DEP_1) | instskip(NEXT) | instid1(VALU_DEP_1)
	v_fmac_f32_e32 v8, v10, v7
	v_fma_f32 v6, -v6, v8, v9
	s_delay_alu instid0(VALU_DEP_1) | instskip(NEXT) | instid1(VALU_DEP_1)
	v_div_fmas_f32 v6, v6, v7, v8
	v_div_fixup_f32 v6, v6, v2, v1
	s_delay_alu instid0(VALU_DEP_1) | instskip(NEXT) | instid1(VALU_DEP_1)
	v_fmac_f32_e32 v2, v1, v6
	v_div_scale_f32 v1, null, v2, v2, 1.0
	v_div_scale_f32 v9, vcc_lo, 1.0, v2, 1.0
	s_delay_alu instid0(VALU_DEP_2) | instskip(SKIP_2) | instid1(VALU_DEP_1)
	v_rcp_f32_e32 v7, v1
	s_waitcnt_depctr 0xfff
	v_fma_f32 v8, -v1, v7, 1.0
	v_fmac_f32_e32 v7, v8, v7
	s_delay_alu instid0(VALU_DEP_1) | instskip(NEXT) | instid1(VALU_DEP_1)
	v_mul_f32_e32 v8, v9, v7
	v_fma_f32 v10, -v1, v8, v9
	s_delay_alu instid0(VALU_DEP_1) | instskip(NEXT) | instid1(VALU_DEP_1)
	v_fmac_f32_e32 v8, v10, v7
	v_fma_f32 v1, -v1, v8, v9
	s_delay_alu instid0(VALU_DEP_1) | instskip(SKIP_1) | instid1(VALU_DEP_2)
	v_div_fmas_f32 v1, v1, v7, v8
	v_fma_f32 v7, v6, 0, 1.0
	v_div_fixup_f32 v1, v1, v2, 1.0
	s_delay_alu instid0(VALU_DEP_1)
	v_mul_f32_e32 v9, v7, v1
	v_mul_f32_e64 v8, -v6, v1
                                        ; implicit-def: $vgpr6
                                        ; implicit-def: $vgpr7
.LBB185_61:
	s_and_not1_saveexec_b32 s23, s2
	s_cbranch_execz .LBB185_63
; %bb.62:
	v_div_scale_f32 v1, null, v6, v6, 1.0
	v_div_scale_f32 v2, null, v7, v7, 0
	v_div_scale_f32 v12, vcc_lo, 1.0, v6, 1.0
	s_delay_alu instid0(VALU_DEP_3) | instskip(NEXT) | instid1(VALU_DEP_2)
	v_rcp_f32_e32 v8, v1
	v_rcp_f32_e32 v9, v2
	s_waitcnt_depctr 0xfff
	v_fma_f32 v10, -v1, v8, 1.0
	v_fma_f32 v11, -v2, v9, 1.0
	s_delay_alu instid0(VALU_DEP_1) | instskip(SKIP_1) | instid1(VALU_DEP_2)
	v_dual_fmac_f32 v8, v10, v8 :: v_dual_fmac_f32 v9, v11, v9
	v_div_scale_f32 v10, s2, 0, v7, 0
	v_mul_f32_e32 v11, v12, v8
	s_delay_alu instid0(VALU_DEP_2) | instskip(NEXT) | instid1(VALU_DEP_2)
	v_mul_f32_e32 v13, v10, v9
	v_fma_f32 v14, -v1, v11, v12
	s_delay_alu instid0(VALU_DEP_2) | instskip(NEXT) | instid1(VALU_DEP_2)
	v_fma_f32 v15, -v2, v13, v10
	v_fmac_f32_e32 v11, v14, v8
	s_delay_alu instid0(VALU_DEP_2) | instskip(NEXT) | instid1(VALU_DEP_2)
	v_fmac_f32_e32 v13, v15, v9
	v_fma_f32 v1, -v1, v11, v12
	s_delay_alu instid0(VALU_DEP_2) | instskip(NEXT) | instid1(VALU_DEP_2)
	v_fma_f32 v2, -v2, v13, v10
	v_div_fmas_f32 v1, v1, v8, v11
	s_mov_b32 vcc_lo, s2
	s_delay_alu instid0(VALU_DEP_2) | instskip(NEXT) | instid1(VALU_DEP_2)
	v_div_fmas_f32 v2, v2, v9, v13
	v_div_fixup_f32 v9, v1, v6, 1.0
	s_delay_alu instid0(VALU_DEP_2)
	v_div_fixup_f32 v8, v2, v7, 0
.LBB185_63:
	s_or_b32 exec_lo, exec_lo, s23
                                        ; implicit-def: $vgpr1
                                        ; implicit-def: $vgpr2
.LBB185_64:
	s_and_not1_saveexec_b32 s2, s3
	s_cbranch_execz .LBB185_66
; %bb.65:
	v_div_scale_f32 v6, null, v1, v1, v2
	v_div_scale_f32 v9, vcc_lo, v2, v1, v2
	s_delay_alu instid0(VALU_DEP_2) | instskip(SKIP_2) | instid1(VALU_DEP_1)
	v_rcp_f32_e32 v7, v6
	s_waitcnt_depctr 0xfff
	v_fma_f32 v8, -v6, v7, 1.0
	v_fmac_f32_e32 v7, v8, v7
	s_delay_alu instid0(VALU_DEP_1) | instskip(NEXT) | instid1(VALU_DEP_1)
	v_mul_f32_e32 v8, v9, v7
	v_fma_f32 v10, -v6, v8, v9
	s_delay_alu instid0(VALU_DEP_1) | instskip(NEXT) | instid1(VALU_DEP_1)
	v_fmac_f32_e32 v8, v10, v7
	v_fma_f32 v6, -v6, v8, v9
	s_delay_alu instid0(VALU_DEP_1) | instskip(NEXT) | instid1(VALU_DEP_1)
	v_div_fmas_f32 v6, v6, v7, v8
	v_div_fixup_f32 v6, v6, v1, v2
	s_delay_alu instid0(VALU_DEP_1) | instskip(NEXT) | instid1(VALU_DEP_1)
	v_fmac_f32_e32 v1, v2, v6
	v_div_scale_f32 v2, null, v1, v1, 1.0
	v_div_scale_f32 v9, vcc_lo, 1.0, v1, 1.0
	s_delay_alu instid0(VALU_DEP_2) | instskip(SKIP_2) | instid1(VALU_DEP_1)
	v_rcp_f32_e32 v7, v2
	s_waitcnt_depctr 0xfff
	v_fma_f32 v8, -v2, v7, 1.0
	v_fmac_f32_e32 v7, v8, v7
	s_delay_alu instid0(VALU_DEP_1) | instskip(NEXT) | instid1(VALU_DEP_1)
	v_mul_f32_e32 v8, v9, v7
	v_fma_f32 v10, -v2, v8, v9
	s_delay_alu instid0(VALU_DEP_1) | instskip(NEXT) | instid1(VALU_DEP_1)
	v_fmac_f32_e32 v8, v10, v7
	v_fma_f32 v2, -v2, v8, v9
	s_delay_alu instid0(VALU_DEP_1) | instskip(SKIP_1) | instid1(VALU_DEP_2)
	v_div_fmas_f32 v2, v2, v7, v8
	v_add_f32_e32 v7, 0, v6
	v_div_fixup_f32 v1, v2, v1, 1.0
	v_fma_f32 v2, v6, 0, -1.0
	s_delay_alu instid0(VALU_DEP_2) | instskip(NEXT) | instid1(VALU_DEP_2)
	v_mul_f32_e32 v9, v7, v1
	v_mul_f32_e32 v8, v2, v1
.LBB185_66:
	s_or_b32 exec_lo, exec_lo, s2
	s_delay_alu instid0(VALU_DEP_1) | instskip(NEXT) | instid1(VALU_DEP_3)
	v_cvt_f16_f32_e32 v8, v8
	v_cvt_f16_f32_e32 v2, v9
	v_and_b32_e32 v6, 0xff, v3
	v_add_co_u32 v0, s3, s4, v0
	s_delay_alu instid0(VALU_DEP_4) | instskip(NEXT) | instid1(VALU_DEP_4)
	v_lshlrev_b32_e32 v1, 16, v8
	v_and_b32_e32 v7, 0xffff, v2
	s_delay_alu instid0(VALU_DEP_4) | instskip(SKIP_2) | instid1(VALU_DEP_2)
	v_cmp_gt_i16_e32 vcc_lo, 11, v6
	s_mov_b32 s2, 0
	s_mov_b32 s23, -1
	v_or_b32_e32 v7, v1, v7
	v_add_co_ci_u32_e64 v1, null, s5, 0, s3
	s_mov_b32 s3, 0
	s_cbranch_vccnz .LBB185_143
; %bb.67:
	v_cmp_lt_i16_e32 vcc_lo, 25, v6
	s_cbranch_vccz .LBB185_100
; %bb.68:
	v_cmp_lt_i16_e32 vcc_lo, 28, v6
	s_cbranch_vccz .LBB185_83
	;; [unrolled: 3-line block ×4, first 2 shown]
; %bb.71:
	v_cmp_eq_u16_e32 vcc_lo, 46, v6
	s_mov_b32 s23, 0
	s_mov_b32 s2, -1
	s_cbranch_vccz .LBB185_73
; %bb.72:
	v_cvt_f32_f16_e32 v9, v8
	v_cvt_f32_f16_e32 v10, v2
	v_cmp_o_f16_e32 vcc_lo, v8, v8
	s_mov_b32 s3, -1
	s_mov_b32 s2, 0
	v_bfe_u32 v11, v9, 16, 1
	v_bfe_u32 v12, v10, 16, 1
	s_delay_alu instid0(VALU_DEP_2) | instskip(NEXT) | instid1(VALU_DEP_2)
	v_add3_u32 v9, v9, v11, 0x7fff
	v_add3_u32 v10, v10, v12, 0x7fff
	s_delay_alu instid0(VALU_DEP_2) | instskip(NEXT) | instid1(VALU_DEP_2)
	v_and_b32_e32 v9, 0xffff0000, v9
	v_lshrrev_b32_e32 v10, 16, v10
	s_delay_alu instid0(VALU_DEP_2) | instskip(SKIP_1) | instid1(VALU_DEP_3)
	v_cndmask_b32_e32 v9, 0x7fc00000, v9, vcc_lo
	v_cmp_o_f16_e32 vcc_lo, v2, v2
	v_cndmask_b32_e32 v10, 0x7fc0, v10, vcc_lo
	s_delay_alu instid0(VALU_DEP_1)
	v_or_b32_e32 v9, v9, v10
	global_store_b32 v[0:1], v9, off
.LBB185_73:
	s_and_b32 vcc_lo, exec_lo, s23
	s_cbranch_vccz .LBB185_78
; %bb.74:
	v_cmp_eq_u16_e32 vcc_lo, 44, v6
	s_mov_b32 s2, -1
	s_cbranch_vccz .LBB185_78
; %bb.75:
	v_cvt_f32_f16_e32 v9, v2
	v_mov_b32_e32 v10, 0xff
	s_mov_b32 s3, exec_lo
	s_delay_alu instid0(VALU_DEP_2) | instskip(NEXT) | instid1(VALU_DEP_1)
	v_bfe_u32 v11, v9, 23, 8
	v_cmpx_ne_u32_e32 0xff, v11
; %bb.76:
	v_and_b32_e32 v10, 0x400000, v9
	v_and_or_b32 v11, 0x3fffff, v9, v11
	v_lshrrev_b32_e32 v9, 23, v9
	s_delay_alu instid0(VALU_DEP_3) | instskip(NEXT) | instid1(VALU_DEP_3)
	v_cmp_ne_u32_e32 vcc_lo, 0, v10
	v_cmp_ne_u32_e64 s2, 0, v11
	s_delay_alu instid0(VALU_DEP_1) | instskip(NEXT) | instid1(SALU_CYCLE_1)
	s_and_b32 s2, vcc_lo, s2
	v_cndmask_b32_e64 v10, 0, 1, s2
	s_delay_alu instid0(VALU_DEP_1)
	v_add_nc_u32_e32 v10, v9, v10
; %bb.77:
	s_or_b32 exec_lo, exec_lo, s3
	s_mov_b32 s3, -1
	s_mov_b32 s2, 0
	global_store_b8 v[0:1], v10, off
.LBB185_78:
	s_mov_b32 s23, 0
.LBB185_79:
	s_delay_alu instid0(SALU_CYCLE_1)
	s_and_b32 vcc_lo, exec_lo, s23
	s_cbranch_vccz .LBB185_82
; %bb.80:
	v_cmp_eq_u16_e32 vcc_lo, 29, v6
	s_mov_b32 s2, -1
	s_cbranch_vccz .LBB185_82
; %bb.81:
	v_cvt_f32_f16_e32 v9, v2
	v_mov_b32_e32 v10, 0
	s_mov_b32 s2, 0
	s_mov_b32 s3, -1
	s_delay_alu instid0(VALU_DEP_2)
	v_cvt_u32_f32_e32 v9, v9
	global_store_b64 v[0:1], v[9:10], off
.LBB185_82:
	s_mov_b32 s23, 0
.LBB185_83:
	s_delay_alu instid0(SALU_CYCLE_1)
	s_and_b32 vcc_lo, exec_lo, s23
	s_cbranch_vccz .LBB185_99
; %bb.84:
	v_cmp_gt_i16_e32 vcc_lo, 27, v6
	s_mov_b32 s3, -1
	s_cbranch_vccnz .LBB185_90
; %bb.85:
	v_cmp_lt_i16_e32 vcc_lo, 27, v6
	s_cbranch_vccz .LBB185_87
; %bb.86:
	v_cvt_f32_f16_e32 v9, v2
	s_mov_b32 s3, 0
	s_delay_alu instid0(VALU_DEP_1)
	v_cvt_u32_f32_e32 v9, v9
	global_store_b32 v[0:1], v9, off
.LBB185_87:
	s_and_not1_b32 vcc_lo, exec_lo, s3
	s_cbranch_vccnz .LBB185_89
; %bb.88:
	v_cvt_u16_f16_e32 v9, v2
	global_store_b16 v[0:1], v9, off
.LBB185_89:
	s_mov_b32 s3, 0
.LBB185_90:
	s_delay_alu instid0(SALU_CYCLE_1)
	s_and_not1_b32 vcc_lo, exec_lo, s3
	s_cbranch_vccnz .LBB185_98
; %bb.91:
	v_cvt_f32_f16_e32 v9, v2
	v_mov_b32_e32 v11, 0x80
	s_mov_b32 s3, exec_lo
	s_delay_alu instid0(VALU_DEP_2) | instskip(NEXT) | instid1(VALU_DEP_1)
	v_and_b32_e32 v10, 0x7fffffff, v9
	v_cmpx_gt_u32_e32 0x43800000, v10
	s_cbranch_execz .LBB185_97
; %bb.92:
	v_cmp_lt_u32_e32 vcc_lo, 0x3bffffff, v10
	s_mov_b32 s23, 0
                                        ; implicit-def: $vgpr10
	s_and_saveexec_b32 s34, vcc_lo
	s_delay_alu instid0(SALU_CYCLE_1)
	s_xor_b32 s34, exec_lo, s34
	s_cbranch_execz .LBB185_188
; %bb.93:
	v_bfe_u32 v10, v9, 20, 1
	s_mov_b32 s23, exec_lo
	s_delay_alu instid0(VALU_DEP_1) | instskip(NEXT) | instid1(VALU_DEP_1)
	v_add3_u32 v10, v9, v10, 0x487ffff
	v_lshrrev_b32_e32 v10, 20, v10
	s_or_saveexec_b32 s34, s34
                                        ; implicit-def: $sgpr35
	s_delay_alu instid0(SALU_CYCLE_1)
	s_xor_b32 exec_lo, exec_lo, s34
	s_cbranch_execnz .LBB185_189
.LBB185_94:
	s_or_b32 exec_lo, exec_lo, s34
	v_mov_b32_e32 v11, s35
	s_and_saveexec_b32 s34, s23
.LBB185_95:
	v_lshrrev_b32_e32 v9, 24, v9
	s_delay_alu instid0(VALU_DEP_1)
	v_and_or_b32 v11, 0x80, v9, v10
.LBB185_96:
	s_or_b32 exec_lo, exec_lo, s34
.LBB185_97:
	s_delay_alu instid0(SALU_CYCLE_1)
	s_or_b32 exec_lo, exec_lo, s3
	global_store_b8 v[0:1], v11, off
.LBB185_98:
	s_mov_b32 s3, -1
.LBB185_99:
	s_mov_b32 s23, 0
.LBB185_100:
	s_delay_alu instid0(SALU_CYCLE_1)
	s_and_b32 vcc_lo, exec_lo, s23
	s_cbranch_vccz .LBB185_141
; %bb.101:
	v_cmp_lt_i16_e32 vcc_lo, 22, v6
	s_mov_b32 s23, -1
	s_cbranch_vccz .LBB185_133
; %bb.102:
	v_cmp_gt_i16_e32 vcc_lo, 24, v6
	s_mov_b32 s3, -1
	s_cbranch_vccnz .LBB185_122
; %bb.103:
	v_cmp_lt_i16_e32 vcc_lo, 24, v6
	s_cbranch_vccz .LBB185_111
; %bb.104:
	v_cvt_f32_f16_e32 v9, v2
	v_mov_b32_e32 v11, 0x80
	s_mov_b32 s3, exec_lo
	s_delay_alu instid0(VALU_DEP_2) | instskip(NEXT) | instid1(VALU_DEP_1)
	v_and_b32_e32 v10, 0x7fffffff, v9
	v_cmpx_gt_u32_e32 0x47800000, v10
	s_cbranch_execz .LBB185_110
; %bb.105:
	v_cmp_lt_u32_e32 vcc_lo, 0x37ffffff, v10
	s_mov_b32 s23, 0
                                        ; implicit-def: $vgpr10
	s_and_saveexec_b32 s34, vcc_lo
	s_delay_alu instid0(SALU_CYCLE_1)
	s_xor_b32 s34, exec_lo, s34
	s_cbranch_execz .LBB185_422
; %bb.106:
	v_bfe_u32 v10, v9, 21, 1
	s_mov_b32 s23, exec_lo
	s_delay_alu instid0(VALU_DEP_1) | instskip(NEXT) | instid1(VALU_DEP_1)
	v_add3_u32 v10, v9, v10, 0x88fffff
	v_lshrrev_b32_e32 v10, 21, v10
	s_or_saveexec_b32 s34, s34
                                        ; implicit-def: $sgpr35
	s_delay_alu instid0(SALU_CYCLE_1)
	s_xor_b32 exec_lo, exec_lo, s34
	s_cbranch_execnz .LBB185_423
.LBB185_107:
	s_or_b32 exec_lo, exec_lo, s34
	v_mov_b32_e32 v11, s35
	s_and_saveexec_b32 s34, s23
.LBB185_108:
	v_lshrrev_b32_e32 v9, 24, v9
	s_delay_alu instid0(VALU_DEP_1)
	v_and_or_b32 v11, 0x80, v9, v10
.LBB185_109:
	s_or_b32 exec_lo, exec_lo, s34
.LBB185_110:
	s_delay_alu instid0(SALU_CYCLE_1)
	s_or_b32 exec_lo, exec_lo, s3
	s_mov_b32 s3, 0
	global_store_b8 v[0:1], v11, off
.LBB185_111:
	s_and_b32 vcc_lo, exec_lo, s3
	s_cbranch_vccz .LBB185_121
; %bb.112:
	v_cvt_f32_f16_e32 v9, v2
	s_mov_b32 s3, exec_lo
                                        ; implicit-def: $vgpr10
	s_delay_alu instid0(VALU_DEP_1) | instskip(NEXT) | instid1(VALU_DEP_1)
	v_and_b32_e32 v11, 0x7fffffff, v9
	v_cmpx_gt_u32_e32 0x43f00000, v11
	s_xor_b32 s3, exec_lo, s3
	s_cbranch_execz .LBB185_118
; %bb.113:
	s_mov_b32 s23, exec_lo
                                        ; implicit-def: $vgpr10
	v_cmpx_lt_u32_e32 0x3c7fffff, v11
	s_xor_b32 s23, exec_lo, s23
; %bb.114:
	v_bfe_u32 v10, v9, 20, 1
	s_delay_alu instid0(VALU_DEP_1) | instskip(NEXT) | instid1(VALU_DEP_1)
	v_add3_u32 v10, v9, v10, 0x407ffff
	v_and_b32_e32 v11, 0xff00000, v10
	v_lshrrev_b32_e32 v10, 20, v10
	s_delay_alu instid0(VALU_DEP_2) | instskip(NEXT) | instid1(VALU_DEP_2)
	v_cmp_ne_u32_e32 vcc_lo, 0x7f00000, v11
	v_cndmask_b32_e32 v10, 0x7e, v10, vcc_lo
; %bb.115:
	s_and_not1_saveexec_b32 s23, s23
; %bb.116:
	v_add_f32_e64 v10, 0x46800000, |v9|
; %bb.117:
	s_or_b32 exec_lo, exec_lo, s23
                                        ; implicit-def: $vgpr11
.LBB185_118:
	s_and_not1_saveexec_b32 s3, s3
; %bb.119:
	v_mov_b32_e32 v10, 0x7f
	v_cmp_lt_u32_e32 vcc_lo, 0x7f800000, v11
	s_delay_alu instid0(VALU_DEP_2)
	v_cndmask_b32_e32 v10, 0x7e, v10, vcc_lo
; %bb.120:
	s_or_b32 exec_lo, exec_lo, s3
	v_lshrrev_b32_e32 v9, 24, v9
	s_delay_alu instid0(VALU_DEP_1)
	v_and_or_b32 v9, 0x80, v9, v10
	global_store_b8 v[0:1], v9, off
.LBB185_121:
	s_mov_b32 s3, 0
.LBB185_122:
	s_delay_alu instid0(SALU_CYCLE_1)
	s_and_not1_b32 vcc_lo, exec_lo, s3
	s_cbranch_vccnz .LBB185_132
; %bb.123:
	v_cvt_f32_f16_e32 v9, v2
	s_mov_b32 s3, exec_lo
                                        ; implicit-def: $vgpr10
	s_delay_alu instid0(VALU_DEP_1) | instskip(NEXT) | instid1(VALU_DEP_1)
	v_and_b32_e32 v11, 0x7fffffff, v9
	v_cmpx_gt_u32_e32 0x47800000, v11
	s_xor_b32 s3, exec_lo, s3
	s_cbranch_execz .LBB185_129
; %bb.124:
	s_mov_b32 s23, exec_lo
                                        ; implicit-def: $vgpr10
	v_cmpx_lt_u32_e32 0x387fffff, v11
	s_xor_b32 s23, exec_lo, s23
; %bb.125:
	v_bfe_u32 v10, v9, 21, 1
	s_delay_alu instid0(VALU_DEP_1) | instskip(NEXT) | instid1(VALU_DEP_1)
	v_add3_u32 v10, v9, v10, 0x80fffff
	v_lshrrev_b32_e32 v10, 21, v10
; %bb.126:
	s_and_not1_saveexec_b32 s23, s23
; %bb.127:
	v_add_f32_e64 v10, 0x43000000, |v9|
; %bb.128:
	s_or_b32 exec_lo, exec_lo, s23
                                        ; implicit-def: $vgpr11
.LBB185_129:
	s_and_not1_saveexec_b32 s3, s3
; %bb.130:
	v_mov_b32_e32 v10, 0x7f
	v_cmp_lt_u32_e32 vcc_lo, 0x7f800000, v11
	s_delay_alu instid0(VALU_DEP_2)
	v_cndmask_b32_e32 v10, 0x7c, v10, vcc_lo
; %bb.131:
	s_or_b32 exec_lo, exec_lo, s3
	v_lshrrev_b32_e32 v9, 24, v9
	s_delay_alu instid0(VALU_DEP_1)
	v_and_or_b32 v9, 0x80, v9, v10
	global_store_b8 v[0:1], v9, off
.LBB185_132:
	s_mov_b32 s23, 0
	s_mov_b32 s3, -1
.LBB185_133:
	s_and_not1_b32 vcc_lo, exec_lo, s23
	s_cbranch_vccnz .LBB185_141
; %bb.134:
	v_cmp_lt_i16_e32 vcc_lo, 14, v6
	s_mov_b32 s23, -1
	s_cbranch_vccz .LBB185_138
; %bb.135:
	v_cmp_eq_u16_e32 vcc_lo, 15, v6
	s_mov_b32 s2, -1
	s_cbranch_vccz .LBB185_137
; %bb.136:
	v_cvt_f32_f16_e32 v9, v2
	v_cmp_o_f16_e32 vcc_lo, v2, v2
	s_mov_b32 s3, -1
	s_mov_b32 s2, 0
	s_delay_alu instid0(VALU_DEP_2) | instskip(NEXT) | instid1(VALU_DEP_1)
	v_bfe_u32 v10, v9, 16, 1
	v_add3_u32 v9, v9, v10, 0x7fff
	s_delay_alu instid0(VALU_DEP_1) | instskip(NEXT) | instid1(VALU_DEP_1)
	v_lshrrev_b32_e32 v9, 16, v9
	v_cndmask_b32_e32 v9, 0x7fc0, v9, vcc_lo
	global_store_b16 v[0:1], v9, off
.LBB185_137:
	s_mov_b32 s23, 0
.LBB185_138:
	s_delay_alu instid0(SALU_CYCLE_1)
	s_and_b32 vcc_lo, exec_lo, s23
	s_cbranch_vccz .LBB185_141
; %bb.139:
	v_cmp_eq_u16_e32 vcc_lo, 11, v6
	s_mov_b32 s2, -1
	s_cbranch_vccz .LBB185_141
; %bb.140:
	v_and_b32_e32 v9, 0x7fff7fff, v7
	s_mov_b32 s2, 0
	s_mov_b32 s3, -1
	s_delay_alu instid0(VALU_DEP_1)
	v_cmp_ne_u32_e32 vcc_lo, 0, v9
	v_cndmask_b32_e64 v9, 0, 1, vcc_lo
	global_store_b8 v[0:1], v9, off
.LBB185_141:
.LBB185_142:
	s_and_not1_b32 vcc_lo, exec_lo, s3
	s_cbranch_vccz .LBB185_182
	s_branch .LBB185_304
.LBB185_143:
	s_and_b32 vcc_lo, exec_lo, s23
	s_cbranch_vccz .LBB185_142
; %bb.144:
	v_cmp_gt_i16_e32 vcc_lo, 5, v6
	s_mov_b32 s3, -1
	s_cbranch_vccnz .LBB185_165
; %bb.145:
	v_cmp_gt_i16_e32 vcc_lo, 8, v6
	s_cbranch_vccnz .LBB185_155
; %bb.146:
	v_cmp_gt_i16_e32 vcc_lo, 9, v6
	s_cbranch_vccnz .LBB185_152
; %bb.147:
	v_cmp_lt_i16_e32 vcc_lo, 9, v6
	s_cbranch_vccz .LBB185_149
; %bb.148:
	v_cvt_f32_f16_e32 v9, v2
	v_cvt_f32_f16_e32 v11, v8
	s_mov_b32 s3, 0
	s_delay_alu instid0(VALU_DEP_2) | instskip(NEXT) | instid1(VALU_DEP_2)
	v_cvt_f64_f32_e32 v[9:10], v9
	v_cvt_f64_f32_e32 v[11:12], v11
	global_store_b128 v[0:1], v[9:12], off
.LBB185_149:
	s_and_not1_b32 vcc_lo, exec_lo, s3
	s_cbranch_vccnz .LBB185_151
; %bb.150:
	v_cvt_f32_f16_e32 v9, v2
	v_cvt_f32_f16_e32 v10, v8
	global_store_b64 v[0:1], v[9:10], off
.LBB185_151:
	s_mov_b32 s3, 0
.LBB185_152:
	s_delay_alu instid0(SALU_CYCLE_1)
	s_and_not1_b32 vcc_lo, exec_lo, s3
	s_cbranch_vccnz .LBB185_154
; %bb.153:
	global_store_b32 v[0:1], v7, off
.LBB185_154:
	s_mov_b32 s3, 0
.LBB185_155:
	s_delay_alu instid0(SALU_CYCLE_1)
	s_and_not1_b32 vcc_lo, exec_lo, s3
	s_cbranch_vccnz .LBB185_164
; %bb.156:
	v_cmp_gt_i16_e32 vcc_lo, 6, v6
	s_mov_b32 s3, -1
	s_cbranch_vccnz .LBB185_162
; %bb.157:
	v_cmp_lt_i16_e32 vcc_lo, 6, v6
	s_cbranch_vccz .LBB185_159
; %bb.158:
	v_cvt_f32_f16_e32 v7, v2
	s_mov_b32 s3, 0
	s_delay_alu instid0(VALU_DEP_1)
	v_cvt_f64_f32_e32 v[7:8], v7
	global_store_b64 v[0:1], v[7:8], off
.LBB185_159:
	s_and_not1_b32 vcc_lo, exec_lo, s3
	s_cbranch_vccnz .LBB185_161
; %bb.160:
	v_cvt_f32_f16_e32 v7, v2
	global_store_b32 v[0:1], v7, off
.LBB185_161:
	s_mov_b32 s3, 0
.LBB185_162:
	s_delay_alu instid0(SALU_CYCLE_1)
	s_and_not1_b32 vcc_lo, exec_lo, s3
	s_cbranch_vccnz .LBB185_164
; %bb.163:
	global_store_b16 v[0:1], v2, off
.LBB185_164:
	s_mov_b32 s3, 0
.LBB185_165:
	s_delay_alu instid0(SALU_CYCLE_1)
	s_and_not1_b32 vcc_lo, exec_lo, s3
	s_cbranch_vccnz .LBB185_181
; %bb.166:
	v_cmp_gt_i16_e32 vcc_lo, 2, v6
	s_mov_b32 s3, -1
	s_cbranch_vccnz .LBB185_176
; %bb.167:
	v_cmp_gt_i16_e32 vcc_lo, 3, v6
	s_cbranch_vccnz .LBB185_173
; %bb.168:
	v_cmp_lt_i16_e32 vcc_lo, 3, v6
	s_cbranch_vccz .LBB185_170
; %bb.169:
	v_cvt_f32_f16_e32 v7, v2
	s_mov_b32 s3, 0
	s_delay_alu instid0(VALU_DEP_1) | instskip(NEXT) | instid1(VALU_DEP_1)
	v_cvt_i32_f32_e32 v7, v7
	v_ashrrev_i32_e32 v8, 31, v7
	global_store_b64 v[0:1], v[7:8], off
.LBB185_170:
	s_and_not1_b32 vcc_lo, exec_lo, s3
	s_cbranch_vccnz .LBB185_172
; %bb.171:
	v_cvt_f32_f16_e32 v7, v2
	s_delay_alu instid0(VALU_DEP_1)
	v_cvt_i32_f32_e32 v7, v7
	global_store_b32 v[0:1], v7, off
.LBB185_172:
	s_mov_b32 s3, 0
.LBB185_173:
	s_delay_alu instid0(SALU_CYCLE_1)
	s_and_not1_b32 vcc_lo, exec_lo, s3
	s_cbranch_vccnz .LBB185_175
; %bb.174:
	v_cvt_i16_f16_e32 v7, v2
	global_store_b16 v[0:1], v7, off
.LBB185_175:
	s_mov_b32 s3, 0
.LBB185_176:
	s_delay_alu instid0(SALU_CYCLE_1)
	s_and_not1_b32 vcc_lo, exec_lo, s3
	s_cbranch_vccnz .LBB185_181
; %bb.177:
	v_cmp_lt_i16_e32 vcc_lo, 0, v6
	s_mov_b32 s3, -1
	s_cbranch_vccz .LBB185_179
; %bb.178:
	v_cvt_i16_f16_e32 v6, v2
	s_mov_b32 s3, 0
	global_store_b8 v[0:1], v6, off
.LBB185_179:
	s_and_not1_b32 vcc_lo, exec_lo, s3
	s_cbranch_vccnz .LBB185_181
; %bb.180:
	v_cvt_f32_f16_e32 v2, v2
	s_delay_alu instid0(VALU_DEP_1)
	v_cvt_i32_f32_e32 v2, v2
	global_store_b8 v[0:1], v2, off
.LBB185_181:
.LBB185_182:
	v_add_nc_u32_e32 v5, 0x80, v5
	s_mov_b32 s3, -1
	s_branch .LBB185_305
.LBB185_183:
	s_mov_b32 s22, -1
.LBB185_184:
	s_mov_b32 s2, 0
                                        ; implicit-def: $vgpr7
                                        ; implicit-def: $vgpr6
.LBB185_185:
	s_and_b32 vcc_lo, exec_lo, s3
	s_cbranch_vccz .LBB185_192
; %bb.186:
	v_cmp_eq_u16_e32 vcc_lo, 44, v4
	s_cbranch_vccz .LBB185_190
; %bb.187:
	global_load_u8 v6, v[1:2], off
	s_mov_b32 s22, 0
	s_mov_b32 s2, -1
	s_waitcnt vmcnt(0)
	v_lshlrev_b32_e32 v7, 23, v6
	v_cmp_ne_u32_e32 vcc_lo, 0xff, v6
	s_delay_alu instid0(VALU_DEP_2) | instskip(NEXT) | instid1(VALU_DEP_1)
	v_cvt_f16_f32_e32 v7, v7
	v_cndmask_b32_e32 v7, 0x7e00, v7, vcc_lo
	v_cmp_ne_u32_e32 vcc_lo, 0, v6
	s_delay_alu instid0(VALU_DEP_2)
	v_cndmask_b32_e32 v6, 0, v7, vcc_lo
	s_branch .LBB185_191
.LBB185_188:
	s_or_saveexec_b32 s34, s34
                                        ; implicit-def: $sgpr35
	s_delay_alu instid0(SALU_CYCLE_1)
	s_xor_b32 exec_lo, exec_lo, s34
	s_cbranch_execz .LBB185_94
.LBB185_189:
	v_add_f32_e64 v10, 0x46000000, |v9|
	s_and_not1_b32 s23, s23, exec_lo
	s_mov_b32 s35, 0
	s_delay_alu instid0(VALU_DEP_1) | instskip(NEXT) | instid1(VALU_DEP_1)
	v_and_b32_e32 v10, 0xff, v10
	v_cmp_ne_u32_e32 vcc_lo, 0, v10
	s_and_b32 s38, vcc_lo, exec_lo
	s_delay_alu instid0(SALU_CYCLE_1)
	s_or_b32 s23, s23, s38
	s_or_b32 exec_lo, exec_lo, s34
	v_mov_b32_e32 v11, s35
	s_and_saveexec_b32 s34, s23
	s_cbranch_execnz .LBB185_95
	s_branch .LBB185_96
.LBB185_190:
	s_mov_b32 s22, -1
                                        ; implicit-def: $vgpr6
.LBB185_191:
	s_delay_alu instid0(SALU_CYCLE_1)
	v_mov_b32_e32 v7, s22
.LBB185_192:
	s_mov_b32 s3, 0
.LBB185_193:
	s_delay_alu instid0(SALU_CYCLE_1)
	s_and_b32 vcc_lo, exec_lo, s3
	s_cbranch_vccz .LBB185_198
; %bb.194:
	v_cmp_eq_u16_e32 vcc_lo, 29, v4
	s_cbranch_vccz .LBB185_196
; %bb.195:
	global_load_b64 v[6:7], v[1:2], off
	s_mov_b32 s2, -1
	s_mov_b32 s22, 0
	s_mov_b32 s3, 0
	s_waitcnt vmcnt(0)
	v_clz_i32_u32_e32 v8, v7
	s_delay_alu instid0(VALU_DEP_1) | instskip(NEXT) | instid1(VALU_DEP_1)
	v_min_u32_e32 v8, 32, v8
	v_lshlrev_b64 v[6:7], v8, v[6:7]
	s_delay_alu instid0(VALU_DEP_1) | instskip(NEXT) | instid1(VALU_DEP_1)
	v_min_u32_e32 v6, 1, v6
	v_or_b32_e32 v6, v7, v6
	v_sub_nc_u32_e32 v7, 32, v8
	s_delay_alu instid0(VALU_DEP_2) | instskip(NEXT) | instid1(VALU_DEP_1)
	v_cvt_f32_u32_e32 v6, v6
	v_ldexp_f32 v6, v6, v7
	s_delay_alu instid0(VALU_DEP_1)
	v_cvt_f16_f32_e32 v6, v6
	s_branch .LBB185_197
.LBB185_196:
	s_mov_b32 s22, -1
                                        ; implicit-def: $sgpr3
                                        ; implicit-def: $vgpr6
.LBB185_197:
	v_mov_b32_e32 v7, s3
.LBB185_198:
	s_mov_b32 s3, 0
.LBB185_199:
	s_delay_alu instid0(SALU_CYCLE_1)
	s_and_b32 vcc_lo, exec_lo, s3
	s_cbranch_vccz .LBB185_219
; %bb.200:
	v_cmp_gt_i16_e32 vcc_lo, 27, v4
	s_cbranch_vccnz .LBB185_203
; %bb.201:
	v_cmp_lt_i16_e32 vcc_lo, 27, v4
	s_cbranch_vccz .LBB185_204
; %bb.202:
	global_load_b32 v6, v[1:2], off
	s_mov_b32 s3, 0
	s_mov_b32 s2, 0
	s_waitcnt vmcnt(0)
	v_cvt_f32_u32_e32 v6, v6
	s_delay_alu instid0(VALU_DEP_1)
	v_cvt_f16_f32_e32 v6, v6
	s_branch .LBB185_205
.LBB185_203:
	s_mov_b32 s3, -1
                                        ; implicit-def: $sgpr2
                                        ; implicit-def: $vgpr6
	s_branch .LBB185_208
.LBB185_204:
	s_mov_b32 s3, -1
                                        ; implicit-def: $sgpr2
                                        ; implicit-def: $vgpr6
.LBB185_205:
	s_delay_alu instid0(SALU_CYCLE_1)
	s_and_not1_b32 vcc_lo, exec_lo, s3
	s_cbranch_vccnz .LBB185_207
; %bb.206:
	global_load_u16 v6, v[1:2], off
	s_mov_b32 s2, 0
	s_waitcnt vmcnt(0)
	v_cvt_f16_u16_e32 v6, v6
.LBB185_207:
	s_mov_b32 s3, 0
.LBB185_208:
	v_mov_b32_e32 v7, s2
	s_and_not1_b32 vcc_lo, exec_lo, s3
	s_cbranch_vccnz .LBB185_218
; %bb.209:
	global_load_u8 v8, v[1:2], off
	s_mov_b32 s2, 0
	s_mov_b32 s34, exec_lo
                                        ; implicit-def: $sgpr23
                                        ; implicit-def: $sgpr3
	s_waitcnt vmcnt(0)
	v_cmpx_lt_i16_e32 0x7f, v8
	s_xor_b32 s34, exec_lo, s34
	s_cbranch_execz .LBB185_213
; %bb.210:
	s_mov_b32 s2, -1
	s_mov_b32 s35, exec_lo
                                        ; implicit-def: $sgpr23
                                        ; implicit-def: $sgpr3
	v_cmpx_eq_u16_e32 0x80, v8
; %bb.211:
	s_movk_i32 s3, 0x7e00
	s_mov_b32 s23, 0
	s_xor_b32 s2, exec_lo, -1
; %bb.212:
	s_or_b32 exec_lo, exec_lo, s35
	s_delay_alu instid0(SALU_CYCLE_1)
	s_and_b32 s2, s2, exec_lo
.LBB185_213:
	s_or_saveexec_b32 s34, s34
	v_dual_mov_b32 v7, s23 :: v_dual_mov_b32 v6, s3
	s_xor_b32 exec_lo, exec_lo, s34
; %bb.214:
	v_cmp_ne_u16_e32 vcc_lo, 0, v8
	v_dual_mov_b32 v7, 0 :: v_dual_mov_b32 v6, v8
	s_and_not1_b32 s2, s2, exec_lo
	s_and_b32 s3, vcc_lo, exec_lo
	s_delay_alu instid0(SALU_CYCLE_1)
	s_or_b32 s2, s2, s3
; %bb.215:
	s_or_b32 exec_lo, exec_lo, s34
	s_and_saveexec_b32 s3, s2
	s_cbranch_execz .LBB185_217
; %bb.216:
	v_and_b32_e32 v6, 0xffff, v8
	v_lshlrev_b32_e32 v8, 24, v8
	s_delay_alu instid0(VALU_DEP_2) | instskip(NEXT) | instid1(VALU_DEP_2)
	v_and_b32_e32 v7, 7, v6
	v_and_b32_e32 v8, 0x80000000, v8
	s_delay_alu instid0(VALU_DEP_2) | instskip(NEXT) | instid1(VALU_DEP_1)
	v_clz_i32_u32_e32 v9, v7
	v_min_u32_e32 v9, 32, v9
	s_delay_alu instid0(VALU_DEP_1) | instskip(SKIP_1) | instid1(VALU_DEP_2)
	v_subrev_nc_u32_e32 v10, 28, v9
	v_sub_nc_u32_e32 v9, 29, v9
	v_lshlrev_b32_e32 v10, v10, v6
	v_bfe_u32 v6, v6, 3, 4
	s_delay_alu instid0(VALU_DEP_2) | instskip(NEXT) | instid1(VALU_DEP_2)
	v_and_b32_e32 v10, 7, v10
	v_cmp_eq_u32_e32 vcc_lo, 0, v6
	s_delay_alu instid0(VALU_DEP_2) | instskip(NEXT) | instid1(VALU_DEP_1)
	v_dual_cndmask_b32 v6, v6, v9 :: v_dual_cndmask_b32 v7, v7, v10
	v_lshl_add_u32 v6, v6, 23, 0x3b800000
	s_delay_alu instid0(VALU_DEP_2) | instskip(NEXT) | instid1(VALU_DEP_1)
	v_lshlrev_b32_e32 v7, 20, v7
	v_or3_b32 v6, v8, v6, v7
	v_mov_b32_e32 v7, 0
	s_delay_alu instid0(VALU_DEP_2)
	v_cvt_f16_f32_e32 v6, v6
.LBB185_217:
	s_or_b32 exec_lo, exec_lo, s3
.LBB185_218:
	s_mov_b32 s2, -1
.LBB185_219:
	s_branch .LBB185_253
.LBB185_220:
	v_cmp_lt_i16_e32 vcc_lo, 22, v4
	s_cbranch_vccz .LBB185_232
; %bb.221:
	v_cmp_gt_i16_e32 vcc_lo, 24, v4
	s_cbranch_vccnz .LBB185_233
; %bb.222:
	v_cmp_lt_i16_e32 vcc_lo, 24, v4
	s_cbranch_vccz .LBB185_234
; %bb.223:
	global_load_u8 v8, v[1:2], off
	s_mov_b32 s2, 0
	s_mov_b32 s34, exec_lo
                                        ; implicit-def: $sgpr23
                                        ; implicit-def: $sgpr3
	s_waitcnt vmcnt(0)
	v_cmpx_lt_i16_e32 0x7f, v8
	s_xor_b32 s34, exec_lo, s34
	s_cbranch_execz .LBB185_227
; %bb.224:
	s_mov_b32 s2, -1
	s_mov_b32 s35, exec_lo
                                        ; implicit-def: $sgpr23
                                        ; implicit-def: $sgpr3
	v_cmpx_eq_u16_e32 0x80, v8
; %bb.225:
	s_movk_i32 s3, 0x7e00
	s_mov_b32 s23, 0
	s_xor_b32 s2, exec_lo, -1
; %bb.226:
	s_or_b32 exec_lo, exec_lo, s35
	s_delay_alu instid0(SALU_CYCLE_1)
	s_and_b32 s2, s2, exec_lo
.LBB185_227:
	s_or_saveexec_b32 s34, s34
	v_dual_mov_b32 v7, s23 :: v_dual_mov_b32 v6, s3
	s_xor_b32 exec_lo, exec_lo, s34
; %bb.228:
	v_cmp_ne_u16_e32 vcc_lo, 0, v8
	v_dual_mov_b32 v7, 0 :: v_dual_mov_b32 v6, v8
	s_and_not1_b32 s2, s2, exec_lo
	s_and_b32 s3, vcc_lo, exec_lo
	s_delay_alu instid0(SALU_CYCLE_1)
	s_or_b32 s2, s2, s3
; %bb.229:
	s_or_b32 exec_lo, exec_lo, s34
	s_and_saveexec_b32 s3, s2
	s_cbranch_execz .LBB185_231
; %bb.230:
	v_and_b32_e32 v6, 0xffff, v8
	v_lshlrev_b32_e32 v8, 24, v8
	s_delay_alu instid0(VALU_DEP_2) | instskip(NEXT) | instid1(VALU_DEP_2)
	v_and_b32_e32 v7, 3, v6
	v_and_b32_e32 v8, 0x80000000, v8
	s_delay_alu instid0(VALU_DEP_2) | instskip(NEXT) | instid1(VALU_DEP_1)
	v_clz_i32_u32_e32 v9, v7
	v_min_u32_e32 v9, 32, v9
	s_delay_alu instid0(VALU_DEP_1) | instskip(SKIP_1) | instid1(VALU_DEP_2)
	v_subrev_nc_u32_e32 v10, 29, v9
	v_sub_nc_u32_e32 v9, 30, v9
	v_lshlrev_b32_e32 v10, v10, v6
	v_bfe_u32 v6, v6, 2, 5
	s_delay_alu instid0(VALU_DEP_2) | instskip(NEXT) | instid1(VALU_DEP_2)
	v_and_b32_e32 v10, 3, v10
	v_cmp_eq_u32_e32 vcc_lo, 0, v6
	s_delay_alu instid0(VALU_DEP_2) | instskip(NEXT) | instid1(VALU_DEP_1)
	v_dual_cndmask_b32 v6, v6, v9 :: v_dual_cndmask_b32 v7, v7, v10
	v_lshl_add_u32 v6, v6, 23, 0x37800000
	s_delay_alu instid0(VALU_DEP_2) | instskip(NEXT) | instid1(VALU_DEP_1)
	v_lshlrev_b32_e32 v7, 21, v7
	v_or3_b32 v6, v8, v6, v7
	v_mov_b32_e32 v7, 0
	s_delay_alu instid0(VALU_DEP_2)
	v_cvt_f16_f32_e32 v6, v6
.LBB185_231:
	s_or_b32 exec_lo, exec_lo, s3
	s_mov_b32 s2, 0
	s_branch .LBB185_235
.LBB185_232:
	s_mov_b32 s3, -1
                                        ; implicit-def: $vgpr7
                                        ; implicit-def: $vgpr6
	s_branch .LBB185_241
.LBB185_233:
	s_mov_b32 s2, -1
                                        ; implicit-def: $vgpr7
                                        ; implicit-def: $vgpr6
	s_branch .LBB185_238
.LBB185_234:
	s_mov_b32 s2, -1
                                        ; implicit-def: $vgpr7
                                        ; implicit-def: $vgpr6
.LBB185_235:
	s_delay_alu instid0(SALU_CYCLE_1)
	s_and_b32 vcc_lo, exec_lo, s2
	s_cbranch_vccz .LBB185_237
; %bb.236:
	global_load_u8 v6, v[1:2], off
	s_waitcnt vmcnt(0)
	v_lshlrev_b32_e32 v6, 24, v6
	s_delay_alu instid0(VALU_DEP_1) | instskip(NEXT) | instid1(VALU_DEP_1)
	v_and_b32_e32 v7, 0x7f000000, v6
	v_clz_i32_u32_e32 v8, v7
	v_add_nc_u32_e32 v10, 0x1000000, v7
	v_cmp_ne_u32_e32 vcc_lo, 0, v7
	s_delay_alu instid0(VALU_DEP_3) | instskip(NEXT) | instid1(VALU_DEP_1)
	v_min_u32_e32 v8, 32, v8
	v_sub_nc_u32_e64 v8, v8, 4 clamp
	s_delay_alu instid0(VALU_DEP_1) | instskip(SKIP_1) | instid1(VALU_DEP_2)
	v_lshlrev_b32_e32 v9, v8, v7
	v_lshlrev_b32_e32 v8, 23, v8
	v_lshrrev_b32_e32 v9, 4, v9
	s_delay_alu instid0(VALU_DEP_1) | instskip(SKIP_1) | instid1(VALU_DEP_2)
	v_sub_nc_u32_e32 v8, v9, v8
	v_ashrrev_i32_e32 v9, 8, v10
	v_add_nc_u32_e32 v8, 0x3c000000, v8
	s_delay_alu instid0(VALU_DEP_1) | instskip(NEXT) | instid1(VALU_DEP_1)
	v_and_or_b32 v8, 0x7f800000, v9, v8
	v_cndmask_b32_e32 v7, 0, v8, vcc_lo
	s_delay_alu instid0(VALU_DEP_1) | instskip(SKIP_1) | instid1(VALU_DEP_2)
	v_and_or_b32 v6, 0x80000000, v6, v7
	v_mov_b32_e32 v7, 0
	v_cvt_f16_f32_e32 v6, v6
.LBB185_237:
	s_mov_b32 s2, 0
.LBB185_238:
	s_delay_alu instid0(SALU_CYCLE_1)
	s_and_not1_b32 vcc_lo, exec_lo, s2
	s_cbranch_vccnz .LBB185_240
; %bb.239:
	global_load_u8 v6, v[1:2], off
	s_waitcnt vmcnt(0)
	v_lshlrev_b32_e32 v7, 25, v6
	v_lshlrev_b16 v6, 8, v6
	s_delay_alu instid0(VALU_DEP_2) | instskip(NEXT) | instid1(VALU_DEP_2)
	v_lshrrev_b32_e32 v8, 4, v7
	v_and_or_b32 v9, 0x7f00, v6, 0.5
	v_bfe_i32 v6, v6, 0, 16
	s_delay_alu instid0(VALU_DEP_3) | instskip(NEXT) | instid1(VALU_DEP_1)
	v_or_b32_e32 v8, 0x70000000, v8
	v_dual_add_f32 v9, -0.5, v9 :: v_dual_mul_f32 v8, 0x7800000, v8
	v_cmp_gt_u32_e32 vcc_lo, 0x8000000, v7
	s_delay_alu instid0(VALU_DEP_2) | instskip(NEXT) | instid1(VALU_DEP_1)
	v_cndmask_b32_e32 v7, v8, v9, vcc_lo
	v_and_or_b32 v6, 0x80000000, v6, v7
	v_mov_b32_e32 v7, 0
	s_delay_alu instid0(VALU_DEP_2)
	v_cvt_f16_f32_e32 v6, v6
.LBB185_240:
	s_mov_b32 s3, 0
	s_mov_b32 s2, -1
.LBB185_241:
	s_and_not1_b32 vcc_lo, exec_lo, s3
	s_cbranch_vccnz .LBB185_253
; %bb.242:
	v_cmp_lt_i16_e32 vcc_lo, 14, v4
	s_cbranch_vccz .LBB185_245
; %bb.243:
	v_cmp_eq_u16_e32 vcc_lo, 15, v4
	s_cbranch_vccz .LBB185_246
; %bb.244:
	global_load_u16 v6, v[1:2], off
	s_mov_b32 s2, -1
	s_mov_b32 s22, 0
	s_mov_b32 s3, 0
	s_waitcnt vmcnt(0)
	v_lshlrev_b32_e32 v6, 16, v6
	s_delay_alu instid0(VALU_DEP_1)
	v_cvt_f16_f32_e32 v6, v6
	s_branch .LBB185_247
.LBB185_245:
	s_mov_b32 s23, -1
                                        ; implicit-def: $sgpr3
                                        ; implicit-def: $vgpr6
	s_branch .LBB185_248
.LBB185_246:
	s_mov_b32 s22, -1
                                        ; implicit-def: $sgpr3
                                        ; implicit-def: $vgpr6
.LBB185_247:
	s_mov_b32 s23, 0
.LBB185_248:
	s_delay_alu instid0(SALU_CYCLE_1)
	s_and_b32 vcc_lo, exec_lo, s23
	s_cbranch_vccz .LBB185_252
; %bb.249:
	v_cmp_eq_u16_e32 vcc_lo, 11, v4
	s_cbranch_vccz .LBB185_251
; %bb.250:
	global_load_u8 v6, v[1:2], off
	s_mov_b32 s3, 0
	s_mov_b32 s2, -1
	s_mov_b32 s22, 0
	s_waitcnt vmcnt(0)
	v_cmp_ne_u16_e32 vcc_lo, 0, v6
	v_cndmask_b32_e64 v6, 0, 0x3c00, vcc_lo
	s_branch .LBB185_252
.LBB185_251:
	s_mov_b32 s22, -1
                                        ; implicit-def: $sgpr3
                                        ; implicit-def: $vgpr6
.LBB185_252:
	v_mov_b32_e32 v7, s3
.LBB185_253:
	s_branch .LBB185_23
.LBB185_254:
	v_cmp_gt_i16_e32 vcc_lo, 5, v4
	s_cbranch_vccnz .LBB185_259
; %bb.255:
	v_cmp_gt_i16_e32 vcc_lo, 8, v4
	s_cbranch_vccnz .LBB185_260
; %bb.256:
	;; [unrolled: 3-line block ×3, first 2 shown]
	v_cmp_lt_i16_e32 vcc_lo, 9, v4
	s_cbranch_vccz .LBB185_262
; %bb.258:
	global_load_b128 v[6:9], v[1:2], off
	s_mov_b32 s2, 0
	s_waitcnt vmcnt(0)
	v_cvt_f32_f64_e32 v6, v[6:7]
	v_cvt_f32_f64_e32 v7, v[8:9]
	s_delay_alu instid0(VALU_DEP_2) | instskip(NEXT) | instid1(VALU_DEP_2)
	v_cvt_f16_f32_e32 v6, v6
	v_cvt_f16_f32_e32 v7, v7
	s_branch .LBB185_263
.LBB185_259:
                                        ; implicit-def: $vgpr7
                                        ; implicit-def: $vgpr6
	s_branch .LBB185_282
.LBB185_260:
	s_mov_b32 s2, -1
                                        ; implicit-def: $vgpr7
                                        ; implicit-def: $vgpr6
	s_branch .LBB185_269
.LBB185_261:
	s_mov_b32 s2, -1
                                        ; implicit-def: $vgpr7
                                        ; implicit-def: $vgpr6
	s_branch .LBB185_266
.LBB185_262:
	s_mov_b32 s2, -1
                                        ; implicit-def: $vgpr7
                                        ; implicit-def: $vgpr6
.LBB185_263:
	s_delay_alu instid0(SALU_CYCLE_1)
	s_and_not1_b32 vcc_lo, exec_lo, s2
	s_cbranch_vccnz .LBB185_265
; %bb.264:
	global_load_b64 v[6:7], v[1:2], off
	s_waitcnt vmcnt(0)
	v_cvt_f16_f32_e32 v6, v6
	v_cvt_f16_f32_e32 v7, v7
.LBB185_265:
	s_mov_b32 s2, 0
.LBB185_266:
	s_delay_alu instid0(SALU_CYCLE_1)
	s_and_not1_b32 vcc_lo, exec_lo, s2
	s_cbranch_vccnz .LBB185_268
; %bb.267:
	global_load_b32 v6, v[1:2], off
	s_waitcnt vmcnt(0)
	v_lshrrev_b32_e32 v7, 16, v6
.LBB185_268:
	s_mov_b32 s2, 0
.LBB185_269:
	s_delay_alu instid0(SALU_CYCLE_1)
	s_and_not1_b32 vcc_lo, exec_lo, s2
	s_cbranch_vccnz .LBB185_281
; %bb.270:
	v_cmp_gt_i16_e32 vcc_lo, 6, v4
	s_cbranch_vccnz .LBB185_273
; %bb.271:
	v_cmp_lt_i16_e32 vcc_lo, 6, v4
	s_cbranch_vccz .LBB185_274
; %bb.272:
	global_load_b64 v[6:7], v[1:2], off
	s_mov_b32 s3, 0
	s_mov_b32 s2, 0
	s_waitcnt vmcnt(0)
	v_cvt_f32_f64_e32 v6, v[6:7]
	s_delay_alu instid0(VALU_DEP_1)
	v_cvt_f16_f32_e32 v6, v6
	s_branch .LBB185_275
.LBB185_273:
	s_mov_b32 s3, -1
                                        ; implicit-def: $sgpr2
                                        ; implicit-def: $vgpr6
	s_branch .LBB185_278
.LBB185_274:
	s_mov_b32 s3, -1
                                        ; implicit-def: $sgpr2
                                        ; implicit-def: $vgpr6
.LBB185_275:
	s_delay_alu instid0(SALU_CYCLE_1)
	s_and_not1_b32 vcc_lo, exec_lo, s3
	s_cbranch_vccnz .LBB185_277
; %bb.276:
	global_load_b32 v6, v[1:2], off
	s_mov_b32 s2, 0
	s_waitcnt vmcnt(0)
	v_cvt_f16_f32_e32 v6, v6
.LBB185_277:
	s_mov_b32 s3, 0
.LBB185_278:
	s_delay_alu instid0(SALU_CYCLE_1)
	s_and_not1_b32 vcc_lo, exec_lo, s3
	s_cbranch_vccnz .LBB185_280
; %bb.279:
	global_load_u16 v6, v[1:2], off
	s_mov_b32 s2, 0
.LBB185_280:
	s_delay_alu instid0(SALU_CYCLE_1)
	v_mov_b32_e32 v7, s2
.LBB185_281:
	s_cbranch_execnz .LBB185_302
.LBB185_282:
	v_cmp_gt_i16_e32 vcc_lo, 2, v4
	s_cbranch_vccnz .LBB185_286
; %bb.283:
	v_cmp_gt_i16_e32 vcc_lo, 3, v4
	s_cbranch_vccnz .LBB185_287
; %bb.284:
	v_cmp_lt_i16_e32 vcc_lo, 3, v4
	s_cbranch_vccz .LBB185_288
; %bb.285:
	global_load_b64 v[6:7], v[1:2], off
	s_mov_b32 s3, 0
	s_mov_b32 s2, 0
	s_waitcnt vmcnt(0)
	v_xor_b32_e32 v8, v6, v7
	v_cls_i32_e32 v9, v7
	s_delay_alu instid0(VALU_DEP_2) | instskip(NEXT) | instid1(VALU_DEP_2)
	v_ashrrev_i32_e32 v8, 31, v8
	v_add_nc_u32_e32 v9, -1, v9
	s_delay_alu instid0(VALU_DEP_2) | instskip(NEXT) | instid1(VALU_DEP_1)
	v_add_nc_u32_e32 v8, 32, v8
	v_min_u32_e32 v8, v9, v8
	s_delay_alu instid0(VALU_DEP_1) | instskip(NEXT) | instid1(VALU_DEP_1)
	v_lshlrev_b64 v[6:7], v8, v[6:7]
	v_min_u32_e32 v6, 1, v6
	s_delay_alu instid0(VALU_DEP_1) | instskip(SKIP_1) | instid1(VALU_DEP_2)
	v_or_b32_e32 v6, v7, v6
	v_sub_nc_u32_e32 v7, 32, v8
	v_cvt_f32_i32_e32 v6, v6
	s_delay_alu instid0(VALU_DEP_1) | instskip(NEXT) | instid1(VALU_DEP_1)
	v_ldexp_f32 v6, v6, v7
	v_cvt_f16_f32_e32 v6, v6
	s_branch .LBB185_289
.LBB185_286:
	s_mov_b32 s3, -1
                                        ; implicit-def: $sgpr2
                                        ; implicit-def: $vgpr6
	s_branch .LBB185_295
.LBB185_287:
	s_mov_b32 s3, -1
                                        ; implicit-def: $sgpr2
                                        ; implicit-def: $vgpr6
	s_branch .LBB185_292
.LBB185_288:
	s_mov_b32 s3, -1
                                        ; implicit-def: $sgpr2
                                        ; implicit-def: $vgpr6
.LBB185_289:
	s_delay_alu instid0(SALU_CYCLE_1)
	s_and_not1_b32 vcc_lo, exec_lo, s3
	s_cbranch_vccnz .LBB185_291
; %bb.290:
	global_load_b32 v6, v[1:2], off
	s_mov_b32 s2, 0
	s_waitcnt vmcnt(0)
	v_cvt_f32_i32_e32 v6, v6
	s_delay_alu instid0(VALU_DEP_1)
	v_cvt_f16_f32_e32 v6, v6
.LBB185_291:
	s_mov_b32 s3, 0
.LBB185_292:
	s_delay_alu instid0(SALU_CYCLE_1)
	s_and_not1_b32 vcc_lo, exec_lo, s3
	s_cbranch_vccnz .LBB185_294
; %bb.293:
	global_load_u16 v6, v[1:2], off
	s_mov_b32 s2, 0
	s_waitcnt vmcnt(0)
	v_cvt_f16_i16_e32 v6, v6
.LBB185_294:
	s_mov_b32 s3, 0
.LBB185_295:
	s_delay_alu instid0(SALU_CYCLE_1)
	s_and_not1_b32 vcc_lo, exec_lo, s3
	s_cbranch_vccnz .LBB185_301
; %bb.296:
	v_cmp_lt_i16_e32 vcc_lo, 0, v4
	s_mov_b32 s3, 0
	s_cbranch_vccz .LBB185_298
; %bb.297:
	global_load_i8 v6, v[1:2], off
	s_mov_b32 s2, 0
	s_waitcnt vmcnt(0)
	v_cvt_f16_i16_e32 v6, v6
	s_branch .LBB185_299
.LBB185_298:
	s_mov_b32 s3, -1
                                        ; implicit-def: $sgpr2
                                        ; implicit-def: $vgpr6
.LBB185_299:
	s_delay_alu instid0(SALU_CYCLE_1)
	s_and_not1_b32 vcc_lo, exec_lo, s3
	s_cbranch_vccnz .LBB185_301
; %bb.300:
	global_load_u8 v1, v[1:2], off
	s_mov_b32 s2, 0
	s_waitcnt vmcnt(0)
	v_cvt_f16_u16_e32 v6, v1
.LBB185_301:
	v_mov_b32_e32 v7, s2
.LBB185_302:
	s_branch .LBB185_24
.LBB185_303:
	s_mov_b32 s2, 0
.LBB185_304:
	s_mov_b32 s3, 0
                                        ; implicit-def: $vgpr5
.LBB185_305:
	s_and_b32 s34, s2, exec_lo
	s_and_b32 s35, s22, exec_lo
	s_or_not1_b32 s3, s3, exec_lo
.LBB185_306:
	s_or_b32 exec_lo, exec_lo, s36
	s_mov_b32 s22, 0
	s_mov_b32 s2, 0
                                        ; implicit-def: $vgpr1_vgpr2
                                        ; implicit-def: $vgpr0
                                        ; implicit-def: $vgpr8
                                        ; implicit-def: $vgpr6
	s_and_saveexec_b32 s36, s3
	s_cbranch_execz .LBB185_1038
; %bb.307:
	s_mov_b32 s2, -1
	s_mov_b32 s37, s35
	s_mov_b32 s38, s34
	s_mov_b32 s39, exec_lo
	v_cmpx_gt_i32_e64 s30, v5
	s_cbranch_execz .LBB185_619
; %bb.308:
	s_and_not1_b32 vcc_lo, exec_lo, s27
	s_cbranch_vccnz .LBB185_313
; %bb.309:
	v_dual_mov_b32 v0, 0 :: v_dual_mov_b32 v1, 0
	s_and_not1_b32 vcc_lo, exec_lo, s33
	s_mov_b32 s37, 0
	s_cbranch_vccnz .LBB185_318
; %bb.310:
	v_mov_b32_e32 v0, 0
	s_add_i32 s40, s31, 1
	s_cmp_eq_u32 s25, 2
	s_mov_b32 s38, 0
	s_cbranch_scc1 .LBB185_314
; %bb.311:
	v_dual_mov_b32 v1, 0 :: v_dual_mov_b32 v0, 0
	v_mov_b32_e32 v2, v5
	s_and_b32 s38, s40, 28
	s_mov_b32 s41, 0
	s_mov_b64 s[2:3], s[20:21]
	s_mov_b64 s[22:23], s[16:17]
.LBB185_312:                            ; =>This Inner Loop Header: Depth=1
	s_clause 0x1
	s_load_b256 s[44:51], s[22:23], 0x4
	s_load_b128 s[60:63], s[22:23], 0x24
	s_load_b256 s[52:59], s[2:3], 0x0
	s_add_u32 s22, s22, 48
	s_addc_u32 s23, s23, 0
	s_add_i32 s41, s41, 4
	s_add_u32 s2, s2, 32
	s_addc_u32 s3, s3, 0
	s_cmp_eq_u32 s38, s41
	s_waitcnt vmcnt(0) lgkmcnt(0)
	v_mul_hi_u32 v6, s45, v2
	s_delay_alu instid0(VALU_DEP_1) | instskip(NEXT) | instid1(VALU_DEP_1)
	v_add_nc_u32_e32 v6, v2, v6
	v_lshrrev_b32_e32 v6, s46, v6
	s_delay_alu instid0(VALU_DEP_1) | instskip(SKIP_1) | instid1(VALU_DEP_2)
	v_mul_hi_u32 v7, s48, v6
	v_mul_lo_u32 v9, v6, s44
	v_add_nc_u32_e32 v7, v6, v7
	s_delay_alu instid0(VALU_DEP_2) | instskip(NEXT) | instid1(VALU_DEP_2)
	v_sub_nc_u32_e32 v2, v2, v9
	v_lshrrev_b32_e32 v7, s49, v7
	s_delay_alu instid0(VALU_DEP_2) | instskip(SKIP_1) | instid1(VALU_DEP_3)
	v_mul_lo_u32 v9, v2, s52
	v_mul_lo_u32 v11, v2, s53
	v_mul_hi_u32 v8, s51, v7
	s_delay_alu instid0(VALU_DEP_1) | instskip(NEXT) | instid1(VALU_DEP_1)
	v_add_nc_u32_e32 v8, v7, v8
	v_lshrrev_b32_e32 v8, s60, v8
	s_delay_alu instid0(VALU_DEP_1) | instskip(SKIP_1) | instid1(VALU_DEP_2)
	v_mul_hi_u32 v10, s62, v8
	v_mul_lo_u32 v12, v8, s50
	v_add_nc_u32_e32 v2, v8, v10
	v_mul_lo_u32 v10, v7, s47
	s_delay_alu instid0(VALU_DEP_3) | instskip(NEXT) | instid1(VALU_DEP_3)
	v_sub_nc_u32_e32 v7, v7, v12
	v_lshrrev_b32_e32 v2, s63, v2
	s_delay_alu instid0(VALU_DEP_2) | instskip(SKIP_2) | instid1(VALU_DEP_4)
	v_mul_lo_u32 v12, v7, s56
	v_mul_lo_u32 v7, v7, s57
	v_sub_nc_u32_e32 v6, v6, v10
	v_mul_lo_u32 v13, v2, s61
	s_delay_alu instid0(VALU_DEP_2) | instskip(SKIP_1) | instid1(VALU_DEP_3)
	v_mul_lo_u32 v10, v6, s54
	v_mul_lo_u32 v6, v6, s55
	v_sub_nc_u32_e32 v8, v8, v13
	s_delay_alu instid0(VALU_DEP_3) | instskip(NEXT) | instid1(VALU_DEP_2)
	v_add3_u32 v0, v9, v0, v10
	v_mul_lo_u32 v13, v8, s58
	v_mul_lo_u32 v8, v8, s59
	v_add3_u32 v1, v11, v1, v6
	s_delay_alu instid0(VALU_DEP_3) | instskip(NEXT) | instid1(VALU_DEP_2)
	v_add3_u32 v0, v12, v0, v13
	v_add3_u32 v1, v7, v1, v8
	s_cbranch_scc0 .LBB185_312
	s_branch .LBB185_315
.LBB185_313:
	s_mov_b32 s37, -1
                                        ; implicit-def: $vgpr0
                                        ; implicit-def: $vgpr1
	s_branch .LBB185_318
.LBB185_314:
	v_dual_mov_b32 v2, v5 :: v_dual_mov_b32 v1, 0
.LBB185_315:
	s_and_b32 s40, s40, 3
	s_delay_alu instid0(SALU_CYCLE_1)
	s_cmp_eq_u32 s40, 0
	s_cbranch_scc1 .LBB185_318
; %bb.316:
	s_lshl_b32 s2, s38, 3
	s_mul_i32 s22, s38, 12
	s_add_u32 s2, s2, s16
	s_addc_u32 s3, s17, 0
	s_add_u32 s2, s2, 0xc4
	s_addc_u32 s3, s3, 0
	;; [unrolled: 2-line block ×3, first 2 shown]
	.p2align	6
.LBB185_317:                            ; =>This Inner Loop Header: Depth=1
	s_clause 0x1
	s_load_b64 s[42:43], s[22:23], 0x4
	s_load_b32 s38, s[22:23], 0xc
	s_load_b64 s[44:45], s[2:3], 0x0
	s_add_u32 s22, s22, 12
	s_addc_u32 s23, s23, 0
	s_add_u32 s2, s2, 8
	s_addc_u32 s3, s3, 0
	s_add_i32 s40, s40, -1
	s_delay_alu instid0(SALU_CYCLE_1) | instskip(SKIP_2) | instid1(VALU_DEP_1)
	s_cmp_lg_u32 s40, 0
	s_waitcnt vmcnt(0) lgkmcnt(0)
	v_mul_hi_u32 v6, s43, v2
	v_add_nc_u32_e32 v6, v2, v6
	s_delay_alu instid0(VALU_DEP_1) | instskip(NEXT) | instid1(VALU_DEP_1)
	v_lshrrev_b32_e32 v9, s38, v6
	v_mul_lo_u32 v6, v9, s42
	s_delay_alu instid0(VALU_DEP_1) | instskip(NEXT) | instid1(VALU_DEP_1)
	v_sub_nc_u32_e32 v2, v2, v6
	v_mad_u64_u32 v[6:7], null, v2, s44, v[0:1]
	v_mad_u64_u32 v[7:8], null, v2, s45, v[1:2]
	v_mov_b32_e32 v2, v9
	s_delay_alu instid0(VALU_DEP_2)
	v_dual_mov_b32 v0, v6 :: v_dual_mov_b32 v1, v7
	s_cbranch_scc1 .LBB185_317
.LBB185_318:
	s_and_not1_b32 vcc_lo, exec_lo, s37
	s_cbranch_vccnz .LBB185_321
; %bb.319:
	s_waitcnt lgkmcnt(0)
	v_mul_hi_u32 v0, s13, v5
	s_and_not1_b32 vcc_lo, exec_lo, s29
	s_delay_alu instid0(VALU_DEP_1) | instskip(NEXT) | instid1(VALU_DEP_1)
	v_add_nc_u32_e32 v0, v5, v0
	v_lshrrev_b32_e32 v2, s14, v0
	s_delay_alu instid0(VALU_DEP_1) | instskip(NEXT) | instid1(VALU_DEP_1)
	v_mul_lo_u32 v0, v2, s12
	v_sub_nc_u32_e32 v1, v5, v0
	s_delay_alu instid0(VALU_DEP_1)
	v_mul_lo_u32 v0, v1, s8
	v_mul_lo_u32 v1, v1, s9
	s_cbranch_vccnz .LBB185_321
; %bb.320:
	s_waitcnt vmcnt(0)
	v_mul_hi_u32 v6, s18, v2
	s_delay_alu instid0(VALU_DEP_1) | instskip(NEXT) | instid1(VALU_DEP_1)
	v_add_nc_u32_e32 v6, v2, v6
	v_lshrrev_b32_e32 v6, s19, v6
	s_delay_alu instid0(VALU_DEP_1) | instskip(NEXT) | instid1(VALU_DEP_1)
	v_mul_lo_u32 v6, v6, s15
	v_sub_nc_u32_e32 v2, v2, v6
	s_delay_alu instid0(VALU_DEP_1) | instskip(SKIP_1) | instid1(VALU_DEP_1)
	v_mad_u64_u32 v[6:7], null, v2, s10, v[0:1]
	v_mad_u64_u32 v[7:8], null, v2, s11, v[1:2]
	v_dual_mov_b32 v0, v6 :: v_dual_mov_b32 v1, v7
.LBB185_321:
	v_cmp_gt_i16_e32 vcc_lo, 11, v4
	s_waitcnt lgkmcnt(0)
	s_delay_alu instid0(VALU_DEP_2) | instskip(NEXT) | instid1(VALU_DEP_1)
	v_add_co_u32 v1, s2, s6, v1
	v_add_co_ci_u32_e64 v2, null, s7, 0, s2
	s_mov_b32 s2, 0
	s_cbranch_vccnz .LBB185_328
; %bb.322:
	v_cmp_lt_i16_e32 vcc_lo, 25, v4
	s_cbranch_vccz .LBB185_342
; %bb.323:
	v_cmp_lt_i16_e32 vcc_lo, 28, v4
	s_cbranch_vccz .LBB185_343
	;; [unrolled: 3-line block ×4, first 2 shown]
; %bb.326:
	v_cmp_eq_u16_e32 vcc_lo, 46, v4
	s_mov_b32 s3, 0
	s_cbranch_vccz .LBB185_424
; %bb.327:
	global_load_b32 v6, v[1:2], off
	s_mov_b32 s2, -1
	s_mov_b32 s22, 0
	s_waitcnt vmcnt(0)
	v_lshlrev_b32_e32 v7, 16, v6
	v_and_b32_e32 v8, 0xffff0000, v6
	s_delay_alu instid0(VALU_DEP_2) | instskip(NEXT) | instid1(VALU_DEP_2)
	v_cvt_f16_f32_e32 v6, v7
	v_cvt_f16_f32_e32 v7, v8
	s_branch .LBB185_426
.LBB185_328:
	s_mov_b32 s22, s35
                                        ; implicit-def: $vgpr7
                                        ; implicit-def: $vgpr6
	s_cbranch_execnz .LBB185_566
.LBB185_329:
	s_and_not1_b32 vcc_lo, exec_lo, s2
	s_cbranch_vccnz .LBB185_616
.LBB185_330:
	s_waitcnt vmcnt(0)
	s_delay_alu instid0(VALU_DEP_2) | instskip(NEXT) | instid1(VALU_DEP_2)
	v_cmp_neq_f16_e32 vcc_lo, 0, v6
	v_cmp_neq_f16_e64 s2, 0, v7
	v_cvt_f32_f16_e32 v1, v7
	v_mov_b32_e32 v2, 0
	s_delay_alu instid0(VALU_DEP_3) | instskip(NEXT) | instid1(SALU_CYCLE_1)
	s_or_b32 s2, vcc_lo, s2
	s_and_saveexec_b32 s23, s2
	s_cbranch_execz .LBB185_364
; %bb.331:
	v_mov_b32_e32 v2, 0x7f800000
	s_mov_b32 s37, exec_lo
	v_cmpx_neq_f32_e64 0x7f800000, |v1|
	s_cbranch_execz .LBB185_363
; %bb.332:
	v_cvt_f32_f16_e32 v2, v6
	s_mov_b32 s2, exec_lo
	v_cmpx_o_f16_e32 v6, v6
	s_xor_b32 s38, exec_lo, s2
	s_cbranch_execz .LBB185_360
; %bb.333:
	s_mov_b32 s3, exec_lo
	v_cmpx_neq_f32_e64 0x7f800000, |v2|
	s_xor_b32 s40, exec_lo, s3
	s_cbranch_execz .LBB185_353
; %bb.334:
	v_max_f32_e64 v6, |v1|, |v1|
	v_max_f32_e64 v7, |v2|, |v2|
                                        ; implicit-def: $sgpr41
	s_delay_alu instid0(VALU_DEP_1) | instskip(NEXT) | instid1(VALU_DEP_1)
	v_max_f32_e32 v6, v7, v6
	v_cmp_nle_f32_e64 s2, 0x7ed413cb, v6
	s_delay_alu instid0(VALU_DEP_1) | instskip(NEXT) | instid1(SALU_CYCLE_1)
	s_and_saveexec_b32 s3, s2
	s_xor_b32 s3, exec_lo, s3
	s_cbranch_execz .LBB185_338
; %bb.335:
	v_cmp_ge_f32_e64 s41, 0x1000000, |v2|
	v_cmp_ge_f32_e64 s42, 0x1000000, |v1|
	s_delay_alu instid0(VALU_DEP_1)
	s_and_b32 s43, s41, s42
	s_mov_b32 s41, 0
	s_and_saveexec_b32 s42, s43
; %bb.336:
	v_dual_mul_f32 v1, 4.0, v1 :: v_dual_mul_f32 v2, 4.0, v2
	s_mov_b32 s41, exec_lo
; %bb.337:
	s_or_b32 exec_lo, exec_lo, s42
	s_delay_alu instid0(SALU_CYCLE_1)
	s_and_b32 s41, s41, exec_lo
.LBB185_338:
	s_and_not1_saveexec_b32 s3, s3
; %bb.339:
	v_dual_mul_f32 v2, 0x3e800000, v2 :: v_dual_mul_f32 v1, 0x3e800000, v1
	s_and_not1_b32 s41, s41, exec_lo
; %bb.340:
	s_or_b32 exec_lo, exec_lo, s3
	s_delay_alu instid0(VALU_DEP_1) | instskip(NEXT) | instid1(VALU_DEP_2)
	v_max_f32_e64 v6, |v1|, |v1|
	v_max_f32_e64 v7, |v2|, |v2|
	s_delay_alu instid0(VALU_DEP_1) | instskip(NEXT) | instid1(VALU_DEP_1)
	v_max_f32_e32 v8, v7, v6
	v_cvt_f64_f32_e32 v[6:7], v8
	s_delay_alu instid0(VALU_DEP_1) | instskip(NEXT) | instid1(VALU_DEP_1)
	v_frexp_exp_i32_f64_e32 v6, v[6:7]
	v_sub_nc_u32_e32 v7, 0, v6
	s_delay_alu instid0(VALU_DEP_1) | instskip(SKIP_1) | instid1(VALU_DEP_2)
	v_ldexp_f32 v9, |v1|, v7
	v_ldexp_f32 v7, |v2|, v7
	v_mul_f32_e32 v9, v9, v9
	v_cmp_neq_f32_e64 s3, 0x7f800000, v8
	s_delay_alu instid0(VALU_DEP_2) | instskip(NEXT) | instid1(VALU_DEP_1)
	v_fmac_f32_e32 v9, v7, v7
	v_sqrt_f32_e32 v7, v9
	s_waitcnt_depctr 0xfff
	v_ldexp_f32 v6, v7, v6
                                        ; implicit-def: $vgpr7
	s_delay_alu instid0(VALU_DEP_1)
	v_cndmask_b32_e64 v8, 0x7f800000, v6, s3
                                        ; implicit-def: $vgpr6
	s_mov_b32 s3, exec_lo
	v_cmpx_le_f32_e32 0, v2
	s_xor_b32 s42, exec_lo, s3
	s_cbranch_execz .LBB185_346
; %bb.341:
	v_add_f32_e32 v2, v2, v8
	s_delay_alu instid0(VALU_DEP_1) | instskip(NEXT) | instid1(VALU_DEP_1)
	v_mul_f32_e32 v2, 0.5, v2
	v_mul_f32_e32 v6, 0x4f800000, v2
	v_cmp_gt_f32_e32 vcc_lo, 0xf800000, v2
	s_delay_alu instid0(VALU_DEP_2) | instskip(NEXT) | instid1(VALU_DEP_1)
	v_cndmask_b32_e32 v2, v2, v6, vcc_lo
	v_sqrt_f32_e32 v6, v2
	s_waitcnt_depctr 0xfff
	v_add_nc_u32_e32 v7, -1, v6
	v_add_nc_u32_e32 v8, 1, v6
	s_delay_alu instid0(VALU_DEP_2) | instskip(NEXT) | instid1(VALU_DEP_2)
	v_fma_f32 v9, -v7, v6, v2
	v_fma_f32 v10, -v8, v6, v2
	s_delay_alu instid0(VALU_DEP_2) | instskip(NEXT) | instid1(VALU_DEP_1)
	v_cmp_ge_f32_e64 s3, 0, v9
	v_cndmask_b32_e64 v6, v6, v7, s3
	s_delay_alu instid0(VALU_DEP_3) | instskip(NEXT) | instid1(VALU_DEP_1)
	v_cmp_lt_f32_e64 s3, 0, v10
	v_cndmask_b32_e64 v6, v6, v8, s3
	s_delay_alu instid0(VALU_DEP_1) | instskip(NEXT) | instid1(VALU_DEP_1)
	v_mul_f32_e32 v7, 0x37800000, v6
	v_cndmask_b32_e32 v6, v6, v7, vcc_lo
	v_cmp_class_f32_e64 vcc_lo, v2, 0x260
	s_delay_alu instid0(VALU_DEP_2) | instskip(NEXT) | instid1(VALU_DEP_1)
	v_cndmask_b32_e32 v6, v6, v2, vcc_lo
	v_add_f32_e32 v2, v6, v6
	s_delay_alu instid0(VALU_DEP_1) | instskip(NEXT) | instid1(VALU_DEP_1)
	v_div_scale_f32 v7, null, v2, v2, v1
	v_rcp_f32_e32 v8, v7
	s_waitcnt_depctr 0xfff
	v_fma_f32 v9, -v7, v8, 1.0
	s_delay_alu instid0(VALU_DEP_1) | instskip(SKIP_1) | instid1(VALU_DEP_1)
	v_fmac_f32_e32 v8, v9, v8
	v_div_scale_f32 v9, vcc_lo, v1, v2, v1
	v_mul_f32_e32 v10, v9, v8
	s_delay_alu instid0(VALU_DEP_1) | instskip(NEXT) | instid1(VALU_DEP_1)
	v_fma_f32 v11, -v7, v10, v9
	v_fmac_f32_e32 v10, v11, v8
	s_delay_alu instid0(VALU_DEP_1) | instskip(NEXT) | instid1(VALU_DEP_1)
	v_fma_f32 v7, -v7, v10, v9
	v_div_fmas_f32 v7, v7, v8, v10
                                        ; implicit-def: $vgpr8
	s_delay_alu instid0(VALU_DEP_1)
	v_div_fixup_f32 v7, v7, v2, v1
                                        ; implicit-def: $vgpr2
                                        ; implicit-def: $vgpr1
	s_and_not1_saveexec_b32 s42, s42
	s_cbranch_execz .LBB185_348
	s_branch .LBB185_347
.LBB185_342:
	s_mov_b32 s3, -1
	s_mov_b32 s22, s35
                                        ; implicit-def: $vgpr7
                                        ; implicit-def: $vgpr6
	s_branch .LBB185_531
.LBB185_343:
	s_mov_b32 s3, -1
	s_mov_b32 s22, s35
                                        ; implicit-def: $vgpr7
                                        ; implicit-def: $vgpr6
	s_branch .LBB185_510
.LBB185_344:
	s_mov_b32 s3, -1
	s_mov_b32 s22, s35
                                        ; implicit-def: $vgpr7
                                        ; implicit-def: $vgpr6
	s_branch .LBB185_504
.LBB185_345:
	s_mov_b32 s3, -1
	s_mov_b32 s22, s35
	s_branch .LBB185_425
.LBB185_346:
	s_and_not1_saveexec_b32 s42, s42
	s_cbranch_execz .LBB185_348
.LBB185_347:
	v_sub_f32_e32 v2, v8, v2
	s_delay_alu instid0(VALU_DEP_1) | instskip(NEXT) | instid1(VALU_DEP_1)
	v_mul_f32_e32 v2, 0.5, v2
	v_mul_f32_e32 v6, 0x4f800000, v2
	v_cmp_gt_f32_e32 vcc_lo, 0xf800000, v2
	s_delay_alu instid0(VALU_DEP_2) | instskip(NEXT) | instid1(VALU_DEP_1)
	v_cndmask_b32_e32 v2, v2, v6, vcc_lo
	v_sqrt_f32_e32 v6, v2
	s_waitcnt_depctr 0xfff
	v_add_nc_u32_e32 v7, -1, v6
	v_add_nc_u32_e32 v8, 1, v6
	s_delay_alu instid0(VALU_DEP_2) | instskip(NEXT) | instid1(VALU_DEP_2)
	v_fma_f32 v9, -v7, v6, v2
	v_fma_f32 v10, -v8, v6, v2
	s_delay_alu instid0(VALU_DEP_2) | instskip(NEXT) | instid1(VALU_DEP_1)
	v_cmp_ge_f32_e64 s3, 0, v9
	v_cndmask_b32_e64 v6, v6, v7, s3
	s_delay_alu instid0(VALU_DEP_3) | instskip(NEXT) | instid1(VALU_DEP_1)
	v_cmp_lt_f32_e64 s3, 0, v10
	v_cndmask_b32_e64 v6, v6, v8, s3
	s_delay_alu instid0(VALU_DEP_1) | instskip(NEXT) | instid1(VALU_DEP_1)
	v_mul_f32_e32 v7, 0x37800000, v6
	v_cndmask_b32_e32 v6, v6, v7, vcc_lo
	v_cmp_class_f32_e64 vcc_lo, v2, 0x260
	s_delay_alu instid0(VALU_DEP_2) | instskip(NEXT) | instid1(VALU_DEP_1)
	v_cndmask_b32_e32 v2, v6, v2, vcc_lo
	v_dual_add_f32 v7, v2, v2 :: v_dual_and_b32 v6, 0x7fffffff, v1
	s_delay_alu instid0(VALU_DEP_1) | instskip(SKIP_1) | instid1(VALU_DEP_2)
	v_div_scale_f32 v8, null, v7, v7, v6
	v_div_scale_f32 v6, vcc_lo, v6, v7, v6
	v_rcp_f32_e32 v9, v8
	s_waitcnt_depctr 0xfff
	v_fma_f32 v10, -v8, v9, 1.0
	s_delay_alu instid0(VALU_DEP_1) | instskip(NEXT) | instid1(VALU_DEP_1)
	v_fmac_f32_e32 v9, v10, v9
	v_mul_f32_e32 v10, v6, v9
	s_delay_alu instid0(VALU_DEP_1) | instskip(NEXT) | instid1(VALU_DEP_1)
	v_fma_f32 v11, -v8, v10, v6
	v_fmac_f32_e32 v10, v11, v9
	s_delay_alu instid0(VALU_DEP_1) | instskip(NEXT) | instid1(VALU_DEP_1)
	v_fma_f32 v6, -v8, v10, v6
	v_div_fmas_f32 v6, v6, v9, v10
	s_delay_alu instid0(VALU_DEP_1)
	v_div_fixup_f32 v6, v6, v7, |v1|
	v_bfi_b32 v7, 0x7fffffff, v2, v1
.LBB185_348:
	s_or_b32 exec_lo, exec_lo, s42
                                        ; implicit-def: $vgpr1
                                        ; implicit-def: $vgpr2
	s_and_saveexec_b32 s3, s2
	s_delay_alu instid0(SALU_CYCLE_1)
	s_xor_b32 s2, exec_lo, s3
	s_cbranch_execz .LBB185_350
; %bb.349:
	v_dual_mul_f32 v1, 0.5, v6 :: v_dual_mul_f32 v8, 0.5, v7
	s_delay_alu instid0(VALU_DEP_1) | instskip(NEXT) | instid1(VALU_DEP_2)
	v_cndmask_b32_e64 v2, v6, v1, s41
	v_cndmask_b32_e64 v1, v7, v8, s41
                                        ; implicit-def: $vgpr6
                                        ; implicit-def: $vgpr7
	s_and_not1_saveexec_b32 s2, s2
	s_cbranch_execnz .LBB185_351
	s_branch .LBB185_352
.LBB185_350:
	s_and_not1_saveexec_b32 s2, s2
.LBB185_351:
	v_dual_add_f32 v2, v6, v6 :: v_dual_add_f32 v1, v7, v7
.LBB185_352:
	s_or_b32 exec_lo, exec_lo, s2
                                        ; implicit-def: $vgpr6
.LBB185_353:
	s_and_not1_saveexec_b32 s2, s40
	s_cbranch_execz .LBB185_359
; %bb.354:
	v_cmp_lt_i16_e32 vcc_lo, -1, v6
	v_sub_f32_e32 v6, v1, v1
	s_and_saveexec_b32 s3, vcc_lo
	s_delay_alu instid0(SALU_CYCLE_1)
	s_xor_b32 s3, exec_lo, s3
; %bb.355:
	s_delay_alu instid0(VALU_DEP_1)
	v_bfi_b32 v1, 0x7fffffff, v6, v1
                                        ; implicit-def: $vgpr6
; %bb.356:
	s_and_not1_saveexec_b32 s3, s3
; %bb.357:
	v_and_b32_e32 v6, 0x7fffffff, v6
	s_delay_alu instid0(VALU_DEP_2) | instskip(NEXT) | instid1(VALU_DEP_2)
	v_bfi_b32 v1, 0x7fffffff, v2, v1
	v_mov_b32_e32 v2, v6
; %bb.358:
	s_or_b32 exec_lo, exec_lo, s3
.LBB185_359:
	s_delay_alu instid0(SALU_CYCLE_1)
	s_or_b32 exec_lo, exec_lo, s2
.LBB185_360:
	s_and_not1_saveexec_b32 s2, s38
; %bb.361:
	v_sub_f32_e32 v1, v1, v1
	s_delay_alu instid0(VALU_DEP_1) | instskip(NEXT) | instid1(VALU_DEP_1)
	v_div_scale_f32 v6, vcc_lo, v1, v1, v1
	v_rcp_f32_e32 v7, v6
	s_waitcnt_depctr 0xfff
	v_fma_f32 v8, -v6, v7, 1.0
	s_delay_alu instid0(VALU_DEP_1) | instskip(NEXT) | instid1(VALU_DEP_1)
	v_fmac_f32_e32 v7, v8, v7
	v_mul_f32_e32 v8, v6, v7
	s_delay_alu instid0(VALU_DEP_1) | instskip(NEXT) | instid1(VALU_DEP_1)
	v_fma_f32 v9, -v6, v8, v6
	v_fmac_f32_e32 v8, v9, v7
	s_delay_alu instid0(VALU_DEP_1) | instskip(NEXT) | instid1(VALU_DEP_1)
	v_fma_f32 v6, -v6, v8, v6
	v_div_fmas_f32 v6, v6, v7, v8
	s_delay_alu instid0(VALU_DEP_1)
	v_div_fixup_f32 v1, v6, v1, v1
; %bb.362:
	s_or_b32 exec_lo, exec_lo, s2
.LBB185_363:
	s_delay_alu instid0(SALU_CYCLE_1)
	s_or_b32 exec_lo, exec_lo, s37
.LBB185_364:
	s_delay_alu instid0(SALU_CYCLE_1)
	s_or_b32 exec_lo, exec_lo, s23
	v_cmp_gt_f32_e32 vcc_lo, 0, v2
                                        ; implicit-def: $vgpr8
                                        ; implicit-def: $vgpr9
	s_mov_b32 s2, exec_lo
	v_cndmask_b32_e64 v6, v2, -v2, vcc_lo
	v_cmp_gt_f32_e32 vcc_lo, 0, v1
	v_cndmask_b32_e64 v7, v1, -v1, vcc_lo
	s_delay_alu instid0(VALU_DEP_1)
	v_cmpx_ge_f32_e32 v6, v7
	s_xor_b32 s3, exec_lo, s2
	s_cbranch_execz .LBB185_370
; %bb.365:
	v_cmp_neq_f32_e32 vcc_lo, 0, v2
	v_cmp_neq_f32_e64 s2, 0, v1
                                        ; implicit-def: $vgpr8
                                        ; implicit-def: $vgpr9
	s_delay_alu instid0(VALU_DEP_1) | instskip(NEXT) | instid1(SALU_CYCLE_1)
	s_or_b32 s2, vcc_lo, s2
	s_and_saveexec_b32 s23, s2
	s_delay_alu instid0(SALU_CYCLE_1)
	s_xor_b32 s2, exec_lo, s23
	s_cbranch_execz .LBB185_367
; %bb.366:
	v_div_scale_f32 v6, null, v2, v2, v1
	v_div_scale_f32 v9, vcc_lo, v1, v2, v1
	s_delay_alu instid0(VALU_DEP_2) | instskip(SKIP_2) | instid1(VALU_DEP_1)
	v_rcp_f32_e32 v7, v6
	s_waitcnt_depctr 0xfff
	v_fma_f32 v8, -v6, v7, 1.0
	v_fmac_f32_e32 v7, v8, v7
	s_delay_alu instid0(VALU_DEP_1) | instskip(NEXT) | instid1(VALU_DEP_1)
	v_mul_f32_e32 v8, v9, v7
	v_fma_f32 v10, -v6, v8, v9
	s_delay_alu instid0(VALU_DEP_1) | instskip(NEXT) | instid1(VALU_DEP_1)
	v_fmac_f32_e32 v8, v10, v7
	v_fma_f32 v6, -v6, v8, v9
	s_delay_alu instid0(VALU_DEP_1) | instskip(NEXT) | instid1(VALU_DEP_1)
	v_div_fmas_f32 v6, v6, v7, v8
	v_div_fixup_f32 v6, v6, v2, v1
	s_delay_alu instid0(VALU_DEP_1) | instskip(NEXT) | instid1(VALU_DEP_1)
	v_fmac_f32_e32 v2, v1, v6
	v_div_scale_f32 v1, null, v2, v2, 1.0
	v_div_scale_f32 v9, vcc_lo, 1.0, v2, 1.0
	s_delay_alu instid0(VALU_DEP_2) | instskip(SKIP_2) | instid1(VALU_DEP_1)
	v_rcp_f32_e32 v7, v1
	s_waitcnt_depctr 0xfff
	v_fma_f32 v8, -v1, v7, 1.0
	v_fmac_f32_e32 v7, v8, v7
	s_delay_alu instid0(VALU_DEP_1) | instskip(NEXT) | instid1(VALU_DEP_1)
	v_mul_f32_e32 v8, v9, v7
	v_fma_f32 v10, -v1, v8, v9
	s_delay_alu instid0(VALU_DEP_1) | instskip(NEXT) | instid1(VALU_DEP_1)
	v_fmac_f32_e32 v8, v10, v7
	v_fma_f32 v1, -v1, v8, v9
	s_delay_alu instid0(VALU_DEP_1) | instskip(SKIP_1) | instid1(VALU_DEP_2)
	v_div_fmas_f32 v1, v1, v7, v8
	v_fma_f32 v7, v6, 0, 1.0
	v_div_fixup_f32 v1, v1, v2, 1.0
	s_delay_alu instid0(VALU_DEP_1)
	v_mul_f32_e32 v9, v7, v1
	v_mul_f32_e64 v8, -v6, v1
                                        ; implicit-def: $vgpr6
                                        ; implicit-def: $vgpr7
.LBB185_367:
	s_and_not1_saveexec_b32 s23, s2
	s_cbranch_execz .LBB185_369
; %bb.368:
	v_div_scale_f32 v1, null, v6, v6, 1.0
	v_div_scale_f32 v2, null, v7, v7, 0
	v_div_scale_f32 v12, vcc_lo, 1.0, v6, 1.0
	s_delay_alu instid0(VALU_DEP_3) | instskip(NEXT) | instid1(VALU_DEP_2)
	v_rcp_f32_e32 v8, v1
	v_rcp_f32_e32 v9, v2
	s_waitcnt_depctr 0xfff
	v_fma_f32 v10, -v1, v8, 1.0
	v_fma_f32 v11, -v2, v9, 1.0
	s_delay_alu instid0(VALU_DEP_1) | instskip(SKIP_1) | instid1(VALU_DEP_2)
	v_dual_fmac_f32 v8, v10, v8 :: v_dual_fmac_f32 v9, v11, v9
	v_div_scale_f32 v10, s2, 0, v7, 0
	v_mul_f32_e32 v11, v12, v8
	s_delay_alu instid0(VALU_DEP_2) | instskip(NEXT) | instid1(VALU_DEP_2)
	v_mul_f32_e32 v13, v10, v9
	v_fma_f32 v14, -v1, v11, v12
	s_delay_alu instid0(VALU_DEP_2) | instskip(NEXT) | instid1(VALU_DEP_2)
	v_fma_f32 v15, -v2, v13, v10
	v_fmac_f32_e32 v11, v14, v8
	s_delay_alu instid0(VALU_DEP_2) | instskip(NEXT) | instid1(VALU_DEP_2)
	v_fmac_f32_e32 v13, v15, v9
	v_fma_f32 v1, -v1, v11, v12
	s_delay_alu instid0(VALU_DEP_2) | instskip(NEXT) | instid1(VALU_DEP_2)
	v_fma_f32 v2, -v2, v13, v10
	v_div_fmas_f32 v1, v1, v8, v11
	s_mov_b32 vcc_lo, s2
	s_delay_alu instid0(VALU_DEP_2) | instskip(NEXT) | instid1(VALU_DEP_2)
	v_div_fmas_f32 v2, v2, v9, v13
	v_div_fixup_f32 v9, v1, v6, 1.0
	s_delay_alu instid0(VALU_DEP_2)
	v_div_fixup_f32 v8, v2, v7, 0
.LBB185_369:
	s_or_b32 exec_lo, exec_lo, s23
                                        ; implicit-def: $vgpr1
                                        ; implicit-def: $vgpr2
.LBB185_370:
	s_and_not1_saveexec_b32 s2, s3
	s_cbranch_execz .LBB185_372
; %bb.371:
	v_div_scale_f32 v6, null, v1, v1, v2
	v_div_scale_f32 v9, vcc_lo, v2, v1, v2
	s_delay_alu instid0(VALU_DEP_2) | instskip(SKIP_2) | instid1(VALU_DEP_1)
	v_rcp_f32_e32 v7, v6
	s_waitcnt_depctr 0xfff
	v_fma_f32 v8, -v6, v7, 1.0
	v_fmac_f32_e32 v7, v8, v7
	s_delay_alu instid0(VALU_DEP_1) | instskip(NEXT) | instid1(VALU_DEP_1)
	v_mul_f32_e32 v8, v9, v7
	v_fma_f32 v10, -v6, v8, v9
	s_delay_alu instid0(VALU_DEP_1) | instskip(NEXT) | instid1(VALU_DEP_1)
	v_fmac_f32_e32 v8, v10, v7
	v_fma_f32 v6, -v6, v8, v9
	s_delay_alu instid0(VALU_DEP_1) | instskip(NEXT) | instid1(VALU_DEP_1)
	v_div_fmas_f32 v6, v6, v7, v8
	v_div_fixup_f32 v6, v6, v1, v2
	s_delay_alu instid0(VALU_DEP_1) | instskip(NEXT) | instid1(VALU_DEP_1)
	v_fmac_f32_e32 v1, v2, v6
	v_div_scale_f32 v2, null, v1, v1, 1.0
	v_div_scale_f32 v9, vcc_lo, 1.0, v1, 1.0
	s_delay_alu instid0(VALU_DEP_2) | instskip(SKIP_2) | instid1(VALU_DEP_1)
	v_rcp_f32_e32 v7, v2
	s_waitcnt_depctr 0xfff
	v_fma_f32 v8, -v2, v7, 1.0
	v_fmac_f32_e32 v7, v8, v7
	s_delay_alu instid0(VALU_DEP_1) | instskip(NEXT) | instid1(VALU_DEP_1)
	v_mul_f32_e32 v8, v9, v7
	v_fma_f32 v10, -v2, v8, v9
	s_delay_alu instid0(VALU_DEP_1) | instskip(NEXT) | instid1(VALU_DEP_1)
	v_fmac_f32_e32 v8, v10, v7
	v_fma_f32 v2, -v2, v8, v9
	s_delay_alu instid0(VALU_DEP_1) | instskip(SKIP_1) | instid1(VALU_DEP_2)
	v_div_fmas_f32 v2, v2, v7, v8
	v_add_f32_e32 v7, 0, v6
	v_div_fixup_f32 v1, v2, v1, 1.0
	v_fma_f32 v2, v6, 0, -1.0
	s_delay_alu instid0(VALU_DEP_2) | instskip(NEXT) | instid1(VALU_DEP_2)
	v_mul_f32_e32 v9, v7, v1
	v_mul_f32_e32 v8, v2, v1
.LBB185_372:
	s_or_b32 exec_lo, exec_lo, s2
	s_delay_alu instid0(VALU_DEP_1) | instskip(NEXT) | instid1(VALU_DEP_3)
	v_cvt_f16_f32_e32 v8, v8
	v_cvt_f16_f32_e32 v2, v9
	v_and_b32_e32 v6, 0xff, v3
	v_add_co_u32 v0, s2, s4, v0
	s_delay_alu instid0(VALU_DEP_4) | instskip(NEXT) | instid1(VALU_DEP_4)
	v_lshlrev_b32_e32 v1, 16, v8
	v_and_b32_e32 v7, 0xffff, v2
	s_delay_alu instid0(VALU_DEP_4) | instskip(SKIP_2) | instid1(VALU_DEP_2)
	v_cmp_gt_i16_e32 vcc_lo, 11, v6
	s_mov_b32 s3, 0
	s_mov_b32 s23, -1
	v_or_b32_e32 v7, v1, v7
	v_add_co_ci_u32_e64 v1, null, s5, 0, s2
	s_mov_b32 s2, s34
	s_cbranch_vccnz .LBB185_379
; %bb.373:
	v_cmp_lt_i16_e32 vcc_lo, 25, v6
	s_cbranch_vccz .LBB185_419
; %bb.374:
	v_cmp_lt_i16_e32 vcc_lo, 28, v6
	s_cbranch_vccz .LBB185_420
	;; [unrolled: 3-line block ×4, first 2 shown]
; %bb.377:
	v_cmp_eq_u16_e32 vcc_lo, 46, v6
	s_mov_b32 s23, 0
	s_mov_b32 s2, -1
	s_cbranch_vccz .LBB185_430
; %bb.378:
	v_cvt_f32_f16_e32 v9, v8
	v_cvt_f32_f16_e32 v10, v2
	v_cmp_o_f16_e32 vcc_lo, v8, v8
	s_mov_b32 s3, -1
	s_mov_b32 s2, 0
	v_bfe_u32 v11, v9, 16, 1
	v_bfe_u32 v12, v10, 16, 1
	s_delay_alu instid0(VALU_DEP_2) | instskip(NEXT) | instid1(VALU_DEP_2)
	v_add3_u32 v9, v9, v11, 0x7fff
	v_add3_u32 v10, v10, v12, 0x7fff
	s_delay_alu instid0(VALU_DEP_2) | instskip(NEXT) | instid1(VALU_DEP_2)
	v_and_b32_e32 v9, 0xffff0000, v9
	v_lshrrev_b32_e32 v10, 16, v10
	s_delay_alu instid0(VALU_DEP_2) | instskip(SKIP_1) | instid1(VALU_DEP_3)
	v_cndmask_b32_e32 v9, 0x7fc00000, v9, vcc_lo
	v_cmp_o_f16_e32 vcc_lo, v2, v2
	v_cndmask_b32_e32 v10, 0x7fc0, v10, vcc_lo
	s_delay_alu instid0(VALU_DEP_1)
	v_or_b32_e32 v9, v9, v10
	global_store_b32 v[0:1], v9, off
	s_branch .LBB185_430
.LBB185_379:
	s_and_b32 vcc_lo, exec_lo, s23
	s_cbranch_vccz .LBB185_499
; %bb.380:
	v_cmp_gt_i16_e32 vcc_lo, 5, v6
	s_mov_b32 s3, -1
	s_cbranch_vccnz .LBB185_401
; %bb.381:
	v_cmp_gt_i16_e32 vcc_lo, 8, v6
	s_cbranch_vccnz .LBB185_391
; %bb.382:
	v_cmp_gt_i16_e32 vcc_lo, 9, v6
	s_cbranch_vccnz .LBB185_388
; %bb.383:
	v_cmp_lt_i16_e32 vcc_lo, 9, v6
	s_cbranch_vccz .LBB185_385
; %bb.384:
	v_cvt_f32_f16_e32 v9, v2
	v_cvt_f32_f16_e32 v11, v8
	s_mov_b32 s3, 0
	s_delay_alu instid0(VALU_DEP_2) | instskip(NEXT) | instid1(VALU_DEP_2)
	v_cvt_f64_f32_e32 v[9:10], v9
	v_cvt_f64_f32_e32 v[11:12], v11
	global_store_b128 v[0:1], v[9:12], off
.LBB185_385:
	s_and_not1_b32 vcc_lo, exec_lo, s3
	s_cbranch_vccnz .LBB185_387
; %bb.386:
	v_cvt_f32_f16_e32 v9, v2
	v_cvt_f32_f16_e32 v10, v8
	global_store_b64 v[0:1], v[9:10], off
.LBB185_387:
	s_mov_b32 s3, 0
.LBB185_388:
	s_delay_alu instid0(SALU_CYCLE_1)
	s_and_not1_b32 vcc_lo, exec_lo, s3
	s_cbranch_vccnz .LBB185_390
; %bb.389:
	global_store_b32 v[0:1], v7, off
.LBB185_390:
	s_mov_b32 s3, 0
.LBB185_391:
	s_delay_alu instid0(SALU_CYCLE_1)
	s_and_not1_b32 vcc_lo, exec_lo, s3
	s_cbranch_vccnz .LBB185_400
; %bb.392:
	v_cmp_gt_i16_e32 vcc_lo, 6, v6
	s_mov_b32 s3, -1
	s_cbranch_vccnz .LBB185_398
; %bb.393:
	v_cmp_lt_i16_e32 vcc_lo, 6, v6
	s_cbranch_vccz .LBB185_395
; %bb.394:
	v_cvt_f32_f16_e32 v7, v2
	s_mov_b32 s3, 0
	s_delay_alu instid0(VALU_DEP_1)
	v_cvt_f64_f32_e32 v[7:8], v7
	global_store_b64 v[0:1], v[7:8], off
.LBB185_395:
	s_and_not1_b32 vcc_lo, exec_lo, s3
	s_cbranch_vccnz .LBB185_397
; %bb.396:
	v_cvt_f32_f16_e32 v7, v2
	global_store_b32 v[0:1], v7, off
.LBB185_397:
	s_mov_b32 s3, 0
.LBB185_398:
	s_delay_alu instid0(SALU_CYCLE_1)
	s_and_not1_b32 vcc_lo, exec_lo, s3
	s_cbranch_vccnz .LBB185_400
; %bb.399:
	global_store_b16 v[0:1], v2, off
.LBB185_400:
	s_mov_b32 s3, 0
.LBB185_401:
	s_delay_alu instid0(SALU_CYCLE_1)
	s_and_not1_b32 vcc_lo, exec_lo, s3
	s_cbranch_vccnz .LBB185_417
; %bb.402:
	v_cmp_gt_i16_e32 vcc_lo, 2, v6
	s_mov_b32 s3, -1
	s_cbranch_vccnz .LBB185_412
; %bb.403:
	v_cmp_gt_i16_e32 vcc_lo, 3, v6
	s_cbranch_vccnz .LBB185_409
; %bb.404:
	v_cmp_lt_i16_e32 vcc_lo, 3, v6
	s_cbranch_vccz .LBB185_406
; %bb.405:
	v_cvt_f32_f16_e32 v7, v2
	s_mov_b32 s3, 0
	s_delay_alu instid0(VALU_DEP_1) | instskip(NEXT) | instid1(VALU_DEP_1)
	v_cvt_i32_f32_e32 v7, v7
	v_ashrrev_i32_e32 v8, 31, v7
	global_store_b64 v[0:1], v[7:8], off
.LBB185_406:
	s_and_not1_b32 vcc_lo, exec_lo, s3
	s_cbranch_vccnz .LBB185_408
; %bb.407:
	v_cvt_f32_f16_e32 v7, v2
	s_delay_alu instid0(VALU_DEP_1)
	v_cvt_i32_f32_e32 v7, v7
	global_store_b32 v[0:1], v7, off
.LBB185_408:
	s_mov_b32 s3, 0
.LBB185_409:
	s_delay_alu instid0(SALU_CYCLE_1)
	s_and_not1_b32 vcc_lo, exec_lo, s3
	s_cbranch_vccnz .LBB185_411
; %bb.410:
	v_cvt_i16_f16_e32 v7, v2
	global_store_b16 v[0:1], v7, off
.LBB185_411:
	s_mov_b32 s3, 0
.LBB185_412:
	s_delay_alu instid0(SALU_CYCLE_1)
	s_and_not1_b32 vcc_lo, exec_lo, s3
	s_cbranch_vccnz .LBB185_417
; %bb.413:
	v_cmp_lt_i16_e32 vcc_lo, 0, v6
	s_mov_b32 s3, -1
	s_cbranch_vccz .LBB185_415
; %bb.414:
	v_cvt_i16_f16_e32 v6, v2
	s_mov_b32 s3, 0
	global_store_b8 v[0:1], v6, off
.LBB185_415:
	s_and_not1_b32 vcc_lo, exec_lo, s3
	s_cbranch_vccnz .LBB185_417
; %bb.416:
	v_cvt_f32_f16_e32 v2, v2
	s_delay_alu instid0(VALU_DEP_1)
	v_cvt_i32_f32_e32 v2, v2
	global_store_b8 v[0:1], v2, off
.LBB185_417:
	s_branch .LBB185_500
.LBB185_418:
	s_mov_b32 s3, 0
	s_branch .LBB185_617
.LBB185_419:
	s_mov_b32 s2, s34
	s_branch .LBB185_457
.LBB185_420:
	s_mov_b32 s2, s34
	s_branch .LBB185_440
.LBB185_421:
	s_mov_b32 s2, s34
	s_branch .LBB185_436
.LBB185_422:
	s_or_saveexec_b32 s34, s34
                                        ; implicit-def: $sgpr35
	s_delay_alu instid0(SALU_CYCLE_1)
	s_xor_b32 exec_lo, exec_lo, s34
	s_cbranch_execz .LBB185_107
.LBB185_423:
	v_add_f32_e64 v10, 0x42800000, |v9|
	s_and_not1_b32 s23, s23, exec_lo
	s_mov_b32 s35, 0
	s_delay_alu instid0(VALU_DEP_1) | instskip(NEXT) | instid1(VALU_DEP_1)
	v_and_b32_e32 v10, 0xff, v10
	v_cmp_ne_u32_e32 vcc_lo, 0, v10
	s_and_b32 s38, vcc_lo, exec_lo
	s_delay_alu instid0(SALU_CYCLE_1)
	s_or_b32 s23, s23, s38
	s_or_b32 exec_lo, exec_lo, s34
	v_mov_b32_e32 v11, s35
	s_and_saveexec_b32 s34, s23
	s_cbranch_execnz .LBB185_108
	s_branch .LBB185_109
.LBB185_424:
	s_mov_b32 s22, -1
.LBB185_425:
                                        ; implicit-def: $vgpr7
                                        ; implicit-def: $vgpr6
.LBB185_426:
	s_and_b32 vcc_lo, exec_lo, s3
	s_cbranch_vccz .LBB185_503
; %bb.427:
	v_cmp_eq_u16_e32 vcc_lo, 44, v4
	s_cbranch_vccz .LBB185_501
; %bb.428:
	global_load_u8 v6, v[1:2], off
	s_mov_b32 s22, 0
	s_mov_b32 s2, -1
	s_waitcnt vmcnt(0)
	v_lshlrev_b32_e32 v7, 23, v6
	v_cmp_ne_u32_e32 vcc_lo, 0xff, v6
	s_delay_alu instid0(VALU_DEP_2) | instskip(NEXT) | instid1(VALU_DEP_1)
	v_cvt_f16_f32_e32 v7, v7
	v_cndmask_b32_e32 v7, 0x7e00, v7, vcc_lo
	v_cmp_ne_u32_e32 vcc_lo, 0, v6
	s_delay_alu instid0(VALU_DEP_2)
	v_cndmask_b32_e32 v6, 0, v7, vcc_lo
	s_branch .LBB185_502
.LBB185_429:
	s_mov_b32 s2, s34
.LBB185_430:
	s_and_b32 vcc_lo, exec_lo, s23
	s_cbranch_vccz .LBB185_435
; %bb.431:
	v_cmp_eq_u16_e32 vcc_lo, 44, v6
	s_mov_b32 s2, -1
	s_cbranch_vccz .LBB185_435
; %bb.432:
	v_cvt_f32_f16_e32 v9, v2
	v_mov_b32_e32 v10, 0xff
	s_mov_b32 s3, exec_lo
	s_delay_alu instid0(VALU_DEP_2) | instskip(NEXT) | instid1(VALU_DEP_1)
	v_bfe_u32 v11, v9, 23, 8
	v_cmpx_ne_u32_e32 0xff, v11
; %bb.433:
	v_and_b32_e32 v10, 0x400000, v9
	v_and_or_b32 v11, 0x3fffff, v9, v11
	v_lshrrev_b32_e32 v9, 23, v9
	s_delay_alu instid0(VALU_DEP_3) | instskip(NEXT) | instid1(VALU_DEP_3)
	v_cmp_ne_u32_e32 vcc_lo, 0, v10
	v_cmp_ne_u32_e64 s2, 0, v11
	s_delay_alu instid0(VALU_DEP_1) | instskip(NEXT) | instid1(SALU_CYCLE_1)
	s_and_b32 s2, vcc_lo, s2
	v_cndmask_b32_e64 v10, 0, 1, s2
	s_delay_alu instid0(VALU_DEP_1)
	v_add_nc_u32_e32 v10, v9, v10
; %bb.434:
	s_or_b32 exec_lo, exec_lo, s3
	s_mov_b32 s3, -1
	s_mov_b32 s2, 0
	global_store_b8 v[0:1], v10, off
.LBB185_435:
	s_mov_b32 s23, 0
.LBB185_436:
	s_delay_alu instid0(SALU_CYCLE_1)
	s_and_b32 vcc_lo, exec_lo, s23
	s_cbranch_vccz .LBB185_439
; %bb.437:
	v_cmp_eq_u16_e32 vcc_lo, 29, v6
	s_mov_b32 s2, -1
	s_cbranch_vccz .LBB185_439
; %bb.438:
	v_cvt_f32_f16_e32 v9, v2
	v_mov_b32_e32 v10, 0
	s_mov_b32 s2, 0
	s_mov_b32 s3, -1
	s_mov_b32 s23, 0
	v_cvt_u32_f32_e32 v9, v9
	global_store_b64 v[0:1], v[9:10], off
	s_branch .LBB185_440
.LBB185_439:
	s_mov_b32 s23, 0
.LBB185_440:
	s_delay_alu instid0(SALU_CYCLE_1)
	s_and_b32 vcc_lo, exec_lo, s23
	s_cbranch_vccz .LBB185_456
; %bb.441:
	v_cmp_gt_i16_e32 vcc_lo, 27, v6
	s_mov_b32 s3, -1
	s_cbranch_vccnz .LBB185_447
; %bb.442:
	v_cmp_lt_i16_e32 vcc_lo, 27, v6
	s_cbranch_vccz .LBB185_444
; %bb.443:
	v_cvt_f32_f16_e32 v9, v2
	s_mov_b32 s3, 0
	s_delay_alu instid0(VALU_DEP_1)
	v_cvt_u32_f32_e32 v9, v9
	global_store_b32 v[0:1], v9, off
.LBB185_444:
	s_and_not1_b32 vcc_lo, exec_lo, s3
	s_cbranch_vccnz .LBB185_446
; %bb.445:
	v_cvt_u16_f16_e32 v9, v2
	global_store_b16 v[0:1], v9, off
.LBB185_446:
	s_mov_b32 s3, 0
.LBB185_447:
	s_delay_alu instid0(SALU_CYCLE_1)
	s_and_not1_b32 vcc_lo, exec_lo, s3
	s_cbranch_vccnz .LBB185_455
; %bb.448:
	v_cvt_f32_f16_e32 v9, v2
	v_mov_b32_e32 v11, 0x80
	s_mov_b32 s3, exec_lo
	s_delay_alu instid0(VALU_DEP_2) | instskip(NEXT) | instid1(VALU_DEP_1)
	v_and_b32_e32 v10, 0x7fffffff, v9
	v_cmpx_gt_u32_e32 0x43800000, v10
	s_cbranch_execz .LBB185_454
; %bb.449:
	v_cmp_lt_u32_e32 vcc_lo, 0x3bffffff, v10
	s_mov_b32 s23, 0
                                        ; implicit-def: $vgpr10
	s_and_saveexec_b32 s37, vcc_lo
	s_delay_alu instid0(SALU_CYCLE_1)
	s_xor_b32 s37, exec_lo, s37
	s_cbranch_execz .LBB185_645
; %bb.450:
	v_bfe_u32 v10, v9, 20, 1
	s_mov_b32 s23, exec_lo
	s_delay_alu instid0(VALU_DEP_1) | instskip(NEXT) | instid1(VALU_DEP_1)
	v_add3_u32 v10, v9, v10, 0x487ffff
	v_lshrrev_b32_e32 v10, 20, v10
	s_or_saveexec_b32 s37, s37
                                        ; implicit-def: $sgpr38
	s_delay_alu instid0(SALU_CYCLE_1)
	s_xor_b32 exec_lo, exec_lo, s37
	s_cbranch_execnz .LBB185_646
.LBB185_451:
	s_or_b32 exec_lo, exec_lo, s37
	v_mov_b32_e32 v11, s38
	s_and_saveexec_b32 s37, s23
.LBB185_452:
	v_lshrrev_b32_e32 v9, 24, v9
	s_delay_alu instid0(VALU_DEP_1)
	v_and_or_b32 v11, 0x80, v9, v10
.LBB185_453:
	s_or_b32 exec_lo, exec_lo, s37
.LBB185_454:
	s_delay_alu instid0(SALU_CYCLE_1)
	s_or_b32 exec_lo, exec_lo, s3
	global_store_b8 v[0:1], v11, off
.LBB185_455:
	s_mov_b32 s3, -1
.LBB185_456:
	s_mov_b32 s23, 0
.LBB185_457:
	s_delay_alu instid0(SALU_CYCLE_1)
	s_and_b32 vcc_lo, exec_lo, s23
	s_cbranch_vccz .LBB185_498
; %bb.458:
	v_cmp_lt_i16_e32 vcc_lo, 22, v6
	s_mov_b32 s23, -1
	s_cbranch_vccz .LBB185_490
; %bb.459:
	v_cmp_gt_i16_e32 vcc_lo, 24, v6
	s_mov_b32 s3, -1
	s_cbranch_vccnz .LBB185_479
; %bb.460:
	v_cmp_lt_i16_e32 vcc_lo, 24, v6
	s_cbranch_vccz .LBB185_468
; %bb.461:
	v_cvt_f32_f16_e32 v9, v2
	v_mov_b32_e32 v11, 0x80
	s_mov_b32 s3, exec_lo
	s_delay_alu instid0(VALU_DEP_2) | instskip(NEXT) | instid1(VALU_DEP_1)
	v_and_b32_e32 v10, 0x7fffffff, v9
	v_cmpx_gt_u32_e32 0x47800000, v10
	s_cbranch_execz .LBB185_467
; %bb.462:
	v_cmp_lt_u32_e32 vcc_lo, 0x37ffffff, v10
	s_mov_b32 s23, 0
                                        ; implicit-def: $vgpr10
	s_and_saveexec_b32 s37, vcc_lo
	s_delay_alu instid0(SALU_CYCLE_1)
	s_xor_b32 s37, exec_lo, s37
	s_cbranch_execz .LBB185_648
; %bb.463:
	v_bfe_u32 v10, v9, 21, 1
	s_mov_b32 s23, exec_lo
	s_delay_alu instid0(VALU_DEP_1) | instskip(NEXT) | instid1(VALU_DEP_1)
	v_add3_u32 v10, v9, v10, 0x88fffff
	v_lshrrev_b32_e32 v10, 21, v10
	s_or_saveexec_b32 s37, s37
                                        ; implicit-def: $sgpr38
	s_delay_alu instid0(SALU_CYCLE_1)
	s_xor_b32 exec_lo, exec_lo, s37
	s_cbranch_execnz .LBB185_649
.LBB185_464:
	s_or_b32 exec_lo, exec_lo, s37
	v_mov_b32_e32 v11, s38
	s_and_saveexec_b32 s37, s23
.LBB185_465:
	v_lshrrev_b32_e32 v9, 24, v9
	s_delay_alu instid0(VALU_DEP_1)
	v_and_or_b32 v11, 0x80, v9, v10
.LBB185_466:
	s_or_b32 exec_lo, exec_lo, s37
.LBB185_467:
	s_delay_alu instid0(SALU_CYCLE_1)
	s_or_b32 exec_lo, exec_lo, s3
	s_mov_b32 s3, 0
	global_store_b8 v[0:1], v11, off
.LBB185_468:
	s_and_b32 vcc_lo, exec_lo, s3
	s_cbranch_vccz .LBB185_478
; %bb.469:
	v_cvt_f32_f16_e32 v9, v2
	s_mov_b32 s3, exec_lo
                                        ; implicit-def: $vgpr10
	s_delay_alu instid0(VALU_DEP_1) | instskip(NEXT) | instid1(VALU_DEP_1)
	v_and_b32_e32 v11, 0x7fffffff, v9
	v_cmpx_gt_u32_e32 0x43f00000, v11
	s_xor_b32 s3, exec_lo, s3
	s_cbranch_execz .LBB185_475
; %bb.470:
	s_mov_b32 s23, exec_lo
                                        ; implicit-def: $vgpr10
	v_cmpx_lt_u32_e32 0x3c7fffff, v11
	s_xor_b32 s23, exec_lo, s23
; %bb.471:
	v_bfe_u32 v10, v9, 20, 1
	s_delay_alu instid0(VALU_DEP_1) | instskip(NEXT) | instid1(VALU_DEP_1)
	v_add3_u32 v10, v9, v10, 0x407ffff
	v_and_b32_e32 v11, 0xff00000, v10
	v_lshrrev_b32_e32 v10, 20, v10
	s_delay_alu instid0(VALU_DEP_2) | instskip(NEXT) | instid1(VALU_DEP_2)
	v_cmp_ne_u32_e32 vcc_lo, 0x7f00000, v11
	v_cndmask_b32_e32 v10, 0x7e, v10, vcc_lo
; %bb.472:
	s_and_not1_saveexec_b32 s23, s23
; %bb.473:
	v_add_f32_e64 v10, 0x46800000, |v9|
; %bb.474:
	s_or_b32 exec_lo, exec_lo, s23
                                        ; implicit-def: $vgpr11
.LBB185_475:
	s_and_not1_saveexec_b32 s3, s3
; %bb.476:
	v_mov_b32_e32 v10, 0x7f
	v_cmp_lt_u32_e32 vcc_lo, 0x7f800000, v11
	s_delay_alu instid0(VALU_DEP_2)
	v_cndmask_b32_e32 v10, 0x7e, v10, vcc_lo
; %bb.477:
	s_or_b32 exec_lo, exec_lo, s3
	v_lshrrev_b32_e32 v9, 24, v9
	s_delay_alu instid0(VALU_DEP_1)
	v_and_or_b32 v9, 0x80, v9, v10
	global_store_b8 v[0:1], v9, off
.LBB185_478:
	s_mov_b32 s3, 0
.LBB185_479:
	s_delay_alu instid0(SALU_CYCLE_1)
	s_and_not1_b32 vcc_lo, exec_lo, s3
	s_cbranch_vccnz .LBB185_489
; %bb.480:
	v_cvt_f32_f16_e32 v9, v2
	s_mov_b32 s3, exec_lo
                                        ; implicit-def: $vgpr10
	s_delay_alu instid0(VALU_DEP_1) | instskip(NEXT) | instid1(VALU_DEP_1)
	v_and_b32_e32 v11, 0x7fffffff, v9
	v_cmpx_gt_u32_e32 0x47800000, v11
	s_xor_b32 s3, exec_lo, s3
	s_cbranch_execz .LBB185_486
; %bb.481:
	s_mov_b32 s23, exec_lo
                                        ; implicit-def: $vgpr10
	v_cmpx_lt_u32_e32 0x387fffff, v11
	s_xor_b32 s23, exec_lo, s23
; %bb.482:
	v_bfe_u32 v10, v9, 21, 1
	s_delay_alu instid0(VALU_DEP_1) | instskip(NEXT) | instid1(VALU_DEP_1)
	v_add3_u32 v10, v9, v10, 0x80fffff
	v_lshrrev_b32_e32 v10, 21, v10
; %bb.483:
	s_and_not1_saveexec_b32 s23, s23
; %bb.484:
	v_add_f32_e64 v10, 0x43000000, |v9|
; %bb.485:
	s_or_b32 exec_lo, exec_lo, s23
                                        ; implicit-def: $vgpr11
.LBB185_486:
	s_and_not1_saveexec_b32 s3, s3
; %bb.487:
	v_mov_b32_e32 v10, 0x7f
	v_cmp_lt_u32_e32 vcc_lo, 0x7f800000, v11
	s_delay_alu instid0(VALU_DEP_2)
	v_cndmask_b32_e32 v10, 0x7c, v10, vcc_lo
; %bb.488:
	s_or_b32 exec_lo, exec_lo, s3
	v_lshrrev_b32_e32 v9, 24, v9
	s_delay_alu instid0(VALU_DEP_1)
	v_and_or_b32 v9, 0x80, v9, v10
	global_store_b8 v[0:1], v9, off
.LBB185_489:
	s_mov_b32 s23, 0
	s_mov_b32 s3, -1
.LBB185_490:
	s_and_not1_b32 vcc_lo, exec_lo, s23
	s_cbranch_vccnz .LBB185_498
; %bb.491:
	v_cmp_lt_i16_e32 vcc_lo, 14, v6
	s_mov_b32 s23, -1
	s_cbranch_vccz .LBB185_495
; %bb.492:
	v_cmp_eq_u16_e32 vcc_lo, 15, v6
	s_mov_b32 s2, -1
	s_cbranch_vccz .LBB185_494
; %bb.493:
	v_cvt_f32_f16_e32 v9, v2
	v_cmp_o_f16_e32 vcc_lo, v2, v2
	s_mov_b32 s3, -1
	s_mov_b32 s2, 0
	s_delay_alu instid0(VALU_DEP_2) | instskip(NEXT) | instid1(VALU_DEP_1)
	v_bfe_u32 v10, v9, 16, 1
	v_add3_u32 v9, v9, v10, 0x7fff
	s_delay_alu instid0(VALU_DEP_1) | instskip(NEXT) | instid1(VALU_DEP_1)
	v_lshrrev_b32_e32 v9, 16, v9
	v_cndmask_b32_e32 v9, 0x7fc0, v9, vcc_lo
	global_store_b16 v[0:1], v9, off
.LBB185_494:
	s_mov_b32 s23, 0
.LBB185_495:
	s_delay_alu instid0(SALU_CYCLE_1)
	s_and_b32 vcc_lo, exec_lo, s23
	s_cbranch_vccz .LBB185_498
; %bb.496:
	v_cmp_eq_u16_e32 vcc_lo, 11, v6
	s_mov_b32 s2, -1
	s_cbranch_vccz .LBB185_498
; %bb.497:
	v_and_b32_e32 v9, 0x7fff7fff, v7
	s_mov_b32 s2, 0
	s_mov_b32 s3, -1
	s_delay_alu instid0(VALU_DEP_1)
	v_cmp_ne_u32_e32 vcc_lo, 0, v9
	v_cndmask_b32_e64 v9, 0, 1, vcc_lo
	global_store_b8 v[0:1], v9, off
.LBB185_498:
.LBB185_499:
	s_and_not1_b32 vcc_lo, exec_lo, s3
	s_cbranch_vccnz .LBB185_418
.LBB185_500:
	v_add_nc_u32_e32 v5, 0x80, v5
	s_mov_b32 s3, -1
	s_branch .LBB185_618
.LBB185_501:
	s_mov_b32 s22, -1
                                        ; implicit-def: $vgpr6
.LBB185_502:
	s_delay_alu instid0(SALU_CYCLE_1)
	v_mov_b32_e32 v7, s22
.LBB185_503:
	s_mov_b32 s3, 0
.LBB185_504:
	s_delay_alu instid0(SALU_CYCLE_1)
	s_and_b32 vcc_lo, exec_lo, s3
	s_cbranch_vccz .LBB185_509
; %bb.505:
	v_cmp_eq_u16_e32 vcc_lo, 29, v4
	s_cbranch_vccz .LBB185_507
; %bb.506:
	global_load_b64 v[6:7], v[1:2], off
	s_mov_b32 s2, -1
	s_mov_b32 s22, 0
	s_mov_b32 s3, 0
	s_waitcnt vmcnt(0)
	v_clz_i32_u32_e32 v8, v7
	s_delay_alu instid0(VALU_DEP_1) | instskip(NEXT) | instid1(VALU_DEP_1)
	v_min_u32_e32 v8, 32, v8
	v_lshlrev_b64 v[6:7], v8, v[6:7]
	s_delay_alu instid0(VALU_DEP_1) | instskip(NEXT) | instid1(VALU_DEP_1)
	v_min_u32_e32 v6, 1, v6
	v_or_b32_e32 v6, v7, v6
	v_sub_nc_u32_e32 v7, 32, v8
	s_delay_alu instid0(VALU_DEP_2) | instskip(NEXT) | instid1(VALU_DEP_1)
	v_cvt_f32_u32_e32 v6, v6
	v_ldexp_f32 v6, v6, v7
	s_delay_alu instid0(VALU_DEP_1)
	v_cvt_f16_f32_e32 v6, v6
	s_branch .LBB185_508
.LBB185_507:
	s_mov_b32 s22, -1
                                        ; implicit-def: $sgpr3
                                        ; implicit-def: $vgpr6
.LBB185_508:
	v_mov_b32_e32 v7, s3
.LBB185_509:
	s_mov_b32 s3, 0
.LBB185_510:
	s_delay_alu instid0(SALU_CYCLE_1)
	s_and_b32 vcc_lo, exec_lo, s3
	s_cbranch_vccz .LBB185_530
; %bb.511:
	v_cmp_gt_i16_e32 vcc_lo, 27, v4
	s_cbranch_vccnz .LBB185_514
; %bb.512:
	v_cmp_lt_i16_e32 vcc_lo, 27, v4
	s_cbranch_vccz .LBB185_515
; %bb.513:
	global_load_b32 v6, v[1:2], off
	s_mov_b32 s3, 0
	s_mov_b32 s2, 0
	s_waitcnt vmcnt(0)
	v_cvt_f32_u32_e32 v6, v6
	s_delay_alu instid0(VALU_DEP_1)
	v_cvt_f16_f32_e32 v6, v6
	s_branch .LBB185_516
.LBB185_514:
	s_mov_b32 s3, -1
                                        ; implicit-def: $sgpr2
                                        ; implicit-def: $vgpr6
	s_branch .LBB185_519
.LBB185_515:
	s_mov_b32 s3, -1
                                        ; implicit-def: $sgpr2
                                        ; implicit-def: $vgpr6
.LBB185_516:
	s_delay_alu instid0(SALU_CYCLE_1)
	s_and_not1_b32 vcc_lo, exec_lo, s3
	s_cbranch_vccnz .LBB185_518
; %bb.517:
	global_load_u16 v6, v[1:2], off
	s_mov_b32 s2, 0
	s_waitcnt vmcnt(0)
	v_cvt_f16_u16_e32 v6, v6
.LBB185_518:
	s_mov_b32 s3, 0
.LBB185_519:
	v_mov_b32_e32 v7, s2
	s_and_not1_b32 vcc_lo, exec_lo, s3
	s_cbranch_vccnz .LBB185_529
; %bb.520:
	global_load_u8 v8, v[1:2], off
	s_mov_b32 s2, 0
	s_mov_b32 s37, exec_lo
                                        ; implicit-def: $sgpr23
                                        ; implicit-def: $sgpr3
	s_waitcnt vmcnt(0)
	v_cmpx_lt_i16_e32 0x7f, v8
	s_xor_b32 s37, exec_lo, s37
	s_cbranch_execz .LBB185_524
; %bb.521:
	s_mov_b32 s2, -1
	s_mov_b32 s38, exec_lo
                                        ; implicit-def: $sgpr23
                                        ; implicit-def: $sgpr3
	v_cmpx_eq_u16_e32 0x80, v8
; %bb.522:
	s_movk_i32 s3, 0x7e00
	s_mov_b32 s23, 0
	s_xor_b32 s2, exec_lo, -1
; %bb.523:
	s_or_b32 exec_lo, exec_lo, s38
	s_delay_alu instid0(SALU_CYCLE_1)
	s_and_b32 s2, s2, exec_lo
.LBB185_524:
	s_or_saveexec_b32 s37, s37
	v_dual_mov_b32 v7, s23 :: v_dual_mov_b32 v6, s3
	s_xor_b32 exec_lo, exec_lo, s37
; %bb.525:
	v_cmp_ne_u16_e32 vcc_lo, 0, v8
	v_dual_mov_b32 v7, 0 :: v_dual_mov_b32 v6, v8
	s_and_not1_b32 s2, s2, exec_lo
	s_and_b32 s3, vcc_lo, exec_lo
	s_delay_alu instid0(SALU_CYCLE_1)
	s_or_b32 s2, s2, s3
; %bb.526:
	s_or_b32 exec_lo, exec_lo, s37
	s_and_saveexec_b32 s3, s2
	s_cbranch_execz .LBB185_528
; %bb.527:
	v_and_b32_e32 v6, 0xffff, v8
	v_lshlrev_b32_e32 v8, 24, v8
	s_delay_alu instid0(VALU_DEP_2) | instskip(NEXT) | instid1(VALU_DEP_2)
	v_and_b32_e32 v7, 7, v6
	v_and_b32_e32 v8, 0x80000000, v8
	s_delay_alu instid0(VALU_DEP_2) | instskip(NEXT) | instid1(VALU_DEP_1)
	v_clz_i32_u32_e32 v9, v7
	v_min_u32_e32 v9, 32, v9
	s_delay_alu instid0(VALU_DEP_1) | instskip(SKIP_1) | instid1(VALU_DEP_2)
	v_subrev_nc_u32_e32 v10, 28, v9
	v_sub_nc_u32_e32 v9, 29, v9
	v_lshlrev_b32_e32 v10, v10, v6
	v_bfe_u32 v6, v6, 3, 4
	s_delay_alu instid0(VALU_DEP_2) | instskip(NEXT) | instid1(VALU_DEP_2)
	v_and_b32_e32 v10, 7, v10
	v_cmp_eq_u32_e32 vcc_lo, 0, v6
	s_delay_alu instid0(VALU_DEP_2) | instskip(NEXT) | instid1(VALU_DEP_1)
	v_dual_cndmask_b32 v6, v6, v9 :: v_dual_cndmask_b32 v7, v7, v10
	v_lshl_add_u32 v6, v6, 23, 0x3b800000
	s_delay_alu instid0(VALU_DEP_2) | instskip(NEXT) | instid1(VALU_DEP_1)
	v_lshlrev_b32_e32 v7, 20, v7
	v_or3_b32 v6, v8, v6, v7
	v_mov_b32_e32 v7, 0
	s_delay_alu instid0(VALU_DEP_2)
	v_cvt_f16_f32_e32 v6, v6
.LBB185_528:
	s_or_b32 exec_lo, exec_lo, s3
.LBB185_529:
	s_mov_b32 s2, -1
.LBB185_530:
	s_mov_b32 s3, 0
.LBB185_531:
	s_delay_alu instid0(SALU_CYCLE_1)
	s_and_b32 vcc_lo, exec_lo, s3
	s_cbranch_vccz .LBB185_565
; %bb.532:
	v_cmp_lt_i16_e32 vcc_lo, 22, v4
	s_cbranch_vccz .LBB185_544
; %bb.533:
	v_cmp_gt_i16_e32 vcc_lo, 24, v4
	s_cbranch_vccnz .LBB185_545
; %bb.534:
	v_cmp_lt_i16_e32 vcc_lo, 24, v4
	s_cbranch_vccz .LBB185_546
; %bb.535:
	global_load_u8 v8, v[1:2], off
	s_mov_b32 s2, 0
	s_mov_b32 s37, exec_lo
                                        ; implicit-def: $sgpr23
                                        ; implicit-def: $sgpr3
	s_waitcnt vmcnt(0)
	v_cmpx_lt_i16_e32 0x7f, v8
	s_xor_b32 s37, exec_lo, s37
	s_cbranch_execz .LBB185_539
; %bb.536:
	s_mov_b32 s2, -1
	s_mov_b32 s38, exec_lo
                                        ; implicit-def: $sgpr23
                                        ; implicit-def: $sgpr3
	v_cmpx_eq_u16_e32 0x80, v8
; %bb.537:
	s_movk_i32 s3, 0x7e00
	s_mov_b32 s23, 0
	s_xor_b32 s2, exec_lo, -1
; %bb.538:
	s_or_b32 exec_lo, exec_lo, s38
	s_delay_alu instid0(SALU_CYCLE_1)
	s_and_b32 s2, s2, exec_lo
.LBB185_539:
	s_or_saveexec_b32 s37, s37
	v_dual_mov_b32 v7, s23 :: v_dual_mov_b32 v6, s3
	s_xor_b32 exec_lo, exec_lo, s37
; %bb.540:
	v_cmp_ne_u16_e32 vcc_lo, 0, v8
	v_dual_mov_b32 v7, 0 :: v_dual_mov_b32 v6, v8
	s_and_not1_b32 s2, s2, exec_lo
	s_and_b32 s3, vcc_lo, exec_lo
	s_delay_alu instid0(SALU_CYCLE_1)
	s_or_b32 s2, s2, s3
; %bb.541:
	s_or_b32 exec_lo, exec_lo, s37
	s_and_saveexec_b32 s3, s2
	s_cbranch_execz .LBB185_543
; %bb.542:
	v_and_b32_e32 v6, 0xffff, v8
	v_lshlrev_b32_e32 v8, 24, v8
	s_delay_alu instid0(VALU_DEP_2) | instskip(NEXT) | instid1(VALU_DEP_2)
	v_and_b32_e32 v7, 3, v6
	v_and_b32_e32 v8, 0x80000000, v8
	s_delay_alu instid0(VALU_DEP_2) | instskip(NEXT) | instid1(VALU_DEP_1)
	v_clz_i32_u32_e32 v9, v7
	v_min_u32_e32 v9, 32, v9
	s_delay_alu instid0(VALU_DEP_1) | instskip(SKIP_1) | instid1(VALU_DEP_2)
	v_subrev_nc_u32_e32 v10, 29, v9
	v_sub_nc_u32_e32 v9, 30, v9
	v_lshlrev_b32_e32 v10, v10, v6
	v_bfe_u32 v6, v6, 2, 5
	s_delay_alu instid0(VALU_DEP_2) | instskip(NEXT) | instid1(VALU_DEP_2)
	v_and_b32_e32 v10, 3, v10
	v_cmp_eq_u32_e32 vcc_lo, 0, v6
	s_delay_alu instid0(VALU_DEP_2) | instskip(NEXT) | instid1(VALU_DEP_1)
	v_dual_cndmask_b32 v6, v6, v9 :: v_dual_cndmask_b32 v7, v7, v10
	v_lshl_add_u32 v6, v6, 23, 0x37800000
	s_delay_alu instid0(VALU_DEP_2) | instskip(NEXT) | instid1(VALU_DEP_1)
	v_lshlrev_b32_e32 v7, 21, v7
	v_or3_b32 v6, v8, v6, v7
	v_mov_b32_e32 v7, 0
	s_delay_alu instid0(VALU_DEP_2)
	v_cvt_f16_f32_e32 v6, v6
.LBB185_543:
	s_or_b32 exec_lo, exec_lo, s3
	s_mov_b32 s2, 0
	s_branch .LBB185_547
.LBB185_544:
	s_mov_b32 s3, -1
                                        ; implicit-def: $vgpr7
                                        ; implicit-def: $vgpr6
	s_branch .LBB185_553
.LBB185_545:
	s_mov_b32 s2, -1
                                        ; implicit-def: $vgpr7
                                        ; implicit-def: $vgpr6
	s_branch .LBB185_550
.LBB185_546:
	s_mov_b32 s2, -1
                                        ; implicit-def: $vgpr7
                                        ; implicit-def: $vgpr6
.LBB185_547:
	s_delay_alu instid0(SALU_CYCLE_1)
	s_and_b32 vcc_lo, exec_lo, s2
	s_cbranch_vccz .LBB185_549
; %bb.548:
	global_load_u8 v6, v[1:2], off
	s_waitcnt vmcnt(0)
	v_lshlrev_b32_e32 v6, 24, v6
	s_delay_alu instid0(VALU_DEP_1) | instskip(NEXT) | instid1(VALU_DEP_1)
	v_and_b32_e32 v7, 0x7f000000, v6
	v_clz_i32_u32_e32 v8, v7
	v_add_nc_u32_e32 v10, 0x1000000, v7
	v_cmp_ne_u32_e32 vcc_lo, 0, v7
	s_delay_alu instid0(VALU_DEP_3) | instskip(NEXT) | instid1(VALU_DEP_1)
	v_min_u32_e32 v8, 32, v8
	v_sub_nc_u32_e64 v8, v8, 4 clamp
	s_delay_alu instid0(VALU_DEP_1) | instskip(SKIP_1) | instid1(VALU_DEP_2)
	v_lshlrev_b32_e32 v9, v8, v7
	v_lshlrev_b32_e32 v8, 23, v8
	v_lshrrev_b32_e32 v9, 4, v9
	s_delay_alu instid0(VALU_DEP_1) | instskip(SKIP_1) | instid1(VALU_DEP_2)
	v_sub_nc_u32_e32 v8, v9, v8
	v_ashrrev_i32_e32 v9, 8, v10
	v_add_nc_u32_e32 v8, 0x3c000000, v8
	s_delay_alu instid0(VALU_DEP_1) | instskip(NEXT) | instid1(VALU_DEP_1)
	v_and_or_b32 v8, 0x7f800000, v9, v8
	v_cndmask_b32_e32 v7, 0, v8, vcc_lo
	s_delay_alu instid0(VALU_DEP_1) | instskip(SKIP_1) | instid1(VALU_DEP_2)
	v_and_or_b32 v6, 0x80000000, v6, v7
	v_mov_b32_e32 v7, 0
	v_cvt_f16_f32_e32 v6, v6
.LBB185_549:
	s_mov_b32 s2, 0
.LBB185_550:
	s_delay_alu instid0(SALU_CYCLE_1)
	s_and_not1_b32 vcc_lo, exec_lo, s2
	s_cbranch_vccnz .LBB185_552
; %bb.551:
	global_load_u8 v6, v[1:2], off
	s_waitcnt vmcnt(0)
	v_lshlrev_b32_e32 v7, 25, v6
	v_lshlrev_b16 v6, 8, v6
	s_delay_alu instid0(VALU_DEP_2) | instskip(NEXT) | instid1(VALU_DEP_2)
	v_lshrrev_b32_e32 v8, 4, v7
	v_and_or_b32 v9, 0x7f00, v6, 0.5
	v_bfe_i32 v6, v6, 0, 16
	s_delay_alu instid0(VALU_DEP_3) | instskip(NEXT) | instid1(VALU_DEP_1)
	v_or_b32_e32 v8, 0x70000000, v8
	v_dual_add_f32 v9, -0.5, v9 :: v_dual_mul_f32 v8, 0x7800000, v8
	v_cmp_gt_u32_e32 vcc_lo, 0x8000000, v7
	s_delay_alu instid0(VALU_DEP_2) | instskip(NEXT) | instid1(VALU_DEP_1)
	v_cndmask_b32_e32 v7, v8, v9, vcc_lo
	v_and_or_b32 v6, 0x80000000, v6, v7
	v_mov_b32_e32 v7, 0
	s_delay_alu instid0(VALU_DEP_2)
	v_cvt_f16_f32_e32 v6, v6
.LBB185_552:
	s_mov_b32 s3, 0
	s_mov_b32 s2, -1
.LBB185_553:
	s_and_not1_b32 vcc_lo, exec_lo, s3
	s_cbranch_vccnz .LBB185_565
; %bb.554:
	v_cmp_lt_i16_e32 vcc_lo, 14, v4
	s_cbranch_vccz .LBB185_557
; %bb.555:
	v_cmp_eq_u16_e32 vcc_lo, 15, v4
	s_cbranch_vccz .LBB185_558
; %bb.556:
	global_load_u16 v6, v[1:2], off
	s_mov_b32 s2, -1
	s_mov_b32 s22, 0
	s_mov_b32 s3, 0
	s_waitcnt vmcnt(0)
	v_lshlrev_b32_e32 v6, 16, v6
	s_delay_alu instid0(VALU_DEP_1)
	v_cvt_f16_f32_e32 v6, v6
	s_branch .LBB185_559
.LBB185_557:
	s_mov_b32 s23, -1
                                        ; implicit-def: $sgpr3
                                        ; implicit-def: $vgpr6
	s_branch .LBB185_560
.LBB185_558:
	s_mov_b32 s22, -1
                                        ; implicit-def: $sgpr3
                                        ; implicit-def: $vgpr6
.LBB185_559:
	s_mov_b32 s23, 0
.LBB185_560:
	s_delay_alu instid0(SALU_CYCLE_1)
	s_and_b32 vcc_lo, exec_lo, s23
	s_cbranch_vccz .LBB185_564
; %bb.561:
	v_cmp_eq_u16_e32 vcc_lo, 11, v4
	s_cbranch_vccz .LBB185_563
; %bb.562:
	global_load_u8 v6, v[1:2], off
	s_mov_b32 s3, 0
	s_mov_b32 s2, -1
	s_mov_b32 s22, 0
	s_waitcnt vmcnt(0)
	v_cmp_ne_u16_e32 vcc_lo, 0, v6
	v_cndmask_b32_e64 v6, 0, 0x3c00, vcc_lo
	s_branch .LBB185_564
.LBB185_563:
	s_mov_b32 s22, -1
                                        ; implicit-def: $sgpr3
                                        ; implicit-def: $vgpr6
.LBB185_564:
	v_mov_b32_e32 v7, s3
.LBB185_565:
	s_branch .LBB185_329
.LBB185_566:
	v_cmp_gt_i16_e32 vcc_lo, 5, v4
	s_cbranch_vccnz .LBB185_571
; %bb.567:
	v_cmp_gt_i16_e32 vcc_lo, 8, v4
	s_cbranch_vccnz .LBB185_572
; %bb.568:
	;; [unrolled: 3-line block ×3, first 2 shown]
	v_cmp_lt_i16_e32 vcc_lo, 9, v4
	s_cbranch_vccz .LBB185_574
; %bb.570:
	global_load_b128 v[6:9], v[1:2], off
	s_mov_b32 s2, 0
	s_waitcnt vmcnt(0)
	v_cvt_f32_f64_e32 v6, v[6:7]
	v_cvt_f32_f64_e32 v7, v[8:9]
	s_delay_alu instid0(VALU_DEP_2) | instskip(NEXT) | instid1(VALU_DEP_2)
	v_cvt_f16_f32_e32 v6, v6
	v_cvt_f16_f32_e32 v7, v7
	s_branch .LBB185_575
.LBB185_571:
	s_mov_b32 s2, -1
                                        ; implicit-def: $vgpr7
                                        ; implicit-def: $vgpr6
	s_branch .LBB185_594
.LBB185_572:
	s_mov_b32 s2, -1
                                        ; implicit-def: $vgpr7
                                        ; implicit-def: $vgpr6
	s_branch .LBB185_581
.LBB185_573:
	s_mov_b32 s2, -1
                                        ; implicit-def: $vgpr7
                                        ; implicit-def: $vgpr6
	s_branch .LBB185_578
.LBB185_574:
	s_mov_b32 s2, -1
                                        ; implicit-def: $vgpr7
                                        ; implicit-def: $vgpr6
.LBB185_575:
	s_delay_alu instid0(SALU_CYCLE_1)
	s_and_not1_b32 vcc_lo, exec_lo, s2
	s_cbranch_vccnz .LBB185_577
; %bb.576:
	global_load_b64 v[6:7], v[1:2], off
	s_waitcnt vmcnt(0)
	v_cvt_f16_f32_e32 v6, v6
	v_cvt_f16_f32_e32 v7, v7
.LBB185_577:
	s_mov_b32 s2, 0
.LBB185_578:
	s_delay_alu instid0(SALU_CYCLE_1)
	s_and_not1_b32 vcc_lo, exec_lo, s2
	s_cbranch_vccnz .LBB185_580
; %bb.579:
	global_load_b32 v6, v[1:2], off
	s_waitcnt vmcnt(0)
	v_lshrrev_b32_e32 v7, 16, v6
.LBB185_580:
	s_mov_b32 s2, 0
.LBB185_581:
	s_delay_alu instid0(SALU_CYCLE_1)
	s_and_not1_b32 vcc_lo, exec_lo, s2
	s_cbranch_vccnz .LBB185_593
; %bb.582:
	v_cmp_gt_i16_e32 vcc_lo, 6, v4
	s_cbranch_vccnz .LBB185_585
; %bb.583:
	v_cmp_lt_i16_e32 vcc_lo, 6, v4
	s_cbranch_vccz .LBB185_586
; %bb.584:
	global_load_b64 v[6:7], v[1:2], off
	s_mov_b32 s3, 0
	s_mov_b32 s2, 0
	s_waitcnt vmcnt(0)
	v_cvt_f32_f64_e32 v6, v[6:7]
	s_delay_alu instid0(VALU_DEP_1)
	v_cvt_f16_f32_e32 v6, v6
	s_branch .LBB185_587
.LBB185_585:
	s_mov_b32 s3, -1
                                        ; implicit-def: $sgpr2
                                        ; implicit-def: $vgpr6
	s_branch .LBB185_590
.LBB185_586:
	s_mov_b32 s3, -1
                                        ; implicit-def: $sgpr2
                                        ; implicit-def: $vgpr6
.LBB185_587:
	s_delay_alu instid0(SALU_CYCLE_1)
	s_and_not1_b32 vcc_lo, exec_lo, s3
	s_cbranch_vccnz .LBB185_589
; %bb.588:
	global_load_b32 v6, v[1:2], off
	s_mov_b32 s2, 0
	s_waitcnt vmcnt(0)
	v_cvt_f16_f32_e32 v6, v6
.LBB185_589:
	s_mov_b32 s3, 0
.LBB185_590:
	s_delay_alu instid0(SALU_CYCLE_1)
	s_and_not1_b32 vcc_lo, exec_lo, s3
	s_cbranch_vccnz .LBB185_592
; %bb.591:
	global_load_u16 v6, v[1:2], off
	s_mov_b32 s2, 0
.LBB185_592:
	s_delay_alu instid0(SALU_CYCLE_1)
	v_mov_b32_e32 v7, s2
.LBB185_593:
	s_mov_b32 s2, 0
.LBB185_594:
	s_delay_alu instid0(SALU_CYCLE_1)
	s_and_not1_b32 vcc_lo, exec_lo, s2
	s_cbranch_vccnz .LBB185_615
; %bb.595:
	v_cmp_gt_i16_e32 vcc_lo, 2, v4
	s_cbranch_vccnz .LBB185_599
; %bb.596:
	v_cmp_gt_i16_e32 vcc_lo, 3, v4
	s_cbranch_vccnz .LBB185_600
; %bb.597:
	v_cmp_lt_i16_e32 vcc_lo, 3, v4
	s_cbranch_vccz .LBB185_601
; %bb.598:
	global_load_b64 v[6:7], v[1:2], off
	s_mov_b32 s3, 0
	s_mov_b32 s2, 0
	s_waitcnt vmcnt(0)
	v_xor_b32_e32 v8, v6, v7
	v_cls_i32_e32 v9, v7
	s_delay_alu instid0(VALU_DEP_2) | instskip(NEXT) | instid1(VALU_DEP_2)
	v_ashrrev_i32_e32 v8, 31, v8
	v_add_nc_u32_e32 v9, -1, v9
	s_delay_alu instid0(VALU_DEP_2) | instskip(NEXT) | instid1(VALU_DEP_1)
	v_add_nc_u32_e32 v8, 32, v8
	v_min_u32_e32 v8, v9, v8
	s_delay_alu instid0(VALU_DEP_1) | instskip(NEXT) | instid1(VALU_DEP_1)
	v_lshlrev_b64 v[6:7], v8, v[6:7]
	v_min_u32_e32 v6, 1, v6
	s_delay_alu instid0(VALU_DEP_1) | instskip(SKIP_1) | instid1(VALU_DEP_2)
	v_or_b32_e32 v6, v7, v6
	v_sub_nc_u32_e32 v7, 32, v8
	v_cvt_f32_i32_e32 v6, v6
	s_delay_alu instid0(VALU_DEP_1) | instskip(NEXT) | instid1(VALU_DEP_1)
	v_ldexp_f32 v6, v6, v7
	v_cvt_f16_f32_e32 v6, v6
	s_branch .LBB185_602
.LBB185_599:
	s_mov_b32 s3, -1
                                        ; implicit-def: $sgpr2
                                        ; implicit-def: $vgpr6
	s_branch .LBB185_608
.LBB185_600:
	s_mov_b32 s3, -1
                                        ; implicit-def: $sgpr2
                                        ; implicit-def: $vgpr6
	s_branch .LBB185_605
.LBB185_601:
	s_mov_b32 s3, -1
                                        ; implicit-def: $sgpr2
                                        ; implicit-def: $vgpr6
.LBB185_602:
	s_delay_alu instid0(SALU_CYCLE_1)
	s_and_not1_b32 vcc_lo, exec_lo, s3
	s_cbranch_vccnz .LBB185_604
; %bb.603:
	global_load_b32 v6, v[1:2], off
	s_mov_b32 s2, 0
	s_waitcnt vmcnt(0)
	v_cvt_f32_i32_e32 v6, v6
	s_delay_alu instid0(VALU_DEP_1)
	v_cvt_f16_f32_e32 v6, v6
.LBB185_604:
	s_mov_b32 s3, 0
.LBB185_605:
	s_delay_alu instid0(SALU_CYCLE_1)
	s_and_not1_b32 vcc_lo, exec_lo, s3
	s_cbranch_vccnz .LBB185_607
; %bb.606:
	global_load_u16 v6, v[1:2], off
	s_mov_b32 s2, 0
	s_waitcnt vmcnt(0)
	v_cvt_f16_i16_e32 v6, v6
.LBB185_607:
	s_mov_b32 s3, 0
.LBB185_608:
	s_delay_alu instid0(SALU_CYCLE_1)
	s_and_not1_b32 vcc_lo, exec_lo, s3
	s_cbranch_vccnz .LBB185_614
; %bb.609:
	v_cmp_lt_i16_e32 vcc_lo, 0, v4
	s_mov_b32 s3, 0
	s_cbranch_vccz .LBB185_611
; %bb.610:
	global_load_i8 v6, v[1:2], off
	s_mov_b32 s2, 0
	s_waitcnt vmcnt(0)
	v_cvt_f16_i16_e32 v6, v6
	s_branch .LBB185_612
.LBB185_611:
	s_mov_b32 s3, -1
                                        ; implicit-def: $sgpr2
                                        ; implicit-def: $vgpr6
.LBB185_612:
	s_delay_alu instid0(SALU_CYCLE_1)
	s_and_not1_b32 vcc_lo, exec_lo, s3
	s_cbranch_vccnz .LBB185_614
; %bb.613:
	global_load_u8 v1, v[1:2], off
	s_mov_b32 s2, 0
	s_waitcnt vmcnt(0)
	v_cvt_f16_u16_e32 v6, v1
.LBB185_614:
	v_mov_b32_e32 v7, s2
.LBB185_615:
	s_branch .LBB185_330
.LBB185_616:
	s_mov_b32 s3, 0
	s_mov_b32 s2, s34
.LBB185_617:
                                        ; implicit-def: $vgpr5
.LBB185_618:
	s_and_not1_b32 s23, s34, exec_lo
	s_and_b32 s2, s2, exec_lo
	s_and_not1_b32 s37, s35, exec_lo
	s_and_b32 s22, s22, exec_lo
	s_or_b32 s38, s23, s2
	s_or_b32 s37, s37, s22
	s_or_not1_b32 s2, s3, exec_lo
.LBB185_619:
	s_or_b32 exec_lo, exec_lo, s39
	s_mov_b32 s3, 0
	s_mov_b32 s23, 0
	;; [unrolled: 1-line block ×3, first 2 shown]
                                        ; implicit-def: $vgpr1_vgpr2
                                        ; implicit-def: $vgpr0
                                        ; implicit-def: $vgpr8
                                        ; implicit-def: $vgpr6
	s_and_saveexec_b32 s39, s2
	s_cbranch_execz .LBB185_1037
; %bb.620:
	s_mov_b32 s42, -1
	s_mov_b32 s22, s37
	s_mov_b32 s23, s38
	s_mov_b32 s40, exec_lo
	v_cmpx_gt_i32_e64 s30, v5
	s_cbranch_execz .LBB185_935
; %bb.621:
	s_and_not1_b32 vcc_lo, exec_lo, s27
	s_cbranch_vccnz .LBB185_626
; %bb.622:
	v_dual_mov_b32 v0, 0 :: v_dual_mov_b32 v1, 0
	s_and_not1_b32 vcc_lo, exec_lo, s33
	s_mov_b32 s41, 0
	s_cbranch_vccnz .LBB185_631
; %bb.623:
	v_mov_b32_e32 v0, 0
	s_add_i32 s43, s31, 1
	s_cmp_eq_u32 s25, 2
	s_mov_b32 s42, 0
	s_cbranch_scc1 .LBB185_627
; %bb.624:
	v_dual_mov_b32 v1, 0 :: v_dual_mov_b32 v0, 0
	v_mov_b32_e32 v2, v5
	s_and_b32 s42, s43, 28
	s_mov_b32 s44, 0
	s_mov_b64 s[2:3], s[20:21]
	s_mov_b64 s[22:23], s[16:17]
.LBB185_625:                            ; =>This Inner Loop Header: Depth=1
	s_clause 0x1
	s_load_b256 s[48:55], s[22:23], 0x4
	s_load_b128 s[64:67], s[22:23], 0x24
	s_load_b256 s[56:63], s[2:3], 0x0
	s_add_u32 s22, s22, 48
	s_addc_u32 s23, s23, 0
	s_add_i32 s44, s44, 4
	s_add_u32 s2, s2, 32
	s_addc_u32 s3, s3, 0
	s_cmp_eq_u32 s42, s44
	s_waitcnt vmcnt(0) lgkmcnt(0)
	v_mul_hi_u32 v6, s49, v2
	s_delay_alu instid0(VALU_DEP_1) | instskip(NEXT) | instid1(VALU_DEP_1)
	v_add_nc_u32_e32 v6, v2, v6
	v_lshrrev_b32_e32 v6, s50, v6
	s_delay_alu instid0(VALU_DEP_1) | instskip(SKIP_1) | instid1(VALU_DEP_2)
	v_mul_hi_u32 v7, s52, v6
	v_mul_lo_u32 v9, v6, s48
	v_add_nc_u32_e32 v7, v6, v7
	s_delay_alu instid0(VALU_DEP_2) | instskip(NEXT) | instid1(VALU_DEP_2)
	v_sub_nc_u32_e32 v2, v2, v9
	v_lshrrev_b32_e32 v7, s53, v7
	s_delay_alu instid0(VALU_DEP_2) | instskip(SKIP_1) | instid1(VALU_DEP_3)
	v_mul_lo_u32 v9, v2, s56
	v_mul_lo_u32 v11, v2, s57
	v_mul_hi_u32 v8, s55, v7
	s_delay_alu instid0(VALU_DEP_1) | instskip(NEXT) | instid1(VALU_DEP_1)
	v_add_nc_u32_e32 v8, v7, v8
	v_lshrrev_b32_e32 v8, s64, v8
	s_delay_alu instid0(VALU_DEP_1) | instskip(SKIP_1) | instid1(VALU_DEP_2)
	v_mul_hi_u32 v10, s66, v8
	v_mul_lo_u32 v12, v8, s54
	v_add_nc_u32_e32 v2, v8, v10
	v_mul_lo_u32 v10, v7, s51
	s_delay_alu instid0(VALU_DEP_3) | instskip(NEXT) | instid1(VALU_DEP_3)
	v_sub_nc_u32_e32 v7, v7, v12
	v_lshrrev_b32_e32 v2, s67, v2
	s_delay_alu instid0(VALU_DEP_2) | instskip(SKIP_2) | instid1(VALU_DEP_4)
	v_mul_lo_u32 v12, v7, s60
	v_mul_lo_u32 v7, v7, s61
	v_sub_nc_u32_e32 v6, v6, v10
	v_mul_lo_u32 v13, v2, s65
	s_delay_alu instid0(VALU_DEP_2) | instskip(SKIP_1) | instid1(VALU_DEP_3)
	v_mul_lo_u32 v10, v6, s58
	v_mul_lo_u32 v6, v6, s59
	v_sub_nc_u32_e32 v8, v8, v13
	s_delay_alu instid0(VALU_DEP_3) | instskip(NEXT) | instid1(VALU_DEP_2)
	v_add3_u32 v0, v9, v0, v10
	v_mul_lo_u32 v13, v8, s62
	v_mul_lo_u32 v8, v8, s63
	v_add3_u32 v1, v11, v1, v6
	s_delay_alu instid0(VALU_DEP_3) | instskip(NEXT) | instid1(VALU_DEP_2)
	v_add3_u32 v0, v12, v0, v13
	v_add3_u32 v1, v7, v1, v8
	s_cbranch_scc0 .LBB185_625
	s_branch .LBB185_628
.LBB185_626:
	s_mov_b32 s41, -1
                                        ; implicit-def: $vgpr0
                                        ; implicit-def: $vgpr1
	s_branch .LBB185_631
.LBB185_627:
	v_dual_mov_b32 v2, v5 :: v_dual_mov_b32 v1, 0
.LBB185_628:
	s_and_b32 s43, s43, 3
	s_delay_alu instid0(SALU_CYCLE_1)
	s_cmp_eq_u32 s43, 0
	s_cbranch_scc1 .LBB185_631
; %bb.629:
	s_lshl_b32 s2, s42, 3
	s_mul_i32 s22, s42, 12
	s_add_u32 s2, s2, s16
	s_addc_u32 s3, s17, 0
	s_add_u32 s2, s2, 0xc4
	s_addc_u32 s3, s3, 0
	;; [unrolled: 2-line block ×3, first 2 shown]
	.p2align	6
.LBB185_630:                            ; =>This Inner Loop Header: Depth=1
	s_clause 0x1
	s_load_b64 s[44:45], s[22:23], 0x4
	s_load_b32 s42, s[22:23], 0xc
	s_load_b64 s[46:47], s[2:3], 0x0
	s_add_u32 s22, s22, 12
	s_addc_u32 s23, s23, 0
	s_add_u32 s2, s2, 8
	s_addc_u32 s3, s3, 0
	s_add_i32 s43, s43, -1
	s_delay_alu instid0(SALU_CYCLE_1) | instskip(SKIP_2) | instid1(VALU_DEP_1)
	s_cmp_lg_u32 s43, 0
	s_waitcnt vmcnt(0) lgkmcnt(0)
	v_mul_hi_u32 v6, s45, v2
	v_add_nc_u32_e32 v6, v2, v6
	s_delay_alu instid0(VALU_DEP_1) | instskip(NEXT) | instid1(VALU_DEP_1)
	v_lshrrev_b32_e32 v9, s42, v6
	v_mul_lo_u32 v6, v9, s44
	s_delay_alu instid0(VALU_DEP_1) | instskip(NEXT) | instid1(VALU_DEP_1)
	v_sub_nc_u32_e32 v2, v2, v6
	v_mad_u64_u32 v[6:7], null, v2, s46, v[0:1]
	v_mad_u64_u32 v[7:8], null, v2, s47, v[1:2]
	v_mov_b32_e32 v2, v9
	s_delay_alu instid0(VALU_DEP_2)
	v_dual_mov_b32 v0, v6 :: v_dual_mov_b32 v1, v7
	s_cbranch_scc1 .LBB185_630
.LBB185_631:
	s_and_not1_b32 vcc_lo, exec_lo, s41
	s_cbranch_vccnz .LBB185_634
; %bb.632:
	s_waitcnt lgkmcnt(0)
	v_mul_hi_u32 v0, s13, v5
	s_and_not1_b32 vcc_lo, exec_lo, s29
	s_delay_alu instid0(VALU_DEP_1) | instskip(NEXT) | instid1(VALU_DEP_1)
	v_add_nc_u32_e32 v0, v5, v0
	v_lshrrev_b32_e32 v2, s14, v0
	s_delay_alu instid0(VALU_DEP_1) | instskip(NEXT) | instid1(VALU_DEP_1)
	v_mul_lo_u32 v0, v2, s12
	v_sub_nc_u32_e32 v1, v5, v0
	s_delay_alu instid0(VALU_DEP_1)
	v_mul_lo_u32 v0, v1, s8
	v_mul_lo_u32 v1, v1, s9
	s_cbranch_vccnz .LBB185_634
; %bb.633:
	s_waitcnt vmcnt(0)
	v_mul_hi_u32 v6, s18, v2
	s_delay_alu instid0(VALU_DEP_1) | instskip(NEXT) | instid1(VALU_DEP_1)
	v_add_nc_u32_e32 v6, v2, v6
	v_lshrrev_b32_e32 v6, s19, v6
	s_delay_alu instid0(VALU_DEP_1) | instskip(NEXT) | instid1(VALU_DEP_1)
	v_mul_lo_u32 v6, v6, s15
	v_sub_nc_u32_e32 v2, v2, v6
	s_delay_alu instid0(VALU_DEP_1) | instskip(SKIP_1) | instid1(VALU_DEP_1)
	v_mad_u64_u32 v[6:7], null, v2, s10, v[0:1]
	v_mad_u64_u32 v[7:8], null, v2, s11, v[1:2]
	v_dual_mov_b32 v0, v6 :: v_dual_mov_b32 v1, v7
.LBB185_634:
	v_cmp_gt_i16_e32 vcc_lo, 11, v4
	s_waitcnt lgkmcnt(0)
	s_delay_alu instid0(VALU_DEP_2) | instskip(NEXT) | instid1(VALU_DEP_1)
	v_add_co_u32 v1, s2, s6, v1
	v_add_co_ci_u32_e64 v2, null, s7, 0, s2
	s_mov_b32 s2, 0
	s_cbranch_vccnz .LBB185_641
; %bb.635:
	v_cmp_lt_i16_e32 vcc_lo, 25, v4
	s_cbranch_vccz .LBB185_642
; %bb.636:
	v_cmp_lt_i16_e32 vcc_lo, 28, v4
	s_cbranch_vccz .LBB185_643
	;; [unrolled: 3-line block ×4, first 2 shown]
; %bb.639:
	v_cmp_eq_u16_e32 vcc_lo, 46, v4
	s_mov_b32 s3, 0
	s_cbranch_vccz .LBB185_650
; %bb.640:
	global_load_b32 v6, v[1:2], off
	s_mov_b32 s2, -1
	s_mov_b32 s22, 0
	s_waitcnt vmcnt(0)
	v_lshlrev_b32_e32 v7, 16, v6
	v_and_b32_e32 v8, 0xffff0000, v6
	s_delay_alu instid0(VALU_DEP_2) | instskip(NEXT) | instid1(VALU_DEP_2)
	v_cvt_f16_f32_e32 v6, v7
	v_cvt_f16_f32_e32 v7, v8
	s_branch .LBB185_652
.LBB185_641:
	s_mov_b32 s3, -1
	s_mov_b32 s22, s37
                                        ; implicit-def: $vgpr7
                                        ; implicit-def: $vgpr6
	s_branch .LBB185_720
.LBB185_642:
	s_mov_b32 s3, -1
	s_mov_b32 s22, s37
                                        ; implicit-def: $vgpr7
                                        ; implicit-def: $vgpr6
	s_branch .LBB185_685
.LBB185_643:
	s_mov_b32 s3, -1
	s_mov_b32 s22, s37
                                        ; implicit-def: $vgpr7
                                        ; implicit-def: $vgpr6
	s_branch .LBB185_664
.LBB185_644:
	s_mov_b32 s3, -1
	s_mov_b32 s22, s37
                                        ; implicit-def: $vgpr7
                                        ; implicit-def: $vgpr6
	s_branch .LBB185_658
.LBB185_645:
	s_or_saveexec_b32 s37, s37
                                        ; implicit-def: $sgpr38
	s_delay_alu instid0(SALU_CYCLE_1)
	s_xor_b32 exec_lo, exec_lo, s37
	s_cbranch_execz .LBB185_451
.LBB185_646:
	v_add_f32_e64 v10, 0x46000000, |v9|
	s_and_not1_b32 s23, s23, exec_lo
	s_mov_b32 s38, 0
	s_delay_alu instid0(VALU_DEP_1) | instskip(NEXT) | instid1(VALU_DEP_1)
	v_and_b32_e32 v10, 0xff, v10
	v_cmp_ne_u32_e32 vcc_lo, 0, v10
	s_and_b32 s40, vcc_lo, exec_lo
	s_delay_alu instid0(SALU_CYCLE_1)
	s_or_b32 s23, s23, s40
	s_or_b32 exec_lo, exec_lo, s37
	v_mov_b32_e32 v11, s38
	s_and_saveexec_b32 s37, s23
	s_cbranch_execnz .LBB185_452
	s_branch .LBB185_453
.LBB185_647:
	s_mov_b32 s3, -1
	s_mov_b32 s22, s37
	s_branch .LBB185_651
.LBB185_648:
	s_or_saveexec_b32 s37, s37
                                        ; implicit-def: $sgpr38
	s_delay_alu instid0(SALU_CYCLE_1)
	s_xor_b32 exec_lo, exec_lo, s37
	s_cbranch_execz .LBB185_464
.LBB185_649:
	v_add_f32_e64 v10, 0x42800000, |v9|
	s_and_not1_b32 s23, s23, exec_lo
	s_mov_b32 s38, 0
	s_delay_alu instid0(VALU_DEP_1) | instskip(NEXT) | instid1(VALU_DEP_1)
	v_and_b32_e32 v10, 0xff, v10
	v_cmp_ne_u32_e32 vcc_lo, 0, v10
	s_and_b32 s40, vcc_lo, exec_lo
	s_delay_alu instid0(SALU_CYCLE_1)
	s_or_b32 s23, s23, s40
	s_or_b32 exec_lo, exec_lo, s37
	v_mov_b32_e32 v11, s38
	s_and_saveexec_b32 s37, s23
	s_cbranch_execnz .LBB185_465
	s_branch .LBB185_466
.LBB185_650:
	s_mov_b32 s22, -1
.LBB185_651:
                                        ; implicit-def: $vgpr7
                                        ; implicit-def: $vgpr6
.LBB185_652:
	s_and_b32 vcc_lo, exec_lo, s3
	s_cbranch_vccz .LBB185_657
; %bb.653:
	v_cmp_eq_u16_e32 vcc_lo, 44, v4
	s_cbranch_vccz .LBB185_655
; %bb.654:
	global_load_u8 v6, v[1:2], off
	s_mov_b32 s22, 0
	s_mov_b32 s2, -1
	s_waitcnt vmcnt(0)
	v_lshlrev_b32_e32 v7, 23, v6
	v_cmp_ne_u32_e32 vcc_lo, 0xff, v6
	s_delay_alu instid0(VALU_DEP_2) | instskip(NEXT) | instid1(VALU_DEP_1)
	v_cvt_f16_f32_e32 v7, v7
	v_cndmask_b32_e32 v7, 0x7e00, v7, vcc_lo
	v_cmp_ne_u32_e32 vcc_lo, 0, v6
	s_delay_alu instid0(VALU_DEP_2)
	v_cndmask_b32_e32 v6, 0, v7, vcc_lo
	s_branch .LBB185_656
.LBB185_655:
	s_mov_b32 s22, -1
                                        ; implicit-def: $vgpr6
.LBB185_656:
	s_delay_alu instid0(SALU_CYCLE_1)
	v_mov_b32_e32 v7, s22
.LBB185_657:
	s_mov_b32 s3, 0
.LBB185_658:
	s_delay_alu instid0(SALU_CYCLE_1)
	s_and_b32 vcc_lo, exec_lo, s3
	s_cbranch_vccz .LBB185_663
; %bb.659:
	v_cmp_eq_u16_e32 vcc_lo, 29, v4
	s_cbranch_vccz .LBB185_661
; %bb.660:
	global_load_b64 v[6:7], v[1:2], off
	s_mov_b32 s2, -1
	s_mov_b32 s22, 0
	s_mov_b32 s3, 0
	s_waitcnt vmcnt(0)
	v_clz_i32_u32_e32 v8, v7
	s_delay_alu instid0(VALU_DEP_1) | instskip(NEXT) | instid1(VALU_DEP_1)
	v_min_u32_e32 v8, 32, v8
	v_lshlrev_b64 v[6:7], v8, v[6:7]
	s_delay_alu instid0(VALU_DEP_1) | instskip(NEXT) | instid1(VALU_DEP_1)
	v_min_u32_e32 v6, 1, v6
	v_or_b32_e32 v6, v7, v6
	v_sub_nc_u32_e32 v7, 32, v8
	s_delay_alu instid0(VALU_DEP_2) | instskip(NEXT) | instid1(VALU_DEP_1)
	v_cvt_f32_u32_e32 v6, v6
	v_ldexp_f32 v6, v6, v7
	s_delay_alu instid0(VALU_DEP_1)
	v_cvt_f16_f32_e32 v6, v6
	s_branch .LBB185_662
.LBB185_661:
	s_mov_b32 s22, -1
                                        ; implicit-def: $sgpr3
                                        ; implicit-def: $vgpr6
.LBB185_662:
	v_mov_b32_e32 v7, s3
.LBB185_663:
	s_mov_b32 s3, 0
.LBB185_664:
	s_delay_alu instid0(SALU_CYCLE_1)
	s_and_b32 vcc_lo, exec_lo, s3
	s_cbranch_vccz .LBB185_684
; %bb.665:
	v_cmp_gt_i16_e32 vcc_lo, 27, v4
	s_cbranch_vccnz .LBB185_668
; %bb.666:
	v_cmp_lt_i16_e32 vcc_lo, 27, v4
	s_cbranch_vccz .LBB185_669
; %bb.667:
	global_load_b32 v6, v[1:2], off
	s_mov_b32 s3, 0
	s_mov_b32 s2, 0
	s_waitcnt vmcnt(0)
	v_cvt_f32_u32_e32 v6, v6
	s_delay_alu instid0(VALU_DEP_1)
	v_cvt_f16_f32_e32 v6, v6
	s_branch .LBB185_670
.LBB185_668:
	s_mov_b32 s3, -1
                                        ; implicit-def: $sgpr2
                                        ; implicit-def: $vgpr6
	s_branch .LBB185_673
.LBB185_669:
	s_mov_b32 s3, -1
                                        ; implicit-def: $sgpr2
                                        ; implicit-def: $vgpr6
.LBB185_670:
	s_delay_alu instid0(SALU_CYCLE_1)
	s_and_not1_b32 vcc_lo, exec_lo, s3
	s_cbranch_vccnz .LBB185_672
; %bb.671:
	global_load_u16 v6, v[1:2], off
	s_mov_b32 s2, 0
	s_waitcnt vmcnt(0)
	v_cvt_f16_u16_e32 v6, v6
.LBB185_672:
	s_mov_b32 s3, 0
.LBB185_673:
	v_mov_b32_e32 v7, s2
	s_and_not1_b32 vcc_lo, exec_lo, s3
	s_cbranch_vccnz .LBB185_683
; %bb.674:
	global_load_u8 v8, v[1:2], off
	s_mov_b32 s2, 0
	s_mov_b32 s41, exec_lo
                                        ; implicit-def: $sgpr23
                                        ; implicit-def: $sgpr3
	s_waitcnt vmcnt(0)
	v_cmpx_lt_i16_e32 0x7f, v8
	s_xor_b32 s41, exec_lo, s41
	s_cbranch_execz .LBB185_678
; %bb.675:
	s_mov_b32 s2, -1
	s_mov_b32 s42, exec_lo
                                        ; implicit-def: $sgpr23
                                        ; implicit-def: $sgpr3
	v_cmpx_eq_u16_e32 0x80, v8
; %bb.676:
	s_movk_i32 s3, 0x7e00
	s_mov_b32 s23, 0
	s_xor_b32 s2, exec_lo, -1
; %bb.677:
	s_or_b32 exec_lo, exec_lo, s42
	s_delay_alu instid0(SALU_CYCLE_1)
	s_and_b32 s2, s2, exec_lo
.LBB185_678:
	s_or_saveexec_b32 s41, s41
	v_dual_mov_b32 v7, s23 :: v_dual_mov_b32 v6, s3
	s_xor_b32 exec_lo, exec_lo, s41
; %bb.679:
	v_cmp_ne_u16_e32 vcc_lo, 0, v8
	v_dual_mov_b32 v7, 0 :: v_dual_mov_b32 v6, v8
	s_and_not1_b32 s2, s2, exec_lo
	s_and_b32 s3, vcc_lo, exec_lo
	s_delay_alu instid0(SALU_CYCLE_1)
	s_or_b32 s2, s2, s3
; %bb.680:
	s_or_b32 exec_lo, exec_lo, s41
	s_and_saveexec_b32 s3, s2
	s_cbranch_execz .LBB185_682
; %bb.681:
	v_and_b32_e32 v6, 0xffff, v8
	v_lshlrev_b32_e32 v8, 24, v8
	s_delay_alu instid0(VALU_DEP_2) | instskip(NEXT) | instid1(VALU_DEP_2)
	v_and_b32_e32 v7, 7, v6
	v_and_b32_e32 v8, 0x80000000, v8
	s_delay_alu instid0(VALU_DEP_2) | instskip(NEXT) | instid1(VALU_DEP_1)
	v_clz_i32_u32_e32 v9, v7
	v_min_u32_e32 v9, 32, v9
	s_delay_alu instid0(VALU_DEP_1) | instskip(SKIP_1) | instid1(VALU_DEP_2)
	v_subrev_nc_u32_e32 v10, 28, v9
	v_sub_nc_u32_e32 v9, 29, v9
	v_lshlrev_b32_e32 v10, v10, v6
	v_bfe_u32 v6, v6, 3, 4
	s_delay_alu instid0(VALU_DEP_2) | instskip(NEXT) | instid1(VALU_DEP_2)
	v_and_b32_e32 v10, 7, v10
	v_cmp_eq_u32_e32 vcc_lo, 0, v6
	s_delay_alu instid0(VALU_DEP_2) | instskip(NEXT) | instid1(VALU_DEP_1)
	v_dual_cndmask_b32 v6, v6, v9 :: v_dual_cndmask_b32 v7, v7, v10
	v_lshl_add_u32 v6, v6, 23, 0x3b800000
	s_delay_alu instid0(VALU_DEP_2) | instskip(NEXT) | instid1(VALU_DEP_1)
	v_lshlrev_b32_e32 v7, 20, v7
	v_or3_b32 v6, v8, v6, v7
	v_mov_b32_e32 v7, 0
	s_delay_alu instid0(VALU_DEP_2)
	v_cvt_f16_f32_e32 v6, v6
.LBB185_682:
	s_or_b32 exec_lo, exec_lo, s3
.LBB185_683:
	s_mov_b32 s2, -1
.LBB185_684:
	s_mov_b32 s3, 0
.LBB185_685:
	s_delay_alu instid0(SALU_CYCLE_1)
	s_and_b32 vcc_lo, exec_lo, s3
	s_cbranch_vccz .LBB185_719
; %bb.686:
	v_cmp_lt_i16_e32 vcc_lo, 22, v4
	s_cbranch_vccz .LBB185_698
; %bb.687:
	v_cmp_gt_i16_e32 vcc_lo, 24, v4
	s_cbranch_vccnz .LBB185_699
; %bb.688:
	v_cmp_lt_i16_e32 vcc_lo, 24, v4
	s_cbranch_vccz .LBB185_700
; %bb.689:
	global_load_u8 v8, v[1:2], off
	s_mov_b32 s2, 0
	s_mov_b32 s41, exec_lo
                                        ; implicit-def: $sgpr23
                                        ; implicit-def: $sgpr3
	s_waitcnt vmcnt(0)
	v_cmpx_lt_i16_e32 0x7f, v8
	s_xor_b32 s41, exec_lo, s41
	s_cbranch_execz .LBB185_693
; %bb.690:
	s_mov_b32 s2, -1
	s_mov_b32 s42, exec_lo
                                        ; implicit-def: $sgpr23
                                        ; implicit-def: $sgpr3
	v_cmpx_eq_u16_e32 0x80, v8
; %bb.691:
	s_movk_i32 s3, 0x7e00
	s_mov_b32 s23, 0
	s_xor_b32 s2, exec_lo, -1
; %bb.692:
	s_or_b32 exec_lo, exec_lo, s42
	s_delay_alu instid0(SALU_CYCLE_1)
	s_and_b32 s2, s2, exec_lo
.LBB185_693:
	s_or_saveexec_b32 s41, s41
	v_dual_mov_b32 v7, s23 :: v_dual_mov_b32 v6, s3
	s_xor_b32 exec_lo, exec_lo, s41
; %bb.694:
	v_cmp_ne_u16_e32 vcc_lo, 0, v8
	v_dual_mov_b32 v7, 0 :: v_dual_mov_b32 v6, v8
	s_and_not1_b32 s2, s2, exec_lo
	s_and_b32 s3, vcc_lo, exec_lo
	s_delay_alu instid0(SALU_CYCLE_1)
	s_or_b32 s2, s2, s3
; %bb.695:
	s_or_b32 exec_lo, exec_lo, s41
	s_and_saveexec_b32 s3, s2
	s_cbranch_execz .LBB185_697
; %bb.696:
	v_and_b32_e32 v6, 0xffff, v8
	v_lshlrev_b32_e32 v8, 24, v8
	s_delay_alu instid0(VALU_DEP_2) | instskip(NEXT) | instid1(VALU_DEP_2)
	v_and_b32_e32 v7, 3, v6
	v_and_b32_e32 v8, 0x80000000, v8
	s_delay_alu instid0(VALU_DEP_2) | instskip(NEXT) | instid1(VALU_DEP_1)
	v_clz_i32_u32_e32 v9, v7
	v_min_u32_e32 v9, 32, v9
	s_delay_alu instid0(VALU_DEP_1) | instskip(SKIP_1) | instid1(VALU_DEP_2)
	v_subrev_nc_u32_e32 v10, 29, v9
	v_sub_nc_u32_e32 v9, 30, v9
	v_lshlrev_b32_e32 v10, v10, v6
	v_bfe_u32 v6, v6, 2, 5
	s_delay_alu instid0(VALU_DEP_2) | instskip(NEXT) | instid1(VALU_DEP_2)
	v_and_b32_e32 v10, 3, v10
	v_cmp_eq_u32_e32 vcc_lo, 0, v6
	s_delay_alu instid0(VALU_DEP_2) | instskip(NEXT) | instid1(VALU_DEP_1)
	v_dual_cndmask_b32 v6, v6, v9 :: v_dual_cndmask_b32 v7, v7, v10
	v_lshl_add_u32 v6, v6, 23, 0x37800000
	s_delay_alu instid0(VALU_DEP_2) | instskip(NEXT) | instid1(VALU_DEP_1)
	v_lshlrev_b32_e32 v7, 21, v7
	v_or3_b32 v6, v8, v6, v7
	v_mov_b32_e32 v7, 0
	s_delay_alu instid0(VALU_DEP_2)
	v_cvt_f16_f32_e32 v6, v6
.LBB185_697:
	s_or_b32 exec_lo, exec_lo, s3
	s_mov_b32 s2, 0
	s_branch .LBB185_701
.LBB185_698:
	s_mov_b32 s3, -1
                                        ; implicit-def: $vgpr7
                                        ; implicit-def: $vgpr6
	s_branch .LBB185_707
.LBB185_699:
	s_mov_b32 s2, -1
                                        ; implicit-def: $vgpr7
                                        ; implicit-def: $vgpr6
	s_branch .LBB185_704
.LBB185_700:
	s_mov_b32 s2, -1
                                        ; implicit-def: $vgpr7
                                        ; implicit-def: $vgpr6
.LBB185_701:
	s_delay_alu instid0(SALU_CYCLE_1)
	s_and_b32 vcc_lo, exec_lo, s2
	s_cbranch_vccz .LBB185_703
; %bb.702:
	global_load_u8 v6, v[1:2], off
	s_waitcnt vmcnt(0)
	v_lshlrev_b32_e32 v6, 24, v6
	s_delay_alu instid0(VALU_DEP_1) | instskip(NEXT) | instid1(VALU_DEP_1)
	v_and_b32_e32 v7, 0x7f000000, v6
	v_clz_i32_u32_e32 v8, v7
	v_add_nc_u32_e32 v10, 0x1000000, v7
	v_cmp_ne_u32_e32 vcc_lo, 0, v7
	s_delay_alu instid0(VALU_DEP_3) | instskip(NEXT) | instid1(VALU_DEP_1)
	v_min_u32_e32 v8, 32, v8
	v_sub_nc_u32_e64 v8, v8, 4 clamp
	s_delay_alu instid0(VALU_DEP_1) | instskip(SKIP_1) | instid1(VALU_DEP_2)
	v_lshlrev_b32_e32 v9, v8, v7
	v_lshlrev_b32_e32 v8, 23, v8
	v_lshrrev_b32_e32 v9, 4, v9
	s_delay_alu instid0(VALU_DEP_1) | instskip(SKIP_1) | instid1(VALU_DEP_2)
	v_sub_nc_u32_e32 v8, v9, v8
	v_ashrrev_i32_e32 v9, 8, v10
	v_add_nc_u32_e32 v8, 0x3c000000, v8
	s_delay_alu instid0(VALU_DEP_1) | instskip(NEXT) | instid1(VALU_DEP_1)
	v_and_or_b32 v8, 0x7f800000, v9, v8
	v_cndmask_b32_e32 v7, 0, v8, vcc_lo
	s_delay_alu instid0(VALU_DEP_1) | instskip(SKIP_1) | instid1(VALU_DEP_2)
	v_and_or_b32 v6, 0x80000000, v6, v7
	v_mov_b32_e32 v7, 0
	v_cvt_f16_f32_e32 v6, v6
.LBB185_703:
	s_mov_b32 s2, 0
.LBB185_704:
	s_delay_alu instid0(SALU_CYCLE_1)
	s_and_not1_b32 vcc_lo, exec_lo, s2
	s_cbranch_vccnz .LBB185_706
; %bb.705:
	global_load_u8 v6, v[1:2], off
	s_waitcnt vmcnt(0)
	v_lshlrev_b32_e32 v7, 25, v6
	v_lshlrev_b16 v6, 8, v6
	s_delay_alu instid0(VALU_DEP_2) | instskip(NEXT) | instid1(VALU_DEP_2)
	v_lshrrev_b32_e32 v8, 4, v7
	v_and_or_b32 v9, 0x7f00, v6, 0.5
	v_bfe_i32 v6, v6, 0, 16
	s_delay_alu instid0(VALU_DEP_3) | instskip(NEXT) | instid1(VALU_DEP_1)
	v_or_b32_e32 v8, 0x70000000, v8
	v_dual_add_f32 v9, -0.5, v9 :: v_dual_mul_f32 v8, 0x7800000, v8
	v_cmp_gt_u32_e32 vcc_lo, 0x8000000, v7
	s_delay_alu instid0(VALU_DEP_2) | instskip(NEXT) | instid1(VALU_DEP_1)
	v_cndmask_b32_e32 v7, v8, v9, vcc_lo
	v_and_or_b32 v6, 0x80000000, v6, v7
	v_mov_b32_e32 v7, 0
	s_delay_alu instid0(VALU_DEP_2)
	v_cvt_f16_f32_e32 v6, v6
.LBB185_706:
	s_mov_b32 s3, 0
	s_mov_b32 s2, -1
.LBB185_707:
	s_and_not1_b32 vcc_lo, exec_lo, s3
	s_cbranch_vccnz .LBB185_719
; %bb.708:
	v_cmp_lt_i16_e32 vcc_lo, 14, v4
	s_cbranch_vccz .LBB185_711
; %bb.709:
	v_cmp_eq_u16_e32 vcc_lo, 15, v4
	s_cbranch_vccz .LBB185_712
; %bb.710:
	global_load_u16 v6, v[1:2], off
	s_mov_b32 s2, -1
	s_mov_b32 s22, 0
	s_mov_b32 s3, 0
	s_waitcnt vmcnt(0)
	v_lshlrev_b32_e32 v6, 16, v6
	s_delay_alu instid0(VALU_DEP_1)
	v_cvt_f16_f32_e32 v6, v6
	s_branch .LBB185_713
.LBB185_711:
	s_mov_b32 s23, -1
                                        ; implicit-def: $sgpr3
                                        ; implicit-def: $vgpr6
	s_branch .LBB185_714
.LBB185_712:
	s_mov_b32 s22, -1
                                        ; implicit-def: $sgpr3
                                        ; implicit-def: $vgpr6
.LBB185_713:
	s_mov_b32 s23, 0
.LBB185_714:
	s_delay_alu instid0(SALU_CYCLE_1)
	s_and_b32 vcc_lo, exec_lo, s23
	s_cbranch_vccz .LBB185_718
; %bb.715:
	v_cmp_eq_u16_e32 vcc_lo, 11, v4
	s_cbranch_vccz .LBB185_717
; %bb.716:
	global_load_u8 v6, v[1:2], off
	s_mov_b32 s3, 0
	s_mov_b32 s2, -1
	s_mov_b32 s22, 0
	s_waitcnt vmcnt(0)
	v_cmp_ne_u16_e32 vcc_lo, 0, v6
	v_cndmask_b32_e64 v6, 0, 0x3c00, vcc_lo
	s_branch .LBB185_718
.LBB185_717:
	s_mov_b32 s22, -1
                                        ; implicit-def: $sgpr3
                                        ; implicit-def: $vgpr6
.LBB185_718:
	v_mov_b32_e32 v7, s3
.LBB185_719:
	s_mov_b32 s3, 0
.LBB185_720:
	s_delay_alu instid0(SALU_CYCLE_1)
	s_and_b32 vcc_lo, exec_lo, s3
	s_cbranch_vccz .LBB185_771
; %bb.721:
	v_cmp_gt_i16_e32 vcc_lo, 5, v4
	s_cbranch_vccnz .LBB185_726
; %bb.722:
	v_cmp_gt_i16_e32 vcc_lo, 8, v4
	s_cbranch_vccnz .LBB185_727
	;; [unrolled: 3-line block ×3, first 2 shown]
; %bb.724:
	v_cmp_lt_i16_e32 vcc_lo, 9, v4
	s_cbranch_vccz .LBB185_729
; %bb.725:
	global_load_b128 v[6:9], v[1:2], off
	s_mov_b32 s2, 0
	s_waitcnt vmcnt(0)
	v_cvt_f32_f64_e32 v6, v[6:7]
	v_cvt_f32_f64_e32 v7, v[8:9]
	s_delay_alu instid0(VALU_DEP_2) | instskip(NEXT) | instid1(VALU_DEP_2)
	v_cvt_f16_f32_e32 v6, v6
	v_cvt_f16_f32_e32 v7, v7
	s_branch .LBB185_730
.LBB185_726:
	s_mov_b32 s2, -1
                                        ; implicit-def: $vgpr7
                                        ; implicit-def: $vgpr6
	s_branch .LBB185_749
.LBB185_727:
	s_mov_b32 s2, -1
                                        ; implicit-def: $vgpr7
                                        ; implicit-def: $vgpr6
	s_branch .LBB185_736
.LBB185_728:
	s_mov_b32 s2, -1
                                        ; implicit-def: $vgpr7
                                        ; implicit-def: $vgpr6
	s_branch .LBB185_733
.LBB185_729:
	s_mov_b32 s2, -1
                                        ; implicit-def: $vgpr7
                                        ; implicit-def: $vgpr6
.LBB185_730:
	s_delay_alu instid0(SALU_CYCLE_1)
	s_and_not1_b32 vcc_lo, exec_lo, s2
	s_cbranch_vccnz .LBB185_732
; %bb.731:
	global_load_b64 v[6:7], v[1:2], off
	s_waitcnt vmcnt(0)
	v_cvt_f16_f32_e32 v6, v6
	v_cvt_f16_f32_e32 v7, v7
.LBB185_732:
	s_mov_b32 s2, 0
.LBB185_733:
	s_delay_alu instid0(SALU_CYCLE_1)
	s_and_not1_b32 vcc_lo, exec_lo, s2
	s_cbranch_vccnz .LBB185_735
; %bb.734:
	global_load_b32 v6, v[1:2], off
	s_waitcnt vmcnt(0)
	v_lshrrev_b32_e32 v7, 16, v6
.LBB185_735:
	s_mov_b32 s2, 0
.LBB185_736:
	s_delay_alu instid0(SALU_CYCLE_1)
	s_and_not1_b32 vcc_lo, exec_lo, s2
	s_cbranch_vccnz .LBB185_748
; %bb.737:
	v_cmp_gt_i16_e32 vcc_lo, 6, v4
	s_cbranch_vccnz .LBB185_740
; %bb.738:
	v_cmp_lt_i16_e32 vcc_lo, 6, v4
	s_cbranch_vccz .LBB185_741
; %bb.739:
	global_load_b64 v[6:7], v[1:2], off
	s_mov_b32 s3, 0
	s_mov_b32 s2, 0
	s_waitcnt vmcnt(0)
	v_cvt_f32_f64_e32 v6, v[6:7]
	s_delay_alu instid0(VALU_DEP_1)
	v_cvt_f16_f32_e32 v6, v6
	s_branch .LBB185_742
.LBB185_740:
	s_mov_b32 s3, -1
                                        ; implicit-def: $sgpr2
                                        ; implicit-def: $vgpr6
	s_branch .LBB185_745
.LBB185_741:
	s_mov_b32 s3, -1
                                        ; implicit-def: $sgpr2
                                        ; implicit-def: $vgpr6
.LBB185_742:
	s_delay_alu instid0(SALU_CYCLE_1)
	s_and_not1_b32 vcc_lo, exec_lo, s3
	s_cbranch_vccnz .LBB185_744
; %bb.743:
	global_load_b32 v6, v[1:2], off
	s_mov_b32 s2, 0
	s_waitcnt vmcnt(0)
	v_cvt_f16_f32_e32 v6, v6
.LBB185_744:
	s_mov_b32 s3, 0
.LBB185_745:
	s_delay_alu instid0(SALU_CYCLE_1)
	s_and_not1_b32 vcc_lo, exec_lo, s3
	s_cbranch_vccnz .LBB185_747
; %bb.746:
	global_load_u16 v6, v[1:2], off
	s_mov_b32 s2, 0
.LBB185_747:
	s_delay_alu instid0(SALU_CYCLE_1)
	v_mov_b32_e32 v7, s2
.LBB185_748:
	s_mov_b32 s2, 0
.LBB185_749:
	s_delay_alu instid0(SALU_CYCLE_1)
	s_and_not1_b32 vcc_lo, exec_lo, s2
	s_cbranch_vccnz .LBB185_770
; %bb.750:
	v_cmp_gt_i16_e32 vcc_lo, 2, v4
	s_cbranch_vccnz .LBB185_754
; %bb.751:
	v_cmp_gt_i16_e32 vcc_lo, 3, v4
	s_cbranch_vccnz .LBB185_755
; %bb.752:
	v_cmp_lt_i16_e32 vcc_lo, 3, v4
	s_cbranch_vccz .LBB185_756
; %bb.753:
	global_load_b64 v[6:7], v[1:2], off
	s_mov_b32 s3, 0
	s_mov_b32 s2, 0
	s_waitcnt vmcnt(0)
	v_xor_b32_e32 v8, v6, v7
	v_cls_i32_e32 v9, v7
	s_delay_alu instid0(VALU_DEP_2) | instskip(NEXT) | instid1(VALU_DEP_2)
	v_ashrrev_i32_e32 v8, 31, v8
	v_add_nc_u32_e32 v9, -1, v9
	s_delay_alu instid0(VALU_DEP_2) | instskip(NEXT) | instid1(VALU_DEP_1)
	v_add_nc_u32_e32 v8, 32, v8
	v_min_u32_e32 v8, v9, v8
	s_delay_alu instid0(VALU_DEP_1) | instskip(NEXT) | instid1(VALU_DEP_1)
	v_lshlrev_b64 v[6:7], v8, v[6:7]
	v_min_u32_e32 v6, 1, v6
	s_delay_alu instid0(VALU_DEP_1) | instskip(SKIP_1) | instid1(VALU_DEP_2)
	v_or_b32_e32 v6, v7, v6
	v_sub_nc_u32_e32 v7, 32, v8
	v_cvt_f32_i32_e32 v6, v6
	s_delay_alu instid0(VALU_DEP_1) | instskip(NEXT) | instid1(VALU_DEP_1)
	v_ldexp_f32 v6, v6, v7
	v_cvt_f16_f32_e32 v6, v6
	s_branch .LBB185_757
.LBB185_754:
	s_mov_b32 s3, -1
                                        ; implicit-def: $sgpr2
                                        ; implicit-def: $vgpr6
	s_branch .LBB185_763
.LBB185_755:
	s_mov_b32 s3, -1
                                        ; implicit-def: $sgpr2
                                        ; implicit-def: $vgpr6
	s_branch .LBB185_760
.LBB185_756:
	s_mov_b32 s3, -1
                                        ; implicit-def: $sgpr2
                                        ; implicit-def: $vgpr6
.LBB185_757:
	s_delay_alu instid0(SALU_CYCLE_1)
	s_and_not1_b32 vcc_lo, exec_lo, s3
	s_cbranch_vccnz .LBB185_759
; %bb.758:
	global_load_b32 v6, v[1:2], off
	s_mov_b32 s2, 0
	s_waitcnt vmcnt(0)
	v_cvt_f32_i32_e32 v6, v6
	s_delay_alu instid0(VALU_DEP_1)
	v_cvt_f16_f32_e32 v6, v6
.LBB185_759:
	s_mov_b32 s3, 0
.LBB185_760:
	s_delay_alu instid0(SALU_CYCLE_1)
	s_and_not1_b32 vcc_lo, exec_lo, s3
	s_cbranch_vccnz .LBB185_762
; %bb.761:
	global_load_u16 v6, v[1:2], off
	s_mov_b32 s2, 0
	s_waitcnt vmcnt(0)
	v_cvt_f16_i16_e32 v6, v6
.LBB185_762:
	s_mov_b32 s3, 0
.LBB185_763:
	s_delay_alu instid0(SALU_CYCLE_1)
	s_and_not1_b32 vcc_lo, exec_lo, s3
	s_cbranch_vccnz .LBB185_769
; %bb.764:
	v_cmp_lt_i16_e32 vcc_lo, 0, v4
	s_mov_b32 s3, 0
	s_cbranch_vccz .LBB185_766
; %bb.765:
	global_load_i8 v6, v[1:2], off
	s_mov_b32 s2, 0
	s_waitcnt vmcnt(0)
	v_cvt_f16_i16_e32 v6, v6
	s_branch .LBB185_767
.LBB185_766:
	s_mov_b32 s3, -1
                                        ; implicit-def: $sgpr2
                                        ; implicit-def: $vgpr6
.LBB185_767:
	s_delay_alu instid0(SALU_CYCLE_1)
	s_and_not1_b32 vcc_lo, exec_lo, s3
	s_cbranch_vccnz .LBB185_769
; %bb.768:
	global_load_u8 v1, v[1:2], off
	s_mov_b32 s2, 0
	s_waitcnt vmcnt(0)
	v_cvt_f16_u16_e32 v6, v1
.LBB185_769:
	v_mov_b32_e32 v7, s2
.LBB185_770:
	s_mov_b32 s2, -1
.LBB185_771:
	s_delay_alu instid0(SALU_CYCLE_1)
	s_and_not1_b32 vcc_lo, exec_lo, s2
	s_cbranch_vccnz .LBB185_784
; %bb.772:
	s_waitcnt vmcnt(0)
	v_cmp_neq_f16_e32 vcc_lo, 0, v6
	v_cmp_neq_f16_e64 s2, 0, v7
	v_cvt_f32_f16_e32 v1, v7
	v_mov_b32_e32 v2, 0
	s_delay_alu instid0(VALU_DEP_3) | instskip(NEXT) | instid1(SALU_CYCLE_1)
	s_or_b32 s2, vcc_lo, s2
	s_and_saveexec_b32 s23, s2
	s_cbranch_execz .LBB185_803
; %bb.773:
	v_mov_b32_e32 v2, 0x7f800000
	s_mov_b32 s41, exec_lo
	v_cmpx_neq_f32_e64 0x7f800000, |v1|
	s_cbranch_execz .LBB185_802
; %bb.774:
	v_cvt_f32_f16_e32 v2, v6
	s_mov_b32 s2, exec_lo
	v_cmpx_o_f16_e32 v6, v6
	s_xor_b32 s42, exec_lo, s2
	s_cbranch_execz .LBB185_799
; %bb.775:
	s_mov_b32 s3, exec_lo
	v_cmpx_neq_f32_e64 0x7f800000, |v2|
	s_xor_b32 s43, exec_lo, s3
	s_cbranch_execz .LBB185_792
; %bb.776:
	v_max_f32_e64 v6, |v1|, |v1|
	v_max_f32_e64 v7, |v2|, |v2|
                                        ; implicit-def: $sgpr44
	s_delay_alu instid0(VALU_DEP_1) | instskip(NEXT) | instid1(VALU_DEP_1)
	v_max_f32_e32 v6, v7, v6
	v_cmp_nle_f32_e64 s2, 0x7ed413cb, v6
	s_delay_alu instid0(VALU_DEP_1) | instskip(NEXT) | instid1(SALU_CYCLE_1)
	s_and_saveexec_b32 s3, s2
	s_xor_b32 s3, exec_lo, s3
	s_cbranch_execz .LBB185_780
; %bb.777:
	v_cmp_ge_f32_e64 s44, 0x1000000, |v2|
	v_cmp_ge_f32_e64 s45, 0x1000000, |v1|
	s_delay_alu instid0(VALU_DEP_1)
	s_and_b32 s46, s44, s45
	s_mov_b32 s44, 0
	s_and_saveexec_b32 s45, s46
; %bb.778:
	v_dual_mul_f32 v1, 4.0, v1 :: v_dual_mul_f32 v2, 4.0, v2
	s_mov_b32 s44, exec_lo
; %bb.779:
	s_or_b32 exec_lo, exec_lo, s45
	s_delay_alu instid0(SALU_CYCLE_1)
	s_and_b32 s44, s44, exec_lo
.LBB185_780:
	s_and_not1_saveexec_b32 s3, s3
; %bb.781:
	v_dual_mul_f32 v2, 0x3e800000, v2 :: v_dual_mul_f32 v1, 0x3e800000, v1
	s_and_not1_b32 s44, s44, exec_lo
; %bb.782:
	s_or_b32 exec_lo, exec_lo, s3
	s_delay_alu instid0(VALU_DEP_1) | instskip(NEXT) | instid1(VALU_DEP_2)
	v_max_f32_e64 v6, |v1|, |v1|
	v_max_f32_e64 v7, |v2|, |v2|
	s_delay_alu instid0(VALU_DEP_1) | instskip(NEXT) | instid1(VALU_DEP_1)
	v_max_f32_e32 v8, v7, v6
	v_cvt_f64_f32_e32 v[6:7], v8
	s_delay_alu instid0(VALU_DEP_1) | instskip(NEXT) | instid1(VALU_DEP_1)
	v_frexp_exp_i32_f64_e32 v6, v[6:7]
	v_sub_nc_u32_e32 v7, 0, v6
	s_delay_alu instid0(VALU_DEP_1) | instskip(SKIP_1) | instid1(VALU_DEP_2)
	v_ldexp_f32 v9, |v1|, v7
	v_ldexp_f32 v7, |v2|, v7
	v_mul_f32_e32 v9, v9, v9
	v_cmp_neq_f32_e64 s3, 0x7f800000, v8
	s_delay_alu instid0(VALU_DEP_2) | instskip(NEXT) | instid1(VALU_DEP_1)
	v_fmac_f32_e32 v9, v7, v7
	v_sqrt_f32_e32 v7, v9
	s_waitcnt_depctr 0xfff
	v_ldexp_f32 v6, v7, v6
                                        ; implicit-def: $vgpr7
	s_delay_alu instid0(VALU_DEP_1)
	v_cndmask_b32_e64 v8, 0x7f800000, v6, s3
                                        ; implicit-def: $vgpr6
	s_mov_b32 s3, exec_lo
	v_cmpx_le_f32_e32 0, v2
	s_xor_b32 s45, exec_lo, s3
	s_cbranch_execz .LBB185_785
; %bb.783:
	v_add_f32_e32 v2, v2, v8
	s_delay_alu instid0(VALU_DEP_1) | instskip(NEXT) | instid1(VALU_DEP_1)
	v_mul_f32_e32 v2, 0.5, v2
	v_mul_f32_e32 v6, 0x4f800000, v2
	v_cmp_gt_f32_e32 vcc_lo, 0xf800000, v2
	s_delay_alu instid0(VALU_DEP_2) | instskip(NEXT) | instid1(VALU_DEP_1)
	v_cndmask_b32_e32 v2, v2, v6, vcc_lo
	v_sqrt_f32_e32 v6, v2
	s_waitcnt_depctr 0xfff
	v_add_nc_u32_e32 v7, -1, v6
	v_add_nc_u32_e32 v8, 1, v6
	s_delay_alu instid0(VALU_DEP_2) | instskip(NEXT) | instid1(VALU_DEP_2)
	v_fma_f32 v9, -v7, v6, v2
	v_fma_f32 v10, -v8, v6, v2
	s_delay_alu instid0(VALU_DEP_2) | instskip(NEXT) | instid1(VALU_DEP_1)
	v_cmp_ge_f32_e64 s3, 0, v9
	v_cndmask_b32_e64 v6, v6, v7, s3
	s_delay_alu instid0(VALU_DEP_3) | instskip(NEXT) | instid1(VALU_DEP_1)
	v_cmp_lt_f32_e64 s3, 0, v10
	v_cndmask_b32_e64 v6, v6, v8, s3
	s_delay_alu instid0(VALU_DEP_1) | instskip(NEXT) | instid1(VALU_DEP_1)
	v_mul_f32_e32 v7, 0x37800000, v6
	v_cndmask_b32_e32 v6, v6, v7, vcc_lo
	v_cmp_class_f32_e64 vcc_lo, v2, 0x260
	s_delay_alu instid0(VALU_DEP_2) | instskip(NEXT) | instid1(VALU_DEP_1)
	v_cndmask_b32_e32 v6, v6, v2, vcc_lo
	v_add_f32_e32 v2, v6, v6
	s_delay_alu instid0(VALU_DEP_1) | instskip(NEXT) | instid1(VALU_DEP_1)
	v_div_scale_f32 v7, null, v2, v2, v1
	v_rcp_f32_e32 v8, v7
	s_waitcnt_depctr 0xfff
	v_fma_f32 v9, -v7, v8, 1.0
	s_delay_alu instid0(VALU_DEP_1) | instskip(SKIP_1) | instid1(VALU_DEP_1)
	v_fmac_f32_e32 v8, v9, v8
	v_div_scale_f32 v9, vcc_lo, v1, v2, v1
	v_mul_f32_e32 v10, v9, v8
	s_delay_alu instid0(VALU_DEP_1) | instskip(NEXT) | instid1(VALU_DEP_1)
	v_fma_f32 v11, -v7, v10, v9
	v_fmac_f32_e32 v10, v11, v8
	s_delay_alu instid0(VALU_DEP_1) | instskip(NEXT) | instid1(VALU_DEP_1)
	v_fma_f32 v7, -v7, v10, v9
	v_div_fmas_f32 v7, v7, v8, v10
                                        ; implicit-def: $vgpr8
	s_delay_alu instid0(VALU_DEP_1)
	v_div_fixup_f32 v7, v7, v2, v1
                                        ; implicit-def: $vgpr2
                                        ; implicit-def: $vgpr1
	s_and_not1_saveexec_b32 s45, s45
	s_cbranch_execz .LBB185_787
	s_branch .LBB185_786
.LBB185_784:
	s_mov_b32 s3, 0
	s_mov_b32 s2, s38
	s_branch .LBB185_858
.LBB185_785:
	s_and_not1_saveexec_b32 s45, s45
	s_cbranch_execz .LBB185_787
.LBB185_786:
	v_sub_f32_e32 v2, v8, v2
	s_delay_alu instid0(VALU_DEP_1) | instskip(NEXT) | instid1(VALU_DEP_1)
	v_mul_f32_e32 v2, 0.5, v2
	v_mul_f32_e32 v6, 0x4f800000, v2
	v_cmp_gt_f32_e32 vcc_lo, 0xf800000, v2
	s_delay_alu instid0(VALU_DEP_2) | instskip(NEXT) | instid1(VALU_DEP_1)
	v_cndmask_b32_e32 v2, v2, v6, vcc_lo
	v_sqrt_f32_e32 v6, v2
	s_waitcnt_depctr 0xfff
	v_add_nc_u32_e32 v7, -1, v6
	v_add_nc_u32_e32 v8, 1, v6
	s_delay_alu instid0(VALU_DEP_2) | instskip(NEXT) | instid1(VALU_DEP_2)
	v_fma_f32 v9, -v7, v6, v2
	v_fma_f32 v10, -v8, v6, v2
	s_delay_alu instid0(VALU_DEP_2) | instskip(NEXT) | instid1(VALU_DEP_1)
	v_cmp_ge_f32_e64 s3, 0, v9
	v_cndmask_b32_e64 v6, v6, v7, s3
	s_delay_alu instid0(VALU_DEP_3) | instskip(NEXT) | instid1(VALU_DEP_1)
	v_cmp_lt_f32_e64 s3, 0, v10
	v_cndmask_b32_e64 v6, v6, v8, s3
	s_delay_alu instid0(VALU_DEP_1) | instskip(NEXT) | instid1(VALU_DEP_1)
	v_mul_f32_e32 v7, 0x37800000, v6
	v_cndmask_b32_e32 v6, v6, v7, vcc_lo
	v_cmp_class_f32_e64 vcc_lo, v2, 0x260
	s_delay_alu instid0(VALU_DEP_2) | instskip(NEXT) | instid1(VALU_DEP_1)
	v_cndmask_b32_e32 v2, v6, v2, vcc_lo
	v_dual_add_f32 v7, v2, v2 :: v_dual_and_b32 v6, 0x7fffffff, v1
	s_delay_alu instid0(VALU_DEP_1) | instskip(SKIP_1) | instid1(VALU_DEP_2)
	v_div_scale_f32 v8, null, v7, v7, v6
	v_div_scale_f32 v6, vcc_lo, v6, v7, v6
	v_rcp_f32_e32 v9, v8
	s_waitcnt_depctr 0xfff
	v_fma_f32 v10, -v8, v9, 1.0
	s_delay_alu instid0(VALU_DEP_1) | instskip(NEXT) | instid1(VALU_DEP_1)
	v_fmac_f32_e32 v9, v10, v9
	v_mul_f32_e32 v10, v6, v9
	s_delay_alu instid0(VALU_DEP_1) | instskip(NEXT) | instid1(VALU_DEP_1)
	v_fma_f32 v11, -v8, v10, v6
	v_fmac_f32_e32 v10, v11, v9
	s_delay_alu instid0(VALU_DEP_1) | instskip(NEXT) | instid1(VALU_DEP_1)
	v_fma_f32 v6, -v8, v10, v6
	v_div_fmas_f32 v6, v6, v9, v10
	s_delay_alu instid0(VALU_DEP_1)
	v_div_fixup_f32 v6, v6, v7, |v1|
	v_bfi_b32 v7, 0x7fffffff, v2, v1
.LBB185_787:
	s_or_b32 exec_lo, exec_lo, s45
                                        ; implicit-def: $vgpr1
                                        ; implicit-def: $vgpr2
	s_and_saveexec_b32 s3, s2
	s_delay_alu instid0(SALU_CYCLE_1)
	s_xor_b32 s2, exec_lo, s3
	s_cbranch_execz .LBB185_789
; %bb.788:
	v_dual_mul_f32 v1, 0.5, v6 :: v_dual_mul_f32 v8, 0.5, v7
	s_delay_alu instid0(VALU_DEP_1) | instskip(NEXT) | instid1(VALU_DEP_2)
	v_cndmask_b32_e64 v2, v6, v1, s44
	v_cndmask_b32_e64 v1, v7, v8, s44
                                        ; implicit-def: $vgpr6
                                        ; implicit-def: $vgpr7
	s_and_not1_saveexec_b32 s2, s2
	s_cbranch_execnz .LBB185_790
	s_branch .LBB185_791
.LBB185_789:
	s_and_not1_saveexec_b32 s2, s2
.LBB185_790:
	v_dual_add_f32 v2, v6, v6 :: v_dual_add_f32 v1, v7, v7
.LBB185_791:
	s_or_b32 exec_lo, exec_lo, s2
                                        ; implicit-def: $vgpr6
.LBB185_792:
	s_and_not1_saveexec_b32 s2, s43
	s_cbranch_execz .LBB185_798
; %bb.793:
	v_cmp_lt_i16_e32 vcc_lo, -1, v6
	v_sub_f32_e32 v6, v1, v1
	s_and_saveexec_b32 s3, vcc_lo
	s_delay_alu instid0(SALU_CYCLE_1)
	s_xor_b32 s3, exec_lo, s3
; %bb.794:
	s_delay_alu instid0(VALU_DEP_1)
	v_bfi_b32 v1, 0x7fffffff, v6, v1
                                        ; implicit-def: $vgpr6
; %bb.795:
	s_and_not1_saveexec_b32 s3, s3
; %bb.796:
	v_and_b32_e32 v6, 0x7fffffff, v6
	s_delay_alu instid0(VALU_DEP_2) | instskip(NEXT) | instid1(VALU_DEP_2)
	v_bfi_b32 v1, 0x7fffffff, v2, v1
	v_mov_b32_e32 v2, v6
; %bb.797:
	s_or_b32 exec_lo, exec_lo, s3
.LBB185_798:
	s_delay_alu instid0(SALU_CYCLE_1)
	s_or_b32 exec_lo, exec_lo, s2
.LBB185_799:
	s_and_not1_saveexec_b32 s2, s42
; %bb.800:
	v_sub_f32_e32 v1, v1, v1
	s_delay_alu instid0(VALU_DEP_1) | instskip(NEXT) | instid1(VALU_DEP_1)
	v_div_scale_f32 v6, vcc_lo, v1, v1, v1
	v_rcp_f32_e32 v7, v6
	s_waitcnt_depctr 0xfff
	v_fma_f32 v8, -v6, v7, 1.0
	s_delay_alu instid0(VALU_DEP_1) | instskip(NEXT) | instid1(VALU_DEP_1)
	v_fmac_f32_e32 v7, v8, v7
	v_mul_f32_e32 v8, v6, v7
	s_delay_alu instid0(VALU_DEP_1) | instskip(NEXT) | instid1(VALU_DEP_1)
	v_fma_f32 v9, -v6, v8, v6
	v_fmac_f32_e32 v8, v9, v7
	s_delay_alu instid0(VALU_DEP_1) | instskip(NEXT) | instid1(VALU_DEP_1)
	v_fma_f32 v6, -v6, v8, v6
	v_div_fmas_f32 v6, v6, v7, v8
	s_delay_alu instid0(VALU_DEP_1)
	v_div_fixup_f32 v1, v6, v1, v1
; %bb.801:
	s_or_b32 exec_lo, exec_lo, s2
.LBB185_802:
	s_delay_alu instid0(SALU_CYCLE_1)
	s_or_b32 exec_lo, exec_lo, s41
.LBB185_803:
	s_delay_alu instid0(SALU_CYCLE_1)
	s_or_b32 exec_lo, exec_lo, s23
	v_cmp_gt_f32_e32 vcc_lo, 0, v2
                                        ; implicit-def: $vgpr8
                                        ; implicit-def: $vgpr9
	s_mov_b32 s2, exec_lo
	v_cndmask_b32_e64 v6, v2, -v2, vcc_lo
	v_cmp_gt_f32_e32 vcc_lo, 0, v1
	v_cndmask_b32_e64 v7, v1, -v1, vcc_lo
	s_delay_alu instid0(VALU_DEP_1)
	v_cmpx_ge_f32_e32 v6, v7
	s_xor_b32 s3, exec_lo, s2
	s_cbranch_execz .LBB185_809
; %bb.804:
	v_cmp_neq_f32_e32 vcc_lo, 0, v2
	v_cmp_neq_f32_e64 s2, 0, v1
                                        ; implicit-def: $vgpr8
                                        ; implicit-def: $vgpr9
	s_delay_alu instid0(VALU_DEP_1) | instskip(NEXT) | instid1(SALU_CYCLE_1)
	s_or_b32 s2, vcc_lo, s2
	s_and_saveexec_b32 s23, s2
	s_delay_alu instid0(SALU_CYCLE_1)
	s_xor_b32 s2, exec_lo, s23
	s_cbranch_execz .LBB185_806
; %bb.805:
	v_div_scale_f32 v6, null, v2, v2, v1
	v_div_scale_f32 v9, vcc_lo, v1, v2, v1
	s_delay_alu instid0(VALU_DEP_2) | instskip(SKIP_2) | instid1(VALU_DEP_1)
	v_rcp_f32_e32 v7, v6
	s_waitcnt_depctr 0xfff
	v_fma_f32 v8, -v6, v7, 1.0
	v_fmac_f32_e32 v7, v8, v7
	s_delay_alu instid0(VALU_DEP_1) | instskip(NEXT) | instid1(VALU_DEP_1)
	v_mul_f32_e32 v8, v9, v7
	v_fma_f32 v10, -v6, v8, v9
	s_delay_alu instid0(VALU_DEP_1) | instskip(NEXT) | instid1(VALU_DEP_1)
	v_fmac_f32_e32 v8, v10, v7
	v_fma_f32 v6, -v6, v8, v9
	s_delay_alu instid0(VALU_DEP_1) | instskip(NEXT) | instid1(VALU_DEP_1)
	v_div_fmas_f32 v6, v6, v7, v8
	v_div_fixup_f32 v6, v6, v2, v1
	s_delay_alu instid0(VALU_DEP_1) | instskip(NEXT) | instid1(VALU_DEP_1)
	v_fmac_f32_e32 v2, v1, v6
	v_div_scale_f32 v1, null, v2, v2, 1.0
	v_div_scale_f32 v9, vcc_lo, 1.0, v2, 1.0
	s_delay_alu instid0(VALU_DEP_2) | instskip(SKIP_2) | instid1(VALU_DEP_1)
	v_rcp_f32_e32 v7, v1
	s_waitcnt_depctr 0xfff
	v_fma_f32 v8, -v1, v7, 1.0
	v_fmac_f32_e32 v7, v8, v7
	s_delay_alu instid0(VALU_DEP_1) | instskip(NEXT) | instid1(VALU_DEP_1)
	v_mul_f32_e32 v8, v9, v7
	v_fma_f32 v10, -v1, v8, v9
	s_delay_alu instid0(VALU_DEP_1) | instskip(NEXT) | instid1(VALU_DEP_1)
	v_fmac_f32_e32 v8, v10, v7
	v_fma_f32 v1, -v1, v8, v9
	s_delay_alu instid0(VALU_DEP_1) | instskip(SKIP_1) | instid1(VALU_DEP_2)
	v_div_fmas_f32 v1, v1, v7, v8
	v_fma_f32 v7, v6, 0, 1.0
	v_div_fixup_f32 v1, v1, v2, 1.0
	s_delay_alu instid0(VALU_DEP_1)
	v_mul_f32_e32 v9, v7, v1
	v_mul_f32_e64 v8, -v6, v1
                                        ; implicit-def: $vgpr6
                                        ; implicit-def: $vgpr7
.LBB185_806:
	s_and_not1_saveexec_b32 s23, s2
	s_cbranch_execz .LBB185_808
; %bb.807:
	v_div_scale_f32 v1, null, v6, v6, 1.0
	v_div_scale_f32 v2, null, v7, v7, 0
	v_div_scale_f32 v12, vcc_lo, 1.0, v6, 1.0
	s_delay_alu instid0(VALU_DEP_3) | instskip(NEXT) | instid1(VALU_DEP_2)
	v_rcp_f32_e32 v8, v1
	v_rcp_f32_e32 v9, v2
	s_waitcnt_depctr 0xfff
	v_fma_f32 v10, -v1, v8, 1.0
	v_fma_f32 v11, -v2, v9, 1.0
	s_delay_alu instid0(VALU_DEP_1) | instskip(SKIP_1) | instid1(VALU_DEP_2)
	v_dual_fmac_f32 v8, v10, v8 :: v_dual_fmac_f32 v9, v11, v9
	v_div_scale_f32 v10, s2, 0, v7, 0
	v_mul_f32_e32 v11, v12, v8
	s_delay_alu instid0(VALU_DEP_2) | instskip(NEXT) | instid1(VALU_DEP_2)
	v_mul_f32_e32 v13, v10, v9
	v_fma_f32 v14, -v1, v11, v12
	s_delay_alu instid0(VALU_DEP_2) | instskip(NEXT) | instid1(VALU_DEP_2)
	v_fma_f32 v15, -v2, v13, v10
	v_fmac_f32_e32 v11, v14, v8
	s_delay_alu instid0(VALU_DEP_2) | instskip(NEXT) | instid1(VALU_DEP_2)
	v_fmac_f32_e32 v13, v15, v9
	v_fma_f32 v1, -v1, v11, v12
	s_delay_alu instid0(VALU_DEP_2) | instskip(NEXT) | instid1(VALU_DEP_2)
	v_fma_f32 v2, -v2, v13, v10
	v_div_fmas_f32 v1, v1, v8, v11
	s_mov_b32 vcc_lo, s2
	s_delay_alu instid0(VALU_DEP_2) | instskip(NEXT) | instid1(VALU_DEP_2)
	v_div_fmas_f32 v2, v2, v9, v13
	v_div_fixup_f32 v9, v1, v6, 1.0
	s_delay_alu instid0(VALU_DEP_2)
	v_div_fixup_f32 v8, v2, v7, 0
.LBB185_808:
	s_or_b32 exec_lo, exec_lo, s23
                                        ; implicit-def: $vgpr1
                                        ; implicit-def: $vgpr2
.LBB185_809:
	s_and_not1_saveexec_b32 s2, s3
	s_cbranch_execz .LBB185_811
; %bb.810:
	v_div_scale_f32 v6, null, v1, v1, v2
	v_div_scale_f32 v9, vcc_lo, v2, v1, v2
	s_delay_alu instid0(VALU_DEP_2) | instskip(SKIP_2) | instid1(VALU_DEP_1)
	v_rcp_f32_e32 v7, v6
	s_waitcnt_depctr 0xfff
	v_fma_f32 v8, -v6, v7, 1.0
	v_fmac_f32_e32 v7, v8, v7
	s_delay_alu instid0(VALU_DEP_1) | instskip(NEXT) | instid1(VALU_DEP_1)
	v_mul_f32_e32 v8, v9, v7
	v_fma_f32 v10, -v6, v8, v9
	s_delay_alu instid0(VALU_DEP_1) | instskip(NEXT) | instid1(VALU_DEP_1)
	v_fmac_f32_e32 v8, v10, v7
	v_fma_f32 v6, -v6, v8, v9
	s_delay_alu instid0(VALU_DEP_1) | instskip(NEXT) | instid1(VALU_DEP_1)
	v_div_fmas_f32 v6, v6, v7, v8
	v_div_fixup_f32 v6, v6, v1, v2
	s_delay_alu instid0(VALU_DEP_1) | instskip(NEXT) | instid1(VALU_DEP_1)
	v_fmac_f32_e32 v1, v2, v6
	v_div_scale_f32 v2, null, v1, v1, 1.0
	v_div_scale_f32 v9, vcc_lo, 1.0, v1, 1.0
	s_delay_alu instid0(VALU_DEP_2) | instskip(SKIP_2) | instid1(VALU_DEP_1)
	v_rcp_f32_e32 v7, v2
	s_waitcnt_depctr 0xfff
	v_fma_f32 v8, -v2, v7, 1.0
	v_fmac_f32_e32 v7, v8, v7
	s_delay_alu instid0(VALU_DEP_1) | instskip(NEXT) | instid1(VALU_DEP_1)
	v_mul_f32_e32 v8, v9, v7
	v_fma_f32 v10, -v2, v8, v9
	s_delay_alu instid0(VALU_DEP_1) | instskip(NEXT) | instid1(VALU_DEP_1)
	v_fmac_f32_e32 v8, v10, v7
	v_fma_f32 v2, -v2, v8, v9
	s_delay_alu instid0(VALU_DEP_1) | instskip(SKIP_1) | instid1(VALU_DEP_2)
	v_div_fmas_f32 v2, v2, v7, v8
	v_add_f32_e32 v7, 0, v6
	v_div_fixup_f32 v1, v2, v1, 1.0
	v_fma_f32 v2, v6, 0, -1.0
	s_delay_alu instid0(VALU_DEP_2) | instskip(NEXT) | instid1(VALU_DEP_2)
	v_mul_f32_e32 v9, v7, v1
	v_mul_f32_e32 v8, v2, v1
.LBB185_811:
	s_or_b32 exec_lo, exec_lo, s2
	s_delay_alu instid0(VALU_DEP_1) | instskip(NEXT) | instid1(VALU_DEP_3)
	v_cvt_f16_f32_e32 v8, v8
	v_cvt_f16_f32_e32 v2, v9
	v_and_b32_e32 v6, 0xff, v3
	v_add_co_u32 v0, s2, s4, v0
	s_delay_alu instid0(VALU_DEP_4) | instskip(NEXT) | instid1(VALU_DEP_4)
	v_lshlrev_b32_e32 v1, 16, v8
	v_and_b32_e32 v7, 0xffff, v2
	s_delay_alu instid0(VALU_DEP_4) | instskip(SKIP_2) | instid1(VALU_DEP_2)
	v_cmp_gt_i16_e32 vcc_lo, 11, v6
	s_mov_b32 s3, 0
	s_mov_b32 s23, -1
	v_or_b32_e32 v7, v1, v7
	v_add_co_ci_u32_e64 v1, null, s5, 0, s2
	s_mov_b32 s2, s38
	s_cbranch_vccnz .LBB185_818
; %bb.812:
	v_cmp_lt_i16_e32 vcc_lo, 25, v6
	s_cbranch_vccz .LBB185_859
; %bb.813:
	v_cmp_lt_i16_e32 vcc_lo, 28, v6
	s_cbranch_vccz .LBB185_860
	;; [unrolled: 3-line block ×4, first 2 shown]
; %bb.816:
	v_cmp_eq_u16_e32 vcc_lo, 46, v6
	s_mov_b32 s23, 0
	s_mov_b32 s2, -1
	s_cbranch_vccz .LBB185_863
; %bb.817:
	v_cvt_f32_f16_e32 v9, v8
	v_cvt_f32_f16_e32 v10, v2
	v_cmp_o_f16_e32 vcc_lo, v8, v8
	s_mov_b32 s3, -1
	s_mov_b32 s2, 0
	v_bfe_u32 v11, v9, 16, 1
	v_bfe_u32 v12, v10, 16, 1
	s_delay_alu instid0(VALU_DEP_2) | instskip(NEXT) | instid1(VALU_DEP_2)
	v_add3_u32 v9, v9, v11, 0x7fff
	v_add3_u32 v10, v10, v12, 0x7fff
	s_delay_alu instid0(VALU_DEP_2) | instskip(NEXT) | instid1(VALU_DEP_2)
	v_and_b32_e32 v9, 0xffff0000, v9
	v_lshrrev_b32_e32 v10, 16, v10
	s_delay_alu instid0(VALU_DEP_2) | instskip(SKIP_1) | instid1(VALU_DEP_3)
	v_cndmask_b32_e32 v9, 0x7fc00000, v9, vcc_lo
	v_cmp_o_f16_e32 vcc_lo, v2, v2
	v_cndmask_b32_e32 v10, 0x7fc0, v10, vcc_lo
	s_delay_alu instid0(VALU_DEP_1)
	v_or_b32_e32 v9, v9, v10
	global_store_b32 v[0:1], v9, off
	s_branch .LBB185_863
.LBB185_818:
	s_and_b32 vcc_lo, exec_lo, s23
	s_cbranch_vccz .LBB185_932
; %bb.819:
	v_cmp_gt_i16_e32 vcc_lo, 5, v6
	s_mov_b32 s3, -1
	s_cbranch_vccnz .LBB185_840
; %bb.820:
	v_cmp_gt_i16_e32 vcc_lo, 8, v6
	s_cbranch_vccnz .LBB185_830
; %bb.821:
	v_cmp_gt_i16_e32 vcc_lo, 9, v6
	s_cbranch_vccnz .LBB185_827
; %bb.822:
	v_cmp_lt_i16_e32 vcc_lo, 9, v6
	s_cbranch_vccz .LBB185_824
; %bb.823:
	v_cvt_f32_f16_e32 v9, v2
	v_cvt_f32_f16_e32 v11, v8
	s_mov_b32 s3, 0
	s_delay_alu instid0(VALU_DEP_2) | instskip(NEXT) | instid1(VALU_DEP_2)
	v_cvt_f64_f32_e32 v[9:10], v9
	v_cvt_f64_f32_e32 v[11:12], v11
	global_store_b128 v[0:1], v[9:12], off
.LBB185_824:
	s_and_not1_b32 vcc_lo, exec_lo, s3
	s_cbranch_vccnz .LBB185_826
; %bb.825:
	v_cvt_f32_f16_e32 v9, v2
	v_cvt_f32_f16_e32 v10, v8
	global_store_b64 v[0:1], v[9:10], off
.LBB185_826:
	s_mov_b32 s3, 0
.LBB185_827:
	s_delay_alu instid0(SALU_CYCLE_1)
	s_and_not1_b32 vcc_lo, exec_lo, s3
	s_cbranch_vccnz .LBB185_829
; %bb.828:
	global_store_b32 v[0:1], v7, off
.LBB185_829:
	s_mov_b32 s3, 0
.LBB185_830:
	s_delay_alu instid0(SALU_CYCLE_1)
	s_and_not1_b32 vcc_lo, exec_lo, s3
	s_cbranch_vccnz .LBB185_839
; %bb.831:
	v_cmp_gt_i16_e32 vcc_lo, 6, v6
	s_mov_b32 s3, -1
	s_cbranch_vccnz .LBB185_837
; %bb.832:
	v_cmp_lt_i16_e32 vcc_lo, 6, v6
	s_cbranch_vccz .LBB185_834
; %bb.833:
	v_cvt_f32_f16_e32 v7, v2
	s_mov_b32 s3, 0
	s_delay_alu instid0(VALU_DEP_1)
	v_cvt_f64_f32_e32 v[7:8], v7
	global_store_b64 v[0:1], v[7:8], off
.LBB185_834:
	s_and_not1_b32 vcc_lo, exec_lo, s3
	s_cbranch_vccnz .LBB185_836
; %bb.835:
	v_cvt_f32_f16_e32 v7, v2
	global_store_b32 v[0:1], v7, off
.LBB185_836:
	s_mov_b32 s3, 0
.LBB185_837:
	s_delay_alu instid0(SALU_CYCLE_1)
	s_and_not1_b32 vcc_lo, exec_lo, s3
	s_cbranch_vccnz .LBB185_839
; %bb.838:
	global_store_b16 v[0:1], v2, off
.LBB185_839:
	s_mov_b32 s3, 0
.LBB185_840:
	s_delay_alu instid0(SALU_CYCLE_1)
	s_and_not1_b32 vcc_lo, exec_lo, s3
	s_cbranch_vccnz .LBB185_856
; %bb.841:
	v_cmp_gt_i16_e32 vcc_lo, 2, v6
	s_mov_b32 s3, -1
	s_cbranch_vccnz .LBB185_851
; %bb.842:
	v_cmp_gt_i16_e32 vcc_lo, 3, v6
	s_cbranch_vccnz .LBB185_848
; %bb.843:
	v_cmp_lt_i16_e32 vcc_lo, 3, v6
	s_cbranch_vccz .LBB185_845
; %bb.844:
	v_cvt_f32_f16_e32 v7, v2
	s_mov_b32 s3, 0
	s_delay_alu instid0(VALU_DEP_1) | instskip(NEXT) | instid1(VALU_DEP_1)
	v_cvt_i32_f32_e32 v7, v7
	v_ashrrev_i32_e32 v8, 31, v7
	global_store_b64 v[0:1], v[7:8], off
.LBB185_845:
	s_and_not1_b32 vcc_lo, exec_lo, s3
	s_cbranch_vccnz .LBB185_847
; %bb.846:
	v_cvt_f32_f16_e32 v7, v2
	s_delay_alu instid0(VALU_DEP_1)
	v_cvt_i32_f32_e32 v7, v7
	global_store_b32 v[0:1], v7, off
.LBB185_847:
	s_mov_b32 s3, 0
.LBB185_848:
	s_delay_alu instid0(SALU_CYCLE_1)
	s_and_not1_b32 vcc_lo, exec_lo, s3
	s_cbranch_vccnz .LBB185_850
; %bb.849:
	v_cvt_i16_f16_e32 v7, v2
	global_store_b16 v[0:1], v7, off
.LBB185_850:
	s_mov_b32 s3, 0
.LBB185_851:
	s_delay_alu instid0(SALU_CYCLE_1)
	s_and_not1_b32 vcc_lo, exec_lo, s3
	s_cbranch_vccnz .LBB185_856
; %bb.852:
	v_cmp_lt_i16_e32 vcc_lo, 0, v6
	s_mov_b32 s3, -1
	s_cbranch_vccz .LBB185_854
; %bb.853:
	v_cvt_i16_f16_e32 v6, v2
	s_mov_b32 s3, 0
	global_store_b8 v[0:1], v6, off
.LBB185_854:
	s_and_not1_b32 vcc_lo, exec_lo, s3
	s_cbranch_vccnz .LBB185_856
; %bb.855:
	v_cvt_f32_f16_e32 v2, v2
	s_delay_alu instid0(VALU_DEP_1)
	v_cvt_i32_f32_e32 v2, v2
	global_store_b8 v[0:1], v2, off
.LBB185_856:
	s_branch .LBB185_933
.LBB185_857:
	s_mov_b32 s3, 0
.LBB185_858:
                                        ; implicit-def: $vgpr5
	s_branch .LBB185_934
.LBB185_859:
	s_mov_b32 s2, s38
	s_branch .LBB185_890
.LBB185_860:
	s_mov_b32 s2, s38
	s_branch .LBB185_873
.LBB185_861:
	s_mov_b32 s2, s38
	s_branch .LBB185_869
.LBB185_862:
	s_mov_b32 s2, s38
.LBB185_863:
	s_and_b32 vcc_lo, exec_lo, s23
	s_cbranch_vccz .LBB185_868
; %bb.864:
	v_cmp_eq_u16_e32 vcc_lo, 44, v6
	s_mov_b32 s2, -1
	s_cbranch_vccz .LBB185_868
; %bb.865:
	v_cvt_f32_f16_e32 v9, v2
	v_mov_b32_e32 v10, 0xff
	s_mov_b32 s3, exec_lo
	s_delay_alu instid0(VALU_DEP_2) | instskip(NEXT) | instid1(VALU_DEP_1)
	v_bfe_u32 v11, v9, 23, 8
	v_cmpx_ne_u32_e32 0xff, v11
; %bb.866:
	v_and_b32_e32 v10, 0x400000, v9
	v_and_or_b32 v11, 0x3fffff, v9, v11
	v_lshrrev_b32_e32 v9, 23, v9
	s_delay_alu instid0(VALU_DEP_3) | instskip(NEXT) | instid1(VALU_DEP_3)
	v_cmp_ne_u32_e32 vcc_lo, 0, v10
	v_cmp_ne_u32_e64 s2, 0, v11
	s_delay_alu instid0(VALU_DEP_1) | instskip(NEXT) | instid1(SALU_CYCLE_1)
	s_and_b32 s2, vcc_lo, s2
	v_cndmask_b32_e64 v10, 0, 1, s2
	s_delay_alu instid0(VALU_DEP_1)
	v_add_nc_u32_e32 v10, v9, v10
; %bb.867:
	s_or_b32 exec_lo, exec_lo, s3
	s_mov_b32 s3, -1
	s_mov_b32 s2, 0
	global_store_b8 v[0:1], v10, off
.LBB185_868:
	s_mov_b32 s23, 0
.LBB185_869:
	s_delay_alu instid0(SALU_CYCLE_1)
	s_and_b32 vcc_lo, exec_lo, s23
	s_cbranch_vccz .LBB185_872
; %bb.870:
	v_cmp_eq_u16_e32 vcc_lo, 29, v6
	s_mov_b32 s2, -1
	s_cbranch_vccz .LBB185_872
; %bb.871:
	v_cvt_f32_f16_e32 v9, v2
	v_mov_b32_e32 v10, 0
	s_mov_b32 s2, 0
	s_mov_b32 s3, -1
	s_mov_b32 s23, 0
	v_cvt_u32_f32_e32 v9, v9
	global_store_b64 v[0:1], v[9:10], off
	s_branch .LBB185_873
.LBB185_872:
	s_mov_b32 s23, 0
.LBB185_873:
	s_delay_alu instid0(SALU_CYCLE_1)
	s_and_b32 vcc_lo, exec_lo, s23
	s_cbranch_vccz .LBB185_889
; %bb.874:
	v_cmp_gt_i16_e32 vcc_lo, 27, v6
	s_mov_b32 s3, -1
	s_cbranch_vccnz .LBB185_880
; %bb.875:
	v_cmp_lt_i16_e32 vcc_lo, 27, v6
	s_cbranch_vccz .LBB185_877
; %bb.876:
	v_cvt_f32_f16_e32 v9, v2
	s_mov_b32 s3, 0
	s_delay_alu instid0(VALU_DEP_1)
	v_cvt_u32_f32_e32 v9, v9
	global_store_b32 v[0:1], v9, off
.LBB185_877:
	s_and_not1_b32 vcc_lo, exec_lo, s3
	s_cbranch_vccnz .LBB185_879
; %bb.878:
	v_cvt_u16_f16_e32 v9, v2
	global_store_b16 v[0:1], v9, off
.LBB185_879:
	s_mov_b32 s3, 0
.LBB185_880:
	s_delay_alu instid0(SALU_CYCLE_1)
	s_and_not1_b32 vcc_lo, exec_lo, s3
	s_cbranch_vccnz .LBB185_888
; %bb.881:
	v_cvt_f32_f16_e32 v9, v2
	v_mov_b32_e32 v11, 0x80
	s_mov_b32 s3, exec_lo
	s_delay_alu instid0(VALU_DEP_2) | instskip(NEXT) | instid1(VALU_DEP_1)
	v_and_b32_e32 v10, 0x7fffffff, v9
	v_cmpx_gt_u32_e32 0x43800000, v10
	s_cbranch_execz .LBB185_887
; %bb.882:
	v_cmp_lt_u32_e32 vcc_lo, 0x3bffffff, v10
	s_mov_b32 s23, 0
                                        ; implicit-def: $vgpr10
	s_and_saveexec_b32 s41, vcc_lo
	s_delay_alu instid0(SALU_CYCLE_1)
	s_xor_b32 s41, exec_lo, s41
	s_cbranch_execz .LBB185_961
; %bb.883:
	v_bfe_u32 v10, v9, 20, 1
	s_mov_b32 s23, exec_lo
	s_delay_alu instid0(VALU_DEP_1) | instskip(NEXT) | instid1(VALU_DEP_1)
	v_add3_u32 v10, v9, v10, 0x487ffff
	v_lshrrev_b32_e32 v10, 20, v10
	s_or_saveexec_b32 s41, s41
                                        ; implicit-def: $sgpr42
	s_delay_alu instid0(SALU_CYCLE_1)
	s_xor_b32 exec_lo, exec_lo, s41
	s_cbranch_execnz .LBB185_962
.LBB185_884:
	s_or_b32 exec_lo, exec_lo, s41
	v_mov_b32_e32 v11, s42
	s_and_saveexec_b32 s41, s23
.LBB185_885:
	v_lshrrev_b32_e32 v9, 24, v9
	s_delay_alu instid0(VALU_DEP_1)
	v_and_or_b32 v11, 0x80, v9, v10
.LBB185_886:
	s_or_b32 exec_lo, exec_lo, s41
.LBB185_887:
	s_delay_alu instid0(SALU_CYCLE_1)
	s_or_b32 exec_lo, exec_lo, s3
	global_store_b8 v[0:1], v11, off
.LBB185_888:
	s_mov_b32 s3, -1
.LBB185_889:
	s_mov_b32 s23, 0
.LBB185_890:
	s_delay_alu instid0(SALU_CYCLE_1)
	s_and_b32 vcc_lo, exec_lo, s23
	s_cbranch_vccz .LBB185_931
; %bb.891:
	v_cmp_lt_i16_e32 vcc_lo, 22, v6
	s_mov_b32 s23, -1
	s_cbranch_vccz .LBB185_923
; %bb.892:
	v_cmp_gt_i16_e32 vcc_lo, 24, v6
	s_mov_b32 s3, -1
	s_cbranch_vccnz .LBB185_912
; %bb.893:
	v_cmp_lt_i16_e32 vcc_lo, 24, v6
	s_cbranch_vccz .LBB185_901
; %bb.894:
	v_cvt_f32_f16_e32 v9, v2
	v_mov_b32_e32 v11, 0x80
	s_mov_b32 s3, exec_lo
	s_delay_alu instid0(VALU_DEP_2) | instskip(NEXT) | instid1(VALU_DEP_1)
	v_and_b32_e32 v10, 0x7fffffff, v9
	v_cmpx_gt_u32_e32 0x47800000, v10
	s_cbranch_execz .LBB185_900
; %bb.895:
	v_cmp_lt_u32_e32 vcc_lo, 0x37ffffff, v10
	s_mov_b32 s23, 0
                                        ; implicit-def: $vgpr10
	s_and_saveexec_b32 s41, vcc_lo
	s_delay_alu instid0(SALU_CYCLE_1)
	s_xor_b32 s41, exec_lo, s41
	s_cbranch_execz .LBB185_964
; %bb.896:
	v_bfe_u32 v10, v9, 21, 1
	s_mov_b32 s23, exec_lo
	s_delay_alu instid0(VALU_DEP_1) | instskip(NEXT) | instid1(VALU_DEP_1)
	v_add3_u32 v10, v9, v10, 0x88fffff
	v_lshrrev_b32_e32 v10, 21, v10
	s_or_saveexec_b32 s41, s41
                                        ; implicit-def: $sgpr42
	s_delay_alu instid0(SALU_CYCLE_1)
	s_xor_b32 exec_lo, exec_lo, s41
	s_cbranch_execnz .LBB185_965
.LBB185_897:
	s_or_b32 exec_lo, exec_lo, s41
	v_mov_b32_e32 v11, s42
	s_and_saveexec_b32 s41, s23
.LBB185_898:
	v_lshrrev_b32_e32 v9, 24, v9
	s_delay_alu instid0(VALU_DEP_1)
	v_and_or_b32 v11, 0x80, v9, v10
.LBB185_899:
	s_or_b32 exec_lo, exec_lo, s41
.LBB185_900:
	s_delay_alu instid0(SALU_CYCLE_1)
	s_or_b32 exec_lo, exec_lo, s3
	s_mov_b32 s3, 0
	global_store_b8 v[0:1], v11, off
.LBB185_901:
	s_and_b32 vcc_lo, exec_lo, s3
	s_cbranch_vccz .LBB185_911
; %bb.902:
	v_cvt_f32_f16_e32 v9, v2
	s_mov_b32 s3, exec_lo
                                        ; implicit-def: $vgpr10
	s_delay_alu instid0(VALU_DEP_1) | instskip(NEXT) | instid1(VALU_DEP_1)
	v_and_b32_e32 v11, 0x7fffffff, v9
	v_cmpx_gt_u32_e32 0x43f00000, v11
	s_xor_b32 s3, exec_lo, s3
	s_cbranch_execz .LBB185_908
; %bb.903:
	s_mov_b32 s23, exec_lo
                                        ; implicit-def: $vgpr10
	v_cmpx_lt_u32_e32 0x3c7fffff, v11
	s_xor_b32 s23, exec_lo, s23
; %bb.904:
	v_bfe_u32 v10, v9, 20, 1
	s_delay_alu instid0(VALU_DEP_1) | instskip(NEXT) | instid1(VALU_DEP_1)
	v_add3_u32 v10, v9, v10, 0x407ffff
	v_and_b32_e32 v11, 0xff00000, v10
	v_lshrrev_b32_e32 v10, 20, v10
	s_delay_alu instid0(VALU_DEP_2) | instskip(NEXT) | instid1(VALU_DEP_2)
	v_cmp_ne_u32_e32 vcc_lo, 0x7f00000, v11
	v_cndmask_b32_e32 v10, 0x7e, v10, vcc_lo
; %bb.905:
	s_and_not1_saveexec_b32 s23, s23
; %bb.906:
	v_add_f32_e64 v10, 0x46800000, |v9|
; %bb.907:
	s_or_b32 exec_lo, exec_lo, s23
                                        ; implicit-def: $vgpr11
.LBB185_908:
	s_and_not1_saveexec_b32 s3, s3
; %bb.909:
	v_mov_b32_e32 v10, 0x7f
	v_cmp_lt_u32_e32 vcc_lo, 0x7f800000, v11
	s_delay_alu instid0(VALU_DEP_2)
	v_cndmask_b32_e32 v10, 0x7e, v10, vcc_lo
; %bb.910:
	s_or_b32 exec_lo, exec_lo, s3
	v_lshrrev_b32_e32 v9, 24, v9
	s_delay_alu instid0(VALU_DEP_1)
	v_and_or_b32 v9, 0x80, v9, v10
	global_store_b8 v[0:1], v9, off
.LBB185_911:
	s_mov_b32 s3, 0
.LBB185_912:
	s_delay_alu instid0(SALU_CYCLE_1)
	s_and_not1_b32 vcc_lo, exec_lo, s3
	s_cbranch_vccnz .LBB185_922
; %bb.913:
	v_cvt_f32_f16_e32 v9, v2
	s_mov_b32 s3, exec_lo
                                        ; implicit-def: $vgpr10
	s_delay_alu instid0(VALU_DEP_1) | instskip(NEXT) | instid1(VALU_DEP_1)
	v_and_b32_e32 v11, 0x7fffffff, v9
	v_cmpx_gt_u32_e32 0x47800000, v11
	s_xor_b32 s3, exec_lo, s3
	s_cbranch_execz .LBB185_919
; %bb.914:
	s_mov_b32 s23, exec_lo
                                        ; implicit-def: $vgpr10
	v_cmpx_lt_u32_e32 0x387fffff, v11
	s_xor_b32 s23, exec_lo, s23
; %bb.915:
	v_bfe_u32 v10, v9, 21, 1
	s_delay_alu instid0(VALU_DEP_1) | instskip(NEXT) | instid1(VALU_DEP_1)
	v_add3_u32 v10, v9, v10, 0x80fffff
	v_lshrrev_b32_e32 v10, 21, v10
; %bb.916:
	s_and_not1_saveexec_b32 s23, s23
; %bb.917:
	v_add_f32_e64 v10, 0x43000000, |v9|
; %bb.918:
	s_or_b32 exec_lo, exec_lo, s23
                                        ; implicit-def: $vgpr11
.LBB185_919:
	s_and_not1_saveexec_b32 s3, s3
; %bb.920:
	v_mov_b32_e32 v10, 0x7f
	v_cmp_lt_u32_e32 vcc_lo, 0x7f800000, v11
	s_delay_alu instid0(VALU_DEP_2)
	v_cndmask_b32_e32 v10, 0x7c, v10, vcc_lo
; %bb.921:
	s_or_b32 exec_lo, exec_lo, s3
	v_lshrrev_b32_e32 v9, 24, v9
	s_delay_alu instid0(VALU_DEP_1)
	v_and_or_b32 v9, 0x80, v9, v10
	global_store_b8 v[0:1], v9, off
.LBB185_922:
	s_mov_b32 s23, 0
	s_mov_b32 s3, -1
.LBB185_923:
	s_and_not1_b32 vcc_lo, exec_lo, s23
	s_cbranch_vccnz .LBB185_931
; %bb.924:
	v_cmp_lt_i16_e32 vcc_lo, 14, v6
	s_mov_b32 s23, -1
	s_cbranch_vccz .LBB185_928
; %bb.925:
	v_cmp_eq_u16_e32 vcc_lo, 15, v6
	s_mov_b32 s2, -1
	s_cbranch_vccz .LBB185_927
; %bb.926:
	v_cvt_f32_f16_e32 v9, v2
	v_cmp_o_f16_e32 vcc_lo, v2, v2
	s_mov_b32 s3, -1
	s_mov_b32 s2, 0
	s_delay_alu instid0(VALU_DEP_2) | instskip(NEXT) | instid1(VALU_DEP_1)
	v_bfe_u32 v10, v9, 16, 1
	v_add3_u32 v9, v9, v10, 0x7fff
	s_delay_alu instid0(VALU_DEP_1) | instskip(NEXT) | instid1(VALU_DEP_1)
	v_lshrrev_b32_e32 v9, 16, v9
	v_cndmask_b32_e32 v9, 0x7fc0, v9, vcc_lo
	global_store_b16 v[0:1], v9, off
.LBB185_927:
	s_mov_b32 s23, 0
.LBB185_928:
	s_delay_alu instid0(SALU_CYCLE_1)
	s_and_b32 vcc_lo, exec_lo, s23
	s_cbranch_vccz .LBB185_931
; %bb.929:
	v_cmp_eq_u16_e32 vcc_lo, 11, v6
	s_mov_b32 s2, -1
	s_cbranch_vccz .LBB185_931
; %bb.930:
	v_and_b32_e32 v9, 0x7fff7fff, v7
	s_mov_b32 s2, 0
	s_mov_b32 s3, -1
	s_delay_alu instid0(VALU_DEP_1)
	v_cmp_ne_u32_e32 vcc_lo, 0, v9
	v_cndmask_b32_e64 v9, 0, 1, vcc_lo
	global_store_b8 v[0:1], v9, off
.LBB185_931:
.LBB185_932:
	s_and_not1_b32 vcc_lo, exec_lo, s3
	s_cbranch_vccnz .LBB185_857
.LBB185_933:
	v_add_nc_u32_e32 v5, 0x80, v5
	s_mov_b32 s3, -1
.LBB185_934:
	s_and_not1_b32 s23, s38, exec_lo
	s_and_b32 s2, s2, exec_lo
	s_and_not1_b32 s41, s37, exec_lo
	s_and_b32 s22, s22, exec_lo
	s_or_b32 s23, s23, s2
	s_or_b32 s22, s41, s22
	s_or_not1_b32 s42, s3, exec_lo
.LBB185_935:
	s_or_b32 exec_lo, exec_lo, s40
	s_mov_b32 s2, 0
	s_mov_b32 s3, 0
	s_mov_b32 s41, 0
                                        ; implicit-def: $vgpr1_vgpr2
                                        ; implicit-def: $vgpr0
                                        ; implicit-def: $vgpr8
                                        ; implicit-def: $vgpr6
	s_and_saveexec_b32 s40, s42
	s_cbranch_execz .LBB185_1036
; %bb.936:
	v_cmp_gt_i32_e32 vcc_lo, s30, v5
	s_mov_b32 s43, s22
	s_mov_b32 s42, 0
                                        ; implicit-def: $vgpr1_vgpr2
                                        ; implicit-def: $vgpr0
                                        ; implicit-def: $vgpr8
                                        ; implicit-def: $vgpr6
	s_and_saveexec_b32 s30, vcc_lo
	s_cbranch_execz .LBB185_1035
; %bb.937:
	s_and_not1_b32 vcc_lo, exec_lo, s27
	s_cbranch_vccnz .LBB185_942
; %bb.938:
	v_dual_mov_b32 v0, 0 :: v_dual_mov_b32 v1, 0
	s_and_not1_b32 vcc_lo, exec_lo, s33
	s_mov_b32 s33, 0
	s_cbranch_vccnz .LBB185_947
; %bb.939:
	v_mov_b32_e32 v0, 0
	s_add_i32 s41, s31, 1
	s_cmp_eq_u32 s25, 2
	s_mov_b32 s31, 0
	s_cbranch_scc1 .LBB185_943
; %bb.940:
	v_dual_mov_b32 v1, 0 :: v_dual_mov_b32 v0, 0
	v_mov_b32_e32 v2, v5
	s_and_b32 s31, s41, 28
	s_mov_b64 s[2:3], s[16:17]
.LBB185_941:                            ; =>This Inner Loop Header: Depth=1
	s_clause 0x1
	s_load_b256 s[44:51], s[2:3], 0x4
	s_load_b128 s[60:63], s[2:3], 0x24
	s_load_b256 s[52:59], s[20:21], 0x0
	s_add_u32 s2, s2, 48
	s_addc_u32 s3, s3, 0
	s_add_i32 s42, s42, 4
	s_add_u32 s20, s20, 32
	s_addc_u32 s21, s21, 0
	s_cmp_eq_u32 s31, s42
	s_waitcnt vmcnt(0) lgkmcnt(0)
	v_mul_hi_u32 v6, s45, v2
	s_delay_alu instid0(VALU_DEP_1) | instskip(NEXT) | instid1(VALU_DEP_1)
	v_add_nc_u32_e32 v6, v2, v6
	v_lshrrev_b32_e32 v6, s46, v6
	s_delay_alu instid0(VALU_DEP_1) | instskip(SKIP_1) | instid1(VALU_DEP_2)
	v_mul_hi_u32 v7, s48, v6
	v_mul_lo_u32 v9, v6, s44
	v_add_nc_u32_e32 v7, v6, v7
	s_delay_alu instid0(VALU_DEP_2) | instskip(NEXT) | instid1(VALU_DEP_2)
	v_sub_nc_u32_e32 v2, v2, v9
	v_lshrrev_b32_e32 v7, s49, v7
	s_delay_alu instid0(VALU_DEP_2) | instskip(SKIP_1) | instid1(VALU_DEP_3)
	v_mul_lo_u32 v9, v2, s52
	v_mul_lo_u32 v11, v2, s53
	v_mul_hi_u32 v8, s51, v7
	s_delay_alu instid0(VALU_DEP_1) | instskip(NEXT) | instid1(VALU_DEP_1)
	v_add_nc_u32_e32 v8, v7, v8
	v_lshrrev_b32_e32 v8, s60, v8
	s_delay_alu instid0(VALU_DEP_1) | instskip(SKIP_1) | instid1(VALU_DEP_2)
	v_mul_hi_u32 v10, s62, v8
	v_mul_lo_u32 v12, v8, s50
	v_add_nc_u32_e32 v2, v8, v10
	v_mul_lo_u32 v10, v7, s47
	s_delay_alu instid0(VALU_DEP_3) | instskip(NEXT) | instid1(VALU_DEP_3)
	v_sub_nc_u32_e32 v7, v7, v12
	v_lshrrev_b32_e32 v2, s63, v2
	s_delay_alu instid0(VALU_DEP_2) | instskip(SKIP_2) | instid1(VALU_DEP_4)
	v_mul_lo_u32 v12, v7, s56
	v_mul_lo_u32 v7, v7, s57
	v_sub_nc_u32_e32 v6, v6, v10
	v_mul_lo_u32 v13, v2, s61
	s_delay_alu instid0(VALU_DEP_2) | instskip(SKIP_1) | instid1(VALU_DEP_3)
	v_mul_lo_u32 v10, v6, s54
	v_mul_lo_u32 v6, v6, s55
	v_sub_nc_u32_e32 v8, v8, v13
	s_delay_alu instid0(VALU_DEP_3) | instskip(NEXT) | instid1(VALU_DEP_2)
	v_add3_u32 v0, v9, v0, v10
	v_mul_lo_u32 v13, v8, s58
	v_mul_lo_u32 v8, v8, s59
	v_add3_u32 v1, v11, v1, v6
	s_delay_alu instid0(VALU_DEP_3) | instskip(NEXT) | instid1(VALU_DEP_2)
	v_add3_u32 v0, v12, v0, v13
	v_add3_u32 v1, v7, v1, v8
	s_cbranch_scc0 .LBB185_941
	s_branch .LBB185_944
.LBB185_942:
	s_mov_b32 s33, -1
                                        ; implicit-def: $vgpr0
                                        ; implicit-def: $vgpr1
	s_branch .LBB185_947
.LBB185_943:
	v_dual_mov_b32 v2, v5 :: v_dual_mov_b32 v1, 0
.LBB185_944:
	s_and_b32 s41, s41, 3
	s_delay_alu instid0(SALU_CYCLE_1)
	s_cmp_eq_u32 s41, 0
	s_cbranch_scc1 .LBB185_947
; %bb.945:
	s_lshl_b32 s2, s31, 3
	s_mul_i32 s20, s31, 12
	s_add_u32 s2, s2, s16
	s_addc_u32 s3, s17, 0
	s_add_u32 s2, s2, 0xc4
	s_addc_u32 s3, s3, 0
	;; [unrolled: 2-line block ×3, first 2 shown]
.LBB185_946:                            ; =>This Inner Loop Header: Depth=1
	s_clause 0x1
	s_load_b64 s[42:43], s[20:21], 0x4
	s_load_b32 s31, s[20:21], 0xc
	s_load_b64 s[44:45], s[2:3], 0x0
	s_add_u32 s20, s20, 12
	s_addc_u32 s21, s21, 0
	s_add_u32 s2, s2, 8
	s_addc_u32 s3, s3, 0
	s_add_i32 s41, s41, -1
	s_delay_alu instid0(SALU_CYCLE_1) | instskip(SKIP_2) | instid1(VALU_DEP_1)
	s_cmp_lg_u32 s41, 0
	s_waitcnt vmcnt(0) lgkmcnt(0)
	v_mul_hi_u32 v6, s43, v2
	v_add_nc_u32_e32 v6, v2, v6
	s_delay_alu instid0(VALU_DEP_1) | instskip(NEXT) | instid1(VALU_DEP_1)
	v_lshrrev_b32_e32 v9, s31, v6
	v_mul_lo_u32 v6, v9, s42
	s_delay_alu instid0(VALU_DEP_1) | instskip(NEXT) | instid1(VALU_DEP_1)
	v_sub_nc_u32_e32 v2, v2, v6
	v_mad_u64_u32 v[6:7], null, v2, s44, v[0:1]
	v_mad_u64_u32 v[7:8], null, v2, s45, v[1:2]
	v_mov_b32_e32 v2, v9
	s_delay_alu instid0(VALU_DEP_2)
	v_dual_mov_b32 v0, v6 :: v_dual_mov_b32 v1, v7
	s_cbranch_scc1 .LBB185_946
.LBB185_947:
	s_and_not1_b32 vcc_lo, exec_lo, s33
	s_cbranch_vccnz .LBB185_950
; %bb.948:
	s_waitcnt lgkmcnt(0)
	v_mul_hi_u32 v0, s13, v5
	s_and_not1_b32 vcc_lo, exec_lo, s29
	s_delay_alu instid0(VALU_DEP_1) | instskip(NEXT) | instid1(VALU_DEP_1)
	v_add_nc_u32_e32 v0, v5, v0
	v_lshrrev_b32_e32 v2, s14, v0
	s_delay_alu instid0(VALU_DEP_1) | instskip(NEXT) | instid1(VALU_DEP_1)
	v_mul_lo_u32 v0, v2, s12
	v_sub_nc_u32_e32 v1, v5, v0
	s_delay_alu instid0(VALU_DEP_1)
	v_mul_lo_u32 v0, v1, s8
	v_mul_lo_u32 v1, v1, s9
	s_cbranch_vccnz .LBB185_950
; %bb.949:
	v_mul_hi_u32 v5, s18, v2
	s_delay_alu instid0(VALU_DEP_1) | instskip(NEXT) | instid1(VALU_DEP_1)
	v_add_nc_u32_e32 v5, v2, v5
	v_lshrrev_b32_e32 v5, s19, v5
	s_delay_alu instid0(VALU_DEP_1) | instskip(NEXT) | instid1(VALU_DEP_1)
	v_mul_lo_u32 v5, v5, s15
	v_sub_nc_u32_e32 v2, v2, v5
	s_waitcnt vmcnt(0)
	s_delay_alu instid0(VALU_DEP_1) | instskip(SKIP_1) | instid1(VALU_DEP_1)
	v_mad_u64_u32 v[5:6], null, v2, s10, v[0:1]
	v_mad_u64_u32 v[6:7], null, v2, s11, v[1:2]
	v_dual_mov_b32 v0, v5 :: v_dual_mov_b32 v1, v6
.LBB185_950:
	v_cmp_gt_i16_e32 vcc_lo, 11, v4
	s_waitcnt lgkmcnt(0)
	s_delay_alu instid0(VALU_DEP_2) | instskip(NEXT) | instid1(VALU_DEP_1)
	v_add_co_u32 v1, s2, s6, v1
	v_add_co_ci_u32_e64 v2, null, s7, 0, s2
	s_mov_b32 s6, 0
	s_cbranch_vccnz .LBB185_957
; %bb.951:
	v_cmp_lt_i16_e32 vcc_lo, 25, v4
	s_mov_b32 s3, 0
	s_cbranch_vccz .LBB185_958
; %bb.952:
	v_cmp_lt_i16_e32 vcc_lo, 28, v4
	s_cbranch_vccz .LBB185_959
; %bb.953:
	v_cmp_lt_i16_e32 vcc_lo, 43, v4
	;; [unrolled: 3-line block ×3, first 2 shown]
	s_cbranch_vccz .LBB185_963
; %bb.955:
	v_cmp_eq_u16_e32 vcc_lo, 46, v4
	s_mov_b32 s7, 0
	s_cbranch_vccz .LBB185_966
; %bb.956:
	global_load_b32 v5, v[1:2], off
	s_mov_b32 s2, 0
	s_mov_b32 s6, -1
	s_waitcnt vmcnt(0)
	v_lshlrev_b32_e32 v6, 16, v5
	v_and_b32_e32 v5, 0xffff0000, v5
	s_delay_alu instid0(VALU_DEP_2) | instskip(NEXT) | instid1(VALU_DEP_2)
	v_cvt_f16_f32_e32 v6, v6
	v_cvt_f16_f32_e32 v8, v5
	s_branch .LBB185_968
.LBB185_957:
	s_mov_b32 s7, -1
	s_mov_b32 s3, 0
	s_mov_b32 s2, s22
                                        ; implicit-def: $vgpr8
                                        ; implicit-def: $vgpr6
	s_branch .LBB185_1034
.LBB185_958:
	s_mov_b32 s7, -1
	s_mov_b32 s2, s22
                                        ; implicit-def: $vgpr8
                                        ; implicit-def: $vgpr6
	s_branch .LBB185_1001
.LBB185_959:
	s_mov_b32 s7, -1
	s_mov_b32 s2, s22
                                        ; implicit-def: $vgpr8
                                        ; implicit-def: $vgpr6
	s_branch .LBB185_980
.LBB185_960:
	s_mov_b32 s7, -1
	s_mov_b32 s2, s22
                                        ; implicit-def: $vgpr8
                                        ; implicit-def: $vgpr6
	s_branch .LBB185_974
.LBB185_961:
	s_or_saveexec_b32 s41, s41
                                        ; implicit-def: $sgpr42
	s_delay_alu instid0(SALU_CYCLE_1)
	s_xor_b32 exec_lo, exec_lo, s41
	s_cbranch_execz .LBB185_884
.LBB185_962:
	v_add_f32_e64 v10, 0x46000000, |v9|
	s_and_not1_b32 s23, s23, exec_lo
	s_mov_b32 s42, 0
	s_delay_alu instid0(VALU_DEP_1) | instskip(NEXT) | instid1(VALU_DEP_1)
	v_and_b32_e32 v10, 0xff, v10
	v_cmp_ne_u32_e32 vcc_lo, 0, v10
	s_and_b32 s43, vcc_lo, exec_lo
	s_delay_alu instid0(SALU_CYCLE_1)
	s_or_b32 s23, s23, s43
	s_or_b32 exec_lo, exec_lo, s41
	v_mov_b32_e32 v11, s42
	s_and_saveexec_b32 s41, s23
	s_cbranch_execnz .LBB185_885
	s_branch .LBB185_886
.LBB185_963:
	s_mov_b32 s7, -1
	s_mov_b32 s2, s22
	s_branch .LBB185_967
.LBB185_964:
	s_or_saveexec_b32 s41, s41
                                        ; implicit-def: $sgpr42
	s_delay_alu instid0(SALU_CYCLE_1)
	s_xor_b32 exec_lo, exec_lo, s41
	s_cbranch_execz .LBB185_897
.LBB185_965:
	v_add_f32_e64 v10, 0x42800000, |v9|
	s_and_not1_b32 s23, s23, exec_lo
	s_mov_b32 s42, 0
	s_delay_alu instid0(VALU_DEP_1) | instskip(NEXT) | instid1(VALU_DEP_1)
	v_and_b32_e32 v10, 0xff, v10
	v_cmp_ne_u32_e32 vcc_lo, 0, v10
	s_and_b32 s43, vcc_lo, exec_lo
	s_delay_alu instid0(SALU_CYCLE_1)
	s_or_b32 s23, s23, s43
	s_or_b32 exec_lo, exec_lo, s41
	v_mov_b32_e32 v11, s42
	s_and_saveexec_b32 s41, s23
	s_cbranch_execnz .LBB185_898
	s_branch .LBB185_899
.LBB185_966:
	s_mov_b32 s2, -1
.LBB185_967:
                                        ; implicit-def: $vgpr8
                                        ; implicit-def: $vgpr6
.LBB185_968:
	s_and_b32 vcc_lo, exec_lo, s7
	s_cbranch_vccz .LBB185_973
; %bb.969:
	v_cmp_eq_u16_e32 vcc_lo, 44, v4
	s_cbranch_vccz .LBB185_971
; %bb.970:
	global_load_u8 v5, v[1:2], off
	s_mov_b32 s2, 0
	s_mov_b32 s6, -1
	s_waitcnt vmcnt(0)
	v_lshlrev_b32_e32 v6, 23, v5
	v_cmp_ne_u32_e32 vcc_lo, 0xff, v5
	s_delay_alu instid0(VALU_DEP_2) | instskip(NEXT) | instid1(VALU_DEP_1)
	v_cvt_f16_f32_e32 v6, v6
	v_cndmask_b32_e32 v6, 0x7e00, v6, vcc_lo
	v_cmp_ne_u32_e32 vcc_lo, 0, v5
	s_delay_alu instid0(VALU_DEP_2)
	v_cndmask_b32_e32 v6, 0, v6, vcc_lo
	s_branch .LBB185_972
.LBB185_971:
	s_mov_b32 s2, -1
                                        ; implicit-def: $vgpr6
.LBB185_972:
	s_delay_alu instid0(SALU_CYCLE_1)
	v_mov_b32_e32 v8, s2
.LBB185_973:
	s_mov_b32 s7, 0
.LBB185_974:
	s_delay_alu instid0(SALU_CYCLE_1)
	s_and_b32 vcc_lo, exec_lo, s7
	s_cbranch_vccz .LBB185_979
; %bb.975:
	v_cmp_eq_u16_e32 vcc_lo, 29, v4
	s_cbranch_vccz .LBB185_977
; %bb.976:
	global_load_b64 v[5:6], v[1:2], off
	s_mov_b32 s2, 0
	s_mov_b32 s6, -1
	s_mov_b32 s7, 0
	s_waitcnt vmcnt(0)
	v_clz_i32_u32_e32 v7, v6
	s_delay_alu instid0(VALU_DEP_1) | instskip(NEXT) | instid1(VALU_DEP_1)
	v_min_u32_e32 v7, 32, v7
	v_lshlrev_b64 v[5:6], v7, v[5:6]
	s_delay_alu instid0(VALU_DEP_1) | instskip(NEXT) | instid1(VALU_DEP_1)
	v_min_u32_e32 v5, 1, v5
	v_or_b32_e32 v5, v6, v5
	v_sub_nc_u32_e32 v6, 32, v7
	s_delay_alu instid0(VALU_DEP_2) | instskip(NEXT) | instid1(VALU_DEP_1)
	v_cvt_f32_u32_e32 v5, v5
	v_ldexp_f32 v5, v5, v6
	s_delay_alu instid0(VALU_DEP_1)
	v_cvt_f16_f32_e32 v6, v5
	s_branch .LBB185_978
.LBB185_977:
	s_mov_b32 s2, -1
                                        ; implicit-def: $sgpr7
                                        ; implicit-def: $vgpr6
.LBB185_978:
	v_mov_b32_e32 v8, s7
.LBB185_979:
	s_mov_b32 s7, 0
.LBB185_980:
	s_delay_alu instid0(SALU_CYCLE_1)
	s_and_b32 vcc_lo, exec_lo, s7
	s_cbranch_vccz .LBB185_1000
; %bb.981:
	v_cmp_gt_i16_e32 vcc_lo, 27, v4
	s_cbranch_vccnz .LBB185_984
; %bb.982:
	v_cmp_lt_i16_e32 vcc_lo, 27, v4
	s_cbranch_vccz .LBB185_985
; %bb.983:
	global_load_b32 v5, v[1:2], off
	s_mov_b32 s7, 0
	s_mov_b32 s6, 0
	s_waitcnt vmcnt(0)
	v_cvt_f32_u32_e32 v5, v5
	s_delay_alu instid0(VALU_DEP_1)
	v_cvt_f16_f32_e32 v6, v5
	s_branch .LBB185_986
.LBB185_984:
	s_mov_b32 s7, -1
                                        ; implicit-def: $sgpr6
                                        ; implicit-def: $vgpr6
	s_branch .LBB185_989
.LBB185_985:
	s_mov_b32 s7, -1
                                        ; implicit-def: $sgpr6
                                        ; implicit-def: $vgpr6
.LBB185_986:
	s_delay_alu instid0(SALU_CYCLE_1)
	s_and_not1_b32 vcc_lo, exec_lo, s7
	s_cbranch_vccnz .LBB185_988
; %bb.987:
	global_load_u16 v5, v[1:2], off
	s_mov_b32 s6, 0
	s_waitcnt vmcnt(0)
	v_cvt_f16_u16_e32 v6, v5
.LBB185_988:
	s_mov_b32 s7, 0
.LBB185_989:
	v_mov_b32_e32 v8, s6
	s_and_not1_b32 vcc_lo, exec_lo, s7
	s_cbranch_vccnz .LBB185_999
; %bb.990:
	global_load_u8 v5, v[1:2], off
	s_mov_b32 s6, 0
	s_mov_b32 s9, exec_lo
                                        ; implicit-def: $sgpr8
                                        ; implicit-def: $sgpr7
	s_waitcnt vmcnt(0)
	v_cmpx_lt_i16_e32 0x7f, v5
	s_xor_b32 s9, exec_lo, s9
	s_cbranch_execz .LBB185_994
; %bb.991:
	s_mov_b32 s6, -1
	s_mov_b32 s10, exec_lo
                                        ; implicit-def: $sgpr8
                                        ; implicit-def: $sgpr7
	v_cmpx_eq_u16_e32 0x80, v5
; %bb.992:
	s_movk_i32 s7, 0x7e00
	s_mov_b32 s8, 0
	s_xor_b32 s6, exec_lo, -1
; %bb.993:
	s_or_b32 exec_lo, exec_lo, s10
	s_delay_alu instid0(SALU_CYCLE_1)
	s_and_b32 s6, s6, exec_lo
.LBB185_994:
	s_or_saveexec_b32 s9, s9
	v_mov_b32_e32 v8, s8
	v_mov_b32_e32 v6, s7
	s_xor_b32 exec_lo, exec_lo, s9
; %bb.995:
	v_cmp_ne_u16_e32 vcc_lo, 0, v5
	v_mov_b32_e32 v8, 0
	v_mov_b32_e32 v6, v5
	s_and_not1_b32 s6, s6, exec_lo
	s_and_b32 s7, vcc_lo, exec_lo
	s_delay_alu instid0(SALU_CYCLE_1)
	s_or_b32 s6, s6, s7
; %bb.996:
	s_or_b32 exec_lo, exec_lo, s9
	s_and_saveexec_b32 s7, s6
	s_cbranch_execz .LBB185_998
; %bb.997:
	v_and_b32_e32 v6, 0xffff, v5
	v_lshlrev_b32_e32 v5, 24, v5
	s_delay_alu instid0(VALU_DEP_2) | instskip(NEXT) | instid1(VALU_DEP_2)
	v_and_b32_e32 v7, 7, v6
	v_and_b32_e32 v5, 0x80000000, v5
	s_delay_alu instid0(VALU_DEP_2) | instskip(NEXT) | instid1(VALU_DEP_1)
	v_clz_i32_u32_e32 v8, v7
	v_min_u32_e32 v8, 32, v8
	s_delay_alu instid0(VALU_DEP_1) | instskip(SKIP_1) | instid1(VALU_DEP_2)
	v_subrev_nc_u32_e32 v9, 28, v8
	v_sub_nc_u32_e32 v8, 29, v8
	v_lshlrev_b32_e32 v9, v9, v6
	v_bfe_u32 v6, v6, 3, 4
	s_delay_alu instid0(VALU_DEP_1) | instskip(NEXT) | instid1(VALU_DEP_4)
	v_cmp_eq_u32_e32 vcc_lo, 0, v6
	v_cndmask_b32_e32 v6, v6, v8, vcc_lo
	s_delay_alu instid0(VALU_DEP_4) | instskip(NEXT) | instid1(VALU_DEP_2)
	v_dual_mov_b32 v8, 0 :: v_dual_and_b32 v9, 7, v9
	v_lshl_add_u32 v6, v6, 23, 0x3b800000
	s_delay_alu instid0(VALU_DEP_2) | instskip(NEXT) | instid1(VALU_DEP_1)
	v_cndmask_b32_e32 v7, v7, v9, vcc_lo
	v_lshlrev_b32_e32 v7, 20, v7
	s_delay_alu instid0(VALU_DEP_1) | instskip(NEXT) | instid1(VALU_DEP_1)
	v_or3_b32 v5, v5, v6, v7
	v_cvt_f16_f32_e32 v6, v5
.LBB185_998:
	s_or_b32 exec_lo, exec_lo, s7
.LBB185_999:
	s_mov_b32 s6, -1
.LBB185_1000:
	s_mov_b32 s7, 0
.LBB185_1001:
	s_delay_alu instid0(SALU_CYCLE_1)
	s_and_b32 vcc_lo, exec_lo, s7
	s_cbranch_vccz .LBB185_1033
; %bb.1002:
	v_cmp_lt_i16_e32 vcc_lo, 22, v4
	s_cbranch_vccz .LBB185_1014
; %bb.1003:
	v_cmp_gt_i16_e32 vcc_lo, 24, v4
	s_cbranch_vccnz .LBB185_1015
; %bb.1004:
	v_cmp_lt_i16_e32 vcc_lo, 24, v4
	s_cbranch_vccz .LBB185_1016
; %bb.1005:
	global_load_u8 v5, v[1:2], off
	s_mov_b32 s8, exec_lo
                                        ; implicit-def: $sgpr7
                                        ; implicit-def: $sgpr6
	s_waitcnt vmcnt(0)
	v_cmpx_lt_i16_e32 0x7f, v5
	s_xor_b32 s8, exec_lo, s8
	s_cbranch_execz .LBB185_1009
; %bb.1006:
	s_mov_b32 s3, -1
	s_mov_b32 s9, exec_lo
                                        ; implicit-def: $sgpr7
                                        ; implicit-def: $sgpr6
	v_cmpx_eq_u16_e32 0x80, v5
; %bb.1007:
	s_movk_i32 s6, 0x7e00
	s_mov_b32 s7, 0
	s_xor_b32 s3, exec_lo, -1
; %bb.1008:
	s_or_b32 exec_lo, exec_lo, s9
	s_delay_alu instid0(SALU_CYCLE_1)
	s_and_b32 s3, s3, exec_lo
.LBB185_1009:
	s_or_saveexec_b32 s8, s8
	v_mov_b32_e32 v8, s7
	v_mov_b32_e32 v6, s6
	s_xor_b32 exec_lo, exec_lo, s8
; %bb.1010:
	v_cmp_ne_u16_e32 vcc_lo, 0, v5
	v_mov_b32_e32 v8, 0
	v_mov_b32_e32 v6, v5
	s_and_not1_b32 s3, s3, exec_lo
	s_and_b32 s6, vcc_lo, exec_lo
	s_delay_alu instid0(SALU_CYCLE_1)
	s_or_b32 s3, s3, s6
; %bb.1011:
	s_or_b32 exec_lo, exec_lo, s8
	s_and_saveexec_b32 s6, s3
	s_cbranch_execz .LBB185_1013
; %bb.1012:
	v_and_b32_e32 v6, 0xffff, v5
	v_lshlrev_b32_e32 v5, 24, v5
	s_delay_alu instid0(VALU_DEP_2) | instskip(NEXT) | instid1(VALU_DEP_2)
	v_and_b32_e32 v7, 3, v6
	v_and_b32_e32 v5, 0x80000000, v5
	s_delay_alu instid0(VALU_DEP_2) | instskip(NEXT) | instid1(VALU_DEP_1)
	v_clz_i32_u32_e32 v8, v7
	v_min_u32_e32 v8, 32, v8
	s_delay_alu instid0(VALU_DEP_1) | instskip(SKIP_1) | instid1(VALU_DEP_2)
	v_subrev_nc_u32_e32 v9, 29, v8
	v_sub_nc_u32_e32 v8, 30, v8
	v_lshlrev_b32_e32 v9, v9, v6
	v_bfe_u32 v6, v6, 2, 5
	s_delay_alu instid0(VALU_DEP_1) | instskip(NEXT) | instid1(VALU_DEP_4)
	v_cmp_eq_u32_e32 vcc_lo, 0, v6
	v_cndmask_b32_e32 v6, v6, v8, vcc_lo
	s_delay_alu instid0(VALU_DEP_4) | instskip(NEXT) | instid1(VALU_DEP_2)
	v_dual_mov_b32 v8, 0 :: v_dual_and_b32 v9, 3, v9
	v_lshl_add_u32 v6, v6, 23, 0x37800000
	s_delay_alu instid0(VALU_DEP_2) | instskip(NEXT) | instid1(VALU_DEP_1)
	v_cndmask_b32_e32 v7, v7, v9, vcc_lo
	v_lshlrev_b32_e32 v7, 21, v7
	s_delay_alu instid0(VALU_DEP_1) | instskip(NEXT) | instid1(VALU_DEP_1)
	v_or3_b32 v5, v5, v6, v7
	v_cvt_f16_f32_e32 v6, v5
.LBB185_1013:
	s_or_b32 exec_lo, exec_lo, s6
	s_mov_b32 s3, 0
	s_branch .LBB185_1017
.LBB185_1014:
	s_mov_b32 s3, -1
                                        ; implicit-def: $vgpr8
                                        ; implicit-def: $vgpr6
	s_branch .LBB185_1023
.LBB185_1015:
	s_mov_b32 s3, -1
                                        ; implicit-def: $vgpr8
                                        ; implicit-def: $vgpr6
	s_branch .LBB185_1020
.LBB185_1016:
	s_mov_b32 s3, -1
                                        ; implicit-def: $vgpr8
                                        ; implicit-def: $vgpr6
.LBB185_1017:
	s_delay_alu instid0(SALU_CYCLE_1)
	s_and_b32 vcc_lo, exec_lo, s3
	s_cbranch_vccz .LBB185_1019
; %bb.1018:
	global_load_u8 v5, v[1:2], off
	s_waitcnt vmcnt(0)
	v_lshlrev_b32_e32 v5, 24, v5
	s_delay_alu instid0(VALU_DEP_1) | instskip(NEXT) | instid1(VALU_DEP_1)
	v_and_b32_e32 v6, 0x7f000000, v5
	v_clz_i32_u32_e32 v7, v6
	v_add_nc_u32_e32 v9, 0x1000000, v6
	v_cmp_ne_u32_e32 vcc_lo, 0, v6
	s_delay_alu instid0(VALU_DEP_3) | instskip(NEXT) | instid1(VALU_DEP_1)
	v_min_u32_e32 v7, 32, v7
	v_sub_nc_u32_e64 v7, v7, 4 clamp
	s_delay_alu instid0(VALU_DEP_1) | instskip(SKIP_1) | instid1(VALU_DEP_2)
	v_lshlrev_b32_e32 v8, v7, v6
	v_lshlrev_b32_e32 v7, 23, v7
	v_lshrrev_b32_e32 v8, 4, v8
	s_delay_alu instid0(VALU_DEP_1) | instskip(SKIP_1) | instid1(VALU_DEP_2)
	v_sub_nc_u32_e32 v7, v8, v7
	v_ashrrev_i32_e32 v8, 8, v9
	v_add_nc_u32_e32 v7, 0x3c000000, v7
	s_delay_alu instid0(VALU_DEP_1) | instskip(SKIP_1) | instid1(VALU_DEP_2)
	v_and_or_b32 v7, 0x7f800000, v8, v7
	v_mov_b32_e32 v8, 0
	v_cndmask_b32_e32 v6, 0, v7, vcc_lo
	s_delay_alu instid0(VALU_DEP_1) | instskip(NEXT) | instid1(VALU_DEP_1)
	v_and_or_b32 v5, 0x80000000, v5, v6
	v_cvt_f16_f32_e32 v6, v5
.LBB185_1019:
	s_mov_b32 s3, 0
.LBB185_1020:
	s_delay_alu instid0(SALU_CYCLE_1)
	s_and_not1_b32 vcc_lo, exec_lo, s3
	s_cbranch_vccnz .LBB185_1022
; %bb.1021:
	global_load_u8 v5, v[1:2], off
	s_waitcnt vmcnt(0)
	v_lshlrev_b32_e32 v6, 25, v5
	v_lshlrev_b16 v5, 8, v5
	s_delay_alu instid0(VALU_DEP_2) | instskip(NEXT) | instid1(VALU_DEP_2)
	v_lshrrev_b32_e32 v7, 4, v6
	v_and_or_b32 v8, 0x7f00, v5, 0.5
	v_bfe_i32 v5, v5, 0, 16
	s_delay_alu instid0(VALU_DEP_3) | instskip(NEXT) | instid1(VALU_DEP_1)
	v_or_b32_e32 v7, 0x70000000, v7
	v_dual_add_f32 v8, -0.5, v8 :: v_dual_mul_f32 v7, 0x7800000, v7
	v_cmp_gt_u32_e32 vcc_lo, 0x8000000, v6
	s_delay_alu instid0(VALU_DEP_2) | instskip(SKIP_1) | instid1(VALU_DEP_2)
	v_cndmask_b32_e32 v6, v7, v8, vcc_lo
	v_mov_b32_e32 v8, 0
	v_and_or_b32 v5, 0x80000000, v5, v6
	s_delay_alu instid0(VALU_DEP_1)
	v_cvt_f16_f32_e32 v6, v5
.LBB185_1022:
	s_mov_b32 s3, 0
	s_mov_b32 s6, -1
.LBB185_1023:
	s_and_not1_b32 vcc_lo, exec_lo, s3
	s_mov_b32 s3, 0
	s_cbranch_vccnz .LBB185_1033
; %bb.1024:
	v_cmp_lt_i16_e32 vcc_lo, 14, v4
	s_cbranch_vccz .LBB185_1027
; %bb.1025:
	v_cmp_eq_u16_e32 vcc_lo, 15, v4
	s_cbranch_vccz .LBB185_1028
; %bb.1026:
	global_load_u16 v5, v[1:2], off
	s_mov_b32 s2, 0
	s_mov_b32 s6, -1
	s_mov_b32 s7, 0
	s_waitcnt vmcnt(0)
	v_lshlrev_b32_e32 v5, 16, v5
	s_delay_alu instid0(VALU_DEP_1)
	v_cvt_f16_f32_e32 v6, v5
	s_branch .LBB185_1030
.LBB185_1027:
	s_mov_b32 s3, -1
	s_branch .LBB185_1029
.LBB185_1028:
	s_mov_b32 s2, -1
.LBB185_1029:
                                        ; implicit-def: $sgpr7
                                        ; implicit-def: $vgpr6
.LBB185_1030:
	s_and_b32 vcc_lo, exec_lo, s3
	s_mov_b32 s3, 0
	s_cbranch_vccz .LBB185_1032
; %bb.1031:
	v_cmp_ne_u16_e32 vcc_lo, 11, v4
	s_and_not1_b32 s2, s2, exec_lo
	s_mov_b32 s3, -1
                                        ; implicit-def: $vgpr6
	s_and_b32 s7, vcc_lo, exec_lo
	s_delay_alu instid0(SALU_CYCLE_1)
	s_or_b32 s2, s2, s7
                                        ; implicit-def: $sgpr7
.LBB185_1032:
	v_mov_b32_e32 v8, s7
.LBB185_1033:
	s_mov_b32 s7, 0
.LBB185_1034:
	s_and_b32 s41, s6, exec_lo
	s_and_b32 s42, s7, exec_lo
	s_and_not1_b32 s6, s22, exec_lo
	s_and_b32 s7, s2, exec_lo
	s_and_b32 s2, s3, exec_lo
	s_or_b32 s43, s6, s7
.LBB185_1035:
	s_or_b32 exec_lo, exec_lo, s30
	s_waitcnt lgkmcnt(0)
	s_and_not1_b32 s6, s22, exec_lo
	s_and_b32 s7, s43, exec_lo
	s_and_b32 s41, s41, exec_lo
	;; [unrolled: 1-line block ×4, first 2 shown]
	s_or_b32 s22, s6, s7
.LBB185_1036:
	s_or_b32 exec_lo, exec_lo, s40
	s_waitcnt lgkmcnt(0)
	s_and_not1_b32 s6, s38, exec_lo
	s_and_b32 s7, s23, exec_lo
	s_and_b32 s40, s41, exec_lo
	s_or_b32 s38, s6, s7
	s_and_not1_b32 s6, s37, exec_lo
	s_and_b32 s7, s22, exec_lo
	s_and_b32 s23, s3, exec_lo
	;; [unrolled: 1-line block ×3, first 2 shown]
	s_or_b32 s37, s6, s7
.LBB185_1037:
	s_or_b32 exec_lo, exec_lo, s39
	s_delay_alu instid0(SALU_CYCLE_1)
	s_and_not1_b32 s2, s34, exec_lo
	s_waitcnt lgkmcnt(0)
	s_and_b32 s6, s38, exec_lo
	s_and_b32 s7, s37, exec_lo
	s_or_b32 s34, s2, s6
	s_and_not1_b32 s6, s35, exec_lo
	s_and_b32 s2, s40, exec_lo
	s_and_b32 s22, s23, exec_lo
	;; [unrolled: 1-line block ×3, first 2 shown]
	s_or_b32 s35, s6, s7
.LBB185_1038:
	s_or_b32 exec_lo, exec_lo, s36
	s_waitcnt lgkmcnt(0)
	s_mov_b32 s6, 0
	s_and_saveexec_b32 s3, s35
	s_cbranch_execnz .LBB185_1050
; %bb.1039:
	s_or_b32 exec_lo, exec_lo, s3
	s_and_saveexec_b32 s3, s37
	s_delay_alu instid0(SALU_CYCLE_1)
	s_xor_b32 s3, exec_lo, s3
	s_cbranch_execz .LBB185_1041
.LBB185_1040:
	global_load_u8 v5, v[1:2], off
	v_mov_b32_e32 v8, 0
	s_or_b32 s2, s2, exec_lo
	s_waitcnt vmcnt(0)
	v_cmp_ne_u16_e32 vcc_lo, 0, v5
	v_cndmask_b32_e64 v6, 0, 0x3c00, vcc_lo
.LBB185_1041:
	s_or_b32 exec_lo, exec_lo, s3
	s_and_saveexec_b32 s3, s22
	s_cbranch_execz .LBB185_1091
; %bb.1042:
	v_cmp_gt_i16_e32 vcc_lo, 5, v4
	s_cbranch_vccnz .LBB185_1047
; %bb.1043:
	v_cmp_gt_i16_e32 vcc_lo, 8, v4
	s_cbranch_vccnz .LBB185_1048
	;; [unrolled: 3-line block ×3, first 2 shown]
; %bb.1045:
	v_cmp_lt_i16_e32 vcc_lo, 9, v4
	s_cbranch_vccz .LBB185_1052
; %bb.1046:
	global_load_b128 v[5:8], v[1:2], off
	s_mov_b32 s7, 0
	s_waitcnt vmcnt(0)
	v_cvt_f32_f64_e32 v5, v[5:6]
	v_cvt_f32_f64_e32 v7, v[7:8]
	s_delay_alu instid0(VALU_DEP_2) | instskip(NEXT) | instid1(VALU_DEP_2)
	v_cvt_f16_f32_e32 v6, v5
	v_cvt_f16_f32_e32 v8, v7
	s_branch .LBB185_1053
.LBB185_1047:
                                        ; implicit-def: $vgpr8
                                        ; implicit-def: $vgpr6
	s_branch .LBB185_1071
.LBB185_1048:
                                        ; implicit-def: $vgpr8
                                        ; implicit-def: $vgpr6
	s_branch .LBB185_1059
.LBB185_1049:
	s_mov_b32 s7, -1
                                        ; implicit-def: $vgpr8
                                        ; implicit-def: $vgpr6
	s_branch .LBB185_1056
.LBB185_1050:
	s_cbranch_execnz .LBB185_1362
; %bb.1051:
	s_mov_b32 s6, exec_lo
	s_and_not1_b32 s37, s37, exec_lo
                                        ; implicit-def: $vgpr8
                                        ; implicit-def: $vgpr6
	s_or_b32 exec_lo, exec_lo, s3
	s_and_saveexec_b32 s3, s37
	s_delay_alu instid0(SALU_CYCLE_1)
	s_xor_b32 s3, exec_lo, s3
	s_cbranch_execnz .LBB185_1040
	s_branch .LBB185_1041
.LBB185_1052:
	s_mov_b32 s7, -1
                                        ; implicit-def: $vgpr8
                                        ; implicit-def: $vgpr6
.LBB185_1053:
	s_delay_alu instid0(SALU_CYCLE_1)
	s_and_not1_b32 vcc_lo, exec_lo, s7
	s_cbranch_vccnz .LBB185_1055
; %bb.1054:
	global_load_b64 v[6:7], v[1:2], off
	s_waitcnt vmcnt(0)
	v_cvt_f16_f32_e32 v6, v6
	v_cvt_f16_f32_e32 v8, v7
.LBB185_1055:
	s_mov_b32 s7, 0
.LBB185_1056:
	s_delay_alu instid0(SALU_CYCLE_1)
	s_and_not1_b32 vcc_lo, exec_lo, s7
	s_cbranch_vccnz .LBB185_1058
; %bb.1057:
	global_load_b32 v6, v[1:2], off
	s_waitcnt vmcnt(0)
	v_lshrrev_b32_e32 v8, 16, v6
.LBB185_1058:
	s_cbranch_execnz .LBB185_1070
.LBB185_1059:
	v_cmp_gt_i16_e32 vcc_lo, 6, v4
	s_cbranch_vccnz .LBB185_1062
; %bb.1060:
	v_cmp_lt_i16_e32 vcc_lo, 6, v4
	s_cbranch_vccz .LBB185_1063
; %bb.1061:
	global_load_b64 v[5:6], v[1:2], off
	s_mov_b32 s8, 0
	s_mov_b32 s7, 0
	s_waitcnt vmcnt(0)
	v_cvt_f32_f64_e32 v5, v[5:6]
	s_delay_alu instid0(VALU_DEP_1)
	v_cvt_f16_f32_e32 v6, v5
	s_branch .LBB185_1064
.LBB185_1062:
	s_mov_b32 s8, -1
                                        ; implicit-def: $sgpr7
                                        ; implicit-def: $vgpr6
	s_branch .LBB185_1067
.LBB185_1063:
	s_mov_b32 s8, -1
                                        ; implicit-def: $sgpr7
                                        ; implicit-def: $vgpr6
.LBB185_1064:
	s_delay_alu instid0(SALU_CYCLE_1)
	s_and_not1_b32 vcc_lo, exec_lo, s8
	s_cbranch_vccnz .LBB185_1066
; %bb.1065:
	global_load_b32 v5, v[1:2], off
	s_mov_b32 s7, 0
	s_waitcnt vmcnt(0)
	v_cvt_f16_f32_e32 v6, v5
.LBB185_1066:
	s_mov_b32 s8, 0
.LBB185_1067:
	s_delay_alu instid0(SALU_CYCLE_1)
	s_and_not1_b32 vcc_lo, exec_lo, s8
	s_cbranch_vccnz .LBB185_1069
; %bb.1068:
	global_load_u16 v6, v[1:2], off
	s_mov_b32 s7, 0
.LBB185_1069:
	s_delay_alu instid0(SALU_CYCLE_1)
	v_mov_b32_e32 v8, s7
.LBB185_1070:
	s_cbranch_execnz .LBB185_1090
.LBB185_1071:
	v_cmp_gt_i16_e32 vcc_lo, 2, v4
	s_cbranch_vccnz .LBB185_1075
; %bb.1072:
	v_cmp_gt_i16_e32 vcc_lo, 3, v4
	s_cbranch_vccnz .LBB185_1076
; %bb.1073:
	v_cmp_lt_i16_e32 vcc_lo, 3, v4
	s_cbranch_vccz .LBB185_1077
; %bb.1074:
	global_load_b64 v[5:6], v[1:2], off
	s_mov_b32 s8, 0
	s_mov_b32 s7, 0
	s_waitcnt vmcnt(0)
	v_xor_b32_e32 v7, v5, v6
	v_cls_i32_e32 v8, v6
	s_delay_alu instid0(VALU_DEP_2) | instskip(NEXT) | instid1(VALU_DEP_2)
	v_ashrrev_i32_e32 v7, 31, v7
	v_add_nc_u32_e32 v8, -1, v8
	s_delay_alu instid0(VALU_DEP_2) | instskip(NEXT) | instid1(VALU_DEP_1)
	v_add_nc_u32_e32 v7, 32, v7
	v_min_u32_e32 v7, v8, v7
	s_delay_alu instid0(VALU_DEP_1) | instskip(NEXT) | instid1(VALU_DEP_1)
	v_lshlrev_b64 v[5:6], v7, v[5:6]
	v_min_u32_e32 v5, 1, v5
	s_delay_alu instid0(VALU_DEP_1) | instskip(SKIP_1) | instid1(VALU_DEP_2)
	v_or_b32_e32 v5, v6, v5
	v_sub_nc_u32_e32 v6, 32, v7
	v_cvt_f32_i32_e32 v5, v5
	s_delay_alu instid0(VALU_DEP_1) | instskip(NEXT) | instid1(VALU_DEP_1)
	v_ldexp_f32 v5, v5, v6
	v_cvt_f16_f32_e32 v6, v5
	s_branch .LBB185_1078
.LBB185_1075:
                                        ; implicit-def: $sgpr7
                                        ; implicit-def: $vgpr6
	s_branch .LBB185_1084
.LBB185_1076:
	s_mov_b32 s8, -1
                                        ; implicit-def: $sgpr7
                                        ; implicit-def: $vgpr6
	s_branch .LBB185_1081
.LBB185_1077:
	s_mov_b32 s8, -1
                                        ; implicit-def: $sgpr7
                                        ; implicit-def: $vgpr6
.LBB185_1078:
	s_delay_alu instid0(SALU_CYCLE_1)
	s_and_not1_b32 vcc_lo, exec_lo, s8
	s_cbranch_vccnz .LBB185_1080
; %bb.1079:
	global_load_b32 v5, v[1:2], off
	s_mov_b32 s7, 0
	s_waitcnt vmcnt(0)
	v_cvt_f32_i32_e32 v5, v5
	s_delay_alu instid0(VALU_DEP_1)
	v_cvt_f16_f32_e32 v6, v5
.LBB185_1080:
	s_mov_b32 s8, 0
.LBB185_1081:
	s_delay_alu instid0(SALU_CYCLE_1)
	s_and_not1_b32 vcc_lo, exec_lo, s8
	s_cbranch_vccnz .LBB185_1083
; %bb.1082:
	global_load_u16 v5, v[1:2], off
	s_mov_b32 s7, 0
	s_waitcnt vmcnt(0)
	v_cvt_f16_i16_e32 v6, v5
.LBB185_1083:
	s_cbranch_execnz .LBB185_1089
.LBB185_1084:
	v_cmp_lt_i16_e32 vcc_lo, 0, v4
	s_mov_b32 s8, 0
	s_cbranch_vccz .LBB185_1086
; %bb.1085:
	global_load_i8 v4, v[1:2], off
	s_mov_b32 s7, 0
	s_waitcnt vmcnt(0)
	v_cvt_f16_i16_e32 v6, v4
	s_branch .LBB185_1087
.LBB185_1086:
	s_mov_b32 s8, -1
                                        ; implicit-def: $sgpr7
                                        ; implicit-def: $vgpr6
.LBB185_1087:
	s_delay_alu instid0(SALU_CYCLE_1)
	s_and_not1_b32 vcc_lo, exec_lo, s8
	s_cbranch_vccnz .LBB185_1089
; %bb.1088:
	global_load_u8 v1, v[1:2], off
	s_mov_b32 s7, 0
	s_waitcnt vmcnt(0)
	v_cvt_f16_u16_e32 v6, v1
.LBB185_1089:
	v_mov_b32_e32 v8, s7
.LBB185_1090:
	s_or_b32 s2, s2, exec_lo
.LBB185_1091:
	s_or_b32 exec_lo, exec_lo, s3
	s_mov_b32 s8, 0
	s_mov_b32 s3, 0
                                        ; implicit-def: $vgpr5
                                        ; implicit-def: $vgpr1_vgpr2
                                        ; implicit-def: $vgpr9
                                        ; implicit-def: $vgpr7
                                        ; implicit-def: $vgpr4
	s_and_saveexec_b32 s7, s2
	s_cbranch_execz .LBB185_1206
; %bb.1092:
	s_waitcnt vmcnt(0)
	v_cmp_neq_f16_e32 vcc_lo, 0, v6
	v_cmp_neq_f16_e64 s2, 0, v8
	v_cvt_f32_f16_e32 v1, v8
	v_mov_b32_e32 v2, 0
	s_delay_alu instid0(VALU_DEP_3) | instskip(NEXT) | instid1(SALU_CYCLE_1)
	s_or_b32 s2, vcc_lo, s2
	s_and_saveexec_b32 s8, s2
	s_cbranch_execz .LBB185_1122
; %bb.1093:
	v_mov_b32_e32 v2, 0x7f800000
	s_mov_b32 s9, exec_lo
	v_cmpx_neq_f32_e64 0x7f800000, |v1|
	s_cbranch_execz .LBB185_1121
; %bb.1094:
	v_cvt_f32_f16_e32 v2, v6
	s_mov_b32 s2, exec_lo
	v_cmpx_o_f16_e32 v6, v6
	s_xor_b32 s10, exec_lo, s2
	s_cbranch_execz .LBB185_1118
; %bb.1095:
	s_mov_b32 s3, exec_lo
	v_cmpx_neq_f32_e64 0x7f800000, |v2|
	s_xor_b32 s11, exec_lo, s3
	s_cbranch_execz .LBB185_1111
; %bb.1096:
	v_max_f32_e64 v4, |v1|, |v1|
	v_max_f32_e64 v5, |v2|, |v2|
                                        ; implicit-def: $sgpr12
	s_delay_alu instid0(VALU_DEP_1) | instskip(NEXT) | instid1(VALU_DEP_1)
	v_max_f32_e32 v4, v5, v4
	v_cmp_nle_f32_e64 s2, 0x7ed413cb, v4
	s_delay_alu instid0(VALU_DEP_1) | instskip(NEXT) | instid1(SALU_CYCLE_1)
	s_and_saveexec_b32 s3, s2
	s_xor_b32 s3, exec_lo, s3
	s_cbranch_execz .LBB185_1100
; %bb.1097:
	v_cmp_ge_f32_e64 s12, 0x1000000, |v2|
	v_cmp_ge_f32_e64 s13, 0x1000000, |v1|
	s_delay_alu instid0(VALU_DEP_1)
	s_and_b32 s14, s12, s13
	s_mov_b32 s12, 0
	s_and_saveexec_b32 s13, s14
; %bb.1098:
	v_dual_mul_f32 v1, 4.0, v1 :: v_dual_mul_f32 v2, 4.0, v2
	s_mov_b32 s12, exec_lo
; %bb.1099:
	s_or_b32 exec_lo, exec_lo, s13
	s_delay_alu instid0(SALU_CYCLE_1)
	s_and_b32 s12, s12, exec_lo
.LBB185_1100:
	s_and_not1_saveexec_b32 s3, s3
; %bb.1101:
	v_dual_mul_f32 v2, 0x3e800000, v2 :: v_dual_mul_f32 v1, 0x3e800000, v1
	s_and_not1_b32 s12, s12, exec_lo
; %bb.1102:
	s_or_b32 exec_lo, exec_lo, s3
	s_delay_alu instid0(VALU_DEP_1) | instskip(NEXT) | instid1(VALU_DEP_2)
	v_max_f32_e64 v4, |v1|, |v1|
	v_max_f32_e64 v5, |v2|, |v2|
	s_delay_alu instid0(VALU_DEP_1) | instskip(NEXT) | instid1(VALU_DEP_1)
	v_max_f32_e32 v6, v5, v4
	v_cvt_f64_f32_e32 v[4:5], v6
	s_delay_alu instid0(VALU_DEP_1) | instskip(NEXT) | instid1(VALU_DEP_1)
	v_frexp_exp_i32_f64_e32 v4, v[4:5]
	v_sub_nc_u32_e32 v5, 0, v4
	s_delay_alu instid0(VALU_DEP_1) | instskip(SKIP_1) | instid1(VALU_DEP_2)
	v_ldexp_f32 v7, |v1|, v5
	v_ldexp_f32 v5, |v2|, v5
	v_mul_f32_e32 v7, v7, v7
	v_cmp_neq_f32_e64 s3, 0x7f800000, v6
	s_delay_alu instid0(VALU_DEP_2) | instskip(NEXT) | instid1(VALU_DEP_1)
	v_fmac_f32_e32 v7, v5, v5
	v_sqrt_f32_e32 v5, v7
	s_waitcnt_depctr 0xfff
	v_ldexp_f32 v4, v5, v4
                                        ; implicit-def: $vgpr5
	s_delay_alu instid0(VALU_DEP_1)
	v_cndmask_b32_e64 v6, 0x7f800000, v4, s3
                                        ; implicit-def: $vgpr4
	s_mov_b32 s3, exec_lo
	v_cmpx_le_f32_e32 0, v2
	s_xor_b32 s13, exec_lo, s3
	s_cbranch_execz .LBB185_1104
; %bb.1103:
	v_add_f32_e32 v2, v2, v6
	s_delay_alu instid0(VALU_DEP_1) | instskip(NEXT) | instid1(VALU_DEP_1)
	v_mul_f32_e32 v2, 0.5, v2
	v_mul_f32_e32 v4, 0x4f800000, v2
	v_cmp_gt_f32_e32 vcc_lo, 0xf800000, v2
	s_delay_alu instid0(VALU_DEP_2) | instskip(NEXT) | instid1(VALU_DEP_1)
	v_cndmask_b32_e32 v2, v2, v4, vcc_lo
	v_sqrt_f32_e32 v4, v2
	s_waitcnt_depctr 0xfff
	v_add_nc_u32_e32 v5, -1, v4
	v_add_nc_u32_e32 v6, 1, v4
	s_delay_alu instid0(VALU_DEP_2) | instskip(NEXT) | instid1(VALU_DEP_2)
	v_fma_f32 v7, -v5, v4, v2
	v_fma_f32 v8, -v6, v4, v2
	s_delay_alu instid0(VALU_DEP_2) | instskip(NEXT) | instid1(VALU_DEP_1)
	v_cmp_ge_f32_e64 s3, 0, v7
	v_cndmask_b32_e64 v4, v4, v5, s3
	s_delay_alu instid0(VALU_DEP_3) | instskip(NEXT) | instid1(VALU_DEP_1)
	v_cmp_lt_f32_e64 s3, 0, v8
	v_cndmask_b32_e64 v4, v4, v6, s3
	s_delay_alu instid0(VALU_DEP_1) | instskip(NEXT) | instid1(VALU_DEP_1)
	v_mul_f32_e32 v5, 0x37800000, v4
	v_cndmask_b32_e32 v4, v4, v5, vcc_lo
	v_cmp_class_f32_e64 vcc_lo, v2, 0x260
	s_delay_alu instid0(VALU_DEP_2) | instskip(NEXT) | instid1(VALU_DEP_1)
	v_cndmask_b32_e32 v4, v4, v2, vcc_lo
	v_add_f32_e32 v2, v4, v4
	s_delay_alu instid0(VALU_DEP_1) | instskip(NEXT) | instid1(VALU_DEP_1)
	v_div_scale_f32 v5, null, v2, v2, v1
	v_rcp_f32_e32 v6, v5
	s_waitcnt_depctr 0xfff
	v_fma_f32 v7, -v5, v6, 1.0
	s_delay_alu instid0(VALU_DEP_1) | instskip(SKIP_1) | instid1(VALU_DEP_1)
	v_fmac_f32_e32 v6, v7, v6
	v_div_scale_f32 v7, vcc_lo, v1, v2, v1
	v_mul_f32_e32 v8, v7, v6
	s_delay_alu instid0(VALU_DEP_1) | instskip(NEXT) | instid1(VALU_DEP_1)
	v_fma_f32 v9, -v5, v8, v7
	v_fmac_f32_e32 v8, v9, v6
	s_delay_alu instid0(VALU_DEP_1) | instskip(NEXT) | instid1(VALU_DEP_1)
	v_fma_f32 v5, -v5, v8, v7
	v_div_fmas_f32 v5, v5, v6, v8
                                        ; implicit-def: $vgpr6
	s_delay_alu instid0(VALU_DEP_1)
	v_div_fixup_f32 v5, v5, v2, v1
                                        ; implicit-def: $vgpr2
                                        ; implicit-def: $vgpr1
	s_and_not1_saveexec_b32 s13, s13
	s_cbranch_execz .LBB185_1106
	s_branch .LBB185_1105
.LBB185_1104:
	s_and_not1_saveexec_b32 s13, s13
	s_cbranch_execz .LBB185_1106
.LBB185_1105:
	v_sub_f32_e32 v2, v6, v2
	s_delay_alu instid0(VALU_DEP_1) | instskip(NEXT) | instid1(VALU_DEP_1)
	v_mul_f32_e32 v2, 0.5, v2
	v_mul_f32_e32 v4, 0x4f800000, v2
	v_cmp_gt_f32_e32 vcc_lo, 0xf800000, v2
	s_delay_alu instid0(VALU_DEP_2) | instskip(NEXT) | instid1(VALU_DEP_1)
	v_cndmask_b32_e32 v2, v2, v4, vcc_lo
	v_sqrt_f32_e32 v4, v2
	s_waitcnt_depctr 0xfff
	v_add_nc_u32_e32 v5, -1, v4
	v_add_nc_u32_e32 v6, 1, v4
	s_delay_alu instid0(VALU_DEP_2) | instskip(NEXT) | instid1(VALU_DEP_2)
	v_fma_f32 v7, -v5, v4, v2
	v_fma_f32 v8, -v6, v4, v2
	s_delay_alu instid0(VALU_DEP_2) | instskip(NEXT) | instid1(VALU_DEP_1)
	v_cmp_ge_f32_e64 s3, 0, v7
	v_cndmask_b32_e64 v4, v4, v5, s3
	s_delay_alu instid0(VALU_DEP_3) | instskip(NEXT) | instid1(VALU_DEP_1)
	v_cmp_lt_f32_e64 s3, 0, v8
	v_cndmask_b32_e64 v4, v4, v6, s3
	s_delay_alu instid0(VALU_DEP_1) | instskip(NEXT) | instid1(VALU_DEP_1)
	v_mul_f32_e32 v5, 0x37800000, v4
	v_cndmask_b32_e32 v4, v4, v5, vcc_lo
	v_cmp_class_f32_e64 vcc_lo, v2, 0x260
	s_delay_alu instid0(VALU_DEP_2) | instskip(NEXT) | instid1(VALU_DEP_1)
	v_cndmask_b32_e32 v2, v4, v2, vcc_lo
	v_dual_add_f32 v5, v2, v2 :: v_dual_and_b32 v4, 0x7fffffff, v1
	s_delay_alu instid0(VALU_DEP_1) | instskip(SKIP_1) | instid1(VALU_DEP_2)
	v_div_scale_f32 v6, null, v5, v5, v4
	v_div_scale_f32 v4, vcc_lo, v4, v5, v4
	v_rcp_f32_e32 v7, v6
	s_waitcnt_depctr 0xfff
	v_fma_f32 v8, -v6, v7, 1.0
	s_delay_alu instid0(VALU_DEP_1) | instskip(NEXT) | instid1(VALU_DEP_1)
	v_fmac_f32_e32 v7, v8, v7
	v_mul_f32_e32 v8, v4, v7
	s_delay_alu instid0(VALU_DEP_1) | instskip(NEXT) | instid1(VALU_DEP_1)
	v_fma_f32 v9, -v6, v8, v4
	v_fmac_f32_e32 v8, v9, v7
	s_delay_alu instid0(VALU_DEP_1) | instskip(NEXT) | instid1(VALU_DEP_1)
	v_fma_f32 v4, -v6, v8, v4
	v_div_fmas_f32 v4, v4, v7, v8
	s_delay_alu instid0(VALU_DEP_1)
	v_div_fixup_f32 v4, v4, v5, |v1|
	v_bfi_b32 v5, 0x7fffffff, v2, v1
.LBB185_1106:
	s_or_b32 exec_lo, exec_lo, s13
                                        ; implicit-def: $vgpr1
                                        ; implicit-def: $vgpr2
	s_and_saveexec_b32 s3, s2
	s_delay_alu instid0(SALU_CYCLE_1)
	s_xor_b32 s2, exec_lo, s3
	s_cbranch_execz .LBB185_1108
; %bb.1107:
	v_dual_mul_f32 v1, 0.5, v4 :: v_dual_mul_f32 v6, 0.5, v5
	s_delay_alu instid0(VALU_DEP_1) | instskip(NEXT) | instid1(VALU_DEP_2)
	v_cndmask_b32_e64 v2, v4, v1, s12
	v_cndmask_b32_e64 v1, v5, v6, s12
                                        ; implicit-def: $vgpr4
                                        ; implicit-def: $vgpr5
	s_and_not1_saveexec_b32 s2, s2
	s_cbranch_execnz .LBB185_1109
	s_branch .LBB185_1110
.LBB185_1108:
	s_and_not1_saveexec_b32 s2, s2
.LBB185_1109:
	v_dual_add_f32 v2, v4, v4 :: v_dual_add_f32 v1, v5, v5
.LBB185_1110:
	s_or_b32 exec_lo, exec_lo, s2
                                        ; implicit-def: $vgpr6
.LBB185_1111:
	s_and_not1_saveexec_b32 s2, s11
	s_cbranch_execz .LBB185_1117
; %bb.1112:
	s_delay_alu instid0(VALU_DEP_1)
	v_sub_f32_e32 v4, v1, v1
	s_mov_b32 s3, exec_lo
	v_cmpx_lt_i16_e32 -1, v6
	s_xor_b32 s3, exec_lo, s3
; %bb.1113:
	s_delay_alu instid0(VALU_DEP_2)
	v_bfi_b32 v1, 0x7fffffff, v4, v1
                                        ; implicit-def: $vgpr4
; %bb.1114:
	s_and_not1_saveexec_b32 s3, s3
; %bb.1115:
	v_and_b32_e32 v4, 0x7fffffff, v4
	s_delay_alu instid0(VALU_DEP_2) | instskip(NEXT) | instid1(VALU_DEP_2)
	v_bfi_b32 v1, 0x7fffffff, v2, v1
	v_mov_b32_e32 v2, v4
; %bb.1116:
	s_or_b32 exec_lo, exec_lo, s3
.LBB185_1117:
	s_delay_alu instid0(SALU_CYCLE_1)
	s_or_b32 exec_lo, exec_lo, s2
.LBB185_1118:
	s_and_not1_saveexec_b32 s2, s10
; %bb.1119:
	v_sub_f32_e32 v1, v1, v1
	s_delay_alu instid0(VALU_DEP_1) | instskip(NEXT) | instid1(VALU_DEP_1)
	v_div_scale_f32 v4, vcc_lo, v1, v1, v1
	v_rcp_f32_e32 v5, v4
	s_waitcnt_depctr 0xfff
	v_fma_f32 v6, -v4, v5, 1.0
	s_delay_alu instid0(VALU_DEP_1) | instskip(NEXT) | instid1(VALU_DEP_1)
	v_fmac_f32_e32 v5, v6, v5
	v_mul_f32_e32 v6, v4, v5
	s_delay_alu instid0(VALU_DEP_1) | instskip(NEXT) | instid1(VALU_DEP_1)
	v_fma_f32 v7, -v4, v6, v4
	v_fmac_f32_e32 v6, v7, v5
	s_delay_alu instid0(VALU_DEP_1) | instskip(NEXT) | instid1(VALU_DEP_1)
	v_fma_f32 v4, -v4, v6, v4
	v_div_fmas_f32 v4, v4, v5, v6
	s_delay_alu instid0(VALU_DEP_1)
	v_div_fixup_f32 v1, v4, v1, v1
; %bb.1120:
	s_or_b32 exec_lo, exec_lo, s2
.LBB185_1121:
	s_delay_alu instid0(SALU_CYCLE_1)
	s_or_b32 exec_lo, exec_lo, s9
.LBB185_1122:
	s_delay_alu instid0(SALU_CYCLE_1)
	s_or_b32 exec_lo, exec_lo, s8
	v_cmp_gt_f32_e32 vcc_lo, 0, v2
                                        ; implicit-def: $vgpr7
                                        ; implicit-def: $vgpr6
	s_mov_b32 s2, exec_lo
	v_cndmask_b32_e64 v4, v2, -v2, vcc_lo
	v_cmp_gt_f32_e32 vcc_lo, 0, v1
	v_cndmask_b32_e64 v5, v1, -v1, vcc_lo
	s_delay_alu instid0(VALU_DEP_1)
	v_cmpx_ge_f32_e32 v4, v5
	s_xor_b32 s3, exec_lo, s2
	s_cbranch_execz .LBB185_1128
; %bb.1123:
	v_cmp_neq_f32_e32 vcc_lo, 0, v2
	v_cmp_neq_f32_e64 s2, 0, v1
                                        ; implicit-def: $vgpr7
                                        ; implicit-def: $vgpr6
	s_delay_alu instid0(VALU_DEP_1) | instskip(NEXT) | instid1(SALU_CYCLE_1)
	s_or_b32 s2, vcc_lo, s2
	s_and_saveexec_b32 s8, s2
	s_delay_alu instid0(SALU_CYCLE_1)
	s_xor_b32 s2, exec_lo, s8
	s_cbranch_execz .LBB185_1125
; %bb.1124:
	v_div_scale_f32 v4, null, v2, v2, v1
	v_div_scale_f32 v7, vcc_lo, v1, v2, v1
	s_delay_alu instid0(VALU_DEP_2) | instskip(SKIP_2) | instid1(VALU_DEP_1)
	v_rcp_f32_e32 v5, v4
	s_waitcnt_depctr 0xfff
	v_fma_f32 v6, -v4, v5, 1.0
	v_fmac_f32_e32 v5, v6, v5
	s_delay_alu instid0(VALU_DEP_1) | instskip(NEXT) | instid1(VALU_DEP_1)
	v_mul_f32_e32 v6, v7, v5
	v_fma_f32 v8, -v4, v6, v7
	s_delay_alu instid0(VALU_DEP_1) | instskip(NEXT) | instid1(VALU_DEP_1)
	v_fmac_f32_e32 v6, v8, v5
	v_fma_f32 v4, -v4, v6, v7
	s_delay_alu instid0(VALU_DEP_1) | instskip(NEXT) | instid1(VALU_DEP_1)
	v_div_fmas_f32 v4, v4, v5, v6
	v_div_fixup_f32 v4, v4, v2, v1
	s_delay_alu instid0(VALU_DEP_1) | instskip(NEXT) | instid1(VALU_DEP_1)
	v_fmac_f32_e32 v2, v1, v4
	v_div_scale_f32 v1, null, v2, v2, 1.0
	v_div_scale_f32 v7, vcc_lo, 1.0, v2, 1.0
	s_delay_alu instid0(VALU_DEP_2) | instskip(SKIP_2) | instid1(VALU_DEP_1)
	v_rcp_f32_e32 v5, v1
	s_waitcnt_depctr 0xfff
	v_fma_f32 v6, -v1, v5, 1.0
	v_fmac_f32_e32 v5, v6, v5
	s_delay_alu instid0(VALU_DEP_1) | instskip(NEXT) | instid1(VALU_DEP_1)
	v_mul_f32_e32 v6, v7, v5
	v_fma_f32 v8, -v1, v6, v7
	s_delay_alu instid0(VALU_DEP_1) | instskip(NEXT) | instid1(VALU_DEP_1)
	v_fmac_f32_e32 v6, v8, v5
	v_fma_f32 v1, -v1, v6, v7
	s_delay_alu instid0(VALU_DEP_1) | instskip(SKIP_1) | instid1(VALU_DEP_2)
	v_div_fmas_f32 v1, v1, v5, v6
	v_fma_f32 v5, v4, 0, 1.0
	v_div_fixup_f32 v1, v1, v2, 1.0
	s_delay_alu instid0(VALU_DEP_1)
	v_mul_f32_e32 v6, v5, v1
	v_mul_f32_e64 v7, -v4, v1
                                        ; implicit-def: $vgpr4
                                        ; implicit-def: $vgpr5
.LBB185_1125:
	s_and_not1_saveexec_b32 s8, s2
	s_cbranch_execz .LBB185_1127
; %bb.1126:
	v_div_scale_f32 v1, null, v4, v4, 1.0
	v_div_scale_f32 v2, null, v5, v5, 0
	v_div_scale_f32 v10, vcc_lo, 1.0, v4, 1.0
	s_delay_alu instid0(VALU_DEP_3) | instskip(NEXT) | instid1(VALU_DEP_2)
	v_rcp_f32_e32 v6, v1
	v_rcp_f32_e32 v7, v2
	s_waitcnt_depctr 0xfff
	v_fma_f32 v8, -v1, v6, 1.0
	v_fma_f32 v9, -v2, v7, 1.0
	s_delay_alu instid0(VALU_DEP_1) | instskip(SKIP_1) | instid1(VALU_DEP_2)
	v_dual_fmac_f32 v6, v8, v6 :: v_dual_fmac_f32 v7, v9, v7
	v_div_scale_f32 v8, s2, 0, v5, 0
	v_mul_f32_e32 v9, v10, v6
	s_delay_alu instid0(VALU_DEP_2) | instskip(NEXT) | instid1(VALU_DEP_2)
	v_mul_f32_e32 v11, v8, v7
	v_fma_f32 v12, -v1, v9, v10
	s_delay_alu instid0(VALU_DEP_2) | instskip(NEXT) | instid1(VALU_DEP_2)
	v_fma_f32 v13, -v2, v11, v8
	v_fmac_f32_e32 v9, v12, v6
	s_delay_alu instid0(VALU_DEP_2) | instskip(NEXT) | instid1(VALU_DEP_2)
	v_fmac_f32_e32 v11, v13, v7
	v_fma_f32 v1, -v1, v9, v10
	s_delay_alu instid0(VALU_DEP_2) | instskip(NEXT) | instid1(VALU_DEP_2)
	v_fma_f32 v2, -v2, v11, v8
	v_div_fmas_f32 v1, v1, v6, v9
	s_mov_b32 vcc_lo, s2
	s_delay_alu instid0(VALU_DEP_2) | instskip(NEXT) | instid1(VALU_DEP_2)
	v_div_fmas_f32 v2, v2, v7, v11
	v_div_fixup_f32 v6, v1, v4, 1.0
	s_delay_alu instid0(VALU_DEP_2)
	v_div_fixup_f32 v7, v2, v5, 0
.LBB185_1127:
	s_or_b32 exec_lo, exec_lo, s8
                                        ; implicit-def: $vgpr1
                                        ; implicit-def: $vgpr2
.LBB185_1128:
	s_and_not1_saveexec_b32 s2, s3
	s_cbranch_execz .LBB185_1130
; %bb.1129:
	v_div_scale_f32 v4, null, v1, v1, v2
	v_div_scale_f32 v7, vcc_lo, v2, v1, v2
	s_delay_alu instid0(VALU_DEP_2) | instskip(SKIP_2) | instid1(VALU_DEP_1)
	v_rcp_f32_e32 v5, v4
	s_waitcnt_depctr 0xfff
	v_fma_f32 v6, -v4, v5, 1.0
	v_fmac_f32_e32 v5, v6, v5
	s_delay_alu instid0(VALU_DEP_1) | instskip(NEXT) | instid1(VALU_DEP_1)
	v_mul_f32_e32 v6, v7, v5
	v_fma_f32 v8, -v4, v6, v7
	s_delay_alu instid0(VALU_DEP_1) | instskip(NEXT) | instid1(VALU_DEP_1)
	v_fmac_f32_e32 v6, v8, v5
	v_fma_f32 v4, -v4, v6, v7
	s_delay_alu instid0(VALU_DEP_1) | instskip(NEXT) | instid1(VALU_DEP_1)
	v_div_fmas_f32 v4, v4, v5, v6
	v_div_fixup_f32 v4, v4, v1, v2
	s_delay_alu instid0(VALU_DEP_1) | instskip(NEXT) | instid1(VALU_DEP_1)
	v_fmac_f32_e32 v1, v2, v4
	v_div_scale_f32 v2, null, v1, v1, 1.0
	v_div_scale_f32 v7, vcc_lo, 1.0, v1, 1.0
	s_delay_alu instid0(VALU_DEP_2) | instskip(SKIP_2) | instid1(VALU_DEP_1)
	v_rcp_f32_e32 v5, v2
	s_waitcnt_depctr 0xfff
	v_fma_f32 v6, -v2, v5, 1.0
	v_fmac_f32_e32 v5, v6, v5
	s_delay_alu instid0(VALU_DEP_1) | instskip(NEXT) | instid1(VALU_DEP_1)
	v_mul_f32_e32 v6, v7, v5
	v_fma_f32 v8, -v2, v6, v7
	s_delay_alu instid0(VALU_DEP_1) | instskip(NEXT) | instid1(VALU_DEP_1)
	v_fmac_f32_e32 v6, v8, v5
	v_fma_f32 v2, -v2, v6, v7
	s_delay_alu instid0(VALU_DEP_1) | instskip(SKIP_1) | instid1(VALU_DEP_2)
	v_div_fmas_f32 v2, v2, v5, v6
	v_add_f32_e32 v5, 0, v4
	v_div_fixup_f32 v1, v2, v1, 1.0
	v_fma_f32 v2, v4, 0, -1.0
	s_delay_alu instid0(VALU_DEP_2) | instskip(NEXT) | instid1(VALU_DEP_2)
	v_mul_f32_e32 v6, v5, v1
	v_mul_f32_e32 v7, v2, v1
.LBB185_1130:
	s_or_b32 exec_lo, exec_lo, s2
	v_and_b32_e32 v5, 0xff, v3
	s_delay_alu instid0(VALU_DEP_2) | instskip(SKIP_2) | instid1(VALU_DEP_4)
	v_cvt_f16_f32_e32 v7, v7
	v_cvt_f16_f32_e32 v4, v6
	v_add_co_u32 v1, s2, s4, v0
	v_cmp_gt_i16_e32 vcc_lo, 11, v5
	s_delay_alu instid0(VALU_DEP_4) | instskip(NEXT) | instid1(VALU_DEP_4)
	v_lshlrev_b32_e32 v3, 16, v7
	v_and_b32_e32 v6, 0xffff, v4
	v_add_co_ci_u32_e64 v2, null, s5, 0, s2
	s_mov_b32 s8, 0
	s_mov_b32 s3, -1
	s_mov_b32 s2, s34
	s_cbranch_vccnz .LBB185_1205
; %bb.1131:
	v_cmp_lt_i16_e32 vcc_lo, 25, v5
	s_mov_b32 s2, s34
	s_cbranch_vccz .LBB185_1164
; %bb.1132:
	v_cmp_lt_i16_e32 vcc_lo, 28, v5
	s_mov_b32 s2, s34
	s_cbranch_vccz .LBB185_1148
	;; [unrolled: 4-line block ×4, first 2 shown]
; %bb.1135:
	v_cmp_eq_u16_e32 vcc_lo, 46, v5
	s_mov_b32 s2, -1
	s_cbranch_vccz .LBB185_1137
; %bb.1136:
	v_cvt_f32_f16_e32 v0, v7
	v_cvt_f32_f16_e32 v8, v4
	v_cmp_o_f16_e32 vcc_lo, v7, v7
	s_mov_b32 s2, 0
	s_delay_alu instid0(VALU_DEP_3) | instskip(NEXT) | instid1(VALU_DEP_3)
	v_bfe_u32 v9, v0, 16, 1
	v_bfe_u32 v10, v8, 16, 1
	s_delay_alu instid0(VALU_DEP_2) | instskip(NEXT) | instid1(VALU_DEP_2)
	v_add3_u32 v0, v0, v9, 0x7fff
	v_add3_u32 v8, v8, v10, 0x7fff
	s_delay_alu instid0(VALU_DEP_2) | instskip(NEXT) | instid1(VALU_DEP_2)
	v_and_b32_e32 v0, 0xffff0000, v0
	v_lshrrev_b32_e32 v8, 16, v8
	s_delay_alu instid0(VALU_DEP_2) | instskip(SKIP_1) | instid1(VALU_DEP_3)
	v_cndmask_b32_e32 v0, 0x7fc00000, v0, vcc_lo
	v_cmp_o_f16_e32 vcc_lo, v4, v4
	v_cndmask_b32_e32 v8, 0x7fc0, v8, vcc_lo
	s_delay_alu instid0(VALU_DEP_1)
	v_or_b32_e32 v0, v0, v8
	global_store_b32 v[1:2], v0, off
.LBB185_1137:
	s_mov_b32 s3, 0
.LBB185_1138:
	s_delay_alu instid0(SALU_CYCLE_1)
	s_and_b32 vcc_lo, exec_lo, s3
	s_cbranch_vccz .LBB185_1143
; %bb.1139:
	v_cmp_eq_u16_e32 vcc_lo, 44, v5
	s_mov_b32 s2, -1
	s_cbranch_vccz .LBB185_1143
; %bb.1140:
	v_cvt_f32_f16_e32 v0, v4
	v_mov_b32_e32 v8, 0xff
	s_mov_b32 s3, exec_lo
	s_delay_alu instid0(VALU_DEP_2) | instskip(NEXT) | instid1(VALU_DEP_1)
	v_bfe_u32 v9, v0, 23, 8
	v_cmpx_ne_u32_e32 0xff, v9
; %bb.1141:
	v_and_b32_e32 v8, 0x400000, v0
	v_and_or_b32 v9, 0x3fffff, v0, v9
	v_lshrrev_b32_e32 v0, 23, v0
	s_delay_alu instid0(VALU_DEP_3) | instskip(NEXT) | instid1(VALU_DEP_3)
	v_cmp_ne_u32_e32 vcc_lo, 0, v8
	v_cmp_ne_u32_e64 s2, 0, v9
	s_delay_alu instid0(VALU_DEP_1) | instskip(NEXT) | instid1(SALU_CYCLE_1)
	s_and_b32 s2, vcc_lo, s2
	v_cndmask_b32_e64 v8, 0, 1, s2
	s_delay_alu instid0(VALU_DEP_1)
	v_add_nc_u32_e32 v8, v0, v8
; %bb.1142:
	s_or_b32 exec_lo, exec_lo, s3
	s_mov_b32 s2, 0
	global_store_b8 v[1:2], v8, off
.LBB185_1143:
	s_mov_b32 s3, 0
.LBB185_1144:
	s_delay_alu instid0(SALU_CYCLE_1)
	s_and_b32 vcc_lo, exec_lo, s3
	s_cbranch_vccz .LBB185_1147
; %bb.1145:
	v_cmp_eq_u16_e32 vcc_lo, 29, v5
	s_mov_b32 s2, -1
	s_cbranch_vccz .LBB185_1147
; %bb.1146:
	v_cvt_f32_f16_e32 v0, v4
	v_mov_b32_e32 v9, 0
	s_mov_b32 s2, 0
	s_delay_alu instid0(VALU_DEP_2)
	v_cvt_u32_f32_e32 v8, v0
	global_store_b64 v[1:2], v[8:9], off
.LBB185_1147:
	s_mov_b32 s3, 0
.LBB185_1148:
	s_delay_alu instid0(SALU_CYCLE_1)
	s_and_b32 vcc_lo, exec_lo, s3
	s_cbranch_vccz .LBB185_1163
; %bb.1149:
	v_cmp_gt_i16_e32 vcc_lo, 27, v5
	s_mov_b32 s3, -1
	s_cbranch_vccnz .LBB185_1155
; %bb.1150:
	v_cmp_lt_i16_e32 vcc_lo, 27, v5
	s_cbranch_vccz .LBB185_1152
; %bb.1151:
	v_cvt_f32_f16_e32 v0, v4
	s_mov_b32 s3, 0
	s_delay_alu instid0(VALU_DEP_1)
	v_cvt_u32_f32_e32 v0, v0
	global_store_b32 v[1:2], v0, off
.LBB185_1152:
	s_and_not1_b32 vcc_lo, exec_lo, s3
	s_cbranch_vccnz .LBB185_1154
; %bb.1153:
	v_cvt_u16_f16_e32 v0, v4
	global_store_b16 v[1:2], v0, off
.LBB185_1154:
	s_mov_b32 s3, 0
.LBB185_1155:
	s_delay_alu instid0(SALU_CYCLE_1)
	s_and_not1_b32 vcc_lo, exec_lo, s3
	s_cbranch_vccnz .LBB185_1163
; %bb.1156:
	v_cvt_f32_f16_e32 v0, v4
	v_mov_b32_e32 v9, 0x80
	s_mov_b32 s3, exec_lo
	s_delay_alu instid0(VALU_DEP_2) | instskip(NEXT) | instid1(VALU_DEP_1)
	v_and_b32_e32 v8, 0x7fffffff, v0
	v_cmpx_gt_u32_e32 0x43800000, v8
	s_cbranch_execz .LBB185_1162
; %bb.1157:
	v_cmp_lt_u32_e32 vcc_lo, 0x3bffffff, v8
	s_mov_b32 s4, 0
                                        ; implicit-def: $vgpr8
	s_and_saveexec_b32 s5, vcc_lo
	s_delay_alu instid0(SALU_CYCLE_1)
	s_xor_b32 s5, exec_lo, s5
	s_cbranch_execz .LBB185_1495
; %bb.1158:
	v_bfe_u32 v8, v0, 20, 1
	s_mov_b32 s4, exec_lo
	s_delay_alu instid0(VALU_DEP_1) | instskip(NEXT) | instid1(VALU_DEP_1)
	v_add3_u32 v8, v0, v8, 0x487ffff
	v_lshrrev_b32_e32 v8, 20, v8
	s_or_saveexec_b32 s5, s5
                                        ; implicit-def: $sgpr8
	s_delay_alu instid0(SALU_CYCLE_1)
	s_xor_b32 exec_lo, exec_lo, s5
	s_cbranch_execnz .LBB185_1496
.LBB185_1159:
	s_or_b32 exec_lo, exec_lo, s5
	v_mov_b32_e32 v9, s8
	s_and_saveexec_b32 s5, s4
.LBB185_1160:
	v_lshrrev_b32_e32 v0, 24, v0
	s_delay_alu instid0(VALU_DEP_1)
	v_and_or_b32 v9, 0x80, v0, v8
.LBB185_1161:
	s_or_b32 exec_lo, exec_lo, s5
.LBB185_1162:
	s_delay_alu instid0(SALU_CYCLE_1)
	s_or_b32 exec_lo, exec_lo, s3
	global_store_b8 v[1:2], v9, off
.LBB185_1163:
	s_mov_b32 s3, 0
.LBB185_1164:
	s_delay_alu instid0(SALU_CYCLE_1)
	s_and_b32 vcc_lo, exec_lo, s3
	s_mov_b32 s3, 0
	s_cbranch_vccz .LBB185_1204
; %bb.1165:
	v_cmp_lt_i16_e32 vcc_lo, 22, v5
	s_mov_b32 s4, -1
	s_cbranch_vccz .LBB185_1197
; %bb.1166:
	v_cmp_gt_i16_e32 vcc_lo, 24, v5
	s_cbranch_vccnz .LBB185_1186
; %bb.1167:
	v_cmp_lt_i16_e32 vcc_lo, 24, v5
	s_cbranch_vccz .LBB185_1175
; %bb.1168:
	v_cvt_f32_f16_e32 v0, v4
	v_mov_b32_e32 v9, 0x80
	s_mov_b32 s4, exec_lo
	s_delay_alu instid0(VALU_DEP_2) | instskip(NEXT) | instid1(VALU_DEP_1)
	v_and_b32_e32 v8, 0x7fffffff, v0
	v_cmpx_gt_u32_e32 0x47800000, v8
	s_cbranch_execz .LBB185_1174
; %bb.1169:
	v_cmp_lt_u32_e32 vcc_lo, 0x37ffffff, v8
	s_mov_b32 s5, 0
                                        ; implicit-def: $vgpr8
	s_and_saveexec_b32 s8, vcc_lo
	s_delay_alu instid0(SALU_CYCLE_1)
	s_xor_b32 s8, exec_lo, s8
	s_cbranch_execz .LBB185_1540
; %bb.1170:
	v_bfe_u32 v8, v0, 21, 1
	s_mov_b32 s5, exec_lo
	s_delay_alu instid0(VALU_DEP_1) | instskip(NEXT) | instid1(VALU_DEP_1)
	v_add3_u32 v8, v0, v8, 0x88fffff
	v_lshrrev_b32_e32 v8, 21, v8
	s_or_saveexec_b32 s8, s8
                                        ; implicit-def: $sgpr9
	s_delay_alu instid0(SALU_CYCLE_1)
	s_xor_b32 exec_lo, exec_lo, s8
	s_cbranch_execnz .LBB185_1541
.LBB185_1171:
	s_or_b32 exec_lo, exec_lo, s8
	v_mov_b32_e32 v9, s9
	s_and_saveexec_b32 s8, s5
.LBB185_1172:
	v_lshrrev_b32_e32 v0, 24, v0
	s_delay_alu instid0(VALU_DEP_1)
	v_and_or_b32 v9, 0x80, v0, v8
.LBB185_1173:
	s_or_b32 exec_lo, exec_lo, s8
.LBB185_1174:
	s_delay_alu instid0(SALU_CYCLE_1)
	s_or_b32 exec_lo, exec_lo, s4
	s_mov_b32 s4, 0
	global_store_b8 v[1:2], v9, off
.LBB185_1175:
	s_and_b32 vcc_lo, exec_lo, s4
	s_cbranch_vccz .LBB185_1185
; %bb.1176:
	v_cvt_f32_f16_e32 v0, v4
	s_mov_b32 s4, exec_lo
                                        ; implicit-def: $vgpr8
	s_delay_alu instid0(VALU_DEP_1) | instskip(NEXT) | instid1(VALU_DEP_1)
	v_and_b32_e32 v9, 0x7fffffff, v0
	v_cmpx_gt_u32_e32 0x43f00000, v9
	s_xor_b32 s4, exec_lo, s4
	s_cbranch_execz .LBB185_1182
; %bb.1177:
	s_mov_b32 s5, exec_lo
                                        ; implicit-def: $vgpr8
	v_cmpx_lt_u32_e32 0x3c7fffff, v9
	s_xor_b32 s5, exec_lo, s5
; %bb.1178:
	v_bfe_u32 v8, v0, 20, 1
	s_delay_alu instid0(VALU_DEP_1) | instskip(NEXT) | instid1(VALU_DEP_1)
	v_add3_u32 v8, v0, v8, 0x407ffff
	v_and_b32_e32 v9, 0xff00000, v8
	v_lshrrev_b32_e32 v8, 20, v8
	s_delay_alu instid0(VALU_DEP_2) | instskip(NEXT) | instid1(VALU_DEP_2)
	v_cmp_ne_u32_e32 vcc_lo, 0x7f00000, v9
	v_cndmask_b32_e32 v8, 0x7e, v8, vcc_lo
; %bb.1179:
	s_and_not1_saveexec_b32 s5, s5
; %bb.1180:
	v_add_f32_e64 v8, 0x46800000, |v0|
; %bb.1181:
	s_or_b32 exec_lo, exec_lo, s5
                                        ; implicit-def: $vgpr9
.LBB185_1182:
	s_and_not1_saveexec_b32 s4, s4
; %bb.1183:
	v_mov_b32_e32 v8, 0x7f
	v_cmp_lt_u32_e32 vcc_lo, 0x7f800000, v9
	s_delay_alu instid0(VALU_DEP_2)
	v_cndmask_b32_e32 v8, 0x7e, v8, vcc_lo
; %bb.1184:
	s_or_b32 exec_lo, exec_lo, s4
	v_lshrrev_b32_e32 v0, 24, v0
	s_delay_alu instid0(VALU_DEP_1)
	v_and_or_b32 v0, 0x80, v0, v8
	global_store_b8 v[1:2], v0, off
.LBB185_1185:
	s_mov_b32 s4, 0
.LBB185_1186:
	s_delay_alu instid0(SALU_CYCLE_1)
	s_and_not1_b32 vcc_lo, exec_lo, s4
	s_cbranch_vccnz .LBB185_1196
; %bb.1187:
	v_cvt_f32_f16_e32 v0, v4
	s_mov_b32 s4, exec_lo
                                        ; implicit-def: $vgpr8
	s_delay_alu instid0(VALU_DEP_1) | instskip(NEXT) | instid1(VALU_DEP_1)
	v_and_b32_e32 v9, 0x7fffffff, v0
	v_cmpx_gt_u32_e32 0x47800000, v9
	s_xor_b32 s4, exec_lo, s4
	s_cbranch_execz .LBB185_1193
; %bb.1188:
	s_mov_b32 s5, exec_lo
                                        ; implicit-def: $vgpr8
	v_cmpx_lt_u32_e32 0x387fffff, v9
	s_xor_b32 s5, exec_lo, s5
; %bb.1189:
	v_bfe_u32 v8, v0, 21, 1
	s_delay_alu instid0(VALU_DEP_1) | instskip(NEXT) | instid1(VALU_DEP_1)
	v_add3_u32 v8, v0, v8, 0x80fffff
	v_lshrrev_b32_e32 v8, 21, v8
; %bb.1190:
	s_and_not1_saveexec_b32 s5, s5
; %bb.1191:
	v_add_f32_e64 v8, 0x43000000, |v0|
; %bb.1192:
	s_or_b32 exec_lo, exec_lo, s5
                                        ; implicit-def: $vgpr9
.LBB185_1193:
	s_and_not1_saveexec_b32 s4, s4
; %bb.1194:
	v_mov_b32_e32 v8, 0x7f
	v_cmp_lt_u32_e32 vcc_lo, 0x7f800000, v9
	s_delay_alu instid0(VALU_DEP_2)
	v_cndmask_b32_e32 v8, 0x7c, v8, vcc_lo
; %bb.1195:
	s_or_b32 exec_lo, exec_lo, s4
	v_lshrrev_b32_e32 v0, 24, v0
	s_delay_alu instid0(VALU_DEP_1)
	v_and_or_b32 v0, 0x80, v0, v8
	global_store_b8 v[1:2], v0, off
.LBB185_1196:
	s_mov_b32 s4, 0
.LBB185_1197:
	s_delay_alu instid0(SALU_CYCLE_1)
	s_and_not1_b32 vcc_lo, exec_lo, s4
	s_mov_b32 s8, 0
	s_cbranch_vccnz .LBB185_1205
; %bb.1198:
	v_cmp_lt_i16_e32 vcc_lo, 14, v5
	s_mov_b32 s4, -1
	s_cbranch_vccz .LBB185_1202
; %bb.1199:
	v_cmp_eq_u16_e32 vcc_lo, 15, v5
	s_mov_b32 s2, -1
	s_cbranch_vccz .LBB185_1201
; %bb.1200:
	v_cvt_f32_f16_e32 v0, v4
	v_cmp_o_f16_e32 vcc_lo, v4, v4
	s_mov_b32 s2, 0
	s_delay_alu instid0(VALU_DEP_2) | instskip(NEXT) | instid1(VALU_DEP_1)
	v_bfe_u32 v8, v0, 16, 1
	v_add3_u32 v0, v0, v8, 0x7fff
	s_delay_alu instid0(VALU_DEP_1) | instskip(NEXT) | instid1(VALU_DEP_1)
	v_lshrrev_b32_e32 v0, 16, v0
	v_cndmask_b32_e32 v0, 0x7fc0, v0, vcc_lo
	global_store_b16 v[1:2], v0, off
.LBB185_1201:
	s_mov_b32 s4, 0
.LBB185_1202:
	s_delay_alu instid0(SALU_CYCLE_1)
	s_and_b32 vcc_lo, exec_lo, s4
	s_cbranch_vccz .LBB185_1205
; %bb.1203:
	v_cmp_ne_u16_e32 vcc_lo, 11, v5
	s_and_not1_b32 s2, s2, exec_lo
	s_mov_b32 s8, -1
	s_and_b32 s4, vcc_lo, exec_lo
	s_delay_alu instid0(SALU_CYCLE_1)
	s_or_b32 s2, s2, s4
	s_branch .LBB185_1205
.LBB185_1204:
	s_mov_b32 s8, 0
.LBB185_1205:
	v_or_b32_e32 v9, v3, v6
	s_and_not1_b32 s4, s34, exec_lo
	s_and_b32 s2, s2, exec_lo
	s_and_b32 s3, s3, exec_lo
	;; [unrolled: 1-line block ×3, first 2 shown]
	s_or_b32 s34, s4, s2
.LBB185_1206:
	s_or_b32 exec_lo, exec_lo, s7
	s_and_saveexec_b32 s2, s34
	s_cbranch_execnz .LBB185_1321
; %bb.1207:
	s_or_b32 exec_lo, exec_lo, s2
	s_and_saveexec_b32 s2, s8
	s_delay_alu instid0(SALU_CYCLE_1)
	s_xor_b32 s2, exec_lo, s2
	s_cbranch_execz .LBB185_1209
.LBB185_1208:
	v_and_b32_e32 v0, 0x7fff7fff, v9
	s_delay_alu instid0(VALU_DEP_1)
	v_cmp_ne_u32_e32 vcc_lo, 0, v0
	v_cndmask_b32_e64 v0, 0, 1, vcc_lo
	global_store_b8 v[1:2], v0, off
.LBB185_1209:
	s_or_b32 exec_lo, exec_lo, s2
	s_and_saveexec_b32 s2, s3
	s_delay_alu instid0(SALU_CYCLE_1)
	s_xor_b32 s2, exec_lo, s2
	s_cbranch_execz .LBB185_1247
; %bb.1210:
	v_cmp_gt_i16_e32 vcc_lo, 5, v5
	s_mov_b32 s3, -1
	s_cbranch_vccnz .LBB185_1231
; %bb.1211:
	v_cmp_gt_i16_e32 vcc_lo, 8, v5
	s_cbranch_vccnz .LBB185_1221
; %bb.1212:
	v_cmp_gt_i16_e32 vcc_lo, 9, v5
	s_cbranch_vccnz .LBB185_1218
; %bb.1213:
	v_cmp_lt_i16_e32 vcc_lo, 9, v5
	s_cbranch_vccz .LBB185_1215
; %bb.1214:
	v_cvt_f32_f16_e32 v0, v4
	v_cvt_f32_f16_e32 v3, v7
	s_mov_b32 s3, 0
	s_delay_alu instid0(VALU_DEP_2) | instskip(NEXT) | instid1(VALU_DEP_2)
	v_cvt_f64_f32_e32 v[10:11], v0
	v_cvt_f64_f32_e32 v[12:13], v3
	global_store_b128 v[1:2], v[10:13], off
.LBB185_1215:
	s_and_not1_b32 vcc_lo, exec_lo, s3
	s_cbranch_vccnz .LBB185_1217
; %bb.1216:
	s_waitcnt vmcnt(0)
	v_cvt_f32_f16_e32 v6, v4
	v_cvt_f32_f16_e32 v7, v7
	global_store_b64 v[1:2], v[6:7], off
.LBB185_1217:
	s_mov_b32 s3, 0
.LBB185_1218:
	s_delay_alu instid0(SALU_CYCLE_1)
	s_and_not1_b32 vcc_lo, exec_lo, s3
	s_cbranch_vccnz .LBB185_1220
; %bb.1219:
	global_store_b32 v[1:2], v9, off
.LBB185_1220:
	s_mov_b32 s3, 0
.LBB185_1221:
	s_delay_alu instid0(SALU_CYCLE_1)
	s_and_not1_b32 vcc_lo, exec_lo, s3
	s_cbranch_vccnz .LBB185_1230
; %bb.1222:
	v_cmp_gt_i16_e32 vcc_lo, 6, v5
	s_mov_b32 s3, -1
	s_cbranch_vccnz .LBB185_1228
; %bb.1223:
	v_cmp_lt_i16_e32 vcc_lo, 6, v5
	s_cbranch_vccz .LBB185_1225
; %bb.1224:
	v_cvt_f32_f16_e32 v0, v4
	s_mov_b32 s3, 0
	s_waitcnt vmcnt(0)
	s_delay_alu instid0(VALU_DEP_1)
	v_cvt_f64_f32_e32 v[6:7], v0
	global_store_b64 v[1:2], v[6:7], off
.LBB185_1225:
	s_and_not1_b32 vcc_lo, exec_lo, s3
	s_cbranch_vccnz .LBB185_1227
; %bb.1226:
	v_cvt_f32_f16_e32 v0, v4
	global_store_b32 v[1:2], v0, off
.LBB185_1227:
	s_mov_b32 s3, 0
.LBB185_1228:
	s_delay_alu instid0(SALU_CYCLE_1)
	s_and_not1_b32 vcc_lo, exec_lo, s3
	s_cbranch_vccnz .LBB185_1230
; %bb.1229:
	global_store_b16 v[1:2], v4, off
.LBB185_1230:
	s_mov_b32 s3, 0
.LBB185_1231:
	s_delay_alu instid0(SALU_CYCLE_1)
	s_and_not1_b32 vcc_lo, exec_lo, s3
	s_cbranch_vccnz .LBB185_1247
; %bb.1232:
	v_cmp_gt_i16_e32 vcc_lo, 2, v5
	s_mov_b32 s3, -1
	s_cbranch_vccnz .LBB185_1242
; %bb.1233:
	v_cmp_gt_i16_e32 vcc_lo, 3, v5
	s_cbranch_vccnz .LBB185_1239
; %bb.1234:
	v_cmp_lt_i16_e32 vcc_lo, 3, v5
	s_cbranch_vccz .LBB185_1236
; %bb.1235:
	v_cvt_f32_f16_e32 v0, v4
	s_mov_b32 s3, 0
	s_waitcnt vmcnt(0)
	s_delay_alu instid0(VALU_DEP_1) | instskip(NEXT) | instid1(VALU_DEP_1)
	v_cvt_i32_f32_e32 v6, v0
	v_ashrrev_i32_e32 v7, 31, v6
	global_store_b64 v[1:2], v[6:7], off
.LBB185_1236:
	s_and_not1_b32 vcc_lo, exec_lo, s3
	s_cbranch_vccnz .LBB185_1238
; %bb.1237:
	v_cvt_f32_f16_e32 v0, v4
	s_delay_alu instid0(VALU_DEP_1)
	v_cvt_i32_f32_e32 v0, v0
	global_store_b32 v[1:2], v0, off
.LBB185_1238:
	s_mov_b32 s3, 0
.LBB185_1239:
	s_delay_alu instid0(SALU_CYCLE_1)
	s_and_not1_b32 vcc_lo, exec_lo, s3
	s_cbranch_vccnz .LBB185_1241
; %bb.1240:
	v_cvt_i16_f16_e32 v0, v4
	global_store_b16 v[1:2], v0, off
.LBB185_1241:
	s_mov_b32 s3, 0
.LBB185_1242:
	s_delay_alu instid0(SALU_CYCLE_1)
	s_and_not1_b32 vcc_lo, exec_lo, s3
	s_cbranch_vccnz .LBB185_1247
; %bb.1243:
	v_cmp_lt_i16_e32 vcc_lo, 0, v5
	s_mov_b32 s3, -1
	s_cbranch_vccz .LBB185_1245
; %bb.1244:
	v_cvt_i16_f16_e32 v0, v4
	s_mov_b32 s3, 0
	global_store_b8 v[1:2], v0, off
.LBB185_1245:
	s_and_not1_b32 vcc_lo, exec_lo, s3
	s_cbranch_vccnz .LBB185_1247
; %bb.1246:
	v_cvt_f32_f16_e32 v0, v4
	s_delay_alu instid0(VALU_DEP_1)
	v_cvt_i32_f32_e32 v0, v0
	global_store_b8 v[1:2], v0, off
.LBB185_1247:
	s_or_b32 exec_lo, exec_lo, s2
	s_delay_alu instid0(SALU_CYCLE_1)
	s_and_b32 s8, s6, exec_lo
                                        ; implicit-def: $vgpr8
                                        ; implicit-def: $vgpr5
.LBB185_1248:
	s_or_saveexec_b32 s9, s28
	s_mov_b32 s3, 0
                                        ; implicit-def: $vgpr0_vgpr1
                                        ; implicit-def: $vgpr6
                                        ; implicit-def: $vgpr4
                                        ; implicit-def: $vgpr3
                                        ; implicit-def: $vgpr2
	s_xor_b32 exec_lo, exec_lo, s9
	s_cbranch_execz .LBB185_2437
; %bb.1249:
	v_cndmask_b32_e64 v0, 0, 1, s27
	s_and_not1_b32 vcc_lo, exec_lo, s27
	s_cbranch_vccnz .LBB185_1255
; %bb.1250:
	v_mov_b32_e32 v3, 0
	v_mov_b32_e32 v7, 0
	s_cmp_lg_u32 s24, 0
	s_mov_b32 s6, 0
	s_cbranch_scc0 .LBB185_1259
; %bb.1251:
	s_min_u32 s7, s25, 15
	v_mov_b32_e32 v3, 0
	s_add_i32 s7, s7, 1
	s_cmp_eq_u32 s25, 2
	s_mov_b32 s10, 0
	s_cbranch_scc1 .LBB185_1256
; %bb.1252:
	v_mov_b32_e32 v7, 0
	v_mov_b32_e32 v3, 0
	;; [unrolled: 1-line block ×3, first 2 shown]
	s_add_u32 s2, s16, 0xc4
	s_addc_u32 s3, s17, 0
	s_and_b32 s10, s7, 28
	s_mov_b32 s11, 0
	s_mov_b64 s[4:5], s[16:17]
.LBB185_1253:                           ; =>This Inner Loop Header: Depth=1
	s_clause 0x1
	s_load_b256 s[36:43], s[4:5], 0x4
	s_load_b128 s[12:15], s[4:5], 0x24
	s_load_b256 s[44:51], s[2:3], 0x0
	s_add_u32 s4, s4, 48
	s_addc_u32 s5, s5, 0
	s_add_i32 s11, s11, 4
	s_add_u32 s2, s2, 32
	s_addc_u32 s3, s3, 0
	s_cmp_lg_u32 s10, s11
	s_waitcnt lgkmcnt(0)
	v_mul_hi_u32 v2, s37, v1
	s_delay_alu instid0(VALU_DEP_1) | instskip(NEXT) | instid1(VALU_DEP_1)
	v_add_nc_u32_e32 v2, v1, v2
	v_lshrrev_b32_e32 v2, s38, v2
	s_delay_alu instid0(VALU_DEP_1) | instskip(SKIP_1) | instid1(VALU_DEP_2)
	v_mul_hi_u32 v4, s40, v2
	v_mul_lo_u32 v9, v2, s36
	v_add_nc_u32_e32 v4, v2, v4
	s_delay_alu instid0(VALU_DEP_2) | instskip(NEXT) | instid1(VALU_DEP_2)
	v_sub_nc_u32_e32 v1, v1, v9
	v_lshrrev_b32_e32 v4, s41, v4
	s_delay_alu instid0(VALU_DEP_2) | instskip(SKIP_2) | instid1(VALU_DEP_3)
	v_mul_lo_u32 v9, v1, s44
	v_mul_lo_u32 v11, v1, s45
	s_waitcnt vmcnt(0)
	v_mul_hi_u32 v6, s43, v4
	s_delay_alu instid0(VALU_DEP_1) | instskip(NEXT) | instid1(VALU_DEP_1)
	v_add_nc_u32_e32 v6, v4, v6
	v_lshrrev_b32_e32 v6, s12, v6
	s_delay_alu instid0(VALU_DEP_1) | instskip(SKIP_1) | instid1(VALU_DEP_2)
	v_mul_hi_u32 v10, s14, v6
	v_mul_lo_u32 v12, v6, s42
	v_add_nc_u32_e32 v1, v6, v10
	v_mul_lo_u32 v10, v4, s39
	s_delay_alu instid0(VALU_DEP_3) | instskip(NEXT) | instid1(VALU_DEP_3)
	v_sub_nc_u32_e32 v4, v4, v12
	v_lshrrev_b32_e32 v1, s15, v1
	s_delay_alu instid0(VALU_DEP_2) | instskip(SKIP_2) | instid1(VALU_DEP_4)
	v_mul_lo_u32 v12, v4, s48
	v_mul_lo_u32 v4, v4, s49
	v_sub_nc_u32_e32 v2, v2, v10
	v_mul_lo_u32 v13, v1, s13
	s_delay_alu instid0(VALU_DEP_2) | instskip(SKIP_1) | instid1(VALU_DEP_3)
	v_mul_lo_u32 v10, v2, s46
	v_mul_lo_u32 v2, v2, s47
	v_sub_nc_u32_e32 v6, v6, v13
	s_delay_alu instid0(VALU_DEP_3) | instskip(NEXT) | instid1(VALU_DEP_2)
	v_add3_u32 v3, v9, v3, v10
	v_mul_lo_u32 v13, v6, s50
	v_mul_lo_u32 v6, v6, s51
	v_add3_u32 v2, v11, v7, v2
	s_delay_alu instid0(VALU_DEP_3) | instskip(NEXT) | instid1(VALU_DEP_2)
	v_add3_u32 v3, v12, v3, v13
	v_add3_u32 v7, v4, v2, v6
	s_cbranch_scc1 .LBB185_1253
; %bb.1254:
	s_and_b32 s7, s7, 3
	s_delay_alu instid0(SALU_CYCLE_1)
	s_cmp_eq_u32 s7, 0
	s_cbranch_scc0 .LBB185_1257
	s_branch .LBB185_1259
.LBB185_1255:
	s_mov_b32 s6, -1
                                        ; implicit-def: $vgpr3
                                        ; implicit-def: $vgpr7
	s_branch .LBB185_1259
.LBB185_1256:
	v_mov_b32_e32 v1, v5
	v_mov_b32_e32 v7, 0
	s_and_b32 s7, s7, 3
	s_delay_alu instid0(SALU_CYCLE_1)
	s_cmp_eq_u32 s7, 0
	s_cbranch_scc1 .LBB185_1259
.LBB185_1257:
	s_lshl_b32 s2, s10, 3
	s_mul_i32 s4, s10, 12
	s_add_u32 s2, s2, s16
	s_addc_u32 s3, 0, s17
	s_add_u32 s2, s2, 0xc4
	s_addc_u32 s3, s3, 0
	;; [unrolled: 2-line block ×3, first 2 shown]
	.p2align	6
.LBB185_1258:                           ; =>This Inner Loop Header: Depth=1
	s_clause 0x1
	s_load_b64 s[10:11], s[4:5], 0x4
	s_load_b32 s14, s[4:5], 0xc
	s_load_b64 s[12:13], s[2:3], 0x0
	s_add_u32 s4, s4, 12
	s_addc_u32 s5, s5, 0
	s_add_u32 s2, s2, 8
	s_addc_u32 s3, s3, 0
	s_add_i32 s7, s7, -1
	s_delay_alu instid0(SALU_CYCLE_1) | instskip(SKIP_2) | instid1(VALU_DEP_1)
	s_cmp_lg_u32 s7, 0
	s_waitcnt lgkmcnt(0)
	v_mul_hi_u32 v2, s11, v1
	v_add_nc_u32_e32 v2, v1, v2
	s_delay_alu instid0(VALU_DEP_1) | instskip(NEXT) | instid1(VALU_DEP_1)
	v_lshrrev_b32_e32 v4, s14, v2
	v_mul_lo_u32 v2, v4, s10
	s_delay_alu instid0(VALU_DEP_1) | instskip(NEXT) | instid1(VALU_DEP_1)
	v_sub_nc_u32_e32 v1, v1, v2
	v_mad_u64_u32 v[9:10], null, v1, s12, v[3:4]
	v_mad_u64_u32 v[2:3], null, v1, s13, v[7:8]
	v_mov_b32_e32 v1, v4
	s_delay_alu instid0(VALU_DEP_3) | instskip(NEXT) | instid1(VALU_DEP_3)
	v_mov_b32_e32 v3, v9
	v_mov_b32_e32 v7, v2
	s_cbranch_scc1 .LBB185_1258
.LBB185_1259:
	s_and_not1_b32 vcc_lo, exec_lo, s6
	s_cbranch_vccnz .LBB185_1262
; %bb.1260:
	s_clause 0x1
	s_load_b128 s[4:7], s[16:17], 0x4
	s_load_b64 s[2:3], s[16:17], 0xc4
	s_cmp_lt_u32 s24, 2
	s_waitcnt lgkmcnt(0)
	v_mul_hi_u32 v1, s5, v5
	s_delay_alu instid0(VALU_DEP_1) | instskip(NEXT) | instid1(VALU_DEP_1)
	v_add_nc_u32_e32 v1, v5, v1
	v_lshrrev_b32_e32 v1, s6, v1
	s_delay_alu instid0(VALU_DEP_1) | instskip(NEXT) | instid1(VALU_DEP_1)
	v_mul_lo_u32 v2, v1, s4
	v_sub_nc_u32_e32 v2, v5, v2
	s_delay_alu instid0(VALU_DEP_1)
	v_mul_lo_u32 v3, v2, s2
	v_mul_lo_u32 v7, v2, s3
	s_cbranch_scc1 .LBB185_1262
; %bb.1261:
	s_clause 0x1
	s_load_b128 s[4:7], s[16:17], 0x10
	s_load_b64 s[2:3], s[16:17], 0xcc
	s_waitcnt lgkmcnt(0)
	v_mul_hi_u32 v2, s5, v1
	s_delay_alu instid0(VALU_DEP_1) | instskip(NEXT) | instid1(VALU_DEP_1)
	v_add_nc_u32_e32 v2, v1, v2
	v_lshrrev_b32_e32 v2, s6, v2
	s_delay_alu instid0(VALU_DEP_1) | instskip(NEXT) | instid1(VALU_DEP_1)
	v_mul_lo_u32 v2, v2, s4
	v_sub_nc_u32_e32 v4, v1, v2
	s_delay_alu instid0(VALU_DEP_1) | instskip(SKIP_1) | instid1(VALU_DEP_2)
	v_mad_u64_u32 v[1:2], null, v4, s2, v[3:4]
	v_mad_u64_u32 v[2:3], null, v4, s3, v[7:8]
	v_mov_b32_e32 v3, v1
	s_delay_alu instid0(VALU_DEP_2)
	v_mov_b32_e32 v7, v2
.LBB185_1262:
	v_cmp_ne_u32_e32 vcc_lo, 1, v0
	v_add_nc_u32_e32 v1, 0x80, v5
	s_cbranch_vccnz .LBB185_1268
; %bb.1263:
	v_mov_b32_e32 v2, 0
	s_waitcnt vmcnt(0)
	v_mov_b32_e32 v6, 0
	s_cmp_lg_u32 s24, 0
	s_mov_b32 s6, 0
	s_cbranch_scc0 .LBB185_1272
; %bb.1264:
	s_min_u32 s7, s25, 15
	v_mov_b32_e32 v2, 0
	s_add_i32 s7, s7, 1
	s_cmp_eq_u32 s25, 2
	s_mov_b32 s10, 0
	s_cbranch_scc1 .LBB185_1269
; %bb.1265:
	v_mov_b32_e32 v6, 0
	v_mov_b32_e32 v2, 0
	;; [unrolled: 1-line block ×3, first 2 shown]
	s_add_u32 s2, s16, 0xc4
	s_addc_u32 s3, s17, 0
	s_and_b32 s10, s7, 28
	s_mov_b32 s11, 0
	s_mov_b64 s[4:5], s[16:17]
.LBB185_1266:                           ; =>This Inner Loop Header: Depth=1
	s_clause 0x1
	s_load_b256 s[36:43], s[4:5], 0x4
	s_load_b128 s[12:15], s[4:5], 0x24
	s_load_b256 s[44:51], s[2:3], 0x0
	s_add_u32 s4, s4, 48
	s_addc_u32 s5, s5, 0
	s_add_i32 s11, s11, 4
	s_add_u32 s2, s2, 32
	s_addc_u32 s3, s3, 0
	s_cmp_lg_u32 s10, s11
	s_waitcnt lgkmcnt(0)
	v_mul_hi_u32 v9, s37, v4
	s_delay_alu instid0(VALU_DEP_1) | instskip(NEXT) | instid1(VALU_DEP_1)
	v_add_nc_u32_e32 v9, v4, v9
	v_lshrrev_b32_e32 v9, s38, v9
	s_delay_alu instid0(VALU_DEP_1) | instskip(SKIP_1) | instid1(VALU_DEP_2)
	v_mul_hi_u32 v10, s40, v9
	v_mul_lo_u32 v12, v9, s36
	v_add_nc_u32_e32 v10, v9, v10
	s_delay_alu instid0(VALU_DEP_2) | instskip(NEXT) | instid1(VALU_DEP_2)
	v_sub_nc_u32_e32 v4, v4, v12
	v_lshrrev_b32_e32 v10, s41, v10
	s_delay_alu instid0(VALU_DEP_2) | instskip(SKIP_1) | instid1(VALU_DEP_3)
	v_mul_lo_u32 v12, v4, s44
	v_mul_lo_u32 v14, v4, s45
	v_mul_hi_u32 v11, s43, v10
	s_delay_alu instid0(VALU_DEP_1) | instskip(NEXT) | instid1(VALU_DEP_1)
	v_add_nc_u32_e32 v11, v10, v11
	v_lshrrev_b32_e32 v11, s12, v11
	s_delay_alu instid0(VALU_DEP_1) | instskip(SKIP_1) | instid1(VALU_DEP_2)
	v_mul_hi_u32 v13, s14, v11
	v_mul_lo_u32 v15, v11, s42
	v_add_nc_u32_e32 v4, v11, v13
	v_mul_lo_u32 v13, v10, s39
	s_delay_alu instid0(VALU_DEP_3) | instskip(NEXT) | instid1(VALU_DEP_3)
	v_sub_nc_u32_e32 v10, v10, v15
	v_lshrrev_b32_e32 v4, s15, v4
	s_delay_alu instid0(VALU_DEP_2) | instskip(SKIP_2) | instid1(VALU_DEP_4)
	v_mul_lo_u32 v15, v10, s48
	v_mul_lo_u32 v10, v10, s49
	v_sub_nc_u32_e32 v9, v9, v13
	v_mul_lo_u32 v16, v4, s13
	s_delay_alu instid0(VALU_DEP_2) | instskip(SKIP_1) | instid1(VALU_DEP_3)
	v_mul_lo_u32 v13, v9, s46
	v_mul_lo_u32 v9, v9, s47
	v_sub_nc_u32_e32 v11, v11, v16
	s_delay_alu instid0(VALU_DEP_3) | instskip(NEXT) | instid1(VALU_DEP_2)
	v_add3_u32 v2, v12, v2, v13
	v_mul_lo_u32 v16, v11, s50
	v_mul_lo_u32 v11, v11, s51
	v_add3_u32 v6, v14, v6, v9
	s_delay_alu instid0(VALU_DEP_3) | instskip(NEXT) | instid1(VALU_DEP_2)
	v_add3_u32 v2, v15, v2, v16
	v_add3_u32 v6, v10, v6, v11
	s_cbranch_scc1 .LBB185_1266
; %bb.1267:
	s_and_b32 s7, s7, 3
	s_delay_alu instid0(SALU_CYCLE_1)
	s_cmp_eq_u32 s7, 0
	s_cbranch_scc0 .LBB185_1270
	s_branch .LBB185_1272
.LBB185_1268:
	s_mov_b32 s6, -1
                                        ; implicit-def: $vgpr2
                                        ; implicit-def: $vgpr6
	s_branch .LBB185_1272
.LBB185_1269:
	v_mov_b32_e32 v4, v1
	v_mov_b32_e32 v6, 0
	s_and_b32 s7, s7, 3
	s_delay_alu instid0(SALU_CYCLE_1)
	s_cmp_eq_u32 s7, 0
	s_cbranch_scc1 .LBB185_1272
.LBB185_1270:
	s_lshl_b32 s2, s10, 3
	s_mul_i32 s4, s10, 12
	s_add_u32 s2, s2, s16
	s_addc_u32 s3, 0, s17
	s_add_u32 s2, s2, 0xc4
	s_addc_u32 s3, s3, 0
	;; [unrolled: 2-line block ×3, first 2 shown]
	.p2align	6
.LBB185_1271:                           ; =>This Inner Loop Header: Depth=1
	s_clause 0x1
	s_load_b64 s[10:11], s[4:5], 0x4
	s_load_b32 s14, s[4:5], 0xc
	s_load_b64 s[12:13], s[2:3], 0x0
	s_add_u32 s4, s4, 12
	s_addc_u32 s5, s5, 0
	s_add_u32 s2, s2, 8
	s_addc_u32 s3, s3, 0
	s_add_i32 s7, s7, -1
	s_delay_alu instid0(SALU_CYCLE_1) | instskip(SKIP_2) | instid1(VALU_DEP_1)
	s_cmp_lg_u32 s7, 0
	s_waitcnt lgkmcnt(0)
	v_mul_hi_u32 v9, s11, v4
	v_add_nc_u32_e32 v9, v4, v9
	s_delay_alu instid0(VALU_DEP_1) | instskip(NEXT) | instid1(VALU_DEP_1)
	v_lshrrev_b32_e32 v12, s14, v9
	v_mul_lo_u32 v9, v12, s10
	s_delay_alu instid0(VALU_DEP_1) | instskip(NEXT) | instid1(VALU_DEP_1)
	v_sub_nc_u32_e32 v4, v4, v9
	v_mad_u64_u32 v[9:10], null, v4, s12, v[2:3]
	v_mad_u64_u32 v[10:11], null, v4, s13, v[6:7]
	v_mov_b32_e32 v4, v12
	s_delay_alu instid0(VALU_DEP_3) | instskip(NEXT) | instid1(VALU_DEP_3)
	v_mov_b32_e32 v2, v9
	v_mov_b32_e32 v6, v10
	s_cbranch_scc1 .LBB185_1271
.LBB185_1272:
	s_and_not1_b32 vcc_lo, exec_lo, s6
	s_cbranch_vccnz .LBB185_1275
; %bb.1273:
	s_clause 0x1
	s_load_b128 s[4:7], s[16:17], 0x4
	s_load_b64 s[2:3], s[16:17], 0xc4
	s_cmp_lt_u32 s24, 2
	s_waitcnt lgkmcnt(0)
	v_mul_hi_u32 v2, s5, v1
	s_delay_alu instid0(VALU_DEP_1) | instskip(NEXT) | instid1(VALU_DEP_1)
	v_add_nc_u32_e32 v2, v1, v2
	v_lshrrev_b32_e32 v4, s6, v2
	s_delay_alu instid0(VALU_DEP_1) | instskip(NEXT) | instid1(VALU_DEP_1)
	v_mul_lo_u32 v2, v4, s4
	v_sub_nc_u32_e32 v1, v1, v2
	s_delay_alu instid0(VALU_DEP_1)
	v_mul_lo_u32 v2, v1, s2
	s_waitcnt vmcnt(0)
	v_mul_lo_u32 v6, v1, s3
	s_cbranch_scc1 .LBB185_1275
; %bb.1274:
	s_clause 0x1
	s_load_b128 s[4:7], s[16:17], 0x10
	s_load_b64 s[2:3], s[16:17], 0xcc
	s_waitcnt lgkmcnt(0)
	v_mul_hi_u32 v1, s5, v4
	s_delay_alu instid0(VALU_DEP_1) | instskip(NEXT) | instid1(VALU_DEP_1)
	v_add_nc_u32_e32 v1, v4, v1
	v_lshrrev_b32_e32 v1, s6, v1
	s_delay_alu instid0(VALU_DEP_1) | instskip(NEXT) | instid1(VALU_DEP_1)
	v_mul_lo_u32 v1, v1, s4
	v_sub_nc_u32_e32 v4, v4, v1
	s_delay_alu instid0(VALU_DEP_1) | instskip(SKIP_1) | instid1(VALU_DEP_2)
	v_mad_u64_u32 v[9:10], null, v4, s2, v[2:3]
	v_mad_u64_u32 v[1:2], null, v4, s3, v[6:7]
	v_mov_b32_e32 v2, v9
	s_delay_alu instid0(VALU_DEP_2)
	v_mov_b32_e32 v6, v1
.LBB185_1275:
	v_cmp_ne_u32_e32 vcc_lo, 1, v0
	v_add_nc_u32_e32 v4, 0x100, v5
	s_cbranch_vccnz .LBB185_1281
; %bb.1276:
	v_mov_b32_e32 v1, 0
	v_mov_b32_e32 v5, 0
	s_cmp_lg_u32 s24, 0
	s_mov_b32 s6, 0
	s_cbranch_scc0 .LBB185_1285
; %bb.1277:
	s_min_u32 s7, s25, 15
	v_mov_b32_e32 v1, 0
	s_add_i32 s7, s7, 1
	s_cmp_eq_u32 s25, 2
	s_mov_b32 s10, 0
	s_cbranch_scc1 .LBB185_1282
; %bb.1278:
	v_mov_b32_e32 v5, 0
	v_mov_b32_e32 v1, 0
	;; [unrolled: 1-line block ×3, first 2 shown]
	s_add_u32 s2, s16, 0xc4
	s_addc_u32 s3, s17, 0
	s_and_b32 s10, s7, 28
	s_mov_b32 s11, 0
	s_mov_b64 s[4:5], s[16:17]
.LBB185_1279:                           ; =>This Inner Loop Header: Depth=1
	s_clause 0x1
	s_load_b256 s[36:43], s[4:5], 0x4
	s_load_b128 s[12:15], s[4:5], 0x24
	s_load_b256 s[44:51], s[2:3], 0x0
	s_add_u32 s4, s4, 48
	s_addc_u32 s5, s5, 0
	s_add_i32 s11, s11, 4
	s_add_u32 s2, s2, 32
	s_addc_u32 s3, s3, 0
	s_cmp_lg_u32 s10, s11
	s_waitcnt lgkmcnt(0)
	v_mul_hi_u32 v10, s37, v9
	s_delay_alu instid0(VALU_DEP_1) | instskip(NEXT) | instid1(VALU_DEP_1)
	v_add_nc_u32_e32 v10, v9, v10
	v_lshrrev_b32_e32 v10, s38, v10
	s_delay_alu instid0(VALU_DEP_1) | instskip(SKIP_1) | instid1(VALU_DEP_2)
	v_mul_hi_u32 v11, s40, v10
	v_mul_lo_u32 v13, v10, s36
	v_add_nc_u32_e32 v11, v10, v11
	s_delay_alu instid0(VALU_DEP_2) | instskip(NEXT) | instid1(VALU_DEP_2)
	v_sub_nc_u32_e32 v9, v9, v13
	v_lshrrev_b32_e32 v11, s41, v11
	s_delay_alu instid0(VALU_DEP_2) | instskip(SKIP_1) | instid1(VALU_DEP_3)
	v_mul_lo_u32 v13, v9, s44
	v_mul_lo_u32 v15, v9, s45
	v_mul_hi_u32 v12, s43, v11
	s_delay_alu instid0(VALU_DEP_1) | instskip(NEXT) | instid1(VALU_DEP_1)
	v_add_nc_u32_e32 v12, v11, v12
	v_lshrrev_b32_e32 v12, s12, v12
	s_delay_alu instid0(VALU_DEP_1) | instskip(SKIP_1) | instid1(VALU_DEP_2)
	v_mul_hi_u32 v14, s14, v12
	v_mul_lo_u32 v16, v12, s42
	v_add_nc_u32_e32 v9, v12, v14
	v_mul_lo_u32 v14, v11, s39
	s_delay_alu instid0(VALU_DEP_3) | instskip(NEXT) | instid1(VALU_DEP_3)
	v_sub_nc_u32_e32 v11, v11, v16
	v_lshrrev_b32_e32 v9, s15, v9
	s_delay_alu instid0(VALU_DEP_2) | instskip(SKIP_2) | instid1(VALU_DEP_4)
	v_mul_lo_u32 v16, v11, s48
	v_mul_lo_u32 v11, v11, s49
	v_sub_nc_u32_e32 v10, v10, v14
	v_mul_lo_u32 v17, v9, s13
	s_delay_alu instid0(VALU_DEP_2) | instskip(SKIP_1) | instid1(VALU_DEP_3)
	v_mul_lo_u32 v14, v10, s46
	v_mul_lo_u32 v10, v10, s47
	v_sub_nc_u32_e32 v12, v12, v17
	s_delay_alu instid0(VALU_DEP_3) | instskip(NEXT) | instid1(VALU_DEP_2)
	v_add3_u32 v1, v13, v1, v14
	v_mul_lo_u32 v17, v12, s50
	v_mul_lo_u32 v12, v12, s51
	v_add3_u32 v5, v15, v5, v10
	s_delay_alu instid0(VALU_DEP_3) | instskip(NEXT) | instid1(VALU_DEP_2)
	v_add3_u32 v1, v16, v1, v17
	v_add3_u32 v5, v11, v5, v12
	s_cbranch_scc1 .LBB185_1279
; %bb.1280:
	s_and_b32 s7, s7, 3
	s_delay_alu instid0(SALU_CYCLE_1)
	s_cmp_eq_u32 s7, 0
	s_cbranch_scc0 .LBB185_1283
	s_branch .LBB185_1285
.LBB185_1281:
	s_mov_b32 s6, -1
                                        ; implicit-def: $vgpr1
                                        ; implicit-def: $vgpr5
	s_branch .LBB185_1285
.LBB185_1282:
	v_mov_b32_e32 v9, v4
	v_mov_b32_e32 v5, 0
	s_and_b32 s7, s7, 3
	s_delay_alu instid0(SALU_CYCLE_1)
	s_cmp_eq_u32 s7, 0
	s_cbranch_scc1 .LBB185_1285
.LBB185_1283:
	s_lshl_b32 s2, s10, 3
	s_mul_i32 s4, s10, 12
	s_add_u32 s2, s2, s16
	s_addc_u32 s3, 0, s17
	s_add_u32 s2, s2, 0xc4
	s_addc_u32 s3, s3, 0
	;; [unrolled: 2-line block ×3, first 2 shown]
	.p2align	6
.LBB185_1284:                           ; =>This Inner Loop Header: Depth=1
	s_clause 0x1
	s_load_b64 s[10:11], s[4:5], 0x4
	s_load_b32 s14, s[4:5], 0xc
	s_load_b64 s[12:13], s[2:3], 0x0
	s_add_u32 s4, s4, 12
	s_addc_u32 s5, s5, 0
	s_add_u32 s2, s2, 8
	s_addc_u32 s3, s3, 0
	s_add_i32 s7, s7, -1
	s_delay_alu instid0(SALU_CYCLE_1) | instskip(SKIP_2) | instid1(VALU_DEP_1)
	s_cmp_lg_u32 s7, 0
	s_waitcnt lgkmcnt(0)
	v_mul_hi_u32 v10, s11, v9
	v_add_nc_u32_e32 v10, v9, v10
	s_delay_alu instid0(VALU_DEP_1) | instskip(NEXT) | instid1(VALU_DEP_1)
	v_lshrrev_b32_e32 v13, s14, v10
	v_mul_lo_u32 v10, v13, s10
	s_delay_alu instid0(VALU_DEP_1) | instskip(NEXT) | instid1(VALU_DEP_1)
	v_sub_nc_u32_e32 v9, v9, v10
	v_mad_u64_u32 v[10:11], null, v9, s12, v[1:2]
	s_waitcnt vmcnt(0)
	v_mad_u64_u32 v[11:12], null, v9, s13, v[5:6]
	v_mov_b32_e32 v9, v13
	s_delay_alu instid0(VALU_DEP_3) | instskip(NEXT) | instid1(VALU_DEP_3)
	v_mov_b32_e32 v1, v10
	v_mov_b32_e32 v5, v11
	s_cbranch_scc1 .LBB185_1284
.LBB185_1285:
	s_and_not1_b32 vcc_lo, exec_lo, s6
	s_cbranch_vccnz .LBB185_1288
; %bb.1286:
	s_clause 0x1
	s_load_b128 s[4:7], s[16:17], 0x4
	s_load_b64 s[2:3], s[16:17], 0xc4
	s_cmp_lt_u32 s24, 2
	s_waitcnt lgkmcnt(0)
	v_mul_hi_u32 v1, s5, v4
	s_delay_alu instid0(VALU_DEP_1) | instskip(NEXT) | instid1(VALU_DEP_1)
	v_add_nc_u32_e32 v1, v4, v1
	v_lshrrev_b32_e32 v9, s6, v1
	s_delay_alu instid0(VALU_DEP_1) | instskip(NEXT) | instid1(VALU_DEP_1)
	v_mul_lo_u32 v1, v9, s4
	v_sub_nc_u32_e32 v4, v4, v1
	s_delay_alu instid0(VALU_DEP_1)
	v_mul_lo_u32 v1, v4, s2
	v_mul_lo_u32 v5, v4, s3
	s_cbranch_scc1 .LBB185_1288
; %bb.1287:
	s_clause 0x1
	s_load_b128 s[4:7], s[16:17], 0x10
	s_load_b64 s[2:3], s[16:17], 0xcc
	s_waitcnt lgkmcnt(0)
	v_mul_hi_u32 v4, s5, v9
	s_delay_alu instid0(VALU_DEP_1) | instskip(NEXT) | instid1(VALU_DEP_1)
	v_add_nc_u32_e32 v4, v9, v4
	v_lshrrev_b32_e32 v4, s6, v4
	s_delay_alu instid0(VALU_DEP_1) | instskip(NEXT) | instid1(VALU_DEP_1)
	v_mul_lo_u32 v4, v4, s4
	v_sub_nc_u32_e32 v4, v9, v4
	s_delay_alu instid0(VALU_DEP_1) | instskip(SKIP_2) | instid1(VALU_DEP_2)
	v_mad_u64_u32 v[9:10], null, v4, s2, v[1:2]
	s_waitcnt vmcnt(0)
	v_mad_u64_u32 v[10:11], null, v4, s3, v[5:6]
	v_mov_b32_e32 v1, v9
	s_delay_alu instid0(VALU_DEP_2)
	v_mov_b32_e32 v5, v10
.LBB185_1288:
	v_cmp_ne_u32_e32 vcc_lo, 1, v0
	s_cbranch_vccnz .LBB185_1294
; %bb.1289:
	v_mov_b32_e32 v0, 0
	v_mov_b32_e32 v4, 0
	s_cmp_lg_u32 s24, 0
	s_mov_b32 s6, 0
	s_cbranch_scc0 .LBB185_1298
; %bb.1290:
	s_min_u32 s7, s25, 15
	v_mov_b32_e32 v0, 0
	s_add_i32 s7, s7, 1
	s_cmp_eq_u32 s25, 2
	s_mov_b32 s10, 0
	s_cbranch_scc1 .LBB185_1295
; %bb.1291:
	v_dual_mov_b32 v4, 0 :: v_dual_mov_b32 v9, v8
	v_mov_b32_e32 v0, 0
	s_add_u32 s2, s16, 0xc4
	s_addc_u32 s3, s17, 0
	s_and_b32 s10, s7, 28
	s_mov_b32 s11, 0
	s_mov_b64 s[4:5], s[16:17]
.LBB185_1292:                           ; =>This Inner Loop Header: Depth=1
	s_clause 0x1
	s_load_b256 s[36:43], s[4:5], 0x4
	s_load_b128 s[12:15], s[4:5], 0x24
	s_load_b256 s[44:51], s[2:3], 0x0
	s_add_u32 s4, s4, 48
	s_addc_u32 s5, s5, 0
	s_add_i32 s11, s11, 4
	s_add_u32 s2, s2, 32
	s_addc_u32 s3, s3, 0
	s_cmp_lg_u32 s10, s11
	s_waitcnt lgkmcnt(0)
	v_mul_hi_u32 v10, s37, v9
	s_delay_alu instid0(VALU_DEP_1) | instskip(NEXT) | instid1(VALU_DEP_1)
	v_add_nc_u32_e32 v10, v9, v10
	v_lshrrev_b32_e32 v10, s38, v10
	s_delay_alu instid0(VALU_DEP_1) | instskip(SKIP_1) | instid1(VALU_DEP_2)
	v_mul_hi_u32 v11, s40, v10
	v_mul_lo_u32 v13, v10, s36
	v_add_nc_u32_e32 v11, v10, v11
	s_delay_alu instid0(VALU_DEP_2) | instskip(NEXT) | instid1(VALU_DEP_2)
	v_sub_nc_u32_e32 v9, v9, v13
	v_lshrrev_b32_e32 v11, s41, v11
	s_delay_alu instid0(VALU_DEP_2) | instskip(SKIP_1) | instid1(VALU_DEP_3)
	v_mul_lo_u32 v13, v9, s44
	v_mul_lo_u32 v15, v9, s45
	v_mul_hi_u32 v12, s43, v11
	s_delay_alu instid0(VALU_DEP_1) | instskip(NEXT) | instid1(VALU_DEP_1)
	v_add_nc_u32_e32 v12, v11, v12
	v_lshrrev_b32_e32 v12, s12, v12
	s_delay_alu instid0(VALU_DEP_1) | instskip(SKIP_1) | instid1(VALU_DEP_2)
	v_mul_hi_u32 v14, s14, v12
	v_mul_lo_u32 v16, v12, s42
	v_add_nc_u32_e32 v9, v12, v14
	v_mul_lo_u32 v14, v11, s39
	s_delay_alu instid0(VALU_DEP_3) | instskip(NEXT) | instid1(VALU_DEP_3)
	v_sub_nc_u32_e32 v11, v11, v16
	v_lshrrev_b32_e32 v9, s15, v9
	s_delay_alu instid0(VALU_DEP_2) | instskip(SKIP_2) | instid1(VALU_DEP_4)
	v_mul_lo_u32 v16, v11, s48
	v_mul_lo_u32 v11, v11, s49
	v_sub_nc_u32_e32 v10, v10, v14
	v_mul_lo_u32 v17, v9, s13
	s_delay_alu instid0(VALU_DEP_2) | instskip(SKIP_1) | instid1(VALU_DEP_3)
	v_mul_lo_u32 v14, v10, s46
	v_mul_lo_u32 v10, v10, s47
	v_sub_nc_u32_e32 v12, v12, v17
	s_delay_alu instid0(VALU_DEP_3) | instskip(NEXT) | instid1(VALU_DEP_2)
	v_add3_u32 v0, v13, v0, v14
	v_mul_lo_u32 v17, v12, s50
	v_mul_lo_u32 v12, v12, s51
	v_add3_u32 v4, v15, v4, v10
	s_delay_alu instid0(VALU_DEP_3) | instskip(NEXT) | instid1(VALU_DEP_2)
	v_add3_u32 v0, v16, v0, v17
	v_add3_u32 v4, v11, v4, v12
	s_cbranch_scc1 .LBB185_1292
; %bb.1293:
	s_and_b32 s7, s7, 3
	s_delay_alu instid0(SALU_CYCLE_1)
	s_cmp_eq_u32 s7, 0
	s_cbranch_scc0 .LBB185_1296
	s_branch .LBB185_1298
.LBB185_1294:
	s_mov_b32 s6, -1
                                        ; implicit-def: $vgpr0
                                        ; implicit-def: $vgpr4
	s_branch .LBB185_1298
.LBB185_1295:
	v_dual_mov_b32 v9, v8 :: v_dual_mov_b32 v4, 0
	s_and_b32 s7, s7, 3
	s_delay_alu instid0(SALU_CYCLE_1)
	s_cmp_eq_u32 s7, 0
	s_cbranch_scc1 .LBB185_1298
.LBB185_1296:
	s_lshl_b32 s2, s10, 3
	s_mul_i32 s4, s10, 12
	s_add_u32 s2, s2, s16
	s_addc_u32 s3, 0, s17
	s_add_u32 s2, s2, 0xc4
	s_addc_u32 s3, s3, 0
	;; [unrolled: 2-line block ×3, first 2 shown]
	.p2align	6
.LBB185_1297:                           ; =>This Inner Loop Header: Depth=1
	s_clause 0x1
	s_load_b64 s[10:11], s[4:5], 0x4
	s_load_b32 s14, s[4:5], 0xc
	s_load_b64 s[12:13], s[2:3], 0x0
	s_add_u32 s4, s4, 12
	s_addc_u32 s5, s5, 0
	s_add_u32 s2, s2, 8
	s_addc_u32 s3, s3, 0
	s_add_i32 s7, s7, -1
	s_delay_alu instid0(SALU_CYCLE_1) | instskip(SKIP_2) | instid1(VALU_DEP_1)
	s_cmp_lg_u32 s7, 0
	s_waitcnt lgkmcnt(0)
	v_mul_hi_u32 v10, s11, v9
	v_add_nc_u32_e32 v10, v9, v10
	s_delay_alu instid0(VALU_DEP_1) | instskip(NEXT) | instid1(VALU_DEP_1)
	v_lshrrev_b32_e32 v13, s14, v10
	v_mul_lo_u32 v10, v13, s10
	s_delay_alu instid0(VALU_DEP_1) | instskip(NEXT) | instid1(VALU_DEP_1)
	v_sub_nc_u32_e32 v9, v9, v10
	v_mad_u64_u32 v[10:11], null, v9, s12, v[0:1]
	v_mad_u64_u32 v[11:12], null, v9, s13, v[4:5]
	s_delay_alu instid0(VALU_DEP_2) | instskip(NEXT) | instid1(VALU_DEP_2)
	v_dual_mov_b32 v9, v13 :: v_dual_mov_b32 v0, v10
	v_mov_b32_e32 v4, v11
	s_cbranch_scc1 .LBB185_1297
.LBB185_1298:
	s_and_not1_b32 vcc_lo, exec_lo, s6
	s_cbranch_vccnz .LBB185_1301
; %bb.1299:
	s_clause 0x1
	s_load_b128 s[4:7], s[16:17], 0x4
	s_load_b64 s[2:3], s[16:17], 0xc4
	s_cmp_lt_u32 s24, 2
	s_waitcnt lgkmcnt(0)
	v_mul_hi_u32 v0, s5, v8
	s_delay_alu instid0(VALU_DEP_1) | instskip(NEXT) | instid1(VALU_DEP_1)
	v_add_nc_u32_e32 v0, v8, v0
	v_lshrrev_b32_e32 v9, s6, v0
	s_delay_alu instid0(VALU_DEP_1) | instskip(NEXT) | instid1(VALU_DEP_1)
	v_mul_lo_u32 v0, v9, s4
	v_sub_nc_u32_e32 v4, v8, v0
	s_delay_alu instid0(VALU_DEP_1)
	v_mul_lo_u32 v0, v4, s2
	v_mul_lo_u32 v4, v4, s3
	s_cbranch_scc1 .LBB185_1301
; %bb.1300:
	s_clause 0x1
	s_load_b128 s[4:7], s[16:17], 0x10
	s_load_b64 s[2:3], s[16:17], 0xcc
	s_waitcnt lgkmcnt(0)
	v_mul_hi_u32 v8, s5, v9
	s_delay_alu instid0(VALU_DEP_1) | instskip(NEXT) | instid1(VALU_DEP_1)
	v_add_nc_u32_e32 v8, v9, v8
	v_lshrrev_b32_e32 v8, s6, v8
	s_delay_alu instid0(VALU_DEP_1) | instskip(NEXT) | instid1(VALU_DEP_1)
	v_mul_lo_u32 v8, v8, s4
	v_sub_nc_u32_e32 v11, v9, v8
	s_delay_alu instid0(VALU_DEP_1) | instskip(SKIP_1) | instid1(VALU_DEP_2)
	v_mad_u64_u32 v[8:9], null, v11, s2, v[0:1]
	v_mad_u64_u32 v[9:10], null, v11, s3, v[4:5]
	v_mov_b32_e32 v0, v8
	s_delay_alu instid0(VALU_DEP_2)
	v_mov_b32_e32 v4, v9
.LBB185_1301:
	s_clause 0x1
	s_load_b32 s3, s[0:1], 0x160
	s_load_b128 s[4:7], s[16:17], 0x148
	s_mov_b32 s10, 0
	s_waitcnt lgkmcnt(0)
	s_lshr_b32 s0, s3, 16
	s_delay_alu instid0(SALU_CYCLE_1) | instskip(SKIP_1) | instid1(VALU_DEP_1)
	v_and_b32_e64 v9, 0xff, s0
	v_add_co_u32 v7, s0, s6, v7
	v_add_co_ci_u32_e64 v8, null, s7, 0, s0
	s_delay_alu instid0(VALU_DEP_3)
	v_cmp_gt_i16_e32 vcc_lo, 11, v9
	s_cbranch_vccnz .LBB185_1308
; %bb.1302:
	v_cmp_lt_i16_e32 vcc_lo, 25, v9
	s_mov_b32 s1, 0
	s_cbranch_vccz .LBB185_1314
; %bb.1303:
	v_cmp_lt_i16_e32 vcc_lo, 28, v9
	s_cbranch_vccz .LBB185_1317
; %bb.1304:
	v_cmp_lt_i16_e32 vcc_lo, 43, v9
	;; [unrolled: 3-line block ×3, first 2 shown]
	s_cbranch_vccz .LBB185_1323
; %bb.1306:
	v_cmp_eq_u16_e32 vcc_lo, 46, v9
	s_mov_b32 s2, 0
	s_cbranch_vccz .LBB185_1366
; %bb.1307:
	global_load_b32 v10, v[7:8], off
	s_mov_b32 s0, 0
	s_mov_b32 s10, -1
	s_waitcnt vmcnt(0)
	v_lshlrev_b32_e32 v11, 16, v10
	v_and_b32_e32 v12, 0xffff0000, v10
	s_delay_alu instid0(VALU_DEP_2) | instskip(NEXT) | instid1(VALU_DEP_2)
	v_cvt_f16_f32_e32 v10, v11
	v_cvt_f16_f32_e32 v11, v12
	s_branch .LBB185_1368
.LBB185_1308:
	s_mov_b32 s2, s8
                                        ; implicit-def: $vgpr11
                                        ; implicit-def: $vgpr10
	s_cbranch_execz .LBB185_1434
; %bb.1309:
	v_cmp_gt_i16_e32 vcc_lo, 5, v9
	s_cbranch_vccnz .LBB185_1315
; %bb.1310:
	v_cmp_gt_i16_e32 vcc_lo, 8, v9
	s_cbranch_vccnz .LBB185_1318
	;; [unrolled: 3-line block ×3, first 2 shown]
; %bb.1312:
	v_cmp_lt_i16_e32 vcc_lo, 9, v9
	s_cbranch_vccz .LBB185_1324
; %bb.1313:
	global_load_b128 v[10:13], v[7:8], off
	s_mov_b32 s0, 0
	s_waitcnt vmcnt(0)
	v_cvt_f32_f64_e32 v10, v[10:11]
	v_cvt_f32_f64_e32 v11, v[12:13]
	s_delay_alu instid0(VALU_DEP_2) | instskip(NEXT) | instid1(VALU_DEP_2)
	v_cvt_f16_f32_e32 v10, v10
	v_cvt_f16_f32_e32 v11, v11
	s_branch .LBB185_1325
.LBB185_1314:
	s_mov_b32 s0, 0
                                        ; implicit-def: $vgpr11
                                        ; implicit-def: $vgpr10
	s_cbranch_execnz .LBB185_1400
	s_branch .LBB185_1430
.LBB185_1315:
                                        ; implicit-def: $vgpr11
                                        ; implicit-def: $vgpr10
	s_branch .LBB185_1343
.LBB185_1316:
	s_branch .LBB185_1435
.LBB185_1317:
	s_mov_b32 s0, 0
                                        ; implicit-def: $vgpr11
                                        ; implicit-def: $vgpr10
	s_cbranch_execnz .LBB185_1380
	s_branch .LBB185_1399
.LBB185_1318:
                                        ; implicit-def: $vgpr11
                                        ; implicit-def: $vgpr10
	s_branch .LBB185_1331
.LBB185_1319:
	s_mov_b32 s2, -1
	s_mov_b32 s0, 0
                                        ; implicit-def: $vgpr11
                                        ; implicit-def: $vgpr10
	s_branch .LBB185_1374
.LBB185_1320:
	s_mov_b32 s0, -1
                                        ; implicit-def: $vgpr11
                                        ; implicit-def: $vgpr10
	s_branch .LBB185_1328
.LBB185_1321:
	s_cbranch_execnz .LBB185_1364
; %bb.1322:
	s_or_b32 s6, s6, exec_lo
	s_and_not1_b32 s8, s8, exec_lo
	s_or_b32 exec_lo, exec_lo, s2
	s_and_saveexec_b32 s2, s8
	s_delay_alu instid0(SALU_CYCLE_1)
	s_xor_b32 s2, exec_lo, s2
	s_cbranch_execnz .LBB185_1208
	s_branch .LBB185_1209
.LBB185_1323:
	s_mov_b32 s2, -1
	s_mov_b32 s0, 0
	s_branch .LBB185_1367
.LBB185_1324:
	s_mov_b32 s0, -1
                                        ; implicit-def: $vgpr11
                                        ; implicit-def: $vgpr10
.LBB185_1325:
	s_delay_alu instid0(SALU_CYCLE_1)
	s_and_not1_b32 vcc_lo, exec_lo, s0
	s_cbranch_vccnz .LBB185_1327
; %bb.1326:
	global_load_b64 v[10:11], v[7:8], off
	s_waitcnt vmcnt(0)
	v_cvt_f16_f32_e32 v10, v10
	v_cvt_f16_f32_e32 v11, v11
.LBB185_1327:
	s_mov_b32 s0, 0
.LBB185_1328:
	s_delay_alu instid0(SALU_CYCLE_1)
	s_and_not1_b32 vcc_lo, exec_lo, s0
	s_cbranch_vccnz .LBB185_1330
; %bb.1329:
	global_load_b32 v10, v[7:8], off
	s_waitcnt vmcnt(0)
	v_lshrrev_b32_e32 v11, 16, v10
.LBB185_1330:
	s_cbranch_execnz .LBB185_1342
.LBB185_1331:
	v_cmp_gt_i16_e32 vcc_lo, 6, v9
	s_cbranch_vccnz .LBB185_1334
; %bb.1332:
	v_cmp_lt_i16_e32 vcc_lo, 6, v9
	s_cbranch_vccz .LBB185_1335
; %bb.1333:
	global_load_b64 v[10:11], v[7:8], off
	s_mov_b32 s1, 0
	s_mov_b32 s0, 0
	s_waitcnt vmcnt(0)
	v_cvt_f32_f64_e32 v10, v[10:11]
	s_delay_alu instid0(VALU_DEP_1)
	v_cvt_f16_f32_e32 v10, v10
	s_branch .LBB185_1336
.LBB185_1334:
	s_mov_b32 s1, -1
                                        ; implicit-def: $sgpr0
                                        ; implicit-def: $vgpr10
	s_branch .LBB185_1339
.LBB185_1335:
	s_mov_b32 s1, -1
                                        ; implicit-def: $sgpr0
                                        ; implicit-def: $vgpr10
.LBB185_1336:
	s_delay_alu instid0(SALU_CYCLE_1)
	s_and_not1_b32 vcc_lo, exec_lo, s1
	s_cbranch_vccnz .LBB185_1338
; %bb.1337:
	global_load_b32 v10, v[7:8], off
	s_mov_b32 s0, 0
	s_waitcnt vmcnt(0)
	v_cvt_f16_f32_e32 v10, v10
.LBB185_1338:
	s_mov_b32 s1, 0
.LBB185_1339:
	s_delay_alu instid0(SALU_CYCLE_1)
	s_and_not1_b32 vcc_lo, exec_lo, s1
	s_cbranch_vccnz .LBB185_1341
; %bb.1340:
	global_load_u16 v10, v[7:8], off
	s_mov_b32 s0, 0
.LBB185_1341:
	s_delay_alu instid0(SALU_CYCLE_1)
	v_mov_b32_e32 v11, s0
.LBB185_1342:
	s_cbranch_execnz .LBB185_1316
.LBB185_1343:
	v_cmp_gt_i16_e32 vcc_lo, 2, v9
	s_cbranch_vccnz .LBB185_1347
; %bb.1344:
	v_cmp_gt_i16_e32 vcc_lo, 3, v9
	s_cbranch_vccnz .LBB185_1348
; %bb.1345:
	v_cmp_lt_i16_e32 vcc_lo, 3, v9
	s_cbranch_vccz .LBB185_1349
; %bb.1346:
	global_load_b64 v[10:11], v[7:8], off
	s_mov_b32 s1, 0
	s_mov_b32 s0, 0
	s_waitcnt vmcnt(0)
	v_xor_b32_e32 v12, v10, v11
	v_cls_i32_e32 v13, v11
	s_delay_alu instid0(VALU_DEP_2) | instskip(NEXT) | instid1(VALU_DEP_2)
	v_ashrrev_i32_e32 v12, 31, v12
	v_add_nc_u32_e32 v13, -1, v13
	s_delay_alu instid0(VALU_DEP_2) | instskip(NEXT) | instid1(VALU_DEP_1)
	v_add_nc_u32_e32 v12, 32, v12
	v_min_u32_e32 v12, v13, v12
	s_delay_alu instid0(VALU_DEP_1) | instskip(NEXT) | instid1(VALU_DEP_1)
	v_lshlrev_b64 v[10:11], v12, v[10:11]
	v_min_u32_e32 v10, 1, v10
	s_delay_alu instid0(VALU_DEP_1) | instskip(SKIP_1) | instid1(VALU_DEP_2)
	v_or_b32_e32 v10, v11, v10
	v_sub_nc_u32_e32 v11, 32, v12
	v_cvt_f32_i32_e32 v10, v10
	s_delay_alu instid0(VALU_DEP_1) | instskip(NEXT) | instid1(VALU_DEP_1)
	v_ldexp_f32 v10, v10, v11
	v_cvt_f16_f32_e32 v10, v10
	s_branch .LBB185_1350
.LBB185_1347:
                                        ; implicit-def: $sgpr0
                                        ; implicit-def: $vgpr10
	s_branch .LBB185_1356
.LBB185_1348:
	s_mov_b32 s1, -1
                                        ; implicit-def: $sgpr0
                                        ; implicit-def: $vgpr10
	s_branch .LBB185_1353
.LBB185_1349:
	s_mov_b32 s1, -1
                                        ; implicit-def: $sgpr0
                                        ; implicit-def: $vgpr10
.LBB185_1350:
	s_delay_alu instid0(SALU_CYCLE_1)
	s_and_not1_b32 vcc_lo, exec_lo, s1
	s_cbranch_vccnz .LBB185_1352
; %bb.1351:
	global_load_b32 v10, v[7:8], off
	s_mov_b32 s0, 0
	s_waitcnt vmcnt(0)
	v_cvt_f32_i32_e32 v10, v10
	s_delay_alu instid0(VALU_DEP_1)
	v_cvt_f16_f32_e32 v10, v10
.LBB185_1352:
	s_mov_b32 s1, 0
.LBB185_1353:
	s_delay_alu instid0(SALU_CYCLE_1)
	s_and_not1_b32 vcc_lo, exec_lo, s1
	s_cbranch_vccnz .LBB185_1355
; %bb.1354:
	global_load_u16 v10, v[7:8], off
	s_mov_b32 s0, 0
	s_waitcnt vmcnt(0)
	v_cvt_f16_i16_e32 v10, v10
.LBB185_1355:
	s_cbranch_execnz .LBB185_1361
.LBB185_1356:
	v_cmp_lt_i16_e32 vcc_lo, 0, v9
	s_mov_b32 s1, 0
	s_cbranch_vccz .LBB185_1358
; %bb.1357:
	global_load_i8 v10, v[7:8], off
	s_mov_b32 s0, 0
	s_waitcnt vmcnt(0)
	v_cvt_f16_i16_e32 v10, v10
	s_branch .LBB185_1359
.LBB185_1358:
	s_mov_b32 s1, -1
                                        ; implicit-def: $sgpr0
                                        ; implicit-def: $vgpr10
.LBB185_1359:
	s_delay_alu instid0(SALU_CYCLE_1)
	s_and_not1_b32 vcc_lo, exec_lo, s1
	s_cbranch_vccnz .LBB185_1361
; %bb.1360:
	global_load_u8 v7, v[7:8], off
	s_mov_b32 s0, 0
	s_waitcnt vmcnt(0)
	v_cvt_f16_u16_e32 v10, v7
.LBB185_1361:
	v_mov_b32_e32 v11, s0
	s_branch .LBB185_1435
.LBB185_1362:
	s_trap 2
	s_sendmsg_rtn_b32 s0, sendmsg(MSG_RTN_GET_DOORBELL)
	s_mov_b32 ttmp2, m0
	s_waitcnt lgkmcnt(0)
	s_and_b32 s0, s0, 0x3ff
	s_delay_alu instid0(SALU_CYCLE_1) | instskip(NEXT) | instid1(SALU_CYCLE_1)
	s_bitset1_b32 s0, 10
	s_mov_b32 m0, s0
	s_sendmsg sendmsg(MSG_INTERRUPT)
	s_mov_b32 m0, ttmp2
.LBB185_1363:                           ; =>This Inner Loop Header: Depth=1
	s_sethalt 5
	s_branch .LBB185_1363
.LBB185_1364:
	s_trap 2
	s_sendmsg_rtn_b32 s0, sendmsg(MSG_RTN_GET_DOORBELL)
	s_mov_b32 ttmp2, m0
	s_waitcnt lgkmcnt(0)
	s_and_b32 s0, s0, 0x3ff
	s_delay_alu instid0(SALU_CYCLE_1) | instskip(NEXT) | instid1(SALU_CYCLE_1)
	s_bitset1_b32 s0, 10
	s_mov_b32 m0, s0
	s_sendmsg sendmsg(MSG_INTERRUPT)
	s_mov_b32 m0, ttmp2
.LBB185_1365:                           ; =>This Inner Loop Header: Depth=1
	s_sethalt 5
	s_branch .LBB185_1365
.LBB185_1366:
	s_mov_b32 s0, -1
.LBB185_1367:
                                        ; implicit-def: $vgpr11
                                        ; implicit-def: $vgpr10
.LBB185_1368:
	s_and_b32 vcc_lo, exec_lo, s2
	s_cbranch_vccz .LBB185_1373
; %bb.1369:
	v_cmp_eq_u16_e32 vcc_lo, 44, v9
	s_cbranch_vccz .LBB185_1371
; %bb.1370:
	global_load_u8 v10, v[7:8], off
	s_mov_b32 s0, 0
	s_mov_b32 s10, -1
	s_waitcnt vmcnt(0)
	v_lshlrev_b32_e32 v11, 23, v10
	v_cmp_ne_u32_e32 vcc_lo, 0xff, v10
	s_delay_alu instid0(VALU_DEP_2) | instskip(NEXT) | instid1(VALU_DEP_1)
	v_cvt_f16_f32_e32 v11, v11
	v_cndmask_b32_e32 v11, 0x7e00, v11, vcc_lo
	v_cmp_ne_u32_e32 vcc_lo, 0, v10
	s_delay_alu instid0(VALU_DEP_2)
	v_cndmask_b32_e32 v10, 0, v11, vcc_lo
	s_branch .LBB185_1372
.LBB185_1371:
	s_mov_b32 s0, -1
                                        ; implicit-def: $vgpr10
.LBB185_1372:
	s_delay_alu instid0(SALU_CYCLE_1)
	v_mov_b32_e32 v11, s0
.LBB185_1373:
	s_mov_b32 s2, 0
.LBB185_1374:
	s_delay_alu instid0(SALU_CYCLE_1)
	s_and_b32 vcc_lo, exec_lo, s2
	s_cbranch_vccz .LBB185_1379
; %bb.1375:
	v_cmp_eq_u16_e32 vcc_lo, 29, v9
	s_cbranch_vccz .LBB185_1377
; %bb.1376:
	global_load_b64 v[10:11], v[7:8], off
	s_mov_b32 s0, 0
	s_mov_b32 s10, -1
	s_mov_b32 s2, 0
	s_waitcnt vmcnt(0)
	v_clz_i32_u32_e32 v12, v11
	s_delay_alu instid0(VALU_DEP_1) | instskip(NEXT) | instid1(VALU_DEP_1)
	v_min_u32_e32 v12, 32, v12
	v_lshlrev_b64 v[10:11], v12, v[10:11]
	s_delay_alu instid0(VALU_DEP_1) | instskip(NEXT) | instid1(VALU_DEP_1)
	v_min_u32_e32 v10, 1, v10
	v_or_b32_e32 v10, v11, v10
	v_sub_nc_u32_e32 v11, 32, v12
	s_delay_alu instid0(VALU_DEP_2) | instskip(NEXT) | instid1(VALU_DEP_1)
	v_cvt_f32_u32_e32 v10, v10
	v_ldexp_f32 v10, v10, v11
	s_delay_alu instid0(VALU_DEP_1)
	v_cvt_f16_f32_e32 v10, v10
	s_branch .LBB185_1378
.LBB185_1377:
	s_mov_b32 s0, -1
                                        ; implicit-def: $sgpr2
                                        ; implicit-def: $vgpr10
.LBB185_1378:
	v_mov_b32_e32 v11, s2
.LBB185_1379:
	s_branch .LBB185_1399
.LBB185_1380:
	v_cmp_gt_i16_e32 vcc_lo, 27, v9
	s_cbranch_vccnz .LBB185_1383
; %bb.1381:
	v_cmp_lt_i16_e32 vcc_lo, 27, v9
	s_cbranch_vccz .LBB185_1384
; %bb.1382:
	global_load_b32 v10, v[7:8], off
	s_mov_b32 s10, 0
	s_mov_b32 s2, 0
	s_waitcnt vmcnt(0)
	v_cvt_f32_u32_e32 v10, v10
	s_delay_alu instid0(VALU_DEP_1)
	v_cvt_f16_f32_e32 v10, v10
	s_branch .LBB185_1385
.LBB185_1383:
	s_mov_b32 s10, -1
                                        ; implicit-def: $sgpr2
                                        ; implicit-def: $vgpr10
	s_branch .LBB185_1388
.LBB185_1384:
	s_mov_b32 s10, -1
                                        ; implicit-def: $sgpr2
                                        ; implicit-def: $vgpr10
.LBB185_1385:
	s_delay_alu instid0(SALU_CYCLE_1)
	s_and_not1_b32 vcc_lo, exec_lo, s10
	s_cbranch_vccnz .LBB185_1387
; %bb.1386:
	global_load_u16 v10, v[7:8], off
	s_mov_b32 s2, 0
	s_waitcnt vmcnt(0)
	v_cvt_f16_u16_e32 v10, v10
.LBB185_1387:
	s_mov_b32 s10, 0
.LBB185_1388:
	v_mov_b32_e32 v11, s2
	s_and_not1_b32 vcc_lo, exec_lo, s10
	s_cbranch_vccnz .LBB185_1398
; %bb.1389:
	global_load_u8 v12, v[7:8], off
	s_mov_b32 s2, 0
	s_mov_b32 s12, exec_lo
                                        ; implicit-def: $sgpr11
                                        ; implicit-def: $sgpr10
	s_waitcnt vmcnt(0)
	v_cmpx_lt_i16_e32 0x7f, v12
	s_xor_b32 s12, exec_lo, s12
	s_cbranch_execz .LBB185_1393
; %bb.1390:
	s_mov_b32 s2, -1
	s_mov_b32 s13, exec_lo
                                        ; implicit-def: $sgpr11
                                        ; implicit-def: $sgpr10
	v_cmpx_eq_u16_e32 0x80, v12
; %bb.1391:
	s_movk_i32 s10, 0x7e00
	s_mov_b32 s11, 0
	s_xor_b32 s2, exec_lo, -1
; %bb.1392:
	s_or_b32 exec_lo, exec_lo, s13
	s_delay_alu instid0(SALU_CYCLE_1)
	s_and_b32 s2, s2, exec_lo
.LBB185_1393:
	s_or_saveexec_b32 s12, s12
	v_dual_mov_b32 v11, s11 :: v_dual_mov_b32 v10, s10
	s_xor_b32 exec_lo, exec_lo, s12
; %bb.1394:
	v_cmp_ne_u16_e32 vcc_lo, 0, v12
	v_dual_mov_b32 v11, 0 :: v_dual_mov_b32 v10, v12
	s_and_not1_b32 s2, s2, exec_lo
	s_and_b32 s10, vcc_lo, exec_lo
	s_delay_alu instid0(SALU_CYCLE_1)
	s_or_b32 s2, s2, s10
; %bb.1395:
	s_or_b32 exec_lo, exec_lo, s12
	s_and_saveexec_b32 s10, s2
	s_cbranch_execz .LBB185_1397
; %bb.1396:
	v_and_b32_e32 v10, 0xffff, v12
	v_lshlrev_b32_e32 v12, 24, v12
	s_delay_alu instid0(VALU_DEP_2) | instskip(NEXT) | instid1(VALU_DEP_2)
	v_and_b32_e32 v11, 7, v10
	v_and_b32_e32 v12, 0x80000000, v12
	s_delay_alu instid0(VALU_DEP_2) | instskip(NEXT) | instid1(VALU_DEP_1)
	v_clz_i32_u32_e32 v13, v11
	v_min_u32_e32 v13, 32, v13
	s_delay_alu instid0(VALU_DEP_1) | instskip(SKIP_1) | instid1(VALU_DEP_2)
	v_subrev_nc_u32_e32 v14, 28, v13
	v_sub_nc_u32_e32 v13, 29, v13
	v_lshlrev_b32_e32 v14, v14, v10
	v_bfe_u32 v10, v10, 3, 4
	s_delay_alu instid0(VALU_DEP_2) | instskip(NEXT) | instid1(VALU_DEP_2)
	v_and_b32_e32 v14, 7, v14
	v_cmp_eq_u32_e32 vcc_lo, 0, v10
	s_delay_alu instid0(VALU_DEP_2) | instskip(NEXT) | instid1(VALU_DEP_1)
	v_dual_cndmask_b32 v10, v10, v13 :: v_dual_cndmask_b32 v11, v11, v14
	v_lshl_add_u32 v10, v10, 23, 0x3b800000
	s_delay_alu instid0(VALU_DEP_2) | instskip(NEXT) | instid1(VALU_DEP_1)
	v_lshlrev_b32_e32 v11, 20, v11
	v_or3_b32 v10, v12, v10, v11
	v_mov_b32_e32 v11, 0
	s_delay_alu instid0(VALU_DEP_2)
	v_cvt_f16_f32_e32 v10, v10
.LBB185_1397:
	s_or_b32 exec_lo, exec_lo, s10
.LBB185_1398:
	s_mov_b32 s10, -1
.LBB185_1399:
	s_branch .LBB185_1430
.LBB185_1400:
	v_cmp_lt_i16_e32 vcc_lo, 22, v9
	s_cbranch_vccz .LBB185_1412
; %bb.1401:
	v_cmp_gt_i16_e32 vcc_lo, 24, v9
	s_cbranch_vccnz .LBB185_1413
; %bb.1402:
	v_cmp_lt_i16_e32 vcc_lo, 24, v9
	s_cbranch_vccz .LBB185_1414
; %bb.1403:
	global_load_u8 v12, v[7:8], off
	s_mov_b32 s11, exec_lo
                                        ; implicit-def: $sgpr10
                                        ; implicit-def: $sgpr2
	s_waitcnt vmcnt(0)
	v_cmpx_lt_i16_e32 0x7f, v12
	s_xor_b32 s11, exec_lo, s11
	s_cbranch_execz .LBB185_1407
; %bb.1404:
	s_mov_b32 s1, -1
	s_mov_b32 s12, exec_lo
                                        ; implicit-def: $sgpr10
                                        ; implicit-def: $sgpr2
	v_cmpx_eq_u16_e32 0x80, v12
; %bb.1405:
	s_movk_i32 s2, 0x7e00
	s_mov_b32 s10, 0
	s_xor_b32 s1, exec_lo, -1
; %bb.1406:
	s_or_b32 exec_lo, exec_lo, s12
	s_delay_alu instid0(SALU_CYCLE_1)
	s_and_b32 s1, s1, exec_lo
.LBB185_1407:
	s_or_saveexec_b32 s11, s11
	v_dual_mov_b32 v11, s10 :: v_dual_mov_b32 v10, s2
	s_xor_b32 exec_lo, exec_lo, s11
; %bb.1408:
	v_cmp_ne_u16_e32 vcc_lo, 0, v12
	v_dual_mov_b32 v11, 0 :: v_dual_mov_b32 v10, v12
	s_and_not1_b32 s1, s1, exec_lo
	s_and_b32 s2, vcc_lo, exec_lo
	s_delay_alu instid0(SALU_CYCLE_1)
	s_or_b32 s1, s1, s2
; %bb.1409:
	s_or_b32 exec_lo, exec_lo, s11
	s_and_saveexec_b32 s2, s1
	s_cbranch_execz .LBB185_1411
; %bb.1410:
	v_and_b32_e32 v10, 0xffff, v12
	v_lshlrev_b32_e32 v12, 24, v12
	s_delay_alu instid0(VALU_DEP_2) | instskip(NEXT) | instid1(VALU_DEP_2)
	v_and_b32_e32 v11, 3, v10
	v_and_b32_e32 v12, 0x80000000, v12
	s_delay_alu instid0(VALU_DEP_2) | instskip(NEXT) | instid1(VALU_DEP_1)
	v_clz_i32_u32_e32 v13, v11
	v_min_u32_e32 v13, 32, v13
	s_delay_alu instid0(VALU_DEP_1) | instskip(SKIP_1) | instid1(VALU_DEP_2)
	v_subrev_nc_u32_e32 v14, 29, v13
	v_sub_nc_u32_e32 v13, 30, v13
	v_lshlrev_b32_e32 v14, v14, v10
	v_bfe_u32 v10, v10, 2, 5
	s_delay_alu instid0(VALU_DEP_2) | instskip(NEXT) | instid1(VALU_DEP_2)
	v_and_b32_e32 v14, 3, v14
	v_cmp_eq_u32_e32 vcc_lo, 0, v10
	s_delay_alu instid0(VALU_DEP_2) | instskip(NEXT) | instid1(VALU_DEP_1)
	v_dual_cndmask_b32 v10, v10, v13 :: v_dual_cndmask_b32 v11, v11, v14
	v_lshl_add_u32 v10, v10, 23, 0x37800000
	s_delay_alu instid0(VALU_DEP_2) | instskip(NEXT) | instid1(VALU_DEP_1)
	v_lshlrev_b32_e32 v11, 21, v11
	v_or3_b32 v10, v12, v10, v11
	v_mov_b32_e32 v11, 0
	s_delay_alu instid0(VALU_DEP_2)
	v_cvt_f16_f32_e32 v10, v10
.LBB185_1411:
	s_or_b32 exec_lo, exec_lo, s2
	s_mov_b32 s1, 0
	s_branch .LBB185_1415
.LBB185_1412:
                                        ; implicit-def: $vgpr11
                                        ; implicit-def: $vgpr10
	s_mov_b32 s1, 0
	s_branch .LBB185_1421
.LBB185_1413:
	s_mov_b32 s1, -1
                                        ; implicit-def: $vgpr11
                                        ; implicit-def: $vgpr10
	s_branch .LBB185_1418
.LBB185_1414:
	s_mov_b32 s1, -1
                                        ; implicit-def: $vgpr11
                                        ; implicit-def: $vgpr10
.LBB185_1415:
	s_delay_alu instid0(SALU_CYCLE_1)
	s_and_b32 vcc_lo, exec_lo, s1
	s_cbranch_vccz .LBB185_1417
; %bb.1416:
	global_load_u8 v10, v[7:8], off
	s_waitcnt vmcnt(0)
	v_lshlrev_b32_e32 v10, 24, v10
	s_delay_alu instid0(VALU_DEP_1) | instskip(NEXT) | instid1(VALU_DEP_1)
	v_and_b32_e32 v11, 0x7f000000, v10
	v_clz_i32_u32_e32 v12, v11
	v_add_nc_u32_e32 v14, 0x1000000, v11
	v_cmp_ne_u32_e32 vcc_lo, 0, v11
	s_delay_alu instid0(VALU_DEP_3) | instskip(NEXT) | instid1(VALU_DEP_1)
	v_min_u32_e32 v12, 32, v12
	v_sub_nc_u32_e64 v12, v12, 4 clamp
	s_delay_alu instid0(VALU_DEP_1) | instskip(SKIP_1) | instid1(VALU_DEP_2)
	v_lshlrev_b32_e32 v13, v12, v11
	v_lshlrev_b32_e32 v12, 23, v12
	v_lshrrev_b32_e32 v13, 4, v13
	s_delay_alu instid0(VALU_DEP_1) | instskip(SKIP_1) | instid1(VALU_DEP_2)
	v_sub_nc_u32_e32 v12, v13, v12
	v_ashrrev_i32_e32 v13, 8, v14
	v_add_nc_u32_e32 v12, 0x3c000000, v12
	s_delay_alu instid0(VALU_DEP_1) | instskip(NEXT) | instid1(VALU_DEP_1)
	v_and_or_b32 v12, 0x7f800000, v13, v12
	v_cndmask_b32_e32 v11, 0, v12, vcc_lo
	s_delay_alu instid0(VALU_DEP_1) | instskip(SKIP_1) | instid1(VALU_DEP_2)
	v_and_or_b32 v10, 0x80000000, v10, v11
	v_mov_b32_e32 v11, 0
	v_cvt_f16_f32_e32 v10, v10
.LBB185_1417:
	s_mov_b32 s1, 0
.LBB185_1418:
	s_delay_alu instid0(SALU_CYCLE_1)
	s_and_not1_b32 vcc_lo, exec_lo, s1
	s_cbranch_vccnz .LBB185_1420
; %bb.1419:
	global_load_u8 v10, v[7:8], off
	s_waitcnt vmcnt(0)
	v_lshlrev_b32_e32 v11, 25, v10
	v_lshlrev_b16 v10, 8, v10
	s_delay_alu instid0(VALU_DEP_2) | instskip(NEXT) | instid1(VALU_DEP_2)
	v_lshrrev_b32_e32 v12, 4, v11
	v_and_or_b32 v13, 0x7f00, v10, 0.5
	v_bfe_i32 v10, v10, 0, 16
	s_delay_alu instid0(VALU_DEP_3) | instskip(NEXT) | instid1(VALU_DEP_1)
	v_or_b32_e32 v12, 0x70000000, v12
	v_dual_add_f32 v13, -0.5, v13 :: v_dual_mul_f32 v12, 0x7800000, v12
	v_cmp_gt_u32_e32 vcc_lo, 0x8000000, v11
	s_delay_alu instid0(VALU_DEP_2) | instskip(NEXT) | instid1(VALU_DEP_1)
	v_cndmask_b32_e32 v11, v12, v13, vcc_lo
	v_and_or_b32 v10, 0x80000000, v10, v11
	v_mov_b32_e32 v11, 0
	s_delay_alu instid0(VALU_DEP_2)
	v_cvt_f16_f32_e32 v10, v10
.LBB185_1420:
	s_mov_b32 s10, -1
	s_mov_b32 s1, 0
	s_cbranch_execnz .LBB185_1430
.LBB185_1421:
	v_cmp_lt_i16_e32 vcc_lo, 14, v9
	s_cbranch_vccz .LBB185_1424
; %bb.1422:
	v_cmp_eq_u16_e32 vcc_lo, 15, v9
	s_cbranch_vccz .LBB185_1425
; %bb.1423:
	global_load_u16 v10, v[7:8], off
	s_mov_b32 s0, 0
	s_mov_b32 s10, -1
	s_mov_b32 s2, 0
	s_waitcnt vmcnt(0)
	v_lshlrev_b32_e32 v10, 16, v10
	s_delay_alu instid0(VALU_DEP_1)
	v_cvt_f16_f32_e32 v10, v10
	s_branch .LBB185_1427
.LBB185_1424:
	s_mov_b32 s1, -1
	s_branch .LBB185_1426
.LBB185_1425:
	s_mov_b32 s0, -1
.LBB185_1426:
                                        ; implicit-def: $sgpr2
                                        ; implicit-def: $vgpr10
.LBB185_1427:
	s_and_b32 vcc_lo, exec_lo, s1
	s_mov_b32 s1, 0
	s_cbranch_vccz .LBB185_1429
; %bb.1428:
	v_cmp_ne_u16_e64 s0, 11, v9
	s_mov_b32 s1, -1
                                        ; implicit-def: $sgpr2
                                        ; implicit-def: $vgpr10
.LBB185_1429:
	v_mov_b32_e32 v11, s2
.LBB185_1430:
	s_delay_alu instid0(VALU_DEP_2)
	s_and_b32 vcc_lo, exec_lo, s0
	s_mov_b32 s2, s8
	s_cbranch_vccnz .LBB185_1493
; %bb.1431:
	s_and_not1_b32 vcc_lo, exec_lo, s1
	s_cbranch_vccnz .LBB185_1433
.LBB185_1432:
	global_load_u8 v10, v[7:8], off
	v_mov_b32_e32 v11, 0
	s_mov_b32 s10, -1
	s_waitcnt vmcnt(0)
	v_cmp_ne_u16_e32 vcc_lo, 0, v10
	v_cndmask_b32_e64 v10, 0, 0x3c00, vcc_lo
.LBB185_1433:
.LBB185_1434:
	s_and_not1_b32 vcc_lo, exec_lo, s10
	s_cbranch_vccnz .LBB185_2435
.LBB185_1435:
	s_waitcnt vmcnt(0)
	s_delay_alu instid0(VALU_DEP_1) | instskip(NEXT) | instid1(VALU_DEP_2)
	v_cmp_neq_f16_e32 vcc_lo, 0, v10
	v_cmp_neq_f16_e64 s0, 0, v11
	v_cvt_f32_f16_e32 v7, v11
	v_mov_b32_e32 v11, 0
	s_delay_alu instid0(VALU_DEP_3) | instskip(NEXT) | instid1(SALU_CYCLE_1)
	s_or_b32 s0, vcc_lo, s0
	s_and_saveexec_b32 s10, s0
	s_cbranch_execz .LBB185_1465
; %bb.1436:
	v_mov_b32_e32 v11, 0x7f800000
	s_mov_b32 s11, exec_lo
	v_cmpx_neq_f32_e64 0x7f800000, |v7|
	s_cbranch_execz .LBB185_1464
; %bb.1437:
	v_cvt_f32_f16_e32 v11, v10
	s_mov_b32 s0, exec_lo
	v_cmpx_o_f16_e32 v10, v10
	s_xor_b32 s12, exec_lo, s0
	s_cbranch_execz .LBB185_1461
; %bb.1438:
	s_mov_b32 s1, exec_lo
	v_cmpx_neq_f32_e64 0x7f800000, |v11|
	s_xor_b32 s13, exec_lo, s1
	s_cbranch_execz .LBB185_1454
; %bb.1439:
	v_max_f32_e64 v8, |v7|, |v7|
	v_max_f32_e64 v10, |v11|, |v11|
                                        ; implicit-def: $sgpr14
	s_delay_alu instid0(VALU_DEP_1) | instskip(NEXT) | instid1(VALU_DEP_1)
	v_max_f32_e32 v8, v10, v8
	v_cmp_nle_f32_e64 s0, 0x7ed413cb, v8
	s_delay_alu instid0(VALU_DEP_1) | instskip(NEXT) | instid1(SALU_CYCLE_1)
	s_and_saveexec_b32 s1, s0
	s_xor_b32 s1, exec_lo, s1
	s_cbranch_execz .LBB185_1443
; %bb.1440:
	v_cmp_ge_f32_e64 s14, 0x1000000, |v11|
	v_cmp_ge_f32_e64 s15, 0x1000000, |v7|
	s_delay_alu instid0(VALU_DEP_1)
	s_and_b32 s16, s14, s15
	s_mov_b32 s14, 0
	s_and_saveexec_b32 s15, s16
; %bb.1441:
	v_mul_f32_e32 v7, 4.0, v7
	v_mul_f32_e32 v11, 4.0, v11
	s_mov_b32 s14, exec_lo
; %bb.1442:
	s_or_b32 exec_lo, exec_lo, s15
	s_delay_alu instid0(SALU_CYCLE_1)
	s_and_b32 s14, s14, exec_lo
.LBB185_1443:
	s_and_not1_saveexec_b32 s1, s1
; %bb.1444:
	v_mul_f32_e32 v11, 0x3e800000, v11
	v_mul_f32_e32 v7, 0x3e800000, v7
	s_and_not1_b32 s14, s14, exec_lo
; %bb.1445:
	s_or_b32 exec_lo, exec_lo, s1
	s_delay_alu instid0(VALU_DEP_1) | instskip(SKIP_1) | instid1(VALU_DEP_1)
	v_max_f32_e64 v8, |v7|, |v7|
	v_max_f32_e64 v10, |v11|, |v11|
	v_max_f32_e32 v8, v10, v8
	s_delay_alu instid0(VALU_DEP_1) | instskip(NEXT) | instid1(VALU_DEP_1)
	v_cvt_f64_f32_e32 v[12:13], v8
	v_frexp_exp_i32_f64_e32 v10, v[12:13]
	s_delay_alu instid0(VALU_DEP_1) | instskip(NEXT) | instid1(VALU_DEP_1)
	v_sub_nc_u32_e32 v12, 0, v10
	v_ldexp_f32 v13, |v7|, v12
	v_ldexp_f32 v12, |v11|, v12
	s_delay_alu instid0(VALU_DEP_2) | instskip(SKIP_1) | instid1(VALU_DEP_2)
	v_mul_f32_e32 v13, v13, v13
	v_cmp_neq_f32_e64 s1, 0x7f800000, v8
                                        ; implicit-def: $vgpr8
	v_fmac_f32_e32 v13, v12, v12
	s_delay_alu instid0(VALU_DEP_1) | instskip(SKIP_2) | instid1(VALU_DEP_1)
	v_sqrt_f32_e32 v12, v13
	s_waitcnt_depctr 0xfff
	v_ldexp_f32 v10, v12, v10
	v_cndmask_b32_e64 v12, 0x7f800000, v10, s1
                                        ; implicit-def: $vgpr10
	s_mov_b32 s1, exec_lo
	v_cmpx_le_f32_e32 0, v11
	s_xor_b32 s15, exec_lo, s1
	s_cbranch_execz .LBB185_1447
; %bb.1446:
	v_add_f32_e32 v8, v11, v12
	s_delay_alu instid0(VALU_DEP_1) | instskip(NEXT) | instid1(VALU_DEP_1)
	v_mul_f32_e32 v8, 0.5, v8
	v_mul_f32_e32 v10, 0x4f800000, v8
	v_cmp_gt_f32_e32 vcc_lo, 0xf800000, v8
	s_delay_alu instid0(VALU_DEP_2) | instskip(NEXT) | instid1(VALU_DEP_1)
	v_cndmask_b32_e32 v8, v8, v10, vcc_lo
	v_sqrt_f32_e32 v10, v8
	s_waitcnt_depctr 0xfff
	v_add_nc_u32_e32 v11, -1, v10
	v_add_nc_u32_e32 v12, 1, v10
	s_delay_alu instid0(VALU_DEP_2) | instskip(NEXT) | instid1(VALU_DEP_2)
	v_fma_f32 v13, -v11, v10, v8
	v_fma_f32 v14, -v12, v10, v8
	s_delay_alu instid0(VALU_DEP_2) | instskip(NEXT) | instid1(VALU_DEP_1)
	v_cmp_ge_f32_e64 s1, 0, v13
	v_cndmask_b32_e64 v10, v10, v11, s1
	s_delay_alu instid0(VALU_DEP_3) | instskip(NEXT) | instid1(VALU_DEP_1)
	v_cmp_lt_f32_e64 s1, 0, v14
	v_cndmask_b32_e64 v10, v10, v12, s1
	s_delay_alu instid0(VALU_DEP_1) | instskip(NEXT) | instid1(VALU_DEP_1)
	v_mul_f32_e32 v11, 0x37800000, v10
	v_cndmask_b32_e32 v10, v10, v11, vcc_lo
	v_cmp_class_f32_e64 vcc_lo, v8, 0x260
	s_delay_alu instid0(VALU_DEP_2) | instskip(NEXT) | instid1(VALU_DEP_1)
	v_cndmask_b32_e32 v8, v10, v8, vcc_lo
	v_add_f32_e32 v10, v8, v8
	s_delay_alu instid0(VALU_DEP_1) | instskip(NEXT) | instid1(VALU_DEP_1)
	v_div_scale_f32 v11, null, v10, v10, v7
	v_rcp_f32_e32 v12, v11
	s_waitcnt_depctr 0xfff
	v_fma_f32 v13, -v11, v12, 1.0
	s_delay_alu instid0(VALU_DEP_1) | instskip(SKIP_1) | instid1(VALU_DEP_1)
	v_fmac_f32_e32 v12, v13, v12
	v_div_scale_f32 v13, vcc_lo, v7, v10, v7
	v_mul_f32_e32 v14, v13, v12
	s_delay_alu instid0(VALU_DEP_1) | instskip(NEXT) | instid1(VALU_DEP_1)
	v_fma_f32 v15, -v11, v14, v13
	v_fmac_f32_e32 v14, v15, v12
	s_delay_alu instid0(VALU_DEP_1) | instskip(NEXT) | instid1(VALU_DEP_1)
	v_fma_f32 v11, -v11, v14, v13
	v_div_fmas_f32 v11, v11, v12, v14
                                        ; implicit-def: $vgpr12
	s_delay_alu instid0(VALU_DEP_1)
	v_div_fixup_f32 v10, v11, v10, v7
                                        ; implicit-def: $vgpr11
                                        ; implicit-def: $vgpr7
	s_and_not1_saveexec_b32 s15, s15
	s_cbranch_execz .LBB185_1449
	s_branch .LBB185_1448
.LBB185_1447:
	s_and_not1_saveexec_b32 s15, s15
	s_cbranch_execz .LBB185_1449
.LBB185_1448:
	v_sub_f32_e32 v8, v12, v11
	s_delay_alu instid0(VALU_DEP_1) | instskip(NEXT) | instid1(VALU_DEP_1)
	v_mul_f32_e32 v8, 0.5, v8
	v_mul_f32_e32 v10, 0x4f800000, v8
	v_cmp_gt_f32_e32 vcc_lo, 0xf800000, v8
	s_delay_alu instid0(VALU_DEP_2) | instskip(NEXT) | instid1(VALU_DEP_1)
	v_cndmask_b32_e32 v8, v8, v10, vcc_lo
	v_sqrt_f32_e32 v10, v8
	s_waitcnt_depctr 0xfff
	v_add_nc_u32_e32 v11, -1, v10
	v_add_nc_u32_e32 v12, 1, v10
	s_delay_alu instid0(VALU_DEP_2) | instskip(NEXT) | instid1(VALU_DEP_2)
	v_fma_f32 v13, -v11, v10, v8
	v_fma_f32 v14, -v12, v10, v8
	s_delay_alu instid0(VALU_DEP_2) | instskip(NEXT) | instid1(VALU_DEP_1)
	v_cmp_ge_f32_e64 s1, 0, v13
	v_cndmask_b32_e64 v10, v10, v11, s1
	s_delay_alu instid0(VALU_DEP_3) | instskip(NEXT) | instid1(VALU_DEP_1)
	v_cmp_lt_f32_e64 s1, 0, v14
	v_cndmask_b32_e64 v10, v10, v12, s1
	s_delay_alu instid0(VALU_DEP_1) | instskip(NEXT) | instid1(VALU_DEP_1)
	v_mul_f32_e32 v11, 0x37800000, v10
	v_cndmask_b32_e32 v10, v10, v11, vcc_lo
	v_cmp_class_f32_e64 vcc_lo, v8, 0x260
	s_delay_alu instid0(VALU_DEP_2) | instskip(NEXT) | instid1(VALU_DEP_1)
	v_cndmask_b32_e32 v10, v10, v8, vcc_lo
	v_dual_add_f32 v11, v10, v10 :: v_dual_and_b32 v8, 0x7fffffff, v7
	v_bfi_b32 v10, 0x7fffffff, v10, v7
	s_delay_alu instid0(VALU_DEP_2) | instskip(SKIP_1) | instid1(VALU_DEP_2)
	v_div_scale_f32 v12, null, v11, v11, v8
	v_div_scale_f32 v8, vcc_lo, v8, v11, v8
	v_rcp_f32_e32 v13, v12
	s_waitcnt_depctr 0xfff
	v_fma_f32 v14, -v12, v13, 1.0
	s_delay_alu instid0(VALU_DEP_1) | instskip(NEXT) | instid1(VALU_DEP_1)
	v_fmac_f32_e32 v13, v14, v13
	v_mul_f32_e32 v14, v8, v13
	s_delay_alu instid0(VALU_DEP_1) | instskip(NEXT) | instid1(VALU_DEP_1)
	v_fma_f32 v15, -v12, v14, v8
	v_fmac_f32_e32 v14, v15, v13
	s_delay_alu instid0(VALU_DEP_1) | instskip(NEXT) | instid1(VALU_DEP_1)
	v_fma_f32 v8, -v12, v14, v8
	v_div_fmas_f32 v8, v8, v13, v14
	s_delay_alu instid0(VALU_DEP_1)
	v_div_fixup_f32 v8, v8, v11, |v7|
.LBB185_1449:
	s_or_b32 exec_lo, exec_lo, s15
                                        ; implicit-def: $vgpr7
                                        ; implicit-def: $vgpr11
	s_and_saveexec_b32 s1, s0
	s_delay_alu instid0(SALU_CYCLE_1)
	s_xor_b32 s0, exec_lo, s1
	s_cbranch_execz .LBB185_1451
; %bb.1450:
	v_dual_mul_f32 v7, 0.5, v8 :: v_dual_mul_f32 v12, 0.5, v10
	s_delay_alu instid0(VALU_DEP_1) | instskip(NEXT) | instid1(VALU_DEP_2)
	v_cndmask_b32_e64 v11, v8, v7, s14
	v_cndmask_b32_e64 v7, v10, v12, s14
                                        ; implicit-def: $vgpr8
                                        ; implicit-def: $vgpr10
	s_and_not1_saveexec_b32 s0, s0
	s_cbranch_execnz .LBB185_1452
	s_branch .LBB185_1453
.LBB185_1451:
	s_and_not1_saveexec_b32 s0, s0
.LBB185_1452:
	v_add_f32_e32 v11, v8, v8
	v_add_f32_e32 v7, v10, v10
.LBB185_1453:
	s_or_b32 exec_lo, exec_lo, s0
                                        ; implicit-def: $vgpr10
.LBB185_1454:
	s_and_not1_saveexec_b32 s0, s13
	s_cbranch_execz .LBB185_1460
; %bb.1455:
	s_delay_alu instid0(VALU_DEP_1)
	v_sub_f32_e32 v8, v7, v7
	s_mov_b32 s1, exec_lo
	v_cmpx_lt_i16_e32 -1, v10
	s_xor_b32 s1, exec_lo, s1
; %bb.1456:
	s_delay_alu instid0(VALU_DEP_2)
	v_bfi_b32 v7, 0x7fffffff, v8, v7
                                        ; implicit-def: $vgpr8
; %bb.1457:
	s_and_not1_saveexec_b32 s1, s1
; %bb.1458:
	v_and_b32_e32 v8, 0x7fffffff, v8
	s_delay_alu instid0(VALU_DEP_2) | instskip(NEXT) | instid1(VALU_DEP_2)
	v_bfi_b32 v7, 0x7fffffff, v11, v7
	v_mov_b32_e32 v11, v8
; %bb.1459:
	s_or_b32 exec_lo, exec_lo, s1
.LBB185_1460:
	s_delay_alu instid0(SALU_CYCLE_1)
	s_or_b32 exec_lo, exec_lo, s0
.LBB185_1461:
	s_and_not1_saveexec_b32 s0, s12
; %bb.1462:
	v_sub_f32_e32 v7, v7, v7
	s_delay_alu instid0(VALU_DEP_1) | instskip(NEXT) | instid1(VALU_DEP_1)
	v_div_scale_f32 v8, vcc_lo, v7, v7, v7
	v_rcp_f32_e32 v10, v8
	s_waitcnt_depctr 0xfff
	v_fma_f32 v12, -v8, v10, 1.0
	s_delay_alu instid0(VALU_DEP_1) | instskip(NEXT) | instid1(VALU_DEP_1)
	v_fmac_f32_e32 v10, v12, v10
	v_mul_f32_e32 v12, v8, v10
	s_delay_alu instid0(VALU_DEP_1) | instskip(NEXT) | instid1(VALU_DEP_1)
	v_fma_f32 v13, -v8, v12, v8
	v_fmac_f32_e32 v12, v13, v10
	s_delay_alu instid0(VALU_DEP_1) | instskip(NEXT) | instid1(VALU_DEP_1)
	v_fma_f32 v8, -v8, v12, v8
	v_div_fmas_f32 v8, v8, v10, v12
	s_delay_alu instid0(VALU_DEP_1)
	v_div_fixup_f32 v7, v8, v7, v7
; %bb.1463:
	s_or_b32 exec_lo, exec_lo, s0
.LBB185_1464:
	s_delay_alu instid0(SALU_CYCLE_1)
	s_or_b32 exec_lo, exec_lo, s11
.LBB185_1465:
	s_delay_alu instid0(SALU_CYCLE_1)
	s_or_b32 exec_lo, exec_lo, s10
	v_cmp_gt_f32_e32 vcc_lo, 0, v11
                                        ; implicit-def: $vgpr10
                                        ; implicit-def: $vgpr8
	s_mov_b32 s0, exec_lo
	v_cndmask_b32_e64 v12, v11, -v11, vcc_lo
	v_cmp_gt_f32_e32 vcc_lo, 0, v7
	v_cndmask_b32_e64 v13, v7, -v7, vcc_lo
	s_delay_alu instid0(VALU_DEP_1)
	v_cmpx_ge_f32_e32 v12, v13
	s_xor_b32 s1, exec_lo, s0
	s_cbranch_execz .LBB185_1471
; %bb.1466:
	v_cmp_neq_f32_e32 vcc_lo, 0, v11
	v_cmp_neq_f32_e64 s0, 0, v7
                                        ; implicit-def: $vgpr10
                                        ; implicit-def: $vgpr8
	s_delay_alu instid0(VALU_DEP_1) | instskip(NEXT) | instid1(SALU_CYCLE_1)
	s_or_b32 s0, vcc_lo, s0
	s_and_saveexec_b32 s10, s0
	s_delay_alu instid0(SALU_CYCLE_1)
	s_xor_b32 s0, exec_lo, s10
	s_cbranch_execz .LBB185_1468
; %bb.1467:
	v_div_scale_f32 v8, null, v11, v11, v7
	v_div_scale_f32 v13, vcc_lo, v7, v11, v7
	s_delay_alu instid0(VALU_DEP_2) | instskip(SKIP_2) | instid1(VALU_DEP_1)
	v_rcp_f32_e32 v10, v8
	s_waitcnt_depctr 0xfff
	v_fma_f32 v12, -v8, v10, 1.0
	v_fmac_f32_e32 v10, v12, v10
	s_delay_alu instid0(VALU_DEP_1) | instskip(NEXT) | instid1(VALU_DEP_1)
	v_mul_f32_e32 v12, v13, v10
	v_fma_f32 v14, -v8, v12, v13
	s_delay_alu instid0(VALU_DEP_1) | instskip(NEXT) | instid1(VALU_DEP_1)
	v_fmac_f32_e32 v12, v14, v10
	v_fma_f32 v8, -v8, v12, v13
	s_delay_alu instid0(VALU_DEP_1) | instskip(NEXT) | instid1(VALU_DEP_1)
	v_div_fmas_f32 v8, v8, v10, v12
	v_div_fixup_f32 v10, v8, v11, v7
	s_delay_alu instid0(VALU_DEP_1) | instskip(NEXT) | instid1(VALU_DEP_1)
	v_fmac_f32_e32 v11, v7, v10
	v_div_scale_f32 v7, null, v11, v11, 1.0
	s_delay_alu instid0(VALU_DEP_1) | instskip(SKIP_2) | instid1(VALU_DEP_1)
	v_rcp_f32_e32 v8, v7
	s_waitcnt_depctr 0xfff
	v_fma_f32 v12, -v7, v8, 1.0
	v_fmac_f32_e32 v8, v12, v8
	v_div_scale_f32 v13, vcc_lo, 1.0, v11, 1.0
	s_delay_alu instid0(VALU_DEP_1) | instskip(NEXT) | instid1(VALU_DEP_1)
	v_mul_f32_e32 v12, v13, v8
	v_fma_f32 v14, -v7, v12, v13
	s_delay_alu instid0(VALU_DEP_1) | instskip(NEXT) | instid1(VALU_DEP_1)
	v_fmac_f32_e32 v12, v14, v8
	v_fma_f32 v7, -v7, v12, v13
                                        ; implicit-def: $vgpr13
	s_delay_alu instid0(VALU_DEP_1) | instskip(SKIP_1) | instid1(VALU_DEP_2)
	v_div_fmas_f32 v7, v7, v8, v12
	v_fma_f32 v8, v10, 0, 1.0
                                        ; implicit-def: $vgpr12
	v_div_fixup_f32 v7, v7, v11, 1.0
	s_delay_alu instid0(VALU_DEP_1)
	v_mul_f32_e32 v8, v8, v7
	v_mul_f32_e64 v10, -v10, v7
.LBB185_1468:
	s_and_not1_saveexec_b32 s10, s0
	s_cbranch_execz .LBB185_1470
; %bb.1469:
	v_div_scale_f32 v7, null, v12, v12, 1.0
	v_div_scale_f32 v8, null, v13, v13, 0
	v_div_scale_f32 v16, vcc_lo, 1.0, v12, 1.0
	s_delay_alu instid0(VALU_DEP_3) | instskip(NEXT) | instid1(VALU_DEP_2)
	v_rcp_f32_e32 v10, v7
	v_rcp_f32_e32 v11, v8
	s_waitcnt_depctr 0xfff
	v_fma_f32 v14, -v7, v10, 1.0
	v_fma_f32 v15, -v8, v11, 1.0
	s_delay_alu instid0(VALU_DEP_1) | instskip(SKIP_1) | instid1(VALU_DEP_2)
	v_dual_fmac_f32 v10, v14, v10 :: v_dual_fmac_f32 v11, v15, v11
	v_div_scale_f32 v14, s0, 0, v13, 0
	v_mul_f32_e32 v15, v16, v10
	s_delay_alu instid0(VALU_DEP_2) | instskip(NEXT) | instid1(VALU_DEP_2)
	v_mul_f32_e32 v17, v14, v11
	v_fma_f32 v18, -v7, v15, v16
	s_delay_alu instid0(VALU_DEP_2) | instskip(NEXT) | instid1(VALU_DEP_2)
	v_fma_f32 v19, -v8, v17, v14
	v_fmac_f32_e32 v15, v18, v10
	s_delay_alu instid0(VALU_DEP_2) | instskip(NEXT) | instid1(VALU_DEP_2)
	v_fmac_f32_e32 v17, v19, v11
	v_fma_f32 v7, -v7, v15, v16
	s_delay_alu instid0(VALU_DEP_2) | instskip(NEXT) | instid1(VALU_DEP_2)
	v_fma_f32 v8, -v8, v17, v14
	v_div_fmas_f32 v7, v7, v10, v15
	s_mov_b32 vcc_lo, s0
	s_delay_alu instid0(VALU_DEP_2) | instskip(NEXT) | instid1(VALU_DEP_2)
	v_div_fmas_f32 v10, v8, v11, v17
	v_div_fixup_f32 v8, v7, v12, 1.0
	s_delay_alu instid0(VALU_DEP_2)
	v_div_fixup_f32 v10, v10, v13, 0
.LBB185_1470:
	s_or_b32 exec_lo, exec_lo, s10
                                        ; implicit-def: $vgpr7
                                        ; implicit-def: $vgpr11
.LBB185_1471:
	s_and_not1_saveexec_b32 s0, s1
	s_cbranch_execz .LBB185_1473
; %bb.1472:
	v_div_scale_f32 v8, null, v7, v7, v11
	v_div_scale_f32 v13, vcc_lo, v11, v7, v11
	s_delay_alu instid0(VALU_DEP_2) | instskip(SKIP_2) | instid1(VALU_DEP_1)
	v_rcp_f32_e32 v10, v8
	s_waitcnt_depctr 0xfff
	v_fma_f32 v12, -v8, v10, 1.0
	v_fmac_f32_e32 v10, v12, v10
	s_delay_alu instid0(VALU_DEP_1) | instskip(NEXT) | instid1(VALU_DEP_1)
	v_mul_f32_e32 v12, v13, v10
	v_fma_f32 v14, -v8, v12, v13
	s_delay_alu instid0(VALU_DEP_1) | instskip(NEXT) | instid1(VALU_DEP_1)
	v_fmac_f32_e32 v12, v14, v10
	v_fma_f32 v8, -v8, v12, v13
	s_delay_alu instid0(VALU_DEP_1) | instskip(NEXT) | instid1(VALU_DEP_1)
	v_div_fmas_f32 v8, v8, v10, v12
	v_div_fixup_f32 v8, v8, v7, v11
	s_delay_alu instid0(VALU_DEP_1) | instskip(NEXT) | instid1(VALU_DEP_1)
	v_fmac_f32_e32 v7, v11, v8
	v_div_scale_f32 v10, null, v7, v7, 1.0
	v_div_scale_f32 v13, vcc_lo, 1.0, v7, 1.0
	s_delay_alu instid0(VALU_DEP_2) | instskip(SKIP_2) | instid1(VALU_DEP_1)
	v_rcp_f32_e32 v11, v10
	s_waitcnt_depctr 0xfff
	v_fma_f32 v12, -v10, v11, 1.0
	v_fmac_f32_e32 v11, v12, v11
	s_delay_alu instid0(VALU_DEP_1) | instskip(NEXT) | instid1(VALU_DEP_1)
	v_mul_f32_e32 v12, v13, v11
	v_fma_f32 v14, -v10, v12, v13
	s_delay_alu instid0(VALU_DEP_1) | instskip(NEXT) | instid1(VALU_DEP_1)
	v_fmac_f32_e32 v12, v14, v11
	v_fma_f32 v10, -v10, v12, v13
	s_delay_alu instid0(VALU_DEP_1) | instskip(SKIP_1) | instid1(VALU_DEP_2)
	v_div_fmas_f32 v10, v10, v11, v12
	v_add_f32_e32 v11, 0, v8
	v_div_fixup_f32 v7, v10, v7, 1.0
	v_fma_f32 v10, v8, 0, -1.0
	s_delay_alu instid0(VALU_DEP_2) | instskip(NEXT) | instid1(VALU_DEP_2)
	v_mul_f32_e32 v8, v11, v7
	v_mul_f32_e32 v10, v10, v7
.LBB185_1473:
	s_or_b32 exec_lo, exec_lo, s0
	v_cmp_gt_i16_e32 vcc_lo, 11, v9
	v_add_co_u32 v6, s0, s6, v6
	s_delay_alu instid0(VALU_DEP_1)
	v_add_co_ci_u32_e64 v7, null, s7, 0, s0
	s_mov_b32 s10, 0
	s_cbranch_vccnz .LBB185_1480
; %bb.1474:
	v_cmp_lt_i16_e32 vcc_lo, 25, v9
	s_mov_b32 s1, 0
	s_cbranch_vccz .LBB185_1486
; %bb.1475:
	v_cmp_lt_i16_e32 vcc_lo, 28, v9
	s_cbranch_vccz .LBB185_1489
; %bb.1476:
	v_cmp_lt_i16_e32 vcc_lo, 43, v9
	;; [unrolled: 3-line block ×3, first 2 shown]
	s_cbranch_vccz .LBB185_1497
; %bb.1478:
	v_cmp_eq_u16_e32 vcc_lo, 46, v9
	s_mov_b32 s11, 0
	s_cbranch_vccz .LBB185_1542
; %bb.1479:
	global_load_b32 v11, v[6:7], off
	s_mov_b32 s0, 0
	s_mov_b32 s10, -1
	s_waitcnt vmcnt(0)
	v_lshlrev_b32_e32 v12, 16, v11
	v_and_b32_e32 v13, 0xffff0000, v11
	s_delay_alu instid0(VALU_DEP_2) | instskip(NEXT) | instid1(VALU_DEP_2)
	v_cvt_f16_f32_e32 v11, v12
	v_cvt_f16_f32_e32 v12, v13
	s_branch .LBB185_1544
.LBB185_1480:
                                        ; implicit-def: $vgpr12
                                        ; implicit-def: $vgpr11
	s_cbranch_execz .LBB185_1612
; %bb.1481:
	v_cmp_gt_i16_e32 vcc_lo, 5, v9
	s_cbranch_vccnz .LBB185_1487
; %bb.1482:
	v_cmp_gt_i16_e32 vcc_lo, 8, v9
	s_cbranch_vccnz .LBB185_1490
; %bb.1483:
	v_cmp_gt_i16_e32 vcc_lo, 9, v9
	s_cbranch_vccnz .LBB185_1492
; %bb.1484:
	v_cmp_lt_i16_e32 vcc_lo, 9, v9
	s_cbranch_vccz .LBB185_1498
; %bb.1485:
	global_load_b128 v[11:14], v[6:7], off
	s_mov_b32 s0, 0
	s_waitcnt vmcnt(0)
	v_cvt_f32_f64_e32 v11, v[11:12]
	v_cvt_f32_f64_e32 v12, v[13:14]
	s_delay_alu instid0(VALU_DEP_2) | instskip(NEXT) | instid1(VALU_DEP_2)
	v_cvt_f16_f32_e32 v11, v11
	v_cvt_f16_f32_e32 v12, v12
	s_branch .LBB185_1499
.LBB185_1486:
	s_mov_b32 s0, 0
                                        ; implicit-def: $vgpr12
                                        ; implicit-def: $vgpr11
	s_cbranch_execnz .LBB185_1577
	s_branch .LBB185_1608
.LBB185_1487:
                                        ; implicit-def: $vgpr12
                                        ; implicit-def: $vgpr11
	s_branch .LBB185_1518
.LBB185_1488:
	s_branch .LBB185_1613
.LBB185_1489:
	s_mov_b32 s11, -1
	s_mov_b32 s0, 0
                                        ; implicit-def: $vgpr12
                                        ; implicit-def: $vgpr11
	s_branch .LBB185_1556
.LBB185_1490:
	s_mov_b32 s0, -1
                                        ; implicit-def: $vgpr12
                                        ; implicit-def: $vgpr11
	s_branch .LBB185_1505
.LBB185_1491:
	s_mov_b32 s11, -1
	s_mov_b32 s0, 0
                                        ; implicit-def: $vgpr12
                                        ; implicit-def: $vgpr11
	s_branch .LBB185_1550
.LBB185_1492:
	s_mov_b32 s0, -1
                                        ; implicit-def: $vgpr12
                                        ; implicit-def: $vgpr11
	s_branch .LBB185_1502
.LBB185_1493:
	s_cbranch_execnz .LBB185_1538
; %bb.1494:
	s_or_b32 s2, s8, exec_lo
                                        ; implicit-def: $vgpr11
                                        ; implicit-def: $vgpr10
	s_cbranch_execz .LBB185_1432
	s_branch .LBB185_1433
.LBB185_1495:
	s_or_saveexec_b32 s5, s5
                                        ; implicit-def: $sgpr8
	s_delay_alu instid0(SALU_CYCLE_1)
	s_xor_b32 exec_lo, exec_lo, s5
	s_cbranch_execz .LBB185_1159
.LBB185_1496:
	v_add_f32_e64 v8, 0x46000000, |v0|
	s_and_not1_b32 s4, s4, exec_lo
	s_mov_b32 s8, 0
	s_delay_alu instid0(VALU_DEP_1) | instskip(NEXT) | instid1(VALU_DEP_1)
	v_and_b32_e32 v8, 0xff, v8
	v_cmp_ne_u32_e32 vcc_lo, 0, v8
	s_and_b32 s9, vcc_lo, exec_lo
	s_delay_alu instid0(SALU_CYCLE_1)
	s_or_b32 s4, s4, s9
	s_or_b32 exec_lo, exec_lo, s5
	v_mov_b32_e32 v9, s8
	s_and_saveexec_b32 s5, s4
	s_cbranch_execnz .LBB185_1160
	s_branch .LBB185_1161
.LBB185_1497:
	s_mov_b32 s11, -1
	s_mov_b32 s0, 0
	s_branch .LBB185_1543
.LBB185_1498:
	s_mov_b32 s0, -1
                                        ; implicit-def: $vgpr12
                                        ; implicit-def: $vgpr11
.LBB185_1499:
	s_delay_alu instid0(SALU_CYCLE_1)
	s_and_not1_b32 vcc_lo, exec_lo, s0
	s_cbranch_vccnz .LBB185_1501
; %bb.1500:
	global_load_b64 v[11:12], v[6:7], off
	s_waitcnt vmcnt(0)
	v_cvt_f16_f32_e32 v11, v11
	v_cvt_f16_f32_e32 v12, v12
.LBB185_1501:
	s_mov_b32 s0, 0
.LBB185_1502:
	s_delay_alu instid0(SALU_CYCLE_1)
	s_and_not1_b32 vcc_lo, exec_lo, s0
	s_cbranch_vccnz .LBB185_1504
; %bb.1503:
	global_load_b32 v11, v[6:7], off
	s_waitcnt vmcnt(0)
	v_lshrrev_b32_e32 v12, 16, v11
.LBB185_1504:
	s_mov_b32 s0, 0
.LBB185_1505:
	s_delay_alu instid0(SALU_CYCLE_1)
	s_and_not1_b32 vcc_lo, exec_lo, s0
	s_cbranch_vccnz .LBB185_1517
; %bb.1506:
	v_cmp_gt_i16_e32 vcc_lo, 6, v9
	s_cbranch_vccnz .LBB185_1509
; %bb.1507:
	v_cmp_lt_i16_e32 vcc_lo, 6, v9
	s_cbranch_vccz .LBB185_1510
; %bb.1508:
	global_load_b64 v[11:12], v[6:7], off
	s_mov_b32 s1, 0
	s_mov_b32 s0, 0
	s_waitcnt vmcnt(0)
	v_cvt_f32_f64_e32 v11, v[11:12]
	s_delay_alu instid0(VALU_DEP_1)
	v_cvt_f16_f32_e32 v11, v11
	s_branch .LBB185_1511
.LBB185_1509:
	s_mov_b32 s1, -1
                                        ; implicit-def: $sgpr0
                                        ; implicit-def: $vgpr11
	s_branch .LBB185_1514
.LBB185_1510:
	s_mov_b32 s1, -1
                                        ; implicit-def: $sgpr0
                                        ; implicit-def: $vgpr11
.LBB185_1511:
	s_delay_alu instid0(SALU_CYCLE_1)
	s_and_not1_b32 vcc_lo, exec_lo, s1
	s_cbranch_vccnz .LBB185_1513
; %bb.1512:
	global_load_b32 v11, v[6:7], off
	s_mov_b32 s0, 0
	s_waitcnt vmcnt(0)
	v_cvt_f16_f32_e32 v11, v11
.LBB185_1513:
	s_mov_b32 s1, 0
.LBB185_1514:
	s_delay_alu instid0(SALU_CYCLE_1)
	s_and_not1_b32 vcc_lo, exec_lo, s1
	s_cbranch_vccnz .LBB185_1516
; %bb.1515:
	global_load_u16 v11, v[6:7], off
	s_mov_b32 s0, 0
.LBB185_1516:
	s_delay_alu instid0(SALU_CYCLE_1)
	v_mov_b32_e32 v12, s0
.LBB185_1517:
	s_cbranch_execnz .LBB185_1488
.LBB185_1518:
	v_cmp_gt_i16_e32 vcc_lo, 2, v9
	s_cbranch_vccnz .LBB185_1522
; %bb.1519:
	v_cmp_gt_i16_e32 vcc_lo, 3, v9
	s_cbranch_vccnz .LBB185_1523
; %bb.1520:
	v_cmp_lt_i16_e32 vcc_lo, 3, v9
	s_cbranch_vccz .LBB185_1524
; %bb.1521:
	global_load_b64 v[11:12], v[6:7], off
	s_mov_b32 s1, 0
	s_mov_b32 s0, 0
	s_waitcnt vmcnt(0)
	v_xor_b32_e32 v13, v11, v12
	v_cls_i32_e32 v14, v12
	s_delay_alu instid0(VALU_DEP_2) | instskip(NEXT) | instid1(VALU_DEP_2)
	v_ashrrev_i32_e32 v13, 31, v13
	v_add_nc_u32_e32 v14, -1, v14
	s_delay_alu instid0(VALU_DEP_2) | instskip(NEXT) | instid1(VALU_DEP_1)
	v_add_nc_u32_e32 v13, 32, v13
	v_min_u32_e32 v13, v14, v13
	s_delay_alu instid0(VALU_DEP_1) | instskip(NEXT) | instid1(VALU_DEP_1)
	v_lshlrev_b64 v[11:12], v13, v[11:12]
	v_min_u32_e32 v11, 1, v11
	s_delay_alu instid0(VALU_DEP_1) | instskip(SKIP_1) | instid1(VALU_DEP_2)
	v_or_b32_e32 v11, v12, v11
	v_sub_nc_u32_e32 v12, 32, v13
	v_cvt_f32_i32_e32 v11, v11
	s_delay_alu instid0(VALU_DEP_1) | instskip(NEXT) | instid1(VALU_DEP_1)
	v_ldexp_f32 v11, v11, v12
	v_cvt_f16_f32_e32 v11, v11
	s_branch .LBB185_1525
.LBB185_1522:
	s_mov_b32 s1, -1
                                        ; implicit-def: $sgpr0
                                        ; implicit-def: $vgpr11
	s_branch .LBB185_1531
.LBB185_1523:
	s_mov_b32 s1, -1
                                        ; implicit-def: $sgpr0
                                        ; implicit-def: $vgpr11
	s_branch .LBB185_1528
.LBB185_1524:
	s_mov_b32 s1, -1
                                        ; implicit-def: $sgpr0
                                        ; implicit-def: $vgpr11
.LBB185_1525:
	s_delay_alu instid0(SALU_CYCLE_1)
	s_and_not1_b32 vcc_lo, exec_lo, s1
	s_cbranch_vccnz .LBB185_1527
; %bb.1526:
	global_load_b32 v11, v[6:7], off
	s_mov_b32 s0, 0
	s_waitcnt vmcnt(0)
	v_cvt_f32_i32_e32 v11, v11
	s_delay_alu instid0(VALU_DEP_1)
	v_cvt_f16_f32_e32 v11, v11
.LBB185_1527:
	s_mov_b32 s1, 0
.LBB185_1528:
	s_delay_alu instid0(SALU_CYCLE_1)
	s_and_not1_b32 vcc_lo, exec_lo, s1
	s_cbranch_vccnz .LBB185_1530
; %bb.1529:
	global_load_u16 v11, v[6:7], off
	s_mov_b32 s0, 0
	s_waitcnt vmcnt(0)
	v_cvt_f16_i16_e32 v11, v11
.LBB185_1530:
	s_mov_b32 s1, 0
.LBB185_1531:
	s_delay_alu instid0(SALU_CYCLE_1)
	s_and_not1_b32 vcc_lo, exec_lo, s1
	s_cbranch_vccnz .LBB185_1537
; %bb.1532:
	v_cmp_lt_i16_e32 vcc_lo, 0, v9
	s_mov_b32 s1, 0
	s_cbranch_vccz .LBB185_1534
; %bb.1533:
	global_load_i8 v11, v[6:7], off
	s_mov_b32 s0, 0
	s_waitcnt vmcnt(0)
	v_cvt_f16_i16_e32 v11, v11
	s_branch .LBB185_1535
.LBB185_1534:
	s_mov_b32 s1, -1
                                        ; implicit-def: $sgpr0
                                        ; implicit-def: $vgpr11
.LBB185_1535:
	s_delay_alu instid0(SALU_CYCLE_1)
	s_and_not1_b32 vcc_lo, exec_lo, s1
	s_cbranch_vccnz .LBB185_1537
; %bb.1536:
	global_load_u8 v6, v[6:7], off
	s_mov_b32 s0, 0
	s_waitcnt vmcnt(0)
	v_cvt_f16_u16_e32 v11, v6
.LBB185_1537:
	v_mov_b32_e32 v12, s0
	s_branch .LBB185_1613
.LBB185_1538:
	s_trap 2
	s_sendmsg_rtn_b32 s0, sendmsg(MSG_RTN_GET_DOORBELL)
	s_mov_b32 ttmp2, m0
	s_waitcnt lgkmcnt(0)
	s_and_b32 s0, s0, 0x3ff
	s_delay_alu instid0(SALU_CYCLE_1) | instskip(NEXT) | instid1(SALU_CYCLE_1)
	s_bitset1_b32 s0, 10
	s_mov_b32 m0, s0
	s_sendmsg sendmsg(MSG_INTERRUPT)
	s_mov_b32 m0, ttmp2
.LBB185_1539:                           ; =>This Inner Loop Header: Depth=1
	s_sethalt 5
	s_branch .LBB185_1539
.LBB185_1540:
	s_or_saveexec_b32 s8, s8
                                        ; implicit-def: $sgpr9
	s_delay_alu instid0(SALU_CYCLE_1)
	s_xor_b32 exec_lo, exec_lo, s8
	s_cbranch_execz .LBB185_1171
.LBB185_1541:
	v_add_f32_e64 v8, 0x42800000, |v0|
	s_and_not1_b32 s5, s5, exec_lo
	s_mov_b32 s9, 0
	s_delay_alu instid0(VALU_DEP_1) | instskip(NEXT) | instid1(VALU_DEP_1)
	v_and_b32_e32 v8, 0xff, v8
	v_cmp_ne_u32_e32 vcc_lo, 0, v8
	s_and_b32 s10, vcc_lo, exec_lo
	s_delay_alu instid0(SALU_CYCLE_1)
	s_or_b32 s5, s5, s10
	s_or_b32 exec_lo, exec_lo, s8
	v_mov_b32_e32 v9, s9
	s_and_saveexec_b32 s8, s5
	s_cbranch_execnz .LBB185_1172
	s_branch .LBB185_1173
.LBB185_1542:
	s_mov_b32 s0, -1
.LBB185_1543:
                                        ; implicit-def: $vgpr12
                                        ; implicit-def: $vgpr11
.LBB185_1544:
	s_and_b32 vcc_lo, exec_lo, s11
	s_cbranch_vccz .LBB185_1549
; %bb.1545:
	v_cmp_eq_u16_e32 vcc_lo, 44, v9
	s_cbranch_vccz .LBB185_1547
; %bb.1546:
	global_load_u8 v11, v[6:7], off
	s_mov_b32 s0, 0
	s_mov_b32 s10, -1
	s_waitcnt vmcnt(0)
	v_lshlrev_b32_e32 v12, 23, v11
	v_cmp_ne_u32_e32 vcc_lo, 0xff, v11
	s_delay_alu instid0(VALU_DEP_2) | instskip(NEXT) | instid1(VALU_DEP_1)
	v_cvt_f16_f32_e32 v12, v12
	v_cndmask_b32_e32 v12, 0x7e00, v12, vcc_lo
	v_cmp_ne_u32_e32 vcc_lo, 0, v11
	s_delay_alu instid0(VALU_DEP_2)
	v_cndmask_b32_e32 v11, 0, v12, vcc_lo
	s_branch .LBB185_1548
.LBB185_1547:
	s_mov_b32 s0, -1
                                        ; implicit-def: $vgpr11
.LBB185_1548:
	s_delay_alu instid0(SALU_CYCLE_1)
	v_mov_b32_e32 v12, s0
.LBB185_1549:
	s_mov_b32 s11, 0
.LBB185_1550:
	s_delay_alu instid0(SALU_CYCLE_1)
	s_and_b32 vcc_lo, exec_lo, s11
	s_cbranch_vccz .LBB185_1555
; %bb.1551:
	v_cmp_eq_u16_e32 vcc_lo, 29, v9
	s_cbranch_vccz .LBB185_1553
; %bb.1552:
	global_load_b64 v[11:12], v[6:7], off
	s_mov_b32 s0, 0
	s_mov_b32 s10, -1
	s_mov_b32 s11, 0
	s_waitcnt vmcnt(0)
	v_clz_i32_u32_e32 v13, v12
	s_delay_alu instid0(VALU_DEP_1) | instskip(NEXT) | instid1(VALU_DEP_1)
	v_min_u32_e32 v13, 32, v13
	v_lshlrev_b64 v[11:12], v13, v[11:12]
	s_delay_alu instid0(VALU_DEP_1) | instskip(NEXT) | instid1(VALU_DEP_1)
	v_min_u32_e32 v11, 1, v11
	v_or_b32_e32 v11, v12, v11
	v_sub_nc_u32_e32 v12, 32, v13
	s_delay_alu instid0(VALU_DEP_2) | instskip(NEXT) | instid1(VALU_DEP_1)
	v_cvt_f32_u32_e32 v11, v11
	v_ldexp_f32 v11, v11, v12
	s_delay_alu instid0(VALU_DEP_1)
	v_cvt_f16_f32_e32 v11, v11
	s_branch .LBB185_1554
.LBB185_1553:
	s_mov_b32 s0, -1
                                        ; implicit-def: $sgpr11
                                        ; implicit-def: $vgpr11
.LBB185_1554:
	v_mov_b32_e32 v12, s11
.LBB185_1555:
	s_mov_b32 s11, 0
.LBB185_1556:
	s_delay_alu instid0(SALU_CYCLE_1)
	s_and_b32 vcc_lo, exec_lo, s11
	s_cbranch_vccz .LBB185_1576
; %bb.1557:
	v_cmp_gt_i16_e32 vcc_lo, 27, v9
	s_cbranch_vccnz .LBB185_1560
; %bb.1558:
	v_cmp_lt_i16_e32 vcc_lo, 27, v9
	s_cbranch_vccz .LBB185_1561
; %bb.1559:
	global_load_b32 v11, v[6:7], off
	s_mov_b32 s11, 0
	s_mov_b32 s10, 0
	s_waitcnt vmcnt(0)
	v_cvt_f32_u32_e32 v11, v11
	s_delay_alu instid0(VALU_DEP_1)
	v_cvt_f16_f32_e32 v11, v11
	s_branch .LBB185_1562
.LBB185_1560:
	s_mov_b32 s11, -1
                                        ; implicit-def: $sgpr10
                                        ; implicit-def: $vgpr11
	s_branch .LBB185_1565
.LBB185_1561:
	s_mov_b32 s11, -1
                                        ; implicit-def: $sgpr10
                                        ; implicit-def: $vgpr11
.LBB185_1562:
	s_delay_alu instid0(SALU_CYCLE_1)
	s_and_not1_b32 vcc_lo, exec_lo, s11
	s_cbranch_vccnz .LBB185_1564
; %bb.1563:
	global_load_u16 v11, v[6:7], off
	s_mov_b32 s10, 0
	s_waitcnt vmcnt(0)
	v_cvt_f16_u16_e32 v11, v11
.LBB185_1564:
	s_mov_b32 s11, 0
.LBB185_1565:
	v_mov_b32_e32 v12, s10
	s_and_not1_b32 vcc_lo, exec_lo, s11
	s_cbranch_vccnz .LBB185_1575
; %bb.1566:
	global_load_u8 v13, v[6:7], off
	s_mov_b32 s10, 0
	s_mov_b32 s13, exec_lo
                                        ; implicit-def: $sgpr12
                                        ; implicit-def: $sgpr11
	s_waitcnt vmcnt(0)
	v_cmpx_lt_i16_e32 0x7f, v13
	s_xor_b32 s13, exec_lo, s13
	s_cbranch_execz .LBB185_1570
; %bb.1567:
	s_mov_b32 s10, -1
	s_mov_b32 s14, exec_lo
                                        ; implicit-def: $sgpr12
                                        ; implicit-def: $sgpr11
	v_cmpx_eq_u16_e32 0x80, v13
; %bb.1568:
	s_movk_i32 s11, 0x7e00
	s_mov_b32 s12, 0
	s_xor_b32 s10, exec_lo, -1
; %bb.1569:
	s_or_b32 exec_lo, exec_lo, s14
	s_delay_alu instid0(SALU_CYCLE_1)
	s_and_b32 s10, s10, exec_lo
.LBB185_1570:
	s_or_saveexec_b32 s13, s13
	v_dual_mov_b32 v12, s12 :: v_dual_mov_b32 v11, s11
	s_xor_b32 exec_lo, exec_lo, s13
; %bb.1571:
	v_cmp_ne_u16_e32 vcc_lo, 0, v13
	v_dual_mov_b32 v12, 0 :: v_dual_mov_b32 v11, v13
	s_and_not1_b32 s10, s10, exec_lo
	s_and_b32 s11, vcc_lo, exec_lo
	s_delay_alu instid0(SALU_CYCLE_1)
	s_or_b32 s10, s10, s11
; %bb.1572:
	s_or_b32 exec_lo, exec_lo, s13
	s_and_saveexec_b32 s11, s10
	s_cbranch_execz .LBB185_1574
; %bb.1573:
	v_and_b32_e32 v11, 0xffff, v13
	v_lshlrev_b32_e32 v13, 24, v13
	s_delay_alu instid0(VALU_DEP_2) | instskip(NEXT) | instid1(VALU_DEP_2)
	v_and_b32_e32 v12, 7, v11
	v_and_b32_e32 v13, 0x80000000, v13
	s_delay_alu instid0(VALU_DEP_2) | instskip(NEXT) | instid1(VALU_DEP_1)
	v_clz_i32_u32_e32 v14, v12
	v_min_u32_e32 v14, 32, v14
	s_delay_alu instid0(VALU_DEP_1) | instskip(SKIP_1) | instid1(VALU_DEP_2)
	v_subrev_nc_u32_e32 v15, 28, v14
	v_sub_nc_u32_e32 v14, 29, v14
	v_lshlrev_b32_e32 v15, v15, v11
	v_bfe_u32 v11, v11, 3, 4
	s_delay_alu instid0(VALU_DEP_2) | instskip(NEXT) | instid1(VALU_DEP_2)
	v_and_b32_e32 v15, 7, v15
	v_cmp_eq_u32_e32 vcc_lo, 0, v11
	s_delay_alu instid0(VALU_DEP_2) | instskip(NEXT) | instid1(VALU_DEP_1)
	v_dual_cndmask_b32 v11, v11, v14 :: v_dual_cndmask_b32 v12, v12, v15
	v_lshl_add_u32 v11, v11, 23, 0x3b800000
	s_delay_alu instid0(VALU_DEP_2) | instskip(NEXT) | instid1(VALU_DEP_1)
	v_lshlrev_b32_e32 v12, 20, v12
	v_or3_b32 v11, v13, v11, v12
	v_mov_b32_e32 v12, 0
	s_delay_alu instid0(VALU_DEP_2)
	v_cvt_f16_f32_e32 v11, v11
.LBB185_1574:
	s_or_b32 exec_lo, exec_lo, s11
.LBB185_1575:
	s_mov_b32 s10, -1
.LBB185_1576:
	s_branch .LBB185_1608
.LBB185_1577:
	v_cmp_lt_i16_e32 vcc_lo, 22, v9
	s_cbranch_vccz .LBB185_1589
; %bb.1578:
	v_cmp_gt_i16_e32 vcc_lo, 24, v9
	s_cbranch_vccnz .LBB185_1590
; %bb.1579:
	v_cmp_lt_i16_e32 vcc_lo, 24, v9
	s_cbranch_vccz .LBB185_1591
; %bb.1580:
	global_load_u8 v13, v[6:7], off
	s_mov_b32 s12, exec_lo
                                        ; implicit-def: $sgpr11
                                        ; implicit-def: $sgpr10
	s_waitcnt vmcnt(0)
	v_cmpx_lt_i16_e32 0x7f, v13
	s_xor_b32 s12, exec_lo, s12
	s_cbranch_execz .LBB185_1584
; %bb.1581:
	s_mov_b32 s1, -1
	s_mov_b32 s13, exec_lo
                                        ; implicit-def: $sgpr11
                                        ; implicit-def: $sgpr10
	v_cmpx_eq_u16_e32 0x80, v13
; %bb.1582:
	s_movk_i32 s10, 0x7e00
	s_mov_b32 s11, 0
	s_xor_b32 s1, exec_lo, -1
; %bb.1583:
	s_or_b32 exec_lo, exec_lo, s13
	s_delay_alu instid0(SALU_CYCLE_1)
	s_and_b32 s1, s1, exec_lo
.LBB185_1584:
	s_or_saveexec_b32 s12, s12
	v_dual_mov_b32 v12, s11 :: v_dual_mov_b32 v11, s10
	s_xor_b32 exec_lo, exec_lo, s12
; %bb.1585:
	v_cmp_ne_u16_e32 vcc_lo, 0, v13
	v_dual_mov_b32 v12, 0 :: v_dual_mov_b32 v11, v13
	s_and_not1_b32 s1, s1, exec_lo
	s_and_b32 s10, vcc_lo, exec_lo
	s_delay_alu instid0(SALU_CYCLE_1)
	s_or_b32 s1, s1, s10
; %bb.1586:
	s_or_b32 exec_lo, exec_lo, s12
	s_and_saveexec_b32 s10, s1
	s_cbranch_execz .LBB185_1588
; %bb.1587:
	v_and_b32_e32 v11, 0xffff, v13
	v_lshlrev_b32_e32 v13, 24, v13
	s_delay_alu instid0(VALU_DEP_2) | instskip(NEXT) | instid1(VALU_DEP_2)
	v_and_b32_e32 v12, 3, v11
	v_and_b32_e32 v13, 0x80000000, v13
	s_delay_alu instid0(VALU_DEP_2) | instskip(NEXT) | instid1(VALU_DEP_1)
	v_clz_i32_u32_e32 v14, v12
	v_min_u32_e32 v14, 32, v14
	s_delay_alu instid0(VALU_DEP_1) | instskip(SKIP_1) | instid1(VALU_DEP_2)
	v_subrev_nc_u32_e32 v15, 29, v14
	v_sub_nc_u32_e32 v14, 30, v14
	v_lshlrev_b32_e32 v15, v15, v11
	v_bfe_u32 v11, v11, 2, 5
	s_delay_alu instid0(VALU_DEP_2) | instskip(NEXT) | instid1(VALU_DEP_2)
	v_and_b32_e32 v15, 3, v15
	v_cmp_eq_u32_e32 vcc_lo, 0, v11
	s_delay_alu instid0(VALU_DEP_2) | instskip(NEXT) | instid1(VALU_DEP_1)
	v_dual_cndmask_b32 v11, v11, v14 :: v_dual_cndmask_b32 v12, v12, v15
	v_lshl_add_u32 v11, v11, 23, 0x37800000
	s_delay_alu instid0(VALU_DEP_2) | instskip(NEXT) | instid1(VALU_DEP_1)
	v_lshlrev_b32_e32 v12, 21, v12
	v_or3_b32 v11, v13, v11, v12
	v_mov_b32_e32 v12, 0
	s_delay_alu instid0(VALU_DEP_2)
	v_cvt_f16_f32_e32 v11, v11
.LBB185_1588:
	s_or_b32 exec_lo, exec_lo, s10
	s_mov_b32 s1, 0
	s_branch .LBB185_1592
.LBB185_1589:
	s_mov_b32 s1, -1
                                        ; implicit-def: $vgpr12
                                        ; implicit-def: $vgpr11
	s_branch .LBB185_1598
.LBB185_1590:
	s_mov_b32 s1, -1
                                        ; implicit-def: $vgpr12
                                        ; implicit-def: $vgpr11
	s_branch .LBB185_1595
.LBB185_1591:
	s_mov_b32 s1, -1
                                        ; implicit-def: $vgpr12
                                        ; implicit-def: $vgpr11
.LBB185_1592:
	s_delay_alu instid0(SALU_CYCLE_1)
	s_and_b32 vcc_lo, exec_lo, s1
	s_cbranch_vccz .LBB185_1594
; %bb.1593:
	global_load_u8 v11, v[6:7], off
	s_waitcnt vmcnt(0)
	v_lshlrev_b32_e32 v11, 24, v11
	s_delay_alu instid0(VALU_DEP_1) | instskip(NEXT) | instid1(VALU_DEP_1)
	v_and_b32_e32 v12, 0x7f000000, v11
	v_clz_i32_u32_e32 v13, v12
	v_add_nc_u32_e32 v15, 0x1000000, v12
	v_cmp_ne_u32_e32 vcc_lo, 0, v12
	s_delay_alu instid0(VALU_DEP_3) | instskip(NEXT) | instid1(VALU_DEP_1)
	v_min_u32_e32 v13, 32, v13
	v_sub_nc_u32_e64 v13, v13, 4 clamp
	s_delay_alu instid0(VALU_DEP_1) | instskip(SKIP_1) | instid1(VALU_DEP_2)
	v_lshlrev_b32_e32 v14, v13, v12
	v_lshlrev_b32_e32 v13, 23, v13
	v_lshrrev_b32_e32 v14, 4, v14
	s_delay_alu instid0(VALU_DEP_1) | instskip(SKIP_1) | instid1(VALU_DEP_2)
	v_sub_nc_u32_e32 v13, v14, v13
	v_ashrrev_i32_e32 v14, 8, v15
	v_add_nc_u32_e32 v13, 0x3c000000, v13
	s_delay_alu instid0(VALU_DEP_1) | instskip(NEXT) | instid1(VALU_DEP_1)
	v_and_or_b32 v13, 0x7f800000, v14, v13
	v_cndmask_b32_e32 v12, 0, v13, vcc_lo
	s_delay_alu instid0(VALU_DEP_1) | instskip(SKIP_1) | instid1(VALU_DEP_2)
	v_and_or_b32 v11, 0x80000000, v11, v12
	v_mov_b32_e32 v12, 0
	v_cvt_f16_f32_e32 v11, v11
.LBB185_1594:
	s_mov_b32 s1, 0
.LBB185_1595:
	s_delay_alu instid0(SALU_CYCLE_1)
	s_and_not1_b32 vcc_lo, exec_lo, s1
	s_cbranch_vccnz .LBB185_1597
; %bb.1596:
	global_load_u8 v11, v[6:7], off
	s_waitcnt vmcnt(0)
	v_lshlrev_b32_e32 v12, 25, v11
	v_lshlrev_b16 v11, 8, v11
	s_delay_alu instid0(VALU_DEP_2) | instskip(NEXT) | instid1(VALU_DEP_2)
	v_lshrrev_b32_e32 v13, 4, v12
	v_and_or_b32 v14, 0x7f00, v11, 0.5
	v_bfe_i32 v11, v11, 0, 16
	s_delay_alu instid0(VALU_DEP_3) | instskip(NEXT) | instid1(VALU_DEP_1)
	v_or_b32_e32 v13, 0x70000000, v13
	v_dual_add_f32 v14, -0.5, v14 :: v_dual_mul_f32 v13, 0x7800000, v13
	v_cmp_gt_u32_e32 vcc_lo, 0x8000000, v12
	s_delay_alu instid0(VALU_DEP_2) | instskip(NEXT) | instid1(VALU_DEP_1)
	v_cndmask_b32_e32 v12, v13, v14, vcc_lo
	v_and_or_b32 v11, 0x80000000, v11, v12
	v_mov_b32_e32 v12, 0
	s_delay_alu instid0(VALU_DEP_2)
	v_cvt_f16_f32_e32 v11, v11
.LBB185_1597:
	s_mov_b32 s1, 0
	s_mov_b32 s10, -1
.LBB185_1598:
	s_and_not1_b32 vcc_lo, exec_lo, s1
	s_mov_b32 s1, 0
	s_cbranch_vccnz .LBB185_1608
; %bb.1599:
	v_cmp_lt_i16_e32 vcc_lo, 14, v9
	s_cbranch_vccz .LBB185_1602
; %bb.1600:
	v_cmp_eq_u16_e32 vcc_lo, 15, v9
	s_cbranch_vccz .LBB185_1603
; %bb.1601:
	global_load_u16 v11, v[6:7], off
	s_mov_b32 s0, 0
	s_mov_b32 s10, -1
	s_mov_b32 s11, 0
	s_waitcnt vmcnt(0)
	v_lshlrev_b32_e32 v11, 16, v11
	s_delay_alu instid0(VALU_DEP_1)
	v_cvt_f16_f32_e32 v11, v11
	s_branch .LBB185_1605
.LBB185_1602:
	s_mov_b32 s1, -1
	s_branch .LBB185_1604
.LBB185_1603:
	s_mov_b32 s0, -1
.LBB185_1604:
                                        ; implicit-def: $sgpr11
                                        ; implicit-def: $vgpr11
.LBB185_1605:
	s_and_b32 vcc_lo, exec_lo, s1
	s_mov_b32 s1, 0
	s_cbranch_vccz .LBB185_1607
; %bb.1606:
	v_cmp_ne_u16_e64 s0, 11, v9
	s_mov_b32 s1, -1
                                        ; implicit-def: $sgpr11
                                        ; implicit-def: $vgpr11
.LBB185_1607:
	v_mov_b32_e32 v12, s11
.LBB185_1608:
	s_delay_alu instid0(VALU_DEP_2)
	s_and_b32 vcc_lo, exec_lo, s0
	s_cbranch_vccnz .LBB185_1670
; %bb.1609:
	s_and_not1_b32 vcc_lo, exec_lo, s1
	s_cbranch_vccnz .LBB185_1611
.LBB185_1610:
	global_load_u8 v11, v[6:7], off
	v_mov_b32_e32 v12, 0
	s_mov_b32 s10, -1
	s_waitcnt vmcnt(0)
	v_cmp_ne_u16_e32 vcc_lo, 0, v11
	v_cndmask_b32_e64 v11, 0, 0x3c00, vcc_lo
.LBB185_1611:
.LBB185_1612:
	s_and_not1_b32 vcc_lo, exec_lo, s10
	s_cbranch_vccnz .LBB185_2435
.LBB185_1613:
	s_waitcnt vmcnt(0)
	s_delay_alu instid0(VALU_DEP_1) | instskip(NEXT) | instid1(VALU_DEP_2)
	v_cmp_neq_f16_e32 vcc_lo, 0, v11
	v_cmp_neq_f16_e64 s0, 0, v12
	v_cvt_f32_f16_e32 v6, v12
	v_mov_b32_e32 v12, 0
	s_delay_alu instid0(VALU_DEP_3) | instskip(NEXT) | instid1(SALU_CYCLE_1)
	s_or_b32 s0, vcc_lo, s0
	s_and_saveexec_b32 s10, s0
	s_cbranch_execz .LBB185_1643
; %bb.1614:
	v_mov_b32_e32 v12, 0x7f800000
	s_mov_b32 s11, exec_lo
	v_cmpx_neq_f32_e64 0x7f800000, |v6|
	s_cbranch_execz .LBB185_1642
; %bb.1615:
	v_cvt_f32_f16_e32 v12, v11
	s_mov_b32 s0, exec_lo
	v_cmpx_o_f16_e32 v11, v11
	s_xor_b32 s12, exec_lo, s0
	s_cbranch_execz .LBB185_1639
; %bb.1616:
	s_mov_b32 s1, exec_lo
	v_cmpx_neq_f32_e64 0x7f800000, |v12|
	s_xor_b32 s13, exec_lo, s1
	s_cbranch_execz .LBB185_1632
; %bb.1617:
	v_max_f32_e64 v7, |v6|, |v6|
	v_max_f32_e64 v11, |v12|, |v12|
                                        ; implicit-def: $sgpr14
	s_delay_alu instid0(VALU_DEP_1) | instskip(NEXT) | instid1(VALU_DEP_1)
	v_max_f32_e32 v7, v11, v7
	v_cmp_nle_f32_e64 s0, 0x7ed413cb, v7
	s_delay_alu instid0(VALU_DEP_1) | instskip(NEXT) | instid1(SALU_CYCLE_1)
	s_and_saveexec_b32 s1, s0
	s_xor_b32 s1, exec_lo, s1
	s_cbranch_execz .LBB185_1621
; %bb.1618:
	v_cmp_ge_f32_e64 s14, 0x1000000, |v12|
	v_cmp_ge_f32_e64 s15, 0x1000000, |v6|
	s_delay_alu instid0(VALU_DEP_1)
	s_and_b32 s16, s14, s15
	s_mov_b32 s14, 0
	s_and_saveexec_b32 s15, s16
; %bb.1619:
	v_mul_f32_e32 v6, 4.0, v6
	v_mul_f32_e32 v12, 4.0, v12
	s_mov_b32 s14, exec_lo
; %bb.1620:
	s_or_b32 exec_lo, exec_lo, s15
	s_delay_alu instid0(SALU_CYCLE_1)
	s_and_b32 s14, s14, exec_lo
.LBB185_1621:
	s_and_not1_saveexec_b32 s1, s1
; %bb.1622:
	v_mul_f32_e32 v12, 0x3e800000, v12
	v_mul_f32_e32 v6, 0x3e800000, v6
	s_and_not1_b32 s14, s14, exec_lo
; %bb.1623:
	s_or_b32 exec_lo, exec_lo, s1
	s_delay_alu instid0(VALU_DEP_1) | instskip(SKIP_1) | instid1(VALU_DEP_1)
	v_max_f32_e64 v7, |v6|, |v6|
	v_max_f32_e64 v11, |v12|, |v12|
	v_max_f32_e32 v7, v11, v7
	s_delay_alu instid0(VALU_DEP_1) | instskip(NEXT) | instid1(VALU_DEP_1)
	v_cvt_f64_f32_e32 v[13:14], v7
	v_frexp_exp_i32_f64_e32 v11, v[13:14]
	s_delay_alu instid0(VALU_DEP_1) | instskip(NEXT) | instid1(VALU_DEP_1)
	v_sub_nc_u32_e32 v13, 0, v11
	v_ldexp_f32 v14, |v6|, v13
	v_ldexp_f32 v13, |v12|, v13
	s_delay_alu instid0(VALU_DEP_2) | instskip(SKIP_1) | instid1(VALU_DEP_2)
	v_mul_f32_e32 v14, v14, v14
	v_cmp_neq_f32_e64 s1, 0x7f800000, v7
                                        ; implicit-def: $vgpr7
	v_fmac_f32_e32 v14, v13, v13
	s_delay_alu instid0(VALU_DEP_1) | instskip(SKIP_2) | instid1(VALU_DEP_1)
	v_sqrt_f32_e32 v13, v14
	s_waitcnt_depctr 0xfff
	v_ldexp_f32 v11, v13, v11
	v_cndmask_b32_e64 v13, 0x7f800000, v11, s1
                                        ; implicit-def: $vgpr11
	s_mov_b32 s1, exec_lo
	v_cmpx_le_f32_e32 0, v12
	s_xor_b32 s15, exec_lo, s1
	s_cbranch_execz .LBB185_1625
; %bb.1624:
	v_add_f32_e32 v7, v12, v13
	s_delay_alu instid0(VALU_DEP_1) | instskip(NEXT) | instid1(VALU_DEP_1)
	v_mul_f32_e32 v7, 0.5, v7
	v_mul_f32_e32 v11, 0x4f800000, v7
	v_cmp_gt_f32_e32 vcc_lo, 0xf800000, v7
	s_delay_alu instid0(VALU_DEP_2) | instskip(NEXT) | instid1(VALU_DEP_1)
	v_cndmask_b32_e32 v7, v7, v11, vcc_lo
	v_sqrt_f32_e32 v11, v7
	s_waitcnt_depctr 0xfff
	v_add_nc_u32_e32 v12, -1, v11
	v_add_nc_u32_e32 v13, 1, v11
	s_delay_alu instid0(VALU_DEP_2) | instskip(NEXT) | instid1(VALU_DEP_2)
	v_fma_f32 v14, -v12, v11, v7
	v_fma_f32 v15, -v13, v11, v7
	s_delay_alu instid0(VALU_DEP_2) | instskip(NEXT) | instid1(VALU_DEP_1)
	v_cmp_ge_f32_e64 s1, 0, v14
	v_cndmask_b32_e64 v11, v11, v12, s1
	s_delay_alu instid0(VALU_DEP_3) | instskip(NEXT) | instid1(VALU_DEP_1)
	v_cmp_lt_f32_e64 s1, 0, v15
	v_cndmask_b32_e64 v11, v11, v13, s1
	s_delay_alu instid0(VALU_DEP_1) | instskip(NEXT) | instid1(VALU_DEP_1)
	v_mul_f32_e32 v12, 0x37800000, v11
	v_cndmask_b32_e32 v11, v11, v12, vcc_lo
	v_cmp_class_f32_e64 vcc_lo, v7, 0x260
	s_delay_alu instid0(VALU_DEP_2) | instskip(NEXT) | instid1(VALU_DEP_1)
	v_cndmask_b32_e32 v7, v11, v7, vcc_lo
	v_add_f32_e32 v11, v7, v7
	s_delay_alu instid0(VALU_DEP_1) | instskip(NEXT) | instid1(VALU_DEP_1)
	v_div_scale_f32 v12, null, v11, v11, v6
	v_rcp_f32_e32 v13, v12
	s_waitcnt_depctr 0xfff
	v_fma_f32 v14, -v12, v13, 1.0
	s_delay_alu instid0(VALU_DEP_1) | instskip(SKIP_1) | instid1(VALU_DEP_1)
	v_fmac_f32_e32 v13, v14, v13
	v_div_scale_f32 v14, vcc_lo, v6, v11, v6
	v_mul_f32_e32 v15, v14, v13
	s_delay_alu instid0(VALU_DEP_1) | instskip(NEXT) | instid1(VALU_DEP_1)
	v_fma_f32 v16, -v12, v15, v14
	v_fmac_f32_e32 v15, v16, v13
	s_delay_alu instid0(VALU_DEP_1) | instskip(NEXT) | instid1(VALU_DEP_1)
	v_fma_f32 v12, -v12, v15, v14
	v_div_fmas_f32 v12, v12, v13, v15
                                        ; implicit-def: $vgpr13
	s_delay_alu instid0(VALU_DEP_1)
	v_div_fixup_f32 v11, v12, v11, v6
                                        ; implicit-def: $vgpr12
                                        ; implicit-def: $vgpr6
	s_and_not1_saveexec_b32 s15, s15
	s_cbranch_execz .LBB185_1627
	s_branch .LBB185_1626
.LBB185_1625:
	s_and_not1_saveexec_b32 s15, s15
	s_cbranch_execz .LBB185_1627
.LBB185_1626:
	v_sub_f32_e32 v7, v13, v12
	s_delay_alu instid0(VALU_DEP_1) | instskip(NEXT) | instid1(VALU_DEP_1)
	v_mul_f32_e32 v7, 0.5, v7
	v_mul_f32_e32 v11, 0x4f800000, v7
	v_cmp_gt_f32_e32 vcc_lo, 0xf800000, v7
	s_delay_alu instid0(VALU_DEP_2) | instskip(NEXT) | instid1(VALU_DEP_1)
	v_cndmask_b32_e32 v7, v7, v11, vcc_lo
	v_sqrt_f32_e32 v11, v7
	s_waitcnt_depctr 0xfff
	v_add_nc_u32_e32 v12, -1, v11
	v_add_nc_u32_e32 v13, 1, v11
	s_delay_alu instid0(VALU_DEP_2) | instskip(NEXT) | instid1(VALU_DEP_2)
	v_fma_f32 v14, -v12, v11, v7
	v_fma_f32 v15, -v13, v11, v7
	s_delay_alu instid0(VALU_DEP_2) | instskip(NEXT) | instid1(VALU_DEP_1)
	v_cmp_ge_f32_e64 s1, 0, v14
	v_cndmask_b32_e64 v11, v11, v12, s1
	s_delay_alu instid0(VALU_DEP_3) | instskip(NEXT) | instid1(VALU_DEP_1)
	v_cmp_lt_f32_e64 s1, 0, v15
	v_cndmask_b32_e64 v11, v11, v13, s1
	s_delay_alu instid0(VALU_DEP_1) | instskip(NEXT) | instid1(VALU_DEP_1)
	v_mul_f32_e32 v12, 0x37800000, v11
	v_cndmask_b32_e32 v11, v11, v12, vcc_lo
	v_cmp_class_f32_e64 vcc_lo, v7, 0x260
	s_delay_alu instid0(VALU_DEP_2) | instskip(NEXT) | instid1(VALU_DEP_1)
	v_cndmask_b32_e32 v11, v11, v7, vcc_lo
	v_dual_add_f32 v12, v11, v11 :: v_dual_and_b32 v7, 0x7fffffff, v6
	v_bfi_b32 v11, 0x7fffffff, v11, v6
	s_delay_alu instid0(VALU_DEP_2) | instskip(SKIP_1) | instid1(VALU_DEP_2)
	v_div_scale_f32 v13, null, v12, v12, v7
	v_div_scale_f32 v7, vcc_lo, v7, v12, v7
	v_rcp_f32_e32 v14, v13
	s_waitcnt_depctr 0xfff
	v_fma_f32 v15, -v13, v14, 1.0
	s_delay_alu instid0(VALU_DEP_1) | instskip(NEXT) | instid1(VALU_DEP_1)
	v_fmac_f32_e32 v14, v15, v14
	v_mul_f32_e32 v15, v7, v14
	s_delay_alu instid0(VALU_DEP_1) | instskip(NEXT) | instid1(VALU_DEP_1)
	v_fma_f32 v16, -v13, v15, v7
	v_fmac_f32_e32 v15, v16, v14
	s_delay_alu instid0(VALU_DEP_1) | instskip(NEXT) | instid1(VALU_DEP_1)
	v_fma_f32 v7, -v13, v15, v7
	v_div_fmas_f32 v7, v7, v14, v15
	s_delay_alu instid0(VALU_DEP_1)
	v_div_fixup_f32 v7, v7, v12, |v6|
.LBB185_1627:
	s_or_b32 exec_lo, exec_lo, s15
                                        ; implicit-def: $vgpr6
                                        ; implicit-def: $vgpr12
	s_and_saveexec_b32 s1, s0
	s_delay_alu instid0(SALU_CYCLE_1)
	s_xor_b32 s0, exec_lo, s1
	s_cbranch_execz .LBB185_1629
; %bb.1628:
	v_mul_f32_e32 v6, 0.5, v7
	v_mul_f32_e32 v13, 0.5, v11
	s_delay_alu instid0(VALU_DEP_2) | instskip(NEXT) | instid1(VALU_DEP_2)
	v_cndmask_b32_e64 v12, v7, v6, s14
	v_cndmask_b32_e64 v6, v11, v13, s14
                                        ; implicit-def: $vgpr7
                                        ; implicit-def: $vgpr11
	s_and_not1_saveexec_b32 s0, s0
	s_cbranch_execnz .LBB185_1630
	s_branch .LBB185_1631
.LBB185_1629:
	s_and_not1_saveexec_b32 s0, s0
.LBB185_1630:
	v_add_f32_e32 v12, v7, v7
	v_add_f32_e32 v6, v11, v11
.LBB185_1631:
	s_or_b32 exec_lo, exec_lo, s0
                                        ; implicit-def: $vgpr11
.LBB185_1632:
	s_and_not1_saveexec_b32 s0, s13
	s_cbranch_execz .LBB185_1638
; %bb.1633:
	s_delay_alu instid0(VALU_DEP_1)
	v_sub_f32_e32 v7, v6, v6
	s_mov_b32 s1, exec_lo
	v_cmpx_lt_i16_e32 -1, v11
	s_xor_b32 s1, exec_lo, s1
; %bb.1634:
	s_delay_alu instid0(VALU_DEP_2)
	v_bfi_b32 v6, 0x7fffffff, v7, v6
                                        ; implicit-def: $vgpr7
; %bb.1635:
	s_and_not1_saveexec_b32 s1, s1
; %bb.1636:
	v_and_b32_e32 v7, 0x7fffffff, v7
	s_delay_alu instid0(VALU_DEP_2) | instskip(NEXT) | instid1(VALU_DEP_2)
	v_bfi_b32 v6, 0x7fffffff, v12, v6
	v_mov_b32_e32 v12, v7
; %bb.1637:
	s_or_b32 exec_lo, exec_lo, s1
.LBB185_1638:
	s_delay_alu instid0(SALU_CYCLE_1)
	s_or_b32 exec_lo, exec_lo, s0
.LBB185_1639:
	s_and_not1_saveexec_b32 s0, s12
; %bb.1640:
	v_sub_f32_e32 v6, v6, v6
	s_delay_alu instid0(VALU_DEP_1) | instskip(NEXT) | instid1(VALU_DEP_1)
	v_div_scale_f32 v7, vcc_lo, v6, v6, v6
	v_rcp_f32_e32 v11, v7
	s_waitcnt_depctr 0xfff
	v_fma_f32 v13, -v7, v11, 1.0
	s_delay_alu instid0(VALU_DEP_1) | instskip(NEXT) | instid1(VALU_DEP_1)
	v_fmac_f32_e32 v11, v13, v11
	v_mul_f32_e32 v13, v7, v11
	s_delay_alu instid0(VALU_DEP_1) | instskip(NEXT) | instid1(VALU_DEP_1)
	v_fma_f32 v14, -v7, v13, v7
	v_fmac_f32_e32 v13, v14, v11
	s_delay_alu instid0(VALU_DEP_1) | instskip(NEXT) | instid1(VALU_DEP_1)
	v_fma_f32 v7, -v7, v13, v7
	v_div_fmas_f32 v7, v7, v11, v13
	s_delay_alu instid0(VALU_DEP_1)
	v_div_fixup_f32 v6, v7, v6, v6
; %bb.1641:
	s_or_b32 exec_lo, exec_lo, s0
.LBB185_1642:
	s_delay_alu instid0(SALU_CYCLE_1)
	s_or_b32 exec_lo, exec_lo, s11
.LBB185_1643:
	s_delay_alu instid0(SALU_CYCLE_1)
	s_or_b32 exec_lo, exec_lo, s10
	v_cmp_gt_f32_e32 vcc_lo, 0, v12
                                        ; implicit-def: $vgpr11
                                        ; implicit-def: $vgpr7
	s_mov_b32 s0, exec_lo
	v_cndmask_b32_e64 v13, v12, -v12, vcc_lo
	v_cmp_gt_f32_e32 vcc_lo, 0, v6
	v_cndmask_b32_e64 v14, v6, -v6, vcc_lo
	s_delay_alu instid0(VALU_DEP_1)
	v_cmpx_ge_f32_e32 v13, v14
	s_xor_b32 s1, exec_lo, s0
	s_cbranch_execz .LBB185_1649
; %bb.1644:
	v_cmp_neq_f32_e32 vcc_lo, 0, v12
	v_cmp_neq_f32_e64 s0, 0, v6
                                        ; implicit-def: $vgpr11
                                        ; implicit-def: $vgpr7
	s_delay_alu instid0(VALU_DEP_1) | instskip(NEXT) | instid1(SALU_CYCLE_1)
	s_or_b32 s0, vcc_lo, s0
	s_and_saveexec_b32 s10, s0
	s_delay_alu instid0(SALU_CYCLE_1)
	s_xor_b32 s0, exec_lo, s10
	s_cbranch_execz .LBB185_1646
; %bb.1645:
	v_div_scale_f32 v7, null, v12, v12, v6
	v_div_scale_f32 v14, vcc_lo, v6, v12, v6
	s_delay_alu instid0(VALU_DEP_2) | instskip(SKIP_2) | instid1(VALU_DEP_1)
	v_rcp_f32_e32 v11, v7
	s_waitcnt_depctr 0xfff
	v_fma_f32 v13, -v7, v11, 1.0
	v_fmac_f32_e32 v11, v13, v11
	s_delay_alu instid0(VALU_DEP_1) | instskip(NEXT) | instid1(VALU_DEP_1)
	v_mul_f32_e32 v13, v14, v11
	v_fma_f32 v15, -v7, v13, v14
	s_delay_alu instid0(VALU_DEP_1) | instskip(NEXT) | instid1(VALU_DEP_1)
	v_fmac_f32_e32 v13, v15, v11
	v_fma_f32 v7, -v7, v13, v14
	s_delay_alu instid0(VALU_DEP_1) | instskip(NEXT) | instid1(VALU_DEP_1)
	v_div_fmas_f32 v7, v7, v11, v13
	v_div_fixup_f32 v11, v7, v12, v6
	s_delay_alu instid0(VALU_DEP_1) | instskip(NEXT) | instid1(VALU_DEP_1)
	v_fmac_f32_e32 v12, v6, v11
	v_div_scale_f32 v6, null, v12, v12, 1.0
	v_div_scale_f32 v14, vcc_lo, 1.0, v12, 1.0
	s_delay_alu instid0(VALU_DEP_2) | instskip(SKIP_2) | instid1(VALU_DEP_1)
	v_rcp_f32_e32 v7, v6
	s_waitcnt_depctr 0xfff
	v_fma_f32 v13, -v6, v7, 1.0
	v_fmac_f32_e32 v7, v13, v7
	s_delay_alu instid0(VALU_DEP_1) | instskip(NEXT) | instid1(VALU_DEP_1)
	v_mul_f32_e32 v13, v14, v7
	v_fma_f32 v15, -v6, v13, v14
	s_delay_alu instid0(VALU_DEP_1) | instskip(NEXT) | instid1(VALU_DEP_1)
	v_fmac_f32_e32 v13, v15, v7
	v_fma_f32 v6, -v6, v13, v14
                                        ; implicit-def: $vgpr14
	s_delay_alu instid0(VALU_DEP_1) | instskip(SKIP_1) | instid1(VALU_DEP_2)
	v_div_fmas_f32 v6, v6, v7, v13
	v_fma_f32 v7, v11, 0, 1.0
                                        ; implicit-def: $vgpr13
	v_div_fixup_f32 v6, v6, v12, 1.0
	s_delay_alu instid0(VALU_DEP_1)
	v_mul_f32_e32 v7, v7, v6
	v_mul_f32_e64 v11, -v11, v6
.LBB185_1646:
	s_and_not1_saveexec_b32 s10, s0
	s_cbranch_execz .LBB185_1648
; %bb.1647:
	v_div_scale_f32 v6, null, v13, v13, 1.0
	v_div_scale_f32 v7, null, v14, v14, 0
	v_div_scale_f32 v17, vcc_lo, 1.0, v13, 1.0
	s_delay_alu instid0(VALU_DEP_3) | instskip(NEXT) | instid1(VALU_DEP_2)
	v_rcp_f32_e32 v11, v6
	v_rcp_f32_e32 v12, v7
	s_waitcnt_depctr 0xfff
	v_fma_f32 v15, -v6, v11, 1.0
	v_fma_f32 v16, -v7, v12, 1.0
	s_delay_alu instid0(VALU_DEP_1) | instskip(SKIP_1) | instid1(VALU_DEP_2)
	v_dual_fmac_f32 v11, v15, v11 :: v_dual_fmac_f32 v12, v16, v12
	v_div_scale_f32 v15, s0, 0, v14, 0
	v_mul_f32_e32 v16, v17, v11
	s_delay_alu instid0(VALU_DEP_2) | instskip(NEXT) | instid1(VALU_DEP_2)
	v_mul_f32_e32 v18, v15, v12
	v_fma_f32 v19, -v6, v16, v17
	s_delay_alu instid0(VALU_DEP_2) | instskip(NEXT) | instid1(VALU_DEP_2)
	v_fma_f32 v20, -v7, v18, v15
	v_fmac_f32_e32 v16, v19, v11
	s_delay_alu instid0(VALU_DEP_2) | instskip(NEXT) | instid1(VALU_DEP_2)
	v_fmac_f32_e32 v18, v20, v12
	v_fma_f32 v6, -v6, v16, v17
	s_delay_alu instid0(VALU_DEP_2) | instskip(NEXT) | instid1(VALU_DEP_2)
	v_fma_f32 v7, -v7, v18, v15
	v_div_fmas_f32 v6, v6, v11, v16
	s_mov_b32 vcc_lo, s0
	s_delay_alu instid0(VALU_DEP_2) | instskip(NEXT) | instid1(VALU_DEP_2)
	v_div_fmas_f32 v11, v7, v12, v18
	v_div_fixup_f32 v7, v6, v13, 1.0
	s_delay_alu instid0(VALU_DEP_2)
	v_div_fixup_f32 v11, v11, v14, 0
.LBB185_1648:
	s_or_b32 exec_lo, exec_lo, s10
                                        ; implicit-def: $vgpr6
                                        ; implicit-def: $vgpr12
.LBB185_1649:
	s_and_not1_saveexec_b32 s0, s1
	s_cbranch_execz .LBB185_1651
; %bb.1650:
	v_div_scale_f32 v7, null, v6, v6, v12
	v_div_scale_f32 v14, vcc_lo, v12, v6, v12
	s_delay_alu instid0(VALU_DEP_2) | instskip(SKIP_2) | instid1(VALU_DEP_1)
	v_rcp_f32_e32 v11, v7
	s_waitcnt_depctr 0xfff
	v_fma_f32 v13, -v7, v11, 1.0
	v_fmac_f32_e32 v11, v13, v11
	s_delay_alu instid0(VALU_DEP_1) | instskip(NEXT) | instid1(VALU_DEP_1)
	v_mul_f32_e32 v13, v14, v11
	v_fma_f32 v15, -v7, v13, v14
	s_delay_alu instid0(VALU_DEP_1) | instskip(NEXT) | instid1(VALU_DEP_1)
	v_fmac_f32_e32 v13, v15, v11
	v_fma_f32 v7, -v7, v13, v14
	s_delay_alu instid0(VALU_DEP_1) | instskip(NEXT) | instid1(VALU_DEP_1)
	v_div_fmas_f32 v7, v7, v11, v13
	v_div_fixup_f32 v7, v7, v6, v12
	s_delay_alu instid0(VALU_DEP_1) | instskip(NEXT) | instid1(VALU_DEP_1)
	v_fmac_f32_e32 v6, v12, v7
	v_div_scale_f32 v11, null, v6, v6, 1.0
	v_div_scale_f32 v14, vcc_lo, 1.0, v6, 1.0
	s_delay_alu instid0(VALU_DEP_2) | instskip(SKIP_2) | instid1(VALU_DEP_1)
	v_rcp_f32_e32 v12, v11
	s_waitcnt_depctr 0xfff
	v_fma_f32 v13, -v11, v12, 1.0
	v_fmac_f32_e32 v12, v13, v12
	s_delay_alu instid0(VALU_DEP_1) | instskip(NEXT) | instid1(VALU_DEP_1)
	v_mul_f32_e32 v13, v14, v12
	v_fma_f32 v15, -v11, v13, v14
	s_delay_alu instid0(VALU_DEP_1) | instskip(NEXT) | instid1(VALU_DEP_1)
	v_fmac_f32_e32 v13, v15, v12
	v_fma_f32 v11, -v11, v13, v14
	s_delay_alu instid0(VALU_DEP_1) | instskip(SKIP_1) | instid1(VALU_DEP_2)
	v_div_fmas_f32 v11, v11, v12, v13
	v_add_f32_e32 v12, 0, v7
	v_div_fixup_f32 v6, v11, v6, 1.0
	v_fma_f32 v11, v7, 0, -1.0
	s_delay_alu instid0(VALU_DEP_2) | instskip(NEXT) | instid1(VALU_DEP_2)
	v_mul_f32_e32 v7, v12, v6
	v_mul_f32_e32 v11, v11, v6
.LBB185_1651:
	s_or_b32 exec_lo, exec_lo, s0
	v_cmp_gt_i16_e32 vcc_lo, 11, v9
	v_add_co_u32 v5, s0, s6, v5
	s_delay_alu instid0(VALU_DEP_1)
	v_add_co_ci_u32_e64 v6, null, s7, 0, s0
	s_mov_b32 s10, 0
	s_cbranch_vccnz .LBB185_1658
; %bb.1652:
	v_cmp_lt_i16_e32 vcc_lo, 25, v9
	s_mov_b32 s1, 0
	s_cbranch_vccz .LBB185_1664
; %bb.1653:
	v_cmp_lt_i16_e32 vcc_lo, 28, v9
	s_cbranch_vccz .LBB185_1666
; %bb.1654:
	v_cmp_lt_i16_e32 vcc_lo, 43, v9
	;; [unrolled: 3-line block ×3, first 2 shown]
	s_cbranch_vccz .LBB185_1672
; %bb.1656:
	v_cmp_eq_u16_e32 vcc_lo, 46, v9
	s_mov_b32 s11, 0
	s_cbranch_vccz .LBB185_1717
; %bb.1657:
	global_load_b32 v12, v[5:6], off
	s_mov_b32 s0, 0
	s_mov_b32 s10, -1
	s_waitcnt vmcnt(0)
	v_lshlrev_b32_e32 v13, 16, v12
	v_and_b32_e32 v14, 0xffff0000, v12
	s_delay_alu instid0(VALU_DEP_2) | instskip(NEXT) | instid1(VALU_DEP_2)
	v_cvt_f16_f32_e32 v12, v13
	v_cvt_f16_f32_e32 v13, v14
	s_branch .LBB185_1719
.LBB185_1658:
                                        ; implicit-def: $vgpr13
                                        ; implicit-def: $vgpr12
	s_cbranch_execz .LBB185_1788
; %bb.1659:
	v_cmp_gt_i16_e32 vcc_lo, 5, v9
	s_cbranch_vccnz .LBB185_1665
; %bb.1660:
	v_cmp_gt_i16_e32 vcc_lo, 8, v9
	s_cbranch_vccnz .LBB185_1667
	;; [unrolled: 3-line block ×3, first 2 shown]
; %bb.1662:
	v_cmp_lt_i16_e32 vcc_lo, 9, v9
	s_cbranch_vccz .LBB185_1673
; %bb.1663:
	global_load_b128 v[12:15], v[5:6], off
	s_mov_b32 s0, 0
	s_waitcnt vmcnt(0)
	v_cvt_f32_f64_e32 v12, v[12:13]
	v_cvt_f32_f64_e32 v13, v[14:15]
	s_delay_alu instid0(VALU_DEP_2) | instskip(NEXT) | instid1(VALU_DEP_2)
	v_cvt_f16_f32_e32 v12, v12
	v_cvt_f16_f32_e32 v13, v13
	s_branch .LBB185_1674
.LBB185_1664:
	s_mov_b32 s11, -1
	s_mov_b32 s0, 0
                                        ; implicit-def: $vgpr13
                                        ; implicit-def: $vgpr12
	s_branch .LBB185_1752
.LBB185_1665:
	s_mov_b32 s0, -1
                                        ; implicit-def: $vgpr13
                                        ; implicit-def: $vgpr12
	s_branch .LBB185_1693
.LBB185_1666:
	s_mov_b32 s11, -1
	s_mov_b32 s0, 0
                                        ; implicit-def: $vgpr13
                                        ; implicit-def: $vgpr12
	s_branch .LBB185_1731
.LBB185_1667:
	s_mov_b32 s0, -1
                                        ; implicit-def: $vgpr13
                                        ; implicit-def: $vgpr12
	s_branch .LBB185_1680
.LBB185_1668:
	s_mov_b32 s11, -1
	s_mov_b32 s0, 0
                                        ; implicit-def: $vgpr13
                                        ; implicit-def: $vgpr12
	s_branch .LBB185_1725
.LBB185_1669:
	s_mov_b32 s0, -1
                                        ; implicit-def: $vgpr13
                                        ; implicit-def: $vgpr12
	s_branch .LBB185_1677
.LBB185_1670:
	s_cbranch_execnz .LBB185_1715
; %bb.1671:
	s_or_b32 s2, s2, exec_lo
                                        ; implicit-def: $vgpr12
                                        ; implicit-def: $vgpr11
	s_cbranch_execz .LBB185_1610
	s_branch .LBB185_1611
.LBB185_1672:
	s_mov_b32 s11, -1
	s_mov_b32 s0, 0
	s_branch .LBB185_1718
.LBB185_1673:
	s_mov_b32 s0, -1
                                        ; implicit-def: $vgpr13
                                        ; implicit-def: $vgpr12
.LBB185_1674:
	s_delay_alu instid0(SALU_CYCLE_1)
	s_and_not1_b32 vcc_lo, exec_lo, s0
	s_cbranch_vccnz .LBB185_1676
; %bb.1675:
	global_load_b64 v[12:13], v[5:6], off
	s_waitcnt vmcnt(0)
	v_cvt_f16_f32_e32 v12, v12
	v_cvt_f16_f32_e32 v13, v13
.LBB185_1676:
	s_mov_b32 s0, 0
.LBB185_1677:
	s_delay_alu instid0(SALU_CYCLE_1)
	s_and_not1_b32 vcc_lo, exec_lo, s0
	s_cbranch_vccnz .LBB185_1679
; %bb.1678:
	global_load_b32 v12, v[5:6], off
	s_waitcnt vmcnt(0)
	v_lshrrev_b32_e32 v13, 16, v12
.LBB185_1679:
	s_mov_b32 s0, 0
.LBB185_1680:
	s_delay_alu instid0(SALU_CYCLE_1)
	s_and_not1_b32 vcc_lo, exec_lo, s0
	s_cbranch_vccnz .LBB185_1692
; %bb.1681:
	v_cmp_gt_i16_e32 vcc_lo, 6, v9
	s_cbranch_vccnz .LBB185_1684
; %bb.1682:
	v_cmp_lt_i16_e32 vcc_lo, 6, v9
	s_cbranch_vccz .LBB185_1685
; %bb.1683:
	global_load_b64 v[12:13], v[5:6], off
	s_mov_b32 s1, 0
	s_mov_b32 s0, 0
	s_waitcnt vmcnt(0)
	v_cvt_f32_f64_e32 v12, v[12:13]
	s_delay_alu instid0(VALU_DEP_1)
	v_cvt_f16_f32_e32 v12, v12
	s_branch .LBB185_1686
.LBB185_1684:
	s_mov_b32 s1, -1
                                        ; implicit-def: $sgpr0
                                        ; implicit-def: $vgpr12
	s_branch .LBB185_1689
.LBB185_1685:
	s_mov_b32 s1, -1
                                        ; implicit-def: $sgpr0
                                        ; implicit-def: $vgpr12
.LBB185_1686:
	s_delay_alu instid0(SALU_CYCLE_1)
	s_and_not1_b32 vcc_lo, exec_lo, s1
	s_cbranch_vccnz .LBB185_1688
; %bb.1687:
	global_load_b32 v12, v[5:6], off
	s_mov_b32 s0, 0
	s_waitcnt vmcnt(0)
	v_cvt_f16_f32_e32 v12, v12
.LBB185_1688:
	s_mov_b32 s1, 0
.LBB185_1689:
	s_delay_alu instid0(SALU_CYCLE_1)
	s_and_not1_b32 vcc_lo, exec_lo, s1
	s_cbranch_vccnz .LBB185_1691
; %bb.1690:
	global_load_u16 v12, v[5:6], off
	s_mov_b32 s0, 0
.LBB185_1691:
	s_delay_alu instid0(SALU_CYCLE_1)
	v_mov_b32_e32 v13, s0
.LBB185_1692:
	s_mov_b32 s0, 0
.LBB185_1693:
	s_delay_alu instid0(SALU_CYCLE_1)
	s_and_not1_b32 vcc_lo, exec_lo, s0
	s_cbranch_vccnz .LBB185_1714
; %bb.1694:
	v_cmp_gt_i16_e32 vcc_lo, 2, v9
	s_cbranch_vccnz .LBB185_1698
; %bb.1695:
	v_cmp_gt_i16_e32 vcc_lo, 3, v9
	s_cbranch_vccnz .LBB185_1699
; %bb.1696:
	v_cmp_lt_i16_e32 vcc_lo, 3, v9
	s_cbranch_vccz .LBB185_1700
; %bb.1697:
	global_load_b64 v[12:13], v[5:6], off
	s_mov_b32 s1, 0
	s_mov_b32 s0, 0
	s_waitcnt vmcnt(0)
	v_xor_b32_e32 v14, v12, v13
	v_cls_i32_e32 v15, v13
	s_delay_alu instid0(VALU_DEP_2) | instskip(NEXT) | instid1(VALU_DEP_2)
	v_ashrrev_i32_e32 v14, 31, v14
	v_add_nc_u32_e32 v15, -1, v15
	s_delay_alu instid0(VALU_DEP_2) | instskip(NEXT) | instid1(VALU_DEP_1)
	v_add_nc_u32_e32 v14, 32, v14
	v_min_u32_e32 v14, v15, v14
	s_delay_alu instid0(VALU_DEP_1) | instskip(NEXT) | instid1(VALU_DEP_1)
	v_lshlrev_b64 v[12:13], v14, v[12:13]
	v_min_u32_e32 v12, 1, v12
	s_delay_alu instid0(VALU_DEP_1) | instskip(SKIP_1) | instid1(VALU_DEP_2)
	v_or_b32_e32 v12, v13, v12
	v_sub_nc_u32_e32 v13, 32, v14
	v_cvt_f32_i32_e32 v12, v12
	s_delay_alu instid0(VALU_DEP_1) | instskip(NEXT) | instid1(VALU_DEP_1)
	v_ldexp_f32 v12, v12, v13
	v_cvt_f16_f32_e32 v12, v12
	s_branch .LBB185_1701
.LBB185_1698:
	s_mov_b32 s1, -1
                                        ; implicit-def: $sgpr0
                                        ; implicit-def: $vgpr12
	s_branch .LBB185_1707
.LBB185_1699:
	s_mov_b32 s1, -1
                                        ; implicit-def: $sgpr0
                                        ; implicit-def: $vgpr12
	s_branch .LBB185_1704
.LBB185_1700:
	s_mov_b32 s1, -1
                                        ; implicit-def: $sgpr0
                                        ; implicit-def: $vgpr12
.LBB185_1701:
	s_delay_alu instid0(SALU_CYCLE_1)
	s_and_not1_b32 vcc_lo, exec_lo, s1
	s_cbranch_vccnz .LBB185_1703
; %bb.1702:
	global_load_b32 v12, v[5:6], off
	s_mov_b32 s0, 0
	s_waitcnt vmcnt(0)
	v_cvt_f32_i32_e32 v12, v12
	s_delay_alu instid0(VALU_DEP_1)
	v_cvt_f16_f32_e32 v12, v12
.LBB185_1703:
	s_mov_b32 s1, 0
.LBB185_1704:
	s_delay_alu instid0(SALU_CYCLE_1)
	s_and_not1_b32 vcc_lo, exec_lo, s1
	s_cbranch_vccnz .LBB185_1706
; %bb.1705:
	global_load_u16 v12, v[5:6], off
	s_mov_b32 s0, 0
	s_waitcnt vmcnt(0)
	v_cvt_f16_i16_e32 v12, v12
.LBB185_1706:
	s_mov_b32 s1, 0
.LBB185_1707:
	s_delay_alu instid0(SALU_CYCLE_1)
	s_and_not1_b32 vcc_lo, exec_lo, s1
	s_cbranch_vccnz .LBB185_1713
; %bb.1708:
	v_cmp_lt_i16_e32 vcc_lo, 0, v9
	s_mov_b32 s1, 0
	s_cbranch_vccz .LBB185_1710
; %bb.1709:
	global_load_i8 v12, v[5:6], off
	s_mov_b32 s0, 0
	s_waitcnt vmcnt(0)
	v_cvt_f16_i16_e32 v12, v12
	s_branch .LBB185_1711
.LBB185_1710:
	s_mov_b32 s1, -1
                                        ; implicit-def: $sgpr0
                                        ; implicit-def: $vgpr12
.LBB185_1711:
	s_delay_alu instid0(SALU_CYCLE_1)
	s_and_not1_b32 vcc_lo, exec_lo, s1
	s_cbranch_vccnz .LBB185_1713
; %bb.1712:
	global_load_u8 v5, v[5:6], off
	s_mov_b32 s0, 0
	s_waitcnt vmcnt(0)
	v_cvt_f16_u16_e32 v12, v5
.LBB185_1713:
	v_mov_b32_e32 v13, s0
.LBB185_1714:
	s_branch .LBB185_1789
.LBB185_1715:
	s_trap 2
	s_sendmsg_rtn_b32 s0, sendmsg(MSG_RTN_GET_DOORBELL)
	s_mov_b32 ttmp2, m0
	s_waitcnt lgkmcnt(0)
	s_and_b32 s0, s0, 0x3ff
	s_delay_alu instid0(SALU_CYCLE_1) | instskip(NEXT) | instid1(SALU_CYCLE_1)
	s_bitset1_b32 s0, 10
	s_mov_b32 m0, s0
	s_sendmsg sendmsg(MSG_INTERRUPT)
	s_mov_b32 m0, ttmp2
.LBB185_1716:                           ; =>This Inner Loop Header: Depth=1
	s_sethalt 5
	s_branch .LBB185_1716
.LBB185_1717:
	s_mov_b32 s0, -1
.LBB185_1718:
                                        ; implicit-def: $vgpr13
                                        ; implicit-def: $vgpr12
.LBB185_1719:
	s_and_b32 vcc_lo, exec_lo, s11
	s_cbranch_vccz .LBB185_1724
; %bb.1720:
	v_cmp_eq_u16_e32 vcc_lo, 44, v9
	s_cbranch_vccz .LBB185_1722
; %bb.1721:
	global_load_u8 v12, v[5:6], off
	s_mov_b32 s0, 0
	s_mov_b32 s10, -1
	s_waitcnt vmcnt(0)
	v_lshlrev_b32_e32 v13, 23, v12
	v_cmp_ne_u32_e32 vcc_lo, 0xff, v12
	s_delay_alu instid0(VALU_DEP_2) | instskip(NEXT) | instid1(VALU_DEP_1)
	v_cvt_f16_f32_e32 v13, v13
	v_cndmask_b32_e32 v13, 0x7e00, v13, vcc_lo
	v_cmp_ne_u32_e32 vcc_lo, 0, v12
	s_delay_alu instid0(VALU_DEP_2)
	v_cndmask_b32_e32 v12, 0, v13, vcc_lo
	s_branch .LBB185_1723
.LBB185_1722:
	s_mov_b32 s0, -1
                                        ; implicit-def: $vgpr12
.LBB185_1723:
	s_delay_alu instid0(SALU_CYCLE_1)
	v_mov_b32_e32 v13, s0
.LBB185_1724:
	s_mov_b32 s11, 0
.LBB185_1725:
	s_delay_alu instid0(SALU_CYCLE_1)
	s_and_b32 vcc_lo, exec_lo, s11
	s_cbranch_vccz .LBB185_1730
; %bb.1726:
	v_cmp_eq_u16_e32 vcc_lo, 29, v9
	s_cbranch_vccz .LBB185_1728
; %bb.1727:
	global_load_b64 v[12:13], v[5:6], off
	s_mov_b32 s0, 0
	s_mov_b32 s10, -1
	s_mov_b32 s11, 0
	s_waitcnt vmcnt(0)
	v_clz_i32_u32_e32 v14, v13
	s_delay_alu instid0(VALU_DEP_1) | instskip(NEXT) | instid1(VALU_DEP_1)
	v_min_u32_e32 v14, 32, v14
	v_lshlrev_b64 v[12:13], v14, v[12:13]
	s_delay_alu instid0(VALU_DEP_1) | instskip(NEXT) | instid1(VALU_DEP_1)
	v_min_u32_e32 v12, 1, v12
	v_or_b32_e32 v12, v13, v12
	v_sub_nc_u32_e32 v13, 32, v14
	s_delay_alu instid0(VALU_DEP_2) | instskip(NEXT) | instid1(VALU_DEP_1)
	v_cvt_f32_u32_e32 v12, v12
	v_ldexp_f32 v12, v12, v13
	s_delay_alu instid0(VALU_DEP_1)
	v_cvt_f16_f32_e32 v12, v12
	s_branch .LBB185_1729
.LBB185_1728:
	s_mov_b32 s0, -1
                                        ; implicit-def: $sgpr11
                                        ; implicit-def: $vgpr12
.LBB185_1729:
	v_mov_b32_e32 v13, s11
.LBB185_1730:
	s_mov_b32 s11, 0
.LBB185_1731:
	s_delay_alu instid0(SALU_CYCLE_1)
	s_and_b32 vcc_lo, exec_lo, s11
	s_cbranch_vccz .LBB185_1751
; %bb.1732:
	v_cmp_gt_i16_e32 vcc_lo, 27, v9
	s_cbranch_vccnz .LBB185_1735
; %bb.1733:
	v_cmp_lt_i16_e32 vcc_lo, 27, v9
	s_cbranch_vccz .LBB185_1736
; %bb.1734:
	global_load_b32 v12, v[5:6], off
	s_mov_b32 s11, 0
	s_mov_b32 s10, 0
	s_waitcnt vmcnt(0)
	v_cvt_f32_u32_e32 v12, v12
	s_delay_alu instid0(VALU_DEP_1)
	v_cvt_f16_f32_e32 v12, v12
	s_branch .LBB185_1737
.LBB185_1735:
	s_mov_b32 s11, -1
                                        ; implicit-def: $sgpr10
                                        ; implicit-def: $vgpr12
	s_branch .LBB185_1740
.LBB185_1736:
	s_mov_b32 s11, -1
                                        ; implicit-def: $sgpr10
                                        ; implicit-def: $vgpr12
.LBB185_1737:
	s_delay_alu instid0(SALU_CYCLE_1)
	s_and_not1_b32 vcc_lo, exec_lo, s11
	s_cbranch_vccnz .LBB185_1739
; %bb.1738:
	global_load_u16 v12, v[5:6], off
	s_mov_b32 s10, 0
	s_waitcnt vmcnt(0)
	v_cvt_f16_u16_e32 v12, v12
.LBB185_1739:
	s_mov_b32 s11, 0
.LBB185_1740:
	v_mov_b32_e32 v13, s10
	s_and_not1_b32 vcc_lo, exec_lo, s11
	s_cbranch_vccnz .LBB185_1750
; %bb.1741:
	global_load_u8 v14, v[5:6], off
	s_mov_b32 s10, 0
	s_mov_b32 s13, exec_lo
                                        ; implicit-def: $sgpr12
                                        ; implicit-def: $sgpr11
	s_waitcnt vmcnt(0)
	v_cmpx_lt_i16_e32 0x7f, v14
	s_xor_b32 s13, exec_lo, s13
	s_cbranch_execz .LBB185_1745
; %bb.1742:
	s_mov_b32 s10, -1
	s_mov_b32 s14, exec_lo
                                        ; implicit-def: $sgpr12
                                        ; implicit-def: $sgpr11
	v_cmpx_eq_u16_e32 0x80, v14
; %bb.1743:
	s_movk_i32 s11, 0x7e00
	s_mov_b32 s12, 0
	s_xor_b32 s10, exec_lo, -1
; %bb.1744:
	s_or_b32 exec_lo, exec_lo, s14
	s_delay_alu instid0(SALU_CYCLE_1)
	s_and_b32 s10, s10, exec_lo
.LBB185_1745:
	s_or_saveexec_b32 s13, s13
	v_dual_mov_b32 v13, s12 :: v_dual_mov_b32 v12, s11
	s_xor_b32 exec_lo, exec_lo, s13
; %bb.1746:
	v_cmp_ne_u16_e32 vcc_lo, 0, v14
	v_dual_mov_b32 v13, 0 :: v_dual_mov_b32 v12, v14
	s_and_not1_b32 s10, s10, exec_lo
	s_and_b32 s11, vcc_lo, exec_lo
	s_delay_alu instid0(SALU_CYCLE_1)
	s_or_b32 s10, s10, s11
; %bb.1747:
	s_or_b32 exec_lo, exec_lo, s13
	s_and_saveexec_b32 s11, s10
	s_cbranch_execz .LBB185_1749
; %bb.1748:
	v_and_b32_e32 v12, 0xffff, v14
	v_lshlrev_b32_e32 v14, 24, v14
	s_delay_alu instid0(VALU_DEP_2) | instskip(NEXT) | instid1(VALU_DEP_2)
	v_and_b32_e32 v13, 7, v12
	v_and_b32_e32 v14, 0x80000000, v14
	s_delay_alu instid0(VALU_DEP_2) | instskip(NEXT) | instid1(VALU_DEP_1)
	v_clz_i32_u32_e32 v15, v13
	v_min_u32_e32 v15, 32, v15
	s_delay_alu instid0(VALU_DEP_1) | instskip(SKIP_1) | instid1(VALU_DEP_2)
	v_subrev_nc_u32_e32 v16, 28, v15
	v_sub_nc_u32_e32 v15, 29, v15
	v_lshlrev_b32_e32 v16, v16, v12
	v_bfe_u32 v12, v12, 3, 4
	s_delay_alu instid0(VALU_DEP_2) | instskip(NEXT) | instid1(VALU_DEP_2)
	v_and_b32_e32 v16, 7, v16
	v_cmp_eq_u32_e32 vcc_lo, 0, v12
	s_delay_alu instid0(VALU_DEP_2) | instskip(NEXT) | instid1(VALU_DEP_1)
	v_dual_cndmask_b32 v12, v12, v15 :: v_dual_cndmask_b32 v13, v13, v16
	v_lshl_add_u32 v12, v12, 23, 0x3b800000
	s_delay_alu instid0(VALU_DEP_2) | instskip(NEXT) | instid1(VALU_DEP_1)
	v_lshlrev_b32_e32 v13, 20, v13
	v_or3_b32 v12, v14, v12, v13
	v_mov_b32_e32 v13, 0
	s_delay_alu instid0(VALU_DEP_2)
	v_cvt_f16_f32_e32 v12, v12
.LBB185_1749:
	s_or_b32 exec_lo, exec_lo, s11
.LBB185_1750:
	s_mov_b32 s10, -1
.LBB185_1751:
	s_mov_b32 s11, 0
.LBB185_1752:
	s_delay_alu instid0(SALU_CYCLE_1)
	s_and_b32 vcc_lo, exec_lo, s11
	s_cbranch_vccz .LBB185_1784
; %bb.1753:
	v_cmp_lt_i16_e32 vcc_lo, 22, v9
	s_cbranch_vccz .LBB185_1765
; %bb.1754:
	v_cmp_gt_i16_e32 vcc_lo, 24, v9
	s_cbranch_vccnz .LBB185_1766
; %bb.1755:
	v_cmp_lt_i16_e32 vcc_lo, 24, v9
	s_cbranch_vccz .LBB185_1767
; %bb.1756:
	global_load_u8 v14, v[5:6], off
	s_mov_b32 s12, exec_lo
                                        ; implicit-def: $sgpr11
                                        ; implicit-def: $sgpr10
	s_waitcnt vmcnt(0)
	v_cmpx_lt_i16_e32 0x7f, v14
	s_xor_b32 s12, exec_lo, s12
	s_cbranch_execz .LBB185_1760
; %bb.1757:
	s_mov_b32 s1, -1
	s_mov_b32 s13, exec_lo
                                        ; implicit-def: $sgpr11
                                        ; implicit-def: $sgpr10
	v_cmpx_eq_u16_e32 0x80, v14
; %bb.1758:
	s_movk_i32 s10, 0x7e00
	s_mov_b32 s11, 0
	s_xor_b32 s1, exec_lo, -1
; %bb.1759:
	s_or_b32 exec_lo, exec_lo, s13
	s_delay_alu instid0(SALU_CYCLE_1)
	s_and_b32 s1, s1, exec_lo
.LBB185_1760:
	s_or_saveexec_b32 s12, s12
	v_dual_mov_b32 v13, s11 :: v_dual_mov_b32 v12, s10
	s_xor_b32 exec_lo, exec_lo, s12
; %bb.1761:
	v_cmp_ne_u16_e32 vcc_lo, 0, v14
	v_dual_mov_b32 v13, 0 :: v_dual_mov_b32 v12, v14
	s_and_not1_b32 s1, s1, exec_lo
	s_and_b32 s10, vcc_lo, exec_lo
	s_delay_alu instid0(SALU_CYCLE_1)
	s_or_b32 s1, s1, s10
; %bb.1762:
	s_or_b32 exec_lo, exec_lo, s12
	s_and_saveexec_b32 s10, s1
	s_cbranch_execz .LBB185_1764
; %bb.1763:
	v_and_b32_e32 v12, 0xffff, v14
	v_lshlrev_b32_e32 v14, 24, v14
	s_delay_alu instid0(VALU_DEP_2) | instskip(NEXT) | instid1(VALU_DEP_2)
	v_and_b32_e32 v13, 3, v12
	v_and_b32_e32 v14, 0x80000000, v14
	s_delay_alu instid0(VALU_DEP_2) | instskip(NEXT) | instid1(VALU_DEP_1)
	v_clz_i32_u32_e32 v15, v13
	v_min_u32_e32 v15, 32, v15
	s_delay_alu instid0(VALU_DEP_1) | instskip(SKIP_1) | instid1(VALU_DEP_2)
	v_subrev_nc_u32_e32 v16, 29, v15
	v_sub_nc_u32_e32 v15, 30, v15
	v_lshlrev_b32_e32 v16, v16, v12
	v_bfe_u32 v12, v12, 2, 5
	s_delay_alu instid0(VALU_DEP_2) | instskip(NEXT) | instid1(VALU_DEP_2)
	v_and_b32_e32 v16, 3, v16
	v_cmp_eq_u32_e32 vcc_lo, 0, v12
	s_delay_alu instid0(VALU_DEP_2) | instskip(NEXT) | instid1(VALU_DEP_1)
	v_dual_cndmask_b32 v12, v12, v15 :: v_dual_cndmask_b32 v13, v13, v16
	v_lshl_add_u32 v12, v12, 23, 0x37800000
	s_delay_alu instid0(VALU_DEP_2) | instskip(NEXT) | instid1(VALU_DEP_1)
	v_lshlrev_b32_e32 v13, 21, v13
	v_or3_b32 v12, v14, v12, v13
	v_mov_b32_e32 v13, 0
	s_delay_alu instid0(VALU_DEP_2)
	v_cvt_f16_f32_e32 v12, v12
.LBB185_1764:
	s_or_b32 exec_lo, exec_lo, s10
	s_mov_b32 s1, 0
	s_branch .LBB185_1768
.LBB185_1765:
	s_mov_b32 s1, -1
                                        ; implicit-def: $vgpr13
                                        ; implicit-def: $vgpr12
	s_branch .LBB185_1774
.LBB185_1766:
	s_mov_b32 s1, -1
                                        ; implicit-def: $vgpr13
                                        ; implicit-def: $vgpr12
	s_branch .LBB185_1771
.LBB185_1767:
	s_mov_b32 s1, -1
                                        ; implicit-def: $vgpr13
                                        ; implicit-def: $vgpr12
.LBB185_1768:
	s_delay_alu instid0(SALU_CYCLE_1)
	s_and_b32 vcc_lo, exec_lo, s1
	s_cbranch_vccz .LBB185_1770
; %bb.1769:
	global_load_u8 v12, v[5:6], off
	s_waitcnt vmcnt(0)
	v_lshlrev_b32_e32 v12, 24, v12
	s_delay_alu instid0(VALU_DEP_1) | instskip(NEXT) | instid1(VALU_DEP_1)
	v_and_b32_e32 v13, 0x7f000000, v12
	v_clz_i32_u32_e32 v14, v13
	v_add_nc_u32_e32 v16, 0x1000000, v13
	v_cmp_ne_u32_e32 vcc_lo, 0, v13
	s_delay_alu instid0(VALU_DEP_3) | instskip(NEXT) | instid1(VALU_DEP_1)
	v_min_u32_e32 v14, 32, v14
	v_sub_nc_u32_e64 v14, v14, 4 clamp
	s_delay_alu instid0(VALU_DEP_1) | instskip(SKIP_1) | instid1(VALU_DEP_2)
	v_lshlrev_b32_e32 v15, v14, v13
	v_lshlrev_b32_e32 v14, 23, v14
	v_lshrrev_b32_e32 v15, 4, v15
	s_delay_alu instid0(VALU_DEP_1) | instskip(SKIP_1) | instid1(VALU_DEP_2)
	v_sub_nc_u32_e32 v14, v15, v14
	v_ashrrev_i32_e32 v15, 8, v16
	v_add_nc_u32_e32 v14, 0x3c000000, v14
	s_delay_alu instid0(VALU_DEP_1) | instskip(NEXT) | instid1(VALU_DEP_1)
	v_and_or_b32 v14, 0x7f800000, v15, v14
	v_cndmask_b32_e32 v13, 0, v14, vcc_lo
	s_delay_alu instid0(VALU_DEP_1) | instskip(SKIP_1) | instid1(VALU_DEP_2)
	v_and_or_b32 v12, 0x80000000, v12, v13
	v_mov_b32_e32 v13, 0
	v_cvt_f16_f32_e32 v12, v12
.LBB185_1770:
	s_mov_b32 s1, 0
.LBB185_1771:
	s_delay_alu instid0(SALU_CYCLE_1)
	s_and_not1_b32 vcc_lo, exec_lo, s1
	s_cbranch_vccnz .LBB185_1773
; %bb.1772:
	global_load_u8 v12, v[5:6], off
	s_waitcnt vmcnt(0)
	v_lshlrev_b32_e32 v13, 25, v12
	v_lshlrev_b16 v12, 8, v12
	s_delay_alu instid0(VALU_DEP_2) | instskip(NEXT) | instid1(VALU_DEP_2)
	v_lshrrev_b32_e32 v14, 4, v13
	v_and_or_b32 v15, 0x7f00, v12, 0.5
	v_bfe_i32 v12, v12, 0, 16
	s_delay_alu instid0(VALU_DEP_3) | instskip(NEXT) | instid1(VALU_DEP_1)
	v_or_b32_e32 v14, 0x70000000, v14
	v_dual_add_f32 v15, -0.5, v15 :: v_dual_mul_f32 v14, 0x7800000, v14
	v_cmp_gt_u32_e32 vcc_lo, 0x8000000, v13
	s_delay_alu instid0(VALU_DEP_2) | instskip(NEXT) | instid1(VALU_DEP_1)
	v_cndmask_b32_e32 v13, v14, v15, vcc_lo
	v_and_or_b32 v12, 0x80000000, v12, v13
	v_mov_b32_e32 v13, 0
	s_delay_alu instid0(VALU_DEP_2)
	v_cvt_f16_f32_e32 v12, v12
.LBB185_1773:
	s_mov_b32 s1, 0
	s_mov_b32 s10, -1
.LBB185_1774:
	s_and_not1_b32 vcc_lo, exec_lo, s1
	s_mov_b32 s1, 0
	s_cbranch_vccnz .LBB185_1784
; %bb.1775:
	v_cmp_lt_i16_e32 vcc_lo, 14, v9
	s_cbranch_vccz .LBB185_1778
; %bb.1776:
	v_cmp_eq_u16_e32 vcc_lo, 15, v9
	s_cbranch_vccz .LBB185_1779
; %bb.1777:
	global_load_u16 v12, v[5:6], off
	s_mov_b32 s0, 0
	s_mov_b32 s10, -1
	s_mov_b32 s11, 0
	s_waitcnt vmcnt(0)
	v_lshlrev_b32_e32 v12, 16, v12
	s_delay_alu instid0(VALU_DEP_1)
	v_cvt_f16_f32_e32 v12, v12
	s_branch .LBB185_1781
.LBB185_1778:
	s_mov_b32 s1, -1
	s_branch .LBB185_1780
.LBB185_1779:
	s_mov_b32 s0, -1
.LBB185_1780:
                                        ; implicit-def: $sgpr11
                                        ; implicit-def: $vgpr12
.LBB185_1781:
	s_and_b32 vcc_lo, exec_lo, s1
	s_mov_b32 s1, 0
	s_cbranch_vccz .LBB185_1783
; %bb.1782:
	v_cmp_ne_u16_e64 s0, 11, v9
	s_mov_b32 s1, -1
                                        ; implicit-def: $sgpr11
                                        ; implicit-def: $vgpr12
.LBB185_1783:
	v_mov_b32_e32 v13, s11
.LBB185_1784:
	s_delay_alu instid0(VALU_DEP_2)
	s_and_b32 vcc_lo, exec_lo, s0
	s_cbranch_vccnz .LBB185_1838
; %bb.1785:
	s_and_not1_b32 vcc_lo, exec_lo, s1
	s_cbranch_vccnz .LBB185_1787
.LBB185_1786:
	global_load_u8 v12, v[5:6], off
	v_mov_b32_e32 v13, 0
	s_mov_b32 s10, -1
	s_waitcnt vmcnt(0)
	v_cmp_ne_u16_e32 vcc_lo, 0, v12
	v_cndmask_b32_e64 v12, 0, 0x3c00, vcc_lo
.LBB185_1787:
.LBB185_1788:
	s_and_not1_b32 vcc_lo, exec_lo, s10
	s_cbranch_vccnz .LBB185_2435
.LBB185_1789:
	s_waitcnt vmcnt(0)
	s_delay_alu instid0(VALU_DEP_1) | instskip(NEXT) | instid1(VALU_DEP_2)
	v_cmp_neq_f16_e32 vcc_lo, 0, v12
	v_cmp_neq_f16_e64 s0, 0, v13
	v_cvt_f32_f16_e32 v5, v13
	v_mov_b32_e32 v6, 0
	s_delay_alu instid0(VALU_DEP_3) | instskip(NEXT) | instid1(SALU_CYCLE_1)
	s_or_b32 s0, vcc_lo, s0
	s_and_saveexec_b32 s10, s0
	s_cbranch_execz .LBB185_1819
; %bb.1790:
	v_mov_b32_e32 v6, 0x7f800000
	s_mov_b32 s11, exec_lo
	v_cmpx_neq_f32_e64 0x7f800000, |v5|
	s_cbranch_execz .LBB185_1818
; %bb.1791:
	v_cvt_f32_f16_e32 v6, v12
	s_mov_b32 s0, exec_lo
	v_cmpx_o_f16_e32 v12, v12
	s_xor_b32 s12, exec_lo, s0
	s_cbranch_execz .LBB185_1815
; %bb.1792:
	s_mov_b32 s1, exec_lo
	v_cmpx_neq_f32_e64 0x7f800000, |v6|
	s_xor_b32 s13, exec_lo, s1
	s_cbranch_execz .LBB185_1808
; %bb.1793:
	v_max_f32_e64 v12, |v5|, |v5|
	v_max_f32_e64 v13, |v6|, |v6|
                                        ; implicit-def: $sgpr14
	s_delay_alu instid0(VALU_DEP_1) | instskip(NEXT) | instid1(VALU_DEP_1)
	v_max_f32_e32 v12, v13, v12
	v_cmp_nle_f32_e64 s0, 0x7ed413cb, v12
	s_delay_alu instid0(VALU_DEP_1) | instskip(NEXT) | instid1(SALU_CYCLE_1)
	s_and_saveexec_b32 s1, s0
	s_xor_b32 s1, exec_lo, s1
	s_cbranch_execz .LBB185_1797
; %bb.1794:
	v_cmp_ge_f32_e64 s14, 0x1000000, |v6|
	v_cmp_ge_f32_e64 s15, 0x1000000, |v5|
	s_delay_alu instid0(VALU_DEP_1)
	s_and_b32 s16, s14, s15
	s_mov_b32 s14, 0
	s_and_saveexec_b32 s15, s16
; %bb.1795:
	v_dual_mul_f32 v5, 4.0, v5 :: v_dual_mul_f32 v6, 4.0, v6
	s_mov_b32 s14, exec_lo
; %bb.1796:
	s_or_b32 exec_lo, exec_lo, s15
	s_delay_alu instid0(SALU_CYCLE_1)
	s_and_b32 s14, s14, exec_lo
.LBB185_1797:
	s_and_not1_saveexec_b32 s1, s1
; %bb.1798:
	v_dual_mul_f32 v6, 0x3e800000, v6 :: v_dual_mul_f32 v5, 0x3e800000, v5
	s_and_not1_b32 s14, s14, exec_lo
; %bb.1799:
	s_or_b32 exec_lo, exec_lo, s1
	s_delay_alu instid0(VALU_DEP_1) | instskip(NEXT) | instid1(VALU_DEP_2)
	v_max_f32_e64 v12, |v5|, |v5|
	v_max_f32_e64 v13, |v6|, |v6|
	s_delay_alu instid0(VALU_DEP_1) | instskip(NEXT) | instid1(VALU_DEP_1)
	v_max_f32_e32 v14, v13, v12
	v_cvt_f64_f32_e32 v[12:13], v14
	s_delay_alu instid0(VALU_DEP_1) | instskip(NEXT) | instid1(VALU_DEP_1)
	v_frexp_exp_i32_f64_e32 v12, v[12:13]
	v_sub_nc_u32_e32 v13, 0, v12
	s_delay_alu instid0(VALU_DEP_1) | instskip(SKIP_1) | instid1(VALU_DEP_2)
	v_ldexp_f32 v15, |v5|, v13
	v_ldexp_f32 v13, |v6|, v13
	v_mul_f32_e32 v15, v15, v15
	v_cmp_neq_f32_e64 s1, 0x7f800000, v14
	s_delay_alu instid0(VALU_DEP_2) | instskip(NEXT) | instid1(VALU_DEP_1)
	v_fmac_f32_e32 v15, v13, v13
	v_sqrt_f32_e32 v13, v15
	s_waitcnt_depctr 0xfff
	v_ldexp_f32 v12, v13, v12
                                        ; implicit-def: $vgpr13
	s_delay_alu instid0(VALU_DEP_1)
	v_cndmask_b32_e64 v14, 0x7f800000, v12, s1
                                        ; implicit-def: $vgpr12
	s_mov_b32 s1, exec_lo
	v_cmpx_le_f32_e32 0, v6
	s_xor_b32 s15, exec_lo, s1
	s_cbranch_execz .LBB185_1801
; %bb.1800:
	v_add_f32_e32 v6, v6, v14
	s_delay_alu instid0(VALU_DEP_1) | instskip(NEXT) | instid1(VALU_DEP_1)
	v_mul_f32_e32 v6, 0.5, v6
	v_mul_f32_e32 v12, 0x4f800000, v6
	v_cmp_gt_f32_e32 vcc_lo, 0xf800000, v6
	s_delay_alu instid0(VALU_DEP_2) | instskip(NEXT) | instid1(VALU_DEP_1)
	v_cndmask_b32_e32 v6, v6, v12, vcc_lo
	v_sqrt_f32_e32 v12, v6
	s_waitcnt_depctr 0xfff
	v_add_nc_u32_e32 v13, -1, v12
	v_add_nc_u32_e32 v14, 1, v12
	s_delay_alu instid0(VALU_DEP_2) | instskip(NEXT) | instid1(VALU_DEP_2)
	v_fma_f32 v15, -v13, v12, v6
	v_fma_f32 v16, -v14, v12, v6
	s_delay_alu instid0(VALU_DEP_2) | instskip(NEXT) | instid1(VALU_DEP_1)
	v_cmp_ge_f32_e64 s1, 0, v15
	v_cndmask_b32_e64 v12, v12, v13, s1
	s_delay_alu instid0(VALU_DEP_3) | instskip(NEXT) | instid1(VALU_DEP_1)
	v_cmp_lt_f32_e64 s1, 0, v16
	v_cndmask_b32_e64 v12, v12, v14, s1
	s_delay_alu instid0(VALU_DEP_1) | instskip(NEXT) | instid1(VALU_DEP_1)
	v_mul_f32_e32 v13, 0x37800000, v12
	v_cndmask_b32_e32 v12, v12, v13, vcc_lo
	v_cmp_class_f32_e64 vcc_lo, v6, 0x260
	s_delay_alu instid0(VALU_DEP_2) | instskip(NEXT) | instid1(VALU_DEP_1)
	v_cndmask_b32_e32 v12, v12, v6, vcc_lo
	v_add_f32_e32 v6, v12, v12
	s_delay_alu instid0(VALU_DEP_1) | instskip(NEXT) | instid1(VALU_DEP_1)
	v_div_scale_f32 v13, null, v6, v6, v5
	v_rcp_f32_e32 v14, v13
	s_waitcnt_depctr 0xfff
	v_fma_f32 v15, -v13, v14, 1.0
	s_delay_alu instid0(VALU_DEP_1) | instskip(SKIP_1) | instid1(VALU_DEP_1)
	v_fmac_f32_e32 v14, v15, v14
	v_div_scale_f32 v15, vcc_lo, v5, v6, v5
	v_mul_f32_e32 v16, v15, v14
	s_delay_alu instid0(VALU_DEP_1) | instskip(NEXT) | instid1(VALU_DEP_1)
	v_fma_f32 v17, -v13, v16, v15
	v_fmac_f32_e32 v16, v17, v14
	s_delay_alu instid0(VALU_DEP_1) | instskip(NEXT) | instid1(VALU_DEP_1)
	v_fma_f32 v13, -v13, v16, v15
	v_div_fmas_f32 v13, v13, v14, v16
                                        ; implicit-def: $vgpr14
	s_delay_alu instid0(VALU_DEP_1)
	v_div_fixup_f32 v13, v13, v6, v5
                                        ; implicit-def: $vgpr6
                                        ; implicit-def: $vgpr5
	s_and_not1_saveexec_b32 s15, s15
	s_cbranch_execz .LBB185_1803
	s_branch .LBB185_1802
.LBB185_1801:
	s_and_not1_saveexec_b32 s15, s15
	s_cbranch_execz .LBB185_1803
.LBB185_1802:
	v_sub_f32_e32 v6, v14, v6
	s_delay_alu instid0(VALU_DEP_1) | instskip(NEXT) | instid1(VALU_DEP_1)
	v_mul_f32_e32 v6, 0.5, v6
	v_mul_f32_e32 v12, 0x4f800000, v6
	v_cmp_gt_f32_e32 vcc_lo, 0xf800000, v6
	s_delay_alu instid0(VALU_DEP_2) | instskip(NEXT) | instid1(VALU_DEP_1)
	v_cndmask_b32_e32 v6, v6, v12, vcc_lo
	v_sqrt_f32_e32 v12, v6
	s_waitcnt_depctr 0xfff
	v_add_nc_u32_e32 v13, -1, v12
	v_add_nc_u32_e32 v14, 1, v12
	s_delay_alu instid0(VALU_DEP_2) | instskip(NEXT) | instid1(VALU_DEP_2)
	v_fma_f32 v15, -v13, v12, v6
	v_fma_f32 v16, -v14, v12, v6
	s_delay_alu instid0(VALU_DEP_2) | instskip(NEXT) | instid1(VALU_DEP_1)
	v_cmp_ge_f32_e64 s1, 0, v15
	v_cndmask_b32_e64 v12, v12, v13, s1
	s_delay_alu instid0(VALU_DEP_3) | instskip(NEXT) | instid1(VALU_DEP_1)
	v_cmp_lt_f32_e64 s1, 0, v16
	v_cndmask_b32_e64 v12, v12, v14, s1
	s_delay_alu instid0(VALU_DEP_1) | instskip(NEXT) | instid1(VALU_DEP_1)
	v_mul_f32_e32 v13, 0x37800000, v12
	v_cndmask_b32_e32 v12, v12, v13, vcc_lo
	v_cmp_class_f32_e64 vcc_lo, v6, 0x260
	s_delay_alu instid0(VALU_DEP_2) | instskip(NEXT) | instid1(VALU_DEP_1)
	v_cndmask_b32_e32 v6, v12, v6, vcc_lo
	v_dual_add_f32 v13, v6, v6 :: v_dual_and_b32 v12, 0x7fffffff, v5
	s_delay_alu instid0(VALU_DEP_1) | instskip(SKIP_1) | instid1(VALU_DEP_2)
	v_div_scale_f32 v14, null, v13, v13, v12
	v_div_scale_f32 v12, vcc_lo, v12, v13, v12
	v_rcp_f32_e32 v15, v14
	s_waitcnt_depctr 0xfff
	v_fma_f32 v16, -v14, v15, 1.0
	s_delay_alu instid0(VALU_DEP_1) | instskip(NEXT) | instid1(VALU_DEP_1)
	v_fmac_f32_e32 v15, v16, v15
	v_mul_f32_e32 v16, v12, v15
	s_delay_alu instid0(VALU_DEP_1) | instskip(NEXT) | instid1(VALU_DEP_1)
	v_fma_f32 v17, -v14, v16, v12
	v_fmac_f32_e32 v16, v17, v15
	s_delay_alu instid0(VALU_DEP_1) | instskip(NEXT) | instid1(VALU_DEP_1)
	v_fma_f32 v12, -v14, v16, v12
	v_div_fmas_f32 v12, v12, v15, v16
	s_delay_alu instid0(VALU_DEP_1)
	v_div_fixup_f32 v12, v12, v13, |v5|
	v_bfi_b32 v13, 0x7fffffff, v6, v5
.LBB185_1803:
	s_or_b32 exec_lo, exec_lo, s15
                                        ; implicit-def: $vgpr5
                                        ; implicit-def: $vgpr6
	s_and_saveexec_b32 s1, s0
	s_delay_alu instid0(SALU_CYCLE_1)
	s_xor_b32 s0, exec_lo, s1
	s_cbranch_execz .LBB185_1805
; %bb.1804:
	v_dual_mul_f32 v5, 0.5, v12 :: v_dual_mul_f32 v14, 0.5, v13
	s_delay_alu instid0(VALU_DEP_1) | instskip(NEXT) | instid1(VALU_DEP_2)
	v_cndmask_b32_e64 v6, v12, v5, s14
	v_cndmask_b32_e64 v5, v13, v14, s14
                                        ; implicit-def: $vgpr12
                                        ; implicit-def: $vgpr13
	s_and_not1_saveexec_b32 s0, s0
	s_cbranch_execnz .LBB185_1806
	s_branch .LBB185_1807
.LBB185_1805:
	s_and_not1_saveexec_b32 s0, s0
.LBB185_1806:
	v_dual_add_f32 v6, v12, v12 :: v_dual_add_f32 v5, v13, v13
.LBB185_1807:
	s_or_b32 exec_lo, exec_lo, s0
                                        ; implicit-def: $vgpr12
.LBB185_1808:
	s_and_not1_saveexec_b32 s0, s13
	s_cbranch_execz .LBB185_1814
; %bb.1809:
	v_cmp_lt_i16_e32 vcc_lo, -1, v12
	v_sub_f32_e32 v12, v5, v5
	s_and_saveexec_b32 s1, vcc_lo
	s_delay_alu instid0(SALU_CYCLE_1)
	s_xor_b32 s1, exec_lo, s1
; %bb.1810:
	s_delay_alu instid0(VALU_DEP_1)
	v_bfi_b32 v5, 0x7fffffff, v12, v5
                                        ; implicit-def: $vgpr12
; %bb.1811:
	s_and_not1_saveexec_b32 s1, s1
; %bb.1812:
	v_and_b32_e32 v12, 0x7fffffff, v12
	s_delay_alu instid0(VALU_DEP_2) | instskip(NEXT) | instid1(VALU_DEP_2)
	v_bfi_b32 v5, 0x7fffffff, v6, v5
	v_mov_b32_e32 v6, v12
; %bb.1813:
	s_or_b32 exec_lo, exec_lo, s1
.LBB185_1814:
	s_delay_alu instid0(SALU_CYCLE_1)
	s_or_b32 exec_lo, exec_lo, s0
.LBB185_1815:
	s_and_not1_saveexec_b32 s0, s12
; %bb.1816:
	v_sub_f32_e32 v5, v5, v5
	s_delay_alu instid0(VALU_DEP_1) | instskip(NEXT) | instid1(VALU_DEP_1)
	v_div_scale_f32 v12, vcc_lo, v5, v5, v5
	v_rcp_f32_e32 v13, v12
	s_waitcnt_depctr 0xfff
	v_fma_f32 v14, -v12, v13, 1.0
	s_delay_alu instid0(VALU_DEP_1) | instskip(NEXT) | instid1(VALU_DEP_1)
	v_fmac_f32_e32 v13, v14, v13
	v_mul_f32_e32 v14, v12, v13
	s_delay_alu instid0(VALU_DEP_1) | instskip(NEXT) | instid1(VALU_DEP_1)
	v_fma_f32 v15, -v12, v14, v12
	v_fmac_f32_e32 v14, v15, v13
	s_delay_alu instid0(VALU_DEP_1) | instskip(NEXT) | instid1(VALU_DEP_1)
	v_fma_f32 v12, -v12, v14, v12
	v_div_fmas_f32 v12, v12, v13, v14
	s_delay_alu instid0(VALU_DEP_1)
	v_div_fixup_f32 v5, v12, v5, v5
; %bb.1817:
	s_or_b32 exec_lo, exec_lo, s0
.LBB185_1818:
	s_delay_alu instid0(SALU_CYCLE_1)
	s_or_b32 exec_lo, exec_lo, s11
.LBB185_1819:
	s_delay_alu instid0(SALU_CYCLE_1)
	s_or_b32 exec_lo, exec_lo, s10
	v_cmp_gt_f32_e32 vcc_lo, 0, v6
                                        ; implicit-def: $vgpr13
                                        ; implicit-def: $vgpr12
	s_mov_b32 s0, exec_lo
	v_cndmask_b32_e64 v14, v6, -v6, vcc_lo
	v_cmp_gt_f32_e32 vcc_lo, 0, v5
	v_cndmask_b32_e64 v15, v5, -v5, vcc_lo
	s_delay_alu instid0(VALU_DEP_1)
	v_cmpx_ge_f32_e32 v14, v15
	s_xor_b32 s1, exec_lo, s0
	s_cbranch_execz .LBB185_1825
; %bb.1820:
	v_cmp_neq_f32_e32 vcc_lo, 0, v6
	v_cmp_neq_f32_e64 s0, 0, v5
                                        ; implicit-def: $vgpr13
                                        ; implicit-def: $vgpr12
	s_delay_alu instid0(VALU_DEP_1) | instskip(NEXT) | instid1(SALU_CYCLE_1)
	s_or_b32 s0, vcc_lo, s0
	s_and_saveexec_b32 s10, s0
	s_delay_alu instid0(SALU_CYCLE_1)
	s_xor_b32 s0, exec_lo, s10
	s_cbranch_execz .LBB185_1822
; %bb.1821:
	v_div_scale_f32 v12, null, v6, v6, v5
	v_div_scale_f32 v15, vcc_lo, v5, v6, v5
	s_delay_alu instid0(VALU_DEP_2) | instskip(SKIP_2) | instid1(VALU_DEP_1)
	v_rcp_f32_e32 v13, v12
	s_waitcnt_depctr 0xfff
	v_fma_f32 v14, -v12, v13, 1.0
	v_fmac_f32_e32 v13, v14, v13
	s_delay_alu instid0(VALU_DEP_1) | instskip(NEXT) | instid1(VALU_DEP_1)
	v_mul_f32_e32 v14, v15, v13
	v_fma_f32 v16, -v12, v14, v15
	s_delay_alu instid0(VALU_DEP_1) | instskip(NEXT) | instid1(VALU_DEP_1)
	v_fmac_f32_e32 v14, v16, v13
	v_fma_f32 v12, -v12, v14, v15
	s_delay_alu instid0(VALU_DEP_1) | instskip(NEXT) | instid1(VALU_DEP_1)
	v_div_fmas_f32 v12, v12, v13, v14
	v_div_fixup_f32 v13, v12, v6, v5
	s_delay_alu instid0(VALU_DEP_1) | instskip(NEXT) | instid1(VALU_DEP_1)
	v_fmac_f32_e32 v6, v5, v13
	v_div_scale_f32 v5, null, v6, v6, 1.0
	v_div_scale_f32 v15, vcc_lo, 1.0, v6, 1.0
	s_delay_alu instid0(VALU_DEP_2) | instskip(SKIP_2) | instid1(VALU_DEP_1)
	v_rcp_f32_e32 v12, v5
	s_waitcnt_depctr 0xfff
	v_fma_f32 v14, -v5, v12, 1.0
	v_fmac_f32_e32 v12, v14, v12
	s_delay_alu instid0(VALU_DEP_1) | instskip(NEXT) | instid1(VALU_DEP_1)
	v_mul_f32_e32 v14, v15, v12
	v_fma_f32 v16, -v5, v14, v15
	s_delay_alu instid0(VALU_DEP_1) | instskip(NEXT) | instid1(VALU_DEP_1)
	v_fmac_f32_e32 v14, v16, v12
	v_fma_f32 v5, -v5, v14, v15
                                        ; implicit-def: $vgpr15
	s_delay_alu instid0(VALU_DEP_1) | instskip(SKIP_1) | instid1(VALU_DEP_2)
	v_div_fmas_f32 v5, v5, v12, v14
	v_fma_f32 v12, v13, 0, 1.0
                                        ; implicit-def: $vgpr14
	v_div_fixup_f32 v5, v5, v6, 1.0
	s_delay_alu instid0(VALU_DEP_1)
	v_mul_f32_e32 v12, v12, v5
	v_mul_f32_e64 v13, -v13, v5
.LBB185_1822:
	s_and_not1_saveexec_b32 s10, s0
	s_cbranch_execz .LBB185_1824
; %bb.1823:
	v_div_scale_f32 v5, null, v14, v14, 1.0
	v_div_scale_f32 v6, null, v15, v15, 0
	v_div_scale_f32 v18, vcc_lo, 1.0, v14, 1.0
	s_delay_alu instid0(VALU_DEP_3) | instskip(NEXT) | instid1(VALU_DEP_2)
	v_rcp_f32_e32 v12, v5
	v_rcp_f32_e32 v13, v6
	s_waitcnt_depctr 0xfff
	v_fma_f32 v16, -v5, v12, 1.0
	v_fma_f32 v17, -v6, v13, 1.0
	s_delay_alu instid0(VALU_DEP_1) | instskip(SKIP_1) | instid1(VALU_DEP_2)
	v_dual_fmac_f32 v12, v16, v12 :: v_dual_fmac_f32 v13, v17, v13
	v_div_scale_f32 v16, s0, 0, v15, 0
	v_mul_f32_e32 v17, v18, v12
	s_delay_alu instid0(VALU_DEP_2) | instskip(NEXT) | instid1(VALU_DEP_2)
	v_mul_f32_e32 v19, v16, v13
	v_fma_f32 v20, -v5, v17, v18
	s_delay_alu instid0(VALU_DEP_2) | instskip(NEXT) | instid1(VALU_DEP_2)
	v_fma_f32 v21, -v6, v19, v16
	v_fmac_f32_e32 v17, v20, v12
	s_delay_alu instid0(VALU_DEP_2) | instskip(NEXT) | instid1(VALU_DEP_2)
	v_fmac_f32_e32 v19, v21, v13
	v_fma_f32 v5, -v5, v17, v18
	s_delay_alu instid0(VALU_DEP_2) | instskip(NEXT) | instid1(VALU_DEP_2)
	v_fma_f32 v6, -v6, v19, v16
	v_div_fmas_f32 v5, v5, v12, v17
	s_mov_b32 vcc_lo, s0
	s_delay_alu instid0(VALU_DEP_2) | instskip(NEXT) | instid1(VALU_DEP_2)
	v_div_fmas_f32 v6, v6, v13, v19
	v_div_fixup_f32 v12, v5, v14, 1.0
	s_delay_alu instid0(VALU_DEP_2)
	v_div_fixup_f32 v13, v6, v15, 0
.LBB185_1824:
	s_or_b32 exec_lo, exec_lo, s10
                                        ; implicit-def: $vgpr5
                                        ; implicit-def: $vgpr6
.LBB185_1825:
	s_and_not1_saveexec_b32 s0, s1
	s_cbranch_execz .LBB185_1827
; %bb.1826:
	v_div_scale_f32 v12, null, v5, v5, v6
	v_div_scale_f32 v15, vcc_lo, v6, v5, v6
	s_delay_alu instid0(VALU_DEP_2) | instskip(SKIP_2) | instid1(VALU_DEP_1)
	v_rcp_f32_e32 v13, v12
	s_waitcnt_depctr 0xfff
	v_fma_f32 v14, -v12, v13, 1.0
	v_fmac_f32_e32 v13, v14, v13
	s_delay_alu instid0(VALU_DEP_1) | instskip(NEXT) | instid1(VALU_DEP_1)
	v_mul_f32_e32 v14, v15, v13
	v_fma_f32 v16, -v12, v14, v15
	s_delay_alu instid0(VALU_DEP_1) | instskip(NEXT) | instid1(VALU_DEP_1)
	v_fmac_f32_e32 v14, v16, v13
	v_fma_f32 v12, -v12, v14, v15
	s_delay_alu instid0(VALU_DEP_1) | instskip(NEXT) | instid1(VALU_DEP_1)
	v_div_fmas_f32 v12, v12, v13, v14
	v_div_fixup_f32 v12, v12, v5, v6
	s_delay_alu instid0(VALU_DEP_1) | instskip(NEXT) | instid1(VALU_DEP_1)
	v_fmac_f32_e32 v5, v6, v12
	v_div_scale_f32 v6, null, v5, v5, 1.0
	v_div_scale_f32 v15, vcc_lo, 1.0, v5, 1.0
	s_delay_alu instid0(VALU_DEP_2) | instskip(SKIP_2) | instid1(VALU_DEP_1)
	v_rcp_f32_e32 v13, v6
	s_waitcnt_depctr 0xfff
	v_fma_f32 v14, -v6, v13, 1.0
	v_fmac_f32_e32 v13, v14, v13
	s_delay_alu instid0(VALU_DEP_1) | instskip(NEXT) | instid1(VALU_DEP_1)
	v_mul_f32_e32 v14, v15, v13
	v_fma_f32 v16, -v6, v14, v15
	s_delay_alu instid0(VALU_DEP_1) | instskip(NEXT) | instid1(VALU_DEP_1)
	v_fmac_f32_e32 v14, v16, v13
	v_fma_f32 v6, -v6, v14, v15
	s_delay_alu instid0(VALU_DEP_1) | instskip(SKIP_1) | instid1(VALU_DEP_2)
	v_div_fmas_f32 v6, v6, v13, v14
	v_add_f32_e32 v13, 0, v12
	v_div_fixup_f32 v5, v6, v5, 1.0
	v_fma_f32 v6, v12, 0, -1.0
	s_delay_alu instid0(VALU_DEP_2) | instskip(NEXT) | instid1(VALU_DEP_2)
	v_mul_f32_e32 v12, v13, v5
	v_mul_f32_e32 v13, v6, v5
.LBB185_1827:
	s_or_b32 exec_lo, exec_lo, s0
	v_cmp_gt_i16_e32 vcc_lo, 11, v9
	v_add_co_u32 v4, s0, s6, v4
	s_delay_alu instid0(VALU_DEP_1)
	v_add_co_ci_u32_e64 v5, null, s7, 0, s0
	s_mov_b32 s6, 0
	s_cbranch_vccnz .LBB185_1834
; %bb.1828:
	v_cmp_lt_i16_e32 vcc_lo, 25, v9
	s_mov_b32 s1, 0
	s_cbranch_vccz .LBB185_1835
; %bb.1829:
	v_cmp_lt_i16_e32 vcc_lo, 28, v9
	s_cbranch_vccz .LBB185_1836
; %bb.1830:
	v_cmp_lt_i16_e32 vcc_lo, 43, v9
	;; [unrolled: 3-line block ×3, first 2 shown]
	s_cbranch_vccz .LBB185_1840
; %bb.1832:
	v_cmp_eq_u16_e32 vcc_lo, 46, v9
	s_mov_b32 s7, 0
	s_cbranch_vccz .LBB185_1843
; %bb.1833:
	global_load_b32 v6, v[4:5], off
	s_mov_b32 s0, 0
	s_mov_b32 s6, -1
	s_waitcnt vmcnt(0)
	v_lshlrev_b32_e32 v14, 16, v6
	v_and_b32_e32 v15, 0xffff0000, v6
	s_delay_alu instid0(VALU_DEP_2) | instskip(NEXT) | instid1(VALU_DEP_2)
	v_cvt_f16_f32_e32 v6, v14
	v_cvt_f16_f32_e32 v14, v15
	s_branch .LBB185_1845
.LBB185_1834:
	s_mov_b32 s0, -1
                                        ; implicit-def: $vgpr14
                                        ; implicit-def: $vgpr6
	s_branch .LBB185_1914
.LBB185_1835:
	s_mov_b32 s7, -1
	s_mov_b32 s0, 0
                                        ; implicit-def: $vgpr14
                                        ; implicit-def: $vgpr6
	s_branch .LBB185_1878
.LBB185_1836:
	s_mov_b32 s7, -1
	s_mov_b32 s0, 0
                                        ; implicit-def: $vgpr14
                                        ; implicit-def: $vgpr6
	s_branch .LBB185_1857
.LBB185_1837:
	s_mov_b32 s7, -1
	s_mov_b32 s0, 0
                                        ; implicit-def: $vgpr14
                                        ; implicit-def: $vgpr6
	s_branch .LBB185_1851
.LBB185_1838:
	s_cbranch_execnz .LBB185_1841
; %bb.1839:
	s_or_b32 s2, s2, exec_lo
                                        ; implicit-def: $vgpr13
                                        ; implicit-def: $vgpr12
	s_cbranch_execz .LBB185_1786
	s_branch .LBB185_1787
.LBB185_1840:
	s_mov_b32 s7, -1
	s_mov_b32 s0, 0
	s_branch .LBB185_1844
.LBB185_1841:
	s_trap 2
	s_sendmsg_rtn_b32 s0, sendmsg(MSG_RTN_GET_DOORBELL)
	s_mov_b32 ttmp2, m0
	s_waitcnt lgkmcnt(0)
	s_and_b32 s0, s0, 0x3ff
	s_delay_alu instid0(SALU_CYCLE_1) | instskip(NEXT) | instid1(SALU_CYCLE_1)
	s_bitset1_b32 s0, 10
	s_mov_b32 m0, s0
	s_sendmsg sendmsg(MSG_INTERRUPT)
	s_mov_b32 m0, ttmp2
.LBB185_1842:                           ; =>This Inner Loop Header: Depth=1
	s_sethalt 5
	s_branch .LBB185_1842
.LBB185_1843:
	s_mov_b32 s0, -1
.LBB185_1844:
                                        ; implicit-def: $vgpr14
                                        ; implicit-def: $vgpr6
.LBB185_1845:
	s_and_b32 vcc_lo, exec_lo, s7
	s_cbranch_vccz .LBB185_1850
; %bb.1846:
	v_cmp_eq_u16_e32 vcc_lo, 44, v9
	s_cbranch_vccz .LBB185_1848
; %bb.1847:
	global_load_u8 v6, v[4:5], off
	s_mov_b32 s0, 0
	s_mov_b32 s6, -1
	s_waitcnt vmcnt(0)
	v_lshlrev_b32_e32 v14, 23, v6
	v_cmp_ne_u32_e32 vcc_lo, 0xff, v6
	s_delay_alu instid0(VALU_DEP_2) | instskip(NEXT) | instid1(VALU_DEP_1)
	v_cvt_f16_f32_e32 v14, v14
	v_cndmask_b32_e32 v14, 0x7e00, v14, vcc_lo
	v_cmp_ne_u32_e32 vcc_lo, 0, v6
	s_delay_alu instid0(VALU_DEP_2)
	v_cndmask_b32_e32 v6, 0, v14, vcc_lo
	s_branch .LBB185_1849
.LBB185_1848:
	s_mov_b32 s0, -1
                                        ; implicit-def: $vgpr6
.LBB185_1849:
	s_delay_alu instid0(SALU_CYCLE_1)
	v_mov_b32_e32 v14, s0
.LBB185_1850:
	s_mov_b32 s7, 0
.LBB185_1851:
	s_delay_alu instid0(SALU_CYCLE_1)
	s_and_b32 vcc_lo, exec_lo, s7
	s_cbranch_vccz .LBB185_1856
; %bb.1852:
	v_cmp_eq_u16_e32 vcc_lo, 29, v9
	s_cbranch_vccz .LBB185_1854
; %bb.1853:
	global_load_b64 v[14:15], v[4:5], off
	s_mov_b32 s0, 0
	s_mov_b32 s6, -1
	s_mov_b32 s7, 0
	s_waitcnt vmcnt(0)
	v_clz_i32_u32_e32 v6, v15
	s_delay_alu instid0(VALU_DEP_1) | instskip(NEXT) | instid1(VALU_DEP_1)
	v_min_u32_e32 v6, 32, v6
	v_lshlrev_b64 v[14:15], v6, v[14:15]
	v_sub_nc_u32_e32 v6, 32, v6
	s_delay_alu instid0(VALU_DEP_2) | instskip(NEXT) | instid1(VALU_DEP_1)
	v_min_u32_e32 v14, 1, v14
	v_or_b32_e32 v14, v15, v14
	s_delay_alu instid0(VALU_DEP_1) | instskip(NEXT) | instid1(VALU_DEP_1)
	v_cvt_f32_u32_e32 v14, v14
	v_ldexp_f32 v6, v14, v6
	s_delay_alu instid0(VALU_DEP_1)
	v_cvt_f16_f32_e32 v6, v6
	s_branch .LBB185_1855
.LBB185_1854:
	s_mov_b32 s0, -1
                                        ; implicit-def: $sgpr7
                                        ; implicit-def: $vgpr6
.LBB185_1855:
	v_mov_b32_e32 v14, s7
.LBB185_1856:
	s_mov_b32 s7, 0
.LBB185_1857:
	s_delay_alu instid0(SALU_CYCLE_1)
	s_and_b32 vcc_lo, exec_lo, s7
	s_cbranch_vccz .LBB185_1877
; %bb.1858:
	v_cmp_gt_i16_e32 vcc_lo, 27, v9
	s_cbranch_vccnz .LBB185_1861
; %bb.1859:
	v_cmp_lt_i16_e32 vcc_lo, 27, v9
	s_cbranch_vccz .LBB185_1862
; %bb.1860:
	global_load_b32 v6, v[4:5], off
	s_mov_b32 s7, 0
	s_mov_b32 s6, 0
	s_waitcnt vmcnt(0)
	v_cvt_f32_u32_e32 v6, v6
	s_delay_alu instid0(VALU_DEP_1)
	v_cvt_f16_f32_e32 v6, v6
	s_branch .LBB185_1863
.LBB185_1861:
	s_mov_b32 s7, -1
                                        ; implicit-def: $sgpr6
                                        ; implicit-def: $vgpr6
	s_branch .LBB185_1866
.LBB185_1862:
	s_mov_b32 s7, -1
                                        ; implicit-def: $sgpr6
                                        ; implicit-def: $vgpr6
.LBB185_1863:
	s_delay_alu instid0(SALU_CYCLE_1)
	s_and_not1_b32 vcc_lo, exec_lo, s7
	s_cbranch_vccnz .LBB185_1865
; %bb.1864:
	global_load_u16 v6, v[4:5], off
	s_mov_b32 s6, 0
	s_waitcnt vmcnt(0)
	v_cvt_f16_u16_e32 v6, v6
.LBB185_1865:
	s_mov_b32 s7, 0
.LBB185_1866:
	v_mov_b32_e32 v14, s6
	s_and_not1_b32 vcc_lo, exec_lo, s7
	s_cbranch_vccnz .LBB185_1876
; %bb.1867:
	global_load_u8 v15, v[4:5], off
	s_mov_b32 s6, 0
	s_mov_b32 s11, exec_lo
                                        ; implicit-def: $sgpr10
                                        ; implicit-def: $sgpr7
	s_waitcnt vmcnt(0)
	v_cmpx_lt_i16_e32 0x7f, v15
	s_xor_b32 s11, exec_lo, s11
	s_cbranch_execz .LBB185_1871
; %bb.1868:
	s_mov_b32 s6, -1
	s_mov_b32 s12, exec_lo
                                        ; implicit-def: $sgpr10
                                        ; implicit-def: $sgpr7
	v_cmpx_eq_u16_e32 0x80, v15
; %bb.1869:
	s_movk_i32 s7, 0x7e00
	s_mov_b32 s10, 0
	s_xor_b32 s6, exec_lo, -1
; %bb.1870:
	s_or_b32 exec_lo, exec_lo, s12
	s_delay_alu instid0(SALU_CYCLE_1)
	s_and_b32 s6, s6, exec_lo
.LBB185_1871:
	s_or_saveexec_b32 s11, s11
	v_mov_b32_e32 v14, s10
	v_mov_b32_e32 v6, s7
	s_xor_b32 exec_lo, exec_lo, s11
; %bb.1872:
	v_cmp_ne_u16_e32 vcc_lo, 0, v15
	v_mov_b32_e32 v14, 0
	v_mov_b32_e32 v6, v15
	s_and_not1_b32 s6, s6, exec_lo
	s_and_b32 s7, vcc_lo, exec_lo
	s_delay_alu instid0(SALU_CYCLE_1)
	s_or_b32 s6, s6, s7
; %bb.1873:
	s_or_b32 exec_lo, exec_lo, s11
	s_and_saveexec_b32 s7, s6
	s_cbranch_execz .LBB185_1875
; %bb.1874:
	v_and_b32_e32 v6, 0xffff, v15
	s_delay_alu instid0(VALU_DEP_1) | instskip(NEXT) | instid1(VALU_DEP_1)
	v_and_b32_e32 v14, 7, v6
	v_clz_i32_u32_e32 v16, v14
	s_delay_alu instid0(VALU_DEP_1) | instskip(NEXT) | instid1(VALU_DEP_1)
	v_min_u32_e32 v16, 32, v16
	v_subrev_nc_u32_e32 v17, 28, v16
	v_sub_nc_u32_e32 v16, 29, v16
	s_delay_alu instid0(VALU_DEP_2) | instskip(SKIP_1) | instid1(VALU_DEP_1)
	v_lshlrev_b32_e32 v17, v17, v6
	v_bfe_u32 v6, v6, 3, 4
	v_cmp_eq_u32_e32 vcc_lo, 0, v6
	s_delay_alu instid0(VALU_DEP_3) | instskip(SKIP_1) | instid1(VALU_DEP_2)
	v_dual_cndmask_b32 v6, v6, v16 :: v_dual_and_b32 v17, 7, v17
	v_lshlrev_b32_e32 v15, 24, v15
	v_lshl_add_u32 v6, v6, 23, 0x3b800000
	s_delay_alu instid0(VALU_DEP_2) | instskip(NEXT) | instid1(VALU_DEP_1)
	v_dual_cndmask_b32 v14, v14, v17 :: v_dual_and_b32 v15, 0x80000000, v15
	v_lshlrev_b32_e32 v14, 20, v14
	s_delay_alu instid0(VALU_DEP_1) | instskip(SKIP_1) | instid1(VALU_DEP_2)
	v_or3_b32 v6, v15, v6, v14
	v_mov_b32_e32 v14, 0
	v_cvt_f16_f32_e32 v6, v6
.LBB185_1875:
	s_or_b32 exec_lo, exec_lo, s7
.LBB185_1876:
	s_mov_b32 s6, -1
.LBB185_1877:
	s_mov_b32 s7, 0
.LBB185_1878:
	s_delay_alu instid0(SALU_CYCLE_1)
	s_and_b32 vcc_lo, exec_lo, s7
	s_cbranch_vccz .LBB185_1910
; %bb.1879:
	v_cmp_lt_i16_e32 vcc_lo, 22, v9
	s_cbranch_vccz .LBB185_1891
; %bb.1880:
	v_cmp_gt_i16_e32 vcc_lo, 24, v9
	s_cbranch_vccnz .LBB185_1892
; %bb.1881:
	v_cmp_lt_i16_e32 vcc_lo, 24, v9
	s_cbranch_vccz .LBB185_1893
; %bb.1882:
	global_load_u8 v15, v[4:5], off
	s_mov_b32 s10, exec_lo
                                        ; implicit-def: $sgpr7
                                        ; implicit-def: $sgpr6
	s_waitcnt vmcnt(0)
	v_cmpx_lt_i16_e32 0x7f, v15
	s_xor_b32 s10, exec_lo, s10
	s_cbranch_execz .LBB185_1886
; %bb.1883:
	s_mov_b32 s1, -1
	s_mov_b32 s11, exec_lo
                                        ; implicit-def: $sgpr7
                                        ; implicit-def: $sgpr6
	v_cmpx_eq_u16_e32 0x80, v15
; %bb.1884:
	s_movk_i32 s6, 0x7e00
	s_mov_b32 s7, 0
	s_xor_b32 s1, exec_lo, -1
; %bb.1885:
	s_or_b32 exec_lo, exec_lo, s11
	s_delay_alu instid0(SALU_CYCLE_1)
	s_and_b32 s1, s1, exec_lo
.LBB185_1886:
	s_or_saveexec_b32 s10, s10
	v_mov_b32_e32 v14, s7
	v_mov_b32_e32 v6, s6
	s_xor_b32 exec_lo, exec_lo, s10
; %bb.1887:
	v_cmp_ne_u16_e32 vcc_lo, 0, v15
	v_mov_b32_e32 v14, 0
	v_mov_b32_e32 v6, v15
	s_and_not1_b32 s1, s1, exec_lo
	s_and_b32 s6, vcc_lo, exec_lo
	s_delay_alu instid0(SALU_CYCLE_1)
	s_or_b32 s1, s1, s6
; %bb.1888:
	s_or_b32 exec_lo, exec_lo, s10
	s_and_saveexec_b32 s6, s1
	s_cbranch_execz .LBB185_1890
; %bb.1889:
	v_and_b32_e32 v6, 0xffff, v15
	s_delay_alu instid0(VALU_DEP_1) | instskip(NEXT) | instid1(VALU_DEP_1)
	v_and_b32_e32 v14, 3, v6
	v_clz_i32_u32_e32 v16, v14
	s_delay_alu instid0(VALU_DEP_1) | instskip(NEXT) | instid1(VALU_DEP_1)
	v_min_u32_e32 v16, 32, v16
	v_subrev_nc_u32_e32 v17, 29, v16
	v_sub_nc_u32_e32 v16, 30, v16
	s_delay_alu instid0(VALU_DEP_2) | instskip(SKIP_1) | instid1(VALU_DEP_1)
	v_lshlrev_b32_e32 v17, v17, v6
	v_bfe_u32 v6, v6, 2, 5
	v_cmp_eq_u32_e32 vcc_lo, 0, v6
	s_delay_alu instid0(VALU_DEP_3) | instskip(SKIP_1) | instid1(VALU_DEP_2)
	v_dual_cndmask_b32 v6, v6, v16 :: v_dual_and_b32 v17, 3, v17
	v_lshlrev_b32_e32 v15, 24, v15
	v_lshl_add_u32 v6, v6, 23, 0x37800000
	s_delay_alu instid0(VALU_DEP_2) | instskip(NEXT) | instid1(VALU_DEP_1)
	v_dual_cndmask_b32 v14, v14, v17 :: v_dual_and_b32 v15, 0x80000000, v15
	v_lshlrev_b32_e32 v14, 21, v14
	s_delay_alu instid0(VALU_DEP_1) | instskip(SKIP_1) | instid1(VALU_DEP_2)
	v_or3_b32 v6, v15, v6, v14
	v_mov_b32_e32 v14, 0
	v_cvt_f16_f32_e32 v6, v6
.LBB185_1890:
	s_or_b32 exec_lo, exec_lo, s6
	s_mov_b32 s1, 0
	s_branch .LBB185_1894
.LBB185_1891:
	s_mov_b32 s1, -1
                                        ; implicit-def: $vgpr14
                                        ; implicit-def: $vgpr6
	s_branch .LBB185_1900
.LBB185_1892:
	s_mov_b32 s1, -1
                                        ; implicit-def: $vgpr14
                                        ; implicit-def: $vgpr6
	s_branch .LBB185_1897
.LBB185_1893:
	s_mov_b32 s1, -1
                                        ; implicit-def: $vgpr14
                                        ; implicit-def: $vgpr6
.LBB185_1894:
	s_delay_alu instid0(SALU_CYCLE_1)
	s_and_b32 vcc_lo, exec_lo, s1
	s_cbranch_vccz .LBB185_1896
; %bb.1895:
	global_load_u8 v6, v[4:5], off
	s_waitcnt vmcnt(0)
	v_lshlrev_b32_e32 v6, 24, v6
	s_delay_alu instid0(VALU_DEP_1) | instskip(NEXT) | instid1(VALU_DEP_1)
	v_and_b32_e32 v14, 0x7f000000, v6
	v_clz_i32_u32_e32 v15, v14
	v_cmp_ne_u32_e32 vcc_lo, 0, v14
	v_add_nc_u32_e32 v17, 0x1000000, v14
	s_delay_alu instid0(VALU_DEP_3) | instskip(NEXT) | instid1(VALU_DEP_1)
	v_min_u32_e32 v15, 32, v15
	v_sub_nc_u32_e64 v15, v15, 4 clamp
	s_delay_alu instid0(VALU_DEP_1) | instskip(SKIP_1) | instid1(VALU_DEP_2)
	v_lshlrev_b32_e32 v16, v15, v14
	v_lshlrev_b32_e32 v15, 23, v15
	v_lshrrev_b32_e32 v16, 4, v16
	s_delay_alu instid0(VALU_DEP_1) | instskip(SKIP_1) | instid1(VALU_DEP_2)
	v_sub_nc_u32_e32 v15, v16, v15
	v_ashrrev_i32_e32 v16, 8, v17
	v_add_nc_u32_e32 v15, 0x3c000000, v15
	s_delay_alu instid0(VALU_DEP_1) | instskip(NEXT) | instid1(VALU_DEP_1)
	v_and_or_b32 v15, 0x7f800000, v16, v15
	v_cndmask_b32_e32 v14, 0, v15, vcc_lo
	s_delay_alu instid0(VALU_DEP_1) | instskip(SKIP_1) | instid1(VALU_DEP_2)
	v_and_or_b32 v6, 0x80000000, v6, v14
	v_mov_b32_e32 v14, 0
	v_cvt_f16_f32_e32 v6, v6
.LBB185_1896:
	s_mov_b32 s1, 0
.LBB185_1897:
	s_delay_alu instid0(SALU_CYCLE_1)
	s_and_not1_b32 vcc_lo, exec_lo, s1
	s_cbranch_vccnz .LBB185_1899
; %bb.1898:
	global_load_u8 v6, v[4:5], off
	s_waitcnt vmcnt(0)
	v_lshlrev_b32_e32 v14, 25, v6
	v_lshlrev_b16 v6, 8, v6
	s_delay_alu instid0(VALU_DEP_2) | instskip(NEXT) | instid1(VALU_DEP_2)
	v_lshrrev_b32_e32 v15, 4, v14
	v_and_or_b32 v16, 0x7f00, v6, 0.5
	v_bfe_i32 v6, v6, 0, 16
	s_delay_alu instid0(VALU_DEP_3) | instskip(NEXT) | instid1(VALU_DEP_1)
	v_or_b32_e32 v15, 0x70000000, v15
	v_dual_add_f32 v16, -0.5, v16 :: v_dual_mul_f32 v15, 0x7800000, v15
	v_cmp_gt_u32_e32 vcc_lo, 0x8000000, v14
	s_delay_alu instid0(VALU_DEP_2) | instskip(NEXT) | instid1(VALU_DEP_1)
	v_cndmask_b32_e32 v14, v15, v16, vcc_lo
	v_and_or_b32 v6, 0x80000000, v6, v14
	v_mov_b32_e32 v14, 0
	s_delay_alu instid0(VALU_DEP_2)
	v_cvt_f16_f32_e32 v6, v6
.LBB185_1899:
	s_mov_b32 s1, 0
	s_mov_b32 s6, -1
.LBB185_1900:
	s_and_not1_b32 vcc_lo, exec_lo, s1
	s_mov_b32 s1, 0
	s_cbranch_vccnz .LBB185_1910
; %bb.1901:
	v_cmp_lt_i16_e32 vcc_lo, 14, v9
	s_cbranch_vccz .LBB185_1904
; %bb.1902:
	v_cmp_eq_u16_e32 vcc_lo, 15, v9
	s_cbranch_vccz .LBB185_1905
; %bb.1903:
	global_load_u16 v6, v[4:5], off
	s_mov_b32 s0, 0
	s_mov_b32 s6, -1
	s_mov_b32 s7, 0
	s_waitcnt vmcnt(0)
	v_lshlrev_b32_e32 v6, 16, v6
	s_delay_alu instid0(VALU_DEP_1)
	v_cvt_f16_f32_e32 v6, v6
	s_branch .LBB185_1907
.LBB185_1904:
	s_mov_b32 s1, -1
	s_branch .LBB185_1906
.LBB185_1905:
	s_mov_b32 s0, -1
.LBB185_1906:
                                        ; implicit-def: $sgpr7
                                        ; implicit-def: $vgpr6
.LBB185_1907:
	s_and_b32 vcc_lo, exec_lo, s1
	s_mov_b32 s1, 0
	s_cbranch_vccz .LBB185_1909
; %bb.1908:
	v_cmp_ne_u16_e64 s0, 11, v9
	s_mov_b32 s1, -1
                                        ; implicit-def: $sgpr7
                                        ; implicit-def: $vgpr6
.LBB185_1909:
	v_mov_b32_e32 v14, s7
.LBB185_1910:
	s_delay_alu instid0(VALU_DEP_2)
	s_and_b32 vcc_lo, exec_lo, s0
	s_cbranch_vccnz .LBB185_2480
; %bb.1911:
	s_and_not1_b32 vcc_lo, exec_lo, s1
	s_cbranch_vccnz .LBB185_1913
.LBB185_1912:
	global_load_u8 v6, v[4:5], off
	v_mov_b32_e32 v14, 0
	s_mov_b32 s6, -1
	s_waitcnt vmcnt(0)
	v_cmp_ne_u16_e32 vcc_lo, 0, v6
	v_cndmask_b32_e64 v6, 0, 0x3c00, vcc_lo
.LBB185_1913:
	s_mov_b32 s0, 0
.LBB185_1914:
	s_delay_alu instid0(SALU_CYCLE_1)
	s_and_b32 vcc_lo, exec_lo, s0
	s_cbranch_vccz .LBB185_1965
; %bb.1915:
	v_cmp_gt_i16_e32 vcc_lo, 5, v9
	s_cbranch_vccnz .LBB185_1920
; %bb.1916:
	v_cmp_gt_i16_e32 vcc_lo, 8, v9
	s_cbranch_vccnz .LBB185_1921
	;; [unrolled: 3-line block ×3, first 2 shown]
; %bb.1918:
	v_cmp_lt_i16_e32 vcc_lo, 9, v9
	s_cbranch_vccz .LBB185_1923
; %bb.1919:
	global_load_b128 v[14:17], v[4:5], off
	s_mov_b32 s0, 0
	s_waitcnt vmcnt(0)
	v_cvt_f32_f64_e32 v6, v[14:15]
	v_cvt_f32_f64_e32 v14, v[16:17]
	s_delay_alu instid0(VALU_DEP_2) | instskip(NEXT) | instid1(VALU_DEP_2)
	v_cvt_f16_f32_e32 v6, v6
	v_cvt_f16_f32_e32 v14, v14
	s_branch .LBB185_1924
.LBB185_1920:
	s_mov_b32 s0, -1
                                        ; implicit-def: $vgpr14
                                        ; implicit-def: $vgpr6
	s_branch .LBB185_1943
.LBB185_1921:
	s_mov_b32 s0, -1
                                        ; implicit-def: $vgpr14
                                        ; implicit-def: $vgpr6
	s_branch .LBB185_1930
.LBB185_1922:
	s_mov_b32 s0, -1
                                        ; implicit-def: $vgpr14
                                        ; implicit-def: $vgpr6
	s_branch .LBB185_1927
.LBB185_1923:
	s_mov_b32 s0, -1
                                        ; implicit-def: $vgpr14
                                        ; implicit-def: $vgpr6
.LBB185_1924:
	s_delay_alu instid0(SALU_CYCLE_1)
	s_and_not1_b32 vcc_lo, exec_lo, s0
	s_cbranch_vccnz .LBB185_1926
; %bb.1925:
	global_load_b64 v[14:15], v[4:5], off
	s_waitcnt vmcnt(0)
	v_cvt_f16_f32_e32 v6, v14
	v_cvt_f16_f32_e32 v14, v15
.LBB185_1926:
	s_mov_b32 s0, 0
.LBB185_1927:
	s_delay_alu instid0(SALU_CYCLE_1)
	s_and_not1_b32 vcc_lo, exec_lo, s0
	s_cbranch_vccnz .LBB185_1929
; %bb.1928:
	global_load_b32 v6, v[4:5], off
	s_waitcnt vmcnt(0)
	v_lshrrev_b32_e32 v14, 16, v6
.LBB185_1929:
	s_mov_b32 s0, 0
.LBB185_1930:
	s_delay_alu instid0(SALU_CYCLE_1)
	s_and_not1_b32 vcc_lo, exec_lo, s0
	s_cbranch_vccnz .LBB185_1942
; %bb.1931:
	v_cmp_gt_i16_e32 vcc_lo, 6, v9
	s_cbranch_vccnz .LBB185_1934
; %bb.1932:
	v_cmp_lt_i16_e32 vcc_lo, 6, v9
	s_cbranch_vccz .LBB185_1935
; %bb.1933:
	global_load_b64 v[14:15], v[4:5], off
	s_mov_b32 s1, 0
	s_mov_b32 s0, 0
	s_waitcnt vmcnt(0)
	v_cvt_f32_f64_e32 v6, v[14:15]
	s_delay_alu instid0(VALU_DEP_1)
	v_cvt_f16_f32_e32 v6, v6
	s_branch .LBB185_1936
.LBB185_1934:
	s_mov_b32 s1, -1
                                        ; implicit-def: $sgpr0
                                        ; implicit-def: $vgpr6
	s_branch .LBB185_1939
.LBB185_1935:
	s_mov_b32 s1, -1
                                        ; implicit-def: $sgpr0
                                        ; implicit-def: $vgpr6
.LBB185_1936:
	s_delay_alu instid0(SALU_CYCLE_1)
	s_and_not1_b32 vcc_lo, exec_lo, s1
	s_cbranch_vccnz .LBB185_1938
; %bb.1937:
	global_load_b32 v6, v[4:5], off
	s_mov_b32 s0, 0
	s_waitcnt vmcnt(0)
	v_cvt_f16_f32_e32 v6, v6
.LBB185_1938:
	s_mov_b32 s1, 0
.LBB185_1939:
	s_delay_alu instid0(SALU_CYCLE_1)
	s_and_not1_b32 vcc_lo, exec_lo, s1
	s_cbranch_vccnz .LBB185_1941
; %bb.1940:
	global_load_u16 v6, v[4:5], off
	s_mov_b32 s0, 0
.LBB185_1941:
	s_delay_alu instid0(SALU_CYCLE_1)
	v_mov_b32_e32 v14, s0
.LBB185_1942:
	s_mov_b32 s0, 0
.LBB185_1943:
	s_delay_alu instid0(SALU_CYCLE_1)
	s_and_not1_b32 vcc_lo, exec_lo, s0
	s_cbranch_vccnz .LBB185_1964
; %bb.1944:
	v_cmp_gt_i16_e32 vcc_lo, 2, v9
	s_cbranch_vccnz .LBB185_1948
; %bb.1945:
	v_cmp_gt_i16_e32 vcc_lo, 3, v9
	s_cbranch_vccnz .LBB185_1949
; %bb.1946:
	v_cmp_lt_i16_e32 vcc_lo, 3, v9
	s_cbranch_vccz .LBB185_1950
; %bb.1947:
	global_load_b64 v[14:15], v[4:5], off
	s_mov_b32 s1, 0
	s_mov_b32 s0, 0
	s_waitcnt vmcnt(0)
	v_xor_b32_e32 v6, v14, v15
	v_cls_i32_e32 v16, v15
	s_delay_alu instid0(VALU_DEP_2) | instskip(NEXT) | instid1(VALU_DEP_2)
	v_ashrrev_i32_e32 v6, 31, v6
	v_add_nc_u32_e32 v16, -1, v16
	s_delay_alu instid0(VALU_DEP_2) | instskip(NEXT) | instid1(VALU_DEP_1)
	v_add_nc_u32_e32 v6, 32, v6
	v_min_u32_e32 v6, v16, v6
	s_delay_alu instid0(VALU_DEP_1) | instskip(SKIP_1) | instid1(VALU_DEP_2)
	v_lshlrev_b64 v[14:15], v6, v[14:15]
	v_sub_nc_u32_e32 v6, 32, v6
	v_min_u32_e32 v14, 1, v14
	s_delay_alu instid0(VALU_DEP_1) | instskip(NEXT) | instid1(VALU_DEP_1)
	v_or_b32_e32 v14, v15, v14
	v_cvt_f32_i32_e32 v14, v14
	s_delay_alu instid0(VALU_DEP_1) | instskip(NEXT) | instid1(VALU_DEP_1)
	v_ldexp_f32 v6, v14, v6
	v_cvt_f16_f32_e32 v6, v6
	s_branch .LBB185_1951
.LBB185_1948:
	s_mov_b32 s1, -1
                                        ; implicit-def: $sgpr0
                                        ; implicit-def: $vgpr6
	s_branch .LBB185_1957
.LBB185_1949:
	s_mov_b32 s1, -1
                                        ; implicit-def: $sgpr0
                                        ; implicit-def: $vgpr6
	s_branch .LBB185_1954
.LBB185_1950:
	s_mov_b32 s1, -1
                                        ; implicit-def: $sgpr0
                                        ; implicit-def: $vgpr6
.LBB185_1951:
	s_delay_alu instid0(SALU_CYCLE_1)
	s_and_not1_b32 vcc_lo, exec_lo, s1
	s_cbranch_vccnz .LBB185_1953
; %bb.1952:
	global_load_b32 v6, v[4:5], off
	s_mov_b32 s0, 0
	s_waitcnt vmcnt(0)
	v_cvt_f32_i32_e32 v6, v6
	s_delay_alu instid0(VALU_DEP_1)
	v_cvt_f16_f32_e32 v6, v6
.LBB185_1953:
	s_mov_b32 s1, 0
.LBB185_1954:
	s_delay_alu instid0(SALU_CYCLE_1)
	s_and_not1_b32 vcc_lo, exec_lo, s1
	s_cbranch_vccnz .LBB185_1956
; %bb.1955:
	global_load_u16 v6, v[4:5], off
	s_mov_b32 s0, 0
	s_waitcnt vmcnt(0)
	v_cvt_f16_i16_e32 v6, v6
.LBB185_1956:
	s_mov_b32 s1, 0
.LBB185_1957:
	s_delay_alu instid0(SALU_CYCLE_1)
	s_and_not1_b32 vcc_lo, exec_lo, s1
	s_cbranch_vccnz .LBB185_1963
; %bb.1958:
	v_cmp_lt_i16_e32 vcc_lo, 0, v9
	s_mov_b32 s1, 0
	s_cbranch_vccz .LBB185_1960
; %bb.1959:
	global_load_i8 v6, v[4:5], off
	s_mov_b32 s0, 0
	s_waitcnt vmcnt(0)
	v_cvt_f16_i16_e32 v6, v6
	s_branch .LBB185_1961
.LBB185_1960:
	s_mov_b32 s1, -1
                                        ; implicit-def: $sgpr0
                                        ; implicit-def: $vgpr6
.LBB185_1961:
	s_delay_alu instid0(SALU_CYCLE_1)
	s_and_not1_b32 vcc_lo, exec_lo, s1
	s_cbranch_vccnz .LBB185_1963
; %bb.1962:
	global_load_u8 v4, v[4:5], off
	s_mov_b32 s0, 0
	s_waitcnt vmcnt(0)
	v_cvt_f16_u16_e32 v6, v4
.LBB185_1963:
	v_mov_b32_e32 v14, s0
.LBB185_1964:
	s_mov_b32 s6, -1
.LBB185_1965:
	s_delay_alu instid0(SALU_CYCLE_1)
	s_and_not1_b32 vcc_lo, exec_lo, s6
	s_cbranch_vccnz .LBB185_2435
; %bb.1966:
	s_waitcnt vmcnt(0)
	v_cmp_neq_f16_e32 vcc_lo, 0, v6
	v_cmp_neq_f16_e64 s0, 0, v14
	v_cvt_f32_f16_e32 v4, v14
	v_mov_b32_e32 v5, 0
	s_delay_alu instid0(VALU_DEP_3) | instskip(NEXT) | instid1(SALU_CYCLE_1)
	s_or_b32 s0, vcc_lo, s0
	s_and_saveexec_b32 s6, s0
	s_cbranch_execz .LBB185_1996
; %bb.1967:
	v_mov_b32_e32 v5, 0x7f800000
	s_mov_b32 s7, exec_lo
	v_cmpx_neq_f32_e64 0x7f800000, |v4|
	s_cbranch_execz .LBB185_1995
; %bb.1968:
	v_cvt_f32_f16_e32 v5, v6
	s_mov_b32 s0, exec_lo
	v_cmpx_o_f16_e32 v6, v6
	s_xor_b32 s10, exec_lo, s0
	s_cbranch_execz .LBB185_1992
; %bb.1969:
	s_mov_b32 s1, exec_lo
	v_cmpx_neq_f32_e64 0x7f800000, |v5|
	s_xor_b32 s11, exec_lo, s1
	s_cbranch_execz .LBB185_1985
; %bb.1970:
	v_max_f32_e64 v6, |v4|, |v4|
	v_max_f32_e64 v9, |v5|, |v5|
                                        ; implicit-def: $sgpr12
	s_delay_alu instid0(VALU_DEP_1) | instskip(NEXT) | instid1(VALU_DEP_1)
	v_max_f32_e32 v6, v9, v6
	v_cmp_nle_f32_e64 s0, 0x7ed413cb, v6
	s_delay_alu instid0(VALU_DEP_1) | instskip(NEXT) | instid1(SALU_CYCLE_1)
	s_and_saveexec_b32 s1, s0
	s_xor_b32 s1, exec_lo, s1
	s_cbranch_execz .LBB185_1974
; %bb.1971:
	v_cmp_ge_f32_e64 s12, 0x1000000, |v5|
	v_cmp_ge_f32_e64 s13, 0x1000000, |v4|
	s_delay_alu instid0(VALU_DEP_1)
	s_and_b32 s14, s12, s13
	s_mov_b32 s12, 0
	s_and_saveexec_b32 s13, s14
; %bb.1972:
	v_dual_mul_f32 v4, 4.0, v4 :: v_dual_mul_f32 v5, 4.0, v5
	s_mov_b32 s12, exec_lo
; %bb.1973:
	s_or_b32 exec_lo, exec_lo, s13
	s_delay_alu instid0(SALU_CYCLE_1)
	s_and_b32 s12, s12, exec_lo
.LBB185_1974:
	s_and_not1_saveexec_b32 s1, s1
; %bb.1975:
	v_dual_mul_f32 v5, 0x3e800000, v5 :: v_dual_mul_f32 v4, 0x3e800000, v4
	s_and_not1_b32 s12, s12, exec_lo
; %bb.1976:
	s_or_b32 exec_lo, exec_lo, s1
	s_delay_alu instid0(VALU_DEP_1) | instskip(NEXT) | instid1(VALU_DEP_2)
	v_max_f32_e64 v6, |v4|, |v4|
	v_max_f32_e64 v9, |v5|, |v5|
	s_delay_alu instid0(VALU_DEP_1) | instskip(NEXT) | instid1(VALU_DEP_1)
	v_max_f32_e32 v6, v9, v6
	v_cvt_f64_f32_e32 v[14:15], v6
	s_delay_alu instid0(VALU_DEP_1) | instskip(NEXT) | instid1(VALU_DEP_1)
	v_frexp_exp_i32_f64_e32 v9, v[14:15]
	v_sub_nc_u32_e32 v14, 0, v9
	s_delay_alu instid0(VALU_DEP_1) | instskip(SKIP_1) | instid1(VALU_DEP_2)
	v_ldexp_f32 v15, |v4|, v14
	v_ldexp_f32 v14, |v5|, v14
	v_mul_f32_e32 v15, v15, v15
	v_cmp_neq_f32_e64 s1, 0x7f800000, v6
                                        ; implicit-def: $vgpr6
	s_delay_alu instid0(VALU_DEP_2) | instskip(NEXT) | instid1(VALU_DEP_1)
	v_fmac_f32_e32 v15, v14, v14
	v_sqrt_f32_e32 v14, v15
	s_waitcnt_depctr 0xfff
	v_ldexp_f32 v9, v14, v9
	s_delay_alu instid0(VALU_DEP_1)
	v_cndmask_b32_e64 v14, 0x7f800000, v9, s1
                                        ; implicit-def: $vgpr9
	s_mov_b32 s1, exec_lo
	v_cmpx_le_f32_e32 0, v5
	s_xor_b32 s13, exec_lo, s1
	s_cbranch_execz .LBB185_1978
; %bb.1977:
	v_add_f32_e32 v5, v5, v14
	s_delay_alu instid0(VALU_DEP_1) | instskip(NEXT) | instid1(VALU_DEP_1)
	v_mul_f32_e32 v5, 0.5, v5
	v_mul_f32_e32 v6, 0x4f800000, v5
	v_cmp_gt_f32_e32 vcc_lo, 0xf800000, v5
	s_delay_alu instid0(VALU_DEP_2) | instskip(NEXT) | instid1(VALU_DEP_1)
	v_cndmask_b32_e32 v5, v5, v6, vcc_lo
	v_sqrt_f32_e32 v6, v5
	s_waitcnt_depctr 0xfff
	v_add_nc_u32_e32 v14, 1, v6
	v_add_nc_u32_e32 v9, -1, v6
	s_delay_alu instid0(VALU_DEP_2) | instskip(NEXT) | instid1(VALU_DEP_2)
	v_fma_f32 v16, -v14, v6, v5
	v_fma_f32 v15, -v9, v6, v5
	s_delay_alu instid0(VALU_DEP_1) | instskip(NEXT) | instid1(VALU_DEP_1)
	v_cmp_ge_f32_e64 s1, 0, v15
	v_cndmask_b32_e64 v6, v6, v9, s1
	s_delay_alu instid0(VALU_DEP_4) | instskip(NEXT) | instid1(VALU_DEP_1)
	v_cmp_lt_f32_e64 s1, 0, v16
	v_cndmask_b32_e64 v6, v6, v14, s1
	s_delay_alu instid0(VALU_DEP_1) | instskip(NEXT) | instid1(VALU_DEP_1)
	v_mul_f32_e32 v9, 0x37800000, v6
	v_cndmask_b32_e32 v6, v6, v9, vcc_lo
	v_cmp_class_f32_e64 vcc_lo, v5, 0x260
	s_delay_alu instid0(VALU_DEP_2) | instskip(NEXT) | instid1(VALU_DEP_1)
	v_cndmask_b32_e32 v6, v6, v5, vcc_lo
	v_add_f32_e32 v5, v6, v6
	s_delay_alu instid0(VALU_DEP_1) | instskip(NEXT) | instid1(VALU_DEP_1)
	v_div_scale_f32 v9, null, v5, v5, v4
	v_rcp_f32_e32 v14, v9
	s_waitcnt_depctr 0xfff
	v_fma_f32 v15, -v9, v14, 1.0
	s_delay_alu instid0(VALU_DEP_1) | instskip(SKIP_1) | instid1(VALU_DEP_1)
	v_fmac_f32_e32 v14, v15, v14
	v_div_scale_f32 v15, vcc_lo, v4, v5, v4
	v_mul_f32_e32 v16, v15, v14
	s_delay_alu instid0(VALU_DEP_1) | instskip(NEXT) | instid1(VALU_DEP_1)
	v_fma_f32 v17, -v9, v16, v15
	v_fmac_f32_e32 v16, v17, v14
	s_delay_alu instid0(VALU_DEP_1) | instskip(NEXT) | instid1(VALU_DEP_1)
	v_fma_f32 v9, -v9, v16, v15
	v_div_fmas_f32 v9, v9, v14, v16
                                        ; implicit-def: $vgpr14
	s_delay_alu instid0(VALU_DEP_1)
	v_div_fixup_f32 v9, v9, v5, v4
                                        ; implicit-def: $vgpr5
                                        ; implicit-def: $vgpr4
	s_and_not1_saveexec_b32 s13, s13
	s_cbranch_execz .LBB185_1980
	s_branch .LBB185_1979
.LBB185_1978:
	s_and_not1_saveexec_b32 s13, s13
	s_cbranch_execz .LBB185_1980
.LBB185_1979:
	v_sub_f32_e32 v5, v14, v5
	s_delay_alu instid0(VALU_DEP_1) | instskip(NEXT) | instid1(VALU_DEP_1)
	v_mul_f32_e32 v5, 0.5, v5
	v_mul_f32_e32 v6, 0x4f800000, v5
	v_cmp_gt_f32_e32 vcc_lo, 0xf800000, v5
	s_delay_alu instid0(VALU_DEP_2) | instskip(NEXT) | instid1(VALU_DEP_1)
	v_cndmask_b32_e32 v5, v5, v6, vcc_lo
	v_sqrt_f32_e32 v6, v5
	s_waitcnt_depctr 0xfff
	v_add_nc_u32_e32 v9, -1, v6
	v_add_nc_u32_e32 v14, 1, v6
	s_delay_alu instid0(VALU_DEP_2) | instskip(NEXT) | instid1(VALU_DEP_2)
	v_fma_f32 v15, -v9, v6, v5
	v_fma_f32 v16, -v14, v6, v5
	s_delay_alu instid0(VALU_DEP_2) | instskip(NEXT) | instid1(VALU_DEP_1)
	v_cmp_ge_f32_e64 s1, 0, v15
	v_cndmask_b32_e64 v6, v6, v9, s1
	s_delay_alu instid0(VALU_DEP_3) | instskip(NEXT) | instid1(VALU_DEP_1)
	v_cmp_lt_f32_e64 s1, 0, v16
	v_cndmask_b32_e64 v6, v6, v14, s1
	s_delay_alu instid0(VALU_DEP_1) | instskip(NEXT) | instid1(VALU_DEP_1)
	v_mul_f32_e32 v9, 0x37800000, v6
	v_cndmask_b32_e32 v6, v6, v9, vcc_lo
	v_cmp_class_f32_e64 vcc_lo, v5, 0x260
	s_delay_alu instid0(VALU_DEP_2) | instskip(NEXT) | instid1(VALU_DEP_1)
	v_dual_cndmask_b32 v5, v6, v5 :: v_dual_and_b32 v6, 0x7fffffff, v4
	v_add_f32_e32 v9, v5, v5
	s_delay_alu instid0(VALU_DEP_1) | instskip(SKIP_1) | instid1(VALU_DEP_2)
	v_div_scale_f32 v14, null, v9, v9, v6
	v_div_scale_f32 v6, vcc_lo, v6, v9, v6
	v_rcp_f32_e32 v15, v14
	s_waitcnt_depctr 0xfff
	v_fma_f32 v16, -v14, v15, 1.0
	s_delay_alu instid0(VALU_DEP_1) | instskip(NEXT) | instid1(VALU_DEP_1)
	v_fmac_f32_e32 v15, v16, v15
	v_mul_f32_e32 v16, v6, v15
	s_delay_alu instid0(VALU_DEP_1) | instskip(NEXT) | instid1(VALU_DEP_1)
	v_fma_f32 v17, -v14, v16, v6
	v_fmac_f32_e32 v16, v17, v15
	s_delay_alu instid0(VALU_DEP_1) | instskip(NEXT) | instid1(VALU_DEP_1)
	v_fma_f32 v6, -v14, v16, v6
	v_div_fmas_f32 v6, v6, v15, v16
	s_delay_alu instid0(VALU_DEP_1)
	v_div_fixup_f32 v6, v6, v9, |v4|
	v_bfi_b32 v9, 0x7fffffff, v5, v4
.LBB185_1980:
	s_or_b32 exec_lo, exec_lo, s13
                                        ; implicit-def: $vgpr4
                                        ; implicit-def: $vgpr5
	s_and_saveexec_b32 s1, s0
	s_delay_alu instid0(SALU_CYCLE_1)
	s_xor_b32 s0, exec_lo, s1
	s_cbranch_execz .LBB185_1982
; %bb.1981:
	v_mul_f32_e32 v4, 0.5, v6
	v_mul_f32_e32 v14, 0.5, v9
	s_delay_alu instid0(VALU_DEP_2) | instskip(NEXT) | instid1(VALU_DEP_2)
	v_cndmask_b32_e64 v5, v6, v4, s12
	v_cndmask_b32_e64 v4, v9, v14, s12
                                        ; implicit-def: $vgpr6
                                        ; implicit-def: $vgpr9
	s_and_not1_saveexec_b32 s0, s0
	s_cbranch_execnz .LBB185_1983
	s_branch .LBB185_1984
.LBB185_1982:
	s_and_not1_saveexec_b32 s0, s0
.LBB185_1983:
	v_dual_add_f32 v5, v6, v6 :: v_dual_add_f32 v4, v9, v9
.LBB185_1984:
	s_or_b32 exec_lo, exec_lo, s0
                                        ; implicit-def: $vgpr6
.LBB185_1985:
	s_and_not1_saveexec_b32 s0, s11
	s_cbranch_execz .LBB185_1991
; %bb.1986:
	v_cmp_lt_i16_e32 vcc_lo, -1, v6
	v_sub_f32_e32 v6, v4, v4
	s_and_saveexec_b32 s1, vcc_lo
	s_delay_alu instid0(SALU_CYCLE_1)
	s_xor_b32 s1, exec_lo, s1
; %bb.1987:
	s_delay_alu instid0(VALU_DEP_1)
	v_bfi_b32 v4, 0x7fffffff, v6, v4
                                        ; implicit-def: $vgpr6
; %bb.1988:
	s_and_not1_saveexec_b32 s1, s1
; %bb.1989:
	v_and_b32_e32 v6, 0x7fffffff, v6
	s_delay_alu instid0(VALU_DEP_2) | instskip(NEXT) | instid1(VALU_DEP_2)
	v_bfi_b32 v4, 0x7fffffff, v5, v4
	v_mov_b32_e32 v5, v6
; %bb.1990:
	s_or_b32 exec_lo, exec_lo, s1
.LBB185_1991:
	s_delay_alu instid0(SALU_CYCLE_1)
	s_or_b32 exec_lo, exec_lo, s0
.LBB185_1992:
	s_and_not1_saveexec_b32 s0, s10
; %bb.1993:
	v_sub_f32_e32 v4, v4, v4
	s_delay_alu instid0(VALU_DEP_1) | instskip(NEXT) | instid1(VALU_DEP_1)
	v_div_scale_f32 v6, vcc_lo, v4, v4, v4
	v_rcp_f32_e32 v9, v6
	s_waitcnt_depctr 0xfff
	v_fma_f32 v14, -v6, v9, 1.0
	s_delay_alu instid0(VALU_DEP_1) | instskip(NEXT) | instid1(VALU_DEP_1)
	v_fmac_f32_e32 v9, v14, v9
	v_mul_f32_e32 v14, v6, v9
	s_delay_alu instid0(VALU_DEP_1) | instskip(NEXT) | instid1(VALU_DEP_1)
	v_fma_f32 v15, -v6, v14, v6
	v_fmac_f32_e32 v14, v15, v9
	s_delay_alu instid0(VALU_DEP_1) | instskip(NEXT) | instid1(VALU_DEP_1)
	v_fma_f32 v6, -v6, v14, v6
	v_div_fmas_f32 v6, v6, v9, v14
	s_delay_alu instid0(VALU_DEP_1)
	v_div_fixup_f32 v4, v6, v4, v4
; %bb.1994:
	s_or_b32 exec_lo, exec_lo, s0
.LBB185_1995:
	s_delay_alu instid0(SALU_CYCLE_1)
	s_or_b32 exec_lo, exec_lo, s7
.LBB185_1996:
	s_delay_alu instid0(SALU_CYCLE_1)
	s_or_b32 exec_lo, exec_lo, s6
	v_cmp_gt_f32_e32 vcc_lo, 0, v5
                                        ; implicit-def: $vgpr14
                                        ; implicit-def: $vgpr9
	s_mov_b32 s0, exec_lo
	v_cndmask_b32_e64 v6, v5, -v5, vcc_lo
	v_cmp_gt_f32_e32 vcc_lo, 0, v4
	v_cndmask_b32_e64 v15, v4, -v4, vcc_lo
	s_delay_alu instid0(VALU_DEP_1)
	v_cmpx_ge_f32_e32 v6, v15
	s_xor_b32 s1, exec_lo, s0
	s_cbranch_execz .LBB185_2002
; %bb.1997:
	v_cmp_neq_f32_e32 vcc_lo, 0, v5
	v_cmp_neq_f32_e64 s0, 0, v4
                                        ; implicit-def: $vgpr14
                                        ; implicit-def: $vgpr9
	s_delay_alu instid0(VALU_DEP_1) | instskip(NEXT) | instid1(SALU_CYCLE_1)
	s_or_b32 s0, vcc_lo, s0
	s_and_saveexec_b32 s6, s0
	s_delay_alu instid0(SALU_CYCLE_1)
	s_xor_b32 s0, exec_lo, s6
	s_cbranch_execz .LBB185_1999
; %bb.1998:
	v_div_scale_f32 v6, null, v5, v5, v4
	v_div_scale_f32 v15, vcc_lo, v4, v5, v4
	s_delay_alu instid0(VALU_DEP_2) | instskip(SKIP_2) | instid1(VALU_DEP_1)
	v_rcp_f32_e32 v9, v6
	s_waitcnt_depctr 0xfff
	v_fma_f32 v14, -v6, v9, 1.0
	v_fmac_f32_e32 v9, v14, v9
	s_delay_alu instid0(VALU_DEP_1) | instskip(NEXT) | instid1(VALU_DEP_1)
	v_mul_f32_e32 v14, v15, v9
	v_fma_f32 v16, -v6, v14, v15
	s_delay_alu instid0(VALU_DEP_1) | instskip(NEXT) | instid1(VALU_DEP_1)
	v_fmac_f32_e32 v14, v16, v9
	v_fma_f32 v6, -v6, v14, v15
	s_delay_alu instid0(VALU_DEP_1) | instskip(NEXT) | instid1(VALU_DEP_1)
	v_div_fmas_f32 v6, v6, v9, v14
	v_div_fixup_f32 v6, v6, v5, v4
	s_delay_alu instid0(VALU_DEP_1) | instskip(NEXT) | instid1(VALU_DEP_1)
	v_fmac_f32_e32 v5, v4, v6
	v_div_scale_f32 v4, null, v5, v5, 1.0
	v_div_scale_f32 v15, vcc_lo, 1.0, v5, 1.0
	s_delay_alu instid0(VALU_DEP_2) | instskip(SKIP_2) | instid1(VALU_DEP_1)
	v_rcp_f32_e32 v9, v4
	s_waitcnt_depctr 0xfff
	v_fma_f32 v14, -v4, v9, 1.0
	v_fmac_f32_e32 v9, v14, v9
	s_delay_alu instid0(VALU_DEP_1) | instskip(NEXT) | instid1(VALU_DEP_1)
	v_mul_f32_e32 v14, v15, v9
	v_fma_f32 v16, -v4, v14, v15
	s_delay_alu instid0(VALU_DEP_1) | instskip(NEXT) | instid1(VALU_DEP_1)
	v_fmac_f32_e32 v14, v16, v9
	v_fma_f32 v4, -v4, v14, v15
                                        ; implicit-def: $vgpr15
	s_delay_alu instid0(VALU_DEP_1) | instskip(SKIP_1) | instid1(VALU_DEP_2)
	v_div_fmas_f32 v4, v4, v9, v14
	v_fma_f32 v9, v6, 0, 1.0
	v_div_fixup_f32 v4, v4, v5, 1.0
	s_delay_alu instid0(VALU_DEP_1)
	v_mul_f32_e32 v9, v9, v4
	v_mul_f32_e64 v14, -v6, v4
                                        ; implicit-def: $vgpr6
.LBB185_1999:
	s_and_not1_saveexec_b32 s6, s0
	s_cbranch_execz .LBB185_2001
; %bb.2000:
	v_div_scale_f32 v4, null, v6, v6, 1.0
	v_div_scale_f32 v5, null, v15, v15, 0
	v_div_scale_f32 v18, vcc_lo, 1.0, v6, 1.0
	s_delay_alu instid0(VALU_DEP_3) | instskip(NEXT) | instid1(VALU_DEP_2)
	v_rcp_f32_e32 v9, v4
	v_rcp_f32_e32 v14, v5
	s_waitcnt_depctr 0xfff
	v_fma_f32 v16, -v4, v9, 1.0
	v_fma_f32 v17, -v5, v14, 1.0
	s_delay_alu instid0(VALU_DEP_1) | instskip(SKIP_1) | instid1(VALU_DEP_2)
	v_dual_fmac_f32 v9, v16, v9 :: v_dual_fmac_f32 v14, v17, v14
	v_div_scale_f32 v16, s0, 0, v15, 0
	v_mul_f32_e32 v17, v18, v9
	s_delay_alu instid0(VALU_DEP_2) | instskip(NEXT) | instid1(VALU_DEP_2)
	v_mul_f32_e32 v19, v16, v14
	v_fma_f32 v20, -v4, v17, v18
	s_delay_alu instid0(VALU_DEP_2) | instskip(NEXT) | instid1(VALU_DEP_2)
	v_fma_f32 v21, -v5, v19, v16
	v_fmac_f32_e32 v17, v20, v9
	s_delay_alu instid0(VALU_DEP_2) | instskip(NEXT) | instid1(VALU_DEP_2)
	v_fmac_f32_e32 v19, v21, v14
	v_fma_f32 v4, -v4, v17, v18
	s_delay_alu instid0(VALU_DEP_2) | instskip(NEXT) | instid1(VALU_DEP_2)
	v_fma_f32 v5, -v5, v19, v16
	v_div_fmas_f32 v4, v4, v9, v17
	s_mov_b32 vcc_lo, s0
	s_delay_alu instid0(VALU_DEP_2) | instskip(NEXT) | instid1(VALU_DEP_2)
	v_div_fmas_f32 v5, v5, v14, v19
	v_div_fixup_f32 v9, v4, v6, 1.0
	s_delay_alu instid0(VALU_DEP_2)
	v_div_fixup_f32 v14, v5, v15, 0
.LBB185_2001:
	s_or_b32 exec_lo, exec_lo, s6
                                        ; implicit-def: $vgpr4
                                        ; implicit-def: $vgpr5
.LBB185_2002:
	s_and_not1_saveexec_b32 s0, s1
	s_cbranch_execz .LBB185_2004
; %bb.2003:
	v_div_scale_f32 v6, null, v4, v4, v5
	v_div_scale_f32 v15, vcc_lo, v5, v4, v5
	s_delay_alu instid0(VALU_DEP_2) | instskip(SKIP_2) | instid1(VALU_DEP_1)
	v_rcp_f32_e32 v9, v6
	s_waitcnt_depctr 0xfff
	v_fma_f32 v14, -v6, v9, 1.0
	v_fmac_f32_e32 v9, v14, v9
	s_delay_alu instid0(VALU_DEP_1) | instskip(NEXT) | instid1(VALU_DEP_1)
	v_mul_f32_e32 v14, v15, v9
	v_fma_f32 v16, -v6, v14, v15
	s_delay_alu instid0(VALU_DEP_1) | instskip(NEXT) | instid1(VALU_DEP_1)
	v_fmac_f32_e32 v14, v16, v9
	v_fma_f32 v6, -v6, v14, v15
	s_delay_alu instid0(VALU_DEP_1) | instskip(NEXT) | instid1(VALU_DEP_1)
	v_div_fmas_f32 v6, v6, v9, v14
	v_div_fixup_f32 v6, v6, v4, v5
	s_delay_alu instid0(VALU_DEP_1) | instskip(NEXT) | instid1(VALU_DEP_1)
	v_fmac_f32_e32 v4, v5, v6
	v_div_scale_f32 v5, null, v4, v4, 1.0
	v_div_scale_f32 v15, vcc_lo, 1.0, v4, 1.0
	s_delay_alu instid0(VALU_DEP_2) | instskip(SKIP_2) | instid1(VALU_DEP_1)
	v_rcp_f32_e32 v9, v5
	s_waitcnt_depctr 0xfff
	v_fma_f32 v14, -v5, v9, 1.0
	v_fmac_f32_e32 v9, v14, v9
	s_delay_alu instid0(VALU_DEP_1) | instskip(NEXT) | instid1(VALU_DEP_1)
	v_mul_f32_e32 v14, v15, v9
	v_fma_f32 v16, -v5, v14, v15
	s_delay_alu instid0(VALU_DEP_1) | instskip(NEXT) | instid1(VALU_DEP_1)
	v_fmac_f32_e32 v14, v16, v9
	v_fma_f32 v5, -v5, v14, v15
	s_delay_alu instid0(VALU_DEP_1) | instskip(SKIP_1) | instid1(VALU_DEP_2)
	v_div_fmas_f32 v5, v5, v9, v14
	v_add_f32_e32 v9, 0, v6
	v_div_fixup_f32 v4, v5, v4, 1.0
	v_fma_f32 v5, v6, 0, -1.0
	s_delay_alu instid0(VALU_DEP_2) | instskip(NEXT) | instid1(VALU_DEP_2)
	v_mul_f32_e32 v9, v9, v4
	v_mul_f32_e32 v14, v5, v4
.LBB185_2004:
	s_or_b32 exec_lo, exec_lo, s0
	v_cvt_f16_f32_e32 v10, v10
	v_cvt_f16_f32_e32 v5, v8
	s_lshr_b32 s0, s3, 8
	s_mov_b32 s3, 0
	v_and_b32_e64 v6, 0xff, s0
	v_lshlrev_b32_e32 v4, 16, v10
	v_and_b32_e32 v8, 0xffff, v5
	v_add_co_u32 v3, s0, s4, v3
	s_delay_alu instid0(VALU_DEP_4) | instskip(NEXT) | instid1(VALU_DEP_3)
	v_cmp_gt_i16_e32 vcc_lo, 11, v6
	v_or_b32_e32 v8, v4, v8
	v_add_co_ci_u32_e64 v4, null, s5, 0, s0
	s_mov_b32 s0, -1
	s_cbranch_vccnz .LBB185_2082
; %bb.2005:
	v_cmp_lt_i16_e32 vcc_lo, 25, v6
	s_mov_b32 s6, -1
	s_mov_b32 s1, 0
	s_mov_b32 s0, 0
	s_cbranch_vccz .LBB185_2038
; %bb.2006:
	v_cmp_lt_i16_e32 vcc_lo, 28, v6
	s_cbranch_vccz .LBB185_2021
; %bb.2007:
	v_cmp_lt_i16_e32 vcc_lo, 43, v6
	;; [unrolled: 3-line block ×3, first 2 shown]
	s_cbranch_vccz .LBB185_2011
; %bb.2009:
	v_cmp_eq_u16_e32 vcc_lo, 46, v6
	s_mov_b32 s0, -1
	s_mov_b32 s6, 0
	s_cbranch_vccz .LBB185_2011
; %bb.2010:
	v_cvt_f32_f16_e32 v15, v10
	v_cvt_f32_f16_e32 v16, v5
	v_cmp_o_f16_e32 vcc_lo, v10, v10
	s_mov_b32 s0, 0
	s_mov_b32 s3, -1
	v_bfe_u32 v17, v15, 16, 1
	v_bfe_u32 v18, v16, 16, 1
	s_delay_alu instid0(VALU_DEP_2) | instskip(NEXT) | instid1(VALU_DEP_2)
	v_add3_u32 v15, v15, v17, 0x7fff
	v_add3_u32 v16, v16, v18, 0x7fff
	s_delay_alu instid0(VALU_DEP_2) | instskip(NEXT) | instid1(VALU_DEP_2)
	v_and_b32_e32 v15, 0xffff0000, v15
	v_lshrrev_b32_e32 v16, 16, v16
	s_delay_alu instid0(VALU_DEP_2) | instskip(SKIP_1) | instid1(VALU_DEP_3)
	v_cndmask_b32_e32 v15, 0x7fc00000, v15, vcc_lo
	v_cmp_o_f16_e32 vcc_lo, v5, v5
	v_cndmask_b32_e32 v16, 0x7fc0, v16, vcc_lo
	s_delay_alu instid0(VALU_DEP_1)
	v_or_b32_e32 v15, v15, v16
	global_store_b32 v[3:4], v15, off
.LBB185_2011:
	s_and_b32 vcc_lo, exec_lo, s6
	s_cbranch_vccz .LBB185_2016
; %bb.2012:
	v_cmp_eq_u16_e32 vcc_lo, 44, v6
	s_mov_b32 s0, -1
	s_cbranch_vccz .LBB185_2016
; %bb.2013:
	v_cvt_f32_f16_e32 v15, v5
	v_mov_b32_e32 v16, 0xff
	s_mov_b32 s3, exec_lo
	s_delay_alu instid0(VALU_DEP_2) | instskip(NEXT) | instid1(VALU_DEP_1)
	v_bfe_u32 v17, v15, 23, 8
	v_cmpx_ne_u32_e32 0xff, v17
; %bb.2014:
	v_and_b32_e32 v16, 0x400000, v15
	v_and_or_b32 v17, 0x3fffff, v15, v17
	v_lshrrev_b32_e32 v15, 23, v15
	s_delay_alu instid0(VALU_DEP_3) | instskip(NEXT) | instid1(VALU_DEP_3)
	v_cmp_ne_u32_e32 vcc_lo, 0, v16
	v_cmp_ne_u32_e64 s0, 0, v17
	s_delay_alu instid0(VALU_DEP_1) | instskip(NEXT) | instid1(SALU_CYCLE_1)
	s_and_b32 s0, vcc_lo, s0
	v_cndmask_b32_e64 v16, 0, 1, s0
	s_delay_alu instid0(VALU_DEP_1)
	v_add_nc_u32_e32 v16, v15, v16
; %bb.2015:
	s_or_b32 exec_lo, exec_lo, s3
	s_mov_b32 s0, 0
	s_mov_b32 s3, -1
	global_store_b8 v[3:4], v16, off
.LBB185_2016:
	s_mov_b32 s6, 0
.LBB185_2017:
	s_delay_alu instid0(SALU_CYCLE_1)
	s_and_b32 vcc_lo, exec_lo, s6
	s_cbranch_vccz .LBB185_2020
; %bb.2018:
	v_cmp_eq_u16_e32 vcc_lo, 29, v6
	s_mov_b32 s0, -1
	s_cbranch_vccz .LBB185_2020
; %bb.2019:
	v_cvt_f32_f16_e32 v15, v5
	v_mov_b32_e32 v16, 0
	s_mov_b32 s0, 0
	s_mov_b32 s3, -1
	s_delay_alu instid0(VALU_DEP_2)
	v_cvt_u32_f32_e32 v15, v15
	global_store_b64 v[3:4], v[15:16], off
.LBB185_2020:
	s_mov_b32 s6, 0
.LBB185_2021:
	s_delay_alu instid0(SALU_CYCLE_1)
	s_and_b32 vcc_lo, exec_lo, s6
	s_cbranch_vccz .LBB185_2037
; %bb.2022:
	v_cmp_gt_i16_e32 vcc_lo, 27, v6
	s_mov_b32 s3, -1
	s_cbranch_vccnz .LBB185_2028
; %bb.2023:
	v_cmp_lt_i16_e32 vcc_lo, 27, v6
	s_cbranch_vccz .LBB185_2025
; %bb.2024:
	v_cvt_f32_f16_e32 v15, v5
	s_mov_b32 s3, 0
	s_delay_alu instid0(VALU_DEP_1)
	v_cvt_u32_f32_e32 v15, v15
	global_store_b32 v[3:4], v15, off
.LBB185_2025:
	s_and_not1_b32 vcc_lo, exec_lo, s3
	s_cbranch_vccnz .LBB185_2027
; %bb.2026:
	v_cvt_u16_f16_e32 v15, v5
	global_store_b16 v[3:4], v15, off
.LBB185_2027:
	s_mov_b32 s3, 0
.LBB185_2028:
	s_delay_alu instid0(SALU_CYCLE_1)
	s_and_not1_b32 vcc_lo, exec_lo, s3
	s_cbranch_vccnz .LBB185_2036
; %bb.2029:
	v_cvt_f32_f16_e32 v15, v5
	v_mov_b32_e32 v17, 0x80
	s_mov_b32 s3, exec_lo
	s_delay_alu instid0(VALU_DEP_2) | instskip(NEXT) | instid1(VALU_DEP_1)
	v_and_b32_e32 v16, 0x7fffffff, v15
	v_cmpx_gt_u32_e32 0x43800000, v16
	s_cbranch_execz .LBB185_2035
; %bb.2030:
	v_cmp_lt_u32_e32 vcc_lo, 0x3bffffff, v16
	s_mov_b32 s6, 0
                                        ; implicit-def: $vgpr16
	s_and_saveexec_b32 s7, vcc_lo
	s_delay_alu instid0(SALU_CYCLE_1)
	s_xor_b32 s7, exec_lo, s7
	s_cbranch_execz .LBB185_2482
; %bb.2031:
	v_bfe_u32 v16, v15, 20, 1
	s_mov_b32 s6, exec_lo
	s_delay_alu instid0(VALU_DEP_1) | instskip(NEXT) | instid1(VALU_DEP_1)
	v_add3_u32 v16, v15, v16, 0x487ffff
	v_lshrrev_b32_e32 v16, 20, v16
	s_or_saveexec_b32 s7, s7
                                        ; implicit-def: $sgpr10
	s_delay_alu instid0(SALU_CYCLE_1)
	s_xor_b32 exec_lo, exec_lo, s7
	s_cbranch_execnz .LBB185_2483
.LBB185_2032:
	s_or_b32 exec_lo, exec_lo, s7
	v_mov_b32_e32 v17, s10
	s_and_saveexec_b32 s7, s6
.LBB185_2033:
	v_lshrrev_b32_e32 v15, 24, v15
	s_delay_alu instid0(VALU_DEP_1)
	v_and_or_b32 v17, 0x80, v15, v16
.LBB185_2034:
	s_or_b32 exec_lo, exec_lo, s7
.LBB185_2035:
	s_delay_alu instid0(SALU_CYCLE_1)
	s_or_b32 exec_lo, exec_lo, s3
	global_store_b8 v[3:4], v17, off
.LBB185_2036:
	s_mov_b32 s3, -1
.LBB185_2037:
	s_mov_b32 s6, 0
.LBB185_2038:
	s_delay_alu instid0(SALU_CYCLE_1)
	s_and_b32 vcc_lo, exec_lo, s6
	s_cbranch_vccz .LBB185_2078
; %bb.2039:
	v_cmp_lt_i16_e32 vcc_lo, 22, v6
	s_mov_b32 s1, -1
	s_cbranch_vccz .LBB185_2071
; %bb.2040:
	v_cmp_gt_i16_e32 vcc_lo, 24, v6
	s_cbranch_vccnz .LBB185_2060
; %bb.2041:
	v_cmp_lt_i16_e32 vcc_lo, 24, v6
	s_cbranch_vccz .LBB185_2049
; %bb.2042:
	v_cvt_f32_f16_e32 v15, v5
	v_mov_b32_e32 v17, 0x80
	s_mov_b32 s1, exec_lo
	s_delay_alu instid0(VALU_DEP_2) | instskip(NEXT) | instid1(VALU_DEP_1)
	v_and_b32_e32 v16, 0x7fffffff, v15
	v_cmpx_gt_u32_e32 0x47800000, v16
	s_cbranch_execz .LBB185_2048
; %bb.2043:
	v_cmp_lt_u32_e32 vcc_lo, 0x37ffffff, v16
	s_mov_b32 s3, 0
                                        ; implicit-def: $vgpr16
	s_and_saveexec_b32 s6, vcc_lo
	s_delay_alu instid0(SALU_CYCLE_1)
	s_xor_b32 s6, exec_lo, s6
	s_cbranch_execz .LBB185_2488
; %bb.2044:
	v_bfe_u32 v16, v15, 21, 1
	s_mov_b32 s3, exec_lo
	s_delay_alu instid0(VALU_DEP_1) | instskip(NEXT) | instid1(VALU_DEP_1)
	v_add3_u32 v16, v15, v16, 0x88fffff
	v_lshrrev_b32_e32 v16, 21, v16
	s_or_saveexec_b32 s6, s6
                                        ; implicit-def: $sgpr7
	s_delay_alu instid0(SALU_CYCLE_1)
	s_xor_b32 exec_lo, exec_lo, s6
	s_cbranch_execnz .LBB185_2489
.LBB185_2045:
	s_or_b32 exec_lo, exec_lo, s6
	v_mov_b32_e32 v17, s7
	s_and_saveexec_b32 s6, s3
.LBB185_2046:
	v_lshrrev_b32_e32 v15, 24, v15
	s_delay_alu instid0(VALU_DEP_1)
	v_and_or_b32 v17, 0x80, v15, v16
.LBB185_2047:
	s_or_b32 exec_lo, exec_lo, s6
.LBB185_2048:
	s_delay_alu instid0(SALU_CYCLE_1)
	s_or_b32 exec_lo, exec_lo, s1
	s_mov_b32 s1, 0
	global_store_b8 v[3:4], v17, off
.LBB185_2049:
	s_and_b32 vcc_lo, exec_lo, s1
	s_cbranch_vccz .LBB185_2059
; %bb.2050:
	v_cvt_f32_f16_e32 v15, v5
	s_mov_b32 s1, exec_lo
                                        ; implicit-def: $vgpr16
	s_delay_alu instid0(VALU_DEP_1) | instskip(NEXT) | instid1(VALU_DEP_1)
	v_and_b32_e32 v17, 0x7fffffff, v15
	v_cmpx_gt_u32_e32 0x43f00000, v17
	s_xor_b32 s1, exec_lo, s1
	s_cbranch_execz .LBB185_2056
; %bb.2051:
	s_mov_b32 s3, exec_lo
                                        ; implicit-def: $vgpr16
	v_cmpx_lt_u32_e32 0x3c7fffff, v17
	s_xor_b32 s3, exec_lo, s3
; %bb.2052:
	v_bfe_u32 v16, v15, 20, 1
	s_delay_alu instid0(VALU_DEP_1) | instskip(NEXT) | instid1(VALU_DEP_1)
	v_add3_u32 v16, v15, v16, 0x407ffff
	v_and_b32_e32 v17, 0xff00000, v16
	v_lshrrev_b32_e32 v16, 20, v16
	s_delay_alu instid0(VALU_DEP_2) | instskip(NEXT) | instid1(VALU_DEP_2)
	v_cmp_ne_u32_e32 vcc_lo, 0x7f00000, v17
	v_cndmask_b32_e32 v16, 0x7e, v16, vcc_lo
; %bb.2053:
	s_and_not1_saveexec_b32 s3, s3
; %bb.2054:
	v_add_f32_e64 v16, 0x46800000, |v15|
; %bb.2055:
	s_or_b32 exec_lo, exec_lo, s3
                                        ; implicit-def: $vgpr17
.LBB185_2056:
	s_and_not1_saveexec_b32 s1, s1
; %bb.2057:
	v_mov_b32_e32 v16, 0x7f
	v_cmp_lt_u32_e32 vcc_lo, 0x7f800000, v17
	s_delay_alu instid0(VALU_DEP_2)
	v_cndmask_b32_e32 v16, 0x7e, v16, vcc_lo
; %bb.2058:
	s_or_b32 exec_lo, exec_lo, s1
	v_lshrrev_b32_e32 v15, 24, v15
	s_delay_alu instid0(VALU_DEP_1)
	v_and_or_b32 v15, 0x80, v15, v16
	global_store_b8 v[3:4], v15, off
.LBB185_2059:
	s_mov_b32 s1, 0
.LBB185_2060:
	s_delay_alu instid0(SALU_CYCLE_1)
	s_and_not1_b32 vcc_lo, exec_lo, s1
	s_cbranch_vccnz .LBB185_2070
; %bb.2061:
	v_cvt_f32_f16_e32 v15, v5
	s_mov_b32 s1, exec_lo
                                        ; implicit-def: $vgpr16
	s_delay_alu instid0(VALU_DEP_1) | instskip(NEXT) | instid1(VALU_DEP_1)
	v_and_b32_e32 v17, 0x7fffffff, v15
	v_cmpx_gt_u32_e32 0x47800000, v17
	s_xor_b32 s1, exec_lo, s1
	s_cbranch_execz .LBB185_2067
; %bb.2062:
	s_mov_b32 s3, exec_lo
                                        ; implicit-def: $vgpr16
	v_cmpx_lt_u32_e32 0x387fffff, v17
	s_xor_b32 s3, exec_lo, s3
; %bb.2063:
	v_bfe_u32 v16, v15, 21, 1
	s_delay_alu instid0(VALU_DEP_1) | instskip(NEXT) | instid1(VALU_DEP_1)
	v_add3_u32 v16, v15, v16, 0x80fffff
	v_lshrrev_b32_e32 v16, 21, v16
; %bb.2064:
	s_and_not1_saveexec_b32 s3, s3
; %bb.2065:
	v_add_f32_e64 v16, 0x43000000, |v15|
; %bb.2066:
	s_or_b32 exec_lo, exec_lo, s3
                                        ; implicit-def: $vgpr17
.LBB185_2067:
	s_and_not1_saveexec_b32 s1, s1
; %bb.2068:
	v_mov_b32_e32 v16, 0x7f
	v_cmp_lt_u32_e32 vcc_lo, 0x7f800000, v17
	s_delay_alu instid0(VALU_DEP_2)
	v_cndmask_b32_e32 v16, 0x7c, v16, vcc_lo
; %bb.2069:
	s_or_b32 exec_lo, exec_lo, s1
	v_lshrrev_b32_e32 v15, 24, v15
	s_delay_alu instid0(VALU_DEP_1)
	v_and_or_b32 v15, 0x80, v15, v16
	global_store_b8 v[3:4], v15, off
.LBB185_2070:
	s_mov_b32 s1, 0
	s_mov_b32 s3, -1
.LBB185_2071:
	s_and_not1_b32 vcc_lo, exec_lo, s1
	s_mov_b32 s1, 0
	s_cbranch_vccnz .LBB185_2078
; %bb.2072:
	v_cmp_lt_i16_e32 vcc_lo, 14, v6
	s_mov_b32 s1, -1
	s_cbranch_vccz .LBB185_2076
; %bb.2073:
	v_cmp_eq_u16_e32 vcc_lo, 15, v6
	s_mov_b32 s0, -1
	s_cbranch_vccz .LBB185_2075
; %bb.2074:
	v_cvt_f32_f16_e32 v15, v5
	v_cmp_o_f16_e32 vcc_lo, v5, v5
	s_mov_b32 s0, 0
	s_mov_b32 s3, -1
	s_delay_alu instid0(VALU_DEP_2) | instskip(NEXT) | instid1(VALU_DEP_1)
	v_bfe_u32 v16, v15, 16, 1
	v_add3_u32 v15, v15, v16, 0x7fff
	s_delay_alu instid0(VALU_DEP_1) | instskip(NEXT) | instid1(VALU_DEP_1)
	v_lshrrev_b32_e32 v15, 16, v15
	v_cndmask_b32_e32 v15, 0x7fc0, v15, vcc_lo
	global_store_b16 v[3:4], v15, off
.LBB185_2075:
	s_mov_b32 s1, 0
.LBB185_2076:
	s_delay_alu instid0(SALU_CYCLE_1)
	s_and_b32 vcc_lo, exec_lo, s1
	s_mov_b32 s1, 0
	s_cbranch_vccz .LBB185_2078
; %bb.2077:
	v_cmp_ne_u16_e64 s0, 11, v6
	s_mov_b32 s1, -1
.LBB185_2078:
	s_delay_alu instid0(VALU_DEP_1)
	s_and_b32 vcc_lo, exec_lo, s0
	s_cbranch_vccnz .LBB185_2486
; %bb.2079:
	s_and_not1_b32 vcc_lo, exec_lo, s1
	s_cbranch_vccnz .LBB185_2081
.LBB185_2080:
	v_and_b32_e32 v15, 0x7fff7fff, v8
	s_mov_b32 s3, -1
	s_delay_alu instid0(VALU_DEP_1)
	v_cmp_ne_u32_e32 vcc_lo, 0, v15
	v_cndmask_b32_e64 v15, 0, 1, vcc_lo
	global_store_b8 v[3:4], v15, off
.LBB185_2081:
	s_mov_b32 s0, 0
.LBB185_2082:
	s_delay_alu instid0(SALU_CYCLE_1)
	s_and_b32 vcc_lo, exec_lo, s0
	s_cbranch_vccz .LBB185_2121
; %bb.2083:
	v_cmp_gt_i16_e32 vcc_lo, 5, v6
	s_mov_b32 s0, -1
	s_cbranch_vccnz .LBB185_2104
; %bb.2084:
	v_cmp_gt_i16_e32 vcc_lo, 8, v6
	s_cbranch_vccnz .LBB185_2094
; %bb.2085:
	v_cmp_gt_i16_e32 vcc_lo, 9, v6
	s_cbranch_vccnz .LBB185_2091
; %bb.2086:
	v_cmp_lt_i16_e32 vcc_lo, 9, v6
	s_cbranch_vccz .LBB185_2088
; %bb.2087:
	v_cvt_f32_f16_e32 v15, v5
	v_cvt_f32_f16_e32 v17, v10
	s_mov_b32 s0, 0
	s_delay_alu instid0(VALU_DEP_2) | instskip(NEXT) | instid1(VALU_DEP_2)
	v_cvt_f64_f32_e32 v[15:16], v15
	v_cvt_f64_f32_e32 v[17:18], v17
	global_store_b128 v[3:4], v[15:18], off
.LBB185_2088:
	s_and_not1_b32 vcc_lo, exec_lo, s0
	s_cbranch_vccnz .LBB185_2090
; %bb.2089:
	v_cvt_f32_f16_e32 v15, v5
	v_cvt_f32_f16_e32 v16, v10
	global_store_b64 v[3:4], v[15:16], off
.LBB185_2090:
	s_mov_b32 s0, 0
.LBB185_2091:
	s_delay_alu instid0(SALU_CYCLE_1)
	s_and_not1_b32 vcc_lo, exec_lo, s0
	s_cbranch_vccnz .LBB185_2093
; %bb.2092:
	global_store_b32 v[3:4], v8, off
.LBB185_2093:
	s_mov_b32 s0, 0
.LBB185_2094:
	s_delay_alu instid0(SALU_CYCLE_1)
	s_and_not1_b32 vcc_lo, exec_lo, s0
	s_cbranch_vccnz .LBB185_2103
; %bb.2095:
	v_cmp_gt_i16_e32 vcc_lo, 6, v6
	s_mov_b32 s0, -1
	s_cbranch_vccnz .LBB185_2101
; %bb.2096:
	v_cmp_lt_i16_e32 vcc_lo, 6, v6
	s_cbranch_vccz .LBB185_2098
; %bb.2097:
	v_cvt_f32_f16_e32 v8, v5
	s_mov_b32 s0, 0
	s_delay_alu instid0(VALU_DEP_1)
	v_cvt_f64_f32_e32 v[15:16], v8
	global_store_b64 v[3:4], v[15:16], off
.LBB185_2098:
	s_and_not1_b32 vcc_lo, exec_lo, s0
	s_cbranch_vccnz .LBB185_2100
; %bb.2099:
	v_cvt_f32_f16_e32 v8, v5
	global_store_b32 v[3:4], v8, off
.LBB185_2100:
	s_mov_b32 s0, 0
.LBB185_2101:
	s_delay_alu instid0(SALU_CYCLE_1)
	s_and_not1_b32 vcc_lo, exec_lo, s0
	s_cbranch_vccnz .LBB185_2103
; %bb.2102:
	global_store_b16 v[3:4], v5, off
.LBB185_2103:
	s_mov_b32 s0, 0
.LBB185_2104:
	s_delay_alu instid0(SALU_CYCLE_1)
	s_and_not1_b32 vcc_lo, exec_lo, s0
	s_cbranch_vccnz .LBB185_2120
; %bb.2105:
	v_cmp_gt_i16_e32 vcc_lo, 2, v6
	s_mov_b32 s0, -1
	s_cbranch_vccnz .LBB185_2115
; %bb.2106:
	v_cmp_gt_i16_e32 vcc_lo, 3, v6
	s_cbranch_vccnz .LBB185_2112
; %bb.2107:
	v_cmp_lt_i16_e32 vcc_lo, 3, v6
	s_cbranch_vccz .LBB185_2109
; %bb.2108:
	v_cvt_f32_f16_e32 v8, v5
	s_mov_b32 s0, 0
	s_delay_alu instid0(VALU_DEP_1) | instskip(NEXT) | instid1(VALU_DEP_1)
	v_cvt_i32_f32_e32 v15, v8
	v_ashrrev_i32_e32 v16, 31, v15
	global_store_b64 v[3:4], v[15:16], off
.LBB185_2109:
	s_and_not1_b32 vcc_lo, exec_lo, s0
	s_cbranch_vccnz .LBB185_2111
; %bb.2110:
	v_cvt_f32_f16_e32 v8, v5
	s_delay_alu instid0(VALU_DEP_1)
	v_cvt_i32_f32_e32 v8, v8
	global_store_b32 v[3:4], v8, off
.LBB185_2111:
	s_mov_b32 s0, 0
.LBB185_2112:
	s_delay_alu instid0(SALU_CYCLE_1)
	s_and_not1_b32 vcc_lo, exec_lo, s0
	s_cbranch_vccnz .LBB185_2114
; %bb.2113:
	v_cvt_i16_f16_e32 v8, v5
	global_store_b16 v[3:4], v8, off
.LBB185_2114:
	s_mov_b32 s0, 0
.LBB185_2115:
	s_delay_alu instid0(SALU_CYCLE_1)
	s_and_not1_b32 vcc_lo, exec_lo, s0
	s_cbranch_vccnz .LBB185_2120
; %bb.2116:
	v_cmp_lt_i16_e32 vcc_lo, 0, v6
	s_mov_b32 s0, -1
	s_cbranch_vccz .LBB185_2118
; %bb.2117:
	v_cvt_i16_f16_e32 v8, v5
	s_mov_b32 s0, 0
	global_store_b8 v[3:4], v8, off
.LBB185_2118:
	s_and_not1_b32 vcc_lo, exec_lo, s0
	s_cbranch_vccnz .LBB185_2120
; %bb.2119:
	v_cvt_f32_f16_e32 v5, v5
	s_delay_alu instid0(VALU_DEP_1)
	v_cvt_i32_f32_e32 v5, v5
	global_store_b8 v[3:4], v5, off
.LBB185_2120:
	s_mov_b32 s3, -1
.LBB185_2121:
	s_delay_alu instid0(SALU_CYCLE_1)
	s_and_not1_b32 vcc_lo, exec_lo, s3
	s_cbranch_vccnz .LBB185_2435
; %bb.2122:
	v_cvt_f16_f32_e32 v4, v11
	v_cvt_f16_f32_e32 v7, v7
	v_cmp_gt_i16_e32 vcc_lo, 11, v6
	v_add_co_u32 v2, s0, s4, v2
	s_delay_alu instid0(VALU_DEP_4) | instskip(NEXT) | instid1(VALU_DEP_4)
	v_lshlrev_b32_e32 v5, 16, v4
	v_and_b32_e32 v8, 0xffff, v7
	v_add_co_ci_u32_e64 v3, null, s5, 0, s0
	s_mov_b32 s3, 0
	s_delay_alu instid0(VALU_DEP_2)
	v_or_b32_e32 v8, v5, v8
	s_mov_b32 s0, -1
	s_cbranch_vccnz .LBB185_2200
; %bb.2123:
	v_cmp_lt_i16_e32 vcc_lo, 25, v6
	s_mov_b32 s6, -1
	s_mov_b32 s1, 0
	s_mov_b32 s0, 0
	s_cbranch_vccz .LBB185_2156
; %bb.2124:
	v_cmp_lt_i16_e32 vcc_lo, 28, v6
	s_cbranch_vccz .LBB185_2139
; %bb.2125:
	v_cmp_lt_i16_e32 vcc_lo, 43, v6
	;; [unrolled: 3-line block ×3, first 2 shown]
	s_cbranch_vccz .LBB185_2129
; %bb.2127:
	v_cmp_eq_u16_e32 vcc_lo, 46, v6
	s_mov_b32 s0, -1
	s_mov_b32 s6, 0
	s_cbranch_vccz .LBB185_2129
; %bb.2128:
	v_cvt_f32_f16_e32 v5, v4
	v_cvt_f32_f16_e32 v10, v7
	v_cmp_o_f16_e32 vcc_lo, v4, v4
	s_mov_b32 s0, 0
	s_mov_b32 s3, -1
	v_bfe_u32 v11, v5, 16, 1
	v_bfe_u32 v15, v10, 16, 1
	s_delay_alu instid0(VALU_DEP_2) | instskip(NEXT) | instid1(VALU_DEP_2)
	v_add3_u32 v5, v5, v11, 0x7fff
	v_add3_u32 v10, v10, v15, 0x7fff
	s_delay_alu instid0(VALU_DEP_2) | instskip(NEXT) | instid1(VALU_DEP_2)
	v_and_b32_e32 v5, 0xffff0000, v5
	v_lshrrev_b32_e32 v10, 16, v10
	s_delay_alu instid0(VALU_DEP_2) | instskip(SKIP_1) | instid1(VALU_DEP_3)
	v_cndmask_b32_e32 v5, 0x7fc00000, v5, vcc_lo
	v_cmp_o_f16_e32 vcc_lo, v7, v7
	v_cndmask_b32_e32 v10, 0x7fc0, v10, vcc_lo
	s_delay_alu instid0(VALU_DEP_1)
	v_or_b32_e32 v5, v5, v10
	global_store_b32 v[2:3], v5, off
.LBB185_2129:
	s_and_b32 vcc_lo, exec_lo, s6
	s_cbranch_vccz .LBB185_2134
; %bb.2130:
	v_cmp_eq_u16_e32 vcc_lo, 44, v6
	s_mov_b32 s0, -1
	s_cbranch_vccz .LBB185_2134
; %bb.2131:
	v_cvt_f32_f16_e32 v5, v7
	v_mov_b32_e32 v10, 0xff
	s_mov_b32 s3, exec_lo
	s_delay_alu instid0(VALU_DEP_2) | instskip(NEXT) | instid1(VALU_DEP_1)
	v_bfe_u32 v11, v5, 23, 8
	v_cmpx_ne_u32_e32 0xff, v11
; %bb.2132:
	v_and_b32_e32 v10, 0x400000, v5
	v_and_or_b32 v11, 0x3fffff, v5, v11
	v_lshrrev_b32_e32 v5, 23, v5
	s_delay_alu instid0(VALU_DEP_3) | instskip(NEXT) | instid1(VALU_DEP_3)
	v_cmp_ne_u32_e32 vcc_lo, 0, v10
	v_cmp_ne_u32_e64 s0, 0, v11
	s_delay_alu instid0(VALU_DEP_1) | instskip(NEXT) | instid1(SALU_CYCLE_1)
	s_and_b32 s0, vcc_lo, s0
	v_cndmask_b32_e64 v10, 0, 1, s0
	s_delay_alu instid0(VALU_DEP_1)
	v_add_nc_u32_e32 v10, v5, v10
; %bb.2133:
	s_or_b32 exec_lo, exec_lo, s3
	s_mov_b32 s0, 0
	s_mov_b32 s3, -1
	global_store_b8 v[2:3], v10, off
.LBB185_2134:
	s_mov_b32 s6, 0
.LBB185_2135:
	s_delay_alu instid0(SALU_CYCLE_1)
	s_and_b32 vcc_lo, exec_lo, s6
	s_cbranch_vccz .LBB185_2138
; %bb.2136:
	v_cmp_eq_u16_e32 vcc_lo, 29, v6
	s_mov_b32 s0, -1
	s_cbranch_vccz .LBB185_2138
; %bb.2137:
	v_cvt_f32_f16_e32 v5, v7
	v_mov_b32_e32 v11, 0
	s_mov_b32 s0, 0
	s_mov_b32 s3, -1
	s_delay_alu instid0(VALU_DEP_2)
	v_cvt_u32_f32_e32 v10, v5
	global_store_b64 v[2:3], v[10:11], off
.LBB185_2138:
	s_mov_b32 s6, 0
.LBB185_2139:
	s_delay_alu instid0(SALU_CYCLE_1)
	s_and_b32 vcc_lo, exec_lo, s6
	s_cbranch_vccz .LBB185_2155
; %bb.2140:
	v_cmp_gt_i16_e32 vcc_lo, 27, v6
	s_mov_b32 s3, -1
	s_cbranch_vccnz .LBB185_2146
; %bb.2141:
	v_cmp_lt_i16_e32 vcc_lo, 27, v6
	s_cbranch_vccz .LBB185_2143
; %bb.2142:
	v_cvt_f32_f16_e32 v5, v7
	s_mov_b32 s3, 0
	s_delay_alu instid0(VALU_DEP_1)
	v_cvt_u32_f32_e32 v5, v5
	global_store_b32 v[2:3], v5, off
.LBB185_2143:
	s_and_not1_b32 vcc_lo, exec_lo, s3
	s_cbranch_vccnz .LBB185_2145
; %bb.2144:
	v_cvt_u16_f16_e32 v5, v7
	global_store_b16 v[2:3], v5, off
.LBB185_2145:
	s_mov_b32 s3, 0
.LBB185_2146:
	s_delay_alu instid0(SALU_CYCLE_1)
	s_and_not1_b32 vcc_lo, exec_lo, s3
	s_cbranch_vccnz .LBB185_2154
; %bb.2147:
	v_cvt_f32_f16_e32 v5, v7
	v_mov_b32_e32 v11, 0x80
	s_mov_b32 s3, exec_lo
	s_delay_alu instid0(VALU_DEP_2) | instskip(NEXT) | instid1(VALU_DEP_1)
	v_and_b32_e32 v10, 0x7fffffff, v5
	v_cmpx_gt_u32_e32 0x43800000, v10
	s_cbranch_execz .LBB185_2153
; %bb.2148:
	v_cmp_lt_u32_e32 vcc_lo, 0x3bffffff, v10
	s_mov_b32 s6, 0
                                        ; implicit-def: $vgpr10
	s_and_saveexec_b32 s7, vcc_lo
	s_delay_alu instid0(SALU_CYCLE_1)
	s_xor_b32 s7, exec_lo, s7
	s_cbranch_execz .LBB185_2490
; %bb.2149:
	v_bfe_u32 v10, v5, 20, 1
	s_mov_b32 s6, exec_lo
	s_delay_alu instid0(VALU_DEP_1) | instskip(NEXT) | instid1(VALU_DEP_1)
	v_add3_u32 v10, v5, v10, 0x487ffff
	v_lshrrev_b32_e32 v10, 20, v10
	s_or_saveexec_b32 s7, s7
                                        ; implicit-def: $sgpr10
	s_delay_alu instid0(SALU_CYCLE_1)
	s_xor_b32 exec_lo, exec_lo, s7
	s_cbranch_execnz .LBB185_2491
.LBB185_2150:
	s_or_b32 exec_lo, exec_lo, s7
	v_mov_b32_e32 v11, s10
	s_and_saveexec_b32 s7, s6
.LBB185_2151:
	v_lshrrev_b32_e32 v5, 24, v5
	s_delay_alu instid0(VALU_DEP_1)
	v_and_or_b32 v11, 0x80, v5, v10
.LBB185_2152:
	s_or_b32 exec_lo, exec_lo, s7
.LBB185_2153:
	s_delay_alu instid0(SALU_CYCLE_1)
	s_or_b32 exec_lo, exec_lo, s3
	global_store_b8 v[2:3], v11, off
.LBB185_2154:
	s_mov_b32 s3, -1
.LBB185_2155:
	s_mov_b32 s6, 0
.LBB185_2156:
	s_delay_alu instid0(SALU_CYCLE_1)
	s_and_b32 vcc_lo, exec_lo, s6
	s_cbranch_vccz .LBB185_2196
; %bb.2157:
	v_cmp_lt_i16_e32 vcc_lo, 22, v6
	s_mov_b32 s1, -1
	s_cbranch_vccz .LBB185_2189
; %bb.2158:
	v_cmp_gt_i16_e32 vcc_lo, 24, v6
	s_cbranch_vccnz .LBB185_2178
; %bb.2159:
	v_cmp_lt_i16_e32 vcc_lo, 24, v6
	s_cbranch_vccz .LBB185_2167
; %bb.2160:
	v_cvt_f32_f16_e32 v5, v7
	v_mov_b32_e32 v11, 0x80
	s_mov_b32 s1, exec_lo
	s_delay_alu instid0(VALU_DEP_2) | instskip(NEXT) | instid1(VALU_DEP_1)
	v_and_b32_e32 v10, 0x7fffffff, v5
	v_cmpx_gt_u32_e32 0x47800000, v10
	s_cbranch_execz .LBB185_2166
; %bb.2161:
	v_cmp_lt_u32_e32 vcc_lo, 0x37ffffff, v10
	s_mov_b32 s3, 0
                                        ; implicit-def: $vgpr10
	s_and_saveexec_b32 s6, vcc_lo
	s_delay_alu instid0(SALU_CYCLE_1)
	s_xor_b32 s6, exec_lo, s6
	s_cbranch_execz .LBB185_2496
; %bb.2162:
	v_bfe_u32 v10, v5, 21, 1
	s_mov_b32 s3, exec_lo
	s_delay_alu instid0(VALU_DEP_1) | instskip(NEXT) | instid1(VALU_DEP_1)
	v_add3_u32 v10, v5, v10, 0x88fffff
	v_lshrrev_b32_e32 v10, 21, v10
	s_or_saveexec_b32 s6, s6
                                        ; implicit-def: $sgpr7
	s_delay_alu instid0(SALU_CYCLE_1)
	s_xor_b32 exec_lo, exec_lo, s6
	s_cbranch_execnz .LBB185_2497
.LBB185_2163:
	s_or_b32 exec_lo, exec_lo, s6
	v_mov_b32_e32 v11, s7
	s_and_saveexec_b32 s6, s3
.LBB185_2164:
	v_lshrrev_b32_e32 v5, 24, v5
	s_delay_alu instid0(VALU_DEP_1)
	v_and_or_b32 v11, 0x80, v5, v10
.LBB185_2165:
	s_or_b32 exec_lo, exec_lo, s6
.LBB185_2166:
	s_delay_alu instid0(SALU_CYCLE_1)
	s_or_b32 exec_lo, exec_lo, s1
	s_mov_b32 s1, 0
	global_store_b8 v[2:3], v11, off
.LBB185_2167:
	s_and_b32 vcc_lo, exec_lo, s1
	s_cbranch_vccz .LBB185_2177
; %bb.2168:
	v_cvt_f32_f16_e32 v5, v7
	s_mov_b32 s1, exec_lo
                                        ; implicit-def: $vgpr10
	s_delay_alu instid0(VALU_DEP_1) | instskip(NEXT) | instid1(VALU_DEP_1)
	v_and_b32_e32 v11, 0x7fffffff, v5
	v_cmpx_gt_u32_e32 0x43f00000, v11
	s_xor_b32 s1, exec_lo, s1
	s_cbranch_execz .LBB185_2174
; %bb.2169:
	s_mov_b32 s3, exec_lo
                                        ; implicit-def: $vgpr10
	v_cmpx_lt_u32_e32 0x3c7fffff, v11
	s_xor_b32 s3, exec_lo, s3
; %bb.2170:
	v_bfe_u32 v10, v5, 20, 1
	s_delay_alu instid0(VALU_DEP_1) | instskip(NEXT) | instid1(VALU_DEP_1)
	v_add3_u32 v10, v5, v10, 0x407ffff
	v_and_b32_e32 v11, 0xff00000, v10
	v_lshrrev_b32_e32 v10, 20, v10
	s_delay_alu instid0(VALU_DEP_2) | instskip(NEXT) | instid1(VALU_DEP_2)
	v_cmp_ne_u32_e32 vcc_lo, 0x7f00000, v11
	v_cndmask_b32_e32 v10, 0x7e, v10, vcc_lo
; %bb.2171:
	s_and_not1_saveexec_b32 s3, s3
; %bb.2172:
	v_add_f32_e64 v10, 0x46800000, |v5|
; %bb.2173:
	s_or_b32 exec_lo, exec_lo, s3
                                        ; implicit-def: $vgpr11
.LBB185_2174:
	s_and_not1_saveexec_b32 s1, s1
; %bb.2175:
	v_mov_b32_e32 v10, 0x7f
	v_cmp_lt_u32_e32 vcc_lo, 0x7f800000, v11
	s_delay_alu instid0(VALU_DEP_2)
	v_cndmask_b32_e32 v10, 0x7e, v10, vcc_lo
; %bb.2176:
	s_or_b32 exec_lo, exec_lo, s1
	v_lshrrev_b32_e32 v5, 24, v5
	s_delay_alu instid0(VALU_DEP_1)
	v_and_or_b32 v5, 0x80, v5, v10
	global_store_b8 v[2:3], v5, off
.LBB185_2177:
	s_mov_b32 s1, 0
.LBB185_2178:
	s_delay_alu instid0(SALU_CYCLE_1)
	s_and_not1_b32 vcc_lo, exec_lo, s1
	s_cbranch_vccnz .LBB185_2188
; %bb.2179:
	v_cvt_f32_f16_e32 v5, v7
	s_mov_b32 s1, exec_lo
                                        ; implicit-def: $vgpr10
	s_delay_alu instid0(VALU_DEP_1) | instskip(NEXT) | instid1(VALU_DEP_1)
	v_and_b32_e32 v11, 0x7fffffff, v5
	v_cmpx_gt_u32_e32 0x47800000, v11
	s_xor_b32 s1, exec_lo, s1
	s_cbranch_execz .LBB185_2185
; %bb.2180:
	s_mov_b32 s3, exec_lo
                                        ; implicit-def: $vgpr10
	v_cmpx_lt_u32_e32 0x387fffff, v11
	s_xor_b32 s3, exec_lo, s3
; %bb.2181:
	v_bfe_u32 v10, v5, 21, 1
	s_delay_alu instid0(VALU_DEP_1) | instskip(NEXT) | instid1(VALU_DEP_1)
	v_add3_u32 v10, v5, v10, 0x80fffff
	v_lshrrev_b32_e32 v10, 21, v10
; %bb.2182:
	s_and_not1_saveexec_b32 s3, s3
; %bb.2183:
	v_add_f32_e64 v10, 0x43000000, |v5|
; %bb.2184:
	s_or_b32 exec_lo, exec_lo, s3
                                        ; implicit-def: $vgpr11
.LBB185_2185:
	s_and_not1_saveexec_b32 s1, s1
; %bb.2186:
	v_mov_b32_e32 v10, 0x7f
	v_cmp_lt_u32_e32 vcc_lo, 0x7f800000, v11
	s_delay_alu instid0(VALU_DEP_2)
	v_cndmask_b32_e32 v10, 0x7c, v10, vcc_lo
; %bb.2187:
	s_or_b32 exec_lo, exec_lo, s1
	v_lshrrev_b32_e32 v5, 24, v5
	s_delay_alu instid0(VALU_DEP_1)
	v_and_or_b32 v5, 0x80, v5, v10
	global_store_b8 v[2:3], v5, off
.LBB185_2188:
	s_mov_b32 s1, 0
	s_mov_b32 s3, -1
.LBB185_2189:
	s_and_not1_b32 vcc_lo, exec_lo, s1
	s_mov_b32 s1, 0
	s_cbranch_vccnz .LBB185_2196
; %bb.2190:
	v_cmp_lt_i16_e32 vcc_lo, 14, v6
	s_mov_b32 s1, -1
	s_cbranch_vccz .LBB185_2194
; %bb.2191:
	v_cmp_eq_u16_e32 vcc_lo, 15, v6
	s_mov_b32 s0, -1
	s_cbranch_vccz .LBB185_2193
; %bb.2192:
	v_cvt_f32_f16_e32 v5, v7
	v_cmp_o_f16_e32 vcc_lo, v7, v7
	s_mov_b32 s0, 0
	s_mov_b32 s3, -1
	s_delay_alu instid0(VALU_DEP_2) | instskip(NEXT) | instid1(VALU_DEP_1)
	v_bfe_u32 v10, v5, 16, 1
	v_add3_u32 v5, v5, v10, 0x7fff
	s_delay_alu instid0(VALU_DEP_1) | instskip(NEXT) | instid1(VALU_DEP_1)
	v_lshrrev_b32_e32 v5, 16, v5
	v_cndmask_b32_e32 v5, 0x7fc0, v5, vcc_lo
	global_store_b16 v[2:3], v5, off
.LBB185_2193:
	s_mov_b32 s1, 0
.LBB185_2194:
	s_delay_alu instid0(SALU_CYCLE_1)
	s_and_b32 vcc_lo, exec_lo, s1
	s_mov_b32 s1, 0
	s_cbranch_vccz .LBB185_2196
; %bb.2195:
	v_cmp_ne_u16_e64 s0, 11, v6
	s_mov_b32 s1, -1
.LBB185_2196:
	s_delay_alu instid0(VALU_DEP_1)
	s_and_b32 vcc_lo, exec_lo, s0
	s_cbranch_vccnz .LBB185_2494
; %bb.2197:
	s_and_not1_b32 vcc_lo, exec_lo, s1
	s_cbranch_vccnz .LBB185_2199
.LBB185_2198:
	v_and_b32_e32 v5, 0x7fff7fff, v8
	s_mov_b32 s3, -1
	s_delay_alu instid0(VALU_DEP_1)
	v_cmp_ne_u32_e32 vcc_lo, 0, v5
	v_cndmask_b32_e64 v5, 0, 1, vcc_lo
	global_store_b8 v[2:3], v5, off
.LBB185_2199:
	s_mov_b32 s0, 0
.LBB185_2200:
	s_delay_alu instid0(SALU_CYCLE_1)
	s_and_b32 vcc_lo, exec_lo, s0
	s_cbranch_vccz .LBB185_2239
; %bb.2201:
	v_cmp_gt_i16_e32 vcc_lo, 5, v6
	s_mov_b32 s0, -1
	s_cbranch_vccnz .LBB185_2222
; %bb.2202:
	v_cmp_gt_i16_e32 vcc_lo, 8, v6
	s_cbranch_vccnz .LBB185_2212
; %bb.2203:
	v_cmp_gt_i16_e32 vcc_lo, 9, v6
	s_cbranch_vccnz .LBB185_2209
; %bb.2204:
	v_cmp_lt_i16_e32 vcc_lo, 9, v6
	v_cvt_f32_f16_e32 v5, v4
	s_cbranch_vccz .LBB185_2206
; %bb.2205:
	v_cvt_f32_f16_e32 v4, v7
	s_delay_alu instid0(VALU_DEP_2) | instskip(SKIP_1) | instid1(VALU_DEP_2)
	v_cvt_f64_f32_e32 v[17:18], v5
	s_mov_b32 s0, 0
	v_cvt_f64_f32_e32 v[15:16], v4
	global_store_b128 v[2:3], v[15:18], off
.LBB185_2206:
	s_and_not1_b32 vcc_lo, exec_lo, s0
	s_cbranch_vccnz .LBB185_2208
; %bb.2207:
	v_cvt_f32_f16_e32 v4, v7
	global_store_b64 v[2:3], v[4:5], off
.LBB185_2208:
	s_mov_b32 s0, 0
.LBB185_2209:
	s_delay_alu instid0(SALU_CYCLE_1)
	s_and_not1_b32 vcc_lo, exec_lo, s0
	s_cbranch_vccnz .LBB185_2211
; %bb.2210:
	global_store_b32 v[2:3], v8, off
.LBB185_2211:
	s_mov_b32 s0, 0
.LBB185_2212:
	s_delay_alu instid0(SALU_CYCLE_1)
	s_and_not1_b32 vcc_lo, exec_lo, s0
	s_cbranch_vccnz .LBB185_2221
; %bb.2213:
	v_cmp_gt_i16_e32 vcc_lo, 6, v6
	s_mov_b32 s0, -1
	s_cbranch_vccnz .LBB185_2219
; %bb.2214:
	v_cmp_lt_i16_e32 vcc_lo, 6, v6
	s_cbranch_vccz .LBB185_2216
; %bb.2215:
	v_cvt_f32_f16_e32 v4, v7
	s_mov_b32 s0, 0
	s_delay_alu instid0(VALU_DEP_1)
	v_cvt_f64_f32_e32 v[4:5], v4
	global_store_b64 v[2:3], v[4:5], off
.LBB185_2216:
	s_and_not1_b32 vcc_lo, exec_lo, s0
	s_cbranch_vccnz .LBB185_2218
; %bb.2217:
	v_cvt_f32_f16_e32 v4, v7
	global_store_b32 v[2:3], v4, off
.LBB185_2218:
	s_mov_b32 s0, 0
.LBB185_2219:
	s_delay_alu instid0(SALU_CYCLE_1)
	s_and_not1_b32 vcc_lo, exec_lo, s0
	s_cbranch_vccnz .LBB185_2221
; %bb.2220:
	global_store_b16 v[2:3], v7, off
.LBB185_2221:
	s_mov_b32 s0, 0
.LBB185_2222:
	s_delay_alu instid0(SALU_CYCLE_1)
	s_and_not1_b32 vcc_lo, exec_lo, s0
	s_cbranch_vccnz .LBB185_2238
; %bb.2223:
	v_cmp_gt_i16_e32 vcc_lo, 2, v6
	s_mov_b32 s0, -1
	s_cbranch_vccnz .LBB185_2233
; %bb.2224:
	v_cmp_gt_i16_e32 vcc_lo, 3, v6
	s_cbranch_vccnz .LBB185_2230
; %bb.2225:
	v_cmp_lt_i16_e32 vcc_lo, 3, v6
	s_cbranch_vccz .LBB185_2227
; %bb.2226:
	v_cvt_f32_f16_e32 v4, v7
	s_mov_b32 s0, 0
	s_delay_alu instid0(VALU_DEP_1) | instskip(NEXT) | instid1(VALU_DEP_1)
	v_cvt_i32_f32_e32 v4, v4
	v_ashrrev_i32_e32 v5, 31, v4
	global_store_b64 v[2:3], v[4:5], off
.LBB185_2227:
	s_and_not1_b32 vcc_lo, exec_lo, s0
	s_cbranch_vccnz .LBB185_2229
; %bb.2228:
	v_cvt_f32_f16_e32 v4, v7
	s_delay_alu instid0(VALU_DEP_1)
	v_cvt_i32_f32_e32 v4, v4
	global_store_b32 v[2:3], v4, off
.LBB185_2229:
	s_mov_b32 s0, 0
.LBB185_2230:
	s_delay_alu instid0(SALU_CYCLE_1)
	s_and_not1_b32 vcc_lo, exec_lo, s0
	s_cbranch_vccnz .LBB185_2232
; %bb.2231:
	v_cvt_i16_f16_e32 v4, v7
	global_store_b16 v[2:3], v4, off
.LBB185_2232:
	s_mov_b32 s0, 0
.LBB185_2233:
	s_delay_alu instid0(SALU_CYCLE_1)
	s_and_not1_b32 vcc_lo, exec_lo, s0
	s_cbranch_vccnz .LBB185_2238
; %bb.2234:
	v_cmp_lt_i16_e32 vcc_lo, 0, v6
	s_mov_b32 s0, -1
	s_cbranch_vccz .LBB185_2236
; %bb.2235:
	v_cvt_i16_f16_e32 v4, v7
	s_mov_b32 s0, 0
	global_store_b8 v[2:3], v4, off
.LBB185_2236:
	s_and_not1_b32 vcc_lo, exec_lo, s0
	s_cbranch_vccnz .LBB185_2238
; %bb.2237:
	v_cvt_f32_f16_e32 v4, v7
	s_delay_alu instid0(VALU_DEP_1)
	v_cvt_i32_f32_e32 v4, v4
	global_store_b8 v[2:3], v4, off
.LBB185_2238:
	s_mov_b32 s3, -1
.LBB185_2239:
	s_delay_alu instid0(SALU_CYCLE_1)
	s_and_not1_b32 vcc_lo, exec_lo, s3
	s_cbranch_vccnz .LBB185_2435
; %bb.2240:
	v_cvt_f16_f32_e32 v3, v13
	v_cvt_f16_f32_e32 v5, v12
	v_cmp_gt_i16_e32 vcc_lo, 11, v6
	v_add_co_u32 v1, s0, s4, v1
	s_delay_alu instid0(VALU_DEP_4) | instskip(NEXT) | instid1(VALU_DEP_4)
	v_lshlrev_b32_e32 v4, 16, v3
	v_and_b32_e32 v7, 0xffff, v5
	v_add_co_ci_u32_e64 v2, null, s5, 0, s0
	s_mov_b32 s3, 0
	s_delay_alu instid0(VALU_DEP_2)
	v_or_b32_e32 v7, v4, v7
	s_mov_b32 s0, -1
	s_cbranch_vccnz .LBB185_2318
; %bb.2241:
	v_cmp_lt_i16_e32 vcc_lo, 25, v6
	s_mov_b32 s6, -1
	s_mov_b32 s1, 0
	s_mov_b32 s0, 0
	s_cbranch_vccz .LBB185_2274
; %bb.2242:
	v_cmp_lt_i16_e32 vcc_lo, 28, v6
	s_cbranch_vccz .LBB185_2257
; %bb.2243:
	v_cmp_lt_i16_e32 vcc_lo, 43, v6
	s_cbranch_vccz .LBB185_2253
; %bb.2244:
	v_cmp_lt_i16_e32 vcc_lo, 45, v6
	s_cbranch_vccz .LBB185_2247
; %bb.2245:
	v_cmp_eq_u16_e32 vcc_lo, 46, v6
	s_mov_b32 s0, -1
	s_mov_b32 s6, 0
	s_cbranch_vccz .LBB185_2247
; %bb.2246:
	v_cvt_f32_f16_e32 v4, v3
	v_cvt_f32_f16_e32 v8, v5
	v_cmp_o_f16_e32 vcc_lo, v3, v3
	s_mov_b32 s0, 0
	s_mov_b32 s3, -1
	v_bfe_u32 v10, v4, 16, 1
	v_bfe_u32 v11, v8, 16, 1
	s_delay_alu instid0(VALU_DEP_2) | instskip(NEXT) | instid1(VALU_DEP_2)
	v_add3_u32 v4, v4, v10, 0x7fff
	v_add3_u32 v8, v8, v11, 0x7fff
	s_delay_alu instid0(VALU_DEP_2) | instskip(NEXT) | instid1(VALU_DEP_2)
	v_and_b32_e32 v4, 0xffff0000, v4
	v_lshrrev_b32_e32 v8, 16, v8
	s_delay_alu instid0(VALU_DEP_2) | instskip(SKIP_1) | instid1(VALU_DEP_3)
	v_cndmask_b32_e32 v4, 0x7fc00000, v4, vcc_lo
	v_cmp_o_f16_e32 vcc_lo, v5, v5
	v_cndmask_b32_e32 v8, 0x7fc0, v8, vcc_lo
	s_delay_alu instid0(VALU_DEP_1)
	v_or_b32_e32 v4, v4, v8
	global_store_b32 v[1:2], v4, off
.LBB185_2247:
	s_and_b32 vcc_lo, exec_lo, s6
	s_cbranch_vccz .LBB185_2252
; %bb.2248:
	v_cmp_eq_u16_e32 vcc_lo, 44, v6
	s_mov_b32 s0, -1
	s_cbranch_vccz .LBB185_2252
; %bb.2249:
	v_cvt_f32_f16_e32 v4, v5
	v_mov_b32_e32 v8, 0xff
	s_mov_b32 s3, exec_lo
	s_delay_alu instid0(VALU_DEP_2) | instskip(NEXT) | instid1(VALU_DEP_1)
	v_bfe_u32 v10, v4, 23, 8
	v_cmpx_ne_u32_e32 0xff, v10
; %bb.2250:
	v_and_b32_e32 v8, 0x400000, v4
	v_and_or_b32 v10, 0x3fffff, v4, v10
	v_lshrrev_b32_e32 v4, 23, v4
	s_delay_alu instid0(VALU_DEP_3) | instskip(NEXT) | instid1(VALU_DEP_3)
	v_cmp_ne_u32_e32 vcc_lo, 0, v8
	v_cmp_ne_u32_e64 s0, 0, v10
	s_delay_alu instid0(VALU_DEP_1) | instskip(NEXT) | instid1(SALU_CYCLE_1)
	s_and_b32 s0, vcc_lo, s0
	v_cndmask_b32_e64 v8, 0, 1, s0
	s_delay_alu instid0(VALU_DEP_1)
	v_add_nc_u32_e32 v8, v4, v8
; %bb.2251:
	s_or_b32 exec_lo, exec_lo, s3
	s_mov_b32 s0, 0
	s_mov_b32 s3, -1
	global_store_b8 v[1:2], v8, off
.LBB185_2252:
	s_mov_b32 s6, 0
.LBB185_2253:
	s_delay_alu instid0(SALU_CYCLE_1)
	s_and_b32 vcc_lo, exec_lo, s6
	s_cbranch_vccz .LBB185_2256
; %bb.2254:
	v_cmp_eq_u16_e32 vcc_lo, 29, v6
	s_mov_b32 s0, -1
	s_cbranch_vccz .LBB185_2256
; %bb.2255:
	v_cvt_f32_f16_e32 v4, v5
	v_mov_b32_e32 v11, 0
	s_mov_b32 s0, 0
	s_mov_b32 s3, -1
	s_delay_alu instid0(VALU_DEP_2)
	v_cvt_u32_f32_e32 v10, v4
	global_store_b64 v[1:2], v[10:11], off
.LBB185_2256:
	s_mov_b32 s6, 0
.LBB185_2257:
	s_delay_alu instid0(SALU_CYCLE_1)
	s_and_b32 vcc_lo, exec_lo, s6
	s_cbranch_vccz .LBB185_2273
; %bb.2258:
	v_cmp_gt_i16_e32 vcc_lo, 27, v6
	s_mov_b32 s3, -1
	s_cbranch_vccnz .LBB185_2264
; %bb.2259:
	v_cmp_lt_i16_e32 vcc_lo, 27, v6
	s_cbranch_vccz .LBB185_2261
; %bb.2260:
	v_cvt_f32_f16_e32 v4, v5
	s_mov_b32 s3, 0
	s_delay_alu instid0(VALU_DEP_1)
	v_cvt_u32_f32_e32 v4, v4
	global_store_b32 v[1:2], v4, off
.LBB185_2261:
	s_and_not1_b32 vcc_lo, exec_lo, s3
	s_cbranch_vccnz .LBB185_2263
; %bb.2262:
	v_cvt_u16_f16_e32 v4, v5
	global_store_b16 v[1:2], v4, off
.LBB185_2263:
	s_mov_b32 s3, 0
.LBB185_2264:
	s_delay_alu instid0(SALU_CYCLE_1)
	s_and_not1_b32 vcc_lo, exec_lo, s3
	s_cbranch_vccnz .LBB185_2272
; %bb.2265:
	v_cvt_f32_f16_e32 v4, v5
	v_mov_b32_e32 v10, 0x80
	s_mov_b32 s3, exec_lo
	s_delay_alu instid0(VALU_DEP_2) | instskip(NEXT) | instid1(VALU_DEP_1)
	v_and_b32_e32 v8, 0x7fffffff, v4
	v_cmpx_gt_u32_e32 0x43800000, v8
	s_cbranch_execz .LBB185_2271
; %bb.2266:
	v_cmp_lt_u32_e32 vcc_lo, 0x3bffffff, v8
	s_mov_b32 s6, 0
                                        ; implicit-def: $vgpr8
	s_and_saveexec_b32 s7, vcc_lo
	s_delay_alu instid0(SALU_CYCLE_1)
	s_xor_b32 s7, exec_lo, s7
	s_cbranch_execz .LBB185_2498
; %bb.2267:
	v_bfe_u32 v8, v4, 20, 1
	s_mov_b32 s6, exec_lo
	s_delay_alu instid0(VALU_DEP_1) | instskip(NEXT) | instid1(VALU_DEP_1)
	v_add3_u32 v8, v4, v8, 0x487ffff
	v_lshrrev_b32_e32 v8, 20, v8
	s_or_saveexec_b32 s7, s7
                                        ; implicit-def: $sgpr10
	s_delay_alu instid0(SALU_CYCLE_1)
	s_xor_b32 exec_lo, exec_lo, s7
	s_cbranch_execnz .LBB185_2499
.LBB185_2268:
	s_or_b32 exec_lo, exec_lo, s7
	v_mov_b32_e32 v10, s10
	s_and_saveexec_b32 s7, s6
.LBB185_2269:
	v_lshrrev_b32_e32 v4, 24, v4
	s_delay_alu instid0(VALU_DEP_1)
	v_and_or_b32 v10, 0x80, v4, v8
.LBB185_2270:
	s_or_b32 exec_lo, exec_lo, s7
.LBB185_2271:
	s_delay_alu instid0(SALU_CYCLE_1)
	s_or_b32 exec_lo, exec_lo, s3
	global_store_b8 v[1:2], v10, off
.LBB185_2272:
	s_mov_b32 s3, -1
.LBB185_2273:
	s_mov_b32 s6, 0
.LBB185_2274:
	s_delay_alu instid0(SALU_CYCLE_1)
	s_and_b32 vcc_lo, exec_lo, s6
	s_cbranch_vccz .LBB185_2314
; %bb.2275:
	v_cmp_lt_i16_e32 vcc_lo, 22, v6
	s_mov_b32 s1, -1
	s_cbranch_vccz .LBB185_2307
; %bb.2276:
	v_cmp_gt_i16_e32 vcc_lo, 24, v6
	s_cbranch_vccnz .LBB185_2296
; %bb.2277:
	v_cmp_lt_i16_e32 vcc_lo, 24, v6
	s_cbranch_vccz .LBB185_2285
; %bb.2278:
	v_cvt_f32_f16_e32 v4, v5
	v_mov_b32_e32 v10, 0x80
	s_mov_b32 s1, exec_lo
	s_delay_alu instid0(VALU_DEP_2) | instskip(NEXT) | instid1(VALU_DEP_1)
	v_and_b32_e32 v8, 0x7fffffff, v4
	v_cmpx_gt_u32_e32 0x47800000, v8
	s_cbranch_execz .LBB185_2284
; %bb.2279:
	v_cmp_lt_u32_e32 vcc_lo, 0x37ffffff, v8
	s_mov_b32 s3, 0
                                        ; implicit-def: $vgpr8
	s_and_saveexec_b32 s6, vcc_lo
	s_delay_alu instid0(SALU_CYCLE_1)
	s_xor_b32 s6, exec_lo, s6
	s_cbranch_execz .LBB185_2504
; %bb.2280:
	v_bfe_u32 v8, v4, 21, 1
	s_mov_b32 s3, exec_lo
	s_delay_alu instid0(VALU_DEP_1) | instskip(NEXT) | instid1(VALU_DEP_1)
	v_add3_u32 v8, v4, v8, 0x88fffff
	v_lshrrev_b32_e32 v8, 21, v8
	s_or_saveexec_b32 s6, s6
                                        ; implicit-def: $sgpr7
	s_delay_alu instid0(SALU_CYCLE_1)
	s_xor_b32 exec_lo, exec_lo, s6
	s_cbranch_execnz .LBB185_2505
.LBB185_2281:
	s_or_b32 exec_lo, exec_lo, s6
	v_mov_b32_e32 v10, s7
	s_and_saveexec_b32 s6, s3
.LBB185_2282:
	v_lshrrev_b32_e32 v4, 24, v4
	s_delay_alu instid0(VALU_DEP_1)
	v_and_or_b32 v10, 0x80, v4, v8
.LBB185_2283:
	s_or_b32 exec_lo, exec_lo, s6
.LBB185_2284:
	s_delay_alu instid0(SALU_CYCLE_1)
	s_or_b32 exec_lo, exec_lo, s1
	s_mov_b32 s1, 0
	global_store_b8 v[1:2], v10, off
.LBB185_2285:
	s_and_b32 vcc_lo, exec_lo, s1
	s_cbranch_vccz .LBB185_2295
; %bb.2286:
	v_cvt_f32_f16_e32 v4, v5
	s_mov_b32 s1, exec_lo
                                        ; implicit-def: $vgpr8
	s_delay_alu instid0(VALU_DEP_1) | instskip(NEXT) | instid1(VALU_DEP_1)
	v_and_b32_e32 v10, 0x7fffffff, v4
	v_cmpx_gt_u32_e32 0x43f00000, v10
	s_xor_b32 s1, exec_lo, s1
	s_cbranch_execz .LBB185_2292
; %bb.2287:
	s_mov_b32 s3, exec_lo
                                        ; implicit-def: $vgpr8
	v_cmpx_lt_u32_e32 0x3c7fffff, v10
	s_xor_b32 s3, exec_lo, s3
; %bb.2288:
	v_bfe_u32 v8, v4, 20, 1
	s_delay_alu instid0(VALU_DEP_1) | instskip(NEXT) | instid1(VALU_DEP_1)
	v_add3_u32 v8, v4, v8, 0x407ffff
	v_and_b32_e32 v10, 0xff00000, v8
	v_lshrrev_b32_e32 v8, 20, v8
	s_delay_alu instid0(VALU_DEP_2) | instskip(NEXT) | instid1(VALU_DEP_2)
	v_cmp_ne_u32_e32 vcc_lo, 0x7f00000, v10
	v_cndmask_b32_e32 v8, 0x7e, v8, vcc_lo
; %bb.2289:
	s_and_not1_saveexec_b32 s3, s3
; %bb.2290:
	v_add_f32_e64 v8, 0x46800000, |v4|
; %bb.2291:
	s_or_b32 exec_lo, exec_lo, s3
                                        ; implicit-def: $vgpr10
.LBB185_2292:
	s_and_not1_saveexec_b32 s1, s1
; %bb.2293:
	v_mov_b32_e32 v8, 0x7f
	v_cmp_lt_u32_e32 vcc_lo, 0x7f800000, v10
	s_delay_alu instid0(VALU_DEP_2)
	v_cndmask_b32_e32 v8, 0x7e, v8, vcc_lo
; %bb.2294:
	s_or_b32 exec_lo, exec_lo, s1
	v_lshrrev_b32_e32 v4, 24, v4
	s_delay_alu instid0(VALU_DEP_1)
	v_and_or_b32 v4, 0x80, v4, v8
	global_store_b8 v[1:2], v4, off
.LBB185_2295:
	s_mov_b32 s1, 0
.LBB185_2296:
	s_delay_alu instid0(SALU_CYCLE_1)
	s_and_not1_b32 vcc_lo, exec_lo, s1
	s_cbranch_vccnz .LBB185_2306
; %bb.2297:
	v_cvt_f32_f16_e32 v4, v5
	s_mov_b32 s1, exec_lo
                                        ; implicit-def: $vgpr8
	s_delay_alu instid0(VALU_DEP_1) | instskip(NEXT) | instid1(VALU_DEP_1)
	v_and_b32_e32 v10, 0x7fffffff, v4
	v_cmpx_gt_u32_e32 0x47800000, v10
	s_xor_b32 s1, exec_lo, s1
	s_cbranch_execz .LBB185_2303
; %bb.2298:
	s_mov_b32 s3, exec_lo
                                        ; implicit-def: $vgpr8
	v_cmpx_lt_u32_e32 0x387fffff, v10
	s_xor_b32 s3, exec_lo, s3
; %bb.2299:
	v_bfe_u32 v8, v4, 21, 1
	s_delay_alu instid0(VALU_DEP_1) | instskip(NEXT) | instid1(VALU_DEP_1)
	v_add3_u32 v8, v4, v8, 0x80fffff
	v_lshrrev_b32_e32 v8, 21, v8
; %bb.2300:
	s_and_not1_saveexec_b32 s3, s3
; %bb.2301:
	v_add_f32_e64 v8, 0x43000000, |v4|
; %bb.2302:
	s_or_b32 exec_lo, exec_lo, s3
                                        ; implicit-def: $vgpr10
.LBB185_2303:
	s_and_not1_saveexec_b32 s1, s1
; %bb.2304:
	v_mov_b32_e32 v8, 0x7f
	v_cmp_lt_u32_e32 vcc_lo, 0x7f800000, v10
	s_delay_alu instid0(VALU_DEP_2)
	v_cndmask_b32_e32 v8, 0x7c, v8, vcc_lo
; %bb.2305:
	s_or_b32 exec_lo, exec_lo, s1
	v_lshrrev_b32_e32 v4, 24, v4
	s_delay_alu instid0(VALU_DEP_1)
	v_and_or_b32 v4, 0x80, v4, v8
	global_store_b8 v[1:2], v4, off
.LBB185_2306:
	s_mov_b32 s1, 0
	s_mov_b32 s3, -1
.LBB185_2307:
	s_and_not1_b32 vcc_lo, exec_lo, s1
	s_mov_b32 s1, 0
	s_cbranch_vccnz .LBB185_2314
; %bb.2308:
	v_cmp_lt_i16_e32 vcc_lo, 14, v6
	s_mov_b32 s1, -1
	s_cbranch_vccz .LBB185_2312
; %bb.2309:
	v_cmp_eq_u16_e32 vcc_lo, 15, v6
	s_mov_b32 s0, -1
	s_cbranch_vccz .LBB185_2311
; %bb.2310:
	v_cvt_f32_f16_e32 v4, v5
	v_cmp_o_f16_e32 vcc_lo, v5, v5
	s_mov_b32 s0, 0
	s_mov_b32 s3, -1
	s_delay_alu instid0(VALU_DEP_2) | instskip(NEXT) | instid1(VALU_DEP_1)
	v_bfe_u32 v8, v4, 16, 1
	v_add3_u32 v4, v4, v8, 0x7fff
	s_delay_alu instid0(VALU_DEP_1) | instskip(NEXT) | instid1(VALU_DEP_1)
	v_lshrrev_b32_e32 v4, 16, v4
	v_cndmask_b32_e32 v4, 0x7fc0, v4, vcc_lo
	global_store_b16 v[1:2], v4, off
.LBB185_2311:
	s_mov_b32 s1, 0
.LBB185_2312:
	s_delay_alu instid0(SALU_CYCLE_1)
	s_and_b32 vcc_lo, exec_lo, s1
	s_mov_b32 s1, 0
	s_cbranch_vccz .LBB185_2314
; %bb.2313:
	v_cmp_ne_u16_e64 s0, 11, v6
	s_mov_b32 s1, -1
.LBB185_2314:
	s_delay_alu instid0(VALU_DEP_1)
	s_and_b32 vcc_lo, exec_lo, s0
	s_cbranch_vccnz .LBB185_2502
; %bb.2315:
	s_and_not1_b32 vcc_lo, exec_lo, s1
	s_cbranch_vccnz .LBB185_2317
.LBB185_2316:
	v_and_b32_e32 v4, 0x7fff7fff, v7
	s_mov_b32 s3, -1
	s_delay_alu instid0(VALU_DEP_1)
	v_cmp_ne_u32_e32 vcc_lo, 0, v4
	v_cndmask_b32_e64 v4, 0, 1, vcc_lo
	global_store_b8 v[1:2], v4, off
.LBB185_2317:
	s_mov_b32 s0, 0
.LBB185_2318:
	s_delay_alu instid0(SALU_CYCLE_1)
	s_and_b32 vcc_lo, exec_lo, s0
	s_cbranch_vccz .LBB185_2357
; %bb.2319:
	v_cmp_gt_i16_e32 vcc_lo, 5, v6
	s_mov_b32 s0, -1
	s_cbranch_vccnz .LBB185_2340
; %bb.2320:
	v_cmp_gt_i16_e32 vcc_lo, 8, v6
	s_cbranch_vccnz .LBB185_2330
; %bb.2321:
	v_cmp_gt_i16_e32 vcc_lo, 9, v6
	s_cbranch_vccnz .LBB185_2327
; %bb.2322:
	v_cmp_lt_i16_e32 vcc_lo, 9, v6
	v_cvt_f32_f16_e32 v4, v3
	s_cbranch_vccz .LBB185_2324
; %bb.2323:
	v_cvt_f32_f16_e32 v3, v5
	s_delay_alu instid0(VALU_DEP_2) | instskip(SKIP_1) | instid1(VALU_DEP_2)
	v_cvt_f64_f32_e32 v[12:13], v4
	s_mov_b32 s0, 0
	v_cvt_f64_f32_e32 v[10:11], v3
	global_store_b128 v[1:2], v[10:13], off
.LBB185_2324:
	s_and_not1_b32 vcc_lo, exec_lo, s0
	s_cbranch_vccnz .LBB185_2326
; %bb.2325:
	v_cvt_f32_f16_e32 v3, v5
	global_store_b64 v[1:2], v[3:4], off
.LBB185_2326:
	s_mov_b32 s0, 0
.LBB185_2327:
	s_delay_alu instid0(SALU_CYCLE_1)
	s_and_not1_b32 vcc_lo, exec_lo, s0
	s_cbranch_vccnz .LBB185_2329
; %bb.2328:
	global_store_b32 v[1:2], v7, off
.LBB185_2329:
	s_mov_b32 s0, 0
.LBB185_2330:
	s_delay_alu instid0(SALU_CYCLE_1)
	s_and_not1_b32 vcc_lo, exec_lo, s0
	s_cbranch_vccnz .LBB185_2339
; %bb.2331:
	v_cmp_gt_i16_e32 vcc_lo, 6, v6
	s_mov_b32 s0, -1
	s_cbranch_vccnz .LBB185_2337
; %bb.2332:
	v_cmp_lt_i16_e32 vcc_lo, 6, v6
	s_cbranch_vccz .LBB185_2334
; %bb.2333:
	v_cvt_f32_f16_e32 v3, v5
	s_mov_b32 s0, 0
	s_delay_alu instid0(VALU_DEP_1)
	v_cvt_f64_f32_e32 v[3:4], v3
	global_store_b64 v[1:2], v[3:4], off
.LBB185_2334:
	s_and_not1_b32 vcc_lo, exec_lo, s0
	s_cbranch_vccnz .LBB185_2336
; %bb.2335:
	v_cvt_f32_f16_e32 v3, v5
	global_store_b32 v[1:2], v3, off
.LBB185_2336:
	s_mov_b32 s0, 0
.LBB185_2337:
	s_delay_alu instid0(SALU_CYCLE_1)
	s_and_not1_b32 vcc_lo, exec_lo, s0
	s_cbranch_vccnz .LBB185_2339
; %bb.2338:
	global_store_b16 v[1:2], v5, off
.LBB185_2339:
	s_mov_b32 s0, 0
.LBB185_2340:
	s_delay_alu instid0(SALU_CYCLE_1)
	s_and_not1_b32 vcc_lo, exec_lo, s0
	s_cbranch_vccnz .LBB185_2356
; %bb.2341:
	v_cmp_gt_i16_e32 vcc_lo, 2, v6
	s_mov_b32 s0, -1
	s_cbranch_vccnz .LBB185_2351
; %bb.2342:
	v_cmp_gt_i16_e32 vcc_lo, 3, v6
	s_cbranch_vccnz .LBB185_2348
; %bb.2343:
	v_cmp_lt_i16_e32 vcc_lo, 3, v6
	s_cbranch_vccz .LBB185_2345
; %bb.2344:
	v_cvt_f32_f16_e32 v3, v5
	s_mov_b32 s0, 0
	s_delay_alu instid0(VALU_DEP_1) | instskip(NEXT) | instid1(VALU_DEP_1)
	v_cvt_i32_f32_e32 v3, v3
	v_ashrrev_i32_e32 v4, 31, v3
	global_store_b64 v[1:2], v[3:4], off
.LBB185_2345:
	s_and_not1_b32 vcc_lo, exec_lo, s0
	s_cbranch_vccnz .LBB185_2347
; %bb.2346:
	v_cvt_f32_f16_e32 v3, v5
	s_delay_alu instid0(VALU_DEP_1)
	v_cvt_i32_f32_e32 v3, v3
	global_store_b32 v[1:2], v3, off
.LBB185_2347:
	s_mov_b32 s0, 0
.LBB185_2348:
	s_delay_alu instid0(SALU_CYCLE_1)
	s_and_not1_b32 vcc_lo, exec_lo, s0
	s_cbranch_vccnz .LBB185_2350
; %bb.2349:
	v_cvt_i16_f16_e32 v3, v5
	global_store_b16 v[1:2], v3, off
.LBB185_2350:
	s_mov_b32 s0, 0
.LBB185_2351:
	s_delay_alu instid0(SALU_CYCLE_1)
	s_and_not1_b32 vcc_lo, exec_lo, s0
	s_cbranch_vccnz .LBB185_2356
; %bb.2352:
	v_cmp_lt_i16_e32 vcc_lo, 0, v6
	s_mov_b32 s0, -1
	s_cbranch_vccz .LBB185_2354
; %bb.2353:
	v_cvt_i16_f16_e32 v3, v5
	s_mov_b32 s0, 0
	global_store_b8 v[1:2], v3, off
.LBB185_2354:
	s_and_not1_b32 vcc_lo, exec_lo, s0
	s_cbranch_vccnz .LBB185_2356
; %bb.2355:
	v_cvt_f32_f16_e32 v3, v5
	s_delay_alu instid0(VALU_DEP_1)
	v_cvt_i32_f32_e32 v3, v3
	global_store_b8 v[1:2], v3, off
.LBB185_2356:
	s_mov_b32 s3, -1
.LBB185_2357:
	s_delay_alu instid0(SALU_CYCLE_1)
	s_and_not1_b32 vcc_lo, exec_lo, s3
	s_cbranch_vccnz .LBB185_2435
; %bb.2358:
	v_cmp_gt_i16_e32 vcc_lo, 11, v6
	v_add_co_u32 v0, s0, s4, v0
	v_cvt_f16_f32_e32 v2, v9
	v_cvt_f16_f32_e32 v3, v14
	v_add_co_ci_u32_e64 v1, null, s5, 0, s0
	s_mov_b32 s1, 0
	s_mov_b32 s0, -1
	s_cbranch_vccnz .LBB185_2434
; %bb.2359:
	v_cmp_lt_i16_e32 vcc_lo, 25, v6
	s_mov_b32 s3, -1
	s_mov_b32 s0, 0
	s_cbranch_vccz .LBB185_2392
; %bb.2360:
	v_cmp_lt_i16_e32 vcc_lo, 28, v6
	s_cbranch_vccz .LBB185_2376
; %bb.2361:
	v_cmp_lt_i16_e32 vcc_lo, 43, v6
	;; [unrolled: 3-line block ×3, first 2 shown]
	s_cbranch_vccz .LBB185_2366
; %bb.2363:
	v_cmp_eq_u16_e32 vcc_lo, 46, v6
	s_mov_b32 s0, -1
	s_cbranch_vccz .LBB185_2365
; %bb.2364:
	v_cvt_f32_f16_e32 v4, v3
	v_cvt_f32_f16_e32 v5, v2
	v_cmp_o_f16_e32 vcc_lo, v3, v3
	s_mov_b32 s0, 0
	s_delay_alu instid0(VALU_DEP_3) | instskip(NEXT) | instid1(VALU_DEP_3)
	v_bfe_u32 v7, v4, 16, 1
	v_bfe_u32 v8, v5, 16, 1
	s_delay_alu instid0(VALU_DEP_2) | instskip(NEXT) | instid1(VALU_DEP_2)
	v_add3_u32 v4, v4, v7, 0x7fff
	v_add3_u32 v5, v5, v8, 0x7fff
	s_delay_alu instid0(VALU_DEP_2) | instskip(NEXT) | instid1(VALU_DEP_2)
	v_and_b32_e32 v4, 0xffff0000, v4
	v_lshrrev_b32_e32 v5, 16, v5
	s_delay_alu instid0(VALU_DEP_2) | instskip(SKIP_1) | instid1(VALU_DEP_3)
	v_cndmask_b32_e32 v4, 0x7fc00000, v4, vcc_lo
	v_cmp_o_f16_e32 vcc_lo, v2, v2
	v_cndmask_b32_e32 v5, 0x7fc0, v5, vcc_lo
	s_delay_alu instid0(VALU_DEP_1)
	v_or_b32_e32 v4, v4, v5
	global_store_b32 v[0:1], v4, off
.LBB185_2365:
	s_mov_b32 s3, 0
.LBB185_2366:
	s_delay_alu instid0(SALU_CYCLE_1)
	s_and_b32 vcc_lo, exec_lo, s3
	s_cbranch_vccz .LBB185_2371
; %bb.2367:
	v_cmp_eq_u16_e32 vcc_lo, 44, v6
	s_mov_b32 s0, -1
	s_cbranch_vccz .LBB185_2371
; %bb.2368:
	v_cvt_f32_f16_e32 v4, v2
	v_mov_b32_e32 v5, 0xff
	s_mov_b32 s3, exec_lo
	s_delay_alu instid0(VALU_DEP_2) | instskip(NEXT) | instid1(VALU_DEP_1)
	v_bfe_u32 v7, v4, 23, 8
	v_cmpx_ne_u32_e32 0xff, v7
; %bb.2369:
	v_and_b32_e32 v5, 0x400000, v4
	v_and_or_b32 v7, 0x3fffff, v4, v7
	v_lshrrev_b32_e32 v4, 23, v4
	s_delay_alu instid0(VALU_DEP_3) | instskip(NEXT) | instid1(VALU_DEP_3)
	v_cmp_ne_u32_e32 vcc_lo, 0, v5
	v_cmp_ne_u32_e64 s0, 0, v7
	s_delay_alu instid0(VALU_DEP_1) | instskip(NEXT) | instid1(SALU_CYCLE_1)
	s_and_b32 s0, vcc_lo, s0
	v_cndmask_b32_e64 v5, 0, 1, s0
	s_delay_alu instid0(VALU_DEP_1)
	v_add_nc_u32_e32 v5, v4, v5
; %bb.2370:
	s_or_b32 exec_lo, exec_lo, s3
	s_mov_b32 s0, 0
	global_store_b8 v[0:1], v5, off
.LBB185_2371:
	s_mov_b32 s3, 0
.LBB185_2372:
	s_delay_alu instid0(SALU_CYCLE_1)
	s_and_b32 vcc_lo, exec_lo, s3
	s_cbranch_vccz .LBB185_2375
; %bb.2373:
	v_cmp_eq_u16_e32 vcc_lo, 29, v6
	s_mov_b32 s0, -1
	s_cbranch_vccz .LBB185_2375
; %bb.2374:
	v_cvt_f32_f16_e32 v4, v2
	v_mov_b32_e32 v5, 0
	s_mov_b32 s0, 0
	s_delay_alu instid0(VALU_DEP_2)
	v_cvt_u32_f32_e32 v4, v4
	global_store_b64 v[0:1], v[4:5], off
.LBB185_2375:
	s_mov_b32 s3, 0
.LBB185_2376:
	s_delay_alu instid0(SALU_CYCLE_1)
	s_and_b32 vcc_lo, exec_lo, s3
	s_cbranch_vccz .LBB185_2391
; %bb.2377:
	v_cmp_gt_i16_e32 vcc_lo, 27, v6
	s_mov_b32 s3, -1
	s_cbranch_vccnz .LBB185_2383
; %bb.2378:
	v_cmp_lt_i16_e32 vcc_lo, 27, v6
	s_cbranch_vccz .LBB185_2380
; %bb.2379:
	v_cvt_f32_f16_e32 v4, v2
	s_mov_b32 s3, 0
	s_delay_alu instid0(VALU_DEP_1)
	v_cvt_u32_f32_e32 v4, v4
	global_store_b32 v[0:1], v4, off
.LBB185_2380:
	s_and_not1_b32 vcc_lo, exec_lo, s3
	s_cbranch_vccnz .LBB185_2382
; %bb.2381:
	v_cvt_u16_f16_e32 v4, v2
	global_store_b16 v[0:1], v4, off
.LBB185_2382:
	s_mov_b32 s3, 0
.LBB185_2383:
	s_delay_alu instid0(SALU_CYCLE_1)
	s_and_not1_b32 vcc_lo, exec_lo, s3
	s_cbranch_vccnz .LBB185_2391
; %bb.2384:
	v_cvt_f32_f16_e32 v4, v2
	v_mov_b32_e32 v7, 0x80
	s_mov_b32 s3, exec_lo
	s_delay_alu instid0(VALU_DEP_2) | instskip(NEXT) | instid1(VALU_DEP_1)
	v_and_b32_e32 v5, 0x7fffffff, v4
	v_cmpx_gt_u32_e32 0x43800000, v5
	s_cbranch_execz .LBB185_2390
; %bb.2385:
	v_cmp_lt_u32_e32 vcc_lo, 0x3bffffff, v5
	s_mov_b32 s4, 0
                                        ; implicit-def: $vgpr5
	s_and_saveexec_b32 s5, vcc_lo
	s_delay_alu instid0(SALU_CYCLE_1)
	s_xor_b32 s5, exec_lo, s5
	s_cbranch_execz .LBB185_2506
; %bb.2386:
	v_bfe_u32 v5, v4, 20, 1
	s_mov_b32 s4, exec_lo
	s_delay_alu instid0(VALU_DEP_1) | instskip(NEXT) | instid1(VALU_DEP_1)
	v_add3_u32 v5, v4, v5, 0x487ffff
	v_lshrrev_b32_e32 v5, 20, v5
	s_or_saveexec_b32 s5, s5
                                        ; implicit-def: $sgpr6
	s_delay_alu instid0(SALU_CYCLE_1)
	s_xor_b32 exec_lo, exec_lo, s5
	s_cbranch_execnz .LBB185_2507
.LBB185_2387:
	s_or_b32 exec_lo, exec_lo, s5
	v_mov_b32_e32 v7, s6
	s_and_saveexec_b32 s5, s4
.LBB185_2388:
	v_lshrrev_b32_e32 v4, 24, v4
	s_delay_alu instid0(VALU_DEP_1)
	v_and_or_b32 v7, 0x80, v4, v5
.LBB185_2389:
	s_or_b32 exec_lo, exec_lo, s5
.LBB185_2390:
	s_delay_alu instid0(SALU_CYCLE_1)
	s_or_b32 exec_lo, exec_lo, s3
	global_store_b8 v[0:1], v7, off
.LBB185_2391:
	s_mov_b32 s3, 0
.LBB185_2392:
	s_delay_alu instid0(SALU_CYCLE_1)
	s_and_b32 vcc_lo, exec_lo, s3
	s_cbranch_vccz .LBB185_2432
; %bb.2393:
	v_cmp_lt_i16_e32 vcc_lo, 22, v6
	s_mov_b32 s1, -1
	s_cbranch_vccz .LBB185_2425
; %bb.2394:
	v_cmp_gt_i16_e32 vcc_lo, 24, v6
	s_cbranch_vccnz .LBB185_2414
; %bb.2395:
	v_cmp_lt_i16_e32 vcc_lo, 24, v6
	s_cbranch_vccz .LBB185_2403
; %bb.2396:
	v_cvt_f32_f16_e32 v4, v2
	v_mov_b32_e32 v7, 0x80
	s_mov_b32 s1, exec_lo
	s_delay_alu instid0(VALU_DEP_2) | instskip(NEXT) | instid1(VALU_DEP_1)
	v_and_b32_e32 v5, 0x7fffffff, v4
	v_cmpx_gt_u32_e32 0x47800000, v5
	s_cbranch_execz .LBB185_2402
; %bb.2397:
	v_cmp_lt_u32_e32 vcc_lo, 0x37ffffff, v5
	s_mov_b32 s3, 0
                                        ; implicit-def: $vgpr5
	s_and_saveexec_b32 s4, vcc_lo
	s_delay_alu instid0(SALU_CYCLE_1)
	s_xor_b32 s4, exec_lo, s4
	s_cbranch_execz .LBB185_2512
; %bb.2398:
	v_bfe_u32 v5, v4, 21, 1
	s_mov_b32 s3, exec_lo
	s_delay_alu instid0(VALU_DEP_1) | instskip(NEXT) | instid1(VALU_DEP_1)
	v_add3_u32 v5, v4, v5, 0x88fffff
	v_lshrrev_b32_e32 v5, 21, v5
	s_or_saveexec_b32 s4, s4
                                        ; implicit-def: $sgpr5
	s_delay_alu instid0(SALU_CYCLE_1)
	s_xor_b32 exec_lo, exec_lo, s4
	s_cbranch_execnz .LBB185_2513
.LBB185_2399:
	s_or_b32 exec_lo, exec_lo, s4
	v_mov_b32_e32 v7, s5
	s_and_saveexec_b32 s4, s3
.LBB185_2400:
	v_lshrrev_b32_e32 v4, 24, v4
	s_delay_alu instid0(VALU_DEP_1)
	v_and_or_b32 v7, 0x80, v4, v5
.LBB185_2401:
	s_or_b32 exec_lo, exec_lo, s4
.LBB185_2402:
	s_delay_alu instid0(SALU_CYCLE_1)
	s_or_b32 exec_lo, exec_lo, s1
	s_mov_b32 s1, 0
	global_store_b8 v[0:1], v7, off
.LBB185_2403:
	s_and_b32 vcc_lo, exec_lo, s1
	s_cbranch_vccz .LBB185_2413
; %bb.2404:
	v_cvt_f32_f16_e32 v4, v2
	s_mov_b32 s1, exec_lo
                                        ; implicit-def: $vgpr5
	s_delay_alu instid0(VALU_DEP_1) | instskip(NEXT) | instid1(VALU_DEP_1)
	v_and_b32_e32 v7, 0x7fffffff, v4
	v_cmpx_gt_u32_e32 0x43f00000, v7
	s_xor_b32 s1, exec_lo, s1
	s_cbranch_execz .LBB185_2410
; %bb.2405:
	s_mov_b32 s3, exec_lo
                                        ; implicit-def: $vgpr5
	v_cmpx_lt_u32_e32 0x3c7fffff, v7
	s_xor_b32 s3, exec_lo, s3
; %bb.2406:
	v_bfe_u32 v5, v4, 20, 1
	s_delay_alu instid0(VALU_DEP_1) | instskip(NEXT) | instid1(VALU_DEP_1)
	v_add3_u32 v5, v4, v5, 0x407ffff
	v_and_b32_e32 v7, 0xff00000, v5
	v_lshrrev_b32_e32 v5, 20, v5
	s_delay_alu instid0(VALU_DEP_2) | instskip(NEXT) | instid1(VALU_DEP_2)
	v_cmp_ne_u32_e32 vcc_lo, 0x7f00000, v7
	v_cndmask_b32_e32 v5, 0x7e, v5, vcc_lo
; %bb.2407:
	s_and_not1_saveexec_b32 s3, s3
; %bb.2408:
	v_add_f32_e64 v5, 0x46800000, |v4|
; %bb.2409:
	s_or_b32 exec_lo, exec_lo, s3
                                        ; implicit-def: $vgpr7
.LBB185_2410:
	s_and_not1_saveexec_b32 s1, s1
; %bb.2411:
	v_mov_b32_e32 v5, 0x7f
	v_cmp_lt_u32_e32 vcc_lo, 0x7f800000, v7
	s_delay_alu instid0(VALU_DEP_2)
	v_cndmask_b32_e32 v5, 0x7e, v5, vcc_lo
; %bb.2412:
	s_or_b32 exec_lo, exec_lo, s1
	v_lshrrev_b32_e32 v4, 24, v4
	s_delay_alu instid0(VALU_DEP_1)
	v_and_or_b32 v4, 0x80, v4, v5
	global_store_b8 v[0:1], v4, off
.LBB185_2413:
	s_mov_b32 s1, 0
.LBB185_2414:
	s_delay_alu instid0(SALU_CYCLE_1)
	s_and_not1_b32 vcc_lo, exec_lo, s1
	s_cbranch_vccnz .LBB185_2424
; %bb.2415:
	v_cvt_f32_f16_e32 v4, v2
	s_mov_b32 s1, exec_lo
                                        ; implicit-def: $vgpr5
	s_delay_alu instid0(VALU_DEP_1) | instskip(NEXT) | instid1(VALU_DEP_1)
	v_and_b32_e32 v7, 0x7fffffff, v4
	v_cmpx_gt_u32_e32 0x47800000, v7
	s_xor_b32 s1, exec_lo, s1
	s_cbranch_execz .LBB185_2421
; %bb.2416:
	s_mov_b32 s3, exec_lo
                                        ; implicit-def: $vgpr5
	v_cmpx_lt_u32_e32 0x387fffff, v7
	s_xor_b32 s3, exec_lo, s3
; %bb.2417:
	v_bfe_u32 v5, v4, 21, 1
	s_delay_alu instid0(VALU_DEP_1) | instskip(NEXT) | instid1(VALU_DEP_1)
	v_add3_u32 v5, v4, v5, 0x80fffff
	v_lshrrev_b32_e32 v5, 21, v5
; %bb.2418:
	s_and_not1_saveexec_b32 s3, s3
; %bb.2419:
	v_add_f32_e64 v5, 0x43000000, |v4|
; %bb.2420:
	s_or_b32 exec_lo, exec_lo, s3
                                        ; implicit-def: $vgpr7
.LBB185_2421:
	s_and_not1_saveexec_b32 s1, s1
; %bb.2422:
	v_mov_b32_e32 v5, 0x7f
	v_cmp_lt_u32_e32 vcc_lo, 0x7f800000, v7
	s_delay_alu instid0(VALU_DEP_2)
	v_cndmask_b32_e32 v5, 0x7c, v5, vcc_lo
; %bb.2423:
	s_or_b32 exec_lo, exec_lo, s1
	v_lshrrev_b32_e32 v4, 24, v4
	s_delay_alu instid0(VALU_DEP_1)
	v_and_or_b32 v4, 0x80, v4, v5
	global_store_b8 v[0:1], v4, off
.LBB185_2424:
	s_mov_b32 s1, 0
.LBB185_2425:
	s_delay_alu instid0(SALU_CYCLE_1)
	s_and_not1_b32 vcc_lo, exec_lo, s1
	s_mov_b32 s1, 0
	s_cbranch_vccnz .LBB185_2432
; %bb.2426:
	v_cmp_lt_i16_e32 vcc_lo, 14, v6
	s_mov_b32 s1, -1
	s_cbranch_vccz .LBB185_2430
; %bb.2427:
	v_cmp_eq_u16_e32 vcc_lo, 15, v6
	s_mov_b32 s0, -1
	s_cbranch_vccz .LBB185_2429
; %bb.2428:
	v_cvt_f32_f16_e32 v4, v2
	v_cmp_o_f16_e32 vcc_lo, v2, v2
	s_mov_b32 s0, 0
	s_delay_alu instid0(VALU_DEP_2) | instskip(NEXT) | instid1(VALU_DEP_1)
	v_bfe_u32 v5, v4, 16, 1
	v_add3_u32 v4, v4, v5, 0x7fff
	s_delay_alu instid0(VALU_DEP_1) | instskip(NEXT) | instid1(VALU_DEP_1)
	v_lshrrev_b32_e32 v4, 16, v4
	v_cndmask_b32_e32 v4, 0x7fc0, v4, vcc_lo
	global_store_b16 v[0:1], v4, off
.LBB185_2429:
	s_mov_b32 s1, 0
.LBB185_2430:
	s_delay_alu instid0(SALU_CYCLE_1)
	s_and_b32 vcc_lo, exec_lo, s1
	s_mov_b32 s1, 0
	s_cbranch_vccz .LBB185_2432
; %bb.2431:
	v_cmp_ne_u16_e64 s0, 11, v6
	s_mov_b32 s1, -1
.LBB185_2432:
	s_delay_alu instid0(VALU_DEP_1)
	s_and_b32 vcc_lo, exec_lo, s0
	s_cbranch_vccnz .LBB185_2510
.LBB185_2433:
	s_mov_b32 s0, 0
.LBB185_2434:
	v_lshlrev_b32_e32 v4, 16, v3
	v_and_b32_e32 v5, 0xffff, v2
	s_delay_alu instid0(VALU_DEP_1)
	v_or_b32_e32 v4, v4, v5
	s_branch .LBB185_2436
.LBB185_2435:
	s_mov_b32 s0, 0
	s_mov_b32 s1, 0
                                        ; implicit-def: $vgpr0_vgpr1
                                        ; implicit-def: $vgpr6
                                        ; implicit-def: $vgpr4
                                        ; implicit-def: $vgpr3
                                        ; implicit-def: $vgpr2
.LBB185_2436:
	s_and_b32 s3, s0, exec_lo
	s_and_not1_b32 s0, s8, exec_lo
	s_and_b32 s2, s2, exec_lo
	s_and_b32 s26, s1, exec_lo
	s_or_b32 s8, s0, s2
.LBB185_2437:
	s_or_b32 exec_lo, exec_lo, s9
	s_and_saveexec_b32 s0, s8
	s_cbranch_execz .LBB185_2440
; %bb.2438:
	; divergent unreachable
	s_or_b32 exec_lo, exec_lo, s0
	s_and_saveexec_b32 s0, s26
	s_delay_alu instid0(SALU_CYCLE_1)
	s_xor_b32 s0, exec_lo, s0
	s_cbranch_execnz .LBB185_2441
.LBB185_2439:
	s_or_b32 exec_lo, exec_lo, s0
	s_and_saveexec_b32 s0, s3
	s_cbranch_execnz .LBB185_2442
	s_branch .LBB185_2479
.LBB185_2440:
	s_or_b32 exec_lo, exec_lo, s0
	s_and_saveexec_b32 s0, s26
	s_delay_alu instid0(SALU_CYCLE_1)
	s_xor_b32 s0, exec_lo, s0
	s_cbranch_execz .LBB185_2439
.LBB185_2441:
	v_and_b32_e32 v5, 0x7fff7fff, v4
	s_delay_alu instid0(VALU_DEP_1)
	v_cmp_ne_u32_e32 vcc_lo, 0, v5
	v_cndmask_b32_e64 v5, 0, 1, vcc_lo
	global_store_b8 v[0:1], v5, off
	s_or_b32 exec_lo, exec_lo, s0
	s_and_saveexec_b32 s0, s3
	s_cbranch_execz .LBB185_2479
.LBB185_2442:
	s_waitcnt vmcnt(0)
	v_cmp_gt_i16_e32 vcc_lo, 5, v6
	s_mov_b32 s0, -1
	s_cbranch_vccnz .LBB185_2463
; %bb.2443:
	v_cmp_gt_i16_e32 vcc_lo, 8, v6
	s_cbranch_vccnz .LBB185_2453
; %bb.2444:
	v_cmp_gt_i16_e32 vcc_lo, 9, v6
	s_cbranch_vccnz .LBB185_2450
; %bb.2445:
	v_cmp_lt_i16_e32 vcc_lo, 9, v6
	s_cbranch_vccz .LBB185_2447
; %bb.2446:
	v_cvt_f32_f16_e32 v5, v2
	v_cvt_f32_f16_e32 v9, v3
	s_mov_b32 s0, 0
	s_delay_alu instid0(VALU_DEP_2) | instskip(NEXT) | instid1(VALU_DEP_2)
	v_cvt_f64_f32_e32 v[7:8], v5
	v_cvt_f64_f32_e32 v[9:10], v9
	global_store_b128 v[0:1], v[7:10], off
.LBB185_2447:
	s_and_not1_b32 vcc_lo, exec_lo, s0
	s_cbranch_vccnz .LBB185_2449
; %bb.2448:
	v_cvt_f32_f16_e32 v7, v2
	v_cvt_f32_f16_e32 v8, v3
	global_store_b64 v[0:1], v[7:8], off
.LBB185_2449:
	s_mov_b32 s0, 0
.LBB185_2450:
	s_delay_alu instid0(SALU_CYCLE_1)
	s_and_not1_b32 vcc_lo, exec_lo, s0
	s_cbranch_vccnz .LBB185_2452
; %bb.2451:
	global_store_b32 v[0:1], v4, off
.LBB185_2452:
	s_mov_b32 s0, 0
.LBB185_2453:
	s_delay_alu instid0(SALU_CYCLE_1)
	s_and_not1_b32 vcc_lo, exec_lo, s0
	s_cbranch_vccnz .LBB185_2462
; %bb.2454:
	v_cmp_gt_i16_e32 vcc_lo, 6, v6
	s_mov_b32 s0, -1
	s_cbranch_vccnz .LBB185_2460
; %bb.2455:
	v_cmp_lt_i16_e32 vcc_lo, 6, v6
	s_cbranch_vccz .LBB185_2457
; %bb.2456:
	v_cvt_f32_f16_e32 v3, v2
	s_mov_b32 s0, 0
	s_delay_alu instid0(VALU_DEP_1)
	v_cvt_f64_f32_e32 v[3:4], v3
	global_store_b64 v[0:1], v[3:4], off
.LBB185_2457:
	s_and_not1_b32 vcc_lo, exec_lo, s0
	s_cbranch_vccnz .LBB185_2459
; %bb.2458:
	v_cvt_f32_f16_e32 v3, v2
	global_store_b32 v[0:1], v3, off
.LBB185_2459:
	s_mov_b32 s0, 0
.LBB185_2460:
	s_delay_alu instid0(SALU_CYCLE_1)
	s_and_not1_b32 vcc_lo, exec_lo, s0
	s_cbranch_vccnz .LBB185_2462
; %bb.2461:
	global_store_b16 v[0:1], v2, off
.LBB185_2462:
	s_mov_b32 s0, 0
.LBB185_2463:
	s_delay_alu instid0(SALU_CYCLE_1)
	s_and_not1_b32 vcc_lo, exec_lo, s0
	s_cbranch_vccnz .LBB185_2479
; %bb.2464:
	v_cmp_gt_i16_e32 vcc_lo, 2, v6
	s_mov_b32 s0, -1
	s_cbranch_vccnz .LBB185_2474
; %bb.2465:
	v_cmp_gt_i16_e32 vcc_lo, 3, v6
	s_cbranch_vccnz .LBB185_2471
; %bb.2466:
	v_cmp_lt_i16_e32 vcc_lo, 3, v6
	s_cbranch_vccz .LBB185_2468
; %bb.2467:
	v_cvt_f32_f16_e32 v3, v2
	s_mov_b32 s0, 0
	s_delay_alu instid0(VALU_DEP_1) | instskip(NEXT) | instid1(VALU_DEP_1)
	v_cvt_i32_f32_e32 v3, v3
	v_ashrrev_i32_e32 v4, 31, v3
	global_store_b64 v[0:1], v[3:4], off
.LBB185_2468:
	s_and_not1_b32 vcc_lo, exec_lo, s0
	s_cbranch_vccnz .LBB185_2470
; %bb.2469:
	v_cvt_f32_f16_e32 v3, v2
	s_delay_alu instid0(VALU_DEP_1)
	v_cvt_i32_f32_e32 v3, v3
	global_store_b32 v[0:1], v3, off
.LBB185_2470:
	s_mov_b32 s0, 0
.LBB185_2471:
	s_delay_alu instid0(SALU_CYCLE_1)
	s_and_not1_b32 vcc_lo, exec_lo, s0
	s_cbranch_vccnz .LBB185_2473
; %bb.2472:
	v_cvt_i16_f16_e32 v3, v2
	global_store_b16 v[0:1], v3, off
.LBB185_2473:
	s_mov_b32 s0, 0
.LBB185_2474:
	s_delay_alu instid0(SALU_CYCLE_1)
	s_and_not1_b32 vcc_lo, exec_lo, s0
	s_cbranch_vccnz .LBB185_2479
; %bb.2475:
	v_cmp_lt_i16_e32 vcc_lo, 0, v6
	s_mov_b32 s0, -1
	s_cbranch_vccz .LBB185_2477
; %bb.2476:
	v_cvt_i16_f16_e32 v3, v2
	s_mov_b32 s0, 0
	global_store_b8 v[0:1], v3, off
.LBB185_2477:
	s_and_not1_b32 vcc_lo, exec_lo, s0
	s_cbranch_vccnz .LBB185_2479
; %bb.2478:
	v_cvt_f32_f16_e32 v2, v2
	s_delay_alu instid0(VALU_DEP_1)
	v_cvt_i32_f32_e32 v2, v2
	global_store_b8 v[0:1], v2, off
	s_nop 0
	s_sendmsg sendmsg(MSG_DEALLOC_VGPRS)
	s_endpgm
.LBB185_2479:
	s_nop 0
	s_sendmsg sendmsg(MSG_DEALLOC_VGPRS)
	s_endpgm
.LBB185_2480:
	s_cbranch_execnz .LBB185_2484
; %bb.2481:
	s_or_b32 s2, s2, exec_lo
                                        ; implicit-def: $vgpr14
                                        ; implicit-def: $vgpr6
	s_cbranch_execz .LBB185_1912
	s_branch .LBB185_1913
.LBB185_2482:
	s_or_saveexec_b32 s7, s7
                                        ; implicit-def: $sgpr10
	s_delay_alu instid0(SALU_CYCLE_1)
	s_xor_b32 exec_lo, exec_lo, s7
	s_cbranch_execz .LBB185_2032
.LBB185_2483:
	v_add_f32_e64 v16, 0x46000000, |v15|
	s_and_not1_b32 s6, s6, exec_lo
	s_mov_b32 s10, 0
	s_delay_alu instid0(VALU_DEP_1) | instskip(NEXT) | instid1(VALU_DEP_1)
	v_and_b32_e32 v16, 0xff, v16
	v_cmp_ne_u32_e32 vcc_lo, 0, v16
	s_and_b32 s11, vcc_lo, exec_lo
	s_delay_alu instid0(SALU_CYCLE_1)
	s_or_b32 s6, s6, s11
	s_or_b32 exec_lo, exec_lo, s7
	v_mov_b32_e32 v17, s10
	s_and_saveexec_b32 s7, s6
	s_cbranch_execnz .LBB185_2033
	s_branch .LBB185_2034
.LBB185_2484:
	s_trap 2
	s_sendmsg_rtn_b32 s0, sendmsg(MSG_RTN_GET_DOORBELL)
	s_mov_b32 ttmp2, m0
	s_waitcnt lgkmcnt(0)
	s_and_b32 s0, s0, 0x3ff
	s_delay_alu instid0(SALU_CYCLE_1) | instskip(NEXT) | instid1(SALU_CYCLE_1)
	s_bitset1_b32 s0, 10
	s_mov_b32 m0, s0
	s_sendmsg sendmsg(MSG_INTERRUPT)
	s_mov_b32 m0, ttmp2
.LBB185_2485:                           ; =>This Inner Loop Header: Depth=1
	s_sethalt 5
	s_branch .LBB185_2485
.LBB185_2486:
	s_cbranch_execnz .LBB185_2492
; %bb.2487:
	s_or_b32 s2, s2, exec_lo
	s_cbranch_execz .LBB185_2080
	s_branch .LBB185_2081
.LBB185_2488:
	s_or_saveexec_b32 s6, s6
                                        ; implicit-def: $sgpr7
	s_delay_alu instid0(SALU_CYCLE_1)
	s_xor_b32 exec_lo, exec_lo, s6
	s_cbranch_execz .LBB185_2045
.LBB185_2489:
	v_add_f32_e64 v16, 0x42800000, |v15|
	s_and_not1_b32 s3, s3, exec_lo
	s_mov_b32 s7, 0
	s_delay_alu instid0(VALU_DEP_1) | instskip(NEXT) | instid1(VALU_DEP_1)
	v_and_b32_e32 v16, 0xff, v16
	v_cmp_ne_u32_e32 vcc_lo, 0, v16
	s_and_b32 s10, vcc_lo, exec_lo
	s_delay_alu instid0(SALU_CYCLE_1)
	s_or_b32 s3, s3, s10
	s_or_b32 exec_lo, exec_lo, s6
	v_mov_b32_e32 v17, s7
	s_and_saveexec_b32 s6, s3
	s_cbranch_execnz .LBB185_2046
	s_branch .LBB185_2047
.LBB185_2490:
	s_or_saveexec_b32 s7, s7
                                        ; implicit-def: $sgpr10
	s_delay_alu instid0(SALU_CYCLE_1)
	s_xor_b32 exec_lo, exec_lo, s7
	s_cbranch_execz .LBB185_2150
.LBB185_2491:
	v_add_f32_e64 v10, 0x46000000, |v5|
	s_and_not1_b32 s6, s6, exec_lo
	s_mov_b32 s10, 0
	s_delay_alu instid0(VALU_DEP_1) | instskip(NEXT) | instid1(VALU_DEP_1)
	v_and_b32_e32 v10, 0xff, v10
	v_cmp_ne_u32_e32 vcc_lo, 0, v10
	s_and_b32 s11, vcc_lo, exec_lo
	s_delay_alu instid0(SALU_CYCLE_1)
	s_or_b32 s6, s6, s11
	s_or_b32 exec_lo, exec_lo, s7
	v_mov_b32_e32 v11, s10
	s_and_saveexec_b32 s7, s6
	s_cbranch_execnz .LBB185_2151
	s_branch .LBB185_2152
.LBB185_2492:
	s_trap 2
	s_sendmsg_rtn_b32 s0, sendmsg(MSG_RTN_GET_DOORBELL)
	s_mov_b32 ttmp2, m0
	s_waitcnt lgkmcnt(0)
	s_and_b32 s0, s0, 0x3ff
	s_delay_alu instid0(SALU_CYCLE_1) | instskip(NEXT) | instid1(SALU_CYCLE_1)
	s_bitset1_b32 s0, 10
	s_mov_b32 m0, s0
	s_sendmsg sendmsg(MSG_INTERRUPT)
	s_mov_b32 m0, ttmp2
.LBB185_2493:                           ; =>This Inner Loop Header: Depth=1
	s_sethalt 5
	s_branch .LBB185_2493
.LBB185_2494:
	s_cbranch_execnz .LBB185_2500
; %bb.2495:
	s_or_b32 s2, s2, exec_lo
	s_cbranch_execz .LBB185_2198
	s_branch .LBB185_2199
.LBB185_2496:
	s_or_saveexec_b32 s6, s6
                                        ; implicit-def: $sgpr7
	s_delay_alu instid0(SALU_CYCLE_1)
	s_xor_b32 exec_lo, exec_lo, s6
	s_cbranch_execz .LBB185_2163
.LBB185_2497:
	v_add_f32_e64 v10, 0x42800000, |v5|
	s_and_not1_b32 s3, s3, exec_lo
	s_mov_b32 s7, 0
	s_delay_alu instid0(VALU_DEP_1) | instskip(NEXT) | instid1(VALU_DEP_1)
	v_and_b32_e32 v10, 0xff, v10
	v_cmp_ne_u32_e32 vcc_lo, 0, v10
	s_and_b32 s10, vcc_lo, exec_lo
	s_delay_alu instid0(SALU_CYCLE_1)
	s_or_b32 s3, s3, s10
	s_or_b32 exec_lo, exec_lo, s6
	v_mov_b32_e32 v11, s7
	s_and_saveexec_b32 s6, s3
	s_cbranch_execnz .LBB185_2164
	s_branch .LBB185_2165
.LBB185_2498:
	s_or_saveexec_b32 s7, s7
                                        ; implicit-def: $sgpr10
	s_delay_alu instid0(SALU_CYCLE_1)
	s_xor_b32 exec_lo, exec_lo, s7
	s_cbranch_execz .LBB185_2268
.LBB185_2499:
	v_add_f32_e64 v8, 0x46000000, |v4|
	s_and_not1_b32 s6, s6, exec_lo
	s_mov_b32 s10, 0
	s_delay_alu instid0(VALU_DEP_1) | instskip(NEXT) | instid1(VALU_DEP_1)
	v_and_b32_e32 v8, 0xff, v8
	v_cmp_ne_u32_e32 vcc_lo, 0, v8
	s_and_b32 s11, vcc_lo, exec_lo
	s_delay_alu instid0(SALU_CYCLE_1)
	s_or_b32 s6, s6, s11
	s_or_b32 exec_lo, exec_lo, s7
	v_mov_b32_e32 v10, s10
	s_and_saveexec_b32 s7, s6
	s_cbranch_execnz .LBB185_2269
	s_branch .LBB185_2270
.LBB185_2500:
	s_trap 2
	s_sendmsg_rtn_b32 s0, sendmsg(MSG_RTN_GET_DOORBELL)
	s_mov_b32 ttmp2, m0
	s_waitcnt lgkmcnt(0)
	s_and_b32 s0, s0, 0x3ff
	s_delay_alu instid0(SALU_CYCLE_1) | instskip(NEXT) | instid1(SALU_CYCLE_1)
	s_bitset1_b32 s0, 10
	s_mov_b32 m0, s0
	s_sendmsg sendmsg(MSG_INTERRUPT)
	s_mov_b32 m0, ttmp2
.LBB185_2501:                           ; =>This Inner Loop Header: Depth=1
	s_sethalt 5
	s_branch .LBB185_2501
.LBB185_2502:
	s_cbranch_execnz .LBB185_2508
; %bb.2503:
	s_or_b32 s2, s2, exec_lo
	s_cbranch_execz .LBB185_2316
	s_branch .LBB185_2317
.LBB185_2504:
	s_or_saveexec_b32 s6, s6
                                        ; implicit-def: $sgpr7
	s_delay_alu instid0(SALU_CYCLE_1)
	s_xor_b32 exec_lo, exec_lo, s6
	s_cbranch_execz .LBB185_2281
.LBB185_2505:
	v_add_f32_e64 v8, 0x42800000, |v4|
	s_and_not1_b32 s3, s3, exec_lo
	s_mov_b32 s7, 0
	s_delay_alu instid0(VALU_DEP_1) | instskip(NEXT) | instid1(VALU_DEP_1)
	v_and_b32_e32 v8, 0xff, v8
	v_cmp_ne_u32_e32 vcc_lo, 0, v8
	s_and_b32 s10, vcc_lo, exec_lo
	s_delay_alu instid0(SALU_CYCLE_1)
	s_or_b32 s3, s3, s10
	s_or_b32 exec_lo, exec_lo, s6
	v_mov_b32_e32 v10, s7
	s_and_saveexec_b32 s6, s3
	s_cbranch_execnz .LBB185_2282
	s_branch .LBB185_2283
.LBB185_2506:
	s_or_saveexec_b32 s5, s5
                                        ; implicit-def: $sgpr6
	s_delay_alu instid0(SALU_CYCLE_1)
	s_xor_b32 exec_lo, exec_lo, s5
	s_cbranch_execz .LBB185_2387
.LBB185_2507:
	v_add_f32_e64 v5, 0x46000000, |v4|
	s_and_not1_b32 s4, s4, exec_lo
	s_mov_b32 s6, 0
	s_delay_alu instid0(VALU_DEP_1) | instskip(NEXT) | instid1(VALU_DEP_1)
	v_and_b32_e32 v5, 0xff, v5
	v_cmp_ne_u32_e32 vcc_lo, 0, v5
	s_and_b32 s7, vcc_lo, exec_lo
	s_delay_alu instid0(SALU_CYCLE_1)
	s_or_b32 s4, s4, s7
	s_or_b32 exec_lo, exec_lo, s5
	v_mov_b32_e32 v7, s6
	s_and_saveexec_b32 s5, s4
	s_cbranch_execnz .LBB185_2388
	s_branch .LBB185_2389
.LBB185_2508:
	s_trap 2
	s_sendmsg_rtn_b32 s0, sendmsg(MSG_RTN_GET_DOORBELL)
	s_mov_b32 ttmp2, m0
	s_waitcnt lgkmcnt(0)
	s_and_b32 s0, s0, 0x3ff
	s_delay_alu instid0(SALU_CYCLE_1) | instskip(NEXT) | instid1(SALU_CYCLE_1)
	s_bitset1_b32 s0, 10
	s_mov_b32 m0, s0
	s_sendmsg sendmsg(MSG_INTERRUPT)
	s_mov_b32 m0, ttmp2
.LBB185_2509:                           ; =>This Inner Loop Header: Depth=1
	s_sethalt 5
	s_branch .LBB185_2509
.LBB185_2510:
	s_cbranch_execnz .LBB185_2514
; %bb.2511:
	s_mov_b32 s1, 0
	s_or_b32 s2, s2, exec_lo
	s_branch .LBB185_2433
.LBB185_2512:
	s_or_saveexec_b32 s4, s4
                                        ; implicit-def: $sgpr5
	s_delay_alu instid0(SALU_CYCLE_1)
	s_xor_b32 exec_lo, exec_lo, s4
	s_cbranch_execz .LBB185_2399
.LBB185_2513:
	v_add_f32_e64 v5, 0x42800000, |v4|
	s_and_not1_b32 s3, s3, exec_lo
	s_mov_b32 s5, 0
	s_delay_alu instid0(VALU_DEP_1) | instskip(NEXT) | instid1(VALU_DEP_1)
	v_and_b32_e32 v5, 0xff, v5
	v_cmp_ne_u32_e32 vcc_lo, 0, v5
	s_and_b32 s6, vcc_lo, exec_lo
	s_delay_alu instid0(SALU_CYCLE_1)
	s_or_b32 s3, s3, s6
	s_or_b32 exec_lo, exec_lo, s4
	v_mov_b32_e32 v7, s5
	s_and_saveexec_b32 s4, s3
	s_cbranch_execnz .LBB185_2400
	s_branch .LBB185_2401
.LBB185_2514:
	s_trap 2
	s_sendmsg_rtn_b32 s0, sendmsg(MSG_RTN_GET_DOORBELL)
	s_mov_b32 ttmp2, m0
	s_waitcnt lgkmcnt(0)
	s_and_b32 s0, s0, 0x3ff
	s_delay_alu instid0(SALU_CYCLE_1) | instskip(NEXT) | instid1(SALU_CYCLE_1)
	s_bitset1_b32 s0, 10
	s_mov_b32 m0, s0
	s_sendmsg sendmsg(MSG_INTERRUPT)
	s_mov_b32 m0, ttmp2
.LBB185_2515:                           ; =>This Inner Loop Header: Depth=1
	s_sethalt 5
	s_branch .LBB185_2515
	.section	.rodata,"a",@progbits
	.p2align	6, 0x0
	.amdhsa_kernel _ZN2at6native32elementwise_kernel_manual_unrollILi128ELi4EZNS0_15gpu_kernel_implIZZZNS0_17rsqrt_kernel_cudaERNS_18TensorIteratorBaseEENKUlvE_clEvENKUlvE1_clEvEUlN3c107complexINS7_4HalfEEEE_EEvS4_RKT_EUlibE0_EEviT1_
		.amdhsa_group_segment_fixed_size 0
		.amdhsa_private_segment_fixed_size 0
		.amdhsa_kernarg_size 360
		.amdhsa_user_sgpr_count 15
		.amdhsa_user_sgpr_dispatch_ptr 0
		.amdhsa_user_sgpr_queue_ptr 0
		.amdhsa_user_sgpr_kernarg_segment_ptr 1
		.amdhsa_user_sgpr_dispatch_id 0
		.amdhsa_user_sgpr_private_segment_size 0
		.amdhsa_wavefront_size32 1
		.amdhsa_uses_dynamic_stack 0
		.amdhsa_enable_private_segment 0
		.amdhsa_system_sgpr_workgroup_id_x 1
		.amdhsa_system_sgpr_workgroup_id_y 0
		.amdhsa_system_sgpr_workgroup_id_z 0
		.amdhsa_system_sgpr_workgroup_info 0
		.amdhsa_system_vgpr_workitem_id 0
		.amdhsa_next_free_vgpr 22
		.amdhsa_next_free_sgpr 68
		.amdhsa_reserve_vcc 1
		.amdhsa_float_round_mode_32 0
		.amdhsa_float_round_mode_16_64 0
		.amdhsa_float_denorm_mode_32 3
		.amdhsa_float_denorm_mode_16_64 3
		.amdhsa_dx10_clamp 1
		.amdhsa_ieee_mode 1
		.amdhsa_fp16_overflow 0
		.amdhsa_workgroup_processor_mode 1
		.amdhsa_memory_ordered 1
		.amdhsa_forward_progress 0
		.amdhsa_shared_vgpr_count 0
		.amdhsa_exception_fp_ieee_invalid_op 0
		.amdhsa_exception_fp_denorm_src 0
		.amdhsa_exception_fp_ieee_div_zero 0
		.amdhsa_exception_fp_ieee_overflow 0
		.amdhsa_exception_fp_ieee_underflow 0
		.amdhsa_exception_fp_ieee_inexact 0
		.amdhsa_exception_int_div_zero 0
	.end_amdhsa_kernel
	.section	.text._ZN2at6native32elementwise_kernel_manual_unrollILi128ELi4EZNS0_15gpu_kernel_implIZZZNS0_17rsqrt_kernel_cudaERNS_18TensorIteratorBaseEENKUlvE_clEvENKUlvE1_clEvEUlN3c107complexINS7_4HalfEEEE_EEvS4_RKT_EUlibE0_EEviT1_,"axG",@progbits,_ZN2at6native32elementwise_kernel_manual_unrollILi128ELi4EZNS0_15gpu_kernel_implIZZZNS0_17rsqrt_kernel_cudaERNS_18TensorIteratorBaseEENKUlvE_clEvENKUlvE1_clEvEUlN3c107complexINS7_4HalfEEEE_EEvS4_RKT_EUlibE0_EEviT1_,comdat
.Lfunc_end185:
	.size	_ZN2at6native32elementwise_kernel_manual_unrollILi128ELi4EZNS0_15gpu_kernel_implIZZZNS0_17rsqrt_kernel_cudaERNS_18TensorIteratorBaseEENKUlvE_clEvENKUlvE1_clEvEUlN3c107complexINS7_4HalfEEEE_EEvS4_RKT_EUlibE0_EEviT1_, .Lfunc_end185-_ZN2at6native32elementwise_kernel_manual_unrollILi128ELi4EZNS0_15gpu_kernel_implIZZZNS0_17rsqrt_kernel_cudaERNS_18TensorIteratorBaseEENKUlvE_clEvENKUlvE1_clEvEUlN3c107complexINS7_4HalfEEEE_EEvS4_RKT_EUlibE0_EEviT1_
                                        ; -- End function
	.section	.AMDGPU.csdata,"",@progbits
; Kernel info:
; codeLenInByte = 57980
; NumSgprs: 70
; NumVgprs: 22
; ScratchSize: 0
; MemoryBound: 0
; FloatMode: 240
; IeeeMode: 1
; LDSByteSize: 0 bytes/workgroup (compile time only)
; SGPRBlocks: 8
; VGPRBlocks: 2
; NumSGPRsForWavesPerEU: 70
; NumVGPRsForWavesPerEU: 22
; Occupancy: 16
; WaveLimiterHint : 1
; COMPUTE_PGM_RSRC2:SCRATCH_EN: 0
; COMPUTE_PGM_RSRC2:USER_SGPR: 15
; COMPUTE_PGM_RSRC2:TRAP_HANDLER: 0
; COMPUTE_PGM_RSRC2:TGID_X_EN: 1
; COMPUTE_PGM_RSRC2:TGID_Y_EN: 0
; COMPUTE_PGM_RSRC2:TGID_Z_EN: 0
; COMPUTE_PGM_RSRC2:TIDIG_COMP_CNT: 0
	.section	.text._ZN2at6native29vectorized_elementwise_kernelILi16EZZZNS0_17rsqrt_kernel_cudaERNS_18TensorIteratorBaseEENKUlvE0_clEvENKUlvE_clEvEUldE_St5arrayIPcLm2EEEEviT0_T1_,"axG",@progbits,_ZN2at6native29vectorized_elementwise_kernelILi16EZZZNS0_17rsqrt_kernel_cudaERNS_18TensorIteratorBaseEENKUlvE0_clEvENKUlvE_clEvEUldE_St5arrayIPcLm2EEEEviT0_T1_,comdat
	.globl	_ZN2at6native29vectorized_elementwise_kernelILi16EZZZNS0_17rsqrt_kernel_cudaERNS_18TensorIteratorBaseEENKUlvE0_clEvENKUlvE_clEvEUldE_St5arrayIPcLm2EEEEviT0_T1_ ; -- Begin function _ZN2at6native29vectorized_elementwise_kernelILi16EZZZNS0_17rsqrt_kernel_cudaERNS_18TensorIteratorBaseEENKUlvE0_clEvENKUlvE_clEvEUldE_St5arrayIPcLm2EEEEviT0_T1_
	.p2align	8
	.type	_ZN2at6native29vectorized_elementwise_kernelILi16EZZZNS0_17rsqrt_kernel_cudaERNS_18TensorIteratorBaseEENKUlvE0_clEvENKUlvE_clEvEUldE_St5arrayIPcLm2EEEEviT0_T1_,@function
_ZN2at6native29vectorized_elementwise_kernelILi16EZZZNS0_17rsqrt_kernel_cudaERNS_18TensorIteratorBaseEENKUlvE0_clEvENKUlvE_clEvEUldE_St5arrayIPcLm2EEEEviT0_T1_: ; @_ZN2at6native29vectorized_elementwise_kernelILi16EZZZNS0_17rsqrt_kernel_cudaERNS_18TensorIteratorBaseEENKUlvE0_clEvENKUlvE_clEvEUldE_St5arrayIPcLm2EEEEviT0_T1_
; %bb.0:
	s_clause 0x1
	s_load_b32 s2, s[0:1], 0x0
	s_load_b128 s[4:7], s[0:1], 0x8
	s_lshl_b32 s8, s15, 10
	s_mov_b32 s0, -1
	s_waitcnt lgkmcnt(0)
	s_sub_i32 s3, s2, s8
	s_delay_alu instid0(SALU_CYCLE_1)
	s_cmpk_gt_i32 s3, 0x3ff
	s_cbranch_scc0 .LBB186_2
; %bb.1:
	s_ashr_i32 s9, s8, 31
	v_lshlrev_b32_e32 v25, 5, v0
	s_lshl_b64 s[10:11], s[8:9], 3
	s_delay_alu instid0(SALU_CYCLE_1)
	s_add_u32 s0, s6, s10
	s_addc_u32 s1, s7, s11
	s_add_u32 s10, s4, s10
	s_clause 0x1
	global_load_b128 v[1:4], v25, s[0:1]
	global_load_b128 v[5:8], v25, s[0:1] offset:16
	s_addc_u32 s11, s5, s11
	s_waitcnt vmcnt(1)
	v_rsq_f64_e32 v[9:10], v[1:2]
	v_rsq_f64_e32 v[11:12], v[3:4]
	s_waitcnt vmcnt(0)
	v_rsq_f64_e32 v[13:14], v[5:6]
	v_rsq_f64_e32 v[15:16], v[7:8]
	v_mul_f64 v[1:2], v[9:10], -v[1:2]
	s_delay_alu instid0(TRANS32_DEP_3)
	v_mul_f64 v[3:4], v[11:12], -v[3:4]
	s_waitcnt_depctr 0xfff
	v_mul_f64 v[5:6], v[13:14], -v[5:6]
	v_mul_f64 v[7:8], v[15:16], -v[7:8]
	v_cmp_class_f64_e64 vcc_lo, v[9:10], 0x180
	v_cmp_class_f64_e64 s0, v[11:12], 0x180
	v_cmp_class_f64_e64 s1, v[13:14], 0x180
	;; [unrolled: 1-line block ×3, first 2 shown]
	v_fma_f64 v[1:2], v[1:2], v[9:10], 1.0
	v_fma_f64 v[3:4], v[3:4], v[11:12], 1.0
	;; [unrolled: 1-line block ×4, first 2 shown]
	s_delay_alu instid0(VALU_DEP_4)
	v_mul_f64 v[17:18], v[9:10], v[1:2]
	v_fma_f64 v[1:2], 0x3fd80000, v[1:2], 0.5
	v_mul_f64 v[19:20], v[11:12], v[3:4]
	v_fma_f64 v[3:4], 0x3fd80000, v[3:4], 0.5
	;; [unrolled: 2-line block ×4, first 2 shown]
	v_fma_f64 v[1:2], v[17:18], v[1:2], v[9:10]
	v_fma_f64 v[3:4], v[19:20], v[3:4], v[11:12]
	;; [unrolled: 1-line block ×3, first 2 shown]
	s_delay_alu instid0(VALU_DEP_4) | instskip(NEXT) | instid1(VALU_DEP_4)
	v_fma_f64 v[7:8], v[23:24], v[7:8], v[15:16]
	v_dual_cndmask_b32 v2, v10, v2 :: v_dual_cndmask_b32 v1, v9, v1
	s_delay_alu instid0(VALU_DEP_4)
	v_cndmask_b32_e64 v4, v12, v4, s0
	v_cndmask_b32_e64 v3, v11, v3, s0
	;; [unrolled: 1-line block ×6, first 2 shown]
	s_mov_b32 s0, 0
	s_clause 0x1
	global_store_b128 v25, v[1:4], s[10:11]
	global_store_b128 v25, v[5:8], s[10:11] offset:16
.LBB186_2:
	s_and_not1_b32 vcc_lo, exec_lo, s0
	s_cbranch_vccnz .LBB186_20
; %bb.3:
	v_mov_b32_e32 v11, 0
	v_dual_mov_b32 v12, 0 :: v_dual_mov_b32 v1, v0
	v_cmp_gt_i32_e32 vcc_lo, s3, v0
	v_or_b32_e32 v9, s8, v0
	v_or_b32_e32 v19, 0x100, v0
	s_delay_alu instid0(VALU_DEP_4)
	v_dual_mov_b32 v16, v12 :: v_dual_mov_b32 v15, v11
	s_and_saveexec_b32 s1, vcc_lo
	s_cbranch_execz .LBB186_5
; %bb.4:
	v_mov_b32_e32 v10, 0
	s_delay_alu instid0(VALU_DEP_1) | instskip(NEXT) | instid1(VALU_DEP_1)
	v_lshlrev_b64 v[1:2], 3, v[9:10]
	v_add_co_u32 v1, s0, s6, v1
	s_delay_alu instid0(VALU_DEP_1)
	v_add_co_ci_u32_e64 v2, s0, s7, v2, s0
	global_load_b64 v[15:16], v[1:2], off
	v_or_b32_e32 v1, 0x100, v0
.LBB186_5:
	s_or_b32 exec_lo, exec_lo, s1
	s_delay_alu instid0(SALU_CYCLE_1) | instskip(NEXT) | instid1(VALU_DEP_1)
	s_mov_b32 s1, exec_lo
	v_cmpx_gt_i32_e64 s3, v1
	s_cbranch_execz .LBB186_7
; %bb.6:
	v_dual_mov_b32 v3, 0 :: v_dual_add_nc_u32 v2, s8, v1
	v_add_nc_u32_e32 v1, 0x100, v1
	s_delay_alu instid0(VALU_DEP_2) | instskip(NEXT) | instid1(VALU_DEP_1)
	v_lshlrev_b64 v[2:3], 3, v[2:3]
	v_add_co_u32 v2, s0, s6, v2
	s_delay_alu instid0(VALU_DEP_1)
	v_add_co_ci_u32_e64 v3, s0, s7, v3, s0
	global_load_b64 v[11:12], v[2:3], off
.LBB186_7:
	s_or_b32 exec_lo, exec_lo, s1
	v_mov_b32_e32 v13, 0
	v_mov_b32_e32 v14, 0
	s_mov_b32 s1, exec_lo
	s_delay_alu instid0(VALU_DEP_1)
	v_dual_mov_b32 v18, v14 :: v_dual_mov_b32 v17, v13
	v_cmpx_gt_i32_e64 s3, v1
	s_cbranch_execnz .LBB186_21
; %bb.8:
	s_or_b32 exec_lo, exec_lo, s1
	s_delay_alu instid0(SALU_CYCLE_1)
	s_mov_b32 s1, exec_lo
	v_cmpx_gt_i32_e64 s3, v1
	s_cbranch_execnz .LBB186_22
.LBB186_9:
	s_or_b32 exec_lo, exec_lo, s1
                                        ; implicit-def: $vgpr1_vgpr2_vgpr3_vgpr4_vgpr5_vgpr6_vgpr7_vgpr8
	s_and_saveexec_b32 s1, vcc_lo
	s_cbranch_execnz .LBB186_23
.LBB186_10:
	s_or_b32 exec_lo, exec_lo, s1
	s_delay_alu instid0(SALU_CYCLE_1)
	s_mov_b32 s1, exec_lo
	v_cmpx_gt_i32_e64 s3, v19
	s_cbranch_execz .LBB186_12
.LBB186_11:
	s_waitcnt vmcnt(0)
	v_rsq_f64_e32 v[3:4], v[11:12]
	s_waitcnt_depctr 0xfff
	v_mul_f64 v[10:11], v[3:4], -v[11:12]
	v_cmp_class_f64_e64 s0, v[3:4], 0x180
	s_delay_alu instid0(VALU_DEP_2) | instskip(NEXT) | instid1(VALU_DEP_1)
	v_fma_f64 v[10:11], v[10:11], v[3:4], 1.0
	v_mul_f64 v[15:16], v[3:4], v[10:11]
	v_fma_f64 v[10:11], 0x3fd80000, v[10:11], 0.5
	s_delay_alu instid0(VALU_DEP_1) | instskip(NEXT) | instid1(VALU_DEP_1)
	v_fma_f64 v[10:11], v[15:16], v[10:11], v[3:4]
	v_cndmask_b32_e64 v4, v4, v11, s0
	s_delay_alu instid0(VALU_DEP_2)
	v_cndmask_b32_e64 v3, v3, v10, s0
.LBB186_12:
	s_or_b32 exec_lo, exec_lo, s1
	v_or_b32_e32 v10, 0x200, v0
	s_mov_b32 s1, exec_lo
	s_delay_alu instid0(VALU_DEP_1)
	v_cmpx_gt_i32_e64 s3, v10
	s_cbranch_execz .LBB186_14
; %bb.13:
	s_waitcnt vmcnt(0)
	v_rsq_f64_e32 v[5:6], v[17:18]
	s_waitcnt_depctr 0xfff
	v_mul_f64 v[10:11], v[5:6], -v[17:18]
	v_cmp_class_f64_e64 s0, v[5:6], 0x180
	s_delay_alu instid0(VALU_DEP_2) | instskip(NEXT) | instid1(VALU_DEP_1)
	v_fma_f64 v[10:11], v[10:11], v[5:6], 1.0
	v_mul_f64 v[15:16], v[5:6], v[10:11]
	v_fma_f64 v[10:11], 0x3fd80000, v[10:11], 0.5
	s_delay_alu instid0(VALU_DEP_1) | instskip(NEXT) | instid1(VALU_DEP_1)
	v_fma_f64 v[10:11], v[15:16], v[10:11], v[5:6]
	v_cndmask_b32_e64 v6, v6, v11, s0
	s_delay_alu instid0(VALU_DEP_2)
	v_cndmask_b32_e64 v5, v5, v10, s0
.LBB186_14:
	s_or_b32 exec_lo, exec_lo, s1
	v_or_b32_e32 v10, 0x300, v0
	s_mov_b32 s1, exec_lo
	s_delay_alu instid0(VALU_DEP_1)
	v_cmpx_gt_i32_e64 s3, v10
	s_cbranch_execnz .LBB186_24
; %bb.15:
	s_or_b32 exec_lo, exec_lo, s1
	s_and_saveexec_b32 s0, vcc_lo
	s_delay_alu instid0(SALU_CYCLE_1)
	s_xor_b32 s0, exec_lo, s0
	s_cbranch_execnz .LBB186_25
.LBB186_16:
	s_or_b32 exec_lo, exec_lo, s0
	s_delay_alu instid0(SALU_CYCLE_1)
	s_mov_b32 s0, exec_lo
	v_cmpx_gt_i32_e64 s3, v0
	s_cbranch_execnz .LBB186_26
.LBB186_17:
	s_or_b32 exec_lo, exec_lo, s0
	s_delay_alu instid0(SALU_CYCLE_1)
	s_mov_b32 s0, exec_lo
	v_cmpx_gt_i32_e64 s3, v0
	s_cbranch_execnz .LBB186_27
.LBB186_18:
	s_or_b32 exec_lo, exec_lo, s0
	s_delay_alu instid0(SALU_CYCLE_1)
	s_mov_b32 s0, exec_lo
	v_cmpx_gt_i32_e64 s3, v0
	s_cbranch_execz .LBB186_20
.LBB186_19:
	v_dual_mov_b32 v1, 0 :: v_dual_add_nc_u32 v0, s8, v0
	s_delay_alu instid0(VALU_DEP_1) | instskip(NEXT) | instid1(VALU_DEP_1)
	v_lshlrev_b64 v[0:1], 3, v[0:1]
	v_add_co_u32 v0, vcc_lo, s4, v0
	s_delay_alu instid0(VALU_DEP_2)
	v_add_co_ci_u32_e32 v1, vcc_lo, s5, v1, vcc_lo
	global_store_b64 v[0:1], v[7:8], off
.LBB186_20:
	s_nop 0
	s_sendmsg sendmsg(MSG_DEALLOC_VGPRS)
	s_endpgm
.LBB186_21:
	v_dual_mov_b32 v3, 0 :: v_dual_add_nc_u32 v2, s8, v1
	v_add_nc_u32_e32 v1, 0x100, v1
	s_delay_alu instid0(VALU_DEP_2) | instskip(NEXT) | instid1(VALU_DEP_1)
	v_lshlrev_b64 v[2:3], 3, v[2:3]
	v_add_co_u32 v2, s0, s6, v2
	s_delay_alu instid0(VALU_DEP_1) | instskip(SKIP_2) | instid1(SALU_CYCLE_1)
	v_add_co_ci_u32_e64 v3, s0, s7, v3, s0
	global_load_b64 v[17:18], v[2:3], off
	s_or_b32 exec_lo, exec_lo, s1
	s_mov_b32 s1, exec_lo
	v_cmpx_gt_i32_e64 s3, v1
	s_cbranch_execz .LBB186_9
.LBB186_22:
	v_dual_mov_b32 v2, 0 :: v_dual_add_nc_u32 v1, s8, v1
	s_delay_alu instid0(VALU_DEP_1) | instskip(NEXT) | instid1(VALU_DEP_1)
	v_lshlrev_b64 v[1:2], 3, v[1:2]
	v_add_co_u32 v1, s0, s6, v1
	s_delay_alu instid0(VALU_DEP_1)
	v_add_co_ci_u32_e64 v2, s0, s7, v2, s0
	global_load_b64 v[13:14], v[1:2], off
	s_or_b32 exec_lo, exec_lo, s1
                                        ; implicit-def: $vgpr1_vgpr2_vgpr3_vgpr4_vgpr5_vgpr6_vgpr7_vgpr8
	s_and_saveexec_b32 s1, vcc_lo
	s_cbranch_execz .LBB186_10
.LBB186_23:
	s_waitcnt vmcnt(0)
	v_rsq_f64_e32 v[1:2], v[15:16]
	s_waitcnt_depctr 0xfff
	v_mul_f64 v[3:4], v[1:2], -v[15:16]
	v_cmp_class_f64_e64 s0, v[1:2], 0x180
	s_delay_alu instid0(VALU_DEP_2) | instskip(NEXT) | instid1(VALU_DEP_1)
	v_fma_f64 v[3:4], v[3:4], v[1:2], 1.0
	v_mul_f64 v[5:6], v[1:2], v[3:4]
	v_fma_f64 v[3:4], 0x3fd80000, v[3:4], 0.5
	s_delay_alu instid0(VALU_DEP_1) | instskip(NEXT) | instid1(VALU_DEP_1)
	v_fma_f64 v[3:4], v[5:6], v[3:4], v[1:2]
	v_cndmask_b32_e64 v2, v2, v4, s0
	s_delay_alu instid0(VALU_DEP_2) | instskip(SKIP_1) | instid1(SALU_CYCLE_1)
	v_cndmask_b32_e64 v1, v1, v3, s0
	s_or_b32 exec_lo, exec_lo, s1
	s_mov_b32 s1, exec_lo
	v_cmpx_gt_i32_e64 s3, v19
	s_cbranch_execnz .LBB186_11
	s_branch .LBB186_12
.LBB186_24:
	s_waitcnt vmcnt(0)
	v_rsq_f64_e32 v[7:8], v[13:14]
	s_waitcnt_depctr 0xfff
	v_mul_f64 v[10:11], v[7:8], -v[13:14]
	v_cmp_class_f64_e64 s0, v[7:8], 0x180
	s_delay_alu instid0(VALU_DEP_2) | instskip(NEXT) | instid1(VALU_DEP_1)
	v_fma_f64 v[10:11], v[10:11], v[7:8], 1.0
	v_mul_f64 v[12:13], v[7:8], v[10:11]
	v_fma_f64 v[10:11], 0x3fd80000, v[10:11], 0.5
	s_delay_alu instid0(VALU_DEP_1) | instskip(NEXT) | instid1(VALU_DEP_1)
	v_fma_f64 v[10:11], v[12:13], v[10:11], v[7:8]
	v_cndmask_b32_e64 v8, v8, v11, s0
	s_delay_alu instid0(VALU_DEP_2) | instskip(SKIP_2) | instid1(SALU_CYCLE_1)
	v_cndmask_b32_e64 v7, v7, v10, s0
	s_or_b32 exec_lo, exec_lo, s1
	s_and_saveexec_b32 s0, vcc_lo
	s_xor_b32 s0, exec_lo, s0
	s_cbranch_execz .LBB186_16
.LBB186_25:
	v_mov_b32_e32 v10, 0
	v_mov_b32_e32 v0, v19
	s_delay_alu instid0(VALU_DEP_2) | instskip(NEXT) | instid1(VALU_DEP_1)
	v_lshlrev_b64 v[9:10], 3, v[9:10]
	v_add_co_u32 v9, vcc_lo, s4, v9
	s_delay_alu instid0(VALU_DEP_2) | instskip(SKIP_2) | instid1(SALU_CYCLE_1)
	v_add_co_ci_u32_e32 v10, vcc_lo, s5, v10, vcc_lo
	global_store_b64 v[9:10], v[1:2], off
	s_or_b32 exec_lo, exec_lo, s0
	s_mov_b32 s0, exec_lo
	v_cmpx_gt_i32_e64 s3, v0
	s_cbranch_execz .LBB186_17
.LBB186_26:
	v_dual_mov_b32 v2, 0 :: v_dual_add_nc_u32 v1, s8, v0
	v_add_nc_u32_e32 v0, 0x100, v0
	s_delay_alu instid0(VALU_DEP_2) | instskip(NEXT) | instid1(VALU_DEP_1)
	v_lshlrev_b64 v[1:2], 3, v[1:2]
	v_add_co_u32 v1, vcc_lo, s4, v1
	s_delay_alu instid0(VALU_DEP_2) | instskip(SKIP_2) | instid1(SALU_CYCLE_1)
	v_add_co_ci_u32_e32 v2, vcc_lo, s5, v2, vcc_lo
	global_store_b64 v[1:2], v[3:4], off
	s_or_b32 exec_lo, exec_lo, s0
	s_mov_b32 s0, exec_lo
	v_cmpx_gt_i32_e64 s3, v0
	s_cbranch_execz .LBB186_18
.LBB186_27:
	v_dual_mov_b32 v2, 0 :: v_dual_add_nc_u32 v1, s8, v0
	v_add_nc_u32_e32 v0, 0x100, v0
	s_delay_alu instid0(VALU_DEP_2) | instskip(NEXT) | instid1(VALU_DEP_1)
	v_lshlrev_b64 v[1:2], 3, v[1:2]
	v_add_co_u32 v1, vcc_lo, s4, v1
	s_delay_alu instid0(VALU_DEP_2) | instskip(SKIP_2) | instid1(SALU_CYCLE_1)
	v_add_co_ci_u32_e32 v2, vcc_lo, s5, v2, vcc_lo
	global_store_b64 v[1:2], v[5:6], off
	s_or_b32 exec_lo, exec_lo, s0
	s_mov_b32 s0, exec_lo
	v_cmpx_gt_i32_e64 s3, v0
	s_cbranch_execnz .LBB186_19
	s_branch .LBB186_20
	.section	.rodata,"a",@progbits
	.p2align	6, 0x0
	.amdhsa_kernel _ZN2at6native29vectorized_elementwise_kernelILi16EZZZNS0_17rsqrt_kernel_cudaERNS_18TensorIteratorBaseEENKUlvE0_clEvENKUlvE_clEvEUldE_St5arrayIPcLm2EEEEviT0_T1_
		.amdhsa_group_segment_fixed_size 0
		.amdhsa_private_segment_fixed_size 0
		.amdhsa_kernarg_size 24
		.amdhsa_user_sgpr_count 15
		.amdhsa_user_sgpr_dispatch_ptr 0
		.amdhsa_user_sgpr_queue_ptr 0
		.amdhsa_user_sgpr_kernarg_segment_ptr 1
		.amdhsa_user_sgpr_dispatch_id 0
		.amdhsa_user_sgpr_private_segment_size 0
		.amdhsa_wavefront_size32 1
		.amdhsa_uses_dynamic_stack 0
		.amdhsa_enable_private_segment 0
		.amdhsa_system_sgpr_workgroup_id_x 1
		.amdhsa_system_sgpr_workgroup_id_y 0
		.amdhsa_system_sgpr_workgroup_id_z 0
		.amdhsa_system_sgpr_workgroup_info 0
		.amdhsa_system_vgpr_workitem_id 0
		.amdhsa_next_free_vgpr 26
		.amdhsa_next_free_sgpr 16
		.amdhsa_reserve_vcc 1
		.amdhsa_float_round_mode_32 0
		.amdhsa_float_round_mode_16_64 0
		.amdhsa_float_denorm_mode_32 3
		.amdhsa_float_denorm_mode_16_64 3
		.amdhsa_dx10_clamp 1
		.amdhsa_ieee_mode 1
		.amdhsa_fp16_overflow 0
		.amdhsa_workgroup_processor_mode 1
		.amdhsa_memory_ordered 1
		.amdhsa_forward_progress 0
		.amdhsa_shared_vgpr_count 0
		.amdhsa_exception_fp_ieee_invalid_op 0
		.amdhsa_exception_fp_denorm_src 0
		.amdhsa_exception_fp_ieee_div_zero 0
		.amdhsa_exception_fp_ieee_overflow 0
		.amdhsa_exception_fp_ieee_underflow 0
		.amdhsa_exception_fp_ieee_inexact 0
		.amdhsa_exception_int_div_zero 0
	.end_amdhsa_kernel
	.section	.text._ZN2at6native29vectorized_elementwise_kernelILi16EZZZNS0_17rsqrt_kernel_cudaERNS_18TensorIteratorBaseEENKUlvE0_clEvENKUlvE_clEvEUldE_St5arrayIPcLm2EEEEviT0_T1_,"axG",@progbits,_ZN2at6native29vectorized_elementwise_kernelILi16EZZZNS0_17rsqrt_kernel_cudaERNS_18TensorIteratorBaseEENKUlvE0_clEvENKUlvE_clEvEUldE_St5arrayIPcLm2EEEEviT0_T1_,comdat
.Lfunc_end186:
	.size	_ZN2at6native29vectorized_elementwise_kernelILi16EZZZNS0_17rsqrt_kernel_cudaERNS_18TensorIteratorBaseEENKUlvE0_clEvENKUlvE_clEvEUldE_St5arrayIPcLm2EEEEviT0_T1_, .Lfunc_end186-_ZN2at6native29vectorized_elementwise_kernelILi16EZZZNS0_17rsqrt_kernel_cudaERNS_18TensorIteratorBaseEENKUlvE0_clEvENKUlvE_clEvEUldE_St5arrayIPcLm2EEEEviT0_T1_
                                        ; -- End function
	.section	.AMDGPU.csdata,"",@progbits
; Kernel info:
; codeLenInByte = 1720
; NumSgprs: 18
; NumVgprs: 26
; ScratchSize: 0
; MemoryBound: 0
; FloatMode: 240
; IeeeMode: 1
; LDSByteSize: 0 bytes/workgroup (compile time only)
; SGPRBlocks: 2
; VGPRBlocks: 3
; NumSGPRsForWavesPerEU: 18
; NumVGPRsForWavesPerEU: 26
; Occupancy: 16
; WaveLimiterHint : 0
; COMPUTE_PGM_RSRC2:SCRATCH_EN: 0
; COMPUTE_PGM_RSRC2:USER_SGPR: 15
; COMPUTE_PGM_RSRC2:TRAP_HANDLER: 0
; COMPUTE_PGM_RSRC2:TGID_X_EN: 1
; COMPUTE_PGM_RSRC2:TGID_Y_EN: 0
; COMPUTE_PGM_RSRC2:TGID_Z_EN: 0
; COMPUTE_PGM_RSRC2:TIDIG_COMP_CNT: 0
	.section	.text._ZN2at6native29vectorized_elementwise_kernelILi8EZZZNS0_17rsqrt_kernel_cudaERNS_18TensorIteratorBaseEENKUlvE0_clEvENKUlvE_clEvEUldE_St5arrayIPcLm2EEEEviT0_T1_,"axG",@progbits,_ZN2at6native29vectorized_elementwise_kernelILi8EZZZNS0_17rsqrt_kernel_cudaERNS_18TensorIteratorBaseEENKUlvE0_clEvENKUlvE_clEvEUldE_St5arrayIPcLm2EEEEviT0_T1_,comdat
	.globl	_ZN2at6native29vectorized_elementwise_kernelILi8EZZZNS0_17rsqrt_kernel_cudaERNS_18TensorIteratorBaseEENKUlvE0_clEvENKUlvE_clEvEUldE_St5arrayIPcLm2EEEEviT0_T1_ ; -- Begin function _ZN2at6native29vectorized_elementwise_kernelILi8EZZZNS0_17rsqrt_kernel_cudaERNS_18TensorIteratorBaseEENKUlvE0_clEvENKUlvE_clEvEUldE_St5arrayIPcLm2EEEEviT0_T1_
	.p2align	8
	.type	_ZN2at6native29vectorized_elementwise_kernelILi8EZZZNS0_17rsqrt_kernel_cudaERNS_18TensorIteratorBaseEENKUlvE0_clEvENKUlvE_clEvEUldE_St5arrayIPcLm2EEEEviT0_T1_,@function
_ZN2at6native29vectorized_elementwise_kernelILi8EZZZNS0_17rsqrt_kernel_cudaERNS_18TensorIteratorBaseEENKUlvE0_clEvENKUlvE_clEvEUldE_St5arrayIPcLm2EEEEviT0_T1_: ; @_ZN2at6native29vectorized_elementwise_kernelILi8EZZZNS0_17rsqrt_kernel_cudaERNS_18TensorIteratorBaseEENKUlvE0_clEvENKUlvE_clEvEUldE_St5arrayIPcLm2EEEEviT0_T1_
; %bb.0:
	s_clause 0x1
	s_load_b32 s2, s[0:1], 0x0
	s_load_b128 s[4:7], s[0:1], 0x8
	s_lshl_b32 s8, s15, 10
	s_mov_b32 s0, -1
	s_waitcnt lgkmcnt(0)
	s_sub_i32 s3, s2, s8
	s_delay_alu instid0(SALU_CYCLE_1)
	s_cmpk_gt_i32 s3, 0x3ff
	s_cbranch_scc0 .LBB187_2
; %bb.1:
	s_ashr_i32 s9, s8, 31
	v_lshlrev_b32_e32 v25, 5, v0
	s_lshl_b64 s[10:11], s[8:9], 3
	s_delay_alu instid0(SALU_CYCLE_1)
	s_add_u32 s0, s6, s10
	s_addc_u32 s1, s7, s11
	s_add_u32 s10, s4, s10
	s_clause 0x1
	global_load_b128 v[1:4], v25, s[0:1]
	global_load_b128 v[5:8], v25, s[0:1] offset:16
	s_addc_u32 s11, s5, s11
	s_waitcnt vmcnt(1)
	v_rsq_f64_e32 v[9:10], v[1:2]
	v_rsq_f64_e32 v[11:12], v[3:4]
	s_waitcnt vmcnt(0)
	v_rsq_f64_e32 v[13:14], v[5:6]
	v_rsq_f64_e32 v[15:16], v[7:8]
	v_mul_f64 v[1:2], v[9:10], -v[1:2]
	s_delay_alu instid0(TRANS32_DEP_3)
	v_mul_f64 v[3:4], v[11:12], -v[3:4]
	s_waitcnt_depctr 0xfff
	v_mul_f64 v[5:6], v[13:14], -v[5:6]
	v_mul_f64 v[7:8], v[15:16], -v[7:8]
	v_cmp_class_f64_e64 vcc_lo, v[9:10], 0x180
	v_cmp_class_f64_e64 s0, v[11:12], 0x180
	v_cmp_class_f64_e64 s1, v[13:14], 0x180
	;; [unrolled: 1-line block ×3, first 2 shown]
	v_fma_f64 v[1:2], v[1:2], v[9:10], 1.0
	v_fma_f64 v[3:4], v[3:4], v[11:12], 1.0
	;; [unrolled: 1-line block ×4, first 2 shown]
	s_delay_alu instid0(VALU_DEP_4)
	v_mul_f64 v[17:18], v[9:10], v[1:2]
	v_fma_f64 v[1:2], 0x3fd80000, v[1:2], 0.5
	v_mul_f64 v[19:20], v[11:12], v[3:4]
	v_fma_f64 v[3:4], 0x3fd80000, v[3:4], 0.5
	;; [unrolled: 2-line block ×4, first 2 shown]
	v_fma_f64 v[1:2], v[17:18], v[1:2], v[9:10]
	v_fma_f64 v[3:4], v[19:20], v[3:4], v[11:12]
	;; [unrolled: 1-line block ×3, first 2 shown]
	s_delay_alu instid0(VALU_DEP_4) | instskip(NEXT) | instid1(VALU_DEP_4)
	v_fma_f64 v[7:8], v[23:24], v[7:8], v[15:16]
	v_dual_cndmask_b32 v2, v10, v2 :: v_dual_cndmask_b32 v1, v9, v1
	s_delay_alu instid0(VALU_DEP_4)
	v_cndmask_b32_e64 v4, v12, v4, s0
	v_cndmask_b32_e64 v3, v11, v3, s0
	v_cndmask_b32_e64 v6, v14, v6, s1
	v_cndmask_b32_e64 v5, v13, v5, s1
	v_cndmask_b32_e64 v8, v16, v8, s2
	v_cndmask_b32_e64 v7, v15, v7, s2
	s_mov_b32 s0, 0
	s_clause 0x1
	global_store_b128 v25, v[1:4], s[10:11]
	global_store_b128 v25, v[5:8], s[10:11] offset:16
.LBB187_2:
	s_and_not1_b32 vcc_lo, exec_lo, s0
	s_cbranch_vccnz .LBB187_20
; %bb.3:
	v_mov_b32_e32 v11, 0
	v_dual_mov_b32 v12, 0 :: v_dual_mov_b32 v1, v0
	v_cmp_gt_i32_e32 vcc_lo, s3, v0
	v_or_b32_e32 v9, s8, v0
	v_or_b32_e32 v19, 0x100, v0
	s_delay_alu instid0(VALU_DEP_4)
	v_dual_mov_b32 v16, v12 :: v_dual_mov_b32 v15, v11
	s_and_saveexec_b32 s1, vcc_lo
	s_cbranch_execz .LBB187_5
; %bb.4:
	v_mov_b32_e32 v10, 0
	s_delay_alu instid0(VALU_DEP_1) | instskip(NEXT) | instid1(VALU_DEP_1)
	v_lshlrev_b64 v[1:2], 3, v[9:10]
	v_add_co_u32 v1, s0, s6, v1
	s_delay_alu instid0(VALU_DEP_1)
	v_add_co_ci_u32_e64 v2, s0, s7, v2, s0
	global_load_b64 v[15:16], v[1:2], off
	v_or_b32_e32 v1, 0x100, v0
.LBB187_5:
	s_or_b32 exec_lo, exec_lo, s1
	s_delay_alu instid0(SALU_CYCLE_1) | instskip(NEXT) | instid1(VALU_DEP_1)
	s_mov_b32 s1, exec_lo
	v_cmpx_gt_i32_e64 s3, v1
	s_cbranch_execz .LBB187_7
; %bb.6:
	v_dual_mov_b32 v3, 0 :: v_dual_add_nc_u32 v2, s8, v1
	v_add_nc_u32_e32 v1, 0x100, v1
	s_delay_alu instid0(VALU_DEP_2) | instskip(NEXT) | instid1(VALU_DEP_1)
	v_lshlrev_b64 v[2:3], 3, v[2:3]
	v_add_co_u32 v2, s0, s6, v2
	s_delay_alu instid0(VALU_DEP_1)
	v_add_co_ci_u32_e64 v3, s0, s7, v3, s0
	global_load_b64 v[11:12], v[2:3], off
.LBB187_7:
	s_or_b32 exec_lo, exec_lo, s1
	v_mov_b32_e32 v13, 0
	v_mov_b32_e32 v14, 0
	s_mov_b32 s1, exec_lo
	s_delay_alu instid0(VALU_DEP_1)
	v_dual_mov_b32 v18, v14 :: v_dual_mov_b32 v17, v13
	v_cmpx_gt_i32_e64 s3, v1
	s_cbranch_execnz .LBB187_21
; %bb.8:
	s_or_b32 exec_lo, exec_lo, s1
	s_delay_alu instid0(SALU_CYCLE_1)
	s_mov_b32 s1, exec_lo
	v_cmpx_gt_i32_e64 s3, v1
	s_cbranch_execnz .LBB187_22
.LBB187_9:
	s_or_b32 exec_lo, exec_lo, s1
                                        ; implicit-def: $vgpr1_vgpr2_vgpr3_vgpr4_vgpr5_vgpr6_vgpr7_vgpr8
	s_and_saveexec_b32 s1, vcc_lo
	s_cbranch_execnz .LBB187_23
.LBB187_10:
	s_or_b32 exec_lo, exec_lo, s1
	s_delay_alu instid0(SALU_CYCLE_1)
	s_mov_b32 s1, exec_lo
	v_cmpx_gt_i32_e64 s3, v19
	s_cbranch_execz .LBB187_12
.LBB187_11:
	s_waitcnt vmcnt(0)
	v_rsq_f64_e32 v[3:4], v[11:12]
	s_waitcnt_depctr 0xfff
	v_mul_f64 v[10:11], v[3:4], -v[11:12]
	v_cmp_class_f64_e64 s0, v[3:4], 0x180
	s_delay_alu instid0(VALU_DEP_2) | instskip(NEXT) | instid1(VALU_DEP_1)
	v_fma_f64 v[10:11], v[10:11], v[3:4], 1.0
	v_mul_f64 v[15:16], v[3:4], v[10:11]
	v_fma_f64 v[10:11], 0x3fd80000, v[10:11], 0.5
	s_delay_alu instid0(VALU_DEP_1) | instskip(NEXT) | instid1(VALU_DEP_1)
	v_fma_f64 v[10:11], v[15:16], v[10:11], v[3:4]
	v_cndmask_b32_e64 v4, v4, v11, s0
	s_delay_alu instid0(VALU_DEP_2)
	v_cndmask_b32_e64 v3, v3, v10, s0
.LBB187_12:
	s_or_b32 exec_lo, exec_lo, s1
	v_or_b32_e32 v10, 0x200, v0
	s_mov_b32 s1, exec_lo
	s_delay_alu instid0(VALU_DEP_1)
	v_cmpx_gt_i32_e64 s3, v10
	s_cbranch_execz .LBB187_14
; %bb.13:
	s_waitcnt vmcnt(0)
	v_rsq_f64_e32 v[5:6], v[17:18]
	s_waitcnt_depctr 0xfff
	v_mul_f64 v[10:11], v[5:6], -v[17:18]
	v_cmp_class_f64_e64 s0, v[5:6], 0x180
	s_delay_alu instid0(VALU_DEP_2) | instskip(NEXT) | instid1(VALU_DEP_1)
	v_fma_f64 v[10:11], v[10:11], v[5:6], 1.0
	v_mul_f64 v[15:16], v[5:6], v[10:11]
	v_fma_f64 v[10:11], 0x3fd80000, v[10:11], 0.5
	s_delay_alu instid0(VALU_DEP_1) | instskip(NEXT) | instid1(VALU_DEP_1)
	v_fma_f64 v[10:11], v[15:16], v[10:11], v[5:6]
	v_cndmask_b32_e64 v6, v6, v11, s0
	s_delay_alu instid0(VALU_DEP_2)
	v_cndmask_b32_e64 v5, v5, v10, s0
.LBB187_14:
	s_or_b32 exec_lo, exec_lo, s1
	v_or_b32_e32 v10, 0x300, v0
	s_mov_b32 s1, exec_lo
	s_delay_alu instid0(VALU_DEP_1)
	v_cmpx_gt_i32_e64 s3, v10
	s_cbranch_execnz .LBB187_24
; %bb.15:
	s_or_b32 exec_lo, exec_lo, s1
	s_and_saveexec_b32 s0, vcc_lo
	s_delay_alu instid0(SALU_CYCLE_1)
	s_xor_b32 s0, exec_lo, s0
	s_cbranch_execnz .LBB187_25
.LBB187_16:
	s_or_b32 exec_lo, exec_lo, s0
	s_delay_alu instid0(SALU_CYCLE_1)
	s_mov_b32 s0, exec_lo
	v_cmpx_gt_i32_e64 s3, v0
	s_cbranch_execnz .LBB187_26
.LBB187_17:
	s_or_b32 exec_lo, exec_lo, s0
	s_delay_alu instid0(SALU_CYCLE_1)
	s_mov_b32 s0, exec_lo
	v_cmpx_gt_i32_e64 s3, v0
	s_cbranch_execnz .LBB187_27
.LBB187_18:
	s_or_b32 exec_lo, exec_lo, s0
	s_delay_alu instid0(SALU_CYCLE_1)
	s_mov_b32 s0, exec_lo
	v_cmpx_gt_i32_e64 s3, v0
	s_cbranch_execz .LBB187_20
.LBB187_19:
	v_dual_mov_b32 v1, 0 :: v_dual_add_nc_u32 v0, s8, v0
	s_delay_alu instid0(VALU_DEP_1) | instskip(NEXT) | instid1(VALU_DEP_1)
	v_lshlrev_b64 v[0:1], 3, v[0:1]
	v_add_co_u32 v0, vcc_lo, s4, v0
	s_delay_alu instid0(VALU_DEP_2)
	v_add_co_ci_u32_e32 v1, vcc_lo, s5, v1, vcc_lo
	global_store_b64 v[0:1], v[7:8], off
.LBB187_20:
	s_nop 0
	s_sendmsg sendmsg(MSG_DEALLOC_VGPRS)
	s_endpgm
.LBB187_21:
	v_dual_mov_b32 v3, 0 :: v_dual_add_nc_u32 v2, s8, v1
	v_add_nc_u32_e32 v1, 0x100, v1
	s_delay_alu instid0(VALU_DEP_2) | instskip(NEXT) | instid1(VALU_DEP_1)
	v_lshlrev_b64 v[2:3], 3, v[2:3]
	v_add_co_u32 v2, s0, s6, v2
	s_delay_alu instid0(VALU_DEP_1) | instskip(SKIP_2) | instid1(SALU_CYCLE_1)
	v_add_co_ci_u32_e64 v3, s0, s7, v3, s0
	global_load_b64 v[17:18], v[2:3], off
	s_or_b32 exec_lo, exec_lo, s1
	s_mov_b32 s1, exec_lo
	v_cmpx_gt_i32_e64 s3, v1
	s_cbranch_execz .LBB187_9
.LBB187_22:
	v_dual_mov_b32 v2, 0 :: v_dual_add_nc_u32 v1, s8, v1
	s_delay_alu instid0(VALU_DEP_1) | instskip(NEXT) | instid1(VALU_DEP_1)
	v_lshlrev_b64 v[1:2], 3, v[1:2]
	v_add_co_u32 v1, s0, s6, v1
	s_delay_alu instid0(VALU_DEP_1)
	v_add_co_ci_u32_e64 v2, s0, s7, v2, s0
	global_load_b64 v[13:14], v[1:2], off
	s_or_b32 exec_lo, exec_lo, s1
                                        ; implicit-def: $vgpr1_vgpr2_vgpr3_vgpr4_vgpr5_vgpr6_vgpr7_vgpr8
	s_and_saveexec_b32 s1, vcc_lo
	s_cbranch_execz .LBB187_10
.LBB187_23:
	s_waitcnt vmcnt(0)
	v_rsq_f64_e32 v[1:2], v[15:16]
	s_waitcnt_depctr 0xfff
	v_mul_f64 v[3:4], v[1:2], -v[15:16]
	v_cmp_class_f64_e64 s0, v[1:2], 0x180
	s_delay_alu instid0(VALU_DEP_2) | instskip(NEXT) | instid1(VALU_DEP_1)
	v_fma_f64 v[3:4], v[3:4], v[1:2], 1.0
	v_mul_f64 v[5:6], v[1:2], v[3:4]
	v_fma_f64 v[3:4], 0x3fd80000, v[3:4], 0.5
	s_delay_alu instid0(VALU_DEP_1) | instskip(NEXT) | instid1(VALU_DEP_1)
	v_fma_f64 v[3:4], v[5:6], v[3:4], v[1:2]
	v_cndmask_b32_e64 v2, v2, v4, s0
	s_delay_alu instid0(VALU_DEP_2) | instskip(SKIP_1) | instid1(SALU_CYCLE_1)
	v_cndmask_b32_e64 v1, v1, v3, s0
	s_or_b32 exec_lo, exec_lo, s1
	s_mov_b32 s1, exec_lo
	v_cmpx_gt_i32_e64 s3, v19
	s_cbranch_execnz .LBB187_11
	s_branch .LBB187_12
.LBB187_24:
	s_waitcnt vmcnt(0)
	v_rsq_f64_e32 v[7:8], v[13:14]
	s_waitcnt_depctr 0xfff
	v_mul_f64 v[10:11], v[7:8], -v[13:14]
	v_cmp_class_f64_e64 s0, v[7:8], 0x180
	s_delay_alu instid0(VALU_DEP_2) | instskip(NEXT) | instid1(VALU_DEP_1)
	v_fma_f64 v[10:11], v[10:11], v[7:8], 1.0
	v_mul_f64 v[12:13], v[7:8], v[10:11]
	v_fma_f64 v[10:11], 0x3fd80000, v[10:11], 0.5
	s_delay_alu instid0(VALU_DEP_1) | instskip(NEXT) | instid1(VALU_DEP_1)
	v_fma_f64 v[10:11], v[12:13], v[10:11], v[7:8]
	v_cndmask_b32_e64 v8, v8, v11, s0
	s_delay_alu instid0(VALU_DEP_2) | instskip(SKIP_2) | instid1(SALU_CYCLE_1)
	v_cndmask_b32_e64 v7, v7, v10, s0
	s_or_b32 exec_lo, exec_lo, s1
	s_and_saveexec_b32 s0, vcc_lo
	s_xor_b32 s0, exec_lo, s0
	s_cbranch_execz .LBB187_16
.LBB187_25:
	v_mov_b32_e32 v10, 0
	v_mov_b32_e32 v0, v19
	s_delay_alu instid0(VALU_DEP_2) | instskip(NEXT) | instid1(VALU_DEP_1)
	v_lshlrev_b64 v[9:10], 3, v[9:10]
	v_add_co_u32 v9, vcc_lo, s4, v9
	s_delay_alu instid0(VALU_DEP_2) | instskip(SKIP_2) | instid1(SALU_CYCLE_1)
	v_add_co_ci_u32_e32 v10, vcc_lo, s5, v10, vcc_lo
	global_store_b64 v[9:10], v[1:2], off
	s_or_b32 exec_lo, exec_lo, s0
	s_mov_b32 s0, exec_lo
	v_cmpx_gt_i32_e64 s3, v0
	s_cbranch_execz .LBB187_17
.LBB187_26:
	v_dual_mov_b32 v2, 0 :: v_dual_add_nc_u32 v1, s8, v0
	v_add_nc_u32_e32 v0, 0x100, v0
	s_delay_alu instid0(VALU_DEP_2) | instskip(NEXT) | instid1(VALU_DEP_1)
	v_lshlrev_b64 v[1:2], 3, v[1:2]
	v_add_co_u32 v1, vcc_lo, s4, v1
	s_delay_alu instid0(VALU_DEP_2) | instskip(SKIP_2) | instid1(SALU_CYCLE_1)
	v_add_co_ci_u32_e32 v2, vcc_lo, s5, v2, vcc_lo
	global_store_b64 v[1:2], v[3:4], off
	s_or_b32 exec_lo, exec_lo, s0
	s_mov_b32 s0, exec_lo
	v_cmpx_gt_i32_e64 s3, v0
	s_cbranch_execz .LBB187_18
.LBB187_27:
	v_dual_mov_b32 v2, 0 :: v_dual_add_nc_u32 v1, s8, v0
	v_add_nc_u32_e32 v0, 0x100, v0
	s_delay_alu instid0(VALU_DEP_2) | instskip(NEXT) | instid1(VALU_DEP_1)
	v_lshlrev_b64 v[1:2], 3, v[1:2]
	v_add_co_u32 v1, vcc_lo, s4, v1
	s_delay_alu instid0(VALU_DEP_2) | instskip(SKIP_2) | instid1(SALU_CYCLE_1)
	v_add_co_ci_u32_e32 v2, vcc_lo, s5, v2, vcc_lo
	global_store_b64 v[1:2], v[5:6], off
	s_or_b32 exec_lo, exec_lo, s0
	s_mov_b32 s0, exec_lo
	v_cmpx_gt_i32_e64 s3, v0
	s_cbranch_execnz .LBB187_19
	s_branch .LBB187_20
	.section	.rodata,"a",@progbits
	.p2align	6, 0x0
	.amdhsa_kernel _ZN2at6native29vectorized_elementwise_kernelILi8EZZZNS0_17rsqrt_kernel_cudaERNS_18TensorIteratorBaseEENKUlvE0_clEvENKUlvE_clEvEUldE_St5arrayIPcLm2EEEEviT0_T1_
		.amdhsa_group_segment_fixed_size 0
		.amdhsa_private_segment_fixed_size 0
		.amdhsa_kernarg_size 24
		.amdhsa_user_sgpr_count 15
		.amdhsa_user_sgpr_dispatch_ptr 0
		.amdhsa_user_sgpr_queue_ptr 0
		.amdhsa_user_sgpr_kernarg_segment_ptr 1
		.amdhsa_user_sgpr_dispatch_id 0
		.amdhsa_user_sgpr_private_segment_size 0
		.amdhsa_wavefront_size32 1
		.amdhsa_uses_dynamic_stack 0
		.amdhsa_enable_private_segment 0
		.amdhsa_system_sgpr_workgroup_id_x 1
		.amdhsa_system_sgpr_workgroup_id_y 0
		.amdhsa_system_sgpr_workgroup_id_z 0
		.amdhsa_system_sgpr_workgroup_info 0
		.amdhsa_system_vgpr_workitem_id 0
		.amdhsa_next_free_vgpr 26
		.amdhsa_next_free_sgpr 16
		.amdhsa_reserve_vcc 1
		.amdhsa_float_round_mode_32 0
		.amdhsa_float_round_mode_16_64 0
		.amdhsa_float_denorm_mode_32 3
		.amdhsa_float_denorm_mode_16_64 3
		.amdhsa_dx10_clamp 1
		.amdhsa_ieee_mode 1
		.amdhsa_fp16_overflow 0
		.amdhsa_workgroup_processor_mode 1
		.amdhsa_memory_ordered 1
		.amdhsa_forward_progress 0
		.amdhsa_shared_vgpr_count 0
		.amdhsa_exception_fp_ieee_invalid_op 0
		.amdhsa_exception_fp_denorm_src 0
		.amdhsa_exception_fp_ieee_div_zero 0
		.amdhsa_exception_fp_ieee_overflow 0
		.amdhsa_exception_fp_ieee_underflow 0
		.amdhsa_exception_fp_ieee_inexact 0
		.amdhsa_exception_int_div_zero 0
	.end_amdhsa_kernel
	.section	.text._ZN2at6native29vectorized_elementwise_kernelILi8EZZZNS0_17rsqrt_kernel_cudaERNS_18TensorIteratorBaseEENKUlvE0_clEvENKUlvE_clEvEUldE_St5arrayIPcLm2EEEEviT0_T1_,"axG",@progbits,_ZN2at6native29vectorized_elementwise_kernelILi8EZZZNS0_17rsqrt_kernel_cudaERNS_18TensorIteratorBaseEENKUlvE0_clEvENKUlvE_clEvEUldE_St5arrayIPcLm2EEEEviT0_T1_,comdat
.Lfunc_end187:
	.size	_ZN2at6native29vectorized_elementwise_kernelILi8EZZZNS0_17rsqrt_kernel_cudaERNS_18TensorIteratorBaseEENKUlvE0_clEvENKUlvE_clEvEUldE_St5arrayIPcLm2EEEEviT0_T1_, .Lfunc_end187-_ZN2at6native29vectorized_elementwise_kernelILi8EZZZNS0_17rsqrt_kernel_cudaERNS_18TensorIteratorBaseEENKUlvE0_clEvENKUlvE_clEvEUldE_St5arrayIPcLm2EEEEviT0_T1_
                                        ; -- End function
	.section	.AMDGPU.csdata,"",@progbits
; Kernel info:
; codeLenInByte = 1720
; NumSgprs: 18
; NumVgprs: 26
; ScratchSize: 0
; MemoryBound: 0
; FloatMode: 240
; IeeeMode: 1
; LDSByteSize: 0 bytes/workgroup (compile time only)
; SGPRBlocks: 2
; VGPRBlocks: 3
; NumSGPRsForWavesPerEU: 18
; NumVGPRsForWavesPerEU: 26
; Occupancy: 16
; WaveLimiterHint : 0
; COMPUTE_PGM_RSRC2:SCRATCH_EN: 0
; COMPUTE_PGM_RSRC2:USER_SGPR: 15
; COMPUTE_PGM_RSRC2:TRAP_HANDLER: 0
; COMPUTE_PGM_RSRC2:TGID_X_EN: 1
; COMPUTE_PGM_RSRC2:TGID_Y_EN: 0
; COMPUTE_PGM_RSRC2:TGID_Z_EN: 0
; COMPUTE_PGM_RSRC2:TIDIG_COMP_CNT: 0
	.section	.text._ZN2at6native29vectorized_elementwise_kernelILi4EZZZNS0_17rsqrt_kernel_cudaERNS_18TensorIteratorBaseEENKUlvE0_clEvENKUlvE_clEvEUldE_St5arrayIPcLm2EEEEviT0_T1_,"axG",@progbits,_ZN2at6native29vectorized_elementwise_kernelILi4EZZZNS0_17rsqrt_kernel_cudaERNS_18TensorIteratorBaseEENKUlvE0_clEvENKUlvE_clEvEUldE_St5arrayIPcLm2EEEEviT0_T1_,comdat
	.globl	_ZN2at6native29vectorized_elementwise_kernelILi4EZZZNS0_17rsqrt_kernel_cudaERNS_18TensorIteratorBaseEENKUlvE0_clEvENKUlvE_clEvEUldE_St5arrayIPcLm2EEEEviT0_T1_ ; -- Begin function _ZN2at6native29vectorized_elementwise_kernelILi4EZZZNS0_17rsqrt_kernel_cudaERNS_18TensorIteratorBaseEENKUlvE0_clEvENKUlvE_clEvEUldE_St5arrayIPcLm2EEEEviT0_T1_
	.p2align	8
	.type	_ZN2at6native29vectorized_elementwise_kernelILi4EZZZNS0_17rsqrt_kernel_cudaERNS_18TensorIteratorBaseEENKUlvE0_clEvENKUlvE_clEvEUldE_St5arrayIPcLm2EEEEviT0_T1_,@function
_ZN2at6native29vectorized_elementwise_kernelILi4EZZZNS0_17rsqrt_kernel_cudaERNS_18TensorIteratorBaseEENKUlvE0_clEvENKUlvE_clEvEUldE_St5arrayIPcLm2EEEEviT0_T1_: ; @_ZN2at6native29vectorized_elementwise_kernelILi4EZZZNS0_17rsqrt_kernel_cudaERNS_18TensorIteratorBaseEENKUlvE0_clEvENKUlvE_clEvEUldE_St5arrayIPcLm2EEEEviT0_T1_
; %bb.0:
	s_clause 0x1
	s_load_b32 s2, s[0:1], 0x0
	s_load_b128 s[4:7], s[0:1], 0x8
	s_lshl_b32 s8, s15, 10
	s_mov_b32 s0, -1
	s_waitcnt lgkmcnt(0)
	s_sub_i32 s3, s2, s8
	s_delay_alu instid0(SALU_CYCLE_1)
	s_cmpk_gt_i32 s3, 0x3ff
	s_cbranch_scc0 .LBB188_2
; %bb.1:
	s_ashr_i32 s9, s8, 31
	v_lshlrev_b32_e32 v25, 5, v0
	s_lshl_b64 s[10:11], s[8:9], 3
	s_delay_alu instid0(SALU_CYCLE_1)
	s_add_u32 s0, s6, s10
	s_addc_u32 s1, s7, s11
	s_add_u32 s10, s4, s10
	s_clause 0x1
	global_load_b128 v[1:4], v25, s[0:1]
	global_load_b128 v[5:8], v25, s[0:1] offset:16
	s_addc_u32 s11, s5, s11
	s_waitcnt vmcnt(1)
	v_rsq_f64_e32 v[9:10], v[1:2]
	v_rsq_f64_e32 v[11:12], v[3:4]
	s_waitcnt vmcnt(0)
	v_rsq_f64_e32 v[13:14], v[5:6]
	v_rsq_f64_e32 v[15:16], v[7:8]
	v_mul_f64 v[1:2], v[9:10], -v[1:2]
	s_delay_alu instid0(TRANS32_DEP_3)
	v_mul_f64 v[3:4], v[11:12], -v[3:4]
	s_waitcnt_depctr 0xfff
	v_mul_f64 v[5:6], v[13:14], -v[5:6]
	v_mul_f64 v[7:8], v[15:16], -v[7:8]
	v_cmp_class_f64_e64 vcc_lo, v[9:10], 0x180
	v_cmp_class_f64_e64 s0, v[11:12], 0x180
	v_cmp_class_f64_e64 s1, v[13:14], 0x180
	;; [unrolled: 1-line block ×3, first 2 shown]
	v_fma_f64 v[1:2], v[1:2], v[9:10], 1.0
	v_fma_f64 v[3:4], v[3:4], v[11:12], 1.0
	;; [unrolled: 1-line block ×4, first 2 shown]
	s_delay_alu instid0(VALU_DEP_4)
	v_mul_f64 v[17:18], v[9:10], v[1:2]
	v_fma_f64 v[1:2], 0x3fd80000, v[1:2], 0.5
	v_mul_f64 v[19:20], v[11:12], v[3:4]
	v_fma_f64 v[3:4], 0x3fd80000, v[3:4], 0.5
	v_mul_f64 v[21:22], v[13:14], v[5:6]
	v_fma_f64 v[5:6], 0x3fd80000, v[5:6], 0.5
	v_mul_f64 v[23:24], v[15:16], v[7:8]
	v_fma_f64 v[7:8], 0x3fd80000, v[7:8], 0.5
	v_fma_f64 v[1:2], v[17:18], v[1:2], v[9:10]
	v_fma_f64 v[3:4], v[19:20], v[3:4], v[11:12]
	;; [unrolled: 1-line block ×3, first 2 shown]
	s_delay_alu instid0(VALU_DEP_4) | instskip(NEXT) | instid1(VALU_DEP_4)
	v_fma_f64 v[7:8], v[23:24], v[7:8], v[15:16]
	v_dual_cndmask_b32 v2, v10, v2 :: v_dual_cndmask_b32 v1, v9, v1
	s_delay_alu instid0(VALU_DEP_4)
	v_cndmask_b32_e64 v4, v12, v4, s0
	v_cndmask_b32_e64 v3, v11, v3, s0
	;; [unrolled: 1-line block ×6, first 2 shown]
	s_mov_b32 s0, 0
	s_clause 0x1
	global_store_b128 v25, v[1:4], s[10:11]
	global_store_b128 v25, v[5:8], s[10:11] offset:16
.LBB188_2:
	s_and_not1_b32 vcc_lo, exec_lo, s0
	s_cbranch_vccnz .LBB188_20
; %bb.3:
	v_mov_b32_e32 v11, 0
	v_dual_mov_b32 v12, 0 :: v_dual_mov_b32 v1, v0
	v_cmp_gt_i32_e32 vcc_lo, s3, v0
	v_or_b32_e32 v9, s8, v0
	v_or_b32_e32 v19, 0x100, v0
	s_delay_alu instid0(VALU_DEP_4)
	v_dual_mov_b32 v16, v12 :: v_dual_mov_b32 v15, v11
	s_and_saveexec_b32 s1, vcc_lo
	s_cbranch_execz .LBB188_5
; %bb.4:
	v_mov_b32_e32 v10, 0
	s_delay_alu instid0(VALU_DEP_1) | instskip(NEXT) | instid1(VALU_DEP_1)
	v_lshlrev_b64 v[1:2], 3, v[9:10]
	v_add_co_u32 v1, s0, s6, v1
	s_delay_alu instid0(VALU_DEP_1)
	v_add_co_ci_u32_e64 v2, s0, s7, v2, s0
	global_load_b64 v[15:16], v[1:2], off
	v_or_b32_e32 v1, 0x100, v0
.LBB188_5:
	s_or_b32 exec_lo, exec_lo, s1
	s_delay_alu instid0(SALU_CYCLE_1) | instskip(NEXT) | instid1(VALU_DEP_1)
	s_mov_b32 s1, exec_lo
	v_cmpx_gt_i32_e64 s3, v1
	s_cbranch_execz .LBB188_7
; %bb.6:
	v_dual_mov_b32 v3, 0 :: v_dual_add_nc_u32 v2, s8, v1
	v_add_nc_u32_e32 v1, 0x100, v1
	s_delay_alu instid0(VALU_DEP_2) | instskip(NEXT) | instid1(VALU_DEP_1)
	v_lshlrev_b64 v[2:3], 3, v[2:3]
	v_add_co_u32 v2, s0, s6, v2
	s_delay_alu instid0(VALU_DEP_1)
	v_add_co_ci_u32_e64 v3, s0, s7, v3, s0
	global_load_b64 v[11:12], v[2:3], off
.LBB188_7:
	s_or_b32 exec_lo, exec_lo, s1
	v_mov_b32_e32 v13, 0
	v_mov_b32_e32 v14, 0
	s_mov_b32 s1, exec_lo
	s_delay_alu instid0(VALU_DEP_1)
	v_dual_mov_b32 v18, v14 :: v_dual_mov_b32 v17, v13
	v_cmpx_gt_i32_e64 s3, v1
	s_cbranch_execnz .LBB188_21
; %bb.8:
	s_or_b32 exec_lo, exec_lo, s1
	s_delay_alu instid0(SALU_CYCLE_1)
	s_mov_b32 s1, exec_lo
	v_cmpx_gt_i32_e64 s3, v1
	s_cbranch_execnz .LBB188_22
.LBB188_9:
	s_or_b32 exec_lo, exec_lo, s1
                                        ; implicit-def: $vgpr1_vgpr2_vgpr3_vgpr4_vgpr5_vgpr6_vgpr7_vgpr8
	s_and_saveexec_b32 s1, vcc_lo
	s_cbranch_execnz .LBB188_23
.LBB188_10:
	s_or_b32 exec_lo, exec_lo, s1
	s_delay_alu instid0(SALU_CYCLE_1)
	s_mov_b32 s1, exec_lo
	v_cmpx_gt_i32_e64 s3, v19
	s_cbranch_execz .LBB188_12
.LBB188_11:
	s_waitcnt vmcnt(0)
	v_rsq_f64_e32 v[3:4], v[11:12]
	s_waitcnt_depctr 0xfff
	v_mul_f64 v[10:11], v[3:4], -v[11:12]
	v_cmp_class_f64_e64 s0, v[3:4], 0x180
	s_delay_alu instid0(VALU_DEP_2) | instskip(NEXT) | instid1(VALU_DEP_1)
	v_fma_f64 v[10:11], v[10:11], v[3:4], 1.0
	v_mul_f64 v[15:16], v[3:4], v[10:11]
	v_fma_f64 v[10:11], 0x3fd80000, v[10:11], 0.5
	s_delay_alu instid0(VALU_DEP_1) | instskip(NEXT) | instid1(VALU_DEP_1)
	v_fma_f64 v[10:11], v[15:16], v[10:11], v[3:4]
	v_cndmask_b32_e64 v4, v4, v11, s0
	s_delay_alu instid0(VALU_DEP_2)
	v_cndmask_b32_e64 v3, v3, v10, s0
.LBB188_12:
	s_or_b32 exec_lo, exec_lo, s1
	v_or_b32_e32 v10, 0x200, v0
	s_mov_b32 s1, exec_lo
	s_delay_alu instid0(VALU_DEP_1)
	v_cmpx_gt_i32_e64 s3, v10
	s_cbranch_execz .LBB188_14
; %bb.13:
	s_waitcnt vmcnt(0)
	v_rsq_f64_e32 v[5:6], v[17:18]
	s_waitcnt_depctr 0xfff
	v_mul_f64 v[10:11], v[5:6], -v[17:18]
	v_cmp_class_f64_e64 s0, v[5:6], 0x180
	s_delay_alu instid0(VALU_DEP_2) | instskip(NEXT) | instid1(VALU_DEP_1)
	v_fma_f64 v[10:11], v[10:11], v[5:6], 1.0
	v_mul_f64 v[15:16], v[5:6], v[10:11]
	v_fma_f64 v[10:11], 0x3fd80000, v[10:11], 0.5
	s_delay_alu instid0(VALU_DEP_1) | instskip(NEXT) | instid1(VALU_DEP_1)
	v_fma_f64 v[10:11], v[15:16], v[10:11], v[5:6]
	v_cndmask_b32_e64 v6, v6, v11, s0
	s_delay_alu instid0(VALU_DEP_2)
	v_cndmask_b32_e64 v5, v5, v10, s0
.LBB188_14:
	s_or_b32 exec_lo, exec_lo, s1
	v_or_b32_e32 v10, 0x300, v0
	s_mov_b32 s1, exec_lo
	s_delay_alu instid0(VALU_DEP_1)
	v_cmpx_gt_i32_e64 s3, v10
	s_cbranch_execnz .LBB188_24
; %bb.15:
	s_or_b32 exec_lo, exec_lo, s1
	s_and_saveexec_b32 s0, vcc_lo
	s_delay_alu instid0(SALU_CYCLE_1)
	s_xor_b32 s0, exec_lo, s0
	s_cbranch_execnz .LBB188_25
.LBB188_16:
	s_or_b32 exec_lo, exec_lo, s0
	s_delay_alu instid0(SALU_CYCLE_1)
	s_mov_b32 s0, exec_lo
	v_cmpx_gt_i32_e64 s3, v0
	s_cbranch_execnz .LBB188_26
.LBB188_17:
	s_or_b32 exec_lo, exec_lo, s0
	s_delay_alu instid0(SALU_CYCLE_1)
	s_mov_b32 s0, exec_lo
	v_cmpx_gt_i32_e64 s3, v0
	s_cbranch_execnz .LBB188_27
.LBB188_18:
	s_or_b32 exec_lo, exec_lo, s0
	s_delay_alu instid0(SALU_CYCLE_1)
	s_mov_b32 s0, exec_lo
	v_cmpx_gt_i32_e64 s3, v0
	s_cbranch_execz .LBB188_20
.LBB188_19:
	v_dual_mov_b32 v1, 0 :: v_dual_add_nc_u32 v0, s8, v0
	s_delay_alu instid0(VALU_DEP_1) | instskip(NEXT) | instid1(VALU_DEP_1)
	v_lshlrev_b64 v[0:1], 3, v[0:1]
	v_add_co_u32 v0, vcc_lo, s4, v0
	s_delay_alu instid0(VALU_DEP_2)
	v_add_co_ci_u32_e32 v1, vcc_lo, s5, v1, vcc_lo
	global_store_b64 v[0:1], v[7:8], off
.LBB188_20:
	s_nop 0
	s_sendmsg sendmsg(MSG_DEALLOC_VGPRS)
	s_endpgm
.LBB188_21:
	v_dual_mov_b32 v3, 0 :: v_dual_add_nc_u32 v2, s8, v1
	v_add_nc_u32_e32 v1, 0x100, v1
	s_delay_alu instid0(VALU_DEP_2) | instskip(NEXT) | instid1(VALU_DEP_1)
	v_lshlrev_b64 v[2:3], 3, v[2:3]
	v_add_co_u32 v2, s0, s6, v2
	s_delay_alu instid0(VALU_DEP_1) | instskip(SKIP_2) | instid1(SALU_CYCLE_1)
	v_add_co_ci_u32_e64 v3, s0, s7, v3, s0
	global_load_b64 v[17:18], v[2:3], off
	s_or_b32 exec_lo, exec_lo, s1
	s_mov_b32 s1, exec_lo
	v_cmpx_gt_i32_e64 s3, v1
	s_cbranch_execz .LBB188_9
.LBB188_22:
	v_dual_mov_b32 v2, 0 :: v_dual_add_nc_u32 v1, s8, v1
	s_delay_alu instid0(VALU_DEP_1) | instskip(NEXT) | instid1(VALU_DEP_1)
	v_lshlrev_b64 v[1:2], 3, v[1:2]
	v_add_co_u32 v1, s0, s6, v1
	s_delay_alu instid0(VALU_DEP_1)
	v_add_co_ci_u32_e64 v2, s0, s7, v2, s0
	global_load_b64 v[13:14], v[1:2], off
	s_or_b32 exec_lo, exec_lo, s1
                                        ; implicit-def: $vgpr1_vgpr2_vgpr3_vgpr4_vgpr5_vgpr6_vgpr7_vgpr8
	s_and_saveexec_b32 s1, vcc_lo
	s_cbranch_execz .LBB188_10
.LBB188_23:
	s_waitcnt vmcnt(0)
	v_rsq_f64_e32 v[1:2], v[15:16]
	s_waitcnt_depctr 0xfff
	v_mul_f64 v[3:4], v[1:2], -v[15:16]
	v_cmp_class_f64_e64 s0, v[1:2], 0x180
	s_delay_alu instid0(VALU_DEP_2) | instskip(NEXT) | instid1(VALU_DEP_1)
	v_fma_f64 v[3:4], v[3:4], v[1:2], 1.0
	v_mul_f64 v[5:6], v[1:2], v[3:4]
	v_fma_f64 v[3:4], 0x3fd80000, v[3:4], 0.5
	s_delay_alu instid0(VALU_DEP_1) | instskip(NEXT) | instid1(VALU_DEP_1)
	v_fma_f64 v[3:4], v[5:6], v[3:4], v[1:2]
	v_cndmask_b32_e64 v2, v2, v4, s0
	s_delay_alu instid0(VALU_DEP_2) | instskip(SKIP_1) | instid1(SALU_CYCLE_1)
	v_cndmask_b32_e64 v1, v1, v3, s0
	s_or_b32 exec_lo, exec_lo, s1
	s_mov_b32 s1, exec_lo
	v_cmpx_gt_i32_e64 s3, v19
	s_cbranch_execnz .LBB188_11
	s_branch .LBB188_12
.LBB188_24:
	s_waitcnt vmcnt(0)
	v_rsq_f64_e32 v[7:8], v[13:14]
	s_waitcnt_depctr 0xfff
	v_mul_f64 v[10:11], v[7:8], -v[13:14]
	v_cmp_class_f64_e64 s0, v[7:8], 0x180
	s_delay_alu instid0(VALU_DEP_2) | instskip(NEXT) | instid1(VALU_DEP_1)
	v_fma_f64 v[10:11], v[10:11], v[7:8], 1.0
	v_mul_f64 v[12:13], v[7:8], v[10:11]
	v_fma_f64 v[10:11], 0x3fd80000, v[10:11], 0.5
	s_delay_alu instid0(VALU_DEP_1) | instskip(NEXT) | instid1(VALU_DEP_1)
	v_fma_f64 v[10:11], v[12:13], v[10:11], v[7:8]
	v_cndmask_b32_e64 v8, v8, v11, s0
	s_delay_alu instid0(VALU_DEP_2) | instskip(SKIP_2) | instid1(SALU_CYCLE_1)
	v_cndmask_b32_e64 v7, v7, v10, s0
	s_or_b32 exec_lo, exec_lo, s1
	s_and_saveexec_b32 s0, vcc_lo
	s_xor_b32 s0, exec_lo, s0
	s_cbranch_execz .LBB188_16
.LBB188_25:
	v_mov_b32_e32 v10, 0
	v_mov_b32_e32 v0, v19
	s_delay_alu instid0(VALU_DEP_2) | instskip(NEXT) | instid1(VALU_DEP_1)
	v_lshlrev_b64 v[9:10], 3, v[9:10]
	v_add_co_u32 v9, vcc_lo, s4, v9
	s_delay_alu instid0(VALU_DEP_2) | instskip(SKIP_2) | instid1(SALU_CYCLE_1)
	v_add_co_ci_u32_e32 v10, vcc_lo, s5, v10, vcc_lo
	global_store_b64 v[9:10], v[1:2], off
	s_or_b32 exec_lo, exec_lo, s0
	s_mov_b32 s0, exec_lo
	v_cmpx_gt_i32_e64 s3, v0
	s_cbranch_execz .LBB188_17
.LBB188_26:
	v_dual_mov_b32 v2, 0 :: v_dual_add_nc_u32 v1, s8, v0
	v_add_nc_u32_e32 v0, 0x100, v0
	s_delay_alu instid0(VALU_DEP_2) | instskip(NEXT) | instid1(VALU_DEP_1)
	v_lshlrev_b64 v[1:2], 3, v[1:2]
	v_add_co_u32 v1, vcc_lo, s4, v1
	s_delay_alu instid0(VALU_DEP_2) | instskip(SKIP_2) | instid1(SALU_CYCLE_1)
	v_add_co_ci_u32_e32 v2, vcc_lo, s5, v2, vcc_lo
	global_store_b64 v[1:2], v[3:4], off
	s_or_b32 exec_lo, exec_lo, s0
	s_mov_b32 s0, exec_lo
	v_cmpx_gt_i32_e64 s3, v0
	s_cbranch_execz .LBB188_18
.LBB188_27:
	v_dual_mov_b32 v2, 0 :: v_dual_add_nc_u32 v1, s8, v0
	v_add_nc_u32_e32 v0, 0x100, v0
	s_delay_alu instid0(VALU_DEP_2) | instskip(NEXT) | instid1(VALU_DEP_1)
	v_lshlrev_b64 v[1:2], 3, v[1:2]
	v_add_co_u32 v1, vcc_lo, s4, v1
	s_delay_alu instid0(VALU_DEP_2) | instskip(SKIP_2) | instid1(SALU_CYCLE_1)
	v_add_co_ci_u32_e32 v2, vcc_lo, s5, v2, vcc_lo
	global_store_b64 v[1:2], v[5:6], off
	s_or_b32 exec_lo, exec_lo, s0
	s_mov_b32 s0, exec_lo
	v_cmpx_gt_i32_e64 s3, v0
	s_cbranch_execnz .LBB188_19
	s_branch .LBB188_20
	.section	.rodata,"a",@progbits
	.p2align	6, 0x0
	.amdhsa_kernel _ZN2at6native29vectorized_elementwise_kernelILi4EZZZNS0_17rsqrt_kernel_cudaERNS_18TensorIteratorBaseEENKUlvE0_clEvENKUlvE_clEvEUldE_St5arrayIPcLm2EEEEviT0_T1_
		.amdhsa_group_segment_fixed_size 0
		.amdhsa_private_segment_fixed_size 0
		.amdhsa_kernarg_size 24
		.amdhsa_user_sgpr_count 15
		.amdhsa_user_sgpr_dispatch_ptr 0
		.amdhsa_user_sgpr_queue_ptr 0
		.amdhsa_user_sgpr_kernarg_segment_ptr 1
		.amdhsa_user_sgpr_dispatch_id 0
		.amdhsa_user_sgpr_private_segment_size 0
		.amdhsa_wavefront_size32 1
		.amdhsa_uses_dynamic_stack 0
		.amdhsa_enable_private_segment 0
		.amdhsa_system_sgpr_workgroup_id_x 1
		.amdhsa_system_sgpr_workgroup_id_y 0
		.amdhsa_system_sgpr_workgroup_id_z 0
		.amdhsa_system_sgpr_workgroup_info 0
		.amdhsa_system_vgpr_workitem_id 0
		.amdhsa_next_free_vgpr 26
		.amdhsa_next_free_sgpr 16
		.amdhsa_reserve_vcc 1
		.amdhsa_float_round_mode_32 0
		.amdhsa_float_round_mode_16_64 0
		.amdhsa_float_denorm_mode_32 3
		.amdhsa_float_denorm_mode_16_64 3
		.amdhsa_dx10_clamp 1
		.amdhsa_ieee_mode 1
		.amdhsa_fp16_overflow 0
		.amdhsa_workgroup_processor_mode 1
		.amdhsa_memory_ordered 1
		.amdhsa_forward_progress 0
		.amdhsa_shared_vgpr_count 0
		.amdhsa_exception_fp_ieee_invalid_op 0
		.amdhsa_exception_fp_denorm_src 0
		.amdhsa_exception_fp_ieee_div_zero 0
		.amdhsa_exception_fp_ieee_overflow 0
		.amdhsa_exception_fp_ieee_underflow 0
		.amdhsa_exception_fp_ieee_inexact 0
		.amdhsa_exception_int_div_zero 0
	.end_amdhsa_kernel
	.section	.text._ZN2at6native29vectorized_elementwise_kernelILi4EZZZNS0_17rsqrt_kernel_cudaERNS_18TensorIteratorBaseEENKUlvE0_clEvENKUlvE_clEvEUldE_St5arrayIPcLm2EEEEviT0_T1_,"axG",@progbits,_ZN2at6native29vectorized_elementwise_kernelILi4EZZZNS0_17rsqrt_kernel_cudaERNS_18TensorIteratorBaseEENKUlvE0_clEvENKUlvE_clEvEUldE_St5arrayIPcLm2EEEEviT0_T1_,comdat
.Lfunc_end188:
	.size	_ZN2at6native29vectorized_elementwise_kernelILi4EZZZNS0_17rsqrt_kernel_cudaERNS_18TensorIteratorBaseEENKUlvE0_clEvENKUlvE_clEvEUldE_St5arrayIPcLm2EEEEviT0_T1_, .Lfunc_end188-_ZN2at6native29vectorized_elementwise_kernelILi4EZZZNS0_17rsqrt_kernel_cudaERNS_18TensorIteratorBaseEENKUlvE0_clEvENKUlvE_clEvEUldE_St5arrayIPcLm2EEEEviT0_T1_
                                        ; -- End function
	.section	.AMDGPU.csdata,"",@progbits
; Kernel info:
; codeLenInByte = 1720
; NumSgprs: 18
; NumVgprs: 26
; ScratchSize: 0
; MemoryBound: 0
; FloatMode: 240
; IeeeMode: 1
; LDSByteSize: 0 bytes/workgroup (compile time only)
; SGPRBlocks: 2
; VGPRBlocks: 3
; NumSGPRsForWavesPerEU: 18
; NumVGPRsForWavesPerEU: 26
; Occupancy: 16
; WaveLimiterHint : 0
; COMPUTE_PGM_RSRC2:SCRATCH_EN: 0
; COMPUTE_PGM_RSRC2:USER_SGPR: 15
; COMPUTE_PGM_RSRC2:TRAP_HANDLER: 0
; COMPUTE_PGM_RSRC2:TGID_X_EN: 1
; COMPUTE_PGM_RSRC2:TGID_Y_EN: 0
; COMPUTE_PGM_RSRC2:TGID_Z_EN: 0
; COMPUTE_PGM_RSRC2:TIDIG_COMP_CNT: 0
	.section	.text._ZN2at6native29vectorized_elementwise_kernelILi2EZZZNS0_17rsqrt_kernel_cudaERNS_18TensorIteratorBaseEENKUlvE0_clEvENKUlvE_clEvEUldE_St5arrayIPcLm2EEEEviT0_T1_,"axG",@progbits,_ZN2at6native29vectorized_elementwise_kernelILi2EZZZNS0_17rsqrt_kernel_cudaERNS_18TensorIteratorBaseEENKUlvE0_clEvENKUlvE_clEvEUldE_St5arrayIPcLm2EEEEviT0_T1_,comdat
	.globl	_ZN2at6native29vectorized_elementwise_kernelILi2EZZZNS0_17rsqrt_kernel_cudaERNS_18TensorIteratorBaseEENKUlvE0_clEvENKUlvE_clEvEUldE_St5arrayIPcLm2EEEEviT0_T1_ ; -- Begin function _ZN2at6native29vectorized_elementwise_kernelILi2EZZZNS0_17rsqrt_kernel_cudaERNS_18TensorIteratorBaseEENKUlvE0_clEvENKUlvE_clEvEUldE_St5arrayIPcLm2EEEEviT0_T1_
	.p2align	8
	.type	_ZN2at6native29vectorized_elementwise_kernelILi2EZZZNS0_17rsqrt_kernel_cudaERNS_18TensorIteratorBaseEENKUlvE0_clEvENKUlvE_clEvEUldE_St5arrayIPcLm2EEEEviT0_T1_,@function
_ZN2at6native29vectorized_elementwise_kernelILi2EZZZNS0_17rsqrt_kernel_cudaERNS_18TensorIteratorBaseEENKUlvE0_clEvENKUlvE_clEvEUldE_St5arrayIPcLm2EEEEviT0_T1_: ; @_ZN2at6native29vectorized_elementwise_kernelILi2EZZZNS0_17rsqrt_kernel_cudaERNS_18TensorIteratorBaseEENKUlvE0_clEvENKUlvE_clEvEUldE_St5arrayIPcLm2EEEEviT0_T1_
; %bb.0:
	s_clause 0x1
	s_load_b32 s2, s[0:1], 0x0
	s_load_b128 s[4:7], s[0:1], 0x8
	s_lshl_b32 s8, s15, 10
	s_mov_b32 s0, -1
	s_waitcnt lgkmcnt(0)
	s_sub_i32 s3, s2, s8
	s_delay_alu instid0(SALU_CYCLE_1)
	s_cmpk_gt_i32 s3, 0x3ff
	s_cbranch_scc0 .LBB189_2
; %bb.1:
	s_ashr_i32 s9, s8, 31
	v_lshlrev_b32_e32 v25, 4, v0
	s_lshl_b64 s[10:11], s[8:9], 3
	s_delay_alu instid0(SALU_CYCLE_1) | instskip(SKIP_1) | instid1(VALU_DEP_1)
	s_add_u32 s0, s6, s10
	s_addc_u32 s1, s7, s11
	v_add_co_u32 v1, s2, s0, v25
	s_delay_alu instid0(VALU_DEP_1) | instskip(SKIP_1) | instid1(VALU_DEP_2)
	v_add_co_ci_u32_e64 v2, null, s1, 0, s2
	s_add_u32 s10, s4, s10
	v_add_co_u32 v5, vcc_lo, 0x1000, v1
	s_delay_alu instid0(VALU_DEP_2)
	v_add_co_ci_u32_e32 v6, vcc_lo, 0, v2, vcc_lo
	s_addc_u32 s11, s5, s11
	s_clause 0x1
	global_load_b128 v[1:4], v25, s[0:1]
	global_load_b128 v[5:8], v[5:6], off
	s_waitcnt vmcnt(1)
	v_rsq_f64_e32 v[9:10], v[1:2]
	v_rsq_f64_e32 v[11:12], v[3:4]
	s_waitcnt vmcnt(0)
	v_rsq_f64_e32 v[13:14], v[5:6]
	v_rsq_f64_e32 v[15:16], v[7:8]
	v_mul_f64 v[1:2], v[9:10], -v[1:2]
	s_delay_alu instid0(TRANS32_DEP_3)
	v_mul_f64 v[3:4], v[11:12], -v[3:4]
	s_waitcnt_depctr 0xfff
	v_mul_f64 v[5:6], v[13:14], -v[5:6]
	v_mul_f64 v[7:8], v[15:16], -v[7:8]
	v_cmp_class_f64_e64 vcc_lo, v[9:10], 0x180
	v_cmp_class_f64_e64 s0, v[11:12], 0x180
	v_cmp_class_f64_e64 s1, v[13:14], 0x180
	;; [unrolled: 1-line block ×3, first 2 shown]
	v_fma_f64 v[1:2], v[1:2], v[9:10], 1.0
	v_fma_f64 v[3:4], v[3:4], v[11:12], 1.0
	;; [unrolled: 1-line block ×4, first 2 shown]
	s_delay_alu instid0(VALU_DEP_4)
	v_mul_f64 v[17:18], v[9:10], v[1:2]
	v_fma_f64 v[1:2], 0x3fd80000, v[1:2], 0.5
	v_mul_f64 v[19:20], v[11:12], v[3:4]
	v_fma_f64 v[3:4], 0x3fd80000, v[3:4], 0.5
	;; [unrolled: 2-line block ×4, first 2 shown]
	v_fma_f64 v[1:2], v[17:18], v[1:2], v[9:10]
	v_fma_f64 v[3:4], v[19:20], v[3:4], v[11:12]
	;; [unrolled: 1-line block ×3, first 2 shown]
	s_delay_alu instid0(VALU_DEP_4) | instskip(NEXT) | instid1(VALU_DEP_4)
	v_fma_f64 v[7:8], v[23:24], v[7:8], v[15:16]
	v_cndmask_b32_e32 v2, v10, v2, vcc_lo
	v_add_co_u32 v17, s9, s10, v25
	s_delay_alu instid0(VALU_DEP_1) | instskip(SKIP_1) | instid1(VALU_DEP_3)
	v_add_co_ci_u32_e64 v18, null, s11, 0, s9
	v_cndmask_b32_e32 v1, v9, v1, vcc_lo
	v_add_co_u32 v9, vcc_lo, 0x1000, v17
	v_cndmask_b32_e64 v4, v12, v4, s0
	v_cndmask_b32_e64 v3, v11, v3, s0
	;; [unrolled: 1-line block ×6, first 2 shown]
	v_add_co_ci_u32_e32 v10, vcc_lo, 0, v18, vcc_lo
	s_mov_b32 s0, 0
	s_clause 0x1
	global_store_b128 v25, v[1:4], s[10:11]
	global_store_b128 v[9:10], v[5:8], off
.LBB189_2:
	s_and_not1_b32 vcc_lo, exec_lo, s0
	s_cbranch_vccnz .LBB189_20
; %bb.3:
	v_mov_b32_e32 v11, 0
	v_dual_mov_b32 v12, 0 :: v_dual_mov_b32 v1, v0
	v_cmp_gt_i32_e32 vcc_lo, s3, v0
	v_or_b32_e32 v9, s8, v0
	v_or_b32_e32 v19, 0x100, v0
	s_delay_alu instid0(VALU_DEP_4)
	v_dual_mov_b32 v16, v12 :: v_dual_mov_b32 v15, v11
	s_and_saveexec_b32 s1, vcc_lo
	s_cbranch_execz .LBB189_5
; %bb.4:
	v_mov_b32_e32 v10, 0
	s_delay_alu instid0(VALU_DEP_1) | instskip(NEXT) | instid1(VALU_DEP_1)
	v_lshlrev_b64 v[1:2], 3, v[9:10]
	v_add_co_u32 v1, s0, s6, v1
	s_delay_alu instid0(VALU_DEP_1)
	v_add_co_ci_u32_e64 v2, s0, s7, v2, s0
	global_load_b64 v[15:16], v[1:2], off
	v_or_b32_e32 v1, 0x100, v0
.LBB189_5:
	s_or_b32 exec_lo, exec_lo, s1
	s_delay_alu instid0(SALU_CYCLE_1) | instskip(NEXT) | instid1(VALU_DEP_1)
	s_mov_b32 s1, exec_lo
	v_cmpx_gt_i32_e64 s3, v1
	s_cbranch_execz .LBB189_7
; %bb.6:
	v_dual_mov_b32 v3, 0 :: v_dual_add_nc_u32 v2, s8, v1
	v_add_nc_u32_e32 v1, 0x100, v1
	s_delay_alu instid0(VALU_DEP_2) | instskip(NEXT) | instid1(VALU_DEP_1)
	v_lshlrev_b64 v[2:3], 3, v[2:3]
	v_add_co_u32 v2, s0, s6, v2
	s_delay_alu instid0(VALU_DEP_1)
	v_add_co_ci_u32_e64 v3, s0, s7, v3, s0
	global_load_b64 v[11:12], v[2:3], off
.LBB189_7:
	s_or_b32 exec_lo, exec_lo, s1
	v_mov_b32_e32 v13, 0
	v_mov_b32_e32 v14, 0
	s_mov_b32 s1, exec_lo
	s_delay_alu instid0(VALU_DEP_1)
	v_dual_mov_b32 v18, v14 :: v_dual_mov_b32 v17, v13
	v_cmpx_gt_i32_e64 s3, v1
	s_cbranch_execnz .LBB189_21
; %bb.8:
	s_or_b32 exec_lo, exec_lo, s1
	s_delay_alu instid0(SALU_CYCLE_1)
	s_mov_b32 s1, exec_lo
	v_cmpx_gt_i32_e64 s3, v1
	s_cbranch_execnz .LBB189_22
.LBB189_9:
	s_or_b32 exec_lo, exec_lo, s1
                                        ; implicit-def: $vgpr1_vgpr2_vgpr3_vgpr4_vgpr5_vgpr6_vgpr7_vgpr8
	s_and_saveexec_b32 s1, vcc_lo
	s_cbranch_execnz .LBB189_23
.LBB189_10:
	s_or_b32 exec_lo, exec_lo, s1
	s_delay_alu instid0(SALU_CYCLE_1)
	s_mov_b32 s1, exec_lo
	v_cmpx_gt_i32_e64 s3, v19
	s_cbranch_execz .LBB189_12
.LBB189_11:
	s_waitcnt vmcnt(0)
	v_rsq_f64_e32 v[3:4], v[11:12]
	s_waitcnt_depctr 0xfff
	v_mul_f64 v[10:11], v[3:4], -v[11:12]
	v_cmp_class_f64_e64 s0, v[3:4], 0x180
	s_delay_alu instid0(VALU_DEP_2) | instskip(NEXT) | instid1(VALU_DEP_1)
	v_fma_f64 v[10:11], v[10:11], v[3:4], 1.0
	v_mul_f64 v[15:16], v[3:4], v[10:11]
	v_fma_f64 v[10:11], 0x3fd80000, v[10:11], 0.5
	s_delay_alu instid0(VALU_DEP_1) | instskip(NEXT) | instid1(VALU_DEP_1)
	v_fma_f64 v[10:11], v[15:16], v[10:11], v[3:4]
	v_cndmask_b32_e64 v4, v4, v11, s0
	s_delay_alu instid0(VALU_DEP_2)
	v_cndmask_b32_e64 v3, v3, v10, s0
.LBB189_12:
	s_or_b32 exec_lo, exec_lo, s1
	v_or_b32_e32 v10, 0x200, v0
	s_mov_b32 s1, exec_lo
	s_delay_alu instid0(VALU_DEP_1)
	v_cmpx_gt_i32_e64 s3, v10
	s_cbranch_execz .LBB189_14
; %bb.13:
	s_waitcnt vmcnt(0)
	v_rsq_f64_e32 v[5:6], v[17:18]
	s_waitcnt_depctr 0xfff
	v_mul_f64 v[10:11], v[5:6], -v[17:18]
	v_cmp_class_f64_e64 s0, v[5:6], 0x180
	s_delay_alu instid0(VALU_DEP_2) | instskip(NEXT) | instid1(VALU_DEP_1)
	v_fma_f64 v[10:11], v[10:11], v[5:6], 1.0
	v_mul_f64 v[15:16], v[5:6], v[10:11]
	v_fma_f64 v[10:11], 0x3fd80000, v[10:11], 0.5
	s_delay_alu instid0(VALU_DEP_1) | instskip(NEXT) | instid1(VALU_DEP_1)
	v_fma_f64 v[10:11], v[15:16], v[10:11], v[5:6]
	v_cndmask_b32_e64 v6, v6, v11, s0
	s_delay_alu instid0(VALU_DEP_2)
	v_cndmask_b32_e64 v5, v5, v10, s0
.LBB189_14:
	s_or_b32 exec_lo, exec_lo, s1
	v_or_b32_e32 v10, 0x300, v0
	s_mov_b32 s1, exec_lo
	s_delay_alu instid0(VALU_DEP_1)
	v_cmpx_gt_i32_e64 s3, v10
	s_cbranch_execnz .LBB189_24
; %bb.15:
	s_or_b32 exec_lo, exec_lo, s1
	s_and_saveexec_b32 s0, vcc_lo
	s_delay_alu instid0(SALU_CYCLE_1)
	s_xor_b32 s0, exec_lo, s0
	s_cbranch_execnz .LBB189_25
.LBB189_16:
	s_or_b32 exec_lo, exec_lo, s0
	s_delay_alu instid0(SALU_CYCLE_1)
	s_mov_b32 s0, exec_lo
	v_cmpx_gt_i32_e64 s3, v0
	s_cbranch_execnz .LBB189_26
.LBB189_17:
	s_or_b32 exec_lo, exec_lo, s0
	s_delay_alu instid0(SALU_CYCLE_1)
	s_mov_b32 s0, exec_lo
	v_cmpx_gt_i32_e64 s3, v0
	s_cbranch_execnz .LBB189_27
.LBB189_18:
	s_or_b32 exec_lo, exec_lo, s0
	s_delay_alu instid0(SALU_CYCLE_1)
	s_mov_b32 s0, exec_lo
	v_cmpx_gt_i32_e64 s3, v0
	s_cbranch_execz .LBB189_20
.LBB189_19:
	v_dual_mov_b32 v1, 0 :: v_dual_add_nc_u32 v0, s8, v0
	s_delay_alu instid0(VALU_DEP_1) | instskip(NEXT) | instid1(VALU_DEP_1)
	v_lshlrev_b64 v[0:1], 3, v[0:1]
	v_add_co_u32 v0, vcc_lo, s4, v0
	s_delay_alu instid0(VALU_DEP_2)
	v_add_co_ci_u32_e32 v1, vcc_lo, s5, v1, vcc_lo
	global_store_b64 v[0:1], v[7:8], off
.LBB189_20:
	s_nop 0
	s_sendmsg sendmsg(MSG_DEALLOC_VGPRS)
	s_endpgm
.LBB189_21:
	v_dual_mov_b32 v3, 0 :: v_dual_add_nc_u32 v2, s8, v1
	v_add_nc_u32_e32 v1, 0x100, v1
	s_delay_alu instid0(VALU_DEP_2) | instskip(NEXT) | instid1(VALU_DEP_1)
	v_lshlrev_b64 v[2:3], 3, v[2:3]
	v_add_co_u32 v2, s0, s6, v2
	s_delay_alu instid0(VALU_DEP_1) | instskip(SKIP_2) | instid1(SALU_CYCLE_1)
	v_add_co_ci_u32_e64 v3, s0, s7, v3, s0
	global_load_b64 v[17:18], v[2:3], off
	s_or_b32 exec_lo, exec_lo, s1
	s_mov_b32 s1, exec_lo
	v_cmpx_gt_i32_e64 s3, v1
	s_cbranch_execz .LBB189_9
.LBB189_22:
	v_dual_mov_b32 v2, 0 :: v_dual_add_nc_u32 v1, s8, v1
	s_delay_alu instid0(VALU_DEP_1) | instskip(NEXT) | instid1(VALU_DEP_1)
	v_lshlrev_b64 v[1:2], 3, v[1:2]
	v_add_co_u32 v1, s0, s6, v1
	s_delay_alu instid0(VALU_DEP_1)
	v_add_co_ci_u32_e64 v2, s0, s7, v2, s0
	global_load_b64 v[13:14], v[1:2], off
	s_or_b32 exec_lo, exec_lo, s1
                                        ; implicit-def: $vgpr1_vgpr2_vgpr3_vgpr4_vgpr5_vgpr6_vgpr7_vgpr8
	s_and_saveexec_b32 s1, vcc_lo
	s_cbranch_execz .LBB189_10
.LBB189_23:
	s_waitcnt vmcnt(0)
	v_rsq_f64_e32 v[1:2], v[15:16]
	s_waitcnt_depctr 0xfff
	v_mul_f64 v[3:4], v[1:2], -v[15:16]
	v_cmp_class_f64_e64 s0, v[1:2], 0x180
	s_delay_alu instid0(VALU_DEP_2) | instskip(NEXT) | instid1(VALU_DEP_1)
	v_fma_f64 v[3:4], v[3:4], v[1:2], 1.0
	v_mul_f64 v[5:6], v[1:2], v[3:4]
	v_fma_f64 v[3:4], 0x3fd80000, v[3:4], 0.5
	s_delay_alu instid0(VALU_DEP_1) | instskip(NEXT) | instid1(VALU_DEP_1)
	v_fma_f64 v[3:4], v[5:6], v[3:4], v[1:2]
	v_cndmask_b32_e64 v2, v2, v4, s0
	s_delay_alu instid0(VALU_DEP_2) | instskip(SKIP_1) | instid1(SALU_CYCLE_1)
	v_cndmask_b32_e64 v1, v1, v3, s0
	s_or_b32 exec_lo, exec_lo, s1
	s_mov_b32 s1, exec_lo
	v_cmpx_gt_i32_e64 s3, v19
	s_cbranch_execnz .LBB189_11
	s_branch .LBB189_12
.LBB189_24:
	s_waitcnt vmcnt(0)
	v_rsq_f64_e32 v[7:8], v[13:14]
	s_waitcnt_depctr 0xfff
	v_mul_f64 v[10:11], v[7:8], -v[13:14]
	v_cmp_class_f64_e64 s0, v[7:8], 0x180
	s_delay_alu instid0(VALU_DEP_2) | instskip(NEXT) | instid1(VALU_DEP_1)
	v_fma_f64 v[10:11], v[10:11], v[7:8], 1.0
	v_mul_f64 v[12:13], v[7:8], v[10:11]
	v_fma_f64 v[10:11], 0x3fd80000, v[10:11], 0.5
	s_delay_alu instid0(VALU_DEP_1) | instskip(NEXT) | instid1(VALU_DEP_1)
	v_fma_f64 v[10:11], v[12:13], v[10:11], v[7:8]
	v_cndmask_b32_e64 v8, v8, v11, s0
	s_delay_alu instid0(VALU_DEP_2) | instskip(SKIP_2) | instid1(SALU_CYCLE_1)
	v_cndmask_b32_e64 v7, v7, v10, s0
	s_or_b32 exec_lo, exec_lo, s1
	s_and_saveexec_b32 s0, vcc_lo
	s_xor_b32 s0, exec_lo, s0
	s_cbranch_execz .LBB189_16
.LBB189_25:
	v_mov_b32_e32 v10, 0
	v_mov_b32_e32 v0, v19
	s_delay_alu instid0(VALU_DEP_2) | instskip(NEXT) | instid1(VALU_DEP_1)
	v_lshlrev_b64 v[9:10], 3, v[9:10]
	v_add_co_u32 v9, vcc_lo, s4, v9
	s_delay_alu instid0(VALU_DEP_2) | instskip(SKIP_2) | instid1(SALU_CYCLE_1)
	v_add_co_ci_u32_e32 v10, vcc_lo, s5, v10, vcc_lo
	global_store_b64 v[9:10], v[1:2], off
	s_or_b32 exec_lo, exec_lo, s0
	s_mov_b32 s0, exec_lo
	v_cmpx_gt_i32_e64 s3, v0
	s_cbranch_execz .LBB189_17
.LBB189_26:
	v_dual_mov_b32 v2, 0 :: v_dual_add_nc_u32 v1, s8, v0
	v_add_nc_u32_e32 v0, 0x100, v0
	s_delay_alu instid0(VALU_DEP_2) | instskip(NEXT) | instid1(VALU_DEP_1)
	v_lshlrev_b64 v[1:2], 3, v[1:2]
	v_add_co_u32 v1, vcc_lo, s4, v1
	s_delay_alu instid0(VALU_DEP_2) | instskip(SKIP_2) | instid1(SALU_CYCLE_1)
	v_add_co_ci_u32_e32 v2, vcc_lo, s5, v2, vcc_lo
	global_store_b64 v[1:2], v[3:4], off
	s_or_b32 exec_lo, exec_lo, s0
	s_mov_b32 s0, exec_lo
	v_cmpx_gt_i32_e64 s3, v0
	s_cbranch_execz .LBB189_18
.LBB189_27:
	v_dual_mov_b32 v2, 0 :: v_dual_add_nc_u32 v1, s8, v0
	v_add_nc_u32_e32 v0, 0x100, v0
	s_delay_alu instid0(VALU_DEP_2) | instskip(NEXT) | instid1(VALU_DEP_1)
	v_lshlrev_b64 v[1:2], 3, v[1:2]
	v_add_co_u32 v1, vcc_lo, s4, v1
	s_delay_alu instid0(VALU_DEP_2) | instskip(SKIP_2) | instid1(SALU_CYCLE_1)
	v_add_co_ci_u32_e32 v2, vcc_lo, s5, v2, vcc_lo
	global_store_b64 v[1:2], v[5:6], off
	s_or_b32 exec_lo, exec_lo, s0
	s_mov_b32 s0, exec_lo
	v_cmpx_gt_i32_e64 s3, v0
	s_cbranch_execnz .LBB189_19
	s_branch .LBB189_20
	.section	.rodata,"a",@progbits
	.p2align	6, 0x0
	.amdhsa_kernel _ZN2at6native29vectorized_elementwise_kernelILi2EZZZNS0_17rsqrt_kernel_cudaERNS_18TensorIteratorBaseEENKUlvE0_clEvENKUlvE_clEvEUldE_St5arrayIPcLm2EEEEviT0_T1_
		.amdhsa_group_segment_fixed_size 0
		.amdhsa_private_segment_fixed_size 0
		.amdhsa_kernarg_size 24
		.amdhsa_user_sgpr_count 15
		.amdhsa_user_sgpr_dispatch_ptr 0
		.amdhsa_user_sgpr_queue_ptr 0
		.amdhsa_user_sgpr_kernarg_segment_ptr 1
		.amdhsa_user_sgpr_dispatch_id 0
		.amdhsa_user_sgpr_private_segment_size 0
		.amdhsa_wavefront_size32 1
		.amdhsa_uses_dynamic_stack 0
		.amdhsa_enable_private_segment 0
		.amdhsa_system_sgpr_workgroup_id_x 1
		.amdhsa_system_sgpr_workgroup_id_y 0
		.amdhsa_system_sgpr_workgroup_id_z 0
		.amdhsa_system_sgpr_workgroup_info 0
		.amdhsa_system_vgpr_workitem_id 0
		.amdhsa_next_free_vgpr 26
		.amdhsa_next_free_sgpr 16
		.amdhsa_reserve_vcc 1
		.amdhsa_float_round_mode_32 0
		.amdhsa_float_round_mode_16_64 0
		.amdhsa_float_denorm_mode_32 3
		.amdhsa_float_denorm_mode_16_64 3
		.amdhsa_dx10_clamp 1
		.amdhsa_ieee_mode 1
		.amdhsa_fp16_overflow 0
		.amdhsa_workgroup_processor_mode 1
		.amdhsa_memory_ordered 1
		.amdhsa_forward_progress 0
		.amdhsa_shared_vgpr_count 0
		.amdhsa_exception_fp_ieee_invalid_op 0
		.amdhsa_exception_fp_denorm_src 0
		.amdhsa_exception_fp_ieee_div_zero 0
		.amdhsa_exception_fp_ieee_overflow 0
		.amdhsa_exception_fp_ieee_underflow 0
		.amdhsa_exception_fp_ieee_inexact 0
		.amdhsa_exception_int_div_zero 0
	.end_amdhsa_kernel
	.section	.text._ZN2at6native29vectorized_elementwise_kernelILi2EZZZNS0_17rsqrt_kernel_cudaERNS_18TensorIteratorBaseEENKUlvE0_clEvENKUlvE_clEvEUldE_St5arrayIPcLm2EEEEviT0_T1_,"axG",@progbits,_ZN2at6native29vectorized_elementwise_kernelILi2EZZZNS0_17rsqrt_kernel_cudaERNS_18TensorIteratorBaseEENKUlvE0_clEvENKUlvE_clEvEUldE_St5arrayIPcLm2EEEEviT0_T1_,comdat
.Lfunc_end189:
	.size	_ZN2at6native29vectorized_elementwise_kernelILi2EZZZNS0_17rsqrt_kernel_cudaERNS_18TensorIteratorBaseEENKUlvE0_clEvENKUlvE_clEvEUldE_St5arrayIPcLm2EEEEviT0_T1_, .Lfunc_end189-_ZN2at6native29vectorized_elementwise_kernelILi2EZZZNS0_17rsqrt_kernel_cudaERNS_18TensorIteratorBaseEENKUlvE0_clEvENKUlvE_clEvEUldE_St5arrayIPcLm2EEEEviT0_T1_
                                        ; -- End function
	.section	.AMDGPU.csdata,"",@progbits
; Kernel info:
; codeLenInByte = 1792
; NumSgprs: 18
; NumVgprs: 26
; ScratchSize: 0
; MemoryBound: 0
; FloatMode: 240
; IeeeMode: 1
; LDSByteSize: 0 bytes/workgroup (compile time only)
; SGPRBlocks: 2
; VGPRBlocks: 3
; NumSGPRsForWavesPerEU: 18
; NumVGPRsForWavesPerEU: 26
; Occupancy: 16
; WaveLimiterHint : 1
; COMPUTE_PGM_RSRC2:SCRATCH_EN: 0
; COMPUTE_PGM_RSRC2:USER_SGPR: 15
; COMPUTE_PGM_RSRC2:TRAP_HANDLER: 0
; COMPUTE_PGM_RSRC2:TGID_X_EN: 1
; COMPUTE_PGM_RSRC2:TGID_Y_EN: 0
; COMPUTE_PGM_RSRC2:TGID_Z_EN: 0
; COMPUTE_PGM_RSRC2:TIDIG_COMP_CNT: 0
	.section	.text._ZN2at6native27unrolled_elementwise_kernelIZZZNS0_17rsqrt_kernel_cudaERNS_18TensorIteratorBaseEENKUlvE0_clEvENKUlvE_clEvEUldE_St5arrayIPcLm2EELi4E23TrivialOffsetCalculatorILi1EjESB_NS0_6memory15LoadWithoutCastENSC_16StoreWithoutCastEEEviT_T0_T2_T3_T4_T5_,"axG",@progbits,_ZN2at6native27unrolled_elementwise_kernelIZZZNS0_17rsqrt_kernel_cudaERNS_18TensorIteratorBaseEENKUlvE0_clEvENKUlvE_clEvEUldE_St5arrayIPcLm2EELi4E23TrivialOffsetCalculatorILi1EjESB_NS0_6memory15LoadWithoutCastENSC_16StoreWithoutCastEEEviT_T0_T2_T3_T4_T5_,comdat
	.globl	_ZN2at6native27unrolled_elementwise_kernelIZZZNS0_17rsqrt_kernel_cudaERNS_18TensorIteratorBaseEENKUlvE0_clEvENKUlvE_clEvEUldE_St5arrayIPcLm2EELi4E23TrivialOffsetCalculatorILi1EjESB_NS0_6memory15LoadWithoutCastENSC_16StoreWithoutCastEEEviT_T0_T2_T3_T4_T5_ ; -- Begin function _ZN2at6native27unrolled_elementwise_kernelIZZZNS0_17rsqrt_kernel_cudaERNS_18TensorIteratorBaseEENKUlvE0_clEvENKUlvE_clEvEUldE_St5arrayIPcLm2EELi4E23TrivialOffsetCalculatorILi1EjESB_NS0_6memory15LoadWithoutCastENSC_16StoreWithoutCastEEEviT_T0_T2_T3_T4_T5_
	.p2align	8
	.type	_ZN2at6native27unrolled_elementwise_kernelIZZZNS0_17rsqrt_kernel_cudaERNS_18TensorIteratorBaseEENKUlvE0_clEvENKUlvE_clEvEUldE_St5arrayIPcLm2EELi4E23TrivialOffsetCalculatorILi1EjESB_NS0_6memory15LoadWithoutCastENSC_16StoreWithoutCastEEEviT_T0_T2_T3_T4_T5_,@function
_ZN2at6native27unrolled_elementwise_kernelIZZZNS0_17rsqrt_kernel_cudaERNS_18TensorIteratorBaseEENKUlvE0_clEvENKUlvE_clEvEUldE_St5arrayIPcLm2EELi4E23TrivialOffsetCalculatorILi1EjESB_NS0_6memory15LoadWithoutCastENSC_16StoreWithoutCastEEEviT_T0_T2_T3_T4_T5_: ; @_ZN2at6native27unrolled_elementwise_kernelIZZZNS0_17rsqrt_kernel_cudaERNS_18TensorIteratorBaseEENKUlvE0_clEvENKUlvE_clEvEUldE_St5arrayIPcLm2EELi4E23TrivialOffsetCalculatorILi1EjESB_NS0_6memory15LoadWithoutCastENSC_16StoreWithoutCastEEEviT_T0_T2_T3_T4_T5_
; %bb.0:
	s_clause 0x1
	s_load_b32 s2, s[0:1], 0x0
	s_load_b128 s[4:7], s[0:1], 0x8
	v_mov_b32_e32 v11, 0
	v_dual_mov_b32 v12, 0 :: v_dual_mov_b32 v1, v0
	s_lshl_b32 s1, s15, 10
	v_or_b32_e32 v19, 0x100, v0
	v_or_b32_e32 v9, s1, v0
	s_delay_alu instid0(VALU_DEP_3) | instskip(SKIP_2) | instid1(SALU_CYCLE_1)
	v_dual_mov_b32 v16, v12 :: v_dual_mov_b32 v15, v11
	s_waitcnt lgkmcnt(0)
	s_sub_i32 s2, s2, s1
	v_cmp_gt_i32_e32 vcc_lo, s2, v0
	s_and_saveexec_b32 s3, vcc_lo
	s_cbranch_execz .LBB190_2
; %bb.1:
	v_mov_b32_e32 v10, 0
	s_delay_alu instid0(VALU_DEP_1) | instskip(NEXT) | instid1(VALU_DEP_1)
	v_lshlrev_b64 v[1:2], 3, v[9:10]
	v_add_co_u32 v1, s0, s6, v1
	s_delay_alu instid0(VALU_DEP_1)
	v_add_co_ci_u32_e64 v2, s0, s7, v2, s0
	global_load_b64 v[15:16], v[1:2], off
	v_or_b32_e32 v1, 0x100, v0
.LBB190_2:
	s_or_b32 exec_lo, exec_lo, s3
	s_delay_alu instid0(SALU_CYCLE_1) | instskip(NEXT) | instid1(VALU_DEP_1)
	s_mov_b32 s3, exec_lo
	v_cmpx_gt_i32_e64 s2, v1
	s_cbranch_execz .LBB190_4
; %bb.3:
	v_dual_mov_b32 v3, 0 :: v_dual_add_nc_u32 v2, s1, v1
	v_add_nc_u32_e32 v1, 0x100, v1
	s_delay_alu instid0(VALU_DEP_2) | instskip(NEXT) | instid1(VALU_DEP_1)
	v_lshlrev_b64 v[2:3], 3, v[2:3]
	v_add_co_u32 v2, s0, s6, v2
	s_delay_alu instid0(VALU_DEP_1)
	v_add_co_ci_u32_e64 v3, s0, s7, v3, s0
	global_load_b64 v[11:12], v[2:3], off
.LBB190_4:
	s_or_b32 exec_lo, exec_lo, s3
	v_mov_b32_e32 v13, 0
	v_mov_b32_e32 v14, 0
	s_mov_b32 s3, exec_lo
	s_delay_alu instid0(VALU_DEP_1)
	v_dual_mov_b32 v18, v14 :: v_dual_mov_b32 v17, v13
	v_cmpx_gt_i32_e64 s2, v1
	s_cbranch_execnz .LBB190_17
; %bb.5:
	s_or_b32 exec_lo, exec_lo, s3
	s_delay_alu instid0(SALU_CYCLE_1)
	s_mov_b32 s3, exec_lo
	v_cmpx_gt_i32_e64 s2, v1
	s_cbranch_execnz .LBB190_18
.LBB190_6:
	s_or_b32 exec_lo, exec_lo, s3
                                        ; implicit-def: $vgpr1_vgpr2_vgpr3_vgpr4_vgpr5_vgpr6_vgpr7_vgpr8
	s_and_saveexec_b32 s3, vcc_lo
	s_cbranch_execnz .LBB190_19
.LBB190_7:
	s_or_b32 exec_lo, exec_lo, s3
	s_delay_alu instid0(SALU_CYCLE_1)
	s_mov_b32 s3, exec_lo
	v_cmpx_gt_i32_e64 s2, v19
	s_cbranch_execz .LBB190_9
.LBB190_8:
	s_waitcnt vmcnt(0)
	v_rsq_f64_e32 v[3:4], v[11:12]
	s_waitcnt_depctr 0xfff
	v_mul_f64 v[10:11], v[3:4], -v[11:12]
	v_cmp_class_f64_e64 s0, v[3:4], 0x180
	s_delay_alu instid0(VALU_DEP_2) | instskip(NEXT) | instid1(VALU_DEP_1)
	v_fma_f64 v[10:11], v[10:11], v[3:4], 1.0
	v_mul_f64 v[15:16], v[3:4], v[10:11]
	v_fma_f64 v[10:11], 0x3fd80000, v[10:11], 0.5
	s_delay_alu instid0(VALU_DEP_1) | instskip(NEXT) | instid1(VALU_DEP_1)
	v_fma_f64 v[10:11], v[15:16], v[10:11], v[3:4]
	v_cndmask_b32_e64 v4, v4, v11, s0
	s_delay_alu instid0(VALU_DEP_2)
	v_cndmask_b32_e64 v3, v3, v10, s0
.LBB190_9:
	s_or_b32 exec_lo, exec_lo, s3
	v_or_b32_e32 v10, 0x200, v0
	s_mov_b32 s3, exec_lo
	s_delay_alu instid0(VALU_DEP_1)
	v_cmpx_gt_i32_e64 s2, v10
	s_cbranch_execz .LBB190_11
; %bb.10:
	s_waitcnt vmcnt(0)
	v_rsq_f64_e32 v[5:6], v[17:18]
	s_waitcnt_depctr 0xfff
	v_mul_f64 v[10:11], v[5:6], -v[17:18]
	v_cmp_class_f64_e64 s0, v[5:6], 0x180
	s_delay_alu instid0(VALU_DEP_2) | instskip(NEXT) | instid1(VALU_DEP_1)
	v_fma_f64 v[10:11], v[10:11], v[5:6], 1.0
	v_mul_f64 v[15:16], v[5:6], v[10:11]
	v_fma_f64 v[10:11], 0x3fd80000, v[10:11], 0.5
	s_delay_alu instid0(VALU_DEP_1) | instskip(NEXT) | instid1(VALU_DEP_1)
	v_fma_f64 v[10:11], v[15:16], v[10:11], v[5:6]
	v_cndmask_b32_e64 v6, v6, v11, s0
	s_delay_alu instid0(VALU_DEP_2)
	v_cndmask_b32_e64 v5, v5, v10, s0
.LBB190_11:
	s_or_b32 exec_lo, exec_lo, s3
	v_or_b32_e32 v10, 0x300, v0
	s_mov_b32 s3, exec_lo
	s_delay_alu instid0(VALU_DEP_1)
	v_cmpx_gt_i32_e64 s2, v10
	s_cbranch_execnz .LBB190_20
; %bb.12:
	s_or_b32 exec_lo, exec_lo, s3
	s_and_saveexec_b32 s0, vcc_lo
	s_delay_alu instid0(SALU_CYCLE_1)
	s_xor_b32 s0, exec_lo, s0
	s_cbranch_execnz .LBB190_21
.LBB190_13:
	s_or_b32 exec_lo, exec_lo, s0
	s_delay_alu instid0(SALU_CYCLE_1)
	s_mov_b32 s0, exec_lo
	v_cmpx_gt_i32_e64 s2, v0
	s_cbranch_execnz .LBB190_22
.LBB190_14:
	s_or_b32 exec_lo, exec_lo, s0
	s_delay_alu instid0(SALU_CYCLE_1)
	s_mov_b32 s0, exec_lo
	v_cmpx_gt_i32_e64 s2, v0
	s_cbranch_execnz .LBB190_23
.LBB190_15:
	s_or_b32 exec_lo, exec_lo, s0
	s_delay_alu instid0(SALU_CYCLE_1)
	s_mov_b32 s0, exec_lo
	v_cmpx_gt_i32_e64 s2, v0
	s_cbranch_execnz .LBB190_24
.LBB190_16:
	s_nop 0
	s_sendmsg sendmsg(MSG_DEALLOC_VGPRS)
	s_endpgm
.LBB190_17:
	v_dual_mov_b32 v3, 0 :: v_dual_add_nc_u32 v2, s1, v1
	v_add_nc_u32_e32 v1, 0x100, v1
	s_delay_alu instid0(VALU_DEP_2) | instskip(NEXT) | instid1(VALU_DEP_1)
	v_lshlrev_b64 v[2:3], 3, v[2:3]
	v_add_co_u32 v2, s0, s6, v2
	s_delay_alu instid0(VALU_DEP_1) | instskip(SKIP_2) | instid1(SALU_CYCLE_1)
	v_add_co_ci_u32_e64 v3, s0, s7, v3, s0
	global_load_b64 v[17:18], v[2:3], off
	s_or_b32 exec_lo, exec_lo, s3
	s_mov_b32 s3, exec_lo
	v_cmpx_gt_i32_e64 s2, v1
	s_cbranch_execz .LBB190_6
.LBB190_18:
	v_dual_mov_b32 v2, 0 :: v_dual_add_nc_u32 v1, s1, v1
	s_delay_alu instid0(VALU_DEP_1) | instskip(NEXT) | instid1(VALU_DEP_1)
	v_lshlrev_b64 v[1:2], 3, v[1:2]
	v_add_co_u32 v1, s0, s6, v1
	s_delay_alu instid0(VALU_DEP_1)
	v_add_co_ci_u32_e64 v2, s0, s7, v2, s0
	global_load_b64 v[13:14], v[1:2], off
	s_or_b32 exec_lo, exec_lo, s3
                                        ; implicit-def: $vgpr1_vgpr2_vgpr3_vgpr4_vgpr5_vgpr6_vgpr7_vgpr8
	s_and_saveexec_b32 s3, vcc_lo
	s_cbranch_execz .LBB190_7
.LBB190_19:
	s_waitcnt vmcnt(0)
	v_rsq_f64_e32 v[1:2], v[15:16]
	s_waitcnt_depctr 0xfff
	v_mul_f64 v[3:4], v[1:2], -v[15:16]
	v_cmp_class_f64_e64 s0, v[1:2], 0x180
	s_delay_alu instid0(VALU_DEP_2) | instskip(NEXT) | instid1(VALU_DEP_1)
	v_fma_f64 v[3:4], v[3:4], v[1:2], 1.0
	v_mul_f64 v[5:6], v[1:2], v[3:4]
	v_fma_f64 v[3:4], 0x3fd80000, v[3:4], 0.5
	s_delay_alu instid0(VALU_DEP_1) | instskip(NEXT) | instid1(VALU_DEP_1)
	v_fma_f64 v[3:4], v[5:6], v[3:4], v[1:2]
	v_cndmask_b32_e64 v2, v2, v4, s0
	s_delay_alu instid0(VALU_DEP_2) | instskip(SKIP_1) | instid1(SALU_CYCLE_1)
	v_cndmask_b32_e64 v1, v1, v3, s0
	s_or_b32 exec_lo, exec_lo, s3
	s_mov_b32 s3, exec_lo
	v_cmpx_gt_i32_e64 s2, v19
	s_cbranch_execnz .LBB190_8
	s_branch .LBB190_9
.LBB190_20:
	s_waitcnt vmcnt(0)
	v_rsq_f64_e32 v[7:8], v[13:14]
	s_waitcnt_depctr 0xfff
	v_mul_f64 v[10:11], v[7:8], -v[13:14]
	v_cmp_class_f64_e64 s0, v[7:8], 0x180
	s_delay_alu instid0(VALU_DEP_2) | instskip(NEXT) | instid1(VALU_DEP_1)
	v_fma_f64 v[10:11], v[10:11], v[7:8], 1.0
	v_mul_f64 v[12:13], v[7:8], v[10:11]
	v_fma_f64 v[10:11], 0x3fd80000, v[10:11], 0.5
	s_delay_alu instid0(VALU_DEP_1) | instskip(NEXT) | instid1(VALU_DEP_1)
	v_fma_f64 v[10:11], v[12:13], v[10:11], v[7:8]
	v_cndmask_b32_e64 v8, v8, v11, s0
	s_delay_alu instid0(VALU_DEP_2) | instskip(SKIP_2) | instid1(SALU_CYCLE_1)
	v_cndmask_b32_e64 v7, v7, v10, s0
	s_or_b32 exec_lo, exec_lo, s3
	s_and_saveexec_b32 s0, vcc_lo
	s_xor_b32 s0, exec_lo, s0
	s_cbranch_execz .LBB190_13
.LBB190_21:
	v_mov_b32_e32 v10, 0
	v_mov_b32_e32 v0, v19
	s_delay_alu instid0(VALU_DEP_2) | instskip(NEXT) | instid1(VALU_DEP_1)
	v_lshlrev_b64 v[9:10], 3, v[9:10]
	v_add_co_u32 v9, vcc_lo, s4, v9
	s_delay_alu instid0(VALU_DEP_2) | instskip(SKIP_2) | instid1(SALU_CYCLE_1)
	v_add_co_ci_u32_e32 v10, vcc_lo, s5, v10, vcc_lo
	global_store_b64 v[9:10], v[1:2], off
	s_or_b32 exec_lo, exec_lo, s0
	s_mov_b32 s0, exec_lo
	v_cmpx_gt_i32_e64 s2, v0
	s_cbranch_execz .LBB190_14
.LBB190_22:
	v_dual_mov_b32 v2, 0 :: v_dual_add_nc_u32 v1, s1, v0
	v_add_nc_u32_e32 v0, 0x100, v0
	s_delay_alu instid0(VALU_DEP_2) | instskip(NEXT) | instid1(VALU_DEP_1)
	v_lshlrev_b64 v[1:2], 3, v[1:2]
	v_add_co_u32 v1, vcc_lo, s4, v1
	s_delay_alu instid0(VALU_DEP_2) | instskip(SKIP_2) | instid1(SALU_CYCLE_1)
	v_add_co_ci_u32_e32 v2, vcc_lo, s5, v2, vcc_lo
	global_store_b64 v[1:2], v[3:4], off
	s_or_b32 exec_lo, exec_lo, s0
	s_mov_b32 s0, exec_lo
	v_cmpx_gt_i32_e64 s2, v0
	s_cbranch_execz .LBB190_15
.LBB190_23:
	v_dual_mov_b32 v2, 0 :: v_dual_add_nc_u32 v1, s1, v0
	v_add_nc_u32_e32 v0, 0x100, v0
	s_delay_alu instid0(VALU_DEP_2) | instskip(NEXT) | instid1(VALU_DEP_1)
	v_lshlrev_b64 v[1:2], 3, v[1:2]
	v_add_co_u32 v1, vcc_lo, s4, v1
	s_delay_alu instid0(VALU_DEP_2) | instskip(SKIP_2) | instid1(SALU_CYCLE_1)
	v_add_co_ci_u32_e32 v2, vcc_lo, s5, v2, vcc_lo
	global_store_b64 v[1:2], v[5:6], off
	s_or_b32 exec_lo, exec_lo, s0
	s_mov_b32 s0, exec_lo
	v_cmpx_gt_i32_e64 s2, v0
	s_cbranch_execz .LBB190_16
.LBB190_24:
	v_dual_mov_b32 v1, 0 :: v_dual_add_nc_u32 v0, s1, v0
	s_delay_alu instid0(VALU_DEP_1) | instskip(NEXT) | instid1(VALU_DEP_1)
	v_lshlrev_b64 v[0:1], 3, v[0:1]
	v_add_co_u32 v0, vcc_lo, s4, v0
	s_delay_alu instid0(VALU_DEP_2)
	v_add_co_ci_u32_e32 v1, vcc_lo, s5, v1, vcc_lo
	global_store_b64 v[0:1], v[7:8], off
	s_nop 0
	s_sendmsg sendmsg(MSG_DEALLOC_VGPRS)
	s_endpgm
	.section	.rodata,"a",@progbits
	.p2align	6, 0x0
	.amdhsa_kernel _ZN2at6native27unrolled_elementwise_kernelIZZZNS0_17rsqrt_kernel_cudaERNS_18TensorIteratorBaseEENKUlvE0_clEvENKUlvE_clEvEUldE_St5arrayIPcLm2EELi4E23TrivialOffsetCalculatorILi1EjESB_NS0_6memory15LoadWithoutCastENSC_16StoreWithoutCastEEEviT_T0_T2_T3_T4_T5_
		.amdhsa_group_segment_fixed_size 0
		.amdhsa_private_segment_fixed_size 0
		.amdhsa_kernarg_size 28
		.amdhsa_user_sgpr_count 15
		.amdhsa_user_sgpr_dispatch_ptr 0
		.amdhsa_user_sgpr_queue_ptr 0
		.amdhsa_user_sgpr_kernarg_segment_ptr 1
		.amdhsa_user_sgpr_dispatch_id 0
		.amdhsa_user_sgpr_private_segment_size 0
		.amdhsa_wavefront_size32 1
		.amdhsa_uses_dynamic_stack 0
		.amdhsa_enable_private_segment 0
		.amdhsa_system_sgpr_workgroup_id_x 1
		.amdhsa_system_sgpr_workgroup_id_y 0
		.amdhsa_system_sgpr_workgroup_id_z 0
		.amdhsa_system_sgpr_workgroup_info 0
		.amdhsa_system_vgpr_workitem_id 0
		.amdhsa_next_free_vgpr 20
		.amdhsa_next_free_sgpr 16
		.amdhsa_reserve_vcc 1
		.amdhsa_float_round_mode_32 0
		.amdhsa_float_round_mode_16_64 0
		.amdhsa_float_denorm_mode_32 3
		.amdhsa_float_denorm_mode_16_64 3
		.amdhsa_dx10_clamp 1
		.amdhsa_ieee_mode 1
		.amdhsa_fp16_overflow 0
		.amdhsa_workgroup_processor_mode 1
		.amdhsa_memory_ordered 1
		.amdhsa_forward_progress 0
		.amdhsa_shared_vgpr_count 0
		.amdhsa_exception_fp_ieee_invalid_op 0
		.amdhsa_exception_fp_denorm_src 0
		.amdhsa_exception_fp_ieee_div_zero 0
		.amdhsa_exception_fp_ieee_overflow 0
		.amdhsa_exception_fp_ieee_underflow 0
		.amdhsa_exception_fp_ieee_inexact 0
		.amdhsa_exception_int_div_zero 0
	.end_amdhsa_kernel
	.section	.text._ZN2at6native27unrolled_elementwise_kernelIZZZNS0_17rsqrt_kernel_cudaERNS_18TensorIteratorBaseEENKUlvE0_clEvENKUlvE_clEvEUldE_St5arrayIPcLm2EELi4E23TrivialOffsetCalculatorILi1EjESB_NS0_6memory15LoadWithoutCastENSC_16StoreWithoutCastEEEviT_T0_T2_T3_T4_T5_,"axG",@progbits,_ZN2at6native27unrolled_elementwise_kernelIZZZNS0_17rsqrt_kernel_cudaERNS_18TensorIteratorBaseEENKUlvE0_clEvENKUlvE_clEvEUldE_St5arrayIPcLm2EELi4E23TrivialOffsetCalculatorILi1EjESB_NS0_6memory15LoadWithoutCastENSC_16StoreWithoutCastEEEviT_T0_T2_T3_T4_T5_,comdat
.Lfunc_end190:
	.size	_ZN2at6native27unrolled_elementwise_kernelIZZZNS0_17rsqrt_kernel_cudaERNS_18TensorIteratorBaseEENKUlvE0_clEvENKUlvE_clEvEUldE_St5arrayIPcLm2EELi4E23TrivialOffsetCalculatorILi1EjESB_NS0_6memory15LoadWithoutCastENSC_16StoreWithoutCastEEEviT_T0_T2_T3_T4_T5_, .Lfunc_end190-_ZN2at6native27unrolled_elementwise_kernelIZZZNS0_17rsqrt_kernel_cudaERNS_18TensorIteratorBaseEENKUlvE0_clEvENKUlvE_clEvEUldE_St5arrayIPcLm2EELi4E23TrivialOffsetCalculatorILi1EjESB_NS0_6memory15LoadWithoutCastENSC_16StoreWithoutCastEEEviT_T0_T2_T3_T4_T5_
                                        ; -- End function
	.section	.AMDGPU.csdata,"",@progbits
; Kernel info:
; codeLenInByte = 1304
; NumSgprs: 18
; NumVgprs: 20
; ScratchSize: 0
; MemoryBound: 0
; FloatMode: 240
; IeeeMode: 1
; LDSByteSize: 0 bytes/workgroup (compile time only)
; SGPRBlocks: 2
; VGPRBlocks: 2
; NumSGPRsForWavesPerEU: 18
; NumVGPRsForWavesPerEU: 20
; Occupancy: 16
; WaveLimiterHint : 0
; COMPUTE_PGM_RSRC2:SCRATCH_EN: 0
; COMPUTE_PGM_RSRC2:USER_SGPR: 15
; COMPUTE_PGM_RSRC2:TRAP_HANDLER: 0
; COMPUTE_PGM_RSRC2:TGID_X_EN: 1
; COMPUTE_PGM_RSRC2:TGID_Y_EN: 0
; COMPUTE_PGM_RSRC2:TGID_Z_EN: 0
; COMPUTE_PGM_RSRC2:TIDIG_COMP_CNT: 0
	.section	.text._ZN2at6native32elementwise_kernel_manual_unrollILi128ELi4EZNS0_22gpu_kernel_impl_nocastIZZZNS0_17rsqrt_kernel_cudaERNS_18TensorIteratorBaseEENKUlvE0_clEvENKUlvE_clEvEUldE_EEvS4_RKT_EUlibE_EEviT1_,"axG",@progbits,_ZN2at6native32elementwise_kernel_manual_unrollILi128ELi4EZNS0_22gpu_kernel_impl_nocastIZZZNS0_17rsqrt_kernel_cudaERNS_18TensorIteratorBaseEENKUlvE0_clEvENKUlvE_clEvEUldE_EEvS4_RKT_EUlibE_EEviT1_,comdat
	.globl	_ZN2at6native32elementwise_kernel_manual_unrollILi128ELi4EZNS0_22gpu_kernel_impl_nocastIZZZNS0_17rsqrt_kernel_cudaERNS_18TensorIteratorBaseEENKUlvE0_clEvENKUlvE_clEvEUldE_EEvS4_RKT_EUlibE_EEviT1_ ; -- Begin function _ZN2at6native32elementwise_kernel_manual_unrollILi128ELi4EZNS0_22gpu_kernel_impl_nocastIZZZNS0_17rsqrt_kernel_cudaERNS_18TensorIteratorBaseEENKUlvE0_clEvENKUlvE_clEvEUldE_EEvS4_RKT_EUlibE_EEviT1_
	.p2align	8
	.type	_ZN2at6native32elementwise_kernel_manual_unrollILi128ELi4EZNS0_22gpu_kernel_impl_nocastIZZZNS0_17rsqrt_kernel_cudaERNS_18TensorIteratorBaseEENKUlvE0_clEvENKUlvE_clEvEUldE_EEvS4_RKT_EUlibE_EEviT1_,@function
_ZN2at6native32elementwise_kernel_manual_unrollILi128ELi4EZNS0_22gpu_kernel_impl_nocastIZZZNS0_17rsqrt_kernel_cudaERNS_18TensorIteratorBaseEENKUlvE0_clEvENKUlvE_clEvEUldE_EEvS4_RKT_EUlibE_EEviT1_: ; @_ZN2at6native32elementwise_kernel_manual_unrollILi128ELi4EZNS0_22gpu_kernel_impl_nocastIZZZNS0_17rsqrt_kernel_cudaERNS_18TensorIteratorBaseEENKUlvE0_clEvENKUlvE_clEvEUldE_EEvS4_RKT_EUlibE_EEviT1_
; %bb.0:
	s_clause 0x1
	s_load_b32 s22, s[0:1], 0x8
	s_load_b32 s27, s[0:1], 0x0
	v_lshl_or_b32 v4, s15, 9, v0
	s_or_b32 s0, s0, 8
	s_mov_b32 s2, exec_lo
	s_delay_alu instid0(VALU_DEP_1) | instskip(SKIP_2) | instid1(SALU_CYCLE_1)
	v_or_b32_e32 v8, 0x180, v4
	s_waitcnt lgkmcnt(0)
	s_add_i32 s23, s22, -1
	s_cmp_gt_u32 s23, 1
	s_cselect_b32 s24, -1, 0
	v_cmpx_le_i32_e64 s27, v8
	s_xor_b32 s25, exec_lo, s2
	s_cbranch_execz .LBB191_7
; %bb.1:
	s_clause 0x3
	s_load_b128 s[12:15], s[0:1], 0x4
	s_load_b64 s[2:3], s[0:1], 0x14
	s_load_b128 s[8:11], s[0:1], 0xc4
	s_load_b128 s[4:7], s[0:1], 0x148
	s_cmp_lg_u32 s22, 0
	s_mov_b32 s30, exec_lo
	s_cselect_b32 s29, -1, 0
	s_add_u32 s16, s0, 0xc4
	s_addc_u32 s17, s1, 0
	s_min_u32 s28, s23, 15
	s_cmp_gt_u32 s22, 1
	s_cselect_b32 s26, -1, 0
	v_cmpx_gt_i32_e64 s27, v4
	s_cbranch_execz .LBB191_14
; %bb.2:
	s_and_not1_b32 vcc_lo, exec_lo, s24
	s_cbranch_vccnz .LBB191_21
; %bb.3:
	v_dual_mov_b32 v0, 0 :: v_dual_mov_b32 v1, 0
	s_and_not1_b32 vcc_lo, exec_lo, s29
	s_mov_b32 s31, 0
	s_cbranch_vccnz .LBB191_73
; %bb.4:
	v_mov_b32_e32 v0, 0
	s_add_i32 s34, s28, 1
	s_cmp_eq_u32 s23, 2
	s_mov_b32 s33, 0
	s_cbranch_scc1 .LBB191_69
; %bb.5:
	v_dual_mov_b32 v1, 0 :: v_dual_mov_b32 v0, 0
	v_mov_b32_e32 v2, v4
	s_and_b32 s33, s34, 28
	s_mov_b32 s35, 0
	s_mov_b64 s[18:19], s[16:17]
	s_mov_b64 s[20:21], s[0:1]
.LBB191_6:                              ; =>This Inner Loop Header: Depth=1
	s_clause 0x1
	s_load_b256 s[36:43], s[20:21], 0x4
	s_load_b128 s[52:55], s[20:21], 0x24
	s_load_b256 s[44:51], s[18:19], 0x0
	s_add_u32 s20, s20, 48
	s_addc_u32 s21, s21, 0
	s_add_i32 s35, s35, 4
	s_add_u32 s18, s18, 32
	s_addc_u32 s19, s19, 0
	s_cmp_lg_u32 s33, s35
	s_waitcnt lgkmcnt(0)
	v_mul_hi_u32 v3, s37, v2
	s_delay_alu instid0(VALU_DEP_1) | instskip(NEXT) | instid1(VALU_DEP_1)
	v_add_nc_u32_e32 v3, v2, v3
	v_lshrrev_b32_e32 v3, s38, v3
	s_delay_alu instid0(VALU_DEP_1) | instskip(SKIP_1) | instid1(VALU_DEP_2)
	v_mul_hi_u32 v5, s40, v3
	v_mul_lo_u32 v7, v3, s36
	v_add_nc_u32_e32 v5, v3, v5
	s_delay_alu instid0(VALU_DEP_2) | instskip(NEXT) | instid1(VALU_DEP_2)
	v_sub_nc_u32_e32 v2, v2, v7
	v_lshrrev_b32_e32 v5, s41, v5
	s_delay_alu instid0(VALU_DEP_2) | instskip(SKIP_1) | instid1(VALU_DEP_3)
	v_mul_lo_u32 v7, v2, s44
	v_mul_lo_u32 v9, v2, s45
	v_mul_hi_u32 v6, s43, v5
	s_delay_alu instid0(VALU_DEP_1) | instskip(NEXT) | instid1(VALU_DEP_1)
	v_add_nc_u32_e32 v6, v5, v6
	v_lshrrev_b32_e32 v6, s52, v6
	s_delay_alu instid0(VALU_DEP_1) | instskip(SKIP_1) | instid1(VALU_DEP_2)
	v_mul_hi_u32 v8, s54, v6
	v_mul_lo_u32 v10, v6, s42
	v_add_nc_u32_e32 v2, v6, v8
	v_mul_lo_u32 v8, v5, s39
	s_delay_alu instid0(VALU_DEP_3) | instskip(NEXT) | instid1(VALU_DEP_3)
	v_sub_nc_u32_e32 v5, v5, v10
	v_lshrrev_b32_e32 v2, s55, v2
	s_delay_alu instid0(VALU_DEP_2) | instskip(SKIP_2) | instid1(VALU_DEP_4)
	v_mul_lo_u32 v10, v5, s48
	v_mul_lo_u32 v5, v5, s49
	v_sub_nc_u32_e32 v3, v3, v8
	v_mul_lo_u32 v11, v2, s53
	s_delay_alu instid0(VALU_DEP_2) | instskip(SKIP_1) | instid1(VALU_DEP_3)
	v_mul_lo_u32 v8, v3, s46
	v_mul_lo_u32 v3, v3, s47
	v_sub_nc_u32_e32 v6, v6, v11
	s_delay_alu instid0(VALU_DEP_3) | instskip(NEXT) | instid1(VALU_DEP_2)
	v_add3_u32 v0, v7, v0, v8
	v_mul_lo_u32 v11, v6, s50
	v_mul_lo_u32 v6, v6, s51
	v_add3_u32 v1, v9, v1, v3
	s_delay_alu instid0(VALU_DEP_3) | instskip(NEXT) | instid1(VALU_DEP_2)
	v_add3_u32 v0, v10, v0, v11
	v_add3_u32 v1, v5, v1, v6
	s_cbranch_scc1 .LBB191_6
	s_branch .LBB191_70
.LBB191_7:
	s_and_not1_saveexec_b32 s2, s25
	s_cbranch_execz .LBB191_94
.LBB191_8:
	v_cndmask_b32_e64 v6, 0, 1, s24
	s_and_not1_b32 vcc_lo, exec_lo, s24
	s_cbranch_vccnz .LBB191_20
; %bb.9:
	v_dual_mov_b32 v0, 0 :: v_dual_mov_b32 v1, 0
	s_cmp_lg_u32 s22, 0
	s_mov_b32 s6, 0
	s_cbranch_scc0 .LBB191_26
; %bb.10:
	s_min_u32 s7, s23, 15
	v_mov_b32_e32 v0, 0
	s_add_i32 s7, s7, 1
	s_cmp_eq_u32 s23, 2
	s_mov_b32 s8, 0
	s_cbranch_scc1 .LBB191_23
; %bb.11:
	v_dual_mov_b32 v1, 0 :: v_dual_mov_b32 v0, 0
	v_mov_b32_e32 v2, v4
	s_add_u32 s2, s0, 0xc4
	s_addc_u32 s3, s1, 0
	s_and_b32 s8, s7, 28
	s_mov_b32 s9, 0
	s_mov_b64 s[4:5], s[0:1]
.LBB191_12:                             ; =>This Inner Loop Header: Depth=1
	s_clause 0x1
	s_load_b256 s[12:19], s[4:5], 0x4
	s_load_b128 s[36:39], s[4:5], 0x24
	s_load_b256 s[24:31], s[2:3], 0x0
	s_add_u32 s4, s4, 48
	s_addc_u32 s5, s5, 0
	s_add_i32 s9, s9, 4
	s_add_u32 s2, s2, 32
	s_addc_u32 s3, s3, 0
	s_cmp_lg_u32 s8, s9
	s_waitcnt lgkmcnt(0)
	v_mul_hi_u32 v3, s13, v2
	s_delay_alu instid0(VALU_DEP_1) | instskip(NEXT) | instid1(VALU_DEP_1)
	v_add_nc_u32_e32 v3, v2, v3
	v_lshrrev_b32_e32 v3, s14, v3
	s_delay_alu instid0(VALU_DEP_1) | instskip(SKIP_1) | instid1(VALU_DEP_2)
	v_mul_hi_u32 v5, s16, v3
	v_mul_lo_u32 v9, v3, s12
	v_add_nc_u32_e32 v5, v3, v5
	s_delay_alu instid0(VALU_DEP_2) | instskip(NEXT) | instid1(VALU_DEP_2)
	v_sub_nc_u32_e32 v2, v2, v9
	v_lshrrev_b32_e32 v5, s17, v5
	s_delay_alu instid0(VALU_DEP_2) | instskip(SKIP_1) | instid1(VALU_DEP_3)
	v_mul_lo_u32 v9, v2, s24
	v_mul_lo_u32 v11, v2, s25
	v_mul_hi_u32 v7, s19, v5
	s_delay_alu instid0(VALU_DEP_1) | instskip(NEXT) | instid1(VALU_DEP_1)
	v_add_nc_u32_e32 v7, v5, v7
	v_lshrrev_b32_e32 v7, s36, v7
	s_delay_alu instid0(VALU_DEP_1) | instskip(SKIP_1) | instid1(VALU_DEP_2)
	v_mul_hi_u32 v10, s38, v7
	v_mul_lo_u32 v12, v7, s18
	v_add_nc_u32_e32 v2, v7, v10
	v_mul_lo_u32 v10, v5, s15
	s_delay_alu instid0(VALU_DEP_3) | instskip(NEXT) | instid1(VALU_DEP_3)
	v_sub_nc_u32_e32 v5, v5, v12
	v_lshrrev_b32_e32 v2, s39, v2
	s_delay_alu instid0(VALU_DEP_2) | instskip(SKIP_2) | instid1(VALU_DEP_4)
	v_mul_lo_u32 v12, v5, s28
	v_mul_lo_u32 v5, v5, s29
	v_sub_nc_u32_e32 v3, v3, v10
	v_mul_lo_u32 v13, v2, s37
	s_delay_alu instid0(VALU_DEP_2) | instskip(SKIP_1) | instid1(VALU_DEP_3)
	v_mul_lo_u32 v10, v3, s26
	v_mul_lo_u32 v3, v3, s27
	v_sub_nc_u32_e32 v7, v7, v13
	s_delay_alu instid0(VALU_DEP_3) | instskip(NEXT) | instid1(VALU_DEP_2)
	v_add3_u32 v0, v9, v0, v10
	v_mul_lo_u32 v13, v7, s30
	v_mul_lo_u32 v7, v7, s31
	v_add3_u32 v1, v11, v1, v3
	s_delay_alu instid0(VALU_DEP_3) | instskip(NEXT) | instid1(VALU_DEP_2)
	v_add3_u32 v0, v12, v0, v13
	v_add3_u32 v1, v5, v1, v7
	s_cbranch_scc1 .LBB191_12
; %bb.13:
	s_and_b32 s7, s7, 3
	s_delay_alu instid0(SALU_CYCLE_1)
	s_cmp_eq_u32 s7, 0
	s_cbranch_scc0 .LBB191_24
	s_branch .LBB191_26
.LBB191_14:
	s_or_b32 exec_lo, exec_lo, s30
	s_delay_alu instid0(SALU_CYCLE_1)
	s_mov_b32 s30, exec_lo
	v_cmpx_gt_i32_e64 s27, v4
	s_cbranch_execz .LBB191_77
.LBB191_15:
	s_and_not1_b32 vcc_lo, exec_lo, s24
	s_cbranch_vccnz .LBB191_22
; %bb.16:
	v_dual_mov_b32 v0, 0 :: v_dual_mov_b32 v1, 0
	s_and_not1_b32 vcc_lo, exec_lo, s29
	s_mov_b32 s31, 0
	s_cbranch_vccnz .LBB191_88
; %bb.17:
	v_mov_b32_e32 v0, 0
	s_add_i32 s34, s28, 1
	s_cmp_eq_u32 s23, 2
	s_mov_b32 s33, 0
	s_cbranch_scc1 .LBB191_84
; %bb.18:
	v_dual_mov_b32 v1, 0 :: v_dual_mov_b32 v0, 0
	v_mov_b32_e32 v2, v4
	s_and_b32 s33, s34, 28
	s_mov_b32 s35, 0
	s_mov_b64 s[18:19], s[16:17]
	s_mov_b64 s[20:21], s[0:1]
.LBB191_19:                             ; =>This Inner Loop Header: Depth=1
	s_clause 0x1
	s_load_b256 s[36:43], s[20:21], 0x4
	s_load_b128 s[52:55], s[20:21], 0x24
	s_load_b256 s[44:51], s[18:19], 0x0
	s_add_u32 s20, s20, 48
	s_addc_u32 s21, s21, 0
	s_add_i32 s35, s35, 4
	s_add_u32 s18, s18, 32
	s_addc_u32 s19, s19, 0
	s_cmp_eq_u32 s33, s35
	s_waitcnt lgkmcnt(0)
	v_mul_hi_u32 v3, s37, v2
	s_delay_alu instid0(VALU_DEP_1) | instskip(NEXT) | instid1(VALU_DEP_1)
	v_add_nc_u32_e32 v3, v2, v3
	v_lshrrev_b32_e32 v3, s38, v3
	s_delay_alu instid0(VALU_DEP_1) | instskip(SKIP_1) | instid1(VALU_DEP_2)
	v_mul_hi_u32 v5, s40, v3
	v_mul_lo_u32 v7, v3, s36
	v_add_nc_u32_e32 v5, v3, v5
	s_delay_alu instid0(VALU_DEP_2) | instskip(NEXT) | instid1(VALU_DEP_2)
	v_sub_nc_u32_e32 v2, v2, v7
	v_lshrrev_b32_e32 v5, s41, v5
	s_delay_alu instid0(VALU_DEP_2) | instskip(SKIP_1) | instid1(VALU_DEP_3)
	v_mul_lo_u32 v7, v2, s44
	v_mul_lo_u32 v9, v2, s45
	v_mul_hi_u32 v6, s43, v5
	s_delay_alu instid0(VALU_DEP_1) | instskip(NEXT) | instid1(VALU_DEP_1)
	v_add_nc_u32_e32 v6, v5, v6
	v_lshrrev_b32_e32 v6, s52, v6
	s_delay_alu instid0(VALU_DEP_1) | instskip(SKIP_1) | instid1(VALU_DEP_2)
	v_mul_hi_u32 v8, s54, v6
	v_mul_lo_u32 v10, v6, s42
	v_add_nc_u32_e32 v2, v6, v8
	v_mul_lo_u32 v8, v5, s39
	s_delay_alu instid0(VALU_DEP_3) | instskip(NEXT) | instid1(VALU_DEP_3)
	v_sub_nc_u32_e32 v5, v5, v10
	v_lshrrev_b32_e32 v2, s55, v2
	s_delay_alu instid0(VALU_DEP_2) | instskip(SKIP_2) | instid1(VALU_DEP_4)
	v_mul_lo_u32 v10, v5, s48
	v_mul_lo_u32 v5, v5, s49
	v_sub_nc_u32_e32 v3, v3, v8
	v_mul_lo_u32 v11, v2, s53
	s_delay_alu instid0(VALU_DEP_2) | instskip(SKIP_1) | instid1(VALU_DEP_3)
	v_mul_lo_u32 v8, v3, s46
	v_mul_lo_u32 v3, v3, s47
	v_sub_nc_u32_e32 v6, v6, v11
	s_delay_alu instid0(VALU_DEP_3) | instskip(NEXT) | instid1(VALU_DEP_2)
	v_add3_u32 v0, v7, v0, v8
	v_mul_lo_u32 v11, v6, s50
	v_mul_lo_u32 v6, v6, s51
	v_add3_u32 v1, v9, v1, v3
	s_delay_alu instid0(VALU_DEP_3) | instskip(NEXT) | instid1(VALU_DEP_2)
	v_add3_u32 v0, v10, v0, v11
	v_add3_u32 v1, v5, v1, v6
	s_cbranch_scc0 .LBB191_19
	s_branch .LBB191_85
.LBB191_20:
	s_mov_b32 s6, -1
                                        ; implicit-def: $vgpr0
                                        ; implicit-def: $vgpr1
	s_branch .LBB191_26
.LBB191_21:
	s_mov_b32 s31, -1
                                        ; implicit-def: $vgpr0
                                        ; implicit-def: $vgpr1
	s_branch .LBB191_73
.LBB191_22:
	s_mov_b32 s31, -1
                                        ; implicit-def: $vgpr0
                                        ; implicit-def: $vgpr1
	s_branch .LBB191_88
.LBB191_23:
	v_dual_mov_b32 v2, v4 :: v_dual_mov_b32 v1, 0
	s_and_b32 s7, s7, 3
	s_delay_alu instid0(SALU_CYCLE_1)
	s_cmp_eq_u32 s7, 0
	s_cbranch_scc1 .LBB191_26
.LBB191_24:
	s_lshl_b32 s2, s8, 3
	s_mul_i32 s4, s8, 12
	s_add_u32 s2, s2, s0
	s_addc_u32 s3, 0, s1
	s_add_u32 s2, s2, 0xc4
	s_addc_u32 s3, s3, 0
	;; [unrolled: 2-line block ×3, first 2 shown]
	.p2align	6
.LBB191_25:                             ; =>This Inner Loop Header: Depth=1
	s_clause 0x1
	s_load_b64 s[8:9], s[4:5], 0x4
	s_load_b32 s12, s[4:5], 0xc
	s_load_b64 s[10:11], s[2:3], 0x0
	s_add_u32 s4, s4, 12
	s_addc_u32 s5, s5, 0
	s_add_u32 s2, s2, 8
	s_addc_u32 s3, s3, 0
	s_add_i32 s7, s7, -1
	s_delay_alu instid0(SALU_CYCLE_1) | instskip(SKIP_2) | instid1(VALU_DEP_1)
	s_cmp_lg_u32 s7, 0
	s_waitcnt lgkmcnt(0)
	v_mul_hi_u32 v3, s9, v2
	v_add_nc_u32_e32 v3, v2, v3
	s_delay_alu instid0(VALU_DEP_1) | instskip(NEXT) | instid1(VALU_DEP_1)
	v_lshrrev_b32_e32 v3, s12, v3
	v_mul_lo_u32 v5, v3, s8
	s_delay_alu instid0(VALU_DEP_1) | instskip(NEXT) | instid1(VALU_DEP_1)
	v_sub_nc_u32_e32 v2, v2, v5
	v_mad_u64_u32 v[9:10], null, v2, s10, v[0:1]
	v_mad_u64_u32 v[10:11], null, v2, s11, v[1:2]
	v_mov_b32_e32 v2, v3
	s_delay_alu instid0(VALU_DEP_2)
	v_dual_mov_b32 v0, v9 :: v_dual_mov_b32 v1, v10
	s_cbranch_scc1 .LBB191_25
.LBB191_26:
	s_and_not1_b32 vcc_lo, exec_lo, s6
	s_cbranch_vccnz .LBB191_29
; %bb.27:
	s_clause 0x1
	s_load_b128 s[4:7], s[0:1], 0x4
	s_load_b64 s[2:3], s[0:1], 0xc4
	s_cmp_lt_u32 s22, 2
	s_waitcnt lgkmcnt(0)
	v_mul_hi_u32 v0, s5, v4
	s_delay_alu instid0(VALU_DEP_1) | instskip(NEXT) | instid1(VALU_DEP_1)
	v_add_nc_u32_e32 v0, v4, v0
	v_lshrrev_b32_e32 v2, s6, v0
	s_delay_alu instid0(VALU_DEP_1) | instskip(NEXT) | instid1(VALU_DEP_1)
	v_mul_lo_u32 v0, v2, s4
	v_sub_nc_u32_e32 v1, v4, v0
	s_delay_alu instid0(VALU_DEP_1)
	v_mul_lo_u32 v0, v1, s2
	v_mul_lo_u32 v1, v1, s3
	s_cbranch_scc1 .LBB191_29
; %bb.28:
	s_clause 0x1
	s_load_b128 s[4:7], s[0:1], 0x10
	s_load_b64 s[2:3], s[0:1], 0xcc
	s_waitcnt lgkmcnt(0)
	v_mul_hi_u32 v3, s5, v2
	s_delay_alu instid0(VALU_DEP_1) | instskip(NEXT) | instid1(VALU_DEP_1)
	v_add_nc_u32_e32 v3, v2, v3
	v_lshrrev_b32_e32 v3, s6, v3
	s_delay_alu instid0(VALU_DEP_1) | instskip(NEXT) | instid1(VALU_DEP_1)
	v_mul_lo_u32 v3, v3, s4
	v_sub_nc_u32_e32 v5, v2, v3
	s_delay_alu instid0(VALU_DEP_1) | instskip(NEXT) | instid1(VALU_DEP_1)
	v_mad_u64_u32 v[2:3], null, v5, s2, v[0:1]
	v_mad_u64_u32 v[9:10], null, v5, s3, v[1:2]
	s_delay_alu instid0(VALU_DEP_1)
	v_dual_mov_b32 v0, v2 :: v_dual_mov_b32 v1, v9
.LBB191_29:
	v_cmp_ne_u32_e32 vcc_lo, 1, v6
	v_add_nc_u32_e32 v5, 0x80, v4
	s_cbranch_vccnz .LBB191_35
; %bb.30:
	v_dual_mov_b32 v2, 0 :: v_dual_mov_b32 v3, 0
	s_cmp_lg_u32 s22, 0
	s_mov_b32 s6, 0
	s_cbranch_scc0 .LBB191_39
; %bb.31:
	s_min_u32 s7, s23, 15
	v_mov_b32_e32 v2, 0
	s_add_i32 s7, s7, 1
	s_cmp_eq_u32 s23, 2
	s_mov_b32 s8, 0
	s_cbranch_scc1 .LBB191_36
; %bb.32:
	v_dual_mov_b32 v3, 0 :: v_dual_mov_b32 v2, 0
	v_mov_b32_e32 v7, v5
	s_add_u32 s2, s0, 0xc4
	s_addc_u32 s3, s1, 0
	s_and_b32 s8, s7, 28
	s_mov_b32 s9, 0
	s_mov_b64 s[4:5], s[0:1]
.LBB191_33:                             ; =>This Inner Loop Header: Depth=1
	s_clause 0x1
	s_load_b256 s[12:19], s[4:5], 0x4
	s_load_b128 s[36:39], s[4:5], 0x24
	s_load_b256 s[24:31], s[2:3], 0x0
	s_add_u32 s4, s4, 48
	s_addc_u32 s5, s5, 0
	s_add_i32 s9, s9, 4
	s_add_u32 s2, s2, 32
	s_addc_u32 s3, s3, 0
	s_cmp_lg_u32 s8, s9
	s_waitcnt lgkmcnt(0)
	v_mul_hi_u32 v9, s13, v7
	s_delay_alu instid0(VALU_DEP_1) | instskip(NEXT) | instid1(VALU_DEP_1)
	v_add_nc_u32_e32 v9, v7, v9
	v_lshrrev_b32_e32 v9, s14, v9
	s_delay_alu instid0(VALU_DEP_1) | instskip(SKIP_1) | instid1(VALU_DEP_2)
	v_mul_hi_u32 v10, s16, v9
	v_mul_lo_u32 v12, v9, s12
	v_add_nc_u32_e32 v10, v9, v10
	s_delay_alu instid0(VALU_DEP_2) | instskip(NEXT) | instid1(VALU_DEP_2)
	v_sub_nc_u32_e32 v7, v7, v12
	v_lshrrev_b32_e32 v10, s17, v10
	s_delay_alu instid0(VALU_DEP_2) | instskip(SKIP_1) | instid1(VALU_DEP_3)
	v_mul_lo_u32 v12, v7, s24
	v_mul_lo_u32 v14, v7, s25
	v_mul_hi_u32 v11, s19, v10
	s_delay_alu instid0(VALU_DEP_1) | instskip(NEXT) | instid1(VALU_DEP_1)
	v_add_nc_u32_e32 v11, v10, v11
	v_lshrrev_b32_e32 v11, s36, v11
	s_delay_alu instid0(VALU_DEP_1) | instskip(SKIP_1) | instid1(VALU_DEP_2)
	v_mul_hi_u32 v13, s38, v11
	v_mul_lo_u32 v15, v11, s18
	v_add_nc_u32_e32 v7, v11, v13
	v_mul_lo_u32 v13, v10, s15
	s_delay_alu instid0(VALU_DEP_3) | instskip(NEXT) | instid1(VALU_DEP_3)
	v_sub_nc_u32_e32 v10, v10, v15
	v_lshrrev_b32_e32 v7, s39, v7
	s_delay_alu instid0(VALU_DEP_2) | instskip(SKIP_2) | instid1(VALU_DEP_4)
	v_mul_lo_u32 v15, v10, s28
	v_mul_lo_u32 v10, v10, s29
	v_sub_nc_u32_e32 v9, v9, v13
	v_mul_lo_u32 v16, v7, s37
	s_delay_alu instid0(VALU_DEP_2) | instskip(SKIP_1) | instid1(VALU_DEP_3)
	v_mul_lo_u32 v13, v9, s26
	v_mul_lo_u32 v9, v9, s27
	v_sub_nc_u32_e32 v11, v11, v16
	s_delay_alu instid0(VALU_DEP_3) | instskip(NEXT) | instid1(VALU_DEP_2)
	v_add3_u32 v2, v12, v2, v13
	v_mul_lo_u32 v16, v11, s30
	v_mul_lo_u32 v11, v11, s31
	v_add3_u32 v3, v14, v3, v9
	s_delay_alu instid0(VALU_DEP_3) | instskip(NEXT) | instid1(VALU_DEP_2)
	v_add3_u32 v2, v15, v2, v16
	v_add3_u32 v3, v10, v3, v11
	s_cbranch_scc1 .LBB191_33
; %bb.34:
	s_and_b32 s7, s7, 3
	s_delay_alu instid0(SALU_CYCLE_1)
	s_cmp_eq_u32 s7, 0
	s_cbranch_scc0 .LBB191_37
	s_branch .LBB191_39
.LBB191_35:
	s_mov_b32 s6, -1
                                        ; implicit-def: $vgpr2
                                        ; implicit-def: $vgpr3
	s_branch .LBB191_39
.LBB191_36:
	v_mov_b32_e32 v7, v5
	v_mov_b32_e32 v3, 0
	s_and_b32 s7, s7, 3
	s_delay_alu instid0(SALU_CYCLE_1)
	s_cmp_eq_u32 s7, 0
	s_cbranch_scc1 .LBB191_39
.LBB191_37:
	s_lshl_b32 s2, s8, 3
	s_mul_i32 s4, s8, 12
	s_add_u32 s2, s2, s0
	s_addc_u32 s3, 0, s1
	s_add_u32 s2, s2, 0xc4
	s_addc_u32 s3, s3, 0
	;; [unrolled: 2-line block ×3, first 2 shown]
	.p2align	6
.LBB191_38:                             ; =>This Inner Loop Header: Depth=1
	s_clause 0x1
	s_load_b64 s[8:9], s[4:5], 0x4
	s_load_b32 s12, s[4:5], 0xc
	s_load_b64 s[10:11], s[2:3], 0x0
	s_add_u32 s4, s4, 12
	s_addc_u32 s5, s5, 0
	s_add_u32 s2, s2, 8
	s_addc_u32 s3, s3, 0
	s_add_i32 s7, s7, -1
	s_delay_alu instid0(SALU_CYCLE_1) | instskip(SKIP_2) | instid1(VALU_DEP_1)
	s_cmp_lg_u32 s7, 0
	s_waitcnt lgkmcnt(0)
	v_mul_hi_u32 v9, s9, v7
	v_add_nc_u32_e32 v9, v7, v9
	s_delay_alu instid0(VALU_DEP_1) | instskip(NEXT) | instid1(VALU_DEP_1)
	v_lshrrev_b32_e32 v12, s12, v9
	v_mul_lo_u32 v9, v12, s8
	s_delay_alu instid0(VALU_DEP_1) | instskip(NEXT) | instid1(VALU_DEP_1)
	v_sub_nc_u32_e32 v7, v7, v9
	v_mad_u64_u32 v[9:10], null, v7, s10, v[2:3]
	v_mad_u64_u32 v[10:11], null, v7, s11, v[3:4]
	s_delay_alu instid0(VALU_DEP_2) | instskip(NEXT) | instid1(VALU_DEP_2)
	v_dual_mov_b32 v7, v12 :: v_dual_mov_b32 v2, v9
	v_mov_b32_e32 v3, v10
	s_cbranch_scc1 .LBB191_38
.LBB191_39:
	s_and_not1_b32 vcc_lo, exec_lo, s6
	s_cbranch_vccnz .LBB191_42
; %bb.40:
	s_clause 0x1
	s_load_b128 s[4:7], s[0:1], 0x4
	s_load_b64 s[2:3], s[0:1], 0xc4
	s_cmp_lt_u32 s22, 2
	s_waitcnt lgkmcnt(0)
	v_mul_hi_u32 v2, s5, v5
	s_delay_alu instid0(VALU_DEP_1) | instskip(NEXT) | instid1(VALU_DEP_1)
	v_add_nc_u32_e32 v2, v5, v2
	v_lshrrev_b32_e32 v7, s6, v2
	s_delay_alu instid0(VALU_DEP_1) | instskip(NEXT) | instid1(VALU_DEP_1)
	v_mul_lo_u32 v2, v7, s4
	v_sub_nc_u32_e32 v3, v5, v2
	s_delay_alu instid0(VALU_DEP_1)
	v_mul_lo_u32 v2, v3, s2
	v_mul_lo_u32 v3, v3, s3
	s_cbranch_scc1 .LBB191_42
; %bb.41:
	s_clause 0x1
	s_load_b128 s[4:7], s[0:1], 0x10
	s_load_b64 s[2:3], s[0:1], 0xcc
	s_waitcnt lgkmcnt(0)
	v_mul_hi_u32 v5, s5, v7
	s_delay_alu instid0(VALU_DEP_1) | instskip(NEXT) | instid1(VALU_DEP_1)
	v_add_nc_u32_e32 v5, v7, v5
	v_lshrrev_b32_e32 v5, s6, v5
	s_delay_alu instid0(VALU_DEP_1) | instskip(NEXT) | instid1(VALU_DEP_1)
	v_mul_lo_u32 v5, v5, s4
	v_sub_nc_u32_e32 v5, v7, v5
	s_delay_alu instid0(VALU_DEP_1) | instskip(SKIP_1) | instid1(VALU_DEP_1)
	v_mad_u64_u32 v[9:10], null, v5, s2, v[2:3]
	v_mad_u64_u32 v[10:11], null, v5, s3, v[3:4]
	v_dual_mov_b32 v2, v9 :: v_dual_mov_b32 v3, v10
.LBB191_42:
	v_cmp_ne_u32_e32 vcc_lo, 1, v6
	v_add_nc_u32_e32 v7, 0x100, v4
	s_cbranch_vccnz .LBB191_48
; %bb.43:
	v_dual_mov_b32 v4, 0 :: v_dual_mov_b32 v5, 0
	s_cmp_lg_u32 s22, 0
	s_mov_b32 s6, 0
	s_cbranch_scc0 .LBB191_52
; %bb.44:
	s_min_u32 s7, s23, 15
	v_mov_b32_e32 v4, 0
	s_add_i32 s7, s7, 1
	s_cmp_eq_u32 s23, 2
	s_mov_b32 s8, 0
	s_cbranch_scc1 .LBB191_49
; %bb.45:
	v_dual_mov_b32 v5, 0 :: v_dual_mov_b32 v4, 0
	v_mov_b32_e32 v9, v7
	s_add_u32 s2, s0, 0xc4
	s_addc_u32 s3, s1, 0
	s_and_b32 s8, s7, 28
	s_mov_b32 s9, 0
	s_mov_b64 s[4:5], s[0:1]
.LBB191_46:                             ; =>This Inner Loop Header: Depth=1
	s_clause 0x1
	s_load_b256 s[12:19], s[4:5], 0x4
	s_load_b128 s[36:39], s[4:5], 0x24
	s_load_b256 s[24:31], s[2:3], 0x0
	s_add_u32 s4, s4, 48
	s_addc_u32 s5, s5, 0
	s_add_i32 s9, s9, 4
	s_add_u32 s2, s2, 32
	s_addc_u32 s3, s3, 0
	s_cmp_lg_u32 s8, s9
	s_waitcnt lgkmcnt(0)
	v_mul_hi_u32 v10, s13, v9
	s_delay_alu instid0(VALU_DEP_1) | instskip(NEXT) | instid1(VALU_DEP_1)
	v_add_nc_u32_e32 v10, v9, v10
	v_lshrrev_b32_e32 v10, s14, v10
	s_delay_alu instid0(VALU_DEP_1) | instskip(SKIP_1) | instid1(VALU_DEP_2)
	v_mul_hi_u32 v11, s16, v10
	v_mul_lo_u32 v13, v10, s12
	v_add_nc_u32_e32 v11, v10, v11
	s_delay_alu instid0(VALU_DEP_2) | instskip(NEXT) | instid1(VALU_DEP_2)
	v_sub_nc_u32_e32 v9, v9, v13
	v_lshrrev_b32_e32 v11, s17, v11
	s_delay_alu instid0(VALU_DEP_2) | instskip(SKIP_1) | instid1(VALU_DEP_3)
	v_mul_lo_u32 v13, v9, s24
	v_mul_lo_u32 v15, v9, s25
	v_mul_hi_u32 v12, s19, v11
	s_delay_alu instid0(VALU_DEP_1) | instskip(NEXT) | instid1(VALU_DEP_1)
	v_add_nc_u32_e32 v12, v11, v12
	v_lshrrev_b32_e32 v12, s36, v12
	s_delay_alu instid0(VALU_DEP_1) | instskip(SKIP_1) | instid1(VALU_DEP_2)
	v_mul_hi_u32 v14, s38, v12
	v_mul_lo_u32 v16, v12, s18
	v_add_nc_u32_e32 v9, v12, v14
	v_mul_lo_u32 v14, v11, s15
	s_delay_alu instid0(VALU_DEP_3) | instskip(NEXT) | instid1(VALU_DEP_3)
	v_sub_nc_u32_e32 v11, v11, v16
	v_lshrrev_b32_e32 v9, s39, v9
	s_delay_alu instid0(VALU_DEP_2) | instskip(SKIP_2) | instid1(VALU_DEP_4)
	v_mul_lo_u32 v16, v11, s28
	v_mul_lo_u32 v11, v11, s29
	v_sub_nc_u32_e32 v10, v10, v14
	v_mul_lo_u32 v17, v9, s37
	s_delay_alu instid0(VALU_DEP_2) | instskip(SKIP_1) | instid1(VALU_DEP_3)
	v_mul_lo_u32 v14, v10, s26
	v_mul_lo_u32 v10, v10, s27
	v_sub_nc_u32_e32 v12, v12, v17
	s_delay_alu instid0(VALU_DEP_3) | instskip(NEXT) | instid1(VALU_DEP_2)
	v_add3_u32 v4, v13, v4, v14
	v_mul_lo_u32 v17, v12, s30
	v_mul_lo_u32 v12, v12, s31
	v_add3_u32 v5, v15, v5, v10
	s_delay_alu instid0(VALU_DEP_3) | instskip(NEXT) | instid1(VALU_DEP_2)
	v_add3_u32 v4, v16, v4, v17
	v_add3_u32 v5, v11, v5, v12
	s_cbranch_scc1 .LBB191_46
; %bb.47:
	s_and_b32 s7, s7, 3
	s_delay_alu instid0(SALU_CYCLE_1)
	s_cmp_eq_u32 s7, 0
	s_cbranch_scc0 .LBB191_50
	s_branch .LBB191_52
.LBB191_48:
	s_mov_b32 s6, -1
                                        ; implicit-def: $vgpr4
                                        ; implicit-def: $vgpr5
	s_branch .LBB191_52
.LBB191_49:
	v_mov_b32_e32 v9, v7
	v_mov_b32_e32 v5, 0
	s_and_b32 s7, s7, 3
	s_delay_alu instid0(SALU_CYCLE_1)
	s_cmp_eq_u32 s7, 0
	s_cbranch_scc1 .LBB191_52
.LBB191_50:
	s_lshl_b32 s2, s8, 3
	s_mul_i32 s4, s8, 12
	s_add_u32 s2, s2, s0
	s_addc_u32 s3, 0, s1
	s_add_u32 s2, s2, 0xc4
	s_addc_u32 s3, s3, 0
	;; [unrolled: 2-line block ×3, first 2 shown]
	.p2align	6
.LBB191_51:                             ; =>This Inner Loop Header: Depth=1
	s_clause 0x1
	s_load_b64 s[8:9], s[4:5], 0x4
	s_load_b32 s12, s[4:5], 0xc
	s_load_b64 s[10:11], s[2:3], 0x0
	s_add_u32 s4, s4, 12
	s_addc_u32 s5, s5, 0
	s_add_u32 s2, s2, 8
	s_addc_u32 s3, s3, 0
	s_add_i32 s7, s7, -1
	s_delay_alu instid0(SALU_CYCLE_1) | instskip(SKIP_2) | instid1(VALU_DEP_1)
	s_cmp_lg_u32 s7, 0
	s_waitcnt lgkmcnt(0)
	v_mul_hi_u32 v10, s9, v9
	v_add_nc_u32_e32 v10, v9, v10
	s_delay_alu instid0(VALU_DEP_1) | instskip(NEXT) | instid1(VALU_DEP_1)
	v_lshrrev_b32_e32 v13, s12, v10
	v_mul_lo_u32 v10, v13, s8
	s_delay_alu instid0(VALU_DEP_1) | instskip(NEXT) | instid1(VALU_DEP_1)
	v_sub_nc_u32_e32 v9, v9, v10
	v_mad_u64_u32 v[10:11], null, v9, s10, v[4:5]
	v_mad_u64_u32 v[11:12], null, v9, s11, v[5:6]
	s_delay_alu instid0(VALU_DEP_2) | instskip(NEXT) | instid1(VALU_DEP_2)
	v_dual_mov_b32 v9, v13 :: v_dual_mov_b32 v4, v10
	v_mov_b32_e32 v5, v11
	s_cbranch_scc1 .LBB191_51
.LBB191_52:
	s_and_not1_b32 vcc_lo, exec_lo, s6
	s_cbranch_vccnz .LBB191_55
; %bb.53:
	s_clause 0x1
	s_load_b128 s[4:7], s[0:1], 0x4
	s_load_b64 s[2:3], s[0:1], 0xc4
	s_cmp_lt_u32 s22, 2
	s_waitcnt lgkmcnt(0)
	v_mul_hi_u32 v4, s5, v7
	s_delay_alu instid0(VALU_DEP_1) | instskip(NEXT) | instid1(VALU_DEP_1)
	v_add_nc_u32_e32 v4, v7, v4
	v_lshrrev_b32_e32 v9, s6, v4
	s_delay_alu instid0(VALU_DEP_1) | instskip(NEXT) | instid1(VALU_DEP_1)
	v_mul_lo_u32 v4, v9, s4
	v_sub_nc_u32_e32 v5, v7, v4
	s_delay_alu instid0(VALU_DEP_1)
	v_mul_lo_u32 v4, v5, s2
	v_mul_lo_u32 v5, v5, s3
	s_cbranch_scc1 .LBB191_55
; %bb.54:
	s_clause 0x1
	s_load_b128 s[4:7], s[0:1], 0x10
	s_load_b64 s[2:3], s[0:1], 0xcc
	s_waitcnt lgkmcnt(0)
	v_mul_hi_u32 v7, s5, v9
	s_delay_alu instid0(VALU_DEP_1) | instskip(NEXT) | instid1(VALU_DEP_1)
	v_add_nc_u32_e32 v7, v9, v7
	v_lshrrev_b32_e32 v7, s6, v7
	s_delay_alu instid0(VALU_DEP_1) | instskip(NEXT) | instid1(VALU_DEP_1)
	v_mul_lo_u32 v7, v7, s4
	v_sub_nc_u32_e32 v7, v9, v7
	s_delay_alu instid0(VALU_DEP_1) | instskip(SKIP_1) | instid1(VALU_DEP_1)
	v_mad_u64_u32 v[9:10], null, v7, s2, v[4:5]
	v_mad_u64_u32 v[10:11], null, v7, s3, v[5:6]
	v_dual_mov_b32 v4, v9 :: v_dual_mov_b32 v5, v10
.LBB191_55:
	v_cmp_ne_u32_e32 vcc_lo, 1, v6
	s_cbranch_vccnz .LBB191_61
; %bb.56:
	v_dual_mov_b32 v6, 0 :: v_dual_mov_b32 v7, 0
	s_cmp_lg_u32 s22, 0
	s_mov_b32 s6, 0
	s_cbranch_scc0 .LBB191_65
; %bb.57:
	s_min_u32 s7, s23, 15
	v_mov_b32_e32 v6, 0
	s_add_i32 s7, s7, 1
	s_cmp_eq_u32 s23, 2
	s_mov_b32 s8, 0
	s_cbranch_scc1 .LBB191_62
; %bb.58:
	v_dual_mov_b32 v7, 0 :: v_dual_mov_b32 v6, 0
	v_mov_b32_e32 v9, v8
	s_add_u32 s2, s0, 0xc4
	s_addc_u32 s3, s1, 0
	s_and_b32 s8, s7, 28
	s_mov_b32 s9, 0
	s_mov_b64 s[4:5], s[0:1]
.LBB191_59:                             ; =>This Inner Loop Header: Depth=1
	s_clause 0x1
	s_load_b256 s[12:19], s[4:5], 0x4
	s_load_b128 s[36:39], s[4:5], 0x24
	s_load_b256 s[24:31], s[2:3], 0x0
	s_add_u32 s4, s4, 48
	s_addc_u32 s5, s5, 0
	s_add_i32 s9, s9, 4
	s_add_u32 s2, s2, 32
	s_addc_u32 s3, s3, 0
	s_cmp_lg_u32 s8, s9
	s_waitcnt lgkmcnt(0)
	v_mul_hi_u32 v10, s13, v9
	s_delay_alu instid0(VALU_DEP_1) | instskip(NEXT) | instid1(VALU_DEP_1)
	v_add_nc_u32_e32 v10, v9, v10
	v_lshrrev_b32_e32 v10, s14, v10
	s_delay_alu instid0(VALU_DEP_1) | instskip(SKIP_1) | instid1(VALU_DEP_2)
	v_mul_hi_u32 v11, s16, v10
	v_mul_lo_u32 v13, v10, s12
	v_add_nc_u32_e32 v11, v10, v11
	s_delay_alu instid0(VALU_DEP_2) | instskip(NEXT) | instid1(VALU_DEP_2)
	v_sub_nc_u32_e32 v9, v9, v13
	v_lshrrev_b32_e32 v11, s17, v11
	s_delay_alu instid0(VALU_DEP_2) | instskip(SKIP_1) | instid1(VALU_DEP_3)
	v_mul_lo_u32 v13, v9, s24
	v_mul_lo_u32 v15, v9, s25
	v_mul_hi_u32 v12, s19, v11
	s_delay_alu instid0(VALU_DEP_1) | instskip(NEXT) | instid1(VALU_DEP_1)
	v_add_nc_u32_e32 v12, v11, v12
	v_lshrrev_b32_e32 v12, s36, v12
	s_delay_alu instid0(VALU_DEP_1) | instskip(SKIP_1) | instid1(VALU_DEP_2)
	v_mul_hi_u32 v14, s38, v12
	v_mul_lo_u32 v16, v12, s18
	v_add_nc_u32_e32 v9, v12, v14
	v_mul_lo_u32 v14, v11, s15
	s_delay_alu instid0(VALU_DEP_3) | instskip(NEXT) | instid1(VALU_DEP_3)
	v_sub_nc_u32_e32 v11, v11, v16
	v_lshrrev_b32_e32 v9, s39, v9
	s_delay_alu instid0(VALU_DEP_2) | instskip(SKIP_2) | instid1(VALU_DEP_4)
	v_mul_lo_u32 v16, v11, s28
	v_mul_lo_u32 v11, v11, s29
	v_sub_nc_u32_e32 v10, v10, v14
	v_mul_lo_u32 v17, v9, s37
	s_delay_alu instid0(VALU_DEP_2) | instskip(SKIP_1) | instid1(VALU_DEP_3)
	v_mul_lo_u32 v14, v10, s26
	v_mul_lo_u32 v10, v10, s27
	v_sub_nc_u32_e32 v12, v12, v17
	s_delay_alu instid0(VALU_DEP_3) | instskip(NEXT) | instid1(VALU_DEP_2)
	v_add3_u32 v6, v13, v6, v14
	v_mul_lo_u32 v17, v12, s30
	v_mul_lo_u32 v12, v12, s31
	v_add3_u32 v7, v15, v7, v10
	s_delay_alu instid0(VALU_DEP_3) | instskip(NEXT) | instid1(VALU_DEP_2)
	v_add3_u32 v6, v16, v6, v17
	v_add3_u32 v7, v11, v7, v12
	s_cbranch_scc1 .LBB191_59
; %bb.60:
	s_and_b32 s7, s7, 3
	s_delay_alu instid0(SALU_CYCLE_1)
	s_cmp_eq_u32 s7, 0
	s_cbranch_scc0 .LBB191_63
	s_branch .LBB191_65
.LBB191_61:
	s_mov_b32 s6, -1
                                        ; implicit-def: $vgpr6
                                        ; implicit-def: $vgpr7
	s_branch .LBB191_65
.LBB191_62:
	v_mov_b32_e32 v9, v8
	v_mov_b32_e32 v7, 0
	s_and_b32 s7, s7, 3
	s_delay_alu instid0(SALU_CYCLE_1)
	s_cmp_eq_u32 s7, 0
	s_cbranch_scc1 .LBB191_65
.LBB191_63:
	s_lshl_b32 s2, s8, 3
	s_mul_i32 s4, s8, 12
	s_add_u32 s2, s2, s0
	s_addc_u32 s3, 0, s1
	s_add_u32 s2, s2, 0xc4
	s_addc_u32 s3, s3, 0
	;; [unrolled: 2-line block ×3, first 2 shown]
	.p2align	6
.LBB191_64:                             ; =>This Inner Loop Header: Depth=1
	s_clause 0x1
	s_load_b64 s[8:9], s[4:5], 0x4
	s_load_b32 s12, s[4:5], 0xc
	s_load_b64 s[10:11], s[2:3], 0x0
	s_add_u32 s4, s4, 12
	s_addc_u32 s5, s5, 0
	s_add_u32 s2, s2, 8
	s_addc_u32 s3, s3, 0
	s_add_i32 s7, s7, -1
	s_delay_alu instid0(SALU_CYCLE_1) | instskip(SKIP_2) | instid1(VALU_DEP_1)
	s_cmp_lg_u32 s7, 0
	s_waitcnt lgkmcnt(0)
	v_mul_hi_u32 v10, s9, v9
	v_add_nc_u32_e32 v10, v9, v10
	s_delay_alu instid0(VALU_DEP_1) | instskip(NEXT) | instid1(VALU_DEP_1)
	v_lshrrev_b32_e32 v13, s12, v10
	v_mul_lo_u32 v10, v13, s8
	s_delay_alu instid0(VALU_DEP_1) | instskip(NEXT) | instid1(VALU_DEP_1)
	v_sub_nc_u32_e32 v9, v9, v10
	v_mad_u64_u32 v[10:11], null, v9, s10, v[6:7]
	v_mad_u64_u32 v[11:12], null, v9, s11, v[7:8]
	s_delay_alu instid0(VALU_DEP_2) | instskip(NEXT) | instid1(VALU_DEP_2)
	v_dual_mov_b32 v9, v13 :: v_dual_mov_b32 v6, v10
	v_mov_b32_e32 v7, v11
	s_cbranch_scc1 .LBB191_64
.LBB191_65:
	s_and_not1_b32 vcc_lo, exec_lo, s6
	s_cbranch_vccnz .LBB191_68
; %bb.66:
	s_clause 0x1
	s_load_b128 s[4:7], s[0:1], 0x4
	s_load_b64 s[2:3], s[0:1], 0xc4
	s_cmp_lt_u32 s22, 2
	s_waitcnt lgkmcnt(0)
	v_mul_hi_u32 v6, s5, v8
	s_delay_alu instid0(VALU_DEP_1) | instskip(NEXT) | instid1(VALU_DEP_1)
	v_add_nc_u32_e32 v6, v8, v6
	v_lshrrev_b32_e32 v9, s6, v6
	s_delay_alu instid0(VALU_DEP_1) | instskip(NEXT) | instid1(VALU_DEP_1)
	v_mul_lo_u32 v6, v9, s4
	v_sub_nc_u32_e32 v7, v8, v6
	s_delay_alu instid0(VALU_DEP_1)
	v_mul_lo_u32 v6, v7, s2
	v_mul_lo_u32 v7, v7, s3
	s_cbranch_scc1 .LBB191_68
; %bb.67:
	s_clause 0x1
	s_load_b128 s[4:7], s[0:1], 0x10
	s_load_b64 s[2:3], s[0:1], 0xcc
	s_waitcnt lgkmcnt(0)
	v_mul_hi_u32 v8, s5, v9
	s_delay_alu instid0(VALU_DEP_1) | instskip(NEXT) | instid1(VALU_DEP_1)
	v_add_nc_u32_e32 v8, v9, v8
	v_lshrrev_b32_e32 v8, s6, v8
	s_delay_alu instid0(VALU_DEP_1) | instskip(NEXT) | instid1(VALU_DEP_1)
	v_mul_lo_u32 v8, v8, s4
	v_sub_nc_u32_e32 v11, v9, v8
	s_delay_alu instid0(VALU_DEP_1) | instskip(NEXT) | instid1(VALU_DEP_1)
	v_mad_u64_u32 v[8:9], null, v11, s2, v[6:7]
	v_mad_u64_u32 v[9:10], null, v11, s3, v[7:8]
	s_delay_alu instid0(VALU_DEP_1)
	v_dual_mov_b32 v6, v8 :: v_dual_mov_b32 v7, v9
.LBB191_68:
	s_load_b128 s[4:7], s[0:1], 0x148
	s_waitcnt lgkmcnt(0)
	s_clause 0x3
	global_load_b64 v[8:9], v1, s[6:7]
	global_load_b64 v[10:11], v3, s[6:7]
	;; [unrolled: 1-line block ×4, first 2 shown]
	s_waitcnt vmcnt(3)
	v_rsq_f64_e32 v[16:17], v[8:9]
	s_waitcnt vmcnt(2)
	v_rsq_f64_e32 v[18:19], v[10:11]
	;; [unrolled: 2-line block ×4, first 2 shown]
	v_mul_f64 v[7:8], v[16:17], -v[8:9]
	s_delay_alu instid0(TRANS32_DEP_3)
	v_mul_f64 v[9:10], v[18:19], -v[10:11]
	s_waitcnt_depctr 0xfff
	v_mul_f64 v[11:12], v[20:21], -v[12:13]
	v_mul_f64 v[13:14], v[22:23], -v[14:15]
	v_cmp_class_f64_e64 vcc_lo, v[16:17], 0x180
	v_cmp_class_f64_e64 s0, v[18:19], 0x180
	v_cmp_class_f64_e64 s1, v[20:21], 0x180
	;; [unrolled: 1-line block ×3, first 2 shown]
	v_fma_f64 v[7:8], v[7:8], v[16:17], 1.0
	v_fma_f64 v[9:10], v[9:10], v[18:19], 1.0
	v_fma_f64 v[11:12], v[11:12], v[20:21], 1.0
	v_fma_f64 v[13:14], v[13:14], v[22:23], 1.0
	s_delay_alu instid0(VALU_DEP_4)
	v_mul_f64 v[24:25], v[16:17], v[7:8]
	v_fma_f64 v[7:8], 0x3fd80000, v[7:8], 0.5
	v_mul_f64 v[26:27], v[18:19], v[9:10]
	v_fma_f64 v[9:10], 0x3fd80000, v[9:10], 0.5
	;; [unrolled: 2-line block ×4, first 2 shown]
	v_fma_f64 v[7:8], v[24:25], v[7:8], v[16:17]
	v_fma_f64 v[9:10], v[26:27], v[9:10], v[18:19]
	;; [unrolled: 1-line block ×3, first 2 shown]
	s_delay_alu instid0(VALU_DEP_4) | instskip(NEXT) | instid1(VALU_DEP_4)
	v_fma_f64 v[13:14], v[30:31], v[13:14], v[22:23]
	v_dual_cndmask_b32 v8, v17, v8 :: v_dual_cndmask_b32 v7, v16, v7
	s_delay_alu instid0(VALU_DEP_4)
	v_cndmask_b32_e64 v10, v19, v10, s0
	v_cndmask_b32_e64 v9, v18, v9, s0
	;; [unrolled: 1-line block ×6, first 2 shown]
	s_clause 0x3
	global_store_b64 v0, v[7:8], s[4:5]
	global_store_b64 v2, v[9:10], s[4:5]
	;; [unrolled: 1-line block ×4, first 2 shown]
	s_nop 0
	s_sendmsg sendmsg(MSG_DEALLOC_VGPRS)
	s_endpgm
.LBB191_69:
	v_dual_mov_b32 v2, v4 :: v_dual_mov_b32 v1, 0
.LBB191_70:
	s_and_b32 s34, s34, 3
	s_delay_alu instid0(SALU_CYCLE_1)
	s_cmp_eq_u32 s34, 0
	s_cbranch_scc1 .LBB191_73
; %bb.71:
	s_lshl_b32 s18, s33, 3
	s_mul_i32 s20, s33, 12
	s_add_u32 s18, s18, s0
	s_addc_u32 s19, s1, 0
	s_add_u32 s18, s18, 0xc4
	s_addc_u32 s19, s19, 0
	;; [unrolled: 2-line block ×3, first 2 shown]
	.p2align	6
.LBB191_72:                             ; =>This Inner Loop Header: Depth=1
	s_clause 0x1
	s_load_b64 s[36:37], s[20:21], 0x4
	s_load_b32 s33, s[20:21], 0xc
	s_load_b64 s[38:39], s[18:19], 0x0
	s_add_u32 s20, s20, 12
	s_addc_u32 s21, s21, 0
	s_add_u32 s18, s18, 8
	s_addc_u32 s19, s19, 0
	s_add_i32 s34, s34, -1
	s_delay_alu instid0(SALU_CYCLE_1) | instskip(SKIP_2) | instid1(VALU_DEP_1)
	s_cmp_lg_u32 s34, 0
	s_waitcnt lgkmcnt(0)
	v_mul_hi_u32 v3, s37, v2
	v_add_nc_u32_e32 v3, v2, v3
	s_delay_alu instid0(VALU_DEP_1) | instskip(NEXT) | instid1(VALU_DEP_1)
	v_lshrrev_b32_e32 v3, s33, v3
	v_mul_lo_u32 v5, v3, s36
	s_delay_alu instid0(VALU_DEP_1) | instskip(NEXT) | instid1(VALU_DEP_1)
	v_sub_nc_u32_e32 v2, v2, v5
	v_mad_u64_u32 v[5:6], null, v2, s38, v[0:1]
	v_mad_u64_u32 v[6:7], null, v2, s39, v[1:2]
	v_mov_b32_e32 v2, v3
	s_delay_alu instid0(VALU_DEP_2)
	v_dual_mov_b32 v0, v5 :: v_dual_mov_b32 v1, v6
	s_cbranch_scc1 .LBB191_72
.LBB191_73:
	s_and_not1_b32 vcc_lo, exec_lo, s31
	s_cbranch_vccnz .LBB191_76
; %bb.74:
	s_waitcnt lgkmcnt(0)
	v_mul_hi_u32 v0, s13, v4
	s_and_not1_b32 vcc_lo, exec_lo, s26
	s_delay_alu instid0(VALU_DEP_1) | instskip(NEXT) | instid1(VALU_DEP_1)
	v_add_nc_u32_e32 v0, v4, v0
	v_lshrrev_b32_e32 v2, s14, v0
	s_delay_alu instid0(VALU_DEP_1) | instskip(NEXT) | instid1(VALU_DEP_1)
	v_mul_lo_u32 v0, v2, s12
	v_sub_nc_u32_e32 v1, v4, v0
	s_delay_alu instid0(VALU_DEP_1)
	v_mul_lo_u32 v0, v1, s8
	v_mul_lo_u32 v1, v1, s9
	s_cbranch_vccnz .LBB191_76
; %bb.75:
	v_mul_hi_u32 v3, s2, v2
	s_delay_alu instid0(VALU_DEP_1) | instskip(NEXT) | instid1(VALU_DEP_1)
	v_add_nc_u32_e32 v3, v2, v3
	v_lshrrev_b32_e32 v3, s3, v3
	s_delay_alu instid0(VALU_DEP_1) | instskip(NEXT) | instid1(VALU_DEP_1)
	v_mul_lo_u32 v3, v3, s15
	v_sub_nc_u32_e32 v7, v2, v3
	s_delay_alu instid0(VALU_DEP_1) | instskip(NEXT) | instid1(VALU_DEP_1)
	v_mad_u64_u32 v[2:3], null, v7, s10, v[0:1]
	v_mad_u64_u32 v[5:6], null, v7, s11, v[1:2]
	s_delay_alu instid0(VALU_DEP_1)
	v_dual_mov_b32 v0, v2 :: v_dual_mov_b32 v1, v5
.LBB191_76:
	s_waitcnt lgkmcnt(0)
	global_load_b64 v[1:2], v1, s[6:7]
	v_add_nc_u32_e32 v4, 0x80, v4
	s_waitcnt vmcnt(0)
	v_rsq_f64_e32 v[5:6], v[1:2]
	s_waitcnt_depctr 0xfff
	v_mul_f64 v[1:2], v[5:6], -v[1:2]
	v_cmp_class_f64_e64 vcc_lo, v[5:6], 0x180
	s_delay_alu instid0(VALU_DEP_2) | instskip(NEXT) | instid1(VALU_DEP_1)
	v_fma_f64 v[1:2], v[1:2], v[5:6], 1.0
	v_mul_f64 v[7:8], v[5:6], v[1:2]
	v_fma_f64 v[1:2], 0x3fd80000, v[1:2], 0.5
	s_delay_alu instid0(VALU_DEP_1) | instskip(NEXT) | instid1(VALU_DEP_1)
	v_fma_f64 v[1:2], v[7:8], v[1:2], v[5:6]
	v_dual_cndmask_b32 v2, v6, v2 :: v_dual_cndmask_b32 v1, v5, v1
	global_store_b64 v0, v[1:2], s[4:5]
	s_or_b32 exec_lo, exec_lo, s30
	s_delay_alu instid0(SALU_CYCLE_1)
	s_mov_b32 s30, exec_lo
	v_cmpx_gt_i32_e64 s27, v4
	s_cbranch_execnz .LBB191_15
.LBB191_77:
	s_or_b32 exec_lo, exec_lo, s30
	s_delay_alu instid0(SALU_CYCLE_1)
	s_mov_b32 s30, exec_lo
	v_cmpx_gt_i32_e64 s27, v4
	s_cbranch_execz .LBB191_92
.LBB191_78:
	s_and_not1_b32 vcc_lo, exec_lo, s24
	s_cbranch_vccnz .LBB191_83
; %bb.79:
	v_dual_mov_b32 v0, 0 :: v_dual_mov_b32 v1, 0
	s_and_not1_b32 vcc_lo, exec_lo, s29
	s_mov_b32 s31, 0
	s_cbranch_vccnz .LBB191_99
; %bb.80:
	v_mov_b32_e32 v0, 0
	s_add_i32 s34, s28, 1
	s_cmp_eq_u32 s23, 2
	s_mov_b32 s33, 0
	s_cbranch_scc1 .LBB191_95
; %bb.81:
	v_dual_mov_b32 v1, 0 :: v_dual_mov_b32 v0, 0
	v_mov_b32_e32 v2, v4
	s_and_b32 s33, s34, 28
	s_mov_b32 s35, 0
	s_mov_b64 s[18:19], s[16:17]
	s_mov_b64 s[20:21], s[0:1]
.LBB191_82:                             ; =>This Inner Loop Header: Depth=1
	s_clause 0x1
	s_load_b256 s[36:43], s[20:21], 0x4
	s_load_b128 s[52:55], s[20:21], 0x24
	s_load_b256 s[44:51], s[18:19], 0x0
	s_add_u32 s20, s20, 48
	s_addc_u32 s21, s21, 0
	s_add_i32 s35, s35, 4
	s_add_u32 s18, s18, 32
	s_addc_u32 s19, s19, 0
	s_cmp_eq_u32 s33, s35
	s_waitcnt lgkmcnt(0)
	v_mul_hi_u32 v3, s37, v2
	s_delay_alu instid0(VALU_DEP_1) | instskip(NEXT) | instid1(VALU_DEP_1)
	v_add_nc_u32_e32 v3, v2, v3
	v_lshrrev_b32_e32 v3, s38, v3
	s_delay_alu instid0(VALU_DEP_1) | instskip(SKIP_1) | instid1(VALU_DEP_2)
	v_mul_hi_u32 v5, s40, v3
	v_mul_lo_u32 v7, v3, s36
	v_add_nc_u32_e32 v5, v3, v5
	s_delay_alu instid0(VALU_DEP_2) | instskip(NEXT) | instid1(VALU_DEP_2)
	v_sub_nc_u32_e32 v2, v2, v7
	v_lshrrev_b32_e32 v5, s41, v5
	s_delay_alu instid0(VALU_DEP_2) | instskip(SKIP_1) | instid1(VALU_DEP_3)
	v_mul_lo_u32 v7, v2, s44
	v_mul_lo_u32 v9, v2, s45
	v_mul_hi_u32 v6, s43, v5
	s_delay_alu instid0(VALU_DEP_1) | instskip(NEXT) | instid1(VALU_DEP_1)
	v_add_nc_u32_e32 v6, v5, v6
	v_lshrrev_b32_e32 v6, s52, v6
	s_delay_alu instid0(VALU_DEP_1) | instskip(SKIP_1) | instid1(VALU_DEP_2)
	v_mul_hi_u32 v8, s54, v6
	v_mul_lo_u32 v10, v6, s42
	v_add_nc_u32_e32 v2, v6, v8
	v_mul_lo_u32 v8, v5, s39
	s_delay_alu instid0(VALU_DEP_3) | instskip(NEXT) | instid1(VALU_DEP_3)
	v_sub_nc_u32_e32 v5, v5, v10
	v_lshrrev_b32_e32 v2, s55, v2
	s_delay_alu instid0(VALU_DEP_2) | instskip(SKIP_2) | instid1(VALU_DEP_4)
	v_mul_lo_u32 v10, v5, s48
	v_mul_lo_u32 v5, v5, s49
	v_sub_nc_u32_e32 v3, v3, v8
	v_mul_lo_u32 v11, v2, s53
	s_delay_alu instid0(VALU_DEP_2) | instskip(SKIP_1) | instid1(VALU_DEP_3)
	v_mul_lo_u32 v8, v3, s46
	v_mul_lo_u32 v3, v3, s47
	v_sub_nc_u32_e32 v6, v6, v11
	s_delay_alu instid0(VALU_DEP_3) | instskip(NEXT) | instid1(VALU_DEP_2)
	v_add3_u32 v0, v7, v0, v8
	v_mul_lo_u32 v11, v6, s50
	v_mul_lo_u32 v6, v6, s51
	v_add3_u32 v1, v9, v1, v3
	s_delay_alu instid0(VALU_DEP_3) | instskip(NEXT) | instid1(VALU_DEP_2)
	v_add3_u32 v0, v10, v0, v11
	v_add3_u32 v1, v5, v1, v6
	s_cbranch_scc0 .LBB191_82
	s_branch .LBB191_96
.LBB191_83:
	s_mov_b32 s31, -1
                                        ; implicit-def: $vgpr0
                                        ; implicit-def: $vgpr1
	s_branch .LBB191_99
.LBB191_84:
	v_dual_mov_b32 v2, v4 :: v_dual_mov_b32 v1, 0
.LBB191_85:
	s_and_b32 s34, s34, 3
	s_delay_alu instid0(SALU_CYCLE_1)
	s_cmp_eq_u32 s34, 0
	s_cbranch_scc1 .LBB191_88
; %bb.86:
	s_lshl_b32 s18, s33, 3
	s_mul_i32 s20, s33, 12
	s_add_u32 s18, s18, s0
	s_addc_u32 s19, s1, 0
	s_add_u32 s18, s18, 0xc4
	s_addc_u32 s19, s19, 0
	;; [unrolled: 2-line block ×3, first 2 shown]
	.p2align	6
.LBB191_87:                             ; =>This Inner Loop Header: Depth=1
	s_clause 0x1
	s_load_b64 s[36:37], s[20:21], 0x4
	s_load_b32 s33, s[20:21], 0xc
	s_load_b64 s[38:39], s[18:19], 0x0
	s_add_u32 s20, s20, 12
	s_addc_u32 s21, s21, 0
	s_add_u32 s18, s18, 8
	s_addc_u32 s19, s19, 0
	s_add_i32 s34, s34, -1
	s_delay_alu instid0(SALU_CYCLE_1) | instskip(SKIP_2) | instid1(VALU_DEP_1)
	s_cmp_lg_u32 s34, 0
	s_waitcnt lgkmcnt(0)
	v_mul_hi_u32 v3, s37, v2
	v_add_nc_u32_e32 v3, v2, v3
	s_delay_alu instid0(VALU_DEP_1) | instskip(NEXT) | instid1(VALU_DEP_1)
	v_lshrrev_b32_e32 v3, s33, v3
	v_mul_lo_u32 v5, v3, s36
	s_delay_alu instid0(VALU_DEP_1) | instskip(NEXT) | instid1(VALU_DEP_1)
	v_sub_nc_u32_e32 v2, v2, v5
	v_mad_u64_u32 v[5:6], null, v2, s38, v[0:1]
	v_mad_u64_u32 v[6:7], null, v2, s39, v[1:2]
	v_mov_b32_e32 v2, v3
	s_delay_alu instid0(VALU_DEP_2)
	v_dual_mov_b32 v0, v5 :: v_dual_mov_b32 v1, v6
	s_cbranch_scc1 .LBB191_87
.LBB191_88:
	s_and_not1_b32 vcc_lo, exec_lo, s31
	s_cbranch_vccnz .LBB191_91
; %bb.89:
	s_waitcnt lgkmcnt(0)
	v_mul_hi_u32 v0, s13, v4
	s_and_not1_b32 vcc_lo, exec_lo, s26
	s_delay_alu instid0(VALU_DEP_1) | instskip(NEXT) | instid1(VALU_DEP_1)
	v_add_nc_u32_e32 v0, v4, v0
	v_lshrrev_b32_e32 v2, s14, v0
	s_delay_alu instid0(VALU_DEP_1) | instskip(NEXT) | instid1(VALU_DEP_1)
	v_mul_lo_u32 v0, v2, s12
	v_sub_nc_u32_e32 v1, v4, v0
	s_delay_alu instid0(VALU_DEP_1)
	v_mul_lo_u32 v0, v1, s8
	v_mul_lo_u32 v1, v1, s9
	s_cbranch_vccnz .LBB191_91
; %bb.90:
	v_mul_hi_u32 v3, s2, v2
	s_delay_alu instid0(VALU_DEP_1) | instskip(NEXT) | instid1(VALU_DEP_1)
	v_add_nc_u32_e32 v3, v2, v3
	v_lshrrev_b32_e32 v3, s3, v3
	s_delay_alu instid0(VALU_DEP_1) | instskip(NEXT) | instid1(VALU_DEP_1)
	v_mul_lo_u32 v3, v3, s15
	v_sub_nc_u32_e32 v7, v2, v3
	s_delay_alu instid0(VALU_DEP_1) | instskip(NEXT) | instid1(VALU_DEP_1)
	v_mad_u64_u32 v[2:3], null, v7, s10, v[0:1]
	v_mad_u64_u32 v[5:6], null, v7, s11, v[1:2]
	s_delay_alu instid0(VALU_DEP_1)
	v_dual_mov_b32 v0, v2 :: v_dual_mov_b32 v1, v5
.LBB191_91:
	s_waitcnt lgkmcnt(0)
	global_load_b64 v[1:2], v1, s[6:7]
	v_add_nc_u32_e32 v4, 0x80, v4
	s_waitcnt vmcnt(0)
	v_rsq_f64_e32 v[5:6], v[1:2]
	s_waitcnt_depctr 0xfff
	v_mul_f64 v[1:2], v[5:6], -v[1:2]
	v_cmp_class_f64_e64 vcc_lo, v[5:6], 0x180
	s_delay_alu instid0(VALU_DEP_2) | instskip(NEXT) | instid1(VALU_DEP_1)
	v_fma_f64 v[1:2], v[1:2], v[5:6], 1.0
	v_mul_f64 v[7:8], v[5:6], v[1:2]
	v_fma_f64 v[1:2], 0x3fd80000, v[1:2], 0.5
	s_delay_alu instid0(VALU_DEP_1) | instskip(NEXT) | instid1(VALU_DEP_1)
	v_fma_f64 v[1:2], v[7:8], v[1:2], v[5:6]
	v_dual_cndmask_b32 v2, v6, v2 :: v_dual_cndmask_b32 v1, v5, v1
	global_store_b64 v0, v[1:2], s[4:5]
	s_or_b32 exec_lo, exec_lo, s30
	s_delay_alu instid0(SALU_CYCLE_1)
	s_mov_b32 s30, exec_lo
	v_cmpx_gt_i32_e64 s27, v4
	s_cbranch_execnz .LBB191_78
.LBB191_92:
	s_or_b32 exec_lo, exec_lo, s30
	s_delay_alu instid0(SALU_CYCLE_1)
	s_mov_b32 s20, exec_lo
	v_cmpx_gt_i32_e64 s27, v4
	s_cbranch_execnz .LBB191_103
.LBB191_93:
	s_or_b32 exec_lo, exec_lo, s20
                                        ; implicit-def: $vgpr8
                                        ; implicit-def: $vgpr4
	s_waitcnt lgkmcnt(0)
	s_and_not1_saveexec_b32 s2, s25
	s_cbranch_execnz .LBB191_8
.LBB191_94:
	s_nop 0
	s_sendmsg sendmsg(MSG_DEALLOC_VGPRS)
	s_endpgm
.LBB191_95:
	v_dual_mov_b32 v2, v4 :: v_dual_mov_b32 v1, 0
.LBB191_96:
	s_and_b32 s34, s34, 3
	s_delay_alu instid0(SALU_CYCLE_1)
	s_cmp_eq_u32 s34, 0
	s_cbranch_scc1 .LBB191_99
; %bb.97:
	s_lshl_b32 s18, s33, 3
	s_mul_i32 s20, s33, 12
	s_add_u32 s18, s18, s0
	s_addc_u32 s19, s1, 0
	s_add_u32 s18, s18, 0xc4
	s_addc_u32 s19, s19, 0
	;; [unrolled: 2-line block ×3, first 2 shown]
	.p2align	6
.LBB191_98:                             ; =>This Inner Loop Header: Depth=1
	s_clause 0x1
	s_load_b64 s[36:37], s[20:21], 0x4
	s_load_b32 s33, s[20:21], 0xc
	s_load_b64 s[38:39], s[18:19], 0x0
	s_add_u32 s20, s20, 12
	s_addc_u32 s21, s21, 0
	s_add_u32 s18, s18, 8
	s_addc_u32 s19, s19, 0
	s_add_i32 s34, s34, -1
	s_delay_alu instid0(SALU_CYCLE_1) | instskip(SKIP_2) | instid1(VALU_DEP_1)
	s_cmp_lg_u32 s34, 0
	s_waitcnt lgkmcnt(0)
	v_mul_hi_u32 v3, s37, v2
	v_add_nc_u32_e32 v3, v2, v3
	s_delay_alu instid0(VALU_DEP_1) | instskip(NEXT) | instid1(VALU_DEP_1)
	v_lshrrev_b32_e32 v3, s33, v3
	v_mul_lo_u32 v5, v3, s36
	s_delay_alu instid0(VALU_DEP_1) | instskip(NEXT) | instid1(VALU_DEP_1)
	v_sub_nc_u32_e32 v2, v2, v5
	v_mad_u64_u32 v[5:6], null, v2, s38, v[0:1]
	v_mad_u64_u32 v[6:7], null, v2, s39, v[1:2]
	v_mov_b32_e32 v2, v3
	s_delay_alu instid0(VALU_DEP_2)
	v_dual_mov_b32 v0, v5 :: v_dual_mov_b32 v1, v6
	s_cbranch_scc1 .LBB191_98
.LBB191_99:
	s_and_not1_b32 vcc_lo, exec_lo, s31
	s_cbranch_vccnz .LBB191_102
; %bb.100:
	s_waitcnt lgkmcnt(0)
	v_mul_hi_u32 v0, s13, v4
	s_and_not1_b32 vcc_lo, exec_lo, s26
	s_delay_alu instid0(VALU_DEP_1) | instskip(NEXT) | instid1(VALU_DEP_1)
	v_add_nc_u32_e32 v0, v4, v0
	v_lshrrev_b32_e32 v2, s14, v0
	s_delay_alu instid0(VALU_DEP_1) | instskip(NEXT) | instid1(VALU_DEP_1)
	v_mul_lo_u32 v0, v2, s12
	v_sub_nc_u32_e32 v1, v4, v0
	s_delay_alu instid0(VALU_DEP_1)
	v_mul_lo_u32 v0, v1, s8
	v_mul_lo_u32 v1, v1, s9
	s_cbranch_vccnz .LBB191_102
; %bb.101:
	v_mul_hi_u32 v3, s2, v2
	s_delay_alu instid0(VALU_DEP_1) | instskip(NEXT) | instid1(VALU_DEP_1)
	v_add_nc_u32_e32 v3, v2, v3
	v_lshrrev_b32_e32 v3, s3, v3
	s_delay_alu instid0(VALU_DEP_1) | instskip(NEXT) | instid1(VALU_DEP_1)
	v_mul_lo_u32 v3, v3, s15
	v_sub_nc_u32_e32 v7, v2, v3
	s_delay_alu instid0(VALU_DEP_1) | instskip(NEXT) | instid1(VALU_DEP_1)
	v_mad_u64_u32 v[2:3], null, v7, s10, v[0:1]
	v_mad_u64_u32 v[5:6], null, v7, s11, v[1:2]
	s_delay_alu instid0(VALU_DEP_1)
	v_dual_mov_b32 v0, v2 :: v_dual_mov_b32 v1, v5
.LBB191_102:
	s_waitcnt lgkmcnt(0)
	global_load_b64 v[1:2], v1, s[6:7]
	v_add_nc_u32_e32 v4, 0x80, v4
	s_waitcnt vmcnt(0)
	v_rsq_f64_e32 v[5:6], v[1:2]
	s_waitcnt_depctr 0xfff
	v_mul_f64 v[1:2], v[5:6], -v[1:2]
	v_cmp_class_f64_e64 vcc_lo, v[5:6], 0x180
	s_delay_alu instid0(VALU_DEP_2) | instskip(NEXT) | instid1(VALU_DEP_1)
	v_fma_f64 v[1:2], v[1:2], v[5:6], 1.0
	v_mul_f64 v[7:8], v[5:6], v[1:2]
	v_fma_f64 v[1:2], 0x3fd80000, v[1:2], 0.5
	s_delay_alu instid0(VALU_DEP_1) | instskip(NEXT) | instid1(VALU_DEP_1)
	v_fma_f64 v[1:2], v[7:8], v[1:2], v[5:6]
	v_dual_cndmask_b32 v2, v6, v2 :: v_dual_cndmask_b32 v1, v5, v1
	global_store_b64 v0, v[1:2], s[4:5]
	s_or_b32 exec_lo, exec_lo, s30
	s_delay_alu instid0(SALU_CYCLE_1)
	s_mov_b32 s20, exec_lo
	v_cmpx_gt_i32_e64 s27, v4
	s_cbranch_execz .LBB191_93
.LBB191_103:
	s_and_not1_b32 vcc_lo, exec_lo, s24
	s_cbranch_vccnz .LBB191_108
; %bb.104:
	v_dual_mov_b32 v0, 0 :: v_dual_mov_b32 v1, 0
	s_and_not1_b32 vcc_lo, exec_lo, s29
	s_mov_b32 s21, 0
	s_cbranch_vccnz .LBB191_113
; %bb.105:
	v_mov_b32_e32 v0, 0
	s_add_i32 s28, s28, 1
	s_cmp_eq_u32 s23, 2
	s_mov_b32 s27, 0
	s_cbranch_scc1 .LBB191_109
; %bb.106:
	v_dual_mov_b32 v1, 0 :: v_dual_mov_b32 v0, 0
	v_mov_b32_e32 v2, v4
	s_and_b32 s27, s28, 28
	s_mov_b32 s29, 0
	s_mov_b64 s[18:19], s[0:1]
.LBB191_107:                            ; =>This Inner Loop Header: Depth=1
	s_clause 0x1
	s_load_b256 s[36:43], s[18:19], 0x4
	s_load_b128 s[52:55], s[18:19], 0x24
	s_load_b256 s[44:51], s[16:17], 0x0
	s_add_u32 s18, s18, 48
	s_addc_u32 s19, s19, 0
	s_add_i32 s29, s29, 4
	s_add_u32 s16, s16, 32
	s_addc_u32 s17, s17, 0
	s_cmp_eq_u32 s27, s29
	s_waitcnt lgkmcnt(0)
	v_mul_hi_u32 v3, s37, v2
	s_delay_alu instid0(VALU_DEP_1) | instskip(NEXT) | instid1(VALU_DEP_1)
	v_add_nc_u32_e32 v3, v2, v3
	v_lshrrev_b32_e32 v3, s38, v3
	s_delay_alu instid0(VALU_DEP_1) | instskip(SKIP_1) | instid1(VALU_DEP_2)
	v_mul_hi_u32 v5, s40, v3
	v_mul_lo_u32 v7, v3, s36
	v_add_nc_u32_e32 v5, v3, v5
	s_delay_alu instid0(VALU_DEP_2) | instskip(NEXT) | instid1(VALU_DEP_2)
	v_sub_nc_u32_e32 v2, v2, v7
	v_lshrrev_b32_e32 v5, s41, v5
	s_delay_alu instid0(VALU_DEP_2) | instskip(SKIP_1) | instid1(VALU_DEP_3)
	v_mul_lo_u32 v7, v2, s44
	v_mul_lo_u32 v9, v2, s45
	v_mul_hi_u32 v6, s43, v5
	s_delay_alu instid0(VALU_DEP_1) | instskip(NEXT) | instid1(VALU_DEP_1)
	v_add_nc_u32_e32 v6, v5, v6
	v_lshrrev_b32_e32 v6, s52, v6
	s_delay_alu instid0(VALU_DEP_1) | instskip(SKIP_1) | instid1(VALU_DEP_2)
	v_mul_hi_u32 v8, s54, v6
	v_mul_lo_u32 v10, v6, s42
	v_add_nc_u32_e32 v2, v6, v8
	v_mul_lo_u32 v8, v5, s39
	s_delay_alu instid0(VALU_DEP_3) | instskip(NEXT) | instid1(VALU_DEP_3)
	v_sub_nc_u32_e32 v5, v5, v10
	v_lshrrev_b32_e32 v2, s55, v2
	s_delay_alu instid0(VALU_DEP_2) | instskip(SKIP_2) | instid1(VALU_DEP_4)
	v_mul_lo_u32 v10, v5, s48
	v_mul_lo_u32 v5, v5, s49
	v_sub_nc_u32_e32 v3, v3, v8
	v_mul_lo_u32 v11, v2, s53
	s_delay_alu instid0(VALU_DEP_2) | instskip(SKIP_1) | instid1(VALU_DEP_3)
	v_mul_lo_u32 v8, v3, s46
	v_mul_lo_u32 v3, v3, s47
	v_sub_nc_u32_e32 v6, v6, v11
	s_delay_alu instid0(VALU_DEP_3) | instskip(NEXT) | instid1(VALU_DEP_2)
	v_add3_u32 v0, v7, v0, v8
	v_mul_lo_u32 v11, v6, s50
	v_mul_lo_u32 v6, v6, s51
	v_add3_u32 v1, v9, v1, v3
	s_delay_alu instid0(VALU_DEP_3) | instskip(NEXT) | instid1(VALU_DEP_2)
	v_add3_u32 v0, v10, v0, v11
	v_add3_u32 v1, v5, v1, v6
	s_cbranch_scc0 .LBB191_107
	s_branch .LBB191_110
.LBB191_108:
	s_mov_b32 s21, -1
                                        ; implicit-def: $vgpr0
                                        ; implicit-def: $vgpr1
	s_branch .LBB191_113
.LBB191_109:
	v_dual_mov_b32 v2, v4 :: v_dual_mov_b32 v1, 0
.LBB191_110:
	s_and_b32 s28, s28, 3
	s_delay_alu instid0(SALU_CYCLE_1)
	s_cmp_eq_u32 s28, 0
	s_cbranch_scc1 .LBB191_113
; %bb.111:
	s_lshl_b32 s16, s27, 3
	s_mul_i32 s18, s27, 12
	s_add_u32 s16, s16, s0
	s_addc_u32 s17, s1, 0
	s_add_u32 s16, s16, 0xc4
	s_addc_u32 s17, s17, 0
	;; [unrolled: 2-line block ×3, first 2 shown]
	.p2align	6
.LBB191_112:                            ; =>This Inner Loop Header: Depth=1
	s_clause 0x1
	s_load_b64 s[30:31], s[18:19], 0x4
	s_load_b32 s27, s[18:19], 0xc
	s_load_b64 s[34:35], s[16:17], 0x0
	s_add_u32 s18, s18, 12
	s_addc_u32 s19, s19, 0
	s_add_u32 s16, s16, 8
	s_addc_u32 s17, s17, 0
	s_add_i32 s28, s28, -1
	s_delay_alu instid0(SALU_CYCLE_1) | instskip(SKIP_2) | instid1(VALU_DEP_1)
	s_cmp_lg_u32 s28, 0
	s_waitcnt lgkmcnt(0)
	v_mul_hi_u32 v3, s31, v2
	v_add_nc_u32_e32 v3, v2, v3
	s_delay_alu instid0(VALU_DEP_1) | instskip(NEXT) | instid1(VALU_DEP_1)
	v_lshrrev_b32_e32 v3, s27, v3
	v_mul_lo_u32 v5, v3, s30
	s_delay_alu instid0(VALU_DEP_1) | instskip(NEXT) | instid1(VALU_DEP_1)
	v_sub_nc_u32_e32 v2, v2, v5
	v_mad_u64_u32 v[5:6], null, v2, s34, v[0:1]
	v_mad_u64_u32 v[6:7], null, v2, s35, v[1:2]
	v_mov_b32_e32 v2, v3
	s_delay_alu instid0(VALU_DEP_2)
	v_dual_mov_b32 v0, v5 :: v_dual_mov_b32 v1, v6
	s_cbranch_scc1 .LBB191_112
.LBB191_113:
	s_and_not1_b32 vcc_lo, exec_lo, s21
	s_cbranch_vccnz .LBB191_116
; %bb.114:
	s_waitcnt lgkmcnt(0)
	v_mul_hi_u32 v0, s13, v4
	s_and_not1_b32 vcc_lo, exec_lo, s26
	s_delay_alu instid0(VALU_DEP_1) | instskip(NEXT) | instid1(VALU_DEP_1)
	v_add_nc_u32_e32 v0, v4, v0
	v_lshrrev_b32_e32 v2, s14, v0
	s_delay_alu instid0(VALU_DEP_1) | instskip(NEXT) | instid1(VALU_DEP_1)
	v_mul_lo_u32 v0, v2, s12
	v_sub_nc_u32_e32 v1, v4, v0
	s_delay_alu instid0(VALU_DEP_1)
	v_mul_lo_u32 v0, v1, s8
	v_mul_lo_u32 v1, v1, s9
	s_cbranch_vccnz .LBB191_116
; %bb.115:
	v_mul_hi_u32 v3, s2, v2
	s_delay_alu instid0(VALU_DEP_1) | instskip(NEXT) | instid1(VALU_DEP_1)
	v_add_nc_u32_e32 v3, v2, v3
	v_lshrrev_b32_e32 v3, s3, v3
	s_delay_alu instid0(VALU_DEP_1) | instskip(NEXT) | instid1(VALU_DEP_1)
	v_mul_lo_u32 v3, v3, s15
	v_sub_nc_u32_e32 v5, v2, v3
	s_delay_alu instid0(VALU_DEP_1) | instskip(NEXT) | instid1(VALU_DEP_1)
	v_mad_u64_u32 v[2:3], null, v5, s10, v[0:1]
	v_mad_u64_u32 v[3:4], null, v5, s11, v[1:2]
	s_delay_alu instid0(VALU_DEP_1)
	v_dual_mov_b32 v0, v2 :: v_dual_mov_b32 v1, v3
.LBB191_116:
	s_waitcnt lgkmcnt(0)
	global_load_b64 v[1:2], v1, s[6:7]
	s_waitcnt vmcnt(0)
	v_rsq_f64_e32 v[3:4], v[1:2]
	s_waitcnt_depctr 0xfff
	v_mul_f64 v[1:2], v[3:4], -v[1:2]
	v_cmp_class_f64_e64 vcc_lo, v[3:4], 0x180
	s_delay_alu instid0(VALU_DEP_2) | instskip(NEXT) | instid1(VALU_DEP_1)
	v_fma_f64 v[1:2], v[1:2], v[3:4], 1.0
	v_mul_f64 v[5:6], v[3:4], v[1:2]
	v_fma_f64 v[1:2], 0x3fd80000, v[1:2], 0.5
	s_delay_alu instid0(VALU_DEP_1) | instskip(NEXT) | instid1(VALU_DEP_1)
	v_fma_f64 v[1:2], v[5:6], v[1:2], v[3:4]
	v_dual_cndmask_b32 v2, v4, v2 :: v_dual_cndmask_b32 v1, v3, v1
	global_store_b64 v0, v[1:2], s[4:5]
	s_or_b32 exec_lo, exec_lo, s20
                                        ; implicit-def: $vgpr8
                                        ; implicit-def: $vgpr4
	s_and_not1_saveexec_b32 s2, s25
	s_cbranch_execz .LBB191_94
	s_branch .LBB191_8
	.section	.rodata,"a",@progbits
	.p2align	6, 0x0
	.amdhsa_kernel _ZN2at6native32elementwise_kernel_manual_unrollILi128ELi4EZNS0_22gpu_kernel_impl_nocastIZZZNS0_17rsqrt_kernel_cudaERNS_18TensorIteratorBaseEENKUlvE0_clEvENKUlvE_clEvEUldE_EEvS4_RKT_EUlibE_EEviT1_
		.amdhsa_group_segment_fixed_size 0
		.amdhsa_private_segment_fixed_size 0
		.amdhsa_kernarg_size 360
		.amdhsa_user_sgpr_count 15
		.amdhsa_user_sgpr_dispatch_ptr 0
		.amdhsa_user_sgpr_queue_ptr 0
		.amdhsa_user_sgpr_kernarg_segment_ptr 1
		.amdhsa_user_sgpr_dispatch_id 0
		.amdhsa_user_sgpr_private_segment_size 0
		.amdhsa_wavefront_size32 1
		.amdhsa_uses_dynamic_stack 0
		.amdhsa_enable_private_segment 0
		.amdhsa_system_sgpr_workgroup_id_x 1
		.amdhsa_system_sgpr_workgroup_id_y 0
		.amdhsa_system_sgpr_workgroup_id_z 0
		.amdhsa_system_sgpr_workgroup_info 0
		.amdhsa_system_vgpr_workitem_id 0
		.amdhsa_next_free_vgpr 32
		.amdhsa_next_free_sgpr 56
		.amdhsa_reserve_vcc 1
		.amdhsa_float_round_mode_32 0
		.amdhsa_float_round_mode_16_64 0
		.amdhsa_float_denorm_mode_32 3
		.amdhsa_float_denorm_mode_16_64 3
		.amdhsa_dx10_clamp 1
		.amdhsa_ieee_mode 1
		.amdhsa_fp16_overflow 0
		.amdhsa_workgroup_processor_mode 1
		.amdhsa_memory_ordered 1
		.amdhsa_forward_progress 0
		.amdhsa_shared_vgpr_count 0
		.amdhsa_exception_fp_ieee_invalid_op 0
		.amdhsa_exception_fp_denorm_src 0
		.amdhsa_exception_fp_ieee_div_zero 0
		.amdhsa_exception_fp_ieee_overflow 0
		.amdhsa_exception_fp_ieee_underflow 0
		.amdhsa_exception_fp_ieee_inexact 0
		.amdhsa_exception_int_div_zero 0
	.end_amdhsa_kernel
	.section	.text._ZN2at6native32elementwise_kernel_manual_unrollILi128ELi4EZNS0_22gpu_kernel_impl_nocastIZZZNS0_17rsqrt_kernel_cudaERNS_18TensorIteratorBaseEENKUlvE0_clEvENKUlvE_clEvEUldE_EEvS4_RKT_EUlibE_EEviT1_,"axG",@progbits,_ZN2at6native32elementwise_kernel_manual_unrollILi128ELi4EZNS0_22gpu_kernel_impl_nocastIZZZNS0_17rsqrt_kernel_cudaERNS_18TensorIteratorBaseEENKUlvE0_clEvENKUlvE_clEvEUldE_EEvS4_RKT_EUlibE_EEviT1_,comdat
.Lfunc_end191:
	.size	_ZN2at6native32elementwise_kernel_manual_unrollILi128ELi4EZNS0_22gpu_kernel_impl_nocastIZZZNS0_17rsqrt_kernel_cudaERNS_18TensorIteratorBaseEENKUlvE0_clEvENKUlvE_clEvEUldE_EEvS4_RKT_EUlibE_EEviT1_, .Lfunc_end191-_ZN2at6native32elementwise_kernel_manual_unrollILi128ELi4EZNS0_22gpu_kernel_impl_nocastIZZZNS0_17rsqrt_kernel_cudaERNS_18TensorIteratorBaseEENKUlvE0_clEvENKUlvE_clEvEUldE_EEvS4_RKT_EUlibE_EEviT1_
                                        ; -- End function
	.section	.AMDGPU.csdata,"",@progbits
; Kernel info:
; codeLenInByte = 7416
; NumSgprs: 58
; NumVgprs: 32
; ScratchSize: 0
; MemoryBound: 0
; FloatMode: 240
; IeeeMode: 1
; LDSByteSize: 0 bytes/workgroup (compile time only)
; SGPRBlocks: 7
; VGPRBlocks: 3
; NumSGPRsForWavesPerEU: 58
; NumVGPRsForWavesPerEU: 32
; Occupancy: 16
; WaveLimiterHint : 1
; COMPUTE_PGM_RSRC2:SCRATCH_EN: 0
; COMPUTE_PGM_RSRC2:USER_SGPR: 15
; COMPUTE_PGM_RSRC2:TRAP_HANDLER: 0
; COMPUTE_PGM_RSRC2:TGID_X_EN: 1
; COMPUTE_PGM_RSRC2:TGID_Y_EN: 0
; COMPUTE_PGM_RSRC2:TGID_Z_EN: 0
; COMPUTE_PGM_RSRC2:TIDIG_COMP_CNT: 0
	.section	.text._ZN2at6native32elementwise_kernel_manual_unrollILi128ELi4EZNS0_15gpu_kernel_implIZZZNS0_17rsqrt_kernel_cudaERNS_18TensorIteratorBaseEENKUlvE0_clEvENKUlvE_clEvEUldE_EEvS4_RKT_EUlibE_EEviT1_,"axG",@progbits,_ZN2at6native32elementwise_kernel_manual_unrollILi128ELi4EZNS0_15gpu_kernel_implIZZZNS0_17rsqrt_kernel_cudaERNS_18TensorIteratorBaseEENKUlvE0_clEvENKUlvE_clEvEUldE_EEvS4_RKT_EUlibE_EEviT1_,comdat
	.globl	_ZN2at6native32elementwise_kernel_manual_unrollILi128ELi4EZNS0_15gpu_kernel_implIZZZNS0_17rsqrt_kernel_cudaERNS_18TensorIteratorBaseEENKUlvE0_clEvENKUlvE_clEvEUldE_EEvS4_RKT_EUlibE_EEviT1_ ; -- Begin function _ZN2at6native32elementwise_kernel_manual_unrollILi128ELi4EZNS0_15gpu_kernel_implIZZZNS0_17rsqrt_kernel_cudaERNS_18TensorIteratorBaseEENKUlvE0_clEvENKUlvE_clEvEUldE_EEvS4_RKT_EUlibE_EEviT1_
	.p2align	8
	.type	_ZN2at6native32elementwise_kernel_manual_unrollILi128ELi4EZNS0_15gpu_kernel_implIZZZNS0_17rsqrt_kernel_cudaERNS_18TensorIteratorBaseEENKUlvE0_clEvENKUlvE_clEvEUldE_EEvS4_RKT_EUlibE_EEviT1_,@function
_ZN2at6native32elementwise_kernel_manual_unrollILi128ELi4EZNS0_15gpu_kernel_implIZZZNS0_17rsqrt_kernel_cudaERNS_18TensorIteratorBaseEENKUlvE0_clEvENKUlvE_clEvEUldE_EEvS4_RKT_EUlibE_EEviT1_: ; @_ZN2at6native32elementwise_kernel_manual_unrollILi128ELi4EZNS0_15gpu_kernel_implIZZZNS0_17rsqrt_kernel_cudaERNS_18TensorIteratorBaseEENKUlvE0_clEvENKUlvE_clEvEUldE_EEvS4_RKT_EUlibE_EEviT1_
; %bb.0:
	v_mov_b32_e32 v1, 0
	s_clause 0x2
	s_load_b32 s11, s[0:1], 0x0
	s_load_b64 s[2:3], s[0:1], 0x18
	s_load_b128 s[4:7], s[0:1], 0x8
	v_lshl_or_b32 v11, s15, 9, v0
	s_mov_b32 s8, 0
	s_mov_b32 s10, 0
	global_load_u16 v10, v1, s[0:1] offset:33
	s_mov_b32 s0, exec_lo
	v_or_b32_e32 v0, 0x180, v11
	s_waitcnt vmcnt(0)
	v_lshrrev_b16 v12, 8, v10
	s_waitcnt lgkmcnt(0)
	s_delay_alu instid0(VALU_DEP_2)
	v_cmpx_le_i32_e64 s11, v0
	s_xor_b32 s9, exec_lo, s0
	s_cbranch_execz .LBB192_1032
; %bb.1:
	s_mov_b32 s1, -1
	s_mov_b32 s14, 0
	s_mov_b32 s12, 0
	s_mov_b32 s13, exec_lo
	v_cmpx_gt_i32_e64 s11, v11
	s_cbranch_execz .LBB192_251
; %bb.2:
	v_mul_lo_u32 v0, v11, s3
	v_cmp_gt_i16_e32 vcc_lo, 11, v12
	s_delay_alu instid0(VALU_DEP_2) | instskip(SKIP_1) | instid1(VALU_DEP_1)
	v_ashrrev_i32_e32 v1, 31, v0
	v_add_co_u32 v0, s0, s6, v0
	v_add_co_ci_u32_e64 v1, s0, s7, v1, s0
	s_cbranch_vccnz .LBB192_9
; %bb.3:
	v_cmp_lt_i16_e32 vcc_lo, 25, v12
	s_cbranch_vccz .LBB192_18
; %bb.4:
	v_cmp_lt_i16_e32 vcc_lo, 28, v12
	s_cbranch_vccz .LBB192_21
	;; [unrolled: 3-line block ×4, first 2 shown]
; %bb.7:
	v_cmp_eq_u16_e32 vcc_lo, 46, v12
	s_mov_b32 s1, 0
	s_cbranch_vccz .LBB192_26
; %bb.8:
	global_load_b32 v2, v[0:1], off
	s_mov_b32 s0, -1
	s_waitcnt vmcnt(0)
	v_lshlrev_b32_e32 v2, 16, v2
	s_delay_alu instid0(VALU_DEP_1)
	v_cvt_f64_f32_e32 v[2:3], v2
	s_branch .LBB192_28
.LBB192_9:
	s_mov_b32 s0, 0
                                        ; implicit-def: $vgpr2_vgpr3
	s_and_b32 vcc_lo, exec_lo, s1
	s_cbranch_vccnz .LBB192_201
.LBB192_10:
	s_and_not1_b32 vcc_lo, exec_lo, s0
	s_cbranch_vccnz .LBB192_248
.LBB192_11:
	s_waitcnt vmcnt(0)
	s_delay_alu instid0(VALU_DEP_1) | instskip(SKIP_3) | instid1(VALU_DEP_2)
	v_rsq_f64_e32 v[0:1], v[2:3]
	s_waitcnt_depctr 0xfff
	v_mul_f64 v[2:3], v[0:1], -v[2:3]
	v_cmp_class_f64_e64 vcc_lo, v[0:1], 0x180
	v_fma_f64 v[2:3], v[2:3], v[0:1], 1.0
	s_delay_alu instid0(VALU_DEP_1) | instskip(SKIP_1) | instid1(VALU_DEP_1)
	v_mul_f64 v[4:5], v[0:1], v[2:3]
	v_fma_f64 v[2:3], 0x3fd80000, v[2:3], 0.5
	v_fma_f64 v[2:3], v[4:5], v[2:3], v[0:1]
	v_mul_lo_u32 v4, v11, s2
	v_and_b32_e32 v6, 0xff, v10
	s_delay_alu instid0(VALU_DEP_2) | instskip(SKIP_1) | instid1(VALU_DEP_1)
	v_ashrrev_i32_e32 v5, 31, v4
	v_add_co_u32 v4, s1, s4, v4
	v_add_co_ci_u32_e64 v5, s1, s5, v5, s1
	v_cndmask_b32_e32 v1, v1, v3, vcc_lo
	v_cmp_gt_i16_e64 s0, 11, v6
	v_cndmask_b32_e32 v0, v0, v2, vcc_lo
	s_delay_alu instid0(VALU_DEP_2)
	s_and_b32 vcc_lo, exec_lo, s0
	s_cbranch_vccnz .LBB192_19
; %bb.12:
	v_cmp_lt_i16_e32 vcc_lo, 25, v6
	s_cbranch_vccz .LBB192_22
; %bb.13:
	v_cmp_lt_i16_e32 vcc_lo, 28, v6
	s_cbranch_vccz .LBB192_24
	;; [unrolled: 3-line block ×4, first 2 shown]
; %bb.16:
	v_cmp_eq_u16_e32 vcc_lo, 46, v6
	s_mov_b32 s10, 0
	s_mov_b32 s0, -1
	s_mov_b32 s1, 0
	s_cbranch_vccz .LBB192_32
; %bb.17:
	v_cvt_f32_f64_e32 v2, v[0:1]
	s_mov_b32 s1, -1
	s_mov_b32 s0, 0
	s_delay_alu instid0(VALU_DEP_1) | instskip(SKIP_1) | instid1(VALU_DEP_2)
	v_bfe_u32 v3, v2, 16, 1
	v_cmp_o_f32_e32 vcc_lo, v2, v2
	v_add3_u32 v3, v2, v3, 0x7fff
	s_delay_alu instid0(VALU_DEP_1) | instskip(NEXT) | instid1(VALU_DEP_1)
	v_lshrrev_b32_e32 v3, 16, v3
	v_cndmask_b32_e32 v2, 0x7fc0, v3, vcc_lo
	global_store_b32 v[4:5], v2, off
	s_branch .LBB192_32
.LBB192_18:
	s_mov_b32 s0, 0
                                        ; implicit-def: $vgpr2_vgpr3
	s_and_b32 vcc_lo, exec_lo, s1
	s_cbranch_vccnz .LBB192_168
	s_branch .LBB192_200
.LBB192_19:
	s_mov_b32 s0, 0
	s_mov_b32 s1, 0
	s_cbranch_execnz .LBB192_101
.LBB192_20:
	s_and_not1_b32 vcc_lo, exec_lo, s1
	s_cbranch_vccnz .LBB192_249
	s_branch .LBB192_139
.LBB192_21:
	s_mov_b32 s0, 0
                                        ; implicit-def: $vgpr2_vgpr3
	s_branch .LBB192_147
.LBB192_22:
	s_mov_b32 s10, -1
	s_mov_b32 s0, 0
	s_mov_b32 s1, 0
	s_branch .LBB192_59
.LBB192_23:
	s_mov_b32 s0, 0
                                        ; implicit-def: $vgpr2_vgpr3
	s_branch .LBB192_142
.LBB192_24:
	s_mov_b32 s10, -1
	s_mov_b32 s0, 0
	s_mov_b32 s1, 0
	s_branch .LBB192_42
.LBB192_25:
	s_mov_b32 s10, -1
	s_mov_b32 s0, 0
	s_mov_b32 s1, 0
	s_branch .LBB192_38
.LBB192_26:
	s_mov_b32 s12, -1
.LBB192_27:
	s_mov_b32 s0, 0
                                        ; implicit-def: $vgpr2_vgpr3
.LBB192_28:
	s_and_b32 vcc_lo, exec_lo, s1
	s_cbranch_vccz .LBB192_141
; %bb.29:
	v_cmp_eq_u16_e32 vcc_lo, 44, v12
	s_cbranch_vccz .LBB192_140
; %bb.30:
	global_load_u8 v4, v[0:1], off
	s_mov_b32 s12, 0
	s_mov_b32 s0, -1
	s_waitcnt vmcnt(0)
	v_cmp_ne_u32_e32 vcc_lo, 0xff, v4
	v_lshlrev_b32_e32 v2, 23, v4
	s_delay_alu instid0(VALU_DEP_1) | instskip(NEXT) | instid1(VALU_DEP_1)
	v_cvt_f64_f32_e32 v[2:3], v2
	v_cndmask_b32_e32 v3, 0x7ff80000, v3, vcc_lo
	s_delay_alu instid0(VALU_DEP_2) | instskip(SKIP_1) | instid1(VALU_DEP_3)
	v_cndmask_b32_e32 v2, 0x20000000, v2, vcc_lo
	v_cmp_ne_u32_e32 vcc_lo, 0, v4
	v_cndmask_b32_e32 v3, 0x38000000, v3, vcc_lo
	s_delay_alu instid0(VALU_DEP_3)
	v_cndmask_b32_e32 v2, 0, v2, vcc_lo
	s_branch .LBB192_141
.LBB192_31:
	s_mov_b32 s10, -1
	s_mov_b32 s0, 0
	s_mov_b32 s1, 0
.LBB192_32:
	s_and_b32 vcc_lo, exec_lo, s10
	s_cbranch_vccz .LBB192_37
; %bb.33:
	v_cmp_eq_u16_e32 vcc_lo, 44, v6
	s_mov_b32 s0, -1
	s_cbranch_vccz .LBB192_37
; %bb.34:
	v_cvt_f32_f64_e32 v2, v[0:1]
	v_mov_b32_e32 v3, 0xff
	s_mov_b32 s1, exec_lo
	s_delay_alu instid0(VALU_DEP_2) | instskip(NEXT) | instid1(VALU_DEP_1)
	v_bfe_u32 v7, v2, 23, 8
	v_cmpx_ne_u32_e32 0xff, v7
; %bb.35:
	v_and_b32_e32 v3, 0x400000, v2
	v_and_or_b32 v7, 0x3fffff, v2, v7
	v_lshrrev_b32_e32 v2, 23, v2
	s_delay_alu instid0(VALU_DEP_3) | instskip(NEXT) | instid1(VALU_DEP_3)
	v_cmp_ne_u32_e32 vcc_lo, 0, v3
	v_cmp_ne_u32_e64 s0, 0, v7
	s_delay_alu instid0(VALU_DEP_1) | instskip(NEXT) | instid1(SALU_CYCLE_1)
	s_and_b32 s0, vcc_lo, s0
	v_cndmask_b32_e64 v3, 0, 1, s0
	s_delay_alu instid0(VALU_DEP_1)
	v_add_nc_u32_e32 v3, v2, v3
; %bb.36:
	s_or_b32 exec_lo, exec_lo, s1
	s_mov_b32 s1, -1
	s_mov_b32 s0, 0
	global_store_b8 v[4:5], v3, off
.LBB192_37:
	s_mov_b32 s10, 0
.LBB192_38:
	s_delay_alu instid0(SALU_CYCLE_1)
	s_and_b32 vcc_lo, exec_lo, s10
	s_cbranch_vccz .LBB192_41
; %bb.39:
	v_cmp_eq_u16_e32 vcc_lo, 29, v6
	s_mov_b32 s0, -1
	s_cbranch_vccz .LBB192_41
; %bb.40:
	v_trunc_f64_e32 v[2:3], v[0:1]
	s_mov_b32 s1, -1
	s_mov_b32 s0, 0
	s_mov_b32 s10, 0
	s_delay_alu instid0(VALU_DEP_1) | instskip(NEXT) | instid1(VALU_DEP_1)
	v_ldexp_f64 v[7:8], v[2:3], 0xffffffe0
	v_floor_f64_e32 v[7:8], v[7:8]
	s_delay_alu instid0(VALU_DEP_1) | instskip(SKIP_1) | instid1(VALU_DEP_2)
	v_fma_f64 v[2:3], 0xc1f00000, v[7:8], v[2:3]
	v_cvt_u32_f64_e32 v8, v[7:8]
	v_cvt_u32_f64_e32 v7, v[2:3]
	global_store_b64 v[4:5], v[7:8], off
	s_branch .LBB192_42
.LBB192_41:
	s_mov_b32 s10, 0
.LBB192_42:
	s_delay_alu instid0(SALU_CYCLE_1)
	s_and_b32 vcc_lo, exec_lo, s10
	s_cbranch_vccz .LBB192_58
; %bb.43:
	v_cmp_gt_i16_e32 vcc_lo, 27, v6
	s_mov_b32 s1, -1
	s_cbranch_vccnz .LBB192_49
; %bb.44:
	v_cmp_lt_i16_e32 vcc_lo, 27, v6
	s_cbranch_vccz .LBB192_46
; %bb.45:
	v_cvt_u32_f64_e32 v2, v[0:1]
	s_mov_b32 s1, 0
	global_store_b32 v[4:5], v2, off
.LBB192_46:
	s_and_not1_b32 vcc_lo, exec_lo, s1
	s_cbranch_vccnz .LBB192_48
; %bb.47:
	v_cvt_u32_f64_e32 v2, v[0:1]
	global_store_b16 v[4:5], v2, off
.LBB192_48:
	s_mov_b32 s1, 0
.LBB192_49:
	s_delay_alu instid0(SALU_CYCLE_1)
	s_and_not1_b32 vcc_lo, exec_lo, s1
	s_cbranch_vccnz .LBB192_57
; %bb.50:
	v_cvt_f32_f64_e32 v2, v[0:1]
	v_mov_b32_e32 v7, 0x80
	s_mov_b32 s1, exec_lo
	s_delay_alu instid0(VALU_DEP_2) | instskip(NEXT) | instid1(VALU_DEP_1)
	v_and_b32_e32 v3, 0x7fffffff, v2
	v_cmpx_gt_u32_e32 0x43800000, v3
	s_cbranch_execz .LBB192_56
; %bb.51:
	v_cmp_lt_u32_e32 vcc_lo, 0x3bffffff, v3
	s_mov_b32 s10, 0
                                        ; implicit-def: $vgpr3
	s_and_saveexec_b32 s15, vcc_lo
	s_delay_alu instid0(SALU_CYCLE_1)
	s_xor_b32 s15, exec_lo, s15
	s_cbranch_execz .LBB192_275
; %bb.52:
	v_bfe_u32 v3, v2, 20, 1
	s_mov_b32 s10, exec_lo
	s_delay_alu instid0(VALU_DEP_1) | instskip(NEXT) | instid1(VALU_DEP_1)
	v_add3_u32 v3, v2, v3, 0x487ffff
	v_lshrrev_b32_e32 v3, 20, v3
	s_or_saveexec_b32 s15, s15
                                        ; implicit-def: $sgpr16
	s_delay_alu instid0(SALU_CYCLE_1)
	s_xor_b32 exec_lo, exec_lo, s15
	s_cbranch_execnz .LBB192_276
.LBB192_53:
	s_or_b32 exec_lo, exec_lo, s15
	v_mov_b32_e32 v7, s16
	s_and_saveexec_b32 s15, s10
.LBB192_54:
	v_lshrrev_b32_e32 v2, 24, v2
	s_delay_alu instid0(VALU_DEP_1)
	v_and_or_b32 v7, 0x80, v2, v3
.LBB192_55:
	s_or_b32 exec_lo, exec_lo, s15
.LBB192_56:
	s_delay_alu instid0(SALU_CYCLE_1)
	s_or_b32 exec_lo, exec_lo, s1
	global_store_b8 v[4:5], v7, off
.LBB192_57:
	s_mov_b32 s1, -1
.LBB192_58:
	s_mov_b32 s10, 0
.LBB192_59:
	s_delay_alu instid0(SALU_CYCLE_1)
	s_and_b32 vcc_lo, exec_lo, s10
	s_cbranch_vccz .LBB192_100
; %bb.60:
	v_cmp_lt_i16_e32 vcc_lo, 22, v6
	s_mov_b32 s10, -1
	s_cbranch_vccz .LBB192_92
; %bb.61:
	v_cmp_gt_i16_e32 vcc_lo, 24, v6
	s_mov_b32 s1, -1
	s_cbranch_vccnz .LBB192_81
; %bb.62:
	v_cmp_lt_i16_e32 vcc_lo, 24, v6
	s_cbranch_vccz .LBB192_70
; %bb.63:
	v_cvt_f32_f64_e32 v2, v[0:1]
	v_mov_b32_e32 v7, 0x80
	s_mov_b32 s1, exec_lo
	s_delay_alu instid0(VALU_DEP_2) | instskip(NEXT) | instid1(VALU_DEP_1)
	v_and_b32_e32 v3, 0x7fffffff, v2
	v_cmpx_gt_u32_e32 0x47800000, v3
	s_cbranch_execz .LBB192_69
; %bb.64:
	v_cmp_lt_u32_e32 vcc_lo, 0x37ffffff, v3
	s_mov_b32 s10, 0
                                        ; implicit-def: $vgpr3
	s_and_saveexec_b32 s15, vcc_lo
	s_delay_alu instid0(SALU_CYCLE_1)
	s_xor_b32 s15, exec_lo, s15
	s_cbranch_execz .LBB192_279
; %bb.65:
	v_bfe_u32 v3, v2, 21, 1
	s_mov_b32 s10, exec_lo
	s_delay_alu instid0(VALU_DEP_1) | instskip(NEXT) | instid1(VALU_DEP_1)
	v_add3_u32 v3, v2, v3, 0x88fffff
	v_lshrrev_b32_e32 v3, 21, v3
	s_or_saveexec_b32 s15, s15
                                        ; implicit-def: $sgpr16
	s_delay_alu instid0(SALU_CYCLE_1)
	s_xor_b32 exec_lo, exec_lo, s15
	s_cbranch_execnz .LBB192_280
.LBB192_66:
	s_or_b32 exec_lo, exec_lo, s15
	v_mov_b32_e32 v7, s16
	s_and_saveexec_b32 s15, s10
.LBB192_67:
	v_lshrrev_b32_e32 v2, 24, v2
	s_delay_alu instid0(VALU_DEP_1)
	v_and_or_b32 v7, 0x80, v2, v3
.LBB192_68:
	s_or_b32 exec_lo, exec_lo, s15
.LBB192_69:
	s_delay_alu instid0(SALU_CYCLE_1)
	s_or_b32 exec_lo, exec_lo, s1
	s_mov_b32 s1, 0
	global_store_b8 v[4:5], v7, off
.LBB192_70:
	s_and_b32 vcc_lo, exec_lo, s1
	s_cbranch_vccz .LBB192_80
; %bb.71:
	v_cvt_f32_f64_e32 v2, v[0:1]
	s_mov_b32 s1, exec_lo
                                        ; implicit-def: $vgpr3
	s_delay_alu instid0(VALU_DEP_1) | instskip(NEXT) | instid1(VALU_DEP_1)
	v_and_b32_e32 v7, 0x7fffffff, v2
	v_cmpx_gt_u32_e32 0x43f00000, v7
	s_xor_b32 s1, exec_lo, s1
	s_cbranch_execz .LBB192_77
; %bb.72:
	s_mov_b32 s10, exec_lo
                                        ; implicit-def: $vgpr3
	v_cmpx_lt_u32_e32 0x3c7fffff, v7
	s_xor_b32 s10, exec_lo, s10
; %bb.73:
	v_bfe_u32 v3, v2, 20, 1
	s_delay_alu instid0(VALU_DEP_1) | instskip(NEXT) | instid1(VALU_DEP_1)
	v_add3_u32 v3, v2, v3, 0x407ffff
	v_and_b32_e32 v7, 0xff00000, v3
	v_lshrrev_b32_e32 v3, 20, v3
	s_delay_alu instid0(VALU_DEP_2) | instskip(NEXT) | instid1(VALU_DEP_2)
	v_cmp_ne_u32_e32 vcc_lo, 0x7f00000, v7
	v_cndmask_b32_e32 v3, 0x7e, v3, vcc_lo
; %bb.74:
	s_and_not1_saveexec_b32 s10, s10
; %bb.75:
	v_add_f32_e64 v3, 0x46800000, |v2|
; %bb.76:
	s_or_b32 exec_lo, exec_lo, s10
                                        ; implicit-def: $vgpr7
.LBB192_77:
	s_and_not1_saveexec_b32 s1, s1
; %bb.78:
	v_mov_b32_e32 v3, 0x7f
	v_cmp_lt_u32_e32 vcc_lo, 0x7f800000, v7
	s_delay_alu instid0(VALU_DEP_2)
	v_cndmask_b32_e32 v3, 0x7e, v3, vcc_lo
; %bb.79:
	s_or_b32 exec_lo, exec_lo, s1
	v_lshrrev_b32_e32 v2, 24, v2
	s_delay_alu instid0(VALU_DEP_1)
	v_and_or_b32 v2, 0x80, v2, v3
	global_store_b8 v[4:5], v2, off
.LBB192_80:
	s_mov_b32 s1, 0
.LBB192_81:
	s_delay_alu instid0(SALU_CYCLE_1)
	s_and_not1_b32 vcc_lo, exec_lo, s1
	s_cbranch_vccnz .LBB192_91
; %bb.82:
	v_cvt_f32_f64_e32 v2, v[0:1]
	s_mov_b32 s1, exec_lo
                                        ; implicit-def: $vgpr3
	s_delay_alu instid0(VALU_DEP_1) | instskip(NEXT) | instid1(VALU_DEP_1)
	v_and_b32_e32 v7, 0x7fffffff, v2
	v_cmpx_gt_u32_e32 0x47800000, v7
	s_xor_b32 s1, exec_lo, s1
	s_cbranch_execz .LBB192_88
; %bb.83:
	s_mov_b32 s10, exec_lo
                                        ; implicit-def: $vgpr3
	v_cmpx_lt_u32_e32 0x387fffff, v7
	s_xor_b32 s10, exec_lo, s10
; %bb.84:
	v_bfe_u32 v3, v2, 21, 1
	s_delay_alu instid0(VALU_DEP_1) | instskip(NEXT) | instid1(VALU_DEP_1)
	v_add3_u32 v3, v2, v3, 0x80fffff
	v_lshrrev_b32_e32 v3, 21, v3
; %bb.85:
	s_and_not1_saveexec_b32 s10, s10
; %bb.86:
	v_add_f32_e64 v3, 0x43000000, |v2|
; %bb.87:
	s_or_b32 exec_lo, exec_lo, s10
                                        ; implicit-def: $vgpr7
.LBB192_88:
	s_and_not1_saveexec_b32 s1, s1
; %bb.89:
	v_mov_b32_e32 v3, 0x7f
	v_cmp_lt_u32_e32 vcc_lo, 0x7f800000, v7
	s_delay_alu instid0(VALU_DEP_2)
	v_cndmask_b32_e32 v3, 0x7c, v3, vcc_lo
; %bb.90:
	s_or_b32 exec_lo, exec_lo, s1
	v_lshrrev_b32_e32 v2, 24, v2
	s_delay_alu instid0(VALU_DEP_1)
	v_and_or_b32 v2, 0x80, v2, v3
	global_store_b8 v[4:5], v2, off
.LBB192_91:
	s_mov_b32 s10, 0
	s_mov_b32 s1, -1
.LBB192_92:
	s_and_not1_b32 vcc_lo, exec_lo, s10
	s_cbranch_vccnz .LBB192_100
; %bb.93:
	v_cmp_lt_i16_e32 vcc_lo, 14, v6
	s_mov_b32 s10, -1
	s_cbranch_vccz .LBB192_97
; %bb.94:
	v_cmp_eq_u16_e32 vcc_lo, 15, v6
	s_mov_b32 s0, -1
	s_cbranch_vccz .LBB192_96
; %bb.95:
	v_cvt_f32_f64_e32 v2, v[0:1]
	s_mov_b32 s1, -1
	s_mov_b32 s0, 0
	s_delay_alu instid0(VALU_DEP_1) | instskip(SKIP_1) | instid1(VALU_DEP_2)
	v_bfe_u32 v3, v2, 16, 1
	v_cmp_o_f32_e32 vcc_lo, v2, v2
	v_add3_u32 v3, v2, v3, 0x7fff
	s_delay_alu instid0(VALU_DEP_1) | instskip(NEXT) | instid1(VALU_DEP_1)
	v_lshrrev_b32_e32 v3, 16, v3
	v_cndmask_b32_e32 v2, 0x7fc0, v3, vcc_lo
	global_store_b16 v[4:5], v2, off
.LBB192_96:
	s_mov_b32 s10, 0
.LBB192_97:
	s_delay_alu instid0(SALU_CYCLE_1)
	s_and_b32 vcc_lo, exec_lo, s10
	s_cbranch_vccz .LBB192_100
; %bb.98:
	v_cmp_eq_u16_e32 vcc_lo, 11, v6
	s_mov_b32 s0, -1
	s_cbranch_vccz .LBB192_100
; %bb.99:
	v_cmp_neq_f64_e32 vcc_lo, 0, v[0:1]
	s_mov_b32 s1, -1
	s_mov_b32 s0, 0
	v_cndmask_b32_e64 v2, 0, 1, vcc_lo
	global_store_b8 v[4:5], v2, off
.LBB192_100:
	s_branch .LBB192_20
.LBB192_101:
	v_cmp_gt_i16_e32 vcc_lo, 5, v6
	s_mov_b32 s1, -1
	s_cbranch_vccnz .LBB192_122
; %bb.102:
	v_cmp_gt_i16_e32 vcc_lo, 8, v6
	s_cbranch_vccnz .LBB192_112
; %bb.103:
	v_cmp_gt_i16_e32 vcc_lo, 9, v6
	s_cbranch_vccnz .LBB192_109
; %bb.104:
	v_cmp_lt_i16_e32 vcc_lo, 9, v6
	s_cbranch_vccz .LBB192_106
; %bb.105:
	v_mov_b32_e32 v2, 0
	s_mov_b32 s1, 0
	s_delay_alu instid0(VALU_DEP_1)
	v_mov_b32_e32 v3, v2
	global_store_b128 v[4:5], v[0:3], off
.LBB192_106:
	s_and_not1_b32 vcc_lo, exec_lo, s1
	s_cbranch_vccnz .LBB192_108
; %bb.107:
	v_cvt_f32_f64_e32 v2, v[0:1]
	v_mov_b32_e32 v3, 0
	global_store_b64 v[4:5], v[2:3], off
.LBB192_108:
	s_mov_b32 s1, 0
.LBB192_109:
	s_delay_alu instid0(SALU_CYCLE_1)
	s_and_not1_b32 vcc_lo, exec_lo, s1
	s_cbranch_vccnz .LBB192_111
; %bb.110:
	v_cvt_f32_f64_e32 v2, v[0:1]
	s_delay_alu instid0(VALU_DEP_1) | instskip(NEXT) | instid1(VALU_DEP_1)
	v_cvt_f16_f32_e32 v2, v2
	v_and_b32_e32 v2, 0xffff, v2
	global_store_b32 v[4:5], v2, off
.LBB192_111:
	s_mov_b32 s1, 0
.LBB192_112:
	s_delay_alu instid0(SALU_CYCLE_1)
	s_and_not1_b32 vcc_lo, exec_lo, s1
	s_cbranch_vccnz .LBB192_121
; %bb.113:
	v_cmp_gt_i16_e32 vcc_lo, 6, v6
	s_mov_b32 s1, -1
	s_cbranch_vccnz .LBB192_119
; %bb.114:
	v_cmp_lt_i16_e32 vcc_lo, 6, v6
	s_cbranch_vccz .LBB192_116
; %bb.115:
	s_mov_b32 s1, 0
	global_store_b64 v[4:5], v[0:1], off
.LBB192_116:
	s_and_not1_b32 vcc_lo, exec_lo, s1
	s_cbranch_vccnz .LBB192_118
; %bb.117:
	v_cvt_f32_f64_e32 v2, v[0:1]
	global_store_b32 v[4:5], v2, off
.LBB192_118:
	s_mov_b32 s1, 0
.LBB192_119:
	s_delay_alu instid0(SALU_CYCLE_1)
	s_and_not1_b32 vcc_lo, exec_lo, s1
	s_cbranch_vccnz .LBB192_121
; %bb.120:
	v_cvt_f32_f64_e32 v2, v[0:1]
	s_delay_alu instid0(VALU_DEP_1)
	v_cvt_f16_f32_e32 v2, v2
	global_store_b16 v[4:5], v2, off
.LBB192_121:
	s_mov_b32 s1, 0
.LBB192_122:
	s_delay_alu instid0(SALU_CYCLE_1)
	s_and_not1_b32 vcc_lo, exec_lo, s1
	s_cbranch_vccnz .LBB192_138
; %bb.123:
	v_cmp_gt_i16_e32 vcc_lo, 2, v6
	s_mov_b32 s1, -1
	s_cbranch_vccnz .LBB192_133
; %bb.124:
	v_cmp_gt_i16_e32 vcc_lo, 3, v6
	s_cbranch_vccnz .LBB192_130
; %bb.125:
	v_cmp_lt_i16_e32 vcc_lo, 3, v6
	s_cbranch_vccz .LBB192_127
; %bb.126:
	v_trunc_f64_e32 v[2:3], v[0:1]
	s_mov_b32 s1, 0
	s_delay_alu instid0(VALU_DEP_1) | instskip(NEXT) | instid1(VALU_DEP_1)
	v_ldexp_f64 v[7:8], v[2:3], 0xffffffe0
	v_floor_f64_e32 v[7:8], v[7:8]
	s_delay_alu instid0(VALU_DEP_1) | instskip(SKIP_1) | instid1(VALU_DEP_2)
	v_fma_f64 v[2:3], 0xc1f00000, v[7:8], v[2:3]
	v_cvt_i32_f64_e32 v8, v[7:8]
	v_cvt_u32_f64_e32 v7, v[2:3]
	global_store_b64 v[4:5], v[7:8], off
.LBB192_127:
	s_and_not1_b32 vcc_lo, exec_lo, s1
	s_cbranch_vccnz .LBB192_129
; %bb.128:
	v_cvt_i32_f64_e32 v2, v[0:1]
	global_store_b32 v[4:5], v2, off
.LBB192_129:
	s_mov_b32 s1, 0
.LBB192_130:
	s_delay_alu instid0(SALU_CYCLE_1)
	s_and_not1_b32 vcc_lo, exec_lo, s1
	s_cbranch_vccnz .LBB192_132
; %bb.131:
	v_cvt_i32_f64_e32 v2, v[0:1]
	global_store_b16 v[4:5], v2, off
.LBB192_132:
	s_mov_b32 s1, 0
.LBB192_133:
	s_delay_alu instid0(SALU_CYCLE_1)
	s_and_not1_b32 vcc_lo, exec_lo, s1
	s_cbranch_vccnz .LBB192_138
; %bb.134:
	v_cmp_lt_i16_e32 vcc_lo, 0, v6
	s_mov_b32 s1, -1
	s_cbranch_vccz .LBB192_136
; %bb.135:
	v_cvt_i32_f64_e32 v2, v[0:1]
	s_mov_b32 s1, 0
	global_store_b8 v[4:5], v2, off
.LBB192_136:
	s_and_not1_b32 vcc_lo, exec_lo, s1
	s_cbranch_vccnz .LBB192_138
; %bb.137:
	v_trunc_f64_e32 v[0:1], v[0:1]
	s_delay_alu instid0(VALU_DEP_1) | instskip(NEXT) | instid1(VALU_DEP_1)
	v_ldexp_f64 v[2:3], v[0:1], 0xffffffe0
	v_floor_f64_e32 v[2:3], v[2:3]
	s_delay_alu instid0(VALU_DEP_1) | instskip(NEXT) | instid1(VALU_DEP_1)
	v_fma_f64 v[0:1], 0xc1f00000, v[2:3], v[0:1]
	v_cvt_u32_f64_e32 v0, v[0:1]
	global_store_b8 v[4:5], v0, off
.LBB192_138:
.LBB192_139:
	v_add_nc_u32_e32 v11, 0x80, v11
	s_mov_b32 s1, -1
	s_branch .LBB192_250
.LBB192_140:
	s_mov_b32 s12, -1
                                        ; implicit-def: $vgpr2_vgpr3
.LBB192_141:
	s_mov_b32 s1, 0
.LBB192_142:
	s_delay_alu instid0(SALU_CYCLE_1)
	s_and_b32 vcc_lo, exec_lo, s1
	s_cbranch_vccz .LBB192_146
; %bb.143:
	v_cmp_eq_u16_e32 vcc_lo, 29, v12
	s_cbranch_vccz .LBB192_145
; %bb.144:
	global_load_b64 v[2:3], v[0:1], off
	s_mov_b32 s0, -1
	s_mov_b32 s12, 0
	s_mov_b32 s1, 0
	s_waitcnt vmcnt(0)
	v_cvt_f64_u32_e32 v[3:4], v3
	v_cvt_f64_u32_e32 v[5:6], v2
	s_delay_alu instid0(VALU_DEP_2) | instskip(NEXT) | instid1(VALU_DEP_1)
	v_ldexp_f64 v[3:4], v[3:4], 32
	v_add_f64 v[2:3], v[3:4], v[5:6]
	s_branch .LBB192_147
.LBB192_145:
	s_mov_b32 s12, -1
                                        ; implicit-def: $vgpr2_vgpr3
.LBB192_146:
	s_mov_b32 s1, 0
.LBB192_147:
	s_delay_alu instid0(SALU_CYCLE_1)
	s_and_b32 vcc_lo, exec_lo, s1
	s_cbranch_vccz .LBB192_167
; %bb.148:
	v_cmp_gt_i16_e32 vcc_lo, 27, v12
	s_cbranch_vccnz .LBB192_151
; %bb.149:
	v_cmp_lt_i16_e32 vcc_lo, 27, v12
	s_cbranch_vccz .LBB192_152
; %bb.150:
	global_load_b32 v2, v[0:1], off
	s_mov_b32 s0, 0
	s_waitcnt vmcnt(0)
	v_cvt_f64_u32_e32 v[2:3], v2
	s_branch .LBB192_153
.LBB192_151:
	s_mov_b32 s0, -1
                                        ; implicit-def: $vgpr2_vgpr3
	s_branch .LBB192_156
.LBB192_152:
	s_mov_b32 s0, -1
                                        ; implicit-def: $vgpr2_vgpr3
.LBB192_153:
	s_delay_alu instid0(SALU_CYCLE_1)
	s_and_not1_b32 vcc_lo, exec_lo, s0
	s_cbranch_vccnz .LBB192_155
; %bb.154:
	global_load_u16 v2, v[0:1], off
	s_waitcnt vmcnt(0)
	v_cvt_f64_u32_e32 v[2:3], v2
.LBB192_155:
	s_mov_b32 s0, 0
.LBB192_156:
	s_delay_alu instid0(SALU_CYCLE_1)
	s_and_not1_b32 vcc_lo, exec_lo, s0
	s_cbranch_vccnz .LBB192_166
; %bb.157:
	global_load_u8 v4, v[0:1], off
	s_mov_b32 s15, exec_lo
                                        ; implicit-def: $sgpr0_sgpr1
	s_waitcnt vmcnt(0)
	v_cmpx_lt_i16_e32 0x7f, v4
	s_xor_b32 s15, exec_lo, s15
	s_cbranch_execz .LBB192_161
; %bb.158:
	s_mov_b32 s16, -1
	s_mov_b32 s10, exec_lo
                                        ; implicit-def: $sgpr0_sgpr1
	v_cmpx_eq_u16_e32 0x80, v4
; %bb.159:
	s_mov_b32 s1, 0x7ff80000
	s_brev_b32 s0, 4
	s_xor_b32 s16, exec_lo, -1
; %bb.160:
	s_or_b32 exec_lo, exec_lo, s10
	s_delay_alu instid0(SALU_CYCLE_1)
	s_and_b32 s10, s16, exec_lo
.LBB192_161:
	s_or_saveexec_b32 s15, s15
	v_dual_mov_b32 v3, s1 :: v_dual_mov_b32 v2, s0
	s_xor_b32 exec_lo, exec_lo, s15
; %bb.162:
	v_cmp_ne_u16_e32 vcc_lo, 0, v4
	v_mov_b32_e32 v2, 0
	v_mov_b32_e32 v3, 0
	s_and_not1_b32 s0, s10, exec_lo
	s_and_b32 s1, vcc_lo, exec_lo
	s_delay_alu instid0(SALU_CYCLE_1)
	s_or_b32 s10, s0, s1
; %bb.163:
	s_or_b32 exec_lo, exec_lo, s15
	s_and_saveexec_b32 s0, s10
	s_cbranch_execz .LBB192_165
; %bb.164:
	v_and_b32_e32 v2, 0xffff, v4
	v_lshlrev_b32_e32 v4, 24, v4
	s_delay_alu instid0(VALU_DEP_2) | instskip(NEXT) | instid1(VALU_DEP_2)
	v_and_b32_e32 v3, 7, v2
	v_and_b32_e32 v4, 0x80000000, v4
	s_delay_alu instid0(VALU_DEP_2) | instskip(NEXT) | instid1(VALU_DEP_1)
	v_clz_i32_u32_e32 v5, v3
	v_min_u32_e32 v5, 32, v5
	s_delay_alu instid0(VALU_DEP_1) | instskip(SKIP_1) | instid1(VALU_DEP_2)
	v_subrev_nc_u32_e32 v6, 28, v5
	v_sub_nc_u32_e32 v5, 29, v5
	v_lshlrev_b32_e32 v6, v6, v2
	v_bfe_u32 v2, v2, 3, 4
	s_delay_alu instid0(VALU_DEP_2) | instskip(NEXT) | instid1(VALU_DEP_2)
	v_and_b32_e32 v6, 7, v6
	v_cmp_eq_u32_e32 vcc_lo, 0, v2
	s_delay_alu instid0(VALU_DEP_2) | instskip(NEXT) | instid1(VALU_DEP_1)
	v_dual_cndmask_b32 v2, v2, v5 :: v_dual_cndmask_b32 v3, v3, v6
	v_lshl_add_u32 v2, v2, 23, 0x3b800000
	s_delay_alu instid0(VALU_DEP_2) | instskip(NEXT) | instid1(VALU_DEP_1)
	v_lshlrev_b32_e32 v3, 20, v3
	v_or3_b32 v2, v4, v2, v3
	s_delay_alu instid0(VALU_DEP_1)
	v_cvt_f64_f32_e32 v[2:3], v2
.LBB192_165:
	s_or_b32 exec_lo, exec_lo, s0
.LBB192_166:
	s_mov_b32 s0, -1
.LBB192_167:
	s_branch .LBB192_200
.LBB192_168:
	v_cmp_lt_i16_e32 vcc_lo, 22, v12
	s_cbranch_vccz .LBB192_180
; %bb.169:
	v_cmp_gt_i16_e32 vcc_lo, 24, v12
	s_cbranch_vccnz .LBB192_181
; %bb.170:
	v_cmp_lt_i16_e32 vcc_lo, 24, v12
	s_cbranch_vccz .LBB192_182
; %bb.171:
	global_load_u8 v4, v[0:1], off
	s_mov_b32 s10, 0
	s_mov_b32 s15, exec_lo
                                        ; implicit-def: $sgpr0_sgpr1
	s_waitcnt vmcnt(0)
	v_cmpx_lt_i16_e32 0x7f, v4
	s_xor_b32 s15, exec_lo, s15
	s_cbranch_execz .LBB192_175
; %bb.172:
	s_mov_b32 s16, -1
	s_mov_b32 s10, exec_lo
                                        ; implicit-def: $sgpr0_sgpr1
	v_cmpx_eq_u16_e32 0x80, v4
; %bb.173:
	s_mov_b32 s1, 0x7ff80000
	s_brev_b32 s0, 4
	s_xor_b32 s16, exec_lo, -1
; %bb.174:
	s_or_b32 exec_lo, exec_lo, s10
	s_delay_alu instid0(SALU_CYCLE_1)
	s_and_b32 s10, s16, exec_lo
.LBB192_175:
	s_or_saveexec_b32 s15, s15
	v_dual_mov_b32 v3, s1 :: v_dual_mov_b32 v2, s0
	s_xor_b32 exec_lo, exec_lo, s15
; %bb.176:
	v_cmp_ne_u16_e32 vcc_lo, 0, v4
	v_mov_b32_e32 v2, 0
	v_mov_b32_e32 v3, 0
	s_and_not1_b32 s0, s10, exec_lo
	s_and_b32 s1, vcc_lo, exec_lo
	s_delay_alu instid0(SALU_CYCLE_1)
	s_or_b32 s10, s0, s1
; %bb.177:
	s_or_b32 exec_lo, exec_lo, s15
	s_and_saveexec_b32 s0, s10
	s_cbranch_execz .LBB192_179
; %bb.178:
	v_and_b32_e32 v2, 0xffff, v4
	v_lshlrev_b32_e32 v4, 24, v4
	s_delay_alu instid0(VALU_DEP_2) | instskip(NEXT) | instid1(VALU_DEP_2)
	v_and_b32_e32 v3, 3, v2
	v_and_b32_e32 v4, 0x80000000, v4
	s_delay_alu instid0(VALU_DEP_2) | instskip(NEXT) | instid1(VALU_DEP_1)
	v_clz_i32_u32_e32 v5, v3
	v_min_u32_e32 v5, 32, v5
	s_delay_alu instid0(VALU_DEP_1) | instskip(SKIP_1) | instid1(VALU_DEP_2)
	v_subrev_nc_u32_e32 v6, 29, v5
	v_sub_nc_u32_e32 v5, 30, v5
	v_lshlrev_b32_e32 v6, v6, v2
	v_bfe_u32 v2, v2, 2, 5
	s_delay_alu instid0(VALU_DEP_2) | instskip(NEXT) | instid1(VALU_DEP_2)
	v_and_b32_e32 v6, 3, v6
	v_cmp_eq_u32_e32 vcc_lo, 0, v2
	s_delay_alu instid0(VALU_DEP_2) | instskip(NEXT) | instid1(VALU_DEP_1)
	v_dual_cndmask_b32 v2, v2, v5 :: v_dual_cndmask_b32 v3, v3, v6
	v_lshl_add_u32 v2, v2, 23, 0x37800000
	s_delay_alu instid0(VALU_DEP_2) | instskip(NEXT) | instid1(VALU_DEP_1)
	v_lshlrev_b32_e32 v3, 21, v3
	v_or3_b32 v2, v4, v2, v3
	s_delay_alu instid0(VALU_DEP_1)
	v_cvt_f64_f32_e32 v[2:3], v2
.LBB192_179:
	s_or_b32 exec_lo, exec_lo, s0
	s_mov_b32 s0, 0
	s_branch .LBB192_183
.LBB192_180:
	s_mov_b32 s1, -1
                                        ; implicit-def: $vgpr2_vgpr3
	s_branch .LBB192_189
.LBB192_181:
	s_mov_b32 s0, -1
                                        ; implicit-def: $vgpr2_vgpr3
	s_branch .LBB192_186
.LBB192_182:
	s_mov_b32 s0, -1
                                        ; implicit-def: $vgpr2_vgpr3
.LBB192_183:
	s_delay_alu instid0(SALU_CYCLE_1)
	s_and_b32 vcc_lo, exec_lo, s0
	s_cbranch_vccz .LBB192_185
; %bb.184:
	global_load_u8 v2, v[0:1], off
	s_waitcnt vmcnt(0)
	v_lshlrev_b32_e32 v2, 24, v2
	s_delay_alu instid0(VALU_DEP_1) | instskip(NEXT) | instid1(VALU_DEP_1)
	v_and_b32_e32 v3, 0x7f000000, v2
	v_clz_i32_u32_e32 v4, v3
	v_add_nc_u32_e32 v6, 0x1000000, v3
	v_cmp_ne_u32_e32 vcc_lo, 0, v3
	s_delay_alu instid0(VALU_DEP_3) | instskip(NEXT) | instid1(VALU_DEP_1)
	v_min_u32_e32 v4, 32, v4
	v_sub_nc_u32_e64 v4, v4, 4 clamp
	s_delay_alu instid0(VALU_DEP_1) | instskip(SKIP_1) | instid1(VALU_DEP_2)
	v_lshlrev_b32_e32 v5, v4, v3
	v_lshlrev_b32_e32 v4, 23, v4
	v_lshrrev_b32_e32 v5, 4, v5
	s_delay_alu instid0(VALU_DEP_1) | instskip(SKIP_1) | instid1(VALU_DEP_2)
	v_sub_nc_u32_e32 v4, v5, v4
	v_ashrrev_i32_e32 v5, 8, v6
	v_add_nc_u32_e32 v4, 0x3c000000, v4
	s_delay_alu instid0(VALU_DEP_1) | instskip(NEXT) | instid1(VALU_DEP_1)
	v_and_or_b32 v4, 0x7f800000, v5, v4
	v_cndmask_b32_e32 v3, 0, v4, vcc_lo
	s_delay_alu instid0(VALU_DEP_1) | instskip(NEXT) | instid1(VALU_DEP_1)
	v_and_or_b32 v2, 0x80000000, v2, v3
	v_cvt_f64_f32_e32 v[2:3], v2
.LBB192_185:
	s_mov_b32 s0, 0
.LBB192_186:
	s_delay_alu instid0(SALU_CYCLE_1)
	s_and_not1_b32 vcc_lo, exec_lo, s0
	s_cbranch_vccnz .LBB192_188
; %bb.187:
	global_load_u8 v2, v[0:1], off
	s_waitcnt vmcnt(0)
	v_lshlrev_b32_e32 v3, 25, v2
	v_lshlrev_b16 v2, 8, v2
	s_delay_alu instid0(VALU_DEP_2) | instskip(NEXT) | instid1(VALU_DEP_2)
	v_lshrrev_b32_e32 v4, 4, v3
	v_and_or_b32 v5, 0x7f00, v2, 0.5
	v_bfe_i32 v2, v2, 0, 16
	s_delay_alu instid0(VALU_DEP_3) | instskip(NEXT) | instid1(VALU_DEP_1)
	v_or_b32_e32 v4, 0x70000000, v4
	v_dual_add_f32 v5, -0.5, v5 :: v_dual_mul_f32 v4, 0x7800000, v4
	v_cmp_gt_u32_e32 vcc_lo, 0x8000000, v3
	s_delay_alu instid0(VALU_DEP_2) | instskip(NEXT) | instid1(VALU_DEP_1)
	v_cndmask_b32_e32 v3, v4, v5, vcc_lo
	v_and_or_b32 v2, 0x80000000, v2, v3
	s_delay_alu instid0(VALU_DEP_1)
	v_cvt_f64_f32_e32 v[2:3], v2
.LBB192_188:
	s_mov_b32 s1, 0
	s_mov_b32 s0, -1
.LBB192_189:
	s_and_not1_b32 vcc_lo, exec_lo, s1
	s_cbranch_vccnz .LBB192_200
; %bb.190:
	v_cmp_lt_i16_e32 vcc_lo, 14, v12
	s_cbranch_vccz .LBB192_193
; %bb.191:
	v_cmp_eq_u16_e32 vcc_lo, 15, v12
	s_cbranch_vccz .LBB192_194
; %bb.192:
	global_load_u16 v2, v[0:1], off
	s_mov_b32 s0, -1
	s_mov_b32 s12, 0
	s_waitcnt vmcnt(0)
	v_lshlrev_b32_e32 v2, 16, v2
	s_delay_alu instid0(VALU_DEP_1)
	v_cvt_f64_f32_e32 v[2:3], v2
	s_branch .LBB192_195
.LBB192_193:
	s_mov_b32 s1, -1
                                        ; implicit-def: $vgpr2_vgpr3
	s_branch .LBB192_196
.LBB192_194:
	s_mov_b32 s12, -1
                                        ; implicit-def: $vgpr2_vgpr3
.LBB192_195:
	s_mov_b32 s1, 0
.LBB192_196:
	s_delay_alu instid0(SALU_CYCLE_1)
	s_and_b32 vcc_lo, exec_lo, s1
	s_cbranch_vccz .LBB192_200
; %bb.197:
	v_cmp_eq_u16_e32 vcc_lo, 11, v12
	s_cbranch_vccz .LBB192_199
; %bb.198:
	global_load_u8 v2, v[0:1], off
	s_mov_b32 s12, 0
	s_mov_b32 s0, -1
	s_waitcnt vmcnt(0)
	v_cmp_ne_u16_e32 vcc_lo, 0, v2
	v_mov_b32_e32 v2, 0
	v_cndmask_b32_e64 v3, 0, 0x3ff00000, vcc_lo
	s_branch .LBB192_200
.LBB192_199:
	s_mov_b32 s12, -1
                                        ; implicit-def: $vgpr2_vgpr3
.LBB192_200:
	s_branch .LBB192_10
.LBB192_201:
	v_cmp_gt_i16_e32 vcc_lo, 5, v12
	s_cbranch_vccnz .LBB192_206
; %bb.202:
	v_cmp_gt_i16_e32 vcc_lo, 8, v12
	s_cbranch_vccnz .LBB192_207
; %bb.203:
	;; [unrolled: 3-line block ×3, first 2 shown]
	v_cmp_lt_i16_e32 vcc_lo, 9, v12
	s_cbranch_vccz .LBB192_209
; %bb.205:
	global_load_b64 v[2:3], v[0:1], off
	s_mov_b32 s0, 0
	s_branch .LBB192_210
.LBB192_206:
                                        ; implicit-def: $vgpr2_vgpr3
	s_branch .LBB192_228
.LBB192_207:
	s_mov_b32 s0, -1
                                        ; implicit-def: $vgpr2_vgpr3
	s_branch .LBB192_216
.LBB192_208:
	s_mov_b32 s0, -1
                                        ; implicit-def: $vgpr2_vgpr3
	s_branch .LBB192_213
.LBB192_209:
	s_mov_b32 s0, -1
                                        ; implicit-def: $vgpr2_vgpr3
.LBB192_210:
	s_delay_alu instid0(SALU_CYCLE_1)
	s_and_not1_b32 vcc_lo, exec_lo, s0
	s_cbranch_vccnz .LBB192_212
; %bb.211:
	global_load_b32 v2, v[0:1], off
	s_waitcnt vmcnt(0)
	v_cvt_f64_f32_e32 v[2:3], v2
.LBB192_212:
	s_mov_b32 s0, 0
.LBB192_213:
	s_delay_alu instid0(SALU_CYCLE_1)
	s_and_not1_b32 vcc_lo, exec_lo, s0
	s_cbranch_vccnz .LBB192_215
; %bb.214:
	global_load_b32 v2, v[0:1], off
	s_waitcnt vmcnt(0)
	v_cvt_f32_f16_e32 v2, v2
	s_delay_alu instid0(VALU_DEP_1)
	v_cvt_f64_f32_e32 v[2:3], v2
.LBB192_215:
	s_mov_b32 s0, 0
.LBB192_216:
	s_delay_alu instid0(SALU_CYCLE_1)
	s_and_not1_b32 vcc_lo, exec_lo, s0
	s_cbranch_vccnz .LBB192_227
; %bb.217:
	v_cmp_gt_i16_e32 vcc_lo, 6, v12
	s_cbranch_vccnz .LBB192_220
; %bb.218:
	v_cmp_lt_i16_e32 vcc_lo, 6, v12
	s_cbranch_vccz .LBB192_221
; %bb.219:
	global_load_b64 v[2:3], v[0:1], off
	s_mov_b32 s0, 0
	s_branch .LBB192_222
.LBB192_220:
	s_mov_b32 s0, -1
                                        ; implicit-def: $vgpr2_vgpr3
	s_branch .LBB192_225
.LBB192_221:
	s_mov_b32 s0, -1
                                        ; implicit-def: $vgpr2_vgpr3
.LBB192_222:
	s_delay_alu instid0(SALU_CYCLE_1)
	s_and_not1_b32 vcc_lo, exec_lo, s0
	s_cbranch_vccnz .LBB192_224
; %bb.223:
	global_load_b32 v2, v[0:1], off
	s_waitcnt vmcnt(0)
	v_cvt_f64_f32_e32 v[2:3], v2
.LBB192_224:
	s_mov_b32 s0, 0
.LBB192_225:
	s_delay_alu instid0(SALU_CYCLE_1)
	s_and_not1_b32 vcc_lo, exec_lo, s0
	s_cbranch_vccnz .LBB192_227
; %bb.226:
	global_load_u16 v2, v[0:1], off
	s_waitcnt vmcnt(0)
	v_cvt_f32_f16_e32 v2, v2
	s_delay_alu instid0(VALU_DEP_1)
	v_cvt_f64_f32_e32 v[2:3], v2
.LBB192_227:
	s_cbranch_execnz .LBB192_247
.LBB192_228:
	v_cmp_gt_i16_e32 vcc_lo, 2, v12
	s_cbranch_vccnz .LBB192_232
; %bb.229:
	v_cmp_gt_i16_e32 vcc_lo, 3, v12
	s_cbranch_vccnz .LBB192_233
; %bb.230:
	v_cmp_lt_i16_e32 vcc_lo, 3, v12
	s_cbranch_vccz .LBB192_234
; %bb.231:
	global_load_b64 v[2:3], v[0:1], off
	s_mov_b32 s0, 0
	s_waitcnt vmcnt(0)
	v_cvt_f64_i32_e32 v[3:4], v3
	v_cvt_f64_u32_e32 v[5:6], v2
	s_delay_alu instid0(VALU_DEP_2) | instskip(NEXT) | instid1(VALU_DEP_1)
	v_ldexp_f64 v[3:4], v[3:4], 32
	v_add_f64 v[2:3], v[3:4], v[5:6]
	s_branch .LBB192_235
.LBB192_232:
	s_mov_b32 s0, -1
                                        ; implicit-def: $vgpr2_vgpr3
	s_branch .LBB192_241
.LBB192_233:
	s_mov_b32 s0, -1
                                        ; implicit-def: $vgpr2_vgpr3
	s_branch .LBB192_238
.LBB192_234:
	s_mov_b32 s0, -1
                                        ; implicit-def: $vgpr2_vgpr3
.LBB192_235:
	s_delay_alu instid0(SALU_CYCLE_1)
	s_and_not1_b32 vcc_lo, exec_lo, s0
	s_cbranch_vccnz .LBB192_237
; %bb.236:
	global_load_b32 v2, v[0:1], off
	s_waitcnt vmcnt(0)
	v_cvt_f64_i32_e32 v[2:3], v2
.LBB192_237:
	s_mov_b32 s0, 0
.LBB192_238:
	s_delay_alu instid0(SALU_CYCLE_1)
	s_and_not1_b32 vcc_lo, exec_lo, s0
	s_cbranch_vccnz .LBB192_240
; %bb.239:
	global_load_i16 v2, v[0:1], off
	s_waitcnt vmcnt(0)
	v_cvt_f64_i32_e32 v[2:3], v2
.LBB192_240:
	s_mov_b32 s0, 0
.LBB192_241:
	s_delay_alu instid0(SALU_CYCLE_1)
	s_and_not1_b32 vcc_lo, exec_lo, s0
	s_cbranch_vccnz .LBB192_247
; %bb.242:
	v_cmp_lt_i16_e32 vcc_lo, 0, v12
	s_mov_b32 s0, 0
	s_cbranch_vccz .LBB192_244
; %bb.243:
	global_load_i8 v2, v[0:1], off
	s_waitcnt vmcnt(0)
	v_cvt_f64_i32_e32 v[2:3], v2
	s_branch .LBB192_245
.LBB192_244:
	s_mov_b32 s0, -1
                                        ; implicit-def: $vgpr2_vgpr3
.LBB192_245:
	s_delay_alu instid0(SALU_CYCLE_1)
	s_and_not1_b32 vcc_lo, exec_lo, s0
	s_cbranch_vccnz .LBB192_247
; %bb.246:
	global_load_u8 v0, v[0:1], off
	s_waitcnt vmcnt(0)
	v_cvt_f64_u32_e32 v[2:3], v0
.LBB192_247:
	s_branch .LBB192_11
.LBB192_248:
	s_mov_b32 s0, 0
.LBB192_249:
	s_mov_b32 s1, 0
                                        ; implicit-def: $vgpr11
.LBB192_250:
	s_and_b32 s10, s0, exec_lo
	s_and_b32 s12, s12, exec_lo
	s_or_not1_b32 s1, s1, exec_lo
.LBB192_251:
	s_or_b32 exec_lo, exec_lo, s13
	s_mov_b32 s15, 0
	s_mov_b32 s0, 0
                                        ; implicit-def: $vgpr0_vgpr1
                                        ; implicit-def: $vgpr2_vgpr3
	s_and_saveexec_b32 s13, s1
	s_cbranch_execz .LBB192_859
; %bb.252:
	s_mov_b32 s18, -1
	s_mov_b32 s14, s12
	s_mov_b32 s15, s10
	s_mov_b32 s16, exec_lo
	v_cmpx_gt_i32_e64 s11, v11
	s_cbranch_execz .LBB192_511
; %bb.253:
	v_mul_lo_u32 v0, v11, s3
	v_cmp_gt_i16_e32 vcc_lo, 11, v12
	s_delay_alu instid0(VALU_DEP_2) | instskip(SKIP_1) | instid1(VALU_DEP_1)
	v_ashrrev_i32_e32 v1, 31, v0
	v_add_co_u32 v0, s0, s6, v0
	v_add_co_ci_u32_e64 v1, s0, s7, v1, s0
	s_cbranch_vccnz .LBB192_260
; %bb.254:
	v_cmp_lt_i16_e32 vcc_lo, 25, v12
	s_cbranch_vccz .LBB192_269
; %bb.255:
	v_cmp_lt_i16_e32 vcc_lo, 28, v12
	s_cbranch_vccz .LBB192_271
	;; [unrolled: 3-line block ×4, first 2 shown]
; %bb.258:
	v_cmp_eq_u16_e32 vcc_lo, 46, v12
	s_mov_b32 s1, 0
	s_cbranch_vccz .LBB192_281
; %bb.259:
	global_load_b32 v2, v[0:1], off
	s_mov_b32 s0, -1
	s_mov_b32 s14, 0
	s_waitcnt vmcnt(0)
	v_lshlrev_b32_e32 v2, 16, v2
	s_delay_alu instid0(VALU_DEP_1)
	v_cvt_f64_f32_e32 v[2:3], v2
	s_branch .LBB192_283
.LBB192_260:
	s_mov_b32 s0, 0
	s_mov_b32 s14, s12
                                        ; implicit-def: $vgpr2_vgpr3
	s_cbranch_execnz .LBB192_460
.LBB192_261:
	s_and_not1_b32 vcc_lo, exec_lo, s0
	s_cbranch_vccnz .LBB192_508
.LBB192_262:
	s_waitcnt vmcnt(0)
	s_delay_alu instid0(VALU_DEP_1) | instskip(SKIP_3) | instid1(VALU_DEP_2)
	v_rsq_f64_e32 v[0:1], v[2:3]
	s_waitcnt_depctr 0xfff
	v_mul_f64 v[2:3], v[0:1], -v[2:3]
	v_cmp_class_f64_e64 vcc_lo, v[0:1], 0x180
	v_fma_f64 v[2:3], v[2:3], v[0:1], 1.0
	s_delay_alu instid0(VALU_DEP_1) | instskip(SKIP_1) | instid1(VALU_DEP_1)
	v_mul_f64 v[4:5], v[0:1], v[2:3]
	v_fma_f64 v[2:3], 0x3fd80000, v[2:3], 0.5
	v_fma_f64 v[2:3], v[4:5], v[2:3], v[0:1]
	v_mul_lo_u32 v4, v11, s2
	v_and_b32_e32 v6, 0xff, v10
	s_delay_alu instid0(VALU_DEP_2) | instskip(SKIP_1) | instid1(VALU_DEP_1)
	v_ashrrev_i32_e32 v5, 31, v4
	v_add_co_u32 v4, s1, s4, v4
	v_add_co_ci_u32_e64 v5, s1, s5, v5, s1
	v_cndmask_b32_e32 v1, v1, v3, vcc_lo
	v_cmp_gt_i16_e64 s0, 11, v6
	v_cndmask_b32_e32 v0, v0, v2, vcc_lo
	s_delay_alu instid0(VALU_DEP_2)
	s_and_b32 vcc_lo, exec_lo, s0
	s_cbranch_vccnz .LBB192_270
; %bb.263:
	v_cmp_lt_i16_e32 vcc_lo, 25, v6
	s_cbranch_vccz .LBB192_272
; %bb.264:
	v_cmp_lt_i16_e32 vcc_lo, 28, v6
	s_cbranch_vccz .LBB192_274
	;; [unrolled: 3-line block ×4, first 2 shown]
; %bb.267:
	v_cmp_eq_u16_e32 vcc_lo, 46, v6
	s_mov_b32 s15, 0
	s_mov_b32 s0, -1
	s_mov_b32 s1, 0
	s_cbranch_vccz .LBB192_287
; %bb.268:
	v_cvt_f32_f64_e32 v2, v[0:1]
	s_mov_b32 s1, -1
	s_mov_b32 s0, 0
	s_delay_alu instid0(VALU_DEP_1) | instskip(SKIP_1) | instid1(VALU_DEP_2)
	v_bfe_u32 v3, v2, 16, 1
	v_cmp_o_f32_e32 vcc_lo, v2, v2
	v_add3_u32 v3, v2, v3, 0x7fff
	s_delay_alu instid0(VALU_DEP_1) | instskip(NEXT) | instid1(VALU_DEP_1)
	v_lshrrev_b32_e32 v3, 16, v3
	v_cndmask_b32_e32 v2, 0x7fc0, v3, vcc_lo
	global_store_b32 v[4:5], v2, off
	s_branch .LBB192_287
.LBB192_269:
	s_mov_b32 s1, -1
	s_mov_b32 s0, 0
	s_mov_b32 s14, s12
                                        ; implicit-def: $vgpr2_vgpr3
	s_branch .LBB192_426
.LBB192_270:
	s_mov_b32 s15, -1
	s_mov_b32 s1, 0
	s_mov_b32 s0, s10
	s_branch .LBB192_356
.LBB192_271:
	s_mov_b32 s1, -1
	s_mov_b32 s0, 0
	s_mov_b32 s14, s12
                                        ; implicit-def: $vgpr2_vgpr3
	s_branch .LBB192_405
.LBB192_272:
	s_mov_b32 s15, -1
	s_mov_b32 s1, 0
	s_mov_b32 s0, s10
	s_branch .LBB192_314
.LBB192_273:
	s_mov_b32 s1, -1
	s_mov_b32 s0, 0
	s_mov_b32 s14, s12
                                        ; implicit-def: $vgpr2_vgpr3
	s_branch .LBB192_400
.LBB192_274:
	s_mov_b32 s15, -1
	s_mov_b32 s1, 0
	s_mov_b32 s0, s10
	s_branch .LBB192_297
.LBB192_275:
	s_or_saveexec_b32 s15, s15
                                        ; implicit-def: $sgpr16
	s_delay_alu instid0(SALU_CYCLE_1)
	s_xor_b32 exec_lo, exec_lo, s15
	s_cbranch_execz .LBB192_53
.LBB192_276:
	v_add_f32_e64 v3, 0x46000000, |v2|
	s_and_not1_b32 s10, s10, exec_lo
	s_mov_b32 s16, 0
	s_delay_alu instid0(VALU_DEP_1) | instskip(NEXT) | instid1(VALU_DEP_1)
	v_and_b32_e32 v3, 0xff, v3
	v_cmp_ne_u32_e32 vcc_lo, 0, v3
	s_and_b32 s17, vcc_lo, exec_lo
	s_delay_alu instid0(SALU_CYCLE_1)
	s_or_b32 s10, s10, s17
	s_or_b32 exec_lo, exec_lo, s15
	v_mov_b32_e32 v7, s16
	s_and_saveexec_b32 s15, s10
	s_cbranch_execnz .LBB192_54
	s_branch .LBB192_55
.LBB192_277:
	s_mov_b32 s1, -1
	s_mov_b32 s0, 0
	s_mov_b32 s14, s12
	s_branch .LBB192_282
.LBB192_278:
	s_mov_b32 s15, -1
	s_mov_b32 s1, 0
	s_mov_b32 s0, s10
	s_branch .LBB192_293
.LBB192_279:
	s_or_saveexec_b32 s15, s15
                                        ; implicit-def: $sgpr16
	s_delay_alu instid0(SALU_CYCLE_1)
	s_xor_b32 exec_lo, exec_lo, s15
	s_cbranch_execz .LBB192_66
.LBB192_280:
	v_add_f32_e64 v3, 0x42800000, |v2|
	s_and_not1_b32 s10, s10, exec_lo
	s_mov_b32 s16, 0
	s_delay_alu instid0(VALU_DEP_1) | instskip(NEXT) | instid1(VALU_DEP_1)
	v_and_b32_e32 v3, 0xff, v3
	v_cmp_ne_u32_e32 vcc_lo, 0, v3
	s_and_b32 s17, vcc_lo, exec_lo
	s_delay_alu instid0(SALU_CYCLE_1)
	s_or_b32 s10, s10, s17
	s_or_b32 exec_lo, exec_lo, s15
	v_mov_b32_e32 v7, s16
	s_and_saveexec_b32 s15, s10
	s_cbranch_execnz .LBB192_67
	s_branch .LBB192_68
.LBB192_281:
	s_mov_b32 s14, -1
	s_mov_b32 s0, 0
.LBB192_282:
                                        ; implicit-def: $vgpr2_vgpr3
.LBB192_283:
	s_and_b32 vcc_lo, exec_lo, s1
	s_cbranch_vccz .LBB192_399
; %bb.284:
	v_cmp_eq_u16_e32 vcc_lo, 44, v12
	s_cbranch_vccz .LBB192_398
; %bb.285:
	global_load_u8 v4, v[0:1], off
	s_mov_b32 s14, 0
	s_mov_b32 s0, -1
	s_waitcnt vmcnt(0)
	v_cmp_ne_u32_e32 vcc_lo, 0xff, v4
	v_lshlrev_b32_e32 v2, 23, v4
	s_delay_alu instid0(VALU_DEP_1) | instskip(NEXT) | instid1(VALU_DEP_1)
	v_cvt_f64_f32_e32 v[2:3], v2
	v_cndmask_b32_e32 v3, 0x7ff80000, v3, vcc_lo
	s_delay_alu instid0(VALU_DEP_2) | instskip(SKIP_1) | instid1(VALU_DEP_3)
	v_cndmask_b32_e32 v2, 0x20000000, v2, vcc_lo
	v_cmp_ne_u32_e32 vcc_lo, 0, v4
	v_cndmask_b32_e32 v3, 0x38000000, v3, vcc_lo
	s_delay_alu instid0(VALU_DEP_3)
	v_cndmask_b32_e32 v2, 0, v2, vcc_lo
	s_branch .LBB192_399
.LBB192_286:
	s_mov_b32 s15, -1
	s_mov_b32 s1, 0
	s_mov_b32 s0, s10
.LBB192_287:
	s_and_b32 vcc_lo, exec_lo, s15
	s_cbranch_vccz .LBB192_292
; %bb.288:
	v_cmp_eq_u16_e32 vcc_lo, 44, v6
	s_mov_b32 s0, -1
	s_cbranch_vccz .LBB192_292
; %bb.289:
	v_cvt_f32_f64_e32 v2, v[0:1]
	v_mov_b32_e32 v3, 0xff
	s_mov_b32 s1, exec_lo
	s_delay_alu instid0(VALU_DEP_2) | instskip(NEXT) | instid1(VALU_DEP_1)
	v_bfe_u32 v7, v2, 23, 8
	v_cmpx_ne_u32_e32 0xff, v7
; %bb.290:
	v_and_b32_e32 v3, 0x400000, v2
	v_and_or_b32 v7, 0x3fffff, v2, v7
	v_lshrrev_b32_e32 v2, 23, v2
	s_delay_alu instid0(VALU_DEP_3) | instskip(NEXT) | instid1(VALU_DEP_3)
	v_cmp_ne_u32_e32 vcc_lo, 0, v3
	v_cmp_ne_u32_e64 s0, 0, v7
	s_delay_alu instid0(VALU_DEP_1) | instskip(NEXT) | instid1(SALU_CYCLE_1)
	s_and_b32 s0, vcc_lo, s0
	v_cndmask_b32_e64 v3, 0, 1, s0
	s_delay_alu instid0(VALU_DEP_1)
	v_add_nc_u32_e32 v3, v2, v3
; %bb.291:
	s_or_b32 exec_lo, exec_lo, s1
	s_mov_b32 s1, -1
	s_mov_b32 s0, 0
	global_store_b8 v[4:5], v3, off
.LBB192_292:
	s_mov_b32 s15, 0
.LBB192_293:
	s_delay_alu instid0(SALU_CYCLE_1)
	s_and_b32 vcc_lo, exec_lo, s15
	s_cbranch_vccz .LBB192_296
; %bb.294:
	v_cmp_eq_u16_e32 vcc_lo, 29, v6
	s_mov_b32 s0, -1
	s_cbranch_vccz .LBB192_296
; %bb.295:
	v_trunc_f64_e32 v[2:3], v[0:1]
	s_mov_b32 s1, -1
	s_mov_b32 s0, 0
	s_mov_b32 s15, 0
	s_delay_alu instid0(VALU_DEP_1) | instskip(NEXT) | instid1(VALU_DEP_1)
	v_ldexp_f64 v[7:8], v[2:3], 0xffffffe0
	v_floor_f64_e32 v[7:8], v[7:8]
	s_delay_alu instid0(VALU_DEP_1) | instskip(SKIP_1) | instid1(VALU_DEP_2)
	v_fma_f64 v[2:3], 0xc1f00000, v[7:8], v[2:3]
	v_cvt_u32_f64_e32 v8, v[7:8]
	v_cvt_u32_f64_e32 v7, v[2:3]
	global_store_b64 v[4:5], v[7:8], off
	s_branch .LBB192_297
.LBB192_296:
	s_mov_b32 s15, 0
.LBB192_297:
	s_delay_alu instid0(SALU_CYCLE_1)
	s_and_b32 vcc_lo, exec_lo, s15
	s_cbranch_vccz .LBB192_313
; %bb.298:
	v_cmp_gt_i16_e32 vcc_lo, 27, v6
	s_mov_b32 s1, -1
	s_cbranch_vccnz .LBB192_304
; %bb.299:
	v_cmp_lt_i16_e32 vcc_lo, 27, v6
	s_cbranch_vccz .LBB192_301
; %bb.300:
	v_cvt_u32_f64_e32 v2, v[0:1]
	s_mov_b32 s1, 0
	global_store_b32 v[4:5], v2, off
.LBB192_301:
	s_and_not1_b32 vcc_lo, exec_lo, s1
	s_cbranch_vccnz .LBB192_303
; %bb.302:
	v_cvt_u32_f64_e32 v2, v[0:1]
	global_store_b16 v[4:5], v2, off
.LBB192_303:
	s_mov_b32 s1, 0
.LBB192_304:
	s_delay_alu instid0(SALU_CYCLE_1)
	s_and_not1_b32 vcc_lo, exec_lo, s1
	s_cbranch_vccnz .LBB192_312
; %bb.305:
	v_cvt_f32_f64_e32 v2, v[0:1]
	v_mov_b32_e32 v7, 0x80
	s_mov_b32 s1, exec_lo
	s_delay_alu instid0(VALU_DEP_2) | instskip(NEXT) | instid1(VALU_DEP_1)
	v_and_b32_e32 v3, 0x7fffffff, v2
	v_cmpx_gt_u32_e32 0x43800000, v3
	s_cbranch_execz .LBB192_311
; %bb.306:
	v_cmp_lt_u32_e32 vcc_lo, 0x3bffffff, v3
	s_mov_b32 s15, 0
                                        ; implicit-def: $vgpr3
	s_and_saveexec_b32 s17, vcc_lo
	s_delay_alu instid0(SALU_CYCLE_1)
	s_xor_b32 s17, exec_lo, s17
	s_cbranch_execz .LBB192_524
; %bb.307:
	v_bfe_u32 v3, v2, 20, 1
	s_mov_b32 s15, exec_lo
	s_delay_alu instid0(VALU_DEP_1) | instskip(NEXT) | instid1(VALU_DEP_1)
	v_add3_u32 v3, v2, v3, 0x487ffff
	v_lshrrev_b32_e32 v3, 20, v3
	s_or_saveexec_b32 s17, s17
                                        ; implicit-def: $sgpr18
	s_delay_alu instid0(SALU_CYCLE_1)
	s_xor_b32 exec_lo, exec_lo, s17
	s_cbranch_execnz .LBB192_525
.LBB192_308:
	s_or_b32 exec_lo, exec_lo, s17
	v_mov_b32_e32 v7, s18
	s_and_saveexec_b32 s17, s15
.LBB192_309:
	v_lshrrev_b32_e32 v2, 24, v2
	s_delay_alu instid0(VALU_DEP_1)
	v_and_or_b32 v7, 0x80, v2, v3
.LBB192_310:
	s_or_b32 exec_lo, exec_lo, s17
.LBB192_311:
	s_delay_alu instid0(SALU_CYCLE_1)
	s_or_b32 exec_lo, exec_lo, s1
	global_store_b8 v[4:5], v7, off
.LBB192_312:
	s_mov_b32 s1, -1
.LBB192_313:
	s_mov_b32 s15, 0
.LBB192_314:
	s_delay_alu instid0(SALU_CYCLE_1)
	s_and_b32 vcc_lo, exec_lo, s15
	s_cbranch_vccz .LBB192_355
; %bb.315:
	v_cmp_lt_i16_e32 vcc_lo, 22, v6
	s_mov_b32 s15, -1
	s_cbranch_vccz .LBB192_347
; %bb.316:
	v_cmp_gt_i16_e32 vcc_lo, 24, v6
	s_mov_b32 s1, -1
	s_cbranch_vccnz .LBB192_336
; %bb.317:
	v_cmp_lt_i16_e32 vcc_lo, 24, v6
	s_cbranch_vccz .LBB192_325
; %bb.318:
	v_cvt_f32_f64_e32 v2, v[0:1]
	v_mov_b32_e32 v7, 0x80
	s_mov_b32 s1, exec_lo
	s_delay_alu instid0(VALU_DEP_2) | instskip(NEXT) | instid1(VALU_DEP_1)
	v_and_b32_e32 v3, 0x7fffffff, v2
	v_cmpx_gt_u32_e32 0x47800000, v3
	s_cbranch_execz .LBB192_324
; %bb.319:
	v_cmp_lt_u32_e32 vcc_lo, 0x37ffffff, v3
	s_mov_b32 s15, 0
                                        ; implicit-def: $vgpr3
	s_and_saveexec_b32 s17, vcc_lo
	s_delay_alu instid0(SALU_CYCLE_1)
	s_xor_b32 s17, exec_lo, s17
	s_cbranch_execz .LBB192_527
; %bb.320:
	v_bfe_u32 v3, v2, 21, 1
	s_mov_b32 s15, exec_lo
	s_delay_alu instid0(VALU_DEP_1) | instskip(NEXT) | instid1(VALU_DEP_1)
	v_add3_u32 v3, v2, v3, 0x88fffff
	v_lshrrev_b32_e32 v3, 21, v3
	s_or_saveexec_b32 s17, s17
                                        ; implicit-def: $sgpr18
	s_delay_alu instid0(SALU_CYCLE_1)
	s_xor_b32 exec_lo, exec_lo, s17
	s_cbranch_execnz .LBB192_528
.LBB192_321:
	s_or_b32 exec_lo, exec_lo, s17
	v_mov_b32_e32 v7, s18
	s_and_saveexec_b32 s17, s15
.LBB192_322:
	v_lshrrev_b32_e32 v2, 24, v2
	s_delay_alu instid0(VALU_DEP_1)
	v_and_or_b32 v7, 0x80, v2, v3
.LBB192_323:
	s_or_b32 exec_lo, exec_lo, s17
.LBB192_324:
	s_delay_alu instid0(SALU_CYCLE_1)
	s_or_b32 exec_lo, exec_lo, s1
	s_mov_b32 s1, 0
	global_store_b8 v[4:5], v7, off
.LBB192_325:
	s_and_b32 vcc_lo, exec_lo, s1
	s_cbranch_vccz .LBB192_335
; %bb.326:
	v_cvt_f32_f64_e32 v2, v[0:1]
	s_mov_b32 s1, exec_lo
                                        ; implicit-def: $vgpr3
	s_delay_alu instid0(VALU_DEP_1) | instskip(NEXT) | instid1(VALU_DEP_1)
	v_and_b32_e32 v7, 0x7fffffff, v2
	v_cmpx_gt_u32_e32 0x43f00000, v7
	s_xor_b32 s1, exec_lo, s1
	s_cbranch_execz .LBB192_332
; %bb.327:
	s_mov_b32 s15, exec_lo
                                        ; implicit-def: $vgpr3
	v_cmpx_lt_u32_e32 0x3c7fffff, v7
	s_xor_b32 s15, exec_lo, s15
; %bb.328:
	v_bfe_u32 v3, v2, 20, 1
	s_delay_alu instid0(VALU_DEP_1) | instskip(NEXT) | instid1(VALU_DEP_1)
	v_add3_u32 v3, v2, v3, 0x407ffff
	v_and_b32_e32 v7, 0xff00000, v3
	v_lshrrev_b32_e32 v3, 20, v3
	s_delay_alu instid0(VALU_DEP_2) | instskip(NEXT) | instid1(VALU_DEP_2)
	v_cmp_ne_u32_e32 vcc_lo, 0x7f00000, v7
	v_cndmask_b32_e32 v3, 0x7e, v3, vcc_lo
; %bb.329:
	s_and_not1_saveexec_b32 s15, s15
; %bb.330:
	v_add_f32_e64 v3, 0x46800000, |v2|
; %bb.331:
	s_or_b32 exec_lo, exec_lo, s15
                                        ; implicit-def: $vgpr7
.LBB192_332:
	s_and_not1_saveexec_b32 s1, s1
; %bb.333:
	v_mov_b32_e32 v3, 0x7f
	v_cmp_lt_u32_e32 vcc_lo, 0x7f800000, v7
	s_delay_alu instid0(VALU_DEP_2)
	v_cndmask_b32_e32 v3, 0x7e, v3, vcc_lo
; %bb.334:
	s_or_b32 exec_lo, exec_lo, s1
	v_lshrrev_b32_e32 v2, 24, v2
	s_delay_alu instid0(VALU_DEP_1)
	v_and_or_b32 v2, 0x80, v2, v3
	global_store_b8 v[4:5], v2, off
.LBB192_335:
	s_mov_b32 s1, 0
.LBB192_336:
	s_delay_alu instid0(SALU_CYCLE_1)
	s_and_not1_b32 vcc_lo, exec_lo, s1
	s_cbranch_vccnz .LBB192_346
; %bb.337:
	v_cvt_f32_f64_e32 v2, v[0:1]
	s_mov_b32 s1, exec_lo
                                        ; implicit-def: $vgpr3
	s_delay_alu instid0(VALU_DEP_1) | instskip(NEXT) | instid1(VALU_DEP_1)
	v_and_b32_e32 v7, 0x7fffffff, v2
	v_cmpx_gt_u32_e32 0x47800000, v7
	s_xor_b32 s1, exec_lo, s1
	s_cbranch_execz .LBB192_343
; %bb.338:
	s_mov_b32 s15, exec_lo
                                        ; implicit-def: $vgpr3
	v_cmpx_lt_u32_e32 0x387fffff, v7
	s_xor_b32 s15, exec_lo, s15
; %bb.339:
	v_bfe_u32 v3, v2, 21, 1
	s_delay_alu instid0(VALU_DEP_1) | instskip(NEXT) | instid1(VALU_DEP_1)
	v_add3_u32 v3, v2, v3, 0x80fffff
	v_lshrrev_b32_e32 v3, 21, v3
; %bb.340:
	s_and_not1_saveexec_b32 s15, s15
; %bb.341:
	v_add_f32_e64 v3, 0x43000000, |v2|
; %bb.342:
	s_or_b32 exec_lo, exec_lo, s15
                                        ; implicit-def: $vgpr7
.LBB192_343:
	s_and_not1_saveexec_b32 s1, s1
; %bb.344:
	v_mov_b32_e32 v3, 0x7f
	v_cmp_lt_u32_e32 vcc_lo, 0x7f800000, v7
	s_delay_alu instid0(VALU_DEP_2)
	v_cndmask_b32_e32 v3, 0x7c, v3, vcc_lo
; %bb.345:
	s_or_b32 exec_lo, exec_lo, s1
	v_lshrrev_b32_e32 v2, 24, v2
	s_delay_alu instid0(VALU_DEP_1)
	v_and_or_b32 v2, 0x80, v2, v3
	global_store_b8 v[4:5], v2, off
.LBB192_346:
	s_mov_b32 s15, 0
	s_mov_b32 s1, -1
.LBB192_347:
	s_and_not1_b32 vcc_lo, exec_lo, s15
	s_cbranch_vccnz .LBB192_355
; %bb.348:
	v_cmp_lt_i16_e32 vcc_lo, 14, v6
	s_mov_b32 s15, -1
	s_cbranch_vccz .LBB192_352
; %bb.349:
	v_cmp_eq_u16_e32 vcc_lo, 15, v6
	s_mov_b32 s0, -1
	s_cbranch_vccz .LBB192_351
; %bb.350:
	v_cvt_f32_f64_e32 v2, v[0:1]
	s_mov_b32 s1, -1
	s_mov_b32 s0, 0
	s_delay_alu instid0(VALU_DEP_1) | instskip(SKIP_1) | instid1(VALU_DEP_2)
	v_bfe_u32 v3, v2, 16, 1
	v_cmp_o_f32_e32 vcc_lo, v2, v2
	v_add3_u32 v3, v2, v3, 0x7fff
	s_delay_alu instid0(VALU_DEP_1) | instskip(NEXT) | instid1(VALU_DEP_1)
	v_lshrrev_b32_e32 v3, 16, v3
	v_cndmask_b32_e32 v2, 0x7fc0, v3, vcc_lo
	global_store_b16 v[4:5], v2, off
.LBB192_351:
	s_mov_b32 s15, 0
.LBB192_352:
	s_delay_alu instid0(SALU_CYCLE_1)
	s_and_b32 vcc_lo, exec_lo, s15
	s_cbranch_vccz .LBB192_355
; %bb.353:
	v_cmp_eq_u16_e32 vcc_lo, 11, v6
	s_mov_b32 s0, -1
	s_cbranch_vccz .LBB192_355
; %bb.354:
	v_cmp_neq_f64_e32 vcc_lo, 0, v[0:1]
	s_mov_b32 s1, -1
	s_mov_b32 s0, 0
	v_cndmask_b32_e64 v2, 0, 1, vcc_lo
	global_store_b8 v[4:5], v2, off
.LBB192_355:
	s_mov_b32 s15, 0
.LBB192_356:
	s_delay_alu instid0(SALU_CYCLE_1)
	s_and_b32 vcc_lo, exec_lo, s15
	s_cbranch_vccz .LBB192_395
; %bb.357:
	v_cmp_gt_i16_e32 vcc_lo, 5, v6
	s_mov_b32 s1, -1
	s_cbranch_vccnz .LBB192_378
; %bb.358:
	v_cmp_gt_i16_e32 vcc_lo, 8, v6
	s_cbranch_vccnz .LBB192_368
; %bb.359:
	v_cmp_gt_i16_e32 vcc_lo, 9, v6
	s_cbranch_vccnz .LBB192_365
; %bb.360:
	v_cmp_lt_i16_e32 vcc_lo, 9, v6
	s_cbranch_vccz .LBB192_362
; %bb.361:
	v_mov_b32_e32 v2, 0
	s_mov_b32 s1, 0
	s_delay_alu instid0(VALU_DEP_1)
	v_mov_b32_e32 v3, v2
	global_store_b128 v[4:5], v[0:3], off
.LBB192_362:
	s_and_not1_b32 vcc_lo, exec_lo, s1
	s_cbranch_vccnz .LBB192_364
; %bb.363:
	v_cvt_f32_f64_e32 v2, v[0:1]
	v_mov_b32_e32 v3, 0
	global_store_b64 v[4:5], v[2:3], off
.LBB192_364:
	s_mov_b32 s1, 0
.LBB192_365:
	s_delay_alu instid0(SALU_CYCLE_1)
	s_and_not1_b32 vcc_lo, exec_lo, s1
	s_cbranch_vccnz .LBB192_367
; %bb.366:
	v_cvt_f32_f64_e32 v2, v[0:1]
	s_delay_alu instid0(VALU_DEP_1) | instskip(NEXT) | instid1(VALU_DEP_1)
	v_cvt_f16_f32_e32 v2, v2
	v_and_b32_e32 v2, 0xffff, v2
	global_store_b32 v[4:5], v2, off
.LBB192_367:
	s_mov_b32 s1, 0
.LBB192_368:
	s_delay_alu instid0(SALU_CYCLE_1)
	s_and_not1_b32 vcc_lo, exec_lo, s1
	s_cbranch_vccnz .LBB192_377
; %bb.369:
	v_cmp_gt_i16_e32 vcc_lo, 6, v6
	s_mov_b32 s1, -1
	s_cbranch_vccnz .LBB192_375
; %bb.370:
	v_cmp_lt_i16_e32 vcc_lo, 6, v6
	s_cbranch_vccz .LBB192_372
; %bb.371:
	s_mov_b32 s1, 0
	global_store_b64 v[4:5], v[0:1], off
.LBB192_372:
	s_and_not1_b32 vcc_lo, exec_lo, s1
	s_cbranch_vccnz .LBB192_374
; %bb.373:
	v_cvt_f32_f64_e32 v2, v[0:1]
	global_store_b32 v[4:5], v2, off
.LBB192_374:
	s_mov_b32 s1, 0
.LBB192_375:
	s_delay_alu instid0(SALU_CYCLE_1)
	s_and_not1_b32 vcc_lo, exec_lo, s1
	s_cbranch_vccnz .LBB192_377
; %bb.376:
	v_cvt_f32_f64_e32 v2, v[0:1]
	s_delay_alu instid0(VALU_DEP_1)
	v_cvt_f16_f32_e32 v2, v2
	global_store_b16 v[4:5], v2, off
.LBB192_377:
	s_mov_b32 s1, 0
.LBB192_378:
	s_delay_alu instid0(SALU_CYCLE_1)
	s_and_not1_b32 vcc_lo, exec_lo, s1
	s_cbranch_vccnz .LBB192_394
; %bb.379:
	v_cmp_gt_i16_e32 vcc_lo, 2, v6
	s_mov_b32 s1, -1
	s_cbranch_vccnz .LBB192_389
; %bb.380:
	v_cmp_gt_i16_e32 vcc_lo, 3, v6
	s_cbranch_vccnz .LBB192_386
; %bb.381:
	v_cmp_lt_i16_e32 vcc_lo, 3, v6
	s_cbranch_vccz .LBB192_383
; %bb.382:
	v_trunc_f64_e32 v[2:3], v[0:1]
	s_mov_b32 s1, 0
	s_delay_alu instid0(VALU_DEP_1) | instskip(NEXT) | instid1(VALU_DEP_1)
	v_ldexp_f64 v[7:8], v[2:3], 0xffffffe0
	v_floor_f64_e32 v[7:8], v[7:8]
	s_delay_alu instid0(VALU_DEP_1) | instskip(SKIP_1) | instid1(VALU_DEP_2)
	v_fma_f64 v[2:3], 0xc1f00000, v[7:8], v[2:3]
	v_cvt_i32_f64_e32 v8, v[7:8]
	v_cvt_u32_f64_e32 v7, v[2:3]
	global_store_b64 v[4:5], v[7:8], off
.LBB192_383:
	s_and_not1_b32 vcc_lo, exec_lo, s1
	s_cbranch_vccnz .LBB192_385
; %bb.384:
	v_cvt_i32_f64_e32 v2, v[0:1]
	global_store_b32 v[4:5], v2, off
.LBB192_385:
	s_mov_b32 s1, 0
.LBB192_386:
	s_delay_alu instid0(SALU_CYCLE_1)
	s_and_not1_b32 vcc_lo, exec_lo, s1
	s_cbranch_vccnz .LBB192_388
; %bb.387:
	v_cvt_i32_f64_e32 v2, v[0:1]
	global_store_b16 v[4:5], v2, off
.LBB192_388:
	s_mov_b32 s1, 0
.LBB192_389:
	s_delay_alu instid0(SALU_CYCLE_1)
	s_and_not1_b32 vcc_lo, exec_lo, s1
	s_cbranch_vccnz .LBB192_394
; %bb.390:
	v_cmp_lt_i16_e32 vcc_lo, 0, v6
	s_mov_b32 s1, -1
	s_cbranch_vccz .LBB192_392
; %bb.391:
	v_cvt_i32_f64_e32 v2, v[0:1]
	s_mov_b32 s1, 0
	global_store_b8 v[4:5], v2, off
.LBB192_392:
	s_and_not1_b32 vcc_lo, exec_lo, s1
	s_cbranch_vccnz .LBB192_394
; %bb.393:
	v_trunc_f64_e32 v[0:1], v[0:1]
	s_delay_alu instid0(VALU_DEP_1) | instskip(NEXT) | instid1(VALU_DEP_1)
	v_ldexp_f64 v[2:3], v[0:1], 0xffffffe0
	v_floor_f64_e32 v[2:3], v[2:3]
	s_delay_alu instid0(VALU_DEP_1) | instskip(NEXT) | instid1(VALU_DEP_1)
	v_fma_f64 v[0:1], 0xc1f00000, v[2:3], v[0:1]
	v_cvt_u32_f64_e32 v0, v[0:1]
	global_store_b8 v[4:5], v0, off
.LBB192_394:
	s_mov_b32 s1, -1
.LBB192_395:
	s_delay_alu instid0(SALU_CYCLE_1)
	s_and_not1_b32 vcc_lo, exec_lo, s1
	s_cbranch_vccnz .LBB192_397
; %bb.396:
	v_add_nc_u32_e32 v11, 0x80, v11
	s_mov_b32 s1, -1
	s_branch .LBB192_510
.LBB192_397:
	s_mov_b32 s1, 0
	s_branch .LBB192_509
.LBB192_398:
	s_mov_b32 s14, -1
                                        ; implicit-def: $vgpr2_vgpr3
.LBB192_399:
	s_mov_b32 s1, 0
.LBB192_400:
	s_delay_alu instid0(SALU_CYCLE_1)
	s_and_b32 vcc_lo, exec_lo, s1
	s_cbranch_vccz .LBB192_404
; %bb.401:
	v_cmp_eq_u16_e32 vcc_lo, 29, v12
	s_cbranch_vccz .LBB192_403
; %bb.402:
	global_load_b64 v[2:3], v[0:1], off
	s_mov_b32 s0, -1
	s_mov_b32 s14, 0
	s_mov_b32 s1, 0
	s_waitcnt vmcnt(0)
	v_cvt_f64_u32_e32 v[3:4], v3
	v_cvt_f64_u32_e32 v[5:6], v2
	s_delay_alu instid0(VALU_DEP_2) | instskip(NEXT) | instid1(VALU_DEP_1)
	v_ldexp_f64 v[3:4], v[3:4], 32
	v_add_f64 v[2:3], v[3:4], v[5:6]
	s_branch .LBB192_405
.LBB192_403:
	s_mov_b32 s14, -1
                                        ; implicit-def: $vgpr2_vgpr3
.LBB192_404:
	s_mov_b32 s1, 0
.LBB192_405:
	s_delay_alu instid0(SALU_CYCLE_1)
	s_and_b32 vcc_lo, exec_lo, s1
	s_cbranch_vccz .LBB192_425
; %bb.406:
	v_cmp_gt_i16_e32 vcc_lo, 27, v12
	s_cbranch_vccnz .LBB192_409
; %bb.407:
	v_cmp_lt_i16_e32 vcc_lo, 27, v12
	s_cbranch_vccz .LBB192_410
; %bb.408:
	global_load_b32 v2, v[0:1], off
	s_mov_b32 s0, 0
	s_waitcnt vmcnt(0)
	v_cvt_f64_u32_e32 v[2:3], v2
	s_branch .LBB192_411
.LBB192_409:
	s_mov_b32 s0, -1
                                        ; implicit-def: $vgpr2_vgpr3
	s_branch .LBB192_414
.LBB192_410:
	s_mov_b32 s0, -1
                                        ; implicit-def: $vgpr2_vgpr3
.LBB192_411:
	s_delay_alu instid0(SALU_CYCLE_1)
	s_and_not1_b32 vcc_lo, exec_lo, s0
	s_cbranch_vccnz .LBB192_413
; %bb.412:
	global_load_u16 v2, v[0:1], off
	s_waitcnt vmcnt(0)
	v_cvt_f64_u32_e32 v[2:3], v2
.LBB192_413:
	s_mov_b32 s0, 0
.LBB192_414:
	s_delay_alu instid0(SALU_CYCLE_1)
	s_and_not1_b32 vcc_lo, exec_lo, s0
	s_cbranch_vccnz .LBB192_424
; %bb.415:
	global_load_u8 v4, v[0:1], off
	s_mov_b32 s15, 0
	s_mov_b32 s17, exec_lo
                                        ; implicit-def: $sgpr0_sgpr1
	s_waitcnt vmcnt(0)
	v_cmpx_lt_i16_e32 0x7f, v4
	s_xor_b32 s17, exec_lo, s17
	s_cbranch_execz .LBB192_419
; %bb.416:
	s_mov_b32 s15, exec_lo
                                        ; implicit-def: $sgpr0_sgpr1
	v_cmpx_eq_u16_e32 0x80, v4
; %bb.417:
	s_mov_b32 s1, 0x7ff80000
	s_brev_b32 s0, 4
	s_xor_b32 s18, exec_lo, -1
; %bb.418:
	s_or_b32 exec_lo, exec_lo, s15
	s_delay_alu instid0(SALU_CYCLE_1)
	s_and_b32 s15, s18, exec_lo
.LBB192_419:
	s_or_saveexec_b32 s17, s17
	v_dual_mov_b32 v3, s1 :: v_dual_mov_b32 v2, s0
	s_xor_b32 exec_lo, exec_lo, s17
; %bb.420:
	v_cmp_ne_u16_e32 vcc_lo, 0, v4
	v_mov_b32_e32 v2, 0
	v_mov_b32_e32 v3, 0
	s_and_not1_b32 s0, s15, exec_lo
	s_and_b32 s1, vcc_lo, exec_lo
	s_delay_alu instid0(SALU_CYCLE_1)
	s_or_b32 s15, s0, s1
; %bb.421:
	s_or_b32 exec_lo, exec_lo, s17
	s_and_saveexec_b32 s0, s15
	s_cbranch_execz .LBB192_423
; %bb.422:
	v_and_b32_e32 v2, 0xffff, v4
	v_lshlrev_b32_e32 v4, 24, v4
	s_delay_alu instid0(VALU_DEP_2) | instskip(NEXT) | instid1(VALU_DEP_2)
	v_and_b32_e32 v3, 7, v2
	v_and_b32_e32 v4, 0x80000000, v4
	s_delay_alu instid0(VALU_DEP_2) | instskip(NEXT) | instid1(VALU_DEP_1)
	v_clz_i32_u32_e32 v5, v3
	v_min_u32_e32 v5, 32, v5
	s_delay_alu instid0(VALU_DEP_1) | instskip(SKIP_1) | instid1(VALU_DEP_2)
	v_subrev_nc_u32_e32 v6, 28, v5
	v_sub_nc_u32_e32 v5, 29, v5
	v_lshlrev_b32_e32 v6, v6, v2
	v_bfe_u32 v2, v2, 3, 4
	s_delay_alu instid0(VALU_DEP_2) | instskip(NEXT) | instid1(VALU_DEP_2)
	v_and_b32_e32 v6, 7, v6
	v_cmp_eq_u32_e32 vcc_lo, 0, v2
	s_delay_alu instid0(VALU_DEP_2) | instskip(NEXT) | instid1(VALU_DEP_1)
	v_dual_cndmask_b32 v2, v2, v5 :: v_dual_cndmask_b32 v3, v3, v6
	v_lshl_add_u32 v2, v2, 23, 0x3b800000
	s_delay_alu instid0(VALU_DEP_2) | instskip(NEXT) | instid1(VALU_DEP_1)
	v_lshlrev_b32_e32 v3, 20, v3
	v_or3_b32 v2, v4, v2, v3
	s_delay_alu instid0(VALU_DEP_1)
	v_cvt_f64_f32_e32 v[2:3], v2
.LBB192_423:
	s_or_b32 exec_lo, exec_lo, s0
.LBB192_424:
	s_mov_b32 s0, -1
.LBB192_425:
	s_mov_b32 s1, 0
.LBB192_426:
	s_delay_alu instid0(SALU_CYCLE_1)
	s_and_b32 vcc_lo, exec_lo, s1
	s_cbranch_vccz .LBB192_459
; %bb.427:
	v_cmp_lt_i16_e32 vcc_lo, 22, v12
	s_cbranch_vccz .LBB192_439
; %bb.428:
	v_cmp_gt_i16_e32 vcc_lo, 24, v12
	s_cbranch_vccnz .LBB192_440
; %bb.429:
	v_cmp_lt_i16_e32 vcc_lo, 24, v12
	s_cbranch_vccz .LBB192_441
; %bb.430:
	global_load_u8 v4, v[0:1], off
	s_mov_b32 s15, 0
	s_mov_b32 s17, exec_lo
                                        ; implicit-def: $sgpr0_sgpr1
	s_waitcnt vmcnt(0)
	v_cmpx_lt_i16_e32 0x7f, v4
	s_xor_b32 s17, exec_lo, s17
	s_cbranch_execz .LBB192_434
; %bb.431:
	s_mov_b32 s18, -1
	s_mov_b32 s15, exec_lo
                                        ; implicit-def: $sgpr0_sgpr1
	v_cmpx_eq_u16_e32 0x80, v4
; %bb.432:
	s_mov_b32 s1, 0x7ff80000
	s_brev_b32 s0, 4
	s_xor_b32 s18, exec_lo, -1
; %bb.433:
	s_or_b32 exec_lo, exec_lo, s15
	s_delay_alu instid0(SALU_CYCLE_1)
	s_and_b32 s15, s18, exec_lo
.LBB192_434:
	s_or_saveexec_b32 s17, s17
	v_dual_mov_b32 v3, s1 :: v_dual_mov_b32 v2, s0
	s_xor_b32 exec_lo, exec_lo, s17
; %bb.435:
	v_cmp_ne_u16_e32 vcc_lo, 0, v4
	v_mov_b32_e32 v2, 0
	v_mov_b32_e32 v3, 0
	s_and_not1_b32 s0, s15, exec_lo
	s_and_b32 s1, vcc_lo, exec_lo
	s_delay_alu instid0(SALU_CYCLE_1)
	s_or_b32 s15, s0, s1
; %bb.436:
	s_or_b32 exec_lo, exec_lo, s17
	s_and_saveexec_b32 s0, s15
	s_cbranch_execz .LBB192_438
; %bb.437:
	v_and_b32_e32 v2, 0xffff, v4
	v_lshlrev_b32_e32 v4, 24, v4
	s_delay_alu instid0(VALU_DEP_2) | instskip(NEXT) | instid1(VALU_DEP_2)
	v_and_b32_e32 v3, 3, v2
	v_and_b32_e32 v4, 0x80000000, v4
	s_delay_alu instid0(VALU_DEP_2) | instskip(NEXT) | instid1(VALU_DEP_1)
	v_clz_i32_u32_e32 v5, v3
	v_min_u32_e32 v5, 32, v5
	s_delay_alu instid0(VALU_DEP_1) | instskip(SKIP_1) | instid1(VALU_DEP_2)
	v_subrev_nc_u32_e32 v6, 29, v5
	v_sub_nc_u32_e32 v5, 30, v5
	v_lshlrev_b32_e32 v6, v6, v2
	v_bfe_u32 v2, v2, 2, 5
	s_delay_alu instid0(VALU_DEP_2) | instskip(NEXT) | instid1(VALU_DEP_2)
	v_and_b32_e32 v6, 3, v6
	v_cmp_eq_u32_e32 vcc_lo, 0, v2
	s_delay_alu instid0(VALU_DEP_2) | instskip(NEXT) | instid1(VALU_DEP_1)
	v_dual_cndmask_b32 v2, v2, v5 :: v_dual_cndmask_b32 v3, v3, v6
	v_lshl_add_u32 v2, v2, 23, 0x37800000
	s_delay_alu instid0(VALU_DEP_2) | instskip(NEXT) | instid1(VALU_DEP_1)
	v_lshlrev_b32_e32 v3, 21, v3
	v_or3_b32 v2, v4, v2, v3
	s_delay_alu instid0(VALU_DEP_1)
	v_cvt_f64_f32_e32 v[2:3], v2
.LBB192_438:
	s_or_b32 exec_lo, exec_lo, s0
	s_mov_b32 s0, 0
	s_branch .LBB192_442
.LBB192_439:
	s_mov_b32 s1, -1
                                        ; implicit-def: $vgpr2_vgpr3
	s_branch .LBB192_448
.LBB192_440:
	s_mov_b32 s0, -1
                                        ; implicit-def: $vgpr2_vgpr3
	s_branch .LBB192_445
.LBB192_441:
	s_mov_b32 s0, -1
                                        ; implicit-def: $vgpr2_vgpr3
.LBB192_442:
	s_delay_alu instid0(SALU_CYCLE_1)
	s_and_b32 vcc_lo, exec_lo, s0
	s_cbranch_vccz .LBB192_444
; %bb.443:
	global_load_u8 v2, v[0:1], off
	s_waitcnt vmcnt(0)
	v_lshlrev_b32_e32 v2, 24, v2
	s_delay_alu instid0(VALU_DEP_1) | instskip(NEXT) | instid1(VALU_DEP_1)
	v_and_b32_e32 v3, 0x7f000000, v2
	v_clz_i32_u32_e32 v4, v3
	v_add_nc_u32_e32 v6, 0x1000000, v3
	v_cmp_ne_u32_e32 vcc_lo, 0, v3
	s_delay_alu instid0(VALU_DEP_3) | instskip(NEXT) | instid1(VALU_DEP_1)
	v_min_u32_e32 v4, 32, v4
	v_sub_nc_u32_e64 v4, v4, 4 clamp
	s_delay_alu instid0(VALU_DEP_1) | instskip(SKIP_1) | instid1(VALU_DEP_2)
	v_lshlrev_b32_e32 v5, v4, v3
	v_lshlrev_b32_e32 v4, 23, v4
	v_lshrrev_b32_e32 v5, 4, v5
	s_delay_alu instid0(VALU_DEP_1) | instskip(SKIP_1) | instid1(VALU_DEP_2)
	v_sub_nc_u32_e32 v4, v5, v4
	v_ashrrev_i32_e32 v5, 8, v6
	v_add_nc_u32_e32 v4, 0x3c000000, v4
	s_delay_alu instid0(VALU_DEP_1) | instskip(NEXT) | instid1(VALU_DEP_1)
	v_and_or_b32 v4, 0x7f800000, v5, v4
	v_cndmask_b32_e32 v3, 0, v4, vcc_lo
	s_delay_alu instid0(VALU_DEP_1) | instskip(NEXT) | instid1(VALU_DEP_1)
	v_and_or_b32 v2, 0x80000000, v2, v3
	v_cvt_f64_f32_e32 v[2:3], v2
.LBB192_444:
	s_mov_b32 s0, 0
.LBB192_445:
	s_delay_alu instid0(SALU_CYCLE_1)
	s_and_not1_b32 vcc_lo, exec_lo, s0
	s_cbranch_vccnz .LBB192_447
; %bb.446:
	global_load_u8 v2, v[0:1], off
	s_waitcnt vmcnt(0)
	v_lshlrev_b32_e32 v3, 25, v2
	v_lshlrev_b16 v2, 8, v2
	s_delay_alu instid0(VALU_DEP_2) | instskip(NEXT) | instid1(VALU_DEP_2)
	v_lshrrev_b32_e32 v4, 4, v3
	v_and_or_b32 v5, 0x7f00, v2, 0.5
	v_bfe_i32 v2, v2, 0, 16
	s_delay_alu instid0(VALU_DEP_3) | instskip(NEXT) | instid1(VALU_DEP_1)
	v_or_b32_e32 v4, 0x70000000, v4
	v_dual_add_f32 v5, -0.5, v5 :: v_dual_mul_f32 v4, 0x7800000, v4
	v_cmp_gt_u32_e32 vcc_lo, 0x8000000, v3
	s_delay_alu instid0(VALU_DEP_2) | instskip(NEXT) | instid1(VALU_DEP_1)
	v_cndmask_b32_e32 v3, v4, v5, vcc_lo
	v_and_or_b32 v2, 0x80000000, v2, v3
	s_delay_alu instid0(VALU_DEP_1)
	v_cvt_f64_f32_e32 v[2:3], v2
.LBB192_447:
	s_mov_b32 s1, 0
	s_mov_b32 s0, -1
.LBB192_448:
	s_and_not1_b32 vcc_lo, exec_lo, s1
	s_cbranch_vccnz .LBB192_459
; %bb.449:
	v_cmp_lt_i16_e32 vcc_lo, 14, v12
	s_cbranch_vccz .LBB192_452
; %bb.450:
	v_cmp_eq_u16_e32 vcc_lo, 15, v12
	s_cbranch_vccz .LBB192_453
; %bb.451:
	global_load_u16 v2, v[0:1], off
	s_mov_b32 s0, -1
	s_mov_b32 s14, 0
	s_waitcnt vmcnt(0)
	v_lshlrev_b32_e32 v2, 16, v2
	s_delay_alu instid0(VALU_DEP_1)
	v_cvt_f64_f32_e32 v[2:3], v2
	s_branch .LBB192_454
.LBB192_452:
	s_mov_b32 s1, -1
                                        ; implicit-def: $vgpr2_vgpr3
	s_branch .LBB192_455
.LBB192_453:
	s_mov_b32 s14, -1
                                        ; implicit-def: $vgpr2_vgpr3
.LBB192_454:
	s_mov_b32 s1, 0
.LBB192_455:
	s_delay_alu instid0(SALU_CYCLE_1)
	s_and_b32 vcc_lo, exec_lo, s1
	s_cbranch_vccz .LBB192_459
; %bb.456:
	v_cmp_eq_u16_e32 vcc_lo, 11, v12
	s_cbranch_vccz .LBB192_458
; %bb.457:
	global_load_u8 v2, v[0:1], off
	s_mov_b32 s14, 0
	s_mov_b32 s0, -1
	s_waitcnt vmcnt(0)
	v_cmp_ne_u16_e32 vcc_lo, 0, v2
	v_mov_b32_e32 v2, 0
	v_cndmask_b32_e64 v3, 0, 0x3ff00000, vcc_lo
	s_branch .LBB192_459
.LBB192_458:
	s_mov_b32 s14, -1
                                        ; implicit-def: $vgpr2_vgpr3
.LBB192_459:
	s_branch .LBB192_261
.LBB192_460:
	v_cmp_gt_i16_e32 vcc_lo, 5, v12
	s_cbranch_vccnz .LBB192_465
; %bb.461:
	v_cmp_gt_i16_e32 vcc_lo, 8, v12
	s_cbranch_vccnz .LBB192_466
; %bb.462:
	;; [unrolled: 3-line block ×3, first 2 shown]
	v_cmp_lt_i16_e32 vcc_lo, 9, v12
	s_cbranch_vccz .LBB192_468
; %bb.464:
	global_load_b64 v[2:3], v[0:1], off
	s_mov_b32 s0, 0
	s_branch .LBB192_469
.LBB192_465:
	s_mov_b32 s0, -1
                                        ; implicit-def: $vgpr2_vgpr3
	s_branch .LBB192_487
.LBB192_466:
	s_mov_b32 s0, -1
                                        ; implicit-def: $vgpr2_vgpr3
	s_branch .LBB192_475
.LBB192_467:
	s_mov_b32 s0, -1
                                        ; implicit-def: $vgpr2_vgpr3
	s_branch .LBB192_472
.LBB192_468:
	s_mov_b32 s0, -1
                                        ; implicit-def: $vgpr2_vgpr3
.LBB192_469:
	s_delay_alu instid0(SALU_CYCLE_1)
	s_and_not1_b32 vcc_lo, exec_lo, s0
	s_cbranch_vccnz .LBB192_471
; %bb.470:
	global_load_b32 v2, v[0:1], off
	s_waitcnt vmcnt(0)
	v_cvt_f64_f32_e32 v[2:3], v2
.LBB192_471:
	s_mov_b32 s0, 0
.LBB192_472:
	s_delay_alu instid0(SALU_CYCLE_1)
	s_and_not1_b32 vcc_lo, exec_lo, s0
	s_cbranch_vccnz .LBB192_474
; %bb.473:
	global_load_b32 v2, v[0:1], off
	s_waitcnt vmcnt(0)
	v_cvt_f32_f16_e32 v2, v2
	s_delay_alu instid0(VALU_DEP_1)
	v_cvt_f64_f32_e32 v[2:3], v2
.LBB192_474:
	s_mov_b32 s0, 0
.LBB192_475:
	s_delay_alu instid0(SALU_CYCLE_1)
	s_and_not1_b32 vcc_lo, exec_lo, s0
	s_cbranch_vccnz .LBB192_486
; %bb.476:
	v_cmp_gt_i16_e32 vcc_lo, 6, v12
	s_cbranch_vccnz .LBB192_479
; %bb.477:
	v_cmp_lt_i16_e32 vcc_lo, 6, v12
	s_cbranch_vccz .LBB192_480
; %bb.478:
	global_load_b64 v[2:3], v[0:1], off
	s_mov_b32 s0, 0
	s_branch .LBB192_481
.LBB192_479:
	s_mov_b32 s0, -1
                                        ; implicit-def: $vgpr2_vgpr3
	s_branch .LBB192_484
.LBB192_480:
	s_mov_b32 s0, -1
                                        ; implicit-def: $vgpr2_vgpr3
.LBB192_481:
	s_delay_alu instid0(SALU_CYCLE_1)
	s_and_not1_b32 vcc_lo, exec_lo, s0
	s_cbranch_vccnz .LBB192_483
; %bb.482:
	global_load_b32 v2, v[0:1], off
	s_waitcnt vmcnt(0)
	v_cvt_f64_f32_e32 v[2:3], v2
.LBB192_483:
	s_mov_b32 s0, 0
.LBB192_484:
	s_delay_alu instid0(SALU_CYCLE_1)
	s_and_not1_b32 vcc_lo, exec_lo, s0
	s_cbranch_vccnz .LBB192_486
; %bb.485:
	global_load_u16 v2, v[0:1], off
	s_waitcnt vmcnt(0)
	v_cvt_f32_f16_e32 v2, v2
	s_delay_alu instid0(VALU_DEP_1)
	v_cvt_f64_f32_e32 v[2:3], v2
.LBB192_486:
	s_mov_b32 s0, 0
.LBB192_487:
	s_delay_alu instid0(SALU_CYCLE_1)
	s_and_not1_b32 vcc_lo, exec_lo, s0
	s_cbranch_vccnz .LBB192_507
; %bb.488:
	v_cmp_gt_i16_e32 vcc_lo, 2, v12
	s_cbranch_vccnz .LBB192_492
; %bb.489:
	v_cmp_gt_i16_e32 vcc_lo, 3, v12
	s_cbranch_vccnz .LBB192_493
; %bb.490:
	v_cmp_lt_i16_e32 vcc_lo, 3, v12
	s_cbranch_vccz .LBB192_494
; %bb.491:
	global_load_b64 v[2:3], v[0:1], off
	s_mov_b32 s0, 0
	s_waitcnt vmcnt(0)
	v_cvt_f64_i32_e32 v[3:4], v3
	v_cvt_f64_u32_e32 v[5:6], v2
	s_delay_alu instid0(VALU_DEP_2) | instskip(NEXT) | instid1(VALU_DEP_1)
	v_ldexp_f64 v[3:4], v[3:4], 32
	v_add_f64 v[2:3], v[3:4], v[5:6]
	s_branch .LBB192_495
.LBB192_492:
	s_mov_b32 s0, -1
                                        ; implicit-def: $vgpr2_vgpr3
	s_branch .LBB192_501
.LBB192_493:
	s_mov_b32 s0, -1
                                        ; implicit-def: $vgpr2_vgpr3
	s_branch .LBB192_498
.LBB192_494:
	s_mov_b32 s0, -1
                                        ; implicit-def: $vgpr2_vgpr3
.LBB192_495:
	s_delay_alu instid0(SALU_CYCLE_1)
	s_and_not1_b32 vcc_lo, exec_lo, s0
	s_cbranch_vccnz .LBB192_497
; %bb.496:
	global_load_b32 v2, v[0:1], off
	s_waitcnt vmcnt(0)
	v_cvt_f64_i32_e32 v[2:3], v2
.LBB192_497:
	s_mov_b32 s0, 0
.LBB192_498:
	s_delay_alu instid0(SALU_CYCLE_1)
	s_and_not1_b32 vcc_lo, exec_lo, s0
	s_cbranch_vccnz .LBB192_500
; %bb.499:
	global_load_i16 v2, v[0:1], off
	s_waitcnt vmcnt(0)
	v_cvt_f64_i32_e32 v[2:3], v2
.LBB192_500:
	s_mov_b32 s0, 0
.LBB192_501:
	s_delay_alu instid0(SALU_CYCLE_1)
	s_and_not1_b32 vcc_lo, exec_lo, s0
	s_cbranch_vccnz .LBB192_507
; %bb.502:
	v_cmp_lt_i16_e32 vcc_lo, 0, v12
	s_mov_b32 s0, 0
	s_cbranch_vccz .LBB192_504
; %bb.503:
	global_load_i8 v2, v[0:1], off
	s_waitcnt vmcnt(0)
	v_cvt_f64_i32_e32 v[2:3], v2
	s_branch .LBB192_505
.LBB192_504:
	s_mov_b32 s0, -1
                                        ; implicit-def: $vgpr2_vgpr3
.LBB192_505:
	s_delay_alu instid0(SALU_CYCLE_1)
	s_and_not1_b32 vcc_lo, exec_lo, s0
	s_cbranch_vccnz .LBB192_507
; %bb.506:
	global_load_u8 v0, v[0:1], off
	s_waitcnt vmcnt(0)
	v_cvt_f64_u32_e32 v[2:3], v0
.LBB192_507:
	s_branch .LBB192_262
.LBB192_508:
	s_mov_b32 s1, 0
	s_mov_b32 s0, s10
.LBB192_509:
                                        ; implicit-def: $vgpr11
.LBB192_510:
	s_and_not1_b32 s15, s10, exec_lo
	s_and_b32 s0, s0, exec_lo
	s_and_not1_b32 s17, s12, exec_lo
	s_and_b32 s14, s14, exec_lo
	s_or_b32 s15, s15, s0
	s_or_b32 s14, s17, s14
	s_or_not1_b32 s18, s1, exec_lo
.LBB192_511:
	s_or_b32 exec_lo, exec_lo, s16
	s_mov_b32 s1, 0
	s_mov_b32 s17, 0
	s_mov_b32 s0, 0
                                        ; implicit-def: $vgpr0_vgpr1
                                        ; implicit-def: $vgpr2_vgpr3
	s_and_saveexec_b32 s16, s18
	s_cbranch_execz .LBB192_858
; %bb.512:
	s_mov_b32 s0, -1
	s_mov_b32 s18, s14
	s_mov_b32 s19, s15
	s_mov_b32 s17, exec_lo
	v_cmpx_gt_i32_e64 s11, v11
	s_cbranch_execz .LBB192_772
; %bb.513:
	v_mul_lo_u32 v0, v11, s3
	v_cmp_gt_i16_e32 vcc_lo, 11, v12
	s_delay_alu instid0(VALU_DEP_2) | instskip(SKIP_1) | instid1(VALU_DEP_1)
	v_ashrrev_i32_e32 v1, 31, v0
	v_add_co_u32 v0, s0, s6, v0
	v_add_co_ci_u32_e64 v1, s0, s7, v1, s0
	s_cbranch_vccnz .LBB192_520
; %bb.514:
	v_cmp_lt_i16_e32 vcc_lo, 25, v12
	s_cbranch_vccz .LBB192_521
; %bb.515:
	v_cmp_lt_i16_e32 vcc_lo, 28, v12
	s_cbranch_vccz .LBB192_522
	;; [unrolled: 3-line block ×4, first 2 shown]
; %bb.518:
	v_cmp_eq_u16_e32 vcc_lo, 46, v12
	s_cbranch_vccz .LBB192_529
; %bb.519:
	global_load_b32 v2, v[0:1], off
	s_mov_b32 s0, -1
	s_mov_b32 s18, 0
	s_waitcnt vmcnt(0)
	v_lshlrev_b32_e32 v2, 16, v2
	s_delay_alu instid0(VALU_DEP_1)
	v_cvt_f64_f32_e32 v[2:3], v2
	s_branch .LBB192_531
.LBB192_520:
	s_mov_b32 s1, -1
	s_mov_b32 s0, 0
	s_mov_b32 s18, s14
                                        ; implicit-def: $vgpr2_vgpr3
	s_branch .LBB192_596
.LBB192_521:
	s_mov_b32 s1, -1
	s_mov_b32 s0, 0
	s_mov_b32 s18, s14
                                        ; implicit-def: $vgpr2_vgpr3
	s_branch .LBB192_562
.LBB192_522:
	s_mov_b32 s1, -1
	s_mov_b32 s0, 0
	s_mov_b32 s18, s14
                                        ; implicit-def: $vgpr2_vgpr3
	s_branch .LBB192_541
.LBB192_523:
	s_mov_b32 s1, -1
	s_mov_b32 s0, 0
	s_mov_b32 s18, s14
                                        ; implicit-def: $vgpr2_vgpr3
	s_branch .LBB192_536
.LBB192_524:
	s_or_saveexec_b32 s17, s17
                                        ; implicit-def: $sgpr18
	s_delay_alu instid0(SALU_CYCLE_1)
	s_xor_b32 exec_lo, exec_lo, s17
	s_cbranch_execz .LBB192_308
.LBB192_525:
	v_add_f32_e64 v3, 0x46000000, |v2|
	s_and_not1_b32 s15, s15, exec_lo
	s_mov_b32 s18, 0
	s_delay_alu instid0(VALU_DEP_1) | instskip(NEXT) | instid1(VALU_DEP_1)
	v_and_b32_e32 v3, 0xff, v3
	v_cmp_ne_u32_e32 vcc_lo, 0, v3
	s_and_b32 s19, vcc_lo, exec_lo
	s_delay_alu instid0(SALU_CYCLE_1)
	s_or_b32 s15, s15, s19
	s_or_b32 exec_lo, exec_lo, s17
	v_mov_b32_e32 v7, s18
	s_and_saveexec_b32 s17, s15
	s_cbranch_execnz .LBB192_309
	s_branch .LBB192_310
.LBB192_526:
	s_mov_b32 s1, -1
	s_mov_b32 s0, 0
	s_mov_b32 s18, s14
	s_branch .LBB192_530
.LBB192_527:
	s_or_saveexec_b32 s17, s17
                                        ; implicit-def: $sgpr18
	s_delay_alu instid0(SALU_CYCLE_1)
	s_xor_b32 exec_lo, exec_lo, s17
	s_cbranch_execz .LBB192_321
.LBB192_528:
	v_add_f32_e64 v3, 0x42800000, |v2|
	s_and_not1_b32 s15, s15, exec_lo
	s_mov_b32 s18, 0
	s_delay_alu instid0(VALU_DEP_1) | instskip(NEXT) | instid1(VALU_DEP_1)
	v_and_b32_e32 v3, 0xff, v3
	v_cmp_ne_u32_e32 vcc_lo, 0, v3
	s_and_b32 s19, vcc_lo, exec_lo
	s_delay_alu instid0(SALU_CYCLE_1)
	s_or_b32 s15, s15, s19
	s_or_b32 exec_lo, exec_lo, s17
	v_mov_b32_e32 v7, s18
	s_and_saveexec_b32 s17, s15
	s_cbranch_execnz .LBB192_322
	s_branch .LBB192_323
.LBB192_529:
	s_mov_b32 s18, -1
	s_mov_b32 s0, 0
.LBB192_530:
                                        ; implicit-def: $vgpr2_vgpr3
.LBB192_531:
	s_and_b32 vcc_lo, exec_lo, s1
	s_cbranch_vccz .LBB192_535
; %bb.532:
	v_cmp_eq_u16_e32 vcc_lo, 44, v12
	s_cbranch_vccz .LBB192_534
; %bb.533:
	global_load_u8 v4, v[0:1], off
	s_mov_b32 s18, 0
	s_mov_b32 s0, -1
	s_waitcnt vmcnt(0)
	v_cmp_ne_u32_e32 vcc_lo, 0xff, v4
	v_lshlrev_b32_e32 v2, 23, v4
	s_delay_alu instid0(VALU_DEP_1) | instskip(NEXT) | instid1(VALU_DEP_1)
	v_cvt_f64_f32_e32 v[2:3], v2
	v_cndmask_b32_e32 v3, 0x7ff80000, v3, vcc_lo
	s_delay_alu instid0(VALU_DEP_2) | instskip(SKIP_1) | instid1(VALU_DEP_3)
	v_cndmask_b32_e32 v2, 0x20000000, v2, vcc_lo
	v_cmp_ne_u32_e32 vcc_lo, 0, v4
	v_cndmask_b32_e32 v3, 0x38000000, v3, vcc_lo
	s_delay_alu instid0(VALU_DEP_3)
	v_cndmask_b32_e32 v2, 0, v2, vcc_lo
	s_branch .LBB192_535
.LBB192_534:
	s_mov_b32 s18, -1
                                        ; implicit-def: $vgpr2_vgpr3
.LBB192_535:
	s_mov_b32 s1, 0
.LBB192_536:
	s_delay_alu instid0(SALU_CYCLE_1)
	s_and_b32 vcc_lo, exec_lo, s1
	s_cbranch_vccz .LBB192_540
; %bb.537:
	v_cmp_eq_u16_e32 vcc_lo, 29, v12
	s_cbranch_vccz .LBB192_539
; %bb.538:
	global_load_b64 v[2:3], v[0:1], off
	s_mov_b32 s0, -1
	s_mov_b32 s18, 0
	s_mov_b32 s1, 0
	s_waitcnt vmcnt(0)
	v_cvt_f64_u32_e32 v[3:4], v3
	v_cvt_f64_u32_e32 v[5:6], v2
	s_delay_alu instid0(VALU_DEP_2) | instskip(NEXT) | instid1(VALU_DEP_1)
	v_ldexp_f64 v[3:4], v[3:4], 32
	v_add_f64 v[2:3], v[3:4], v[5:6]
	s_branch .LBB192_541
.LBB192_539:
	s_mov_b32 s18, -1
                                        ; implicit-def: $vgpr2_vgpr3
.LBB192_540:
	s_mov_b32 s1, 0
.LBB192_541:
	s_delay_alu instid0(SALU_CYCLE_1)
	s_and_b32 vcc_lo, exec_lo, s1
	s_cbranch_vccz .LBB192_561
; %bb.542:
	v_cmp_gt_i16_e32 vcc_lo, 27, v12
	s_cbranch_vccnz .LBB192_545
; %bb.543:
	v_cmp_lt_i16_e32 vcc_lo, 27, v12
	s_cbranch_vccz .LBB192_546
; %bb.544:
	global_load_b32 v2, v[0:1], off
	s_mov_b32 s0, 0
	s_waitcnt vmcnt(0)
	v_cvt_f64_u32_e32 v[2:3], v2
	s_branch .LBB192_547
.LBB192_545:
	s_mov_b32 s0, -1
                                        ; implicit-def: $vgpr2_vgpr3
	s_branch .LBB192_550
.LBB192_546:
	s_mov_b32 s0, -1
                                        ; implicit-def: $vgpr2_vgpr3
.LBB192_547:
	s_delay_alu instid0(SALU_CYCLE_1)
	s_and_not1_b32 vcc_lo, exec_lo, s0
	s_cbranch_vccnz .LBB192_549
; %bb.548:
	global_load_u16 v2, v[0:1], off
	s_waitcnt vmcnt(0)
	v_cvt_f64_u32_e32 v[2:3], v2
.LBB192_549:
	s_mov_b32 s0, 0
.LBB192_550:
	s_delay_alu instid0(SALU_CYCLE_1)
	s_and_not1_b32 vcc_lo, exec_lo, s0
	s_cbranch_vccnz .LBB192_560
; %bb.551:
	global_load_u8 v4, v[0:1], off
	s_mov_b32 s19, 0
	s_mov_b32 s20, exec_lo
                                        ; implicit-def: $sgpr0_sgpr1
	s_waitcnt vmcnt(0)
	v_cmpx_lt_i16_e32 0x7f, v4
	s_xor_b32 s20, exec_lo, s20
	s_cbranch_execz .LBB192_555
; %bb.552:
	s_mov_b32 s21, -1
	s_mov_b32 s19, exec_lo
                                        ; implicit-def: $sgpr0_sgpr1
	v_cmpx_eq_u16_e32 0x80, v4
; %bb.553:
	s_mov_b32 s1, 0x7ff80000
	s_brev_b32 s0, 4
	s_xor_b32 s21, exec_lo, -1
; %bb.554:
	s_or_b32 exec_lo, exec_lo, s19
	s_delay_alu instid0(SALU_CYCLE_1)
	s_and_b32 s19, s21, exec_lo
.LBB192_555:
	s_or_saveexec_b32 s20, s20
	v_dual_mov_b32 v3, s1 :: v_dual_mov_b32 v2, s0
	s_xor_b32 exec_lo, exec_lo, s20
; %bb.556:
	v_cmp_ne_u16_e32 vcc_lo, 0, v4
	v_mov_b32_e32 v2, 0
	v_mov_b32_e32 v3, 0
	s_and_not1_b32 s0, s19, exec_lo
	s_and_b32 s1, vcc_lo, exec_lo
	s_delay_alu instid0(SALU_CYCLE_1)
	s_or_b32 s19, s0, s1
; %bb.557:
	s_or_b32 exec_lo, exec_lo, s20
	s_and_saveexec_b32 s0, s19
	s_cbranch_execz .LBB192_559
; %bb.558:
	v_and_b32_e32 v2, 0xffff, v4
	v_lshlrev_b32_e32 v4, 24, v4
	s_delay_alu instid0(VALU_DEP_2) | instskip(NEXT) | instid1(VALU_DEP_2)
	v_and_b32_e32 v3, 7, v2
	v_and_b32_e32 v4, 0x80000000, v4
	s_delay_alu instid0(VALU_DEP_2) | instskip(NEXT) | instid1(VALU_DEP_1)
	v_clz_i32_u32_e32 v5, v3
	v_min_u32_e32 v5, 32, v5
	s_delay_alu instid0(VALU_DEP_1) | instskip(SKIP_1) | instid1(VALU_DEP_2)
	v_subrev_nc_u32_e32 v6, 28, v5
	v_sub_nc_u32_e32 v5, 29, v5
	v_lshlrev_b32_e32 v6, v6, v2
	v_bfe_u32 v2, v2, 3, 4
	s_delay_alu instid0(VALU_DEP_2) | instskip(NEXT) | instid1(VALU_DEP_2)
	v_and_b32_e32 v6, 7, v6
	v_cmp_eq_u32_e32 vcc_lo, 0, v2
	s_delay_alu instid0(VALU_DEP_2) | instskip(NEXT) | instid1(VALU_DEP_1)
	v_dual_cndmask_b32 v2, v2, v5 :: v_dual_cndmask_b32 v3, v3, v6
	v_lshl_add_u32 v2, v2, 23, 0x3b800000
	s_delay_alu instid0(VALU_DEP_2) | instskip(NEXT) | instid1(VALU_DEP_1)
	v_lshlrev_b32_e32 v3, 20, v3
	v_or3_b32 v2, v4, v2, v3
	s_delay_alu instid0(VALU_DEP_1)
	v_cvt_f64_f32_e32 v[2:3], v2
.LBB192_559:
	s_or_b32 exec_lo, exec_lo, s0
.LBB192_560:
	s_mov_b32 s0, -1
.LBB192_561:
	s_mov_b32 s1, 0
.LBB192_562:
	s_delay_alu instid0(SALU_CYCLE_1)
	s_and_b32 vcc_lo, exec_lo, s1
	s_cbranch_vccz .LBB192_595
; %bb.563:
	v_cmp_lt_i16_e32 vcc_lo, 22, v12
	s_cbranch_vccz .LBB192_575
; %bb.564:
	v_cmp_gt_i16_e32 vcc_lo, 24, v12
	s_cbranch_vccnz .LBB192_576
; %bb.565:
	v_cmp_lt_i16_e32 vcc_lo, 24, v12
	s_cbranch_vccz .LBB192_577
; %bb.566:
	global_load_u8 v4, v[0:1], off
	s_mov_b32 s19, 0
	s_mov_b32 s20, exec_lo
                                        ; implicit-def: $sgpr0_sgpr1
	s_waitcnt vmcnt(0)
	v_cmpx_lt_i16_e32 0x7f, v4
	s_xor_b32 s20, exec_lo, s20
	s_cbranch_execz .LBB192_570
; %bb.567:
	s_mov_b32 s21, -1
	s_mov_b32 s19, exec_lo
                                        ; implicit-def: $sgpr0_sgpr1
	v_cmpx_eq_u16_e32 0x80, v4
; %bb.568:
	s_mov_b32 s1, 0x7ff80000
	s_brev_b32 s0, 4
	s_xor_b32 s21, exec_lo, -1
; %bb.569:
	s_or_b32 exec_lo, exec_lo, s19
	s_delay_alu instid0(SALU_CYCLE_1)
	s_and_b32 s19, s21, exec_lo
.LBB192_570:
	s_or_saveexec_b32 s20, s20
	v_dual_mov_b32 v3, s1 :: v_dual_mov_b32 v2, s0
	s_xor_b32 exec_lo, exec_lo, s20
; %bb.571:
	v_cmp_ne_u16_e32 vcc_lo, 0, v4
	v_mov_b32_e32 v2, 0
	v_mov_b32_e32 v3, 0
	s_and_not1_b32 s0, s19, exec_lo
	s_and_b32 s1, vcc_lo, exec_lo
	s_delay_alu instid0(SALU_CYCLE_1)
	s_or_b32 s19, s0, s1
; %bb.572:
	s_or_b32 exec_lo, exec_lo, s20
	s_and_saveexec_b32 s0, s19
	s_cbranch_execz .LBB192_574
; %bb.573:
	v_and_b32_e32 v2, 0xffff, v4
	v_lshlrev_b32_e32 v4, 24, v4
	s_delay_alu instid0(VALU_DEP_2) | instskip(NEXT) | instid1(VALU_DEP_2)
	v_and_b32_e32 v3, 3, v2
	v_and_b32_e32 v4, 0x80000000, v4
	s_delay_alu instid0(VALU_DEP_2) | instskip(NEXT) | instid1(VALU_DEP_1)
	v_clz_i32_u32_e32 v5, v3
	v_min_u32_e32 v5, 32, v5
	s_delay_alu instid0(VALU_DEP_1) | instskip(SKIP_1) | instid1(VALU_DEP_2)
	v_subrev_nc_u32_e32 v6, 29, v5
	v_sub_nc_u32_e32 v5, 30, v5
	v_lshlrev_b32_e32 v6, v6, v2
	v_bfe_u32 v2, v2, 2, 5
	s_delay_alu instid0(VALU_DEP_2) | instskip(NEXT) | instid1(VALU_DEP_2)
	v_and_b32_e32 v6, 3, v6
	v_cmp_eq_u32_e32 vcc_lo, 0, v2
	s_delay_alu instid0(VALU_DEP_2) | instskip(NEXT) | instid1(VALU_DEP_1)
	v_dual_cndmask_b32 v2, v2, v5 :: v_dual_cndmask_b32 v3, v3, v6
	v_lshl_add_u32 v2, v2, 23, 0x37800000
	s_delay_alu instid0(VALU_DEP_2) | instskip(NEXT) | instid1(VALU_DEP_1)
	v_lshlrev_b32_e32 v3, 21, v3
	v_or3_b32 v2, v4, v2, v3
	s_delay_alu instid0(VALU_DEP_1)
	v_cvt_f64_f32_e32 v[2:3], v2
.LBB192_574:
	s_or_b32 exec_lo, exec_lo, s0
	s_mov_b32 s0, 0
	s_branch .LBB192_578
.LBB192_575:
	s_mov_b32 s1, -1
                                        ; implicit-def: $vgpr2_vgpr3
	s_branch .LBB192_584
.LBB192_576:
	s_mov_b32 s0, -1
                                        ; implicit-def: $vgpr2_vgpr3
	s_branch .LBB192_581
.LBB192_577:
	s_mov_b32 s0, -1
                                        ; implicit-def: $vgpr2_vgpr3
.LBB192_578:
	s_delay_alu instid0(SALU_CYCLE_1)
	s_and_b32 vcc_lo, exec_lo, s0
	s_cbranch_vccz .LBB192_580
; %bb.579:
	global_load_u8 v2, v[0:1], off
	s_waitcnt vmcnt(0)
	v_lshlrev_b32_e32 v2, 24, v2
	s_delay_alu instid0(VALU_DEP_1) | instskip(NEXT) | instid1(VALU_DEP_1)
	v_and_b32_e32 v3, 0x7f000000, v2
	v_clz_i32_u32_e32 v4, v3
	v_add_nc_u32_e32 v6, 0x1000000, v3
	v_cmp_ne_u32_e32 vcc_lo, 0, v3
	s_delay_alu instid0(VALU_DEP_3) | instskip(NEXT) | instid1(VALU_DEP_1)
	v_min_u32_e32 v4, 32, v4
	v_sub_nc_u32_e64 v4, v4, 4 clamp
	s_delay_alu instid0(VALU_DEP_1) | instskip(SKIP_1) | instid1(VALU_DEP_2)
	v_lshlrev_b32_e32 v5, v4, v3
	v_lshlrev_b32_e32 v4, 23, v4
	v_lshrrev_b32_e32 v5, 4, v5
	s_delay_alu instid0(VALU_DEP_1) | instskip(SKIP_1) | instid1(VALU_DEP_2)
	v_sub_nc_u32_e32 v4, v5, v4
	v_ashrrev_i32_e32 v5, 8, v6
	v_add_nc_u32_e32 v4, 0x3c000000, v4
	s_delay_alu instid0(VALU_DEP_1) | instskip(NEXT) | instid1(VALU_DEP_1)
	v_and_or_b32 v4, 0x7f800000, v5, v4
	v_cndmask_b32_e32 v3, 0, v4, vcc_lo
	s_delay_alu instid0(VALU_DEP_1) | instskip(NEXT) | instid1(VALU_DEP_1)
	v_and_or_b32 v2, 0x80000000, v2, v3
	v_cvt_f64_f32_e32 v[2:3], v2
.LBB192_580:
	s_mov_b32 s0, 0
.LBB192_581:
	s_delay_alu instid0(SALU_CYCLE_1)
	s_and_not1_b32 vcc_lo, exec_lo, s0
	s_cbranch_vccnz .LBB192_583
; %bb.582:
	global_load_u8 v2, v[0:1], off
	s_waitcnt vmcnt(0)
	v_lshlrev_b32_e32 v3, 25, v2
	v_lshlrev_b16 v2, 8, v2
	s_delay_alu instid0(VALU_DEP_2) | instskip(NEXT) | instid1(VALU_DEP_2)
	v_lshrrev_b32_e32 v4, 4, v3
	v_and_or_b32 v5, 0x7f00, v2, 0.5
	v_bfe_i32 v2, v2, 0, 16
	s_delay_alu instid0(VALU_DEP_3) | instskip(NEXT) | instid1(VALU_DEP_1)
	v_or_b32_e32 v4, 0x70000000, v4
	v_dual_add_f32 v5, -0.5, v5 :: v_dual_mul_f32 v4, 0x7800000, v4
	v_cmp_gt_u32_e32 vcc_lo, 0x8000000, v3
	s_delay_alu instid0(VALU_DEP_2) | instskip(NEXT) | instid1(VALU_DEP_1)
	v_cndmask_b32_e32 v3, v4, v5, vcc_lo
	v_and_or_b32 v2, 0x80000000, v2, v3
	s_delay_alu instid0(VALU_DEP_1)
	v_cvt_f64_f32_e32 v[2:3], v2
.LBB192_583:
	s_mov_b32 s1, 0
	s_mov_b32 s0, -1
.LBB192_584:
	s_and_not1_b32 vcc_lo, exec_lo, s1
	s_cbranch_vccnz .LBB192_595
; %bb.585:
	v_cmp_lt_i16_e32 vcc_lo, 14, v12
	s_cbranch_vccz .LBB192_588
; %bb.586:
	v_cmp_eq_u16_e32 vcc_lo, 15, v12
	s_cbranch_vccz .LBB192_589
; %bb.587:
	global_load_u16 v2, v[0:1], off
	s_mov_b32 s0, -1
	s_mov_b32 s18, 0
	s_waitcnt vmcnt(0)
	v_lshlrev_b32_e32 v2, 16, v2
	s_delay_alu instid0(VALU_DEP_1)
	v_cvt_f64_f32_e32 v[2:3], v2
	s_branch .LBB192_590
.LBB192_588:
	s_mov_b32 s1, -1
                                        ; implicit-def: $vgpr2_vgpr3
	s_branch .LBB192_591
.LBB192_589:
	s_mov_b32 s18, -1
                                        ; implicit-def: $vgpr2_vgpr3
.LBB192_590:
	s_mov_b32 s1, 0
.LBB192_591:
	s_delay_alu instid0(SALU_CYCLE_1)
	s_and_b32 vcc_lo, exec_lo, s1
	s_cbranch_vccz .LBB192_595
; %bb.592:
	v_cmp_eq_u16_e32 vcc_lo, 11, v12
	s_cbranch_vccz .LBB192_594
; %bb.593:
	global_load_u8 v2, v[0:1], off
	s_mov_b32 s18, 0
	s_mov_b32 s0, -1
	s_waitcnt vmcnt(0)
	v_cmp_ne_u16_e32 vcc_lo, 0, v2
	v_mov_b32_e32 v2, 0
	v_cndmask_b32_e64 v3, 0, 0x3ff00000, vcc_lo
	s_branch .LBB192_595
.LBB192_594:
	s_mov_b32 s18, -1
                                        ; implicit-def: $vgpr2_vgpr3
.LBB192_595:
	s_mov_b32 s1, 0
.LBB192_596:
	s_delay_alu instid0(SALU_CYCLE_1)
	s_and_b32 vcc_lo, exec_lo, s1
	s_cbranch_vccz .LBB192_645
; %bb.597:
	v_cmp_gt_i16_e32 vcc_lo, 5, v12
	s_cbranch_vccnz .LBB192_602
; %bb.598:
	v_cmp_gt_i16_e32 vcc_lo, 8, v12
	s_cbranch_vccnz .LBB192_603
	;; [unrolled: 3-line block ×3, first 2 shown]
; %bb.600:
	v_cmp_lt_i16_e32 vcc_lo, 9, v12
	s_cbranch_vccz .LBB192_605
; %bb.601:
	global_load_b64 v[2:3], v[0:1], off
	s_mov_b32 s0, 0
	s_branch .LBB192_606
.LBB192_602:
	s_mov_b32 s0, -1
                                        ; implicit-def: $vgpr2_vgpr3
	s_branch .LBB192_624
.LBB192_603:
	s_mov_b32 s0, -1
                                        ; implicit-def: $vgpr2_vgpr3
	s_branch .LBB192_612
.LBB192_604:
	s_mov_b32 s0, -1
                                        ; implicit-def: $vgpr2_vgpr3
	s_branch .LBB192_609
.LBB192_605:
	s_mov_b32 s0, -1
                                        ; implicit-def: $vgpr2_vgpr3
.LBB192_606:
	s_delay_alu instid0(SALU_CYCLE_1)
	s_and_not1_b32 vcc_lo, exec_lo, s0
	s_cbranch_vccnz .LBB192_608
; %bb.607:
	global_load_b32 v2, v[0:1], off
	s_waitcnt vmcnt(0)
	v_cvt_f64_f32_e32 v[2:3], v2
.LBB192_608:
	s_mov_b32 s0, 0
.LBB192_609:
	s_delay_alu instid0(SALU_CYCLE_1)
	s_and_not1_b32 vcc_lo, exec_lo, s0
	s_cbranch_vccnz .LBB192_611
; %bb.610:
	global_load_b32 v2, v[0:1], off
	s_waitcnt vmcnt(0)
	v_cvt_f32_f16_e32 v2, v2
	s_delay_alu instid0(VALU_DEP_1)
	v_cvt_f64_f32_e32 v[2:3], v2
.LBB192_611:
	s_mov_b32 s0, 0
.LBB192_612:
	s_delay_alu instid0(SALU_CYCLE_1)
	s_and_not1_b32 vcc_lo, exec_lo, s0
	s_cbranch_vccnz .LBB192_623
; %bb.613:
	v_cmp_gt_i16_e32 vcc_lo, 6, v12
	s_cbranch_vccnz .LBB192_616
; %bb.614:
	v_cmp_lt_i16_e32 vcc_lo, 6, v12
	s_cbranch_vccz .LBB192_617
; %bb.615:
	global_load_b64 v[2:3], v[0:1], off
	s_mov_b32 s0, 0
	s_branch .LBB192_618
.LBB192_616:
	s_mov_b32 s0, -1
                                        ; implicit-def: $vgpr2_vgpr3
	s_branch .LBB192_621
.LBB192_617:
	s_mov_b32 s0, -1
                                        ; implicit-def: $vgpr2_vgpr3
.LBB192_618:
	s_delay_alu instid0(SALU_CYCLE_1)
	s_and_not1_b32 vcc_lo, exec_lo, s0
	s_cbranch_vccnz .LBB192_620
; %bb.619:
	global_load_b32 v2, v[0:1], off
	s_waitcnt vmcnt(0)
	v_cvt_f64_f32_e32 v[2:3], v2
.LBB192_620:
	s_mov_b32 s0, 0
.LBB192_621:
	s_delay_alu instid0(SALU_CYCLE_1)
	s_and_not1_b32 vcc_lo, exec_lo, s0
	s_cbranch_vccnz .LBB192_623
; %bb.622:
	global_load_u16 v2, v[0:1], off
	s_waitcnt vmcnt(0)
	v_cvt_f32_f16_e32 v2, v2
	s_delay_alu instid0(VALU_DEP_1)
	v_cvt_f64_f32_e32 v[2:3], v2
.LBB192_623:
	s_mov_b32 s0, 0
.LBB192_624:
	s_delay_alu instid0(SALU_CYCLE_1)
	s_and_not1_b32 vcc_lo, exec_lo, s0
	s_cbranch_vccnz .LBB192_644
; %bb.625:
	v_cmp_gt_i16_e32 vcc_lo, 2, v12
	s_cbranch_vccnz .LBB192_629
; %bb.626:
	v_cmp_gt_i16_e32 vcc_lo, 3, v12
	s_cbranch_vccnz .LBB192_630
; %bb.627:
	v_cmp_lt_i16_e32 vcc_lo, 3, v12
	s_cbranch_vccz .LBB192_631
; %bb.628:
	global_load_b64 v[2:3], v[0:1], off
	s_mov_b32 s0, 0
	s_waitcnt vmcnt(0)
	v_cvt_f64_i32_e32 v[3:4], v3
	v_cvt_f64_u32_e32 v[5:6], v2
	s_delay_alu instid0(VALU_DEP_2) | instskip(NEXT) | instid1(VALU_DEP_1)
	v_ldexp_f64 v[3:4], v[3:4], 32
	v_add_f64 v[2:3], v[3:4], v[5:6]
	s_branch .LBB192_632
.LBB192_629:
	s_mov_b32 s0, -1
                                        ; implicit-def: $vgpr2_vgpr3
	s_branch .LBB192_638
.LBB192_630:
	s_mov_b32 s0, -1
                                        ; implicit-def: $vgpr2_vgpr3
	s_branch .LBB192_635
.LBB192_631:
	s_mov_b32 s0, -1
                                        ; implicit-def: $vgpr2_vgpr3
.LBB192_632:
	s_delay_alu instid0(SALU_CYCLE_1)
	s_and_not1_b32 vcc_lo, exec_lo, s0
	s_cbranch_vccnz .LBB192_634
; %bb.633:
	global_load_b32 v2, v[0:1], off
	s_waitcnt vmcnt(0)
	v_cvt_f64_i32_e32 v[2:3], v2
.LBB192_634:
	s_mov_b32 s0, 0
.LBB192_635:
	s_delay_alu instid0(SALU_CYCLE_1)
	s_and_not1_b32 vcc_lo, exec_lo, s0
	s_cbranch_vccnz .LBB192_637
; %bb.636:
	global_load_i16 v2, v[0:1], off
	s_waitcnt vmcnt(0)
	v_cvt_f64_i32_e32 v[2:3], v2
.LBB192_637:
	s_mov_b32 s0, 0
.LBB192_638:
	s_delay_alu instid0(SALU_CYCLE_1)
	s_and_not1_b32 vcc_lo, exec_lo, s0
	s_cbranch_vccnz .LBB192_644
; %bb.639:
	v_cmp_lt_i16_e32 vcc_lo, 0, v12
	s_mov_b32 s0, 0
	s_cbranch_vccz .LBB192_641
; %bb.640:
	global_load_i8 v2, v[0:1], off
	s_waitcnt vmcnt(0)
	v_cvt_f64_i32_e32 v[2:3], v2
	s_branch .LBB192_642
.LBB192_641:
	s_mov_b32 s0, -1
                                        ; implicit-def: $vgpr2_vgpr3
.LBB192_642:
	s_delay_alu instid0(SALU_CYCLE_1)
	s_and_not1_b32 vcc_lo, exec_lo, s0
	s_cbranch_vccnz .LBB192_644
; %bb.643:
	global_load_u8 v0, v[0:1], off
	s_waitcnt vmcnt(0)
	v_cvt_f64_u32_e32 v[2:3], v0
.LBB192_644:
	s_mov_b32 s0, -1
.LBB192_645:
	s_delay_alu instid0(SALU_CYCLE_1)
	s_and_not1_b32 vcc_lo, exec_lo, s0
	s_cbranch_vccnz .LBB192_653
; %bb.646:
	s_waitcnt vmcnt(0)
	s_delay_alu instid0(VALU_DEP_1) | instskip(SKIP_3) | instid1(VALU_DEP_2)
	v_rsq_f64_e32 v[0:1], v[2:3]
	s_waitcnt_depctr 0xfff
	v_mul_f64 v[2:3], v[0:1], -v[2:3]
	v_cmp_class_f64_e64 vcc_lo, v[0:1], 0x180
	v_fma_f64 v[2:3], v[2:3], v[0:1], 1.0
	s_delay_alu instid0(VALU_DEP_1) | instskip(SKIP_1) | instid1(VALU_DEP_1)
	v_mul_f64 v[4:5], v[0:1], v[2:3]
	v_fma_f64 v[2:3], 0x3fd80000, v[2:3], 0.5
	v_fma_f64 v[2:3], v[4:5], v[2:3], v[0:1]
	v_mul_lo_u32 v4, v11, s2
	v_and_b32_e32 v6, 0xff, v10
	s_delay_alu instid0(VALU_DEP_2) | instskip(SKIP_1) | instid1(VALU_DEP_1)
	v_ashrrev_i32_e32 v5, 31, v4
	v_add_co_u32 v4, s1, s4, v4
	v_add_co_ci_u32_e64 v5, s1, s5, v5, s1
	v_cndmask_b32_e32 v1, v1, v3, vcc_lo
	v_cmp_gt_i16_e64 s0, 11, v6
	v_cndmask_b32_e32 v0, v0, v2, vcc_lo
	s_delay_alu instid0(VALU_DEP_2)
	s_and_b32 vcc_lo, exec_lo, s0
	s_cbranch_vccnz .LBB192_654
; %bb.647:
	v_cmp_lt_i16_e32 vcc_lo, 25, v6
	s_cbranch_vccz .LBB192_655
; %bb.648:
	v_cmp_lt_i16_e32 vcc_lo, 28, v6
	s_cbranch_vccz .LBB192_656
	;; [unrolled: 3-line block ×4, first 2 shown]
; %bb.651:
	v_cmp_eq_u16_e32 vcc_lo, 46, v6
	s_mov_b32 s19, 0
	s_mov_b32 s0, -1
	s_mov_b32 s1, 0
	s_cbranch_vccz .LBB192_659
; %bb.652:
	v_cvt_f32_f64_e32 v2, v[0:1]
	s_mov_b32 s1, -1
	s_mov_b32 s0, 0
	s_delay_alu instid0(VALU_DEP_1) | instskip(SKIP_1) | instid1(VALU_DEP_2)
	v_bfe_u32 v3, v2, 16, 1
	v_cmp_o_f32_e32 vcc_lo, v2, v2
	v_add3_u32 v3, v2, v3, 0x7fff
	s_delay_alu instid0(VALU_DEP_1) | instskip(NEXT) | instid1(VALU_DEP_1)
	v_lshrrev_b32_e32 v3, 16, v3
	v_cndmask_b32_e32 v2, 0x7fc0, v3, vcc_lo
	global_store_b32 v[4:5], v2, off
	s_branch .LBB192_659
.LBB192_653:
	s_mov_b32 s1, 0
	s_mov_b32 s0, s15
	s_branch .LBB192_770
.LBB192_654:
	s_mov_b32 s19, -1
	s_mov_b32 s1, 0
	s_mov_b32 s0, s15
	s_branch .LBB192_728
.LBB192_655:
	s_mov_b32 s19, -1
	s_mov_b32 s1, 0
	s_mov_b32 s0, s15
	s_branch .LBB192_686
.LBB192_656:
	s_mov_b32 s19, -1
	s_mov_b32 s1, 0
	s_mov_b32 s0, s15
	s_branch .LBB192_669
.LBB192_657:
	s_mov_b32 s19, -1
	s_mov_b32 s1, 0
	s_mov_b32 s0, s15
	s_branch .LBB192_665
.LBB192_658:
	s_mov_b32 s19, -1
	s_mov_b32 s1, 0
	s_mov_b32 s0, s15
.LBB192_659:
	s_and_b32 vcc_lo, exec_lo, s19
	s_cbranch_vccz .LBB192_664
; %bb.660:
	v_cmp_eq_u16_e32 vcc_lo, 44, v6
	s_mov_b32 s0, -1
	s_cbranch_vccz .LBB192_664
; %bb.661:
	v_cvt_f32_f64_e32 v2, v[0:1]
	v_mov_b32_e32 v3, 0xff
	s_mov_b32 s1, exec_lo
	s_delay_alu instid0(VALU_DEP_2) | instskip(NEXT) | instid1(VALU_DEP_1)
	v_bfe_u32 v7, v2, 23, 8
	v_cmpx_ne_u32_e32 0xff, v7
; %bb.662:
	v_and_b32_e32 v3, 0x400000, v2
	v_and_or_b32 v7, 0x3fffff, v2, v7
	v_lshrrev_b32_e32 v2, 23, v2
	s_delay_alu instid0(VALU_DEP_3) | instskip(NEXT) | instid1(VALU_DEP_3)
	v_cmp_ne_u32_e32 vcc_lo, 0, v3
	v_cmp_ne_u32_e64 s0, 0, v7
	s_delay_alu instid0(VALU_DEP_1) | instskip(NEXT) | instid1(SALU_CYCLE_1)
	s_and_b32 s0, vcc_lo, s0
	v_cndmask_b32_e64 v3, 0, 1, s0
	s_delay_alu instid0(VALU_DEP_1)
	v_add_nc_u32_e32 v3, v2, v3
; %bb.663:
	s_or_b32 exec_lo, exec_lo, s1
	s_mov_b32 s1, -1
	s_mov_b32 s0, 0
	global_store_b8 v[4:5], v3, off
.LBB192_664:
	s_mov_b32 s19, 0
.LBB192_665:
	s_delay_alu instid0(SALU_CYCLE_1)
	s_and_b32 vcc_lo, exec_lo, s19
	s_cbranch_vccz .LBB192_668
; %bb.666:
	v_cmp_eq_u16_e32 vcc_lo, 29, v6
	s_mov_b32 s0, -1
	s_cbranch_vccz .LBB192_668
; %bb.667:
	v_trunc_f64_e32 v[2:3], v[0:1]
	s_mov_b32 s1, -1
	s_mov_b32 s0, 0
	s_mov_b32 s19, 0
	s_delay_alu instid0(VALU_DEP_1) | instskip(NEXT) | instid1(VALU_DEP_1)
	v_ldexp_f64 v[7:8], v[2:3], 0xffffffe0
	v_floor_f64_e32 v[7:8], v[7:8]
	s_delay_alu instid0(VALU_DEP_1) | instskip(SKIP_1) | instid1(VALU_DEP_2)
	v_fma_f64 v[2:3], 0xc1f00000, v[7:8], v[2:3]
	v_cvt_u32_f64_e32 v8, v[7:8]
	v_cvt_u32_f64_e32 v7, v[2:3]
	global_store_b64 v[4:5], v[7:8], off
	s_branch .LBB192_669
.LBB192_668:
	s_mov_b32 s19, 0
.LBB192_669:
	s_delay_alu instid0(SALU_CYCLE_1)
	s_and_b32 vcc_lo, exec_lo, s19
	s_cbranch_vccz .LBB192_685
; %bb.670:
	v_cmp_gt_i16_e32 vcc_lo, 27, v6
	s_mov_b32 s1, -1
	s_cbranch_vccnz .LBB192_676
; %bb.671:
	v_cmp_lt_i16_e32 vcc_lo, 27, v6
	s_cbranch_vccz .LBB192_673
; %bb.672:
	v_cvt_u32_f64_e32 v2, v[0:1]
	s_mov_b32 s1, 0
	global_store_b32 v[4:5], v2, off
.LBB192_673:
	s_and_not1_b32 vcc_lo, exec_lo, s1
	s_cbranch_vccnz .LBB192_675
; %bb.674:
	v_cvt_u32_f64_e32 v2, v[0:1]
	global_store_b16 v[4:5], v2, off
.LBB192_675:
	s_mov_b32 s1, 0
.LBB192_676:
	s_delay_alu instid0(SALU_CYCLE_1)
	s_and_not1_b32 vcc_lo, exec_lo, s1
	s_cbranch_vccnz .LBB192_684
; %bb.677:
	v_cvt_f32_f64_e32 v2, v[0:1]
	v_mov_b32_e32 v7, 0x80
	s_mov_b32 s1, exec_lo
	s_delay_alu instid0(VALU_DEP_2) | instskip(NEXT) | instid1(VALU_DEP_1)
	v_and_b32_e32 v3, 0x7fffffff, v2
	v_cmpx_gt_u32_e32 0x43800000, v3
	s_cbranch_execz .LBB192_683
; %bb.678:
	v_cmp_lt_u32_e32 vcc_lo, 0x3bffffff, v3
	s_mov_b32 s19, 0
                                        ; implicit-def: $vgpr3
	s_and_saveexec_b32 s20, vcc_lo
	s_delay_alu instid0(SALU_CYCLE_1)
	s_xor_b32 s20, exec_lo, s20
	s_cbranch_execz .LBB192_785
; %bb.679:
	v_bfe_u32 v3, v2, 20, 1
	s_mov_b32 s19, exec_lo
	s_delay_alu instid0(VALU_DEP_1) | instskip(NEXT) | instid1(VALU_DEP_1)
	v_add3_u32 v3, v2, v3, 0x487ffff
	v_lshrrev_b32_e32 v3, 20, v3
	s_or_saveexec_b32 s20, s20
                                        ; implicit-def: $sgpr21
	s_delay_alu instid0(SALU_CYCLE_1)
	s_xor_b32 exec_lo, exec_lo, s20
	s_cbranch_execnz .LBB192_786
.LBB192_680:
	s_or_b32 exec_lo, exec_lo, s20
	v_mov_b32_e32 v7, s21
	s_and_saveexec_b32 s20, s19
.LBB192_681:
	v_lshrrev_b32_e32 v2, 24, v2
	s_delay_alu instid0(VALU_DEP_1)
	v_and_or_b32 v7, 0x80, v2, v3
.LBB192_682:
	s_or_b32 exec_lo, exec_lo, s20
.LBB192_683:
	s_delay_alu instid0(SALU_CYCLE_1)
	s_or_b32 exec_lo, exec_lo, s1
	global_store_b8 v[4:5], v7, off
.LBB192_684:
	s_mov_b32 s1, -1
.LBB192_685:
	s_mov_b32 s19, 0
.LBB192_686:
	s_delay_alu instid0(SALU_CYCLE_1)
	s_and_b32 vcc_lo, exec_lo, s19
	s_cbranch_vccz .LBB192_727
; %bb.687:
	v_cmp_lt_i16_e32 vcc_lo, 22, v6
	s_mov_b32 s19, -1
	s_cbranch_vccz .LBB192_719
; %bb.688:
	v_cmp_gt_i16_e32 vcc_lo, 24, v6
	s_mov_b32 s1, -1
	s_cbranch_vccnz .LBB192_708
; %bb.689:
	v_cmp_lt_i16_e32 vcc_lo, 24, v6
	s_cbranch_vccz .LBB192_697
; %bb.690:
	v_cvt_f32_f64_e32 v2, v[0:1]
	v_mov_b32_e32 v7, 0x80
	s_mov_b32 s1, exec_lo
	s_delay_alu instid0(VALU_DEP_2) | instskip(NEXT) | instid1(VALU_DEP_1)
	v_and_b32_e32 v3, 0x7fffffff, v2
	v_cmpx_gt_u32_e32 0x47800000, v3
	s_cbranch_execz .LBB192_696
; %bb.691:
	v_cmp_lt_u32_e32 vcc_lo, 0x37ffffff, v3
	s_mov_b32 s19, 0
                                        ; implicit-def: $vgpr3
	s_and_saveexec_b32 s20, vcc_lo
	s_delay_alu instid0(SALU_CYCLE_1)
	s_xor_b32 s20, exec_lo, s20
	s_cbranch_execz .LBB192_788
; %bb.692:
	v_bfe_u32 v3, v2, 21, 1
	s_mov_b32 s19, exec_lo
	s_delay_alu instid0(VALU_DEP_1) | instskip(NEXT) | instid1(VALU_DEP_1)
	v_add3_u32 v3, v2, v3, 0x88fffff
	v_lshrrev_b32_e32 v3, 21, v3
	s_or_saveexec_b32 s20, s20
                                        ; implicit-def: $sgpr21
	s_delay_alu instid0(SALU_CYCLE_1)
	s_xor_b32 exec_lo, exec_lo, s20
	s_cbranch_execnz .LBB192_789
.LBB192_693:
	s_or_b32 exec_lo, exec_lo, s20
	v_mov_b32_e32 v7, s21
	s_and_saveexec_b32 s20, s19
.LBB192_694:
	v_lshrrev_b32_e32 v2, 24, v2
	s_delay_alu instid0(VALU_DEP_1)
	v_and_or_b32 v7, 0x80, v2, v3
.LBB192_695:
	s_or_b32 exec_lo, exec_lo, s20
.LBB192_696:
	s_delay_alu instid0(SALU_CYCLE_1)
	s_or_b32 exec_lo, exec_lo, s1
	s_mov_b32 s1, 0
	global_store_b8 v[4:5], v7, off
.LBB192_697:
	s_and_b32 vcc_lo, exec_lo, s1
	s_cbranch_vccz .LBB192_707
; %bb.698:
	v_cvt_f32_f64_e32 v2, v[0:1]
	s_mov_b32 s1, exec_lo
                                        ; implicit-def: $vgpr3
	s_delay_alu instid0(VALU_DEP_1) | instskip(NEXT) | instid1(VALU_DEP_1)
	v_and_b32_e32 v7, 0x7fffffff, v2
	v_cmpx_gt_u32_e32 0x43f00000, v7
	s_xor_b32 s1, exec_lo, s1
	s_cbranch_execz .LBB192_704
; %bb.699:
	s_mov_b32 s19, exec_lo
                                        ; implicit-def: $vgpr3
	v_cmpx_lt_u32_e32 0x3c7fffff, v7
	s_xor_b32 s19, exec_lo, s19
; %bb.700:
	v_bfe_u32 v3, v2, 20, 1
	s_delay_alu instid0(VALU_DEP_1) | instskip(NEXT) | instid1(VALU_DEP_1)
	v_add3_u32 v3, v2, v3, 0x407ffff
	v_and_b32_e32 v7, 0xff00000, v3
	v_lshrrev_b32_e32 v3, 20, v3
	s_delay_alu instid0(VALU_DEP_2) | instskip(NEXT) | instid1(VALU_DEP_2)
	v_cmp_ne_u32_e32 vcc_lo, 0x7f00000, v7
	v_cndmask_b32_e32 v3, 0x7e, v3, vcc_lo
; %bb.701:
	s_and_not1_saveexec_b32 s19, s19
; %bb.702:
	v_add_f32_e64 v3, 0x46800000, |v2|
; %bb.703:
	s_or_b32 exec_lo, exec_lo, s19
                                        ; implicit-def: $vgpr7
.LBB192_704:
	s_and_not1_saveexec_b32 s1, s1
; %bb.705:
	v_mov_b32_e32 v3, 0x7f
	v_cmp_lt_u32_e32 vcc_lo, 0x7f800000, v7
	s_delay_alu instid0(VALU_DEP_2)
	v_cndmask_b32_e32 v3, 0x7e, v3, vcc_lo
; %bb.706:
	s_or_b32 exec_lo, exec_lo, s1
	v_lshrrev_b32_e32 v2, 24, v2
	s_delay_alu instid0(VALU_DEP_1)
	v_and_or_b32 v2, 0x80, v2, v3
	global_store_b8 v[4:5], v2, off
.LBB192_707:
	s_mov_b32 s1, 0
.LBB192_708:
	s_delay_alu instid0(SALU_CYCLE_1)
	s_and_not1_b32 vcc_lo, exec_lo, s1
	s_cbranch_vccnz .LBB192_718
; %bb.709:
	v_cvt_f32_f64_e32 v2, v[0:1]
	s_mov_b32 s1, exec_lo
                                        ; implicit-def: $vgpr3
	s_delay_alu instid0(VALU_DEP_1) | instskip(NEXT) | instid1(VALU_DEP_1)
	v_and_b32_e32 v7, 0x7fffffff, v2
	v_cmpx_gt_u32_e32 0x47800000, v7
	s_xor_b32 s1, exec_lo, s1
	s_cbranch_execz .LBB192_715
; %bb.710:
	s_mov_b32 s19, exec_lo
                                        ; implicit-def: $vgpr3
	v_cmpx_lt_u32_e32 0x387fffff, v7
	s_xor_b32 s19, exec_lo, s19
; %bb.711:
	v_bfe_u32 v3, v2, 21, 1
	s_delay_alu instid0(VALU_DEP_1) | instskip(NEXT) | instid1(VALU_DEP_1)
	v_add3_u32 v3, v2, v3, 0x80fffff
	v_lshrrev_b32_e32 v3, 21, v3
; %bb.712:
	s_and_not1_saveexec_b32 s19, s19
; %bb.713:
	v_add_f32_e64 v3, 0x43000000, |v2|
; %bb.714:
	s_or_b32 exec_lo, exec_lo, s19
                                        ; implicit-def: $vgpr7
.LBB192_715:
	s_and_not1_saveexec_b32 s1, s1
; %bb.716:
	v_mov_b32_e32 v3, 0x7f
	v_cmp_lt_u32_e32 vcc_lo, 0x7f800000, v7
	s_delay_alu instid0(VALU_DEP_2)
	v_cndmask_b32_e32 v3, 0x7c, v3, vcc_lo
; %bb.717:
	s_or_b32 exec_lo, exec_lo, s1
	v_lshrrev_b32_e32 v2, 24, v2
	s_delay_alu instid0(VALU_DEP_1)
	v_and_or_b32 v2, 0x80, v2, v3
	global_store_b8 v[4:5], v2, off
.LBB192_718:
	s_mov_b32 s19, 0
	s_mov_b32 s1, -1
.LBB192_719:
	s_and_not1_b32 vcc_lo, exec_lo, s19
	s_cbranch_vccnz .LBB192_727
; %bb.720:
	v_cmp_lt_i16_e32 vcc_lo, 14, v6
	s_mov_b32 s19, -1
	s_cbranch_vccz .LBB192_724
; %bb.721:
	v_cmp_eq_u16_e32 vcc_lo, 15, v6
	s_mov_b32 s0, -1
	s_cbranch_vccz .LBB192_723
; %bb.722:
	v_cvt_f32_f64_e32 v2, v[0:1]
	s_mov_b32 s1, -1
	s_mov_b32 s0, 0
	s_delay_alu instid0(VALU_DEP_1) | instskip(SKIP_1) | instid1(VALU_DEP_2)
	v_bfe_u32 v3, v2, 16, 1
	v_cmp_o_f32_e32 vcc_lo, v2, v2
	v_add3_u32 v3, v2, v3, 0x7fff
	s_delay_alu instid0(VALU_DEP_1) | instskip(NEXT) | instid1(VALU_DEP_1)
	v_lshrrev_b32_e32 v3, 16, v3
	v_cndmask_b32_e32 v2, 0x7fc0, v3, vcc_lo
	global_store_b16 v[4:5], v2, off
.LBB192_723:
	s_mov_b32 s19, 0
.LBB192_724:
	s_delay_alu instid0(SALU_CYCLE_1)
	s_and_b32 vcc_lo, exec_lo, s19
	s_cbranch_vccz .LBB192_727
; %bb.725:
	v_cmp_eq_u16_e32 vcc_lo, 11, v6
	s_mov_b32 s0, -1
	s_cbranch_vccz .LBB192_727
; %bb.726:
	v_cmp_neq_f64_e32 vcc_lo, 0, v[0:1]
	s_mov_b32 s1, -1
	s_mov_b32 s0, 0
	v_cndmask_b32_e64 v2, 0, 1, vcc_lo
	global_store_b8 v[4:5], v2, off
.LBB192_727:
	s_mov_b32 s19, 0
.LBB192_728:
	s_delay_alu instid0(SALU_CYCLE_1)
	s_and_b32 vcc_lo, exec_lo, s19
	s_cbranch_vccz .LBB192_767
; %bb.729:
	v_cmp_gt_i16_e32 vcc_lo, 5, v6
	s_mov_b32 s1, -1
	s_cbranch_vccnz .LBB192_750
; %bb.730:
	v_cmp_gt_i16_e32 vcc_lo, 8, v6
	s_cbranch_vccnz .LBB192_740
; %bb.731:
	v_cmp_gt_i16_e32 vcc_lo, 9, v6
	s_cbranch_vccnz .LBB192_737
; %bb.732:
	v_cmp_lt_i16_e32 vcc_lo, 9, v6
	s_cbranch_vccz .LBB192_734
; %bb.733:
	v_mov_b32_e32 v2, 0
	s_mov_b32 s1, 0
	s_delay_alu instid0(VALU_DEP_1)
	v_mov_b32_e32 v3, v2
	global_store_b128 v[4:5], v[0:3], off
.LBB192_734:
	s_and_not1_b32 vcc_lo, exec_lo, s1
	s_cbranch_vccnz .LBB192_736
; %bb.735:
	v_cvt_f32_f64_e32 v2, v[0:1]
	v_mov_b32_e32 v3, 0
	global_store_b64 v[4:5], v[2:3], off
.LBB192_736:
	s_mov_b32 s1, 0
.LBB192_737:
	s_delay_alu instid0(SALU_CYCLE_1)
	s_and_not1_b32 vcc_lo, exec_lo, s1
	s_cbranch_vccnz .LBB192_739
; %bb.738:
	v_cvt_f32_f64_e32 v2, v[0:1]
	s_delay_alu instid0(VALU_DEP_1) | instskip(NEXT) | instid1(VALU_DEP_1)
	v_cvt_f16_f32_e32 v2, v2
	v_and_b32_e32 v2, 0xffff, v2
	global_store_b32 v[4:5], v2, off
.LBB192_739:
	s_mov_b32 s1, 0
.LBB192_740:
	s_delay_alu instid0(SALU_CYCLE_1)
	s_and_not1_b32 vcc_lo, exec_lo, s1
	s_cbranch_vccnz .LBB192_749
; %bb.741:
	v_cmp_gt_i16_e32 vcc_lo, 6, v6
	s_mov_b32 s1, -1
	s_cbranch_vccnz .LBB192_747
; %bb.742:
	v_cmp_lt_i16_e32 vcc_lo, 6, v6
	s_cbranch_vccz .LBB192_744
; %bb.743:
	s_mov_b32 s1, 0
	global_store_b64 v[4:5], v[0:1], off
.LBB192_744:
	s_and_not1_b32 vcc_lo, exec_lo, s1
	s_cbranch_vccnz .LBB192_746
; %bb.745:
	v_cvt_f32_f64_e32 v2, v[0:1]
	global_store_b32 v[4:5], v2, off
.LBB192_746:
	s_mov_b32 s1, 0
.LBB192_747:
	s_delay_alu instid0(SALU_CYCLE_1)
	s_and_not1_b32 vcc_lo, exec_lo, s1
	s_cbranch_vccnz .LBB192_749
; %bb.748:
	v_cvt_f32_f64_e32 v2, v[0:1]
	s_delay_alu instid0(VALU_DEP_1)
	v_cvt_f16_f32_e32 v2, v2
	global_store_b16 v[4:5], v2, off
.LBB192_749:
	s_mov_b32 s1, 0
.LBB192_750:
	s_delay_alu instid0(SALU_CYCLE_1)
	s_and_not1_b32 vcc_lo, exec_lo, s1
	s_cbranch_vccnz .LBB192_766
; %bb.751:
	v_cmp_gt_i16_e32 vcc_lo, 2, v6
	s_mov_b32 s1, -1
	s_cbranch_vccnz .LBB192_761
; %bb.752:
	v_cmp_gt_i16_e32 vcc_lo, 3, v6
	s_cbranch_vccnz .LBB192_758
; %bb.753:
	v_cmp_lt_i16_e32 vcc_lo, 3, v6
	s_cbranch_vccz .LBB192_755
; %bb.754:
	v_trunc_f64_e32 v[2:3], v[0:1]
	s_mov_b32 s1, 0
	s_delay_alu instid0(VALU_DEP_1) | instskip(NEXT) | instid1(VALU_DEP_1)
	v_ldexp_f64 v[7:8], v[2:3], 0xffffffe0
	v_floor_f64_e32 v[7:8], v[7:8]
	s_delay_alu instid0(VALU_DEP_1) | instskip(SKIP_1) | instid1(VALU_DEP_2)
	v_fma_f64 v[2:3], 0xc1f00000, v[7:8], v[2:3]
	v_cvt_i32_f64_e32 v8, v[7:8]
	v_cvt_u32_f64_e32 v7, v[2:3]
	global_store_b64 v[4:5], v[7:8], off
.LBB192_755:
	s_and_not1_b32 vcc_lo, exec_lo, s1
	s_cbranch_vccnz .LBB192_757
; %bb.756:
	v_cvt_i32_f64_e32 v2, v[0:1]
	global_store_b32 v[4:5], v2, off
.LBB192_757:
	s_mov_b32 s1, 0
.LBB192_758:
	s_delay_alu instid0(SALU_CYCLE_1)
	s_and_not1_b32 vcc_lo, exec_lo, s1
	s_cbranch_vccnz .LBB192_760
; %bb.759:
	v_cvt_i32_f64_e32 v2, v[0:1]
	global_store_b16 v[4:5], v2, off
.LBB192_760:
	s_mov_b32 s1, 0
.LBB192_761:
	s_delay_alu instid0(SALU_CYCLE_1)
	s_and_not1_b32 vcc_lo, exec_lo, s1
	s_cbranch_vccnz .LBB192_766
; %bb.762:
	v_cmp_lt_i16_e32 vcc_lo, 0, v6
	s_mov_b32 s1, -1
	s_cbranch_vccz .LBB192_764
; %bb.763:
	v_cvt_i32_f64_e32 v2, v[0:1]
	s_mov_b32 s1, 0
	global_store_b8 v[4:5], v2, off
.LBB192_764:
	s_and_not1_b32 vcc_lo, exec_lo, s1
	s_cbranch_vccnz .LBB192_766
; %bb.765:
	v_trunc_f64_e32 v[0:1], v[0:1]
	s_delay_alu instid0(VALU_DEP_1) | instskip(NEXT) | instid1(VALU_DEP_1)
	v_ldexp_f64 v[2:3], v[0:1], 0xffffffe0
	v_floor_f64_e32 v[2:3], v[2:3]
	s_delay_alu instid0(VALU_DEP_1) | instskip(NEXT) | instid1(VALU_DEP_1)
	v_fma_f64 v[0:1], 0xc1f00000, v[2:3], v[0:1]
	v_cvt_u32_f64_e32 v0, v[0:1]
	global_store_b8 v[4:5], v0, off
.LBB192_766:
	s_mov_b32 s1, -1
.LBB192_767:
	s_delay_alu instid0(SALU_CYCLE_1)
	s_and_not1_b32 vcc_lo, exec_lo, s1
	s_cbranch_vccnz .LBB192_769
; %bb.768:
	v_add_nc_u32_e32 v11, 0x80, v11
	s_mov_b32 s1, -1
	s_branch .LBB192_771
.LBB192_769:
	s_mov_b32 s1, 0
.LBB192_770:
                                        ; implicit-def: $vgpr11
.LBB192_771:
	s_and_not1_b32 s19, s15, exec_lo
	s_and_b32 s0, s0, exec_lo
	s_and_not1_b32 s20, s14, exec_lo
	s_and_b32 s18, s18, exec_lo
	s_or_b32 s19, s19, s0
	s_or_b32 s18, s20, s18
	s_or_not1_b32 s0, s1, exec_lo
.LBB192_772:
	s_or_b32 exec_lo, exec_lo, s17
	s_mov_b32 s1, 0
	s_mov_b32 s20, 0
	;; [unrolled: 1-line block ×3, first 2 shown]
                                        ; implicit-def: $vgpr0_vgpr1
                                        ; implicit-def: $vgpr2_vgpr3
	s_and_saveexec_b32 s17, s0
	s_cbranch_execz .LBB192_857
; %bb.773:
	v_cmp_gt_i32_e32 vcc_lo, s11, v11
	s_mov_b32 s0, 0
	s_mov_b32 s22, s18
	;; [unrolled: 1-line block ×3, first 2 shown]
                                        ; implicit-def: $vgpr0_vgpr1
                                        ; implicit-def: $vgpr2_vgpr3
	s_and_saveexec_b32 s11, vcc_lo
	s_cbranch_execz .LBB192_856
; %bb.774:
	v_mul_lo_u32 v0, v11, s3
	v_cmp_gt_i16_e32 vcc_lo, 11, v12
	s_delay_alu instid0(VALU_DEP_2) | instskip(SKIP_1) | instid1(VALU_DEP_1)
	v_ashrrev_i32_e32 v1, 31, v0
	v_add_co_u32 v0, s0, s6, v0
	v_add_co_ci_u32_e64 v1, s0, s7, v1, s0
	s_cbranch_vccnz .LBB192_781
; %bb.775:
	v_cmp_lt_i16_e32 vcc_lo, 25, v12
	s_cbranch_vccz .LBB192_782
; %bb.776:
	v_cmp_lt_i16_e32 vcc_lo, 28, v12
	s_cbranch_vccz .LBB192_783
	;; [unrolled: 3-line block ×4, first 2 shown]
; %bb.779:
	v_cmp_eq_u16_e32 vcc_lo, 46, v12
	s_cbranch_vccz .LBB192_790
; %bb.780:
	global_load_b32 v2, v[0:1], off
	s_mov_b32 s0, -1
	s_waitcnt vmcnt(0)
	v_lshlrev_b32_e32 v2, 16, v2
	s_delay_alu instid0(VALU_DEP_1)
	v_cvt_f64_f32_e32 v[2:3], v2
	s_branch .LBB192_792
.LBB192_781:
	s_mov_b32 s1, -1
	s_mov_b32 s0, 0
	s_mov_b32 s20, s18
                                        ; implicit-def: $vgpr2_vgpr3
	s_branch .LBB192_855
.LBB192_782:
	s_mov_b32 s1, -1
	s_mov_b32 s0, 0
	s_mov_b32 s20, s18
                                        ; implicit-def: $vgpr2_vgpr3
	s_branch .LBB192_823
.LBB192_783:
	s_mov_b32 s1, -1
	s_mov_b32 s0, 0
	s_mov_b32 s20, s18
                                        ; implicit-def: $vgpr2_vgpr3
	s_branch .LBB192_802
.LBB192_784:
	s_mov_b32 s1, -1
	s_mov_b32 s0, 0
	s_mov_b32 s20, s18
                                        ; implicit-def: $vgpr2_vgpr3
	s_branch .LBB192_797
.LBB192_785:
	s_or_saveexec_b32 s20, s20
                                        ; implicit-def: $sgpr21
	s_delay_alu instid0(SALU_CYCLE_1)
	s_xor_b32 exec_lo, exec_lo, s20
	s_cbranch_execz .LBB192_680
.LBB192_786:
	v_add_f32_e64 v3, 0x46000000, |v2|
	s_and_not1_b32 s19, s19, exec_lo
	s_mov_b32 s21, 0
	s_delay_alu instid0(VALU_DEP_1) | instskip(NEXT) | instid1(VALU_DEP_1)
	v_and_b32_e32 v3, 0xff, v3
	v_cmp_ne_u32_e32 vcc_lo, 0, v3
	s_and_b32 s22, vcc_lo, exec_lo
	s_delay_alu instid0(SALU_CYCLE_1)
	s_or_b32 s19, s19, s22
	s_or_b32 exec_lo, exec_lo, s20
	v_mov_b32_e32 v7, s21
	s_and_saveexec_b32 s20, s19
	s_cbranch_execnz .LBB192_681
	s_branch .LBB192_682
.LBB192_787:
	s_mov_b32 s1, -1
	s_mov_b32 s0, 0
	s_mov_b32 s20, s18
	s_branch .LBB192_791
.LBB192_788:
	s_or_saveexec_b32 s20, s20
                                        ; implicit-def: $sgpr21
	s_delay_alu instid0(SALU_CYCLE_1)
	s_xor_b32 exec_lo, exec_lo, s20
	s_cbranch_execz .LBB192_693
.LBB192_789:
	v_add_f32_e64 v3, 0x42800000, |v2|
	s_and_not1_b32 s19, s19, exec_lo
	s_mov_b32 s21, 0
	s_delay_alu instid0(VALU_DEP_1) | instskip(NEXT) | instid1(VALU_DEP_1)
	v_and_b32_e32 v3, 0xff, v3
	v_cmp_ne_u32_e32 vcc_lo, 0, v3
	s_and_b32 s22, vcc_lo, exec_lo
	s_delay_alu instid0(SALU_CYCLE_1)
	s_or_b32 s19, s19, s22
	s_or_b32 exec_lo, exec_lo, s20
	v_mov_b32_e32 v7, s21
	s_and_saveexec_b32 s20, s19
	s_cbranch_execnz .LBB192_694
	s_branch .LBB192_695
.LBB192_790:
	s_mov_b32 s20, -1
	s_mov_b32 s0, 0
.LBB192_791:
                                        ; implicit-def: $vgpr2_vgpr3
.LBB192_792:
	s_and_b32 vcc_lo, exec_lo, s1
	s_cbranch_vccz .LBB192_796
; %bb.793:
	v_cmp_eq_u16_e32 vcc_lo, 44, v12
	s_cbranch_vccz .LBB192_795
; %bb.794:
	global_load_u8 v4, v[0:1], off
	s_mov_b32 s20, 0
	s_mov_b32 s0, -1
	s_waitcnt vmcnt(0)
	v_cmp_ne_u32_e32 vcc_lo, 0xff, v4
	v_lshlrev_b32_e32 v2, 23, v4
	s_delay_alu instid0(VALU_DEP_1) | instskip(NEXT) | instid1(VALU_DEP_1)
	v_cvt_f64_f32_e32 v[2:3], v2
	v_cndmask_b32_e32 v3, 0x7ff80000, v3, vcc_lo
	s_delay_alu instid0(VALU_DEP_2) | instskip(SKIP_1) | instid1(VALU_DEP_3)
	v_cndmask_b32_e32 v2, 0x20000000, v2, vcc_lo
	v_cmp_ne_u32_e32 vcc_lo, 0, v4
	v_cndmask_b32_e32 v3, 0x38000000, v3, vcc_lo
	s_delay_alu instid0(VALU_DEP_3)
	v_cndmask_b32_e32 v2, 0, v2, vcc_lo
	s_branch .LBB192_796
.LBB192_795:
	s_mov_b32 s20, -1
                                        ; implicit-def: $vgpr2_vgpr3
.LBB192_796:
	s_mov_b32 s1, 0
.LBB192_797:
	s_delay_alu instid0(SALU_CYCLE_1)
	s_and_b32 vcc_lo, exec_lo, s1
	s_cbranch_vccz .LBB192_801
; %bb.798:
	v_cmp_eq_u16_e32 vcc_lo, 29, v12
	s_cbranch_vccz .LBB192_800
; %bb.799:
	global_load_b64 v[2:3], v[0:1], off
	s_mov_b32 s20, 0
	s_mov_b32 s0, -1
	s_mov_b32 s1, 0
	s_waitcnt vmcnt(0)
	v_cvt_f64_u32_e32 v[3:4], v3
	v_cvt_f64_u32_e32 v[5:6], v2
	s_delay_alu instid0(VALU_DEP_2) | instskip(NEXT) | instid1(VALU_DEP_1)
	v_ldexp_f64 v[3:4], v[3:4], 32
	v_add_f64 v[2:3], v[3:4], v[5:6]
	s_branch .LBB192_802
.LBB192_800:
	s_mov_b32 s20, -1
                                        ; implicit-def: $vgpr2_vgpr3
.LBB192_801:
	s_mov_b32 s1, 0
.LBB192_802:
	s_delay_alu instid0(SALU_CYCLE_1)
	s_and_b32 vcc_lo, exec_lo, s1
	s_cbranch_vccz .LBB192_822
; %bb.803:
	v_cmp_gt_i16_e32 vcc_lo, 27, v12
	s_cbranch_vccnz .LBB192_806
; %bb.804:
	v_cmp_lt_i16_e32 vcc_lo, 27, v12
	s_cbranch_vccz .LBB192_807
; %bb.805:
	global_load_b32 v2, v[0:1], off
	s_mov_b32 s0, 0
	s_waitcnt vmcnt(0)
	v_cvt_f64_u32_e32 v[2:3], v2
	s_branch .LBB192_808
.LBB192_806:
	s_mov_b32 s0, -1
                                        ; implicit-def: $vgpr2_vgpr3
	s_branch .LBB192_811
.LBB192_807:
	s_mov_b32 s0, -1
                                        ; implicit-def: $vgpr2_vgpr3
.LBB192_808:
	s_delay_alu instid0(SALU_CYCLE_1)
	s_and_not1_b32 vcc_lo, exec_lo, s0
	s_cbranch_vccnz .LBB192_810
; %bb.809:
	global_load_u16 v2, v[0:1], off
	s_waitcnt vmcnt(0)
	v_cvt_f64_u32_e32 v[2:3], v2
.LBB192_810:
	s_mov_b32 s0, 0
.LBB192_811:
	s_delay_alu instid0(SALU_CYCLE_1)
	s_and_not1_b32 vcc_lo, exec_lo, s0
	s_cbranch_vccnz .LBB192_821
; %bb.812:
	global_load_u8 v4, v[0:1], off
	s_mov_b32 s22, 0
	s_mov_b32 s23, exec_lo
                                        ; implicit-def: $sgpr0_sgpr1
	s_waitcnt vmcnt(0)
	v_cmpx_lt_i16_e32 0x7f, v4
	s_xor_b32 s23, exec_lo, s23
	s_cbranch_execz .LBB192_816
; %bb.813:
	s_mov_b32 s24, -1
	s_mov_b32 s22, exec_lo
                                        ; implicit-def: $sgpr0_sgpr1
	v_cmpx_eq_u16_e32 0x80, v4
; %bb.814:
	s_mov_b32 s1, 0x7ff80000
	s_brev_b32 s0, 4
	s_xor_b32 s24, exec_lo, -1
; %bb.815:
	s_or_b32 exec_lo, exec_lo, s22
	s_delay_alu instid0(SALU_CYCLE_1)
	s_and_b32 s22, s24, exec_lo
.LBB192_816:
	s_or_saveexec_b32 s23, s23
	v_dual_mov_b32 v3, s1 :: v_dual_mov_b32 v2, s0
	s_xor_b32 exec_lo, exec_lo, s23
; %bb.817:
	v_cmp_ne_u16_e32 vcc_lo, 0, v4
	v_mov_b32_e32 v2, 0
	v_mov_b32_e32 v3, 0
	s_and_not1_b32 s0, s22, exec_lo
	s_and_b32 s1, vcc_lo, exec_lo
	s_delay_alu instid0(SALU_CYCLE_1)
	s_or_b32 s22, s0, s1
; %bb.818:
	s_or_b32 exec_lo, exec_lo, s23
	s_and_saveexec_b32 s0, s22
	s_cbranch_execz .LBB192_820
; %bb.819:
	v_and_b32_e32 v2, 0xffff, v4
	v_lshlrev_b32_e32 v4, 24, v4
	s_delay_alu instid0(VALU_DEP_2) | instskip(NEXT) | instid1(VALU_DEP_2)
	v_and_b32_e32 v3, 7, v2
	v_and_b32_e32 v4, 0x80000000, v4
	s_delay_alu instid0(VALU_DEP_2) | instskip(NEXT) | instid1(VALU_DEP_1)
	v_clz_i32_u32_e32 v5, v3
	v_min_u32_e32 v5, 32, v5
	s_delay_alu instid0(VALU_DEP_1) | instskip(SKIP_1) | instid1(VALU_DEP_2)
	v_subrev_nc_u32_e32 v6, 28, v5
	v_sub_nc_u32_e32 v5, 29, v5
	v_lshlrev_b32_e32 v6, v6, v2
	v_bfe_u32 v2, v2, 3, 4
	s_delay_alu instid0(VALU_DEP_2) | instskip(NEXT) | instid1(VALU_DEP_2)
	v_and_b32_e32 v6, 7, v6
	v_cmp_eq_u32_e32 vcc_lo, 0, v2
	s_delay_alu instid0(VALU_DEP_2) | instskip(NEXT) | instid1(VALU_DEP_1)
	v_dual_cndmask_b32 v2, v2, v5 :: v_dual_cndmask_b32 v3, v3, v6
	v_lshl_add_u32 v2, v2, 23, 0x3b800000
	s_delay_alu instid0(VALU_DEP_2) | instskip(NEXT) | instid1(VALU_DEP_1)
	v_lshlrev_b32_e32 v3, 20, v3
	v_or3_b32 v2, v4, v2, v3
	s_delay_alu instid0(VALU_DEP_1)
	v_cvt_f64_f32_e32 v[2:3], v2
.LBB192_820:
	s_or_b32 exec_lo, exec_lo, s0
.LBB192_821:
	s_mov_b32 s0, -1
.LBB192_822:
	s_mov_b32 s1, 0
.LBB192_823:
	s_delay_alu instid0(SALU_CYCLE_1)
	s_and_b32 vcc_lo, exec_lo, s1
	s_cbranch_vccz .LBB192_854
; %bb.824:
	v_cmp_lt_i16_e32 vcc_lo, 22, v12
	s_cbranch_vccz .LBB192_836
; %bb.825:
	v_cmp_gt_i16_e32 vcc_lo, 24, v12
	s_cbranch_vccnz .LBB192_837
; %bb.826:
	v_cmp_lt_i16_e32 vcc_lo, 24, v12
	s_cbranch_vccz .LBB192_838
; %bb.827:
	global_load_u8 v4, v[0:1], off
	s_mov_b32 s22, exec_lo
                                        ; implicit-def: $sgpr0_sgpr1
	s_waitcnt vmcnt(0)
	v_cmpx_lt_i16_e32 0x7f, v4
	s_xor_b32 s22, exec_lo, s22
	s_cbranch_execz .LBB192_831
; %bb.828:
	s_mov_b32 s23, -1
	s_mov_b32 s21, exec_lo
                                        ; implicit-def: $sgpr0_sgpr1
	v_cmpx_eq_u16_e32 0x80, v4
; %bb.829:
	s_mov_b32 s1, 0x7ff80000
	s_brev_b32 s0, 4
	s_xor_b32 s23, exec_lo, -1
; %bb.830:
	s_or_b32 exec_lo, exec_lo, s21
	s_delay_alu instid0(SALU_CYCLE_1)
	s_and_b32 s21, s23, exec_lo
.LBB192_831:
	s_or_saveexec_b32 s22, s22
	v_dual_mov_b32 v3, s1 :: v_dual_mov_b32 v2, s0
	s_xor_b32 exec_lo, exec_lo, s22
; %bb.832:
	v_cmp_ne_u16_e32 vcc_lo, 0, v4
	v_mov_b32_e32 v2, 0
	v_mov_b32_e32 v3, 0
	s_and_not1_b32 s0, s21, exec_lo
	s_and_b32 s1, vcc_lo, exec_lo
	s_delay_alu instid0(SALU_CYCLE_1)
	s_or_b32 s21, s0, s1
; %bb.833:
	s_or_b32 exec_lo, exec_lo, s22
	s_and_saveexec_b32 s0, s21
	s_cbranch_execz .LBB192_835
; %bb.834:
	v_and_b32_e32 v2, 0xffff, v4
	v_lshlrev_b32_e32 v4, 24, v4
	s_delay_alu instid0(VALU_DEP_2) | instskip(NEXT) | instid1(VALU_DEP_2)
	v_and_b32_e32 v3, 3, v2
	v_and_b32_e32 v4, 0x80000000, v4
	s_delay_alu instid0(VALU_DEP_2) | instskip(NEXT) | instid1(VALU_DEP_1)
	v_clz_i32_u32_e32 v5, v3
	v_min_u32_e32 v5, 32, v5
	s_delay_alu instid0(VALU_DEP_1) | instskip(SKIP_1) | instid1(VALU_DEP_2)
	v_subrev_nc_u32_e32 v6, 29, v5
	v_sub_nc_u32_e32 v5, 30, v5
	v_lshlrev_b32_e32 v6, v6, v2
	v_bfe_u32 v2, v2, 2, 5
	s_delay_alu instid0(VALU_DEP_2) | instskip(NEXT) | instid1(VALU_DEP_2)
	v_and_b32_e32 v6, 3, v6
	v_cmp_eq_u32_e32 vcc_lo, 0, v2
	s_delay_alu instid0(VALU_DEP_2) | instskip(NEXT) | instid1(VALU_DEP_1)
	v_dual_cndmask_b32 v2, v2, v5 :: v_dual_cndmask_b32 v3, v3, v6
	v_lshl_add_u32 v2, v2, 23, 0x37800000
	s_delay_alu instid0(VALU_DEP_2) | instskip(NEXT) | instid1(VALU_DEP_1)
	v_lshlrev_b32_e32 v3, 21, v3
	v_or3_b32 v2, v4, v2, v3
	s_delay_alu instid0(VALU_DEP_1)
	v_cvt_f64_f32_e32 v[2:3], v2
.LBB192_835:
	s_or_b32 exec_lo, exec_lo, s0
	s_mov_b32 s0, 0
	s_branch .LBB192_839
.LBB192_836:
	s_mov_b32 s1, -1
                                        ; implicit-def: $vgpr2_vgpr3
	s_branch .LBB192_845
.LBB192_837:
	s_mov_b32 s0, -1
                                        ; implicit-def: $vgpr2_vgpr3
	s_branch .LBB192_842
.LBB192_838:
	s_mov_b32 s0, -1
                                        ; implicit-def: $vgpr2_vgpr3
.LBB192_839:
	s_delay_alu instid0(SALU_CYCLE_1)
	s_and_b32 vcc_lo, exec_lo, s0
	s_cbranch_vccz .LBB192_841
; %bb.840:
	global_load_u8 v2, v[0:1], off
	s_waitcnt vmcnt(0)
	v_lshlrev_b32_e32 v2, 24, v2
	s_delay_alu instid0(VALU_DEP_1) | instskip(NEXT) | instid1(VALU_DEP_1)
	v_and_b32_e32 v3, 0x7f000000, v2
	v_clz_i32_u32_e32 v4, v3
	v_add_nc_u32_e32 v6, 0x1000000, v3
	v_cmp_ne_u32_e32 vcc_lo, 0, v3
	s_delay_alu instid0(VALU_DEP_3) | instskip(NEXT) | instid1(VALU_DEP_1)
	v_min_u32_e32 v4, 32, v4
	v_sub_nc_u32_e64 v4, v4, 4 clamp
	s_delay_alu instid0(VALU_DEP_1) | instskip(SKIP_1) | instid1(VALU_DEP_2)
	v_lshlrev_b32_e32 v5, v4, v3
	v_lshlrev_b32_e32 v4, 23, v4
	v_lshrrev_b32_e32 v5, 4, v5
	s_delay_alu instid0(VALU_DEP_1) | instskip(SKIP_1) | instid1(VALU_DEP_2)
	v_sub_nc_u32_e32 v4, v5, v4
	v_ashrrev_i32_e32 v5, 8, v6
	v_add_nc_u32_e32 v4, 0x3c000000, v4
	s_delay_alu instid0(VALU_DEP_1) | instskip(NEXT) | instid1(VALU_DEP_1)
	v_and_or_b32 v4, 0x7f800000, v5, v4
	v_cndmask_b32_e32 v3, 0, v4, vcc_lo
	s_delay_alu instid0(VALU_DEP_1) | instskip(NEXT) | instid1(VALU_DEP_1)
	v_and_or_b32 v2, 0x80000000, v2, v3
	v_cvt_f64_f32_e32 v[2:3], v2
.LBB192_841:
	s_mov_b32 s0, 0
.LBB192_842:
	s_delay_alu instid0(SALU_CYCLE_1)
	s_and_not1_b32 vcc_lo, exec_lo, s0
	s_cbranch_vccnz .LBB192_844
; %bb.843:
	global_load_u8 v2, v[0:1], off
	s_waitcnt vmcnt(0)
	v_lshlrev_b32_e32 v3, 25, v2
	v_lshlrev_b16 v2, 8, v2
	s_delay_alu instid0(VALU_DEP_2) | instskip(NEXT) | instid1(VALU_DEP_2)
	v_lshrrev_b32_e32 v4, 4, v3
	v_and_or_b32 v5, 0x7f00, v2, 0.5
	v_bfe_i32 v2, v2, 0, 16
	s_delay_alu instid0(VALU_DEP_3) | instskip(NEXT) | instid1(VALU_DEP_1)
	v_or_b32_e32 v4, 0x70000000, v4
	v_dual_add_f32 v5, -0.5, v5 :: v_dual_mul_f32 v4, 0x7800000, v4
	v_cmp_gt_u32_e32 vcc_lo, 0x8000000, v3
	s_delay_alu instid0(VALU_DEP_2) | instskip(NEXT) | instid1(VALU_DEP_1)
	v_cndmask_b32_e32 v3, v4, v5, vcc_lo
	v_and_or_b32 v2, 0x80000000, v2, v3
	s_delay_alu instid0(VALU_DEP_1)
	v_cvt_f64_f32_e32 v[2:3], v2
.LBB192_844:
	s_mov_b32 s1, 0
	s_mov_b32 s0, -1
.LBB192_845:
	s_and_not1_b32 vcc_lo, exec_lo, s1
	s_mov_b32 s21, 0
	s_cbranch_vccnz .LBB192_854
; %bb.846:
	v_cmp_lt_i16_e32 vcc_lo, 14, v12
	s_cbranch_vccz .LBB192_849
; %bb.847:
	v_cmp_eq_u16_e32 vcc_lo, 15, v12
	s_cbranch_vccz .LBB192_850
; %bb.848:
	global_load_u16 v2, v[0:1], off
	s_mov_b32 s20, 0
	s_mov_b32 s0, -1
	s_waitcnt vmcnt(0)
	v_lshlrev_b32_e32 v2, 16, v2
	s_delay_alu instid0(VALU_DEP_1)
	v_cvt_f64_f32_e32 v[2:3], v2
	s_branch .LBB192_851
.LBB192_849:
	s_mov_b32 s1, -1
                                        ; implicit-def: $vgpr2_vgpr3
	s_branch .LBB192_852
.LBB192_850:
	s_mov_b32 s20, -1
                                        ; implicit-def: $vgpr2_vgpr3
.LBB192_851:
	s_mov_b32 s1, 0
.LBB192_852:
	s_delay_alu instid0(SALU_CYCLE_1)
	s_and_b32 vcc_lo, exec_lo, s1
	s_cbranch_vccz .LBB192_854
; %bb.853:
	v_cmp_ne_u16_e32 vcc_lo, 11, v12
	s_and_not1_b32 s1, s20, exec_lo
	s_mov_b32 s21, -1
                                        ; implicit-def: $vgpr2_vgpr3
	s_and_b32 s20, vcc_lo, exec_lo
	s_delay_alu instid0(SALU_CYCLE_1)
	s_or_b32 s20, s1, s20
.LBB192_854:
	s_mov_b32 s1, 0
.LBB192_855:
	s_and_not1_b32 s22, s18, exec_lo
	s_and_b32 s20, s20, exec_lo
	s_and_b32 s23, s0, exec_lo
	;; [unrolled: 1-line block ×4, first 2 shown]
	s_or_b32 s22, s22, s20
.LBB192_856:
	s_or_b32 exec_lo, exec_lo, s11
	s_delay_alu instid0(SALU_CYCLE_1)
	s_and_not1_b32 s11, s18, exec_lo
	s_and_b32 s18, s22, exec_lo
	s_and_b32 s21, s23, exec_lo
	;; [unrolled: 1-line block ×4, first 2 shown]
	s_or_b32 s18, s11, s18
.LBB192_857:
	s_or_b32 exec_lo, exec_lo, s17
	s_delay_alu instid0(SALU_CYCLE_1)
	s_and_not1_b32 s0, s15, exec_lo
	s_and_b32 s11, s19, exec_lo
	s_and_b32 s17, s20, exec_lo
	s_or_b32 s15, s0, s11
	s_and_not1_b32 s11, s14, exec_lo
	s_and_b32 s14, s18, exec_lo
	s_and_b32 s0, s21, exec_lo
	;; [unrolled: 1-line block ×3, first 2 shown]
	s_or_b32 s14, s11, s14
.LBB192_858:
	s_or_b32 exec_lo, exec_lo, s16
	s_delay_alu instid0(SALU_CYCLE_1)
	s_and_not1_b32 s10, s10, exec_lo
	s_and_b32 s11, s15, exec_lo
	s_and_b32 s0, s0, exec_lo
	s_or_b32 s10, s10, s11
	s_and_not1_b32 s11, s12, exec_lo
	s_and_b32 s12, s14, exec_lo
	s_and_b32 s15, s17, exec_lo
	;; [unrolled: 1-line block ×3, first 2 shown]
	s_or_b32 s12, s11, s12
.LBB192_859:
	s_or_b32 exec_lo, exec_lo, s13
	s_mov_b32 s11, 0
	s_and_saveexec_b32 s1, s12
	s_cbranch_execnz .LBB192_871
; %bb.860:
	s_or_b32 exec_lo, exec_lo, s1
	s_and_saveexec_b32 s1, s14
	s_delay_alu instid0(SALU_CYCLE_1)
	s_xor_b32 s1, exec_lo, s1
	s_cbranch_execz .LBB192_862
.LBB192_861:
	global_load_u8 v2, v[0:1], off
	s_or_b32 s0, s0, exec_lo
	s_waitcnt vmcnt(0)
	v_cmp_ne_u16_e32 vcc_lo, 0, v2
	v_mov_b32_e32 v2, 0
	v_cndmask_b32_e64 v3, 0, 0x3ff00000, vcc_lo
.LBB192_862:
	s_or_b32 exec_lo, exec_lo, s1
	s_and_saveexec_b32 s1, s15
	s_cbranch_execz .LBB192_910
; %bb.863:
	v_cmp_gt_i16_e32 vcc_lo, 5, v12
	s_cbranch_vccnz .LBB192_868
; %bb.864:
	v_cmp_gt_i16_e32 vcc_lo, 8, v12
	s_cbranch_vccnz .LBB192_869
	;; [unrolled: 3-line block ×3, first 2 shown]
; %bb.866:
	v_cmp_lt_i16_e32 vcc_lo, 9, v12
	s_cbranch_vccz .LBB192_873
; %bb.867:
	global_load_b64 v[2:3], v[0:1], off
	s_mov_b32 s12, 0
	s_branch .LBB192_874
.LBB192_868:
                                        ; implicit-def: $vgpr2_vgpr3
	s_branch .LBB192_891
.LBB192_869:
                                        ; implicit-def: $vgpr2_vgpr3
	s_branch .LBB192_880
.LBB192_870:
	s_mov_b32 s12, -1
                                        ; implicit-def: $vgpr2_vgpr3
	s_branch .LBB192_877
.LBB192_871:
	s_cbranch_execnz .LBB192_919
; %bb.872:
	s_mov_b32 s11, exec_lo
	s_and_not1_b32 s14, s14, exec_lo
                                        ; implicit-def: $vgpr2_vgpr3
	s_or_b32 exec_lo, exec_lo, s1
	s_and_saveexec_b32 s1, s14
	s_delay_alu instid0(SALU_CYCLE_1)
	s_xor_b32 s1, exec_lo, s1
	s_cbranch_execnz .LBB192_861
	s_branch .LBB192_862
.LBB192_873:
	s_mov_b32 s12, -1
                                        ; implicit-def: $vgpr2_vgpr3
.LBB192_874:
	s_delay_alu instid0(SALU_CYCLE_1)
	s_and_not1_b32 vcc_lo, exec_lo, s12
	s_cbranch_vccnz .LBB192_876
; %bb.875:
	global_load_b32 v2, v[0:1], off
	s_waitcnt vmcnt(0)
	v_cvt_f64_f32_e32 v[2:3], v2
.LBB192_876:
	s_mov_b32 s12, 0
.LBB192_877:
	s_delay_alu instid0(SALU_CYCLE_1)
	s_and_not1_b32 vcc_lo, exec_lo, s12
	s_cbranch_vccnz .LBB192_879
; %bb.878:
	global_load_b32 v2, v[0:1], off
	s_waitcnt vmcnt(0)
	v_cvt_f32_f16_e32 v2, v2
	s_delay_alu instid0(VALU_DEP_1)
	v_cvt_f64_f32_e32 v[2:3], v2
.LBB192_879:
	s_cbranch_execnz .LBB192_890
.LBB192_880:
	v_cmp_gt_i16_e32 vcc_lo, 6, v12
	s_cbranch_vccnz .LBB192_883
; %bb.881:
	v_cmp_lt_i16_e32 vcc_lo, 6, v12
	s_cbranch_vccz .LBB192_884
; %bb.882:
	global_load_b64 v[2:3], v[0:1], off
	s_mov_b32 s12, 0
	s_branch .LBB192_885
.LBB192_883:
	s_mov_b32 s12, -1
                                        ; implicit-def: $vgpr2_vgpr3
	s_branch .LBB192_888
.LBB192_884:
	s_mov_b32 s12, -1
                                        ; implicit-def: $vgpr2_vgpr3
.LBB192_885:
	s_delay_alu instid0(SALU_CYCLE_1)
	s_and_not1_b32 vcc_lo, exec_lo, s12
	s_cbranch_vccnz .LBB192_887
; %bb.886:
	global_load_b32 v2, v[0:1], off
	s_waitcnt vmcnt(0)
	v_cvt_f64_f32_e32 v[2:3], v2
.LBB192_887:
	s_mov_b32 s12, 0
.LBB192_888:
	s_delay_alu instid0(SALU_CYCLE_1)
	s_and_not1_b32 vcc_lo, exec_lo, s12
	s_cbranch_vccnz .LBB192_890
; %bb.889:
	global_load_u16 v2, v[0:1], off
	s_waitcnt vmcnt(0)
	v_cvt_f32_f16_e32 v2, v2
	s_delay_alu instid0(VALU_DEP_1)
	v_cvt_f64_f32_e32 v[2:3], v2
.LBB192_890:
	s_cbranch_execnz .LBB192_909
.LBB192_891:
	v_cmp_gt_i16_e32 vcc_lo, 2, v12
	s_cbranch_vccnz .LBB192_895
; %bb.892:
	v_cmp_gt_i16_e32 vcc_lo, 3, v12
	s_cbranch_vccnz .LBB192_896
; %bb.893:
	v_cmp_lt_i16_e32 vcc_lo, 3, v12
	s_cbranch_vccz .LBB192_897
; %bb.894:
	global_load_b64 v[2:3], v[0:1], off
	s_mov_b32 s12, 0
	s_waitcnt vmcnt(0)
	v_cvt_f64_i32_e32 v[3:4], v3
	v_cvt_f64_u32_e32 v[5:6], v2
	s_delay_alu instid0(VALU_DEP_2) | instskip(NEXT) | instid1(VALU_DEP_1)
	v_ldexp_f64 v[3:4], v[3:4], 32
	v_add_f64 v[2:3], v[3:4], v[5:6]
	s_branch .LBB192_898
.LBB192_895:
                                        ; implicit-def: $vgpr2_vgpr3
	s_branch .LBB192_904
.LBB192_896:
	s_mov_b32 s12, -1
                                        ; implicit-def: $vgpr2_vgpr3
	s_branch .LBB192_901
.LBB192_897:
	s_mov_b32 s12, -1
                                        ; implicit-def: $vgpr2_vgpr3
.LBB192_898:
	s_delay_alu instid0(SALU_CYCLE_1)
	s_and_not1_b32 vcc_lo, exec_lo, s12
	s_cbranch_vccnz .LBB192_900
; %bb.899:
	global_load_b32 v2, v[0:1], off
	s_waitcnt vmcnt(0)
	v_cvt_f64_i32_e32 v[2:3], v2
.LBB192_900:
	s_mov_b32 s12, 0
.LBB192_901:
	s_delay_alu instid0(SALU_CYCLE_1)
	s_and_not1_b32 vcc_lo, exec_lo, s12
	s_cbranch_vccnz .LBB192_903
; %bb.902:
	global_load_i16 v2, v[0:1], off
	s_waitcnt vmcnt(0)
	v_cvt_f64_i32_e32 v[2:3], v2
.LBB192_903:
	s_cbranch_execnz .LBB192_909
.LBB192_904:
	v_cmp_lt_i16_e32 vcc_lo, 0, v12
	s_mov_b32 s12, 0
	s_cbranch_vccz .LBB192_906
; %bb.905:
	global_load_i8 v2, v[0:1], off
	s_waitcnt vmcnt(0)
	v_cvt_f64_i32_e32 v[2:3], v2
	s_branch .LBB192_907
.LBB192_906:
	s_mov_b32 s12, -1
                                        ; implicit-def: $vgpr2_vgpr3
.LBB192_907:
	s_delay_alu instid0(SALU_CYCLE_1)
	s_and_not1_b32 vcc_lo, exec_lo, s12
	s_cbranch_vccnz .LBB192_909
; %bb.908:
	global_load_u8 v0, v[0:1], off
	s_waitcnt vmcnt(0)
	v_cvt_f64_u32_e32 v[2:3], v0
.LBB192_909:
	s_or_b32 s0, s0, exec_lo
.LBB192_910:
	s_or_b32 exec_lo, exec_lo, s1
	s_mov_b32 s13, 0
	s_mov_b32 s1, 0
                                        ; implicit-def: $vgpr6
                                        ; implicit-def: $vgpr4_vgpr5
                                        ; implicit-def: $vgpr0_vgpr1
	s_and_saveexec_b32 s12, s0
	s_cbranch_execz .LBB192_990
; %bb.911:
	s_waitcnt vmcnt(0)
	s_delay_alu instid0(VALU_DEP_1) | instskip(SKIP_3) | instid1(VALU_DEP_2)
	v_rsq_f64_e32 v[0:1], v[2:3]
	s_waitcnt_depctr 0xfff
	v_mul_f64 v[2:3], v[0:1], -v[2:3]
	v_cmp_class_f64_e64 vcc_lo, v[0:1], 0x180
	v_fma_f64 v[2:3], v[2:3], v[0:1], 1.0
	s_delay_alu instid0(VALU_DEP_1) | instskip(SKIP_1) | instid1(VALU_DEP_1)
	v_mul_f64 v[4:5], v[0:1], v[2:3]
	v_fma_f64 v[2:3], 0x3fd80000, v[2:3], 0.5
	v_fma_f64 v[2:3], v[4:5], v[2:3], v[0:1]
	v_mul_lo_u32 v4, v11, s2
	v_and_b32_e32 v6, 0xff, v10
	s_delay_alu instid0(VALU_DEP_2) | instskip(SKIP_1) | instid1(VALU_DEP_1)
	v_ashrrev_i32_e32 v5, 31, v4
	v_add_co_u32 v4, s1, s4, v4
	v_add_co_ci_u32_e64 v5, s1, s5, v5, s1
	v_cndmask_b32_e32 v1, v1, v3, vcc_lo
	v_cmp_gt_i16_e64 s0, 11, v6
	v_cndmask_b32_e32 v0, v0, v2, vcc_lo
	s_delay_alu instid0(VALU_DEP_2)
	s_and_b32 vcc_lo, exec_lo, s0
	s_cbranch_vccnz .LBB192_918
; %bb.912:
	v_cmp_lt_i16_e32 vcc_lo, 25, v6
	s_mov_b32 s1, -1
	s_mov_b32 s0, s10
	s_cbranch_vccz .LBB192_948
; %bb.913:
	v_cmp_lt_i16_e32 vcc_lo, 28, v6
	s_mov_b32 s0, s10
	s_cbranch_vccz .LBB192_932
; %bb.914:
	v_cmp_lt_i16_e32 vcc_lo, 43, v6
	;; [unrolled: 4-line block ×3, first 2 shown]
	s_mov_b32 s0, s10
	s_cbranch_vccz .LBB192_922
; %bb.916:
	v_cmp_eq_u16_e32 vcc_lo, 46, v6
	s_mov_b32 s0, -1
	s_cbranch_vccz .LBB192_921
; %bb.917:
	v_cvt_f32_f64_e32 v2, v[0:1]
	s_mov_b32 s0, 0
	s_mov_b32 s1, 0
	s_delay_alu instid0(VALU_DEP_1) | instskip(SKIP_1) | instid1(VALU_DEP_2)
	v_bfe_u32 v3, v2, 16, 1
	v_cmp_o_f32_e32 vcc_lo, v2, v2
	v_add3_u32 v3, v2, v3, 0x7fff
	s_delay_alu instid0(VALU_DEP_1) | instskip(NEXT) | instid1(VALU_DEP_1)
	v_lshrrev_b32_e32 v3, 16, v3
	v_cndmask_b32_e32 v2, 0x7fc0, v3, vcc_lo
	global_store_b32 v[4:5], v2, off
	s_branch .LBB192_922
.LBB192_918:
	s_mov_b32 s1, -1
	s_mov_b32 s0, s10
	s_branch .LBB192_989
.LBB192_919:
	s_trap 2
	s_sendmsg_rtn_b32 s0, sendmsg(MSG_RTN_GET_DOORBELL)
	s_mov_b32 ttmp2, m0
	s_waitcnt lgkmcnt(0)
	s_and_b32 s0, s0, 0x3ff
	s_delay_alu instid0(SALU_CYCLE_1) | instskip(NEXT) | instid1(SALU_CYCLE_1)
	s_bitset1_b32 s0, 10
	s_mov_b32 m0, s0
	s_sendmsg sendmsg(MSG_INTERRUPT)
	s_mov_b32 m0, ttmp2
.LBB192_920:                            ; =>This Inner Loop Header: Depth=1
	s_sethalt 5
	s_branch .LBB192_920
.LBB192_921:
	s_mov_b32 s1, 0
.LBB192_922:
	s_delay_alu instid0(SALU_CYCLE_1)
	s_and_b32 vcc_lo, exec_lo, s1
	s_cbranch_vccz .LBB192_927
; %bb.923:
	v_cmp_eq_u16_e32 vcc_lo, 44, v6
	s_mov_b32 s0, -1
	s_cbranch_vccz .LBB192_927
; %bb.924:
	v_cvt_f32_f64_e32 v2, v[0:1]
	v_mov_b32_e32 v3, 0xff
	s_mov_b32 s1, exec_lo
	s_delay_alu instid0(VALU_DEP_2) | instskip(NEXT) | instid1(VALU_DEP_1)
	v_bfe_u32 v7, v2, 23, 8
	v_cmpx_ne_u32_e32 0xff, v7
; %bb.925:
	v_and_b32_e32 v3, 0x400000, v2
	v_and_or_b32 v7, 0x3fffff, v2, v7
	v_lshrrev_b32_e32 v2, 23, v2
	s_delay_alu instid0(VALU_DEP_3) | instskip(NEXT) | instid1(VALU_DEP_3)
	v_cmp_ne_u32_e32 vcc_lo, 0, v3
	v_cmp_ne_u32_e64 s0, 0, v7
	s_delay_alu instid0(VALU_DEP_1) | instskip(NEXT) | instid1(SALU_CYCLE_1)
	s_and_b32 s0, vcc_lo, s0
	v_cndmask_b32_e64 v3, 0, 1, s0
	s_delay_alu instid0(VALU_DEP_1)
	v_add_nc_u32_e32 v3, v2, v3
; %bb.926:
	s_or_b32 exec_lo, exec_lo, s1
	s_mov_b32 s0, 0
	global_store_b8 v[4:5], v3, off
.LBB192_927:
	s_mov_b32 s1, 0
.LBB192_928:
	s_delay_alu instid0(SALU_CYCLE_1)
	s_and_b32 vcc_lo, exec_lo, s1
	s_cbranch_vccz .LBB192_931
; %bb.929:
	v_cmp_eq_u16_e32 vcc_lo, 29, v6
	s_mov_b32 s0, -1
	s_cbranch_vccz .LBB192_931
; %bb.930:
	v_trunc_f64_e32 v[2:3], v[0:1]
	s_mov_b32 s0, 0
	s_mov_b32 s1, 0
	s_delay_alu instid0(VALU_DEP_1) | instskip(NEXT) | instid1(VALU_DEP_1)
	v_ldexp_f64 v[7:8], v[2:3], 0xffffffe0
	v_floor_f64_e32 v[7:8], v[7:8]
	s_delay_alu instid0(VALU_DEP_1) | instskip(SKIP_1) | instid1(VALU_DEP_2)
	v_fma_f64 v[2:3], 0xc1f00000, v[7:8], v[2:3]
	v_cvt_u32_f64_e32 v8, v[7:8]
	v_cvt_u32_f64_e32 v7, v[2:3]
	global_store_b64 v[4:5], v[7:8], off
	s_branch .LBB192_932
.LBB192_931:
	s_mov_b32 s1, 0
.LBB192_932:
	s_delay_alu instid0(SALU_CYCLE_1)
	s_and_b32 vcc_lo, exec_lo, s1
	s_cbranch_vccz .LBB192_947
; %bb.933:
	v_cmp_gt_i16_e32 vcc_lo, 27, v6
	s_mov_b32 s1, -1
	s_cbranch_vccnz .LBB192_939
; %bb.934:
	v_cvt_u32_f64_e32 v2, v[0:1]
	v_cmp_lt_i16_e32 vcc_lo, 27, v6
	s_cbranch_vccz .LBB192_936
; %bb.935:
	s_mov_b32 s1, 0
	global_store_b32 v[4:5], v2, off
.LBB192_936:
	s_and_not1_b32 vcc_lo, exec_lo, s1
	s_cbranch_vccnz .LBB192_938
; %bb.937:
	global_store_b16 v[4:5], v2, off
.LBB192_938:
	s_mov_b32 s1, 0
.LBB192_939:
	s_delay_alu instid0(SALU_CYCLE_1)
	s_and_not1_b32 vcc_lo, exec_lo, s1
	s_cbranch_vccnz .LBB192_947
; %bb.940:
	v_cvt_f32_f64_e32 v2, v[0:1]
	v_mov_b32_e32 v7, 0x80
	s_mov_b32 s1, exec_lo
	s_delay_alu instid0(VALU_DEP_2) | instskip(NEXT) | instid1(VALU_DEP_1)
	v_and_b32_e32 v3, 0x7fffffff, v2
	v_cmpx_gt_u32_e32 0x43800000, v3
	s_cbranch_execz .LBB192_946
; %bb.941:
	v_cmp_lt_u32_e32 vcc_lo, 0x3bffffff, v3
                                        ; implicit-def: $vgpr3
	s_and_saveexec_b32 s14, vcc_lo
	s_delay_alu instid0(SALU_CYCLE_1)
	s_xor_b32 s14, exec_lo, s14
	s_cbranch_execz .LBB192_1181
; %bb.942:
	v_bfe_u32 v3, v2, 20, 1
	s_mov_b32 s13, exec_lo
	s_delay_alu instid0(VALU_DEP_1) | instskip(NEXT) | instid1(VALU_DEP_1)
	v_add3_u32 v3, v2, v3, 0x487ffff
	v_lshrrev_b32_e32 v3, 20, v3
	s_or_saveexec_b32 s14, s14
                                        ; implicit-def: $sgpr15
	s_delay_alu instid0(SALU_CYCLE_1)
	s_xor_b32 exec_lo, exec_lo, s14
	s_cbranch_execnz .LBB192_1182
.LBB192_943:
	s_or_b32 exec_lo, exec_lo, s14
	v_mov_b32_e32 v7, s15
	s_and_saveexec_b32 s14, s13
.LBB192_944:
	v_lshrrev_b32_e32 v2, 24, v2
	s_delay_alu instid0(VALU_DEP_1)
	v_and_or_b32 v7, 0x80, v2, v3
.LBB192_945:
	s_or_b32 exec_lo, exec_lo, s14
.LBB192_946:
	s_delay_alu instid0(SALU_CYCLE_1)
	s_or_b32 exec_lo, exec_lo, s1
	global_store_b8 v[4:5], v7, off
.LBB192_947:
	s_mov_b32 s1, 0
.LBB192_948:
	s_delay_alu instid0(SALU_CYCLE_1)
	s_and_b32 vcc_lo, exec_lo, s1
	s_mov_b32 s1, 0
	s_cbranch_vccz .LBB192_988
; %bb.949:
	v_cmp_lt_i16_e32 vcc_lo, 22, v6
	s_mov_b32 s13, -1
	s_cbranch_vccz .LBB192_981
; %bb.950:
	v_cmp_gt_i16_e32 vcc_lo, 24, v6
	s_cbranch_vccnz .LBB192_970
; %bb.951:
	v_cmp_lt_i16_e32 vcc_lo, 24, v6
	s_cbranch_vccz .LBB192_959
; %bb.952:
	v_cvt_f32_f64_e32 v2, v[0:1]
	v_mov_b32_e32 v7, 0x80
	s_mov_b32 s13, exec_lo
	s_delay_alu instid0(VALU_DEP_2) | instskip(NEXT) | instid1(VALU_DEP_1)
	v_and_b32_e32 v3, 0x7fffffff, v2
	v_cmpx_gt_u32_e32 0x47800000, v3
	s_cbranch_execz .LBB192_958
; %bb.953:
	v_cmp_lt_u32_e32 vcc_lo, 0x37ffffff, v3
	s_mov_b32 s14, 0
                                        ; implicit-def: $vgpr3
	s_and_saveexec_b32 s15, vcc_lo
	s_delay_alu instid0(SALU_CYCLE_1)
	s_xor_b32 s15, exec_lo, s15
	s_cbranch_execz .LBB192_1225
; %bb.954:
	v_bfe_u32 v3, v2, 21, 1
	s_mov_b32 s14, exec_lo
	s_delay_alu instid0(VALU_DEP_1) | instskip(NEXT) | instid1(VALU_DEP_1)
	v_add3_u32 v3, v2, v3, 0x88fffff
	v_lshrrev_b32_e32 v3, 21, v3
	s_or_saveexec_b32 s15, s15
                                        ; implicit-def: $sgpr16
	s_delay_alu instid0(SALU_CYCLE_1)
	s_xor_b32 exec_lo, exec_lo, s15
	s_cbranch_execnz .LBB192_1226
.LBB192_955:
	s_or_b32 exec_lo, exec_lo, s15
	v_mov_b32_e32 v7, s16
	s_and_saveexec_b32 s15, s14
.LBB192_956:
	v_lshrrev_b32_e32 v2, 24, v2
	s_delay_alu instid0(VALU_DEP_1)
	v_and_or_b32 v7, 0x80, v2, v3
.LBB192_957:
	s_or_b32 exec_lo, exec_lo, s15
.LBB192_958:
	s_delay_alu instid0(SALU_CYCLE_1)
	s_or_b32 exec_lo, exec_lo, s13
	s_mov_b32 s13, 0
	global_store_b8 v[4:5], v7, off
.LBB192_959:
	s_and_b32 vcc_lo, exec_lo, s13
	s_cbranch_vccz .LBB192_969
; %bb.960:
	v_cvt_f32_f64_e32 v2, v[0:1]
	s_mov_b32 s13, exec_lo
                                        ; implicit-def: $vgpr3
	s_delay_alu instid0(VALU_DEP_1) | instskip(NEXT) | instid1(VALU_DEP_1)
	v_and_b32_e32 v7, 0x7fffffff, v2
	v_cmpx_gt_u32_e32 0x43f00000, v7
	s_xor_b32 s13, exec_lo, s13
	s_cbranch_execz .LBB192_966
; %bb.961:
	s_mov_b32 s14, exec_lo
                                        ; implicit-def: $vgpr3
	v_cmpx_lt_u32_e32 0x3c7fffff, v7
	s_xor_b32 s14, exec_lo, s14
; %bb.962:
	v_bfe_u32 v3, v2, 20, 1
	s_delay_alu instid0(VALU_DEP_1) | instskip(NEXT) | instid1(VALU_DEP_1)
	v_add3_u32 v3, v2, v3, 0x407ffff
	v_and_b32_e32 v7, 0xff00000, v3
	v_lshrrev_b32_e32 v3, 20, v3
	s_delay_alu instid0(VALU_DEP_2) | instskip(NEXT) | instid1(VALU_DEP_2)
	v_cmp_ne_u32_e32 vcc_lo, 0x7f00000, v7
	v_cndmask_b32_e32 v3, 0x7e, v3, vcc_lo
; %bb.963:
	s_and_not1_saveexec_b32 s14, s14
; %bb.964:
	v_add_f32_e64 v3, 0x46800000, |v2|
; %bb.965:
	s_or_b32 exec_lo, exec_lo, s14
                                        ; implicit-def: $vgpr7
.LBB192_966:
	s_and_not1_saveexec_b32 s13, s13
; %bb.967:
	v_mov_b32_e32 v3, 0x7f
	v_cmp_lt_u32_e32 vcc_lo, 0x7f800000, v7
	s_delay_alu instid0(VALU_DEP_2)
	v_cndmask_b32_e32 v3, 0x7e, v3, vcc_lo
; %bb.968:
	s_or_b32 exec_lo, exec_lo, s13
	v_lshrrev_b32_e32 v2, 24, v2
	s_delay_alu instid0(VALU_DEP_1)
	v_and_or_b32 v2, 0x80, v2, v3
	global_store_b8 v[4:5], v2, off
.LBB192_969:
	s_mov_b32 s13, 0
.LBB192_970:
	s_delay_alu instid0(SALU_CYCLE_1)
	s_and_not1_b32 vcc_lo, exec_lo, s13
	s_cbranch_vccnz .LBB192_980
; %bb.971:
	v_cvt_f32_f64_e32 v2, v[0:1]
	s_mov_b32 s13, exec_lo
                                        ; implicit-def: $vgpr3
	s_delay_alu instid0(VALU_DEP_1) | instskip(NEXT) | instid1(VALU_DEP_1)
	v_and_b32_e32 v7, 0x7fffffff, v2
	v_cmpx_gt_u32_e32 0x47800000, v7
	s_xor_b32 s13, exec_lo, s13
	s_cbranch_execz .LBB192_977
; %bb.972:
	s_mov_b32 s14, exec_lo
                                        ; implicit-def: $vgpr3
	v_cmpx_lt_u32_e32 0x387fffff, v7
	s_xor_b32 s14, exec_lo, s14
; %bb.973:
	v_bfe_u32 v3, v2, 21, 1
	s_delay_alu instid0(VALU_DEP_1) | instskip(NEXT) | instid1(VALU_DEP_1)
	v_add3_u32 v3, v2, v3, 0x80fffff
	v_lshrrev_b32_e32 v3, 21, v3
; %bb.974:
	s_and_not1_saveexec_b32 s14, s14
; %bb.975:
	v_add_f32_e64 v3, 0x43000000, |v2|
; %bb.976:
	s_or_b32 exec_lo, exec_lo, s14
                                        ; implicit-def: $vgpr7
.LBB192_977:
	s_and_not1_saveexec_b32 s13, s13
; %bb.978:
	v_mov_b32_e32 v3, 0x7f
	v_cmp_lt_u32_e32 vcc_lo, 0x7f800000, v7
	s_delay_alu instid0(VALU_DEP_2)
	v_cndmask_b32_e32 v3, 0x7c, v3, vcc_lo
; %bb.979:
	s_or_b32 exec_lo, exec_lo, s13
	v_lshrrev_b32_e32 v2, 24, v2
	s_delay_alu instid0(VALU_DEP_1)
	v_and_or_b32 v2, 0x80, v2, v3
	global_store_b8 v[4:5], v2, off
.LBB192_980:
	s_mov_b32 s13, 0
.LBB192_981:
	s_delay_alu instid0(SALU_CYCLE_1)
	s_and_not1_b32 vcc_lo, exec_lo, s13
	s_mov_b32 s13, 0
	s_cbranch_vccnz .LBB192_989
; %bb.982:
	v_cmp_lt_i16_e32 vcc_lo, 14, v6
	s_mov_b32 s13, -1
	s_cbranch_vccz .LBB192_986
; %bb.983:
	v_cmp_eq_u16_e32 vcc_lo, 15, v6
	s_mov_b32 s0, -1
	s_cbranch_vccz .LBB192_985
; %bb.984:
	v_cvt_f32_f64_e32 v2, v[0:1]
	s_mov_b32 s0, 0
	s_delay_alu instid0(VALU_DEP_1) | instskip(SKIP_1) | instid1(VALU_DEP_2)
	v_bfe_u32 v3, v2, 16, 1
	v_cmp_o_f32_e32 vcc_lo, v2, v2
	v_add3_u32 v3, v2, v3, 0x7fff
	s_delay_alu instid0(VALU_DEP_1) | instskip(NEXT) | instid1(VALU_DEP_1)
	v_lshrrev_b32_e32 v3, 16, v3
	v_cndmask_b32_e32 v2, 0x7fc0, v3, vcc_lo
	global_store_b16 v[4:5], v2, off
.LBB192_985:
	s_mov_b32 s13, 0
.LBB192_986:
	s_delay_alu instid0(SALU_CYCLE_1)
	s_and_b32 vcc_lo, exec_lo, s13
	s_mov_b32 s13, 0
	s_cbranch_vccz .LBB192_989
; %bb.987:
	v_cmp_ne_u16_e32 vcc_lo, 11, v6
	s_and_not1_b32 s0, s0, exec_lo
	s_mov_b32 s13, -1
	s_and_b32 s14, vcc_lo, exec_lo
	s_delay_alu instid0(SALU_CYCLE_1)
	s_or_b32 s0, s0, s14
	s_branch .LBB192_989
.LBB192_988:
	s_mov_b32 s13, 0
.LBB192_989:
	s_and_not1_b32 s10, s10, exec_lo
	s_and_b32 s0, s0, exec_lo
	s_and_b32 s1, s1, exec_lo
	;; [unrolled: 1-line block ×3, first 2 shown]
	s_or_b32 s10, s10, s0
.LBB192_990:
	s_or_b32 exec_lo, exec_lo, s12
	s_and_saveexec_b32 s0, s10
	s_cbranch_execnz .LBB192_1052
; %bb.991:
	s_or_b32 exec_lo, exec_lo, s0
	s_and_saveexec_b32 s0, s13
	s_delay_alu instid0(SALU_CYCLE_1)
	s_xor_b32 s0, exec_lo, s0
	s_cbranch_execz .LBB192_993
.LBB192_992:
	v_cmp_neq_f64_e32 vcc_lo, 0, v[0:1]
	s_waitcnt vmcnt(0)
	v_cndmask_b32_e64 v2, 0, 1, vcc_lo
	global_store_b8 v[4:5], v2, off
.LBB192_993:
	s_or_b32 exec_lo, exec_lo, s0
	s_and_saveexec_b32 s0, s1
	s_delay_alu instid0(SALU_CYCLE_1)
	s_xor_b32 s0, exec_lo, s0
	s_cbranch_execz .LBB192_1031
; %bb.994:
	v_cmp_gt_i16_e32 vcc_lo, 5, v6
	s_mov_b32 s1, -1
	s_cbranch_vccnz .LBB192_1015
; %bb.995:
	v_cmp_gt_i16_e32 vcc_lo, 8, v6
	s_cbranch_vccnz .LBB192_1005
; %bb.996:
	v_cmp_gt_i16_e32 vcc_lo, 9, v6
	s_cbranch_vccnz .LBB192_1002
; %bb.997:
	v_cmp_lt_i16_e32 vcc_lo, 9, v6
	s_cbranch_vccz .LBB192_999
; %bb.998:
	s_waitcnt vmcnt(0)
	v_mov_b32_e32 v2, 0
	s_mov_b32 s1, 0
	s_delay_alu instid0(VALU_DEP_1)
	v_mov_b32_e32 v3, v2
	global_store_b128 v[4:5], v[0:3], off
.LBB192_999:
	s_and_not1_b32 vcc_lo, exec_lo, s1
	s_cbranch_vccnz .LBB192_1001
; %bb.1000:
	s_waitcnt vmcnt(0)
	v_cvt_f32_f64_e32 v2, v[0:1]
	v_mov_b32_e32 v3, 0
	global_store_b64 v[4:5], v[2:3], off
.LBB192_1001:
	s_mov_b32 s1, 0
.LBB192_1002:
	s_delay_alu instid0(SALU_CYCLE_1)
	s_and_not1_b32 vcc_lo, exec_lo, s1
	s_cbranch_vccnz .LBB192_1004
; %bb.1003:
	s_waitcnt vmcnt(0)
	v_cvt_f32_f64_e32 v2, v[0:1]
	s_delay_alu instid0(VALU_DEP_1) | instskip(NEXT) | instid1(VALU_DEP_1)
	v_cvt_f16_f32_e32 v2, v2
	v_and_b32_e32 v2, 0xffff, v2
	global_store_b32 v[4:5], v2, off
.LBB192_1004:
	s_mov_b32 s1, 0
.LBB192_1005:
	s_delay_alu instid0(SALU_CYCLE_1)
	s_and_not1_b32 vcc_lo, exec_lo, s1
	s_cbranch_vccnz .LBB192_1014
; %bb.1006:
	v_cmp_gt_i16_e32 vcc_lo, 6, v6
	s_mov_b32 s1, -1
	s_cbranch_vccnz .LBB192_1012
; %bb.1007:
	v_cmp_lt_i16_e32 vcc_lo, 6, v6
	s_cbranch_vccz .LBB192_1009
; %bb.1008:
	s_mov_b32 s1, 0
	global_store_b64 v[4:5], v[0:1], off
.LBB192_1009:
	s_and_not1_b32 vcc_lo, exec_lo, s1
	s_cbranch_vccnz .LBB192_1011
; %bb.1010:
	s_waitcnt vmcnt(0)
	v_cvt_f32_f64_e32 v2, v[0:1]
	global_store_b32 v[4:5], v2, off
.LBB192_1011:
	s_mov_b32 s1, 0
.LBB192_1012:
	s_delay_alu instid0(SALU_CYCLE_1)
	s_and_not1_b32 vcc_lo, exec_lo, s1
	s_cbranch_vccnz .LBB192_1014
; %bb.1013:
	s_waitcnt vmcnt(0)
	v_cvt_f32_f64_e32 v2, v[0:1]
	s_delay_alu instid0(VALU_DEP_1)
	v_cvt_f16_f32_e32 v2, v2
	global_store_b16 v[4:5], v2, off
.LBB192_1014:
	s_mov_b32 s1, 0
.LBB192_1015:
	s_delay_alu instid0(SALU_CYCLE_1)
	s_and_not1_b32 vcc_lo, exec_lo, s1
	s_cbranch_vccnz .LBB192_1031
; %bb.1016:
	v_cmp_gt_i16_e32 vcc_lo, 2, v6
	s_mov_b32 s1, -1
	s_cbranch_vccnz .LBB192_1026
; %bb.1017:
	v_cmp_gt_i16_e32 vcc_lo, 3, v6
	s_cbranch_vccnz .LBB192_1023
; %bb.1018:
	v_cmp_lt_i16_e32 vcc_lo, 3, v6
	s_cbranch_vccz .LBB192_1020
; %bb.1019:
	s_waitcnt vmcnt(0)
	v_trunc_f64_e32 v[2:3], v[0:1]
	s_mov_b32 s1, 0
	s_delay_alu instid0(VALU_DEP_1) | instskip(NEXT) | instid1(VALU_DEP_1)
	v_ldexp_f64 v[7:8], v[2:3], 0xffffffe0
	v_floor_f64_e32 v[7:8], v[7:8]
	s_delay_alu instid0(VALU_DEP_1) | instskip(SKIP_1) | instid1(VALU_DEP_2)
	v_fma_f64 v[2:3], 0xc1f00000, v[7:8], v[2:3]
	v_cvt_i32_f64_e32 v8, v[7:8]
	v_cvt_u32_f64_e32 v7, v[2:3]
	global_store_b64 v[4:5], v[7:8], off
.LBB192_1020:
	s_and_not1_b32 vcc_lo, exec_lo, s1
	s_cbranch_vccnz .LBB192_1022
; %bb.1021:
	s_waitcnt vmcnt(0)
	v_cvt_i32_f64_e32 v2, v[0:1]
	global_store_b32 v[4:5], v2, off
.LBB192_1022:
	s_mov_b32 s1, 0
.LBB192_1023:
	s_delay_alu instid0(SALU_CYCLE_1)
	s_and_not1_b32 vcc_lo, exec_lo, s1
	s_cbranch_vccnz .LBB192_1025
; %bb.1024:
	s_waitcnt vmcnt(0)
	v_cvt_i32_f64_e32 v2, v[0:1]
	global_store_b16 v[4:5], v2, off
.LBB192_1025:
	s_mov_b32 s1, 0
.LBB192_1026:
	s_delay_alu instid0(SALU_CYCLE_1)
	s_and_not1_b32 vcc_lo, exec_lo, s1
	s_cbranch_vccnz .LBB192_1031
; %bb.1027:
	v_cmp_lt_i16_e32 vcc_lo, 0, v6
	s_mov_b32 s1, -1
	s_cbranch_vccz .LBB192_1029
; %bb.1028:
	s_waitcnt vmcnt(0)
	v_cvt_i32_f64_e32 v2, v[0:1]
	s_mov_b32 s1, 0
	global_store_b8 v[4:5], v2, off
.LBB192_1029:
	s_and_not1_b32 vcc_lo, exec_lo, s1
	s_cbranch_vccnz .LBB192_1031
; %bb.1030:
	v_trunc_f64_e32 v[0:1], v[0:1]
	s_waitcnt vmcnt(0)
	s_delay_alu instid0(VALU_DEP_1) | instskip(NEXT) | instid1(VALU_DEP_1)
	v_ldexp_f64 v[2:3], v[0:1], 0xffffffe0
	v_floor_f64_e32 v[2:3], v[2:3]
	s_delay_alu instid0(VALU_DEP_1) | instskip(NEXT) | instid1(VALU_DEP_1)
	v_fma_f64 v[0:1], 0xc1f00000, v[2:3], v[0:1]
	v_cvt_u32_f64_e32 v0, v[0:1]
	global_store_b8 v[4:5], v0, off
.LBB192_1031:
	s_or_b32 exec_lo, exec_lo, s0
	s_delay_alu instid0(SALU_CYCLE_1)
	s_and_b32 s10, s11, exec_lo
                                        ; implicit-def: $vgpr11
                                        ; implicit-def: $vgpr12
                                        ; implicit-def: $vgpr10
.LBB192_1032:
	s_or_saveexec_b32 s9, s9
	s_mov_b32 s0, 0
                                        ; implicit-def: $vgpr13
                                        ; implicit-def: $vgpr4_vgpr5
                                        ; implicit-def: $vgpr0_vgpr1
	s_xor_b32 exec_lo, exec_lo, s9
	s_cbranch_execz .LBB192_1997
; %bb.1033:
	v_mul_lo_u32 v4, s3, v11
	v_cmp_gt_i16_e32 vcc_lo, 11, v12
	s_and_b32 vcc_lo, exec_lo, vcc_lo
	s_delay_alu instid0(VALU_DEP_2) | instskip(SKIP_2) | instid1(VALU_DEP_1)
	v_ashrrev_i32_e32 v0, 31, v4
	s_waitcnt vmcnt(0)
	v_add_co_u32 v2, s0, s6, v4
	v_add_co_ci_u32_e64 v3, s0, s7, v0, s0
	s_cbranch_vccnz .LBB192_1040
; %bb.1034:
	v_cmp_lt_i16_e32 vcc_lo, 25, v12
	s_mov_b32 s11, 0
	s_cbranch_vccz .LBB192_1046
; %bb.1035:
	v_cmp_lt_i16_e32 vcc_lo, 28, v12
	s_cbranch_vccz .LBB192_1048
; %bb.1036:
	v_cmp_lt_i16_e32 vcc_lo, 43, v12
	;; [unrolled: 3-line block ×3, first 2 shown]
	s_cbranch_vccz .LBB192_1054
; %bb.1038:
	v_cmp_eq_u16_e32 vcc_lo, 46, v12
	s_mov_b32 s1, 0
	s_cbranch_vccz .LBB192_1094
; %bb.1039:
	global_load_b32 v0, v[2:3], off
	s_mov_b32 s0, -1
	s_waitcnt vmcnt(0)
	v_lshlrev_b32_e32 v0, 16, v0
	s_delay_alu instid0(VALU_DEP_1)
	v_cvt_f64_f32_e32 v[0:1], v0
	s_branch .LBB192_1096
.LBB192_1040:
	s_mov_b32 s0, 0
	s_mov_b32 s8, s10
                                        ; implicit-def: $vgpr0_vgpr1
	s_cbranch_execz .LBB192_1159
; %bb.1041:
	v_cmp_gt_i16_e32 vcc_lo, 5, v12
	s_cbranch_vccnz .LBB192_1047
; %bb.1042:
	v_cmp_gt_i16_e32 vcc_lo, 8, v12
	s_cbranch_vccnz .LBB192_1049
	;; [unrolled: 3-line block ×3, first 2 shown]
; %bb.1044:
	v_cmp_lt_i16_e32 vcc_lo, 9, v12
	s_cbranch_vccz .LBB192_1055
; %bb.1045:
	global_load_b64 v[0:1], v[2:3], off
	s_mov_b32 s0, 0
	s_branch .LBB192_1056
.LBB192_1046:
	s_mov_b32 s0, 0
                                        ; implicit-def: $vgpr0_vgpr1
	s_cbranch_execnz .LBB192_1126
	s_branch .LBB192_1155
.LBB192_1047:
                                        ; implicit-def: $vgpr0_vgpr1
	s_branch .LBB192_1073
.LBB192_1048:
	s_mov_b32 s1, -1
	s_mov_b32 s0, 0
                                        ; implicit-def: $vgpr0_vgpr1
	s_branch .LBB192_1105
.LBB192_1049:
                                        ; implicit-def: $vgpr0_vgpr1
	s_branch .LBB192_1062
.LBB192_1050:
	s_mov_b32 s0, 0
                                        ; implicit-def: $vgpr0_vgpr1
	s_cbranch_execnz .LBB192_1101
	s_branch .LBB192_1104
.LBB192_1051:
	s_mov_b32 s0, -1
                                        ; implicit-def: $vgpr0_vgpr1
	s_branch .LBB192_1059
.LBB192_1052:
	s_cbranch_execnz .LBB192_1092
; %bb.1053:
	s_or_b32 s11, s11, exec_lo
	s_and_not1_b32 s13, s13, exec_lo
	s_or_b32 exec_lo, exec_lo, s0
	s_and_saveexec_b32 s0, s13
	s_delay_alu instid0(SALU_CYCLE_1)
	s_xor_b32 s0, exec_lo, s0
	s_cbranch_execnz .LBB192_992
	s_branch .LBB192_993
.LBB192_1054:
	s_mov_b32 s1, -1
	s_branch .LBB192_1095
.LBB192_1055:
	s_mov_b32 s0, -1
                                        ; implicit-def: $vgpr0_vgpr1
.LBB192_1056:
	s_delay_alu instid0(SALU_CYCLE_1)
	s_and_not1_b32 vcc_lo, exec_lo, s0
	s_cbranch_vccnz .LBB192_1058
; %bb.1057:
	global_load_b32 v0, v[2:3], off
	s_waitcnt vmcnt(0)
	v_cvt_f64_f32_e32 v[0:1], v0
.LBB192_1058:
	s_mov_b32 s0, 0
.LBB192_1059:
	s_delay_alu instid0(SALU_CYCLE_1)
	s_and_not1_b32 vcc_lo, exec_lo, s0
	s_cbranch_vccnz .LBB192_1061
; %bb.1060:
	global_load_b32 v0, v[2:3], off
	s_waitcnt vmcnt(0)
	v_cvt_f32_f16_e32 v0, v0
	s_delay_alu instid0(VALU_DEP_1)
	v_cvt_f64_f32_e32 v[0:1], v0
.LBB192_1061:
	s_cbranch_execnz .LBB192_1072
.LBB192_1062:
	v_cmp_gt_i16_e32 vcc_lo, 6, v12
	s_cbranch_vccnz .LBB192_1065
; %bb.1063:
	v_cmp_lt_i16_e32 vcc_lo, 6, v12
	s_cbranch_vccz .LBB192_1066
; %bb.1064:
	global_load_b64 v[0:1], v[2:3], off
	s_mov_b32 s0, 0
	s_branch .LBB192_1067
.LBB192_1065:
	s_mov_b32 s0, -1
                                        ; implicit-def: $vgpr0_vgpr1
	s_branch .LBB192_1070
.LBB192_1066:
	s_mov_b32 s0, -1
                                        ; implicit-def: $vgpr0_vgpr1
.LBB192_1067:
	s_delay_alu instid0(SALU_CYCLE_1)
	s_and_not1_b32 vcc_lo, exec_lo, s0
	s_cbranch_vccnz .LBB192_1069
; %bb.1068:
	global_load_b32 v0, v[2:3], off
	s_waitcnt vmcnt(0)
	v_cvt_f64_f32_e32 v[0:1], v0
.LBB192_1069:
	s_mov_b32 s0, 0
.LBB192_1070:
	s_delay_alu instid0(SALU_CYCLE_1)
	s_and_not1_b32 vcc_lo, exec_lo, s0
	s_cbranch_vccnz .LBB192_1072
; %bb.1071:
	global_load_u16 v0, v[2:3], off
	s_waitcnt vmcnt(0)
	v_cvt_f32_f16_e32 v0, v0
	s_delay_alu instid0(VALU_DEP_1)
	v_cvt_f64_f32_e32 v[0:1], v0
.LBB192_1072:
	s_cbranch_execnz .LBB192_1091
.LBB192_1073:
	v_cmp_gt_i16_e32 vcc_lo, 2, v12
	s_cbranch_vccnz .LBB192_1077
; %bb.1074:
	v_cmp_gt_i16_e32 vcc_lo, 3, v12
	s_cbranch_vccnz .LBB192_1078
; %bb.1075:
	v_cmp_lt_i16_e32 vcc_lo, 3, v12
	s_cbranch_vccz .LBB192_1079
; %bb.1076:
	global_load_b64 v[0:1], v[2:3], off
	s_mov_b32 s0, 0
	s_waitcnt vmcnt(0)
	v_cvt_f64_i32_e32 v[5:6], v1
	v_cvt_f64_u32_e32 v[0:1], v0
	s_delay_alu instid0(VALU_DEP_2) | instskip(NEXT) | instid1(VALU_DEP_1)
	v_ldexp_f64 v[5:6], v[5:6], 32
	v_add_f64 v[0:1], v[5:6], v[0:1]
	s_branch .LBB192_1080
.LBB192_1077:
                                        ; implicit-def: $vgpr0_vgpr1
	s_branch .LBB192_1086
.LBB192_1078:
	s_mov_b32 s0, -1
                                        ; implicit-def: $vgpr0_vgpr1
	s_branch .LBB192_1083
.LBB192_1079:
	s_mov_b32 s0, -1
                                        ; implicit-def: $vgpr0_vgpr1
.LBB192_1080:
	s_delay_alu instid0(SALU_CYCLE_1)
	s_and_not1_b32 vcc_lo, exec_lo, s0
	s_cbranch_vccnz .LBB192_1082
; %bb.1081:
	global_load_b32 v0, v[2:3], off
	s_waitcnt vmcnt(0)
	v_cvt_f64_i32_e32 v[0:1], v0
.LBB192_1082:
	s_mov_b32 s0, 0
.LBB192_1083:
	s_delay_alu instid0(SALU_CYCLE_1)
	s_and_not1_b32 vcc_lo, exec_lo, s0
	s_cbranch_vccnz .LBB192_1085
; %bb.1084:
	global_load_i16 v0, v[2:3], off
	s_waitcnt vmcnt(0)
	v_cvt_f64_i32_e32 v[0:1], v0
.LBB192_1085:
	s_cbranch_execnz .LBB192_1091
.LBB192_1086:
	v_cmp_lt_i16_e32 vcc_lo, 0, v12
	s_mov_b32 s0, 0
	s_cbranch_vccz .LBB192_1088
; %bb.1087:
	global_load_i8 v0, v[2:3], off
	s_waitcnt vmcnt(0)
	v_cvt_f64_i32_e32 v[0:1], v0
	s_branch .LBB192_1089
.LBB192_1088:
	s_mov_b32 s0, -1
                                        ; implicit-def: $vgpr0_vgpr1
.LBB192_1089:
	s_delay_alu instid0(SALU_CYCLE_1)
	s_and_not1_b32 vcc_lo, exec_lo, s0
	s_cbranch_vccnz .LBB192_1091
; %bb.1090:
	global_load_u8 v0, v[2:3], off
	s_waitcnt vmcnt(0)
	v_cvt_f64_u32_e32 v[0:1], v0
.LBB192_1091:
                                        ; implicit-def: $vgpr2_vgpr3
	s_branch .LBB192_1160
.LBB192_1092:
	s_trap 2
	s_sendmsg_rtn_b32 s0, sendmsg(MSG_RTN_GET_DOORBELL)
	s_mov_b32 ttmp2, m0
	s_waitcnt lgkmcnt(0)
	s_and_b32 s0, s0, 0x3ff
	s_delay_alu instid0(SALU_CYCLE_1) | instskip(NEXT) | instid1(SALU_CYCLE_1)
	s_bitset1_b32 s0, 10
	s_mov_b32 m0, s0
	s_sendmsg sendmsg(MSG_INTERRUPT)
	s_mov_b32 m0, ttmp2
.LBB192_1093:                           ; =>This Inner Loop Header: Depth=1
	s_sethalt 5
	s_branch .LBB192_1093
.LBB192_1094:
	s_mov_b32 s8, -1
.LBB192_1095:
	s_mov_b32 s0, 0
                                        ; implicit-def: $vgpr0_vgpr1
.LBB192_1096:
	s_and_b32 vcc_lo, exec_lo, s1
	s_cbranch_vccz .LBB192_1099
; %bb.1097:
	v_cmp_eq_u16_e32 vcc_lo, 44, v12
	s_cbranch_vccz .LBB192_1100
; %bb.1098:
	global_load_u8 v5, v[2:3], off
	s_mov_b32 s8, 0
	s_mov_b32 s0, -1
	s_waitcnt vmcnt(0)
	v_lshlrev_b32_e32 v0, 23, v5
	v_cmp_ne_u32_e32 vcc_lo, 0xff, v5
	s_delay_alu instid0(VALU_DEP_2) | instskip(NEXT) | instid1(VALU_DEP_1)
	v_cvt_f64_f32_e32 v[0:1], v0
	v_cndmask_b32_e32 v0, 0x20000000, v0, vcc_lo
	s_delay_alu instid0(VALU_DEP_2) | instskip(SKIP_1) | instid1(VALU_DEP_2)
	v_cndmask_b32_e32 v1, 0x7ff80000, v1, vcc_lo
	v_cmp_ne_u32_e32 vcc_lo, 0, v5
	v_cndmask_b32_e32 v1, 0x38000000, v1, vcc_lo
	s_delay_alu instid0(VALU_DEP_4)
	v_cndmask_b32_e32 v0, 0, v0, vcc_lo
.LBB192_1099:
	s_branch .LBB192_1104
.LBB192_1100:
	s_mov_b32 s8, -1
                                        ; implicit-def: $vgpr0_vgpr1
	s_branch .LBB192_1104
.LBB192_1101:
	v_cmp_eq_u16_e32 vcc_lo, 29, v12
	s_cbranch_vccz .LBB192_1103
; %bb.1102:
	global_load_b64 v[0:1], v[2:3], off
	s_mov_b32 s8, 0
	s_mov_b32 s0, -1
	s_mov_b32 s1, 0
	s_waitcnt vmcnt(0)
	v_cvt_f64_u32_e32 v[5:6], v1
	v_cvt_f64_u32_e32 v[0:1], v0
	s_delay_alu instid0(VALU_DEP_2) | instskip(NEXT) | instid1(VALU_DEP_1)
	v_ldexp_f64 v[5:6], v[5:6], 32
	v_add_f64 v[0:1], v[5:6], v[0:1]
	s_branch .LBB192_1105
.LBB192_1103:
	s_mov_b32 s8, -1
                                        ; implicit-def: $vgpr0_vgpr1
.LBB192_1104:
	s_mov_b32 s1, 0
.LBB192_1105:
	s_delay_alu instid0(SALU_CYCLE_1)
	s_and_b32 vcc_lo, exec_lo, s1
	s_cbranch_vccz .LBB192_1125
; %bb.1106:
	v_cmp_gt_i16_e32 vcc_lo, 27, v12
	s_cbranch_vccnz .LBB192_1109
; %bb.1107:
	v_cmp_lt_i16_e32 vcc_lo, 27, v12
	s_cbranch_vccz .LBB192_1110
; %bb.1108:
	global_load_b32 v0, v[2:3], off
	s_mov_b32 s0, 0
	s_waitcnt vmcnt(0)
	v_cvt_f64_u32_e32 v[0:1], v0
	s_branch .LBB192_1111
.LBB192_1109:
	s_mov_b32 s0, -1
                                        ; implicit-def: $vgpr0_vgpr1
	s_branch .LBB192_1114
.LBB192_1110:
	s_mov_b32 s0, -1
                                        ; implicit-def: $vgpr0_vgpr1
.LBB192_1111:
	s_delay_alu instid0(SALU_CYCLE_1)
	s_and_not1_b32 vcc_lo, exec_lo, s0
	s_cbranch_vccnz .LBB192_1113
; %bb.1112:
	global_load_u16 v0, v[2:3], off
	s_waitcnt vmcnt(0)
	v_cvt_f64_u32_e32 v[0:1], v0
.LBB192_1113:
	s_mov_b32 s0, 0
.LBB192_1114:
	s_delay_alu instid0(SALU_CYCLE_1)
	s_and_not1_b32 vcc_lo, exec_lo, s0
	s_cbranch_vccnz .LBB192_1124
; %bb.1115:
	global_load_u8 v5, v[2:3], off
	s_mov_b32 s12, 0
	s_mov_b32 s13, exec_lo
                                        ; implicit-def: $sgpr0_sgpr1
	s_waitcnt vmcnt(0)
	v_cmpx_lt_i16_e32 0x7f, v5
	s_xor_b32 s13, exec_lo, s13
	s_cbranch_execz .LBB192_1119
; %bb.1116:
	s_mov_b32 s14, -1
	s_mov_b32 s12, exec_lo
                                        ; implicit-def: $sgpr0_sgpr1
	v_cmpx_eq_u16_e32 0x80, v5
; %bb.1117:
	s_mov_b32 s1, 0x7ff80000
	s_brev_b32 s0, 4
	s_xor_b32 s14, exec_lo, -1
; %bb.1118:
	s_or_b32 exec_lo, exec_lo, s12
	s_delay_alu instid0(SALU_CYCLE_1)
	s_and_b32 s12, s14, exec_lo
.LBB192_1119:
	s_or_saveexec_b32 s13, s13
	v_dual_mov_b32 v0, s0 :: v_dual_mov_b32 v1, s1
	s_xor_b32 exec_lo, exec_lo, s13
; %bb.1120:
	v_cmp_ne_u16_e32 vcc_lo, 0, v5
	v_mov_b32_e32 v0, 0
	v_mov_b32_e32 v1, 0
	s_and_not1_b32 s0, s12, exec_lo
	s_and_b32 s1, vcc_lo, exec_lo
	s_delay_alu instid0(SALU_CYCLE_1)
	s_or_b32 s12, s0, s1
; %bb.1121:
	s_or_b32 exec_lo, exec_lo, s13
	s_and_saveexec_b32 s0, s12
	s_cbranch_execz .LBB192_1123
; %bb.1122:
	v_and_b32_e32 v0, 0xffff, v5
	v_lshlrev_b32_e32 v5, 24, v5
	s_delay_alu instid0(VALU_DEP_2) | instskip(NEXT) | instid1(VALU_DEP_2)
	v_and_b32_e32 v1, 7, v0
	v_and_b32_e32 v5, 0x80000000, v5
	s_delay_alu instid0(VALU_DEP_2) | instskip(NEXT) | instid1(VALU_DEP_1)
	v_clz_i32_u32_e32 v6, v1
	v_min_u32_e32 v6, 32, v6
	s_delay_alu instid0(VALU_DEP_1) | instskip(SKIP_1) | instid1(VALU_DEP_2)
	v_subrev_nc_u32_e32 v7, 28, v6
	v_sub_nc_u32_e32 v6, 29, v6
	v_lshlrev_b32_e32 v7, v7, v0
	v_bfe_u32 v0, v0, 3, 4
	s_delay_alu instid0(VALU_DEP_2) | instskip(NEXT) | instid1(VALU_DEP_2)
	v_and_b32_e32 v7, 7, v7
	v_cmp_eq_u32_e32 vcc_lo, 0, v0
	s_delay_alu instid0(VALU_DEP_2) | instskip(NEXT) | instid1(VALU_DEP_1)
	v_dual_cndmask_b32 v0, v0, v6 :: v_dual_cndmask_b32 v1, v1, v7
	v_lshl_add_u32 v0, v0, 23, 0x3b800000
	s_delay_alu instid0(VALU_DEP_2) | instskip(NEXT) | instid1(VALU_DEP_1)
	v_lshlrev_b32_e32 v1, 20, v1
	v_or3_b32 v0, v5, v0, v1
	s_delay_alu instid0(VALU_DEP_1)
	v_cvt_f64_f32_e32 v[0:1], v0
.LBB192_1123:
	s_or_b32 exec_lo, exec_lo, s0
.LBB192_1124:
	s_mov_b32 s0, -1
.LBB192_1125:
	s_branch .LBB192_1155
.LBB192_1126:
	v_cmp_lt_i16_e32 vcc_lo, 22, v12
	s_cbranch_vccz .LBB192_1138
; %bb.1127:
	v_cmp_gt_i16_e32 vcc_lo, 24, v12
	s_cbranch_vccnz .LBB192_1139
; %bb.1128:
	v_cmp_lt_i16_e32 vcc_lo, 24, v12
	s_cbranch_vccz .LBB192_1140
; %bb.1129:
	global_load_u8 v5, v[2:3], off
	s_mov_b32 s12, exec_lo
                                        ; implicit-def: $sgpr0_sgpr1
	s_waitcnt vmcnt(0)
	v_cmpx_lt_i16_e32 0x7f, v5
	s_xor_b32 s12, exec_lo, s12
	s_cbranch_execz .LBB192_1133
; %bb.1130:
	s_mov_b32 s13, -1
	s_mov_b32 s11, exec_lo
                                        ; implicit-def: $sgpr0_sgpr1
	v_cmpx_eq_u16_e32 0x80, v5
; %bb.1131:
	s_mov_b32 s1, 0x7ff80000
	s_brev_b32 s0, 4
	s_xor_b32 s13, exec_lo, -1
; %bb.1132:
	s_or_b32 exec_lo, exec_lo, s11
	s_delay_alu instid0(SALU_CYCLE_1)
	s_and_b32 s11, s13, exec_lo
.LBB192_1133:
	s_or_saveexec_b32 s12, s12
	v_dual_mov_b32 v0, s0 :: v_dual_mov_b32 v1, s1
	s_xor_b32 exec_lo, exec_lo, s12
; %bb.1134:
	v_cmp_ne_u16_e32 vcc_lo, 0, v5
	v_mov_b32_e32 v0, 0
	v_mov_b32_e32 v1, 0
	s_and_not1_b32 s0, s11, exec_lo
	s_and_b32 s1, vcc_lo, exec_lo
	s_delay_alu instid0(SALU_CYCLE_1)
	s_or_b32 s11, s0, s1
; %bb.1135:
	s_or_b32 exec_lo, exec_lo, s12
	s_and_saveexec_b32 s0, s11
	s_cbranch_execz .LBB192_1137
; %bb.1136:
	v_and_b32_e32 v0, 0xffff, v5
	v_lshlrev_b32_e32 v5, 24, v5
	s_delay_alu instid0(VALU_DEP_2) | instskip(NEXT) | instid1(VALU_DEP_2)
	v_and_b32_e32 v1, 3, v0
	v_and_b32_e32 v5, 0x80000000, v5
	s_delay_alu instid0(VALU_DEP_2) | instskip(NEXT) | instid1(VALU_DEP_1)
	v_clz_i32_u32_e32 v6, v1
	v_min_u32_e32 v6, 32, v6
	s_delay_alu instid0(VALU_DEP_1) | instskip(SKIP_1) | instid1(VALU_DEP_2)
	v_subrev_nc_u32_e32 v7, 29, v6
	v_sub_nc_u32_e32 v6, 30, v6
	v_lshlrev_b32_e32 v7, v7, v0
	v_bfe_u32 v0, v0, 2, 5
	s_delay_alu instid0(VALU_DEP_2) | instskip(NEXT) | instid1(VALU_DEP_2)
	v_and_b32_e32 v7, 3, v7
	v_cmp_eq_u32_e32 vcc_lo, 0, v0
	s_delay_alu instid0(VALU_DEP_2) | instskip(NEXT) | instid1(VALU_DEP_1)
	v_dual_cndmask_b32 v0, v0, v6 :: v_dual_cndmask_b32 v1, v1, v7
	v_lshl_add_u32 v0, v0, 23, 0x37800000
	s_delay_alu instid0(VALU_DEP_2) | instskip(NEXT) | instid1(VALU_DEP_1)
	v_lshlrev_b32_e32 v1, 21, v1
	v_or3_b32 v0, v5, v0, v1
	s_delay_alu instid0(VALU_DEP_1)
	v_cvt_f64_f32_e32 v[0:1], v0
.LBB192_1137:
	s_or_b32 exec_lo, exec_lo, s0
	s_mov_b32 s0, 0
	s_branch .LBB192_1141
.LBB192_1138:
                                        ; implicit-def: $vgpr0_vgpr1
	s_mov_b32 s11, 0
	s_branch .LBB192_1147
.LBB192_1139:
	s_mov_b32 s0, -1
                                        ; implicit-def: $vgpr0_vgpr1
	s_branch .LBB192_1144
.LBB192_1140:
	s_mov_b32 s0, -1
                                        ; implicit-def: $vgpr0_vgpr1
.LBB192_1141:
	s_delay_alu instid0(SALU_CYCLE_1)
	s_and_b32 vcc_lo, exec_lo, s0
	s_cbranch_vccz .LBB192_1143
; %bb.1142:
	global_load_u8 v0, v[2:3], off
	s_waitcnt vmcnt(0)
	v_lshlrev_b32_e32 v0, 24, v0
	s_delay_alu instid0(VALU_DEP_1) | instskip(NEXT) | instid1(VALU_DEP_1)
	v_and_b32_e32 v1, 0x7f000000, v0
	v_clz_i32_u32_e32 v5, v1
	v_add_nc_u32_e32 v7, 0x1000000, v1
	v_cmp_ne_u32_e32 vcc_lo, 0, v1
	s_delay_alu instid0(VALU_DEP_3) | instskip(NEXT) | instid1(VALU_DEP_1)
	v_min_u32_e32 v5, 32, v5
	v_sub_nc_u32_e64 v5, v5, 4 clamp
	s_delay_alu instid0(VALU_DEP_1) | instskip(SKIP_1) | instid1(VALU_DEP_2)
	v_lshlrev_b32_e32 v6, v5, v1
	v_lshlrev_b32_e32 v5, 23, v5
	v_lshrrev_b32_e32 v6, 4, v6
	s_delay_alu instid0(VALU_DEP_1) | instskip(SKIP_1) | instid1(VALU_DEP_2)
	v_sub_nc_u32_e32 v5, v6, v5
	v_ashrrev_i32_e32 v6, 8, v7
	v_add_nc_u32_e32 v5, 0x3c000000, v5
	s_delay_alu instid0(VALU_DEP_1) | instskip(NEXT) | instid1(VALU_DEP_1)
	v_and_or_b32 v5, 0x7f800000, v6, v5
	v_cndmask_b32_e32 v1, 0, v5, vcc_lo
	s_delay_alu instid0(VALU_DEP_1) | instskip(NEXT) | instid1(VALU_DEP_1)
	v_and_or_b32 v0, 0x80000000, v0, v1
	v_cvt_f64_f32_e32 v[0:1], v0
.LBB192_1143:
	s_mov_b32 s0, 0
.LBB192_1144:
	s_delay_alu instid0(SALU_CYCLE_1)
	s_and_not1_b32 vcc_lo, exec_lo, s0
	s_cbranch_vccnz .LBB192_1146
; %bb.1145:
	global_load_u8 v0, v[2:3], off
	s_waitcnt vmcnt(0)
	v_lshlrev_b32_e32 v1, 25, v0
	v_lshlrev_b16 v0, 8, v0
	s_delay_alu instid0(VALU_DEP_1) | instskip(SKIP_1) | instid1(VALU_DEP_2)
	v_and_or_b32 v6, 0x7f00, v0, 0.5
	v_bfe_i32 v0, v0, 0, 16
	v_add_f32_e32 v6, -0.5, v6
	v_lshrrev_b32_e32 v5, 4, v1
	v_cmp_gt_u32_e32 vcc_lo, 0x8000000, v1
	s_delay_alu instid0(VALU_DEP_2) | instskip(NEXT) | instid1(VALU_DEP_1)
	v_or_b32_e32 v5, 0x70000000, v5
	v_mul_f32_e32 v5, 0x7800000, v5
	s_delay_alu instid0(VALU_DEP_1) | instskip(NEXT) | instid1(VALU_DEP_1)
	v_cndmask_b32_e32 v1, v5, v6, vcc_lo
	v_and_or_b32 v0, 0x80000000, v0, v1
	s_delay_alu instid0(VALU_DEP_1)
	v_cvt_f64_f32_e32 v[0:1], v0
.LBB192_1146:
	s_mov_b32 s0, -1
	s_mov_b32 s11, 0
	s_cbranch_execnz .LBB192_1155
.LBB192_1147:
	v_cmp_lt_i16_e32 vcc_lo, 14, v12
	s_cbranch_vccz .LBB192_1150
; %bb.1148:
	v_cmp_eq_u16_e32 vcc_lo, 15, v12
	s_cbranch_vccz .LBB192_1151
; %bb.1149:
	global_load_u16 v0, v[2:3], off
	s_mov_b32 s8, 0
	s_mov_b32 s0, -1
	s_waitcnt vmcnt(0)
	v_lshlrev_b32_e32 v0, 16, v0
	s_delay_alu instid0(VALU_DEP_1)
	v_cvt_f64_f32_e32 v[0:1], v0
	s_branch .LBB192_1152
.LBB192_1150:
	s_mov_b32 s1, -1
                                        ; implicit-def: $vgpr0_vgpr1
	s_branch .LBB192_1153
.LBB192_1151:
	s_mov_b32 s8, -1
                                        ; implicit-def: $vgpr0_vgpr1
.LBB192_1152:
	s_mov_b32 s1, 0
.LBB192_1153:
	s_delay_alu instid0(SALU_CYCLE_1)
	s_and_b32 vcc_lo, exec_lo, s1
	s_cbranch_vccz .LBB192_1155
; %bb.1154:
	v_cmp_ne_u16_e64 s8, 11, v12
	s_mov_b32 s11, -1
                                        ; implicit-def: $vgpr0_vgpr1
.LBB192_1155:
	s_delay_alu instid0(VALU_DEP_1)
	s_and_b32 vcc_lo, exec_lo, s8
	s_mov_b32 s8, s10
	s_cbranch_vccnz .LBB192_1179
; %bb.1156:
	s_and_not1_b32 vcc_lo, exec_lo, s11
	s_cbranch_vccnz .LBB192_1158
.LBB192_1157:
	global_load_u8 v0, v[2:3], off
	s_mov_b32 s0, -1
	s_waitcnt vmcnt(0)
	v_cmp_ne_u16_e32 vcc_lo, 0, v0
	v_mov_b32_e32 v0, 0
	v_cndmask_b32_e64 v1, 0, 0x3ff00000, vcc_lo
.LBB192_1158:
.LBB192_1159:
	s_and_not1_b32 vcc_lo, exec_lo, s0
                                        ; implicit-def: $vgpr2_vgpr3
	s_cbranch_vccnz .LBB192_1995
.LBB192_1160:
	s_lshl_b32 s3, s3, 7
	v_cmp_gt_i16_e32 vcc_lo, 11, v12
	v_add_nc_u32_e32 v6, s3, v4
	s_delay_alu instid0(VALU_DEP_1) | instskip(SKIP_1) | instid1(VALU_DEP_1)
	v_ashrrev_i32_e32 v3, 31, v6
	v_add_co_u32 v2, s0, s6, v6
	v_add_co_ci_u32_e64 v3, s0, s7, v3, s0
	s_cbranch_vccnz .LBB192_1167
; %bb.1161:
	v_cmp_lt_i16_e32 vcc_lo, 25, v12
	s_mov_b32 s12, 0
	s_cbranch_vccz .LBB192_1173
; %bb.1162:
	v_cmp_lt_i16_e32 vcc_lo, 28, v12
	s_cbranch_vccz .LBB192_1175
; %bb.1163:
	v_cmp_lt_i16_e32 vcc_lo, 43, v12
	;; [unrolled: 3-line block ×3, first 2 shown]
	s_cbranch_vccz .LBB192_1183
; %bb.1165:
	v_cmp_eq_u16_e32 vcc_lo, 46, v12
	s_mov_b32 s1, 0
	s_cbranch_vccz .LBB192_1227
; %bb.1166:
	global_load_b32 v4, v[2:3], off
	s_mov_b32 s11, 0
	s_mov_b32 s0, -1
	s_waitcnt vmcnt(0)
	v_lshlrev_b32_e32 v4, 16, v4
	s_delay_alu instid0(VALU_DEP_1)
	v_cvt_f64_f32_e32 v[4:5], v4
	s_branch .LBB192_1229
.LBB192_1167:
	s_mov_b32 s0, 0
                                        ; implicit-def: $vgpr4_vgpr5
	s_cbranch_execz .LBB192_1294
; %bb.1168:
	v_cmp_gt_i16_e32 vcc_lo, 5, v12
	s_cbranch_vccnz .LBB192_1174
; %bb.1169:
	v_cmp_gt_i16_e32 vcc_lo, 8, v12
	s_cbranch_vccnz .LBB192_1176
	;; [unrolled: 3-line block ×3, first 2 shown]
; %bb.1171:
	v_cmp_lt_i16_e32 vcc_lo, 9, v12
	s_cbranch_vccz .LBB192_1184
; %bb.1172:
	global_load_b64 v[4:5], v[2:3], off
	s_mov_b32 s0, 0
	s_branch .LBB192_1185
.LBB192_1173:
	s_mov_b32 s0, 0
	s_mov_b32 s11, 0
                                        ; implicit-def: $vgpr4_vgpr5
	s_cbranch_execnz .LBB192_1260
	s_branch .LBB192_1290
.LBB192_1174:
                                        ; implicit-def: $vgpr4_vgpr5
	s_branch .LBB192_1203
.LBB192_1175:
	s_mov_b32 s1, -1
	s_mov_b32 s0, 0
	s_mov_b32 s11, 0
                                        ; implicit-def: $vgpr4_vgpr5
	s_branch .LBB192_1239
.LBB192_1176:
	s_mov_b32 s0, -1
                                        ; implicit-def: $vgpr4_vgpr5
	s_branch .LBB192_1191
.LBB192_1177:
	s_mov_b32 s1, -1
	s_mov_b32 s0, 0
	s_mov_b32 s11, 0
                                        ; implicit-def: $vgpr4_vgpr5
	s_branch .LBB192_1234
.LBB192_1178:
	s_mov_b32 s0, -1
                                        ; implicit-def: $vgpr4_vgpr5
	s_branch .LBB192_1188
.LBB192_1179:
	s_cbranch_execnz .LBB192_1223
; %bb.1180:
	s_or_b32 s8, s10, exec_lo
                                        ; implicit-def: $vgpr0_vgpr1
	s_cbranch_execz .LBB192_1157
	s_branch .LBB192_1158
.LBB192_1181:
	s_or_saveexec_b32 s14, s14
                                        ; implicit-def: $sgpr15
	s_delay_alu instid0(SALU_CYCLE_1)
	s_xor_b32 exec_lo, exec_lo, s14
	s_cbranch_execz .LBB192_943
.LBB192_1182:
	v_add_f32_e64 v3, 0x46000000, |v2|
	s_and_not1_b32 s13, s13, exec_lo
	s_mov_b32 s15, 0
	s_delay_alu instid0(VALU_DEP_1) | instskip(NEXT) | instid1(VALU_DEP_1)
	v_and_b32_e32 v3, 0xff, v3
	v_cmp_ne_u32_e32 vcc_lo, 0, v3
	s_and_b32 s16, vcc_lo, exec_lo
	s_delay_alu instid0(SALU_CYCLE_1)
	s_or_b32 s13, s13, s16
	s_or_b32 exec_lo, exec_lo, s14
	v_mov_b32_e32 v7, s15
	s_and_saveexec_b32 s14, s13
	s_cbranch_execnz .LBB192_944
	s_branch .LBB192_945
.LBB192_1183:
	s_mov_b32 s1, -1
	s_mov_b32 s0, 0
	s_mov_b32 s11, 0
	s_branch .LBB192_1228
.LBB192_1184:
	s_mov_b32 s0, -1
                                        ; implicit-def: $vgpr4_vgpr5
.LBB192_1185:
	s_delay_alu instid0(SALU_CYCLE_1)
	s_and_not1_b32 vcc_lo, exec_lo, s0
	s_cbranch_vccnz .LBB192_1187
; %bb.1186:
	global_load_b32 v4, v[2:3], off
	s_waitcnt vmcnt(0)
	v_cvt_f64_f32_e32 v[4:5], v4
.LBB192_1187:
	s_mov_b32 s0, 0
.LBB192_1188:
	s_delay_alu instid0(SALU_CYCLE_1)
	s_and_not1_b32 vcc_lo, exec_lo, s0
	s_cbranch_vccnz .LBB192_1190
; %bb.1189:
	global_load_b32 v4, v[2:3], off
	s_waitcnt vmcnt(0)
	v_cvt_f32_f16_e32 v4, v4
	s_delay_alu instid0(VALU_DEP_1)
	v_cvt_f64_f32_e32 v[4:5], v4
.LBB192_1190:
	s_mov_b32 s0, 0
.LBB192_1191:
	s_delay_alu instid0(SALU_CYCLE_1)
	s_and_not1_b32 vcc_lo, exec_lo, s0
	s_cbranch_vccnz .LBB192_1202
; %bb.1192:
	v_cmp_gt_i16_e32 vcc_lo, 6, v12
	s_cbranch_vccnz .LBB192_1195
; %bb.1193:
	v_cmp_lt_i16_e32 vcc_lo, 6, v12
	s_cbranch_vccz .LBB192_1196
; %bb.1194:
	global_load_b64 v[4:5], v[2:3], off
	s_mov_b32 s0, 0
	s_branch .LBB192_1197
.LBB192_1195:
	s_mov_b32 s0, -1
                                        ; implicit-def: $vgpr4_vgpr5
	s_branch .LBB192_1200
.LBB192_1196:
	s_mov_b32 s0, -1
                                        ; implicit-def: $vgpr4_vgpr5
.LBB192_1197:
	s_delay_alu instid0(SALU_CYCLE_1)
	s_and_not1_b32 vcc_lo, exec_lo, s0
	s_cbranch_vccnz .LBB192_1199
; %bb.1198:
	global_load_b32 v4, v[2:3], off
	s_waitcnt vmcnt(0)
	v_cvt_f64_f32_e32 v[4:5], v4
.LBB192_1199:
	s_mov_b32 s0, 0
.LBB192_1200:
	s_delay_alu instid0(SALU_CYCLE_1)
	s_and_not1_b32 vcc_lo, exec_lo, s0
	s_cbranch_vccnz .LBB192_1202
; %bb.1201:
	global_load_u16 v4, v[2:3], off
	s_waitcnt vmcnt(0)
	v_cvt_f32_f16_e32 v4, v4
	s_delay_alu instid0(VALU_DEP_1)
	v_cvt_f64_f32_e32 v[4:5], v4
.LBB192_1202:
	s_cbranch_execnz .LBB192_1222
.LBB192_1203:
	v_cmp_gt_i16_e32 vcc_lo, 2, v12
	s_cbranch_vccnz .LBB192_1207
; %bb.1204:
	v_cmp_gt_i16_e32 vcc_lo, 3, v12
	s_cbranch_vccnz .LBB192_1208
; %bb.1205:
	v_cmp_lt_i16_e32 vcc_lo, 3, v12
	s_cbranch_vccz .LBB192_1209
; %bb.1206:
	global_load_b64 v[4:5], v[2:3], off
	s_mov_b32 s0, 0
	s_waitcnt vmcnt(0)
	v_cvt_f64_i32_e32 v[7:8], v5
	v_cvt_f64_u32_e32 v[4:5], v4
	s_delay_alu instid0(VALU_DEP_2) | instskip(NEXT) | instid1(VALU_DEP_1)
	v_ldexp_f64 v[7:8], v[7:8], 32
	v_add_f64 v[4:5], v[7:8], v[4:5]
	s_branch .LBB192_1210
.LBB192_1207:
	s_mov_b32 s0, -1
                                        ; implicit-def: $vgpr4_vgpr5
	s_branch .LBB192_1216
.LBB192_1208:
	s_mov_b32 s0, -1
                                        ; implicit-def: $vgpr4_vgpr5
	s_branch .LBB192_1213
.LBB192_1209:
	s_mov_b32 s0, -1
                                        ; implicit-def: $vgpr4_vgpr5
.LBB192_1210:
	s_delay_alu instid0(SALU_CYCLE_1)
	s_and_not1_b32 vcc_lo, exec_lo, s0
	s_cbranch_vccnz .LBB192_1212
; %bb.1211:
	global_load_b32 v4, v[2:3], off
	s_waitcnt vmcnt(0)
	v_cvt_f64_i32_e32 v[4:5], v4
.LBB192_1212:
	s_mov_b32 s0, 0
.LBB192_1213:
	s_delay_alu instid0(SALU_CYCLE_1)
	s_and_not1_b32 vcc_lo, exec_lo, s0
	s_cbranch_vccnz .LBB192_1215
; %bb.1214:
	global_load_i16 v4, v[2:3], off
	s_waitcnt vmcnt(0)
	v_cvt_f64_i32_e32 v[4:5], v4
.LBB192_1215:
	s_mov_b32 s0, 0
.LBB192_1216:
	s_delay_alu instid0(SALU_CYCLE_1)
	s_and_not1_b32 vcc_lo, exec_lo, s0
	s_cbranch_vccnz .LBB192_1222
; %bb.1217:
	v_cmp_lt_i16_e32 vcc_lo, 0, v12
	s_mov_b32 s0, 0
	s_cbranch_vccz .LBB192_1219
; %bb.1218:
	global_load_i8 v4, v[2:3], off
	s_waitcnt vmcnt(0)
	v_cvt_f64_i32_e32 v[4:5], v4
	s_branch .LBB192_1220
.LBB192_1219:
	s_mov_b32 s0, -1
                                        ; implicit-def: $vgpr4_vgpr5
.LBB192_1220:
	s_delay_alu instid0(SALU_CYCLE_1)
	s_and_not1_b32 vcc_lo, exec_lo, s0
	s_cbranch_vccnz .LBB192_1222
; %bb.1221:
	global_load_u8 v2, v[2:3], off
	s_waitcnt vmcnt(0)
	v_cvt_f64_u32_e32 v[4:5], v2
.LBB192_1222:
	s_branch .LBB192_1295
.LBB192_1223:
	s_trap 2
	s_sendmsg_rtn_b32 s0, sendmsg(MSG_RTN_GET_DOORBELL)
	s_mov_b32 ttmp2, m0
	s_waitcnt lgkmcnt(0)
	s_and_b32 s0, s0, 0x3ff
	s_delay_alu instid0(SALU_CYCLE_1) | instskip(NEXT) | instid1(SALU_CYCLE_1)
	s_bitset1_b32 s0, 10
	s_mov_b32 m0, s0
	s_sendmsg sendmsg(MSG_INTERRUPT)
	s_mov_b32 m0, ttmp2
.LBB192_1224:                           ; =>This Inner Loop Header: Depth=1
	s_sethalt 5
	s_branch .LBB192_1224
.LBB192_1225:
	s_or_saveexec_b32 s15, s15
                                        ; implicit-def: $sgpr16
	s_delay_alu instid0(SALU_CYCLE_1)
	s_xor_b32 exec_lo, exec_lo, s15
	s_cbranch_execz .LBB192_955
.LBB192_1226:
	v_add_f32_e64 v3, 0x42800000, |v2|
	s_and_not1_b32 s14, s14, exec_lo
	s_mov_b32 s16, 0
	s_delay_alu instid0(VALU_DEP_1) | instskip(NEXT) | instid1(VALU_DEP_1)
	v_and_b32_e32 v3, 0xff, v3
	v_cmp_ne_u32_e32 vcc_lo, 0, v3
	s_and_b32 s17, vcc_lo, exec_lo
	s_delay_alu instid0(SALU_CYCLE_1)
	s_or_b32 s14, s14, s17
	s_or_b32 exec_lo, exec_lo, s15
	v_mov_b32_e32 v7, s16
	s_and_saveexec_b32 s15, s14
	s_cbranch_execnz .LBB192_956
	s_branch .LBB192_957
.LBB192_1227:
	s_mov_b32 s11, -1
	s_mov_b32 s0, 0
.LBB192_1228:
                                        ; implicit-def: $vgpr4_vgpr5
.LBB192_1229:
	s_and_b32 vcc_lo, exec_lo, s1
	s_cbranch_vccz .LBB192_1233
; %bb.1230:
	v_cmp_eq_u16_e32 vcc_lo, 44, v12
	s_cbranch_vccz .LBB192_1232
; %bb.1231:
	global_load_u8 v7, v[2:3], off
	s_mov_b32 s11, 0
	s_mov_b32 s0, -1
	s_waitcnt vmcnt(0)
	v_cmp_ne_u32_e32 vcc_lo, 0xff, v7
	v_lshlrev_b32_e32 v4, 23, v7
	s_delay_alu instid0(VALU_DEP_1) | instskip(NEXT) | instid1(VALU_DEP_1)
	v_cvt_f64_f32_e32 v[4:5], v4
	v_cndmask_b32_e32 v5, 0x7ff80000, v5, vcc_lo
	s_delay_alu instid0(VALU_DEP_2) | instskip(SKIP_1) | instid1(VALU_DEP_3)
	v_cndmask_b32_e32 v4, 0x20000000, v4, vcc_lo
	v_cmp_ne_u32_e32 vcc_lo, 0, v7
	v_cndmask_b32_e32 v5, 0x38000000, v5, vcc_lo
	s_delay_alu instid0(VALU_DEP_3)
	v_cndmask_b32_e32 v4, 0, v4, vcc_lo
	s_branch .LBB192_1233
.LBB192_1232:
	s_mov_b32 s11, -1
                                        ; implicit-def: $vgpr4_vgpr5
.LBB192_1233:
	s_mov_b32 s1, 0
.LBB192_1234:
	s_delay_alu instid0(SALU_CYCLE_1)
	s_and_b32 vcc_lo, exec_lo, s1
	s_cbranch_vccz .LBB192_1238
; %bb.1235:
	v_cmp_eq_u16_e32 vcc_lo, 29, v12
	s_cbranch_vccz .LBB192_1237
; %bb.1236:
	global_load_b64 v[4:5], v[2:3], off
	s_mov_b32 s11, 0
	s_mov_b32 s0, -1
	s_mov_b32 s1, 0
	s_waitcnt vmcnt(0)
	v_cvt_f64_u32_e32 v[7:8], v5
	v_cvt_f64_u32_e32 v[4:5], v4
	s_delay_alu instid0(VALU_DEP_2) | instskip(NEXT) | instid1(VALU_DEP_1)
	v_ldexp_f64 v[7:8], v[7:8], 32
	v_add_f64 v[4:5], v[7:8], v[4:5]
	s_branch .LBB192_1239
.LBB192_1237:
	s_mov_b32 s11, -1
                                        ; implicit-def: $vgpr4_vgpr5
.LBB192_1238:
	s_mov_b32 s1, 0
.LBB192_1239:
	s_delay_alu instid0(SALU_CYCLE_1)
	s_and_b32 vcc_lo, exec_lo, s1
	s_cbranch_vccz .LBB192_1259
; %bb.1240:
	v_cmp_gt_i16_e32 vcc_lo, 27, v12
	s_cbranch_vccnz .LBB192_1243
; %bb.1241:
	v_cmp_lt_i16_e32 vcc_lo, 27, v12
	s_cbranch_vccz .LBB192_1244
; %bb.1242:
	global_load_b32 v4, v[2:3], off
	s_mov_b32 s0, 0
	s_waitcnt vmcnt(0)
	v_cvt_f64_u32_e32 v[4:5], v4
	s_branch .LBB192_1245
.LBB192_1243:
	s_mov_b32 s0, -1
                                        ; implicit-def: $vgpr4_vgpr5
	s_branch .LBB192_1248
.LBB192_1244:
	s_mov_b32 s0, -1
                                        ; implicit-def: $vgpr4_vgpr5
.LBB192_1245:
	s_delay_alu instid0(SALU_CYCLE_1)
	s_and_not1_b32 vcc_lo, exec_lo, s0
	s_cbranch_vccnz .LBB192_1247
; %bb.1246:
	global_load_u16 v4, v[2:3], off
	s_waitcnt vmcnt(0)
	v_cvt_f64_u32_e32 v[4:5], v4
.LBB192_1247:
	s_mov_b32 s0, 0
.LBB192_1248:
	s_delay_alu instid0(SALU_CYCLE_1)
	s_and_not1_b32 vcc_lo, exec_lo, s0
	s_cbranch_vccnz .LBB192_1258
; %bb.1249:
	global_load_u8 v7, v[2:3], off
	s_mov_b32 s13, 0
	s_mov_b32 s14, exec_lo
                                        ; implicit-def: $sgpr0_sgpr1
	s_waitcnt vmcnt(0)
	v_cmpx_lt_i16_e32 0x7f, v7
	s_xor_b32 s14, exec_lo, s14
	s_cbranch_execz .LBB192_1253
; %bb.1250:
	s_mov_b32 s15, -1
	s_mov_b32 s13, exec_lo
                                        ; implicit-def: $sgpr0_sgpr1
	v_cmpx_eq_u16_e32 0x80, v7
; %bb.1251:
	s_mov_b32 s1, 0x7ff80000
	s_brev_b32 s0, 4
	s_xor_b32 s15, exec_lo, -1
; %bb.1252:
	s_or_b32 exec_lo, exec_lo, s13
	s_delay_alu instid0(SALU_CYCLE_1)
	s_and_b32 s13, s15, exec_lo
.LBB192_1253:
	s_or_saveexec_b32 s14, s14
	v_dual_mov_b32 v5, s1 :: v_dual_mov_b32 v4, s0
	s_xor_b32 exec_lo, exec_lo, s14
; %bb.1254:
	v_cmp_ne_u16_e32 vcc_lo, 0, v7
	v_mov_b32_e32 v4, 0
	v_mov_b32_e32 v5, 0
	s_and_not1_b32 s0, s13, exec_lo
	s_and_b32 s1, vcc_lo, exec_lo
	s_delay_alu instid0(SALU_CYCLE_1)
	s_or_b32 s13, s0, s1
; %bb.1255:
	s_or_b32 exec_lo, exec_lo, s14
	s_and_saveexec_b32 s0, s13
	s_cbranch_execz .LBB192_1257
; %bb.1256:
	v_and_b32_e32 v4, 0xffff, v7
	v_lshlrev_b32_e32 v7, 24, v7
	s_delay_alu instid0(VALU_DEP_2) | instskip(NEXT) | instid1(VALU_DEP_2)
	v_and_b32_e32 v5, 7, v4
	v_and_b32_e32 v7, 0x80000000, v7
	s_delay_alu instid0(VALU_DEP_2) | instskip(NEXT) | instid1(VALU_DEP_1)
	v_clz_i32_u32_e32 v8, v5
	v_min_u32_e32 v8, 32, v8
	s_delay_alu instid0(VALU_DEP_1) | instskip(SKIP_1) | instid1(VALU_DEP_2)
	v_subrev_nc_u32_e32 v9, 28, v8
	v_sub_nc_u32_e32 v8, 29, v8
	v_lshlrev_b32_e32 v9, v9, v4
	v_bfe_u32 v4, v4, 3, 4
	s_delay_alu instid0(VALU_DEP_1) | instskip(NEXT) | instid1(VALU_DEP_3)
	v_cmp_eq_u32_e32 vcc_lo, 0, v4
	v_dual_cndmask_b32 v4, v4, v8 :: v_dual_and_b32 v9, 7, v9
	s_delay_alu instid0(VALU_DEP_1) | instskip(NEXT) | instid1(VALU_DEP_2)
	v_cndmask_b32_e32 v5, v5, v9, vcc_lo
	v_lshl_add_u32 v4, v4, 23, 0x3b800000
	s_delay_alu instid0(VALU_DEP_2) | instskip(NEXT) | instid1(VALU_DEP_1)
	v_lshlrev_b32_e32 v5, 20, v5
	v_or3_b32 v4, v7, v4, v5
	s_delay_alu instid0(VALU_DEP_1)
	v_cvt_f64_f32_e32 v[4:5], v4
.LBB192_1257:
	s_or_b32 exec_lo, exec_lo, s0
.LBB192_1258:
	s_mov_b32 s0, -1
.LBB192_1259:
	s_branch .LBB192_1290
.LBB192_1260:
	v_cmp_lt_i16_e32 vcc_lo, 22, v12
	s_cbranch_vccz .LBB192_1272
; %bb.1261:
	v_cmp_gt_i16_e32 vcc_lo, 24, v12
	s_cbranch_vccnz .LBB192_1273
; %bb.1262:
	v_cmp_lt_i16_e32 vcc_lo, 24, v12
	s_cbranch_vccz .LBB192_1274
; %bb.1263:
	global_load_u8 v7, v[2:3], off
	s_mov_b32 s13, exec_lo
                                        ; implicit-def: $sgpr0_sgpr1
	s_waitcnt vmcnt(0)
	v_cmpx_lt_i16_e32 0x7f, v7
	s_xor_b32 s13, exec_lo, s13
	s_cbranch_execz .LBB192_1267
; %bb.1264:
	s_mov_b32 s14, -1
	s_mov_b32 s12, exec_lo
                                        ; implicit-def: $sgpr0_sgpr1
	v_cmpx_eq_u16_e32 0x80, v7
; %bb.1265:
	s_mov_b32 s1, 0x7ff80000
	s_brev_b32 s0, 4
	s_xor_b32 s14, exec_lo, -1
; %bb.1266:
	s_or_b32 exec_lo, exec_lo, s12
	s_delay_alu instid0(SALU_CYCLE_1)
	s_and_b32 s12, s14, exec_lo
.LBB192_1267:
	s_or_saveexec_b32 s13, s13
	v_dual_mov_b32 v5, s1 :: v_dual_mov_b32 v4, s0
	s_xor_b32 exec_lo, exec_lo, s13
; %bb.1268:
	v_cmp_ne_u16_e32 vcc_lo, 0, v7
	v_mov_b32_e32 v4, 0
	v_mov_b32_e32 v5, 0
	s_and_not1_b32 s0, s12, exec_lo
	s_and_b32 s1, vcc_lo, exec_lo
	s_delay_alu instid0(SALU_CYCLE_1)
	s_or_b32 s12, s0, s1
; %bb.1269:
	s_or_b32 exec_lo, exec_lo, s13
	s_and_saveexec_b32 s0, s12
	s_cbranch_execz .LBB192_1271
; %bb.1270:
	v_and_b32_e32 v4, 0xffff, v7
	v_lshlrev_b32_e32 v7, 24, v7
	s_delay_alu instid0(VALU_DEP_2) | instskip(NEXT) | instid1(VALU_DEP_2)
	v_and_b32_e32 v5, 3, v4
	v_and_b32_e32 v7, 0x80000000, v7
	s_delay_alu instid0(VALU_DEP_2) | instskip(NEXT) | instid1(VALU_DEP_1)
	v_clz_i32_u32_e32 v8, v5
	v_min_u32_e32 v8, 32, v8
	s_delay_alu instid0(VALU_DEP_1) | instskip(SKIP_1) | instid1(VALU_DEP_2)
	v_subrev_nc_u32_e32 v9, 29, v8
	v_sub_nc_u32_e32 v8, 30, v8
	v_lshlrev_b32_e32 v9, v9, v4
	v_bfe_u32 v4, v4, 2, 5
	s_delay_alu instid0(VALU_DEP_1) | instskip(NEXT) | instid1(VALU_DEP_3)
	v_cmp_eq_u32_e32 vcc_lo, 0, v4
	v_dual_cndmask_b32 v4, v4, v8 :: v_dual_and_b32 v9, 3, v9
	s_delay_alu instid0(VALU_DEP_1) | instskip(NEXT) | instid1(VALU_DEP_2)
	v_cndmask_b32_e32 v5, v5, v9, vcc_lo
	v_lshl_add_u32 v4, v4, 23, 0x37800000
	s_delay_alu instid0(VALU_DEP_2) | instskip(NEXT) | instid1(VALU_DEP_1)
	v_lshlrev_b32_e32 v5, 21, v5
	v_or3_b32 v4, v7, v4, v5
	s_delay_alu instid0(VALU_DEP_1)
	v_cvt_f64_f32_e32 v[4:5], v4
.LBB192_1271:
	s_or_b32 exec_lo, exec_lo, s0
	s_mov_b32 s0, 0
	s_branch .LBB192_1275
.LBB192_1272:
	s_mov_b32 s1, -1
                                        ; implicit-def: $vgpr4_vgpr5
	s_branch .LBB192_1281
.LBB192_1273:
	s_mov_b32 s0, -1
                                        ; implicit-def: $vgpr4_vgpr5
	s_branch .LBB192_1278
.LBB192_1274:
	s_mov_b32 s0, -1
                                        ; implicit-def: $vgpr4_vgpr5
.LBB192_1275:
	s_delay_alu instid0(SALU_CYCLE_1)
	s_and_b32 vcc_lo, exec_lo, s0
	s_cbranch_vccz .LBB192_1277
; %bb.1276:
	global_load_u8 v4, v[2:3], off
	s_waitcnt vmcnt(0)
	v_lshlrev_b32_e32 v4, 24, v4
	s_delay_alu instid0(VALU_DEP_1) | instskip(NEXT) | instid1(VALU_DEP_1)
	v_and_b32_e32 v5, 0x7f000000, v4
	v_clz_i32_u32_e32 v7, v5
	v_add_nc_u32_e32 v9, 0x1000000, v5
	v_cmp_ne_u32_e32 vcc_lo, 0, v5
	s_delay_alu instid0(VALU_DEP_3) | instskip(NEXT) | instid1(VALU_DEP_1)
	v_min_u32_e32 v7, 32, v7
	v_sub_nc_u32_e64 v7, v7, 4 clamp
	s_delay_alu instid0(VALU_DEP_1) | instskip(SKIP_1) | instid1(VALU_DEP_2)
	v_lshlrev_b32_e32 v8, v7, v5
	v_lshlrev_b32_e32 v7, 23, v7
	v_lshrrev_b32_e32 v8, 4, v8
	s_delay_alu instid0(VALU_DEP_1) | instskip(SKIP_1) | instid1(VALU_DEP_2)
	v_sub_nc_u32_e32 v7, v8, v7
	v_ashrrev_i32_e32 v8, 8, v9
	v_add_nc_u32_e32 v7, 0x3c000000, v7
	s_delay_alu instid0(VALU_DEP_1) | instskip(NEXT) | instid1(VALU_DEP_1)
	v_and_or_b32 v7, 0x7f800000, v8, v7
	v_cndmask_b32_e32 v5, 0, v7, vcc_lo
	s_delay_alu instid0(VALU_DEP_1) | instskip(NEXT) | instid1(VALU_DEP_1)
	v_and_or_b32 v4, 0x80000000, v4, v5
	v_cvt_f64_f32_e32 v[4:5], v4
.LBB192_1277:
	s_mov_b32 s0, 0
.LBB192_1278:
	s_delay_alu instid0(SALU_CYCLE_1)
	s_and_not1_b32 vcc_lo, exec_lo, s0
	s_cbranch_vccnz .LBB192_1280
; %bb.1279:
	global_load_u8 v4, v[2:3], off
	s_waitcnt vmcnt(0)
	v_lshlrev_b32_e32 v5, 25, v4
	v_lshlrev_b16 v4, 8, v4
	s_delay_alu instid0(VALU_DEP_2) | instskip(NEXT) | instid1(VALU_DEP_2)
	v_lshrrev_b32_e32 v7, 4, v5
	v_and_or_b32 v8, 0x7f00, v4, 0.5
	v_cmp_gt_u32_e32 vcc_lo, 0x8000000, v5
	v_bfe_i32 v4, v4, 0, 16
	s_delay_alu instid0(VALU_DEP_4) | instskip(NEXT) | instid1(VALU_DEP_1)
	v_or_b32_e32 v7, 0x70000000, v7
	v_dual_add_f32 v8, -0.5, v8 :: v_dual_mul_f32 v7, 0x7800000, v7
	s_delay_alu instid0(VALU_DEP_1) | instskip(NEXT) | instid1(VALU_DEP_1)
	v_cndmask_b32_e32 v5, v7, v8, vcc_lo
	v_and_or_b32 v4, 0x80000000, v4, v5
	s_delay_alu instid0(VALU_DEP_1)
	v_cvt_f64_f32_e32 v[4:5], v4
.LBB192_1280:
	s_mov_b32 s1, 0
	s_mov_b32 s0, -1
.LBB192_1281:
	s_and_not1_b32 vcc_lo, exec_lo, s1
	s_mov_b32 s12, 0
	s_cbranch_vccnz .LBB192_1290
; %bb.1282:
	v_cmp_lt_i16_e32 vcc_lo, 14, v12
	s_cbranch_vccz .LBB192_1285
; %bb.1283:
	v_cmp_eq_u16_e32 vcc_lo, 15, v12
	s_cbranch_vccz .LBB192_1286
; %bb.1284:
	global_load_u16 v4, v[2:3], off
	s_mov_b32 s11, 0
	s_mov_b32 s0, -1
	s_waitcnt vmcnt(0)
	v_lshlrev_b32_e32 v4, 16, v4
	s_delay_alu instid0(VALU_DEP_1)
	v_cvt_f64_f32_e32 v[4:5], v4
	s_branch .LBB192_1287
.LBB192_1285:
	s_mov_b32 s1, -1
                                        ; implicit-def: $vgpr4_vgpr5
	s_branch .LBB192_1288
.LBB192_1286:
	s_mov_b32 s11, -1
                                        ; implicit-def: $vgpr4_vgpr5
.LBB192_1287:
	s_mov_b32 s1, 0
.LBB192_1288:
	s_delay_alu instid0(SALU_CYCLE_1)
	s_and_b32 vcc_lo, exec_lo, s1
	s_cbranch_vccz .LBB192_1290
; %bb.1289:
	v_cmp_ne_u16_e64 s11, 11, v12
	s_mov_b32 s12, -1
                                        ; implicit-def: $vgpr4_vgpr5
.LBB192_1290:
	s_delay_alu instid0(VALU_DEP_1)
	s_and_b32 vcc_lo, exec_lo, s11
	s_cbranch_vccnz .LBB192_1314
; %bb.1291:
	s_and_not1_b32 vcc_lo, exec_lo, s12
	s_cbranch_vccnz .LBB192_1293
.LBB192_1292:
	global_load_u8 v4, v[2:3], off
	s_mov_b32 s0, -1
	s_waitcnt vmcnt(0)
	v_cmp_ne_u16_e32 vcc_lo, 0, v4
	v_mov_b32_e32 v4, 0
	v_cndmask_b32_e64 v5, 0, 0x3ff00000, vcc_lo
.LBB192_1293:
.LBB192_1294:
	s_and_not1_b32 vcc_lo, exec_lo, s0
	s_cbranch_vccnz .LBB192_1995
.LBB192_1295:
	v_add_nc_u32_e32 v8, s3, v6
	v_cmp_gt_i16_e32 vcc_lo, 11, v12
	s_delay_alu instid0(VALU_DEP_2) | instskip(SKIP_1) | instid1(VALU_DEP_1)
	v_ashrrev_i32_e32 v3, 31, v8
	v_add_co_u32 v2, s0, s6, v8
	v_add_co_ci_u32_e64 v3, s0, s7, v3, s0
	s_cbranch_vccnz .LBB192_1302
; %bb.1296:
	v_cmp_lt_i16_e32 vcc_lo, 25, v12
	s_mov_b32 s12, 0
	s_cbranch_vccz .LBB192_1308
; %bb.1297:
	v_cmp_lt_i16_e32 vcc_lo, 28, v12
	s_cbranch_vccz .LBB192_1310
; %bb.1298:
	v_cmp_lt_i16_e32 vcc_lo, 43, v12
	;; [unrolled: 3-line block ×3, first 2 shown]
	s_cbranch_vccz .LBB192_1316
; %bb.1300:
	v_cmp_eq_u16_e32 vcc_lo, 46, v12
	s_mov_b32 s1, 0
	s_cbranch_vccz .LBB192_1359
; %bb.1301:
	global_load_b32 v6, v[2:3], off
	s_mov_b32 s11, 0
	s_mov_b32 s0, -1
	s_waitcnt vmcnt(0)
	v_lshlrev_b32_e32 v6, 16, v6
	s_delay_alu instid0(VALU_DEP_1)
	v_cvt_f64_f32_e32 v[6:7], v6
	s_branch .LBB192_1361
.LBB192_1302:
	s_mov_b32 s0, 0
                                        ; implicit-def: $vgpr6_vgpr7
	s_cbranch_execz .LBB192_1427
; %bb.1303:
	v_cmp_gt_i16_e32 vcc_lo, 5, v12
	s_cbranch_vccnz .LBB192_1309
; %bb.1304:
	v_cmp_gt_i16_e32 vcc_lo, 8, v12
	s_cbranch_vccnz .LBB192_1311
	;; [unrolled: 3-line block ×3, first 2 shown]
; %bb.1306:
	v_cmp_lt_i16_e32 vcc_lo, 9, v12
	s_cbranch_vccz .LBB192_1317
; %bb.1307:
	global_load_b64 v[6:7], v[2:3], off
	s_mov_b32 s0, 0
	s_branch .LBB192_1318
.LBB192_1308:
	s_mov_b32 s1, -1
	s_mov_b32 s0, 0
	s_mov_b32 s11, 0
                                        ; implicit-def: $vgpr6_vgpr7
	s_branch .LBB192_1392
.LBB192_1309:
	s_mov_b32 s0, -1
                                        ; implicit-def: $vgpr6_vgpr7
	s_branch .LBB192_1336
.LBB192_1310:
	s_mov_b32 s1, -1
	s_mov_b32 s0, 0
	s_mov_b32 s11, 0
                                        ; implicit-def: $vgpr6_vgpr7
	s_branch .LBB192_1371
.LBB192_1311:
	s_mov_b32 s0, -1
                                        ; implicit-def: $vgpr6_vgpr7
	s_branch .LBB192_1324
.LBB192_1312:
	s_mov_b32 s1, -1
	s_mov_b32 s0, 0
	s_mov_b32 s11, 0
                                        ; implicit-def: $vgpr6_vgpr7
	s_branch .LBB192_1366
.LBB192_1313:
	s_mov_b32 s0, -1
                                        ; implicit-def: $vgpr6_vgpr7
	s_branch .LBB192_1321
.LBB192_1314:
	s_cbranch_execnz .LBB192_1357
; %bb.1315:
	s_or_b32 s8, s8, exec_lo
                                        ; implicit-def: $vgpr4_vgpr5
	s_cbranch_execz .LBB192_1292
	s_branch .LBB192_1293
.LBB192_1316:
	s_mov_b32 s1, -1
	s_mov_b32 s0, 0
	s_mov_b32 s11, 0
	s_branch .LBB192_1360
.LBB192_1317:
	s_mov_b32 s0, -1
                                        ; implicit-def: $vgpr6_vgpr7
.LBB192_1318:
	s_delay_alu instid0(SALU_CYCLE_1)
	s_and_not1_b32 vcc_lo, exec_lo, s0
	s_cbranch_vccnz .LBB192_1320
; %bb.1319:
	global_load_b32 v6, v[2:3], off
	s_waitcnt vmcnt(0)
	v_cvt_f64_f32_e32 v[6:7], v6
.LBB192_1320:
	s_mov_b32 s0, 0
.LBB192_1321:
	s_delay_alu instid0(SALU_CYCLE_1)
	s_and_not1_b32 vcc_lo, exec_lo, s0
	s_cbranch_vccnz .LBB192_1323
; %bb.1322:
	global_load_b32 v6, v[2:3], off
	s_waitcnt vmcnt(0)
	v_cvt_f32_f16_e32 v6, v6
	s_delay_alu instid0(VALU_DEP_1)
	v_cvt_f64_f32_e32 v[6:7], v6
.LBB192_1323:
	s_mov_b32 s0, 0
.LBB192_1324:
	s_delay_alu instid0(SALU_CYCLE_1)
	s_and_not1_b32 vcc_lo, exec_lo, s0
	s_cbranch_vccnz .LBB192_1335
; %bb.1325:
	v_cmp_gt_i16_e32 vcc_lo, 6, v12
	s_cbranch_vccnz .LBB192_1328
; %bb.1326:
	v_cmp_lt_i16_e32 vcc_lo, 6, v12
	s_cbranch_vccz .LBB192_1329
; %bb.1327:
	global_load_b64 v[6:7], v[2:3], off
	s_mov_b32 s0, 0
	s_branch .LBB192_1330
.LBB192_1328:
	s_mov_b32 s0, -1
                                        ; implicit-def: $vgpr6_vgpr7
	s_branch .LBB192_1333
.LBB192_1329:
	s_mov_b32 s0, -1
                                        ; implicit-def: $vgpr6_vgpr7
.LBB192_1330:
	s_delay_alu instid0(SALU_CYCLE_1)
	s_and_not1_b32 vcc_lo, exec_lo, s0
	s_cbranch_vccnz .LBB192_1332
; %bb.1331:
	global_load_b32 v6, v[2:3], off
	s_waitcnt vmcnt(0)
	v_cvt_f64_f32_e32 v[6:7], v6
.LBB192_1332:
	s_mov_b32 s0, 0
.LBB192_1333:
	s_delay_alu instid0(SALU_CYCLE_1)
	s_and_not1_b32 vcc_lo, exec_lo, s0
	s_cbranch_vccnz .LBB192_1335
; %bb.1334:
	global_load_u16 v6, v[2:3], off
	s_waitcnt vmcnt(0)
	v_cvt_f32_f16_e32 v6, v6
	s_delay_alu instid0(VALU_DEP_1)
	v_cvt_f64_f32_e32 v[6:7], v6
.LBB192_1335:
	s_mov_b32 s0, 0
.LBB192_1336:
	s_delay_alu instid0(SALU_CYCLE_1)
	s_and_not1_b32 vcc_lo, exec_lo, s0
	s_cbranch_vccnz .LBB192_1356
; %bb.1337:
	v_cmp_gt_i16_e32 vcc_lo, 2, v12
	s_cbranch_vccnz .LBB192_1341
; %bb.1338:
	v_cmp_gt_i16_e32 vcc_lo, 3, v12
	s_cbranch_vccnz .LBB192_1342
; %bb.1339:
	v_cmp_lt_i16_e32 vcc_lo, 3, v12
	s_cbranch_vccz .LBB192_1343
; %bb.1340:
	global_load_b64 v[6:7], v[2:3], off
	s_mov_b32 s0, 0
	s_waitcnt vmcnt(0)
	v_cvt_f64_i32_e32 v[13:14], v7
	v_cvt_f64_u32_e32 v[6:7], v6
	s_delay_alu instid0(VALU_DEP_2) | instskip(NEXT) | instid1(VALU_DEP_1)
	v_ldexp_f64 v[13:14], v[13:14], 32
	v_add_f64 v[6:7], v[13:14], v[6:7]
	s_branch .LBB192_1344
.LBB192_1341:
	s_mov_b32 s0, -1
                                        ; implicit-def: $vgpr6_vgpr7
	s_branch .LBB192_1350
.LBB192_1342:
	s_mov_b32 s0, -1
                                        ; implicit-def: $vgpr6_vgpr7
	s_branch .LBB192_1347
.LBB192_1343:
	s_mov_b32 s0, -1
                                        ; implicit-def: $vgpr6_vgpr7
.LBB192_1344:
	s_delay_alu instid0(SALU_CYCLE_1)
	s_and_not1_b32 vcc_lo, exec_lo, s0
	s_cbranch_vccnz .LBB192_1346
; %bb.1345:
	global_load_b32 v6, v[2:3], off
	s_waitcnt vmcnt(0)
	v_cvt_f64_i32_e32 v[6:7], v6
.LBB192_1346:
	s_mov_b32 s0, 0
.LBB192_1347:
	s_delay_alu instid0(SALU_CYCLE_1)
	s_and_not1_b32 vcc_lo, exec_lo, s0
	s_cbranch_vccnz .LBB192_1349
; %bb.1348:
	global_load_i16 v6, v[2:3], off
	s_waitcnt vmcnt(0)
	v_cvt_f64_i32_e32 v[6:7], v6
.LBB192_1349:
	s_mov_b32 s0, 0
.LBB192_1350:
	s_delay_alu instid0(SALU_CYCLE_1)
	s_and_not1_b32 vcc_lo, exec_lo, s0
	s_cbranch_vccnz .LBB192_1356
; %bb.1351:
	v_cmp_lt_i16_e32 vcc_lo, 0, v12
	s_mov_b32 s0, 0
	s_cbranch_vccz .LBB192_1353
; %bb.1352:
	global_load_i8 v6, v[2:3], off
	s_waitcnt vmcnt(0)
	v_cvt_f64_i32_e32 v[6:7], v6
	s_branch .LBB192_1354
.LBB192_1353:
	s_mov_b32 s0, -1
                                        ; implicit-def: $vgpr6_vgpr7
.LBB192_1354:
	s_delay_alu instid0(SALU_CYCLE_1)
	s_and_not1_b32 vcc_lo, exec_lo, s0
	s_cbranch_vccnz .LBB192_1356
; %bb.1355:
	global_load_u8 v2, v[2:3], off
	s_waitcnt vmcnt(0)
	v_cvt_f64_u32_e32 v[6:7], v2
.LBB192_1356:
	s_branch .LBB192_1428
.LBB192_1357:
	s_trap 2
	s_sendmsg_rtn_b32 s0, sendmsg(MSG_RTN_GET_DOORBELL)
	s_mov_b32 ttmp2, m0
	s_waitcnt lgkmcnt(0)
	s_and_b32 s0, s0, 0x3ff
	s_delay_alu instid0(SALU_CYCLE_1) | instskip(NEXT) | instid1(SALU_CYCLE_1)
	s_bitset1_b32 s0, 10
	s_mov_b32 m0, s0
	s_sendmsg sendmsg(MSG_INTERRUPT)
	s_mov_b32 m0, ttmp2
.LBB192_1358:                           ; =>This Inner Loop Header: Depth=1
	s_sethalt 5
	s_branch .LBB192_1358
.LBB192_1359:
	s_mov_b32 s11, -1
	s_mov_b32 s0, 0
.LBB192_1360:
                                        ; implicit-def: $vgpr6_vgpr7
.LBB192_1361:
	s_and_b32 vcc_lo, exec_lo, s1
	s_cbranch_vccz .LBB192_1365
; %bb.1362:
	v_cmp_eq_u16_e32 vcc_lo, 44, v12
	s_cbranch_vccz .LBB192_1364
; %bb.1363:
	global_load_u8 v9, v[2:3], off
	s_mov_b32 s11, 0
	s_mov_b32 s0, -1
	s_waitcnt vmcnt(0)
	v_cmp_ne_u32_e32 vcc_lo, 0xff, v9
	v_lshlrev_b32_e32 v6, 23, v9
	s_delay_alu instid0(VALU_DEP_1) | instskip(NEXT) | instid1(VALU_DEP_1)
	v_cvt_f64_f32_e32 v[6:7], v6
	v_cndmask_b32_e32 v7, 0x7ff80000, v7, vcc_lo
	s_delay_alu instid0(VALU_DEP_2) | instskip(SKIP_1) | instid1(VALU_DEP_3)
	v_cndmask_b32_e32 v6, 0x20000000, v6, vcc_lo
	v_cmp_ne_u32_e32 vcc_lo, 0, v9
	v_cndmask_b32_e32 v7, 0x38000000, v7, vcc_lo
	s_delay_alu instid0(VALU_DEP_3)
	v_cndmask_b32_e32 v6, 0, v6, vcc_lo
	s_branch .LBB192_1365
.LBB192_1364:
	s_mov_b32 s11, -1
                                        ; implicit-def: $vgpr6_vgpr7
.LBB192_1365:
	s_mov_b32 s1, 0
.LBB192_1366:
	s_delay_alu instid0(SALU_CYCLE_1)
	s_and_b32 vcc_lo, exec_lo, s1
	s_cbranch_vccz .LBB192_1370
; %bb.1367:
	v_cmp_eq_u16_e32 vcc_lo, 29, v12
	s_cbranch_vccz .LBB192_1369
; %bb.1368:
	global_load_b64 v[6:7], v[2:3], off
	s_mov_b32 s11, 0
	s_mov_b32 s0, -1
	s_mov_b32 s1, 0
	s_waitcnt vmcnt(0)
	v_cvt_f64_u32_e32 v[13:14], v7
	v_cvt_f64_u32_e32 v[6:7], v6
	s_delay_alu instid0(VALU_DEP_2) | instskip(NEXT) | instid1(VALU_DEP_1)
	v_ldexp_f64 v[13:14], v[13:14], 32
	v_add_f64 v[6:7], v[13:14], v[6:7]
	s_branch .LBB192_1371
.LBB192_1369:
	s_mov_b32 s11, -1
                                        ; implicit-def: $vgpr6_vgpr7
.LBB192_1370:
	s_mov_b32 s1, 0
.LBB192_1371:
	s_delay_alu instid0(SALU_CYCLE_1)
	s_and_b32 vcc_lo, exec_lo, s1
	s_cbranch_vccz .LBB192_1391
; %bb.1372:
	v_cmp_gt_i16_e32 vcc_lo, 27, v12
	s_cbranch_vccnz .LBB192_1375
; %bb.1373:
	v_cmp_lt_i16_e32 vcc_lo, 27, v12
	s_cbranch_vccz .LBB192_1376
; %bb.1374:
	global_load_b32 v6, v[2:3], off
	s_mov_b32 s0, 0
	s_waitcnt vmcnt(0)
	v_cvt_f64_u32_e32 v[6:7], v6
	s_branch .LBB192_1377
.LBB192_1375:
	s_mov_b32 s0, -1
                                        ; implicit-def: $vgpr6_vgpr7
	s_branch .LBB192_1380
.LBB192_1376:
	s_mov_b32 s0, -1
                                        ; implicit-def: $vgpr6_vgpr7
.LBB192_1377:
	s_delay_alu instid0(SALU_CYCLE_1)
	s_and_not1_b32 vcc_lo, exec_lo, s0
	s_cbranch_vccnz .LBB192_1379
; %bb.1378:
	global_load_u16 v6, v[2:3], off
	s_waitcnt vmcnt(0)
	v_cvt_f64_u32_e32 v[6:7], v6
.LBB192_1379:
	s_mov_b32 s0, 0
.LBB192_1380:
	s_delay_alu instid0(SALU_CYCLE_1)
	s_and_not1_b32 vcc_lo, exec_lo, s0
	s_cbranch_vccnz .LBB192_1390
; %bb.1381:
	global_load_u8 v9, v[2:3], off
	s_mov_b32 s13, 0
	s_mov_b32 s14, exec_lo
                                        ; implicit-def: $sgpr0_sgpr1
	s_waitcnt vmcnt(0)
	v_cmpx_lt_i16_e32 0x7f, v9
	s_xor_b32 s14, exec_lo, s14
	s_cbranch_execz .LBB192_1385
; %bb.1382:
	s_mov_b32 s15, -1
	s_mov_b32 s13, exec_lo
                                        ; implicit-def: $sgpr0_sgpr1
	v_cmpx_eq_u16_e32 0x80, v9
; %bb.1383:
	s_mov_b32 s1, 0x7ff80000
	s_brev_b32 s0, 4
	s_xor_b32 s15, exec_lo, -1
; %bb.1384:
	s_or_b32 exec_lo, exec_lo, s13
	s_delay_alu instid0(SALU_CYCLE_1)
	s_and_b32 s13, s15, exec_lo
.LBB192_1385:
	s_or_saveexec_b32 s14, s14
	v_dual_mov_b32 v7, s1 :: v_dual_mov_b32 v6, s0
	s_xor_b32 exec_lo, exec_lo, s14
; %bb.1386:
	v_cmp_ne_u16_e32 vcc_lo, 0, v9
	v_mov_b32_e32 v6, 0
	v_mov_b32_e32 v7, 0
	s_and_not1_b32 s0, s13, exec_lo
	s_and_b32 s1, vcc_lo, exec_lo
	s_delay_alu instid0(SALU_CYCLE_1)
	s_or_b32 s13, s0, s1
; %bb.1387:
	s_or_b32 exec_lo, exec_lo, s14
	s_and_saveexec_b32 s0, s13
	s_cbranch_execz .LBB192_1389
; %bb.1388:
	v_and_b32_e32 v6, 0xffff, v9
	v_lshlrev_b32_e32 v9, 24, v9
	s_delay_alu instid0(VALU_DEP_2) | instskip(NEXT) | instid1(VALU_DEP_2)
	v_and_b32_e32 v7, 7, v6
	v_and_b32_e32 v9, 0x80000000, v9
	s_delay_alu instid0(VALU_DEP_2) | instskip(NEXT) | instid1(VALU_DEP_1)
	v_clz_i32_u32_e32 v13, v7
	v_min_u32_e32 v13, 32, v13
	s_delay_alu instid0(VALU_DEP_1) | instskip(SKIP_1) | instid1(VALU_DEP_2)
	v_subrev_nc_u32_e32 v14, 28, v13
	v_sub_nc_u32_e32 v13, 29, v13
	v_lshlrev_b32_e32 v14, v14, v6
	v_bfe_u32 v6, v6, 3, 4
	s_delay_alu instid0(VALU_DEP_2) | instskip(NEXT) | instid1(VALU_DEP_2)
	v_and_b32_e32 v14, 7, v14
	v_cmp_eq_u32_e32 vcc_lo, 0, v6
	s_delay_alu instid0(VALU_DEP_2) | instskip(NEXT) | instid1(VALU_DEP_1)
	v_dual_cndmask_b32 v6, v6, v13 :: v_dual_cndmask_b32 v7, v7, v14
	v_lshl_add_u32 v6, v6, 23, 0x3b800000
	s_delay_alu instid0(VALU_DEP_2) | instskip(NEXT) | instid1(VALU_DEP_1)
	v_lshlrev_b32_e32 v7, 20, v7
	v_or3_b32 v6, v9, v6, v7
	s_delay_alu instid0(VALU_DEP_1)
	v_cvt_f64_f32_e32 v[6:7], v6
.LBB192_1389:
	s_or_b32 exec_lo, exec_lo, s0
.LBB192_1390:
	s_mov_b32 s0, -1
.LBB192_1391:
	s_mov_b32 s1, 0
.LBB192_1392:
	s_delay_alu instid0(SALU_CYCLE_1)
	s_and_b32 vcc_lo, exec_lo, s1
	s_cbranch_vccz .LBB192_1423
; %bb.1393:
	v_cmp_lt_i16_e32 vcc_lo, 22, v12
	s_cbranch_vccz .LBB192_1405
; %bb.1394:
	v_cmp_gt_i16_e32 vcc_lo, 24, v12
	s_cbranch_vccnz .LBB192_1406
; %bb.1395:
	v_cmp_lt_i16_e32 vcc_lo, 24, v12
	s_cbranch_vccz .LBB192_1407
; %bb.1396:
	global_load_u8 v9, v[2:3], off
	s_mov_b32 s13, exec_lo
                                        ; implicit-def: $sgpr0_sgpr1
	s_waitcnt vmcnt(0)
	v_cmpx_lt_i16_e32 0x7f, v9
	s_xor_b32 s13, exec_lo, s13
	s_cbranch_execz .LBB192_1400
; %bb.1397:
	s_mov_b32 s14, -1
	s_mov_b32 s12, exec_lo
                                        ; implicit-def: $sgpr0_sgpr1
	v_cmpx_eq_u16_e32 0x80, v9
; %bb.1398:
	s_mov_b32 s1, 0x7ff80000
	s_brev_b32 s0, 4
	s_xor_b32 s14, exec_lo, -1
; %bb.1399:
	s_or_b32 exec_lo, exec_lo, s12
	s_delay_alu instid0(SALU_CYCLE_1)
	s_and_b32 s12, s14, exec_lo
.LBB192_1400:
	s_or_saveexec_b32 s13, s13
	v_dual_mov_b32 v7, s1 :: v_dual_mov_b32 v6, s0
	s_xor_b32 exec_lo, exec_lo, s13
; %bb.1401:
	v_cmp_ne_u16_e32 vcc_lo, 0, v9
	v_mov_b32_e32 v6, 0
	v_mov_b32_e32 v7, 0
	s_and_not1_b32 s0, s12, exec_lo
	s_and_b32 s1, vcc_lo, exec_lo
	s_delay_alu instid0(SALU_CYCLE_1)
	s_or_b32 s12, s0, s1
; %bb.1402:
	s_or_b32 exec_lo, exec_lo, s13
	s_and_saveexec_b32 s0, s12
	s_cbranch_execz .LBB192_1404
; %bb.1403:
	v_and_b32_e32 v6, 0xffff, v9
	v_lshlrev_b32_e32 v9, 24, v9
	s_delay_alu instid0(VALU_DEP_2) | instskip(NEXT) | instid1(VALU_DEP_2)
	v_and_b32_e32 v7, 3, v6
	v_and_b32_e32 v9, 0x80000000, v9
	s_delay_alu instid0(VALU_DEP_2) | instskip(NEXT) | instid1(VALU_DEP_1)
	v_clz_i32_u32_e32 v13, v7
	v_min_u32_e32 v13, 32, v13
	s_delay_alu instid0(VALU_DEP_1) | instskip(SKIP_1) | instid1(VALU_DEP_2)
	v_subrev_nc_u32_e32 v14, 29, v13
	v_sub_nc_u32_e32 v13, 30, v13
	v_lshlrev_b32_e32 v14, v14, v6
	v_bfe_u32 v6, v6, 2, 5
	s_delay_alu instid0(VALU_DEP_2) | instskip(NEXT) | instid1(VALU_DEP_2)
	v_and_b32_e32 v14, 3, v14
	v_cmp_eq_u32_e32 vcc_lo, 0, v6
	s_delay_alu instid0(VALU_DEP_2) | instskip(NEXT) | instid1(VALU_DEP_1)
	v_dual_cndmask_b32 v6, v6, v13 :: v_dual_cndmask_b32 v7, v7, v14
	v_lshl_add_u32 v6, v6, 23, 0x37800000
	s_delay_alu instid0(VALU_DEP_2) | instskip(NEXT) | instid1(VALU_DEP_1)
	v_lshlrev_b32_e32 v7, 21, v7
	v_or3_b32 v6, v9, v6, v7
	s_delay_alu instid0(VALU_DEP_1)
	v_cvt_f64_f32_e32 v[6:7], v6
.LBB192_1404:
	s_or_b32 exec_lo, exec_lo, s0
	s_mov_b32 s0, 0
	s_branch .LBB192_1408
.LBB192_1405:
	s_mov_b32 s1, -1
                                        ; implicit-def: $vgpr6_vgpr7
	s_branch .LBB192_1414
.LBB192_1406:
	s_mov_b32 s0, -1
                                        ; implicit-def: $vgpr6_vgpr7
	s_branch .LBB192_1411
.LBB192_1407:
	s_mov_b32 s0, -1
                                        ; implicit-def: $vgpr6_vgpr7
.LBB192_1408:
	s_delay_alu instid0(SALU_CYCLE_1)
	s_and_b32 vcc_lo, exec_lo, s0
	s_cbranch_vccz .LBB192_1410
; %bb.1409:
	global_load_u8 v6, v[2:3], off
	s_waitcnt vmcnt(0)
	v_lshlrev_b32_e32 v6, 24, v6
	s_delay_alu instid0(VALU_DEP_1) | instskip(NEXT) | instid1(VALU_DEP_1)
	v_and_b32_e32 v7, 0x7f000000, v6
	v_clz_i32_u32_e32 v9, v7
	v_add_nc_u32_e32 v14, 0x1000000, v7
	v_cmp_ne_u32_e32 vcc_lo, 0, v7
	s_delay_alu instid0(VALU_DEP_3) | instskip(NEXT) | instid1(VALU_DEP_1)
	v_min_u32_e32 v9, 32, v9
	v_sub_nc_u32_e64 v9, v9, 4 clamp
	s_delay_alu instid0(VALU_DEP_1) | instskip(SKIP_1) | instid1(VALU_DEP_2)
	v_lshlrev_b32_e32 v13, v9, v7
	v_lshlrev_b32_e32 v9, 23, v9
	v_lshrrev_b32_e32 v13, 4, v13
	s_delay_alu instid0(VALU_DEP_1) | instskip(SKIP_1) | instid1(VALU_DEP_2)
	v_sub_nc_u32_e32 v9, v13, v9
	v_ashrrev_i32_e32 v13, 8, v14
	v_add_nc_u32_e32 v9, 0x3c000000, v9
	s_delay_alu instid0(VALU_DEP_1) | instskip(NEXT) | instid1(VALU_DEP_1)
	v_and_or_b32 v9, 0x7f800000, v13, v9
	v_cndmask_b32_e32 v7, 0, v9, vcc_lo
	s_delay_alu instid0(VALU_DEP_1) | instskip(NEXT) | instid1(VALU_DEP_1)
	v_and_or_b32 v6, 0x80000000, v6, v7
	v_cvt_f64_f32_e32 v[6:7], v6
.LBB192_1410:
	s_mov_b32 s0, 0
.LBB192_1411:
	s_delay_alu instid0(SALU_CYCLE_1)
	s_and_not1_b32 vcc_lo, exec_lo, s0
	s_cbranch_vccnz .LBB192_1413
; %bb.1412:
	global_load_u8 v6, v[2:3], off
	s_waitcnt vmcnt(0)
	v_lshlrev_b32_e32 v7, 25, v6
	v_lshlrev_b16 v6, 8, v6
	s_delay_alu instid0(VALU_DEP_2) | instskip(NEXT) | instid1(VALU_DEP_2)
	v_lshrrev_b32_e32 v9, 4, v7
	v_and_or_b32 v13, 0x7f00, v6, 0.5
	v_cmp_gt_u32_e32 vcc_lo, 0x8000000, v7
	v_bfe_i32 v6, v6, 0, 16
	s_delay_alu instid0(VALU_DEP_4) | instskip(NEXT) | instid1(VALU_DEP_4)
	v_or_b32_e32 v9, 0x70000000, v9
	v_add_f32_e32 v13, -0.5, v13
	s_delay_alu instid0(VALU_DEP_2) | instskip(NEXT) | instid1(VALU_DEP_1)
	v_mul_f32_e32 v9, 0x7800000, v9
	v_cndmask_b32_e32 v7, v9, v13, vcc_lo
	s_delay_alu instid0(VALU_DEP_1) | instskip(NEXT) | instid1(VALU_DEP_1)
	v_and_or_b32 v6, 0x80000000, v6, v7
	v_cvt_f64_f32_e32 v[6:7], v6
.LBB192_1413:
	s_mov_b32 s1, 0
	s_mov_b32 s0, -1
.LBB192_1414:
	s_and_not1_b32 vcc_lo, exec_lo, s1
	s_mov_b32 s12, 0
	s_cbranch_vccnz .LBB192_1423
; %bb.1415:
	v_cmp_lt_i16_e32 vcc_lo, 14, v12
	s_cbranch_vccz .LBB192_1418
; %bb.1416:
	v_cmp_eq_u16_e32 vcc_lo, 15, v12
	s_cbranch_vccz .LBB192_1419
; %bb.1417:
	global_load_u16 v6, v[2:3], off
	s_mov_b32 s11, 0
	s_mov_b32 s0, -1
	s_waitcnt vmcnt(0)
	v_lshlrev_b32_e32 v6, 16, v6
	s_delay_alu instid0(VALU_DEP_1)
	v_cvt_f64_f32_e32 v[6:7], v6
	s_branch .LBB192_1420
.LBB192_1418:
	s_mov_b32 s1, -1
                                        ; implicit-def: $vgpr6_vgpr7
	s_branch .LBB192_1421
.LBB192_1419:
	s_mov_b32 s11, -1
                                        ; implicit-def: $vgpr6_vgpr7
.LBB192_1420:
	s_mov_b32 s1, 0
.LBB192_1421:
	s_delay_alu instid0(SALU_CYCLE_1)
	s_and_b32 vcc_lo, exec_lo, s1
	s_cbranch_vccz .LBB192_1423
; %bb.1422:
	v_cmp_ne_u16_e64 s11, 11, v12
	s_mov_b32 s12, -1
                                        ; implicit-def: $vgpr6_vgpr7
.LBB192_1423:
	s_delay_alu instid0(VALU_DEP_1)
	s_and_b32 vcc_lo, exec_lo, s11
	s_cbranch_vccnz .LBB192_1439
; %bb.1424:
	s_and_not1_b32 vcc_lo, exec_lo, s12
	s_cbranch_vccnz .LBB192_1426
.LBB192_1425:
	global_load_u8 v6, v[2:3], off
	s_mov_b32 s0, -1
	s_waitcnt vmcnt(0)
	v_cmp_ne_u16_e32 vcc_lo, 0, v6
	v_mov_b32_e32 v6, 0
	v_cndmask_b32_e64 v7, 0, 0x3ff00000, vcc_lo
.LBB192_1426:
.LBB192_1427:
	s_and_not1_b32 vcc_lo, exec_lo, s0
	s_cbranch_vccnz .LBB192_1995
.LBB192_1428:
	v_add_nc_u32_e32 v2, s3, v8
	v_cmp_gt_i16_e32 vcc_lo, 11, v12
	s_delay_alu instid0(VALU_DEP_2) | instskip(SKIP_1) | instid1(VALU_DEP_1)
	v_ashrrev_i32_e32 v3, 31, v2
	v_add_co_u32 v2, s0, s6, v2
	v_add_co_ci_u32_e64 v3, s0, s7, v3, s0
	s_cbranch_vccnz .LBB192_1435
; %bb.1429:
	v_cmp_lt_i16_e32 vcc_lo, 25, v12
	s_mov_b32 s6, 0
	s_cbranch_vccz .LBB192_1436
; %bb.1430:
	v_cmp_lt_i16_e32 vcc_lo, 28, v12
	s_cbranch_vccz .LBB192_1437
; %bb.1431:
	v_cmp_lt_i16_e32 vcc_lo, 43, v12
	;; [unrolled: 3-line block ×3, first 2 shown]
	s_cbranch_vccz .LBB192_1441
; %bb.1433:
	v_cmp_eq_u16_e32 vcc_lo, 46, v12
	s_mov_b32 s1, 0
	s_cbranch_vccz .LBB192_1444
; %bb.1434:
	global_load_b32 v8, v[2:3], off
	s_mov_b32 s3, 0
	s_mov_b32 s0, -1
	s_waitcnt vmcnt(0)
	v_lshlrev_b32_e32 v8, 16, v8
	s_delay_alu instid0(VALU_DEP_1)
	v_cvt_f64_f32_e32 v[8:9], v8
	s_branch .LBB192_1446
.LBB192_1435:
	s_mov_b32 s1, -1
	s_mov_b32 s0, 0
                                        ; implicit-def: $vgpr8_vgpr9
	s_branch .LBB192_1512
.LBB192_1436:
	s_mov_b32 s1, -1
	s_mov_b32 s0, 0
	s_mov_b32 s3, 0
                                        ; implicit-def: $vgpr8_vgpr9
	s_branch .LBB192_1477
.LBB192_1437:
	s_mov_b32 s1, -1
	s_mov_b32 s0, 0
	s_mov_b32 s3, 0
                                        ; implicit-def: $vgpr8_vgpr9
	s_branch .LBB192_1456
.LBB192_1438:
	s_mov_b32 s1, -1
	s_mov_b32 s0, 0
	s_mov_b32 s3, 0
                                        ; implicit-def: $vgpr8_vgpr9
	s_branch .LBB192_1451
.LBB192_1439:
	s_cbranch_execnz .LBB192_1442
; %bb.1440:
	s_or_b32 s8, s8, exec_lo
                                        ; implicit-def: $vgpr6_vgpr7
	s_cbranch_execz .LBB192_1425
	s_branch .LBB192_1426
.LBB192_1441:
	s_mov_b32 s1, -1
	s_mov_b32 s0, 0
	s_mov_b32 s3, 0
	s_branch .LBB192_1445
.LBB192_1442:
	s_trap 2
	s_sendmsg_rtn_b32 s0, sendmsg(MSG_RTN_GET_DOORBELL)
	s_mov_b32 ttmp2, m0
	s_waitcnt lgkmcnt(0)
	s_and_b32 s0, s0, 0x3ff
	s_delay_alu instid0(SALU_CYCLE_1) | instskip(NEXT) | instid1(SALU_CYCLE_1)
	s_bitset1_b32 s0, 10
	s_mov_b32 m0, s0
	s_sendmsg sendmsg(MSG_INTERRUPT)
	s_mov_b32 m0, ttmp2
.LBB192_1443:                           ; =>This Inner Loop Header: Depth=1
	s_sethalt 5
	s_branch .LBB192_1443
.LBB192_1444:
	s_mov_b32 s3, -1
	s_mov_b32 s0, 0
.LBB192_1445:
                                        ; implicit-def: $vgpr8_vgpr9
.LBB192_1446:
	s_and_b32 vcc_lo, exec_lo, s1
	s_cbranch_vccz .LBB192_1450
; %bb.1447:
	v_cmp_eq_u16_e32 vcc_lo, 44, v12
	s_cbranch_vccz .LBB192_1449
; %bb.1448:
	global_load_u8 v13, v[2:3], off
	s_mov_b32 s3, 0
	s_mov_b32 s0, -1
	s_waitcnt vmcnt(0)
	v_lshlrev_b32_e32 v8, 23, v13
	v_cmp_ne_u32_e32 vcc_lo, 0xff, v13
	s_delay_alu instid0(VALU_DEP_2) | instskip(NEXT) | instid1(VALU_DEP_1)
	v_cvt_f64_f32_e32 v[8:9], v8
	v_cndmask_b32_e32 v8, 0x20000000, v8, vcc_lo
	s_delay_alu instid0(VALU_DEP_2) | instskip(SKIP_1) | instid1(VALU_DEP_2)
	v_cndmask_b32_e32 v9, 0x7ff80000, v9, vcc_lo
	v_cmp_ne_u32_e32 vcc_lo, 0, v13
	v_cndmask_b32_e32 v9, 0x38000000, v9, vcc_lo
	s_delay_alu instid0(VALU_DEP_4)
	v_cndmask_b32_e32 v8, 0, v8, vcc_lo
	s_branch .LBB192_1450
.LBB192_1449:
	s_mov_b32 s3, -1
                                        ; implicit-def: $vgpr8_vgpr9
.LBB192_1450:
	s_mov_b32 s1, 0
.LBB192_1451:
	s_delay_alu instid0(SALU_CYCLE_1)
	s_and_b32 vcc_lo, exec_lo, s1
	s_cbranch_vccz .LBB192_1455
; %bb.1452:
	v_cmp_eq_u16_e32 vcc_lo, 29, v12
	s_cbranch_vccz .LBB192_1454
; %bb.1453:
	global_load_b64 v[8:9], v[2:3], off
	s_mov_b32 s3, 0
	s_mov_b32 s0, -1
	s_mov_b32 s1, 0
	s_waitcnt vmcnt(0)
	v_cvt_f64_u32_e32 v[13:14], v9
	v_cvt_f64_u32_e32 v[8:9], v8
	s_delay_alu instid0(VALU_DEP_2) | instskip(NEXT) | instid1(VALU_DEP_1)
	v_ldexp_f64 v[13:14], v[13:14], 32
	v_add_f64 v[8:9], v[13:14], v[8:9]
	s_branch .LBB192_1456
.LBB192_1454:
	s_mov_b32 s3, -1
                                        ; implicit-def: $vgpr8_vgpr9
.LBB192_1455:
	s_mov_b32 s1, 0
.LBB192_1456:
	s_delay_alu instid0(SALU_CYCLE_1)
	s_and_b32 vcc_lo, exec_lo, s1
	s_cbranch_vccz .LBB192_1476
; %bb.1457:
	v_cmp_gt_i16_e32 vcc_lo, 27, v12
	s_cbranch_vccnz .LBB192_1460
; %bb.1458:
	v_cmp_lt_i16_e32 vcc_lo, 27, v12
	s_cbranch_vccz .LBB192_1461
; %bb.1459:
	global_load_b32 v8, v[2:3], off
	s_mov_b32 s0, 0
	s_waitcnt vmcnt(0)
	v_cvt_f64_u32_e32 v[8:9], v8
	s_branch .LBB192_1462
.LBB192_1460:
	s_mov_b32 s0, -1
                                        ; implicit-def: $vgpr8_vgpr9
	s_branch .LBB192_1465
.LBB192_1461:
	s_mov_b32 s0, -1
                                        ; implicit-def: $vgpr8_vgpr9
.LBB192_1462:
	s_delay_alu instid0(SALU_CYCLE_1)
	s_and_not1_b32 vcc_lo, exec_lo, s0
	s_cbranch_vccnz .LBB192_1464
; %bb.1463:
	global_load_u16 v8, v[2:3], off
	s_waitcnt vmcnt(0)
	v_cvt_f64_u32_e32 v[8:9], v8
.LBB192_1464:
	s_mov_b32 s0, 0
.LBB192_1465:
	s_delay_alu instid0(SALU_CYCLE_1)
	s_and_not1_b32 vcc_lo, exec_lo, s0
	s_cbranch_vccnz .LBB192_1475
; %bb.1466:
	global_load_u8 v13, v[2:3], off
	s_mov_b32 s7, 0
	s_mov_b32 s11, exec_lo
                                        ; implicit-def: $sgpr0_sgpr1
	s_waitcnt vmcnt(0)
	v_cmpx_lt_i16_e32 0x7f, v13
	s_xor_b32 s11, exec_lo, s11
	s_cbranch_execz .LBB192_1470
; %bb.1467:
	s_mov_b32 s12, -1
	s_mov_b32 s7, exec_lo
                                        ; implicit-def: $sgpr0_sgpr1
	v_cmpx_eq_u16_e32 0x80, v13
; %bb.1468:
	s_mov_b32 s1, 0x7ff80000
	s_brev_b32 s0, 4
	s_xor_b32 s12, exec_lo, -1
; %bb.1469:
	s_or_b32 exec_lo, exec_lo, s7
	s_delay_alu instid0(SALU_CYCLE_1)
	s_and_b32 s7, s12, exec_lo
.LBB192_1470:
	s_or_saveexec_b32 s11, s11
	v_dual_mov_b32 v9, s1 :: v_dual_mov_b32 v8, s0
	s_xor_b32 exec_lo, exec_lo, s11
; %bb.1471:
	v_cmp_ne_u16_e32 vcc_lo, 0, v13
	v_mov_b32_e32 v8, 0
	v_mov_b32_e32 v9, 0
	s_and_not1_b32 s0, s7, exec_lo
	s_and_b32 s1, vcc_lo, exec_lo
	s_delay_alu instid0(SALU_CYCLE_1)
	s_or_b32 s7, s0, s1
; %bb.1472:
	s_or_b32 exec_lo, exec_lo, s11
	s_and_saveexec_b32 s0, s7
	s_cbranch_execz .LBB192_1474
; %bb.1473:
	v_and_b32_e32 v8, 0xffff, v13
	v_lshlrev_b32_e32 v13, 24, v13
	s_delay_alu instid0(VALU_DEP_2) | instskip(NEXT) | instid1(VALU_DEP_2)
	v_and_b32_e32 v9, 7, v8
	v_and_b32_e32 v13, 0x80000000, v13
	s_delay_alu instid0(VALU_DEP_2) | instskip(NEXT) | instid1(VALU_DEP_1)
	v_clz_i32_u32_e32 v14, v9
	v_min_u32_e32 v14, 32, v14
	s_delay_alu instid0(VALU_DEP_1) | instskip(SKIP_1) | instid1(VALU_DEP_2)
	v_subrev_nc_u32_e32 v15, 28, v14
	v_sub_nc_u32_e32 v14, 29, v14
	v_lshlrev_b32_e32 v15, v15, v8
	v_bfe_u32 v8, v8, 3, 4
	s_delay_alu instid0(VALU_DEP_2) | instskip(NEXT) | instid1(VALU_DEP_2)
	v_and_b32_e32 v15, 7, v15
	v_cmp_eq_u32_e32 vcc_lo, 0, v8
	s_delay_alu instid0(VALU_DEP_2) | instskip(NEXT) | instid1(VALU_DEP_1)
	v_dual_cndmask_b32 v8, v8, v14 :: v_dual_cndmask_b32 v9, v9, v15
	v_lshl_add_u32 v8, v8, 23, 0x3b800000
	s_delay_alu instid0(VALU_DEP_2) | instskip(NEXT) | instid1(VALU_DEP_1)
	v_lshlrev_b32_e32 v9, 20, v9
	v_or3_b32 v8, v13, v8, v9
	s_delay_alu instid0(VALU_DEP_1)
	v_cvt_f64_f32_e32 v[8:9], v8
.LBB192_1474:
	s_or_b32 exec_lo, exec_lo, s0
.LBB192_1475:
	s_mov_b32 s0, -1
.LBB192_1476:
	s_mov_b32 s1, 0
.LBB192_1477:
	s_delay_alu instid0(SALU_CYCLE_1)
	s_and_b32 vcc_lo, exec_lo, s1
	s_cbranch_vccz .LBB192_1508
; %bb.1478:
	v_cmp_lt_i16_e32 vcc_lo, 22, v12
	s_cbranch_vccz .LBB192_1490
; %bb.1479:
	v_cmp_gt_i16_e32 vcc_lo, 24, v12
	s_cbranch_vccnz .LBB192_1491
; %bb.1480:
	v_cmp_lt_i16_e32 vcc_lo, 24, v12
	s_cbranch_vccz .LBB192_1492
; %bb.1481:
	global_load_u8 v13, v[2:3], off
	s_mov_b32 s7, exec_lo
                                        ; implicit-def: $sgpr0_sgpr1
	s_waitcnt vmcnt(0)
	v_cmpx_lt_i16_e32 0x7f, v13
	s_xor_b32 s7, exec_lo, s7
	s_cbranch_execz .LBB192_1485
; %bb.1482:
	s_mov_b32 s11, -1
	s_mov_b32 s6, exec_lo
                                        ; implicit-def: $sgpr0_sgpr1
	v_cmpx_eq_u16_e32 0x80, v13
; %bb.1483:
	s_mov_b32 s1, 0x7ff80000
	s_brev_b32 s0, 4
	s_xor_b32 s11, exec_lo, -1
; %bb.1484:
	s_or_b32 exec_lo, exec_lo, s6
	s_delay_alu instid0(SALU_CYCLE_1)
	s_and_b32 s6, s11, exec_lo
.LBB192_1485:
	s_or_saveexec_b32 s7, s7
	v_dual_mov_b32 v9, s1 :: v_dual_mov_b32 v8, s0
	s_xor_b32 exec_lo, exec_lo, s7
; %bb.1486:
	v_cmp_ne_u16_e32 vcc_lo, 0, v13
	v_mov_b32_e32 v8, 0
	v_mov_b32_e32 v9, 0
	s_and_not1_b32 s0, s6, exec_lo
	s_and_b32 s1, vcc_lo, exec_lo
	s_delay_alu instid0(SALU_CYCLE_1)
	s_or_b32 s6, s0, s1
; %bb.1487:
	s_or_b32 exec_lo, exec_lo, s7
	s_and_saveexec_b32 s0, s6
	s_cbranch_execz .LBB192_1489
; %bb.1488:
	v_and_b32_e32 v8, 0xffff, v13
	v_lshlrev_b32_e32 v13, 24, v13
	s_delay_alu instid0(VALU_DEP_2) | instskip(NEXT) | instid1(VALU_DEP_2)
	v_and_b32_e32 v9, 3, v8
	v_and_b32_e32 v13, 0x80000000, v13
	s_delay_alu instid0(VALU_DEP_2) | instskip(NEXT) | instid1(VALU_DEP_1)
	v_clz_i32_u32_e32 v14, v9
	v_min_u32_e32 v14, 32, v14
	s_delay_alu instid0(VALU_DEP_1) | instskip(SKIP_1) | instid1(VALU_DEP_2)
	v_subrev_nc_u32_e32 v15, 29, v14
	v_sub_nc_u32_e32 v14, 30, v14
	v_lshlrev_b32_e32 v15, v15, v8
	v_bfe_u32 v8, v8, 2, 5
	s_delay_alu instid0(VALU_DEP_2) | instskip(NEXT) | instid1(VALU_DEP_2)
	v_and_b32_e32 v15, 3, v15
	v_cmp_eq_u32_e32 vcc_lo, 0, v8
	s_delay_alu instid0(VALU_DEP_2) | instskip(NEXT) | instid1(VALU_DEP_1)
	v_dual_cndmask_b32 v8, v8, v14 :: v_dual_cndmask_b32 v9, v9, v15
	v_lshl_add_u32 v8, v8, 23, 0x37800000
	s_delay_alu instid0(VALU_DEP_2) | instskip(NEXT) | instid1(VALU_DEP_1)
	v_lshlrev_b32_e32 v9, 21, v9
	v_or3_b32 v8, v13, v8, v9
	s_delay_alu instid0(VALU_DEP_1)
	v_cvt_f64_f32_e32 v[8:9], v8
.LBB192_1489:
	s_or_b32 exec_lo, exec_lo, s0
	s_mov_b32 s0, 0
	s_branch .LBB192_1493
.LBB192_1490:
	s_mov_b32 s1, -1
                                        ; implicit-def: $vgpr8_vgpr9
	s_branch .LBB192_1499
.LBB192_1491:
	s_mov_b32 s0, -1
                                        ; implicit-def: $vgpr8_vgpr9
	s_branch .LBB192_1496
.LBB192_1492:
	s_mov_b32 s0, -1
                                        ; implicit-def: $vgpr8_vgpr9
.LBB192_1493:
	s_delay_alu instid0(SALU_CYCLE_1)
	s_and_b32 vcc_lo, exec_lo, s0
	s_cbranch_vccz .LBB192_1495
; %bb.1494:
	global_load_u8 v8, v[2:3], off
	s_waitcnt vmcnt(0)
	v_lshlrev_b32_e32 v8, 24, v8
	s_delay_alu instid0(VALU_DEP_1) | instskip(NEXT) | instid1(VALU_DEP_1)
	v_and_b32_e32 v9, 0x7f000000, v8
	v_clz_i32_u32_e32 v13, v9
	v_add_nc_u32_e32 v15, 0x1000000, v9
	v_cmp_ne_u32_e32 vcc_lo, 0, v9
	s_delay_alu instid0(VALU_DEP_3) | instskip(NEXT) | instid1(VALU_DEP_1)
	v_min_u32_e32 v13, 32, v13
	v_sub_nc_u32_e64 v13, v13, 4 clamp
	s_delay_alu instid0(VALU_DEP_1) | instskip(SKIP_1) | instid1(VALU_DEP_2)
	v_lshlrev_b32_e32 v14, v13, v9
	v_lshlrev_b32_e32 v13, 23, v13
	v_lshrrev_b32_e32 v14, 4, v14
	s_delay_alu instid0(VALU_DEP_1) | instskip(SKIP_1) | instid1(VALU_DEP_2)
	v_sub_nc_u32_e32 v13, v14, v13
	v_ashrrev_i32_e32 v14, 8, v15
	v_add_nc_u32_e32 v13, 0x3c000000, v13
	s_delay_alu instid0(VALU_DEP_1) | instskip(NEXT) | instid1(VALU_DEP_1)
	v_and_or_b32 v13, 0x7f800000, v14, v13
	v_cndmask_b32_e32 v9, 0, v13, vcc_lo
	s_delay_alu instid0(VALU_DEP_1) | instskip(NEXT) | instid1(VALU_DEP_1)
	v_and_or_b32 v8, 0x80000000, v8, v9
	v_cvt_f64_f32_e32 v[8:9], v8
.LBB192_1495:
	s_mov_b32 s0, 0
.LBB192_1496:
	s_delay_alu instid0(SALU_CYCLE_1)
	s_and_not1_b32 vcc_lo, exec_lo, s0
	s_cbranch_vccnz .LBB192_1498
; %bb.1497:
	global_load_u8 v8, v[2:3], off
	s_waitcnt vmcnt(0)
	v_lshlrev_b32_e32 v9, 25, v8
	v_lshlrev_b16 v8, 8, v8
	s_delay_alu instid0(VALU_DEP_1) | instskip(SKIP_1) | instid1(VALU_DEP_2)
	v_and_or_b32 v14, 0x7f00, v8, 0.5
	v_bfe_i32 v8, v8, 0, 16
	v_add_f32_e32 v14, -0.5, v14
	v_lshrrev_b32_e32 v13, 4, v9
	v_cmp_gt_u32_e32 vcc_lo, 0x8000000, v9
	s_delay_alu instid0(VALU_DEP_2) | instskip(NEXT) | instid1(VALU_DEP_1)
	v_or_b32_e32 v13, 0x70000000, v13
	v_mul_f32_e32 v13, 0x7800000, v13
	s_delay_alu instid0(VALU_DEP_1) | instskip(NEXT) | instid1(VALU_DEP_1)
	v_cndmask_b32_e32 v9, v13, v14, vcc_lo
	v_and_or_b32 v8, 0x80000000, v8, v9
	s_delay_alu instid0(VALU_DEP_1)
	v_cvt_f64_f32_e32 v[8:9], v8
.LBB192_1498:
	s_mov_b32 s1, 0
	s_mov_b32 s0, -1
.LBB192_1499:
	s_and_not1_b32 vcc_lo, exec_lo, s1
	s_mov_b32 s6, 0
	s_cbranch_vccnz .LBB192_1508
; %bb.1500:
	v_cmp_lt_i16_e32 vcc_lo, 14, v12
	s_cbranch_vccz .LBB192_1503
; %bb.1501:
	v_cmp_eq_u16_e32 vcc_lo, 15, v12
	s_cbranch_vccz .LBB192_1504
; %bb.1502:
	global_load_u16 v8, v[2:3], off
	s_mov_b32 s3, 0
	s_mov_b32 s0, -1
	s_waitcnt vmcnt(0)
	v_lshlrev_b32_e32 v8, 16, v8
	s_delay_alu instid0(VALU_DEP_1)
	v_cvt_f64_f32_e32 v[8:9], v8
	s_branch .LBB192_1505
.LBB192_1503:
	s_mov_b32 s1, -1
                                        ; implicit-def: $vgpr8_vgpr9
	s_branch .LBB192_1506
.LBB192_1504:
	s_mov_b32 s3, -1
                                        ; implicit-def: $vgpr8_vgpr9
.LBB192_1505:
	s_mov_b32 s1, 0
.LBB192_1506:
	s_delay_alu instid0(SALU_CYCLE_1)
	s_and_b32 vcc_lo, exec_lo, s1
	s_cbranch_vccz .LBB192_1508
; %bb.1507:
	v_cmp_ne_u16_e64 s3, 11, v12
	s_mov_b32 s6, -1
                                        ; implicit-def: $vgpr8_vgpr9
.LBB192_1508:
	s_delay_alu instid0(VALU_DEP_1)
	s_and_b32 vcc_lo, exec_lo, s3
	s_cbranch_vccnz .LBB192_2041
; %bb.1509:
	s_and_not1_b32 vcc_lo, exec_lo, s6
	s_cbranch_vccnz .LBB192_1511
.LBB192_1510:
	global_load_u8 v8, v[2:3], off
	s_mov_b32 s0, -1
	s_waitcnt vmcnt(0)
	v_cmp_ne_u16_e32 vcc_lo, 0, v8
	v_mov_b32_e32 v8, 0
	v_cndmask_b32_e64 v9, 0, 0x3ff00000, vcc_lo
.LBB192_1511:
	s_mov_b32 s1, 0
.LBB192_1512:
	s_delay_alu instid0(SALU_CYCLE_1)
	s_and_b32 vcc_lo, exec_lo, s1
	s_cbranch_vccz .LBB192_1561
; %bb.1513:
	v_cmp_gt_i16_e32 vcc_lo, 5, v12
	s_cbranch_vccnz .LBB192_1518
; %bb.1514:
	v_cmp_gt_i16_e32 vcc_lo, 8, v12
	s_cbranch_vccnz .LBB192_1519
	;; [unrolled: 3-line block ×3, first 2 shown]
; %bb.1516:
	v_cmp_lt_i16_e32 vcc_lo, 9, v12
	s_cbranch_vccz .LBB192_1521
; %bb.1517:
	global_load_b64 v[8:9], v[2:3], off
	s_mov_b32 s0, 0
	s_branch .LBB192_1522
.LBB192_1518:
	s_mov_b32 s0, -1
                                        ; implicit-def: $vgpr8_vgpr9
	s_branch .LBB192_1540
.LBB192_1519:
	s_mov_b32 s0, -1
                                        ; implicit-def: $vgpr8_vgpr9
	s_branch .LBB192_1528
.LBB192_1520:
	s_mov_b32 s0, -1
                                        ; implicit-def: $vgpr8_vgpr9
	s_branch .LBB192_1525
.LBB192_1521:
	s_mov_b32 s0, -1
                                        ; implicit-def: $vgpr8_vgpr9
.LBB192_1522:
	s_delay_alu instid0(SALU_CYCLE_1)
	s_and_not1_b32 vcc_lo, exec_lo, s0
	s_cbranch_vccnz .LBB192_1524
; %bb.1523:
	global_load_b32 v8, v[2:3], off
	s_waitcnt vmcnt(0)
	v_cvt_f64_f32_e32 v[8:9], v8
.LBB192_1524:
	s_mov_b32 s0, 0
.LBB192_1525:
	s_delay_alu instid0(SALU_CYCLE_1)
	s_and_not1_b32 vcc_lo, exec_lo, s0
	s_cbranch_vccnz .LBB192_1527
; %bb.1526:
	global_load_b32 v8, v[2:3], off
	s_waitcnt vmcnt(0)
	v_cvt_f32_f16_e32 v8, v8
	s_delay_alu instid0(VALU_DEP_1)
	v_cvt_f64_f32_e32 v[8:9], v8
.LBB192_1527:
	s_mov_b32 s0, 0
.LBB192_1528:
	s_delay_alu instid0(SALU_CYCLE_1)
	s_and_not1_b32 vcc_lo, exec_lo, s0
	s_cbranch_vccnz .LBB192_1539
; %bb.1529:
	v_cmp_gt_i16_e32 vcc_lo, 6, v12
	s_cbranch_vccnz .LBB192_1532
; %bb.1530:
	v_cmp_lt_i16_e32 vcc_lo, 6, v12
	s_cbranch_vccz .LBB192_1533
; %bb.1531:
	global_load_b64 v[8:9], v[2:3], off
	s_mov_b32 s0, 0
	s_branch .LBB192_1534
.LBB192_1532:
	s_mov_b32 s0, -1
                                        ; implicit-def: $vgpr8_vgpr9
	s_branch .LBB192_1537
.LBB192_1533:
	s_mov_b32 s0, -1
                                        ; implicit-def: $vgpr8_vgpr9
.LBB192_1534:
	s_delay_alu instid0(SALU_CYCLE_1)
	s_and_not1_b32 vcc_lo, exec_lo, s0
	s_cbranch_vccnz .LBB192_1536
; %bb.1535:
	global_load_b32 v8, v[2:3], off
	s_waitcnt vmcnt(0)
	v_cvt_f64_f32_e32 v[8:9], v8
.LBB192_1536:
	s_mov_b32 s0, 0
.LBB192_1537:
	s_delay_alu instid0(SALU_CYCLE_1)
	s_and_not1_b32 vcc_lo, exec_lo, s0
	s_cbranch_vccnz .LBB192_1539
; %bb.1538:
	global_load_u16 v8, v[2:3], off
	s_waitcnt vmcnt(0)
	v_cvt_f32_f16_e32 v8, v8
	s_delay_alu instid0(VALU_DEP_1)
	v_cvt_f64_f32_e32 v[8:9], v8
.LBB192_1539:
	s_mov_b32 s0, 0
.LBB192_1540:
	s_delay_alu instid0(SALU_CYCLE_1)
	s_and_not1_b32 vcc_lo, exec_lo, s0
	s_cbranch_vccnz .LBB192_1560
; %bb.1541:
	v_cmp_gt_i16_e32 vcc_lo, 2, v12
	s_cbranch_vccnz .LBB192_1545
; %bb.1542:
	v_cmp_gt_i16_e32 vcc_lo, 3, v12
	s_cbranch_vccnz .LBB192_1546
; %bb.1543:
	v_cmp_lt_i16_e32 vcc_lo, 3, v12
	s_cbranch_vccz .LBB192_1547
; %bb.1544:
	global_load_b64 v[8:9], v[2:3], off
	s_mov_b32 s0, 0
	s_waitcnt vmcnt(0)
	v_cvt_f64_i32_e32 v[13:14], v9
	v_cvt_f64_u32_e32 v[8:9], v8
	s_delay_alu instid0(VALU_DEP_2) | instskip(NEXT) | instid1(VALU_DEP_1)
	v_ldexp_f64 v[13:14], v[13:14], 32
	v_add_f64 v[8:9], v[13:14], v[8:9]
	s_branch .LBB192_1548
.LBB192_1545:
	s_mov_b32 s0, -1
                                        ; implicit-def: $vgpr8_vgpr9
	s_branch .LBB192_1554
.LBB192_1546:
	s_mov_b32 s0, -1
                                        ; implicit-def: $vgpr8_vgpr9
	s_branch .LBB192_1551
.LBB192_1547:
	s_mov_b32 s0, -1
                                        ; implicit-def: $vgpr8_vgpr9
.LBB192_1548:
	s_delay_alu instid0(SALU_CYCLE_1)
	s_and_not1_b32 vcc_lo, exec_lo, s0
	s_cbranch_vccnz .LBB192_1550
; %bb.1549:
	global_load_b32 v8, v[2:3], off
	s_waitcnt vmcnt(0)
	v_cvt_f64_i32_e32 v[8:9], v8
.LBB192_1550:
	s_mov_b32 s0, 0
.LBB192_1551:
	s_delay_alu instid0(SALU_CYCLE_1)
	s_and_not1_b32 vcc_lo, exec_lo, s0
	s_cbranch_vccnz .LBB192_1553
; %bb.1552:
	global_load_i16 v8, v[2:3], off
	s_waitcnt vmcnt(0)
	v_cvt_f64_i32_e32 v[8:9], v8
.LBB192_1553:
	s_mov_b32 s0, 0
.LBB192_1554:
	s_delay_alu instid0(SALU_CYCLE_1)
	s_and_not1_b32 vcc_lo, exec_lo, s0
	s_cbranch_vccnz .LBB192_1560
; %bb.1555:
	v_cmp_lt_i16_e32 vcc_lo, 0, v12
	s_mov_b32 s0, 0
	s_cbranch_vccz .LBB192_1557
; %bb.1556:
	global_load_i8 v8, v[2:3], off
	s_waitcnt vmcnt(0)
	v_cvt_f64_i32_e32 v[8:9], v8
	s_branch .LBB192_1558
.LBB192_1557:
	s_mov_b32 s0, -1
                                        ; implicit-def: $vgpr8_vgpr9
.LBB192_1558:
	s_delay_alu instid0(SALU_CYCLE_1)
	s_and_not1_b32 vcc_lo, exec_lo, s0
	s_cbranch_vccnz .LBB192_1560
; %bb.1559:
	global_load_u8 v2, v[2:3], off
	s_waitcnt vmcnt(0)
	v_cvt_f64_u32_e32 v[8:9], v2
.LBB192_1560:
	s_mov_b32 s0, -1
.LBB192_1561:
	s_delay_alu instid0(SALU_CYCLE_1)
	s_and_not1_b32 vcc_lo, exec_lo, s0
	s_cbranch_vccnz .LBB192_1995
; %bb.1562:
	s_waitcnt vmcnt(0)
	v_rsq_f64_e32 v[2:3], v[0:1]
	s_waitcnt_depctr 0xfff
	v_mul_f64 v[0:1], v[2:3], -v[0:1]
	v_cmp_class_f64_e64 vcc_lo, v[2:3], 0x180
	s_delay_alu instid0(VALU_DEP_2) | instskip(NEXT) | instid1(VALU_DEP_1)
	v_fma_f64 v[0:1], v[0:1], v[2:3], 1.0
	v_mul_f64 v[12:13], v[2:3], v[0:1]
	v_fma_f64 v[0:1], 0x3fd80000, v[0:1], 0.5
	s_delay_alu instid0(VALU_DEP_1) | instskip(SKIP_2) | instid1(VALU_DEP_2)
	v_fma_f64 v[0:1], v[12:13], v[0:1], v[2:3]
	v_mul_lo_u32 v12, s2, v11
	v_and_b32_e32 v13, 0xff, v10
	v_ashrrev_i32_e32 v11, 31, v12
	v_add_co_u32 v10, s1, s4, v12
	s_delay_alu instid0(VALU_DEP_1) | instskip(SKIP_3) | instid1(VALU_DEP_2)
	v_add_co_ci_u32_e64 v11, s1, s5, v11, s1
	v_cndmask_b32_e32 v0, v2, v0, vcc_lo
	v_cmp_gt_i16_e64 s0, 11, v13
	v_cndmask_b32_e32 v1, v3, v1, vcc_lo
	s_and_b32 vcc_lo, exec_lo, s0
	s_cbranch_vccnz .LBB192_1640
; %bb.1563:
	v_cmp_lt_i16_e32 vcc_lo, 25, v13
	s_mov_b32 s6, -1
	s_mov_b32 s1, 0
	s_mov_b32 s3, 0
	;; [unrolled: 1-line block ×3, first 2 shown]
	s_cbranch_vccz .LBB192_1596
; %bb.1564:
	v_cmp_lt_i16_e32 vcc_lo, 28, v13
	s_cbranch_vccz .LBB192_1579
; %bb.1565:
	v_cmp_lt_i16_e32 vcc_lo, 43, v13
	;; [unrolled: 3-line block ×3, first 2 shown]
	s_cbranch_vccz .LBB192_1569
; %bb.1567:
	v_cmp_eq_u16_e32 vcc_lo, 46, v13
	s_mov_b32 s0, -1
	s_mov_b32 s6, 0
	s_cbranch_vccz .LBB192_1569
; %bb.1568:
	v_cvt_f32_f64_e32 v2, v[0:1]
	s_mov_b32 s0, 0
	s_mov_b32 s3, -1
	s_delay_alu instid0(VALU_DEP_1) | instskip(SKIP_1) | instid1(VALU_DEP_2)
	v_bfe_u32 v3, v2, 16, 1
	v_cmp_o_f32_e32 vcc_lo, v2, v2
	v_add3_u32 v3, v2, v3, 0x7fff
	s_delay_alu instid0(VALU_DEP_1) | instskip(NEXT) | instid1(VALU_DEP_1)
	v_lshrrev_b32_e32 v3, 16, v3
	v_cndmask_b32_e32 v2, 0x7fc0, v3, vcc_lo
	global_store_b32 v[10:11], v2, off
.LBB192_1569:
	s_and_b32 vcc_lo, exec_lo, s6
	s_cbranch_vccz .LBB192_1574
; %bb.1570:
	v_cmp_eq_u16_e32 vcc_lo, 44, v13
	s_mov_b32 s0, -1
	s_cbranch_vccz .LBB192_1574
; %bb.1571:
	v_cvt_f32_f64_e32 v2, v[0:1]
	v_mov_b32_e32 v3, 0xff
	s_mov_b32 s3, exec_lo
	s_delay_alu instid0(VALU_DEP_2) | instskip(NEXT) | instid1(VALU_DEP_1)
	v_bfe_u32 v14, v2, 23, 8
	v_cmpx_ne_u32_e32 0xff, v14
; %bb.1572:
	v_and_b32_e32 v3, 0x400000, v2
	v_and_or_b32 v14, 0x3fffff, v2, v14
	v_lshrrev_b32_e32 v2, 23, v2
	s_delay_alu instid0(VALU_DEP_3) | instskip(NEXT) | instid1(VALU_DEP_3)
	v_cmp_ne_u32_e32 vcc_lo, 0, v3
	v_cmp_ne_u32_e64 s0, 0, v14
	s_delay_alu instid0(VALU_DEP_1) | instskip(NEXT) | instid1(SALU_CYCLE_1)
	s_and_b32 s0, vcc_lo, s0
	v_cndmask_b32_e64 v3, 0, 1, s0
	s_delay_alu instid0(VALU_DEP_1)
	v_add_nc_u32_e32 v3, v2, v3
; %bb.1573:
	s_or_b32 exec_lo, exec_lo, s3
	s_mov_b32 s0, 0
	s_mov_b32 s3, -1
	global_store_b8 v[10:11], v3, off
.LBB192_1574:
	s_mov_b32 s6, 0
.LBB192_1575:
	s_delay_alu instid0(SALU_CYCLE_1)
	s_and_b32 vcc_lo, exec_lo, s6
	s_cbranch_vccz .LBB192_1578
; %bb.1576:
	v_cmp_eq_u16_e32 vcc_lo, 29, v13
	s_mov_b32 s0, -1
	s_cbranch_vccz .LBB192_1578
; %bb.1577:
	v_trunc_f64_e32 v[2:3], v[0:1]
	s_mov_b32 s0, 0
	s_mov_b32 s3, -1
	s_delay_alu instid0(VALU_DEP_1) | instskip(NEXT) | instid1(VALU_DEP_1)
	v_ldexp_f64 v[14:15], v[2:3], 0xffffffe0
	v_floor_f64_e32 v[14:15], v[14:15]
	s_delay_alu instid0(VALU_DEP_1) | instskip(SKIP_1) | instid1(VALU_DEP_2)
	v_fma_f64 v[2:3], 0xc1f00000, v[14:15], v[2:3]
	v_cvt_u32_f64_e32 v15, v[14:15]
	v_cvt_u32_f64_e32 v14, v[2:3]
	global_store_b64 v[10:11], v[14:15], off
.LBB192_1578:
	s_mov_b32 s6, 0
.LBB192_1579:
	s_delay_alu instid0(SALU_CYCLE_1)
	s_and_b32 vcc_lo, exec_lo, s6
	s_cbranch_vccz .LBB192_1595
; %bb.1580:
	v_cmp_gt_i16_e32 vcc_lo, 27, v13
	s_mov_b32 s3, -1
	s_cbranch_vccnz .LBB192_1586
; %bb.1581:
	v_cvt_u32_f64_e32 v2, v[0:1]
	v_cmp_lt_i16_e32 vcc_lo, 27, v13
	s_cbranch_vccz .LBB192_1583
; %bb.1582:
	s_mov_b32 s3, 0
	global_store_b32 v[10:11], v2, off
.LBB192_1583:
	s_and_not1_b32 vcc_lo, exec_lo, s3
	s_cbranch_vccnz .LBB192_1585
; %bb.1584:
	global_store_b16 v[10:11], v2, off
.LBB192_1585:
	s_mov_b32 s3, 0
.LBB192_1586:
	s_delay_alu instid0(SALU_CYCLE_1)
	s_and_not1_b32 vcc_lo, exec_lo, s3
	s_cbranch_vccnz .LBB192_1594
; %bb.1587:
	v_cvt_f32_f64_e32 v2, v[0:1]
	v_mov_b32_e32 v14, 0x80
	s_mov_b32 s3, exec_lo
	s_delay_alu instid0(VALU_DEP_2) | instskip(NEXT) | instid1(VALU_DEP_1)
	v_and_b32_e32 v3, 0x7fffffff, v2
	v_cmpx_gt_u32_e32 0x43800000, v3
	s_cbranch_execz .LBB192_1593
; %bb.1588:
	v_cmp_lt_u32_e32 vcc_lo, 0x3bffffff, v3
	s_mov_b32 s6, 0
                                        ; implicit-def: $vgpr3
	s_and_saveexec_b32 s7, vcc_lo
	s_delay_alu instid0(SALU_CYCLE_1)
	s_xor_b32 s7, exec_lo, s7
	s_cbranch_execz .LBB192_2043
; %bb.1589:
	v_bfe_u32 v3, v2, 20, 1
	s_mov_b32 s6, exec_lo
	s_delay_alu instid0(VALU_DEP_1) | instskip(NEXT) | instid1(VALU_DEP_1)
	v_add3_u32 v3, v2, v3, 0x487ffff
	v_lshrrev_b32_e32 v3, 20, v3
	s_or_saveexec_b32 s7, s7
                                        ; implicit-def: $sgpr11
	s_delay_alu instid0(SALU_CYCLE_1)
	s_xor_b32 exec_lo, exec_lo, s7
	s_cbranch_execnz .LBB192_2044
.LBB192_1590:
	s_or_b32 exec_lo, exec_lo, s7
	v_mov_b32_e32 v14, s11
	s_and_saveexec_b32 s7, s6
.LBB192_1591:
	v_lshrrev_b32_e32 v2, 24, v2
	s_delay_alu instid0(VALU_DEP_1)
	v_and_or_b32 v14, 0x80, v2, v3
.LBB192_1592:
	s_or_b32 exec_lo, exec_lo, s7
.LBB192_1593:
	s_delay_alu instid0(SALU_CYCLE_1)
	s_or_b32 exec_lo, exec_lo, s3
	global_store_b8 v[10:11], v14, off
.LBB192_1594:
	s_mov_b32 s3, -1
.LBB192_1595:
	s_mov_b32 s6, 0
.LBB192_1596:
	s_delay_alu instid0(SALU_CYCLE_1)
	s_and_b32 vcc_lo, exec_lo, s6
	s_cbranch_vccz .LBB192_1636
; %bb.1597:
	v_cmp_lt_i16_e32 vcc_lo, 22, v13
	s_mov_b32 s1, -1
	s_cbranch_vccz .LBB192_1629
; %bb.1598:
	v_cmp_gt_i16_e32 vcc_lo, 24, v13
	s_cbranch_vccnz .LBB192_1618
; %bb.1599:
	v_cmp_lt_i16_e32 vcc_lo, 24, v13
	s_cbranch_vccz .LBB192_1607
; %bb.1600:
	v_cvt_f32_f64_e32 v2, v[0:1]
	v_mov_b32_e32 v14, 0x80
	s_mov_b32 s1, exec_lo
	s_delay_alu instid0(VALU_DEP_2) | instskip(NEXT) | instid1(VALU_DEP_1)
	v_and_b32_e32 v3, 0x7fffffff, v2
	v_cmpx_gt_u32_e32 0x47800000, v3
	s_cbranch_execz .LBB192_1606
; %bb.1601:
	v_cmp_lt_u32_e32 vcc_lo, 0x37ffffff, v3
	s_mov_b32 s3, 0
                                        ; implicit-def: $vgpr3
	s_and_saveexec_b32 s6, vcc_lo
	s_delay_alu instid0(SALU_CYCLE_1)
	s_xor_b32 s6, exec_lo, s6
	s_cbranch_execz .LBB192_2049
; %bb.1602:
	v_bfe_u32 v3, v2, 21, 1
	s_mov_b32 s3, exec_lo
	s_delay_alu instid0(VALU_DEP_1) | instskip(NEXT) | instid1(VALU_DEP_1)
	v_add3_u32 v3, v2, v3, 0x88fffff
	v_lshrrev_b32_e32 v3, 21, v3
	s_or_saveexec_b32 s6, s6
                                        ; implicit-def: $sgpr7
	s_delay_alu instid0(SALU_CYCLE_1)
	s_xor_b32 exec_lo, exec_lo, s6
	s_cbranch_execnz .LBB192_2050
.LBB192_1603:
	s_or_b32 exec_lo, exec_lo, s6
	v_mov_b32_e32 v14, s7
	s_and_saveexec_b32 s6, s3
.LBB192_1604:
	v_lshrrev_b32_e32 v2, 24, v2
	s_delay_alu instid0(VALU_DEP_1)
	v_and_or_b32 v14, 0x80, v2, v3
.LBB192_1605:
	s_or_b32 exec_lo, exec_lo, s6
.LBB192_1606:
	s_delay_alu instid0(SALU_CYCLE_1)
	s_or_b32 exec_lo, exec_lo, s1
	s_mov_b32 s1, 0
	global_store_b8 v[10:11], v14, off
.LBB192_1607:
	s_and_b32 vcc_lo, exec_lo, s1
	s_cbranch_vccz .LBB192_1617
; %bb.1608:
	v_cvt_f32_f64_e32 v2, v[0:1]
	s_mov_b32 s1, exec_lo
                                        ; implicit-def: $vgpr3
	s_delay_alu instid0(VALU_DEP_1) | instskip(NEXT) | instid1(VALU_DEP_1)
	v_and_b32_e32 v14, 0x7fffffff, v2
	v_cmpx_gt_u32_e32 0x43f00000, v14
	s_xor_b32 s1, exec_lo, s1
	s_cbranch_execz .LBB192_1614
; %bb.1609:
	s_mov_b32 s3, exec_lo
                                        ; implicit-def: $vgpr3
	v_cmpx_lt_u32_e32 0x3c7fffff, v14
	s_xor_b32 s3, exec_lo, s3
; %bb.1610:
	v_bfe_u32 v3, v2, 20, 1
	s_delay_alu instid0(VALU_DEP_1) | instskip(NEXT) | instid1(VALU_DEP_1)
	v_add3_u32 v3, v2, v3, 0x407ffff
	v_and_b32_e32 v14, 0xff00000, v3
	v_lshrrev_b32_e32 v3, 20, v3
	s_delay_alu instid0(VALU_DEP_2) | instskip(NEXT) | instid1(VALU_DEP_2)
	v_cmp_ne_u32_e32 vcc_lo, 0x7f00000, v14
	v_cndmask_b32_e32 v3, 0x7e, v3, vcc_lo
; %bb.1611:
	s_and_not1_saveexec_b32 s3, s3
; %bb.1612:
	v_add_f32_e64 v3, 0x46800000, |v2|
; %bb.1613:
	s_or_b32 exec_lo, exec_lo, s3
                                        ; implicit-def: $vgpr14
.LBB192_1614:
	s_and_not1_saveexec_b32 s1, s1
; %bb.1615:
	v_mov_b32_e32 v3, 0x7f
	v_cmp_lt_u32_e32 vcc_lo, 0x7f800000, v14
	s_delay_alu instid0(VALU_DEP_2)
	v_cndmask_b32_e32 v3, 0x7e, v3, vcc_lo
; %bb.1616:
	s_or_b32 exec_lo, exec_lo, s1
	v_lshrrev_b32_e32 v2, 24, v2
	s_delay_alu instid0(VALU_DEP_1)
	v_and_or_b32 v2, 0x80, v2, v3
	global_store_b8 v[10:11], v2, off
.LBB192_1617:
	s_mov_b32 s1, 0
.LBB192_1618:
	s_delay_alu instid0(SALU_CYCLE_1)
	s_and_not1_b32 vcc_lo, exec_lo, s1
	s_cbranch_vccnz .LBB192_1628
; %bb.1619:
	v_cvt_f32_f64_e32 v2, v[0:1]
	s_mov_b32 s1, exec_lo
                                        ; implicit-def: $vgpr3
	s_delay_alu instid0(VALU_DEP_1) | instskip(NEXT) | instid1(VALU_DEP_1)
	v_and_b32_e32 v14, 0x7fffffff, v2
	v_cmpx_gt_u32_e32 0x47800000, v14
	s_xor_b32 s1, exec_lo, s1
	s_cbranch_execz .LBB192_1625
; %bb.1620:
	s_mov_b32 s3, exec_lo
                                        ; implicit-def: $vgpr3
	v_cmpx_lt_u32_e32 0x387fffff, v14
	s_xor_b32 s3, exec_lo, s3
; %bb.1621:
	v_bfe_u32 v3, v2, 21, 1
	s_delay_alu instid0(VALU_DEP_1) | instskip(NEXT) | instid1(VALU_DEP_1)
	v_add3_u32 v3, v2, v3, 0x80fffff
	v_lshrrev_b32_e32 v3, 21, v3
; %bb.1622:
	s_and_not1_saveexec_b32 s3, s3
; %bb.1623:
	v_add_f32_e64 v3, 0x43000000, |v2|
; %bb.1624:
	s_or_b32 exec_lo, exec_lo, s3
                                        ; implicit-def: $vgpr14
.LBB192_1625:
	s_and_not1_saveexec_b32 s1, s1
; %bb.1626:
	v_mov_b32_e32 v3, 0x7f
	v_cmp_lt_u32_e32 vcc_lo, 0x7f800000, v14
	s_delay_alu instid0(VALU_DEP_2)
	v_cndmask_b32_e32 v3, 0x7c, v3, vcc_lo
; %bb.1627:
	s_or_b32 exec_lo, exec_lo, s1
	v_lshrrev_b32_e32 v2, 24, v2
	s_delay_alu instid0(VALU_DEP_1)
	v_and_or_b32 v2, 0x80, v2, v3
	global_store_b8 v[10:11], v2, off
.LBB192_1628:
	s_mov_b32 s1, 0
	s_mov_b32 s3, -1
.LBB192_1629:
	s_and_not1_b32 vcc_lo, exec_lo, s1
	s_mov_b32 s1, 0
	s_cbranch_vccnz .LBB192_1636
; %bb.1630:
	v_cmp_lt_i16_e32 vcc_lo, 14, v13
	s_mov_b32 s1, -1
	s_cbranch_vccz .LBB192_1634
; %bb.1631:
	v_cmp_eq_u16_e32 vcc_lo, 15, v13
	s_mov_b32 s0, -1
	s_cbranch_vccz .LBB192_1633
; %bb.1632:
	v_cvt_f32_f64_e32 v2, v[0:1]
	s_mov_b32 s0, 0
	s_mov_b32 s3, -1
	s_delay_alu instid0(VALU_DEP_1) | instskip(SKIP_1) | instid1(VALU_DEP_2)
	v_bfe_u32 v3, v2, 16, 1
	v_cmp_o_f32_e32 vcc_lo, v2, v2
	v_add3_u32 v3, v2, v3, 0x7fff
	s_delay_alu instid0(VALU_DEP_1) | instskip(NEXT) | instid1(VALU_DEP_1)
	v_lshrrev_b32_e32 v3, 16, v3
	v_cndmask_b32_e32 v2, 0x7fc0, v3, vcc_lo
	global_store_b16 v[10:11], v2, off
.LBB192_1633:
	s_mov_b32 s1, 0
.LBB192_1634:
	s_delay_alu instid0(SALU_CYCLE_1)
	s_and_b32 vcc_lo, exec_lo, s1
	s_mov_b32 s1, 0
	s_cbranch_vccz .LBB192_1636
; %bb.1635:
	v_cmp_ne_u16_e64 s0, 11, v13
	s_mov_b32 s1, -1
.LBB192_1636:
	s_delay_alu instid0(VALU_DEP_1)
	s_and_b32 vcc_lo, exec_lo, s0
	s_cbranch_vccnz .LBB192_2047
; %bb.1637:
	s_and_not1_b32 vcc_lo, exec_lo, s1
	s_cbranch_vccnz .LBB192_1639
.LBB192_1638:
	v_cmp_neq_f64_e32 vcc_lo, 0, v[0:1]
	s_mov_b32 s3, -1
	v_cndmask_b32_e64 v2, 0, 1, vcc_lo
	global_store_b8 v[10:11], v2, off
.LBB192_1639:
	s_mov_b32 s0, 0
	s_branch .LBB192_1641
.LBB192_1640:
	s_mov_b32 s0, -1
	s_mov_b32 s3, 0
.LBB192_1641:
	s_and_b32 vcc_lo, exec_lo, s0
	s_cbranch_vccz .LBB192_1680
; %bb.1642:
	v_cmp_gt_i16_e32 vcc_lo, 5, v13
	s_mov_b32 s0, -1
	s_cbranch_vccnz .LBB192_1663
; %bb.1643:
	v_cmp_gt_i16_e32 vcc_lo, 8, v13
	s_cbranch_vccnz .LBB192_1653
; %bb.1644:
	v_cmp_gt_i16_e32 vcc_lo, 9, v13
	s_cbranch_vccnz .LBB192_1650
; %bb.1645:
	v_cmp_lt_i16_e32 vcc_lo, 9, v13
	s_cbranch_vccz .LBB192_1647
; %bb.1646:
	v_mov_b32_e32 v2, 0
	s_mov_b32 s0, 0
	s_delay_alu instid0(VALU_DEP_1)
	v_mov_b32_e32 v3, v2
	global_store_b128 v[10:11], v[0:3], off
.LBB192_1647:
	s_and_not1_b32 vcc_lo, exec_lo, s0
	s_cbranch_vccnz .LBB192_1649
; %bb.1648:
	v_cvt_f32_f64_e32 v2, v[0:1]
	v_mov_b32_e32 v3, 0
	global_store_b64 v[10:11], v[2:3], off
.LBB192_1649:
	s_mov_b32 s0, 0
.LBB192_1650:
	s_delay_alu instid0(SALU_CYCLE_1)
	s_and_not1_b32 vcc_lo, exec_lo, s0
	s_cbranch_vccnz .LBB192_1652
; %bb.1651:
	v_cvt_f32_f64_e32 v2, v[0:1]
	s_delay_alu instid0(VALU_DEP_1) | instskip(NEXT) | instid1(VALU_DEP_1)
	v_cvt_f16_f32_e32 v2, v2
	v_and_b32_e32 v2, 0xffff, v2
	global_store_b32 v[10:11], v2, off
.LBB192_1652:
	s_mov_b32 s0, 0
.LBB192_1653:
	s_delay_alu instid0(SALU_CYCLE_1)
	s_and_not1_b32 vcc_lo, exec_lo, s0
	s_cbranch_vccnz .LBB192_1662
; %bb.1654:
	v_cmp_gt_i16_e32 vcc_lo, 6, v13
	s_mov_b32 s0, -1
	s_cbranch_vccnz .LBB192_1660
; %bb.1655:
	v_cmp_lt_i16_e32 vcc_lo, 6, v13
	s_cbranch_vccz .LBB192_1657
; %bb.1656:
	s_mov_b32 s0, 0
	global_store_b64 v[10:11], v[0:1], off
.LBB192_1657:
	s_and_not1_b32 vcc_lo, exec_lo, s0
	s_cbranch_vccnz .LBB192_1659
; %bb.1658:
	v_cvt_f32_f64_e32 v2, v[0:1]
	global_store_b32 v[10:11], v2, off
.LBB192_1659:
	s_mov_b32 s0, 0
.LBB192_1660:
	s_delay_alu instid0(SALU_CYCLE_1)
	s_and_not1_b32 vcc_lo, exec_lo, s0
	s_cbranch_vccnz .LBB192_1662
; %bb.1661:
	v_cvt_f32_f64_e32 v2, v[0:1]
	s_delay_alu instid0(VALU_DEP_1)
	v_cvt_f16_f32_e32 v2, v2
	global_store_b16 v[10:11], v2, off
.LBB192_1662:
	s_mov_b32 s0, 0
.LBB192_1663:
	s_delay_alu instid0(SALU_CYCLE_1)
	s_and_not1_b32 vcc_lo, exec_lo, s0
	s_cbranch_vccnz .LBB192_1679
; %bb.1664:
	v_cmp_gt_i16_e32 vcc_lo, 2, v13
	s_mov_b32 s0, -1
	s_cbranch_vccnz .LBB192_1674
; %bb.1665:
	v_cmp_gt_i16_e32 vcc_lo, 3, v13
	s_cbranch_vccnz .LBB192_1671
; %bb.1666:
	v_cmp_lt_i16_e32 vcc_lo, 3, v13
	s_cbranch_vccz .LBB192_1668
; %bb.1667:
	v_trunc_f64_e32 v[2:3], v[0:1]
	s_mov_b32 s0, 0
	s_delay_alu instid0(VALU_DEP_1) | instskip(NEXT) | instid1(VALU_DEP_1)
	v_ldexp_f64 v[14:15], v[2:3], 0xffffffe0
	v_floor_f64_e32 v[14:15], v[14:15]
	s_delay_alu instid0(VALU_DEP_1) | instskip(SKIP_1) | instid1(VALU_DEP_2)
	v_fma_f64 v[2:3], 0xc1f00000, v[14:15], v[2:3]
	v_cvt_i32_f64_e32 v15, v[14:15]
	v_cvt_u32_f64_e32 v14, v[2:3]
	global_store_b64 v[10:11], v[14:15], off
.LBB192_1668:
	s_and_not1_b32 vcc_lo, exec_lo, s0
	s_cbranch_vccnz .LBB192_1670
; %bb.1669:
	v_cvt_i32_f64_e32 v2, v[0:1]
	global_store_b32 v[10:11], v2, off
.LBB192_1670:
	s_mov_b32 s0, 0
.LBB192_1671:
	s_delay_alu instid0(SALU_CYCLE_1)
	s_and_not1_b32 vcc_lo, exec_lo, s0
	s_cbranch_vccnz .LBB192_1673
; %bb.1672:
	v_cvt_i32_f64_e32 v2, v[0:1]
	global_store_b16 v[10:11], v2, off
.LBB192_1673:
	s_mov_b32 s0, 0
.LBB192_1674:
	s_delay_alu instid0(SALU_CYCLE_1)
	s_and_not1_b32 vcc_lo, exec_lo, s0
	s_cbranch_vccnz .LBB192_1679
; %bb.1675:
	v_cmp_lt_i16_e32 vcc_lo, 0, v13
	s_mov_b32 s0, -1
	s_cbranch_vccz .LBB192_1677
; %bb.1676:
	v_cvt_i32_f64_e32 v2, v[0:1]
	s_mov_b32 s0, 0
	global_store_b8 v[10:11], v2, off
.LBB192_1677:
	s_and_not1_b32 vcc_lo, exec_lo, s0
	s_cbranch_vccnz .LBB192_1679
; %bb.1678:
	v_trunc_f64_e32 v[0:1], v[0:1]
	s_delay_alu instid0(VALU_DEP_1) | instskip(NEXT) | instid1(VALU_DEP_1)
	v_ldexp_f64 v[2:3], v[0:1], 0xffffffe0
	v_floor_f64_e32 v[2:3], v[2:3]
	s_delay_alu instid0(VALU_DEP_1) | instskip(NEXT) | instid1(VALU_DEP_1)
	v_fma_f64 v[0:1], 0xc1f00000, v[2:3], v[0:1]
	v_cvt_u32_f64_e32 v0, v[0:1]
	global_store_b8 v[10:11], v0, off
.LBB192_1679:
	s_mov_b32 s3, -1
.LBB192_1680:
	s_delay_alu instid0(SALU_CYCLE_1)
	s_and_not1_b32 vcc_lo, exec_lo, s3
	s_cbranch_vccnz .LBB192_1995
; %bb.1681:
	v_rsq_f64_e32 v[0:1], v[4:5]
	s_lshl_b32 s2, s2, 7
	v_cmp_gt_i16_e64 s0, 11, v13
	s_waitcnt_depctr 0xfff
	v_mul_f64 v[2:3], v[0:1], -v[4:5]
	v_cmp_class_f64_e64 vcc_lo, v[0:1], 0x180
	s_delay_alu instid0(VALU_DEP_2) | instskip(NEXT) | instid1(VALU_DEP_1)
	v_fma_f64 v[2:3], v[2:3], v[0:1], 1.0
	v_mul_f64 v[4:5], v[0:1], v[2:3]
	v_fma_f64 v[2:3], 0x3fd80000, v[2:3], 0.5
	s_delay_alu instid0(VALU_DEP_1) | instskip(NEXT) | instid1(VALU_DEP_1)
	v_fma_f64 v[2:3], v[4:5], v[2:3], v[0:1]
	v_dual_cndmask_b32 v1, v1, v3 :: v_dual_add_nc_u32 v10, s2, v12
	s_delay_alu instid0(VALU_DEP_1) | instskip(SKIP_1) | instid1(VALU_DEP_4)
	v_ashrrev_i32_e32 v5, 31, v10
	v_add_co_u32 v4, s1, s4, v10
	v_cndmask_b32_e32 v0, v0, v2, vcc_lo
	s_and_b32 vcc_lo, exec_lo, s0
	s_delay_alu instid0(VALU_DEP_3)
	v_add_co_ci_u32_e64 v5, s1, s5, v5, s1
	s_cbranch_vccnz .LBB192_1759
; %bb.1682:
	v_cmp_lt_i16_e32 vcc_lo, 25, v13
	s_mov_b32 s6, -1
	s_mov_b32 s1, 0
	s_mov_b32 s3, 0
	s_mov_b32 s0, 0
	s_cbranch_vccz .LBB192_1715
; %bb.1683:
	v_cmp_lt_i16_e32 vcc_lo, 28, v13
	s_cbranch_vccz .LBB192_1698
; %bb.1684:
	v_cmp_lt_i16_e32 vcc_lo, 43, v13
	s_cbranch_vccz .LBB192_1694
; %bb.1685:
	v_cmp_lt_i16_e32 vcc_lo, 45, v13
	s_cbranch_vccz .LBB192_1688
; %bb.1686:
	v_cmp_eq_u16_e32 vcc_lo, 46, v13
	s_mov_b32 s0, -1
	s_mov_b32 s6, 0
	s_cbranch_vccz .LBB192_1688
; %bb.1687:
	v_cvt_f32_f64_e32 v2, v[0:1]
	s_mov_b32 s0, 0
	s_mov_b32 s3, -1
	s_delay_alu instid0(VALU_DEP_1) | instskip(SKIP_1) | instid1(VALU_DEP_2)
	v_bfe_u32 v3, v2, 16, 1
	v_cmp_o_f32_e32 vcc_lo, v2, v2
	v_add3_u32 v3, v2, v3, 0x7fff
	s_delay_alu instid0(VALU_DEP_1) | instskip(NEXT) | instid1(VALU_DEP_1)
	v_lshrrev_b32_e32 v3, 16, v3
	v_cndmask_b32_e32 v2, 0x7fc0, v3, vcc_lo
	global_store_b32 v[4:5], v2, off
.LBB192_1688:
	s_and_b32 vcc_lo, exec_lo, s6
	s_cbranch_vccz .LBB192_1693
; %bb.1689:
	v_cmp_eq_u16_e32 vcc_lo, 44, v13
	s_mov_b32 s0, -1
	s_cbranch_vccz .LBB192_1693
; %bb.1690:
	v_cvt_f32_f64_e32 v2, v[0:1]
	v_mov_b32_e32 v3, 0xff
	s_mov_b32 s3, exec_lo
	s_delay_alu instid0(VALU_DEP_2) | instskip(NEXT) | instid1(VALU_DEP_1)
	v_bfe_u32 v11, v2, 23, 8
	v_cmpx_ne_u32_e32 0xff, v11
; %bb.1691:
	v_and_b32_e32 v3, 0x400000, v2
	v_and_or_b32 v11, 0x3fffff, v2, v11
	v_lshrrev_b32_e32 v2, 23, v2
	s_delay_alu instid0(VALU_DEP_3) | instskip(NEXT) | instid1(VALU_DEP_3)
	v_cmp_ne_u32_e32 vcc_lo, 0, v3
	v_cmp_ne_u32_e64 s0, 0, v11
	s_delay_alu instid0(VALU_DEP_1) | instskip(NEXT) | instid1(SALU_CYCLE_1)
	s_and_b32 s0, vcc_lo, s0
	v_cndmask_b32_e64 v3, 0, 1, s0
	s_delay_alu instid0(VALU_DEP_1)
	v_add_nc_u32_e32 v3, v2, v3
; %bb.1692:
	s_or_b32 exec_lo, exec_lo, s3
	s_mov_b32 s0, 0
	s_mov_b32 s3, -1
	global_store_b8 v[4:5], v3, off
.LBB192_1693:
	s_mov_b32 s6, 0
.LBB192_1694:
	s_delay_alu instid0(SALU_CYCLE_1)
	s_and_b32 vcc_lo, exec_lo, s6
	s_cbranch_vccz .LBB192_1697
; %bb.1695:
	v_cmp_eq_u16_e32 vcc_lo, 29, v13
	s_mov_b32 s0, -1
	s_cbranch_vccz .LBB192_1697
; %bb.1696:
	v_trunc_f64_e32 v[2:3], v[0:1]
	s_mov_b32 s0, 0
	s_mov_b32 s3, -1
	s_delay_alu instid0(VALU_DEP_1) | instskip(NEXT) | instid1(VALU_DEP_1)
	v_ldexp_f64 v[11:12], v[2:3], 0xffffffe0
	v_floor_f64_e32 v[11:12], v[11:12]
	s_delay_alu instid0(VALU_DEP_1) | instskip(SKIP_1) | instid1(VALU_DEP_2)
	v_fma_f64 v[2:3], 0xc1f00000, v[11:12], v[2:3]
	v_cvt_u32_f64_e32 v12, v[11:12]
	v_cvt_u32_f64_e32 v11, v[2:3]
	global_store_b64 v[4:5], v[11:12], off
.LBB192_1697:
	s_mov_b32 s6, 0
.LBB192_1698:
	s_delay_alu instid0(SALU_CYCLE_1)
	s_and_b32 vcc_lo, exec_lo, s6
	s_cbranch_vccz .LBB192_1714
; %bb.1699:
	v_cmp_gt_i16_e32 vcc_lo, 27, v13
	s_mov_b32 s3, -1
	s_cbranch_vccnz .LBB192_1705
; %bb.1700:
	v_cvt_u32_f64_e32 v2, v[0:1]
	v_cmp_lt_i16_e32 vcc_lo, 27, v13
	s_cbranch_vccz .LBB192_1702
; %bb.1701:
	s_mov_b32 s3, 0
	global_store_b32 v[4:5], v2, off
.LBB192_1702:
	s_and_not1_b32 vcc_lo, exec_lo, s3
	s_cbranch_vccnz .LBB192_1704
; %bb.1703:
	global_store_b16 v[4:5], v2, off
.LBB192_1704:
	s_mov_b32 s3, 0
.LBB192_1705:
	s_delay_alu instid0(SALU_CYCLE_1)
	s_and_not1_b32 vcc_lo, exec_lo, s3
	s_cbranch_vccnz .LBB192_1713
; %bb.1706:
	v_cvt_f32_f64_e32 v2, v[0:1]
	v_mov_b32_e32 v11, 0x80
	s_mov_b32 s3, exec_lo
	s_delay_alu instid0(VALU_DEP_2) | instskip(NEXT) | instid1(VALU_DEP_1)
	v_and_b32_e32 v3, 0x7fffffff, v2
	v_cmpx_gt_u32_e32 0x43800000, v3
	s_cbranch_execz .LBB192_1712
; %bb.1707:
	v_cmp_lt_u32_e32 vcc_lo, 0x3bffffff, v3
	s_mov_b32 s6, 0
                                        ; implicit-def: $vgpr3
	s_and_saveexec_b32 s7, vcc_lo
	s_delay_alu instid0(SALU_CYCLE_1)
	s_xor_b32 s7, exec_lo, s7
	s_cbranch_execz .LBB192_2051
; %bb.1708:
	v_bfe_u32 v3, v2, 20, 1
	s_mov_b32 s6, exec_lo
	s_delay_alu instid0(VALU_DEP_1) | instskip(NEXT) | instid1(VALU_DEP_1)
	v_add3_u32 v3, v2, v3, 0x487ffff
	v_lshrrev_b32_e32 v3, 20, v3
	s_or_saveexec_b32 s7, s7
                                        ; implicit-def: $sgpr11
	s_delay_alu instid0(SALU_CYCLE_1)
	s_xor_b32 exec_lo, exec_lo, s7
	s_cbranch_execnz .LBB192_2052
.LBB192_1709:
	s_or_b32 exec_lo, exec_lo, s7
	v_mov_b32_e32 v11, s11
	s_and_saveexec_b32 s7, s6
.LBB192_1710:
	v_lshrrev_b32_e32 v2, 24, v2
	s_delay_alu instid0(VALU_DEP_1)
	v_and_or_b32 v11, 0x80, v2, v3
.LBB192_1711:
	s_or_b32 exec_lo, exec_lo, s7
.LBB192_1712:
	s_delay_alu instid0(SALU_CYCLE_1)
	s_or_b32 exec_lo, exec_lo, s3
	global_store_b8 v[4:5], v11, off
.LBB192_1713:
	s_mov_b32 s3, -1
.LBB192_1714:
	s_mov_b32 s6, 0
.LBB192_1715:
	s_delay_alu instid0(SALU_CYCLE_1)
	s_and_b32 vcc_lo, exec_lo, s6
	s_cbranch_vccz .LBB192_1755
; %bb.1716:
	v_cmp_lt_i16_e32 vcc_lo, 22, v13
	s_mov_b32 s1, -1
	s_cbranch_vccz .LBB192_1748
; %bb.1717:
	v_cmp_gt_i16_e32 vcc_lo, 24, v13
	s_cbranch_vccnz .LBB192_1737
; %bb.1718:
	v_cmp_lt_i16_e32 vcc_lo, 24, v13
	s_cbranch_vccz .LBB192_1726
; %bb.1719:
	v_cvt_f32_f64_e32 v2, v[0:1]
	v_mov_b32_e32 v11, 0x80
	s_mov_b32 s1, exec_lo
	s_delay_alu instid0(VALU_DEP_2) | instskip(NEXT) | instid1(VALU_DEP_1)
	v_and_b32_e32 v3, 0x7fffffff, v2
	v_cmpx_gt_u32_e32 0x47800000, v3
	s_cbranch_execz .LBB192_1725
; %bb.1720:
	v_cmp_lt_u32_e32 vcc_lo, 0x37ffffff, v3
	s_mov_b32 s3, 0
                                        ; implicit-def: $vgpr3
	s_and_saveexec_b32 s6, vcc_lo
	s_delay_alu instid0(SALU_CYCLE_1)
	s_xor_b32 s6, exec_lo, s6
	s_cbranch_execz .LBB192_2057
; %bb.1721:
	v_bfe_u32 v3, v2, 21, 1
	s_mov_b32 s3, exec_lo
	s_delay_alu instid0(VALU_DEP_1) | instskip(NEXT) | instid1(VALU_DEP_1)
	v_add3_u32 v3, v2, v3, 0x88fffff
	v_lshrrev_b32_e32 v3, 21, v3
	s_or_saveexec_b32 s6, s6
                                        ; implicit-def: $sgpr7
	s_delay_alu instid0(SALU_CYCLE_1)
	s_xor_b32 exec_lo, exec_lo, s6
	s_cbranch_execnz .LBB192_2058
.LBB192_1722:
	s_or_b32 exec_lo, exec_lo, s6
	v_mov_b32_e32 v11, s7
	s_and_saveexec_b32 s6, s3
.LBB192_1723:
	v_lshrrev_b32_e32 v2, 24, v2
	s_delay_alu instid0(VALU_DEP_1)
	v_and_or_b32 v11, 0x80, v2, v3
.LBB192_1724:
	s_or_b32 exec_lo, exec_lo, s6
.LBB192_1725:
	s_delay_alu instid0(SALU_CYCLE_1)
	s_or_b32 exec_lo, exec_lo, s1
	s_mov_b32 s1, 0
	global_store_b8 v[4:5], v11, off
.LBB192_1726:
	s_and_b32 vcc_lo, exec_lo, s1
	s_cbranch_vccz .LBB192_1736
; %bb.1727:
	v_cvt_f32_f64_e32 v2, v[0:1]
	s_mov_b32 s1, exec_lo
                                        ; implicit-def: $vgpr3
	s_delay_alu instid0(VALU_DEP_1) | instskip(NEXT) | instid1(VALU_DEP_1)
	v_and_b32_e32 v11, 0x7fffffff, v2
	v_cmpx_gt_u32_e32 0x43f00000, v11
	s_xor_b32 s1, exec_lo, s1
	s_cbranch_execz .LBB192_1733
; %bb.1728:
	s_mov_b32 s3, exec_lo
                                        ; implicit-def: $vgpr3
	v_cmpx_lt_u32_e32 0x3c7fffff, v11
	s_xor_b32 s3, exec_lo, s3
; %bb.1729:
	v_bfe_u32 v3, v2, 20, 1
	s_delay_alu instid0(VALU_DEP_1) | instskip(NEXT) | instid1(VALU_DEP_1)
	v_add3_u32 v3, v2, v3, 0x407ffff
	v_and_b32_e32 v11, 0xff00000, v3
	v_lshrrev_b32_e32 v3, 20, v3
	s_delay_alu instid0(VALU_DEP_2) | instskip(NEXT) | instid1(VALU_DEP_2)
	v_cmp_ne_u32_e32 vcc_lo, 0x7f00000, v11
	v_cndmask_b32_e32 v3, 0x7e, v3, vcc_lo
; %bb.1730:
	s_and_not1_saveexec_b32 s3, s3
; %bb.1731:
	v_add_f32_e64 v3, 0x46800000, |v2|
; %bb.1732:
	s_or_b32 exec_lo, exec_lo, s3
                                        ; implicit-def: $vgpr11
.LBB192_1733:
	s_and_not1_saveexec_b32 s1, s1
; %bb.1734:
	v_mov_b32_e32 v3, 0x7f
	v_cmp_lt_u32_e32 vcc_lo, 0x7f800000, v11
	s_delay_alu instid0(VALU_DEP_2)
	v_cndmask_b32_e32 v3, 0x7e, v3, vcc_lo
; %bb.1735:
	s_or_b32 exec_lo, exec_lo, s1
	v_lshrrev_b32_e32 v2, 24, v2
	s_delay_alu instid0(VALU_DEP_1)
	v_and_or_b32 v2, 0x80, v2, v3
	global_store_b8 v[4:5], v2, off
.LBB192_1736:
	s_mov_b32 s1, 0
.LBB192_1737:
	s_delay_alu instid0(SALU_CYCLE_1)
	s_and_not1_b32 vcc_lo, exec_lo, s1
	s_cbranch_vccnz .LBB192_1747
; %bb.1738:
	v_cvt_f32_f64_e32 v2, v[0:1]
	s_mov_b32 s1, exec_lo
                                        ; implicit-def: $vgpr3
	s_delay_alu instid0(VALU_DEP_1) | instskip(NEXT) | instid1(VALU_DEP_1)
	v_and_b32_e32 v11, 0x7fffffff, v2
	v_cmpx_gt_u32_e32 0x47800000, v11
	s_xor_b32 s1, exec_lo, s1
	s_cbranch_execz .LBB192_1744
; %bb.1739:
	s_mov_b32 s3, exec_lo
                                        ; implicit-def: $vgpr3
	v_cmpx_lt_u32_e32 0x387fffff, v11
	s_xor_b32 s3, exec_lo, s3
; %bb.1740:
	v_bfe_u32 v3, v2, 21, 1
	s_delay_alu instid0(VALU_DEP_1) | instskip(NEXT) | instid1(VALU_DEP_1)
	v_add3_u32 v3, v2, v3, 0x80fffff
	v_lshrrev_b32_e32 v3, 21, v3
; %bb.1741:
	s_and_not1_saveexec_b32 s3, s3
; %bb.1742:
	v_add_f32_e64 v3, 0x43000000, |v2|
; %bb.1743:
	s_or_b32 exec_lo, exec_lo, s3
                                        ; implicit-def: $vgpr11
.LBB192_1744:
	s_and_not1_saveexec_b32 s1, s1
; %bb.1745:
	v_mov_b32_e32 v3, 0x7f
	v_cmp_lt_u32_e32 vcc_lo, 0x7f800000, v11
	s_delay_alu instid0(VALU_DEP_2)
	v_cndmask_b32_e32 v3, 0x7c, v3, vcc_lo
; %bb.1746:
	s_or_b32 exec_lo, exec_lo, s1
	v_lshrrev_b32_e32 v2, 24, v2
	s_delay_alu instid0(VALU_DEP_1)
	v_and_or_b32 v2, 0x80, v2, v3
	global_store_b8 v[4:5], v2, off
.LBB192_1747:
	s_mov_b32 s1, 0
	s_mov_b32 s3, -1
.LBB192_1748:
	s_and_not1_b32 vcc_lo, exec_lo, s1
	s_mov_b32 s1, 0
	s_cbranch_vccnz .LBB192_1755
; %bb.1749:
	v_cmp_lt_i16_e32 vcc_lo, 14, v13
	s_mov_b32 s1, -1
	s_cbranch_vccz .LBB192_1753
; %bb.1750:
	v_cmp_eq_u16_e32 vcc_lo, 15, v13
	s_mov_b32 s0, -1
	s_cbranch_vccz .LBB192_1752
; %bb.1751:
	v_cvt_f32_f64_e32 v2, v[0:1]
	s_mov_b32 s0, 0
	s_mov_b32 s3, -1
	s_delay_alu instid0(VALU_DEP_1) | instskip(SKIP_1) | instid1(VALU_DEP_2)
	v_bfe_u32 v3, v2, 16, 1
	v_cmp_o_f32_e32 vcc_lo, v2, v2
	v_add3_u32 v3, v2, v3, 0x7fff
	s_delay_alu instid0(VALU_DEP_1) | instskip(NEXT) | instid1(VALU_DEP_1)
	v_lshrrev_b32_e32 v3, 16, v3
	v_cndmask_b32_e32 v2, 0x7fc0, v3, vcc_lo
	global_store_b16 v[4:5], v2, off
.LBB192_1752:
	s_mov_b32 s1, 0
.LBB192_1753:
	s_delay_alu instid0(SALU_CYCLE_1)
	s_and_b32 vcc_lo, exec_lo, s1
	s_mov_b32 s1, 0
	s_cbranch_vccz .LBB192_1755
; %bb.1754:
	v_cmp_ne_u16_e64 s0, 11, v13
	s_mov_b32 s1, -1
.LBB192_1755:
	s_delay_alu instid0(VALU_DEP_1)
	s_and_b32 vcc_lo, exec_lo, s0
	s_cbranch_vccnz .LBB192_2055
; %bb.1756:
	s_and_not1_b32 vcc_lo, exec_lo, s1
	s_cbranch_vccnz .LBB192_1758
.LBB192_1757:
	v_cmp_neq_f64_e32 vcc_lo, 0, v[0:1]
	s_mov_b32 s3, -1
	v_cndmask_b32_e64 v2, 0, 1, vcc_lo
	global_store_b8 v[4:5], v2, off
.LBB192_1758:
	s_mov_b32 s0, 0
	s_branch .LBB192_1760
.LBB192_1759:
	s_mov_b32 s0, -1
	s_mov_b32 s3, 0
.LBB192_1760:
	s_and_b32 vcc_lo, exec_lo, s0
	s_cbranch_vccz .LBB192_1799
; %bb.1761:
	v_cmp_gt_i16_e32 vcc_lo, 5, v13
	s_mov_b32 s0, -1
	s_cbranch_vccnz .LBB192_1782
; %bb.1762:
	v_cmp_gt_i16_e32 vcc_lo, 8, v13
	s_cbranch_vccnz .LBB192_1772
; %bb.1763:
	v_cmp_gt_i16_e32 vcc_lo, 9, v13
	s_cbranch_vccnz .LBB192_1769
; %bb.1764:
	v_cmp_lt_i16_e32 vcc_lo, 9, v13
	s_cbranch_vccz .LBB192_1766
; %bb.1765:
	v_mov_b32_e32 v2, 0
	s_mov_b32 s0, 0
	s_delay_alu instid0(VALU_DEP_1)
	v_mov_b32_e32 v3, v2
	global_store_b128 v[4:5], v[0:3], off
.LBB192_1766:
	s_and_not1_b32 vcc_lo, exec_lo, s0
	s_cbranch_vccnz .LBB192_1768
; %bb.1767:
	v_cvt_f32_f64_e32 v2, v[0:1]
	v_mov_b32_e32 v3, 0
	global_store_b64 v[4:5], v[2:3], off
.LBB192_1768:
	s_mov_b32 s0, 0
.LBB192_1769:
	s_delay_alu instid0(SALU_CYCLE_1)
	s_and_not1_b32 vcc_lo, exec_lo, s0
	s_cbranch_vccnz .LBB192_1771
; %bb.1770:
	v_cvt_f32_f64_e32 v2, v[0:1]
	s_delay_alu instid0(VALU_DEP_1) | instskip(NEXT) | instid1(VALU_DEP_1)
	v_cvt_f16_f32_e32 v2, v2
	v_and_b32_e32 v2, 0xffff, v2
	global_store_b32 v[4:5], v2, off
.LBB192_1771:
	s_mov_b32 s0, 0
.LBB192_1772:
	s_delay_alu instid0(SALU_CYCLE_1)
	s_and_not1_b32 vcc_lo, exec_lo, s0
	s_cbranch_vccnz .LBB192_1781
; %bb.1773:
	v_cmp_gt_i16_e32 vcc_lo, 6, v13
	s_mov_b32 s0, -1
	s_cbranch_vccnz .LBB192_1779
; %bb.1774:
	v_cmp_lt_i16_e32 vcc_lo, 6, v13
	s_cbranch_vccz .LBB192_1776
; %bb.1775:
	s_mov_b32 s0, 0
	global_store_b64 v[4:5], v[0:1], off
.LBB192_1776:
	s_and_not1_b32 vcc_lo, exec_lo, s0
	s_cbranch_vccnz .LBB192_1778
; %bb.1777:
	v_cvt_f32_f64_e32 v2, v[0:1]
	global_store_b32 v[4:5], v2, off
.LBB192_1778:
	s_mov_b32 s0, 0
.LBB192_1779:
	s_delay_alu instid0(SALU_CYCLE_1)
	s_and_not1_b32 vcc_lo, exec_lo, s0
	s_cbranch_vccnz .LBB192_1781
; %bb.1780:
	v_cvt_f32_f64_e32 v2, v[0:1]
	s_delay_alu instid0(VALU_DEP_1)
	v_cvt_f16_f32_e32 v2, v2
	global_store_b16 v[4:5], v2, off
.LBB192_1781:
	s_mov_b32 s0, 0
.LBB192_1782:
	s_delay_alu instid0(SALU_CYCLE_1)
	s_and_not1_b32 vcc_lo, exec_lo, s0
	s_cbranch_vccnz .LBB192_1798
; %bb.1783:
	v_cmp_gt_i16_e32 vcc_lo, 2, v13
	s_mov_b32 s0, -1
	s_cbranch_vccnz .LBB192_1793
; %bb.1784:
	v_cmp_gt_i16_e32 vcc_lo, 3, v13
	s_cbranch_vccnz .LBB192_1790
; %bb.1785:
	v_cmp_lt_i16_e32 vcc_lo, 3, v13
	s_cbranch_vccz .LBB192_1787
; %bb.1786:
	v_trunc_f64_e32 v[2:3], v[0:1]
	s_mov_b32 s0, 0
	s_delay_alu instid0(VALU_DEP_1) | instskip(NEXT) | instid1(VALU_DEP_1)
	v_ldexp_f64 v[11:12], v[2:3], 0xffffffe0
	v_floor_f64_e32 v[11:12], v[11:12]
	s_delay_alu instid0(VALU_DEP_1) | instskip(SKIP_1) | instid1(VALU_DEP_2)
	v_fma_f64 v[2:3], 0xc1f00000, v[11:12], v[2:3]
	v_cvt_i32_f64_e32 v12, v[11:12]
	v_cvt_u32_f64_e32 v11, v[2:3]
	global_store_b64 v[4:5], v[11:12], off
.LBB192_1787:
	s_and_not1_b32 vcc_lo, exec_lo, s0
	s_cbranch_vccnz .LBB192_1789
; %bb.1788:
	v_cvt_i32_f64_e32 v2, v[0:1]
	global_store_b32 v[4:5], v2, off
.LBB192_1789:
	s_mov_b32 s0, 0
.LBB192_1790:
	s_delay_alu instid0(SALU_CYCLE_1)
	s_and_not1_b32 vcc_lo, exec_lo, s0
	s_cbranch_vccnz .LBB192_1792
; %bb.1791:
	v_cvt_i32_f64_e32 v2, v[0:1]
	global_store_b16 v[4:5], v2, off
.LBB192_1792:
	s_mov_b32 s0, 0
.LBB192_1793:
	s_delay_alu instid0(SALU_CYCLE_1)
	s_and_not1_b32 vcc_lo, exec_lo, s0
	s_cbranch_vccnz .LBB192_1798
; %bb.1794:
	v_cmp_lt_i16_e32 vcc_lo, 0, v13
	s_mov_b32 s0, -1
	s_cbranch_vccz .LBB192_1796
; %bb.1795:
	v_cvt_i32_f64_e32 v2, v[0:1]
	s_mov_b32 s0, 0
	global_store_b8 v[4:5], v2, off
.LBB192_1796:
	s_and_not1_b32 vcc_lo, exec_lo, s0
	s_cbranch_vccnz .LBB192_1798
; %bb.1797:
	v_trunc_f64_e32 v[0:1], v[0:1]
	s_delay_alu instid0(VALU_DEP_1) | instskip(NEXT) | instid1(VALU_DEP_1)
	v_ldexp_f64 v[2:3], v[0:1], 0xffffffe0
	v_floor_f64_e32 v[2:3], v[2:3]
	s_delay_alu instid0(VALU_DEP_1) | instskip(NEXT) | instid1(VALU_DEP_1)
	v_fma_f64 v[0:1], 0xc1f00000, v[2:3], v[0:1]
	v_cvt_u32_f64_e32 v0, v[0:1]
	global_store_b8 v[4:5], v0, off
.LBB192_1798:
	s_mov_b32 s3, -1
.LBB192_1799:
	s_delay_alu instid0(SALU_CYCLE_1)
	s_and_not1_b32 vcc_lo, exec_lo, s3
	s_cbranch_vccnz .LBB192_1995
; %bb.1800:
	v_rsq_f64_e32 v[0:1], v[6:7]
	v_cmp_gt_i16_e64 s0, 11, v13
	s_waitcnt_depctr 0xfff
	v_mul_f64 v[2:3], v[0:1], -v[6:7]
	v_cmp_class_f64_e64 vcc_lo, v[0:1], 0x180
	s_delay_alu instid0(VALU_DEP_2) | instskip(NEXT) | instid1(VALU_DEP_1)
	v_fma_f64 v[2:3], v[2:3], v[0:1], 1.0
	v_mul_f64 v[4:5], v[0:1], v[2:3]
	v_fma_f64 v[2:3], 0x3fd80000, v[2:3], 0.5
	s_delay_alu instid0(VALU_DEP_1) | instskip(NEXT) | instid1(VALU_DEP_1)
	v_fma_f64 v[2:3], v[4:5], v[2:3], v[0:1]
	v_dual_cndmask_b32 v1, v1, v3 :: v_dual_add_nc_u32 v6, s2, v10
	s_delay_alu instid0(VALU_DEP_1) | instskip(SKIP_1) | instid1(VALU_DEP_4)
	v_ashrrev_i32_e32 v5, 31, v6
	v_add_co_u32 v4, s1, s4, v6
	v_cndmask_b32_e32 v0, v0, v2, vcc_lo
	s_and_b32 vcc_lo, exec_lo, s0
	s_delay_alu instid0(VALU_DEP_3)
	v_add_co_ci_u32_e64 v5, s1, s5, v5, s1
	s_cbranch_vccnz .LBB192_1878
; %bb.1801:
	v_cmp_lt_i16_e32 vcc_lo, 25, v13
	s_mov_b32 s6, -1
	s_mov_b32 s1, 0
	s_mov_b32 s3, 0
	;; [unrolled: 1-line block ×3, first 2 shown]
	s_cbranch_vccz .LBB192_1834
; %bb.1802:
	v_cmp_lt_i16_e32 vcc_lo, 28, v13
	s_cbranch_vccz .LBB192_1817
; %bb.1803:
	v_cmp_lt_i16_e32 vcc_lo, 43, v13
	;; [unrolled: 3-line block ×3, first 2 shown]
	s_cbranch_vccz .LBB192_1807
; %bb.1805:
	v_cmp_eq_u16_e32 vcc_lo, 46, v13
	s_mov_b32 s0, -1
	s_mov_b32 s6, 0
	s_cbranch_vccz .LBB192_1807
; %bb.1806:
	v_cvt_f32_f64_e32 v2, v[0:1]
	s_mov_b32 s0, 0
	s_mov_b32 s3, -1
	s_delay_alu instid0(VALU_DEP_1) | instskip(SKIP_1) | instid1(VALU_DEP_2)
	v_bfe_u32 v3, v2, 16, 1
	v_cmp_o_f32_e32 vcc_lo, v2, v2
	v_add3_u32 v3, v2, v3, 0x7fff
	s_delay_alu instid0(VALU_DEP_1) | instskip(NEXT) | instid1(VALU_DEP_1)
	v_lshrrev_b32_e32 v3, 16, v3
	v_cndmask_b32_e32 v2, 0x7fc0, v3, vcc_lo
	global_store_b32 v[4:5], v2, off
.LBB192_1807:
	s_and_b32 vcc_lo, exec_lo, s6
	s_cbranch_vccz .LBB192_1812
; %bb.1808:
	v_cmp_eq_u16_e32 vcc_lo, 44, v13
	s_mov_b32 s0, -1
	s_cbranch_vccz .LBB192_1812
; %bb.1809:
	v_cvt_f32_f64_e32 v2, v[0:1]
	v_mov_b32_e32 v3, 0xff
	s_mov_b32 s3, exec_lo
	s_delay_alu instid0(VALU_DEP_2) | instskip(NEXT) | instid1(VALU_DEP_1)
	v_bfe_u32 v7, v2, 23, 8
	v_cmpx_ne_u32_e32 0xff, v7
; %bb.1810:
	v_and_b32_e32 v3, 0x400000, v2
	v_and_or_b32 v7, 0x3fffff, v2, v7
	v_lshrrev_b32_e32 v2, 23, v2
	s_delay_alu instid0(VALU_DEP_3) | instskip(NEXT) | instid1(VALU_DEP_3)
	v_cmp_ne_u32_e32 vcc_lo, 0, v3
	v_cmp_ne_u32_e64 s0, 0, v7
	s_delay_alu instid0(VALU_DEP_1) | instskip(NEXT) | instid1(SALU_CYCLE_1)
	s_and_b32 s0, vcc_lo, s0
	v_cndmask_b32_e64 v3, 0, 1, s0
	s_delay_alu instid0(VALU_DEP_1)
	v_add_nc_u32_e32 v3, v2, v3
; %bb.1811:
	s_or_b32 exec_lo, exec_lo, s3
	s_mov_b32 s0, 0
	s_mov_b32 s3, -1
	global_store_b8 v[4:5], v3, off
.LBB192_1812:
	s_mov_b32 s6, 0
.LBB192_1813:
	s_delay_alu instid0(SALU_CYCLE_1)
	s_and_b32 vcc_lo, exec_lo, s6
	s_cbranch_vccz .LBB192_1816
; %bb.1814:
	v_cmp_eq_u16_e32 vcc_lo, 29, v13
	s_mov_b32 s0, -1
	s_cbranch_vccz .LBB192_1816
; %bb.1815:
	v_trunc_f64_e32 v[2:3], v[0:1]
	s_mov_b32 s0, 0
	s_mov_b32 s3, -1
	s_delay_alu instid0(VALU_DEP_1) | instskip(NEXT) | instid1(VALU_DEP_1)
	v_ldexp_f64 v[10:11], v[2:3], 0xffffffe0
	v_floor_f64_e32 v[10:11], v[10:11]
	s_delay_alu instid0(VALU_DEP_1) | instskip(SKIP_1) | instid1(VALU_DEP_2)
	v_fma_f64 v[2:3], 0xc1f00000, v[10:11], v[2:3]
	v_cvt_u32_f64_e32 v11, v[10:11]
	v_cvt_u32_f64_e32 v10, v[2:3]
	global_store_b64 v[4:5], v[10:11], off
.LBB192_1816:
	s_mov_b32 s6, 0
.LBB192_1817:
	s_delay_alu instid0(SALU_CYCLE_1)
	s_and_b32 vcc_lo, exec_lo, s6
	s_cbranch_vccz .LBB192_1833
; %bb.1818:
	v_cmp_gt_i16_e32 vcc_lo, 27, v13
	s_mov_b32 s3, -1
	s_cbranch_vccnz .LBB192_1824
; %bb.1819:
	v_cvt_u32_f64_e32 v2, v[0:1]
	v_cmp_lt_i16_e32 vcc_lo, 27, v13
	s_cbranch_vccz .LBB192_1821
; %bb.1820:
	s_mov_b32 s3, 0
	global_store_b32 v[4:5], v2, off
.LBB192_1821:
	s_and_not1_b32 vcc_lo, exec_lo, s3
	s_cbranch_vccnz .LBB192_1823
; %bb.1822:
	global_store_b16 v[4:5], v2, off
.LBB192_1823:
	s_mov_b32 s3, 0
.LBB192_1824:
	s_delay_alu instid0(SALU_CYCLE_1)
	s_and_not1_b32 vcc_lo, exec_lo, s3
	s_cbranch_vccnz .LBB192_1832
; %bb.1825:
	v_cvt_f32_f64_e32 v2, v[0:1]
	v_mov_b32_e32 v7, 0x80
	s_mov_b32 s3, exec_lo
	s_delay_alu instid0(VALU_DEP_2) | instskip(NEXT) | instid1(VALU_DEP_1)
	v_and_b32_e32 v3, 0x7fffffff, v2
	v_cmpx_gt_u32_e32 0x43800000, v3
	s_cbranch_execz .LBB192_1831
; %bb.1826:
	v_cmp_lt_u32_e32 vcc_lo, 0x3bffffff, v3
	s_mov_b32 s6, 0
                                        ; implicit-def: $vgpr3
	s_and_saveexec_b32 s7, vcc_lo
	s_delay_alu instid0(SALU_CYCLE_1)
	s_xor_b32 s7, exec_lo, s7
	s_cbranch_execz .LBB192_2059
; %bb.1827:
	v_bfe_u32 v3, v2, 20, 1
	s_mov_b32 s6, exec_lo
	s_delay_alu instid0(VALU_DEP_1) | instskip(NEXT) | instid1(VALU_DEP_1)
	v_add3_u32 v3, v2, v3, 0x487ffff
	v_lshrrev_b32_e32 v3, 20, v3
	s_or_saveexec_b32 s7, s7
                                        ; implicit-def: $sgpr11
	s_delay_alu instid0(SALU_CYCLE_1)
	s_xor_b32 exec_lo, exec_lo, s7
	s_cbranch_execnz .LBB192_2060
.LBB192_1828:
	s_or_b32 exec_lo, exec_lo, s7
	v_mov_b32_e32 v7, s11
	s_and_saveexec_b32 s7, s6
.LBB192_1829:
	v_lshrrev_b32_e32 v2, 24, v2
	s_delay_alu instid0(VALU_DEP_1)
	v_and_or_b32 v7, 0x80, v2, v3
.LBB192_1830:
	s_or_b32 exec_lo, exec_lo, s7
.LBB192_1831:
	s_delay_alu instid0(SALU_CYCLE_1)
	s_or_b32 exec_lo, exec_lo, s3
	global_store_b8 v[4:5], v7, off
.LBB192_1832:
	s_mov_b32 s3, -1
.LBB192_1833:
	s_mov_b32 s6, 0
.LBB192_1834:
	s_delay_alu instid0(SALU_CYCLE_1)
	s_and_b32 vcc_lo, exec_lo, s6
	s_cbranch_vccz .LBB192_1874
; %bb.1835:
	v_cmp_lt_i16_e32 vcc_lo, 22, v13
	s_mov_b32 s1, -1
	s_cbranch_vccz .LBB192_1867
; %bb.1836:
	v_cmp_gt_i16_e32 vcc_lo, 24, v13
	s_cbranch_vccnz .LBB192_1856
; %bb.1837:
	v_cmp_lt_i16_e32 vcc_lo, 24, v13
	s_cbranch_vccz .LBB192_1845
; %bb.1838:
	v_cvt_f32_f64_e32 v2, v[0:1]
	v_mov_b32_e32 v7, 0x80
	s_mov_b32 s1, exec_lo
	s_delay_alu instid0(VALU_DEP_2) | instskip(NEXT) | instid1(VALU_DEP_1)
	v_and_b32_e32 v3, 0x7fffffff, v2
	v_cmpx_gt_u32_e32 0x47800000, v3
	s_cbranch_execz .LBB192_1844
; %bb.1839:
	v_cmp_lt_u32_e32 vcc_lo, 0x37ffffff, v3
	s_mov_b32 s3, 0
                                        ; implicit-def: $vgpr3
	s_and_saveexec_b32 s6, vcc_lo
	s_delay_alu instid0(SALU_CYCLE_1)
	s_xor_b32 s6, exec_lo, s6
	s_cbranch_execz .LBB192_2065
; %bb.1840:
	v_bfe_u32 v3, v2, 21, 1
	s_mov_b32 s3, exec_lo
	s_delay_alu instid0(VALU_DEP_1) | instskip(NEXT) | instid1(VALU_DEP_1)
	v_add3_u32 v3, v2, v3, 0x88fffff
	v_lshrrev_b32_e32 v3, 21, v3
	s_or_saveexec_b32 s6, s6
                                        ; implicit-def: $sgpr7
	s_delay_alu instid0(SALU_CYCLE_1)
	s_xor_b32 exec_lo, exec_lo, s6
	s_cbranch_execnz .LBB192_2066
.LBB192_1841:
	s_or_b32 exec_lo, exec_lo, s6
	v_mov_b32_e32 v7, s7
	s_and_saveexec_b32 s6, s3
.LBB192_1842:
	v_lshrrev_b32_e32 v2, 24, v2
	s_delay_alu instid0(VALU_DEP_1)
	v_and_or_b32 v7, 0x80, v2, v3
.LBB192_1843:
	s_or_b32 exec_lo, exec_lo, s6
.LBB192_1844:
	s_delay_alu instid0(SALU_CYCLE_1)
	s_or_b32 exec_lo, exec_lo, s1
	s_mov_b32 s1, 0
	global_store_b8 v[4:5], v7, off
.LBB192_1845:
	s_and_b32 vcc_lo, exec_lo, s1
	s_cbranch_vccz .LBB192_1855
; %bb.1846:
	v_cvt_f32_f64_e32 v2, v[0:1]
	s_mov_b32 s1, exec_lo
                                        ; implicit-def: $vgpr3
	s_delay_alu instid0(VALU_DEP_1) | instskip(NEXT) | instid1(VALU_DEP_1)
	v_and_b32_e32 v7, 0x7fffffff, v2
	v_cmpx_gt_u32_e32 0x43f00000, v7
	s_xor_b32 s1, exec_lo, s1
	s_cbranch_execz .LBB192_1852
; %bb.1847:
	s_mov_b32 s3, exec_lo
                                        ; implicit-def: $vgpr3
	v_cmpx_lt_u32_e32 0x3c7fffff, v7
	s_xor_b32 s3, exec_lo, s3
; %bb.1848:
	v_bfe_u32 v3, v2, 20, 1
	s_delay_alu instid0(VALU_DEP_1) | instskip(NEXT) | instid1(VALU_DEP_1)
	v_add3_u32 v3, v2, v3, 0x407ffff
	v_and_b32_e32 v7, 0xff00000, v3
	v_lshrrev_b32_e32 v3, 20, v3
	s_delay_alu instid0(VALU_DEP_2) | instskip(NEXT) | instid1(VALU_DEP_2)
	v_cmp_ne_u32_e32 vcc_lo, 0x7f00000, v7
	v_cndmask_b32_e32 v3, 0x7e, v3, vcc_lo
; %bb.1849:
	s_and_not1_saveexec_b32 s3, s3
; %bb.1850:
	v_add_f32_e64 v3, 0x46800000, |v2|
; %bb.1851:
	s_or_b32 exec_lo, exec_lo, s3
                                        ; implicit-def: $vgpr7
.LBB192_1852:
	s_and_not1_saveexec_b32 s1, s1
; %bb.1853:
	v_mov_b32_e32 v3, 0x7f
	v_cmp_lt_u32_e32 vcc_lo, 0x7f800000, v7
	s_delay_alu instid0(VALU_DEP_2)
	v_cndmask_b32_e32 v3, 0x7e, v3, vcc_lo
; %bb.1854:
	s_or_b32 exec_lo, exec_lo, s1
	v_lshrrev_b32_e32 v2, 24, v2
	s_delay_alu instid0(VALU_DEP_1)
	v_and_or_b32 v2, 0x80, v2, v3
	global_store_b8 v[4:5], v2, off
.LBB192_1855:
	s_mov_b32 s1, 0
.LBB192_1856:
	s_delay_alu instid0(SALU_CYCLE_1)
	s_and_not1_b32 vcc_lo, exec_lo, s1
	s_cbranch_vccnz .LBB192_1866
; %bb.1857:
	v_cvt_f32_f64_e32 v2, v[0:1]
	s_mov_b32 s1, exec_lo
                                        ; implicit-def: $vgpr3
	s_delay_alu instid0(VALU_DEP_1) | instskip(NEXT) | instid1(VALU_DEP_1)
	v_and_b32_e32 v7, 0x7fffffff, v2
	v_cmpx_gt_u32_e32 0x47800000, v7
	s_xor_b32 s1, exec_lo, s1
	s_cbranch_execz .LBB192_1863
; %bb.1858:
	s_mov_b32 s3, exec_lo
                                        ; implicit-def: $vgpr3
	v_cmpx_lt_u32_e32 0x387fffff, v7
	s_xor_b32 s3, exec_lo, s3
; %bb.1859:
	v_bfe_u32 v3, v2, 21, 1
	s_delay_alu instid0(VALU_DEP_1) | instskip(NEXT) | instid1(VALU_DEP_1)
	v_add3_u32 v3, v2, v3, 0x80fffff
	v_lshrrev_b32_e32 v3, 21, v3
; %bb.1860:
	s_and_not1_saveexec_b32 s3, s3
; %bb.1861:
	v_add_f32_e64 v3, 0x43000000, |v2|
; %bb.1862:
	s_or_b32 exec_lo, exec_lo, s3
                                        ; implicit-def: $vgpr7
.LBB192_1863:
	s_and_not1_saveexec_b32 s1, s1
; %bb.1864:
	v_mov_b32_e32 v3, 0x7f
	v_cmp_lt_u32_e32 vcc_lo, 0x7f800000, v7
	s_delay_alu instid0(VALU_DEP_2)
	v_cndmask_b32_e32 v3, 0x7c, v3, vcc_lo
; %bb.1865:
	s_or_b32 exec_lo, exec_lo, s1
	v_lshrrev_b32_e32 v2, 24, v2
	s_delay_alu instid0(VALU_DEP_1)
	v_and_or_b32 v2, 0x80, v2, v3
	global_store_b8 v[4:5], v2, off
.LBB192_1866:
	s_mov_b32 s1, 0
	s_mov_b32 s3, -1
.LBB192_1867:
	s_and_not1_b32 vcc_lo, exec_lo, s1
	s_mov_b32 s1, 0
	s_cbranch_vccnz .LBB192_1874
; %bb.1868:
	v_cmp_lt_i16_e32 vcc_lo, 14, v13
	s_mov_b32 s1, -1
	s_cbranch_vccz .LBB192_1872
; %bb.1869:
	v_cmp_eq_u16_e32 vcc_lo, 15, v13
	s_mov_b32 s0, -1
	s_cbranch_vccz .LBB192_1871
; %bb.1870:
	v_cvt_f32_f64_e32 v2, v[0:1]
	s_mov_b32 s0, 0
	s_mov_b32 s3, -1
	s_delay_alu instid0(VALU_DEP_1) | instskip(SKIP_1) | instid1(VALU_DEP_2)
	v_bfe_u32 v3, v2, 16, 1
	v_cmp_o_f32_e32 vcc_lo, v2, v2
	v_add3_u32 v3, v2, v3, 0x7fff
	s_delay_alu instid0(VALU_DEP_1) | instskip(NEXT) | instid1(VALU_DEP_1)
	v_lshrrev_b32_e32 v3, 16, v3
	v_cndmask_b32_e32 v2, 0x7fc0, v3, vcc_lo
	global_store_b16 v[4:5], v2, off
.LBB192_1871:
	s_mov_b32 s1, 0
.LBB192_1872:
	s_delay_alu instid0(SALU_CYCLE_1)
	s_and_b32 vcc_lo, exec_lo, s1
	s_mov_b32 s1, 0
	s_cbranch_vccz .LBB192_1874
; %bb.1873:
	v_cmp_ne_u16_e64 s0, 11, v13
	s_mov_b32 s1, -1
.LBB192_1874:
	s_delay_alu instid0(VALU_DEP_1)
	s_and_b32 vcc_lo, exec_lo, s0
	s_cbranch_vccnz .LBB192_2063
; %bb.1875:
	s_and_not1_b32 vcc_lo, exec_lo, s1
	s_cbranch_vccnz .LBB192_1877
.LBB192_1876:
	v_cmp_neq_f64_e32 vcc_lo, 0, v[0:1]
	s_mov_b32 s3, -1
	v_cndmask_b32_e64 v2, 0, 1, vcc_lo
	global_store_b8 v[4:5], v2, off
.LBB192_1877:
	s_mov_b32 s0, 0
	s_branch .LBB192_1879
.LBB192_1878:
	s_mov_b32 s0, -1
	s_mov_b32 s3, 0
.LBB192_1879:
	s_and_b32 vcc_lo, exec_lo, s0
	s_cbranch_vccz .LBB192_1918
; %bb.1880:
	v_cmp_gt_i16_e32 vcc_lo, 5, v13
	s_mov_b32 s0, -1
	s_cbranch_vccnz .LBB192_1901
; %bb.1881:
	v_cmp_gt_i16_e32 vcc_lo, 8, v13
	s_cbranch_vccnz .LBB192_1891
; %bb.1882:
	v_cmp_gt_i16_e32 vcc_lo, 9, v13
	s_cbranch_vccnz .LBB192_1888
; %bb.1883:
	v_cmp_lt_i16_e32 vcc_lo, 9, v13
	s_cbranch_vccz .LBB192_1885
; %bb.1884:
	v_mov_b32_e32 v2, 0
	s_mov_b32 s0, 0
	s_delay_alu instid0(VALU_DEP_1)
	v_mov_b32_e32 v3, v2
	global_store_b128 v[4:5], v[0:3], off
.LBB192_1885:
	s_and_not1_b32 vcc_lo, exec_lo, s0
	s_cbranch_vccnz .LBB192_1887
; %bb.1886:
	v_cvt_f32_f64_e32 v2, v[0:1]
	v_mov_b32_e32 v3, 0
	global_store_b64 v[4:5], v[2:3], off
.LBB192_1887:
	s_mov_b32 s0, 0
.LBB192_1888:
	s_delay_alu instid0(SALU_CYCLE_1)
	s_and_not1_b32 vcc_lo, exec_lo, s0
	s_cbranch_vccnz .LBB192_1890
; %bb.1889:
	v_cvt_f32_f64_e32 v2, v[0:1]
	s_delay_alu instid0(VALU_DEP_1) | instskip(NEXT) | instid1(VALU_DEP_1)
	v_cvt_f16_f32_e32 v2, v2
	v_and_b32_e32 v2, 0xffff, v2
	global_store_b32 v[4:5], v2, off
.LBB192_1890:
	s_mov_b32 s0, 0
.LBB192_1891:
	s_delay_alu instid0(SALU_CYCLE_1)
	s_and_not1_b32 vcc_lo, exec_lo, s0
	s_cbranch_vccnz .LBB192_1900
; %bb.1892:
	v_cmp_gt_i16_e32 vcc_lo, 6, v13
	s_mov_b32 s0, -1
	s_cbranch_vccnz .LBB192_1898
; %bb.1893:
	v_cmp_lt_i16_e32 vcc_lo, 6, v13
	s_cbranch_vccz .LBB192_1895
; %bb.1894:
	s_mov_b32 s0, 0
	global_store_b64 v[4:5], v[0:1], off
.LBB192_1895:
	s_and_not1_b32 vcc_lo, exec_lo, s0
	s_cbranch_vccnz .LBB192_1897
; %bb.1896:
	v_cvt_f32_f64_e32 v2, v[0:1]
	global_store_b32 v[4:5], v2, off
.LBB192_1897:
	s_mov_b32 s0, 0
.LBB192_1898:
	s_delay_alu instid0(SALU_CYCLE_1)
	s_and_not1_b32 vcc_lo, exec_lo, s0
	s_cbranch_vccnz .LBB192_1900
; %bb.1899:
	v_cvt_f32_f64_e32 v2, v[0:1]
	s_delay_alu instid0(VALU_DEP_1)
	v_cvt_f16_f32_e32 v2, v2
	global_store_b16 v[4:5], v2, off
.LBB192_1900:
	s_mov_b32 s0, 0
.LBB192_1901:
	s_delay_alu instid0(SALU_CYCLE_1)
	s_and_not1_b32 vcc_lo, exec_lo, s0
	s_cbranch_vccnz .LBB192_1917
; %bb.1902:
	v_cmp_gt_i16_e32 vcc_lo, 2, v13
	s_mov_b32 s0, -1
	s_cbranch_vccnz .LBB192_1912
; %bb.1903:
	v_cmp_gt_i16_e32 vcc_lo, 3, v13
	s_cbranch_vccnz .LBB192_1909
; %bb.1904:
	v_cmp_lt_i16_e32 vcc_lo, 3, v13
	s_cbranch_vccz .LBB192_1906
; %bb.1905:
	v_trunc_f64_e32 v[2:3], v[0:1]
	s_mov_b32 s0, 0
	s_delay_alu instid0(VALU_DEP_1) | instskip(NEXT) | instid1(VALU_DEP_1)
	v_ldexp_f64 v[10:11], v[2:3], 0xffffffe0
	v_floor_f64_e32 v[10:11], v[10:11]
	s_delay_alu instid0(VALU_DEP_1) | instskip(SKIP_1) | instid1(VALU_DEP_2)
	v_fma_f64 v[2:3], 0xc1f00000, v[10:11], v[2:3]
	v_cvt_i32_f64_e32 v11, v[10:11]
	v_cvt_u32_f64_e32 v10, v[2:3]
	global_store_b64 v[4:5], v[10:11], off
.LBB192_1906:
	s_and_not1_b32 vcc_lo, exec_lo, s0
	s_cbranch_vccnz .LBB192_1908
; %bb.1907:
	v_cvt_i32_f64_e32 v2, v[0:1]
	global_store_b32 v[4:5], v2, off
.LBB192_1908:
	s_mov_b32 s0, 0
.LBB192_1909:
	s_delay_alu instid0(SALU_CYCLE_1)
	s_and_not1_b32 vcc_lo, exec_lo, s0
	s_cbranch_vccnz .LBB192_1911
; %bb.1910:
	v_cvt_i32_f64_e32 v2, v[0:1]
	global_store_b16 v[4:5], v2, off
.LBB192_1911:
	s_mov_b32 s0, 0
.LBB192_1912:
	s_delay_alu instid0(SALU_CYCLE_1)
	s_and_not1_b32 vcc_lo, exec_lo, s0
	s_cbranch_vccnz .LBB192_1917
; %bb.1913:
	v_cmp_lt_i16_e32 vcc_lo, 0, v13
	s_mov_b32 s0, -1
	s_cbranch_vccz .LBB192_1915
; %bb.1914:
	v_cvt_i32_f64_e32 v2, v[0:1]
	s_mov_b32 s0, 0
	global_store_b8 v[4:5], v2, off
.LBB192_1915:
	s_and_not1_b32 vcc_lo, exec_lo, s0
	s_cbranch_vccnz .LBB192_1917
; %bb.1916:
	v_trunc_f64_e32 v[0:1], v[0:1]
	s_delay_alu instid0(VALU_DEP_1) | instskip(NEXT) | instid1(VALU_DEP_1)
	v_ldexp_f64 v[2:3], v[0:1], 0xffffffe0
	v_floor_f64_e32 v[2:3], v[2:3]
	s_delay_alu instid0(VALU_DEP_1) | instskip(NEXT) | instid1(VALU_DEP_1)
	v_fma_f64 v[0:1], 0xc1f00000, v[2:3], v[0:1]
	v_cvt_u32_f64_e32 v0, v[0:1]
	global_store_b8 v[4:5], v0, off
.LBB192_1917:
	s_mov_b32 s3, -1
.LBB192_1918:
	s_delay_alu instid0(SALU_CYCLE_1)
	s_and_not1_b32 vcc_lo, exec_lo, s3
	s_cbranch_vccnz .LBB192_1995
; %bb.1919:
	v_rsq_f64_e32 v[0:1], v[8:9]
	v_cmp_gt_i16_e64 s0, 11, v13
	s_waitcnt_depctr 0xfff
	v_mul_f64 v[2:3], v[0:1], -v[8:9]
	v_cmp_class_f64_e64 vcc_lo, v[0:1], 0x180
	s_delay_alu instid0(VALU_DEP_2) | instskip(NEXT) | instid1(VALU_DEP_1)
	v_fma_f64 v[2:3], v[2:3], v[0:1], 1.0
	v_mul_f64 v[4:5], v[0:1], v[2:3]
	v_fma_f64 v[2:3], 0x3fd80000, v[2:3], 0.5
	s_delay_alu instid0(VALU_DEP_1) | instskip(NEXT) | instid1(VALU_DEP_1)
	v_fma_f64 v[2:3], v[4:5], v[2:3], v[0:1]
	v_dual_cndmask_b32 v1, v1, v3 :: v_dual_add_nc_u32 v4, s2, v6
	s_delay_alu instid0(VALU_DEP_1) | instskip(SKIP_1) | instid1(VALU_DEP_4)
	v_ashrrev_i32_e32 v5, 31, v4
	v_add_co_u32 v4, s1, s4, v4
	v_cndmask_b32_e32 v0, v0, v2, vcc_lo
	s_and_b32 vcc_lo, exec_lo, s0
	s_delay_alu instid0(VALU_DEP_3)
	v_add_co_ci_u32_e64 v5, s1, s5, v5, s1
	s_cbranch_vccnz .LBB192_2040
; %bb.1920:
	v_cmp_lt_i16_e32 vcc_lo, 25, v13
	s_mov_b32 s2, -1
	s_mov_b32 s1, 0
	s_mov_b32 s0, 0
	s_cbranch_vccz .LBB192_1953
; %bb.1921:
	v_cmp_lt_i16_e32 vcc_lo, 28, v13
	s_cbranch_vccz .LBB192_1937
; %bb.1922:
	v_cmp_lt_i16_e32 vcc_lo, 43, v13
	;; [unrolled: 3-line block ×3, first 2 shown]
	s_cbranch_vccz .LBB192_1927
; %bb.1924:
	v_cmp_eq_u16_e32 vcc_lo, 46, v13
	s_mov_b32 s0, -1
	s_cbranch_vccz .LBB192_1926
; %bb.1925:
	v_cvt_f32_f64_e32 v2, v[0:1]
	s_mov_b32 s0, 0
	s_delay_alu instid0(VALU_DEP_1) | instskip(SKIP_1) | instid1(VALU_DEP_2)
	v_bfe_u32 v3, v2, 16, 1
	v_cmp_o_f32_e32 vcc_lo, v2, v2
	v_add3_u32 v3, v2, v3, 0x7fff
	s_delay_alu instid0(VALU_DEP_1) | instskip(NEXT) | instid1(VALU_DEP_1)
	v_lshrrev_b32_e32 v3, 16, v3
	v_cndmask_b32_e32 v2, 0x7fc0, v3, vcc_lo
	global_store_b32 v[4:5], v2, off
.LBB192_1926:
	s_mov_b32 s2, 0
.LBB192_1927:
	s_delay_alu instid0(SALU_CYCLE_1)
	s_and_b32 vcc_lo, exec_lo, s2
	s_cbranch_vccz .LBB192_1932
; %bb.1928:
	v_cmp_eq_u16_e32 vcc_lo, 44, v13
	s_mov_b32 s0, -1
	s_cbranch_vccz .LBB192_1932
; %bb.1929:
	v_cvt_f32_f64_e32 v2, v[0:1]
	v_mov_b32_e32 v3, 0xff
	s_mov_b32 s2, exec_lo
	s_delay_alu instid0(VALU_DEP_2) | instskip(NEXT) | instid1(VALU_DEP_1)
	v_bfe_u32 v6, v2, 23, 8
	v_cmpx_ne_u32_e32 0xff, v6
; %bb.1930:
	v_and_b32_e32 v3, 0x400000, v2
	v_and_or_b32 v6, 0x3fffff, v2, v6
	v_lshrrev_b32_e32 v2, 23, v2
	s_delay_alu instid0(VALU_DEP_3) | instskip(NEXT) | instid1(VALU_DEP_3)
	v_cmp_ne_u32_e32 vcc_lo, 0, v3
	v_cmp_ne_u32_e64 s0, 0, v6
	s_delay_alu instid0(VALU_DEP_1) | instskip(NEXT) | instid1(SALU_CYCLE_1)
	s_and_b32 s0, vcc_lo, s0
	v_cndmask_b32_e64 v3, 0, 1, s0
	s_delay_alu instid0(VALU_DEP_1)
	v_add_nc_u32_e32 v3, v2, v3
; %bb.1931:
	s_or_b32 exec_lo, exec_lo, s2
	s_mov_b32 s0, 0
	global_store_b8 v[4:5], v3, off
.LBB192_1932:
	s_mov_b32 s2, 0
.LBB192_1933:
	s_delay_alu instid0(SALU_CYCLE_1)
	s_and_b32 vcc_lo, exec_lo, s2
	s_cbranch_vccz .LBB192_1936
; %bb.1934:
	v_cmp_eq_u16_e32 vcc_lo, 29, v13
	s_mov_b32 s0, -1
	s_cbranch_vccz .LBB192_1936
; %bb.1935:
	v_trunc_f64_e32 v[2:3], v[0:1]
	s_mov_b32 s0, 0
	s_delay_alu instid0(VALU_DEP_1) | instskip(NEXT) | instid1(VALU_DEP_1)
	v_ldexp_f64 v[6:7], v[2:3], 0xffffffe0
	v_floor_f64_e32 v[6:7], v[6:7]
	s_delay_alu instid0(VALU_DEP_1) | instskip(SKIP_1) | instid1(VALU_DEP_2)
	v_fma_f64 v[2:3], 0xc1f00000, v[6:7], v[2:3]
	v_cvt_u32_f64_e32 v7, v[6:7]
	v_cvt_u32_f64_e32 v6, v[2:3]
	global_store_b64 v[4:5], v[6:7], off
.LBB192_1936:
	s_mov_b32 s2, 0
.LBB192_1937:
	s_delay_alu instid0(SALU_CYCLE_1)
	s_and_b32 vcc_lo, exec_lo, s2
	s_cbranch_vccz .LBB192_1952
; %bb.1938:
	v_cmp_gt_i16_e32 vcc_lo, 27, v13
	s_mov_b32 s2, -1
	s_cbranch_vccnz .LBB192_1944
; %bb.1939:
	v_cvt_u32_f64_e32 v2, v[0:1]
	v_cmp_lt_i16_e32 vcc_lo, 27, v13
	s_cbranch_vccz .LBB192_1941
; %bb.1940:
	s_mov_b32 s2, 0
	global_store_b32 v[4:5], v2, off
.LBB192_1941:
	s_and_not1_b32 vcc_lo, exec_lo, s2
	s_cbranch_vccnz .LBB192_1943
; %bb.1942:
	global_store_b16 v[4:5], v2, off
.LBB192_1943:
	s_mov_b32 s2, 0
.LBB192_1944:
	s_delay_alu instid0(SALU_CYCLE_1)
	s_and_not1_b32 vcc_lo, exec_lo, s2
	s_cbranch_vccnz .LBB192_1952
; %bb.1945:
	v_cvt_f32_f64_e32 v2, v[0:1]
	v_mov_b32_e32 v6, 0x80
	s_mov_b32 s2, exec_lo
	s_delay_alu instid0(VALU_DEP_2) | instskip(NEXT) | instid1(VALU_DEP_1)
	v_and_b32_e32 v3, 0x7fffffff, v2
	v_cmpx_gt_u32_e32 0x43800000, v3
	s_cbranch_execz .LBB192_1951
; %bb.1946:
	v_cmp_lt_u32_e32 vcc_lo, 0x3bffffff, v3
	s_mov_b32 s3, 0
                                        ; implicit-def: $vgpr3
	s_and_saveexec_b32 s4, vcc_lo
	s_delay_alu instid0(SALU_CYCLE_1)
	s_xor_b32 s4, exec_lo, s4
	s_cbranch_execz .LBB192_2067
; %bb.1947:
	v_bfe_u32 v3, v2, 20, 1
	s_mov_b32 s3, exec_lo
	s_delay_alu instid0(VALU_DEP_1) | instskip(NEXT) | instid1(VALU_DEP_1)
	v_add3_u32 v3, v2, v3, 0x487ffff
	v_lshrrev_b32_e32 v3, 20, v3
	s_or_saveexec_b32 s4, s4
                                        ; implicit-def: $sgpr5
	s_delay_alu instid0(SALU_CYCLE_1)
	s_xor_b32 exec_lo, exec_lo, s4
	s_cbranch_execnz .LBB192_2068
.LBB192_1948:
	s_or_b32 exec_lo, exec_lo, s4
	v_mov_b32_e32 v6, s5
	s_and_saveexec_b32 s4, s3
.LBB192_1949:
	v_lshrrev_b32_e32 v2, 24, v2
	s_delay_alu instid0(VALU_DEP_1)
	v_and_or_b32 v6, 0x80, v2, v3
.LBB192_1950:
	s_or_b32 exec_lo, exec_lo, s4
.LBB192_1951:
	s_delay_alu instid0(SALU_CYCLE_1)
	s_or_b32 exec_lo, exec_lo, s2
	global_store_b8 v[4:5], v6, off
.LBB192_1952:
	s_mov_b32 s2, 0
.LBB192_1953:
	s_delay_alu instid0(SALU_CYCLE_1)
	s_and_b32 vcc_lo, exec_lo, s2
	s_cbranch_vccz .LBB192_1993
; %bb.1954:
	v_cmp_lt_i16_e32 vcc_lo, 22, v13
	s_mov_b32 s1, -1
	s_cbranch_vccz .LBB192_1986
; %bb.1955:
	v_cmp_gt_i16_e32 vcc_lo, 24, v13
	s_cbranch_vccnz .LBB192_1975
; %bb.1956:
	v_cmp_lt_i16_e32 vcc_lo, 24, v13
	s_cbranch_vccz .LBB192_1964
; %bb.1957:
	v_cvt_f32_f64_e32 v2, v[0:1]
	v_mov_b32_e32 v6, 0x80
	s_mov_b32 s1, exec_lo
	s_delay_alu instid0(VALU_DEP_2) | instskip(NEXT) | instid1(VALU_DEP_1)
	v_and_b32_e32 v3, 0x7fffffff, v2
	v_cmpx_gt_u32_e32 0x47800000, v3
	s_cbranch_execz .LBB192_1963
; %bb.1958:
	v_cmp_lt_u32_e32 vcc_lo, 0x37ffffff, v3
	s_mov_b32 s2, 0
                                        ; implicit-def: $vgpr3
	s_and_saveexec_b32 s3, vcc_lo
	s_delay_alu instid0(SALU_CYCLE_1)
	s_xor_b32 s3, exec_lo, s3
	s_cbranch_execz .LBB192_2073
; %bb.1959:
	v_bfe_u32 v3, v2, 21, 1
	s_mov_b32 s2, exec_lo
	s_delay_alu instid0(VALU_DEP_1) | instskip(NEXT) | instid1(VALU_DEP_1)
	v_add3_u32 v3, v2, v3, 0x88fffff
	v_lshrrev_b32_e32 v3, 21, v3
	s_or_saveexec_b32 s3, s3
                                        ; implicit-def: $sgpr4
	s_delay_alu instid0(SALU_CYCLE_1)
	s_xor_b32 exec_lo, exec_lo, s3
	s_cbranch_execnz .LBB192_2074
.LBB192_1960:
	s_or_b32 exec_lo, exec_lo, s3
	v_mov_b32_e32 v6, s4
	s_and_saveexec_b32 s3, s2
.LBB192_1961:
	v_lshrrev_b32_e32 v2, 24, v2
	s_delay_alu instid0(VALU_DEP_1)
	v_and_or_b32 v6, 0x80, v2, v3
.LBB192_1962:
	s_or_b32 exec_lo, exec_lo, s3
.LBB192_1963:
	s_delay_alu instid0(SALU_CYCLE_1)
	s_or_b32 exec_lo, exec_lo, s1
	s_mov_b32 s1, 0
	global_store_b8 v[4:5], v6, off
.LBB192_1964:
	s_and_b32 vcc_lo, exec_lo, s1
	s_cbranch_vccz .LBB192_1974
; %bb.1965:
	v_cvt_f32_f64_e32 v2, v[0:1]
	s_mov_b32 s1, exec_lo
                                        ; implicit-def: $vgpr3
	s_delay_alu instid0(VALU_DEP_1) | instskip(NEXT) | instid1(VALU_DEP_1)
	v_and_b32_e32 v6, 0x7fffffff, v2
	v_cmpx_gt_u32_e32 0x43f00000, v6
	s_xor_b32 s1, exec_lo, s1
	s_cbranch_execz .LBB192_1971
; %bb.1966:
	s_mov_b32 s2, exec_lo
                                        ; implicit-def: $vgpr3
	v_cmpx_lt_u32_e32 0x3c7fffff, v6
	s_xor_b32 s2, exec_lo, s2
; %bb.1967:
	v_bfe_u32 v3, v2, 20, 1
	s_delay_alu instid0(VALU_DEP_1) | instskip(NEXT) | instid1(VALU_DEP_1)
	v_add3_u32 v3, v2, v3, 0x407ffff
	v_and_b32_e32 v6, 0xff00000, v3
	v_lshrrev_b32_e32 v3, 20, v3
	s_delay_alu instid0(VALU_DEP_2) | instskip(NEXT) | instid1(VALU_DEP_2)
	v_cmp_ne_u32_e32 vcc_lo, 0x7f00000, v6
	v_cndmask_b32_e32 v3, 0x7e, v3, vcc_lo
; %bb.1968:
	s_and_not1_saveexec_b32 s2, s2
; %bb.1969:
	v_add_f32_e64 v3, 0x46800000, |v2|
; %bb.1970:
	s_or_b32 exec_lo, exec_lo, s2
                                        ; implicit-def: $vgpr6
.LBB192_1971:
	s_and_not1_saveexec_b32 s1, s1
; %bb.1972:
	v_mov_b32_e32 v3, 0x7f
	v_cmp_lt_u32_e32 vcc_lo, 0x7f800000, v6
	s_delay_alu instid0(VALU_DEP_2)
	v_cndmask_b32_e32 v3, 0x7e, v3, vcc_lo
; %bb.1973:
	s_or_b32 exec_lo, exec_lo, s1
	v_lshrrev_b32_e32 v2, 24, v2
	s_delay_alu instid0(VALU_DEP_1)
	v_and_or_b32 v2, 0x80, v2, v3
	global_store_b8 v[4:5], v2, off
.LBB192_1974:
	s_mov_b32 s1, 0
.LBB192_1975:
	s_delay_alu instid0(SALU_CYCLE_1)
	s_and_not1_b32 vcc_lo, exec_lo, s1
	s_cbranch_vccnz .LBB192_1985
; %bb.1976:
	v_cvt_f32_f64_e32 v2, v[0:1]
	s_mov_b32 s1, exec_lo
                                        ; implicit-def: $vgpr3
	s_delay_alu instid0(VALU_DEP_1) | instskip(NEXT) | instid1(VALU_DEP_1)
	v_and_b32_e32 v6, 0x7fffffff, v2
	v_cmpx_gt_u32_e32 0x47800000, v6
	s_xor_b32 s1, exec_lo, s1
	s_cbranch_execz .LBB192_1982
; %bb.1977:
	s_mov_b32 s2, exec_lo
                                        ; implicit-def: $vgpr3
	v_cmpx_lt_u32_e32 0x387fffff, v6
	s_xor_b32 s2, exec_lo, s2
; %bb.1978:
	v_bfe_u32 v3, v2, 21, 1
	s_delay_alu instid0(VALU_DEP_1) | instskip(NEXT) | instid1(VALU_DEP_1)
	v_add3_u32 v3, v2, v3, 0x80fffff
	v_lshrrev_b32_e32 v3, 21, v3
; %bb.1979:
	s_and_not1_saveexec_b32 s2, s2
; %bb.1980:
	v_add_f32_e64 v3, 0x43000000, |v2|
; %bb.1981:
	s_or_b32 exec_lo, exec_lo, s2
                                        ; implicit-def: $vgpr6
.LBB192_1982:
	s_and_not1_saveexec_b32 s1, s1
; %bb.1983:
	v_mov_b32_e32 v3, 0x7f
	v_cmp_lt_u32_e32 vcc_lo, 0x7f800000, v6
	s_delay_alu instid0(VALU_DEP_2)
	v_cndmask_b32_e32 v3, 0x7c, v3, vcc_lo
; %bb.1984:
	s_or_b32 exec_lo, exec_lo, s1
	v_lshrrev_b32_e32 v2, 24, v2
	s_delay_alu instid0(VALU_DEP_1)
	v_and_or_b32 v2, 0x80, v2, v3
	global_store_b8 v[4:5], v2, off
.LBB192_1985:
	s_mov_b32 s1, 0
.LBB192_1986:
	s_delay_alu instid0(SALU_CYCLE_1)
	s_and_not1_b32 vcc_lo, exec_lo, s1
	s_mov_b32 s1, 0
	s_cbranch_vccnz .LBB192_1993
; %bb.1987:
	v_cmp_lt_i16_e32 vcc_lo, 14, v13
	s_mov_b32 s1, -1
	s_cbranch_vccz .LBB192_1991
; %bb.1988:
	v_cmp_eq_u16_e32 vcc_lo, 15, v13
	s_mov_b32 s0, -1
	s_cbranch_vccz .LBB192_1990
; %bb.1989:
	v_cvt_f32_f64_e32 v2, v[0:1]
	s_mov_b32 s0, 0
	s_delay_alu instid0(VALU_DEP_1) | instskip(SKIP_1) | instid1(VALU_DEP_2)
	v_bfe_u32 v3, v2, 16, 1
	v_cmp_o_f32_e32 vcc_lo, v2, v2
	v_add3_u32 v3, v2, v3, 0x7fff
	s_delay_alu instid0(VALU_DEP_1) | instskip(NEXT) | instid1(VALU_DEP_1)
	v_lshrrev_b32_e32 v3, 16, v3
	v_cndmask_b32_e32 v2, 0x7fc0, v3, vcc_lo
	global_store_b16 v[4:5], v2, off
.LBB192_1990:
	s_mov_b32 s1, 0
.LBB192_1991:
	s_delay_alu instid0(SALU_CYCLE_1)
	s_and_b32 vcc_lo, exec_lo, s1
	s_mov_b32 s1, 0
	s_cbranch_vccz .LBB192_1993
; %bb.1992:
	v_cmp_ne_u16_e64 s0, 11, v13
	s_mov_b32 s1, -1
.LBB192_1993:
	s_delay_alu instid0(VALU_DEP_1)
	s_and_b32 vcc_lo, exec_lo, s0
	s_cbranch_vccnz .LBB192_2071
.LBB192_1994:
	s_mov_b32 s0, 0
	s_branch .LBB192_1996
.LBB192_1995:
	s_mov_b32 s0, 0
	s_mov_b32 s1, 0
                                        ; implicit-def: $vgpr13
                                        ; implicit-def: $vgpr4_vgpr5
                                        ; implicit-def: $vgpr0_vgpr1
.LBB192_1996:
	s_and_not1_b32 s2, s10, exec_lo
	s_and_b32 s3, s8, exec_lo
	s_and_b32 s0, s0, exec_lo
	;; [unrolled: 1-line block ×3, first 2 shown]
	s_or_b32 s10, s2, s3
.LBB192_1997:
	s_or_b32 exec_lo, exec_lo, s9
	s_and_saveexec_b32 s1, s10
	s_cbranch_execz .LBB192_2000
; %bb.1998:
	; divergent unreachable
	s_or_b32 exec_lo, exec_lo, s1
	s_and_saveexec_b32 s1, s8
	s_delay_alu instid0(SALU_CYCLE_1)
	s_xor_b32 s1, exec_lo, s1
	s_cbranch_execnz .LBB192_2001
.LBB192_1999:
	s_or_b32 exec_lo, exec_lo, s1
	s_and_saveexec_b32 s1, s0
	s_cbranch_execnz .LBB192_2002
	s_branch .LBB192_2039
.LBB192_2000:
	s_or_b32 exec_lo, exec_lo, s1
	s_and_saveexec_b32 s1, s8
	s_delay_alu instid0(SALU_CYCLE_1)
	s_xor_b32 s1, exec_lo, s1
	s_cbranch_execz .LBB192_1999
.LBB192_2001:
	s_waitcnt vmcnt(0)
	s_delay_alu instid0(VALU_DEP_1)
	v_cmp_neq_f64_e32 vcc_lo, 0, v[0:1]
	v_cndmask_b32_e64 v2, 0, 1, vcc_lo
	global_store_b8 v[4:5], v2, off
	s_or_b32 exec_lo, exec_lo, s1
	s_and_saveexec_b32 s1, s0
	s_cbranch_execz .LBB192_2039
.LBB192_2002:
	v_cmp_gt_i16_e32 vcc_lo, 5, v13
	s_mov_b32 s0, -1
	s_cbranch_vccnz .LBB192_2023
; %bb.2003:
	v_cmp_gt_i16_e32 vcc_lo, 8, v13
	s_cbranch_vccnz .LBB192_2013
; %bb.2004:
	v_cmp_gt_i16_e32 vcc_lo, 9, v13
	s_cbranch_vccnz .LBB192_2010
; %bb.2005:
	v_cmp_lt_i16_e32 vcc_lo, 9, v13
	s_cbranch_vccz .LBB192_2007
; %bb.2006:
	s_waitcnt vmcnt(0)
	v_mov_b32_e32 v2, 0
	s_mov_b32 s0, 0
	s_delay_alu instid0(VALU_DEP_1)
	v_mov_b32_e32 v3, v2
	global_store_b128 v[4:5], v[0:3], off
.LBB192_2007:
	s_and_not1_b32 vcc_lo, exec_lo, s0
	s_cbranch_vccnz .LBB192_2009
; %bb.2008:
	s_waitcnt vmcnt(0)
	v_cvt_f32_f64_e32 v2, v[0:1]
	v_mov_b32_e32 v3, 0
	global_store_b64 v[4:5], v[2:3], off
.LBB192_2009:
	s_mov_b32 s0, 0
.LBB192_2010:
	s_delay_alu instid0(SALU_CYCLE_1)
	s_and_not1_b32 vcc_lo, exec_lo, s0
	s_cbranch_vccnz .LBB192_2012
; %bb.2011:
	s_waitcnt vmcnt(0)
	v_cvt_f32_f64_e32 v2, v[0:1]
	s_delay_alu instid0(VALU_DEP_1) | instskip(NEXT) | instid1(VALU_DEP_1)
	v_cvt_f16_f32_e32 v2, v2
	v_and_b32_e32 v2, 0xffff, v2
	global_store_b32 v[4:5], v2, off
.LBB192_2012:
	s_mov_b32 s0, 0
.LBB192_2013:
	s_delay_alu instid0(SALU_CYCLE_1)
	s_and_not1_b32 vcc_lo, exec_lo, s0
	s_cbranch_vccnz .LBB192_2022
; %bb.2014:
	v_cmp_gt_i16_e32 vcc_lo, 6, v13
	s_mov_b32 s0, -1
	s_cbranch_vccnz .LBB192_2020
; %bb.2015:
	v_cmp_lt_i16_e32 vcc_lo, 6, v13
	s_cbranch_vccz .LBB192_2017
; %bb.2016:
	s_mov_b32 s0, 0
	s_waitcnt vmcnt(0)
	global_store_b64 v[4:5], v[0:1], off
.LBB192_2017:
	s_and_not1_b32 vcc_lo, exec_lo, s0
	s_cbranch_vccnz .LBB192_2019
; %bb.2018:
	s_waitcnt vmcnt(0)
	v_cvt_f32_f64_e32 v2, v[0:1]
	global_store_b32 v[4:5], v2, off
.LBB192_2019:
	s_mov_b32 s0, 0
.LBB192_2020:
	s_delay_alu instid0(SALU_CYCLE_1)
	s_and_not1_b32 vcc_lo, exec_lo, s0
	s_cbranch_vccnz .LBB192_2022
; %bb.2021:
	s_waitcnt vmcnt(0)
	v_cvt_f32_f64_e32 v2, v[0:1]
	s_delay_alu instid0(VALU_DEP_1)
	v_cvt_f16_f32_e32 v2, v2
	global_store_b16 v[4:5], v2, off
.LBB192_2022:
	s_mov_b32 s0, 0
.LBB192_2023:
	s_delay_alu instid0(SALU_CYCLE_1)
	s_and_not1_b32 vcc_lo, exec_lo, s0
	s_cbranch_vccnz .LBB192_2039
; %bb.2024:
	v_cmp_gt_i16_e32 vcc_lo, 2, v13
	s_mov_b32 s0, -1
	s_cbranch_vccnz .LBB192_2034
; %bb.2025:
	v_cmp_gt_i16_e32 vcc_lo, 3, v13
	s_cbranch_vccnz .LBB192_2031
; %bb.2026:
	v_cmp_lt_i16_e32 vcc_lo, 3, v13
	s_cbranch_vccz .LBB192_2028
; %bb.2027:
	s_waitcnt vmcnt(0)
	v_trunc_f64_e32 v[2:3], v[0:1]
	s_mov_b32 s0, 0
	s_delay_alu instid0(VALU_DEP_1) | instskip(NEXT) | instid1(VALU_DEP_1)
	v_ldexp_f64 v[6:7], v[2:3], 0xffffffe0
	v_floor_f64_e32 v[6:7], v[6:7]
	s_delay_alu instid0(VALU_DEP_1) | instskip(SKIP_1) | instid1(VALU_DEP_2)
	v_fma_f64 v[2:3], 0xc1f00000, v[6:7], v[2:3]
	v_cvt_i32_f64_e32 v7, v[6:7]
	v_cvt_u32_f64_e32 v6, v[2:3]
	global_store_b64 v[4:5], v[6:7], off
.LBB192_2028:
	s_and_not1_b32 vcc_lo, exec_lo, s0
	s_cbranch_vccnz .LBB192_2030
; %bb.2029:
	s_waitcnt vmcnt(0)
	v_cvt_i32_f64_e32 v2, v[0:1]
	global_store_b32 v[4:5], v2, off
.LBB192_2030:
	s_mov_b32 s0, 0
.LBB192_2031:
	s_delay_alu instid0(SALU_CYCLE_1)
	s_and_not1_b32 vcc_lo, exec_lo, s0
	s_cbranch_vccnz .LBB192_2033
; %bb.2032:
	s_waitcnt vmcnt(0)
	v_cvt_i32_f64_e32 v2, v[0:1]
	global_store_b16 v[4:5], v2, off
.LBB192_2033:
	s_mov_b32 s0, 0
.LBB192_2034:
	s_delay_alu instid0(SALU_CYCLE_1)
	s_and_not1_b32 vcc_lo, exec_lo, s0
	s_cbranch_vccnz .LBB192_2039
; %bb.2035:
	v_cmp_lt_i16_e32 vcc_lo, 0, v13
	s_mov_b32 s0, -1
	s_cbranch_vccz .LBB192_2037
; %bb.2036:
	s_waitcnt vmcnt(0)
	v_cvt_i32_f64_e32 v2, v[0:1]
	s_mov_b32 s0, 0
	global_store_b8 v[4:5], v2, off
.LBB192_2037:
	s_and_not1_b32 vcc_lo, exec_lo, s0
	s_cbranch_vccnz .LBB192_2039
; %bb.2038:
	s_waitcnt vmcnt(0)
	v_trunc_f64_e32 v[0:1], v[0:1]
	s_delay_alu instid0(VALU_DEP_1) | instskip(NEXT) | instid1(VALU_DEP_1)
	v_ldexp_f64 v[2:3], v[0:1], 0xffffffe0
	v_floor_f64_e32 v[2:3], v[2:3]
	s_delay_alu instid0(VALU_DEP_1) | instskip(NEXT) | instid1(VALU_DEP_1)
	v_fma_f64 v[0:1], 0xc1f00000, v[2:3], v[0:1]
	v_cvt_u32_f64_e32 v0, v[0:1]
	global_store_b8 v[4:5], v0, off
	s_nop 0
	s_sendmsg sendmsg(MSG_DEALLOC_VGPRS)
	s_endpgm
.LBB192_2039:
	s_nop 0
	s_sendmsg sendmsg(MSG_DEALLOC_VGPRS)
	s_endpgm
.LBB192_2040:
	s_mov_b32 s1, 0
	s_mov_b32 s0, -1
	s_branch .LBB192_1996
.LBB192_2041:
	s_cbranch_execnz .LBB192_2045
; %bb.2042:
	s_or_b32 s8, s8, exec_lo
                                        ; implicit-def: $vgpr8_vgpr9
	s_cbranch_execz .LBB192_1510
	s_branch .LBB192_1511
.LBB192_2043:
	s_or_saveexec_b32 s7, s7
                                        ; implicit-def: $sgpr11
	s_delay_alu instid0(SALU_CYCLE_1)
	s_xor_b32 exec_lo, exec_lo, s7
	s_cbranch_execz .LBB192_1590
.LBB192_2044:
	v_add_f32_e64 v3, 0x46000000, |v2|
	s_and_not1_b32 s6, s6, exec_lo
	s_mov_b32 s11, 0
	s_delay_alu instid0(VALU_DEP_1) | instskip(NEXT) | instid1(VALU_DEP_1)
	v_and_b32_e32 v3, 0xff, v3
	v_cmp_ne_u32_e32 vcc_lo, 0, v3
	s_and_b32 s12, vcc_lo, exec_lo
	s_delay_alu instid0(SALU_CYCLE_1)
	s_or_b32 s6, s6, s12
	s_or_b32 exec_lo, exec_lo, s7
	v_mov_b32_e32 v14, s11
	s_and_saveexec_b32 s7, s6
	s_cbranch_execnz .LBB192_1591
	s_branch .LBB192_1592
.LBB192_2045:
	s_trap 2
	s_sendmsg_rtn_b32 s0, sendmsg(MSG_RTN_GET_DOORBELL)
	s_mov_b32 ttmp2, m0
	s_waitcnt lgkmcnt(0)
	s_and_b32 s0, s0, 0x3ff
	s_delay_alu instid0(SALU_CYCLE_1) | instskip(NEXT) | instid1(SALU_CYCLE_1)
	s_bitset1_b32 s0, 10
	s_mov_b32 m0, s0
	s_sendmsg sendmsg(MSG_INTERRUPT)
	s_mov_b32 m0, ttmp2
.LBB192_2046:                           ; =>This Inner Loop Header: Depth=1
	s_sethalt 5
	s_branch .LBB192_2046
.LBB192_2047:
	s_cbranch_execnz .LBB192_2053
; %bb.2048:
	s_or_b32 s8, s8, exec_lo
	s_cbranch_execz .LBB192_1638
	s_branch .LBB192_1639
.LBB192_2049:
	s_or_saveexec_b32 s6, s6
                                        ; implicit-def: $sgpr7
	s_delay_alu instid0(SALU_CYCLE_1)
	s_xor_b32 exec_lo, exec_lo, s6
	s_cbranch_execz .LBB192_1603
.LBB192_2050:
	v_add_f32_e64 v3, 0x42800000, |v2|
	s_and_not1_b32 s3, s3, exec_lo
	s_mov_b32 s7, 0
	s_delay_alu instid0(VALU_DEP_1) | instskip(NEXT) | instid1(VALU_DEP_1)
	v_and_b32_e32 v3, 0xff, v3
	v_cmp_ne_u32_e32 vcc_lo, 0, v3
	s_and_b32 s11, vcc_lo, exec_lo
	s_delay_alu instid0(SALU_CYCLE_1)
	s_or_b32 s3, s3, s11
	s_or_b32 exec_lo, exec_lo, s6
	v_mov_b32_e32 v14, s7
	s_and_saveexec_b32 s6, s3
	s_cbranch_execnz .LBB192_1604
	s_branch .LBB192_1605
.LBB192_2051:
	s_or_saveexec_b32 s7, s7
                                        ; implicit-def: $sgpr11
	s_delay_alu instid0(SALU_CYCLE_1)
	s_xor_b32 exec_lo, exec_lo, s7
	s_cbranch_execz .LBB192_1709
.LBB192_2052:
	v_add_f32_e64 v3, 0x46000000, |v2|
	s_and_not1_b32 s6, s6, exec_lo
	s_mov_b32 s11, 0
	s_delay_alu instid0(VALU_DEP_1) | instskip(NEXT) | instid1(VALU_DEP_1)
	v_and_b32_e32 v3, 0xff, v3
	v_cmp_ne_u32_e32 vcc_lo, 0, v3
	s_and_b32 s12, vcc_lo, exec_lo
	s_delay_alu instid0(SALU_CYCLE_1)
	s_or_b32 s6, s6, s12
	s_or_b32 exec_lo, exec_lo, s7
	v_mov_b32_e32 v11, s11
	s_and_saveexec_b32 s7, s6
	s_cbranch_execnz .LBB192_1710
	s_branch .LBB192_1711
.LBB192_2053:
	s_trap 2
	s_sendmsg_rtn_b32 s0, sendmsg(MSG_RTN_GET_DOORBELL)
	s_mov_b32 ttmp2, m0
	s_waitcnt lgkmcnt(0)
	s_and_b32 s0, s0, 0x3ff
	s_delay_alu instid0(SALU_CYCLE_1) | instskip(NEXT) | instid1(SALU_CYCLE_1)
	s_bitset1_b32 s0, 10
	s_mov_b32 m0, s0
	s_sendmsg sendmsg(MSG_INTERRUPT)
	s_mov_b32 m0, ttmp2
.LBB192_2054:                           ; =>This Inner Loop Header: Depth=1
	s_sethalt 5
	s_branch .LBB192_2054
.LBB192_2055:
	s_cbranch_execnz .LBB192_2061
; %bb.2056:
	s_or_b32 s8, s8, exec_lo
	s_cbranch_execz .LBB192_1757
	s_branch .LBB192_1758
.LBB192_2057:
	s_or_saveexec_b32 s6, s6
                                        ; implicit-def: $sgpr7
	s_delay_alu instid0(SALU_CYCLE_1)
	s_xor_b32 exec_lo, exec_lo, s6
	s_cbranch_execz .LBB192_1722
.LBB192_2058:
	v_add_f32_e64 v3, 0x42800000, |v2|
	s_and_not1_b32 s3, s3, exec_lo
	s_mov_b32 s7, 0
	s_delay_alu instid0(VALU_DEP_1) | instskip(NEXT) | instid1(VALU_DEP_1)
	v_and_b32_e32 v3, 0xff, v3
	v_cmp_ne_u32_e32 vcc_lo, 0, v3
	s_and_b32 s11, vcc_lo, exec_lo
	s_delay_alu instid0(SALU_CYCLE_1)
	s_or_b32 s3, s3, s11
	s_or_b32 exec_lo, exec_lo, s6
	v_mov_b32_e32 v11, s7
	s_and_saveexec_b32 s6, s3
	s_cbranch_execnz .LBB192_1723
	s_branch .LBB192_1724
.LBB192_2059:
	s_or_saveexec_b32 s7, s7
                                        ; implicit-def: $sgpr11
	s_delay_alu instid0(SALU_CYCLE_1)
	s_xor_b32 exec_lo, exec_lo, s7
	s_cbranch_execz .LBB192_1828
.LBB192_2060:
	v_add_f32_e64 v3, 0x46000000, |v2|
	s_and_not1_b32 s6, s6, exec_lo
	s_mov_b32 s11, 0
	s_delay_alu instid0(VALU_DEP_1) | instskip(NEXT) | instid1(VALU_DEP_1)
	v_and_b32_e32 v3, 0xff, v3
	v_cmp_ne_u32_e32 vcc_lo, 0, v3
	s_and_b32 s12, vcc_lo, exec_lo
	s_delay_alu instid0(SALU_CYCLE_1)
	s_or_b32 s6, s6, s12
	s_or_b32 exec_lo, exec_lo, s7
	v_mov_b32_e32 v7, s11
	s_and_saveexec_b32 s7, s6
	s_cbranch_execnz .LBB192_1829
	s_branch .LBB192_1830
.LBB192_2061:
	s_trap 2
	s_sendmsg_rtn_b32 s0, sendmsg(MSG_RTN_GET_DOORBELL)
	s_mov_b32 ttmp2, m0
	s_waitcnt lgkmcnt(0)
	s_and_b32 s0, s0, 0x3ff
	s_delay_alu instid0(SALU_CYCLE_1) | instskip(NEXT) | instid1(SALU_CYCLE_1)
	s_bitset1_b32 s0, 10
	s_mov_b32 m0, s0
	s_sendmsg sendmsg(MSG_INTERRUPT)
	s_mov_b32 m0, ttmp2
.LBB192_2062:                           ; =>This Inner Loop Header: Depth=1
	s_sethalt 5
	s_branch .LBB192_2062
.LBB192_2063:
	s_cbranch_execnz .LBB192_2069
; %bb.2064:
	s_or_b32 s8, s8, exec_lo
	s_cbranch_execz .LBB192_1876
	s_branch .LBB192_1877
.LBB192_2065:
	s_or_saveexec_b32 s6, s6
                                        ; implicit-def: $sgpr7
	s_delay_alu instid0(SALU_CYCLE_1)
	s_xor_b32 exec_lo, exec_lo, s6
	s_cbranch_execz .LBB192_1841
.LBB192_2066:
	v_add_f32_e64 v3, 0x42800000, |v2|
	s_and_not1_b32 s3, s3, exec_lo
	s_mov_b32 s7, 0
	s_delay_alu instid0(VALU_DEP_1) | instskip(NEXT) | instid1(VALU_DEP_1)
	v_and_b32_e32 v3, 0xff, v3
	v_cmp_ne_u32_e32 vcc_lo, 0, v3
	s_and_b32 s11, vcc_lo, exec_lo
	s_delay_alu instid0(SALU_CYCLE_1)
	s_or_b32 s3, s3, s11
	s_or_b32 exec_lo, exec_lo, s6
	v_mov_b32_e32 v7, s7
	s_and_saveexec_b32 s6, s3
	s_cbranch_execnz .LBB192_1842
	s_branch .LBB192_1843
.LBB192_2067:
	s_or_saveexec_b32 s4, s4
                                        ; implicit-def: $sgpr5
	s_delay_alu instid0(SALU_CYCLE_1)
	s_xor_b32 exec_lo, exec_lo, s4
	s_cbranch_execz .LBB192_1948
.LBB192_2068:
	v_add_f32_e64 v3, 0x46000000, |v2|
	s_and_not1_b32 s3, s3, exec_lo
	s_mov_b32 s5, 0
	s_delay_alu instid0(VALU_DEP_1) | instskip(NEXT) | instid1(VALU_DEP_1)
	v_and_b32_e32 v3, 0xff, v3
	v_cmp_ne_u32_e32 vcc_lo, 0, v3
	s_and_b32 s6, vcc_lo, exec_lo
	s_delay_alu instid0(SALU_CYCLE_1)
	s_or_b32 s3, s3, s6
	s_or_b32 exec_lo, exec_lo, s4
	v_mov_b32_e32 v6, s5
	s_and_saveexec_b32 s4, s3
	s_cbranch_execnz .LBB192_1949
	s_branch .LBB192_1950
.LBB192_2069:
	s_trap 2
	s_sendmsg_rtn_b32 s0, sendmsg(MSG_RTN_GET_DOORBELL)
	s_mov_b32 ttmp2, m0
	s_waitcnt lgkmcnt(0)
	s_and_b32 s0, s0, 0x3ff
	s_delay_alu instid0(SALU_CYCLE_1) | instskip(NEXT) | instid1(SALU_CYCLE_1)
	s_bitset1_b32 s0, 10
	s_mov_b32 m0, s0
	s_sendmsg sendmsg(MSG_INTERRUPT)
	s_mov_b32 m0, ttmp2
.LBB192_2070:                           ; =>This Inner Loop Header: Depth=1
	s_sethalt 5
	s_branch .LBB192_2070
.LBB192_2071:
	s_cbranch_execnz .LBB192_2075
; %bb.2072:
	s_mov_b32 s1, 0
	s_or_b32 s8, s8, exec_lo
	s_branch .LBB192_1994
.LBB192_2073:
	s_or_saveexec_b32 s3, s3
                                        ; implicit-def: $sgpr4
	s_delay_alu instid0(SALU_CYCLE_1)
	s_xor_b32 exec_lo, exec_lo, s3
	s_cbranch_execz .LBB192_1960
.LBB192_2074:
	v_add_f32_e64 v3, 0x42800000, |v2|
	s_and_not1_b32 s2, s2, exec_lo
	s_mov_b32 s4, 0
	s_delay_alu instid0(VALU_DEP_1) | instskip(NEXT) | instid1(VALU_DEP_1)
	v_and_b32_e32 v3, 0xff, v3
	v_cmp_ne_u32_e32 vcc_lo, 0, v3
	s_and_b32 s5, vcc_lo, exec_lo
	s_delay_alu instid0(SALU_CYCLE_1)
	s_or_b32 s2, s2, s5
	s_or_b32 exec_lo, exec_lo, s3
	v_mov_b32_e32 v6, s4
	s_and_saveexec_b32 s3, s2
	s_cbranch_execnz .LBB192_1961
	s_branch .LBB192_1962
.LBB192_2075:
	s_trap 2
	s_sendmsg_rtn_b32 s0, sendmsg(MSG_RTN_GET_DOORBELL)
	s_mov_b32 ttmp2, m0
	s_waitcnt lgkmcnt(0)
	s_and_b32 s0, s0, 0x3ff
	s_delay_alu instid0(SALU_CYCLE_1) | instskip(NEXT) | instid1(SALU_CYCLE_1)
	s_bitset1_b32 s0, 10
	s_mov_b32 m0, s0
	s_sendmsg sendmsg(MSG_INTERRUPT)
	s_mov_b32 m0, ttmp2
.LBB192_2076:                           ; =>This Inner Loop Header: Depth=1
	s_sethalt 5
	s_branch .LBB192_2076
	.section	.rodata,"a",@progbits
	.p2align	6, 0x0
	.amdhsa_kernel _ZN2at6native32elementwise_kernel_manual_unrollILi128ELi4EZNS0_15gpu_kernel_implIZZZNS0_17rsqrt_kernel_cudaERNS_18TensorIteratorBaseEENKUlvE0_clEvENKUlvE_clEvEUldE_EEvS4_RKT_EUlibE_EEviT1_
		.amdhsa_group_segment_fixed_size 0
		.amdhsa_private_segment_fixed_size 0
		.amdhsa_kernarg_size 40
		.amdhsa_user_sgpr_count 15
		.amdhsa_user_sgpr_dispatch_ptr 0
		.amdhsa_user_sgpr_queue_ptr 0
		.amdhsa_user_sgpr_kernarg_segment_ptr 1
		.amdhsa_user_sgpr_dispatch_id 0
		.amdhsa_user_sgpr_private_segment_size 0
		.amdhsa_wavefront_size32 1
		.amdhsa_uses_dynamic_stack 0
		.amdhsa_enable_private_segment 0
		.amdhsa_system_sgpr_workgroup_id_x 1
		.amdhsa_system_sgpr_workgroup_id_y 0
		.amdhsa_system_sgpr_workgroup_id_z 0
		.amdhsa_system_sgpr_workgroup_info 0
		.amdhsa_system_vgpr_workitem_id 0
		.amdhsa_next_free_vgpr 16
		.amdhsa_next_free_sgpr 25
		.amdhsa_reserve_vcc 1
		.amdhsa_float_round_mode_32 0
		.amdhsa_float_round_mode_16_64 0
		.amdhsa_float_denorm_mode_32 3
		.amdhsa_float_denorm_mode_16_64 3
		.amdhsa_dx10_clamp 1
		.amdhsa_ieee_mode 1
		.amdhsa_fp16_overflow 0
		.amdhsa_workgroup_processor_mode 1
		.amdhsa_memory_ordered 1
		.amdhsa_forward_progress 0
		.amdhsa_shared_vgpr_count 0
		.amdhsa_exception_fp_ieee_invalid_op 0
		.amdhsa_exception_fp_denorm_src 0
		.amdhsa_exception_fp_ieee_div_zero 0
		.amdhsa_exception_fp_ieee_overflow 0
		.amdhsa_exception_fp_ieee_underflow 0
		.amdhsa_exception_fp_ieee_inexact 0
		.amdhsa_exception_int_div_zero 0
	.end_amdhsa_kernel
	.section	.text._ZN2at6native32elementwise_kernel_manual_unrollILi128ELi4EZNS0_15gpu_kernel_implIZZZNS0_17rsqrt_kernel_cudaERNS_18TensorIteratorBaseEENKUlvE0_clEvENKUlvE_clEvEUldE_EEvS4_RKT_EUlibE_EEviT1_,"axG",@progbits,_ZN2at6native32elementwise_kernel_manual_unrollILi128ELi4EZNS0_15gpu_kernel_implIZZZNS0_17rsqrt_kernel_cudaERNS_18TensorIteratorBaseEENKUlvE0_clEvENKUlvE_clEvEUldE_EEvS4_RKT_EUlibE_EEviT1_,comdat
.Lfunc_end192:
	.size	_ZN2at6native32elementwise_kernel_manual_unrollILi128ELi4EZNS0_15gpu_kernel_implIZZZNS0_17rsqrt_kernel_cudaERNS_18TensorIteratorBaseEENKUlvE0_clEvENKUlvE_clEvEUldE_EEvS4_RKT_EUlibE_EEviT1_, .Lfunc_end192-_ZN2at6native32elementwise_kernel_manual_unrollILi128ELi4EZNS0_15gpu_kernel_implIZZZNS0_17rsqrt_kernel_cudaERNS_18TensorIteratorBaseEENKUlvE0_clEvENKUlvE_clEvEUldE_EEvS4_RKT_EUlibE_EEviT1_
                                        ; -- End function
	.section	.AMDGPU.csdata,"",@progbits
; Kernel info:
; codeLenInByte = 35956
; NumSgprs: 27
; NumVgprs: 16
; ScratchSize: 0
; MemoryBound: 1
; FloatMode: 240
; IeeeMode: 1
; LDSByteSize: 0 bytes/workgroup (compile time only)
; SGPRBlocks: 3
; VGPRBlocks: 1
; NumSGPRsForWavesPerEU: 27
; NumVGPRsForWavesPerEU: 16
; Occupancy: 16
; WaveLimiterHint : 0
; COMPUTE_PGM_RSRC2:SCRATCH_EN: 0
; COMPUTE_PGM_RSRC2:USER_SGPR: 15
; COMPUTE_PGM_RSRC2:TRAP_HANDLER: 0
; COMPUTE_PGM_RSRC2:TGID_X_EN: 1
; COMPUTE_PGM_RSRC2:TGID_Y_EN: 0
; COMPUTE_PGM_RSRC2:TGID_Z_EN: 0
; COMPUTE_PGM_RSRC2:TIDIG_COMP_CNT: 0
	.section	.text._ZN2at6native32elementwise_kernel_manual_unrollILi128ELi4EZNS0_15gpu_kernel_implIZZZNS0_17rsqrt_kernel_cudaERNS_18TensorIteratorBaseEENKUlvE0_clEvENKUlvE_clEvEUldE_EEvS4_RKT_EUlibE0_EEviT1_,"axG",@progbits,_ZN2at6native32elementwise_kernel_manual_unrollILi128ELi4EZNS0_15gpu_kernel_implIZZZNS0_17rsqrt_kernel_cudaERNS_18TensorIteratorBaseEENKUlvE0_clEvENKUlvE_clEvEUldE_EEvS4_RKT_EUlibE0_EEviT1_,comdat
	.globl	_ZN2at6native32elementwise_kernel_manual_unrollILi128ELi4EZNS0_15gpu_kernel_implIZZZNS0_17rsqrt_kernel_cudaERNS_18TensorIteratorBaseEENKUlvE0_clEvENKUlvE_clEvEUldE_EEvS4_RKT_EUlibE0_EEviT1_ ; -- Begin function _ZN2at6native32elementwise_kernel_manual_unrollILi128ELi4EZNS0_15gpu_kernel_implIZZZNS0_17rsqrt_kernel_cudaERNS_18TensorIteratorBaseEENKUlvE0_clEvENKUlvE_clEvEUldE_EEvS4_RKT_EUlibE0_EEviT1_
	.p2align	8
	.type	_ZN2at6native32elementwise_kernel_manual_unrollILi128ELi4EZNS0_15gpu_kernel_implIZZZNS0_17rsqrt_kernel_cudaERNS_18TensorIteratorBaseEENKUlvE0_clEvENKUlvE_clEvEUldE_EEvS4_RKT_EUlibE0_EEviT1_,@function
_ZN2at6native32elementwise_kernel_manual_unrollILi128ELi4EZNS0_15gpu_kernel_implIZZZNS0_17rsqrt_kernel_cudaERNS_18TensorIteratorBaseEENKUlvE0_clEvENKUlvE_clEvEUldE_EEvS4_RKT_EUlibE0_EEviT1_: ; @_ZN2at6native32elementwise_kernel_manual_unrollILi128ELi4EZNS0_15gpu_kernel_implIZZZNS0_17rsqrt_kernel_cudaERNS_18TensorIteratorBaseEENKUlvE0_clEvENKUlvE_clEvEUldE_EEvS4_RKT_EUlibE0_EEviT1_
; %bb.0:
	s_clause 0x1
	s_load_b32 s24, s[0:1], 0x8
	s_load_b32 s30, s[0:1], 0x0
	v_lshl_or_b32 v10, s15, 9, v0
	s_or_b32 s16, s0, 8
	s_mov_b32 s3, -1
	s_mov_b32 s26, 0
	s_mov_b32 s17, s1
	v_or_b32_e32 v2, 0x180, v10
	s_mov_b32 s8, 0
	s_mov_b32 s2, exec_lo
	s_waitcnt lgkmcnt(0)
	s_add_i32 s25, s24, -1
	s_delay_alu instid0(SALU_CYCLE_1)
	s_cmp_gt_u32 s25, 1
	s_cselect_b32 s27, -1, 0
	v_cmpx_le_i32_e64 s30, v2
	s_xor_b32 s28, exec_lo, s2
	s_cbranch_execz .LBB193_1076
; %bb.1:
	v_mov_b32_e32 v0, 0
	s_clause 0x3
	s_load_b128 s[12:15], s[16:17], 0x4
	s_load_b64 s[18:19], s[16:17], 0x14
	s_load_b128 s[8:11], s[16:17], 0xc4
	s_load_b128 s[4:7], s[16:17], 0x148
	s_cmp_lg_u32 s24, 0
	s_mov_b32 s37, 0
	s_cselect_b32 s33, -1, 0
	global_load_u16 v8, v0, s[16:17] offset:345
	s_add_u32 s20, s16, 0xc4
	s_addc_u32 s21, s17, 0
	s_min_u32 s31, s25, 15
	s_cmp_gt_u32 s24, 1
	s_mov_b32 s35, 0
	s_cselect_b32 s29, -1, 0
	s_mov_b32 s34, 0
	s_mov_b32 s36, exec_lo
	s_waitcnt vmcnt(0)
	v_lshrrev_b16 v9, 8, v8
	v_cmpx_gt_i32_e64 s30, v10
	s_cbranch_execz .LBB193_263
; %bb.2:
	s_and_not1_b32 vcc_lo, exec_lo, s27
	s_cbranch_vccnz .LBB193_7
; %bb.3:
	v_dual_mov_b32 v0, 0 :: v_dual_mov_b32 v1, 0
	s_and_not1_b32 vcc_lo, exec_lo, s33
	s_cbranch_vccnz .LBB193_12
; %bb.4:
	v_mov_b32_e32 v0, 0
	s_add_i32 s38, s31, 1
	s_cmp_eq_u32 s25, 2
	s_cbranch_scc1 .LBB193_8
; %bb.5:
	v_dual_mov_b32 v1, 0 :: v_dual_mov_b32 v0, 0
	v_mov_b32_e32 v2, v10
	s_and_b32 s35, s38, 28
	s_mov_b32 s39, 0
	s_mov_b64 s[2:3], s[20:21]
	s_mov_b64 s[22:23], s[16:17]
.LBB193_6:                              ; =>This Inner Loop Header: Depth=1
	s_clause 0x1
	s_load_b256 s[40:47], s[22:23], 0x4
	s_load_b128 s[56:59], s[22:23], 0x24
	s_load_b256 s[48:55], s[2:3], 0x0
	s_add_u32 s22, s22, 48
	s_addc_u32 s23, s23, 0
	s_add_i32 s39, s39, 4
	s_add_u32 s2, s2, 32
	s_addc_u32 s3, s3, 0
	s_cmp_lg_u32 s35, s39
	s_waitcnt lgkmcnt(0)
	v_mul_hi_u32 v3, s41, v2
	s_delay_alu instid0(VALU_DEP_1) | instskip(NEXT) | instid1(VALU_DEP_1)
	v_add_nc_u32_e32 v3, v2, v3
	v_lshrrev_b32_e32 v3, s42, v3
	s_delay_alu instid0(VALU_DEP_1) | instskip(SKIP_1) | instid1(VALU_DEP_2)
	v_mul_hi_u32 v4, s44, v3
	v_mul_lo_u32 v6, v3, s40
	v_add_nc_u32_e32 v4, v3, v4
	s_delay_alu instid0(VALU_DEP_2) | instskip(NEXT) | instid1(VALU_DEP_2)
	v_sub_nc_u32_e32 v2, v2, v6
	v_lshrrev_b32_e32 v4, s45, v4
	s_delay_alu instid0(VALU_DEP_2) | instskip(SKIP_1) | instid1(VALU_DEP_3)
	v_mul_lo_u32 v6, v2, s48
	v_mul_lo_u32 v11, v2, s49
	v_mul_hi_u32 v5, s47, v4
	s_delay_alu instid0(VALU_DEP_1) | instskip(NEXT) | instid1(VALU_DEP_1)
	v_add_nc_u32_e32 v5, v4, v5
	v_lshrrev_b32_e32 v5, s56, v5
	s_delay_alu instid0(VALU_DEP_1) | instskip(SKIP_1) | instid1(VALU_DEP_2)
	v_mul_hi_u32 v7, s58, v5
	v_mul_lo_u32 v12, v5, s46
	v_add_nc_u32_e32 v2, v5, v7
	v_mul_lo_u32 v7, v4, s43
	s_delay_alu instid0(VALU_DEP_3) | instskip(NEXT) | instid1(VALU_DEP_3)
	v_sub_nc_u32_e32 v4, v4, v12
	v_lshrrev_b32_e32 v2, s59, v2
	s_delay_alu instid0(VALU_DEP_2) | instskip(SKIP_2) | instid1(VALU_DEP_4)
	v_mul_lo_u32 v12, v4, s52
	v_mul_lo_u32 v4, v4, s53
	v_sub_nc_u32_e32 v3, v3, v7
	v_mul_lo_u32 v13, v2, s57
	s_delay_alu instid0(VALU_DEP_2) | instskip(SKIP_1) | instid1(VALU_DEP_3)
	v_mul_lo_u32 v7, v3, s50
	v_mul_lo_u32 v3, v3, s51
	v_sub_nc_u32_e32 v5, v5, v13
	s_delay_alu instid0(VALU_DEP_3) | instskip(NEXT) | instid1(VALU_DEP_2)
	v_add3_u32 v0, v6, v0, v7
	v_mul_lo_u32 v13, v5, s54
	v_mul_lo_u32 v5, v5, s55
	v_add3_u32 v1, v11, v1, v3
	s_delay_alu instid0(VALU_DEP_3) | instskip(NEXT) | instid1(VALU_DEP_2)
	v_add3_u32 v0, v12, v0, v13
	v_add3_u32 v1, v4, v1, v5
	s_cbranch_scc1 .LBB193_6
	s_branch .LBB193_9
.LBB193_7:
	s_mov_b32 s34, -1
                                        ; implicit-def: $vgpr0
                                        ; implicit-def: $vgpr1
	s_branch .LBB193_12
.LBB193_8:
	v_dual_mov_b32 v2, v10 :: v_dual_mov_b32 v1, 0
.LBB193_9:
	s_and_b32 s38, s38, 3
	s_delay_alu instid0(SALU_CYCLE_1)
	s_cmp_eq_u32 s38, 0
	s_cbranch_scc1 .LBB193_12
; %bb.10:
	s_lshl_b32 s2, s35, 3
	s_mul_i32 s22, s35, 12
	s_add_u32 s2, s2, s16
	s_addc_u32 s3, s17, 0
	s_add_u32 s2, s2, 0xc4
	s_addc_u32 s3, s3, 0
	;; [unrolled: 2-line block ×3, first 2 shown]
	.p2align	6
.LBB193_11:                             ; =>This Inner Loop Header: Depth=1
	s_clause 0x1
	s_load_b64 s[40:41], s[22:23], 0x4
	s_load_b32 s35, s[22:23], 0xc
	s_load_b64 s[42:43], s[2:3], 0x0
	s_add_u32 s22, s22, 12
	s_addc_u32 s23, s23, 0
	s_add_u32 s2, s2, 8
	s_addc_u32 s3, s3, 0
	s_add_i32 s38, s38, -1
	s_delay_alu instid0(SALU_CYCLE_1) | instskip(SKIP_2) | instid1(VALU_DEP_1)
	s_cmp_lg_u32 s38, 0
	s_waitcnt lgkmcnt(0)
	v_mul_hi_u32 v3, s41, v2
	v_add_nc_u32_e32 v3, v2, v3
	s_delay_alu instid0(VALU_DEP_1) | instskip(NEXT) | instid1(VALU_DEP_1)
	v_lshrrev_b32_e32 v6, s35, v3
	v_mul_lo_u32 v3, v6, s40
	s_delay_alu instid0(VALU_DEP_1) | instskip(NEXT) | instid1(VALU_DEP_1)
	v_sub_nc_u32_e32 v2, v2, v3
	v_mad_u64_u32 v[3:4], null, v2, s42, v[0:1]
	v_mad_u64_u32 v[4:5], null, v2, s43, v[1:2]
	v_mov_b32_e32 v2, v6
	s_delay_alu instid0(VALU_DEP_2)
	v_dual_mov_b32 v0, v3 :: v_dual_mov_b32 v1, v4
	s_cbranch_scc1 .LBB193_11
.LBB193_12:
	s_and_not1_b32 vcc_lo, exec_lo, s34
	s_cbranch_vccnz .LBB193_15
; %bb.13:
	s_waitcnt lgkmcnt(0)
	v_mul_hi_u32 v0, s13, v10
	s_and_not1_b32 vcc_lo, exec_lo, s29
	s_delay_alu instid0(VALU_DEP_1) | instskip(NEXT) | instid1(VALU_DEP_1)
	v_add_nc_u32_e32 v0, v10, v0
	v_lshrrev_b32_e32 v2, s14, v0
	s_delay_alu instid0(VALU_DEP_1) | instskip(NEXT) | instid1(VALU_DEP_1)
	v_mul_lo_u32 v0, v2, s12
	v_sub_nc_u32_e32 v1, v10, v0
	s_delay_alu instid0(VALU_DEP_1)
	v_mul_lo_u32 v0, v1, s8
	v_mul_lo_u32 v1, v1, s9
	s_cbranch_vccnz .LBB193_15
; %bb.14:
	v_mul_hi_u32 v3, s18, v2
	s_delay_alu instid0(VALU_DEP_1) | instskip(NEXT) | instid1(VALU_DEP_1)
	v_add_nc_u32_e32 v3, v2, v3
	v_lshrrev_b32_e32 v3, s19, v3
	s_delay_alu instid0(VALU_DEP_1) | instskip(NEXT) | instid1(VALU_DEP_1)
	v_mul_lo_u32 v3, v3, s15
	v_sub_nc_u32_e32 v5, v2, v3
	s_delay_alu instid0(VALU_DEP_1) | instskip(NEXT) | instid1(VALU_DEP_1)
	v_mad_u64_u32 v[2:3], null, v5, s10, v[0:1]
	v_mad_u64_u32 v[3:4], null, v5, s11, v[1:2]
	s_delay_alu instid0(VALU_DEP_1)
	v_dual_mov_b32 v0, v2 :: v_dual_mov_b32 v1, v3
.LBB193_15:
	v_cmp_gt_i16_e32 vcc_lo, 11, v9
	s_waitcnt lgkmcnt(0)
	s_delay_alu instid0(VALU_DEP_2) | instskip(NEXT) | instid1(VALU_DEP_1)
	v_add_co_u32 v1, s2, s6, v1
	v_add_co_ci_u32_e64 v2, null, s7, 0, s2
	s_mov_b32 s22, 0
	s_cbranch_vccnz .LBB193_22
; %bb.16:
	v_cmp_lt_i16_e32 vcc_lo, 25, v9
	s_cbranch_vccz .LBB193_141
; %bb.17:
	v_cmp_lt_i16_e32 vcc_lo, 28, v9
	s_cbranch_vccz .LBB193_142
	;; [unrolled: 3-line block ×4, first 2 shown]
; %bb.20:
	v_cmp_eq_u16_e32 vcc_lo, 46, v9
	s_mov_b32 s3, 0
	s_cbranch_vccz .LBB193_145
; %bb.21:
	global_load_b32 v3, v[1:2], off
	s_mov_b32 s2, -1
	s_waitcnt vmcnt(0)
	v_lshlrev_b32_e32 v3, 16, v3
	s_delay_alu instid0(VALU_DEP_1)
	v_cvt_f64_f32_e32 v[3:4], v3
	s_branch .LBB193_147
.LBB193_22:
	s_mov_b32 s2, 0
                                        ; implicit-def: $vgpr3_vgpr4
	s_cbranch_execnz .LBB193_213
.LBB193_23:
	s_and_not1_b32 vcc_lo, exec_lo, s2
	s_cbranch_vccnz .LBB193_260
.LBB193_24:
	s_waitcnt vmcnt(0)
	s_delay_alu instid0(VALU_DEP_1) | instskip(SKIP_4) | instid1(VALU_DEP_2)
	v_rsq_f64_e32 v[11:12], v[3:4]
	s_mov_b32 s3, 0
	s_waitcnt_depctr 0xfff
	v_mul_f64 v[1:2], v[11:12], -v[3:4]
	v_cmp_class_f64_e64 vcc_lo, v[11:12], 0x180
	v_fma_f64 v[1:2], v[1:2], v[11:12], 1.0
	s_delay_alu instid0(VALU_DEP_1) | instskip(SKIP_1) | instid1(VALU_DEP_1)
	v_mul_f64 v[3:4], v[11:12], v[1:2]
	v_fma_f64 v[1:2], 0x3fd80000, v[1:2], 0.5
	v_fma_f64 v[2:3], v[3:4], v[1:2], v[11:12]
	v_and_b32_e32 v6, 0xff, v8
	v_add_co_u32 v4, s23, s4, v0
	s_delay_alu instid0(VALU_DEP_1) | instskip(SKIP_1) | instid1(VALU_DEP_4)
	v_add_co_ci_u32_e64 v5, null, s5, 0, s23
	s_mov_b32 s23, -1
	v_cndmask_b32_e32 v1, v12, v3, vcc_lo
	v_cmp_gt_i16_e64 s2, 11, v6
	v_cndmask_b32_e32 v0, v11, v2, vcc_lo
	s_delay_alu instid0(VALU_DEP_2)
	s_and_b32 vcc_lo, exec_lo, s2
	s_mov_b32 s2, 0
	s_cbranch_vccnz .LBB193_101
; %bb.25:
	v_cmp_lt_i16_e32 vcc_lo, 25, v6
	s_cbranch_vccz .LBB193_58
; %bb.26:
	v_cmp_lt_i16_e32 vcc_lo, 28, v6
	s_cbranch_vccz .LBB193_41
	;; [unrolled: 3-line block ×4, first 2 shown]
; %bb.29:
	v_cmp_eq_u16_e32 vcc_lo, 46, v6
	s_mov_b32 s23, 0
	s_mov_b32 s3, -1
	s_cbranch_vccz .LBB193_31
; %bb.30:
	v_cvt_f32_f64_e32 v2, v[0:1]
	s_mov_b32 s2, -1
	s_mov_b32 s3, 0
	s_delay_alu instid0(VALU_DEP_1) | instskip(SKIP_1) | instid1(VALU_DEP_2)
	v_bfe_u32 v3, v2, 16, 1
	v_cmp_o_f32_e32 vcc_lo, v2, v2
	v_add3_u32 v3, v2, v3, 0x7fff
	s_delay_alu instid0(VALU_DEP_1) | instskip(NEXT) | instid1(VALU_DEP_1)
	v_lshrrev_b32_e32 v3, 16, v3
	v_cndmask_b32_e32 v2, 0x7fc0, v3, vcc_lo
	global_store_b32 v[4:5], v2, off
.LBB193_31:
	s_and_b32 vcc_lo, exec_lo, s23
	s_cbranch_vccz .LBB193_36
; %bb.32:
	v_cmp_eq_u16_e32 vcc_lo, 44, v6
	s_mov_b32 s3, -1
	s_cbranch_vccz .LBB193_36
; %bb.33:
	v_cvt_f32_f64_e32 v2, v[0:1]
	v_mov_b32_e32 v3, 0xff
	s_mov_b32 s3, exec_lo
	s_delay_alu instid0(VALU_DEP_2) | instskip(NEXT) | instid1(VALU_DEP_1)
	v_bfe_u32 v7, v2, 23, 8
	v_cmpx_ne_u32_e32 0xff, v7
; %bb.34:
	v_and_b32_e32 v3, 0x400000, v2
	v_and_or_b32 v7, 0x3fffff, v2, v7
	v_lshrrev_b32_e32 v2, 23, v2
	s_delay_alu instid0(VALU_DEP_3) | instskip(NEXT) | instid1(VALU_DEP_3)
	v_cmp_ne_u32_e32 vcc_lo, 0, v3
	v_cmp_ne_u32_e64 s2, 0, v7
	s_delay_alu instid0(VALU_DEP_1) | instskip(NEXT) | instid1(SALU_CYCLE_1)
	s_and_b32 s2, vcc_lo, s2
	v_cndmask_b32_e64 v3, 0, 1, s2
	s_delay_alu instid0(VALU_DEP_1)
	v_add_nc_u32_e32 v3, v2, v3
; %bb.35:
	s_or_b32 exec_lo, exec_lo, s3
	s_mov_b32 s2, -1
	s_mov_b32 s3, 0
	global_store_b8 v[4:5], v3, off
.LBB193_36:
	s_mov_b32 s23, 0
.LBB193_37:
	s_delay_alu instid0(SALU_CYCLE_1)
	s_and_b32 vcc_lo, exec_lo, s23
	s_cbranch_vccz .LBB193_40
; %bb.38:
	v_cmp_eq_u16_e32 vcc_lo, 29, v6
	s_mov_b32 s3, -1
	s_cbranch_vccz .LBB193_40
; %bb.39:
	v_trunc_f64_e32 v[2:3], v[0:1]
	s_mov_b32 s2, -1
	s_mov_b32 s3, 0
	s_delay_alu instid0(VALU_DEP_1) | instskip(NEXT) | instid1(VALU_DEP_1)
	v_ldexp_f64 v[11:12], v[2:3], 0xffffffe0
	v_floor_f64_e32 v[11:12], v[11:12]
	s_delay_alu instid0(VALU_DEP_1) | instskip(SKIP_1) | instid1(VALU_DEP_2)
	v_fma_f64 v[2:3], 0xc1f00000, v[11:12], v[2:3]
	v_cvt_u32_f64_e32 v12, v[11:12]
	v_cvt_u32_f64_e32 v11, v[2:3]
	global_store_b64 v[4:5], v[11:12], off
.LBB193_40:
	s_mov_b32 s23, 0
.LBB193_41:
	s_delay_alu instid0(SALU_CYCLE_1)
	s_and_b32 vcc_lo, exec_lo, s23
	s_cbranch_vccz .LBB193_57
; %bb.42:
	v_cmp_gt_i16_e32 vcc_lo, 27, v6
	s_mov_b32 s2, -1
	s_cbranch_vccnz .LBB193_48
; %bb.43:
	v_cmp_lt_i16_e32 vcc_lo, 27, v6
	s_cbranch_vccz .LBB193_45
; %bb.44:
	v_cvt_u32_f64_e32 v2, v[0:1]
	s_mov_b32 s2, 0
	global_store_b32 v[4:5], v2, off
.LBB193_45:
	s_and_not1_b32 vcc_lo, exec_lo, s2
	s_cbranch_vccnz .LBB193_47
; %bb.46:
	v_cvt_u32_f64_e32 v2, v[0:1]
	global_store_b16 v[4:5], v2, off
.LBB193_47:
	s_mov_b32 s2, 0
.LBB193_48:
	s_delay_alu instid0(SALU_CYCLE_1)
	s_and_not1_b32 vcc_lo, exec_lo, s2
	s_cbranch_vccnz .LBB193_56
; %bb.49:
	v_cvt_f32_f64_e32 v2, v[0:1]
	v_mov_b32_e32 v7, 0x80
	s_mov_b32 s2, exec_lo
	s_delay_alu instid0(VALU_DEP_2) | instskip(NEXT) | instid1(VALU_DEP_1)
	v_and_b32_e32 v3, 0x7fffffff, v2
	v_cmpx_gt_u32_e32 0x43800000, v3
	s_cbranch_execz .LBB193_55
; %bb.50:
	v_cmp_lt_u32_e32 vcc_lo, 0x3bffffff, v3
	s_mov_b32 s23, 0
                                        ; implicit-def: $vgpr3
	s_and_saveexec_b32 s34, vcc_lo
	s_delay_alu instid0(SALU_CYCLE_1)
	s_xor_b32 s34, exec_lo, s34
	s_cbranch_execz .LBB193_150
; %bb.51:
	v_bfe_u32 v3, v2, 20, 1
	s_mov_b32 s23, exec_lo
	s_delay_alu instid0(VALU_DEP_1) | instskip(NEXT) | instid1(VALU_DEP_1)
	v_add3_u32 v3, v2, v3, 0x487ffff
	v_lshrrev_b32_e32 v3, 20, v3
	s_or_saveexec_b32 s34, s34
                                        ; implicit-def: $sgpr35
	s_delay_alu instid0(SALU_CYCLE_1)
	s_xor_b32 exec_lo, exec_lo, s34
	s_cbranch_execnz .LBB193_151
.LBB193_52:
	s_or_b32 exec_lo, exec_lo, s34
	v_mov_b32_e32 v7, s35
	s_and_saveexec_b32 s34, s23
.LBB193_53:
	v_lshrrev_b32_e32 v2, 24, v2
	s_delay_alu instid0(VALU_DEP_1)
	v_and_or_b32 v7, 0x80, v2, v3
.LBB193_54:
	s_or_b32 exec_lo, exec_lo, s34
.LBB193_55:
	s_delay_alu instid0(SALU_CYCLE_1)
	s_or_b32 exec_lo, exec_lo, s2
	global_store_b8 v[4:5], v7, off
.LBB193_56:
	s_mov_b32 s2, -1
.LBB193_57:
	s_mov_b32 s23, 0
.LBB193_58:
	s_delay_alu instid0(SALU_CYCLE_1)
	s_and_b32 vcc_lo, exec_lo, s23
	s_cbranch_vccz .LBB193_99
; %bb.59:
	v_cmp_lt_i16_e32 vcc_lo, 22, v6
	s_mov_b32 s23, -1
	s_cbranch_vccz .LBB193_91
; %bb.60:
	v_cmp_gt_i16_e32 vcc_lo, 24, v6
	s_mov_b32 s2, -1
	s_cbranch_vccnz .LBB193_80
; %bb.61:
	v_cmp_lt_i16_e32 vcc_lo, 24, v6
	s_cbranch_vccz .LBB193_69
; %bb.62:
	v_cvt_f32_f64_e32 v2, v[0:1]
	v_mov_b32_e32 v7, 0x80
	s_mov_b32 s2, exec_lo
	s_delay_alu instid0(VALU_DEP_2) | instskip(NEXT) | instid1(VALU_DEP_1)
	v_and_b32_e32 v3, 0x7fffffff, v2
	v_cmpx_gt_u32_e32 0x47800000, v3
	s_cbranch_execz .LBB193_68
; %bb.63:
	v_cmp_lt_u32_e32 vcc_lo, 0x37ffffff, v3
	s_mov_b32 s23, 0
                                        ; implicit-def: $vgpr3
	s_and_saveexec_b32 s34, vcc_lo
	s_delay_alu instid0(SALU_CYCLE_1)
	s_xor_b32 s34, exec_lo, s34
	s_cbranch_execz .LBB193_341
; %bb.64:
	v_bfe_u32 v3, v2, 21, 1
	s_mov_b32 s23, exec_lo
	s_delay_alu instid0(VALU_DEP_1) | instskip(NEXT) | instid1(VALU_DEP_1)
	v_add3_u32 v3, v2, v3, 0x88fffff
	v_lshrrev_b32_e32 v3, 21, v3
	s_or_saveexec_b32 s34, s34
                                        ; implicit-def: $sgpr35
	s_delay_alu instid0(SALU_CYCLE_1)
	s_xor_b32 exec_lo, exec_lo, s34
	s_cbranch_execnz .LBB193_342
.LBB193_65:
	s_or_b32 exec_lo, exec_lo, s34
	v_mov_b32_e32 v7, s35
	s_and_saveexec_b32 s34, s23
.LBB193_66:
	v_lshrrev_b32_e32 v2, 24, v2
	s_delay_alu instid0(VALU_DEP_1)
	v_and_or_b32 v7, 0x80, v2, v3
.LBB193_67:
	s_or_b32 exec_lo, exec_lo, s34
.LBB193_68:
	s_delay_alu instid0(SALU_CYCLE_1)
	s_or_b32 exec_lo, exec_lo, s2
	s_mov_b32 s2, 0
	global_store_b8 v[4:5], v7, off
.LBB193_69:
	s_and_b32 vcc_lo, exec_lo, s2
	s_cbranch_vccz .LBB193_79
; %bb.70:
	v_cvt_f32_f64_e32 v2, v[0:1]
	s_mov_b32 s2, exec_lo
                                        ; implicit-def: $vgpr3
	s_delay_alu instid0(VALU_DEP_1) | instskip(NEXT) | instid1(VALU_DEP_1)
	v_and_b32_e32 v7, 0x7fffffff, v2
	v_cmpx_gt_u32_e32 0x43f00000, v7
	s_xor_b32 s2, exec_lo, s2
	s_cbranch_execz .LBB193_76
; %bb.71:
	s_mov_b32 s23, exec_lo
                                        ; implicit-def: $vgpr3
	v_cmpx_lt_u32_e32 0x3c7fffff, v7
	s_xor_b32 s23, exec_lo, s23
; %bb.72:
	v_bfe_u32 v3, v2, 20, 1
	s_delay_alu instid0(VALU_DEP_1) | instskip(NEXT) | instid1(VALU_DEP_1)
	v_add3_u32 v3, v2, v3, 0x407ffff
	v_and_b32_e32 v7, 0xff00000, v3
	v_lshrrev_b32_e32 v3, 20, v3
	s_delay_alu instid0(VALU_DEP_2) | instskip(NEXT) | instid1(VALU_DEP_2)
	v_cmp_ne_u32_e32 vcc_lo, 0x7f00000, v7
	v_cndmask_b32_e32 v3, 0x7e, v3, vcc_lo
; %bb.73:
	s_and_not1_saveexec_b32 s23, s23
; %bb.74:
	v_add_f32_e64 v3, 0x46800000, |v2|
; %bb.75:
	s_or_b32 exec_lo, exec_lo, s23
                                        ; implicit-def: $vgpr7
.LBB193_76:
	s_and_not1_saveexec_b32 s2, s2
; %bb.77:
	v_mov_b32_e32 v3, 0x7f
	v_cmp_lt_u32_e32 vcc_lo, 0x7f800000, v7
	s_delay_alu instid0(VALU_DEP_2)
	v_cndmask_b32_e32 v3, 0x7e, v3, vcc_lo
; %bb.78:
	s_or_b32 exec_lo, exec_lo, s2
	v_lshrrev_b32_e32 v2, 24, v2
	s_delay_alu instid0(VALU_DEP_1)
	v_and_or_b32 v2, 0x80, v2, v3
	global_store_b8 v[4:5], v2, off
.LBB193_79:
	s_mov_b32 s2, 0
.LBB193_80:
	s_delay_alu instid0(SALU_CYCLE_1)
	s_and_not1_b32 vcc_lo, exec_lo, s2
	s_cbranch_vccnz .LBB193_90
; %bb.81:
	v_cvt_f32_f64_e32 v2, v[0:1]
	s_mov_b32 s2, exec_lo
                                        ; implicit-def: $vgpr3
	s_delay_alu instid0(VALU_DEP_1) | instskip(NEXT) | instid1(VALU_DEP_1)
	v_and_b32_e32 v7, 0x7fffffff, v2
	v_cmpx_gt_u32_e32 0x47800000, v7
	s_xor_b32 s2, exec_lo, s2
	s_cbranch_execz .LBB193_87
; %bb.82:
	s_mov_b32 s23, exec_lo
                                        ; implicit-def: $vgpr3
	v_cmpx_lt_u32_e32 0x387fffff, v7
	s_xor_b32 s23, exec_lo, s23
; %bb.83:
	v_bfe_u32 v3, v2, 21, 1
	s_delay_alu instid0(VALU_DEP_1) | instskip(NEXT) | instid1(VALU_DEP_1)
	v_add3_u32 v3, v2, v3, 0x80fffff
	v_lshrrev_b32_e32 v3, 21, v3
; %bb.84:
	s_and_not1_saveexec_b32 s23, s23
; %bb.85:
	v_add_f32_e64 v3, 0x43000000, |v2|
; %bb.86:
	s_or_b32 exec_lo, exec_lo, s23
                                        ; implicit-def: $vgpr7
.LBB193_87:
	s_and_not1_saveexec_b32 s2, s2
; %bb.88:
	v_mov_b32_e32 v3, 0x7f
	v_cmp_lt_u32_e32 vcc_lo, 0x7f800000, v7
	s_delay_alu instid0(VALU_DEP_2)
	v_cndmask_b32_e32 v3, 0x7c, v3, vcc_lo
; %bb.89:
	s_or_b32 exec_lo, exec_lo, s2
	v_lshrrev_b32_e32 v2, 24, v2
	s_delay_alu instid0(VALU_DEP_1)
	v_and_or_b32 v2, 0x80, v2, v3
	global_store_b8 v[4:5], v2, off
.LBB193_90:
	s_mov_b32 s23, 0
	s_mov_b32 s2, -1
.LBB193_91:
	s_and_not1_b32 vcc_lo, exec_lo, s23
	s_cbranch_vccnz .LBB193_99
; %bb.92:
	v_cmp_lt_i16_e32 vcc_lo, 14, v6
	s_mov_b32 s23, -1
	s_cbranch_vccz .LBB193_96
; %bb.93:
	v_cmp_eq_u16_e32 vcc_lo, 15, v6
	s_mov_b32 s3, -1
	s_cbranch_vccz .LBB193_95
; %bb.94:
	v_cvt_f32_f64_e32 v2, v[0:1]
	s_mov_b32 s2, -1
	s_mov_b32 s3, 0
	s_delay_alu instid0(VALU_DEP_1) | instskip(SKIP_1) | instid1(VALU_DEP_2)
	v_bfe_u32 v3, v2, 16, 1
	v_cmp_o_f32_e32 vcc_lo, v2, v2
	v_add3_u32 v3, v2, v3, 0x7fff
	s_delay_alu instid0(VALU_DEP_1) | instskip(NEXT) | instid1(VALU_DEP_1)
	v_lshrrev_b32_e32 v3, 16, v3
	v_cndmask_b32_e32 v2, 0x7fc0, v3, vcc_lo
	global_store_b16 v[4:5], v2, off
.LBB193_95:
	s_mov_b32 s23, 0
.LBB193_96:
	s_delay_alu instid0(SALU_CYCLE_1)
	s_and_b32 vcc_lo, exec_lo, s23
	s_cbranch_vccz .LBB193_99
; %bb.97:
	v_cmp_eq_u16_e32 vcc_lo, 11, v6
	s_mov_b32 s3, -1
	s_cbranch_vccz .LBB193_99
; %bb.98:
	v_cmp_neq_f64_e32 vcc_lo, 0, v[0:1]
	s_mov_b32 s2, -1
	s_mov_b32 s3, 0
	v_cndmask_b32_e64 v2, 0, 1, vcc_lo
	global_store_b8 v[4:5], v2, off
.LBB193_99:
.LBB193_100:
	s_and_not1_b32 vcc_lo, exec_lo, s2
	s_cbranch_vccz .LBB193_140
	s_branch .LBB193_261
.LBB193_101:
	s_and_b32 vcc_lo, exec_lo, s23
	s_cbranch_vccz .LBB193_100
; %bb.102:
	v_cmp_gt_i16_e32 vcc_lo, 5, v6
	s_mov_b32 s2, -1
	s_cbranch_vccnz .LBB193_123
; %bb.103:
	v_cmp_gt_i16_e32 vcc_lo, 8, v6
	s_cbranch_vccnz .LBB193_113
; %bb.104:
	v_cmp_gt_i16_e32 vcc_lo, 9, v6
	s_cbranch_vccnz .LBB193_110
; %bb.105:
	v_cmp_lt_i16_e32 vcc_lo, 9, v6
	s_cbranch_vccz .LBB193_107
; %bb.106:
	v_mov_b32_e32 v2, 0
	s_mov_b32 s2, 0
	s_delay_alu instid0(VALU_DEP_1)
	v_mov_b32_e32 v3, v2
	global_store_b128 v[4:5], v[0:3], off
.LBB193_107:
	s_and_not1_b32 vcc_lo, exec_lo, s2
	s_cbranch_vccnz .LBB193_109
; %bb.108:
	v_cvt_f32_f64_e32 v2, v[0:1]
	v_mov_b32_e32 v3, 0
	global_store_b64 v[4:5], v[2:3], off
.LBB193_109:
	s_mov_b32 s2, 0
.LBB193_110:
	s_delay_alu instid0(SALU_CYCLE_1)
	s_and_not1_b32 vcc_lo, exec_lo, s2
	s_cbranch_vccnz .LBB193_112
; %bb.111:
	v_cvt_f32_f64_e32 v2, v[0:1]
	s_delay_alu instid0(VALU_DEP_1) | instskip(NEXT) | instid1(VALU_DEP_1)
	v_cvt_f16_f32_e32 v2, v2
	v_and_b32_e32 v2, 0xffff, v2
	global_store_b32 v[4:5], v2, off
.LBB193_112:
	s_mov_b32 s2, 0
.LBB193_113:
	s_delay_alu instid0(SALU_CYCLE_1)
	s_and_not1_b32 vcc_lo, exec_lo, s2
	s_cbranch_vccnz .LBB193_122
; %bb.114:
	v_cmp_gt_i16_e32 vcc_lo, 6, v6
	s_mov_b32 s2, -1
	s_cbranch_vccnz .LBB193_120
; %bb.115:
	v_cmp_lt_i16_e32 vcc_lo, 6, v6
	s_cbranch_vccz .LBB193_117
; %bb.116:
	s_mov_b32 s2, 0
	global_store_b64 v[4:5], v[0:1], off
.LBB193_117:
	s_and_not1_b32 vcc_lo, exec_lo, s2
	s_cbranch_vccnz .LBB193_119
; %bb.118:
	v_cvt_f32_f64_e32 v2, v[0:1]
	global_store_b32 v[4:5], v2, off
.LBB193_119:
	s_mov_b32 s2, 0
.LBB193_120:
	s_delay_alu instid0(SALU_CYCLE_1)
	s_and_not1_b32 vcc_lo, exec_lo, s2
	s_cbranch_vccnz .LBB193_122
; %bb.121:
	v_cvt_f32_f64_e32 v2, v[0:1]
	s_delay_alu instid0(VALU_DEP_1)
	v_cvt_f16_f32_e32 v2, v2
	global_store_b16 v[4:5], v2, off
.LBB193_122:
	s_mov_b32 s2, 0
.LBB193_123:
	s_delay_alu instid0(SALU_CYCLE_1)
	s_and_not1_b32 vcc_lo, exec_lo, s2
	s_cbranch_vccnz .LBB193_139
; %bb.124:
	v_cmp_gt_i16_e32 vcc_lo, 2, v6
	s_mov_b32 s2, -1
	s_cbranch_vccnz .LBB193_134
; %bb.125:
	v_cmp_gt_i16_e32 vcc_lo, 3, v6
	s_cbranch_vccnz .LBB193_131
; %bb.126:
	v_cmp_lt_i16_e32 vcc_lo, 3, v6
	s_cbranch_vccz .LBB193_128
; %bb.127:
	v_trunc_f64_e32 v[2:3], v[0:1]
	s_mov_b32 s2, 0
	s_delay_alu instid0(VALU_DEP_1) | instskip(NEXT) | instid1(VALU_DEP_1)
	v_ldexp_f64 v[11:12], v[2:3], 0xffffffe0
	v_floor_f64_e32 v[11:12], v[11:12]
	s_delay_alu instid0(VALU_DEP_1) | instskip(SKIP_1) | instid1(VALU_DEP_2)
	v_fma_f64 v[2:3], 0xc1f00000, v[11:12], v[2:3]
	v_cvt_i32_f64_e32 v12, v[11:12]
	v_cvt_u32_f64_e32 v11, v[2:3]
	global_store_b64 v[4:5], v[11:12], off
.LBB193_128:
	s_and_not1_b32 vcc_lo, exec_lo, s2
	s_cbranch_vccnz .LBB193_130
; %bb.129:
	v_cvt_i32_f64_e32 v2, v[0:1]
	global_store_b32 v[4:5], v2, off
.LBB193_130:
	s_mov_b32 s2, 0
.LBB193_131:
	s_delay_alu instid0(SALU_CYCLE_1)
	s_and_not1_b32 vcc_lo, exec_lo, s2
	s_cbranch_vccnz .LBB193_133
; %bb.132:
	v_cvt_i32_f64_e32 v2, v[0:1]
	global_store_b16 v[4:5], v2, off
.LBB193_133:
	s_mov_b32 s2, 0
.LBB193_134:
	s_delay_alu instid0(SALU_CYCLE_1)
	s_and_not1_b32 vcc_lo, exec_lo, s2
	s_cbranch_vccnz .LBB193_139
; %bb.135:
	v_cmp_lt_i16_e32 vcc_lo, 0, v6
	s_mov_b32 s2, -1
	s_cbranch_vccz .LBB193_137
; %bb.136:
	v_cvt_i32_f64_e32 v2, v[0:1]
	s_mov_b32 s2, 0
	global_store_b8 v[4:5], v2, off
.LBB193_137:
	s_and_not1_b32 vcc_lo, exec_lo, s2
	s_cbranch_vccnz .LBB193_139
; %bb.138:
	v_trunc_f64_e32 v[0:1], v[0:1]
	s_delay_alu instid0(VALU_DEP_1) | instskip(NEXT) | instid1(VALU_DEP_1)
	v_ldexp_f64 v[2:3], v[0:1], 0xffffffe0
	v_floor_f64_e32 v[2:3], v[2:3]
	s_delay_alu instid0(VALU_DEP_1) | instskip(NEXT) | instid1(VALU_DEP_1)
	v_fma_f64 v[0:1], 0xc1f00000, v[2:3], v[0:1]
	v_cvt_u32_f64_e32 v0, v[0:1]
	global_store_b8 v[4:5], v0, off
.LBB193_139:
.LBB193_140:
	v_add_nc_u32_e32 v10, 0x80, v10
	s_mov_b32 s2, -1
	s_branch .LBB193_262
.LBB193_141:
	s_mov_b32 s2, 0
                                        ; implicit-def: $vgpr3_vgpr4
	s_cbranch_execnz .LBB193_180
	s_branch .LBB193_212
.LBB193_142:
	s_mov_b32 s3, -1
	s_mov_b32 s2, 0
                                        ; implicit-def: $vgpr3_vgpr4
	s_branch .LBB193_159
.LBB193_143:
	s_mov_b32 s3, -1
	s_mov_b32 s2, 0
                                        ; implicit-def: $vgpr3_vgpr4
	s_branch .LBB193_154
.LBB193_144:
	s_mov_b32 s3, -1
	s_branch .LBB193_146
.LBB193_145:
	s_mov_b32 s22, -1
.LBB193_146:
	s_mov_b32 s2, 0
                                        ; implicit-def: $vgpr3_vgpr4
.LBB193_147:
	s_and_b32 vcc_lo, exec_lo, s3
	s_cbranch_vccz .LBB193_153
; %bb.148:
	v_cmp_eq_u16_e32 vcc_lo, 44, v9
	s_cbranch_vccz .LBB193_152
; %bb.149:
	global_load_u8 v5, v[1:2], off
	s_mov_b32 s22, 0
	s_mov_b32 s2, -1
	s_waitcnt vmcnt(0)
	v_cmp_ne_u32_e32 vcc_lo, 0xff, v5
	v_lshlrev_b32_e32 v3, 23, v5
	s_delay_alu instid0(VALU_DEP_1) | instskip(NEXT) | instid1(VALU_DEP_1)
	v_cvt_f64_f32_e32 v[3:4], v3
	v_cndmask_b32_e32 v4, 0x7ff80000, v4, vcc_lo
	s_delay_alu instid0(VALU_DEP_2) | instskip(SKIP_1) | instid1(VALU_DEP_3)
	v_cndmask_b32_e32 v3, 0x20000000, v3, vcc_lo
	v_cmp_ne_u32_e32 vcc_lo, 0, v5
	v_cndmask_b32_e32 v4, 0x38000000, v4, vcc_lo
	s_delay_alu instid0(VALU_DEP_3)
	v_cndmask_b32_e32 v3, 0, v3, vcc_lo
	s_branch .LBB193_153
.LBB193_150:
	s_or_saveexec_b32 s34, s34
                                        ; implicit-def: $sgpr35
	s_delay_alu instid0(SALU_CYCLE_1)
	s_xor_b32 exec_lo, exec_lo, s34
	s_cbranch_execz .LBB193_52
.LBB193_151:
	v_add_f32_e64 v3, 0x46000000, |v2|
	s_and_not1_b32 s23, s23, exec_lo
	s_mov_b32 s35, 0
	s_delay_alu instid0(VALU_DEP_1) | instskip(NEXT) | instid1(VALU_DEP_1)
	v_and_b32_e32 v3, 0xff, v3
	v_cmp_ne_u32_e32 vcc_lo, 0, v3
	s_and_b32 s38, vcc_lo, exec_lo
	s_delay_alu instid0(SALU_CYCLE_1)
	s_or_b32 s23, s23, s38
	s_or_b32 exec_lo, exec_lo, s34
	v_mov_b32_e32 v7, s35
	s_and_saveexec_b32 s34, s23
	s_cbranch_execnz .LBB193_53
	s_branch .LBB193_54
.LBB193_152:
	s_mov_b32 s22, -1
                                        ; implicit-def: $vgpr3_vgpr4
.LBB193_153:
	s_mov_b32 s3, 0
.LBB193_154:
	s_delay_alu instid0(SALU_CYCLE_1)
	s_and_b32 vcc_lo, exec_lo, s3
	s_cbranch_vccz .LBB193_158
; %bb.155:
	v_cmp_eq_u16_e32 vcc_lo, 29, v9
	s_cbranch_vccz .LBB193_157
; %bb.156:
	global_load_b64 v[3:4], v[1:2], off
	s_mov_b32 s2, -1
	s_mov_b32 s22, 0
	s_mov_b32 s3, 0
	s_waitcnt vmcnt(0)
	v_cvt_f64_u32_e32 v[4:5], v4
	v_cvt_f64_u32_e32 v[6:7], v3
	s_delay_alu instid0(VALU_DEP_2) | instskip(NEXT) | instid1(VALU_DEP_1)
	v_ldexp_f64 v[4:5], v[4:5], 32
	v_add_f64 v[3:4], v[4:5], v[6:7]
	s_branch .LBB193_159
.LBB193_157:
	s_mov_b32 s22, -1
                                        ; implicit-def: $vgpr3_vgpr4
.LBB193_158:
	s_mov_b32 s3, 0
.LBB193_159:
	s_delay_alu instid0(SALU_CYCLE_1)
	s_and_b32 vcc_lo, exec_lo, s3
	s_cbranch_vccz .LBB193_179
; %bb.160:
	v_cmp_gt_i16_e32 vcc_lo, 27, v9
	s_cbranch_vccnz .LBB193_163
; %bb.161:
	v_cmp_lt_i16_e32 vcc_lo, 27, v9
	s_cbranch_vccz .LBB193_164
; %bb.162:
	global_load_b32 v3, v[1:2], off
	s_mov_b32 s2, 0
	s_waitcnt vmcnt(0)
	v_cvt_f64_u32_e32 v[3:4], v3
	s_branch .LBB193_165
.LBB193_163:
	s_mov_b32 s2, -1
                                        ; implicit-def: $vgpr3_vgpr4
	s_branch .LBB193_168
.LBB193_164:
	s_mov_b32 s2, -1
                                        ; implicit-def: $vgpr3_vgpr4
.LBB193_165:
	s_delay_alu instid0(SALU_CYCLE_1)
	s_and_not1_b32 vcc_lo, exec_lo, s2
	s_cbranch_vccnz .LBB193_167
; %bb.166:
	global_load_u16 v3, v[1:2], off
	s_waitcnt vmcnt(0)
	v_cvt_f64_u32_e32 v[3:4], v3
.LBB193_167:
	s_mov_b32 s2, 0
.LBB193_168:
	s_delay_alu instid0(SALU_CYCLE_1)
	s_and_not1_b32 vcc_lo, exec_lo, s2
	s_cbranch_vccnz .LBB193_178
; %bb.169:
	global_load_u8 v5, v[1:2], off
	s_mov_b32 s23, 0
	s_mov_b32 s34, exec_lo
                                        ; implicit-def: $sgpr2_sgpr3
	s_waitcnt vmcnt(0)
	v_cmpx_lt_i16_e32 0x7f, v5
	s_xor_b32 s34, exec_lo, s34
	s_cbranch_execz .LBB193_173
; %bb.170:
	s_mov_b32 s35, -1
	s_mov_b32 s23, exec_lo
                                        ; implicit-def: $sgpr2_sgpr3
	v_cmpx_eq_u16_e32 0x80, v5
; %bb.171:
	s_mov_b32 s3, 0x7ff80000
	s_brev_b32 s2, 4
	s_xor_b32 s35, exec_lo, -1
; %bb.172:
	s_or_b32 exec_lo, exec_lo, s23
	s_delay_alu instid0(SALU_CYCLE_1)
	s_and_b32 s23, s35, exec_lo
.LBB193_173:
	s_or_saveexec_b32 s34, s34
	v_dual_mov_b32 v4, s3 :: v_dual_mov_b32 v3, s2
	s_xor_b32 exec_lo, exec_lo, s34
; %bb.174:
	v_cmp_ne_u16_e32 vcc_lo, 0, v5
	v_mov_b32_e32 v3, 0
	v_mov_b32_e32 v4, 0
	s_and_not1_b32 s2, s23, exec_lo
	s_and_b32 s3, vcc_lo, exec_lo
	s_delay_alu instid0(SALU_CYCLE_1)
	s_or_b32 s23, s2, s3
; %bb.175:
	s_or_b32 exec_lo, exec_lo, s34
	s_and_saveexec_b32 s2, s23
	s_cbranch_execz .LBB193_177
; %bb.176:
	v_and_b32_e32 v3, 0xffff, v5
	v_lshlrev_b32_e32 v5, 24, v5
	s_delay_alu instid0(VALU_DEP_2) | instskip(NEXT) | instid1(VALU_DEP_2)
	v_and_b32_e32 v4, 7, v3
	v_and_b32_e32 v5, 0x80000000, v5
	s_delay_alu instid0(VALU_DEP_2) | instskip(NEXT) | instid1(VALU_DEP_1)
	v_clz_i32_u32_e32 v6, v4
	v_min_u32_e32 v6, 32, v6
	s_delay_alu instid0(VALU_DEP_1) | instskip(SKIP_1) | instid1(VALU_DEP_2)
	v_subrev_nc_u32_e32 v7, 28, v6
	v_sub_nc_u32_e32 v6, 29, v6
	v_lshlrev_b32_e32 v7, v7, v3
	v_bfe_u32 v3, v3, 3, 4
	s_delay_alu instid0(VALU_DEP_2) | instskip(NEXT) | instid1(VALU_DEP_2)
	v_and_b32_e32 v7, 7, v7
	v_cmp_eq_u32_e32 vcc_lo, 0, v3
	s_delay_alu instid0(VALU_DEP_2) | instskip(NEXT) | instid1(VALU_DEP_1)
	v_dual_cndmask_b32 v3, v3, v6 :: v_dual_cndmask_b32 v4, v4, v7
	v_lshl_add_u32 v3, v3, 23, 0x3b800000
	s_delay_alu instid0(VALU_DEP_2) | instskip(NEXT) | instid1(VALU_DEP_1)
	v_lshlrev_b32_e32 v4, 20, v4
	v_or3_b32 v3, v5, v3, v4
	s_delay_alu instid0(VALU_DEP_1)
	v_cvt_f64_f32_e32 v[3:4], v3
.LBB193_177:
	s_or_b32 exec_lo, exec_lo, s2
.LBB193_178:
	s_mov_b32 s2, -1
.LBB193_179:
	s_branch .LBB193_212
.LBB193_180:
	v_cmp_lt_i16_e32 vcc_lo, 22, v9
	s_cbranch_vccz .LBB193_192
; %bb.181:
	v_cmp_gt_i16_e32 vcc_lo, 24, v9
	s_cbranch_vccnz .LBB193_193
; %bb.182:
	v_cmp_lt_i16_e32 vcc_lo, 24, v9
	s_cbranch_vccz .LBB193_194
; %bb.183:
	global_load_u8 v5, v[1:2], off
	s_mov_b32 s23, 0
	s_mov_b32 s34, exec_lo
                                        ; implicit-def: $sgpr2_sgpr3
	s_waitcnt vmcnt(0)
	v_cmpx_lt_i16_e32 0x7f, v5
	s_xor_b32 s34, exec_lo, s34
	s_cbranch_execz .LBB193_187
; %bb.184:
	s_mov_b32 s35, -1
	s_mov_b32 s23, exec_lo
                                        ; implicit-def: $sgpr2_sgpr3
	v_cmpx_eq_u16_e32 0x80, v5
; %bb.185:
	s_mov_b32 s3, 0x7ff80000
	s_brev_b32 s2, 4
	s_xor_b32 s35, exec_lo, -1
; %bb.186:
	s_or_b32 exec_lo, exec_lo, s23
	s_delay_alu instid0(SALU_CYCLE_1)
	s_and_b32 s23, s35, exec_lo
.LBB193_187:
	s_or_saveexec_b32 s34, s34
	v_dual_mov_b32 v4, s3 :: v_dual_mov_b32 v3, s2
	s_xor_b32 exec_lo, exec_lo, s34
; %bb.188:
	v_cmp_ne_u16_e32 vcc_lo, 0, v5
	v_mov_b32_e32 v3, 0
	v_mov_b32_e32 v4, 0
	s_and_not1_b32 s2, s23, exec_lo
	s_and_b32 s3, vcc_lo, exec_lo
	s_delay_alu instid0(SALU_CYCLE_1)
	s_or_b32 s23, s2, s3
; %bb.189:
	s_or_b32 exec_lo, exec_lo, s34
	s_and_saveexec_b32 s2, s23
	s_cbranch_execz .LBB193_191
; %bb.190:
	v_and_b32_e32 v3, 0xffff, v5
	v_lshlrev_b32_e32 v5, 24, v5
	s_delay_alu instid0(VALU_DEP_2) | instskip(NEXT) | instid1(VALU_DEP_2)
	v_and_b32_e32 v4, 3, v3
	v_and_b32_e32 v5, 0x80000000, v5
	s_delay_alu instid0(VALU_DEP_2) | instskip(NEXT) | instid1(VALU_DEP_1)
	v_clz_i32_u32_e32 v6, v4
	v_min_u32_e32 v6, 32, v6
	s_delay_alu instid0(VALU_DEP_1) | instskip(SKIP_1) | instid1(VALU_DEP_2)
	v_subrev_nc_u32_e32 v7, 29, v6
	v_sub_nc_u32_e32 v6, 30, v6
	v_lshlrev_b32_e32 v7, v7, v3
	v_bfe_u32 v3, v3, 2, 5
	s_delay_alu instid0(VALU_DEP_2) | instskip(NEXT) | instid1(VALU_DEP_2)
	v_and_b32_e32 v7, 3, v7
	v_cmp_eq_u32_e32 vcc_lo, 0, v3
	s_delay_alu instid0(VALU_DEP_2) | instskip(NEXT) | instid1(VALU_DEP_1)
	v_dual_cndmask_b32 v3, v3, v6 :: v_dual_cndmask_b32 v4, v4, v7
	v_lshl_add_u32 v3, v3, 23, 0x37800000
	s_delay_alu instid0(VALU_DEP_2) | instskip(NEXT) | instid1(VALU_DEP_1)
	v_lshlrev_b32_e32 v4, 21, v4
	v_or3_b32 v3, v5, v3, v4
	s_delay_alu instid0(VALU_DEP_1)
	v_cvt_f64_f32_e32 v[3:4], v3
.LBB193_191:
	s_or_b32 exec_lo, exec_lo, s2
	s_mov_b32 s2, 0
	s_branch .LBB193_195
.LBB193_192:
	s_mov_b32 s3, -1
                                        ; implicit-def: $vgpr3_vgpr4
	s_branch .LBB193_201
.LBB193_193:
	s_mov_b32 s2, -1
                                        ; implicit-def: $vgpr3_vgpr4
	s_branch .LBB193_198
.LBB193_194:
	s_mov_b32 s2, -1
                                        ; implicit-def: $vgpr3_vgpr4
.LBB193_195:
	s_delay_alu instid0(SALU_CYCLE_1)
	s_and_b32 vcc_lo, exec_lo, s2
	s_cbranch_vccz .LBB193_197
; %bb.196:
	global_load_u8 v3, v[1:2], off
	s_waitcnt vmcnt(0)
	v_lshlrev_b32_e32 v3, 24, v3
	s_delay_alu instid0(VALU_DEP_1) | instskip(NEXT) | instid1(VALU_DEP_1)
	v_and_b32_e32 v4, 0x7f000000, v3
	v_clz_i32_u32_e32 v5, v4
	v_add_nc_u32_e32 v7, 0x1000000, v4
	v_cmp_ne_u32_e32 vcc_lo, 0, v4
	s_delay_alu instid0(VALU_DEP_3) | instskip(NEXT) | instid1(VALU_DEP_1)
	v_min_u32_e32 v5, 32, v5
	v_sub_nc_u32_e64 v5, v5, 4 clamp
	s_delay_alu instid0(VALU_DEP_1) | instskip(SKIP_1) | instid1(VALU_DEP_2)
	v_lshlrev_b32_e32 v6, v5, v4
	v_lshlrev_b32_e32 v5, 23, v5
	v_lshrrev_b32_e32 v6, 4, v6
	s_delay_alu instid0(VALU_DEP_1) | instskip(SKIP_1) | instid1(VALU_DEP_2)
	v_sub_nc_u32_e32 v5, v6, v5
	v_ashrrev_i32_e32 v6, 8, v7
	v_add_nc_u32_e32 v5, 0x3c000000, v5
	s_delay_alu instid0(VALU_DEP_1) | instskip(NEXT) | instid1(VALU_DEP_1)
	v_and_or_b32 v5, 0x7f800000, v6, v5
	v_cndmask_b32_e32 v4, 0, v5, vcc_lo
	s_delay_alu instid0(VALU_DEP_1) | instskip(NEXT) | instid1(VALU_DEP_1)
	v_and_or_b32 v3, 0x80000000, v3, v4
	v_cvt_f64_f32_e32 v[3:4], v3
.LBB193_197:
	s_mov_b32 s2, 0
.LBB193_198:
	s_delay_alu instid0(SALU_CYCLE_1)
	s_and_not1_b32 vcc_lo, exec_lo, s2
	s_cbranch_vccnz .LBB193_200
; %bb.199:
	global_load_u8 v3, v[1:2], off
	s_waitcnt vmcnt(0)
	v_lshlrev_b32_e32 v4, 25, v3
	v_lshlrev_b16 v3, 8, v3
	s_delay_alu instid0(VALU_DEP_2) | instskip(NEXT) | instid1(VALU_DEP_2)
	v_lshrrev_b32_e32 v5, 4, v4
	v_and_or_b32 v6, 0x7f00, v3, 0.5
	v_bfe_i32 v3, v3, 0, 16
	s_delay_alu instid0(VALU_DEP_3) | instskip(NEXT) | instid1(VALU_DEP_1)
	v_or_b32_e32 v5, 0x70000000, v5
	v_dual_add_f32 v6, -0.5, v6 :: v_dual_mul_f32 v5, 0x7800000, v5
	v_cmp_gt_u32_e32 vcc_lo, 0x8000000, v4
	s_delay_alu instid0(VALU_DEP_2) | instskip(NEXT) | instid1(VALU_DEP_1)
	v_cndmask_b32_e32 v4, v5, v6, vcc_lo
	v_and_or_b32 v3, 0x80000000, v3, v4
	s_delay_alu instid0(VALU_DEP_1)
	v_cvt_f64_f32_e32 v[3:4], v3
.LBB193_200:
	s_mov_b32 s3, 0
	s_mov_b32 s2, -1
.LBB193_201:
	s_and_not1_b32 vcc_lo, exec_lo, s3
	s_cbranch_vccnz .LBB193_212
; %bb.202:
	v_cmp_lt_i16_e32 vcc_lo, 14, v9
	s_cbranch_vccz .LBB193_205
; %bb.203:
	v_cmp_eq_u16_e32 vcc_lo, 15, v9
	s_cbranch_vccz .LBB193_206
; %bb.204:
	global_load_u16 v3, v[1:2], off
	s_mov_b32 s2, -1
	s_mov_b32 s22, 0
	s_waitcnt vmcnt(0)
	v_lshlrev_b32_e32 v3, 16, v3
	s_delay_alu instid0(VALU_DEP_1)
	v_cvt_f64_f32_e32 v[3:4], v3
	s_branch .LBB193_207
.LBB193_205:
	s_mov_b32 s3, -1
                                        ; implicit-def: $vgpr3_vgpr4
	s_branch .LBB193_208
.LBB193_206:
	s_mov_b32 s22, -1
                                        ; implicit-def: $vgpr3_vgpr4
.LBB193_207:
	s_mov_b32 s3, 0
.LBB193_208:
	s_delay_alu instid0(SALU_CYCLE_1)
	s_and_b32 vcc_lo, exec_lo, s3
	s_cbranch_vccz .LBB193_212
; %bb.209:
	v_cmp_eq_u16_e32 vcc_lo, 11, v9
	s_cbranch_vccz .LBB193_211
; %bb.210:
	global_load_u8 v3, v[1:2], off
	s_mov_b32 s22, 0
	s_mov_b32 s2, -1
	s_waitcnt vmcnt(0)
	v_cmp_ne_u16_e32 vcc_lo, 0, v3
	v_mov_b32_e32 v3, 0
	v_cndmask_b32_e64 v4, 0, 0x3ff00000, vcc_lo
	s_branch .LBB193_212
.LBB193_211:
	s_mov_b32 s22, -1
                                        ; implicit-def: $vgpr3_vgpr4
.LBB193_212:
	s_branch .LBB193_23
.LBB193_213:
	v_cmp_gt_i16_e32 vcc_lo, 5, v9
	s_cbranch_vccnz .LBB193_218
; %bb.214:
	v_cmp_gt_i16_e32 vcc_lo, 8, v9
	s_cbranch_vccnz .LBB193_219
; %bb.215:
	;; [unrolled: 3-line block ×3, first 2 shown]
	v_cmp_lt_i16_e32 vcc_lo, 9, v9
	s_cbranch_vccz .LBB193_221
; %bb.217:
	global_load_b64 v[3:4], v[1:2], off
	s_mov_b32 s2, 0
	s_branch .LBB193_222
.LBB193_218:
                                        ; implicit-def: $vgpr3_vgpr4
	s_branch .LBB193_240
.LBB193_219:
	s_mov_b32 s2, -1
                                        ; implicit-def: $vgpr3_vgpr4
	s_branch .LBB193_228
.LBB193_220:
	s_mov_b32 s2, -1
                                        ; implicit-def: $vgpr3_vgpr4
	s_branch .LBB193_225
.LBB193_221:
	s_mov_b32 s2, -1
                                        ; implicit-def: $vgpr3_vgpr4
.LBB193_222:
	s_delay_alu instid0(SALU_CYCLE_1)
	s_and_not1_b32 vcc_lo, exec_lo, s2
	s_cbranch_vccnz .LBB193_224
; %bb.223:
	global_load_b32 v3, v[1:2], off
	s_waitcnt vmcnt(0)
	v_cvt_f64_f32_e32 v[3:4], v3
.LBB193_224:
	s_mov_b32 s2, 0
.LBB193_225:
	s_delay_alu instid0(SALU_CYCLE_1)
	s_and_not1_b32 vcc_lo, exec_lo, s2
	s_cbranch_vccnz .LBB193_227
; %bb.226:
	global_load_b32 v3, v[1:2], off
	s_waitcnt vmcnt(0)
	v_cvt_f32_f16_e32 v3, v3
	s_delay_alu instid0(VALU_DEP_1)
	v_cvt_f64_f32_e32 v[3:4], v3
.LBB193_227:
	s_mov_b32 s2, 0
.LBB193_228:
	s_delay_alu instid0(SALU_CYCLE_1)
	s_and_not1_b32 vcc_lo, exec_lo, s2
	s_cbranch_vccnz .LBB193_239
; %bb.229:
	v_cmp_gt_i16_e32 vcc_lo, 6, v9
	s_cbranch_vccnz .LBB193_232
; %bb.230:
	v_cmp_lt_i16_e32 vcc_lo, 6, v9
	s_cbranch_vccz .LBB193_233
; %bb.231:
	global_load_b64 v[3:4], v[1:2], off
	s_mov_b32 s2, 0
	s_branch .LBB193_234
.LBB193_232:
	s_mov_b32 s2, -1
                                        ; implicit-def: $vgpr3_vgpr4
	s_branch .LBB193_237
.LBB193_233:
	s_mov_b32 s2, -1
                                        ; implicit-def: $vgpr3_vgpr4
.LBB193_234:
	s_delay_alu instid0(SALU_CYCLE_1)
	s_and_not1_b32 vcc_lo, exec_lo, s2
	s_cbranch_vccnz .LBB193_236
; %bb.235:
	global_load_b32 v3, v[1:2], off
	s_waitcnt vmcnt(0)
	v_cvt_f64_f32_e32 v[3:4], v3
.LBB193_236:
	s_mov_b32 s2, 0
.LBB193_237:
	s_delay_alu instid0(SALU_CYCLE_1)
	s_and_not1_b32 vcc_lo, exec_lo, s2
	s_cbranch_vccnz .LBB193_239
; %bb.238:
	global_load_u16 v3, v[1:2], off
	s_waitcnt vmcnt(0)
	v_cvt_f32_f16_e32 v3, v3
	s_delay_alu instid0(VALU_DEP_1)
	v_cvt_f64_f32_e32 v[3:4], v3
.LBB193_239:
	s_cbranch_execnz .LBB193_259
.LBB193_240:
	v_cmp_gt_i16_e32 vcc_lo, 2, v9
	s_cbranch_vccnz .LBB193_244
; %bb.241:
	v_cmp_gt_i16_e32 vcc_lo, 3, v9
	s_cbranch_vccnz .LBB193_245
; %bb.242:
	v_cmp_lt_i16_e32 vcc_lo, 3, v9
	s_cbranch_vccz .LBB193_246
; %bb.243:
	global_load_b64 v[3:4], v[1:2], off
	s_mov_b32 s2, 0
	s_waitcnt vmcnt(0)
	v_cvt_f64_i32_e32 v[4:5], v4
	v_cvt_f64_u32_e32 v[6:7], v3
	s_delay_alu instid0(VALU_DEP_2) | instskip(NEXT) | instid1(VALU_DEP_1)
	v_ldexp_f64 v[4:5], v[4:5], 32
	v_add_f64 v[3:4], v[4:5], v[6:7]
	s_branch .LBB193_247
.LBB193_244:
	s_mov_b32 s2, -1
                                        ; implicit-def: $vgpr3_vgpr4
	s_branch .LBB193_253
.LBB193_245:
	s_mov_b32 s2, -1
                                        ; implicit-def: $vgpr3_vgpr4
	s_branch .LBB193_250
.LBB193_246:
	s_mov_b32 s2, -1
                                        ; implicit-def: $vgpr3_vgpr4
.LBB193_247:
	s_delay_alu instid0(SALU_CYCLE_1)
	s_and_not1_b32 vcc_lo, exec_lo, s2
	s_cbranch_vccnz .LBB193_249
; %bb.248:
	global_load_b32 v3, v[1:2], off
	s_waitcnt vmcnt(0)
	v_cvt_f64_i32_e32 v[3:4], v3
.LBB193_249:
	s_mov_b32 s2, 0
.LBB193_250:
	s_delay_alu instid0(SALU_CYCLE_1)
	s_and_not1_b32 vcc_lo, exec_lo, s2
	s_cbranch_vccnz .LBB193_252
; %bb.251:
	global_load_i16 v3, v[1:2], off
	s_waitcnt vmcnt(0)
	v_cvt_f64_i32_e32 v[3:4], v3
.LBB193_252:
	s_mov_b32 s2, 0
.LBB193_253:
	s_delay_alu instid0(SALU_CYCLE_1)
	s_and_not1_b32 vcc_lo, exec_lo, s2
	s_cbranch_vccnz .LBB193_259
; %bb.254:
	v_cmp_lt_i16_e32 vcc_lo, 0, v9
	s_mov_b32 s2, 0
	s_cbranch_vccz .LBB193_256
; %bb.255:
	global_load_i8 v3, v[1:2], off
	s_waitcnt vmcnt(0)
	v_cvt_f64_i32_e32 v[3:4], v3
	s_branch .LBB193_257
.LBB193_256:
	s_mov_b32 s2, -1
                                        ; implicit-def: $vgpr3_vgpr4
.LBB193_257:
	s_delay_alu instid0(SALU_CYCLE_1)
	s_and_not1_b32 vcc_lo, exec_lo, s2
	s_cbranch_vccnz .LBB193_259
; %bb.258:
	global_load_u8 v1, v[1:2], off
	s_waitcnt vmcnt(0)
	v_cvt_f64_u32_e32 v[3:4], v1
.LBB193_259:
	s_branch .LBB193_24
.LBB193_260:
	s_mov_b32 s3, 0
.LBB193_261:
	s_mov_b32 s2, 0
                                        ; implicit-def: $vgpr10
.LBB193_262:
	s_and_b32 s34, s3, exec_lo
	s_and_b32 s35, s22, exec_lo
	s_or_not1_b32 s3, s2, exec_lo
.LBB193_263:
	s_or_b32 exec_lo, exec_lo, s36
	s_mov_b32 s22, 0
	s_mov_b32 s2, 0
                                        ; implicit-def: $vgpr0_vgpr1
                                        ; implicit-def: $vgpr2
                                        ; implicit-def: $vgpr6_vgpr7
	s_and_saveexec_b32 s36, s3
	s_cbranch_execz .LBB193_906
; %bb.264:
	s_mov_b32 s2, -1
	s_mov_b32 s37, s35
	s_mov_b32 s38, s34
	s_mov_b32 s39, exec_lo
	v_cmpx_gt_i32_e64 s30, v10
	s_cbranch_execz .LBB193_533
; %bb.265:
	s_and_not1_b32 vcc_lo, exec_lo, s27
	s_cbranch_vccnz .LBB193_270
; %bb.266:
	v_dual_mov_b32 v0, 0 :: v_dual_mov_b32 v1, 0
	s_and_not1_b32 vcc_lo, exec_lo, s33
	s_mov_b32 s37, 0
	s_cbranch_vccnz .LBB193_275
; %bb.267:
	v_mov_b32_e32 v0, 0
	s_add_i32 s40, s31, 1
	s_cmp_eq_u32 s25, 2
	s_mov_b32 s38, 0
	s_cbranch_scc1 .LBB193_271
; %bb.268:
	v_dual_mov_b32 v1, 0 :: v_dual_mov_b32 v0, 0
	v_mov_b32_e32 v2, v10
	s_and_b32 s38, s40, 28
	s_mov_b32 s41, 0
	s_mov_b64 s[2:3], s[20:21]
	s_mov_b64 s[22:23], s[16:17]
.LBB193_269:                            ; =>This Inner Loop Header: Depth=1
	s_clause 0x1
	s_load_b256 s[44:51], s[22:23], 0x4
	s_load_b128 s[60:63], s[22:23], 0x24
	s_load_b256 s[52:59], s[2:3], 0x0
	s_add_u32 s22, s22, 48
	s_addc_u32 s23, s23, 0
	s_add_i32 s41, s41, 4
	s_add_u32 s2, s2, 32
	s_addc_u32 s3, s3, 0
	s_cmp_eq_u32 s38, s41
	s_waitcnt vmcnt(0) lgkmcnt(0)
	v_mul_hi_u32 v3, s45, v2
	s_delay_alu instid0(VALU_DEP_1) | instskip(NEXT) | instid1(VALU_DEP_1)
	v_add_nc_u32_e32 v3, v2, v3
	v_lshrrev_b32_e32 v3, s46, v3
	s_delay_alu instid0(VALU_DEP_1) | instskip(SKIP_1) | instid1(VALU_DEP_2)
	v_mul_hi_u32 v4, s48, v3
	v_mul_lo_u32 v6, v3, s44
	v_add_nc_u32_e32 v4, v3, v4
	s_delay_alu instid0(VALU_DEP_2) | instskip(NEXT) | instid1(VALU_DEP_2)
	v_sub_nc_u32_e32 v2, v2, v6
	v_lshrrev_b32_e32 v4, s49, v4
	s_delay_alu instid0(VALU_DEP_2) | instskip(SKIP_1) | instid1(VALU_DEP_3)
	v_mul_lo_u32 v6, v2, s52
	v_mul_lo_u32 v11, v2, s53
	v_mul_hi_u32 v5, s51, v4
	s_delay_alu instid0(VALU_DEP_1) | instskip(NEXT) | instid1(VALU_DEP_1)
	v_add_nc_u32_e32 v5, v4, v5
	v_lshrrev_b32_e32 v5, s60, v5
	s_delay_alu instid0(VALU_DEP_1) | instskip(SKIP_1) | instid1(VALU_DEP_2)
	v_mul_hi_u32 v7, s62, v5
	v_mul_lo_u32 v12, v5, s50
	v_add_nc_u32_e32 v2, v5, v7
	v_mul_lo_u32 v7, v4, s47
	s_delay_alu instid0(VALU_DEP_3) | instskip(NEXT) | instid1(VALU_DEP_3)
	v_sub_nc_u32_e32 v4, v4, v12
	v_lshrrev_b32_e32 v2, s63, v2
	s_delay_alu instid0(VALU_DEP_2) | instskip(SKIP_2) | instid1(VALU_DEP_4)
	v_mul_lo_u32 v12, v4, s56
	v_mul_lo_u32 v4, v4, s57
	v_sub_nc_u32_e32 v3, v3, v7
	v_mul_lo_u32 v13, v2, s61
	s_delay_alu instid0(VALU_DEP_2) | instskip(SKIP_1) | instid1(VALU_DEP_3)
	v_mul_lo_u32 v7, v3, s54
	v_mul_lo_u32 v3, v3, s55
	v_sub_nc_u32_e32 v5, v5, v13
	s_delay_alu instid0(VALU_DEP_3) | instskip(NEXT) | instid1(VALU_DEP_2)
	v_add3_u32 v0, v6, v0, v7
	v_mul_lo_u32 v13, v5, s58
	v_mul_lo_u32 v5, v5, s59
	v_add3_u32 v1, v11, v1, v3
	s_delay_alu instid0(VALU_DEP_3) | instskip(NEXT) | instid1(VALU_DEP_2)
	v_add3_u32 v0, v12, v0, v13
	v_add3_u32 v1, v4, v1, v5
	s_cbranch_scc0 .LBB193_269
	s_branch .LBB193_272
.LBB193_270:
	s_mov_b32 s37, -1
                                        ; implicit-def: $vgpr0
                                        ; implicit-def: $vgpr1
	s_branch .LBB193_275
.LBB193_271:
	v_dual_mov_b32 v2, v10 :: v_dual_mov_b32 v1, 0
.LBB193_272:
	s_and_b32 s40, s40, 3
	s_delay_alu instid0(SALU_CYCLE_1)
	s_cmp_eq_u32 s40, 0
	s_cbranch_scc1 .LBB193_275
; %bb.273:
	s_lshl_b32 s2, s38, 3
	s_mul_i32 s22, s38, 12
	s_add_u32 s2, s2, s16
	s_addc_u32 s3, s17, 0
	s_add_u32 s2, s2, 0xc4
	s_addc_u32 s3, s3, 0
	;; [unrolled: 2-line block ×3, first 2 shown]
	.p2align	6
.LBB193_274:                            ; =>This Inner Loop Header: Depth=1
	s_clause 0x1
	s_load_b64 s[42:43], s[22:23], 0x4
	s_load_b32 s38, s[22:23], 0xc
	s_load_b64 s[44:45], s[2:3], 0x0
	s_add_u32 s22, s22, 12
	s_addc_u32 s23, s23, 0
	s_add_u32 s2, s2, 8
	s_addc_u32 s3, s3, 0
	s_add_i32 s40, s40, -1
	s_delay_alu instid0(SALU_CYCLE_1) | instskip(SKIP_2) | instid1(VALU_DEP_1)
	s_cmp_lg_u32 s40, 0
	s_waitcnt vmcnt(0) lgkmcnt(0)
	v_mul_hi_u32 v3, s43, v2
	v_add_nc_u32_e32 v3, v2, v3
	s_delay_alu instid0(VALU_DEP_1) | instskip(NEXT) | instid1(VALU_DEP_1)
	v_lshrrev_b32_e32 v6, s38, v3
	v_mul_lo_u32 v3, v6, s42
	s_delay_alu instid0(VALU_DEP_1) | instskip(NEXT) | instid1(VALU_DEP_1)
	v_sub_nc_u32_e32 v2, v2, v3
	v_mad_u64_u32 v[3:4], null, v2, s44, v[0:1]
	v_mad_u64_u32 v[4:5], null, v2, s45, v[1:2]
	v_mov_b32_e32 v2, v6
	s_delay_alu instid0(VALU_DEP_2)
	v_dual_mov_b32 v0, v3 :: v_dual_mov_b32 v1, v4
	s_cbranch_scc1 .LBB193_274
.LBB193_275:
	s_and_not1_b32 vcc_lo, exec_lo, s37
	s_cbranch_vccnz .LBB193_278
; %bb.276:
	s_waitcnt lgkmcnt(0)
	v_mul_hi_u32 v0, s13, v10
	s_and_not1_b32 vcc_lo, exec_lo, s29
	s_delay_alu instid0(VALU_DEP_1) | instskip(NEXT) | instid1(VALU_DEP_1)
	v_add_nc_u32_e32 v0, v10, v0
	v_lshrrev_b32_e32 v2, s14, v0
	s_delay_alu instid0(VALU_DEP_1) | instskip(NEXT) | instid1(VALU_DEP_1)
	v_mul_lo_u32 v0, v2, s12
	v_sub_nc_u32_e32 v1, v10, v0
	s_delay_alu instid0(VALU_DEP_1)
	v_mul_lo_u32 v0, v1, s8
	v_mul_lo_u32 v1, v1, s9
	s_cbranch_vccnz .LBB193_278
; %bb.277:
	s_waitcnt vmcnt(0)
	v_mul_hi_u32 v3, s18, v2
	s_delay_alu instid0(VALU_DEP_1) | instskip(NEXT) | instid1(VALU_DEP_1)
	v_add_nc_u32_e32 v3, v2, v3
	v_lshrrev_b32_e32 v3, s19, v3
	s_delay_alu instid0(VALU_DEP_1) | instskip(NEXT) | instid1(VALU_DEP_1)
	v_mul_lo_u32 v3, v3, s15
	v_sub_nc_u32_e32 v5, v2, v3
	s_delay_alu instid0(VALU_DEP_1) | instskip(NEXT) | instid1(VALU_DEP_1)
	v_mad_u64_u32 v[2:3], null, v5, s10, v[0:1]
	v_mad_u64_u32 v[3:4], null, v5, s11, v[1:2]
	s_delay_alu instid0(VALU_DEP_1)
	v_dual_mov_b32 v0, v2 :: v_dual_mov_b32 v1, v3
.LBB193_278:
	v_cmp_gt_i16_e32 vcc_lo, 11, v9
	s_waitcnt lgkmcnt(0)
	s_delay_alu instid0(VALU_DEP_2) | instskip(NEXT) | instid1(VALU_DEP_1)
	v_add_co_u32 v1, s2, s6, v1
	v_add_co_ci_u32_e64 v2, null, s7, 0, s2
	s_mov_b32 s2, 0
	s_cbranch_vccnz .LBB193_285
; %bb.279:
	v_cmp_lt_i16_e32 vcc_lo, 25, v9
	s_cbranch_vccz .LBB193_334
; %bb.280:
	v_cmp_lt_i16_e32 vcc_lo, 28, v9
	s_cbranch_vccz .LBB193_335
	;; [unrolled: 3-line block ×4, first 2 shown]
; %bb.283:
	v_cmp_eq_u16_e32 vcc_lo, 46, v9
	s_mov_b32 s3, 0
	s_cbranch_vccz .LBB193_343
; %bb.284:
	global_load_b32 v3, v[1:2], off
	s_mov_b32 s2, -1
	s_mov_b32 s22, 0
	s_waitcnt vmcnt(0)
	v_lshlrev_b32_e32 v3, 16, v3
	s_delay_alu instid0(VALU_DEP_1)
	v_cvt_f64_f32_e32 v[3:4], v3
	s_branch .LBB193_345
.LBB193_285:
	s_mov_b32 s22, s35
                                        ; implicit-def: $vgpr3_vgpr4
	s_cbranch_execnz .LBB193_482
.LBB193_286:
	s_and_not1_b32 vcc_lo, exec_lo, s2
	s_cbranch_vccnz .LBB193_530
.LBB193_287:
	s_waitcnt vmcnt(0)
	s_delay_alu instid0(VALU_DEP_1) | instskip(SKIP_4) | instid1(VALU_DEP_2)
	v_rsq_f64_e32 v[11:12], v[3:4]
	s_mov_b32 s3, 0
	s_waitcnt_depctr 0xfff
	v_mul_f64 v[1:2], v[11:12], -v[3:4]
	v_cmp_class_f64_e64 vcc_lo, v[11:12], 0x180
	v_fma_f64 v[1:2], v[1:2], v[11:12], 1.0
	s_delay_alu instid0(VALU_DEP_1) | instskip(SKIP_1) | instid1(VALU_DEP_1)
	v_mul_f64 v[3:4], v[11:12], v[1:2]
	v_fma_f64 v[1:2], 0x3fd80000, v[1:2], 0.5
	v_fma_f64 v[2:3], v[3:4], v[1:2], v[11:12]
	v_and_b32_e32 v6, 0xff, v8
	v_add_co_u32 v4, s23, s4, v0
	s_delay_alu instid0(VALU_DEP_1) | instskip(SKIP_1) | instid1(VALU_DEP_4)
	v_add_co_ci_u32_e64 v5, null, s5, 0, s23
	s_mov_b32 s23, -1
	v_cndmask_b32_e32 v1, v12, v3, vcc_lo
	v_cmp_gt_i16_e64 s2, 11, v6
	v_cndmask_b32_e32 v0, v11, v2, vcc_lo
	s_delay_alu instid0(VALU_DEP_2)
	s_and_b32 vcc_lo, exec_lo, s2
	s_mov_b32 s2, s34
	s_cbranch_vccnz .LBB193_294
; %bb.288:
	v_cmp_lt_i16_e32 vcc_lo, 25, v6
	s_cbranch_vccz .LBB193_336
; %bb.289:
	v_cmp_lt_i16_e32 vcc_lo, 28, v6
	s_cbranch_vccz .LBB193_338
	;; [unrolled: 3-line block ×4, first 2 shown]
; %bb.292:
	v_cmp_eq_u16_e32 vcc_lo, 46, v6
	s_mov_b32 s23, 0
	s_mov_b32 s2, -1
	s_cbranch_vccz .LBB193_349
; %bb.293:
	v_cvt_f32_f64_e32 v2, v[0:1]
	s_mov_b32 s3, -1
	s_mov_b32 s2, 0
	s_delay_alu instid0(VALU_DEP_1) | instskip(SKIP_1) | instid1(VALU_DEP_2)
	v_bfe_u32 v3, v2, 16, 1
	v_cmp_o_f32_e32 vcc_lo, v2, v2
	v_add3_u32 v3, v2, v3, 0x7fff
	s_delay_alu instid0(VALU_DEP_1) | instskip(NEXT) | instid1(VALU_DEP_1)
	v_lshrrev_b32_e32 v3, 16, v3
	v_cndmask_b32_e32 v2, 0x7fc0, v3, vcc_lo
	global_store_b32 v[4:5], v2, off
	s_branch .LBB193_349
.LBB193_294:
	s_and_b32 vcc_lo, exec_lo, s23
	s_cbranch_vccz .LBB193_418
; %bb.295:
	v_cmp_gt_i16_e32 vcc_lo, 5, v6
	s_mov_b32 s3, -1
	s_cbranch_vccnz .LBB193_316
; %bb.296:
	v_cmp_gt_i16_e32 vcc_lo, 8, v6
	s_cbranch_vccnz .LBB193_306
; %bb.297:
	v_cmp_gt_i16_e32 vcc_lo, 9, v6
	s_cbranch_vccnz .LBB193_303
; %bb.298:
	v_cmp_lt_i16_e32 vcc_lo, 9, v6
	s_cbranch_vccz .LBB193_300
; %bb.299:
	v_mov_b32_e32 v2, 0
	s_mov_b32 s3, 0
	s_delay_alu instid0(VALU_DEP_1)
	v_mov_b32_e32 v3, v2
	global_store_b128 v[4:5], v[0:3], off
.LBB193_300:
	s_and_not1_b32 vcc_lo, exec_lo, s3
	s_cbranch_vccnz .LBB193_302
; %bb.301:
	v_cvt_f32_f64_e32 v2, v[0:1]
	v_mov_b32_e32 v3, 0
	global_store_b64 v[4:5], v[2:3], off
.LBB193_302:
	s_mov_b32 s3, 0
.LBB193_303:
	s_delay_alu instid0(SALU_CYCLE_1)
	s_and_not1_b32 vcc_lo, exec_lo, s3
	s_cbranch_vccnz .LBB193_305
; %bb.304:
	v_cvt_f32_f64_e32 v2, v[0:1]
	s_delay_alu instid0(VALU_DEP_1) | instskip(NEXT) | instid1(VALU_DEP_1)
	v_cvt_f16_f32_e32 v2, v2
	v_and_b32_e32 v2, 0xffff, v2
	global_store_b32 v[4:5], v2, off
.LBB193_305:
	s_mov_b32 s3, 0
.LBB193_306:
	s_delay_alu instid0(SALU_CYCLE_1)
	s_and_not1_b32 vcc_lo, exec_lo, s3
	s_cbranch_vccnz .LBB193_315
; %bb.307:
	v_cmp_gt_i16_e32 vcc_lo, 6, v6
	s_mov_b32 s3, -1
	s_cbranch_vccnz .LBB193_313
; %bb.308:
	v_cmp_lt_i16_e32 vcc_lo, 6, v6
	s_cbranch_vccz .LBB193_310
; %bb.309:
	s_mov_b32 s3, 0
	global_store_b64 v[4:5], v[0:1], off
.LBB193_310:
	s_and_not1_b32 vcc_lo, exec_lo, s3
	s_cbranch_vccnz .LBB193_312
; %bb.311:
	v_cvt_f32_f64_e32 v2, v[0:1]
	global_store_b32 v[4:5], v2, off
.LBB193_312:
	s_mov_b32 s3, 0
.LBB193_313:
	s_delay_alu instid0(SALU_CYCLE_1)
	s_and_not1_b32 vcc_lo, exec_lo, s3
	s_cbranch_vccnz .LBB193_315
; %bb.314:
	v_cvt_f32_f64_e32 v2, v[0:1]
	s_delay_alu instid0(VALU_DEP_1)
	v_cvt_f16_f32_e32 v2, v2
	global_store_b16 v[4:5], v2, off
.LBB193_315:
	s_mov_b32 s3, 0
.LBB193_316:
	s_delay_alu instid0(SALU_CYCLE_1)
	s_and_not1_b32 vcc_lo, exec_lo, s3
	s_cbranch_vccnz .LBB193_332
; %bb.317:
	v_cmp_gt_i16_e32 vcc_lo, 2, v6
	s_mov_b32 s3, -1
	s_cbranch_vccnz .LBB193_327
; %bb.318:
	v_cmp_gt_i16_e32 vcc_lo, 3, v6
	s_cbranch_vccnz .LBB193_324
; %bb.319:
	v_cmp_lt_i16_e32 vcc_lo, 3, v6
	s_cbranch_vccz .LBB193_321
; %bb.320:
	v_trunc_f64_e32 v[2:3], v[0:1]
	s_mov_b32 s3, 0
	s_delay_alu instid0(VALU_DEP_1) | instskip(NEXT) | instid1(VALU_DEP_1)
	v_ldexp_f64 v[11:12], v[2:3], 0xffffffe0
	v_floor_f64_e32 v[11:12], v[11:12]
	s_delay_alu instid0(VALU_DEP_1) | instskip(SKIP_1) | instid1(VALU_DEP_2)
	v_fma_f64 v[2:3], 0xc1f00000, v[11:12], v[2:3]
	v_cvt_i32_f64_e32 v12, v[11:12]
	v_cvt_u32_f64_e32 v11, v[2:3]
	global_store_b64 v[4:5], v[11:12], off
.LBB193_321:
	s_and_not1_b32 vcc_lo, exec_lo, s3
	s_cbranch_vccnz .LBB193_323
; %bb.322:
	v_cvt_i32_f64_e32 v2, v[0:1]
	global_store_b32 v[4:5], v2, off
.LBB193_323:
	s_mov_b32 s3, 0
.LBB193_324:
	s_delay_alu instid0(SALU_CYCLE_1)
	s_and_not1_b32 vcc_lo, exec_lo, s3
	s_cbranch_vccnz .LBB193_326
; %bb.325:
	v_cvt_i32_f64_e32 v2, v[0:1]
	global_store_b16 v[4:5], v2, off
.LBB193_326:
	s_mov_b32 s3, 0
.LBB193_327:
	s_delay_alu instid0(SALU_CYCLE_1)
	s_and_not1_b32 vcc_lo, exec_lo, s3
	s_cbranch_vccnz .LBB193_332
; %bb.328:
	v_cmp_lt_i16_e32 vcc_lo, 0, v6
	s_mov_b32 s3, -1
	s_cbranch_vccz .LBB193_330
; %bb.329:
	v_cvt_i32_f64_e32 v2, v[0:1]
	s_mov_b32 s3, 0
	global_store_b8 v[4:5], v2, off
.LBB193_330:
	s_and_not1_b32 vcc_lo, exec_lo, s3
	s_cbranch_vccnz .LBB193_332
; %bb.331:
	v_trunc_f64_e32 v[0:1], v[0:1]
	s_delay_alu instid0(VALU_DEP_1) | instskip(NEXT) | instid1(VALU_DEP_1)
	v_ldexp_f64 v[2:3], v[0:1], 0xffffffe0
	v_floor_f64_e32 v[2:3], v[2:3]
	s_delay_alu instid0(VALU_DEP_1) | instskip(NEXT) | instid1(VALU_DEP_1)
	v_fma_f64 v[0:1], 0xc1f00000, v[2:3], v[0:1]
	v_cvt_u32_f64_e32 v0, v[0:1]
	global_store_b8 v[4:5], v0, off
.LBB193_332:
	s_branch .LBB193_419
.LBB193_333:
	s_mov_b32 s3, 0
	s_branch .LBB193_531
.LBB193_334:
	s_mov_b32 s3, -1
	s_mov_b32 s22, s35
                                        ; implicit-def: $vgpr3_vgpr4
	s_branch .LBB193_448
.LBB193_335:
	s_mov_b32 s3, -1
	s_mov_b32 s22, s35
                                        ; implicit-def: $vgpr3_vgpr4
	s_branch .LBB193_427
.LBB193_336:
	s_mov_b32 s2, s34
	s_branch .LBB193_376
.LBB193_337:
	s_mov_b32 s3, -1
	s_mov_b32 s22, s35
                                        ; implicit-def: $vgpr3_vgpr4
	s_branch .LBB193_422
.LBB193_338:
	s_mov_b32 s2, s34
	s_branch .LBB193_359
.LBB193_339:
	s_mov_b32 s3, -1
	s_mov_b32 s22, s35
	s_branch .LBB193_344
.LBB193_340:
	s_mov_b32 s2, s34
	s_branch .LBB193_355
.LBB193_341:
	s_or_saveexec_b32 s34, s34
                                        ; implicit-def: $sgpr35
	s_delay_alu instid0(SALU_CYCLE_1)
	s_xor_b32 exec_lo, exec_lo, s34
	s_cbranch_execz .LBB193_65
.LBB193_342:
	v_add_f32_e64 v3, 0x42800000, |v2|
	s_and_not1_b32 s23, s23, exec_lo
	s_mov_b32 s35, 0
	s_delay_alu instid0(VALU_DEP_1) | instskip(NEXT) | instid1(VALU_DEP_1)
	v_and_b32_e32 v3, 0xff, v3
	v_cmp_ne_u32_e32 vcc_lo, 0, v3
	s_and_b32 s38, vcc_lo, exec_lo
	s_delay_alu instid0(SALU_CYCLE_1)
	s_or_b32 s23, s23, s38
	s_or_b32 exec_lo, exec_lo, s34
	v_mov_b32_e32 v7, s35
	s_and_saveexec_b32 s34, s23
	s_cbranch_execnz .LBB193_66
	s_branch .LBB193_67
.LBB193_343:
	s_mov_b32 s22, -1
.LBB193_344:
                                        ; implicit-def: $vgpr3_vgpr4
.LBB193_345:
	s_and_b32 vcc_lo, exec_lo, s3
	s_cbranch_vccz .LBB193_421
; %bb.346:
	v_cmp_eq_u16_e32 vcc_lo, 44, v9
	s_cbranch_vccz .LBB193_420
; %bb.347:
	global_load_u8 v5, v[1:2], off
	s_mov_b32 s22, 0
	s_mov_b32 s2, -1
	s_waitcnt vmcnt(0)
	v_cmp_ne_u32_e32 vcc_lo, 0xff, v5
	v_lshlrev_b32_e32 v3, 23, v5
	s_delay_alu instid0(VALU_DEP_1) | instskip(NEXT) | instid1(VALU_DEP_1)
	v_cvt_f64_f32_e32 v[3:4], v3
	v_cndmask_b32_e32 v4, 0x7ff80000, v4, vcc_lo
	s_delay_alu instid0(VALU_DEP_2) | instskip(SKIP_1) | instid1(VALU_DEP_3)
	v_cndmask_b32_e32 v3, 0x20000000, v3, vcc_lo
	v_cmp_ne_u32_e32 vcc_lo, 0, v5
	v_cndmask_b32_e32 v4, 0x38000000, v4, vcc_lo
	s_delay_alu instid0(VALU_DEP_3)
	v_cndmask_b32_e32 v3, 0, v3, vcc_lo
	s_branch .LBB193_421
.LBB193_348:
	s_mov_b32 s2, s34
.LBB193_349:
	s_and_b32 vcc_lo, exec_lo, s23
	s_cbranch_vccz .LBB193_354
; %bb.350:
	v_cmp_eq_u16_e32 vcc_lo, 44, v6
	s_mov_b32 s2, -1
	s_cbranch_vccz .LBB193_354
; %bb.351:
	v_cvt_f32_f64_e32 v2, v[0:1]
	v_mov_b32_e32 v3, 0xff
	s_mov_b32 s3, exec_lo
	s_delay_alu instid0(VALU_DEP_2) | instskip(NEXT) | instid1(VALU_DEP_1)
	v_bfe_u32 v7, v2, 23, 8
	v_cmpx_ne_u32_e32 0xff, v7
; %bb.352:
	v_and_b32_e32 v3, 0x400000, v2
	v_and_or_b32 v7, 0x3fffff, v2, v7
	v_lshrrev_b32_e32 v2, 23, v2
	s_delay_alu instid0(VALU_DEP_3) | instskip(NEXT) | instid1(VALU_DEP_3)
	v_cmp_ne_u32_e32 vcc_lo, 0, v3
	v_cmp_ne_u32_e64 s2, 0, v7
	s_delay_alu instid0(VALU_DEP_1) | instskip(NEXT) | instid1(SALU_CYCLE_1)
	s_and_b32 s2, vcc_lo, s2
	v_cndmask_b32_e64 v3, 0, 1, s2
	s_delay_alu instid0(VALU_DEP_1)
	v_add_nc_u32_e32 v3, v2, v3
; %bb.353:
	s_or_b32 exec_lo, exec_lo, s3
	s_mov_b32 s3, -1
	s_mov_b32 s2, 0
	global_store_b8 v[4:5], v3, off
.LBB193_354:
	s_mov_b32 s23, 0
.LBB193_355:
	s_delay_alu instid0(SALU_CYCLE_1)
	s_and_b32 vcc_lo, exec_lo, s23
	s_cbranch_vccz .LBB193_358
; %bb.356:
	v_cmp_eq_u16_e32 vcc_lo, 29, v6
	s_mov_b32 s2, -1
	s_cbranch_vccz .LBB193_358
; %bb.357:
	v_trunc_f64_e32 v[2:3], v[0:1]
	s_mov_b32 s3, -1
	s_mov_b32 s2, 0
	s_mov_b32 s23, 0
	s_delay_alu instid0(VALU_DEP_1) | instskip(NEXT) | instid1(VALU_DEP_1)
	v_ldexp_f64 v[11:12], v[2:3], 0xffffffe0
	v_floor_f64_e32 v[11:12], v[11:12]
	s_delay_alu instid0(VALU_DEP_1) | instskip(SKIP_1) | instid1(VALU_DEP_2)
	v_fma_f64 v[2:3], 0xc1f00000, v[11:12], v[2:3]
	v_cvt_u32_f64_e32 v12, v[11:12]
	v_cvt_u32_f64_e32 v11, v[2:3]
	global_store_b64 v[4:5], v[11:12], off
	s_branch .LBB193_359
.LBB193_358:
	s_mov_b32 s23, 0
.LBB193_359:
	s_delay_alu instid0(SALU_CYCLE_1)
	s_and_b32 vcc_lo, exec_lo, s23
	s_cbranch_vccz .LBB193_375
; %bb.360:
	v_cmp_gt_i16_e32 vcc_lo, 27, v6
	s_mov_b32 s3, -1
	s_cbranch_vccnz .LBB193_366
; %bb.361:
	v_cmp_lt_i16_e32 vcc_lo, 27, v6
	s_cbranch_vccz .LBB193_363
; %bb.362:
	v_cvt_u32_f64_e32 v2, v[0:1]
	s_mov_b32 s3, 0
	global_store_b32 v[4:5], v2, off
.LBB193_363:
	s_and_not1_b32 vcc_lo, exec_lo, s3
	s_cbranch_vccnz .LBB193_365
; %bb.364:
	v_cvt_u32_f64_e32 v2, v[0:1]
	global_store_b16 v[4:5], v2, off
.LBB193_365:
	s_mov_b32 s3, 0
.LBB193_366:
	s_delay_alu instid0(SALU_CYCLE_1)
	s_and_not1_b32 vcc_lo, exec_lo, s3
	s_cbranch_vccnz .LBB193_374
; %bb.367:
	v_cvt_f32_f64_e32 v2, v[0:1]
	v_mov_b32_e32 v7, 0x80
	s_mov_b32 s3, exec_lo
	s_delay_alu instid0(VALU_DEP_2) | instskip(NEXT) | instid1(VALU_DEP_1)
	v_and_b32_e32 v3, 0x7fffffff, v2
	v_cmpx_gt_u32_e32 0x43800000, v3
	s_cbranch_execz .LBB193_373
; %bb.368:
	v_cmp_lt_u32_e32 vcc_lo, 0x3bffffff, v3
	s_mov_b32 s23, 0
                                        ; implicit-def: $vgpr3
	s_and_saveexec_b32 s37, vcc_lo
	s_delay_alu instid0(SALU_CYCLE_1)
	s_xor_b32 s37, exec_lo, s37
	s_cbranch_execz .LBB193_559
; %bb.369:
	v_bfe_u32 v3, v2, 20, 1
	s_mov_b32 s23, exec_lo
	s_delay_alu instid0(VALU_DEP_1) | instskip(NEXT) | instid1(VALU_DEP_1)
	v_add3_u32 v3, v2, v3, 0x487ffff
	v_lshrrev_b32_e32 v3, 20, v3
	s_or_saveexec_b32 s37, s37
                                        ; implicit-def: $sgpr38
	s_delay_alu instid0(SALU_CYCLE_1)
	s_xor_b32 exec_lo, exec_lo, s37
	s_cbranch_execnz .LBB193_560
.LBB193_370:
	s_or_b32 exec_lo, exec_lo, s37
	v_mov_b32_e32 v7, s38
	s_and_saveexec_b32 s37, s23
.LBB193_371:
	v_lshrrev_b32_e32 v2, 24, v2
	s_delay_alu instid0(VALU_DEP_1)
	v_and_or_b32 v7, 0x80, v2, v3
.LBB193_372:
	s_or_b32 exec_lo, exec_lo, s37
.LBB193_373:
	s_delay_alu instid0(SALU_CYCLE_1)
	s_or_b32 exec_lo, exec_lo, s3
	global_store_b8 v[4:5], v7, off
.LBB193_374:
	s_mov_b32 s3, -1
.LBB193_375:
	s_mov_b32 s23, 0
.LBB193_376:
	s_delay_alu instid0(SALU_CYCLE_1)
	s_and_b32 vcc_lo, exec_lo, s23
	s_cbranch_vccz .LBB193_417
; %bb.377:
	v_cmp_lt_i16_e32 vcc_lo, 22, v6
	s_mov_b32 s23, -1
	s_cbranch_vccz .LBB193_409
; %bb.378:
	v_cmp_gt_i16_e32 vcc_lo, 24, v6
	s_mov_b32 s3, -1
	s_cbranch_vccnz .LBB193_398
; %bb.379:
	v_cmp_lt_i16_e32 vcc_lo, 24, v6
	s_cbranch_vccz .LBB193_387
; %bb.380:
	v_cvt_f32_f64_e32 v2, v[0:1]
	v_mov_b32_e32 v7, 0x80
	s_mov_b32 s3, exec_lo
	s_delay_alu instid0(VALU_DEP_2) | instskip(NEXT) | instid1(VALU_DEP_1)
	v_and_b32_e32 v3, 0x7fffffff, v2
	v_cmpx_gt_u32_e32 0x47800000, v3
	s_cbranch_execz .LBB193_386
; %bb.381:
	v_cmp_lt_u32_e32 vcc_lo, 0x37ffffff, v3
	s_mov_b32 s23, 0
                                        ; implicit-def: $vgpr3
	s_and_saveexec_b32 s37, vcc_lo
	s_delay_alu instid0(SALU_CYCLE_1)
	s_xor_b32 s37, exec_lo, s37
	s_cbranch_execz .LBB193_562
; %bb.382:
	v_bfe_u32 v3, v2, 21, 1
	s_mov_b32 s23, exec_lo
	s_delay_alu instid0(VALU_DEP_1) | instskip(NEXT) | instid1(VALU_DEP_1)
	v_add3_u32 v3, v2, v3, 0x88fffff
	v_lshrrev_b32_e32 v3, 21, v3
	s_or_saveexec_b32 s37, s37
                                        ; implicit-def: $sgpr38
	s_delay_alu instid0(SALU_CYCLE_1)
	s_xor_b32 exec_lo, exec_lo, s37
	s_cbranch_execnz .LBB193_563
.LBB193_383:
	s_or_b32 exec_lo, exec_lo, s37
	v_mov_b32_e32 v7, s38
	s_and_saveexec_b32 s37, s23
.LBB193_384:
	v_lshrrev_b32_e32 v2, 24, v2
	s_delay_alu instid0(VALU_DEP_1)
	v_and_or_b32 v7, 0x80, v2, v3
.LBB193_385:
	s_or_b32 exec_lo, exec_lo, s37
.LBB193_386:
	s_delay_alu instid0(SALU_CYCLE_1)
	s_or_b32 exec_lo, exec_lo, s3
	s_mov_b32 s3, 0
	global_store_b8 v[4:5], v7, off
.LBB193_387:
	s_and_b32 vcc_lo, exec_lo, s3
	s_cbranch_vccz .LBB193_397
; %bb.388:
	v_cvt_f32_f64_e32 v2, v[0:1]
	s_mov_b32 s3, exec_lo
                                        ; implicit-def: $vgpr3
	s_delay_alu instid0(VALU_DEP_1) | instskip(NEXT) | instid1(VALU_DEP_1)
	v_and_b32_e32 v7, 0x7fffffff, v2
	v_cmpx_gt_u32_e32 0x43f00000, v7
	s_xor_b32 s3, exec_lo, s3
	s_cbranch_execz .LBB193_394
; %bb.389:
	s_mov_b32 s23, exec_lo
                                        ; implicit-def: $vgpr3
	v_cmpx_lt_u32_e32 0x3c7fffff, v7
	s_xor_b32 s23, exec_lo, s23
; %bb.390:
	v_bfe_u32 v3, v2, 20, 1
	s_delay_alu instid0(VALU_DEP_1) | instskip(NEXT) | instid1(VALU_DEP_1)
	v_add3_u32 v3, v2, v3, 0x407ffff
	v_and_b32_e32 v7, 0xff00000, v3
	v_lshrrev_b32_e32 v3, 20, v3
	s_delay_alu instid0(VALU_DEP_2) | instskip(NEXT) | instid1(VALU_DEP_2)
	v_cmp_ne_u32_e32 vcc_lo, 0x7f00000, v7
	v_cndmask_b32_e32 v3, 0x7e, v3, vcc_lo
; %bb.391:
	s_and_not1_saveexec_b32 s23, s23
; %bb.392:
	v_add_f32_e64 v3, 0x46800000, |v2|
; %bb.393:
	s_or_b32 exec_lo, exec_lo, s23
                                        ; implicit-def: $vgpr7
.LBB193_394:
	s_and_not1_saveexec_b32 s3, s3
; %bb.395:
	v_mov_b32_e32 v3, 0x7f
	v_cmp_lt_u32_e32 vcc_lo, 0x7f800000, v7
	s_delay_alu instid0(VALU_DEP_2)
	v_cndmask_b32_e32 v3, 0x7e, v3, vcc_lo
; %bb.396:
	s_or_b32 exec_lo, exec_lo, s3
	v_lshrrev_b32_e32 v2, 24, v2
	s_delay_alu instid0(VALU_DEP_1)
	v_and_or_b32 v2, 0x80, v2, v3
	global_store_b8 v[4:5], v2, off
.LBB193_397:
	s_mov_b32 s3, 0
.LBB193_398:
	s_delay_alu instid0(SALU_CYCLE_1)
	s_and_not1_b32 vcc_lo, exec_lo, s3
	s_cbranch_vccnz .LBB193_408
; %bb.399:
	v_cvt_f32_f64_e32 v2, v[0:1]
	s_mov_b32 s3, exec_lo
                                        ; implicit-def: $vgpr3
	s_delay_alu instid0(VALU_DEP_1) | instskip(NEXT) | instid1(VALU_DEP_1)
	v_and_b32_e32 v7, 0x7fffffff, v2
	v_cmpx_gt_u32_e32 0x47800000, v7
	s_xor_b32 s3, exec_lo, s3
	s_cbranch_execz .LBB193_405
; %bb.400:
	s_mov_b32 s23, exec_lo
                                        ; implicit-def: $vgpr3
	v_cmpx_lt_u32_e32 0x387fffff, v7
	s_xor_b32 s23, exec_lo, s23
; %bb.401:
	v_bfe_u32 v3, v2, 21, 1
	s_delay_alu instid0(VALU_DEP_1) | instskip(NEXT) | instid1(VALU_DEP_1)
	v_add3_u32 v3, v2, v3, 0x80fffff
	v_lshrrev_b32_e32 v3, 21, v3
; %bb.402:
	s_and_not1_saveexec_b32 s23, s23
; %bb.403:
	v_add_f32_e64 v3, 0x43000000, |v2|
; %bb.404:
	s_or_b32 exec_lo, exec_lo, s23
                                        ; implicit-def: $vgpr7
.LBB193_405:
	s_and_not1_saveexec_b32 s3, s3
; %bb.406:
	v_mov_b32_e32 v3, 0x7f
	v_cmp_lt_u32_e32 vcc_lo, 0x7f800000, v7
	s_delay_alu instid0(VALU_DEP_2)
	v_cndmask_b32_e32 v3, 0x7c, v3, vcc_lo
; %bb.407:
	s_or_b32 exec_lo, exec_lo, s3
	v_lshrrev_b32_e32 v2, 24, v2
	s_delay_alu instid0(VALU_DEP_1)
	v_and_or_b32 v2, 0x80, v2, v3
	global_store_b8 v[4:5], v2, off
.LBB193_408:
	s_mov_b32 s23, 0
	s_mov_b32 s3, -1
.LBB193_409:
	s_and_not1_b32 vcc_lo, exec_lo, s23
	s_cbranch_vccnz .LBB193_417
; %bb.410:
	v_cmp_lt_i16_e32 vcc_lo, 14, v6
	s_mov_b32 s23, -1
	s_cbranch_vccz .LBB193_414
; %bb.411:
	v_cmp_eq_u16_e32 vcc_lo, 15, v6
	s_mov_b32 s2, -1
	s_cbranch_vccz .LBB193_413
; %bb.412:
	v_cvt_f32_f64_e32 v2, v[0:1]
	s_mov_b32 s3, -1
	s_mov_b32 s2, 0
	s_delay_alu instid0(VALU_DEP_1) | instskip(SKIP_1) | instid1(VALU_DEP_2)
	v_bfe_u32 v3, v2, 16, 1
	v_cmp_o_f32_e32 vcc_lo, v2, v2
	v_add3_u32 v3, v2, v3, 0x7fff
	s_delay_alu instid0(VALU_DEP_1) | instskip(NEXT) | instid1(VALU_DEP_1)
	v_lshrrev_b32_e32 v3, 16, v3
	v_cndmask_b32_e32 v2, 0x7fc0, v3, vcc_lo
	global_store_b16 v[4:5], v2, off
.LBB193_413:
	s_mov_b32 s23, 0
.LBB193_414:
	s_delay_alu instid0(SALU_CYCLE_1)
	s_and_b32 vcc_lo, exec_lo, s23
	s_cbranch_vccz .LBB193_417
; %bb.415:
	v_cmp_eq_u16_e32 vcc_lo, 11, v6
	s_mov_b32 s2, -1
	s_cbranch_vccz .LBB193_417
; %bb.416:
	v_cmp_neq_f64_e32 vcc_lo, 0, v[0:1]
	s_mov_b32 s3, -1
	s_mov_b32 s2, 0
	v_cndmask_b32_e64 v2, 0, 1, vcc_lo
	global_store_b8 v[4:5], v2, off
.LBB193_417:
.LBB193_418:
	s_and_not1_b32 vcc_lo, exec_lo, s3
	s_cbranch_vccnz .LBB193_333
.LBB193_419:
	v_add_nc_u32_e32 v10, 0x80, v10
	s_mov_b32 s3, -1
	s_branch .LBB193_532
.LBB193_420:
	s_mov_b32 s22, -1
                                        ; implicit-def: $vgpr3_vgpr4
.LBB193_421:
	s_mov_b32 s3, 0
.LBB193_422:
	s_delay_alu instid0(SALU_CYCLE_1)
	s_and_b32 vcc_lo, exec_lo, s3
	s_cbranch_vccz .LBB193_426
; %bb.423:
	v_cmp_eq_u16_e32 vcc_lo, 29, v9
	s_cbranch_vccz .LBB193_425
; %bb.424:
	global_load_b64 v[3:4], v[1:2], off
	s_mov_b32 s2, -1
	s_mov_b32 s22, 0
	s_mov_b32 s3, 0
	s_waitcnt vmcnt(0)
	v_cvt_f64_u32_e32 v[4:5], v4
	v_cvt_f64_u32_e32 v[6:7], v3
	s_delay_alu instid0(VALU_DEP_2) | instskip(NEXT) | instid1(VALU_DEP_1)
	v_ldexp_f64 v[4:5], v[4:5], 32
	v_add_f64 v[3:4], v[4:5], v[6:7]
	s_branch .LBB193_427
.LBB193_425:
	s_mov_b32 s22, -1
                                        ; implicit-def: $vgpr3_vgpr4
.LBB193_426:
	s_mov_b32 s3, 0
.LBB193_427:
	s_delay_alu instid0(SALU_CYCLE_1)
	s_and_b32 vcc_lo, exec_lo, s3
	s_cbranch_vccz .LBB193_447
; %bb.428:
	v_cmp_gt_i16_e32 vcc_lo, 27, v9
	s_cbranch_vccnz .LBB193_431
; %bb.429:
	v_cmp_lt_i16_e32 vcc_lo, 27, v9
	s_cbranch_vccz .LBB193_432
; %bb.430:
	global_load_b32 v3, v[1:2], off
	s_mov_b32 s2, 0
	s_waitcnt vmcnt(0)
	v_cvt_f64_u32_e32 v[3:4], v3
	s_branch .LBB193_433
.LBB193_431:
	s_mov_b32 s2, -1
                                        ; implicit-def: $vgpr3_vgpr4
	s_branch .LBB193_436
.LBB193_432:
	s_mov_b32 s2, -1
                                        ; implicit-def: $vgpr3_vgpr4
.LBB193_433:
	s_delay_alu instid0(SALU_CYCLE_1)
	s_and_not1_b32 vcc_lo, exec_lo, s2
	s_cbranch_vccnz .LBB193_435
; %bb.434:
	global_load_u16 v3, v[1:2], off
	s_waitcnt vmcnt(0)
	v_cvt_f64_u32_e32 v[3:4], v3
.LBB193_435:
	s_mov_b32 s2, 0
.LBB193_436:
	s_delay_alu instid0(SALU_CYCLE_1)
	s_and_not1_b32 vcc_lo, exec_lo, s2
	s_cbranch_vccnz .LBB193_446
; %bb.437:
	global_load_u8 v5, v[1:2], off
	s_mov_b32 s23, 0
	s_mov_b32 s37, exec_lo
                                        ; implicit-def: $sgpr2_sgpr3
	s_waitcnt vmcnt(0)
	v_cmpx_lt_i16_e32 0x7f, v5
	s_xor_b32 s37, exec_lo, s37
	s_cbranch_execz .LBB193_441
; %bb.438:
	s_mov_b32 s38, -1
	s_mov_b32 s23, exec_lo
                                        ; implicit-def: $sgpr2_sgpr3
	v_cmpx_eq_u16_e32 0x80, v5
; %bb.439:
	s_mov_b32 s3, 0x7ff80000
	s_brev_b32 s2, 4
	s_xor_b32 s38, exec_lo, -1
; %bb.440:
	s_or_b32 exec_lo, exec_lo, s23
	s_delay_alu instid0(SALU_CYCLE_1)
	s_and_b32 s23, s38, exec_lo
.LBB193_441:
	s_or_saveexec_b32 s37, s37
	v_dual_mov_b32 v4, s3 :: v_dual_mov_b32 v3, s2
	s_xor_b32 exec_lo, exec_lo, s37
; %bb.442:
	v_cmp_ne_u16_e32 vcc_lo, 0, v5
	v_mov_b32_e32 v3, 0
	v_mov_b32_e32 v4, 0
	s_and_not1_b32 s2, s23, exec_lo
	s_and_b32 s3, vcc_lo, exec_lo
	s_delay_alu instid0(SALU_CYCLE_1)
	s_or_b32 s23, s2, s3
; %bb.443:
	s_or_b32 exec_lo, exec_lo, s37
	s_and_saveexec_b32 s2, s23
	s_cbranch_execz .LBB193_445
; %bb.444:
	v_and_b32_e32 v3, 0xffff, v5
	v_lshlrev_b32_e32 v5, 24, v5
	s_delay_alu instid0(VALU_DEP_2) | instskip(NEXT) | instid1(VALU_DEP_2)
	v_and_b32_e32 v4, 7, v3
	v_and_b32_e32 v5, 0x80000000, v5
	s_delay_alu instid0(VALU_DEP_2) | instskip(NEXT) | instid1(VALU_DEP_1)
	v_clz_i32_u32_e32 v6, v4
	v_min_u32_e32 v6, 32, v6
	s_delay_alu instid0(VALU_DEP_1) | instskip(SKIP_1) | instid1(VALU_DEP_2)
	v_subrev_nc_u32_e32 v7, 28, v6
	v_sub_nc_u32_e32 v6, 29, v6
	v_lshlrev_b32_e32 v7, v7, v3
	v_bfe_u32 v3, v3, 3, 4
	s_delay_alu instid0(VALU_DEP_2) | instskip(NEXT) | instid1(VALU_DEP_2)
	v_and_b32_e32 v7, 7, v7
	v_cmp_eq_u32_e32 vcc_lo, 0, v3
	s_delay_alu instid0(VALU_DEP_2) | instskip(NEXT) | instid1(VALU_DEP_1)
	v_dual_cndmask_b32 v3, v3, v6 :: v_dual_cndmask_b32 v4, v4, v7
	v_lshl_add_u32 v3, v3, 23, 0x3b800000
	s_delay_alu instid0(VALU_DEP_2) | instskip(NEXT) | instid1(VALU_DEP_1)
	v_lshlrev_b32_e32 v4, 20, v4
	v_or3_b32 v3, v5, v3, v4
	s_delay_alu instid0(VALU_DEP_1)
	v_cvt_f64_f32_e32 v[3:4], v3
.LBB193_445:
	s_or_b32 exec_lo, exec_lo, s2
.LBB193_446:
	s_mov_b32 s2, -1
.LBB193_447:
	s_mov_b32 s3, 0
.LBB193_448:
	s_delay_alu instid0(SALU_CYCLE_1)
	s_and_b32 vcc_lo, exec_lo, s3
	s_cbranch_vccz .LBB193_481
; %bb.449:
	v_cmp_lt_i16_e32 vcc_lo, 22, v9
	s_cbranch_vccz .LBB193_461
; %bb.450:
	v_cmp_gt_i16_e32 vcc_lo, 24, v9
	s_cbranch_vccnz .LBB193_462
; %bb.451:
	v_cmp_lt_i16_e32 vcc_lo, 24, v9
	s_cbranch_vccz .LBB193_463
; %bb.452:
	global_load_u8 v5, v[1:2], off
	s_mov_b32 s23, 0
	s_mov_b32 s37, exec_lo
                                        ; implicit-def: $sgpr2_sgpr3
	s_waitcnt vmcnt(0)
	v_cmpx_lt_i16_e32 0x7f, v5
	s_xor_b32 s37, exec_lo, s37
	s_cbranch_execz .LBB193_456
; %bb.453:
	s_mov_b32 s38, -1
	s_mov_b32 s23, exec_lo
                                        ; implicit-def: $sgpr2_sgpr3
	v_cmpx_eq_u16_e32 0x80, v5
; %bb.454:
	s_mov_b32 s3, 0x7ff80000
	s_brev_b32 s2, 4
	s_xor_b32 s38, exec_lo, -1
; %bb.455:
	s_or_b32 exec_lo, exec_lo, s23
	s_delay_alu instid0(SALU_CYCLE_1)
	s_and_b32 s23, s38, exec_lo
.LBB193_456:
	s_or_saveexec_b32 s37, s37
	v_dual_mov_b32 v4, s3 :: v_dual_mov_b32 v3, s2
	s_xor_b32 exec_lo, exec_lo, s37
; %bb.457:
	v_cmp_ne_u16_e32 vcc_lo, 0, v5
	v_mov_b32_e32 v3, 0
	v_mov_b32_e32 v4, 0
	s_and_not1_b32 s2, s23, exec_lo
	s_and_b32 s3, vcc_lo, exec_lo
	s_delay_alu instid0(SALU_CYCLE_1)
	s_or_b32 s23, s2, s3
; %bb.458:
	s_or_b32 exec_lo, exec_lo, s37
	s_and_saveexec_b32 s2, s23
	s_cbranch_execz .LBB193_460
; %bb.459:
	v_and_b32_e32 v3, 0xffff, v5
	v_lshlrev_b32_e32 v5, 24, v5
	s_delay_alu instid0(VALU_DEP_2) | instskip(NEXT) | instid1(VALU_DEP_2)
	v_and_b32_e32 v4, 3, v3
	v_and_b32_e32 v5, 0x80000000, v5
	s_delay_alu instid0(VALU_DEP_2) | instskip(NEXT) | instid1(VALU_DEP_1)
	v_clz_i32_u32_e32 v6, v4
	v_min_u32_e32 v6, 32, v6
	s_delay_alu instid0(VALU_DEP_1) | instskip(SKIP_1) | instid1(VALU_DEP_2)
	v_subrev_nc_u32_e32 v7, 29, v6
	v_sub_nc_u32_e32 v6, 30, v6
	v_lshlrev_b32_e32 v7, v7, v3
	v_bfe_u32 v3, v3, 2, 5
	s_delay_alu instid0(VALU_DEP_2) | instskip(NEXT) | instid1(VALU_DEP_2)
	v_and_b32_e32 v7, 3, v7
	v_cmp_eq_u32_e32 vcc_lo, 0, v3
	s_delay_alu instid0(VALU_DEP_2) | instskip(NEXT) | instid1(VALU_DEP_1)
	v_dual_cndmask_b32 v3, v3, v6 :: v_dual_cndmask_b32 v4, v4, v7
	v_lshl_add_u32 v3, v3, 23, 0x37800000
	s_delay_alu instid0(VALU_DEP_2) | instskip(NEXT) | instid1(VALU_DEP_1)
	v_lshlrev_b32_e32 v4, 21, v4
	v_or3_b32 v3, v5, v3, v4
	s_delay_alu instid0(VALU_DEP_1)
	v_cvt_f64_f32_e32 v[3:4], v3
.LBB193_460:
	s_or_b32 exec_lo, exec_lo, s2
	s_mov_b32 s2, 0
	s_branch .LBB193_464
.LBB193_461:
	s_mov_b32 s3, -1
                                        ; implicit-def: $vgpr3_vgpr4
	s_branch .LBB193_470
.LBB193_462:
	s_mov_b32 s2, -1
                                        ; implicit-def: $vgpr3_vgpr4
	s_branch .LBB193_467
.LBB193_463:
	s_mov_b32 s2, -1
                                        ; implicit-def: $vgpr3_vgpr4
.LBB193_464:
	s_delay_alu instid0(SALU_CYCLE_1)
	s_and_b32 vcc_lo, exec_lo, s2
	s_cbranch_vccz .LBB193_466
; %bb.465:
	global_load_u8 v3, v[1:2], off
	s_waitcnt vmcnt(0)
	v_lshlrev_b32_e32 v3, 24, v3
	s_delay_alu instid0(VALU_DEP_1) | instskip(NEXT) | instid1(VALU_DEP_1)
	v_and_b32_e32 v4, 0x7f000000, v3
	v_clz_i32_u32_e32 v5, v4
	v_add_nc_u32_e32 v7, 0x1000000, v4
	v_cmp_ne_u32_e32 vcc_lo, 0, v4
	s_delay_alu instid0(VALU_DEP_3) | instskip(NEXT) | instid1(VALU_DEP_1)
	v_min_u32_e32 v5, 32, v5
	v_sub_nc_u32_e64 v5, v5, 4 clamp
	s_delay_alu instid0(VALU_DEP_1) | instskip(SKIP_1) | instid1(VALU_DEP_2)
	v_lshlrev_b32_e32 v6, v5, v4
	v_lshlrev_b32_e32 v5, 23, v5
	v_lshrrev_b32_e32 v6, 4, v6
	s_delay_alu instid0(VALU_DEP_1) | instskip(SKIP_1) | instid1(VALU_DEP_2)
	v_sub_nc_u32_e32 v5, v6, v5
	v_ashrrev_i32_e32 v6, 8, v7
	v_add_nc_u32_e32 v5, 0x3c000000, v5
	s_delay_alu instid0(VALU_DEP_1) | instskip(NEXT) | instid1(VALU_DEP_1)
	v_and_or_b32 v5, 0x7f800000, v6, v5
	v_cndmask_b32_e32 v4, 0, v5, vcc_lo
	s_delay_alu instid0(VALU_DEP_1) | instskip(NEXT) | instid1(VALU_DEP_1)
	v_and_or_b32 v3, 0x80000000, v3, v4
	v_cvt_f64_f32_e32 v[3:4], v3
.LBB193_466:
	s_mov_b32 s2, 0
.LBB193_467:
	s_delay_alu instid0(SALU_CYCLE_1)
	s_and_not1_b32 vcc_lo, exec_lo, s2
	s_cbranch_vccnz .LBB193_469
; %bb.468:
	global_load_u8 v3, v[1:2], off
	s_waitcnt vmcnt(0)
	v_lshlrev_b32_e32 v4, 25, v3
	v_lshlrev_b16 v3, 8, v3
	s_delay_alu instid0(VALU_DEP_2) | instskip(NEXT) | instid1(VALU_DEP_2)
	v_lshrrev_b32_e32 v5, 4, v4
	v_and_or_b32 v6, 0x7f00, v3, 0.5
	v_bfe_i32 v3, v3, 0, 16
	s_delay_alu instid0(VALU_DEP_3) | instskip(NEXT) | instid1(VALU_DEP_1)
	v_or_b32_e32 v5, 0x70000000, v5
	v_dual_add_f32 v6, -0.5, v6 :: v_dual_mul_f32 v5, 0x7800000, v5
	v_cmp_gt_u32_e32 vcc_lo, 0x8000000, v4
	s_delay_alu instid0(VALU_DEP_2) | instskip(NEXT) | instid1(VALU_DEP_1)
	v_cndmask_b32_e32 v4, v5, v6, vcc_lo
	v_and_or_b32 v3, 0x80000000, v3, v4
	s_delay_alu instid0(VALU_DEP_1)
	v_cvt_f64_f32_e32 v[3:4], v3
.LBB193_469:
	s_mov_b32 s3, 0
	s_mov_b32 s2, -1
.LBB193_470:
	s_and_not1_b32 vcc_lo, exec_lo, s3
	s_cbranch_vccnz .LBB193_481
; %bb.471:
	v_cmp_lt_i16_e32 vcc_lo, 14, v9
	s_cbranch_vccz .LBB193_474
; %bb.472:
	v_cmp_eq_u16_e32 vcc_lo, 15, v9
	s_cbranch_vccz .LBB193_475
; %bb.473:
	global_load_u16 v3, v[1:2], off
	s_mov_b32 s2, -1
	s_mov_b32 s22, 0
	s_waitcnt vmcnt(0)
	v_lshlrev_b32_e32 v3, 16, v3
	s_delay_alu instid0(VALU_DEP_1)
	v_cvt_f64_f32_e32 v[3:4], v3
	s_branch .LBB193_476
.LBB193_474:
	s_mov_b32 s3, -1
                                        ; implicit-def: $vgpr3_vgpr4
	s_branch .LBB193_477
.LBB193_475:
	s_mov_b32 s22, -1
                                        ; implicit-def: $vgpr3_vgpr4
.LBB193_476:
	s_mov_b32 s3, 0
.LBB193_477:
	s_delay_alu instid0(SALU_CYCLE_1)
	s_and_b32 vcc_lo, exec_lo, s3
	s_cbranch_vccz .LBB193_481
; %bb.478:
	v_cmp_eq_u16_e32 vcc_lo, 11, v9
	s_cbranch_vccz .LBB193_480
; %bb.479:
	global_load_u8 v3, v[1:2], off
	s_mov_b32 s22, 0
	s_mov_b32 s2, -1
	s_waitcnt vmcnt(0)
	v_cmp_ne_u16_e32 vcc_lo, 0, v3
	v_mov_b32_e32 v3, 0
	v_cndmask_b32_e64 v4, 0, 0x3ff00000, vcc_lo
	s_branch .LBB193_481
.LBB193_480:
	s_mov_b32 s22, -1
                                        ; implicit-def: $vgpr3_vgpr4
.LBB193_481:
	s_branch .LBB193_286
.LBB193_482:
	v_cmp_gt_i16_e32 vcc_lo, 5, v9
	s_cbranch_vccnz .LBB193_487
; %bb.483:
	v_cmp_gt_i16_e32 vcc_lo, 8, v9
	s_cbranch_vccnz .LBB193_488
; %bb.484:
	;; [unrolled: 3-line block ×3, first 2 shown]
	v_cmp_lt_i16_e32 vcc_lo, 9, v9
	s_cbranch_vccz .LBB193_490
; %bb.486:
	global_load_b64 v[3:4], v[1:2], off
	s_mov_b32 s2, 0
	s_branch .LBB193_491
.LBB193_487:
	s_mov_b32 s2, -1
                                        ; implicit-def: $vgpr3_vgpr4
	s_branch .LBB193_509
.LBB193_488:
	s_mov_b32 s2, -1
                                        ; implicit-def: $vgpr3_vgpr4
	s_branch .LBB193_497
.LBB193_489:
	s_mov_b32 s2, -1
                                        ; implicit-def: $vgpr3_vgpr4
	s_branch .LBB193_494
.LBB193_490:
	s_mov_b32 s2, -1
                                        ; implicit-def: $vgpr3_vgpr4
.LBB193_491:
	s_delay_alu instid0(SALU_CYCLE_1)
	s_and_not1_b32 vcc_lo, exec_lo, s2
	s_cbranch_vccnz .LBB193_493
; %bb.492:
	global_load_b32 v3, v[1:2], off
	s_waitcnt vmcnt(0)
	v_cvt_f64_f32_e32 v[3:4], v3
.LBB193_493:
	s_mov_b32 s2, 0
.LBB193_494:
	s_delay_alu instid0(SALU_CYCLE_1)
	s_and_not1_b32 vcc_lo, exec_lo, s2
	s_cbranch_vccnz .LBB193_496
; %bb.495:
	global_load_b32 v3, v[1:2], off
	s_waitcnt vmcnt(0)
	v_cvt_f32_f16_e32 v3, v3
	s_delay_alu instid0(VALU_DEP_1)
	v_cvt_f64_f32_e32 v[3:4], v3
.LBB193_496:
	s_mov_b32 s2, 0
.LBB193_497:
	s_delay_alu instid0(SALU_CYCLE_1)
	s_and_not1_b32 vcc_lo, exec_lo, s2
	s_cbranch_vccnz .LBB193_508
; %bb.498:
	v_cmp_gt_i16_e32 vcc_lo, 6, v9
	s_cbranch_vccnz .LBB193_501
; %bb.499:
	v_cmp_lt_i16_e32 vcc_lo, 6, v9
	s_cbranch_vccz .LBB193_502
; %bb.500:
	global_load_b64 v[3:4], v[1:2], off
	s_mov_b32 s2, 0
	s_branch .LBB193_503
.LBB193_501:
	s_mov_b32 s2, -1
                                        ; implicit-def: $vgpr3_vgpr4
	s_branch .LBB193_506
.LBB193_502:
	s_mov_b32 s2, -1
                                        ; implicit-def: $vgpr3_vgpr4
.LBB193_503:
	s_delay_alu instid0(SALU_CYCLE_1)
	s_and_not1_b32 vcc_lo, exec_lo, s2
	s_cbranch_vccnz .LBB193_505
; %bb.504:
	global_load_b32 v3, v[1:2], off
	s_waitcnt vmcnt(0)
	v_cvt_f64_f32_e32 v[3:4], v3
.LBB193_505:
	s_mov_b32 s2, 0
.LBB193_506:
	s_delay_alu instid0(SALU_CYCLE_1)
	s_and_not1_b32 vcc_lo, exec_lo, s2
	s_cbranch_vccnz .LBB193_508
; %bb.507:
	global_load_u16 v3, v[1:2], off
	s_waitcnt vmcnt(0)
	v_cvt_f32_f16_e32 v3, v3
	s_delay_alu instid0(VALU_DEP_1)
	v_cvt_f64_f32_e32 v[3:4], v3
.LBB193_508:
	s_mov_b32 s2, 0
.LBB193_509:
	s_delay_alu instid0(SALU_CYCLE_1)
	s_and_not1_b32 vcc_lo, exec_lo, s2
	s_cbranch_vccnz .LBB193_529
; %bb.510:
	v_cmp_gt_i16_e32 vcc_lo, 2, v9
	s_cbranch_vccnz .LBB193_514
; %bb.511:
	v_cmp_gt_i16_e32 vcc_lo, 3, v9
	s_cbranch_vccnz .LBB193_515
; %bb.512:
	v_cmp_lt_i16_e32 vcc_lo, 3, v9
	s_cbranch_vccz .LBB193_516
; %bb.513:
	global_load_b64 v[3:4], v[1:2], off
	s_mov_b32 s2, 0
	s_waitcnt vmcnt(0)
	v_cvt_f64_i32_e32 v[4:5], v4
	v_cvt_f64_u32_e32 v[6:7], v3
	s_delay_alu instid0(VALU_DEP_2) | instskip(NEXT) | instid1(VALU_DEP_1)
	v_ldexp_f64 v[4:5], v[4:5], 32
	v_add_f64 v[3:4], v[4:5], v[6:7]
	s_branch .LBB193_517
.LBB193_514:
	s_mov_b32 s2, -1
                                        ; implicit-def: $vgpr3_vgpr4
	s_branch .LBB193_523
.LBB193_515:
	s_mov_b32 s2, -1
                                        ; implicit-def: $vgpr3_vgpr4
	s_branch .LBB193_520
.LBB193_516:
	s_mov_b32 s2, -1
                                        ; implicit-def: $vgpr3_vgpr4
.LBB193_517:
	s_delay_alu instid0(SALU_CYCLE_1)
	s_and_not1_b32 vcc_lo, exec_lo, s2
	s_cbranch_vccnz .LBB193_519
; %bb.518:
	global_load_b32 v3, v[1:2], off
	s_waitcnt vmcnt(0)
	v_cvt_f64_i32_e32 v[3:4], v3
.LBB193_519:
	s_mov_b32 s2, 0
.LBB193_520:
	s_delay_alu instid0(SALU_CYCLE_1)
	s_and_not1_b32 vcc_lo, exec_lo, s2
	s_cbranch_vccnz .LBB193_522
; %bb.521:
	global_load_i16 v3, v[1:2], off
	s_waitcnt vmcnt(0)
	v_cvt_f64_i32_e32 v[3:4], v3
.LBB193_522:
	s_mov_b32 s2, 0
.LBB193_523:
	s_delay_alu instid0(SALU_CYCLE_1)
	s_and_not1_b32 vcc_lo, exec_lo, s2
	s_cbranch_vccnz .LBB193_529
; %bb.524:
	v_cmp_lt_i16_e32 vcc_lo, 0, v9
	s_mov_b32 s2, 0
	s_cbranch_vccz .LBB193_526
; %bb.525:
	global_load_i8 v3, v[1:2], off
	s_waitcnt vmcnt(0)
	v_cvt_f64_i32_e32 v[3:4], v3
	s_branch .LBB193_527
.LBB193_526:
	s_mov_b32 s2, -1
                                        ; implicit-def: $vgpr3_vgpr4
.LBB193_527:
	s_delay_alu instid0(SALU_CYCLE_1)
	s_and_not1_b32 vcc_lo, exec_lo, s2
	s_cbranch_vccnz .LBB193_529
; %bb.528:
	global_load_u8 v1, v[1:2], off
	s_waitcnt vmcnt(0)
	v_cvt_f64_u32_e32 v[3:4], v1
.LBB193_529:
	s_branch .LBB193_287
.LBB193_530:
	s_mov_b32 s3, 0
	s_mov_b32 s2, s34
.LBB193_531:
                                        ; implicit-def: $vgpr10
.LBB193_532:
	s_and_not1_b32 s23, s34, exec_lo
	s_and_b32 s2, s2, exec_lo
	s_and_not1_b32 s37, s35, exec_lo
	s_and_b32 s22, s22, exec_lo
	s_or_b32 s38, s23, s2
	s_or_b32 s37, s37, s22
	s_or_not1_b32 s2, s3, exec_lo
.LBB193_533:
	s_or_b32 exec_lo, exec_lo, s39
	s_mov_b32 s3, 0
	s_mov_b32 s23, 0
	;; [unrolled: 1-line block ×3, first 2 shown]
                                        ; implicit-def: $vgpr0_vgpr1
                                        ; implicit-def: $vgpr2
                                        ; implicit-def: $vgpr6_vgpr7
	s_and_saveexec_b32 s39, s2
	s_cbranch_execz .LBB193_905
; %bb.534:
	s_mov_b32 s42, -1
	s_mov_b32 s22, s37
	s_mov_b32 s23, s38
	s_mov_b32 s40, exec_lo
	v_cmpx_gt_i32_e64 s30, v10
	s_cbranch_execz .LBB193_806
; %bb.535:
	s_and_not1_b32 vcc_lo, exec_lo, s27
	s_cbranch_vccnz .LBB193_540
; %bb.536:
	v_dual_mov_b32 v0, 0 :: v_dual_mov_b32 v1, 0
	s_and_not1_b32 vcc_lo, exec_lo, s33
	s_mov_b32 s41, 0
	s_cbranch_vccnz .LBB193_545
; %bb.537:
	v_mov_b32_e32 v0, 0
	s_add_i32 s43, s31, 1
	s_cmp_eq_u32 s25, 2
	s_mov_b32 s42, 0
	s_cbranch_scc1 .LBB193_541
; %bb.538:
	v_dual_mov_b32 v1, 0 :: v_dual_mov_b32 v0, 0
	v_mov_b32_e32 v2, v10
	s_and_b32 s42, s43, 28
	s_mov_b32 s44, 0
	s_mov_b64 s[2:3], s[20:21]
	s_mov_b64 s[22:23], s[16:17]
.LBB193_539:                            ; =>This Inner Loop Header: Depth=1
	s_clause 0x1
	s_load_b256 s[48:55], s[22:23], 0x4
	s_load_b128 s[64:67], s[22:23], 0x24
	s_load_b256 s[56:63], s[2:3], 0x0
	s_add_u32 s22, s22, 48
	s_addc_u32 s23, s23, 0
	s_add_i32 s44, s44, 4
	s_add_u32 s2, s2, 32
	s_addc_u32 s3, s3, 0
	s_cmp_eq_u32 s42, s44
	s_waitcnt vmcnt(0) lgkmcnt(0)
	v_mul_hi_u32 v3, s49, v2
	s_delay_alu instid0(VALU_DEP_1) | instskip(NEXT) | instid1(VALU_DEP_1)
	v_add_nc_u32_e32 v3, v2, v3
	v_lshrrev_b32_e32 v3, s50, v3
	s_delay_alu instid0(VALU_DEP_1) | instskip(SKIP_1) | instid1(VALU_DEP_2)
	v_mul_hi_u32 v4, s52, v3
	v_mul_lo_u32 v6, v3, s48
	v_add_nc_u32_e32 v4, v3, v4
	s_delay_alu instid0(VALU_DEP_2) | instskip(NEXT) | instid1(VALU_DEP_2)
	v_sub_nc_u32_e32 v2, v2, v6
	v_lshrrev_b32_e32 v4, s53, v4
	s_delay_alu instid0(VALU_DEP_2) | instskip(SKIP_1) | instid1(VALU_DEP_3)
	v_mul_lo_u32 v6, v2, s56
	v_mul_lo_u32 v11, v2, s57
	v_mul_hi_u32 v5, s55, v4
	s_delay_alu instid0(VALU_DEP_1) | instskip(NEXT) | instid1(VALU_DEP_1)
	v_add_nc_u32_e32 v5, v4, v5
	v_lshrrev_b32_e32 v5, s64, v5
	s_delay_alu instid0(VALU_DEP_1) | instskip(SKIP_1) | instid1(VALU_DEP_2)
	v_mul_hi_u32 v7, s66, v5
	v_mul_lo_u32 v12, v5, s54
	v_add_nc_u32_e32 v2, v5, v7
	v_mul_lo_u32 v7, v4, s51
	s_delay_alu instid0(VALU_DEP_3) | instskip(NEXT) | instid1(VALU_DEP_3)
	v_sub_nc_u32_e32 v4, v4, v12
	v_lshrrev_b32_e32 v2, s67, v2
	s_delay_alu instid0(VALU_DEP_2) | instskip(SKIP_2) | instid1(VALU_DEP_4)
	v_mul_lo_u32 v12, v4, s60
	v_mul_lo_u32 v4, v4, s61
	v_sub_nc_u32_e32 v3, v3, v7
	v_mul_lo_u32 v13, v2, s65
	s_delay_alu instid0(VALU_DEP_2) | instskip(SKIP_1) | instid1(VALU_DEP_3)
	v_mul_lo_u32 v7, v3, s58
	v_mul_lo_u32 v3, v3, s59
	v_sub_nc_u32_e32 v5, v5, v13
	s_delay_alu instid0(VALU_DEP_3) | instskip(NEXT) | instid1(VALU_DEP_2)
	v_add3_u32 v0, v6, v0, v7
	v_mul_lo_u32 v13, v5, s62
	v_mul_lo_u32 v5, v5, s63
	v_add3_u32 v1, v11, v1, v3
	s_delay_alu instid0(VALU_DEP_3) | instskip(NEXT) | instid1(VALU_DEP_2)
	v_add3_u32 v0, v12, v0, v13
	v_add3_u32 v1, v4, v1, v5
	s_cbranch_scc0 .LBB193_539
	s_branch .LBB193_542
.LBB193_540:
	s_mov_b32 s41, -1
                                        ; implicit-def: $vgpr0
                                        ; implicit-def: $vgpr1
	s_branch .LBB193_545
.LBB193_541:
	v_dual_mov_b32 v2, v10 :: v_dual_mov_b32 v1, 0
.LBB193_542:
	s_and_b32 s43, s43, 3
	s_delay_alu instid0(SALU_CYCLE_1)
	s_cmp_eq_u32 s43, 0
	s_cbranch_scc1 .LBB193_545
; %bb.543:
	s_lshl_b32 s2, s42, 3
	s_mul_i32 s22, s42, 12
	s_add_u32 s2, s2, s16
	s_addc_u32 s3, s17, 0
	s_add_u32 s2, s2, 0xc4
	s_addc_u32 s3, s3, 0
	;; [unrolled: 2-line block ×3, first 2 shown]
	.p2align	6
.LBB193_544:                            ; =>This Inner Loop Header: Depth=1
	s_clause 0x1
	s_load_b64 s[44:45], s[22:23], 0x4
	s_load_b32 s42, s[22:23], 0xc
	s_load_b64 s[46:47], s[2:3], 0x0
	s_add_u32 s22, s22, 12
	s_addc_u32 s23, s23, 0
	s_add_u32 s2, s2, 8
	s_addc_u32 s3, s3, 0
	s_add_i32 s43, s43, -1
	s_delay_alu instid0(SALU_CYCLE_1) | instskip(SKIP_2) | instid1(VALU_DEP_1)
	s_cmp_lg_u32 s43, 0
	s_waitcnt vmcnt(0) lgkmcnt(0)
	v_mul_hi_u32 v3, s45, v2
	v_add_nc_u32_e32 v3, v2, v3
	s_delay_alu instid0(VALU_DEP_1) | instskip(NEXT) | instid1(VALU_DEP_1)
	v_lshrrev_b32_e32 v6, s42, v3
	v_mul_lo_u32 v3, v6, s44
	s_delay_alu instid0(VALU_DEP_1) | instskip(NEXT) | instid1(VALU_DEP_1)
	v_sub_nc_u32_e32 v2, v2, v3
	v_mad_u64_u32 v[3:4], null, v2, s46, v[0:1]
	v_mad_u64_u32 v[4:5], null, v2, s47, v[1:2]
	v_mov_b32_e32 v2, v6
	s_delay_alu instid0(VALU_DEP_2)
	v_dual_mov_b32 v0, v3 :: v_dual_mov_b32 v1, v4
	s_cbranch_scc1 .LBB193_544
.LBB193_545:
	s_and_not1_b32 vcc_lo, exec_lo, s41
	s_cbranch_vccnz .LBB193_548
; %bb.546:
	s_waitcnt lgkmcnt(0)
	v_mul_hi_u32 v0, s13, v10
	s_and_not1_b32 vcc_lo, exec_lo, s29
	s_delay_alu instid0(VALU_DEP_1) | instskip(NEXT) | instid1(VALU_DEP_1)
	v_add_nc_u32_e32 v0, v10, v0
	v_lshrrev_b32_e32 v2, s14, v0
	s_delay_alu instid0(VALU_DEP_1) | instskip(NEXT) | instid1(VALU_DEP_1)
	v_mul_lo_u32 v0, v2, s12
	v_sub_nc_u32_e32 v1, v10, v0
	s_delay_alu instid0(VALU_DEP_1)
	v_mul_lo_u32 v0, v1, s8
	v_mul_lo_u32 v1, v1, s9
	s_cbranch_vccnz .LBB193_548
; %bb.547:
	s_waitcnt vmcnt(0)
	v_mul_hi_u32 v3, s18, v2
	s_delay_alu instid0(VALU_DEP_1) | instskip(NEXT) | instid1(VALU_DEP_1)
	v_add_nc_u32_e32 v3, v2, v3
	v_lshrrev_b32_e32 v3, s19, v3
	s_delay_alu instid0(VALU_DEP_1) | instskip(NEXT) | instid1(VALU_DEP_1)
	v_mul_lo_u32 v3, v3, s15
	v_sub_nc_u32_e32 v5, v2, v3
	s_delay_alu instid0(VALU_DEP_1) | instskip(NEXT) | instid1(VALU_DEP_1)
	v_mad_u64_u32 v[2:3], null, v5, s10, v[0:1]
	v_mad_u64_u32 v[3:4], null, v5, s11, v[1:2]
	s_delay_alu instid0(VALU_DEP_1)
	v_dual_mov_b32 v0, v2 :: v_dual_mov_b32 v1, v3
.LBB193_548:
	v_cmp_gt_i16_e32 vcc_lo, 11, v9
	s_waitcnt lgkmcnt(0)
	s_delay_alu instid0(VALU_DEP_2) | instskip(NEXT) | instid1(VALU_DEP_1)
	v_add_co_u32 v1, s2, s6, v1
	v_add_co_ci_u32_e64 v2, null, s7, 0, s2
	s_mov_b32 s2, 0
	s_cbranch_vccnz .LBB193_555
; %bb.549:
	v_cmp_lt_i16_e32 vcc_lo, 25, v9
	s_cbranch_vccz .LBB193_556
; %bb.550:
	v_cmp_lt_i16_e32 vcc_lo, 28, v9
	s_cbranch_vccz .LBB193_557
	;; [unrolled: 3-line block ×4, first 2 shown]
; %bb.553:
	v_cmp_eq_u16_e32 vcc_lo, 46, v9
	s_mov_b32 s3, 0
	s_cbranch_vccz .LBB193_564
; %bb.554:
	global_load_b32 v3, v[1:2], off
	s_mov_b32 s2, -1
	s_mov_b32 s22, 0
	s_waitcnt vmcnt(0)
	v_lshlrev_b32_e32 v3, 16, v3
	s_delay_alu instid0(VALU_DEP_1)
	v_cvt_f64_f32_e32 v[3:4], v3
	s_branch .LBB193_566
.LBB193_555:
	s_mov_b32 s3, -1
	s_mov_b32 s22, s37
                                        ; implicit-def: $vgpr3_vgpr4
	s_branch .LBB193_631
.LBB193_556:
	s_mov_b32 s3, -1
	s_mov_b32 s22, s37
                                        ; implicit-def: $vgpr3_vgpr4
	s_branch .LBB193_597
.LBB193_557:
	s_mov_b32 s3, -1
	s_mov_b32 s22, s37
                                        ; implicit-def: $vgpr3_vgpr4
	s_branch .LBB193_576
.LBB193_558:
	s_mov_b32 s3, -1
	s_mov_b32 s22, s37
                                        ; implicit-def: $vgpr3_vgpr4
	s_branch .LBB193_571
.LBB193_559:
	s_or_saveexec_b32 s37, s37
                                        ; implicit-def: $sgpr38
	s_delay_alu instid0(SALU_CYCLE_1)
	s_xor_b32 exec_lo, exec_lo, s37
	s_cbranch_execz .LBB193_370
.LBB193_560:
	v_add_f32_e64 v3, 0x46000000, |v2|
	s_and_not1_b32 s23, s23, exec_lo
	s_mov_b32 s38, 0
	s_delay_alu instid0(VALU_DEP_1) | instskip(NEXT) | instid1(VALU_DEP_1)
	v_and_b32_e32 v3, 0xff, v3
	v_cmp_ne_u32_e32 vcc_lo, 0, v3
	s_and_b32 s40, vcc_lo, exec_lo
	s_delay_alu instid0(SALU_CYCLE_1)
	s_or_b32 s23, s23, s40
	s_or_b32 exec_lo, exec_lo, s37
	v_mov_b32_e32 v7, s38
	s_and_saveexec_b32 s37, s23
	s_cbranch_execnz .LBB193_371
	s_branch .LBB193_372
.LBB193_561:
	s_mov_b32 s3, -1
	s_mov_b32 s22, s37
	s_branch .LBB193_565
.LBB193_562:
	s_or_saveexec_b32 s37, s37
                                        ; implicit-def: $sgpr38
	s_delay_alu instid0(SALU_CYCLE_1)
	s_xor_b32 exec_lo, exec_lo, s37
	s_cbranch_execz .LBB193_383
.LBB193_563:
	v_add_f32_e64 v3, 0x42800000, |v2|
	s_and_not1_b32 s23, s23, exec_lo
	s_mov_b32 s38, 0
	s_delay_alu instid0(VALU_DEP_1) | instskip(NEXT) | instid1(VALU_DEP_1)
	v_and_b32_e32 v3, 0xff, v3
	v_cmp_ne_u32_e32 vcc_lo, 0, v3
	s_and_b32 s40, vcc_lo, exec_lo
	s_delay_alu instid0(SALU_CYCLE_1)
	s_or_b32 s23, s23, s40
	s_or_b32 exec_lo, exec_lo, s37
	v_mov_b32_e32 v7, s38
	s_and_saveexec_b32 s37, s23
	s_cbranch_execnz .LBB193_384
	s_branch .LBB193_385
.LBB193_564:
	s_mov_b32 s22, -1
.LBB193_565:
                                        ; implicit-def: $vgpr3_vgpr4
.LBB193_566:
	s_and_b32 vcc_lo, exec_lo, s3
	s_cbranch_vccz .LBB193_570
; %bb.567:
	v_cmp_eq_u16_e32 vcc_lo, 44, v9
	s_cbranch_vccz .LBB193_569
; %bb.568:
	global_load_u8 v5, v[1:2], off
	s_mov_b32 s22, 0
	s_mov_b32 s2, -1
	s_waitcnt vmcnt(0)
	v_cmp_ne_u32_e32 vcc_lo, 0xff, v5
	v_lshlrev_b32_e32 v3, 23, v5
	s_delay_alu instid0(VALU_DEP_1) | instskip(NEXT) | instid1(VALU_DEP_1)
	v_cvt_f64_f32_e32 v[3:4], v3
	v_cndmask_b32_e32 v4, 0x7ff80000, v4, vcc_lo
	s_delay_alu instid0(VALU_DEP_2) | instskip(SKIP_1) | instid1(VALU_DEP_3)
	v_cndmask_b32_e32 v3, 0x20000000, v3, vcc_lo
	v_cmp_ne_u32_e32 vcc_lo, 0, v5
	v_cndmask_b32_e32 v4, 0x38000000, v4, vcc_lo
	s_delay_alu instid0(VALU_DEP_3)
	v_cndmask_b32_e32 v3, 0, v3, vcc_lo
	s_branch .LBB193_570
.LBB193_569:
	s_mov_b32 s22, -1
                                        ; implicit-def: $vgpr3_vgpr4
.LBB193_570:
	s_mov_b32 s3, 0
.LBB193_571:
	s_delay_alu instid0(SALU_CYCLE_1)
	s_and_b32 vcc_lo, exec_lo, s3
	s_cbranch_vccz .LBB193_575
; %bb.572:
	v_cmp_eq_u16_e32 vcc_lo, 29, v9
	s_cbranch_vccz .LBB193_574
; %bb.573:
	global_load_b64 v[3:4], v[1:2], off
	s_mov_b32 s2, -1
	s_mov_b32 s22, 0
	s_mov_b32 s3, 0
	s_waitcnt vmcnt(0)
	v_cvt_f64_u32_e32 v[4:5], v4
	v_cvt_f64_u32_e32 v[6:7], v3
	s_delay_alu instid0(VALU_DEP_2) | instskip(NEXT) | instid1(VALU_DEP_1)
	v_ldexp_f64 v[4:5], v[4:5], 32
	v_add_f64 v[3:4], v[4:5], v[6:7]
	s_branch .LBB193_576
.LBB193_574:
	s_mov_b32 s22, -1
                                        ; implicit-def: $vgpr3_vgpr4
.LBB193_575:
	s_mov_b32 s3, 0
.LBB193_576:
	s_delay_alu instid0(SALU_CYCLE_1)
	s_and_b32 vcc_lo, exec_lo, s3
	s_cbranch_vccz .LBB193_596
; %bb.577:
	v_cmp_gt_i16_e32 vcc_lo, 27, v9
	s_cbranch_vccnz .LBB193_580
; %bb.578:
	v_cmp_lt_i16_e32 vcc_lo, 27, v9
	s_cbranch_vccz .LBB193_581
; %bb.579:
	global_load_b32 v3, v[1:2], off
	s_mov_b32 s2, 0
	s_waitcnt vmcnt(0)
	v_cvt_f64_u32_e32 v[3:4], v3
	s_branch .LBB193_582
.LBB193_580:
	s_mov_b32 s2, -1
                                        ; implicit-def: $vgpr3_vgpr4
	s_branch .LBB193_585
.LBB193_581:
	s_mov_b32 s2, -1
                                        ; implicit-def: $vgpr3_vgpr4
.LBB193_582:
	s_delay_alu instid0(SALU_CYCLE_1)
	s_and_not1_b32 vcc_lo, exec_lo, s2
	s_cbranch_vccnz .LBB193_584
; %bb.583:
	global_load_u16 v3, v[1:2], off
	s_waitcnt vmcnt(0)
	v_cvt_f64_u32_e32 v[3:4], v3
.LBB193_584:
	s_mov_b32 s2, 0
.LBB193_585:
	s_delay_alu instid0(SALU_CYCLE_1)
	s_and_not1_b32 vcc_lo, exec_lo, s2
	s_cbranch_vccnz .LBB193_595
; %bb.586:
	global_load_u8 v5, v[1:2], off
	s_mov_b32 s23, 0
	s_mov_b32 s41, exec_lo
                                        ; implicit-def: $sgpr2_sgpr3
	s_waitcnt vmcnt(0)
	v_cmpx_lt_i16_e32 0x7f, v5
	s_xor_b32 s41, exec_lo, s41
	s_cbranch_execz .LBB193_590
; %bb.587:
	s_mov_b32 s42, -1
	s_mov_b32 s23, exec_lo
                                        ; implicit-def: $sgpr2_sgpr3
	v_cmpx_eq_u16_e32 0x80, v5
; %bb.588:
	s_mov_b32 s3, 0x7ff80000
	s_brev_b32 s2, 4
	s_xor_b32 s42, exec_lo, -1
; %bb.589:
	s_or_b32 exec_lo, exec_lo, s23
	s_delay_alu instid0(SALU_CYCLE_1)
	s_and_b32 s23, s42, exec_lo
.LBB193_590:
	s_or_saveexec_b32 s41, s41
	v_dual_mov_b32 v4, s3 :: v_dual_mov_b32 v3, s2
	s_xor_b32 exec_lo, exec_lo, s41
; %bb.591:
	v_cmp_ne_u16_e32 vcc_lo, 0, v5
	v_mov_b32_e32 v3, 0
	v_mov_b32_e32 v4, 0
	s_and_not1_b32 s2, s23, exec_lo
	s_and_b32 s3, vcc_lo, exec_lo
	s_delay_alu instid0(SALU_CYCLE_1)
	s_or_b32 s23, s2, s3
; %bb.592:
	s_or_b32 exec_lo, exec_lo, s41
	s_and_saveexec_b32 s2, s23
	s_cbranch_execz .LBB193_594
; %bb.593:
	v_and_b32_e32 v3, 0xffff, v5
	v_lshlrev_b32_e32 v5, 24, v5
	s_delay_alu instid0(VALU_DEP_2) | instskip(NEXT) | instid1(VALU_DEP_2)
	v_and_b32_e32 v4, 7, v3
	v_and_b32_e32 v5, 0x80000000, v5
	s_delay_alu instid0(VALU_DEP_2) | instskip(NEXT) | instid1(VALU_DEP_1)
	v_clz_i32_u32_e32 v6, v4
	v_min_u32_e32 v6, 32, v6
	s_delay_alu instid0(VALU_DEP_1) | instskip(SKIP_1) | instid1(VALU_DEP_2)
	v_subrev_nc_u32_e32 v7, 28, v6
	v_sub_nc_u32_e32 v6, 29, v6
	v_lshlrev_b32_e32 v7, v7, v3
	v_bfe_u32 v3, v3, 3, 4
	s_delay_alu instid0(VALU_DEP_2) | instskip(NEXT) | instid1(VALU_DEP_2)
	v_and_b32_e32 v7, 7, v7
	v_cmp_eq_u32_e32 vcc_lo, 0, v3
	s_delay_alu instid0(VALU_DEP_2) | instskip(NEXT) | instid1(VALU_DEP_1)
	v_dual_cndmask_b32 v3, v3, v6 :: v_dual_cndmask_b32 v4, v4, v7
	v_lshl_add_u32 v3, v3, 23, 0x3b800000
	s_delay_alu instid0(VALU_DEP_2) | instskip(NEXT) | instid1(VALU_DEP_1)
	v_lshlrev_b32_e32 v4, 20, v4
	v_or3_b32 v3, v5, v3, v4
	s_delay_alu instid0(VALU_DEP_1)
	v_cvt_f64_f32_e32 v[3:4], v3
.LBB193_594:
	s_or_b32 exec_lo, exec_lo, s2
.LBB193_595:
	s_mov_b32 s2, -1
.LBB193_596:
	s_mov_b32 s3, 0
.LBB193_597:
	s_delay_alu instid0(SALU_CYCLE_1)
	s_and_b32 vcc_lo, exec_lo, s3
	s_cbranch_vccz .LBB193_630
; %bb.598:
	v_cmp_lt_i16_e32 vcc_lo, 22, v9
	s_cbranch_vccz .LBB193_610
; %bb.599:
	v_cmp_gt_i16_e32 vcc_lo, 24, v9
	s_cbranch_vccnz .LBB193_611
; %bb.600:
	v_cmp_lt_i16_e32 vcc_lo, 24, v9
	s_cbranch_vccz .LBB193_612
; %bb.601:
	global_load_u8 v5, v[1:2], off
	s_mov_b32 s23, 0
	s_mov_b32 s41, exec_lo
                                        ; implicit-def: $sgpr2_sgpr3
	s_waitcnt vmcnt(0)
	v_cmpx_lt_i16_e32 0x7f, v5
	s_xor_b32 s41, exec_lo, s41
	s_cbranch_execz .LBB193_605
; %bb.602:
	s_mov_b32 s42, -1
	s_mov_b32 s23, exec_lo
                                        ; implicit-def: $sgpr2_sgpr3
	v_cmpx_eq_u16_e32 0x80, v5
; %bb.603:
	s_mov_b32 s3, 0x7ff80000
	s_brev_b32 s2, 4
	s_xor_b32 s42, exec_lo, -1
; %bb.604:
	s_or_b32 exec_lo, exec_lo, s23
	s_delay_alu instid0(SALU_CYCLE_1)
	s_and_b32 s23, s42, exec_lo
.LBB193_605:
	s_or_saveexec_b32 s41, s41
	v_dual_mov_b32 v4, s3 :: v_dual_mov_b32 v3, s2
	s_xor_b32 exec_lo, exec_lo, s41
; %bb.606:
	v_cmp_ne_u16_e32 vcc_lo, 0, v5
	v_mov_b32_e32 v3, 0
	v_mov_b32_e32 v4, 0
	s_and_not1_b32 s2, s23, exec_lo
	s_and_b32 s3, vcc_lo, exec_lo
	s_delay_alu instid0(SALU_CYCLE_1)
	s_or_b32 s23, s2, s3
; %bb.607:
	s_or_b32 exec_lo, exec_lo, s41
	s_and_saveexec_b32 s2, s23
	s_cbranch_execz .LBB193_609
; %bb.608:
	v_and_b32_e32 v3, 0xffff, v5
	v_lshlrev_b32_e32 v5, 24, v5
	s_delay_alu instid0(VALU_DEP_2) | instskip(NEXT) | instid1(VALU_DEP_2)
	v_and_b32_e32 v4, 3, v3
	v_and_b32_e32 v5, 0x80000000, v5
	s_delay_alu instid0(VALU_DEP_2) | instskip(NEXT) | instid1(VALU_DEP_1)
	v_clz_i32_u32_e32 v6, v4
	v_min_u32_e32 v6, 32, v6
	s_delay_alu instid0(VALU_DEP_1) | instskip(SKIP_1) | instid1(VALU_DEP_2)
	v_subrev_nc_u32_e32 v7, 29, v6
	v_sub_nc_u32_e32 v6, 30, v6
	v_lshlrev_b32_e32 v7, v7, v3
	v_bfe_u32 v3, v3, 2, 5
	s_delay_alu instid0(VALU_DEP_2) | instskip(NEXT) | instid1(VALU_DEP_2)
	v_and_b32_e32 v7, 3, v7
	v_cmp_eq_u32_e32 vcc_lo, 0, v3
	s_delay_alu instid0(VALU_DEP_2) | instskip(NEXT) | instid1(VALU_DEP_1)
	v_dual_cndmask_b32 v3, v3, v6 :: v_dual_cndmask_b32 v4, v4, v7
	v_lshl_add_u32 v3, v3, 23, 0x37800000
	s_delay_alu instid0(VALU_DEP_2) | instskip(NEXT) | instid1(VALU_DEP_1)
	v_lshlrev_b32_e32 v4, 21, v4
	v_or3_b32 v3, v5, v3, v4
	s_delay_alu instid0(VALU_DEP_1)
	v_cvt_f64_f32_e32 v[3:4], v3
.LBB193_609:
	s_or_b32 exec_lo, exec_lo, s2
	s_mov_b32 s2, 0
	s_branch .LBB193_613
.LBB193_610:
	s_mov_b32 s3, -1
                                        ; implicit-def: $vgpr3_vgpr4
	s_branch .LBB193_619
.LBB193_611:
	s_mov_b32 s2, -1
                                        ; implicit-def: $vgpr3_vgpr4
	s_branch .LBB193_616
.LBB193_612:
	s_mov_b32 s2, -1
                                        ; implicit-def: $vgpr3_vgpr4
.LBB193_613:
	s_delay_alu instid0(SALU_CYCLE_1)
	s_and_b32 vcc_lo, exec_lo, s2
	s_cbranch_vccz .LBB193_615
; %bb.614:
	global_load_u8 v3, v[1:2], off
	s_waitcnt vmcnt(0)
	v_lshlrev_b32_e32 v3, 24, v3
	s_delay_alu instid0(VALU_DEP_1) | instskip(NEXT) | instid1(VALU_DEP_1)
	v_and_b32_e32 v4, 0x7f000000, v3
	v_clz_i32_u32_e32 v5, v4
	v_add_nc_u32_e32 v7, 0x1000000, v4
	v_cmp_ne_u32_e32 vcc_lo, 0, v4
	s_delay_alu instid0(VALU_DEP_3) | instskip(NEXT) | instid1(VALU_DEP_1)
	v_min_u32_e32 v5, 32, v5
	v_sub_nc_u32_e64 v5, v5, 4 clamp
	s_delay_alu instid0(VALU_DEP_1) | instskip(SKIP_1) | instid1(VALU_DEP_2)
	v_lshlrev_b32_e32 v6, v5, v4
	v_lshlrev_b32_e32 v5, 23, v5
	v_lshrrev_b32_e32 v6, 4, v6
	s_delay_alu instid0(VALU_DEP_1) | instskip(SKIP_1) | instid1(VALU_DEP_2)
	v_sub_nc_u32_e32 v5, v6, v5
	v_ashrrev_i32_e32 v6, 8, v7
	v_add_nc_u32_e32 v5, 0x3c000000, v5
	s_delay_alu instid0(VALU_DEP_1) | instskip(NEXT) | instid1(VALU_DEP_1)
	v_and_or_b32 v5, 0x7f800000, v6, v5
	v_cndmask_b32_e32 v4, 0, v5, vcc_lo
	s_delay_alu instid0(VALU_DEP_1) | instskip(NEXT) | instid1(VALU_DEP_1)
	v_and_or_b32 v3, 0x80000000, v3, v4
	v_cvt_f64_f32_e32 v[3:4], v3
.LBB193_615:
	s_mov_b32 s2, 0
.LBB193_616:
	s_delay_alu instid0(SALU_CYCLE_1)
	s_and_not1_b32 vcc_lo, exec_lo, s2
	s_cbranch_vccnz .LBB193_618
; %bb.617:
	global_load_u8 v3, v[1:2], off
	s_waitcnt vmcnt(0)
	v_lshlrev_b32_e32 v4, 25, v3
	v_lshlrev_b16 v3, 8, v3
	s_delay_alu instid0(VALU_DEP_2) | instskip(NEXT) | instid1(VALU_DEP_2)
	v_lshrrev_b32_e32 v5, 4, v4
	v_and_or_b32 v6, 0x7f00, v3, 0.5
	v_bfe_i32 v3, v3, 0, 16
	s_delay_alu instid0(VALU_DEP_3) | instskip(NEXT) | instid1(VALU_DEP_1)
	v_or_b32_e32 v5, 0x70000000, v5
	v_dual_add_f32 v6, -0.5, v6 :: v_dual_mul_f32 v5, 0x7800000, v5
	v_cmp_gt_u32_e32 vcc_lo, 0x8000000, v4
	s_delay_alu instid0(VALU_DEP_2) | instskip(NEXT) | instid1(VALU_DEP_1)
	v_cndmask_b32_e32 v4, v5, v6, vcc_lo
	v_and_or_b32 v3, 0x80000000, v3, v4
	s_delay_alu instid0(VALU_DEP_1)
	v_cvt_f64_f32_e32 v[3:4], v3
.LBB193_618:
	s_mov_b32 s3, 0
	s_mov_b32 s2, -1
.LBB193_619:
	s_and_not1_b32 vcc_lo, exec_lo, s3
	s_cbranch_vccnz .LBB193_630
; %bb.620:
	v_cmp_lt_i16_e32 vcc_lo, 14, v9
	s_cbranch_vccz .LBB193_623
; %bb.621:
	v_cmp_eq_u16_e32 vcc_lo, 15, v9
	s_cbranch_vccz .LBB193_624
; %bb.622:
	global_load_u16 v3, v[1:2], off
	s_mov_b32 s2, -1
	s_mov_b32 s22, 0
	s_waitcnt vmcnt(0)
	v_lshlrev_b32_e32 v3, 16, v3
	s_delay_alu instid0(VALU_DEP_1)
	v_cvt_f64_f32_e32 v[3:4], v3
	s_branch .LBB193_625
.LBB193_623:
	s_mov_b32 s3, -1
                                        ; implicit-def: $vgpr3_vgpr4
	s_branch .LBB193_626
.LBB193_624:
	s_mov_b32 s22, -1
                                        ; implicit-def: $vgpr3_vgpr4
.LBB193_625:
	s_mov_b32 s3, 0
.LBB193_626:
	s_delay_alu instid0(SALU_CYCLE_1)
	s_and_b32 vcc_lo, exec_lo, s3
	s_cbranch_vccz .LBB193_630
; %bb.627:
	v_cmp_eq_u16_e32 vcc_lo, 11, v9
	s_cbranch_vccz .LBB193_629
; %bb.628:
	global_load_u8 v3, v[1:2], off
	s_mov_b32 s22, 0
	s_mov_b32 s2, -1
	s_waitcnt vmcnt(0)
	v_cmp_ne_u16_e32 vcc_lo, 0, v3
	v_mov_b32_e32 v3, 0
	v_cndmask_b32_e64 v4, 0, 0x3ff00000, vcc_lo
	s_branch .LBB193_630
.LBB193_629:
	s_mov_b32 s22, -1
                                        ; implicit-def: $vgpr3_vgpr4
.LBB193_630:
	s_mov_b32 s3, 0
.LBB193_631:
	s_delay_alu instid0(SALU_CYCLE_1)
	s_and_b32 vcc_lo, exec_lo, s3
	s_cbranch_vccz .LBB193_680
; %bb.632:
	v_cmp_gt_i16_e32 vcc_lo, 5, v9
	s_cbranch_vccnz .LBB193_637
; %bb.633:
	v_cmp_gt_i16_e32 vcc_lo, 8, v9
	s_cbranch_vccnz .LBB193_638
	;; [unrolled: 3-line block ×3, first 2 shown]
; %bb.635:
	v_cmp_lt_i16_e32 vcc_lo, 9, v9
	s_cbranch_vccz .LBB193_640
; %bb.636:
	global_load_b64 v[3:4], v[1:2], off
	s_mov_b32 s2, 0
	s_branch .LBB193_641
.LBB193_637:
	s_mov_b32 s2, -1
                                        ; implicit-def: $vgpr3_vgpr4
	s_branch .LBB193_659
.LBB193_638:
	s_mov_b32 s2, -1
                                        ; implicit-def: $vgpr3_vgpr4
	s_branch .LBB193_647
.LBB193_639:
	s_mov_b32 s2, -1
                                        ; implicit-def: $vgpr3_vgpr4
	s_branch .LBB193_644
.LBB193_640:
	s_mov_b32 s2, -1
                                        ; implicit-def: $vgpr3_vgpr4
.LBB193_641:
	s_delay_alu instid0(SALU_CYCLE_1)
	s_and_not1_b32 vcc_lo, exec_lo, s2
	s_cbranch_vccnz .LBB193_643
; %bb.642:
	global_load_b32 v3, v[1:2], off
	s_waitcnt vmcnt(0)
	v_cvt_f64_f32_e32 v[3:4], v3
.LBB193_643:
	s_mov_b32 s2, 0
.LBB193_644:
	s_delay_alu instid0(SALU_CYCLE_1)
	s_and_not1_b32 vcc_lo, exec_lo, s2
	s_cbranch_vccnz .LBB193_646
; %bb.645:
	global_load_b32 v3, v[1:2], off
	s_waitcnt vmcnt(0)
	v_cvt_f32_f16_e32 v3, v3
	s_delay_alu instid0(VALU_DEP_1)
	v_cvt_f64_f32_e32 v[3:4], v3
.LBB193_646:
	s_mov_b32 s2, 0
.LBB193_647:
	s_delay_alu instid0(SALU_CYCLE_1)
	s_and_not1_b32 vcc_lo, exec_lo, s2
	s_cbranch_vccnz .LBB193_658
; %bb.648:
	v_cmp_gt_i16_e32 vcc_lo, 6, v9
	s_cbranch_vccnz .LBB193_651
; %bb.649:
	v_cmp_lt_i16_e32 vcc_lo, 6, v9
	s_cbranch_vccz .LBB193_652
; %bb.650:
	global_load_b64 v[3:4], v[1:2], off
	s_mov_b32 s2, 0
	s_branch .LBB193_653
.LBB193_651:
	s_mov_b32 s2, -1
                                        ; implicit-def: $vgpr3_vgpr4
	s_branch .LBB193_656
.LBB193_652:
	s_mov_b32 s2, -1
                                        ; implicit-def: $vgpr3_vgpr4
.LBB193_653:
	s_delay_alu instid0(SALU_CYCLE_1)
	s_and_not1_b32 vcc_lo, exec_lo, s2
	s_cbranch_vccnz .LBB193_655
; %bb.654:
	global_load_b32 v3, v[1:2], off
	s_waitcnt vmcnt(0)
	v_cvt_f64_f32_e32 v[3:4], v3
.LBB193_655:
	s_mov_b32 s2, 0
.LBB193_656:
	s_delay_alu instid0(SALU_CYCLE_1)
	s_and_not1_b32 vcc_lo, exec_lo, s2
	s_cbranch_vccnz .LBB193_658
; %bb.657:
	global_load_u16 v3, v[1:2], off
	s_waitcnt vmcnt(0)
	v_cvt_f32_f16_e32 v3, v3
	s_delay_alu instid0(VALU_DEP_1)
	v_cvt_f64_f32_e32 v[3:4], v3
.LBB193_658:
	s_mov_b32 s2, 0
.LBB193_659:
	s_delay_alu instid0(SALU_CYCLE_1)
	s_and_not1_b32 vcc_lo, exec_lo, s2
	s_cbranch_vccnz .LBB193_679
; %bb.660:
	v_cmp_gt_i16_e32 vcc_lo, 2, v9
	s_cbranch_vccnz .LBB193_664
; %bb.661:
	v_cmp_gt_i16_e32 vcc_lo, 3, v9
	s_cbranch_vccnz .LBB193_665
; %bb.662:
	v_cmp_lt_i16_e32 vcc_lo, 3, v9
	s_cbranch_vccz .LBB193_666
; %bb.663:
	global_load_b64 v[3:4], v[1:2], off
	s_mov_b32 s2, 0
	s_waitcnt vmcnt(0)
	v_cvt_f64_i32_e32 v[4:5], v4
	v_cvt_f64_u32_e32 v[6:7], v3
	s_delay_alu instid0(VALU_DEP_2) | instskip(NEXT) | instid1(VALU_DEP_1)
	v_ldexp_f64 v[4:5], v[4:5], 32
	v_add_f64 v[3:4], v[4:5], v[6:7]
	s_branch .LBB193_667
.LBB193_664:
	s_mov_b32 s2, -1
                                        ; implicit-def: $vgpr3_vgpr4
	s_branch .LBB193_673
.LBB193_665:
	s_mov_b32 s2, -1
                                        ; implicit-def: $vgpr3_vgpr4
	s_branch .LBB193_670
.LBB193_666:
	s_mov_b32 s2, -1
                                        ; implicit-def: $vgpr3_vgpr4
.LBB193_667:
	s_delay_alu instid0(SALU_CYCLE_1)
	s_and_not1_b32 vcc_lo, exec_lo, s2
	s_cbranch_vccnz .LBB193_669
; %bb.668:
	global_load_b32 v3, v[1:2], off
	s_waitcnt vmcnt(0)
	v_cvt_f64_i32_e32 v[3:4], v3
.LBB193_669:
	s_mov_b32 s2, 0
.LBB193_670:
	s_delay_alu instid0(SALU_CYCLE_1)
	s_and_not1_b32 vcc_lo, exec_lo, s2
	s_cbranch_vccnz .LBB193_672
; %bb.671:
	global_load_i16 v3, v[1:2], off
	s_waitcnt vmcnt(0)
	v_cvt_f64_i32_e32 v[3:4], v3
.LBB193_672:
	s_mov_b32 s2, 0
.LBB193_673:
	s_delay_alu instid0(SALU_CYCLE_1)
	s_and_not1_b32 vcc_lo, exec_lo, s2
	s_cbranch_vccnz .LBB193_679
; %bb.674:
	v_cmp_lt_i16_e32 vcc_lo, 0, v9
	s_mov_b32 s2, 0
	s_cbranch_vccz .LBB193_676
; %bb.675:
	global_load_i8 v3, v[1:2], off
	s_waitcnt vmcnt(0)
	v_cvt_f64_i32_e32 v[3:4], v3
	s_branch .LBB193_677
.LBB193_676:
	s_mov_b32 s2, -1
                                        ; implicit-def: $vgpr3_vgpr4
.LBB193_677:
	s_delay_alu instid0(SALU_CYCLE_1)
	s_and_not1_b32 vcc_lo, exec_lo, s2
	s_cbranch_vccnz .LBB193_679
; %bb.678:
	global_load_u8 v1, v[1:2], off
	s_waitcnt vmcnt(0)
	v_cvt_f64_u32_e32 v[3:4], v1
.LBB193_679:
	s_mov_b32 s2, -1
.LBB193_680:
	s_delay_alu instid0(SALU_CYCLE_1)
	s_and_not1_b32 vcc_lo, exec_lo, s2
	s_cbranch_vccnz .LBB193_688
; %bb.681:
	s_waitcnt vmcnt(0)
	s_delay_alu instid0(VALU_DEP_1) | instskip(SKIP_4) | instid1(VALU_DEP_2)
	v_rsq_f64_e32 v[11:12], v[3:4]
	s_mov_b32 s3, 0
	s_waitcnt_depctr 0xfff
	v_mul_f64 v[1:2], v[11:12], -v[3:4]
	v_cmp_class_f64_e64 vcc_lo, v[11:12], 0x180
	v_fma_f64 v[1:2], v[1:2], v[11:12], 1.0
	s_delay_alu instid0(VALU_DEP_1) | instskip(SKIP_1) | instid1(VALU_DEP_1)
	v_mul_f64 v[3:4], v[11:12], v[1:2]
	v_fma_f64 v[1:2], 0x3fd80000, v[1:2], 0.5
	v_fma_f64 v[2:3], v[3:4], v[1:2], v[11:12]
	v_and_b32_e32 v6, 0xff, v8
	v_add_co_u32 v4, s23, s4, v0
	s_delay_alu instid0(VALU_DEP_1) | instskip(SKIP_1) | instid1(VALU_DEP_4)
	v_add_co_ci_u32_e64 v5, null, s5, 0, s23
	s_mov_b32 s23, -1
	v_cndmask_b32_e32 v1, v12, v3, vcc_lo
	v_cmp_gt_i16_e64 s2, 11, v6
	v_cndmask_b32_e32 v0, v11, v2, vcc_lo
	s_delay_alu instid0(VALU_DEP_2)
	s_and_b32 vcc_lo, exec_lo, s2
	s_mov_b32 s2, s38
	s_cbranch_vccnz .LBB193_689
; %bb.682:
	v_cmp_lt_i16_e32 vcc_lo, 25, v6
	s_cbranch_vccz .LBB193_730
; %bb.683:
	v_cmp_lt_i16_e32 vcc_lo, 28, v6
	s_cbranch_vccz .LBB193_731
	;; [unrolled: 3-line block ×4, first 2 shown]
; %bb.686:
	v_cmp_eq_u16_e32 vcc_lo, 46, v6
	s_mov_b32 s23, 0
	s_mov_b32 s2, -1
	s_cbranch_vccz .LBB193_734
; %bb.687:
	v_cvt_f32_f64_e32 v2, v[0:1]
	s_mov_b32 s3, -1
	s_mov_b32 s2, 0
	s_delay_alu instid0(VALU_DEP_1) | instskip(SKIP_1) | instid1(VALU_DEP_2)
	v_bfe_u32 v3, v2, 16, 1
	v_cmp_o_f32_e32 vcc_lo, v2, v2
	v_add3_u32 v3, v2, v3, 0x7fff
	s_delay_alu instid0(VALU_DEP_1) | instskip(NEXT) | instid1(VALU_DEP_1)
	v_lshrrev_b32_e32 v3, 16, v3
	v_cndmask_b32_e32 v2, 0x7fc0, v3, vcc_lo
	global_store_b32 v[4:5], v2, off
	s_branch .LBB193_734
.LBB193_688:
	s_mov_b32 s3, 0
	s_mov_b32 s2, s38
	s_branch .LBB193_729
.LBB193_689:
	s_and_b32 vcc_lo, exec_lo, s23
	s_cbranch_vccz .LBB193_803
; %bb.690:
	v_cmp_gt_i16_e32 vcc_lo, 5, v6
	s_mov_b32 s3, -1
	s_cbranch_vccnz .LBB193_711
; %bb.691:
	v_cmp_gt_i16_e32 vcc_lo, 8, v6
	s_cbranch_vccnz .LBB193_701
; %bb.692:
	v_cmp_gt_i16_e32 vcc_lo, 9, v6
	s_cbranch_vccnz .LBB193_698
; %bb.693:
	v_cmp_lt_i16_e32 vcc_lo, 9, v6
	s_cbranch_vccz .LBB193_695
; %bb.694:
	v_mov_b32_e32 v2, 0
	s_mov_b32 s3, 0
	s_delay_alu instid0(VALU_DEP_1)
	v_mov_b32_e32 v3, v2
	global_store_b128 v[4:5], v[0:3], off
.LBB193_695:
	s_and_not1_b32 vcc_lo, exec_lo, s3
	s_cbranch_vccnz .LBB193_697
; %bb.696:
	v_cvt_f32_f64_e32 v2, v[0:1]
	v_mov_b32_e32 v3, 0
	global_store_b64 v[4:5], v[2:3], off
.LBB193_697:
	s_mov_b32 s3, 0
.LBB193_698:
	s_delay_alu instid0(SALU_CYCLE_1)
	s_and_not1_b32 vcc_lo, exec_lo, s3
	s_cbranch_vccnz .LBB193_700
; %bb.699:
	v_cvt_f32_f64_e32 v2, v[0:1]
	s_delay_alu instid0(VALU_DEP_1) | instskip(NEXT) | instid1(VALU_DEP_1)
	v_cvt_f16_f32_e32 v2, v2
	v_and_b32_e32 v2, 0xffff, v2
	global_store_b32 v[4:5], v2, off
.LBB193_700:
	s_mov_b32 s3, 0
.LBB193_701:
	s_delay_alu instid0(SALU_CYCLE_1)
	s_and_not1_b32 vcc_lo, exec_lo, s3
	s_cbranch_vccnz .LBB193_710
; %bb.702:
	v_cmp_gt_i16_e32 vcc_lo, 6, v6
	s_mov_b32 s3, -1
	s_cbranch_vccnz .LBB193_708
; %bb.703:
	v_cmp_lt_i16_e32 vcc_lo, 6, v6
	s_cbranch_vccz .LBB193_705
; %bb.704:
	s_mov_b32 s3, 0
	global_store_b64 v[4:5], v[0:1], off
.LBB193_705:
	s_and_not1_b32 vcc_lo, exec_lo, s3
	s_cbranch_vccnz .LBB193_707
; %bb.706:
	v_cvt_f32_f64_e32 v2, v[0:1]
	global_store_b32 v[4:5], v2, off
.LBB193_707:
	s_mov_b32 s3, 0
.LBB193_708:
	s_delay_alu instid0(SALU_CYCLE_1)
	s_and_not1_b32 vcc_lo, exec_lo, s3
	s_cbranch_vccnz .LBB193_710
; %bb.709:
	v_cvt_f32_f64_e32 v2, v[0:1]
	s_delay_alu instid0(VALU_DEP_1)
	v_cvt_f16_f32_e32 v2, v2
	global_store_b16 v[4:5], v2, off
.LBB193_710:
	s_mov_b32 s3, 0
.LBB193_711:
	s_delay_alu instid0(SALU_CYCLE_1)
	s_and_not1_b32 vcc_lo, exec_lo, s3
	s_cbranch_vccnz .LBB193_727
; %bb.712:
	v_cmp_gt_i16_e32 vcc_lo, 2, v6
	s_mov_b32 s3, -1
	s_cbranch_vccnz .LBB193_722
; %bb.713:
	v_cmp_gt_i16_e32 vcc_lo, 3, v6
	s_cbranch_vccnz .LBB193_719
; %bb.714:
	v_cmp_lt_i16_e32 vcc_lo, 3, v6
	s_cbranch_vccz .LBB193_716
; %bb.715:
	v_trunc_f64_e32 v[2:3], v[0:1]
	s_mov_b32 s3, 0
	s_delay_alu instid0(VALU_DEP_1) | instskip(NEXT) | instid1(VALU_DEP_1)
	v_ldexp_f64 v[11:12], v[2:3], 0xffffffe0
	v_floor_f64_e32 v[11:12], v[11:12]
	s_delay_alu instid0(VALU_DEP_1) | instskip(SKIP_1) | instid1(VALU_DEP_2)
	v_fma_f64 v[2:3], 0xc1f00000, v[11:12], v[2:3]
	v_cvt_i32_f64_e32 v12, v[11:12]
	v_cvt_u32_f64_e32 v11, v[2:3]
	global_store_b64 v[4:5], v[11:12], off
.LBB193_716:
	s_and_not1_b32 vcc_lo, exec_lo, s3
	s_cbranch_vccnz .LBB193_718
; %bb.717:
	v_cvt_i32_f64_e32 v2, v[0:1]
	global_store_b32 v[4:5], v2, off
.LBB193_718:
	s_mov_b32 s3, 0
.LBB193_719:
	s_delay_alu instid0(SALU_CYCLE_1)
	s_and_not1_b32 vcc_lo, exec_lo, s3
	s_cbranch_vccnz .LBB193_721
; %bb.720:
	v_cvt_i32_f64_e32 v2, v[0:1]
	global_store_b16 v[4:5], v2, off
.LBB193_721:
	s_mov_b32 s3, 0
.LBB193_722:
	s_delay_alu instid0(SALU_CYCLE_1)
	s_and_not1_b32 vcc_lo, exec_lo, s3
	s_cbranch_vccnz .LBB193_727
; %bb.723:
	v_cmp_lt_i16_e32 vcc_lo, 0, v6
	s_mov_b32 s3, -1
	s_cbranch_vccz .LBB193_725
; %bb.724:
	v_cvt_i32_f64_e32 v2, v[0:1]
	s_mov_b32 s3, 0
	global_store_b8 v[4:5], v2, off
.LBB193_725:
	s_and_not1_b32 vcc_lo, exec_lo, s3
	s_cbranch_vccnz .LBB193_727
; %bb.726:
	v_trunc_f64_e32 v[0:1], v[0:1]
	s_delay_alu instid0(VALU_DEP_1) | instskip(NEXT) | instid1(VALU_DEP_1)
	v_ldexp_f64 v[2:3], v[0:1], 0xffffffe0
	v_floor_f64_e32 v[2:3], v[2:3]
	s_delay_alu instid0(VALU_DEP_1) | instskip(NEXT) | instid1(VALU_DEP_1)
	v_fma_f64 v[0:1], 0xc1f00000, v[2:3], v[0:1]
	v_cvt_u32_f64_e32 v0, v[0:1]
	global_store_b8 v[4:5], v0, off
.LBB193_727:
	s_branch .LBB193_804
.LBB193_728:
	s_mov_b32 s3, 0
.LBB193_729:
                                        ; implicit-def: $vgpr10
	s_branch .LBB193_805
.LBB193_730:
	s_mov_b32 s2, s38
	s_branch .LBB193_761
.LBB193_731:
	s_mov_b32 s2, s38
	s_branch .LBB193_744
.LBB193_732:
	s_mov_b32 s2, s38
	s_branch .LBB193_740
.LBB193_733:
	s_mov_b32 s2, s38
.LBB193_734:
	s_and_b32 vcc_lo, exec_lo, s23
	s_cbranch_vccz .LBB193_739
; %bb.735:
	v_cmp_eq_u16_e32 vcc_lo, 44, v6
	s_mov_b32 s2, -1
	s_cbranch_vccz .LBB193_739
; %bb.736:
	v_cvt_f32_f64_e32 v2, v[0:1]
	v_mov_b32_e32 v3, 0xff
	s_mov_b32 s3, exec_lo
	s_delay_alu instid0(VALU_DEP_2) | instskip(NEXT) | instid1(VALU_DEP_1)
	v_bfe_u32 v7, v2, 23, 8
	v_cmpx_ne_u32_e32 0xff, v7
; %bb.737:
	v_and_b32_e32 v3, 0x400000, v2
	v_and_or_b32 v7, 0x3fffff, v2, v7
	v_lshrrev_b32_e32 v2, 23, v2
	s_delay_alu instid0(VALU_DEP_3) | instskip(NEXT) | instid1(VALU_DEP_3)
	v_cmp_ne_u32_e32 vcc_lo, 0, v3
	v_cmp_ne_u32_e64 s2, 0, v7
	s_delay_alu instid0(VALU_DEP_1) | instskip(NEXT) | instid1(SALU_CYCLE_1)
	s_and_b32 s2, vcc_lo, s2
	v_cndmask_b32_e64 v3, 0, 1, s2
	s_delay_alu instid0(VALU_DEP_1)
	v_add_nc_u32_e32 v3, v2, v3
; %bb.738:
	s_or_b32 exec_lo, exec_lo, s3
	s_mov_b32 s3, -1
	s_mov_b32 s2, 0
	global_store_b8 v[4:5], v3, off
.LBB193_739:
	s_mov_b32 s23, 0
.LBB193_740:
	s_delay_alu instid0(SALU_CYCLE_1)
	s_and_b32 vcc_lo, exec_lo, s23
	s_cbranch_vccz .LBB193_743
; %bb.741:
	v_cmp_eq_u16_e32 vcc_lo, 29, v6
	s_mov_b32 s2, -1
	s_cbranch_vccz .LBB193_743
; %bb.742:
	v_trunc_f64_e32 v[2:3], v[0:1]
	s_mov_b32 s3, -1
	s_mov_b32 s2, 0
	s_mov_b32 s23, 0
	s_delay_alu instid0(VALU_DEP_1) | instskip(NEXT) | instid1(VALU_DEP_1)
	v_ldexp_f64 v[11:12], v[2:3], 0xffffffe0
	v_floor_f64_e32 v[11:12], v[11:12]
	s_delay_alu instid0(VALU_DEP_1) | instskip(SKIP_1) | instid1(VALU_DEP_2)
	v_fma_f64 v[2:3], 0xc1f00000, v[11:12], v[2:3]
	v_cvt_u32_f64_e32 v12, v[11:12]
	v_cvt_u32_f64_e32 v11, v[2:3]
	global_store_b64 v[4:5], v[11:12], off
	s_branch .LBB193_744
.LBB193_743:
	s_mov_b32 s23, 0
.LBB193_744:
	s_delay_alu instid0(SALU_CYCLE_1)
	s_and_b32 vcc_lo, exec_lo, s23
	s_cbranch_vccz .LBB193_760
; %bb.745:
	v_cmp_gt_i16_e32 vcc_lo, 27, v6
	s_mov_b32 s3, -1
	s_cbranch_vccnz .LBB193_751
; %bb.746:
	v_cmp_lt_i16_e32 vcc_lo, 27, v6
	s_cbranch_vccz .LBB193_748
; %bb.747:
	v_cvt_u32_f64_e32 v2, v[0:1]
	s_mov_b32 s3, 0
	global_store_b32 v[4:5], v2, off
.LBB193_748:
	s_and_not1_b32 vcc_lo, exec_lo, s3
	s_cbranch_vccnz .LBB193_750
; %bb.749:
	v_cvt_u32_f64_e32 v2, v[0:1]
	global_store_b16 v[4:5], v2, off
.LBB193_750:
	s_mov_b32 s3, 0
.LBB193_751:
	s_delay_alu instid0(SALU_CYCLE_1)
	s_and_not1_b32 vcc_lo, exec_lo, s3
	s_cbranch_vccnz .LBB193_759
; %bb.752:
	v_cvt_f32_f64_e32 v2, v[0:1]
	v_mov_b32_e32 v7, 0x80
	s_mov_b32 s3, exec_lo
	s_delay_alu instid0(VALU_DEP_2) | instskip(NEXT) | instid1(VALU_DEP_1)
	v_and_b32_e32 v3, 0x7fffffff, v2
	v_cmpx_gt_u32_e32 0x43800000, v3
	s_cbranch_execz .LBB193_758
; %bb.753:
	v_cmp_lt_u32_e32 vcc_lo, 0x3bffffff, v3
	s_mov_b32 s23, 0
                                        ; implicit-def: $vgpr3
	s_and_saveexec_b32 s41, vcc_lo
	s_delay_alu instid0(SALU_CYCLE_1)
	s_xor_b32 s41, exec_lo, s41
	s_cbranch_execz .LBB193_832
; %bb.754:
	v_bfe_u32 v3, v2, 20, 1
	s_mov_b32 s23, exec_lo
	s_delay_alu instid0(VALU_DEP_1) | instskip(NEXT) | instid1(VALU_DEP_1)
	v_add3_u32 v3, v2, v3, 0x487ffff
	v_lshrrev_b32_e32 v3, 20, v3
	s_or_saveexec_b32 s41, s41
                                        ; implicit-def: $sgpr42
	s_delay_alu instid0(SALU_CYCLE_1)
	s_xor_b32 exec_lo, exec_lo, s41
	s_cbranch_execnz .LBB193_833
.LBB193_755:
	s_or_b32 exec_lo, exec_lo, s41
	v_mov_b32_e32 v7, s42
	s_and_saveexec_b32 s41, s23
.LBB193_756:
	v_lshrrev_b32_e32 v2, 24, v2
	s_delay_alu instid0(VALU_DEP_1)
	v_and_or_b32 v7, 0x80, v2, v3
.LBB193_757:
	s_or_b32 exec_lo, exec_lo, s41
.LBB193_758:
	s_delay_alu instid0(SALU_CYCLE_1)
	s_or_b32 exec_lo, exec_lo, s3
	global_store_b8 v[4:5], v7, off
.LBB193_759:
	s_mov_b32 s3, -1
.LBB193_760:
	s_mov_b32 s23, 0
.LBB193_761:
	s_delay_alu instid0(SALU_CYCLE_1)
	s_and_b32 vcc_lo, exec_lo, s23
	s_cbranch_vccz .LBB193_802
; %bb.762:
	v_cmp_lt_i16_e32 vcc_lo, 22, v6
	s_mov_b32 s23, -1
	s_cbranch_vccz .LBB193_794
; %bb.763:
	v_cmp_gt_i16_e32 vcc_lo, 24, v6
	s_mov_b32 s3, -1
	s_cbranch_vccnz .LBB193_783
; %bb.764:
	v_cmp_lt_i16_e32 vcc_lo, 24, v6
	s_cbranch_vccz .LBB193_772
; %bb.765:
	v_cvt_f32_f64_e32 v2, v[0:1]
	v_mov_b32_e32 v7, 0x80
	s_mov_b32 s3, exec_lo
	s_delay_alu instid0(VALU_DEP_2) | instskip(NEXT) | instid1(VALU_DEP_1)
	v_and_b32_e32 v3, 0x7fffffff, v2
	v_cmpx_gt_u32_e32 0x47800000, v3
	s_cbranch_execz .LBB193_771
; %bb.766:
	v_cmp_lt_u32_e32 vcc_lo, 0x37ffffff, v3
	s_mov_b32 s23, 0
                                        ; implicit-def: $vgpr3
	s_and_saveexec_b32 s41, vcc_lo
	s_delay_alu instid0(SALU_CYCLE_1)
	s_xor_b32 s41, exec_lo, s41
	s_cbranch_execz .LBB193_835
; %bb.767:
	v_bfe_u32 v3, v2, 21, 1
	s_mov_b32 s23, exec_lo
	s_delay_alu instid0(VALU_DEP_1) | instskip(NEXT) | instid1(VALU_DEP_1)
	v_add3_u32 v3, v2, v3, 0x88fffff
	v_lshrrev_b32_e32 v3, 21, v3
	s_or_saveexec_b32 s41, s41
                                        ; implicit-def: $sgpr42
	s_delay_alu instid0(SALU_CYCLE_1)
	s_xor_b32 exec_lo, exec_lo, s41
	s_cbranch_execnz .LBB193_836
.LBB193_768:
	s_or_b32 exec_lo, exec_lo, s41
	v_mov_b32_e32 v7, s42
	s_and_saveexec_b32 s41, s23
.LBB193_769:
	v_lshrrev_b32_e32 v2, 24, v2
	s_delay_alu instid0(VALU_DEP_1)
	v_and_or_b32 v7, 0x80, v2, v3
.LBB193_770:
	s_or_b32 exec_lo, exec_lo, s41
.LBB193_771:
	s_delay_alu instid0(SALU_CYCLE_1)
	s_or_b32 exec_lo, exec_lo, s3
	s_mov_b32 s3, 0
	global_store_b8 v[4:5], v7, off
.LBB193_772:
	s_and_b32 vcc_lo, exec_lo, s3
	s_cbranch_vccz .LBB193_782
; %bb.773:
	v_cvt_f32_f64_e32 v2, v[0:1]
	s_mov_b32 s3, exec_lo
                                        ; implicit-def: $vgpr3
	s_delay_alu instid0(VALU_DEP_1) | instskip(NEXT) | instid1(VALU_DEP_1)
	v_and_b32_e32 v7, 0x7fffffff, v2
	v_cmpx_gt_u32_e32 0x43f00000, v7
	s_xor_b32 s3, exec_lo, s3
	s_cbranch_execz .LBB193_779
; %bb.774:
	s_mov_b32 s23, exec_lo
                                        ; implicit-def: $vgpr3
	v_cmpx_lt_u32_e32 0x3c7fffff, v7
	s_xor_b32 s23, exec_lo, s23
; %bb.775:
	v_bfe_u32 v3, v2, 20, 1
	s_delay_alu instid0(VALU_DEP_1) | instskip(NEXT) | instid1(VALU_DEP_1)
	v_add3_u32 v3, v2, v3, 0x407ffff
	v_and_b32_e32 v7, 0xff00000, v3
	v_lshrrev_b32_e32 v3, 20, v3
	s_delay_alu instid0(VALU_DEP_2) | instskip(NEXT) | instid1(VALU_DEP_2)
	v_cmp_ne_u32_e32 vcc_lo, 0x7f00000, v7
	v_cndmask_b32_e32 v3, 0x7e, v3, vcc_lo
; %bb.776:
	s_and_not1_saveexec_b32 s23, s23
; %bb.777:
	v_add_f32_e64 v3, 0x46800000, |v2|
; %bb.778:
	s_or_b32 exec_lo, exec_lo, s23
                                        ; implicit-def: $vgpr7
.LBB193_779:
	s_and_not1_saveexec_b32 s3, s3
; %bb.780:
	v_mov_b32_e32 v3, 0x7f
	v_cmp_lt_u32_e32 vcc_lo, 0x7f800000, v7
	s_delay_alu instid0(VALU_DEP_2)
	v_cndmask_b32_e32 v3, 0x7e, v3, vcc_lo
; %bb.781:
	s_or_b32 exec_lo, exec_lo, s3
	v_lshrrev_b32_e32 v2, 24, v2
	s_delay_alu instid0(VALU_DEP_1)
	v_and_or_b32 v2, 0x80, v2, v3
	global_store_b8 v[4:5], v2, off
.LBB193_782:
	s_mov_b32 s3, 0
.LBB193_783:
	s_delay_alu instid0(SALU_CYCLE_1)
	s_and_not1_b32 vcc_lo, exec_lo, s3
	s_cbranch_vccnz .LBB193_793
; %bb.784:
	v_cvt_f32_f64_e32 v2, v[0:1]
	s_mov_b32 s3, exec_lo
                                        ; implicit-def: $vgpr3
	s_delay_alu instid0(VALU_DEP_1) | instskip(NEXT) | instid1(VALU_DEP_1)
	v_and_b32_e32 v7, 0x7fffffff, v2
	v_cmpx_gt_u32_e32 0x47800000, v7
	s_xor_b32 s3, exec_lo, s3
	s_cbranch_execz .LBB193_790
; %bb.785:
	s_mov_b32 s23, exec_lo
                                        ; implicit-def: $vgpr3
	v_cmpx_lt_u32_e32 0x387fffff, v7
	s_xor_b32 s23, exec_lo, s23
; %bb.786:
	v_bfe_u32 v3, v2, 21, 1
	s_delay_alu instid0(VALU_DEP_1) | instskip(NEXT) | instid1(VALU_DEP_1)
	v_add3_u32 v3, v2, v3, 0x80fffff
	v_lshrrev_b32_e32 v3, 21, v3
; %bb.787:
	s_and_not1_saveexec_b32 s23, s23
; %bb.788:
	v_add_f32_e64 v3, 0x43000000, |v2|
; %bb.789:
	s_or_b32 exec_lo, exec_lo, s23
                                        ; implicit-def: $vgpr7
.LBB193_790:
	s_and_not1_saveexec_b32 s3, s3
; %bb.791:
	v_mov_b32_e32 v3, 0x7f
	v_cmp_lt_u32_e32 vcc_lo, 0x7f800000, v7
	s_delay_alu instid0(VALU_DEP_2)
	v_cndmask_b32_e32 v3, 0x7c, v3, vcc_lo
; %bb.792:
	s_or_b32 exec_lo, exec_lo, s3
	v_lshrrev_b32_e32 v2, 24, v2
	s_delay_alu instid0(VALU_DEP_1)
	v_and_or_b32 v2, 0x80, v2, v3
	global_store_b8 v[4:5], v2, off
.LBB193_793:
	s_mov_b32 s23, 0
	s_mov_b32 s3, -1
.LBB193_794:
	s_and_not1_b32 vcc_lo, exec_lo, s23
	s_cbranch_vccnz .LBB193_802
; %bb.795:
	v_cmp_lt_i16_e32 vcc_lo, 14, v6
	s_mov_b32 s23, -1
	s_cbranch_vccz .LBB193_799
; %bb.796:
	v_cmp_eq_u16_e32 vcc_lo, 15, v6
	s_mov_b32 s2, -1
	s_cbranch_vccz .LBB193_798
; %bb.797:
	v_cvt_f32_f64_e32 v2, v[0:1]
	s_mov_b32 s3, -1
	s_mov_b32 s2, 0
	s_delay_alu instid0(VALU_DEP_1) | instskip(SKIP_1) | instid1(VALU_DEP_2)
	v_bfe_u32 v3, v2, 16, 1
	v_cmp_o_f32_e32 vcc_lo, v2, v2
	v_add3_u32 v3, v2, v3, 0x7fff
	s_delay_alu instid0(VALU_DEP_1) | instskip(NEXT) | instid1(VALU_DEP_1)
	v_lshrrev_b32_e32 v3, 16, v3
	v_cndmask_b32_e32 v2, 0x7fc0, v3, vcc_lo
	global_store_b16 v[4:5], v2, off
.LBB193_798:
	s_mov_b32 s23, 0
.LBB193_799:
	s_delay_alu instid0(SALU_CYCLE_1)
	s_and_b32 vcc_lo, exec_lo, s23
	s_cbranch_vccz .LBB193_802
; %bb.800:
	v_cmp_eq_u16_e32 vcc_lo, 11, v6
	s_mov_b32 s2, -1
	s_cbranch_vccz .LBB193_802
; %bb.801:
	v_cmp_neq_f64_e32 vcc_lo, 0, v[0:1]
	s_mov_b32 s3, -1
	s_mov_b32 s2, 0
	v_cndmask_b32_e64 v2, 0, 1, vcc_lo
	global_store_b8 v[4:5], v2, off
.LBB193_802:
.LBB193_803:
	s_and_not1_b32 vcc_lo, exec_lo, s3
	s_cbranch_vccnz .LBB193_728
.LBB193_804:
	v_add_nc_u32_e32 v10, 0x80, v10
	s_mov_b32 s3, -1
.LBB193_805:
	s_and_not1_b32 s23, s38, exec_lo
	s_and_b32 s2, s2, exec_lo
	s_and_not1_b32 s41, s37, exec_lo
	s_and_b32 s22, s22, exec_lo
	s_or_b32 s23, s23, s2
	s_or_b32 s22, s41, s22
	s_or_not1_b32 s42, s3, exec_lo
.LBB193_806:
	s_or_b32 exec_lo, exec_lo, s40
	s_mov_b32 s2, 0
	s_mov_b32 s3, 0
	;; [unrolled: 1-line block ×3, first 2 shown]
                                        ; implicit-def: $vgpr0_vgpr1
                                        ; implicit-def: $vgpr2
                                        ; implicit-def: $vgpr6_vgpr7
	s_and_saveexec_b32 s40, s42
	s_cbranch_execz .LBB193_904
; %bb.807:
	v_cmp_gt_i32_e32 vcc_lo, s30, v10
	s_mov_b32 s42, s22
                                        ; implicit-def: $vgpr0_vgpr1
                                        ; implicit-def: $vgpr2
                                        ; implicit-def: $vgpr6_vgpr7
	s_and_saveexec_b32 s30, vcc_lo
	s_cbranch_execz .LBB193_903
; %bb.808:
	s_and_not1_b32 vcc_lo, exec_lo, s27
	s_cbranch_vccnz .LBB193_813
; %bb.809:
	v_mov_b32_e32 v2, 0
	v_mov_b32_e32 v0, 0
	s_and_not1_b32 vcc_lo, exec_lo, s33
	s_mov_b32 s33, 0
	s_cbranch_vccnz .LBB193_818
; %bb.810:
	v_mov_b32_e32 v2, 0
	s_add_i32 s41, s31, 1
	s_cmp_eq_u32 s25, 2
	s_mov_b32 s31, 0
	s_cbranch_scc1 .LBB193_814
; %bb.811:
	v_dual_mov_b32 v0, 0 :: v_dual_mov_b32 v1, v10
	v_mov_b32_e32 v2, 0
	s_and_b32 s31, s41, 28
	s_mov_b32 s42, 0
	s_mov_b64 s[2:3], s[16:17]
.LBB193_812:                            ; =>This Inner Loop Header: Depth=1
	s_clause 0x1
	s_load_b256 s[44:51], s[2:3], 0x4
	s_load_b128 s[60:63], s[2:3], 0x24
	s_load_b256 s[52:59], s[20:21], 0x0
	s_add_u32 s2, s2, 48
	s_addc_u32 s3, s3, 0
	s_add_i32 s42, s42, 4
	s_add_u32 s20, s20, 32
	s_addc_u32 s21, s21, 0
	s_cmp_eq_u32 s31, s42
	s_waitcnt vmcnt(0) lgkmcnt(0)
	v_mul_hi_u32 v3, s45, v1
	s_delay_alu instid0(VALU_DEP_1) | instskip(NEXT) | instid1(VALU_DEP_1)
	v_add_nc_u32_e32 v3, v1, v3
	v_lshrrev_b32_e32 v3, s46, v3
	s_delay_alu instid0(VALU_DEP_1) | instskip(SKIP_1) | instid1(VALU_DEP_2)
	v_mul_hi_u32 v4, s48, v3
	v_mul_lo_u32 v6, v3, s44
	v_add_nc_u32_e32 v4, v3, v4
	s_delay_alu instid0(VALU_DEP_2) | instskip(NEXT) | instid1(VALU_DEP_2)
	v_sub_nc_u32_e32 v1, v1, v6
	v_lshrrev_b32_e32 v4, s49, v4
	s_delay_alu instid0(VALU_DEP_2) | instskip(SKIP_1) | instid1(VALU_DEP_3)
	v_mul_lo_u32 v6, v1, s52
	v_mul_lo_u32 v11, v1, s53
	v_mul_hi_u32 v5, s51, v4
	s_delay_alu instid0(VALU_DEP_1) | instskip(NEXT) | instid1(VALU_DEP_1)
	v_add_nc_u32_e32 v5, v4, v5
	v_lshrrev_b32_e32 v5, s60, v5
	s_delay_alu instid0(VALU_DEP_1) | instskip(SKIP_1) | instid1(VALU_DEP_2)
	v_mul_hi_u32 v7, s62, v5
	v_mul_lo_u32 v12, v5, s50
	v_add_nc_u32_e32 v1, v5, v7
	v_mul_lo_u32 v7, v4, s47
	s_delay_alu instid0(VALU_DEP_3) | instskip(NEXT) | instid1(VALU_DEP_3)
	v_sub_nc_u32_e32 v4, v4, v12
	v_lshrrev_b32_e32 v1, s63, v1
	s_delay_alu instid0(VALU_DEP_2) | instskip(SKIP_2) | instid1(VALU_DEP_4)
	v_mul_lo_u32 v12, v4, s56
	v_mul_lo_u32 v4, v4, s57
	v_sub_nc_u32_e32 v3, v3, v7
	v_mul_lo_u32 v13, v1, s61
	s_delay_alu instid0(VALU_DEP_2) | instskip(SKIP_1) | instid1(VALU_DEP_3)
	v_mul_lo_u32 v7, v3, s54
	v_mul_lo_u32 v3, v3, s55
	v_sub_nc_u32_e32 v5, v5, v13
	s_delay_alu instid0(VALU_DEP_3) | instskip(NEXT) | instid1(VALU_DEP_2)
	v_add3_u32 v2, v6, v2, v7
	v_mul_lo_u32 v13, v5, s58
	v_mul_lo_u32 v5, v5, s59
	v_add3_u32 v0, v11, v0, v3
	s_delay_alu instid0(VALU_DEP_3) | instskip(NEXT) | instid1(VALU_DEP_2)
	v_add3_u32 v2, v12, v2, v13
	v_add3_u32 v0, v4, v0, v5
	s_cbranch_scc0 .LBB193_812
	s_branch .LBB193_815
.LBB193_813:
	s_mov_b32 s33, -1
                                        ; implicit-def: $vgpr2
                                        ; implicit-def: $vgpr0
	s_branch .LBB193_818
.LBB193_814:
	v_dual_mov_b32 v1, v10 :: v_dual_mov_b32 v0, 0
.LBB193_815:
	s_and_b32 s41, s41, 3
	s_delay_alu instid0(SALU_CYCLE_1)
	s_cmp_eq_u32 s41, 0
	s_cbranch_scc1 .LBB193_818
; %bb.816:
	s_lshl_b32 s2, s31, 3
	s_mul_i32 s20, s31, 12
	s_add_u32 s2, s2, s16
	s_addc_u32 s3, s17, 0
	s_add_u32 s2, s2, 0xc4
	s_addc_u32 s3, s3, 0
	s_add_u32 s20, s16, s20
	s_addc_u32 s21, s17, 0
.LBB193_817:                            ; =>This Inner Loop Header: Depth=1
	s_clause 0x1
	s_load_b64 s[42:43], s[20:21], 0x4
	s_load_b32 s31, s[20:21], 0xc
	s_load_b64 s[44:45], s[2:3], 0x0
	s_add_u32 s20, s20, 12
	s_addc_u32 s21, s21, 0
	s_add_u32 s2, s2, 8
	s_addc_u32 s3, s3, 0
	s_add_i32 s41, s41, -1
	s_delay_alu instid0(SALU_CYCLE_1) | instskip(SKIP_2) | instid1(VALU_DEP_1)
	s_cmp_lg_u32 s41, 0
	s_waitcnt vmcnt(0) lgkmcnt(0)
	v_mul_hi_u32 v3, s43, v1
	v_add_nc_u32_e32 v3, v1, v3
	s_delay_alu instid0(VALU_DEP_1) | instskip(NEXT) | instid1(VALU_DEP_1)
	v_lshrrev_b32_e32 v6, s31, v3
	v_mul_lo_u32 v3, v6, s42
	s_delay_alu instid0(VALU_DEP_1) | instskip(NEXT) | instid1(VALU_DEP_1)
	v_sub_nc_u32_e32 v1, v1, v3
	v_mad_u64_u32 v[3:4], null, v1, s44, v[2:3]
	v_mad_u64_u32 v[4:5], null, v1, s45, v[0:1]
	s_delay_alu instid0(VALU_DEP_2) | instskip(NEXT) | instid1(VALU_DEP_2)
	v_dual_mov_b32 v1, v6 :: v_dual_mov_b32 v2, v3
	v_mov_b32_e32 v0, v4
	s_cbranch_scc1 .LBB193_817
.LBB193_818:
	s_and_not1_b32 vcc_lo, exec_lo, s33
	s_cbranch_vccnz .LBB193_821
; %bb.819:
	s_waitcnt lgkmcnt(0)
	v_mul_hi_u32 v0, s13, v10
	s_and_not1_b32 vcc_lo, exec_lo, s29
	s_delay_alu instid0(VALU_DEP_1) | instskip(NEXT) | instid1(VALU_DEP_1)
	v_add_nc_u32_e32 v0, v10, v0
	v_lshrrev_b32_e32 v1, s14, v0
	s_delay_alu instid0(VALU_DEP_1) | instskip(NEXT) | instid1(VALU_DEP_1)
	v_mul_lo_u32 v0, v1, s12
	v_sub_nc_u32_e32 v0, v10, v0
	s_delay_alu instid0(VALU_DEP_1)
	v_mul_lo_u32 v2, v0, s8
	v_mul_lo_u32 v0, v0, s9
	s_cbranch_vccnz .LBB193_821
; %bb.820:
	s_waitcnt vmcnt(0)
	v_mul_hi_u32 v3, s18, v1
	s_delay_alu instid0(VALU_DEP_1) | instskip(NEXT) | instid1(VALU_DEP_1)
	v_add_nc_u32_e32 v3, v1, v3
	v_lshrrev_b32_e32 v3, s19, v3
	s_delay_alu instid0(VALU_DEP_1) | instskip(NEXT) | instid1(VALU_DEP_1)
	v_mul_lo_u32 v3, v3, s15
	v_sub_nc_u32_e32 v5, v1, v3
	s_delay_alu instid0(VALU_DEP_1) | instskip(SKIP_1) | instid1(VALU_DEP_2)
	v_mad_u64_u32 v[3:4], null, v5, s10, v[2:3]
	v_mad_u64_u32 v[1:2], null, v5, s11, v[0:1]
	v_mov_b32_e32 v2, v3
	s_delay_alu instid0(VALU_DEP_2)
	v_mov_b32_e32 v0, v1
.LBB193_821:
	v_cmp_gt_i16_e32 vcc_lo, 11, v9
	s_waitcnt lgkmcnt(0)
	s_delay_alu instid0(VALU_DEP_2) | instskip(NEXT) | instid1(VALU_DEP_1)
	v_add_co_u32 v0, s2, s6, v0
	v_add_co_ci_u32_e64 v1, null, s7, 0, s2
	s_mov_b32 s2, 0
	s_cbranch_vccnz .LBB193_828
; %bb.822:
	v_cmp_lt_i16_e32 vcc_lo, 25, v9
	s_mov_b32 s7, 0
	s_cbranch_vccz .LBB193_829
; %bb.823:
	v_cmp_lt_i16_e32 vcc_lo, 28, v9
	s_cbranch_vccz .LBB193_830
; %bb.824:
	v_cmp_lt_i16_e32 vcc_lo, 43, v9
	;; [unrolled: 3-line block ×3, first 2 shown]
	s_cbranch_vccz .LBB193_834
; %bb.826:
	v_cmp_eq_u16_e32 vcc_lo, 46, v9
	s_mov_b32 s3, 0
	s_cbranch_vccz .LBB193_837
; %bb.827:
	global_load_b32 v3, v[0:1], off
	s_mov_b32 s6, 0
	s_mov_b32 s2, -1
	s_waitcnt vmcnt(0)
	v_lshlrev_b32_e32 v3, 16, v3
	s_delay_alu instid0(VALU_DEP_1)
	v_cvt_f64_f32_e32 v[6:7], v3
	s_branch .LBB193_839
.LBB193_828:
	s_mov_b32 s3, -1
	s_mov_b32 s7, 0
	s_mov_b32 s6, s22
                                        ; implicit-def: $vgpr6_vgpr7
	s_branch .LBB193_902
.LBB193_829:
	s_mov_b32 s3, -1
	s_mov_b32 s6, s22
                                        ; implicit-def: $vgpr6_vgpr7
	s_branch .LBB193_870
.LBB193_830:
	s_mov_b32 s3, -1
	s_mov_b32 s6, s22
                                        ; implicit-def: $vgpr6_vgpr7
	s_branch .LBB193_849
.LBB193_831:
	s_mov_b32 s3, -1
	s_mov_b32 s6, s22
                                        ; implicit-def: $vgpr6_vgpr7
	s_branch .LBB193_844
.LBB193_832:
	s_or_saveexec_b32 s41, s41
                                        ; implicit-def: $sgpr42
	s_delay_alu instid0(SALU_CYCLE_1)
	s_xor_b32 exec_lo, exec_lo, s41
	s_cbranch_execz .LBB193_755
.LBB193_833:
	v_add_f32_e64 v3, 0x46000000, |v2|
	s_and_not1_b32 s23, s23, exec_lo
	s_mov_b32 s42, 0
	s_delay_alu instid0(VALU_DEP_1) | instskip(NEXT) | instid1(VALU_DEP_1)
	v_and_b32_e32 v3, 0xff, v3
	v_cmp_ne_u32_e32 vcc_lo, 0, v3
	s_and_b32 s43, vcc_lo, exec_lo
	s_delay_alu instid0(SALU_CYCLE_1)
	s_or_b32 s23, s23, s43
	s_or_b32 exec_lo, exec_lo, s41
	v_mov_b32_e32 v7, s42
	s_and_saveexec_b32 s41, s23
	s_cbranch_execnz .LBB193_756
	s_branch .LBB193_757
.LBB193_834:
	s_mov_b32 s3, -1
	s_mov_b32 s6, s22
	s_branch .LBB193_838
.LBB193_835:
	s_or_saveexec_b32 s41, s41
                                        ; implicit-def: $sgpr42
	s_delay_alu instid0(SALU_CYCLE_1)
	s_xor_b32 exec_lo, exec_lo, s41
	s_cbranch_execz .LBB193_768
.LBB193_836:
	v_add_f32_e64 v3, 0x42800000, |v2|
	s_and_not1_b32 s23, s23, exec_lo
	s_mov_b32 s42, 0
	s_delay_alu instid0(VALU_DEP_1) | instskip(NEXT) | instid1(VALU_DEP_1)
	v_and_b32_e32 v3, 0xff, v3
	v_cmp_ne_u32_e32 vcc_lo, 0, v3
	s_and_b32 s43, vcc_lo, exec_lo
	s_delay_alu instid0(SALU_CYCLE_1)
	s_or_b32 s23, s23, s43
	s_or_b32 exec_lo, exec_lo, s41
	v_mov_b32_e32 v7, s42
	s_and_saveexec_b32 s41, s23
	s_cbranch_execnz .LBB193_769
	s_branch .LBB193_770
.LBB193_837:
	s_mov_b32 s6, -1
.LBB193_838:
                                        ; implicit-def: $vgpr6_vgpr7
.LBB193_839:
	s_and_b32 vcc_lo, exec_lo, s3
	s_cbranch_vccz .LBB193_843
; %bb.840:
	v_cmp_eq_u16_e32 vcc_lo, 44, v9
	s_cbranch_vccz .LBB193_842
; %bb.841:
	global_load_u8 v5, v[0:1], off
	s_mov_b32 s6, 0
	s_mov_b32 s2, -1
	s_waitcnt vmcnt(0)
	v_cmp_ne_u32_e32 vcc_lo, 0xff, v5
	v_lshlrev_b32_e32 v3, 23, v5
	s_delay_alu instid0(VALU_DEP_1) | instskip(NEXT) | instid1(VALU_DEP_1)
	v_cvt_f64_f32_e32 v[3:4], v3
	v_cndmask_b32_e32 v4, 0x7ff80000, v4, vcc_lo
	s_delay_alu instid0(VALU_DEP_2) | instskip(SKIP_1) | instid1(VALU_DEP_3)
	v_cndmask_b32_e32 v3, 0x20000000, v3, vcc_lo
	v_cmp_ne_u32_e32 vcc_lo, 0, v5
	v_cndmask_b32_e32 v7, 0x38000000, v4, vcc_lo
	s_delay_alu instid0(VALU_DEP_3)
	v_cndmask_b32_e32 v6, 0, v3, vcc_lo
	s_branch .LBB193_843
.LBB193_842:
	s_mov_b32 s6, -1
                                        ; implicit-def: $vgpr6_vgpr7
.LBB193_843:
	s_mov_b32 s3, 0
.LBB193_844:
	s_delay_alu instid0(SALU_CYCLE_1)
	s_and_b32 vcc_lo, exec_lo, s3
	s_cbranch_vccz .LBB193_848
; %bb.845:
	v_cmp_eq_u16_e32 vcc_lo, 29, v9
	s_cbranch_vccz .LBB193_847
; %bb.846:
	global_load_b64 v[3:4], v[0:1], off
	s_mov_b32 s6, 0
	s_mov_b32 s2, -1
	s_mov_b32 s3, 0
	s_waitcnt vmcnt(0)
	v_cvt_f64_u32_e32 v[4:5], v4
	v_cvt_f64_u32_e32 v[6:7], v3
	s_delay_alu instid0(VALU_DEP_2) | instskip(NEXT) | instid1(VALU_DEP_1)
	v_ldexp_f64 v[4:5], v[4:5], 32
	v_add_f64 v[6:7], v[4:5], v[6:7]
	s_branch .LBB193_849
.LBB193_847:
	s_mov_b32 s6, -1
                                        ; implicit-def: $vgpr6_vgpr7
.LBB193_848:
	s_mov_b32 s3, 0
.LBB193_849:
	s_delay_alu instid0(SALU_CYCLE_1)
	s_and_b32 vcc_lo, exec_lo, s3
	s_cbranch_vccz .LBB193_869
; %bb.850:
	v_cmp_gt_i16_e32 vcc_lo, 27, v9
	s_cbranch_vccnz .LBB193_853
; %bb.851:
	v_cmp_lt_i16_e32 vcc_lo, 27, v9
	s_cbranch_vccz .LBB193_854
; %bb.852:
	global_load_b32 v3, v[0:1], off
	s_mov_b32 s2, 0
	s_waitcnt vmcnt(0)
	v_cvt_f64_u32_e32 v[6:7], v3
	s_branch .LBB193_855
.LBB193_853:
	s_mov_b32 s2, -1
                                        ; implicit-def: $vgpr6_vgpr7
	s_branch .LBB193_858
.LBB193_854:
	s_mov_b32 s2, -1
                                        ; implicit-def: $vgpr6_vgpr7
.LBB193_855:
	s_delay_alu instid0(SALU_CYCLE_1)
	s_and_not1_b32 vcc_lo, exec_lo, s2
	s_cbranch_vccnz .LBB193_857
; %bb.856:
	global_load_u16 v3, v[0:1], off
	s_waitcnt vmcnt(0)
	v_cvt_f64_u32_e32 v[6:7], v3
.LBB193_857:
	s_mov_b32 s2, 0
.LBB193_858:
	s_delay_alu instid0(SALU_CYCLE_1)
	s_and_not1_b32 vcc_lo, exec_lo, s2
	s_cbranch_vccnz .LBB193_868
; %bb.859:
	global_load_u8 v3, v[0:1], off
	s_mov_b32 s8, 0
	s_mov_b32 s9, exec_lo
                                        ; implicit-def: $sgpr2_sgpr3
	s_waitcnt vmcnt(0)
	v_cmpx_lt_i16_e32 0x7f, v3
	s_xor_b32 s9, exec_lo, s9
	s_cbranch_execz .LBB193_863
; %bb.860:
	s_mov_b32 s10, -1
	s_mov_b32 s8, exec_lo
                                        ; implicit-def: $sgpr2_sgpr3
	v_cmpx_eq_u16_e32 0x80, v3
; %bb.861:
	s_mov_b32 s3, 0x7ff80000
	s_brev_b32 s2, 4
	s_xor_b32 s10, exec_lo, -1
; %bb.862:
	s_or_b32 exec_lo, exec_lo, s8
	s_delay_alu instid0(SALU_CYCLE_1)
	s_and_b32 s8, s10, exec_lo
.LBB193_863:
	s_or_saveexec_b32 s9, s9
	v_dual_mov_b32 v7, s3 :: v_dual_mov_b32 v6, s2
	s_xor_b32 exec_lo, exec_lo, s9
; %bb.864:
	v_cmp_ne_u16_e32 vcc_lo, 0, v3
	v_mov_b32_e32 v6, 0
	v_mov_b32_e32 v7, 0
	s_and_not1_b32 s2, s8, exec_lo
	s_and_b32 s3, vcc_lo, exec_lo
	s_delay_alu instid0(SALU_CYCLE_1)
	s_or_b32 s8, s2, s3
; %bb.865:
	s_or_b32 exec_lo, exec_lo, s9
	s_and_saveexec_b32 s2, s8
	s_cbranch_execz .LBB193_867
; %bb.866:
	v_and_b32_e32 v4, 0xffff, v3
	v_lshlrev_b32_e32 v3, 24, v3
	s_delay_alu instid0(VALU_DEP_2) | instskip(NEXT) | instid1(VALU_DEP_2)
	v_and_b32_e32 v5, 7, v4
	v_and_b32_e32 v3, 0x80000000, v3
	s_delay_alu instid0(VALU_DEP_2) | instskip(NEXT) | instid1(VALU_DEP_1)
	v_clz_i32_u32_e32 v6, v5
	v_min_u32_e32 v6, 32, v6
	s_delay_alu instid0(VALU_DEP_1) | instskip(SKIP_1) | instid1(VALU_DEP_2)
	v_subrev_nc_u32_e32 v7, 28, v6
	v_sub_nc_u32_e32 v6, 29, v6
	v_lshlrev_b32_e32 v7, v7, v4
	v_bfe_u32 v4, v4, 3, 4
	s_delay_alu instid0(VALU_DEP_2) | instskip(NEXT) | instid1(VALU_DEP_2)
	v_and_b32_e32 v7, 7, v7
	v_cmp_eq_u32_e32 vcc_lo, 0, v4
	s_delay_alu instid0(VALU_DEP_2) | instskip(NEXT) | instid1(VALU_DEP_1)
	v_dual_cndmask_b32 v4, v4, v6 :: v_dual_cndmask_b32 v5, v5, v7
	v_lshl_add_u32 v4, v4, 23, 0x3b800000
	s_delay_alu instid0(VALU_DEP_2) | instskip(NEXT) | instid1(VALU_DEP_1)
	v_lshlrev_b32_e32 v5, 20, v5
	v_or3_b32 v3, v3, v4, v5
	s_delay_alu instid0(VALU_DEP_1)
	v_cvt_f64_f32_e32 v[6:7], v3
.LBB193_867:
	s_or_b32 exec_lo, exec_lo, s2
.LBB193_868:
	s_mov_b32 s2, -1
.LBB193_869:
	s_mov_b32 s3, 0
.LBB193_870:
	s_delay_alu instid0(SALU_CYCLE_1)
	s_and_b32 vcc_lo, exec_lo, s3
	s_cbranch_vccz .LBB193_901
; %bb.871:
	v_cmp_lt_i16_e32 vcc_lo, 22, v9
	s_cbranch_vccz .LBB193_883
; %bb.872:
	v_cmp_gt_i16_e32 vcc_lo, 24, v9
	s_cbranch_vccnz .LBB193_884
; %bb.873:
	v_cmp_lt_i16_e32 vcc_lo, 24, v9
	s_cbranch_vccz .LBB193_885
; %bb.874:
	global_load_u8 v3, v[0:1], off
	s_mov_b32 s8, exec_lo
                                        ; implicit-def: $sgpr2_sgpr3
	s_waitcnt vmcnt(0)
	v_cmpx_lt_i16_e32 0x7f, v3
	s_xor_b32 s8, exec_lo, s8
	s_cbranch_execz .LBB193_878
; %bb.875:
	s_mov_b32 s9, -1
	s_mov_b32 s7, exec_lo
                                        ; implicit-def: $sgpr2_sgpr3
	v_cmpx_eq_u16_e32 0x80, v3
; %bb.876:
	s_mov_b32 s3, 0x7ff80000
	s_brev_b32 s2, 4
	s_xor_b32 s9, exec_lo, -1
; %bb.877:
	s_or_b32 exec_lo, exec_lo, s7
	s_delay_alu instid0(SALU_CYCLE_1)
	s_and_b32 s7, s9, exec_lo
.LBB193_878:
	s_or_saveexec_b32 s8, s8
	v_dual_mov_b32 v7, s3 :: v_dual_mov_b32 v6, s2
	s_xor_b32 exec_lo, exec_lo, s8
; %bb.879:
	v_cmp_ne_u16_e32 vcc_lo, 0, v3
	v_mov_b32_e32 v6, 0
	v_mov_b32_e32 v7, 0
	s_and_not1_b32 s2, s7, exec_lo
	s_and_b32 s3, vcc_lo, exec_lo
	s_delay_alu instid0(SALU_CYCLE_1)
	s_or_b32 s7, s2, s3
; %bb.880:
	s_or_b32 exec_lo, exec_lo, s8
	s_and_saveexec_b32 s2, s7
	s_cbranch_execz .LBB193_882
; %bb.881:
	v_and_b32_e32 v4, 0xffff, v3
	v_lshlrev_b32_e32 v3, 24, v3
	s_delay_alu instid0(VALU_DEP_2) | instskip(NEXT) | instid1(VALU_DEP_2)
	v_and_b32_e32 v5, 3, v4
	v_and_b32_e32 v3, 0x80000000, v3
	s_delay_alu instid0(VALU_DEP_2) | instskip(NEXT) | instid1(VALU_DEP_1)
	v_clz_i32_u32_e32 v6, v5
	v_min_u32_e32 v6, 32, v6
	s_delay_alu instid0(VALU_DEP_1) | instskip(SKIP_1) | instid1(VALU_DEP_2)
	v_subrev_nc_u32_e32 v7, 29, v6
	v_sub_nc_u32_e32 v6, 30, v6
	v_lshlrev_b32_e32 v7, v7, v4
	v_bfe_u32 v4, v4, 2, 5
	s_delay_alu instid0(VALU_DEP_2) | instskip(NEXT) | instid1(VALU_DEP_2)
	v_and_b32_e32 v7, 3, v7
	v_cmp_eq_u32_e32 vcc_lo, 0, v4
	s_delay_alu instid0(VALU_DEP_2) | instskip(NEXT) | instid1(VALU_DEP_1)
	v_dual_cndmask_b32 v4, v4, v6 :: v_dual_cndmask_b32 v5, v5, v7
	v_lshl_add_u32 v4, v4, 23, 0x37800000
	s_delay_alu instid0(VALU_DEP_2) | instskip(NEXT) | instid1(VALU_DEP_1)
	v_lshlrev_b32_e32 v5, 21, v5
	v_or3_b32 v3, v3, v4, v5
	s_delay_alu instid0(VALU_DEP_1)
	v_cvt_f64_f32_e32 v[6:7], v3
.LBB193_882:
	s_or_b32 exec_lo, exec_lo, s2
	s_mov_b32 s2, 0
	s_branch .LBB193_886
.LBB193_883:
	s_mov_b32 s3, -1
                                        ; implicit-def: $vgpr6_vgpr7
	s_branch .LBB193_892
.LBB193_884:
	s_mov_b32 s2, -1
                                        ; implicit-def: $vgpr6_vgpr7
	s_branch .LBB193_889
.LBB193_885:
	s_mov_b32 s2, -1
                                        ; implicit-def: $vgpr6_vgpr7
.LBB193_886:
	s_delay_alu instid0(SALU_CYCLE_1)
	s_and_b32 vcc_lo, exec_lo, s2
	s_cbranch_vccz .LBB193_888
; %bb.887:
	global_load_u8 v3, v[0:1], off
	s_waitcnt vmcnt(0)
	v_lshlrev_b32_e32 v3, 24, v3
	s_delay_alu instid0(VALU_DEP_1) | instskip(NEXT) | instid1(VALU_DEP_1)
	v_and_b32_e32 v4, 0x7f000000, v3
	v_clz_i32_u32_e32 v5, v4
	v_add_nc_u32_e32 v7, 0x1000000, v4
	v_cmp_ne_u32_e32 vcc_lo, 0, v4
	s_delay_alu instid0(VALU_DEP_3) | instskip(NEXT) | instid1(VALU_DEP_1)
	v_min_u32_e32 v5, 32, v5
	v_sub_nc_u32_e64 v5, v5, 4 clamp
	s_delay_alu instid0(VALU_DEP_1) | instskip(SKIP_1) | instid1(VALU_DEP_2)
	v_lshlrev_b32_e32 v6, v5, v4
	v_lshlrev_b32_e32 v5, 23, v5
	v_lshrrev_b32_e32 v6, 4, v6
	s_delay_alu instid0(VALU_DEP_1) | instskip(SKIP_1) | instid1(VALU_DEP_2)
	v_sub_nc_u32_e32 v5, v6, v5
	v_ashrrev_i32_e32 v6, 8, v7
	v_add_nc_u32_e32 v5, 0x3c000000, v5
	s_delay_alu instid0(VALU_DEP_1) | instskip(NEXT) | instid1(VALU_DEP_1)
	v_and_or_b32 v5, 0x7f800000, v6, v5
	v_cndmask_b32_e32 v4, 0, v5, vcc_lo
	s_delay_alu instid0(VALU_DEP_1) | instskip(NEXT) | instid1(VALU_DEP_1)
	v_and_or_b32 v3, 0x80000000, v3, v4
	v_cvt_f64_f32_e32 v[6:7], v3
.LBB193_888:
	s_mov_b32 s2, 0
.LBB193_889:
	s_delay_alu instid0(SALU_CYCLE_1)
	s_and_not1_b32 vcc_lo, exec_lo, s2
	s_cbranch_vccnz .LBB193_891
; %bb.890:
	global_load_u8 v3, v[0:1], off
	s_waitcnt vmcnt(0)
	v_lshlrev_b32_e32 v4, 25, v3
	v_lshlrev_b16 v3, 8, v3
	s_delay_alu instid0(VALU_DEP_2) | instskip(NEXT) | instid1(VALU_DEP_2)
	v_lshrrev_b32_e32 v5, 4, v4
	v_and_or_b32 v6, 0x7f00, v3, 0.5
	v_bfe_i32 v3, v3, 0, 16
	s_delay_alu instid0(VALU_DEP_3) | instskip(NEXT) | instid1(VALU_DEP_1)
	v_or_b32_e32 v5, 0x70000000, v5
	v_dual_add_f32 v6, -0.5, v6 :: v_dual_mul_f32 v5, 0x7800000, v5
	v_cmp_gt_u32_e32 vcc_lo, 0x8000000, v4
	s_delay_alu instid0(VALU_DEP_2) | instskip(NEXT) | instid1(VALU_DEP_1)
	v_cndmask_b32_e32 v4, v5, v6, vcc_lo
	v_and_or_b32 v3, 0x80000000, v3, v4
	s_delay_alu instid0(VALU_DEP_1)
	v_cvt_f64_f32_e32 v[6:7], v3
.LBB193_891:
	s_mov_b32 s3, 0
	s_mov_b32 s2, -1
.LBB193_892:
	s_and_not1_b32 vcc_lo, exec_lo, s3
	s_mov_b32 s7, 0
	s_cbranch_vccnz .LBB193_901
; %bb.893:
	v_cmp_lt_i16_e32 vcc_lo, 14, v9
	s_cbranch_vccz .LBB193_896
; %bb.894:
	v_cmp_eq_u16_e32 vcc_lo, 15, v9
	s_cbranch_vccz .LBB193_897
; %bb.895:
	global_load_u16 v3, v[0:1], off
	s_mov_b32 s6, 0
	s_mov_b32 s2, -1
	s_waitcnt vmcnt(0)
	v_lshlrev_b32_e32 v3, 16, v3
	s_delay_alu instid0(VALU_DEP_1)
	v_cvt_f64_f32_e32 v[6:7], v3
	s_branch .LBB193_898
.LBB193_896:
	s_mov_b32 s3, -1
                                        ; implicit-def: $vgpr6_vgpr7
	s_branch .LBB193_899
.LBB193_897:
	s_mov_b32 s6, -1
                                        ; implicit-def: $vgpr6_vgpr7
.LBB193_898:
	s_mov_b32 s3, 0
.LBB193_899:
	s_delay_alu instid0(SALU_CYCLE_1)
	s_and_b32 vcc_lo, exec_lo, s3
	s_cbranch_vccz .LBB193_901
; %bb.900:
	v_cmp_ne_u16_e32 vcc_lo, 11, v9
	s_and_not1_b32 s3, s6, exec_lo
	s_mov_b32 s7, -1
                                        ; implicit-def: $vgpr6_vgpr7
	s_and_b32 s6, vcc_lo, exec_lo
	s_delay_alu instid0(SALU_CYCLE_1)
	s_or_b32 s6, s3, s6
.LBB193_901:
	s_mov_b32 s3, 0
.LBB193_902:
	s_and_not1_b32 s8, s22, exec_lo
	s_and_b32 s6, s6, exec_lo
	s_and_b32 s41, s2, exec_lo
	;; [unrolled: 1-line block ×4, first 2 shown]
	s_or_b32 s42, s8, s6
.LBB193_903:
	s_or_b32 exec_lo, exec_lo, s30
	s_waitcnt lgkmcnt(0)
	s_and_not1_b32 s6, s22, exec_lo
	s_and_b32 s7, s42, exec_lo
	s_and_b32 s41, s41, exec_lo
	s_and_b32 s3, s3, exec_lo
	s_and_b32 s2, s2, exec_lo
	s_or_b32 s22, s6, s7
.LBB193_904:
	s_or_b32 exec_lo, exec_lo, s40
	s_waitcnt lgkmcnt(0)
	s_and_not1_b32 s6, s38, exec_lo
	s_and_b32 s7, s23, exec_lo
	s_and_b32 s40, s41, exec_lo
	s_or_b32 s38, s6, s7
	s_and_not1_b32 s6, s37, exec_lo
	s_and_b32 s7, s22, exec_lo
	s_and_b32 s23, s3, exec_lo
	;; [unrolled: 1-line block ×3, first 2 shown]
	s_or_b32 s37, s6, s7
.LBB193_905:
	s_or_b32 exec_lo, exec_lo, s39
	s_delay_alu instid0(SALU_CYCLE_1)
	s_and_not1_b32 s2, s34, exec_lo
	s_waitcnt lgkmcnt(0)
	s_and_b32 s6, s38, exec_lo
	s_and_b32 s7, s37, exec_lo
	s_or_b32 s34, s2, s6
	s_and_not1_b32 s6, s35, exec_lo
	s_and_b32 s2, s40, exec_lo
	s_and_b32 s22, s23, exec_lo
	;; [unrolled: 1-line block ×3, first 2 shown]
	s_or_b32 s35, s6, s7
.LBB193_906:
	s_or_b32 exec_lo, exec_lo, s36
	s_mov_b32 s3, 0
	s_waitcnt lgkmcnt(0)
	s_and_saveexec_b32 s6, s35
	s_cbranch_execnz .LBB193_918
; %bb.907:
	s_or_b32 exec_lo, exec_lo, s6
	s_and_saveexec_b32 s6, s37
	s_delay_alu instid0(SALU_CYCLE_1)
	s_xor_b32 s6, exec_lo, s6
	s_cbranch_execz .LBB193_909
.LBB193_908:
	global_load_u8 v3, v[0:1], off
	v_mov_b32_e32 v6, 0
	s_or_b32 s2, s2, exec_lo
	s_waitcnt vmcnt(0)
	v_cmp_ne_u16_e32 vcc_lo, 0, v3
	v_cndmask_b32_e64 v7, 0, 0x3ff00000, vcc_lo
.LBB193_909:
	s_or_b32 exec_lo, exec_lo, s6
	s_and_saveexec_b32 s6, s22
	s_cbranch_execz .LBB193_957
; %bb.910:
	v_cmp_gt_i16_e32 vcc_lo, 5, v9
	s_cbranch_vccnz .LBB193_915
; %bb.911:
	v_cmp_gt_i16_e32 vcc_lo, 8, v9
	s_cbranch_vccnz .LBB193_916
	;; [unrolled: 3-line block ×3, first 2 shown]
; %bb.913:
	v_cmp_lt_i16_e32 vcc_lo, 9, v9
	s_cbranch_vccz .LBB193_920
; %bb.914:
	global_load_b64 v[6:7], v[0:1], off
	s_mov_b32 s7, 0
	s_branch .LBB193_921
.LBB193_915:
                                        ; implicit-def: $vgpr6_vgpr7
	s_branch .LBB193_938
.LBB193_916:
                                        ; implicit-def: $vgpr6_vgpr7
	s_branch .LBB193_927
.LBB193_917:
	s_mov_b32 s7, -1
                                        ; implicit-def: $vgpr6_vgpr7
	s_branch .LBB193_924
.LBB193_918:
	s_cbranch_execnz .LBB193_1188
; %bb.919:
	s_mov_b32 s3, exec_lo
	s_and_not1_b32 s37, s37, exec_lo
                                        ; implicit-def: $vgpr6_vgpr7
	s_or_b32 exec_lo, exec_lo, s6
	s_and_saveexec_b32 s6, s37
	s_delay_alu instid0(SALU_CYCLE_1)
	s_xor_b32 s6, exec_lo, s6
	s_cbranch_execnz .LBB193_908
	s_branch .LBB193_909
.LBB193_920:
	s_mov_b32 s7, -1
                                        ; implicit-def: $vgpr6_vgpr7
.LBB193_921:
	s_delay_alu instid0(SALU_CYCLE_1)
	s_and_not1_b32 vcc_lo, exec_lo, s7
	s_cbranch_vccnz .LBB193_923
; %bb.922:
	global_load_b32 v3, v[0:1], off
	s_waitcnt vmcnt(0)
	v_cvt_f64_f32_e32 v[6:7], v3
.LBB193_923:
	s_mov_b32 s7, 0
.LBB193_924:
	s_delay_alu instid0(SALU_CYCLE_1)
	s_and_not1_b32 vcc_lo, exec_lo, s7
	s_cbranch_vccnz .LBB193_926
; %bb.925:
	global_load_b32 v3, v[0:1], off
	s_waitcnt vmcnt(0)
	v_cvt_f32_f16_e32 v3, v3
	s_delay_alu instid0(VALU_DEP_1)
	v_cvt_f64_f32_e32 v[6:7], v3
.LBB193_926:
	s_cbranch_execnz .LBB193_937
.LBB193_927:
	v_cmp_gt_i16_e32 vcc_lo, 6, v9
	s_cbranch_vccnz .LBB193_930
; %bb.928:
	v_cmp_lt_i16_e32 vcc_lo, 6, v9
	s_cbranch_vccz .LBB193_931
; %bb.929:
	global_load_b64 v[6:7], v[0:1], off
	s_mov_b32 s7, 0
	s_branch .LBB193_932
.LBB193_930:
	s_mov_b32 s7, -1
                                        ; implicit-def: $vgpr6_vgpr7
	s_branch .LBB193_935
.LBB193_931:
	s_mov_b32 s7, -1
                                        ; implicit-def: $vgpr6_vgpr7
.LBB193_932:
	s_delay_alu instid0(SALU_CYCLE_1)
	s_and_not1_b32 vcc_lo, exec_lo, s7
	s_cbranch_vccnz .LBB193_934
; %bb.933:
	global_load_b32 v3, v[0:1], off
	s_waitcnt vmcnt(0)
	v_cvt_f64_f32_e32 v[6:7], v3
.LBB193_934:
	s_mov_b32 s7, 0
.LBB193_935:
	s_delay_alu instid0(SALU_CYCLE_1)
	s_and_not1_b32 vcc_lo, exec_lo, s7
	s_cbranch_vccnz .LBB193_937
; %bb.936:
	global_load_u16 v3, v[0:1], off
	s_waitcnt vmcnt(0)
	v_cvt_f32_f16_e32 v3, v3
	s_delay_alu instid0(VALU_DEP_1)
	v_cvt_f64_f32_e32 v[6:7], v3
.LBB193_937:
	s_cbranch_execnz .LBB193_956
.LBB193_938:
	v_cmp_gt_i16_e32 vcc_lo, 2, v9
	s_cbranch_vccnz .LBB193_942
; %bb.939:
	v_cmp_gt_i16_e32 vcc_lo, 3, v9
	s_cbranch_vccnz .LBB193_943
; %bb.940:
	v_cmp_lt_i16_e32 vcc_lo, 3, v9
	s_cbranch_vccz .LBB193_944
; %bb.941:
	global_load_b64 v[3:4], v[0:1], off
	s_mov_b32 s7, 0
	s_waitcnt vmcnt(0)
	v_cvt_f64_i32_e32 v[4:5], v4
	v_cvt_f64_u32_e32 v[6:7], v3
	s_delay_alu instid0(VALU_DEP_2) | instskip(NEXT) | instid1(VALU_DEP_1)
	v_ldexp_f64 v[4:5], v[4:5], 32
	v_add_f64 v[6:7], v[4:5], v[6:7]
	s_branch .LBB193_945
.LBB193_942:
                                        ; implicit-def: $vgpr6_vgpr7
	s_branch .LBB193_951
.LBB193_943:
	s_mov_b32 s7, -1
                                        ; implicit-def: $vgpr6_vgpr7
	s_branch .LBB193_948
.LBB193_944:
	s_mov_b32 s7, -1
                                        ; implicit-def: $vgpr6_vgpr7
.LBB193_945:
	s_delay_alu instid0(SALU_CYCLE_1)
	s_and_not1_b32 vcc_lo, exec_lo, s7
	s_cbranch_vccnz .LBB193_947
; %bb.946:
	global_load_b32 v3, v[0:1], off
	s_waitcnt vmcnt(0)
	v_cvt_f64_i32_e32 v[6:7], v3
.LBB193_947:
	s_mov_b32 s7, 0
.LBB193_948:
	s_delay_alu instid0(SALU_CYCLE_1)
	s_and_not1_b32 vcc_lo, exec_lo, s7
	s_cbranch_vccnz .LBB193_950
; %bb.949:
	global_load_i16 v3, v[0:1], off
	s_waitcnt vmcnt(0)
	v_cvt_f64_i32_e32 v[6:7], v3
.LBB193_950:
	s_cbranch_execnz .LBB193_956
.LBB193_951:
	v_cmp_lt_i16_e32 vcc_lo, 0, v9
	s_mov_b32 s7, 0
	s_cbranch_vccz .LBB193_953
; %bb.952:
	global_load_i8 v3, v[0:1], off
	s_waitcnt vmcnt(0)
	v_cvt_f64_i32_e32 v[6:7], v3
	s_branch .LBB193_954
.LBB193_953:
	s_mov_b32 s7, -1
                                        ; implicit-def: $vgpr6_vgpr7
.LBB193_954:
	s_delay_alu instid0(SALU_CYCLE_1)
	s_and_not1_b32 vcc_lo, exec_lo, s7
	s_cbranch_vccnz .LBB193_956
; %bb.955:
	global_load_u8 v0, v[0:1], off
	s_waitcnt vmcnt(0)
	v_cvt_f64_u32_e32 v[6:7], v0
.LBB193_956:
	s_or_b32 s2, s2, exec_lo
.LBB193_957:
	s_or_b32 exec_lo, exec_lo, s6
	s_mov_b32 s8, 0
	s_mov_b32 s7, 0
                                        ; implicit-def: $vgpr9
                                        ; implicit-def: $vgpr4_vgpr5
                                        ; implicit-def: $vgpr0_vgpr1
	s_and_saveexec_b32 s6, s2
	s_cbranch_execz .LBB193_1034
; %bb.958:
	s_waitcnt vmcnt(0)
	s_delay_alu instid0(VALU_DEP_1) | instskip(SKIP_3) | instid1(VALU_DEP_2)
	v_rsq_f64_e32 v[0:1], v[6:7]
	s_waitcnt_depctr 0xfff
	v_mul_f64 v[3:4], v[0:1], -v[6:7]
	v_cmp_class_f64_e64 vcc_lo, v[0:1], 0x180
	v_fma_f64 v[3:4], v[3:4], v[0:1], 1.0
	s_delay_alu instid0(VALU_DEP_1) | instskip(SKIP_1) | instid1(VALU_DEP_1)
	v_mul_f64 v[5:6], v[0:1], v[3:4]
	v_fma_f64 v[3:4], 0x3fd80000, v[3:4], 0.5
	v_fma_f64 v[6:7], v[5:6], v[3:4], v[0:1]
	v_and_b32_e32 v9, 0xff, v8
	v_add_co_u32 v4, s4, s4, v2
	s_delay_alu instid0(VALU_DEP_1) | instskip(SKIP_1) | instid1(VALU_DEP_4)
	v_add_co_ci_u32_e64 v5, null, s5, 0, s4
	s_mov_b32 s4, -1
	v_cndmask_b32_e32 v0, v0, v6, vcc_lo
	v_cmp_gt_i16_e64 s2, 11, v9
	v_cndmask_b32_e32 v1, v1, v7, vcc_lo
	s_delay_alu instid0(VALU_DEP_2)
	s_and_b32 vcc_lo, exec_lo, s2
	s_mov_b32 s2, s34
	s_cbranch_vccnz .LBB193_1033
; %bb.959:
	v_cmp_lt_i16_e32 vcc_lo, 25, v9
	s_mov_b32 s2, s34
	s_cbranch_vccz .LBB193_992
; %bb.960:
	v_cmp_lt_i16_e32 vcc_lo, 28, v9
	s_mov_b32 s2, s34
	s_cbranch_vccz .LBB193_976
	;; [unrolled: 4-line block ×4, first 2 shown]
; %bb.963:
	v_cmp_eq_u16_e32 vcc_lo, 46, v9
	s_mov_b32 s2, -1
	s_cbranch_vccz .LBB193_965
; %bb.964:
	v_cvt_f32_f64_e32 v2, v[0:1]
	s_mov_b32 s2, 0
	s_delay_alu instid0(VALU_DEP_1) | instskip(SKIP_1) | instid1(VALU_DEP_2)
	v_bfe_u32 v3, v2, 16, 1
	v_cmp_o_f32_e32 vcc_lo, v2, v2
	v_add3_u32 v3, v2, v3, 0x7fff
	s_delay_alu instid0(VALU_DEP_1) | instskip(NEXT) | instid1(VALU_DEP_1)
	v_lshrrev_b32_e32 v3, 16, v3
	v_cndmask_b32_e32 v2, 0x7fc0, v3, vcc_lo
	global_store_b32 v[4:5], v2, off
.LBB193_965:
	s_mov_b32 s4, 0
.LBB193_966:
	s_delay_alu instid0(SALU_CYCLE_1)
	s_and_b32 vcc_lo, exec_lo, s4
	s_cbranch_vccz .LBB193_971
; %bb.967:
	v_cmp_eq_u16_e32 vcc_lo, 44, v9
	s_mov_b32 s2, -1
	s_cbranch_vccz .LBB193_971
; %bb.968:
	v_cvt_f32_f64_e32 v2, v[0:1]
	v_mov_b32_e32 v3, 0xff
	s_mov_b32 s4, exec_lo
	s_delay_alu instid0(VALU_DEP_2) | instskip(NEXT) | instid1(VALU_DEP_1)
	v_bfe_u32 v6, v2, 23, 8
	v_cmpx_ne_u32_e32 0xff, v6
; %bb.969:
	v_and_b32_e32 v3, 0x400000, v2
	v_and_or_b32 v6, 0x3fffff, v2, v6
	v_lshrrev_b32_e32 v2, 23, v2
	s_delay_alu instid0(VALU_DEP_3) | instskip(NEXT) | instid1(VALU_DEP_3)
	v_cmp_ne_u32_e32 vcc_lo, 0, v3
	v_cmp_ne_u32_e64 s2, 0, v6
	s_delay_alu instid0(VALU_DEP_1) | instskip(NEXT) | instid1(SALU_CYCLE_1)
	s_and_b32 s2, vcc_lo, s2
	v_cndmask_b32_e64 v3, 0, 1, s2
	s_delay_alu instid0(VALU_DEP_1)
	v_add_nc_u32_e32 v3, v2, v3
; %bb.970:
	s_or_b32 exec_lo, exec_lo, s4
	s_mov_b32 s2, 0
	global_store_b8 v[4:5], v3, off
.LBB193_971:
	s_mov_b32 s4, 0
.LBB193_972:
	s_delay_alu instid0(SALU_CYCLE_1)
	s_and_b32 vcc_lo, exec_lo, s4
	s_cbranch_vccz .LBB193_975
; %bb.973:
	v_cmp_eq_u16_e32 vcc_lo, 29, v9
	s_mov_b32 s2, -1
	s_cbranch_vccz .LBB193_975
; %bb.974:
	v_trunc_f64_e32 v[2:3], v[0:1]
	s_mov_b32 s2, 0
	s_delay_alu instid0(VALU_DEP_1) | instskip(NEXT) | instid1(VALU_DEP_1)
	v_ldexp_f64 v[6:7], v[2:3], 0xffffffe0
	v_floor_f64_e32 v[6:7], v[6:7]
	s_delay_alu instid0(VALU_DEP_1) | instskip(SKIP_1) | instid1(VALU_DEP_2)
	v_fma_f64 v[2:3], 0xc1f00000, v[6:7], v[2:3]
	v_cvt_u32_f64_e32 v7, v[6:7]
	v_cvt_u32_f64_e32 v6, v[2:3]
	global_store_b64 v[4:5], v[6:7], off
.LBB193_975:
	s_mov_b32 s4, 0
.LBB193_976:
	s_delay_alu instid0(SALU_CYCLE_1)
	s_and_b32 vcc_lo, exec_lo, s4
	s_cbranch_vccz .LBB193_991
; %bb.977:
	v_cmp_gt_i16_e32 vcc_lo, 27, v9
	s_mov_b32 s4, -1
	s_cbranch_vccnz .LBB193_983
; %bb.978:
	v_cvt_u32_f64_e32 v2, v[0:1]
	v_cmp_lt_i16_e32 vcc_lo, 27, v9
	s_cbranch_vccz .LBB193_980
; %bb.979:
	s_mov_b32 s4, 0
	global_store_b32 v[4:5], v2, off
.LBB193_980:
	s_and_not1_b32 vcc_lo, exec_lo, s4
	s_cbranch_vccnz .LBB193_982
; %bb.981:
	global_store_b16 v[4:5], v2, off
.LBB193_982:
	s_mov_b32 s4, 0
.LBB193_983:
	s_delay_alu instid0(SALU_CYCLE_1)
	s_and_not1_b32 vcc_lo, exec_lo, s4
	s_cbranch_vccnz .LBB193_991
; %bb.984:
	v_cvt_f32_f64_e32 v2, v[0:1]
	v_mov_b32_e32 v6, 0x80
	s_mov_b32 s4, exec_lo
	s_delay_alu instid0(VALU_DEP_2) | instskip(NEXT) | instid1(VALU_DEP_1)
	v_and_b32_e32 v3, 0x7fffffff, v2
	v_cmpx_gt_u32_e32 0x43800000, v3
	s_cbranch_execz .LBB193_990
; %bb.985:
	v_cmp_lt_u32_e32 vcc_lo, 0x3bffffff, v3
	s_mov_b32 s5, 0
                                        ; implicit-def: $vgpr3
	s_and_saveexec_b32 s7, vcc_lo
	s_delay_alu instid0(SALU_CYCLE_1)
	s_xor_b32 s7, exec_lo, s7
	s_cbranch_execz .LBB193_1279
; %bb.986:
	v_bfe_u32 v3, v2, 20, 1
	s_mov_b32 s5, exec_lo
	s_delay_alu instid0(VALU_DEP_1) | instskip(NEXT) | instid1(VALU_DEP_1)
	v_add3_u32 v3, v2, v3, 0x487ffff
	v_lshrrev_b32_e32 v3, 20, v3
	s_or_saveexec_b32 s7, s7
                                        ; implicit-def: $sgpr8
	s_delay_alu instid0(SALU_CYCLE_1)
	s_xor_b32 exec_lo, exec_lo, s7
	s_cbranch_execnz .LBB193_1280
.LBB193_987:
	s_or_b32 exec_lo, exec_lo, s7
	v_mov_b32_e32 v6, s8
	s_and_saveexec_b32 s7, s5
.LBB193_988:
	v_lshrrev_b32_e32 v2, 24, v2
	s_delay_alu instid0(VALU_DEP_1)
	v_and_or_b32 v6, 0x80, v2, v3
.LBB193_989:
	s_or_b32 exec_lo, exec_lo, s7
.LBB193_990:
	s_delay_alu instid0(SALU_CYCLE_1)
	s_or_b32 exec_lo, exec_lo, s4
	global_store_b8 v[4:5], v6, off
.LBB193_991:
	s_mov_b32 s4, 0
.LBB193_992:
	s_delay_alu instid0(SALU_CYCLE_1)
	s_and_b32 vcc_lo, exec_lo, s4
	s_mov_b32 s4, 0
	s_cbranch_vccz .LBB193_1032
; %bb.993:
	v_cmp_lt_i16_e32 vcc_lo, 22, v9
	s_mov_b32 s5, -1
	s_cbranch_vccz .LBB193_1025
; %bb.994:
	v_cmp_gt_i16_e32 vcc_lo, 24, v9
	s_cbranch_vccnz .LBB193_1014
; %bb.995:
	v_cmp_lt_i16_e32 vcc_lo, 24, v9
	s_cbranch_vccz .LBB193_1003
; %bb.996:
	v_cvt_f32_f64_e32 v2, v[0:1]
	v_mov_b32_e32 v6, 0x80
	s_mov_b32 s5, exec_lo
	s_delay_alu instid0(VALU_DEP_2) | instskip(NEXT) | instid1(VALU_DEP_1)
	v_and_b32_e32 v3, 0x7fffffff, v2
	v_cmpx_gt_u32_e32 0x47800000, v3
	s_cbranch_execz .LBB193_1002
; %bb.997:
	v_cmp_lt_u32_e32 vcc_lo, 0x37ffffff, v3
	s_mov_b32 s7, 0
                                        ; implicit-def: $vgpr3
	s_and_saveexec_b32 s8, vcc_lo
	s_delay_alu instid0(SALU_CYCLE_1)
	s_xor_b32 s8, exec_lo, s8
	s_cbranch_execz .LBB193_1323
; %bb.998:
	v_bfe_u32 v3, v2, 21, 1
	s_mov_b32 s7, exec_lo
	s_delay_alu instid0(VALU_DEP_1) | instskip(NEXT) | instid1(VALU_DEP_1)
	v_add3_u32 v3, v2, v3, 0x88fffff
	v_lshrrev_b32_e32 v3, 21, v3
	s_or_saveexec_b32 s8, s8
                                        ; implicit-def: $sgpr9
	s_delay_alu instid0(SALU_CYCLE_1)
	s_xor_b32 exec_lo, exec_lo, s8
	s_cbranch_execnz .LBB193_1324
.LBB193_999:
	s_or_b32 exec_lo, exec_lo, s8
	v_mov_b32_e32 v6, s9
	s_and_saveexec_b32 s8, s7
.LBB193_1000:
	v_lshrrev_b32_e32 v2, 24, v2
	s_delay_alu instid0(VALU_DEP_1)
	v_and_or_b32 v6, 0x80, v2, v3
.LBB193_1001:
	s_or_b32 exec_lo, exec_lo, s8
.LBB193_1002:
	s_delay_alu instid0(SALU_CYCLE_1)
	s_or_b32 exec_lo, exec_lo, s5
	s_mov_b32 s5, 0
	global_store_b8 v[4:5], v6, off
.LBB193_1003:
	s_and_b32 vcc_lo, exec_lo, s5
	s_cbranch_vccz .LBB193_1013
; %bb.1004:
	v_cvt_f32_f64_e32 v2, v[0:1]
	s_mov_b32 s5, exec_lo
                                        ; implicit-def: $vgpr3
	s_delay_alu instid0(VALU_DEP_1) | instskip(NEXT) | instid1(VALU_DEP_1)
	v_and_b32_e32 v6, 0x7fffffff, v2
	v_cmpx_gt_u32_e32 0x43f00000, v6
	s_xor_b32 s5, exec_lo, s5
	s_cbranch_execz .LBB193_1010
; %bb.1005:
	s_mov_b32 s7, exec_lo
                                        ; implicit-def: $vgpr3
	v_cmpx_lt_u32_e32 0x3c7fffff, v6
	s_xor_b32 s7, exec_lo, s7
; %bb.1006:
	v_bfe_u32 v3, v2, 20, 1
	s_delay_alu instid0(VALU_DEP_1) | instskip(NEXT) | instid1(VALU_DEP_1)
	v_add3_u32 v3, v2, v3, 0x407ffff
	v_and_b32_e32 v6, 0xff00000, v3
	v_lshrrev_b32_e32 v3, 20, v3
	s_delay_alu instid0(VALU_DEP_2) | instskip(NEXT) | instid1(VALU_DEP_2)
	v_cmp_ne_u32_e32 vcc_lo, 0x7f00000, v6
	v_cndmask_b32_e32 v3, 0x7e, v3, vcc_lo
; %bb.1007:
	s_and_not1_saveexec_b32 s7, s7
; %bb.1008:
	v_add_f32_e64 v3, 0x46800000, |v2|
; %bb.1009:
	s_or_b32 exec_lo, exec_lo, s7
                                        ; implicit-def: $vgpr6
.LBB193_1010:
	s_and_not1_saveexec_b32 s5, s5
; %bb.1011:
	v_mov_b32_e32 v3, 0x7f
	v_cmp_lt_u32_e32 vcc_lo, 0x7f800000, v6
	s_delay_alu instid0(VALU_DEP_2)
	v_cndmask_b32_e32 v3, 0x7e, v3, vcc_lo
; %bb.1012:
	s_or_b32 exec_lo, exec_lo, s5
	v_lshrrev_b32_e32 v2, 24, v2
	s_delay_alu instid0(VALU_DEP_1)
	v_and_or_b32 v2, 0x80, v2, v3
	global_store_b8 v[4:5], v2, off
.LBB193_1013:
	s_mov_b32 s5, 0
.LBB193_1014:
	s_delay_alu instid0(SALU_CYCLE_1)
	s_and_not1_b32 vcc_lo, exec_lo, s5
	s_cbranch_vccnz .LBB193_1024
; %bb.1015:
	v_cvt_f32_f64_e32 v2, v[0:1]
	s_mov_b32 s5, exec_lo
                                        ; implicit-def: $vgpr3
	s_delay_alu instid0(VALU_DEP_1) | instskip(NEXT) | instid1(VALU_DEP_1)
	v_and_b32_e32 v6, 0x7fffffff, v2
	v_cmpx_gt_u32_e32 0x47800000, v6
	s_xor_b32 s5, exec_lo, s5
	s_cbranch_execz .LBB193_1021
; %bb.1016:
	s_mov_b32 s7, exec_lo
                                        ; implicit-def: $vgpr3
	v_cmpx_lt_u32_e32 0x387fffff, v6
	s_xor_b32 s7, exec_lo, s7
; %bb.1017:
	v_bfe_u32 v3, v2, 21, 1
	s_delay_alu instid0(VALU_DEP_1) | instskip(NEXT) | instid1(VALU_DEP_1)
	v_add3_u32 v3, v2, v3, 0x80fffff
	v_lshrrev_b32_e32 v3, 21, v3
; %bb.1018:
	s_and_not1_saveexec_b32 s7, s7
; %bb.1019:
	v_add_f32_e64 v3, 0x43000000, |v2|
; %bb.1020:
	s_or_b32 exec_lo, exec_lo, s7
                                        ; implicit-def: $vgpr6
.LBB193_1021:
	s_and_not1_saveexec_b32 s5, s5
; %bb.1022:
	v_mov_b32_e32 v3, 0x7f
	v_cmp_lt_u32_e32 vcc_lo, 0x7f800000, v6
	s_delay_alu instid0(VALU_DEP_2)
	v_cndmask_b32_e32 v3, 0x7c, v3, vcc_lo
; %bb.1023:
	s_or_b32 exec_lo, exec_lo, s5
	v_lshrrev_b32_e32 v2, 24, v2
	s_delay_alu instid0(VALU_DEP_1)
	v_and_or_b32 v2, 0x80, v2, v3
	global_store_b8 v[4:5], v2, off
.LBB193_1024:
	s_mov_b32 s5, 0
.LBB193_1025:
	s_delay_alu instid0(SALU_CYCLE_1)
	s_and_not1_b32 vcc_lo, exec_lo, s5
	s_mov_b32 s8, 0
	s_cbranch_vccnz .LBB193_1033
; %bb.1026:
	v_cmp_lt_i16_e32 vcc_lo, 14, v9
	s_mov_b32 s5, -1
	s_cbranch_vccz .LBB193_1030
; %bb.1027:
	v_cmp_eq_u16_e32 vcc_lo, 15, v9
	s_mov_b32 s2, -1
	s_cbranch_vccz .LBB193_1029
; %bb.1028:
	v_cvt_f32_f64_e32 v2, v[0:1]
	s_mov_b32 s2, 0
	s_delay_alu instid0(VALU_DEP_1) | instskip(SKIP_1) | instid1(VALU_DEP_2)
	v_bfe_u32 v3, v2, 16, 1
	v_cmp_o_f32_e32 vcc_lo, v2, v2
	v_add3_u32 v3, v2, v3, 0x7fff
	s_delay_alu instid0(VALU_DEP_1) | instskip(NEXT) | instid1(VALU_DEP_1)
	v_lshrrev_b32_e32 v3, 16, v3
	v_cndmask_b32_e32 v2, 0x7fc0, v3, vcc_lo
	global_store_b16 v[4:5], v2, off
.LBB193_1029:
	s_mov_b32 s5, 0
.LBB193_1030:
	s_delay_alu instid0(SALU_CYCLE_1)
	s_and_b32 vcc_lo, exec_lo, s5
	s_cbranch_vccz .LBB193_1033
; %bb.1031:
	v_cmp_ne_u16_e32 vcc_lo, 11, v9
	s_and_not1_b32 s2, s2, exec_lo
	s_mov_b32 s8, -1
	s_and_b32 s5, vcc_lo, exec_lo
	s_delay_alu instid0(SALU_CYCLE_1)
	s_or_b32 s2, s2, s5
	s_branch .LBB193_1033
.LBB193_1032:
	s_mov_b32 s8, 0
.LBB193_1033:
	s_and_b32 s7, s4, exec_lo
	s_and_not1_b32 s4, s34, exec_lo
	s_and_b32 s2, s2, exec_lo
	s_and_b32 s8, s8, exec_lo
	s_or_b32 s34, s4, s2
.LBB193_1034:
	s_or_b32 exec_lo, exec_lo, s6
	s_and_saveexec_b32 s2, s34
	s_cbranch_execnz .LBB193_1148
; %bb.1035:
	s_or_b32 exec_lo, exec_lo, s2
	s_and_saveexec_b32 s2, s8
	s_delay_alu instid0(SALU_CYCLE_1)
	s_xor_b32 s2, exec_lo, s2
	s_cbranch_execz .LBB193_1037
.LBB193_1036:
	v_cmp_neq_f64_e32 vcc_lo, 0, v[0:1]
	v_cndmask_b32_e64 v2, 0, 1, vcc_lo
	s_waitcnt vmcnt(0)
	global_store_b8 v[4:5], v2, off
.LBB193_1037:
	s_or_b32 exec_lo, exec_lo, s2
	s_and_saveexec_b32 s2, s7
	s_delay_alu instid0(SALU_CYCLE_1)
	s_xor_b32 s2, exec_lo, s2
	s_cbranch_execz .LBB193_1075
; %bb.1038:
	v_cmp_gt_i16_e32 vcc_lo, 5, v9
	s_mov_b32 s4, -1
	s_cbranch_vccnz .LBB193_1059
; %bb.1039:
	v_cmp_gt_i16_e32 vcc_lo, 8, v9
	s_cbranch_vccnz .LBB193_1049
; %bb.1040:
	v_cmp_gt_i16_e32 vcc_lo, 9, v9
	s_cbranch_vccnz .LBB193_1046
; %bb.1041:
	v_cmp_lt_i16_e32 vcc_lo, 9, v9
	s_cbranch_vccz .LBB193_1043
; %bb.1042:
	v_mov_b32_e32 v2, 0
	s_mov_b32 s4, 0
	s_waitcnt vmcnt(0)
	s_delay_alu instid0(VALU_DEP_1)
	v_mov_b32_e32 v3, v2
	global_store_b128 v[4:5], v[0:3], off
.LBB193_1043:
	s_and_not1_b32 vcc_lo, exec_lo, s4
	s_cbranch_vccnz .LBB193_1045
; %bb.1044:
	v_cvt_f32_f64_e32 v2, v[0:1]
	s_waitcnt vmcnt(0)
	v_mov_b32_e32 v3, 0
	global_store_b64 v[4:5], v[2:3], off
.LBB193_1045:
	s_mov_b32 s4, 0
.LBB193_1046:
	s_delay_alu instid0(SALU_CYCLE_1)
	s_and_not1_b32 vcc_lo, exec_lo, s4
	s_cbranch_vccnz .LBB193_1048
; %bb.1047:
	v_cvt_f32_f64_e32 v2, v[0:1]
	s_delay_alu instid0(VALU_DEP_1) | instskip(NEXT) | instid1(VALU_DEP_1)
	v_cvt_f16_f32_e32 v2, v2
	v_and_b32_e32 v2, 0xffff, v2
	s_waitcnt vmcnt(0)
	global_store_b32 v[4:5], v2, off
.LBB193_1048:
	s_mov_b32 s4, 0
.LBB193_1049:
	s_delay_alu instid0(SALU_CYCLE_1)
	s_and_not1_b32 vcc_lo, exec_lo, s4
	s_cbranch_vccnz .LBB193_1058
; %bb.1050:
	v_cmp_gt_i16_e32 vcc_lo, 6, v9
	s_mov_b32 s4, -1
	s_cbranch_vccnz .LBB193_1056
; %bb.1051:
	v_cmp_lt_i16_e32 vcc_lo, 6, v9
	s_cbranch_vccz .LBB193_1053
; %bb.1052:
	s_mov_b32 s4, 0
	s_waitcnt vmcnt(0)
	global_store_b64 v[4:5], v[0:1], off
.LBB193_1053:
	s_and_not1_b32 vcc_lo, exec_lo, s4
	s_cbranch_vccnz .LBB193_1055
; %bb.1054:
	v_cvt_f32_f64_e32 v2, v[0:1]
	s_waitcnt vmcnt(0)
	global_store_b32 v[4:5], v2, off
.LBB193_1055:
	s_mov_b32 s4, 0
.LBB193_1056:
	s_delay_alu instid0(SALU_CYCLE_1)
	s_and_not1_b32 vcc_lo, exec_lo, s4
	s_cbranch_vccnz .LBB193_1058
; %bb.1057:
	v_cvt_f32_f64_e32 v2, v[0:1]
	s_delay_alu instid0(VALU_DEP_1)
	v_cvt_f16_f32_e32 v2, v2
	s_waitcnt vmcnt(0)
	global_store_b16 v[4:5], v2, off
.LBB193_1058:
	s_mov_b32 s4, 0
.LBB193_1059:
	s_delay_alu instid0(SALU_CYCLE_1)
	s_and_not1_b32 vcc_lo, exec_lo, s4
	s_cbranch_vccnz .LBB193_1075
; %bb.1060:
	v_cmp_gt_i16_e32 vcc_lo, 2, v9
	s_mov_b32 s4, -1
	s_cbranch_vccnz .LBB193_1070
; %bb.1061:
	v_cmp_gt_i16_e32 vcc_lo, 3, v9
	s_cbranch_vccnz .LBB193_1067
; %bb.1062:
	v_cmp_lt_i16_e32 vcc_lo, 3, v9
	s_cbranch_vccz .LBB193_1064
; %bb.1063:
	s_waitcnt vmcnt(0)
	v_trunc_f64_e32 v[2:3], v[0:1]
	s_mov_b32 s4, 0
	s_delay_alu instid0(VALU_DEP_1) | instskip(NEXT) | instid1(VALU_DEP_1)
	v_ldexp_f64 v[6:7], v[2:3], 0xffffffe0
	v_floor_f64_e32 v[6:7], v[6:7]
	s_delay_alu instid0(VALU_DEP_1) | instskip(SKIP_1) | instid1(VALU_DEP_2)
	v_fma_f64 v[2:3], 0xc1f00000, v[6:7], v[2:3]
	v_cvt_i32_f64_e32 v7, v[6:7]
	v_cvt_u32_f64_e32 v6, v[2:3]
	global_store_b64 v[4:5], v[6:7], off
.LBB193_1064:
	s_and_not1_b32 vcc_lo, exec_lo, s4
	s_cbranch_vccnz .LBB193_1066
; %bb.1065:
	v_cvt_i32_f64_e32 v2, v[0:1]
	s_waitcnt vmcnt(0)
	global_store_b32 v[4:5], v2, off
.LBB193_1066:
	s_mov_b32 s4, 0
.LBB193_1067:
	s_delay_alu instid0(SALU_CYCLE_1)
	s_and_not1_b32 vcc_lo, exec_lo, s4
	s_cbranch_vccnz .LBB193_1069
; %bb.1068:
	v_cvt_i32_f64_e32 v2, v[0:1]
	s_waitcnt vmcnt(0)
	global_store_b16 v[4:5], v2, off
.LBB193_1069:
	s_mov_b32 s4, 0
.LBB193_1070:
	s_delay_alu instid0(SALU_CYCLE_1)
	s_and_not1_b32 vcc_lo, exec_lo, s4
	s_cbranch_vccnz .LBB193_1075
; %bb.1071:
	v_cmp_lt_i16_e32 vcc_lo, 0, v9
	s_mov_b32 s4, -1
	s_cbranch_vccz .LBB193_1073
; %bb.1072:
	v_cvt_i32_f64_e32 v2, v[0:1]
	s_mov_b32 s4, 0
	s_waitcnt vmcnt(0)
	global_store_b8 v[4:5], v2, off
.LBB193_1073:
	s_and_not1_b32 vcc_lo, exec_lo, s4
	s_cbranch_vccnz .LBB193_1075
; %bb.1074:
	v_trunc_f64_e32 v[0:1], v[0:1]
	s_waitcnt vmcnt(0)
	s_delay_alu instid0(VALU_DEP_1) | instskip(NEXT) | instid1(VALU_DEP_1)
	v_ldexp_f64 v[2:3], v[0:1], 0xffffffe0
	v_floor_f64_e32 v[2:3], v[2:3]
	s_delay_alu instid0(VALU_DEP_1) | instskip(NEXT) | instid1(VALU_DEP_1)
	v_fma_f64 v[0:1], 0xc1f00000, v[2:3], v[0:1]
	v_cvt_u32_f64_e32 v0, v[0:1]
	global_store_b8 v[4:5], v0, off
.LBB193_1075:
	s_or_b32 exec_lo, exec_lo, s2
	s_delay_alu instid0(SALU_CYCLE_1)
	s_and_b32 s8, s3, exec_lo
                                        ; implicit-def: $vgpr2
                                        ; implicit-def: $vgpr10
.LBB193_1076:
	s_or_saveexec_b32 s9, s28
	s_mov_b32 s3, 0
                                        ; implicit-def: $vgpr4_vgpr5
                                        ; implicit-def: $vgpr15
                                        ; implicit-def: $vgpr0_vgpr1
	s_xor_b32 exec_lo, exec_lo, s9
	s_cbranch_execz .LBB193_2092
; %bb.1077:
	s_waitcnt vmcnt(0)
	v_cndmask_b32_e64 v3, 0, 1, s27
	s_and_not1_b32 vcc_lo, exec_lo, s27
	s_cbranch_vccnz .LBB193_1083
; %bb.1078:
	v_dual_mov_b32 v0, 0 :: v_dual_mov_b32 v1, 0
	s_cmp_lg_u32 s24, 0
	s_mov_b32 s6, 0
	s_cbranch_scc0 .LBB193_1087
; %bb.1079:
	s_min_u32 s7, s25, 15
	v_mov_b32_e32 v0, 0
	s_add_i32 s7, s7, 1
	s_cmp_eq_u32 s25, 2
	s_mov_b32 s10, 0
	s_cbranch_scc1 .LBB193_1084
; %bb.1080:
	v_dual_mov_b32 v1, 0 :: v_dual_mov_b32 v0, 0
	v_mov_b32_e32 v4, v10
	s_add_u32 s2, s16, 0xc4
	s_addc_u32 s3, s17, 0
	s_and_b32 s10, s7, 28
	s_mov_b32 s11, 0
	s_mov_b64 s[4:5], s[16:17]
.LBB193_1081:                           ; =>This Inner Loop Header: Depth=1
	s_clause 0x1
	s_load_b256 s[36:43], s[4:5], 0x4
	s_load_b128 s[12:15], s[4:5], 0x24
	s_load_b256 s[44:51], s[2:3], 0x0
	s_add_u32 s4, s4, 48
	s_addc_u32 s5, s5, 0
	s_add_i32 s11, s11, 4
	s_add_u32 s2, s2, 32
	s_addc_u32 s3, s3, 0
	s_cmp_lg_u32 s10, s11
	s_waitcnt lgkmcnt(0)
	v_mul_hi_u32 v5, s37, v4
	s_delay_alu instid0(VALU_DEP_1) | instskip(NEXT) | instid1(VALU_DEP_1)
	v_add_nc_u32_e32 v5, v4, v5
	v_lshrrev_b32_e32 v5, s38, v5
	s_delay_alu instid0(VALU_DEP_1) | instskip(SKIP_1) | instid1(VALU_DEP_2)
	v_mul_hi_u32 v6, s40, v5
	v_mul_lo_u32 v8, v5, s36
	v_add_nc_u32_e32 v6, v5, v6
	s_delay_alu instid0(VALU_DEP_2) | instskip(NEXT) | instid1(VALU_DEP_2)
	v_sub_nc_u32_e32 v4, v4, v8
	v_lshrrev_b32_e32 v6, s41, v6
	s_delay_alu instid0(VALU_DEP_2) | instskip(SKIP_1) | instid1(VALU_DEP_3)
	v_mul_lo_u32 v8, v4, s44
	v_mul_lo_u32 v11, v4, s45
	v_mul_hi_u32 v7, s43, v6
	s_delay_alu instid0(VALU_DEP_1) | instskip(NEXT) | instid1(VALU_DEP_1)
	v_add_nc_u32_e32 v7, v6, v7
	v_lshrrev_b32_e32 v7, s12, v7
	s_delay_alu instid0(VALU_DEP_1) | instskip(SKIP_1) | instid1(VALU_DEP_2)
	v_mul_hi_u32 v9, s14, v7
	v_mul_lo_u32 v12, v7, s42
	v_add_nc_u32_e32 v4, v7, v9
	v_mul_lo_u32 v9, v6, s39
	s_delay_alu instid0(VALU_DEP_3) | instskip(NEXT) | instid1(VALU_DEP_3)
	v_sub_nc_u32_e32 v6, v6, v12
	v_lshrrev_b32_e32 v4, s15, v4
	s_delay_alu instid0(VALU_DEP_2) | instskip(SKIP_2) | instid1(VALU_DEP_4)
	v_mul_lo_u32 v12, v6, s48
	v_mul_lo_u32 v6, v6, s49
	v_sub_nc_u32_e32 v5, v5, v9
	v_mul_lo_u32 v13, v4, s13
	s_delay_alu instid0(VALU_DEP_2) | instskip(SKIP_1) | instid1(VALU_DEP_3)
	v_mul_lo_u32 v9, v5, s46
	v_mul_lo_u32 v5, v5, s47
	v_sub_nc_u32_e32 v7, v7, v13
	s_delay_alu instid0(VALU_DEP_3) | instskip(NEXT) | instid1(VALU_DEP_2)
	v_add3_u32 v0, v8, v0, v9
	v_mul_lo_u32 v13, v7, s50
	v_mul_lo_u32 v7, v7, s51
	v_add3_u32 v1, v11, v1, v5
	s_delay_alu instid0(VALU_DEP_3) | instskip(NEXT) | instid1(VALU_DEP_2)
	v_add3_u32 v0, v12, v0, v13
	v_add3_u32 v1, v6, v1, v7
	s_cbranch_scc1 .LBB193_1081
; %bb.1082:
	s_and_b32 s7, s7, 3
	s_delay_alu instid0(SALU_CYCLE_1)
	s_cmp_eq_u32 s7, 0
	s_cbranch_scc0 .LBB193_1085
	s_branch .LBB193_1087
.LBB193_1083:
	s_mov_b32 s6, -1
                                        ; implicit-def: $vgpr0
                                        ; implicit-def: $vgpr1
	s_branch .LBB193_1087
.LBB193_1084:
	v_dual_mov_b32 v4, v10 :: v_dual_mov_b32 v1, 0
	s_and_b32 s7, s7, 3
	s_delay_alu instid0(SALU_CYCLE_1)
	s_cmp_eq_u32 s7, 0
	s_cbranch_scc1 .LBB193_1087
.LBB193_1085:
	s_lshl_b32 s2, s10, 3
	s_mul_i32 s4, s10, 12
	s_add_u32 s2, s2, s16
	s_addc_u32 s3, 0, s17
	s_add_u32 s2, s2, 0xc4
	s_addc_u32 s3, s3, 0
	;; [unrolled: 2-line block ×3, first 2 shown]
	.p2align	6
.LBB193_1086:                           ; =>This Inner Loop Header: Depth=1
	s_clause 0x1
	s_load_b64 s[10:11], s[4:5], 0x4
	s_load_b32 s14, s[4:5], 0xc
	s_load_b64 s[12:13], s[2:3], 0x0
	s_add_u32 s4, s4, 12
	s_addc_u32 s5, s5, 0
	s_add_u32 s2, s2, 8
	s_addc_u32 s3, s3, 0
	s_add_i32 s7, s7, -1
	s_delay_alu instid0(SALU_CYCLE_1) | instskip(SKIP_2) | instid1(VALU_DEP_1)
	s_cmp_lg_u32 s7, 0
	s_waitcnt lgkmcnt(0)
	v_mul_hi_u32 v5, s11, v4
	v_add_nc_u32_e32 v5, v4, v5
	s_delay_alu instid0(VALU_DEP_1) | instskip(NEXT) | instid1(VALU_DEP_1)
	v_lshrrev_b32_e32 v8, s14, v5
	v_mul_lo_u32 v5, v8, s10
	s_delay_alu instid0(VALU_DEP_1) | instskip(NEXT) | instid1(VALU_DEP_1)
	v_sub_nc_u32_e32 v4, v4, v5
	v_mad_u64_u32 v[5:6], null, v4, s12, v[0:1]
	v_mad_u64_u32 v[6:7], null, v4, s13, v[1:2]
	v_mov_b32_e32 v4, v8
	s_delay_alu instid0(VALU_DEP_2)
	v_dual_mov_b32 v0, v5 :: v_dual_mov_b32 v1, v6
	s_cbranch_scc1 .LBB193_1086
.LBB193_1087:
	s_and_not1_b32 vcc_lo, exec_lo, s6
	s_cbranch_vccnz .LBB193_1090
; %bb.1088:
	s_clause 0x1
	s_load_b128 s[4:7], s[16:17], 0x4
	s_load_b64 s[2:3], s[16:17], 0xc4
	s_cmp_lt_u32 s24, 2
	s_waitcnt lgkmcnt(0)
	v_mul_hi_u32 v0, s5, v10
	s_delay_alu instid0(VALU_DEP_1) | instskip(NEXT) | instid1(VALU_DEP_1)
	v_add_nc_u32_e32 v0, v10, v0
	v_lshrrev_b32_e32 v4, s6, v0
	s_delay_alu instid0(VALU_DEP_1) | instskip(NEXT) | instid1(VALU_DEP_1)
	v_mul_lo_u32 v0, v4, s4
	v_sub_nc_u32_e32 v1, v10, v0
	s_delay_alu instid0(VALU_DEP_1)
	v_mul_lo_u32 v0, v1, s2
	v_mul_lo_u32 v1, v1, s3
	s_cbranch_scc1 .LBB193_1090
; %bb.1089:
	s_clause 0x1
	s_load_b128 s[4:7], s[16:17], 0x10
	s_load_b64 s[2:3], s[16:17], 0xcc
	s_waitcnt lgkmcnt(0)
	v_mul_hi_u32 v5, s5, v4
	s_delay_alu instid0(VALU_DEP_1) | instskip(NEXT) | instid1(VALU_DEP_1)
	v_add_nc_u32_e32 v5, v4, v5
	v_lshrrev_b32_e32 v5, s6, v5
	s_delay_alu instid0(VALU_DEP_1) | instskip(NEXT) | instid1(VALU_DEP_1)
	v_mul_lo_u32 v5, v5, s4
	v_sub_nc_u32_e32 v7, v4, v5
	s_delay_alu instid0(VALU_DEP_1) | instskip(SKIP_1) | instid1(VALU_DEP_1)
	v_mad_u64_u32 v[4:5], null, v7, s2, v[0:1]
	v_mad_u64_u32 v[5:6], null, v7, s3, v[1:2]
	v_dual_mov_b32 v0, v4 :: v_dual_mov_b32 v1, v5
.LBB193_1090:
	v_cmp_ne_u32_e32 vcc_lo, 1, v3
	v_add_nc_u32_e32 v4, 0x80, v10
	s_cbranch_vccnz .LBB193_1096
; %bb.1091:
	v_dual_mov_b32 v6, 0 :: v_dual_mov_b32 v7, 0
	s_cmp_lg_u32 s24, 0
	s_mov_b32 s6, 0
	s_cbranch_scc0 .LBB193_1100
; %bb.1092:
	s_min_u32 s7, s25, 15
	v_mov_b32_e32 v6, 0
	s_add_i32 s7, s7, 1
	s_cmp_eq_u32 s25, 2
	s_mov_b32 s10, 0
	s_cbranch_scc1 .LBB193_1097
; %bb.1093:
	v_dual_mov_b32 v7, 0 :: v_dual_mov_b32 v6, 0
	v_mov_b32_e32 v5, v4
	s_add_u32 s2, s16, 0xc4
	s_addc_u32 s3, s17, 0
	s_and_b32 s10, s7, 28
	s_mov_b32 s11, 0
	s_mov_b64 s[4:5], s[16:17]
.LBB193_1094:                           ; =>This Inner Loop Header: Depth=1
	s_clause 0x1
	s_load_b256 s[36:43], s[4:5], 0x4
	s_load_b128 s[12:15], s[4:5], 0x24
	s_load_b256 s[44:51], s[2:3], 0x0
	s_add_u32 s4, s4, 48
	s_addc_u32 s5, s5, 0
	s_add_i32 s11, s11, 4
	s_add_u32 s2, s2, 32
	s_addc_u32 s3, s3, 0
	s_cmp_lg_u32 s10, s11
	s_waitcnt lgkmcnt(0)
	v_mul_hi_u32 v8, s37, v5
	s_delay_alu instid0(VALU_DEP_1) | instskip(NEXT) | instid1(VALU_DEP_1)
	v_add_nc_u32_e32 v8, v5, v8
	v_lshrrev_b32_e32 v8, s38, v8
	s_delay_alu instid0(VALU_DEP_1) | instskip(SKIP_1) | instid1(VALU_DEP_2)
	v_mul_hi_u32 v9, s40, v8
	v_mul_lo_u32 v12, v8, s36
	v_add_nc_u32_e32 v9, v8, v9
	s_delay_alu instid0(VALU_DEP_2) | instskip(NEXT) | instid1(VALU_DEP_2)
	v_sub_nc_u32_e32 v5, v5, v12
	v_lshrrev_b32_e32 v9, s41, v9
	s_delay_alu instid0(VALU_DEP_2) | instskip(SKIP_1) | instid1(VALU_DEP_3)
	v_mul_lo_u32 v12, v5, s44
	v_mul_lo_u32 v14, v5, s45
	v_mul_hi_u32 v11, s43, v9
	s_delay_alu instid0(VALU_DEP_1) | instskip(NEXT) | instid1(VALU_DEP_1)
	v_add_nc_u32_e32 v11, v9, v11
	v_lshrrev_b32_e32 v11, s12, v11
	s_delay_alu instid0(VALU_DEP_1) | instskip(SKIP_1) | instid1(VALU_DEP_2)
	v_mul_hi_u32 v13, s14, v11
	v_mul_lo_u32 v15, v11, s42
	v_add_nc_u32_e32 v5, v11, v13
	v_mul_lo_u32 v13, v9, s39
	s_delay_alu instid0(VALU_DEP_3) | instskip(NEXT) | instid1(VALU_DEP_3)
	v_sub_nc_u32_e32 v9, v9, v15
	v_lshrrev_b32_e32 v5, s15, v5
	s_delay_alu instid0(VALU_DEP_2) | instskip(SKIP_2) | instid1(VALU_DEP_4)
	v_mul_lo_u32 v15, v9, s48
	v_mul_lo_u32 v9, v9, s49
	v_sub_nc_u32_e32 v8, v8, v13
	v_mul_lo_u32 v16, v5, s13
	s_delay_alu instid0(VALU_DEP_2) | instskip(SKIP_1) | instid1(VALU_DEP_3)
	v_mul_lo_u32 v13, v8, s46
	v_mul_lo_u32 v8, v8, s47
	v_sub_nc_u32_e32 v11, v11, v16
	s_delay_alu instid0(VALU_DEP_3) | instskip(NEXT) | instid1(VALU_DEP_2)
	v_add3_u32 v6, v12, v6, v13
	v_mul_lo_u32 v16, v11, s50
	v_mul_lo_u32 v11, v11, s51
	v_add3_u32 v7, v14, v7, v8
	s_delay_alu instid0(VALU_DEP_3) | instskip(NEXT) | instid1(VALU_DEP_2)
	v_add3_u32 v6, v15, v6, v16
	v_add3_u32 v7, v9, v7, v11
	s_cbranch_scc1 .LBB193_1094
; %bb.1095:
	s_and_b32 s7, s7, 3
	s_delay_alu instid0(SALU_CYCLE_1)
	s_cmp_eq_u32 s7, 0
	s_cbranch_scc0 .LBB193_1098
	s_branch .LBB193_1100
.LBB193_1096:
	s_mov_b32 s6, -1
                                        ; implicit-def: $vgpr6
                                        ; implicit-def: $vgpr7
	s_branch .LBB193_1100
.LBB193_1097:
	v_mov_b32_e32 v5, v4
	v_mov_b32_e32 v7, 0
	s_and_b32 s7, s7, 3
	s_delay_alu instid0(SALU_CYCLE_1)
	s_cmp_eq_u32 s7, 0
	s_cbranch_scc1 .LBB193_1100
.LBB193_1098:
	s_lshl_b32 s2, s10, 3
	s_mul_i32 s4, s10, 12
	s_add_u32 s2, s2, s16
	s_addc_u32 s3, 0, s17
	s_add_u32 s2, s2, 0xc4
	s_addc_u32 s3, s3, 0
	;; [unrolled: 2-line block ×3, first 2 shown]
	.p2align	6
.LBB193_1099:                           ; =>This Inner Loop Header: Depth=1
	s_clause 0x1
	s_load_b64 s[10:11], s[4:5], 0x4
	s_load_b32 s14, s[4:5], 0xc
	s_load_b64 s[12:13], s[2:3], 0x0
	s_add_u32 s4, s4, 12
	s_addc_u32 s5, s5, 0
	s_add_u32 s2, s2, 8
	s_addc_u32 s3, s3, 0
	s_add_i32 s7, s7, -1
	s_delay_alu instid0(SALU_CYCLE_1) | instskip(SKIP_2) | instid1(VALU_DEP_1)
	s_cmp_lg_u32 s7, 0
	s_waitcnt lgkmcnt(0)
	v_mul_hi_u32 v8, s11, v5
	v_add_nc_u32_e32 v8, v5, v8
	s_delay_alu instid0(VALU_DEP_1) | instskip(NEXT) | instid1(VALU_DEP_1)
	v_lshrrev_b32_e32 v13, s14, v8
	v_mul_lo_u32 v8, v13, s10
	s_delay_alu instid0(VALU_DEP_1) | instskip(NEXT) | instid1(VALU_DEP_1)
	v_sub_nc_u32_e32 v5, v5, v8
	v_mad_u64_u32 v[8:9], null, v5, s12, v[6:7]
	s_delay_alu instid0(VALU_DEP_1) | instskip(SKIP_1) | instid1(VALU_DEP_2)
	v_mad_u64_u32 v[11:12], null, v5, s13, v[7:8]
	v_dual_mov_b32 v5, v13 :: v_dual_mov_b32 v6, v8
	v_mov_b32_e32 v7, v11
	s_cbranch_scc1 .LBB193_1099
.LBB193_1100:
	s_and_not1_b32 vcc_lo, exec_lo, s6
	s_cbranch_vccnz .LBB193_1103
; %bb.1101:
	s_clause 0x1
	s_load_b128 s[4:7], s[16:17], 0x4
	s_load_b64 s[2:3], s[16:17], 0xc4
	s_cmp_lt_u32 s24, 2
	s_waitcnt lgkmcnt(0)
	v_mul_hi_u32 v5, s5, v4
	s_delay_alu instid0(VALU_DEP_1) | instskip(NEXT) | instid1(VALU_DEP_1)
	v_add_nc_u32_e32 v5, v4, v5
	v_lshrrev_b32_e32 v5, s6, v5
	s_delay_alu instid0(VALU_DEP_1) | instskip(NEXT) | instid1(VALU_DEP_1)
	v_mul_lo_u32 v6, v5, s4
	v_sub_nc_u32_e32 v4, v4, v6
	s_delay_alu instid0(VALU_DEP_1)
	v_mul_lo_u32 v6, v4, s2
	v_mul_lo_u32 v7, v4, s3
	s_cbranch_scc1 .LBB193_1103
; %bb.1102:
	s_clause 0x1
	s_load_b128 s[4:7], s[16:17], 0x10
	s_load_b64 s[2:3], s[16:17], 0xcc
	s_waitcnt lgkmcnt(0)
	v_mul_hi_u32 v4, s5, v5
	s_delay_alu instid0(VALU_DEP_1) | instskip(NEXT) | instid1(VALU_DEP_1)
	v_add_nc_u32_e32 v4, v5, v4
	v_lshrrev_b32_e32 v4, s6, v4
	s_delay_alu instid0(VALU_DEP_1) | instskip(NEXT) | instid1(VALU_DEP_1)
	v_mul_lo_u32 v4, v4, s4
	v_sub_nc_u32_e32 v8, v5, v4
	s_delay_alu instid0(VALU_DEP_1) | instskip(SKIP_1) | instid1(VALU_DEP_1)
	v_mad_u64_u32 v[4:5], null, v8, s2, v[6:7]
	v_mad_u64_u32 v[5:6], null, v8, s3, v[7:8]
	v_dual_mov_b32 v6, v4 :: v_dual_mov_b32 v7, v5
.LBB193_1103:
	v_cmp_ne_u32_e32 vcc_lo, 1, v3
	v_add_nc_u32_e32 v4, 0x100, v10
	s_cbranch_vccnz .LBB193_1109
; %bb.1104:
	v_mov_b32_e32 v5, 0
	v_mov_b32_e32 v9, 0
	s_cmp_lg_u32 s24, 0
	s_mov_b32 s6, 0
	s_cbranch_scc0 .LBB193_1113
; %bb.1105:
	s_min_u32 s7, s25, 15
	v_mov_b32_e32 v5, 0
	s_add_i32 s7, s7, 1
	s_cmp_eq_u32 s25, 2
	s_mov_b32 s10, 0
	s_cbranch_scc1 .LBB193_1110
; %bb.1106:
	v_dual_mov_b32 v9, 0 :: v_dual_mov_b32 v8, v4
	v_mov_b32_e32 v5, 0
	s_add_u32 s2, s16, 0xc4
	s_addc_u32 s3, s17, 0
	s_and_b32 s10, s7, 28
	s_mov_b32 s11, 0
	s_mov_b64 s[4:5], s[16:17]
.LBB193_1107:                           ; =>This Inner Loop Header: Depth=1
	s_clause 0x1
	s_load_b256 s[36:43], s[4:5], 0x4
	s_load_b128 s[12:15], s[4:5], 0x24
	s_load_b256 s[44:51], s[2:3], 0x0
	s_add_u32 s4, s4, 48
	s_addc_u32 s5, s5, 0
	s_add_i32 s11, s11, 4
	s_add_u32 s2, s2, 32
	s_addc_u32 s3, s3, 0
	s_cmp_lg_u32 s10, s11
	s_waitcnt lgkmcnt(0)
	v_mul_hi_u32 v10, s37, v8
	s_delay_alu instid0(VALU_DEP_1) | instskip(NEXT) | instid1(VALU_DEP_1)
	v_add_nc_u32_e32 v10, v8, v10
	v_lshrrev_b32_e32 v10, s38, v10
	s_delay_alu instid0(VALU_DEP_1) | instskip(SKIP_1) | instid1(VALU_DEP_2)
	v_mul_hi_u32 v11, s40, v10
	v_mul_lo_u32 v13, v10, s36
	v_add_nc_u32_e32 v11, v10, v11
	s_delay_alu instid0(VALU_DEP_2) | instskip(NEXT) | instid1(VALU_DEP_2)
	v_sub_nc_u32_e32 v8, v8, v13
	v_lshrrev_b32_e32 v11, s41, v11
	s_delay_alu instid0(VALU_DEP_2) | instskip(SKIP_1) | instid1(VALU_DEP_3)
	v_mul_lo_u32 v13, v8, s44
	v_mul_lo_u32 v15, v8, s45
	v_mul_hi_u32 v12, s43, v11
	s_delay_alu instid0(VALU_DEP_1) | instskip(NEXT) | instid1(VALU_DEP_1)
	v_add_nc_u32_e32 v12, v11, v12
	v_lshrrev_b32_e32 v12, s12, v12
	s_delay_alu instid0(VALU_DEP_1) | instskip(SKIP_1) | instid1(VALU_DEP_2)
	v_mul_hi_u32 v14, s14, v12
	v_mul_lo_u32 v16, v12, s42
	v_add_nc_u32_e32 v8, v12, v14
	v_mul_lo_u32 v14, v11, s39
	s_delay_alu instid0(VALU_DEP_3) | instskip(NEXT) | instid1(VALU_DEP_3)
	v_sub_nc_u32_e32 v11, v11, v16
	v_lshrrev_b32_e32 v8, s15, v8
	s_delay_alu instid0(VALU_DEP_2) | instskip(SKIP_2) | instid1(VALU_DEP_4)
	v_mul_lo_u32 v16, v11, s48
	v_mul_lo_u32 v11, v11, s49
	v_sub_nc_u32_e32 v10, v10, v14
	v_mul_lo_u32 v17, v8, s13
	s_delay_alu instid0(VALU_DEP_2) | instskip(SKIP_1) | instid1(VALU_DEP_3)
	v_mul_lo_u32 v14, v10, s46
	v_mul_lo_u32 v10, v10, s47
	v_sub_nc_u32_e32 v12, v12, v17
	s_delay_alu instid0(VALU_DEP_3) | instskip(NEXT) | instid1(VALU_DEP_2)
	v_add3_u32 v5, v13, v5, v14
	v_mul_lo_u32 v17, v12, s50
	v_mul_lo_u32 v12, v12, s51
	v_add3_u32 v9, v15, v9, v10
	s_delay_alu instid0(VALU_DEP_3) | instskip(NEXT) | instid1(VALU_DEP_2)
	v_add3_u32 v5, v16, v5, v17
	v_add3_u32 v9, v11, v9, v12
	s_cbranch_scc1 .LBB193_1107
; %bb.1108:
	s_and_b32 s7, s7, 3
	s_delay_alu instid0(SALU_CYCLE_1)
	s_cmp_eq_u32 s7, 0
	s_cbranch_scc0 .LBB193_1111
	s_branch .LBB193_1113
.LBB193_1109:
	s_mov_b32 s6, -1
                                        ; implicit-def: $vgpr5
                                        ; implicit-def: $vgpr9
	s_branch .LBB193_1113
.LBB193_1110:
	v_dual_mov_b32 v8, v4 :: v_dual_mov_b32 v9, 0
	s_and_b32 s7, s7, 3
	s_delay_alu instid0(SALU_CYCLE_1)
	s_cmp_eq_u32 s7, 0
	s_cbranch_scc1 .LBB193_1113
.LBB193_1111:
	s_lshl_b32 s2, s10, 3
	s_mul_i32 s4, s10, 12
	s_add_u32 s2, s2, s16
	s_addc_u32 s3, 0, s17
	s_add_u32 s2, s2, 0xc4
	s_addc_u32 s3, s3, 0
	;; [unrolled: 2-line block ×3, first 2 shown]
	.p2align	6
.LBB193_1112:                           ; =>This Inner Loop Header: Depth=1
	s_clause 0x1
	s_load_b64 s[10:11], s[4:5], 0x4
	s_load_b32 s14, s[4:5], 0xc
	s_load_b64 s[12:13], s[2:3], 0x0
	s_add_u32 s4, s4, 12
	s_addc_u32 s5, s5, 0
	s_add_u32 s2, s2, 8
	s_addc_u32 s3, s3, 0
	s_add_i32 s7, s7, -1
	s_delay_alu instid0(SALU_CYCLE_1) | instskip(SKIP_2) | instid1(VALU_DEP_1)
	s_cmp_lg_u32 s7, 0
	s_waitcnt lgkmcnt(0)
	v_mul_hi_u32 v10, s11, v8
	v_add_nc_u32_e32 v10, v8, v10
	s_delay_alu instid0(VALU_DEP_1) | instskip(NEXT) | instid1(VALU_DEP_1)
	v_lshrrev_b32_e32 v13, s14, v10
	v_mul_lo_u32 v10, v13, s10
	s_delay_alu instid0(VALU_DEP_1) | instskip(NEXT) | instid1(VALU_DEP_1)
	v_sub_nc_u32_e32 v8, v8, v10
	v_mad_u64_u32 v[10:11], null, v8, s12, v[5:6]
	s_delay_alu instid0(VALU_DEP_1) | instskip(SKIP_1) | instid1(VALU_DEP_2)
	v_mad_u64_u32 v[11:12], null, v8, s13, v[9:10]
	v_dual_mov_b32 v8, v13 :: v_dual_mov_b32 v5, v10
	v_mov_b32_e32 v9, v11
	s_cbranch_scc1 .LBB193_1112
.LBB193_1113:
	s_and_not1_b32 vcc_lo, exec_lo, s6
	s_cbranch_vccnz .LBB193_1116
; %bb.1114:
	s_clause 0x1
	s_load_b128 s[4:7], s[16:17], 0x4
	s_load_b64 s[2:3], s[16:17], 0xc4
	s_cmp_lt_u32 s24, 2
	s_waitcnt lgkmcnt(0)
	v_mul_hi_u32 v5, s5, v4
	s_delay_alu instid0(VALU_DEP_1) | instskip(NEXT) | instid1(VALU_DEP_1)
	v_add_nc_u32_e32 v5, v4, v5
	v_lshrrev_b32_e32 v8, s6, v5
	s_delay_alu instid0(VALU_DEP_1) | instskip(NEXT) | instid1(VALU_DEP_1)
	v_mul_lo_u32 v5, v8, s4
	v_sub_nc_u32_e32 v4, v4, v5
	s_delay_alu instid0(VALU_DEP_1)
	v_mul_lo_u32 v5, v4, s2
	v_mul_lo_u32 v9, v4, s3
	s_cbranch_scc1 .LBB193_1116
; %bb.1115:
	s_clause 0x1
	s_load_b128 s[4:7], s[16:17], 0x10
	s_load_b64 s[2:3], s[16:17], 0xcc
	s_waitcnt lgkmcnt(0)
	v_mul_hi_u32 v4, s5, v8
	s_delay_alu instid0(VALU_DEP_1) | instskip(NEXT) | instid1(VALU_DEP_1)
	v_add_nc_u32_e32 v4, v8, v4
	v_lshrrev_b32_e32 v4, s6, v4
	s_delay_alu instid0(VALU_DEP_1) | instskip(NEXT) | instid1(VALU_DEP_1)
	v_mul_lo_u32 v4, v4, s4
	v_sub_nc_u32_e32 v8, v8, v4
	s_delay_alu instid0(VALU_DEP_1) | instskip(NEXT) | instid1(VALU_DEP_1)
	v_mad_u64_u32 v[10:11], null, v8, s2, v[5:6]
	v_mad_u64_u32 v[4:5], null, v8, s3, v[9:10]
	v_mov_b32_e32 v5, v10
	s_delay_alu instid0(VALU_DEP_2)
	v_mov_b32_e32 v9, v4
.LBB193_1116:
	v_cmp_ne_u32_e32 vcc_lo, 1, v3
	s_cbranch_vccnz .LBB193_1122
; %bb.1117:
	v_dual_mov_b32 v4, 0 :: v_dual_mov_b32 v3, 0
	s_cmp_lg_u32 s24, 0
	s_mov_b32 s6, 0
	s_cbranch_scc0 .LBB193_1126
; %bb.1118:
	s_min_u32 s7, s25, 15
	v_mov_b32_e32 v4, 0
	s_add_i32 s7, s7, 1
	s_cmp_eq_u32 s25, 2
	s_mov_b32 s10, 0
	s_cbranch_scc1 .LBB193_1123
; %bb.1119:
	v_dual_mov_b32 v3, 0 :: v_dual_mov_b32 v4, 0
	v_mov_b32_e32 v8, v2
	s_add_u32 s2, s16, 0xc4
	s_addc_u32 s3, s17, 0
	s_and_b32 s10, s7, 28
	s_mov_b32 s11, 0
	s_mov_b64 s[4:5], s[16:17]
.LBB193_1120:                           ; =>This Inner Loop Header: Depth=1
	s_clause 0x1
	s_load_b256 s[36:43], s[4:5], 0x4
	s_load_b128 s[12:15], s[4:5], 0x24
	s_load_b256 s[44:51], s[2:3], 0x0
	s_add_u32 s4, s4, 48
	s_addc_u32 s5, s5, 0
	s_add_i32 s11, s11, 4
	s_add_u32 s2, s2, 32
	s_addc_u32 s3, s3, 0
	s_cmp_lg_u32 s10, s11
	s_waitcnt lgkmcnt(0)
	v_mul_hi_u32 v10, s37, v8
	s_delay_alu instid0(VALU_DEP_1) | instskip(NEXT) | instid1(VALU_DEP_1)
	v_add_nc_u32_e32 v10, v8, v10
	v_lshrrev_b32_e32 v10, s38, v10
	s_delay_alu instid0(VALU_DEP_1) | instskip(SKIP_1) | instid1(VALU_DEP_2)
	v_mul_hi_u32 v11, s40, v10
	v_mul_lo_u32 v13, v10, s36
	v_add_nc_u32_e32 v11, v10, v11
	s_delay_alu instid0(VALU_DEP_2) | instskip(NEXT) | instid1(VALU_DEP_2)
	v_sub_nc_u32_e32 v8, v8, v13
	v_lshrrev_b32_e32 v11, s41, v11
	s_delay_alu instid0(VALU_DEP_2) | instskip(SKIP_1) | instid1(VALU_DEP_3)
	v_mul_lo_u32 v13, v8, s44
	v_mul_lo_u32 v15, v8, s45
	v_mul_hi_u32 v12, s43, v11
	s_delay_alu instid0(VALU_DEP_1) | instskip(NEXT) | instid1(VALU_DEP_1)
	v_add_nc_u32_e32 v12, v11, v12
	v_lshrrev_b32_e32 v12, s12, v12
	s_delay_alu instid0(VALU_DEP_1) | instskip(SKIP_1) | instid1(VALU_DEP_2)
	v_mul_hi_u32 v14, s14, v12
	v_mul_lo_u32 v16, v12, s42
	v_add_nc_u32_e32 v8, v12, v14
	v_mul_lo_u32 v14, v11, s39
	s_delay_alu instid0(VALU_DEP_3) | instskip(NEXT) | instid1(VALU_DEP_3)
	v_sub_nc_u32_e32 v11, v11, v16
	v_lshrrev_b32_e32 v8, s15, v8
	s_delay_alu instid0(VALU_DEP_2) | instskip(SKIP_2) | instid1(VALU_DEP_4)
	v_mul_lo_u32 v16, v11, s48
	v_mul_lo_u32 v11, v11, s49
	v_sub_nc_u32_e32 v10, v10, v14
	v_mul_lo_u32 v17, v8, s13
	s_delay_alu instid0(VALU_DEP_2) | instskip(SKIP_1) | instid1(VALU_DEP_3)
	v_mul_lo_u32 v14, v10, s46
	v_mul_lo_u32 v10, v10, s47
	v_sub_nc_u32_e32 v12, v12, v17
	s_delay_alu instid0(VALU_DEP_3) | instskip(NEXT) | instid1(VALU_DEP_2)
	v_add3_u32 v4, v13, v4, v14
	v_mul_lo_u32 v17, v12, s50
	v_mul_lo_u32 v12, v12, s51
	v_add3_u32 v3, v15, v3, v10
	s_delay_alu instid0(VALU_DEP_3) | instskip(NEXT) | instid1(VALU_DEP_2)
	v_add3_u32 v4, v16, v4, v17
	v_add3_u32 v3, v11, v3, v12
	s_cbranch_scc1 .LBB193_1120
; %bb.1121:
	s_and_b32 s7, s7, 3
	s_delay_alu instid0(SALU_CYCLE_1)
	s_cmp_eq_u32 s7, 0
	s_cbranch_scc0 .LBB193_1124
	s_branch .LBB193_1126
.LBB193_1122:
	s_mov_b32 s6, -1
                                        ; implicit-def: $vgpr4
                                        ; implicit-def: $vgpr3
	s_branch .LBB193_1126
.LBB193_1123:
	v_dual_mov_b32 v8, v2 :: v_dual_mov_b32 v3, 0
	s_and_b32 s7, s7, 3
	s_delay_alu instid0(SALU_CYCLE_1)
	s_cmp_eq_u32 s7, 0
	s_cbranch_scc1 .LBB193_1126
.LBB193_1124:
	s_lshl_b32 s2, s10, 3
	s_mul_i32 s4, s10, 12
	s_add_u32 s2, s2, s16
	s_addc_u32 s3, 0, s17
	s_add_u32 s2, s2, 0xc4
	s_addc_u32 s3, s3, 0
	;; [unrolled: 2-line block ×3, first 2 shown]
	.p2align	6
.LBB193_1125:                           ; =>This Inner Loop Header: Depth=1
	s_clause 0x1
	s_load_b64 s[10:11], s[4:5], 0x4
	s_load_b32 s14, s[4:5], 0xc
	s_load_b64 s[12:13], s[2:3], 0x0
	s_add_u32 s4, s4, 12
	s_addc_u32 s5, s5, 0
	s_add_u32 s2, s2, 8
	s_addc_u32 s3, s3, 0
	s_add_i32 s7, s7, -1
	s_delay_alu instid0(SALU_CYCLE_1) | instskip(SKIP_2) | instid1(VALU_DEP_1)
	s_cmp_lg_u32 s7, 0
	s_waitcnt lgkmcnt(0)
	v_mul_hi_u32 v10, s11, v8
	v_add_nc_u32_e32 v10, v8, v10
	s_delay_alu instid0(VALU_DEP_1) | instskip(NEXT) | instid1(VALU_DEP_1)
	v_lshrrev_b32_e32 v13, s14, v10
	v_mul_lo_u32 v10, v13, s10
	s_delay_alu instid0(VALU_DEP_1) | instskip(NEXT) | instid1(VALU_DEP_1)
	v_sub_nc_u32_e32 v8, v8, v10
	v_mad_u64_u32 v[10:11], null, v8, s12, v[4:5]
	v_mad_u64_u32 v[11:12], null, v8, s13, v[3:4]
	v_mov_b32_e32 v8, v13
	s_delay_alu instid0(VALU_DEP_2)
	v_dual_mov_b32 v4, v10 :: v_dual_mov_b32 v3, v11
	s_cbranch_scc1 .LBB193_1125
.LBB193_1126:
	s_and_not1_b32 vcc_lo, exec_lo, s6
	s_cbranch_vccnz .LBB193_1129
; %bb.1127:
	s_clause 0x1
	s_load_b128 s[4:7], s[16:17], 0x4
	s_load_b64 s[2:3], s[16:17], 0xc4
	s_cmp_lt_u32 s24, 2
	s_waitcnt lgkmcnt(0)
	v_mul_hi_u32 v3, s5, v2
	s_delay_alu instid0(VALU_DEP_1) | instskip(NEXT) | instid1(VALU_DEP_1)
	v_add_nc_u32_e32 v3, v2, v3
	v_lshrrev_b32_e32 v8, s6, v3
	s_delay_alu instid0(VALU_DEP_1) | instskip(NEXT) | instid1(VALU_DEP_1)
	v_mul_lo_u32 v3, v8, s4
	v_sub_nc_u32_e32 v2, v2, v3
	s_delay_alu instid0(VALU_DEP_1)
	v_mul_lo_u32 v4, v2, s2
	v_mul_lo_u32 v3, v2, s3
	s_cbranch_scc1 .LBB193_1129
; %bb.1128:
	s_clause 0x1
	s_load_b128 s[4:7], s[16:17], 0x10
	s_load_b64 s[2:3], s[16:17], 0xcc
	s_waitcnt lgkmcnt(0)
	v_mul_hi_u32 v2, s5, v8
	s_delay_alu instid0(VALU_DEP_1) | instskip(NEXT) | instid1(VALU_DEP_1)
	v_add_nc_u32_e32 v2, v8, v2
	v_lshrrev_b32_e32 v2, s6, v2
	s_delay_alu instid0(VALU_DEP_1) | instskip(NEXT) | instid1(VALU_DEP_1)
	v_mul_lo_u32 v2, v2, s4
	v_sub_nc_u32_e32 v2, v8, v2
	s_delay_alu instid0(VALU_DEP_1) | instskip(SKIP_1) | instid1(VALU_DEP_1)
	v_mad_u64_u32 v[10:11], null, v2, s2, v[4:5]
	v_mad_u64_u32 v[11:12], null, v2, s3, v[3:4]
	v_dual_mov_b32 v4, v10 :: v_dual_mov_b32 v3, v11
.LBB193_1129:
	s_clause 0x1
	s_load_b32 s3, s[0:1], 0x160
	s_load_b128 s[4:7], s[16:17], 0x148
	s_waitcnt lgkmcnt(0)
	s_lshr_b32 s0, s3, 16
	s_delay_alu instid0(SALU_CYCLE_1) | instskip(SKIP_1) | instid1(VALU_DEP_1)
	v_and_b32_e64 v15, 0xff, s0
	v_add_co_u32 v10, s0, s6, v1
	v_add_co_ci_u32_e64 v11, null, s7, 0, s0
	s_delay_alu instid0(VALU_DEP_3)
	v_cmp_gt_i16_e32 vcc_lo, 11, v15
	s_mov_b32 s0, 0
	s_cbranch_vccnz .LBB193_1136
; %bb.1130:
	v_cmp_lt_i16_e32 vcc_lo, 25, v15
	s_mov_b32 s10, 0
	s_cbranch_vccz .LBB193_1142
; %bb.1131:
	v_cmp_lt_i16_e32 vcc_lo, 28, v15
	s_cbranch_vccz .LBB193_1144
; %bb.1132:
	v_cmp_lt_i16_e32 vcc_lo, 43, v15
	;; [unrolled: 3-line block ×3, first 2 shown]
	s_cbranch_vccz .LBB193_1150
; %bb.1134:
	v_cmp_eq_u16_e32 vcc_lo, 46, v15
	s_mov_b32 s1, 0
	s_cbranch_vccz .LBB193_1192
; %bb.1135:
	global_load_b32 v1, v[10:11], off
	s_mov_b32 s2, 0
	s_mov_b32 s0, -1
	s_waitcnt vmcnt(0)
	v_lshlrev_b32_e32 v1, 16, v1
	s_delay_alu instid0(VALU_DEP_1)
	v_cvt_f64_f32_e32 v[1:2], v1
	s_branch .LBB193_1194
.LBB193_1136:
	s_mov_b32 s2, s8
                                        ; implicit-def: $vgpr1_vgpr2
	s_cbranch_execz .LBB193_1257
; %bb.1137:
	v_cmp_gt_i16_e32 vcc_lo, 5, v15
	s_cbranch_vccnz .LBB193_1143
; %bb.1138:
	v_cmp_gt_i16_e32 vcc_lo, 8, v15
	s_cbranch_vccnz .LBB193_1145
; %bb.1139:
	v_cmp_gt_i16_e32 vcc_lo, 9, v15
	s_cbranch_vccnz .LBB193_1147
; %bb.1140:
	v_cmp_lt_i16_e32 vcc_lo, 9, v15
	s_cbranch_vccz .LBB193_1151
; %bb.1141:
	global_load_b64 v[1:2], v[10:11], off
	s_mov_b32 s0, 0
	s_branch .LBB193_1152
.LBB193_1142:
	s_mov_b32 s2, 0
                                        ; implicit-def: $vgpr1_vgpr2
	s_cbranch_execnz .LBB193_1224
	s_branch .LBB193_1253
.LBB193_1143:
                                        ; implicit-def: $vgpr1_vgpr2
	s_branch .LBB193_1169
.LBB193_1144:
	s_mov_b32 s1, -1
	s_mov_b32 s2, 0
                                        ; implicit-def: $vgpr1_vgpr2
	s_branch .LBB193_1203
.LBB193_1145:
                                        ; implicit-def: $vgpr1_vgpr2
	s_branch .LBB193_1158
.LBB193_1146:
	s_mov_b32 s2, 0
                                        ; implicit-def: $vgpr1_vgpr2
	s_cbranch_execnz .LBB193_1199
	s_branch .LBB193_1202
.LBB193_1147:
	s_mov_b32 s0, -1
                                        ; implicit-def: $vgpr1_vgpr2
	s_branch .LBB193_1155
.LBB193_1148:
	s_cbranch_execnz .LBB193_1190
; %bb.1149:
	s_or_b32 s3, s3, exec_lo
	s_and_not1_b32 s8, s8, exec_lo
	s_or_b32 exec_lo, exec_lo, s2
	s_and_saveexec_b32 s2, s8
	s_delay_alu instid0(SALU_CYCLE_1)
	s_xor_b32 s2, exec_lo, s2
	s_cbranch_execnz .LBB193_1036
	s_branch .LBB193_1037
.LBB193_1150:
	s_mov_b32 s1, -1
	s_mov_b32 s2, 0
	s_branch .LBB193_1193
.LBB193_1151:
	s_mov_b32 s0, -1
                                        ; implicit-def: $vgpr1_vgpr2
.LBB193_1152:
	s_delay_alu instid0(SALU_CYCLE_1)
	s_and_not1_b32 vcc_lo, exec_lo, s0
	s_cbranch_vccnz .LBB193_1154
; %bb.1153:
	global_load_b32 v1, v[10:11], off
	s_waitcnt vmcnt(0)
	v_cvt_f64_f32_e32 v[1:2], v1
.LBB193_1154:
	s_mov_b32 s0, 0
.LBB193_1155:
	s_delay_alu instid0(SALU_CYCLE_1)
	s_and_not1_b32 vcc_lo, exec_lo, s0
	s_cbranch_vccnz .LBB193_1157
; %bb.1156:
	global_load_b32 v1, v[10:11], off
	s_waitcnt vmcnt(0)
	v_cvt_f32_f16_e32 v1, v1
	s_delay_alu instid0(VALU_DEP_1)
	v_cvt_f64_f32_e32 v[1:2], v1
.LBB193_1157:
	s_cbranch_execnz .LBB193_1168
.LBB193_1158:
	v_cmp_gt_i16_e32 vcc_lo, 6, v15
	s_cbranch_vccnz .LBB193_1161
; %bb.1159:
	v_cmp_lt_i16_e32 vcc_lo, 6, v15
	s_cbranch_vccz .LBB193_1162
; %bb.1160:
	global_load_b64 v[1:2], v[10:11], off
	s_mov_b32 s0, 0
	s_branch .LBB193_1163
.LBB193_1161:
	s_mov_b32 s0, -1
                                        ; implicit-def: $vgpr1_vgpr2
	s_branch .LBB193_1166
.LBB193_1162:
	s_mov_b32 s0, -1
                                        ; implicit-def: $vgpr1_vgpr2
.LBB193_1163:
	s_delay_alu instid0(SALU_CYCLE_1)
	s_and_not1_b32 vcc_lo, exec_lo, s0
	s_cbranch_vccnz .LBB193_1165
; %bb.1164:
	global_load_b32 v1, v[10:11], off
	s_waitcnt vmcnt(0)
	v_cvt_f64_f32_e32 v[1:2], v1
.LBB193_1165:
	s_mov_b32 s0, 0
.LBB193_1166:
	s_delay_alu instid0(SALU_CYCLE_1)
	s_and_not1_b32 vcc_lo, exec_lo, s0
	s_cbranch_vccnz .LBB193_1168
; %bb.1167:
	global_load_u16 v1, v[10:11], off
	s_waitcnt vmcnt(0)
	v_cvt_f32_f16_e32 v1, v1
	s_delay_alu instid0(VALU_DEP_1)
	v_cvt_f64_f32_e32 v[1:2], v1
.LBB193_1168:
	s_cbranch_execnz .LBB193_1187
.LBB193_1169:
	v_cmp_gt_i16_e32 vcc_lo, 2, v15
	s_cbranch_vccnz .LBB193_1173
; %bb.1170:
	v_cmp_gt_i16_e32 vcc_lo, 3, v15
	s_cbranch_vccnz .LBB193_1174
; %bb.1171:
	v_cmp_lt_i16_e32 vcc_lo, 3, v15
	s_cbranch_vccz .LBB193_1175
; %bb.1172:
	global_load_b64 v[1:2], v[10:11], off
	s_mov_b32 s0, 0
	s_waitcnt vmcnt(0)
	v_cvt_f64_i32_e32 v[12:13], v2
	v_cvt_f64_u32_e32 v[1:2], v1
	s_delay_alu instid0(VALU_DEP_2) | instskip(NEXT) | instid1(VALU_DEP_1)
	v_ldexp_f64 v[12:13], v[12:13], 32
	v_add_f64 v[1:2], v[12:13], v[1:2]
	s_branch .LBB193_1176
.LBB193_1173:
                                        ; implicit-def: $vgpr1_vgpr2
	s_branch .LBB193_1182
.LBB193_1174:
	s_mov_b32 s0, -1
                                        ; implicit-def: $vgpr1_vgpr2
	s_branch .LBB193_1179
.LBB193_1175:
	s_mov_b32 s0, -1
                                        ; implicit-def: $vgpr1_vgpr2
.LBB193_1176:
	s_delay_alu instid0(SALU_CYCLE_1)
	s_and_not1_b32 vcc_lo, exec_lo, s0
	s_cbranch_vccnz .LBB193_1178
; %bb.1177:
	global_load_b32 v1, v[10:11], off
	s_waitcnt vmcnt(0)
	v_cvt_f64_i32_e32 v[1:2], v1
.LBB193_1178:
	s_mov_b32 s0, 0
.LBB193_1179:
	s_delay_alu instid0(SALU_CYCLE_1)
	s_and_not1_b32 vcc_lo, exec_lo, s0
	s_cbranch_vccnz .LBB193_1181
; %bb.1180:
	global_load_i16 v1, v[10:11], off
	s_waitcnt vmcnt(0)
	v_cvt_f64_i32_e32 v[1:2], v1
.LBB193_1181:
	s_cbranch_execnz .LBB193_1187
.LBB193_1182:
	v_cmp_lt_i16_e32 vcc_lo, 0, v15
	s_mov_b32 s0, 0
	s_cbranch_vccz .LBB193_1184
; %bb.1183:
	global_load_i8 v1, v[10:11], off
	s_waitcnt vmcnt(0)
	v_cvt_f64_i32_e32 v[1:2], v1
	s_branch .LBB193_1185
.LBB193_1184:
	s_mov_b32 s0, -1
                                        ; implicit-def: $vgpr1_vgpr2
.LBB193_1185:
	s_delay_alu instid0(SALU_CYCLE_1)
	s_and_not1_b32 vcc_lo, exec_lo, s0
	s_cbranch_vccnz .LBB193_1187
; %bb.1186:
	global_load_u8 v1, v[10:11], off
	s_waitcnt vmcnt(0)
	v_cvt_f64_u32_e32 v[1:2], v1
.LBB193_1187:
	s_branch .LBB193_1258
.LBB193_1188:
	s_trap 2
	s_sendmsg_rtn_b32 s0, sendmsg(MSG_RTN_GET_DOORBELL)
	s_mov_b32 ttmp2, m0
	s_waitcnt lgkmcnt(0)
	s_and_b32 s0, s0, 0x3ff
	s_delay_alu instid0(SALU_CYCLE_1) | instskip(NEXT) | instid1(SALU_CYCLE_1)
	s_bitset1_b32 s0, 10
	s_mov_b32 m0, s0
	s_sendmsg sendmsg(MSG_INTERRUPT)
	s_mov_b32 m0, ttmp2
.LBB193_1189:                           ; =>This Inner Loop Header: Depth=1
	s_sethalt 5
	s_branch .LBB193_1189
.LBB193_1190:
	s_trap 2
	s_sendmsg_rtn_b32 s0, sendmsg(MSG_RTN_GET_DOORBELL)
	s_mov_b32 ttmp2, m0
	s_waitcnt lgkmcnt(0)
	s_and_b32 s0, s0, 0x3ff
	s_delay_alu instid0(SALU_CYCLE_1) | instskip(NEXT) | instid1(SALU_CYCLE_1)
	s_bitset1_b32 s0, 10
	s_mov_b32 m0, s0
	s_sendmsg sendmsg(MSG_INTERRUPT)
	s_mov_b32 m0, ttmp2
.LBB193_1191:                           ; =>This Inner Loop Header: Depth=1
	s_sethalt 5
	s_branch .LBB193_1191
.LBB193_1192:
	s_mov_b32 s2, -1
.LBB193_1193:
                                        ; implicit-def: $vgpr1_vgpr2
.LBB193_1194:
	s_and_b32 vcc_lo, exec_lo, s1
	s_cbranch_vccz .LBB193_1197
; %bb.1195:
	v_cmp_eq_u16_e32 vcc_lo, 44, v15
	s_cbranch_vccz .LBB193_1198
; %bb.1196:
	global_load_u8 v8, v[10:11], off
	s_mov_b32 s2, 0
	s_mov_b32 s0, -1
	s_waitcnt vmcnt(0)
	v_cmp_ne_u32_e32 vcc_lo, 0xff, v8
	v_lshlrev_b32_e32 v1, 23, v8
	s_delay_alu instid0(VALU_DEP_1) | instskip(NEXT) | instid1(VALU_DEP_1)
	v_cvt_f64_f32_e32 v[1:2], v1
	v_cndmask_b32_e32 v2, 0x7ff80000, v2, vcc_lo
	s_delay_alu instid0(VALU_DEP_2) | instskip(SKIP_1) | instid1(VALU_DEP_3)
	v_cndmask_b32_e32 v1, 0x20000000, v1, vcc_lo
	v_cmp_ne_u32_e32 vcc_lo, 0, v8
	v_cndmask_b32_e32 v2, 0x38000000, v2, vcc_lo
	s_delay_alu instid0(VALU_DEP_3)
	v_cndmask_b32_e32 v1, 0, v1, vcc_lo
.LBB193_1197:
	s_branch .LBB193_1202
.LBB193_1198:
	s_mov_b32 s2, -1
                                        ; implicit-def: $vgpr1_vgpr2
	s_branch .LBB193_1202
.LBB193_1199:
	v_cmp_eq_u16_e32 vcc_lo, 29, v15
	s_cbranch_vccz .LBB193_1201
; %bb.1200:
	global_load_b64 v[1:2], v[10:11], off
	s_mov_b32 s2, 0
	s_mov_b32 s0, -1
	s_mov_b32 s1, 0
	s_waitcnt vmcnt(0)
	v_cvt_f64_u32_e32 v[12:13], v2
	v_cvt_f64_u32_e32 v[1:2], v1
	s_delay_alu instid0(VALU_DEP_2) | instskip(NEXT) | instid1(VALU_DEP_1)
	v_ldexp_f64 v[12:13], v[12:13], 32
	v_add_f64 v[1:2], v[12:13], v[1:2]
	s_branch .LBB193_1203
.LBB193_1201:
	s_mov_b32 s2, -1
                                        ; implicit-def: $vgpr1_vgpr2
.LBB193_1202:
	s_mov_b32 s1, 0
.LBB193_1203:
	s_delay_alu instid0(SALU_CYCLE_1)
	s_and_b32 vcc_lo, exec_lo, s1
	s_cbranch_vccz .LBB193_1223
; %bb.1204:
	v_cmp_gt_i16_e32 vcc_lo, 27, v15
	s_cbranch_vccnz .LBB193_1207
; %bb.1205:
	v_cmp_lt_i16_e32 vcc_lo, 27, v15
	s_cbranch_vccz .LBB193_1208
; %bb.1206:
	global_load_b32 v1, v[10:11], off
	s_mov_b32 s0, 0
	s_waitcnt vmcnt(0)
	v_cvt_f64_u32_e32 v[1:2], v1
	s_branch .LBB193_1209
.LBB193_1207:
	s_mov_b32 s0, -1
                                        ; implicit-def: $vgpr1_vgpr2
	s_branch .LBB193_1212
.LBB193_1208:
	s_mov_b32 s0, -1
                                        ; implicit-def: $vgpr1_vgpr2
.LBB193_1209:
	s_delay_alu instid0(SALU_CYCLE_1)
	s_and_not1_b32 vcc_lo, exec_lo, s0
	s_cbranch_vccnz .LBB193_1211
; %bb.1210:
	global_load_u16 v1, v[10:11], off
	s_waitcnt vmcnt(0)
	v_cvt_f64_u32_e32 v[1:2], v1
.LBB193_1211:
	s_mov_b32 s0, 0
.LBB193_1212:
	s_delay_alu instid0(SALU_CYCLE_1)
	s_and_not1_b32 vcc_lo, exec_lo, s0
	s_cbranch_vccnz .LBB193_1222
; %bb.1213:
	global_load_u8 v8, v[10:11], off
	s_mov_b32 s11, 0
	s_mov_b32 s12, exec_lo
                                        ; implicit-def: $sgpr0_sgpr1
	s_waitcnt vmcnt(0)
	v_cmpx_lt_i16_e32 0x7f, v8
	s_xor_b32 s12, exec_lo, s12
	s_cbranch_execz .LBB193_1217
; %bb.1214:
	s_mov_b32 s13, -1
	s_mov_b32 s11, exec_lo
                                        ; implicit-def: $sgpr0_sgpr1
	v_cmpx_eq_u16_e32 0x80, v8
; %bb.1215:
	s_mov_b32 s1, 0x7ff80000
	s_brev_b32 s0, 4
	s_xor_b32 s13, exec_lo, -1
; %bb.1216:
	s_or_b32 exec_lo, exec_lo, s11
	s_delay_alu instid0(SALU_CYCLE_1)
	s_and_b32 s11, s13, exec_lo
.LBB193_1217:
	s_or_saveexec_b32 s12, s12
	v_dual_mov_b32 v2, s1 :: v_dual_mov_b32 v1, s0
	s_xor_b32 exec_lo, exec_lo, s12
; %bb.1218:
	v_cmp_ne_u16_e32 vcc_lo, 0, v8
	v_mov_b32_e32 v1, 0
	v_mov_b32_e32 v2, 0
	s_and_not1_b32 s0, s11, exec_lo
	s_and_b32 s1, vcc_lo, exec_lo
	s_delay_alu instid0(SALU_CYCLE_1)
	s_or_b32 s11, s0, s1
; %bb.1219:
	s_or_b32 exec_lo, exec_lo, s12
	s_and_saveexec_b32 s0, s11
	s_cbranch_execz .LBB193_1221
; %bb.1220:
	v_and_b32_e32 v1, 0xffff, v8
	v_lshlrev_b32_e32 v8, 24, v8
	s_delay_alu instid0(VALU_DEP_2) | instskip(NEXT) | instid1(VALU_DEP_2)
	v_and_b32_e32 v2, 7, v1
	v_and_b32_e32 v8, 0x80000000, v8
	s_delay_alu instid0(VALU_DEP_2) | instskip(NEXT) | instid1(VALU_DEP_1)
	v_clz_i32_u32_e32 v12, v2
	v_min_u32_e32 v12, 32, v12
	s_delay_alu instid0(VALU_DEP_1) | instskip(SKIP_1) | instid1(VALU_DEP_2)
	v_subrev_nc_u32_e32 v13, 28, v12
	v_sub_nc_u32_e32 v12, 29, v12
	v_lshlrev_b32_e32 v13, v13, v1
	v_bfe_u32 v1, v1, 3, 4
	s_delay_alu instid0(VALU_DEP_2) | instskip(NEXT) | instid1(VALU_DEP_2)
	v_and_b32_e32 v13, 7, v13
	v_cmp_eq_u32_e32 vcc_lo, 0, v1
	s_delay_alu instid0(VALU_DEP_2) | instskip(NEXT) | instid1(VALU_DEP_1)
	v_dual_cndmask_b32 v1, v1, v12 :: v_dual_cndmask_b32 v2, v2, v13
	v_lshl_add_u32 v1, v1, 23, 0x3b800000
	s_delay_alu instid0(VALU_DEP_2) | instskip(NEXT) | instid1(VALU_DEP_1)
	v_lshlrev_b32_e32 v2, 20, v2
	v_or3_b32 v1, v8, v1, v2
	s_delay_alu instid0(VALU_DEP_1)
	v_cvt_f64_f32_e32 v[1:2], v1
.LBB193_1221:
	s_or_b32 exec_lo, exec_lo, s0
.LBB193_1222:
	s_mov_b32 s0, -1
.LBB193_1223:
	s_branch .LBB193_1253
.LBB193_1224:
	v_cmp_lt_i16_e32 vcc_lo, 22, v15
	s_cbranch_vccz .LBB193_1236
; %bb.1225:
	v_cmp_gt_i16_e32 vcc_lo, 24, v15
	s_cbranch_vccnz .LBB193_1237
; %bb.1226:
	v_cmp_lt_i16_e32 vcc_lo, 24, v15
	s_cbranch_vccz .LBB193_1238
; %bb.1227:
	global_load_u8 v8, v[10:11], off
	s_mov_b32 s11, exec_lo
                                        ; implicit-def: $sgpr0_sgpr1
	s_waitcnt vmcnt(0)
	v_cmpx_lt_i16_e32 0x7f, v8
	s_xor_b32 s11, exec_lo, s11
	s_cbranch_execz .LBB193_1231
; %bb.1228:
	s_mov_b32 s12, -1
	s_mov_b32 s10, exec_lo
                                        ; implicit-def: $sgpr0_sgpr1
	v_cmpx_eq_u16_e32 0x80, v8
; %bb.1229:
	s_mov_b32 s1, 0x7ff80000
	s_brev_b32 s0, 4
	s_xor_b32 s12, exec_lo, -1
; %bb.1230:
	s_or_b32 exec_lo, exec_lo, s10
	s_delay_alu instid0(SALU_CYCLE_1)
	s_and_b32 s10, s12, exec_lo
.LBB193_1231:
	s_or_saveexec_b32 s11, s11
	v_dual_mov_b32 v2, s1 :: v_dual_mov_b32 v1, s0
	s_xor_b32 exec_lo, exec_lo, s11
; %bb.1232:
	v_cmp_ne_u16_e32 vcc_lo, 0, v8
	v_mov_b32_e32 v1, 0
	v_mov_b32_e32 v2, 0
	s_and_not1_b32 s0, s10, exec_lo
	s_and_b32 s1, vcc_lo, exec_lo
	s_delay_alu instid0(SALU_CYCLE_1)
	s_or_b32 s10, s0, s1
; %bb.1233:
	s_or_b32 exec_lo, exec_lo, s11
	s_and_saveexec_b32 s0, s10
	s_cbranch_execz .LBB193_1235
; %bb.1234:
	v_and_b32_e32 v1, 0xffff, v8
	v_lshlrev_b32_e32 v8, 24, v8
	s_delay_alu instid0(VALU_DEP_2) | instskip(NEXT) | instid1(VALU_DEP_2)
	v_and_b32_e32 v2, 3, v1
	v_and_b32_e32 v8, 0x80000000, v8
	s_delay_alu instid0(VALU_DEP_2) | instskip(NEXT) | instid1(VALU_DEP_1)
	v_clz_i32_u32_e32 v12, v2
	v_min_u32_e32 v12, 32, v12
	s_delay_alu instid0(VALU_DEP_1) | instskip(SKIP_1) | instid1(VALU_DEP_2)
	v_subrev_nc_u32_e32 v13, 29, v12
	v_sub_nc_u32_e32 v12, 30, v12
	v_lshlrev_b32_e32 v13, v13, v1
	v_bfe_u32 v1, v1, 2, 5
	s_delay_alu instid0(VALU_DEP_2) | instskip(NEXT) | instid1(VALU_DEP_2)
	v_and_b32_e32 v13, 3, v13
	v_cmp_eq_u32_e32 vcc_lo, 0, v1
	s_delay_alu instid0(VALU_DEP_2) | instskip(NEXT) | instid1(VALU_DEP_1)
	v_dual_cndmask_b32 v1, v1, v12 :: v_dual_cndmask_b32 v2, v2, v13
	v_lshl_add_u32 v1, v1, 23, 0x37800000
	s_delay_alu instid0(VALU_DEP_2) | instskip(NEXT) | instid1(VALU_DEP_1)
	v_lshlrev_b32_e32 v2, 21, v2
	v_or3_b32 v1, v8, v1, v2
	s_delay_alu instid0(VALU_DEP_1)
	v_cvt_f64_f32_e32 v[1:2], v1
.LBB193_1235:
	s_or_b32 exec_lo, exec_lo, s0
	s_mov_b32 s0, 0
	s_branch .LBB193_1239
.LBB193_1236:
                                        ; implicit-def: $vgpr1_vgpr2
	s_mov_b32 s10, 0
	s_branch .LBB193_1245
.LBB193_1237:
	s_mov_b32 s0, -1
                                        ; implicit-def: $vgpr1_vgpr2
	s_branch .LBB193_1242
.LBB193_1238:
	s_mov_b32 s0, -1
                                        ; implicit-def: $vgpr1_vgpr2
.LBB193_1239:
	s_delay_alu instid0(SALU_CYCLE_1)
	s_and_b32 vcc_lo, exec_lo, s0
	s_cbranch_vccz .LBB193_1241
; %bb.1240:
	global_load_u8 v1, v[10:11], off
	s_waitcnt vmcnt(0)
	v_lshlrev_b32_e32 v1, 24, v1
	s_delay_alu instid0(VALU_DEP_1) | instskip(NEXT) | instid1(VALU_DEP_1)
	v_and_b32_e32 v2, 0x7f000000, v1
	v_clz_i32_u32_e32 v8, v2
	v_add_nc_u32_e32 v13, 0x1000000, v2
	v_cmp_ne_u32_e32 vcc_lo, 0, v2
	s_delay_alu instid0(VALU_DEP_3) | instskip(NEXT) | instid1(VALU_DEP_1)
	v_min_u32_e32 v8, 32, v8
	v_sub_nc_u32_e64 v8, v8, 4 clamp
	s_delay_alu instid0(VALU_DEP_1) | instskip(SKIP_1) | instid1(VALU_DEP_2)
	v_lshlrev_b32_e32 v12, v8, v2
	v_lshlrev_b32_e32 v8, 23, v8
	v_lshrrev_b32_e32 v12, 4, v12
	s_delay_alu instid0(VALU_DEP_1) | instskip(SKIP_1) | instid1(VALU_DEP_2)
	v_sub_nc_u32_e32 v8, v12, v8
	v_ashrrev_i32_e32 v12, 8, v13
	v_add_nc_u32_e32 v8, 0x3c000000, v8
	s_delay_alu instid0(VALU_DEP_1) | instskip(NEXT) | instid1(VALU_DEP_1)
	v_and_or_b32 v8, 0x7f800000, v12, v8
	v_cndmask_b32_e32 v2, 0, v8, vcc_lo
	s_delay_alu instid0(VALU_DEP_1) | instskip(NEXT) | instid1(VALU_DEP_1)
	v_and_or_b32 v1, 0x80000000, v1, v2
	v_cvt_f64_f32_e32 v[1:2], v1
.LBB193_1241:
	s_mov_b32 s0, 0
.LBB193_1242:
	s_delay_alu instid0(SALU_CYCLE_1)
	s_and_not1_b32 vcc_lo, exec_lo, s0
	s_cbranch_vccnz .LBB193_1244
; %bb.1243:
	global_load_u8 v1, v[10:11], off
	s_waitcnt vmcnt(0)
	v_lshlrev_b32_e32 v2, 25, v1
	v_lshlrev_b16 v1, 8, v1
	s_delay_alu instid0(VALU_DEP_2) | instskip(NEXT) | instid1(VALU_DEP_2)
	v_lshrrev_b32_e32 v8, 4, v2
	v_and_or_b32 v12, 0x7f00, v1, 0.5
	v_cmp_gt_u32_e32 vcc_lo, 0x8000000, v2
	v_bfe_i32 v1, v1, 0, 16
	s_delay_alu instid0(VALU_DEP_4) | instskip(NEXT) | instid1(VALU_DEP_4)
	v_or_b32_e32 v8, 0x70000000, v8
	v_add_f32_e32 v12, -0.5, v12
	s_delay_alu instid0(VALU_DEP_2) | instskip(NEXT) | instid1(VALU_DEP_1)
	v_mul_f32_e32 v8, 0x7800000, v8
	v_cndmask_b32_e32 v2, v8, v12, vcc_lo
	s_delay_alu instid0(VALU_DEP_1) | instskip(NEXT) | instid1(VALU_DEP_1)
	v_and_or_b32 v1, 0x80000000, v1, v2
	v_cvt_f64_f32_e32 v[1:2], v1
.LBB193_1244:
	s_mov_b32 s0, -1
	s_mov_b32 s10, 0
	s_cbranch_execnz .LBB193_1253
.LBB193_1245:
	v_cmp_lt_i16_e32 vcc_lo, 14, v15
	s_cbranch_vccz .LBB193_1248
; %bb.1246:
	v_cmp_eq_u16_e32 vcc_lo, 15, v15
	s_cbranch_vccz .LBB193_1249
; %bb.1247:
	global_load_u16 v1, v[10:11], off
	s_mov_b32 s2, 0
	s_mov_b32 s0, -1
	s_waitcnt vmcnt(0)
	v_lshlrev_b32_e32 v1, 16, v1
	s_delay_alu instid0(VALU_DEP_1)
	v_cvt_f64_f32_e32 v[1:2], v1
	s_branch .LBB193_1250
.LBB193_1248:
	s_mov_b32 s1, -1
                                        ; implicit-def: $vgpr1_vgpr2
	s_branch .LBB193_1251
.LBB193_1249:
	s_mov_b32 s2, -1
                                        ; implicit-def: $vgpr1_vgpr2
.LBB193_1250:
	s_mov_b32 s1, 0
.LBB193_1251:
	s_delay_alu instid0(SALU_CYCLE_1)
	s_and_b32 vcc_lo, exec_lo, s1
	s_cbranch_vccz .LBB193_1253
; %bb.1252:
	v_cmp_ne_u16_e64 s2, 11, v15
	s_mov_b32 s10, -1
                                        ; implicit-def: $vgpr1_vgpr2
.LBB193_1253:
	s_delay_alu instid0(VALU_DEP_1)
	s_and_b32 vcc_lo, exec_lo, s2
	s_mov_b32 s2, s8
	s_cbranch_vccnz .LBB193_1277
; %bb.1254:
	s_and_not1_b32 vcc_lo, exec_lo, s10
	s_cbranch_vccnz .LBB193_1256
.LBB193_1255:
	global_load_u8 v1, v[10:11], off
	s_mov_b32 s0, -1
	s_waitcnt vmcnt(0)
	v_cmp_ne_u16_e32 vcc_lo, 0, v1
	v_mov_b32_e32 v1, 0
	v_cndmask_b32_e64 v2, 0, 0x3ff00000, vcc_lo
.LBB193_1256:
.LBB193_1257:
	s_and_not1_b32 vcc_lo, exec_lo, s0
	s_cbranch_vccnz .LBB193_2090
.LBB193_1258:
	v_cmp_gt_i16_e32 vcc_lo, 11, v15
	v_add_co_u32 v10, s0, s6, v7
	s_delay_alu instid0(VALU_DEP_1)
	v_add_co_ci_u32_e64 v11, null, s7, 0, s0
	s_mov_b32 s0, 0
	s_cbranch_vccnz .LBB193_1265
; %bb.1259:
	v_cmp_lt_i16_e32 vcc_lo, 25, v15
	s_mov_b32 s11, 0
	s_cbranch_vccz .LBB193_1271
; %bb.1260:
	v_cmp_lt_i16_e32 vcc_lo, 28, v15
	s_cbranch_vccz .LBB193_1273
; %bb.1261:
	v_cmp_lt_i16_e32 vcc_lo, 43, v15
	;; [unrolled: 3-line block ×3, first 2 shown]
	s_cbranch_vccz .LBB193_1281
; %bb.1263:
	v_cmp_eq_u16_e32 vcc_lo, 46, v15
	s_mov_b32 s1, 0
	s_cbranch_vccz .LBB193_1325
; %bb.1264:
	global_load_b32 v7, v[10:11], off
	s_mov_b32 s10, 0
	s_mov_b32 s0, -1
	s_waitcnt vmcnt(0)
	v_lshlrev_b32_e32 v7, 16, v7
	s_delay_alu instid0(VALU_DEP_1)
	v_cvt_f64_f32_e32 v[7:8], v7
	s_branch .LBB193_1327
.LBB193_1265:
                                        ; implicit-def: $vgpr7_vgpr8
	s_cbranch_execz .LBB193_1392
; %bb.1266:
	v_cmp_gt_i16_e32 vcc_lo, 5, v15
	s_cbranch_vccnz .LBB193_1272
; %bb.1267:
	v_cmp_gt_i16_e32 vcc_lo, 8, v15
	s_cbranch_vccnz .LBB193_1274
	;; [unrolled: 3-line block ×3, first 2 shown]
; %bb.1269:
	v_cmp_lt_i16_e32 vcc_lo, 9, v15
	s_cbranch_vccz .LBB193_1282
; %bb.1270:
	global_load_b64 v[7:8], v[10:11], off
	s_mov_b32 s0, 0
	s_branch .LBB193_1283
.LBB193_1271:
	s_mov_b32 s10, 0
                                        ; implicit-def: $vgpr7_vgpr8
	s_cbranch_execnz .LBB193_1358
	s_branch .LBB193_1388
.LBB193_1272:
                                        ; implicit-def: $vgpr7_vgpr8
	s_branch .LBB193_1301
.LBB193_1273:
	s_mov_b32 s1, -1
	s_mov_b32 s10, 0
                                        ; implicit-def: $vgpr7_vgpr8
	s_branch .LBB193_1337
.LBB193_1274:
	s_mov_b32 s0, -1
                                        ; implicit-def: $vgpr7_vgpr8
	s_branch .LBB193_1289
.LBB193_1275:
	s_mov_b32 s1, -1
	s_mov_b32 s10, 0
                                        ; implicit-def: $vgpr7_vgpr8
	s_branch .LBB193_1332
.LBB193_1276:
	s_mov_b32 s0, -1
                                        ; implicit-def: $vgpr7_vgpr8
	s_branch .LBB193_1286
.LBB193_1277:
	s_cbranch_execnz .LBB193_1321
; %bb.1278:
	s_or_b32 s2, s8, exec_lo
                                        ; implicit-def: $vgpr1_vgpr2
	s_cbranch_execz .LBB193_1255
	s_branch .LBB193_1256
.LBB193_1279:
	s_or_saveexec_b32 s7, s7
                                        ; implicit-def: $sgpr8
	s_delay_alu instid0(SALU_CYCLE_1)
	s_xor_b32 exec_lo, exec_lo, s7
	s_cbranch_execz .LBB193_987
.LBB193_1280:
	v_add_f32_e64 v3, 0x46000000, |v2|
	s_and_not1_b32 s5, s5, exec_lo
	s_mov_b32 s8, 0
	s_delay_alu instid0(VALU_DEP_1) | instskip(NEXT) | instid1(VALU_DEP_1)
	v_and_b32_e32 v3, 0xff, v3
	v_cmp_ne_u32_e32 vcc_lo, 0, v3
	s_and_b32 s9, vcc_lo, exec_lo
	s_delay_alu instid0(SALU_CYCLE_1)
	s_or_b32 s5, s5, s9
	s_or_b32 exec_lo, exec_lo, s7
	v_mov_b32_e32 v6, s8
	s_and_saveexec_b32 s7, s5
	s_cbranch_execnz .LBB193_988
	s_branch .LBB193_989
.LBB193_1281:
	s_mov_b32 s1, -1
	s_mov_b32 s10, 0
	s_branch .LBB193_1326
.LBB193_1282:
	s_mov_b32 s0, -1
                                        ; implicit-def: $vgpr7_vgpr8
.LBB193_1283:
	s_delay_alu instid0(SALU_CYCLE_1)
	s_and_not1_b32 vcc_lo, exec_lo, s0
	s_cbranch_vccnz .LBB193_1285
; %bb.1284:
	global_load_b32 v7, v[10:11], off
	s_waitcnt vmcnt(0)
	v_cvt_f64_f32_e32 v[7:8], v7
.LBB193_1285:
	s_mov_b32 s0, 0
.LBB193_1286:
	s_delay_alu instid0(SALU_CYCLE_1)
	s_and_not1_b32 vcc_lo, exec_lo, s0
	s_cbranch_vccnz .LBB193_1288
; %bb.1287:
	global_load_b32 v7, v[10:11], off
	s_waitcnt vmcnt(0)
	v_cvt_f32_f16_e32 v7, v7
	s_delay_alu instid0(VALU_DEP_1)
	v_cvt_f64_f32_e32 v[7:8], v7
.LBB193_1288:
	s_mov_b32 s0, 0
.LBB193_1289:
	s_delay_alu instid0(SALU_CYCLE_1)
	s_and_not1_b32 vcc_lo, exec_lo, s0
	s_cbranch_vccnz .LBB193_1300
; %bb.1290:
	v_cmp_gt_i16_e32 vcc_lo, 6, v15
	s_cbranch_vccnz .LBB193_1293
; %bb.1291:
	v_cmp_lt_i16_e32 vcc_lo, 6, v15
	s_cbranch_vccz .LBB193_1294
; %bb.1292:
	global_load_b64 v[7:8], v[10:11], off
	s_mov_b32 s0, 0
	s_branch .LBB193_1295
.LBB193_1293:
	s_mov_b32 s0, -1
                                        ; implicit-def: $vgpr7_vgpr8
	s_branch .LBB193_1298
.LBB193_1294:
	s_mov_b32 s0, -1
                                        ; implicit-def: $vgpr7_vgpr8
.LBB193_1295:
	s_delay_alu instid0(SALU_CYCLE_1)
	s_and_not1_b32 vcc_lo, exec_lo, s0
	s_cbranch_vccnz .LBB193_1297
; %bb.1296:
	global_load_b32 v7, v[10:11], off
	s_waitcnt vmcnt(0)
	v_cvt_f64_f32_e32 v[7:8], v7
.LBB193_1297:
	s_mov_b32 s0, 0
.LBB193_1298:
	s_delay_alu instid0(SALU_CYCLE_1)
	s_and_not1_b32 vcc_lo, exec_lo, s0
	s_cbranch_vccnz .LBB193_1300
; %bb.1299:
	global_load_u16 v7, v[10:11], off
	s_waitcnt vmcnt(0)
	v_cvt_f32_f16_e32 v7, v7
	s_delay_alu instid0(VALU_DEP_1)
	v_cvt_f64_f32_e32 v[7:8], v7
.LBB193_1300:
	s_cbranch_execnz .LBB193_1320
.LBB193_1301:
	v_cmp_gt_i16_e32 vcc_lo, 2, v15
	s_cbranch_vccnz .LBB193_1305
; %bb.1302:
	v_cmp_gt_i16_e32 vcc_lo, 3, v15
	s_cbranch_vccnz .LBB193_1306
; %bb.1303:
	v_cmp_lt_i16_e32 vcc_lo, 3, v15
	s_cbranch_vccz .LBB193_1307
; %bb.1304:
	global_load_b64 v[7:8], v[10:11], off
	s_mov_b32 s0, 0
	s_waitcnt vmcnt(0)
	v_cvt_f64_i32_e32 v[12:13], v8
	v_cvt_f64_u32_e32 v[7:8], v7
	s_delay_alu instid0(VALU_DEP_2) | instskip(NEXT) | instid1(VALU_DEP_1)
	v_ldexp_f64 v[12:13], v[12:13], 32
	v_add_f64 v[7:8], v[12:13], v[7:8]
	s_branch .LBB193_1308
.LBB193_1305:
	s_mov_b32 s0, -1
                                        ; implicit-def: $vgpr7_vgpr8
	s_branch .LBB193_1314
.LBB193_1306:
	s_mov_b32 s0, -1
                                        ; implicit-def: $vgpr7_vgpr8
	s_branch .LBB193_1311
.LBB193_1307:
	s_mov_b32 s0, -1
                                        ; implicit-def: $vgpr7_vgpr8
.LBB193_1308:
	s_delay_alu instid0(SALU_CYCLE_1)
	s_and_not1_b32 vcc_lo, exec_lo, s0
	s_cbranch_vccnz .LBB193_1310
; %bb.1309:
	global_load_b32 v7, v[10:11], off
	s_waitcnt vmcnt(0)
	v_cvt_f64_i32_e32 v[7:8], v7
.LBB193_1310:
	s_mov_b32 s0, 0
.LBB193_1311:
	s_delay_alu instid0(SALU_CYCLE_1)
	s_and_not1_b32 vcc_lo, exec_lo, s0
	s_cbranch_vccnz .LBB193_1313
; %bb.1312:
	global_load_i16 v7, v[10:11], off
	s_waitcnt vmcnt(0)
	v_cvt_f64_i32_e32 v[7:8], v7
.LBB193_1313:
	s_mov_b32 s0, 0
.LBB193_1314:
	s_delay_alu instid0(SALU_CYCLE_1)
	s_and_not1_b32 vcc_lo, exec_lo, s0
	s_cbranch_vccnz .LBB193_1320
; %bb.1315:
	v_cmp_lt_i16_e32 vcc_lo, 0, v15
	s_mov_b32 s0, 0
	s_cbranch_vccz .LBB193_1317
; %bb.1316:
	global_load_i8 v7, v[10:11], off
	s_waitcnt vmcnt(0)
	v_cvt_f64_i32_e32 v[7:8], v7
	s_branch .LBB193_1318
.LBB193_1317:
	s_mov_b32 s0, -1
                                        ; implicit-def: $vgpr7_vgpr8
.LBB193_1318:
	s_delay_alu instid0(SALU_CYCLE_1)
	s_and_not1_b32 vcc_lo, exec_lo, s0
	s_cbranch_vccnz .LBB193_1320
; %bb.1319:
	global_load_u8 v7, v[10:11], off
	s_waitcnt vmcnt(0)
	v_cvt_f64_u32_e32 v[7:8], v7
.LBB193_1320:
	s_branch .LBB193_1393
.LBB193_1321:
	s_trap 2
	s_sendmsg_rtn_b32 s0, sendmsg(MSG_RTN_GET_DOORBELL)
	s_mov_b32 ttmp2, m0
	s_waitcnt lgkmcnt(0)
	s_and_b32 s0, s0, 0x3ff
	s_delay_alu instid0(SALU_CYCLE_1) | instskip(NEXT) | instid1(SALU_CYCLE_1)
	s_bitset1_b32 s0, 10
	s_mov_b32 m0, s0
	s_sendmsg sendmsg(MSG_INTERRUPT)
	s_mov_b32 m0, ttmp2
.LBB193_1322:                           ; =>This Inner Loop Header: Depth=1
	s_sethalt 5
	s_branch .LBB193_1322
.LBB193_1323:
	s_or_saveexec_b32 s8, s8
                                        ; implicit-def: $sgpr9
	s_delay_alu instid0(SALU_CYCLE_1)
	s_xor_b32 exec_lo, exec_lo, s8
	s_cbranch_execz .LBB193_999
.LBB193_1324:
	v_add_f32_e64 v3, 0x42800000, |v2|
	s_and_not1_b32 s7, s7, exec_lo
	s_mov_b32 s9, 0
	s_delay_alu instid0(VALU_DEP_1) | instskip(NEXT) | instid1(VALU_DEP_1)
	v_and_b32_e32 v3, 0xff, v3
	v_cmp_ne_u32_e32 vcc_lo, 0, v3
	s_and_b32 s10, vcc_lo, exec_lo
	s_delay_alu instid0(SALU_CYCLE_1)
	s_or_b32 s7, s7, s10
	s_or_b32 exec_lo, exec_lo, s8
	v_mov_b32_e32 v6, s9
	s_and_saveexec_b32 s8, s7
	s_cbranch_execnz .LBB193_1000
	s_branch .LBB193_1001
.LBB193_1325:
	s_mov_b32 s10, -1
.LBB193_1326:
                                        ; implicit-def: $vgpr7_vgpr8
.LBB193_1327:
	s_and_b32 vcc_lo, exec_lo, s1
	s_cbranch_vccz .LBB193_1331
; %bb.1328:
	v_cmp_eq_u16_e32 vcc_lo, 44, v15
	s_cbranch_vccz .LBB193_1330
; %bb.1329:
	global_load_u8 v12, v[10:11], off
	s_mov_b32 s10, 0
	s_mov_b32 s0, -1
	s_waitcnt vmcnt(0)
	v_lshlrev_b32_e32 v7, 23, v12
	v_cmp_ne_u32_e32 vcc_lo, 0xff, v12
	s_delay_alu instid0(VALU_DEP_2) | instskip(NEXT) | instid1(VALU_DEP_1)
	v_cvt_f64_f32_e32 v[7:8], v7
	v_cndmask_b32_e32 v7, 0x20000000, v7, vcc_lo
	s_delay_alu instid0(VALU_DEP_2) | instskip(SKIP_1) | instid1(VALU_DEP_2)
	v_cndmask_b32_e32 v8, 0x7ff80000, v8, vcc_lo
	v_cmp_ne_u32_e32 vcc_lo, 0, v12
	v_cndmask_b32_e32 v8, 0x38000000, v8, vcc_lo
	s_delay_alu instid0(VALU_DEP_4)
	v_cndmask_b32_e32 v7, 0, v7, vcc_lo
	s_branch .LBB193_1331
.LBB193_1330:
	s_mov_b32 s10, -1
                                        ; implicit-def: $vgpr7_vgpr8
.LBB193_1331:
	s_mov_b32 s1, 0
.LBB193_1332:
	s_delay_alu instid0(SALU_CYCLE_1)
	s_and_b32 vcc_lo, exec_lo, s1
	s_cbranch_vccz .LBB193_1336
; %bb.1333:
	v_cmp_eq_u16_e32 vcc_lo, 29, v15
	s_cbranch_vccz .LBB193_1335
; %bb.1334:
	global_load_b64 v[7:8], v[10:11], off
	s_mov_b32 s10, 0
	s_mov_b32 s0, -1
	s_mov_b32 s1, 0
	s_waitcnt vmcnt(0)
	v_cvt_f64_u32_e32 v[12:13], v8
	v_cvt_f64_u32_e32 v[7:8], v7
	s_delay_alu instid0(VALU_DEP_2) | instskip(NEXT) | instid1(VALU_DEP_1)
	v_ldexp_f64 v[12:13], v[12:13], 32
	v_add_f64 v[7:8], v[12:13], v[7:8]
	s_branch .LBB193_1337
.LBB193_1335:
	s_mov_b32 s10, -1
                                        ; implicit-def: $vgpr7_vgpr8
.LBB193_1336:
	s_mov_b32 s1, 0
.LBB193_1337:
	s_delay_alu instid0(SALU_CYCLE_1)
	s_and_b32 vcc_lo, exec_lo, s1
	s_cbranch_vccz .LBB193_1357
; %bb.1338:
	v_cmp_gt_i16_e32 vcc_lo, 27, v15
	s_cbranch_vccnz .LBB193_1341
; %bb.1339:
	v_cmp_lt_i16_e32 vcc_lo, 27, v15
	s_cbranch_vccz .LBB193_1342
; %bb.1340:
	global_load_b32 v7, v[10:11], off
	s_mov_b32 s0, 0
	s_waitcnt vmcnt(0)
	v_cvt_f64_u32_e32 v[7:8], v7
	s_branch .LBB193_1343
.LBB193_1341:
	s_mov_b32 s0, -1
                                        ; implicit-def: $vgpr7_vgpr8
	s_branch .LBB193_1346
.LBB193_1342:
	s_mov_b32 s0, -1
                                        ; implicit-def: $vgpr7_vgpr8
.LBB193_1343:
	s_delay_alu instid0(SALU_CYCLE_1)
	s_and_not1_b32 vcc_lo, exec_lo, s0
	s_cbranch_vccnz .LBB193_1345
; %bb.1344:
	global_load_u16 v7, v[10:11], off
	s_waitcnt vmcnt(0)
	v_cvt_f64_u32_e32 v[7:8], v7
.LBB193_1345:
	s_mov_b32 s0, 0
.LBB193_1346:
	s_delay_alu instid0(SALU_CYCLE_1)
	s_and_not1_b32 vcc_lo, exec_lo, s0
	s_cbranch_vccnz .LBB193_1356
; %bb.1347:
	global_load_u8 v12, v[10:11], off
	s_mov_b32 s12, 0
	s_mov_b32 s13, exec_lo
                                        ; implicit-def: $sgpr0_sgpr1
	s_waitcnt vmcnt(0)
	v_cmpx_lt_i16_e32 0x7f, v12
	s_xor_b32 s13, exec_lo, s13
	s_cbranch_execz .LBB193_1351
; %bb.1348:
	s_mov_b32 s14, -1
	s_mov_b32 s12, exec_lo
                                        ; implicit-def: $sgpr0_sgpr1
	v_cmpx_eq_u16_e32 0x80, v12
; %bb.1349:
	s_mov_b32 s1, 0x7ff80000
	s_brev_b32 s0, 4
	s_xor_b32 s14, exec_lo, -1
; %bb.1350:
	s_or_b32 exec_lo, exec_lo, s12
	s_delay_alu instid0(SALU_CYCLE_1)
	s_and_b32 s12, s14, exec_lo
.LBB193_1351:
	s_or_saveexec_b32 s13, s13
	v_dual_mov_b32 v8, s1 :: v_dual_mov_b32 v7, s0
	s_xor_b32 exec_lo, exec_lo, s13
; %bb.1352:
	v_cmp_ne_u16_e32 vcc_lo, 0, v12
	v_mov_b32_e32 v7, 0
	v_mov_b32_e32 v8, 0
	s_and_not1_b32 s0, s12, exec_lo
	s_and_b32 s1, vcc_lo, exec_lo
	s_delay_alu instid0(SALU_CYCLE_1)
	s_or_b32 s12, s0, s1
; %bb.1353:
	s_or_b32 exec_lo, exec_lo, s13
	s_and_saveexec_b32 s0, s12
	s_cbranch_execz .LBB193_1355
; %bb.1354:
	v_and_b32_e32 v7, 0xffff, v12
	v_lshlrev_b32_e32 v12, 24, v12
	s_delay_alu instid0(VALU_DEP_2) | instskip(NEXT) | instid1(VALU_DEP_2)
	v_and_b32_e32 v8, 7, v7
	v_and_b32_e32 v12, 0x80000000, v12
	s_delay_alu instid0(VALU_DEP_2) | instskip(NEXT) | instid1(VALU_DEP_1)
	v_clz_i32_u32_e32 v13, v8
	v_min_u32_e32 v13, 32, v13
	s_delay_alu instid0(VALU_DEP_1) | instskip(SKIP_1) | instid1(VALU_DEP_2)
	v_subrev_nc_u32_e32 v14, 28, v13
	v_sub_nc_u32_e32 v13, 29, v13
	v_lshlrev_b32_e32 v14, v14, v7
	v_bfe_u32 v7, v7, 3, 4
	s_delay_alu instid0(VALU_DEP_2) | instskip(NEXT) | instid1(VALU_DEP_2)
	v_and_b32_e32 v14, 7, v14
	v_cmp_eq_u32_e32 vcc_lo, 0, v7
	s_delay_alu instid0(VALU_DEP_2) | instskip(NEXT) | instid1(VALU_DEP_1)
	v_dual_cndmask_b32 v7, v7, v13 :: v_dual_cndmask_b32 v8, v8, v14
	v_lshl_add_u32 v7, v7, 23, 0x3b800000
	s_delay_alu instid0(VALU_DEP_2) | instskip(NEXT) | instid1(VALU_DEP_1)
	v_lshlrev_b32_e32 v8, 20, v8
	v_or3_b32 v7, v12, v7, v8
	s_delay_alu instid0(VALU_DEP_1)
	v_cvt_f64_f32_e32 v[7:8], v7
.LBB193_1355:
	s_or_b32 exec_lo, exec_lo, s0
.LBB193_1356:
	s_mov_b32 s0, -1
.LBB193_1357:
	s_branch .LBB193_1388
.LBB193_1358:
	v_cmp_lt_i16_e32 vcc_lo, 22, v15
	s_cbranch_vccz .LBB193_1370
; %bb.1359:
	v_cmp_gt_i16_e32 vcc_lo, 24, v15
	s_cbranch_vccnz .LBB193_1371
; %bb.1360:
	v_cmp_lt_i16_e32 vcc_lo, 24, v15
	s_cbranch_vccz .LBB193_1372
; %bb.1361:
	global_load_u8 v12, v[10:11], off
	s_mov_b32 s12, exec_lo
                                        ; implicit-def: $sgpr0_sgpr1
	s_waitcnt vmcnt(0)
	v_cmpx_lt_i16_e32 0x7f, v12
	s_xor_b32 s12, exec_lo, s12
	s_cbranch_execz .LBB193_1365
; %bb.1362:
	s_mov_b32 s13, -1
	s_mov_b32 s11, exec_lo
                                        ; implicit-def: $sgpr0_sgpr1
	v_cmpx_eq_u16_e32 0x80, v12
; %bb.1363:
	s_mov_b32 s1, 0x7ff80000
	s_brev_b32 s0, 4
	s_xor_b32 s13, exec_lo, -1
; %bb.1364:
	s_or_b32 exec_lo, exec_lo, s11
	s_delay_alu instid0(SALU_CYCLE_1)
	s_and_b32 s11, s13, exec_lo
.LBB193_1365:
	s_or_saveexec_b32 s12, s12
	v_dual_mov_b32 v8, s1 :: v_dual_mov_b32 v7, s0
	s_xor_b32 exec_lo, exec_lo, s12
; %bb.1366:
	v_cmp_ne_u16_e32 vcc_lo, 0, v12
	v_mov_b32_e32 v7, 0
	v_mov_b32_e32 v8, 0
	s_and_not1_b32 s0, s11, exec_lo
	s_and_b32 s1, vcc_lo, exec_lo
	s_delay_alu instid0(SALU_CYCLE_1)
	s_or_b32 s11, s0, s1
; %bb.1367:
	s_or_b32 exec_lo, exec_lo, s12
	s_and_saveexec_b32 s0, s11
	s_cbranch_execz .LBB193_1369
; %bb.1368:
	v_and_b32_e32 v7, 0xffff, v12
	v_lshlrev_b32_e32 v12, 24, v12
	s_delay_alu instid0(VALU_DEP_2) | instskip(NEXT) | instid1(VALU_DEP_2)
	v_and_b32_e32 v8, 3, v7
	v_and_b32_e32 v12, 0x80000000, v12
	s_delay_alu instid0(VALU_DEP_2) | instskip(NEXT) | instid1(VALU_DEP_1)
	v_clz_i32_u32_e32 v13, v8
	v_min_u32_e32 v13, 32, v13
	s_delay_alu instid0(VALU_DEP_1) | instskip(SKIP_1) | instid1(VALU_DEP_2)
	v_subrev_nc_u32_e32 v14, 29, v13
	v_sub_nc_u32_e32 v13, 30, v13
	v_lshlrev_b32_e32 v14, v14, v7
	v_bfe_u32 v7, v7, 2, 5
	s_delay_alu instid0(VALU_DEP_2) | instskip(NEXT) | instid1(VALU_DEP_2)
	v_and_b32_e32 v14, 3, v14
	v_cmp_eq_u32_e32 vcc_lo, 0, v7
	s_delay_alu instid0(VALU_DEP_2) | instskip(NEXT) | instid1(VALU_DEP_1)
	v_dual_cndmask_b32 v7, v7, v13 :: v_dual_cndmask_b32 v8, v8, v14
	v_lshl_add_u32 v7, v7, 23, 0x37800000
	s_delay_alu instid0(VALU_DEP_2) | instskip(NEXT) | instid1(VALU_DEP_1)
	v_lshlrev_b32_e32 v8, 21, v8
	v_or3_b32 v7, v12, v7, v8
	s_delay_alu instid0(VALU_DEP_1)
	v_cvt_f64_f32_e32 v[7:8], v7
.LBB193_1369:
	s_or_b32 exec_lo, exec_lo, s0
	s_mov_b32 s0, 0
	s_branch .LBB193_1373
.LBB193_1370:
	s_mov_b32 s1, -1
                                        ; implicit-def: $vgpr7_vgpr8
	s_branch .LBB193_1379
.LBB193_1371:
	s_mov_b32 s0, -1
                                        ; implicit-def: $vgpr7_vgpr8
	s_branch .LBB193_1376
.LBB193_1372:
	s_mov_b32 s0, -1
                                        ; implicit-def: $vgpr7_vgpr8
.LBB193_1373:
	s_delay_alu instid0(SALU_CYCLE_1)
	s_and_b32 vcc_lo, exec_lo, s0
	s_cbranch_vccz .LBB193_1375
; %bb.1374:
	global_load_u8 v7, v[10:11], off
	s_waitcnt vmcnt(0)
	v_lshlrev_b32_e32 v7, 24, v7
	s_delay_alu instid0(VALU_DEP_1) | instskip(NEXT) | instid1(VALU_DEP_1)
	v_and_b32_e32 v8, 0x7f000000, v7
	v_clz_i32_u32_e32 v12, v8
	v_add_nc_u32_e32 v14, 0x1000000, v8
	v_cmp_ne_u32_e32 vcc_lo, 0, v8
	s_delay_alu instid0(VALU_DEP_3) | instskip(NEXT) | instid1(VALU_DEP_1)
	v_min_u32_e32 v12, 32, v12
	v_sub_nc_u32_e64 v12, v12, 4 clamp
	s_delay_alu instid0(VALU_DEP_1) | instskip(SKIP_1) | instid1(VALU_DEP_2)
	v_lshlrev_b32_e32 v13, v12, v8
	v_lshlrev_b32_e32 v12, 23, v12
	v_lshrrev_b32_e32 v13, 4, v13
	s_delay_alu instid0(VALU_DEP_1) | instskip(SKIP_1) | instid1(VALU_DEP_2)
	v_sub_nc_u32_e32 v12, v13, v12
	v_ashrrev_i32_e32 v13, 8, v14
	v_add_nc_u32_e32 v12, 0x3c000000, v12
	s_delay_alu instid0(VALU_DEP_1) | instskip(NEXT) | instid1(VALU_DEP_1)
	v_and_or_b32 v12, 0x7f800000, v13, v12
	v_cndmask_b32_e32 v8, 0, v12, vcc_lo
	s_delay_alu instid0(VALU_DEP_1) | instskip(NEXT) | instid1(VALU_DEP_1)
	v_and_or_b32 v7, 0x80000000, v7, v8
	v_cvt_f64_f32_e32 v[7:8], v7
.LBB193_1375:
	s_mov_b32 s0, 0
.LBB193_1376:
	s_delay_alu instid0(SALU_CYCLE_1)
	s_and_not1_b32 vcc_lo, exec_lo, s0
	s_cbranch_vccnz .LBB193_1378
; %bb.1377:
	global_load_u8 v7, v[10:11], off
	s_waitcnt vmcnt(0)
	v_lshlrev_b32_e32 v8, 25, v7
	v_lshlrev_b16 v7, 8, v7
	s_delay_alu instid0(VALU_DEP_1) | instskip(SKIP_1) | instid1(VALU_DEP_2)
	v_and_or_b32 v13, 0x7f00, v7, 0.5
	v_bfe_i32 v7, v7, 0, 16
	v_add_f32_e32 v13, -0.5, v13
	v_lshrrev_b32_e32 v12, 4, v8
	v_cmp_gt_u32_e32 vcc_lo, 0x8000000, v8
	s_delay_alu instid0(VALU_DEP_2) | instskip(NEXT) | instid1(VALU_DEP_1)
	v_or_b32_e32 v12, 0x70000000, v12
	v_mul_f32_e32 v12, 0x7800000, v12
	s_delay_alu instid0(VALU_DEP_1) | instskip(NEXT) | instid1(VALU_DEP_1)
	v_cndmask_b32_e32 v8, v12, v13, vcc_lo
	v_and_or_b32 v7, 0x80000000, v7, v8
	s_delay_alu instid0(VALU_DEP_1)
	v_cvt_f64_f32_e32 v[7:8], v7
.LBB193_1378:
	s_mov_b32 s1, 0
	s_mov_b32 s0, -1
.LBB193_1379:
	s_and_not1_b32 vcc_lo, exec_lo, s1
	s_mov_b32 s11, 0
	s_cbranch_vccnz .LBB193_1388
; %bb.1380:
	v_cmp_lt_i16_e32 vcc_lo, 14, v15
	s_cbranch_vccz .LBB193_1383
; %bb.1381:
	v_cmp_eq_u16_e32 vcc_lo, 15, v15
	s_cbranch_vccz .LBB193_1384
; %bb.1382:
	global_load_u16 v7, v[10:11], off
	s_mov_b32 s10, 0
	s_mov_b32 s0, -1
	s_waitcnt vmcnt(0)
	v_lshlrev_b32_e32 v7, 16, v7
	s_delay_alu instid0(VALU_DEP_1)
	v_cvt_f64_f32_e32 v[7:8], v7
	s_branch .LBB193_1385
.LBB193_1383:
	s_mov_b32 s1, -1
                                        ; implicit-def: $vgpr7_vgpr8
	s_branch .LBB193_1386
.LBB193_1384:
	s_mov_b32 s10, -1
                                        ; implicit-def: $vgpr7_vgpr8
.LBB193_1385:
	s_mov_b32 s1, 0
.LBB193_1386:
	s_delay_alu instid0(SALU_CYCLE_1)
	s_and_b32 vcc_lo, exec_lo, s1
	s_cbranch_vccz .LBB193_1388
; %bb.1387:
	v_cmp_ne_u16_e64 s10, 11, v15
	s_mov_b32 s11, -1
                                        ; implicit-def: $vgpr7_vgpr8
.LBB193_1388:
	s_delay_alu instid0(VALU_DEP_1)
	s_and_b32 vcc_lo, exec_lo, s10
	s_cbranch_vccnz .LBB193_1412
; %bb.1389:
	s_and_not1_b32 vcc_lo, exec_lo, s11
	s_cbranch_vccnz .LBB193_1391
.LBB193_1390:
	global_load_u8 v7, v[10:11], off
	s_mov_b32 s0, -1
	s_waitcnt vmcnt(0)
	v_cmp_ne_u16_e32 vcc_lo, 0, v7
	v_mov_b32_e32 v7, 0
	v_cndmask_b32_e64 v8, 0, 0x3ff00000, vcc_lo
.LBB193_1391:
.LBB193_1392:
	s_and_not1_b32 vcc_lo, exec_lo, s0
	s_cbranch_vccnz .LBB193_2090
.LBB193_1393:
	v_cmp_gt_i16_e32 vcc_lo, 11, v15
	v_add_co_u32 v11, s0, s6, v9
	s_delay_alu instid0(VALU_DEP_1)
	v_add_co_ci_u32_e64 v12, null, s7, 0, s0
	s_mov_b32 s0, 0
	s_cbranch_vccnz .LBB193_1400
; %bb.1394:
	v_cmp_lt_i16_e32 vcc_lo, 25, v15
	s_mov_b32 s11, 0
	s_cbranch_vccz .LBB193_1406
; %bb.1395:
	v_cmp_lt_i16_e32 vcc_lo, 28, v15
	s_cbranch_vccz .LBB193_1408
; %bb.1396:
	v_cmp_lt_i16_e32 vcc_lo, 43, v15
	;; [unrolled: 3-line block ×3, first 2 shown]
	s_cbranch_vccz .LBB193_1414
; %bb.1398:
	v_cmp_eq_u16_e32 vcc_lo, 46, v15
	s_mov_b32 s1, 0
	s_cbranch_vccz .LBB193_1457
; %bb.1399:
	global_load_b32 v9, v[11:12], off
	s_mov_b32 s10, 0
	s_mov_b32 s0, -1
	s_waitcnt vmcnt(0)
	v_lshlrev_b32_e32 v9, 16, v9
	s_delay_alu instid0(VALU_DEP_1)
	v_cvt_f64_f32_e32 v[9:10], v9
	s_branch .LBB193_1459
.LBB193_1400:
                                        ; implicit-def: $vgpr9_vgpr10
	s_cbranch_execz .LBB193_1525
; %bb.1401:
	v_cmp_gt_i16_e32 vcc_lo, 5, v15
	s_cbranch_vccnz .LBB193_1407
; %bb.1402:
	v_cmp_gt_i16_e32 vcc_lo, 8, v15
	s_cbranch_vccnz .LBB193_1409
	;; [unrolled: 3-line block ×3, first 2 shown]
; %bb.1404:
	v_cmp_lt_i16_e32 vcc_lo, 9, v15
	s_cbranch_vccz .LBB193_1415
; %bb.1405:
	global_load_b64 v[9:10], v[11:12], off
	s_mov_b32 s0, 0
	s_branch .LBB193_1416
.LBB193_1406:
	s_mov_b32 s1, -1
	s_mov_b32 s10, 0
                                        ; implicit-def: $vgpr9_vgpr10
	s_branch .LBB193_1490
.LBB193_1407:
	s_mov_b32 s0, -1
                                        ; implicit-def: $vgpr9_vgpr10
	s_branch .LBB193_1434
.LBB193_1408:
	s_mov_b32 s1, -1
	s_mov_b32 s10, 0
                                        ; implicit-def: $vgpr9_vgpr10
	s_branch .LBB193_1469
.LBB193_1409:
	s_mov_b32 s0, -1
                                        ; implicit-def: $vgpr9_vgpr10
	s_branch .LBB193_1422
.LBB193_1410:
	s_mov_b32 s1, -1
	s_mov_b32 s10, 0
                                        ; implicit-def: $vgpr9_vgpr10
	s_branch .LBB193_1464
.LBB193_1411:
	s_mov_b32 s0, -1
                                        ; implicit-def: $vgpr9_vgpr10
	s_branch .LBB193_1419
.LBB193_1412:
	s_cbranch_execnz .LBB193_1455
; %bb.1413:
	s_or_b32 s2, s2, exec_lo
                                        ; implicit-def: $vgpr7_vgpr8
	s_cbranch_execz .LBB193_1390
	s_branch .LBB193_1391
.LBB193_1414:
	s_mov_b32 s1, -1
	s_mov_b32 s10, 0
	s_branch .LBB193_1458
.LBB193_1415:
	s_mov_b32 s0, -1
                                        ; implicit-def: $vgpr9_vgpr10
.LBB193_1416:
	s_delay_alu instid0(SALU_CYCLE_1)
	s_and_not1_b32 vcc_lo, exec_lo, s0
	s_cbranch_vccnz .LBB193_1418
; %bb.1417:
	global_load_b32 v9, v[11:12], off
	s_waitcnt vmcnt(0)
	v_cvt_f64_f32_e32 v[9:10], v9
.LBB193_1418:
	s_mov_b32 s0, 0
.LBB193_1419:
	s_delay_alu instid0(SALU_CYCLE_1)
	s_and_not1_b32 vcc_lo, exec_lo, s0
	s_cbranch_vccnz .LBB193_1421
; %bb.1420:
	global_load_b32 v9, v[11:12], off
	s_waitcnt vmcnt(0)
	v_cvt_f32_f16_e32 v9, v9
	s_delay_alu instid0(VALU_DEP_1)
	v_cvt_f64_f32_e32 v[9:10], v9
.LBB193_1421:
	s_mov_b32 s0, 0
.LBB193_1422:
	s_delay_alu instid0(SALU_CYCLE_1)
	s_and_not1_b32 vcc_lo, exec_lo, s0
	s_cbranch_vccnz .LBB193_1433
; %bb.1423:
	v_cmp_gt_i16_e32 vcc_lo, 6, v15
	s_cbranch_vccnz .LBB193_1426
; %bb.1424:
	v_cmp_lt_i16_e32 vcc_lo, 6, v15
	s_cbranch_vccz .LBB193_1427
; %bb.1425:
	global_load_b64 v[9:10], v[11:12], off
	s_mov_b32 s0, 0
	s_branch .LBB193_1428
.LBB193_1426:
	s_mov_b32 s0, -1
                                        ; implicit-def: $vgpr9_vgpr10
	s_branch .LBB193_1431
.LBB193_1427:
	s_mov_b32 s0, -1
                                        ; implicit-def: $vgpr9_vgpr10
.LBB193_1428:
	s_delay_alu instid0(SALU_CYCLE_1)
	s_and_not1_b32 vcc_lo, exec_lo, s0
	s_cbranch_vccnz .LBB193_1430
; %bb.1429:
	global_load_b32 v9, v[11:12], off
	s_waitcnt vmcnt(0)
	v_cvt_f64_f32_e32 v[9:10], v9
.LBB193_1430:
	s_mov_b32 s0, 0
.LBB193_1431:
	s_delay_alu instid0(SALU_CYCLE_1)
	s_and_not1_b32 vcc_lo, exec_lo, s0
	s_cbranch_vccnz .LBB193_1433
; %bb.1432:
	global_load_u16 v9, v[11:12], off
	s_waitcnt vmcnt(0)
	v_cvt_f32_f16_e32 v9, v9
	s_delay_alu instid0(VALU_DEP_1)
	v_cvt_f64_f32_e32 v[9:10], v9
.LBB193_1433:
	s_mov_b32 s0, 0
.LBB193_1434:
	s_delay_alu instid0(SALU_CYCLE_1)
	s_and_not1_b32 vcc_lo, exec_lo, s0
	s_cbranch_vccnz .LBB193_1454
; %bb.1435:
	v_cmp_gt_i16_e32 vcc_lo, 2, v15
	s_cbranch_vccnz .LBB193_1439
; %bb.1436:
	v_cmp_gt_i16_e32 vcc_lo, 3, v15
	s_cbranch_vccnz .LBB193_1440
; %bb.1437:
	v_cmp_lt_i16_e32 vcc_lo, 3, v15
	s_cbranch_vccz .LBB193_1441
; %bb.1438:
	global_load_b64 v[9:10], v[11:12], off
	s_mov_b32 s0, 0
	s_waitcnt vmcnt(0)
	v_cvt_f64_i32_e32 v[13:14], v10
	v_cvt_f64_u32_e32 v[9:10], v9
	s_delay_alu instid0(VALU_DEP_2) | instskip(NEXT) | instid1(VALU_DEP_1)
	v_ldexp_f64 v[13:14], v[13:14], 32
	v_add_f64 v[9:10], v[13:14], v[9:10]
	s_branch .LBB193_1442
.LBB193_1439:
	s_mov_b32 s0, -1
                                        ; implicit-def: $vgpr9_vgpr10
	s_branch .LBB193_1448
.LBB193_1440:
	s_mov_b32 s0, -1
                                        ; implicit-def: $vgpr9_vgpr10
	s_branch .LBB193_1445
.LBB193_1441:
	s_mov_b32 s0, -1
                                        ; implicit-def: $vgpr9_vgpr10
.LBB193_1442:
	s_delay_alu instid0(SALU_CYCLE_1)
	s_and_not1_b32 vcc_lo, exec_lo, s0
	s_cbranch_vccnz .LBB193_1444
; %bb.1443:
	global_load_b32 v9, v[11:12], off
	s_waitcnt vmcnt(0)
	v_cvt_f64_i32_e32 v[9:10], v9
.LBB193_1444:
	s_mov_b32 s0, 0
.LBB193_1445:
	s_delay_alu instid0(SALU_CYCLE_1)
	s_and_not1_b32 vcc_lo, exec_lo, s0
	s_cbranch_vccnz .LBB193_1447
; %bb.1446:
	global_load_i16 v9, v[11:12], off
	s_waitcnt vmcnt(0)
	v_cvt_f64_i32_e32 v[9:10], v9
.LBB193_1447:
	s_mov_b32 s0, 0
.LBB193_1448:
	s_delay_alu instid0(SALU_CYCLE_1)
	s_and_not1_b32 vcc_lo, exec_lo, s0
	s_cbranch_vccnz .LBB193_1454
; %bb.1449:
	v_cmp_lt_i16_e32 vcc_lo, 0, v15
	s_mov_b32 s0, 0
	s_cbranch_vccz .LBB193_1451
; %bb.1450:
	global_load_i8 v9, v[11:12], off
	s_waitcnt vmcnt(0)
	v_cvt_f64_i32_e32 v[9:10], v9
	s_branch .LBB193_1452
.LBB193_1451:
	s_mov_b32 s0, -1
                                        ; implicit-def: $vgpr9_vgpr10
.LBB193_1452:
	s_delay_alu instid0(SALU_CYCLE_1)
	s_and_not1_b32 vcc_lo, exec_lo, s0
	s_cbranch_vccnz .LBB193_1454
; %bb.1453:
	global_load_u8 v9, v[11:12], off
	s_waitcnt vmcnt(0)
	v_cvt_f64_u32_e32 v[9:10], v9
.LBB193_1454:
	s_branch .LBB193_1526
.LBB193_1455:
	s_trap 2
	s_sendmsg_rtn_b32 s0, sendmsg(MSG_RTN_GET_DOORBELL)
	s_mov_b32 ttmp2, m0
	s_waitcnt lgkmcnt(0)
	s_and_b32 s0, s0, 0x3ff
	s_delay_alu instid0(SALU_CYCLE_1) | instskip(NEXT) | instid1(SALU_CYCLE_1)
	s_bitset1_b32 s0, 10
	s_mov_b32 m0, s0
	s_sendmsg sendmsg(MSG_INTERRUPT)
	s_mov_b32 m0, ttmp2
.LBB193_1456:                           ; =>This Inner Loop Header: Depth=1
	s_sethalt 5
	s_branch .LBB193_1456
.LBB193_1457:
	s_mov_b32 s10, -1
.LBB193_1458:
                                        ; implicit-def: $vgpr9_vgpr10
.LBB193_1459:
	s_and_b32 vcc_lo, exec_lo, s1
	s_cbranch_vccz .LBB193_1463
; %bb.1460:
	v_cmp_eq_u16_e32 vcc_lo, 44, v15
	s_cbranch_vccz .LBB193_1462
; %bb.1461:
	global_load_u8 v13, v[11:12], off
	s_mov_b32 s10, 0
	s_mov_b32 s0, -1
	s_waitcnt vmcnt(0)
	v_cmp_ne_u32_e32 vcc_lo, 0xff, v13
	v_lshlrev_b32_e32 v9, 23, v13
	s_delay_alu instid0(VALU_DEP_1) | instskip(NEXT) | instid1(VALU_DEP_1)
	v_cvt_f64_f32_e32 v[9:10], v9
	v_cndmask_b32_e32 v10, 0x7ff80000, v10, vcc_lo
	s_delay_alu instid0(VALU_DEP_2) | instskip(SKIP_1) | instid1(VALU_DEP_3)
	v_cndmask_b32_e32 v9, 0x20000000, v9, vcc_lo
	v_cmp_ne_u32_e32 vcc_lo, 0, v13
	v_cndmask_b32_e32 v10, 0x38000000, v10, vcc_lo
	s_delay_alu instid0(VALU_DEP_3)
	v_cndmask_b32_e32 v9, 0, v9, vcc_lo
	s_branch .LBB193_1463
.LBB193_1462:
	s_mov_b32 s10, -1
                                        ; implicit-def: $vgpr9_vgpr10
.LBB193_1463:
	s_mov_b32 s1, 0
.LBB193_1464:
	s_delay_alu instid0(SALU_CYCLE_1)
	s_and_b32 vcc_lo, exec_lo, s1
	s_cbranch_vccz .LBB193_1468
; %bb.1465:
	v_cmp_eq_u16_e32 vcc_lo, 29, v15
	s_cbranch_vccz .LBB193_1467
; %bb.1466:
	global_load_b64 v[9:10], v[11:12], off
	s_mov_b32 s10, 0
	s_mov_b32 s0, -1
	s_mov_b32 s1, 0
	s_waitcnt vmcnt(0)
	v_cvt_f64_u32_e32 v[13:14], v10
	v_cvt_f64_u32_e32 v[9:10], v9
	s_delay_alu instid0(VALU_DEP_2) | instskip(NEXT) | instid1(VALU_DEP_1)
	v_ldexp_f64 v[13:14], v[13:14], 32
	v_add_f64 v[9:10], v[13:14], v[9:10]
	s_branch .LBB193_1469
.LBB193_1467:
	s_mov_b32 s10, -1
                                        ; implicit-def: $vgpr9_vgpr10
.LBB193_1468:
	s_mov_b32 s1, 0
.LBB193_1469:
	s_delay_alu instid0(SALU_CYCLE_1)
	s_and_b32 vcc_lo, exec_lo, s1
	s_cbranch_vccz .LBB193_1489
; %bb.1470:
	v_cmp_gt_i16_e32 vcc_lo, 27, v15
	s_cbranch_vccnz .LBB193_1473
; %bb.1471:
	v_cmp_lt_i16_e32 vcc_lo, 27, v15
	s_cbranch_vccz .LBB193_1474
; %bb.1472:
	global_load_b32 v9, v[11:12], off
	s_mov_b32 s0, 0
	s_waitcnt vmcnt(0)
	v_cvt_f64_u32_e32 v[9:10], v9
	s_branch .LBB193_1475
.LBB193_1473:
	s_mov_b32 s0, -1
                                        ; implicit-def: $vgpr9_vgpr10
	s_branch .LBB193_1478
.LBB193_1474:
	s_mov_b32 s0, -1
                                        ; implicit-def: $vgpr9_vgpr10
.LBB193_1475:
	s_delay_alu instid0(SALU_CYCLE_1)
	s_and_not1_b32 vcc_lo, exec_lo, s0
	s_cbranch_vccnz .LBB193_1477
; %bb.1476:
	global_load_u16 v9, v[11:12], off
	s_waitcnt vmcnt(0)
	v_cvt_f64_u32_e32 v[9:10], v9
.LBB193_1477:
	s_mov_b32 s0, 0
.LBB193_1478:
	s_delay_alu instid0(SALU_CYCLE_1)
	s_and_not1_b32 vcc_lo, exec_lo, s0
	s_cbranch_vccnz .LBB193_1488
; %bb.1479:
	global_load_u8 v13, v[11:12], off
	s_mov_b32 s12, 0
	s_mov_b32 s13, exec_lo
                                        ; implicit-def: $sgpr0_sgpr1
	s_waitcnt vmcnt(0)
	v_cmpx_lt_i16_e32 0x7f, v13
	s_xor_b32 s13, exec_lo, s13
	s_cbranch_execz .LBB193_1483
; %bb.1480:
	s_mov_b32 s14, -1
	s_mov_b32 s12, exec_lo
                                        ; implicit-def: $sgpr0_sgpr1
	v_cmpx_eq_u16_e32 0x80, v13
; %bb.1481:
	s_mov_b32 s1, 0x7ff80000
	s_brev_b32 s0, 4
	s_xor_b32 s14, exec_lo, -1
; %bb.1482:
	s_or_b32 exec_lo, exec_lo, s12
	s_delay_alu instid0(SALU_CYCLE_1)
	s_and_b32 s12, s14, exec_lo
.LBB193_1483:
	s_or_saveexec_b32 s13, s13
	v_dual_mov_b32 v10, s1 :: v_dual_mov_b32 v9, s0
	s_xor_b32 exec_lo, exec_lo, s13
; %bb.1484:
	v_cmp_ne_u16_e32 vcc_lo, 0, v13
	v_mov_b32_e32 v9, 0
	v_mov_b32_e32 v10, 0
	s_and_not1_b32 s0, s12, exec_lo
	s_and_b32 s1, vcc_lo, exec_lo
	s_delay_alu instid0(SALU_CYCLE_1)
	s_or_b32 s12, s0, s1
; %bb.1485:
	s_or_b32 exec_lo, exec_lo, s13
	s_and_saveexec_b32 s0, s12
	s_cbranch_execz .LBB193_1487
; %bb.1486:
	v_and_b32_e32 v9, 0xffff, v13
	v_lshlrev_b32_e32 v13, 24, v13
	s_delay_alu instid0(VALU_DEP_2) | instskip(NEXT) | instid1(VALU_DEP_2)
	v_and_b32_e32 v10, 7, v9
	v_and_b32_e32 v13, 0x80000000, v13
	s_delay_alu instid0(VALU_DEP_2) | instskip(NEXT) | instid1(VALU_DEP_1)
	v_clz_i32_u32_e32 v14, v10
	v_min_u32_e32 v14, 32, v14
	s_delay_alu instid0(VALU_DEP_1) | instskip(SKIP_1) | instid1(VALU_DEP_2)
	v_subrev_nc_u32_e32 v16, 28, v14
	v_sub_nc_u32_e32 v14, 29, v14
	v_lshlrev_b32_e32 v16, v16, v9
	v_bfe_u32 v9, v9, 3, 4
	s_delay_alu instid0(VALU_DEP_2) | instskip(NEXT) | instid1(VALU_DEP_2)
	v_and_b32_e32 v16, 7, v16
	v_cmp_eq_u32_e32 vcc_lo, 0, v9
	s_delay_alu instid0(VALU_DEP_2) | instskip(NEXT) | instid1(VALU_DEP_1)
	v_dual_cndmask_b32 v9, v9, v14 :: v_dual_cndmask_b32 v10, v10, v16
	v_lshl_add_u32 v9, v9, 23, 0x3b800000
	s_delay_alu instid0(VALU_DEP_2) | instskip(NEXT) | instid1(VALU_DEP_1)
	v_lshlrev_b32_e32 v10, 20, v10
	v_or3_b32 v9, v13, v9, v10
	s_delay_alu instid0(VALU_DEP_1)
	v_cvt_f64_f32_e32 v[9:10], v9
.LBB193_1487:
	s_or_b32 exec_lo, exec_lo, s0
.LBB193_1488:
	s_mov_b32 s0, -1
.LBB193_1489:
	s_mov_b32 s1, 0
.LBB193_1490:
	s_delay_alu instid0(SALU_CYCLE_1)
	s_and_b32 vcc_lo, exec_lo, s1
	s_cbranch_vccz .LBB193_1521
; %bb.1491:
	v_cmp_lt_i16_e32 vcc_lo, 22, v15
	s_cbranch_vccz .LBB193_1503
; %bb.1492:
	v_cmp_gt_i16_e32 vcc_lo, 24, v15
	s_cbranch_vccnz .LBB193_1504
; %bb.1493:
	v_cmp_lt_i16_e32 vcc_lo, 24, v15
	s_cbranch_vccz .LBB193_1505
; %bb.1494:
	global_load_u8 v13, v[11:12], off
	s_mov_b32 s12, exec_lo
                                        ; implicit-def: $sgpr0_sgpr1
	s_waitcnt vmcnt(0)
	v_cmpx_lt_i16_e32 0x7f, v13
	s_xor_b32 s12, exec_lo, s12
	s_cbranch_execz .LBB193_1498
; %bb.1495:
	s_mov_b32 s13, -1
	s_mov_b32 s11, exec_lo
                                        ; implicit-def: $sgpr0_sgpr1
	v_cmpx_eq_u16_e32 0x80, v13
; %bb.1496:
	s_mov_b32 s1, 0x7ff80000
	s_brev_b32 s0, 4
	s_xor_b32 s13, exec_lo, -1
; %bb.1497:
	s_or_b32 exec_lo, exec_lo, s11
	s_delay_alu instid0(SALU_CYCLE_1)
	s_and_b32 s11, s13, exec_lo
.LBB193_1498:
	s_or_saveexec_b32 s12, s12
	v_dual_mov_b32 v10, s1 :: v_dual_mov_b32 v9, s0
	s_xor_b32 exec_lo, exec_lo, s12
; %bb.1499:
	v_cmp_ne_u16_e32 vcc_lo, 0, v13
	v_mov_b32_e32 v9, 0
	v_mov_b32_e32 v10, 0
	s_and_not1_b32 s0, s11, exec_lo
	s_and_b32 s1, vcc_lo, exec_lo
	s_delay_alu instid0(SALU_CYCLE_1)
	s_or_b32 s11, s0, s1
; %bb.1500:
	s_or_b32 exec_lo, exec_lo, s12
	s_and_saveexec_b32 s0, s11
	s_cbranch_execz .LBB193_1502
; %bb.1501:
	v_and_b32_e32 v9, 0xffff, v13
	v_lshlrev_b32_e32 v13, 24, v13
	s_delay_alu instid0(VALU_DEP_2) | instskip(NEXT) | instid1(VALU_DEP_2)
	v_and_b32_e32 v10, 3, v9
	v_and_b32_e32 v13, 0x80000000, v13
	s_delay_alu instid0(VALU_DEP_2) | instskip(NEXT) | instid1(VALU_DEP_1)
	v_clz_i32_u32_e32 v14, v10
	v_min_u32_e32 v14, 32, v14
	s_delay_alu instid0(VALU_DEP_1) | instskip(SKIP_1) | instid1(VALU_DEP_2)
	v_subrev_nc_u32_e32 v16, 29, v14
	v_sub_nc_u32_e32 v14, 30, v14
	v_lshlrev_b32_e32 v16, v16, v9
	v_bfe_u32 v9, v9, 2, 5
	s_delay_alu instid0(VALU_DEP_2) | instskip(NEXT) | instid1(VALU_DEP_2)
	v_and_b32_e32 v16, 3, v16
	v_cmp_eq_u32_e32 vcc_lo, 0, v9
	s_delay_alu instid0(VALU_DEP_2) | instskip(NEXT) | instid1(VALU_DEP_1)
	v_dual_cndmask_b32 v9, v9, v14 :: v_dual_cndmask_b32 v10, v10, v16
	v_lshl_add_u32 v9, v9, 23, 0x37800000
	s_delay_alu instid0(VALU_DEP_2) | instskip(NEXT) | instid1(VALU_DEP_1)
	v_lshlrev_b32_e32 v10, 21, v10
	v_or3_b32 v9, v13, v9, v10
	s_delay_alu instid0(VALU_DEP_1)
	v_cvt_f64_f32_e32 v[9:10], v9
.LBB193_1502:
	s_or_b32 exec_lo, exec_lo, s0
	s_mov_b32 s0, 0
	s_branch .LBB193_1506
.LBB193_1503:
	s_mov_b32 s1, -1
                                        ; implicit-def: $vgpr9_vgpr10
	s_branch .LBB193_1512
.LBB193_1504:
	s_mov_b32 s0, -1
                                        ; implicit-def: $vgpr9_vgpr10
	s_branch .LBB193_1509
.LBB193_1505:
	s_mov_b32 s0, -1
                                        ; implicit-def: $vgpr9_vgpr10
.LBB193_1506:
	s_delay_alu instid0(SALU_CYCLE_1)
	s_and_b32 vcc_lo, exec_lo, s0
	s_cbranch_vccz .LBB193_1508
; %bb.1507:
	global_load_u8 v9, v[11:12], off
	s_waitcnt vmcnt(0)
	v_lshlrev_b32_e32 v9, 24, v9
	s_delay_alu instid0(VALU_DEP_1) | instskip(NEXT) | instid1(VALU_DEP_1)
	v_and_b32_e32 v10, 0x7f000000, v9
	v_clz_i32_u32_e32 v13, v10
	v_add_nc_u32_e32 v16, 0x1000000, v10
	v_cmp_ne_u32_e32 vcc_lo, 0, v10
	s_delay_alu instid0(VALU_DEP_3) | instskip(NEXT) | instid1(VALU_DEP_1)
	v_min_u32_e32 v13, 32, v13
	v_sub_nc_u32_e64 v13, v13, 4 clamp
	s_delay_alu instid0(VALU_DEP_1) | instskip(SKIP_1) | instid1(VALU_DEP_2)
	v_lshlrev_b32_e32 v14, v13, v10
	v_lshlrev_b32_e32 v13, 23, v13
	v_lshrrev_b32_e32 v14, 4, v14
	s_delay_alu instid0(VALU_DEP_1) | instskip(SKIP_1) | instid1(VALU_DEP_2)
	v_sub_nc_u32_e32 v13, v14, v13
	v_ashrrev_i32_e32 v14, 8, v16
	v_add_nc_u32_e32 v13, 0x3c000000, v13
	s_delay_alu instid0(VALU_DEP_1) | instskip(NEXT) | instid1(VALU_DEP_1)
	v_and_or_b32 v13, 0x7f800000, v14, v13
	v_cndmask_b32_e32 v10, 0, v13, vcc_lo
	s_delay_alu instid0(VALU_DEP_1) | instskip(NEXT) | instid1(VALU_DEP_1)
	v_and_or_b32 v9, 0x80000000, v9, v10
	v_cvt_f64_f32_e32 v[9:10], v9
.LBB193_1508:
	s_mov_b32 s0, 0
.LBB193_1509:
	s_delay_alu instid0(SALU_CYCLE_1)
	s_and_not1_b32 vcc_lo, exec_lo, s0
	s_cbranch_vccnz .LBB193_1511
; %bb.1510:
	global_load_u8 v9, v[11:12], off
	s_waitcnt vmcnt(0)
	v_lshlrev_b32_e32 v10, 25, v9
	v_lshlrev_b16 v9, 8, v9
	s_delay_alu instid0(VALU_DEP_2) | instskip(NEXT) | instid1(VALU_DEP_2)
	v_lshrrev_b32_e32 v13, 4, v10
	v_and_or_b32 v14, 0x7f00, v9, 0.5
	v_cmp_gt_u32_e32 vcc_lo, 0x8000000, v10
	v_bfe_i32 v9, v9, 0, 16
	s_delay_alu instid0(VALU_DEP_4) | instskip(NEXT) | instid1(VALU_DEP_1)
	v_or_b32_e32 v13, 0x70000000, v13
	v_dual_add_f32 v14, -0.5, v14 :: v_dual_mul_f32 v13, 0x7800000, v13
	s_delay_alu instid0(VALU_DEP_1) | instskip(NEXT) | instid1(VALU_DEP_1)
	v_cndmask_b32_e32 v10, v13, v14, vcc_lo
	v_and_or_b32 v9, 0x80000000, v9, v10
	s_delay_alu instid0(VALU_DEP_1)
	v_cvt_f64_f32_e32 v[9:10], v9
.LBB193_1511:
	s_mov_b32 s1, 0
	s_mov_b32 s0, -1
.LBB193_1512:
	s_and_not1_b32 vcc_lo, exec_lo, s1
	s_mov_b32 s11, 0
	s_cbranch_vccnz .LBB193_1521
; %bb.1513:
	v_cmp_lt_i16_e32 vcc_lo, 14, v15
	s_cbranch_vccz .LBB193_1516
; %bb.1514:
	v_cmp_eq_u16_e32 vcc_lo, 15, v15
	s_cbranch_vccz .LBB193_1517
; %bb.1515:
	global_load_u16 v9, v[11:12], off
	s_mov_b32 s10, 0
	s_mov_b32 s0, -1
	s_waitcnt vmcnt(0)
	v_lshlrev_b32_e32 v9, 16, v9
	s_delay_alu instid0(VALU_DEP_1)
	v_cvt_f64_f32_e32 v[9:10], v9
	s_branch .LBB193_1518
.LBB193_1516:
	s_mov_b32 s1, -1
                                        ; implicit-def: $vgpr9_vgpr10
	s_branch .LBB193_1519
.LBB193_1517:
	s_mov_b32 s10, -1
                                        ; implicit-def: $vgpr9_vgpr10
.LBB193_1518:
	s_mov_b32 s1, 0
.LBB193_1519:
	s_delay_alu instid0(SALU_CYCLE_1)
	s_and_b32 vcc_lo, exec_lo, s1
	s_cbranch_vccz .LBB193_1521
; %bb.1520:
	v_cmp_ne_u16_e64 s10, 11, v15
	s_mov_b32 s11, -1
                                        ; implicit-def: $vgpr9_vgpr10
.LBB193_1521:
	s_delay_alu instid0(VALU_DEP_1)
	s_and_b32 vcc_lo, exec_lo, s10
	s_cbranch_vccnz .LBB193_1537
; %bb.1522:
	s_and_not1_b32 vcc_lo, exec_lo, s11
	s_cbranch_vccnz .LBB193_1524
.LBB193_1523:
	global_load_u8 v9, v[11:12], off
	s_mov_b32 s0, -1
	s_waitcnt vmcnt(0)
	v_cmp_ne_u16_e32 vcc_lo, 0, v9
	v_mov_b32_e32 v9, 0
	v_cndmask_b32_e64 v10, 0, 0x3ff00000, vcc_lo
.LBB193_1524:
.LBB193_1525:
	s_and_not1_b32 vcc_lo, exec_lo, s0
	s_cbranch_vccnz .LBB193_2090
.LBB193_1526:
	v_cmp_gt_i16_e32 vcc_lo, 11, v15
	v_add_co_u32 v13, s0, s6, v3
	s_delay_alu instid0(VALU_DEP_1)
	v_add_co_ci_u32_e64 v14, null, s7, 0, s0
	s_mov_b32 s0, 0
	s_cbranch_vccnz .LBB193_1533
; %bb.1527:
	v_cmp_lt_i16_e32 vcc_lo, 25, v15
	s_mov_b32 s7, 0
	s_cbranch_vccz .LBB193_1534
; %bb.1528:
	v_cmp_lt_i16_e32 vcc_lo, 28, v15
	s_cbranch_vccz .LBB193_1535
; %bb.1529:
	v_cmp_lt_i16_e32 vcc_lo, 43, v15
	;; [unrolled: 3-line block ×3, first 2 shown]
	s_cbranch_vccz .LBB193_1539
; %bb.1531:
	v_cmp_eq_u16_e32 vcc_lo, 46, v15
	s_mov_b32 s1, 0
	s_cbranch_vccz .LBB193_1542
; %bb.1532:
	global_load_b32 v3, v[13:14], off
	s_mov_b32 s6, 0
	s_mov_b32 s0, -1
	s_waitcnt vmcnt(0)
	v_lshlrev_b32_e32 v3, 16, v3
	s_delay_alu instid0(VALU_DEP_1)
	v_cvt_f64_f32_e32 v[11:12], v3
	s_branch .LBB193_1544
.LBB193_1533:
	s_mov_b32 s1, -1
                                        ; implicit-def: $vgpr11_vgpr12
	s_branch .LBB193_1610
.LBB193_1534:
	s_mov_b32 s1, -1
	s_mov_b32 s6, 0
                                        ; implicit-def: $vgpr11_vgpr12
	s_branch .LBB193_1575
.LBB193_1535:
	s_mov_b32 s1, -1
	s_mov_b32 s6, 0
                                        ; implicit-def: $vgpr11_vgpr12
	s_branch .LBB193_1554
.LBB193_1536:
	s_mov_b32 s1, -1
	s_mov_b32 s6, 0
                                        ; implicit-def: $vgpr11_vgpr12
	s_branch .LBB193_1549
.LBB193_1537:
	s_cbranch_execnz .LBB193_1540
; %bb.1538:
	s_or_b32 s2, s2, exec_lo
                                        ; implicit-def: $vgpr9_vgpr10
	s_cbranch_execz .LBB193_1523
	s_branch .LBB193_1524
.LBB193_1539:
	s_mov_b32 s1, -1
	s_mov_b32 s6, 0
	s_branch .LBB193_1543
.LBB193_1540:
	s_trap 2
	s_sendmsg_rtn_b32 s0, sendmsg(MSG_RTN_GET_DOORBELL)
	s_mov_b32 ttmp2, m0
	s_waitcnt lgkmcnt(0)
	s_and_b32 s0, s0, 0x3ff
	s_delay_alu instid0(SALU_CYCLE_1) | instskip(NEXT) | instid1(SALU_CYCLE_1)
	s_bitset1_b32 s0, 10
	s_mov_b32 m0, s0
	s_sendmsg sendmsg(MSG_INTERRUPT)
	s_mov_b32 m0, ttmp2
.LBB193_1541:                           ; =>This Inner Loop Header: Depth=1
	s_sethalt 5
	s_branch .LBB193_1541
.LBB193_1542:
	s_mov_b32 s6, -1
.LBB193_1543:
                                        ; implicit-def: $vgpr11_vgpr12
.LBB193_1544:
	s_and_b32 vcc_lo, exec_lo, s1
	s_cbranch_vccz .LBB193_1548
; %bb.1545:
	v_cmp_eq_u16_e32 vcc_lo, 44, v15
	s_cbranch_vccz .LBB193_1547
; %bb.1546:
	global_load_u8 v3, v[13:14], off
	s_mov_b32 s6, 0
	s_mov_b32 s0, -1
	s_waitcnt vmcnt(0)
	v_cmp_ne_u32_e32 vcc_lo, 0xff, v3
	v_lshlrev_b32_e32 v11, 23, v3
	s_delay_alu instid0(VALU_DEP_1) | instskip(NEXT) | instid1(VALU_DEP_1)
	v_cvt_f64_f32_e32 v[11:12], v11
	v_cndmask_b32_e32 v12, 0x7ff80000, v12, vcc_lo
	s_delay_alu instid0(VALU_DEP_2) | instskip(SKIP_1) | instid1(VALU_DEP_3)
	v_cndmask_b32_e32 v11, 0x20000000, v11, vcc_lo
	v_cmp_ne_u32_e32 vcc_lo, 0, v3
	v_cndmask_b32_e32 v12, 0x38000000, v12, vcc_lo
	s_delay_alu instid0(VALU_DEP_3)
	v_cndmask_b32_e32 v11, 0, v11, vcc_lo
	s_branch .LBB193_1548
.LBB193_1547:
	s_mov_b32 s6, -1
                                        ; implicit-def: $vgpr11_vgpr12
.LBB193_1548:
	s_mov_b32 s1, 0
.LBB193_1549:
	s_delay_alu instid0(SALU_CYCLE_1)
	s_and_b32 vcc_lo, exec_lo, s1
	s_cbranch_vccz .LBB193_1553
; %bb.1550:
	v_cmp_eq_u16_e32 vcc_lo, 29, v15
	s_cbranch_vccz .LBB193_1552
; %bb.1551:
	global_load_b64 v[11:12], v[13:14], off
	s_mov_b32 s6, 0
	s_mov_b32 s0, -1
	s_mov_b32 s1, 0
	s_waitcnt vmcnt(0)
	v_cvt_f64_u32_e32 v[16:17], v12
	v_cvt_f64_u32_e32 v[11:12], v11
	s_delay_alu instid0(VALU_DEP_2) | instskip(NEXT) | instid1(VALU_DEP_1)
	v_ldexp_f64 v[16:17], v[16:17], 32
	v_add_f64 v[11:12], v[16:17], v[11:12]
	s_branch .LBB193_1554
.LBB193_1552:
	s_mov_b32 s6, -1
                                        ; implicit-def: $vgpr11_vgpr12
.LBB193_1553:
	s_mov_b32 s1, 0
.LBB193_1554:
	s_delay_alu instid0(SALU_CYCLE_1)
	s_and_b32 vcc_lo, exec_lo, s1
	s_cbranch_vccz .LBB193_1574
; %bb.1555:
	v_cmp_gt_i16_e32 vcc_lo, 27, v15
	s_cbranch_vccnz .LBB193_1558
; %bb.1556:
	v_cmp_lt_i16_e32 vcc_lo, 27, v15
	s_cbranch_vccz .LBB193_1559
; %bb.1557:
	global_load_b32 v3, v[13:14], off
	s_mov_b32 s0, 0
	s_waitcnt vmcnt(0)
	v_cvt_f64_u32_e32 v[11:12], v3
	s_branch .LBB193_1560
.LBB193_1558:
	s_mov_b32 s0, -1
                                        ; implicit-def: $vgpr11_vgpr12
	s_branch .LBB193_1563
.LBB193_1559:
	s_mov_b32 s0, -1
                                        ; implicit-def: $vgpr11_vgpr12
.LBB193_1560:
	s_delay_alu instid0(SALU_CYCLE_1)
	s_and_not1_b32 vcc_lo, exec_lo, s0
	s_cbranch_vccnz .LBB193_1562
; %bb.1561:
	global_load_u16 v3, v[13:14], off
	s_waitcnt vmcnt(0)
	v_cvt_f64_u32_e32 v[11:12], v3
.LBB193_1562:
	s_mov_b32 s0, 0
.LBB193_1563:
	s_delay_alu instid0(SALU_CYCLE_1)
	s_and_not1_b32 vcc_lo, exec_lo, s0
	s_cbranch_vccnz .LBB193_1573
; %bb.1564:
	global_load_u8 v3, v[13:14], off
	s_mov_b32 s10, 0
	s_mov_b32 s11, exec_lo
                                        ; implicit-def: $sgpr0_sgpr1
	s_waitcnt vmcnt(0)
	v_cmpx_lt_i16_e32 0x7f, v3
	s_xor_b32 s11, exec_lo, s11
	s_cbranch_execz .LBB193_1568
; %bb.1565:
	s_mov_b32 s12, -1
	s_mov_b32 s10, exec_lo
                                        ; implicit-def: $sgpr0_sgpr1
	v_cmpx_eq_u16_e32 0x80, v3
; %bb.1566:
	s_mov_b32 s1, 0x7ff80000
	s_brev_b32 s0, 4
	s_xor_b32 s12, exec_lo, -1
; %bb.1567:
	s_or_b32 exec_lo, exec_lo, s10
	s_delay_alu instid0(SALU_CYCLE_1)
	s_and_b32 s10, s12, exec_lo
.LBB193_1568:
	s_or_saveexec_b32 s11, s11
	v_dual_mov_b32 v12, s1 :: v_dual_mov_b32 v11, s0
	s_xor_b32 exec_lo, exec_lo, s11
; %bb.1569:
	v_cmp_ne_u16_e32 vcc_lo, 0, v3
	v_mov_b32_e32 v11, 0
	v_mov_b32_e32 v12, 0
	s_and_not1_b32 s0, s10, exec_lo
	s_and_b32 s1, vcc_lo, exec_lo
	s_delay_alu instid0(SALU_CYCLE_1)
	s_or_b32 s10, s0, s1
; %bb.1570:
	s_or_b32 exec_lo, exec_lo, s11
	s_and_saveexec_b32 s0, s10
	s_cbranch_execz .LBB193_1572
; %bb.1571:
	v_and_b32_e32 v11, 0xffff, v3
	v_lshlrev_b32_e32 v3, 24, v3
	s_delay_alu instid0(VALU_DEP_2) | instskip(NEXT) | instid1(VALU_DEP_2)
	v_and_b32_e32 v12, 7, v11
	v_and_b32_e32 v3, 0x80000000, v3
	s_delay_alu instid0(VALU_DEP_2) | instskip(NEXT) | instid1(VALU_DEP_1)
	v_clz_i32_u32_e32 v16, v12
	v_min_u32_e32 v16, 32, v16
	s_delay_alu instid0(VALU_DEP_1) | instskip(SKIP_1) | instid1(VALU_DEP_2)
	v_subrev_nc_u32_e32 v17, 28, v16
	v_sub_nc_u32_e32 v16, 29, v16
	v_lshlrev_b32_e32 v17, v17, v11
	v_bfe_u32 v11, v11, 3, 4
	s_delay_alu instid0(VALU_DEP_2) | instskip(NEXT) | instid1(VALU_DEP_2)
	v_and_b32_e32 v17, 7, v17
	v_cmp_eq_u32_e32 vcc_lo, 0, v11
	s_delay_alu instid0(VALU_DEP_2) | instskip(NEXT) | instid1(VALU_DEP_1)
	v_dual_cndmask_b32 v11, v11, v16 :: v_dual_cndmask_b32 v12, v12, v17
	v_lshl_add_u32 v11, v11, 23, 0x3b800000
	s_delay_alu instid0(VALU_DEP_2) | instskip(NEXT) | instid1(VALU_DEP_1)
	v_lshlrev_b32_e32 v12, 20, v12
	v_or3_b32 v3, v3, v11, v12
	s_delay_alu instid0(VALU_DEP_1)
	v_cvt_f64_f32_e32 v[11:12], v3
.LBB193_1572:
	s_or_b32 exec_lo, exec_lo, s0
.LBB193_1573:
	s_mov_b32 s0, -1
.LBB193_1574:
	s_mov_b32 s1, 0
.LBB193_1575:
	s_delay_alu instid0(SALU_CYCLE_1)
	s_and_b32 vcc_lo, exec_lo, s1
	s_cbranch_vccz .LBB193_1606
; %bb.1576:
	v_cmp_lt_i16_e32 vcc_lo, 22, v15
	s_cbranch_vccz .LBB193_1588
; %bb.1577:
	v_cmp_gt_i16_e32 vcc_lo, 24, v15
	s_cbranch_vccnz .LBB193_1589
; %bb.1578:
	v_cmp_lt_i16_e32 vcc_lo, 24, v15
	s_cbranch_vccz .LBB193_1590
; %bb.1579:
	global_load_u8 v3, v[13:14], off
	s_mov_b32 s10, exec_lo
                                        ; implicit-def: $sgpr0_sgpr1
	s_waitcnt vmcnt(0)
	v_cmpx_lt_i16_e32 0x7f, v3
	s_xor_b32 s10, exec_lo, s10
	s_cbranch_execz .LBB193_1583
; %bb.1580:
	s_mov_b32 s11, -1
	s_mov_b32 s7, exec_lo
                                        ; implicit-def: $sgpr0_sgpr1
	v_cmpx_eq_u16_e32 0x80, v3
; %bb.1581:
	s_mov_b32 s1, 0x7ff80000
	s_brev_b32 s0, 4
	s_xor_b32 s11, exec_lo, -1
; %bb.1582:
	s_or_b32 exec_lo, exec_lo, s7
	s_delay_alu instid0(SALU_CYCLE_1)
	s_and_b32 s7, s11, exec_lo
.LBB193_1583:
	s_or_saveexec_b32 s10, s10
	v_dual_mov_b32 v12, s1 :: v_dual_mov_b32 v11, s0
	s_xor_b32 exec_lo, exec_lo, s10
; %bb.1584:
	v_cmp_ne_u16_e32 vcc_lo, 0, v3
	v_mov_b32_e32 v11, 0
	v_mov_b32_e32 v12, 0
	s_and_not1_b32 s0, s7, exec_lo
	s_and_b32 s1, vcc_lo, exec_lo
	s_delay_alu instid0(SALU_CYCLE_1)
	s_or_b32 s7, s0, s1
; %bb.1585:
	s_or_b32 exec_lo, exec_lo, s10
	s_and_saveexec_b32 s0, s7
	s_cbranch_execz .LBB193_1587
; %bb.1586:
	v_and_b32_e32 v11, 0xffff, v3
	v_lshlrev_b32_e32 v3, 24, v3
	s_delay_alu instid0(VALU_DEP_2) | instskip(NEXT) | instid1(VALU_DEP_2)
	v_and_b32_e32 v12, 3, v11
	v_and_b32_e32 v3, 0x80000000, v3
	s_delay_alu instid0(VALU_DEP_2) | instskip(NEXT) | instid1(VALU_DEP_1)
	v_clz_i32_u32_e32 v16, v12
	v_min_u32_e32 v16, 32, v16
	s_delay_alu instid0(VALU_DEP_1) | instskip(SKIP_1) | instid1(VALU_DEP_2)
	v_subrev_nc_u32_e32 v17, 29, v16
	v_sub_nc_u32_e32 v16, 30, v16
	v_lshlrev_b32_e32 v17, v17, v11
	v_bfe_u32 v11, v11, 2, 5
	s_delay_alu instid0(VALU_DEP_2) | instskip(NEXT) | instid1(VALU_DEP_2)
	v_and_b32_e32 v17, 3, v17
	v_cmp_eq_u32_e32 vcc_lo, 0, v11
	s_delay_alu instid0(VALU_DEP_2) | instskip(NEXT) | instid1(VALU_DEP_1)
	v_dual_cndmask_b32 v11, v11, v16 :: v_dual_cndmask_b32 v12, v12, v17
	v_lshl_add_u32 v11, v11, 23, 0x37800000
	s_delay_alu instid0(VALU_DEP_2) | instskip(NEXT) | instid1(VALU_DEP_1)
	v_lshlrev_b32_e32 v12, 21, v12
	v_or3_b32 v3, v3, v11, v12
	s_delay_alu instid0(VALU_DEP_1)
	v_cvt_f64_f32_e32 v[11:12], v3
.LBB193_1587:
	s_or_b32 exec_lo, exec_lo, s0
	s_mov_b32 s0, 0
	s_branch .LBB193_1591
.LBB193_1588:
	s_mov_b32 s1, -1
                                        ; implicit-def: $vgpr11_vgpr12
	s_branch .LBB193_1597
.LBB193_1589:
	s_mov_b32 s0, -1
                                        ; implicit-def: $vgpr11_vgpr12
	s_branch .LBB193_1594
.LBB193_1590:
	s_mov_b32 s0, -1
                                        ; implicit-def: $vgpr11_vgpr12
.LBB193_1591:
	s_delay_alu instid0(SALU_CYCLE_1)
	s_and_b32 vcc_lo, exec_lo, s0
	s_cbranch_vccz .LBB193_1593
; %bb.1592:
	global_load_u8 v3, v[13:14], off
	s_waitcnt vmcnt(0)
	v_lshlrev_b32_e32 v3, 24, v3
	s_delay_alu instid0(VALU_DEP_1) | instskip(NEXT) | instid1(VALU_DEP_1)
	v_and_b32_e32 v11, 0x7f000000, v3
	v_clz_i32_u32_e32 v12, v11
	v_cmp_ne_u32_e32 vcc_lo, 0, v11
	v_add_nc_u32_e32 v17, 0x1000000, v11
	s_delay_alu instid0(VALU_DEP_3) | instskip(NEXT) | instid1(VALU_DEP_1)
	v_min_u32_e32 v12, 32, v12
	v_sub_nc_u32_e64 v12, v12, 4 clamp
	s_delay_alu instid0(VALU_DEP_1) | instskip(SKIP_1) | instid1(VALU_DEP_2)
	v_lshlrev_b32_e32 v16, v12, v11
	v_lshlrev_b32_e32 v12, 23, v12
	v_lshrrev_b32_e32 v16, 4, v16
	s_delay_alu instid0(VALU_DEP_1) | instskip(SKIP_1) | instid1(VALU_DEP_2)
	v_sub_nc_u32_e32 v12, v16, v12
	v_ashrrev_i32_e32 v16, 8, v17
	v_add_nc_u32_e32 v12, 0x3c000000, v12
	s_delay_alu instid0(VALU_DEP_1) | instskip(NEXT) | instid1(VALU_DEP_1)
	v_and_or_b32 v12, 0x7f800000, v16, v12
	v_cndmask_b32_e32 v11, 0, v12, vcc_lo
	s_delay_alu instid0(VALU_DEP_1) | instskip(NEXT) | instid1(VALU_DEP_1)
	v_and_or_b32 v3, 0x80000000, v3, v11
	v_cvt_f64_f32_e32 v[11:12], v3
.LBB193_1593:
	s_mov_b32 s0, 0
.LBB193_1594:
	s_delay_alu instid0(SALU_CYCLE_1)
	s_and_not1_b32 vcc_lo, exec_lo, s0
	s_cbranch_vccnz .LBB193_1596
; %bb.1595:
	global_load_u8 v3, v[13:14], off
	s_waitcnt vmcnt(0)
	v_lshlrev_b32_e32 v11, 25, v3
	v_lshlrev_b16 v3, 8, v3
	s_delay_alu instid0(VALU_DEP_1) | instskip(SKIP_1) | instid1(VALU_DEP_2)
	v_and_or_b32 v16, 0x7f00, v3, 0.5
	v_bfe_i32 v3, v3, 0, 16
	v_add_f32_e32 v16, -0.5, v16
	v_lshrrev_b32_e32 v12, 4, v11
	v_cmp_gt_u32_e32 vcc_lo, 0x8000000, v11
	s_delay_alu instid0(VALU_DEP_2) | instskip(NEXT) | instid1(VALU_DEP_1)
	v_or_b32_e32 v12, 0x70000000, v12
	v_mul_f32_e32 v12, 0x7800000, v12
	s_delay_alu instid0(VALU_DEP_1) | instskip(NEXT) | instid1(VALU_DEP_1)
	v_cndmask_b32_e32 v11, v12, v16, vcc_lo
	v_and_or_b32 v3, 0x80000000, v3, v11
	s_delay_alu instid0(VALU_DEP_1)
	v_cvt_f64_f32_e32 v[11:12], v3
.LBB193_1596:
	s_mov_b32 s1, 0
	s_mov_b32 s0, -1
.LBB193_1597:
	s_and_not1_b32 vcc_lo, exec_lo, s1
	s_mov_b32 s7, 0
	s_cbranch_vccnz .LBB193_1606
; %bb.1598:
	v_cmp_lt_i16_e32 vcc_lo, 14, v15
	s_cbranch_vccz .LBB193_1601
; %bb.1599:
	v_cmp_eq_u16_e32 vcc_lo, 15, v15
	s_cbranch_vccz .LBB193_1602
; %bb.1600:
	global_load_u16 v3, v[13:14], off
	s_mov_b32 s6, 0
	s_mov_b32 s0, -1
	s_waitcnt vmcnt(0)
	v_lshlrev_b32_e32 v3, 16, v3
	s_delay_alu instid0(VALU_DEP_1)
	v_cvt_f64_f32_e32 v[11:12], v3
	s_branch .LBB193_1603
.LBB193_1601:
	s_mov_b32 s1, -1
                                        ; implicit-def: $vgpr11_vgpr12
	s_branch .LBB193_1604
.LBB193_1602:
	s_mov_b32 s6, -1
                                        ; implicit-def: $vgpr11_vgpr12
.LBB193_1603:
	s_mov_b32 s1, 0
.LBB193_1604:
	s_delay_alu instid0(SALU_CYCLE_1)
	s_and_b32 vcc_lo, exec_lo, s1
	s_cbranch_vccz .LBB193_1606
; %bb.1605:
	v_cmp_ne_u16_e64 s6, 11, v15
	s_mov_b32 s7, -1
                                        ; implicit-def: $vgpr11_vgpr12
.LBB193_1606:
	s_delay_alu instid0(VALU_DEP_1)
	s_and_b32 vcc_lo, exec_lo, s6
	s_cbranch_vccnz .LBB193_2135
; %bb.1607:
	s_and_not1_b32 vcc_lo, exec_lo, s7
	s_cbranch_vccnz .LBB193_1609
.LBB193_1608:
	global_load_u8 v3, v[13:14], off
	v_mov_b32_e32 v11, 0
	s_mov_b32 s0, -1
	s_waitcnt vmcnt(0)
	v_cmp_ne_u16_e32 vcc_lo, 0, v3
	v_cndmask_b32_e64 v12, 0, 0x3ff00000, vcc_lo
.LBB193_1609:
	s_mov_b32 s1, 0
.LBB193_1610:
	s_delay_alu instid0(SALU_CYCLE_1)
	s_and_b32 vcc_lo, exec_lo, s1
	s_cbranch_vccz .LBB193_1659
; %bb.1611:
	v_cmp_gt_i16_e32 vcc_lo, 5, v15
	s_cbranch_vccnz .LBB193_1616
; %bb.1612:
	v_cmp_gt_i16_e32 vcc_lo, 8, v15
	s_cbranch_vccnz .LBB193_1617
	;; [unrolled: 3-line block ×3, first 2 shown]
; %bb.1614:
	v_cmp_lt_i16_e32 vcc_lo, 9, v15
	s_cbranch_vccz .LBB193_1619
; %bb.1615:
	global_load_b64 v[11:12], v[13:14], off
	s_mov_b32 s0, 0
	s_branch .LBB193_1620
.LBB193_1616:
	s_mov_b32 s0, -1
                                        ; implicit-def: $vgpr11_vgpr12
	s_branch .LBB193_1638
.LBB193_1617:
	s_mov_b32 s0, -1
                                        ; implicit-def: $vgpr11_vgpr12
	s_branch .LBB193_1626
.LBB193_1618:
	s_mov_b32 s0, -1
                                        ; implicit-def: $vgpr11_vgpr12
	s_branch .LBB193_1623
.LBB193_1619:
	s_mov_b32 s0, -1
                                        ; implicit-def: $vgpr11_vgpr12
.LBB193_1620:
	s_delay_alu instid0(SALU_CYCLE_1)
	s_and_not1_b32 vcc_lo, exec_lo, s0
	s_cbranch_vccnz .LBB193_1622
; %bb.1621:
	global_load_b32 v3, v[13:14], off
	s_waitcnt vmcnt(0)
	v_cvt_f64_f32_e32 v[11:12], v3
.LBB193_1622:
	s_mov_b32 s0, 0
.LBB193_1623:
	s_delay_alu instid0(SALU_CYCLE_1)
	s_and_not1_b32 vcc_lo, exec_lo, s0
	s_cbranch_vccnz .LBB193_1625
; %bb.1624:
	global_load_b32 v3, v[13:14], off
	s_waitcnt vmcnt(0)
	v_cvt_f32_f16_e32 v3, v3
	s_delay_alu instid0(VALU_DEP_1)
	v_cvt_f64_f32_e32 v[11:12], v3
.LBB193_1625:
	s_mov_b32 s0, 0
.LBB193_1626:
	s_delay_alu instid0(SALU_CYCLE_1)
	s_and_not1_b32 vcc_lo, exec_lo, s0
	s_cbranch_vccnz .LBB193_1637
; %bb.1627:
	v_cmp_gt_i16_e32 vcc_lo, 6, v15
	s_cbranch_vccnz .LBB193_1630
; %bb.1628:
	v_cmp_lt_i16_e32 vcc_lo, 6, v15
	s_cbranch_vccz .LBB193_1631
; %bb.1629:
	global_load_b64 v[11:12], v[13:14], off
	s_mov_b32 s0, 0
	s_branch .LBB193_1632
.LBB193_1630:
	s_mov_b32 s0, -1
                                        ; implicit-def: $vgpr11_vgpr12
	s_branch .LBB193_1635
.LBB193_1631:
	s_mov_b32 s0, -1
                                        ; implicit-def: $vgpr11_vgpr12
.LBB193_1632:
	s_delay_alu instid0(SALU_CYCLE_1)
	s_and_not1_b32 vcc_lo, exec_lo, s0
	s_cbranch_vccnz .LBB193_1634
; %bb.1633:
	global_load_b32 v3, v[13:14], off
	s_waitcnt vmcnt(0)
	v_cvt_f64_f32_e32 v[11:12], v3
.LBB193_1634:
	s_mov_b32 s0, 0
.LBB193_1635:
	s_delay_alu instid0(SALU_CYCLE_1)
	s_and_not1_b32 vcc_lo, exec_lo, s0
	s_cbranch_vccnz .LBB193_1637
; %bb.1636:
	global_load_u16 v3, v[13:14], off
	s_waitcnt vmcnt(0)
	v_cvt_f32_f16_e32 v3, v3
	s_delay_alu instid0(VALU_DEP_1)
	v_cvt_f64_f32_e32 v[11:12], v3
.LBB193_1637:
	s_mov_b32 s0, 0
.LBB193_1638:
	s_delay_alu instid0(SALU_CYCLE_1)
	s_and_not1_b32 vcc_lo, exec_lo, s0
	s_cbranch_vccnz .LBB193_1658
; %bb.1639:
	v_cmp_gt_i16_e32 vcc_lo, 2, v15
	s_cbranch_vccnz .LBB193_1643
; %bb.1640:
	v_cmp_gt_i16_e32 vcc_lo, 3, v15
	s_cbranch_vccnz .LBB193_1644
; %bb.1641:
	v_cmp_lt_i16_e32 vcc_lo, 3, v15
	s_cbranch_vccz .LBB193_1645
; %bb.1642:
	global_load_b64 v[11:12], v[13:14], off
	s_mov_b32 s0, 0
	s_waitcnt vmcnt(0)
	v_cvt_f64_i32_e32 v[16:17], v12
	v_cvt_f64_u32_e32 v[11:12], v11
	s_delay_alu instid0(VALU_DEP_2) | instskip(NEXT) | instid1(VALU_DEP_1)
	v_ldexp_f64 v[16:17], v[16:17], 32
	v_add_f64 v[11:12], v[16:17], v[11:12]
	s_branch .LBB193_1646
.LBB193_1643:
	s_mov_b32 s0, -1
                                        ; implicit-def: $vgpr11_vgpr12
	s_branch .LBB193_1652
.LBB193_1644:
	s_mov_b32 s0, -1
                                        ; implicit-def: $vgpr11_vgpr12
	s_branch .LBB193_1649
.LBB193_1645:
	s_mov_b32 s0, -1
                                        ; implicit-def: $vgpr11_vgpr12
.LBB193_1646:
	s_delay_alu instid0(SALU_CYCLE_1)
	s_and_not1_b32 vcc_lo, exec_lo, s0
	s_cbranch_vccnz .LBB193_1648
; %bb.1647:
	global_load_b32 v3, v[13:14], off
	s_waitcnt vmcnt(0)
	v_cvt_f64_i32_e32 v[11:12], v3
.LBB193_1648:
	s_mov_b32 s0, 0
.LBB193_1649:
	s_delay_alu instid0(SALU_CYCLE_1)
	s_and_not1_b32 vcc_lo, exec_lo, s0
	s_cbranch_vccnz .LBB193_1651
; %bb.1650:
	global_load_i16 v3, v[13:14], off
	s_waitcnt vmcnt(0)
	v_cvt_f64_i32_e32 v[11:12], v3
.LBB193_1651:
	s_mov_b32 s0, 0
.LBB193_1652:
	s_delay_alu instid0(SALU_CYCLE_1)
	s_and_not1_b32 vcc_lo, exec_lo, s0
	s_cbranch_vccnz .LBB193_1658
; %bb.1653:
	v_cmp_lt_i16_e32 vcc_lo, 0, v15
	s_mov_b32 s0, 0
	s_cbranch_vccz .LBB193_1655
; %bb.1654:
	global_load_i8 v3, v[13:14], off
	s_waitcnt vmcnt(0)
	v_cvt_f64_i32_e32 v[11:12], v3
	s_branch .LBB193_1656
.LBB193_1655:
	s_mov_b32 s0, -1
                                        ; implicit-def: $vgpr11_vgpr12
.LBB193_1656:
	s_delay_alu instid0(SALU_CYCLE_1)
	s_and_not1_b32 vcc_lo, exec_lo, s0
	s_cbranch_vccnz .LBB193_1658
; %bb.1657:
	global_load_u8 v3, v[13:14], off
	s_waitcnt vmcnt(0)
	v_cvt_f64_u32_e32 v[11:12], v3
.LBB193_1658:
	s_mov_b32 s0, -1
.LBB193_1659:
	s_delay_alu instid0(SALU_CYCLE_1)
	s_and_not1_b32 vcc_lo, exec_lo, s0
	s_cbranch_vccnz .LBB193_2090
; %bb.1660:
	s_waitcnt vmcnt(0)
	v_rsq_f64_e32 v[16:17], v[1:2]
	s_lshr_b32 s0, s3, 8
	s_mov_b32 s3, 0
	v_and_b32_e64 v15, 0xff, s0
	s_delay_alu instid0(VALU_DEP_1) | instskip(SKIP_3) | instid1(VALU_DEP_2)
	v_cmp_gt_i16_e64 s0, 11, v15
	s_waitcnt_depctr 0xfff
	v_mul_f64 v[1:2], v[16:17], -v[1:2]
	v_cmp_class_f64_e64 vcc_lo, v[16:17], 0x180
	v_fma_f64 v[1:2], v[1:2], v[16:17], 1.0
	s_delay_alu instid0(VALU_DEP_1) | instskip(SKIP_1) | instid1(VALU_DEP_1)
	v_mul_f64 v[13:14], v[16:17], v[1:2]
	v_fma_f64 v[1:2], 0x3fd80000, v[1:2], 0.5
	v_fma_f64 v[2:3], v[13:14], v[1:2], v[16:17]
	v_add_co_u32 v13, s1, s4, v0
	s_delay_alu instid0(VALU_DEP_1) | instskip(NEXT) | instid1(VALU_DEP_3)
	v_add_co_ci_u32_e64 v14, null, s5, 0, s1
	v_dual_cndmask_b32 v1, v17, v3 :: v_dual_cndmask_b32 v0, v16, v2
	s_and_b32 vcc_lo, exec_lo, s0
	s_mov_b32 s0, -1
	s_cbranch_vccnz .LBB193_1738
; %bb.1661:
	v_cmp_lt_i16_e32 vcc_lo, 25, v15
	s_mov_b32 s6, -1
	s_mov_b32 s1, 0
	s_mov_b32 s0, 0
	s_cbranch_vccz .LBB193_1694
; %bb.1662:
	v_cmp_lt_i16_e32 vcc_lo, 28, v15
	s_cbranch_vccz .LBB193_1677
; %bb.1663:
	v_cmp_lt_i16_e32 vcc_lo, 43, v15
	;; [unrolled: 3-line block ×3, first 2 shown]
	s_cbranch_vccz .LBB193_1667
; %bb.1665:
	v_cmp_eq_u16_e32 vcc_lo, 46, v15
	s_mov_b32 s0, -1
	s_mov_b32 s6, 0
	s_cbranch_vccz .LBB193_1667
; %bb.1666:
	v_cvt_f32_f64_e32 v2, v[0:1]
	s_mov_b32 s0, 0
	s_mov_b32 s3, -1
	s_delay_alu instid0(VALU_DEP_1) | instskip(SKIP_1) | instid1(VALU_DEP_2)
	v_bfe_u32 v3, v2, 16, 1
	v_cmp_o_f32_e32 vcc_lo, v2, v2
	v_add3_u32 v3, v2, v3, 0x7fff
	s_delay_alu instid0(VALU_DEP_1) | instskip(NEXT) | instid1(VALU_DEP_1)
	v_lshrrev_b32_e32 v3, 16, v3
	v_cndmask_b32_e32 v2, 0x7fc0, v3, vcc_lo
	global_store_b32 v[13:14], v2, off
.LBB193_1667:
	s_and_b32 vcc_lo, exec_lo, s6
	s_cbranch_vccz .LBB193_1672
; %bb.1668:
	v_cmp_eq_u16_e32 vcc_lo, 44, v15
	s_mov_b32 s0, -1
	s_cbranch_vccz .LBB193_1672
; %bb.1669:
	v_cvt_f32_f64_e32 v2, v[0:1]
	v_mov_b32_e32 v3, 0xff
	s_mov_b32 s3, exec_lo
	s_delay_alu instid0(VALU_DEP_2) | instskip(NEXT) | instid1(VALU_DEP_1)
	v_bfe_u32 v16, v2, 23, 8
	v_cmpx_ne_u32_e32 0xff, v16
; %bb.1670:
	v_and_b32_e32 v3, 0x400000, v2
	v_and_or_b32 v16, 0x3fffff, v2, v16
	v_lshrrev_b32_e32 v2, 23, v2
	s_delay_alu instid0(VALU_DEP_3) | instskip(NEXT) | instid1(VALU_DEP_3)
	v_cmp_ne_u32_e32 vcc_lo, 0, v3
	v_cmp_ne_u32_e64 s0, 0, v16
	s_delay_alu instid0(VALU_DEP_1) | instskip(NEXT) | instid1(SALU_CYCLE_1)
	s_and_b32 s0, vcc_lo, s0
	v_cndmask_b32_e64 v3, 0, 1, s0
	s_delay_alu instid0(VALU_DEP_1)
	v_add_nc_u32_e32 v3, v2, v3
; %bb.1671:
	s_or_b32 exec_lo, exec_lo, s3
	s_mov_b32 s0, 0
	s_mov_b32 s3, -1
	global_store_b8 v[13:14], v3, off
.LBB193_1672:
	s_mov_b32 s6, 0
.LBB193_1673:
	s_delay_alu instid0(SALU_CYCLE_1)
	s_and_b32 vcc_lo, exec_lo, s6
	s_cbranch_vccz .LBB193_1676
; %bb.1674:
	v_cmp_eq_u16_e32 vcc_lo, 29, v15
	s_mov_b32 s0, -1
	s_cbranch_vccz .LBB193_1676
; %bb.1675:
	v_trunc_f64_e32 v[2:3], v[0:1]
	s_mov_b32 s0, 0
	s_mov_b32 s3, -1
	s_delay_alu instid0(VALU_DEP_1) | instskip(NEXT) | instid1(VALU_DEP_1)
	v_ldexp_f64 v[16:17], v[2:3], 0xffffffe0
	v_floor_f64_e32 v[16:17], v[16:17]
	s_delay_alu instid0(VALU_DEP_1) | instskip(SKIP_1) | instid1(VALU_DEP_2)
	v_fma_f64 v[2:3], 0xc1f00000, v[16:17], v[2:3]
	v_cvt_u32_f64_e32 v17, v[16:17]
	v_cvt_u32_f64_e32 v16, v[2:3]
	global_store_b64 v[13:14], v[16:17], off
.LBB193_1676:
	s_mov_b32 s6, 0
.LBB193_1677:
	s_delay_alu instid0(SALU_CYCLE_1)
	s_and_b32 vcc_lo, exec_lo, s6
	s_cbranch_vccz .LBB193_1693
; %bb.1678:
	v_cmp_gt_i16_e32 vcc_lo, 27, v15
	s_mov_b32 s3, -1
	s_cbranch_vccnz .LBB193_1684
; %bb.1679:
	v_cvt_u32_f64_e32 v2, v[0:1]
	v_cmp_lt_i16_e32 vcc_lo, 27, v15
	s_cbranch_vccz .LBB193_1681
; %bb.1680:
	s_mov_b32 s3, 0
	global_store_b32 v[13:14], v2, off
.LBB193_1681:
	s_and_not1_b32 vcc_lo, exec_lo, s3
	s_cbranch_vccnz .LBB193_1683
; %bb.1682:
	global_store_b16 v[13:14], v2, off
.LBB193_1683:
	s_mov_b32 s3, 0
.LBB193_1684:
	s_delay_alu instid0(SALU_CYCLE_1)
	s_and_not1_b32 vcc_lo, exec_lo, s3
	s_cbranch_vccnz .LBB193_1692
; %bb.1685:
	v_cvt_f32_f64_e32 v2, v[0:1]
	v_mov_b32_e32 v16, 0x80
	s_mov_b32 s3, exec_lo
	s_delay_alu instid0(VALU_DEP_2) | instskip(NEXT) | instid1(VALU_DEP_1)
	v_and_b32_e32 v3, 0x7fffffff, v2
	v_cmpx_gt_u32_e32 0x43800000, v3
	s_cbranch_execz .LBB193_1691
; %bb.1686:
	v_cmp_lt_u32_e32 vcc_lo, 0x3bffffff, v3
	s_mov_b32 s6, 0
                                        ; implicit-def: $vgpr3
	s_and_saveexec_b32 s7, vcc_lo
	s_delay_alu instid0(SALU_CYCLE_1)
	s_xor_b32 s7, exec_lo, s7
	s_cbranch_execz .LBB193_2137
; %bb.1687:
	v_bfe_u32 v3, v2, 20, 1
	s_mov_b32 s6, exec_lo
	s_delay_alu instid0(VALU_DEP_1) | instskip(NEXT) | instid1(VALU_DEP_1)
	v_add3_u32 v3, v2, v3, 0x487ffff
	v_lshrrev_b32_e32 v3, 20, v3
	s_or_saveexec_b32 s7, s7
                                        ; implicit-def: $sgpr10
	s_delay_alu instid0(SALU_CYCLE_1)
	s_xor_b32 exec_lo, exec_lo, s7
	s_cbranch_execnz .LBB193_2138
.LBB193_1688:
	s_or_b32 exec_lo, exec_lo, s7
	v_mov_b32_e32 v16, s10
	s_and_saveexec_b32 s7, s6
.LBB193_1689:
	v_lshrrev_b32_e32 v2, 24, v2
	s_delay_alu instid0(VALU_DEP_1)
	v_and_or_b32 v16, 0x80, v2, v3
.LBB193_1690:
	s_or_b32 exec_lo, exec_lo, s7
.LBB193_1691:
	s_delay_alu instid0(SALU_CYCLE_1)
	s_or_b32 exec_lo, exec_lo, s3
	global_store_b8 v[13:14], v16, off
.LBB193_1692:
	s_mov_b32 s3, -1
.LBB193_1693:
	s_mov_b32 s6, 0
.LBB193_1694:
	s_delay_alu instid0(SALU_CYCLE_1)
	s_and_b32 vcc_lo, exec_lo, s6
	s_cbranch_vccz .LBB193_1734
; %bb.1695:
	v_cmp_lt_i16_e32 vcc_lo, 22, v15
	s_mov_b32 s1, -1
	s_cbranch_vccz .LBB193_1727
; %bb.1696:
	v_cmp_gt_i16_e32 vcc_lo, 24, v15
	s_cbranch_vccnz .LBB193_1716
; %bb.1697:
	v_cmp_lt_i16_e32 vcc_lo, 24, v15
	s_cbranch_vccz .LBB193_1705
; %bb.1698:
	v_cvt_f32_f64_e32 v2, v[0:1]
	v_mov_b32_e32 v16, 0x80
	s_mov_b32 s1, exec_lo
	s_delay_alu instid0(VALU_DEP_2) | instskip(NEXT) | instid1(VALU_DEP_1)
	v_and_b32_e32 v3, 0x7fffffff, v2
	v_cmpx_gt_u32_e32 0x47800000, v3
	s_cbranch_execz .LBB193_1704
; %bb.1699:
	v_cmp_lt_u32_e32 vcc_lo, 0x37ffffff, v3
	s_mov_b32 s3, 0
                                        ; implicit-def: $vgpr3
	s_and_saveexec_b32 s6, vcc_lo
	s_delay_alu instid0(SALU_CYCLE_1)
	s_xor_b32 s6, exec_lo, s6
	s_cbranch_execz .LBB193_2143
; %bb.1700:
	v_bfe_u32 v3, v2, 21, 1
	s_mov_b32 s3, exec_lo
	s_delay_alu instid0(VALU_DEP_1) | instskip(NEXT) | instid1(VALU_DEP_1)
	v_add3_u32 v3, v2, v3, 0x88fffff
	v_lshrrev_b32_e32 v3, 21, v3
	s_or_saveexec_b32 s6, s6
                                        ; implicit-def: $sgpr7
	s_delay_alu instid0(SALU_CYCLE_1)
	s_xor_b32 exec_lo, exec_lo, s6
	s_cbranch_execnz .LBB193_2144
.LBB193_1701:
	s_or_b32 exec_lo, exec_lo, s6
	v_mov_b32_e32 v16, s7
	s_and_saveexec_b32 s6, s3
.LBB193_1702:
	v_lshrrev_b32_e32 v2, 24, v2
	s_delay_alu instid0(VALU_DEP_1)
	v_and_or_b32 v16, 0x80, v2, v3
.LBB193_1703:
	s_or_b32 exec_lo, exec_lo, s6
.LBB193_1704:
	s_delay_alu instid0(SALU_CYCLE_1)
	s_or_b32 exec_lo, exec_lo, s1
	s_mov_b32 s1, 0
	global_store_b8 v[13:14], v16, off
.LBB193_1705:
	s_and_b32 vcc_lo, exec_lo, s1
	s_cbranch_vccz .LBB193_1715
; %bb.1706:
	v_cvt_f32_f64_e32 v2, v[0:1]
	s_mov_b32 s1, exec_lo
                                        ; implicit-def: $vgpr3
	s_delay_alu instid0(VALU_DEP_1) | instskip(NEXT) | instid1(VALU_DEP_1)
	v_and_b32_e32 v16, 0x7fffffff, v2
	v_cmpx_gt_u32_e32 0x43f00000, v16
	s_xor_b32 s1, exec_lo, s1
	s_cbranch_execz .LBB193_1712
; %bb.1707:
	s_mov_b32 s3, exec_lo
                                        ; implicit-def: $vgpr3
	v_cmpx_lt_u32_e32 0x3c7fffff, v16
	s_xor_b32 s3, exec_lo, s3
; %bb.1708:
	v_bfe_u32 v3, v2, 20, 1
	s_delay_alu instid0(VALU_DEP_1) | instskip(NEXT) | instid1(VALU_DEP_1)
	v_add3_u32 v3, v2, v3, 0x407ffff
	v_and_b32_e32 v16, 0xff00000, v3
	v_lshrrev_b32_e32 v3, 20, v3
	s_delay_alu instid0(VALU_DEP_2) | instskip(NEXT) | instid1(VALU_DEP_2)
	v_cmp_ne_u32_e32 vcc_lo, 0x7f00000, v16
	v_cndmask_b32_e32 v3, 0x7e, v3, vcc_lo
; %bb.1709:
	s_and_not1_saveexec_b32 s3, s3
; %bb.1710:
	v_add_f32_e64 v3, 0x46800000, |v2|
; %bb.1711:
	s_or_b32 exec_lo, exec_lo, s3
                                        ; implicit-def: $vgpr16
.LBB193_1712:
	s_and_not1_saveexec_b32 s1, s1
; %bb.1713:
	v_mov_b32_e32 v3, 0x7f
	v_cmp_lt_u32_e32 vcc_lo, 0x7f800000, v16
	s_delay_alu instid0(VALU_DEP_2)
	v_cndmask_b32_e32 v3, 0x7e, v3, vcc_lo
; %bb.1714:
	s_or_b32 exec_lo, exec_lo, s1
	v_lshrrev_b32_e32 v2, 24, v2
	s_delay_alu instid0(VALU_DEP_1)
	v_and_or_b32 v2, 0x80, v2, v3
	global_store_b8 v[13:14], v2, off
.LBB193_1715:
	s_mov_b32 s1, 0
.LBB193_1716:
	s_delay_alu instid0(SALU_CYCLE_1)
	s_and_not1_b32 vcc_lo, exec_lo, s1
	s_cbranch_vccnz .LBB193_1726
; %bb.1717:
	v_cvt_f32_f64_e32 v2, v[0:1]
	s_mov_b32 s1, exec_lo
                                        ; implicit-def: $vgpr3
	s_delay_alu instid0(VALU_DEP_1) | instskip(NEXT) | instid1(VALU_DEP_1)
	v_and_b32_e32 v16, 0x7fffffff, v2
	v_cmpx_gt_u32_e32 0x47800000, v16
	s_xor_b32 s1, exec_lo, s1
	s_cbranch_execz .LBB193_1723
; %bb.1718:
	s_mov_b32 s3, exec_lo
                                        ; implicit-def: $vgpr3
	v_cmpx_lt_u32_e32 0x387fffff, v16
	s_xor_b32 s3, exec_lo, s3
; %bb.1719:
	v_bfe_u32 v3, v2, 21, 1
	s_delay_alu instid0(VALU_DEP_1) | instskip(NEXT) | instid1(VALU_DEP_1)
	v_add3_u32 v3, v2, v3, 0x80fffff
	v_lshrrev_b32_e32 v3, 21, v3
; %bb.1720:
	s_and_not1_saveexec_b32 s3, s3
; %bb.1721:
	v_add_f32_e64 v3, 0x43000000, |v2|
; %bb.1722:
	s_or_b32 exec_lo, exec_lo, s3
                                        ; implicit-def: $vgpr16
.LBB193_1723:
	s_and_not1_saveexec_b32 s1, s1
; %bb.1724:
	v_mov_b32_e32 v3, 0x7f
	v_cmp_lt_u32_e32 vcc_lo, 0x7f800000, v16
	s_delay_alu instid0(VALU_DEP_2)
	v_cndmask_b32_e32 v3, 0x7c, v3, vcc_lo
; %bb.1725:
	s_or_b32 exec_lo, exec_lo, s1
	v_lshrrev_b32_e32 v2, 24, v2
	s_delay_alu instid0(VALU_DEP_1)
	v_and_or_b32 v2, 0x80, v2, v3
	global_store_b8 v[13:14], v2, off
.LBB193_1726:
	s_mov_b32 s1, 0
	s_mov_b32 s3, -1
.LBB193_1727:
	s_and_not1_b32 vcc_lo, exec_lo, s1
	s_mov_b32 s1, 0
	s_cbranch_vccnz .LBB193_1734
; %bb.1728:
	v_cmp_lt_i16_e32 vcc_lo, 14, v15
	s_mov_b32 s1, -1
	s_cbranch_vccz .LBB193_1732
; %bb.1729:
	v_cmp_eq_u16_e32 vcc_lo, 15, v15
	s_mov_b32 s0, -1
	s_cbranch_vccz .LBB193_1731
; %bb.1730:
	v_cvt_f32_f64_e32 v2, v[0:1]
	s_mov_b32 s0, 0
	s_mov_b32 s3, -1
	s_delay_alu instid0(VALU_DEP_1) | instskip(SKIP_1) | instid1(VALU_DEP_2)
	v_bfe_u32 v3, v2, 16, 1
	v_cmp_o_f32_e32 vcc_lo, v2, v2
	v_add3_u32 v3, v2, v3, 0x7fff
	s_delay_alu instid0(VALU_DEP_1) | instskip(NEXT) | instid1(VALU_DEP_1)
	v_lshrrev_b32_e32 v3, 16, v3
	v_cndmask_b32_e32 v2, 0x7fc0, v3, vcc_lo
	global_store_b16 v[13:14], v2, off
.LBB193_1731:
	s_mov_b32 s1, 0
.LBB193_1732:
	s_delay_alu instid0(SALU_CYCLE_1)
	s_and_b32 vcc_lo, exec_lo, s1
	s_mov_b32 s1, 0
	s_cbranch_vccz .LBB193_1734
; %bb.1733:
	v_cmp_ne_u16_e64 s0, 11, v15
	s_mov_b32 s1, -1
.LBB193_1734:
	s_delay_alu instid0(VALU_DEP_1)
	s_and_b32 vcc_lo, exec_lo, s0
	s_cbranch_vccnz .LBB193_2141
; %bb.1735:
	s_and_not1_b32 vcc_lo, exec_lo, s1
	s_cbranch_vccnz .LBB193_1737
.LBB193_1736:
	v_cmp_neq_f64_e32 vcc_lo, 0, v[0:1]
	s_mov_b32 s3, -1
	v_cndmask_b32_e64 v2, 0, 1, vcc_lo
	global_store_b8 v[13:14], v2, off
.LBB193_1737:
	s_mov_b32 s0, 0
.LBB193_1738:
	s_delay_alu instid0(SALU_CYCLE_1)
	s_and_b32 vcc_lo, exec_lo, s0
	s_cbranch_vccz .LBB193_1777
; %bb.1739:
	v_cmp_gt_i16_e32 vcc_lo, 5, v15
	s_mov_b32 s0, -1
	s_cbranch_vccnz .LBB193_1760
; %bb.1740:
	v_cmp_gt_i16_e32 vcc_lo, 8, v15
	s_cbranch_vccnz .LBB193_1750
; %bb.1741:
	v_cmp_gt_i16_e32 vcc_lo, 9, v15
	s_cbranch_vccnz .LBB193_1747
; %bb.1742:
	v_cmp_lt_i16_e32 vcc_lo, 9, v15
	s_cbranch_vccz .LBB193_1744
; %bb.1743:
	v_mov_b32_e32 v2, 0
	s_mov_b32 s0, 0
	s_delay_alu instid0(VALU_DEP_1)
	v_mov_b32_e32 v3, v2
	global_store_b128 v[13:14], v[0:3], off
.LBB193_1744:
	s_and_not1_b32 vcc_lo, exec_lo, s0
	s_cbranch_vccnz .LBB193_1746
; %bb.1745:
	v_cvt_f32_f64_e32 v2, v[0:1]
	v_mov_b32_e32 v3, 0
	global_store_b64 v[13:14], v[2:3], off
.LBB193_1746:
	s_mov_b32 s0, 0
.LBB193_1747:
	s_delay_alu instid0(SALU_CYCLE_1)
	s_and_not1_b32 vcc_lo, exec_lo, s0
	s_cbranch_vccnz .LBB193_1749
; %bb.1748:
	v_cvt_f32_f64_e32 v2, v[0:1]
	s_delay_alu instid0(VALU_DEP_1) | instskip(NEXT) | instid1(VALU_DEP_1)
	v_cvt_f16_f32_e32 v2, v2
	v_and_b32_e32 v2, 0xffff, v2
	global_store_b32 v[13:14], v2, off
.LBB193_1749:
	s_mov_b32 s0, 0
.LBB193_1750:
	s_delay_alu instid0(SALU_CYCLE_1)
	s_and_not1_b32 vcc_lo, exec_lo, s0
	s_cbranch_vccnz .LBB193_1759
; %bb.1751:
	v_cmp_gt_i16_e32 vcc_lo, 6, v15
	s_mov_b32 s0, -1
	s_cbranch_vccnz .LBB193_1757
; %bb.1752:
	v_cmp_lt_i16_e32 vcc_lo, 6, v15
	s_cbranch_vccz .LBB193_1754
; %bb.1753:
	s_mov_b32 s0, 0
	global_store_b64 v[13:14], v[0:1], off
.LBB193_1754:
	s_and_not1_b32 vcc_lo, exec_lo, s0
	s_cbranch_vccnz .LBB193_1756
; %bb.1755:
	v_cvt_f32_f64_e32 v2, v[0:1]
	global_store_b32 v[13:14], v2, off
.LBB193_1756:
	s_mov_b32 s0, 0
.LBB193_1757:
	s_delay_alu instid0(SALU_CYCLE_1)
	s_and_not1_b32 vcc_lo, exec_lo, s0
	s_cbranch_vccnz .LBB193_1759
; %bb.1758:
	v_cvt_f32_f64_e32 v2, v[0:1]
	s_delay_alu instid0(VALU_DEP_1)
	v_cvt_f16_f32_e32 v2, v2
	global_store_b16 v[13:14], v2, off
.LBB193_1759:
	s_mov_b32 s0, 0
.LBB193_1760:
	s_delay_alu instid0(SALU_CYCLE_1)
	s_and_not1_b32 vcc_lo, exec_lo, s0
	s_cbranch_vccnz .LBB193_1776
; %bb.1761:
	v_cmp_gt_i16_e32 vcc_lo, 2, v15
	s_mov_b32 s0, -1
	s_cbranch_vccnz .LBB193_1771
; %bb.1762:
	v_cmp_gt_i16_e32 vcc_lo, 3, v15
	s_cbranch_vccnz .LBB193_1768
; %bb.1763:
	v_cmp_lt_i16_e32 vcc_lo, 3, v15
	s_cbranch_vccz .LBB193_1765
; %bb.1764:
	v_trunc_f64_e32 v[2:3], v[0:1]
	s_mov_b32 s0, 0
	s_delay_alu instid0(VALU_DEP_1) | instskip(NEXT) | instid1(VALU_DEP_1)
	v_ldexp_f64 v[16:17], v[2:3], 0xffffffe0
	v_floor_f64_e32 v[16:17], v[16:17]
	s_delay_alu instid0(VALU_DEP_1) | instskip(SKIP_1) | instid1(VALU_DEP_2)
	v_fma_f64 v[2:3], 0xc1f00000, v[16:17], v[2:3]
	v_cvt_i32_f64_e32 v17, v[16:17]
	v_cvt_u32_f64_e32 v16, v[2:3]
	global_store_b64 v[13:14], v[16:17], off
.LBB193_1765:
	s_and_not1_b32 vcc_lo, exec_lo, s0
	s_cbranch_vccnz .LBB193_1767
; %bb.1766:
	v_cvt_i32_f64_e32 v2, v[0:1]
	global_store_b32 v[13:14], v2, off
.LBB193_1767:
	s_mov_b32 s0, 0
.LBB193_1768:
	s_delay_alu instid0(SALU_CYCLE_1)
	s_and_not1_b32 vcc_lo, exec_lo, s0
	s_cbranch_vccnz .LBB193_1770
; %bb.1769:
	v_cvt_i32_f64_e32 v2, v[0:1]
	global_store_b16 v[13:14], v2, off
.LBB193_1770:
	s_mov_b32 s0, 0
.LBB193_1771:
	s_delay_alu instid0(SALU_CYCLE_1)
	s_and_not1_b32 vcc_lo, exec_lo, s0
	s_cbranch_vccnz .LBB193_1776
; %bb.1772:
	v_cmp_lt_i16_e32 vcc_lo, 0, v15
	s_mov_b32 s0, -1
	s_cbranch_vccz .LBB193_1774
; %bb.1773:
	v_cvt_i32_f64_e32 v2, v[0:1]
	s_mov_b32 s0, 0
	global_store_b8 v[13:14], v2, off
.LBB193_1774:
	s_and_not1_b32 vcc_lo, exec_lo, s0
	s_cbranch_vccnz .LBB193_1776
; %bb.1775:
	v_trunc_f64_e32 v[0:1], v[0:1]
	s_delay_alu instid0(VALU_DEP_1) | instskip(NEXT) | instid1(VALU_DEP_1)
	v_ldexp_f64 v[2:3], v[0:1], 0xffffffe0
	v_floor_f64_e32 v[2:3], v[2:3]
	s_delay_alu instid0(VALU_DEP_1) | instskip(NEXT) | instid1(VALU_DEP_1)
	v_fma_f64 v[0:1], 0xc1f00000, v[2:3], v[0:1]
	v_cvt_u32_f64_e32 v0, v[0:1]
	global_store_b8 v[13:14], v0, off
.LBB193_1776:
	s_mov_b32 s3, -1
.LBB193_1777:
	s_delay_alu instid0(SALU_CYCLE_1)
	s_and_not1_b32 vcc_lo, exec_lo, s3
	s_cbranch_vccnz .LBB193_2090
; %bb.1778:
	v_rsq_f64_e32 v[0:1], v[7:8]
	v_cmp_gt_i16_e64 s0, 11, v15
	v_add_co_u32 v6, s1, s4, v6
	s_mov_b32 s3, 0
	s_waitcnt_depctr 0xfff
	v_mul_f64 v[2:3], v[0:1], -v[7:8]
	v_cmp_class_f64_e64 vcc_lo, v[0:1], 0x180
	s_delay_alu instid0(VALU_DEP_2) | instskip(NEXT) | instid1(VALU_DEP_1)
	v_fma_f64 v[2:3], v[2:3], v[0:1], 1.0
	v_mul_f64 v[7:8], v[0:1], v[2:3]
	v_fma_f64 v[2:3], 0x3fd80000, v[2:3], 0.5
	s_delay_alu instid0(VALU_DEP_1) | instskip(SKIP_1) | instid1(VALU_DEP_2)
	v_fma_f64 v[2:3], v[7:8], v[2:3], v[0:1]
	v_add_co_ci_u32_e64 v7, null, s5, 0, s1
	v_dual_cndmask_b32 v1, v1, v3 :: v_dual_cndmask_b32 v0, v0, v2
	s_and_b32 vcc_lo, exec_lo, s0
	s_mov_b32 s0, -1
	s_cbranch_vccnz .LBB193_1856
; %bb.1779:
	v_cmp_lt_i16_e32 vcc_lo, 25, v15
	s_mov_b32 s6, -1
	s_mov_b32 s1, 0
	s_mov_b32 s0, 0
	s_cbranch_vccz .LBB193_1812
; %bb.1780:
	v_cmp_lt_i16_e32 vcc_lo, 28, v15
	s_cbranch_vccz .LBB193_1795
; %bb.1781:
	v_cmp_lt_i16_e32 vcc_lo, 43, v15
	;; [unrolled: 3-line block ×3, first 2 shown]
	s_cbranch_vccz .LBB193_1785
; %bb.1783:
	v_cmp_eq_u16_e32 vcc_lo, 46, v15
	s_mov_b32 s0, -1
	s_mov_b32 s6, 0
	s_cbranch_vccz .LBB193_1785
; %bb.1784:
	v_cvt_f32_f64_e32 v2, v[0:1]
	s_mov_b32 s0, 0
	s_mov_b32 s3, -1
	s_delay_alu instid0(VALU_DEP_1) | instskip(SKIP_1) | instid1(VALU_DEP_2)
	v_bfe_u32 v3, v2, 16, 1
	v_cmp_o_f32_e32 vcc_lo, v2, v2
	v_add3_u32 v3, v2, v3, 0x7fff
	s_delay_alu instid0(VALU_DEP_1) | instskip(NEXT) | instid1(VALU_DEP_1)
	v_lshrrev_b32_e32 v3, 16, v3
	v_cndmask_b32_e32 v2, 0x7fc0, v3, vcc_lo
	global_store_b32 v[6:7], v2, off
.LBB193_1785:
	s_and_b32 vcc_lo, exec_lo, s6
	s_cbranch_vccz .LBB193_1790
; %bb.1786:
	v_cmp_eq_u16_e32 vcc_lo, 44, v15
	s_mov_b32 s0, -1
	s_cbranch_vccz .LBB193_1790
; %bb.1787:
	v_cvt_f32_f64_e32 v2, v[0:1]
	v_mov_b32_e32 v3, 0xff
	s_mov_b32 s3, exec_lo
	s_delay_alu instid0(VALU_DEP_2) | instskip(NEXT) | instid1(VALU_DEP_1)
	v_bfe_u32 v8, v2, 23, 8
	v_cmpx_ne_u32_e32 0xff, v8
; %bb.1788:
	v_and_b32_e32 v3, 0x400000, v2
	v_and_or_b32 v8, 0x3fffff, v2, v8
	v_lshrrev_b32_e32 v2, 23, v2
	s_delay_alu instid0(VALU_DEP_3) | instskip(NEXT) | instid1(VALU_DEP_3)
	v_cmp_ne_u32_e32 vcc_lo, 0, v3
	v_cmp_ne_u32_e64 s0, 0, v8
	s_delay_alu instid0(VALU_DEP_1) | instskip(NEXT) | instid1(SALU_CYCLE_1)
	s_and_b32 s0, vcc_lo, s0
	v_cndmask_b32_e64 v3, 0, 1, s0
	s_delay_alu instid0(VALU_DEP_1)
	v_add_nc_u32_e32 v3, v2, v3
; %bb.1789:
	s_or_b32 exec_lo, exec_lo, s3
	s_mov_b32 s0, 0
	s_mov_b32 s3, -1
	global_store_b8 v[6:7], v3, off
.LBB193_1790:
	s_mov_b32 s6, 0
.LBB193_1791:
	s_delay_alu instid0(SALU_CYCLE_1)
	s_and_b32 vcc_lo, exec_lo, s6
	s_cbranch_vccz .LBB193_1794
; %bb.1792:
	v_cmp_eq_u16_e32 vcc_lo, 29, v15
	s_mov_b32 s0, -1
	s_cbranch_vccz .LBB193_1794
; %bb.1793:
	v_trunc_f64_e32 v[2:3], v[0:1]
	s_mov_b32 s0, 0
	s_mov_b32 s3, -1
	s_delay_alu instid0(VALU_DEP_1) | instskip(NEXT) | instid1(VALU_DEP_1)
	v_ldexp_f64 v[13:14], v[2:3], 0xffffffe0
	v_floor_f64_e32 v[13:14], v[13:14]
	s_delay_alu instid0(VALU_DEP_1) | instskip(SKIP_1) | instid1(VALU_DEP_2)
	v_fma_f64 v[2:3], 0xc1f00000, v[13:14], v[2:3]
	v_cvt_u32_f64_e32 v14, v[13:14]
	v_cvt_u32_f64_e32 v13, v[2:3]
	global_store_b64 v[6:7], v[13:14], off
.LBB193_1794:
	s_mov_b32 s6, 0
.LBB193_1795:
	s_delay_alu instid0(SALU_CYCLE_1)
	s_and_b32 vcc_lo, exec_lo, s6
	s_cbranch_vccz .LBB193_1811
; %bb.1796:
	v_cmp_gt_i16_e32 vcc_lo, 27, v15
	s_mov_b32 s3, -1
	s_cbranch_vccnz .LBB193_1802
; %bb.1797:
	v_cvt_u32_f64_e32 v2, v[0:1]
	v_cmp_lt_i16_e32 vcc_lo, 27, v15
	s_cbranch_vccz .LBB193_1799
; %bb.1798:
	s_mov_b32 s3, 0
	global_store_b32 v[6:7], v2, off
.LBB193_1799:
	s_and_not1_b32 vcc_lo, exec_lo, s3
	s_cbranch_vccnz .LBB193_1801
; %bb.1800:
	global_store_b16 v[6:7], v2, off
.LBB193_1801:
	s_mov_b32 s3, 0
.LBB193_1802:
	s_delay_alu instid0(SALU_CYCLE_1)
	s_and_not1_b32 vcc_lo, exec_lo, s3
	s_cbranch_vccnz .LBB193_1810
; %bb.1803:
	v_cvt_f32_f64_e32 v2, v[0:1]
	v_mov_b32_e32 v8, 0x80
	s_mov_b32 s3, exec_lo
	s_delay_alu instid0(VALU_DEP_2) | instskip(NEXT) | instid1(VALU_DEP_1)
	v_and_b32_e32 v3, 0x7fffffff, v2
	v_cmpx_gt_u32_e32 0x43800000, v3
	s_cbranch_execz .LBB193_1809
; %bb.1804:
	v_cmp_lt_u32_e32 vcc_lo, 0x3bffffff, v3
	s_mov_b32 s6, 0
                                        ; implicit-def: $vgpr3
	s_and_saveexec_b32 s7, vcc_lo
	s_delay_alu instid0(SALU_CYCLE_1)
	s_xor_b32 s7, exec_lo, s7
	s_cbranch_execz .LBB193_2145
; %bb.1805:
	v_bfe_u32 v3, v2, 20, 1
	s_mov_b32 s6, exec_lo
	s_delay_alu instid0(VALU_DEP_1) | instskip(NEXT) | instid1(VALU_DEP_1)
	v_add3_u32 v3, v2, v3, 0x487ffff
	v_lshrrev_b32_e32 v3, 20, v3
	s_or_saveexec_b32 s7, s7
                                        ; implicit-def: $sgpr10
	s_delay_alu instid0(SALU_CYCLE_1)
	s_xor_b32 exec_lo, exec_lo, s7
	s_cbranch_execnz .LBB193_2146
.LBB193_1806:
	s_or_b32 exec_lo, exec_lo, s7
	v_mov_b32_e32 v8, s10
	s_and_saveexec_b32 s7, s6
.LBB193_1807:
	v_lshrrev_b32_e32 v2, 24, v2
	s_delay_alu instid0(VALU_DEP_1)
	v_and_or_b32 v8, 0x80, v2, v3
.LBB193_1808:
	s_or_b32 exec_lo, exec_lo, s7
.LBB193_1809:
	s_delay_alu instid0(SALU_CYCLE_1)
	s_or_b32 exec_lo, exec_lo, s3
	global_store_b8 v[6:7], v8, off
.LBB193_1810:
	s_mov_b32 s3, -1
.LBB193_1811:
	s_mov_b32 s6, 0
.LBB193_1812:
	s_delay_alu instid0(SALU_CYCLE_1)
	s_and_b32 vcc_lo, exec_lo, s6
	s_cbranch_vccz .LBB193_1852
; %bb.1813:
	v_cmp_lt_i16_e32 vcc_lo, 22, v15
	s_mov_b32 s1, -1
	s_cbranch_vccz .LBB193_1845
; %bb.1814:
	v_cmp_gt_i16_e32 vcc_lo, 24, v15
	s_cbranch_vccnz .LBB193_1834
; %bb.1815:
	v_cmp_lt_i16_e32 vcc_lo, 24, v15
	s_cbranch_vccz .LBB193_1823
; %bb.1816:
	v_cvt_f32_f64_e32 v2, v[0:1]
	v_mov_b32_e32 v8, 0x80
	s_mov_b32 s1, exec_lo
	s_delay_alu instid0(VALU_DEP_2) | instskip(NEXT) | instid1(VALU_DEP_1)
	v_and_b32_e32 v3, 0x7fffffff, v2
	v_cmpx_gt_u32_e32 0x47800000, v3
	s_cbranch_execz .LBB193_1822
; %bb.1817:
	v_cmp_lt_u32_e32 vcc_lo, 0x37ffffff, v3
	s_mov_b32 s3, 0
                                        ; implicit-def: $vgpr3
	s_and_saveexec_b32 s6, vcc_lo
	s_delay_alu instid0(SALU_CYCLE_1)
	s_xor_b32 s6, exec_lo, s6
	s_cbranch_execz .LBB193_2151
; %bb.1818:
	v_bfe_u32 v3, v2, 21, 1
	s_mov_b32 s3, exec_lo
	s_delay_alu instid0(VALU_DEP_1) | instskip(NEXT) | instid1(VALU_DEP_1)
	v_add3_u32 v3, v2, v3, 0x88fffff
	v_lshrrev_b32_e32 v3, 21, v3
	s_or_saveexec_b32 s6, s6
                                        ; implicit-def: $sgpr7
	s_delay_alu instid0(SALU_CYCLE_1)
	s_xor_b32 exec_lo, exec_lo, s6
	s_cbranch_execnz .LBB193_2152
.LBB193_1819:
	s_or_b32 exec_lo, exec_lo, s6
	v_mov_b32_e32 v8, s7
	s_and_saveexec_b32 s6, s3
.LBB193_1820:
	v_lshrrev_b32_e32 v2, 24, v2
	s_delay_alu instid0(VALU_DEP_1)
	v_and_or_b32 v8, 0x80, v2, v3
.LBB193_1821:
	s_or_b32 exec_lo, exec_lo, s6
.LBB193_1822:
	s_delay_alu instid0(SALU_CYCLE_1)
	s_or_b32 exec_lo, exec_lo, s1
	s_mov_b32 s1, 0
	global_store_b8 v[6:7], v8, off
.LBB193_1823:
	s_and_b32 vcc_lo, exec_lo, s1
	s_cbranch_vccz .LBB193_1833
; %bb.1824:
	v_cvt_f32_f64_e32 v2, v[0:1]
	s_mov_b32 s1, exec_lo
                                        ; implicit-def: $vgpr3
	s_delay_alu instid0(VALU_DEP_1) | instskip(NEXT) | instid1(VALU_DEP_1)
	v_and_b32_e32 v8, 0x7fffffff, v2
	v_cmpx_gt_u32_e32 0x43f00000, v8
	s_xor_b32 s1, exec_lo, s1
	s_cbranch_execz .LBB193_1830
; %bb.1825:
	s_mov_b32 s3, exec_lo
                                        ; implicit-def: $vgpr3
	v_cmpx_lt_u32_e32 0x3c7fffff, v8
	s_xor_b32 s3, exec_lo, s3
; %bb.1826:
	v_bfe_u32 v3, v2, 20, 1
	s_delay_alu instid0(VALU_DEP_1) | instskip(NEXT) | instid1(VALU_DEP_1)
	v_add3_u32 v3, v2, v3, 0x407ffff
	v_and_b32_e32 v8, 0xff00000, v3
	v_lshrrev_b32_e32 v3, 20, v3
	s_delay_alu instid0(VALU_DEP_2) | instskip(NEXT) | instid1(VALU_DEP_2)
	v_cmp_ne_u32_e32 vcc_lo, 0x7f00000, v8
	v_cndmask_b32_e32 v3, 0x7e, v3, vcc_lo
; %bb.1827:
	s_and_not1_saveexec_b32 s3, s3
; %bb.1828:
	v_add_f32_e64 v3, 0x46800000, |v2|
; %bb.1829:
	s_or_b32 exec_lo, exec_lo, s3
                                        ; implicit-def: $vgpr8
.LBB193_1830:
	s_and_not1_saveexec_b32 s1, s1
; %bb.1831:
	v_mov_b32_e32 v3, 0x7f
	v_cmp_lt_u32_e32 vcc_lo, 0x7f800000, v8
	s_delay_alu instid0(VALU_DEP_2)
	v_cndmask_b32_e32 v3, 0x7e, v3, vcc_lo
; %bb.1832:
	s_or_b32 exec_lo, exec_lo, s1
	v_lshrrev_b32_e32 v2, 24, v2
	s_delay_alu instid0(VALU_DEP_1)
	v_and_or_b32 v2, 0x80, v2, v3
	global_store_b8 v[6:7], v2, off
.LBB193_1833:
	s_mov_b32 s1, 0
.LBB193_1834:
	s_delay_alu instid0(SALU_CYCLE_1)
	s_and_not1_b32 vcc_lo, exec_lo, s1
	s_cbranch_vccnz .LBB193_1844
; %bb.1835:
	v_cvt_f32_f64_e32 v2, v[0:1]
	s_mov_b32 s1, exec_lo
                                        ; implicit-def: $vgpr3
	s_delay_alu instid0(VALU_DEP_1) | instskip(NEXT) | instid1(VALU_DEP_1)
	v_and_b32_e32 v8, 0x7fffffff, v2
	v_cmpx_gt_u32_e32 0x47800000, v8
	s_xor_b32 s1, exec_lo, s1
	s_cbranch_execz .LBB193_1841
; %bb.1836:
	s_mov_b32 s3, exec_lo
                                        ; implicit-def: $vgpr3
	v_cmpx_lt_u32_e32 0x387fffff, v8
	s_xor_b32 s3, exec_lo, s3
; %bb.1837:
	v_bfe_u32 v3, v2, 21, 1
	s_delay_alu instid0(VALU_DEP_1) | instskip(NEXT) | instid1(VALU_DEP_1)
	v_add3_u32 v3, v2, v3, 0x80fffff
	v_lshrrev_b32_e32 v3, 21, v3
; %bb.1838:
	s_and_not1_saveexec_b32 s3, s3
; %bb.1839:
	v_add_f32_e64 v3, 0x43000000, |v2|
; %bb.1840:
	s_or_b32 exec_lo, exec_lo, s3
                                        ; implicit-def: $vgpr8
.LBB193_1841:
	s_and_not1_saveexec_b32 s1, s1
; %bb.1842:
	v_mov_b32_e32 v3, 0x7f
	v_cmp_lt_u32_e32 vcc_lo, 0x7f800000, v8
	s_delay_alu instid0(VALU_DEP_2)
	v_cndmask_b32_e32 v3, 0x7c, v3, vcc_lo
; %bb.1843:
	s_or_b32 exec_lo, exec_lo, s1
	v_lshrrev_b32_e32 v2, 24, v2
	s_delay_alu instid0(VALU_DEP_1)
	v_and_or_b32 v2, 0x80, v2, v3
	global_store_b8 v[6:7], v2, off
.LBB193_1844:
	s_mov_b32 s1, 0
	s_mov_b32 s3, -1
.LBB193_1845:
	s_and_not1_b32 vcc_lo, exec_lo, s1
	s_mov_b32 s1, 0
	s_cbranch_vccnz .LBB193_1852
; %bb.1846:
	v_cmp_lt_i16_e32 vcc_lo, 14, v15
	s_mov_b32 s1, -1
	s_cbranch_vccz .LBB193_1850
; %bb.1847:
	v_cmp_eq_u16_e32 vcc_lo, 15, v15
	s_mov_b32 s0, -1
	s_cbranch_vccz .LBB193_1849
; %bb.1848:
	v_cvt_f32_f64_e32 v2, v[0:1]
	s_mov_b32 s0, 0
	s_mov_b32 s3, -1
	s_delay_alu instid0(VALU_DEP_1) | instskip(SKIP_1) | instid1(VALU_DEP_2)
	v_bfe_u32 v3, v2, 16, 1
	v_cmp_o_f32_e32 vcc_lo, v2, v2
	v_add3_u32 v3, v2, v3, 0x7fff
	s_delay_alu instid0(VALU_DEP_1) | instskip(NEXT) | instid1(VALU_DEP_1)
	v_lshrrev_b32_e32 v3, 16, v3
	v_cndmask_b32_e32 v2, 0x7fc0, v3, vcc_lo
	global_store_b16 v[6:7], v2, off
.LBB193_1849:
	s_mov_b32 s1, 0
.LBB193_1850:
	s_delay_alu instid0(SALU_CYCLE_1)
	s_and_b32 vcc_lo, exec_lo, s1
	s_mov_b32 s1, 0
	s_cbranch_vccz .LBB193_1852
; %bb.1851:
	v_cmp_ne_u16_e64 s0, 11, v15
	s_mov_b32 s1, -1
.LBB193_1852:
	s_delay_alu instid0(VALU_DEP_1)
	s_and_b32 vcc_lo, exec_lo, s0
	s_cbranch_vccnz .LBB193_2149
; %bb.1853:
	s_and_not1_b32 vcc_lo, exec_lo, s1
	s_cbranch_vccnz .LBB193_1855
.LBB193_1854:
	v_cmp_neq_f64_e32 vcc_lo, 0, v[0:1]
	s_mov_b32 s3, -1
	v_cndmask_b32_e64 v2, 0, 1, vcc_lo
	global_store_b8 v[6:7], v2, off
.LBB193_1855:
	s_mov_b32 s0, 0
.LBB193_1856:
	s_delay_alu instid0(SALU_CYCLE_1)
	s_and_b32 vcc_lo, exec_lo, s0
	s_cbranch_vccz .LBB193_1895
; %bb.1857:
	v_cmp_gt_i16_e32 vcc_lo, 5, v15
	s_mov_b32 s0, -1
	s_cbranch_vccnz .LBB193_1878
; %bb.1858:
	v_cmp_gt_i16_e32 vcc_lo, 8, v15
	s_cbranch_vccnz .LBB193_1868
; %bb.1859:
	v_cmp_gt_i16_e32 vcc_lo, 9, v15
	s_cbranch_vccnz .LBB193_1865
; %bb.1860:
	v_cmp_lt_i16_e32 vcc_lo, 9, v15
	s_cbranch_vccz .LBB193_1862
; %bb.1861:
	v_mov_b32_e32 v2, 0
	s_mov_b32 s0, 0
	s_delay_alu instid0(VALU_DEP_1)
	v_mov_b32_e32 v3, v2
	global_store_b128 v[6:7], v[0:3], off
.LBB193_1862:
	s_and_not1_b32 vcc_lo, exec_lo, s0
	s_cbranch_vccnz .LBB193_1864
; %bb.1863:
	v_cvt_f32_f64_e32 v2, v[0:1]
	v_mov_b32_e32 v3, 0
	global_store_b64 v[6:7], v[2:3], off
.LBB193_1864:
	s_mov_b32 s0, 0
.LBB193_1865:
	s_delay_alu instid0(SALU_CYCLE_1)
	s_and_not1_b32 vcc_lo, exec_lo, s0
	s_cbranch_vccnz .LBB193_1867
; %bb.1866:
	v_cvt_f32_f64_e32 v2, v[0:1]
	s_delay_alu instid0(VALU_DEP_1) | instskip(NEXT) | instid1(VALU_DEP_1)
	v_cvt_f16_f32_e32 v2, v2
	v_and_b32_e32 v2, 0xffff, v2
	global_store_b32 v[6:7], v2, off
.LBB193_1867:
	s_mov_b32 s0, 0
.LBB193_1868:
	s_delay_alu instid0(SALU_CYCLE_1)
	s_and_not1_b32 vcc_lo, exec_lo, s0
	s_cbranch_vccnz .LBB193_1877
; %bb.1869:
	v_cmp_gt_i16_e32 vcc_lo, 6, v15
	s_mov_b32 s0, -1
	s_cbranch_vccnz .LBB193_1875
; %bb.1870:
	v_cmp_lt_i16_e32 vcc_lo, 6, v15
	s_cbranch_vccz .LBB193_1872
; %bb.1871:
	s_mov_b32 s0, 0
	global_store_b64 v[6:7], v[0:1], off
.LBB193_1872:
	s_and_not1_b32 vcc_lo, exec_lo, s0
	s_cbranch_vccnz .LBB193_1874
; %bb.1873:
	v_cvt_f32_f64_e32 v2, v[0:1]
	global_store_b32 v[6:7], v2, off
.LBB193_1874:
	s_mov_b32 s0, 0
.LBB193_1875:
	s_delay_alu instid0(SALU_CYCLE_1)
	s_and_not1_b32 vcc_lo, exec_lo, s0
	s_cbranch_vccnz .LBB193_1877
; %bb.1876:
	v_cvt_f32_f64_e32 v2, v[0:1]
	s_delay_alu instid0(VALU_DEP_1)
	v_cvt_f16_f32_e32 v2, v2
	global_store_b16 v[6:7], v2, off
.LBB193_1877:
	s_mov_b32 s0, 0
.LBB193_1878:
	s_delay_alu instid0(SALU_CYCLE_1)
	s_and_not1_b32 vcc_lo, exec_lo, s0
	s_cbranch_vccnz .LBB193_1894
; %bb.1879:
	v_cmp_gt_i16_e32 vcc_lo, 2, v15
	s_mov_b32 s0, -1
	s_cbranch_vccnz .LBB193_1889
; %bb.1880:
	v_cmp_gt_i16_e32 vcc_lo, 3, v15
	s_cbranch_vccnz .LBB193_1886
; %bb.1881:
	v_cmp_lt_i16_e32 vcc_lo, 3, v15
	s_cbranch_vccz .LBB193_1883
; %bb.1882:
	v_trunc_f64_e32 v[2:3], v[0:1]
	s_mov_b32 s0, 0
	s_delay_alu instid0(VALU_DEP_1) | instskip(NEXT) | instid1(VALU_DEP_1)
	v_ldexp_f64 v[13:14], v[2:3], 0xffffffe0
	v_floor_f64_e32 v[13:14], v[13:14]
	s_delay_alu instid0(VALU_DEP_1) | instskip(SKIP_1) | instid1(VALU_DEP_2)
	v_fma_f64 v[2:3], 0xc1f00000, v[13:14], v[2:3]
	v_cvt_i32_f64_e32 v14, v[13:14]
	v_cvt_u32_f64_e32 v13, v[2:3]
	global_store_b64 v[6:7], v[13:14], off
.LBB193_1883:
	s_and_not1_b32 vcc_lo, exec_lo, s0
	s_cbranch_vccnz .LBB193_1885
; %bb.1884:
	v_cvt_i32_f64_e32 v2, v[0:1]
	global_store_b32 v[6:7], v2, off
.LBB193_1885:
	s_mov_b32 s0, 0
.LBB193_1886:
	s_delay_alu instid0(SALU_CYCLE_1)
	s_and_not1_b32 vcc_lo, exec_lo, s0
	s_cbranch_vccnz .LBB193_1888
; %bb.1887:
	v_cvt_i32_f64_e32 v2, v[0:1]
	global_store_b16 v[6:7], v2, off
.LBB193_1888:
	s_mov_b32 s0, 0
.LBB193_1889:
	s_delay_alu instid0(SALU_CYCLE_1)
	s_and_not1_b32 vcc_lo, exec_lo, s0
	s_cbranch_vccnz .LBB193_1894
; %bb.1890:
	v_cmp_lt_i16_e32 vcc_lo, 0, v15
	s_mov_b32 s0, -1
	s_cbranch_vccz .LBB193_1892
; %bb.1891:
	v_cvt_i32_f64_e32 v2, v[0:1]
	s_mov_b32 s0, 0
	global_store_b8 v[6:7], v2, off
.LBB193_1892:
	s_and_not1_b32 vcc_lo, exec_lo, s0
	s_cbranch_vccnz .LBB193_1894
; %bb.1893:
	v_trunc_f64_e32 v[0:1], v[0:1]
	s_delay_alu instid0(VALU_DEP_1) | instskip(NEXT) | instid1(VALU_DEP_1)
	v_ldexp_f64 v[2:3], v[0:1], 0xffffffe0
	v_floor_f64_e32 v[2:3], v[2:3]
	s_delay_alu instid0(VALU_DEP_1) | instskip(NEXT) | instid1(VALU_DEP_1)
	v_fma_f64 v[0:1], 0xc1f00000, v[2:3], v[0:1]
	v_cvt_u32_f64_e32 v0, v[0:1]
	global_store_b8 v[6:7], v0, off
.LBB193_1894:
	s_mov_b32 s3, -1
.LBB193_1895:
	s_delay_alu instid0(SALU_CYCLE_1)
	s_and_not1_b32 vcc_lo, exec_lo, s3
	s_cbranch_vccnz .LBB193_2090
; %bb.1896:
	v_rsq_f64_e32 v[0:1], v[9:10]
	v_cmp_gt_i16_e64 s0, 11, v15
	v_add_co_u32 v5, s1, s4, v5
	s_mov_b32 s3, 0
	s_waitcnt_depctr 0xfff
	v_mul_f64 v[2:3], v[0:1], -v[9:10]
	v_cmp_class_f64_e64 vcc_lo, v[0:1], 0x180
	s_delay_alu instid0(VALU_DEP_2) | instskip(NEXT) | instid1(VALU_DEP_1)
	v_fma_f64 v[2:3], v[2:3], v[0:1], 1.0
	v_mul_f64 v[6:7], v[0:1], v[2:3]
	v_fma_f64 v[2:3], 0x3fd80000, v[2:3], 0.5
	s_delay_alu instid0(VALU_DEP_1) | instskip(SKIP_1) | instid1(VALU_DEP_2)
	v_fma_f64 v[2:3], v[6:7], v[2:3], v[0:1]
	v_add_co_ci_u32_e64 v6, null, s5, 0, s1
	v_dual_cndmask_b32 v1, v1, v3 :: v_dual_cndmask_b32 v0, v0, v2
	s_and_b32 vcc_lo, exec_lo, s0
	s_mov_b32 s0, -1
	s_cbranch_vccnz .LBB193_1974
; %bb.1897:
	v_cmp_lt_i16_e32 vcc_lo, 25, v15
	s_mov_b32 s6, -1
	s_mov_b32 s1, 0
	s_mov_b32 s0, 0
	s_cbranch_vccz .LBB193_1930
; %bb.1898:
	v_cmp_lt_i16_e32 vcc_lo, 28, v15
	s_cbranch_vccz .LBB193_1913
; %bb.1899:
	v_cmp_lt_i16_e32 vcc_lo, 43, v15
	;; [unrolled: 3-line block ×3, first 2 shown]
	s_cbranch_vccz .LBB193_1903
; %bb.1901:
	v_cmp_eq_u16_e32 vcc_lo, 46, v15
	s_mov_b32 s0, -1
	s_mov_b32 s6, 0
	s_cbranch_vccz .LBB193_1903
; %bb.1902:
	v_cvt_f32_f64_e32 v2, v[0:1]
	s_mov_b32 s0, 0
	s_mov_b32 s3, -1
	s_delay_alu instid0(VALU_DEP_1) | instskip(SKIP_1) | instid1(VALU_DEP_2)
	v_bfe_u32 v3, v2, 16, 1
	v_cmp_o_f32_e32 vcc_lo, v2, v2
	v_add3_u32 v3, v2, v3, 0x7fff
	s_delay_alu instid0(VALU_DEP_1) | instskip(NEXT) | instid1(VALU_DEP_1)
	v_lshrrev_b32_e32 v3, 16, v3
	v_cndmask_b32_e32 v2, 0x7fc0, v3, vcc_lo
	global_store_b32 v[5:6], v2, off
.LBB193_1903:
	s_and_b32 vcc_lo, exec_lo, s6
	s_cbranch_vccz .LBB193_1908
; %bb.1904:
	v_cmp_eq_u16_e32 vcc_lo, 44, v15
	s_mov_b32 s0, -1
	s_cbranch_vccz .LBB193_1908
; %bb.1905:
	v_cvt_f32_f64_e32 v2, v[0:1]
	v_mov_b32_e32 v3, 0xff
	s_mov_b32 s3, exec_lo
	s_delay_alu instid0(VALU_DEP_2) | instskip(NEXT) | instid1(VALU_DEP_1)
	v_bfe_u32 v7, v2, 23, 8
	v_cmpx_ne_u32_e32 0xff, v7
; %bb.1906:
	v_and_b32_e32 v3, 0x400000, v2
	v_and_or_b32 v7, 0x3fffff, v2, v7
	v_lshrrev_b32_e32 v2, 23, v2
	s_delay_alu instid0(VALU_DEP_3) | instskip(NEXT) | instid1(VALU_DEP_3)
	v_cmp_ne_u32_e32 vcc_lo, 0, v3
	v_cmp_ne_u32_e64 s0, 0, v7
	s_delay_alu instid0(VALU_DEP_1) | instskip(NEXT) | instid1(SALU_CYCLE_1)
	s_and_b32 s0, vcc_lo, s0
	v_cndmask_b32_e64 v3, 0, 1, s0
	s_delay_alu instid0(VALU_DEP_1)
	v_add_nc_u32_e32 v3, v2, v3
; %bb.1907:
	s_or_b32 exec_lo, exec_lo, s3
	s_mov_b32 s0, 0
	s_mov_b32 s3, -1
	global_store_b8 v[5:6], v3, off
.LBB193_1908:
	s_mov_b32 s6, 0
.LBB193_1909:
	s_delay_alu instid0(SALU_CYCLE_1)
	s_and_b32 vcc_lo, exec_lo, s6
	s_cbranch_vccz .LBB193_1912
; %bb.1910:
	v_cmp_eq_u16_e32 vcc_lo, 29, v15
	s_mov_b32 s0, -1
	s_cbranch_vccz .LBB193_1912
; %bb.1911:
	v_trunc_f64_e32 v[2:3], v[0:1]
	s_mov_b32 s0, 0
	s_mov_b32 s3, -1
	s_delay_alu instid0(VALU_DEP_1) | instskip(NEXT) | instid1(VALU_DEP_1)
	v_ldexp_f64 v[7:8], v[2:3], 0xffffffe0
	v_floor_f64_e32 v[7:8], v[7:8]
	s_delay_alu instid0(VALU_DEP_1) | instskip(SKIP_1) | instid1(VALU_DEP_2)
	v_fma_f64 v[2:3], 0xc1f00000, v[7:8], v[2:3]
	v_cvt_u32_f64_e32 v8, v[7:8]
	v_cvt_u32_f64_e32 v7, v[2:3]
	global_store_b64 v[5:6], v[7:8], off
.LBB193_1912:
	s_mov_b32 s6, 0
.LBB193_1913:
	s_delay_alu instid0(SALU_CYCLE_1)
	s_and_b32 vcc_lo, exec_lo, s6
	s_cbranch_vccz .LBB193_1929
; %bb.1914:
	v_cmp_gt_i16_e32 vcc_lo, 27, v15
	s_mov_b32 s3, -1
	s_cbranch_vccnz .LBB193_1920
; %bb.1915:
	v_cvt_u32_f64_e32 v2, v[0:1]
	v_cmp_lt_i16_e32 vcc_lo, 27, v15
	s_cbranch_vccz .LBB193_1917
; %bb.1916:
	s_mov_b32 s3, 0
	global_store_b32 v[5:6], v2, off
.LBB193_1917:
	s_and_not1_b32 vcc_lo, exec_lo, s3
	s_cbranch_vccnz .LBB193_1919
; %bb.1918:
	global_store_b16 v[5:6], v2, off
.LBB193_1919:
	s_mov_b32 s3, 0
.LBB193_1920:
	s_delay_alu instid0(SALU_CYCLE_1)
	s_and_not1_b32 vcc_lo, exec_lo, s3
	s_cbranch_vccnz .LBB193_1928
; %bb.1921:
	v_cvt_f32_f64_e32 v2, v[0:1]
	v_mov_b32_e32 v7, 0x80
	s_mov_b32 s3, exec_lo
	s_delay_alu instid0(VALU_DEP_2) | instskip(NEXT) | instid1(VALU_DEP_1)
	v_and_b32_e32 v3, 0x7fffffff, v2
	v_cmpx_gt_u32_e32 0x43800000, v3
	s_cbranch_execz .LBB193_1927
; %bb.1922:
	v_cmp_lt_u32_e32 vcc_lo, 0x3bffffff, v3
	s_mov_b32 s6, 0
                                        ; implicit-def: $vgpr3
	s_and_saveexec_b32 s7, vcc_lo
	s_delay_alu instid0(SALU_CYCLE_1)
	s_xor_b32 s7, exec_lo, s7
	s_cbranch_execz .LBB193_2153
; %bb.1923:
	v_bfe_u32 v3, v2, 20, 1
	s_mov_b32 s6, exec_lo
	s_delay_alu instid0(VALU_DEP_1) | instskip(NEXT) | instid1(VALU_DEP_1)
	v_add3_u32 v3, v2, v3, 0x487ffff
	v_lshrrev_b32_e32 v3, 20, v3
	s_or_saveexec_b32 s7, s7
                                        ; implicit-def: $sgpr10
	s_delay_alu instid0(SALU_CYCLE_1)
	s_xor_b32 exec_lo, exec_lo, s7
	s_cbranch_execnz .LBB193_2154
.LBB193_1924:
	s_or_b32 exec_lo, exec_lo, s7
	v_mov_b32_e32 v7, s10
	s_and_saveexec_b32 s7, s6
.LBB193_1925:
	v_lshrrev_b32_e32 v2, 24, v2
	s_delay_alu instid0(VALU_DEP_1)
	v_and_or_b32 v7, 0x80, v2, v3
.LBB193_1926:
	s_or_b32 exec_lo, exec_lo, s7
.LBB193_1927:
	s_delay_alu instid0(SALU_CYCLE_1)
	s_or_b32 exec_lo, exec_lo, s3
	global_store_b8 v[5:6], v7, off
.LBB193_1928:
	s_mov_b32 s3, -1
.LBB193_1929:
	s_mov_b32 s6, 0
.LBB193_1930:
	s_delay_alu instid0(SALU_CYCLE_1)
	s_and_b32 vcc_lo, exec_lo, s6
	s_cbranch_vccz .LBB193_1970
; %bb.1931:
	v_cmp_lt_i16_e32 vcc_lo, 22, v15
	s_mov_b32 s1, -1
	s_cbranch_vccz .LBB193_1963
; %bb.1932:
	v_cmp_gt_i16_e32 vcc_lo, 24, v15
	s_cbranch_vccnz .LBB193_1952
; %bb.1933:
	v_cmp_lt_i16_e32 vcc_lo, 24, v15
	s_cbranch_vccz .LBB193_1941
; %bb.1934:
	v_cvt_f32_f64_e32 v2, v[0:1]
	v_mov_b32_e32 v7, 0x80
	s_mov_b32 s1, exec_lo
	s_delay_alu instid0(VALU_DEP_2) | instskip(NEXT) | instid1(VALU_DEP_1)
	v_and_b32_e32 v3, 0x7fffffff, v2
	v_cmpx_gt_u32_e32 0x47800000, v3
	s_cbranch_execz .LBB193_1940
; %bb.1935:
	v_cmp_lt_u32_e32 vcc_lo, 0x37ffffff, v3
	s_mov_b32 s3, 0
                                        ; implicit-def: $vgpr3
	s_and_saveexec_b32 s6, vcc_lo
	s_delay_alu instid0(SALU_CYCLE_1)
	s_xor_b32 s6, exec_lo, s6
	s_cbranch_execz .LBB193_2159
; %bb.1936:
	v_bfe_u32 v3, v2, 21, 1
	s_mov_b32 s3, exec_lo
	s_delay_alu instid0(VALU_DEP_1) | instskip(NEXT) | instid1(VALU_DEP_1)
	v_add3_u32 v3, v2, v3, 0x88fffff
	v_lshrrev_b32_e32 v3, 21, v3
	s_or_saveexec_b32 s6, s6
                                        ; implicit-def: $sgpr7
	s_delay_alu instid0(SALU_CYCLE_1)
	s_xor_b32 exec_lo, exec_lo, s6
	s_cbranch_execnz .LBB193_2160
.LBB193_1937:
	s_or_b32 exec_lo, exec_lo, s6
	v_mov_b32_e32 v7, s7
	s_and_saveexec_b32 s6, s3
.LBB193_1938:
	v_lshrrev_b32_e32 v2, 24, v2
	s_delay_alu instid0(VALU_DEP_1)
	v_and_or_b32 v7, 0x80, v2, v3
.LBB193_1939:
	s_or_b32 exec_lo, exec_lo, s6
.LBB193_1940:
	s_delay_alu instid0(SALU_CYCLE_1)
	s_or_b32 exec_lo, exec_lo, s1
	s_mov_b32 s1, 0
	global_store_b8 v[5:6], v7, off
.LBB193_1941:
	s_and_b32 vcc_lo, exec_lo, s1
	s_cbranch_vccz .LBB193_1951
; %bb.1942:
	v_cvt_f32_f64_e32 v2, v[0:1]
	s_mov_b32 s1, exec_lo
                                        ; implicit-def: $vgpr3
	s_delay_alu instid0(VALU_DEP_1) | instskip(NEXT) | instid1(VALU_DEP_1)
	v_and_b32_e32 v7, 0x7fffffff, v2
	v_cmpx_gt_u32_e32 0x43f00000, v7
	s_xor_b32 s1, exec_lo, s1
	s_cbranch_execz .LBB193_1948
; %bb.1943:
	s_mov_b32 s3, exec_lo
                                        ; implicit-def: $vgpr3
	v_cmpx_lt_u32_e32 0x3c7fffff, v7
	s_xor_b32 s3, exec_lo, s3
; %bb.1944:
	v_bfe_u32 v3, v2, 20, 1
	s_delay_alu instid0(VALU_DEP_1) | instskip(NEXT) | instid1(VALU_DEP_1)
	v_add3_u32 v3, v2, v3, 0x407ffff
	v_and_b32_e32 v7, 0xff00000, v3
	v_lshrrev_b32_e32 v3, 20, v3
	s_delay_alu instid0(VALU_DEP_2) | instskip(NEXT) | instid1(VALU_DEP_2)
	v_cmp_ne_u32_e32 vcc_lo, 0x7f00000, v7
	v_cndmask_b32_e32 v3, 0x7e, v3, vcc_lo
; %bb.1945:
	s_and_not1_saveexec_b32 s3, s3
; %bb.1946:
	v_add_f32_e64 v3, 0x46800000, |v2|
; %bb.1947:
	s_or_b32 exec_lo, exec_lo, s3
                                        ; implicit-def: $vgpr7
.LBB193_1948:
	s_and_not1_saveexec_b32 s1, s1
; %bb.1949:
	v_mov_b32_e32 v3, 0x7f
	v_cmp_lt_u32_e32 vcc_lo, 0x7f800000, v7
	s_delay_alu instid0(VALU_DEP_2)
	v_cndmask_b32_e32 v3, 0x7e, v3, vcc_lo
; %bb.1950:
	s_or_b32 exec_lo, exec_lo, s1
	v_lshrrev_b32_e32 v2, 24, v2
	s_delay_alu instid0(VALU_DEP_1)
	v_and_or_b32 v2, 0x80, v2, v3
	global_store_b8 v[5:6], v2, off
.LBB193_1951:
	s_mov_b32 s1, 0
.LBB193_1952:
	s_delay_alu instid0(SALU_CYCLE_1)
	s_and_not1_b32 vcc_lo, exec_lo, s1
	s_cbranch_vccnz .LBB193_1962
; %bb.1953:
	v_cvt_f32_f64_e32 v2, v[0:1]
	s_mov_b32 s1, exec_lo
                                        ; implicit-def: $vgpr3
	s_delay_alu instid0(VALU_DEP_1) | instskip(NEXT) | instid1(VALU_DEP_1)
	v_and_b32_e32 v7, 0x7fffffff, v2
	v_cmpx_gt_u32_e32 0x47800000, v7
	s_xor_b32 s1, exec_lo, s1
	s_cbranch_execz .LBB193_1959
; %bb.1954:
	s_mov_b32 s3, exec_lo
                                        ; implicit-def: $vgpr3
	v_cmpx_lt_u32_e32 0x387fffff, v7
	s_xor_b32 s3, exec_lo, s3
; %bb.1955:
	v_bfe_u32 v3, v2, 21, 1
	s_delay_alu instid0(VALU_DEP_1) | instskip(NEXT) | instid1(VALU_DEP_1)
	v_add3_u32 v3, v2, v3, 0x80fffff
	v_lshrrev_b32_e32 v3, 21, v3
; %bb.1956:
	s_and_not1_saveexec_b32 s3, s3
; %bb.1957:
	v_add_f32_e64 v3, 0x43000000, |v2|
; %bb.1958:
	s_or_b32 exec_lo, exec_lo, s3
                                        ; implicit-def: $vgpr7
.LBB193_1959:
	s_and_not1_saveexec_b32 s1, s1
; %bb.1960:
	v_mov_b32_e32 v3, 0x7f
	v_cmp_lt_u32_e32 vcc_lo, 0x7f800000, v7
	s_delay_alu instid0(VALU_DEP_2)
	v_cndmask_b32_e32 v3, 0x7c, v3, vcc_lo
; %bb.1961:
	s_or_b32 exec_lo, exec_lo, s1
	v_lshrrev_b32_e32 v2, 24, v2
	s_delay_alu instid0(VALU_DEP_1)
	v_and_or_b32 v2, 0x80, v2, v3
	global_store_b8 v[5:6], v2, off
.LBB193_1962:
	s_mov_b32 s1, 0
	s_mov_b32 s3, -1
.LBB193_1963:
	s_and_not1_b32 vcc_lo, exec_lo, s1
	s_mov_b32 s1, 0
	s_cbranch_vccnz .LBB193_1970
; %bb.1964:
	v_cmp_lt_i16_e32 vcc_lo, 14, v15
	s_mov_b32 s1, -1
	s_cbranch_vccz .LBB193_1968
; %bb.1965:
	v_cmp_eq_u16_e32 vcc_lo, 15, v15
	s_mov_b32 s0, -1
	s_cbranch_vccz .LBB193_1967
; %bb.1966:
	v_cvt_f32_f64_e32 v2, v[0:1]
	s_mov_b32 s0, 0
	s_mov_b32 s3, -1
	s_delay_alu instid0(VALU_DEP_1) | instskip(SKIP_1) | instid1(VALU_DEP_2)
	v_bfe_u32 v3, v2, 16, 1
	v_cmp_o_f32_e32 vcc_lo, v2, v2
	v_add3_u32 v3, v2, v3, 0x7fff
	s_delay_alu instid0(VALU_DEP_1) | instskip(NEXT) | instid1(VALU_DEP_1)
	v_lshrrev_b32_e32 v3, 16, v3
	v_cndmask_b32_e32 v2, 0x7fc0, v3, vcc_lo
	global_store_b16 v[5:6], v2, off
.LBB193_1967:
	s_mov_b32 s1, 0
.LBB193_1968:
	s_delay_alu instid0(SALU_CYCLE_1)
	s_and_b32 vcc_lo, exec_lo, s1
	s_mov_b32 s1, 0
	s_cbranch_vccz .LBB193_1970
; %bb.1969:
	v_cmp_ne_u16_e64 s0, 11, v15
	s_mov_b32 s1, -1
.LBB193_1970:
	s_delay_alu instid0(VALU_DEP_1)
	s_and_b32 vcc_lo, exec_lo, s0
	s_cbranch_vccnz .LBB193_2157
; %bb.1971:
	s_and_not1_b32 vcc_lo, exec_lo, s1
	s_cbranch_vccnz .LBB193_1973
.LBB193_1972:
	v_cmp_neq_f64_e32 vcc_lo, 0, v[0:1]
	s_mov_b32 s3, -1
	v_cndmask_b32_e64 v2, 0, 1, vcc_lo
	global_store_b8 v[5:6], v2, off
.LBB193_1973:
	s_mov_b32 s0, 0
.LBB193_1974:
	s_delay_alu instid0(SALU_CYCLE_1)
	s_and_b32 vcc_lo, exec_lo, s0
	s_cbranch_vccz .LBB193_2013
; %bb.1975:
	v_cmp_gt_i16_e32 vcc_lo, 5, v15
	s_mov_b32 s0, -1
	s_cbranch_vccnz .LBB193_1996
; %bb.1976:
	v_cmp_gt_i16_e32 vcc_lo, 8, v15
	s_cbranch_vccnz .LBB193_1986
; %bb.1977:
	v_cmp_gt_i16_e32 vcc_lo, 9, v15
	s_cbranch_vccnz .LBB193_1983
; %bb.1978:
	v_cmp_lt_i16_e32 vcc_lo, 9, v15
	s_cbranch_vccz .LBB193_1980
; %bb.1979:
	v_mov_b32_e32 v2, 0
	s_mov_b32 s0, 0
	s_delay_alu instid0(VALU_DEP_1)
	v_mov_b32_e32 v3, v2
	global_store_b128 v[5:6], v[0:3], off
.LBB193_1980:
	s_and_not1_b32 vcc_lo, exec_lo, s0
	s_cbranch_vccnz .LBB193_1982
; %bb.1981:
	v_cvt_f32_f64_e32 v2, v[0:1]
	v_mov_b32_e32 v3, 0
	global_store_b64 v[5:6], v[2:3], off
.LBB193_1982:
	s_mov_b32 s0, 0
.LBB193_1983:
	s_delay_alu instid0(SALU_CYCLE_1)
	s_and_not1_b32 vcc_lo, exec_lo, s0
	s_cbranch_vccnz .LBB193_1985
; %bb.1984:
	v_cvt_f32_f64_e32 v2, v[0:1]
	s_delay_alu instid0(VALU_DEP_1) | instskip(NEXT) | instid1(VALU_DEP_1)
	v_cvt_f16_f32_e32 v2, v2
	v_and_b32_e32 v2, 0xffff, v2
	global_store_b32 v[5:6], v2, off
.LBB193_1985:
	s_mov_b32 s0, 0
.LBB193_1986:
	s_delay_alu instid0(SALU_CYCLE_1)
	s_and_not1_b32 vcc_lo, exec_lo, s0
	s_cbranch_vccnz .LBB193_1995
; %bb.1987:
	v_cmp_gt_i16_e32 vcc_lo, 6, v15
	s_mov_b32 s0, -1
	s_cbranch_vccnz .LBB193_1993
; %bb.1988:
	v_cmp_lt_i16_e32 vcc_lo, 6, v15
	s_cbranch_vccz .LBB193_1990
; %bb.1989:
	s_mov_b32 s0, 0
	global_store_b64 v[5:6], v[0:1], off
.LBB193_1990:
	s_and_not1_b32 vcc_lo, exec_lo, s0
	s_cbranch_vccnz .LBB193_1992
; %bb.1991:
	v_cvt_f32_f64_e32 v2, v[0:1]
	global_store_b32 v[5:6], v2, off
.LBB193_1992:
	s_mov_b32 s0, 0
.LBB193_1993:
	s_delay_alu instid0(SALU_CYCLE_1)
	s_and_not1_b32 vcc_lo, exec_lo, s0
	s_cbranch_vccnz .LBB193_1995
; %bb.1994:
	v_cvt_f32_f64_e32 v2, v[0:1]
	s_delay_alu instid0(VALU_DEP_1)
	v_cvt_f16_f32_e32 v2, v2
	global_store_b16 v[5:6], v2, off
.LBB193_1995:
	s_mov_b32 s0, 0
.LBB193_1996:
	s_delay_alu instid0(SALU_CYCLE_1)
	s_and_not1_b32 vcc_lo, exec_lo, s0
	s_cbranch_vccnz .LBB193_2012
; %bb.1997:
	v_cmp_gt_i16_e32 vcc_lo, 2, v15
	s_mov_b32 s0, -1
	s_cbranch_vccnz .LBB193_2007
; %bb.1998:
	v_cmp_gt_i16_e32 vcc_lo, 3, v15
	s_cbranch_vccnz .LBB193_2004
; %bb.1999:
	v_cmp_lt_i16_e32 vcc_lo, 3, v15
	s_cbranch_vccz .LBB193_2001
; %bb.2000:
	v_trunc_f64_e32 v[2:3], v[0:1]
	s_mov_b32 s0, 0
	s_delay_alu instid0(VALU_DEP_1) | instskip(NEXT) | instid1(VALU_DEP_1)
	v_ldexp_f64 v[7:8], v[2:3], 0xffffffe0
	v_floor_f64_e32 v[7:8], v[7:8]
	s_delay_alu instid0(VALU_DEP_1) | instskip(SKIP_1) | instid1(VALU_DEP_2)
	v_fma_f64 v[2:3], 0xc1f00000, v[7:8], v[2:3]
	v_cvt_i32_f64_e32 v8, v[7:8]
	v_cvt_u32_f64_e32 v7, v[2:3]
	global_store_b64 v[5:6], v[7:8], off
.LBB193_2001:
	s_and_not1_b32 vcc_lo, exec_lo, s0
	s_cbranch_vccnz .LBB193_2003
; %bb.2002:
	v_cvt_i32_f64_e32 v2, v[0:1]
	global_store_b32 v[5:6], v2, off
.LBB193_2003:
	s_mov_b32 s0, 0
.LBB193_2004:
	s_delay_alu instid0(SALU_CYCLE_1)
	s_and_not1_b32 vcc_lo, exec_lo, s0
	s_cbranch_vccnz .LBB193_2006
; %bb.2005:
	v_cvt_i32_f64_e32 v2, v[0:1]
	global_store_b16 v[5:6], v2, off
.LBB193_2006:
	s_mov_b32 s0, 0
.LBB193_2007:
	s_delay_alu instid0(SALU_CYCLE_1)
	s_and_not1_b32 vcc_lo, exec_lo, s0
	s_cbranch_vccnz .LBB193_2012
; %bb.2008:
	v_cmp_lt_i16_e32 vcc_lo, 0, v15
	s_mov_b32 s0, -1
	s_cbranch_vccz .LBB193_2010
; %bb.2009:
	v_cvt_i32_f64_e32 v2, v[0:1]
	s_mov_b32 s0, 0
	global_store_b8 v[5:6], v2, off
.LBB193_2010:
	s_and_not1_b32 vcc_lo, exec_lo, s0
	s_cbranch_vccnz .LBB193_2012
; %bb.2011:
	v_trunc_f64_e32 v[0:1], v[0:1]
	s_delay_alu instid0(VALU_DEP_1) | instskip(NEXT) | instid1(VALU_DEP_1)
	v_ldexp_f64 v[2:3], v[0:1], 0xffffffe0
	v_floor_f64_e32 v[2:3], v[2:3]
	s_delay_alu instid0(VALU_DEP_1) | instskip(NEXT) | instid1(VALU_DEP_1)
	v_fma_f64 v[0:1], 0xc1f00000, v[2:3], v[0:1]
	v_cvt_u32_f64_e32 v0, v[0:1]
	global_store_b8 v[5:6], v0, off
.LBB193_2012:
	s_mov_b32 s3, -1
.LBB193_2013:
	s_delay_alu instid0(SALU_CYCLE_1)
	s_and_not1_b32 vcc_lo, exec_lo, s3
	s_cbranch_vccnz .LBB193_2090
; %bb.2014:
	v_rsq_f64_e32 v[0:1], v[11:12]
	v_cmp_gt_i16_e64 s0, 11, v15
	v_add_co_u32 v4, s3, s4, v4
	s_mov_b32 s1, 0
	s_waitcnt_depctr 0xfff
	v_mul_f64 v[2:3], v[0:1], -v[11:12]
	v_cmp_class_f64_e64 vcc_lo, v[0:1], 0x180
	s_delay_alu instid0(VALU_DEP_2) | instskip(NEXT) | instid1(VALU_DEP_1)
	v_fma_f64 v[2:3], v[2:3], v[0:1], 1.0
	v_mul_f64 v[5:6], v[0:1], v[2:3]
	v_fma_f64 v[2:3], 0x3fd80000, v[2:3], 0.5
	s_delay_alu instid0(VALU_DEP_1) | instskip(SKIP_1) | instid1(VALU_DEP_2)
	v_fma_f64 v[2:3], v[5:6], v[2:3], v[0:1]
	v_add_co_ci_u32_e64 v5, null, s5, 0, s3
	v_dual_cndmask_b32 v1, v1, v3 :: v_dual_cndmask_b32 v0, v0, v2
	s_and_b32 vcc_lo, exec_lo, s0
	s_mov_b32 s0, -1
	s_cbranch_vccnz .LBB193_2091
; %bb.2015:
	v_cmp_lt_i16_e32 vcc_lo, 25, v15
	s_mov_b32 s3, -1
	s_mov_b32 s0, 0
	s_cbranch_vccz .LBB193_2048
; %bb.2016:
	v_cmp_lt_i16_e32 vcc_lo, 28, v15
	s_cbranch_vccz .LBB193_2032
; %bb.2017:
	v_cmp_lt_i16_e32 vcc_lo, 43, v15
	;; [unrolled: 3-line block ×3, first 2 shown]
	s_cbranch_vccz .LBB193_2022
; %bb.2019:
	v_cmp_eq_u16_e32 vcc_lo, 46, v15
	s_mov_b32 s0, -1
	s_cbranch_vccz .LBB193_2021
; %bb.2020:
	v_cvt_f32_f64_e32 v2, v[0:1]
	s_mov_b32 s0, 0
	s_delay_alu instid0(VALU_DEP_1) | instskip(SKIP_1) | instid1(VALU_DEP_2)
	v_bfe_u32 v3, v2, 16, 1
	v_cmp_o_f32_e32 vcc_lo, v2, v2
	v_add3_u32 v3, v2, v3, 0x7fff
	s_delay_alu instid0(VALU_DEP_1) | instskip(NEXT) | instid1(VALU_DEP_1)
	v_lshrrev_b32_e32 v3, 16, v3
	v_cndmask_b32_e32 v2, 0x7fc0, v3, vcc_lo
	global_store_b32 v[4:5], v2, off
.LBB193_2021:
	s_mov_b32 s3, 0
.LBB193_2022:
	s_delay_alu instid0(SALU_CYCLE_1)
	s_and_b32 vcc_lo, exec_lo, s3
	s_cbranch_vccz .LBB193_2027
; %bb.2023:
	v_cmp_eq_u16_e32 vcc_lo, 44, v15
	s_mov_b32 s0, -1
	s_cbranch_vccz .LBB193_2027
; %bb.2024:
	v_cvt_f32_f64_e32 v2, v[0:1]
	v_mov_b32_e32 v3, 0xff
	s_mov_b32 s3, exec_lo
	s_delay_alu instid0(VALU_DEP_2) | instskip(NEXT) | instid1(VALU_DEP_1)
	v_bfe_u32 v6, v2, 23, 8
	v_cmpx_ne_u32_e32 0xff, v6
; %bb.2025:
	v_and_b32_e32 v3, 0x400000, v2
	v_and_or_b32 v6, 0x3fffff, v2, v6
	v_lshrrev_b32_e32 v2, 23, v2
	s_delay_alu instid0(VALU_DEP_3) | instskip(NEXT) | instid1(VALU_DEP_3)
	v_cmp_ne_u32_e32 vcc_lo, 0, v3
	v_cmp_ne_u32_e64 s0, 0, v6
	s_delay_alu instid0(VALU_DEP_1) | instskip(NEXT) | instid1(SALU_CYCLE_1)
	s_and_b32 s0, vcc_lo, s0
	v_cndmask_b32_e64 v3, 0, 1, s0
	s_delay_alu instid0(VALU_DEP_1)
	v_add_nc_u32_e32 v3, v2, v3
; %bb.2026:
	s_or_b32 exec_lo, exec_lo, s3
	s_mov_b32 s0, 0
	global_store_b8 v[4:5], v3, off
.LBB193_2027:
	s_mov_b32 s3, 0
.LBB193_2028:
	s_delay_alu instid0(SALU_CYCLE_1)
	s_and_b32 vcc_lo, exec_lo, s3
	s_cbranch_vccz .LBB193_2031
; %bb.2029:
	v_cmp_eq_u16_e32 vcc_lo, 29, v15
	s_mov_b32 s0, -1
	s_cbranch_vccz .LBB193_2031
; %bb.2030:
	v_trunc_f64_e32 v[2:3], v[0:1]
	s_mov_b32 s0, 0
	s_delay_alu instid0(VALU_DEP_1) | instskip(NEXT) | instid1(VALU_DEP_1)
	v_ldexp_f64 v[6:7], v[2:3], 0xffffffe0
	v_floor_f64_e32 v[6:7], v[6:7]
	s_delay_alu instid0(VALU_DEP_1) | instskip(SKIP_1) | instid1(VALU_DEP_2)
	v_fma_f64 v[2:3], 0xc1f00000, v[6:7], v[2:3]
	v_cvt_u32_f64_e32 v7, v[6:7]
	v_cvt_u32_f64_e32 v6, v[2:3]
	global_store_b64 v[4:5], v[6:7], off
.LBB193_2031:
	s_mov_b32 s3, 0
.LBB193_2032:
	s_delay_alu instid0(SALU_CYCLE_1)
	s_and_b32 vcc_lo, exec_lo, s3
	s_cbranch_vccz .LBB193_2047
; %bb.2033:
	v_cmp_gt_i16_e32 vcc_lo, 27, v15
	s_mov_b32 s3, -1
	s_cbranch_vccnz .LBB193_2039
; %bb.2034:
	v_cvt_u32_f64_e32 v2, v[0:1]
	v_cmp_lt_i16_e32 vcc_lo, 27, v15
	s_cbranch_vccz .LBB193_2036
; %bb.2035:
	s_mov_b32 s3, 0
	global_store_b32 v[4:5], v2, off
.LBB193_2036:
	s_and_not1_b32 vcc_lo, exec_lo, s3
	s_cbranch_vccnz .LBB193_2038
; %bb.2037:
	global_store_b16 v[4:5], v2, off
.LBB193_2038:
	s_mov_b32 s3, 0
.LBB193_2039:
	s_delay_alu instid0(SALU_CYCLE_1)
	s_and_not1_b32 vcc_lo, exec_lo, s3
	s_cbranch_vccnz .LBB193_2047
; %bb.2040:
	v_cvt_f32_f64_e32 v2, v[0:1]
	v_mov_b32_e32 v6, 0x80
	s_mov_b32 s3, exec_lo
	s_delay_alu instid0(VALU_DEP_2) | instskip(NEXT) | instid1(VALU_DEP_1)
	v_and_b32_e32 v3, 0x7fffffff, v2
	v_cmpx_gt_u32_e32 0x43800000, v3
	s_cbranch_execz .LBB193_2046
; %bb.2041:
	v_cmp_lt_u32_e32 vcc_lo, 0x3bffffff, v3
	s_mov_b32 s4, 0
                                        ; implicit-def: $vgpr3
	s_and_saveexec_b32 s5, vcc_lo
	s_delay_alu instid0(SALU_CYCLE_1)
	s_xor_b32 s5, exec_lo, s5
	s_cbranch_execz .LBB193_2161
; %bb.2042:
	v_bfe_u32 v3, v2, 20, 1
	s_mov_b32 s4, exec_lo
	s_delay_alu instid0(VALU_DEP_1) | instskip(NEXT) | instid1(VALU_DEP_1)
	v_add3_u32 v3, v2, v3, 0x487ffff
	v_lshrrev_b32_e32 v3, 20, v3
	s_or_saveexec_b32 s5, s5
                                        ; implicit-def: $sgpr6
	s_delay_alu instid0(SALU_CYCLE_1)
	s_xor_b32 exec_lo, exec_lo, s5
	s_cbranch_execnz .LBB193_2162
.LBB193_2043:
	s_or_b32 exec_lo, exec_lo, s5
	v_mov_b32_e32 v6, s6
	s_and_saveexec_b32 s5, s4
.LBB193_2044:
	v_lshrrev_b32_e32 v2, 24, v2
	s_delay_alu instid0(VALU_DEP_1)
	v_and_or_b32 v6, 0x80, v2, v3
.LBB193_2045:
	s_or_b32 exec_lo, exec_lo, s5
.LBB193_2046:
	s_delay_alu instid0(SALU_CYCLE_1)
	s_or_b32 exec_lo, exec_lo, s3
	global_store_b8 v[4:5], v6, off
.LBB193_2047:
	s_mov_b32 s3, 0
.LBB193_2048:
	s_delay_alu instid0(SALU_CYCLE_1)
	s_and_b32 vcc_lo, exec_lo, s3
	s_cbranch_vccz .LBB193_2088
; %bb.2049:
	v_cmp_lt_i16_e32 vcc_lo, 22, v15
	s_mov_b32 s1, -1
	s_cbranch_vccz .LBB193_2081
; %bb.2050:
	v_cmp_gt_i16_e32 vcc_lo, 24, v15
	s_cbranch_vccnz .LBB193_2070
; %bb.2051:
	v_cmp_lt_i16_e32 vcc_lo, 24, v15
	s_cbranch_vccz .LBB193_2059
; %bb.2052:
	v_cvt_f32_f64_e32 v2, v[0:1]
	v_mov_b32_e32 v6, 0x80
	s_mov_b32 s1, exec_lo
	s_delay_alu instid0(VALU_DEP_2) | instskip(NEXT) | instid1(VALU_DEP_1)
	v_and_b32_e32 v3, 0x7fffffff, v2
	v_cmpx_gt_u32_e32 0x47800000, v3
	s_cbranch_execz .LBB193_2058
; %bb.2053:
	v_cmp_lt_u32_e32 vcc_lo, 0x37ffffff, v3
	s_mov_b32 s3, 0
                                        ; implicit-def: $vgpr3
	s_and_saveexec_b32 s4, vcc_lo
	s_delay_alu instid0(SALU_CYCLE_1)
	s_xor_b32 s4, exec_lo, s4
	s_cbranch_execz .LBB193_2167
; %bb.2054:
	v_bfe_u32 v3, v2, 21, 1
	s_mov_b32 s3, exec_lo
	s_delay_alu instid0(VALU_DEP_1) | instskip(NEXT) | instid1(VALU_DEP_1)
	v_add3_u32 v3, v2, v3, 0x88fffff
	v_lshrrev_b32_e32 v3, 21, v3
	s_or_saveexec_b32 s4, s4
                                        ; implicit-def: $sgpr5
	s_delay_alu instid0(SALU_CYCLE_1)
	s_xor_b32 exec_lo, exec_lo, s4
	s_cbranch_execnz .LBB193_2168
.LBB193_2055:
	s_or_b32 exec_lo, exec_lo, s4
	v_mov_b32_e32 v6, s5
	s_and_saveexec_b32 s4, s3
.LBB193_2056:
	v_lshrrev_b32_e32 v2, 24, v2
	s_delay_alu instid0(VALU_DEP_1)
	v_and_or_b32 v6, 0x80, v2, v3
.LBB193_2057:
	s_or_b32 exec_lo, exec_lo, s4
.LBB193_2058:
	s_delay_alu instid0(SALU_CYCLE_1)
	s_or_b32 exec_lo, exec_lo, s1
	s_mov_b32 s1, 0
	global_store_b8 v[4:5], v6, off
.LBB193_2059:
	s_and_b32 vcc_lo, exec_lo, s1
	s_cbranch_vccz .LBB193_2069
; %bb.2060:
	v_cvt_f32_f64_e32 v2, v[0:1]
	s_mov_b32 s1, exec_lo
                                        ; implicit-def: $vgpr3
	s_delay_alu instid0(VALU_DEP_1) | instskip(NEXT) | instid1(VALU_DEP_1)
	v_and_b32_e32 v6, 0x7fffffff, v2
	v_cmpx_gt_u32_e32 0x43f00000, v6
	s_xor_b32 s1, exec_lo, s1
	s_cbranch_execz .LBB193_2066
; %bb.2061:
	s_mov_b32 s3, exec_lo
                                        ; implicit-def: $vgpr3
	v_cmpx_lt_u32_e32 0x3c7fffff, v6
	s_xor_b32 s3, exec_lo, s3
; %bb.2062:
	v_bfe_u32 v3, v2, 20, 1
	s_delay_alu instid0(VALU_DEP_1) | instskip(NEXT) | instid1(VALU_DEP_1)
	v_add3_u32 v3, v2, v3, 0x407ffff
	v_and_b32_e32 v6, 0xff00000, v3
	v_lshrrev_b32_e32 v3, 20, v3
	s_delay_alu instid0(VALU_DEP_2) | instskip(NEXT) | instid1(VALU_DEP_2)
	v_cmp_ne_u32_e32 vcc_lo, 0x7f00000, v6
	v_cndmask_b32_e32 v3, 0x7e, v3, vcc_lo
; %bb.2063:
	s_and_not1_saveexec_b32 s3, s3
; %bb.2064:
	v_add_f32_e64 v3, 0x46800000, |v2|
; %bb.2065:
	s_or_b32 exec_lo, exec_lo, s3
                                        ; implicit-def: $vgpr6
.LBB193_2066:
	s_and_not1_saveexec_b32 s1, s1
; %bb.2067:
	v_mov_b32_e32 v3, 0x7f
	v_cmp_lt_u32_e32 vcc_lo, 0x7f800000, v6
	s_delay_alu instid0(VALU_DEP_2)
	v_cndmask_b32_e32 v3, 0x7e, v3, vcc_lo
; %bb.2068:
	s_or_b32 exec_lo, exec_lo, s1
	v_lshrrev_b32_e32 v2, 24, v2
	s_delay_alu instid0(VALU_DEP_1)
	v_and_or_b32 v2, 0x80, v2, v3
	global_store_b8 v[4:5], v2, off
.LBB193_2069:
	s_mov_b32 s1, 0
.LBB193_2070:
	s_delay_alu instid0(SALU_CYCLE_1)
	s_and_not1_b32 vcc_lo, exec_lo, s1
	s_cbranch_vccnz .LBB193_2080
; %bb.2071:
	v_cvt_f32_f64_e32 v2, v[0:1]
	s_mov_b32 s1, exec_lo
                                        ; implicit-def: $vgpr3
	s_delay_alu instid0(VALU_DEP_1) | instskip(NEXT) | instid1(VALU_DEP_1)
	v_and_b32_e32 v6, 0x7fffffff, v2
	v_cmpx_gt_u32_e32 0x47800000, v6
	s_xor_b32 s1, exec_lo, s1
	s_cbranch_execz .LBB193_2077
; %bb.2072:
	s_mov_b32 s3, exec_lo
                                        ; implicit-def: $vgpr3
	v_cmpx_lt_u32_e32 0x387fffff, v6
	s_xor_b32 s3, exec_lo, s3
; %bb.2073:
	v_bfe_u32 v3, v2, 21, 1
	s_delay_alu instid0(VALU_DEP_1) | instskip(NEXT) | instid1(VALU_DEP_1)
	v_add3_u32 v3, v2, v3, 0x80fffff
	v_lshrrev_b32_e32 v3, 21, v3
; %bb.2074:
	s_and_not1_saveexec_b32 s3, s3
; %bb.2075:
	v_add_f32_e64 v3, 0x43000000, |v2|
; %bb.2076:
	s_or_b32 exec_lo, exec_lo, s3
                                        ; implicit-def: $vgpr6
.LBB193_2077:
	s_and_not1_saveexec_b32 s1, s1
; %bb.2078:
	v_mov_b32_e32 v3, 0x7f
	v_cmp_lt_u32_e32 vcc_lo, 0x7f800000, v6
	s_delay_alu instid0(VALU_DEP_2)
	v_cndmask_b32_e32 v3, 0x7c, v3, vcc_lo
; %bb.2079:
	s_or_b32 exec_lo, exec_lo, s1
	v_lshrrev_b32_e32 v2, 24, v2
	s_delay_alu instid0(VALU_DEP_1)
	v_and_or_b32 v2, 0x80, v2, v3
	global_store_b8 v[4:5], v2, off
.LBB193_2080:
	s_mov_b32 s1, 0
.LBB193_2081:
	s_delay_alu instid0(SALU_CYCLE_1)
	s_and_not1_b32 vcc_lo, exec_lo, s1
	s_mov_b32 s1, 0
	s_cbranch_vccnz .LBB193_2088
; %bb.2082:
	v_cmp_lt_i16_e32 vcc_lo, 14, v15
	s_mov_b32 s1, -1
	s_cbranch_vccz .LBB193_2086
; %bb.2083:
	v_cmp_eq_u16_e32 vcc_lo, 15, v15
	s_mov_b32 s0, -1
	s_cbranch_vccz .LBB193_2085
; %bb.2084:
	v_cvt_f32_f64_e32 v2, v[0:1]
	s_mov_b32 s0, 0
	s_delay_alu instid0(VALU_DEP_1) | instskip(SKIP_1) | instid1(VALU_DEP_2)
	v_bfe_u32 v3, v2, 16, 1
	v_cmp_o_f32_e32 vcc_lo, v2, v2
	v_add3_u32 v3, v2, v3, 0x7fff
	s_delay_alu instid0(VALU_DEP_1) | instskip(NEXT) | instid1(VALU_DEP_1)
	v_lshrrev_b32_e32 v3, 16, v3
	v_cndmask_b32_e32 v2, 0x7fc0, v3, vcc_lo
	global_store_b16 v[4:5], v2, off
.LBB193_2085:
	s_mov_b32 s1, 0
.LBB193_2086:
	s_delay_alu instid0(SALU_CYCLE_1)
	s_and_b32 vcc_lo, exec_lo, s1
	s_mov_b32 s1, 0
	s_cbranch_vccz .LBB193_2088
; %bb.2087:
	v_cmp_ne_u16_e64 s0, 11, v15
	s_mov_b32 s1, -1
.LBB193_2088:
	s_delay_alu instid0(VALU_DEP_1)
	s_and_b32 vcc_lo, exec_lo, s0
	s_cbranch_vccnz .LBB193_2165
.LBB193_2089:
	s_mov_b32 s0, 0
	s_branch .LBB193_2091
.LBB193_2090:
	s_mov_b32 s0, 0
	s_mov_b32 s1, 0
                                        ; implicit-def: $vgpr4_vgpr5
                                        ; implicit-def: $vgpr15
                                        ; implicit-def: $vgpr0_vgpr1
.LBB193_2091:
	s_and_b32 s3, s0, exec_lo
	s_and_not1_b32 s0, s8, exec_lo
	s_and_b32 s2, s2, exec_lo
	s_and_b32 s26, s1, exec_lo
	s_or_b32 s8, s0, s2
.LBB193_2092:
	s_or_b32 exec_lo, exec_lo, s9
	s_and_saveexec_b32 s0, s8
	s_cbranch_execz .LBB193_2095
; %bb.2093:
	; divergent unreachable
	s_or_b32 exec_lo, exec_lo, s0
	s_and_saveexec_b32 s0, s26
	s_delay_alu instid0(SALU_CYCLE_1)
	s_xor_b32 s0, exec_lo, s0
	s_cbranch_execnz .LBB193_2096
.LBB193_2094:
	s_or_b32 exec_lo, exec_lo, s0
	s_and_saveexec_b32 s0, s3
	s_cbranch_execnz .LBB193_2097
	s_branch .LBB193_2134
.LBB193_2095:
	s_or_b32 exec_lo, exec_lo, s0
	s_and_saveexec_b32 s0, s26
	s_delay_alu instid0(SALU_CYCLE_1)
	s_xor_b32 s0, exec_lo, s0
	s_cbranch_execz .LBB193_2094
.LBB193_2096:
	s_waitcnt vmcnt(0)
	s_delay_alu instid0(VALU_DEP_1)
	v_cmp_neq_f64_e32 vcc_lo, 0, v[0:1]
	v_cndmask_b32_e64 v2, 0, 1, vcc_lo
	global_store_b8 v[4:5], v2, off
	s_or_b32 exec_lo, exec_lo, s0
	s_and_saveexec_b32 s0, s3
	s_cbranch_execz .LBB193_2134
.LBB193_2097:
	v_cmp_gt_i16_e32 vcc_lo, 5, v15
	s_mov_b32 s0, -1
	s_cbranch_vccnz .LBB193_2118
; %bb.2098:
	v_cmp_gt_i16_e32 vcc_lo, 8, v15
	s_cbranch_vccnz .LBB193_2108
; %bb.2099:
	v_cmp_gt_i16_e32 vcc_lo, 9, v15
	s_cbranch_vccnz .LBB193_2105
; %bb.2100:
	v_cmp_lt_i16_e32 vcc_lo, 9, v15
	s_cbranch_vccz .LBB193_2102
; %bb.2101:
	s_waitcnt vmcnt(0)
	v_mov_b32_e32 v2, 0
	s_mov_b32 s0, 0
	s_delay_alu instid0(VALU_DEP_1)
	v_mov_b32_e32 v3, v2
	global_store_b128 v[4:5], v[0:3], off
.LBB193_2102:
	s_and_not1_b32 vcc_lo, exec_lo, s0
	s_cbranch_vccnz .LBB193_2104
; %bb.2103:
	s_waitcnt vmcnt(0)
	v_cvt_f32_f64_e32 v2, v[0:1]
	v_mov_b32_e32 v3, 0
	global_store_b64 v[4:5], v[2:3], off
.LBB193_2104:
	s_mov_b32 s0, 0
.LBB193_2105:
	s_delay_alu instid0(SALU_CYCLE_1)
	s_and_not1_b32 vcc_lo, exec_lo, s0
	s_cbranch_vccnz .LBB193_2107
; %bb.2106:
	s_waitcnt vmcnt(0)
	v_cvt_f32_f64_e32 v2, v[0:1]
	s_delay_alu instid0(VALU_DEP_1) | instskip(NEXT) | instid1(VALU_DEP_1)
	v_cvt_f16_f32_e32 v2, v2
	v_and_b32_e32 v2, 0xffff, v2
	global_store_b32 v[4:5], v2, off
.LBB193_2107:
	s_mov_b32 s0, 0
.LBB193_2108:
	s_delay_alu instid0(SALU_CYCLE_1)
	s_and_not1_b32 vcc_lo, exec_lo, s0
	s_cbranch_vccnz .LBB193_2117
; %bb.2109:
	v_cmp_gt_i16_e32 vcc_lo, 6, v15
	s_mov_b32 s0, -1
	s_cbranch_vccnz .LBB193_2115
; %bb.2110:
	v_cmp_lt_i16_e32 vcc_lo, 6, v15
	s_cbranch_vccz .LBB193_2112
; %bb.2111:
	s_mov_b32 s0, 0
	s_waitcnt vmcnt(0)
	global_store_b64 v[4:5], v[0:1], off
.LBB193_2112:
	s_and_not1_b32 vcc_lo, exec_lo, s0
	s_cbranch_vccnz .LBB193_2114
; %bb.2113:
	s_waitcnt vmcnt(0)
	v_cvt_f32_f64_e32 v2, v[0:1]
	global_store_b32 v[4:5], v2, off
.LBB193_2114:
	s_mov_b32 s0, 0
.LBB193_2115:
	s_delay_alu instid0(SALU_CYCLE_1)
	s_and_not1_b32 vcc_lo, exec_lo, s0
	s_cbranch_vccnz .LBB193_2117
; %bb.2116:
	s_waitcnt vmcnt(0)
	v_cvt_f32_f64_e32 v2, v[0:1]
	s_delay_alu instid0(VALU_DEP_1)
	v_cvt_f16_f32_e32 v2, v2
	global_store_b16 v[4:5], v2, off
.LBB193_2117:
	s_mov_b32 s0, 0
.LBB193_2118:
	s_delay_alu instid0(SALU_CYCLE_1)
	s_and_not1_b32 vcc_lo, exec_lo, s0
	s_cbranch_vccnz .LBB193_2134
; %bb.2119:
	v_cmp_gt_i16_e32 vcc_lo, 2, v15
	s_mov_b32 s0, -1
	s_cbranch_vccnz .LBB193_2129
; %bb.2120:
	v_cmp_gt_i16_e32 vcc_lo, 3, v15
	s_cbranch_vccnz .LBB193_2126
; %bb.2121:
	v_cmp_lt_i16_e32 vcc_lo, 3, v15
	s_cbranch_vccz .LBB193_2123
; %bb.2122:
	s_waitcnt vmcnt(0)
	v_trunc_f64_e32 v[2:3], v[0:1]
	s_mov_b32 s0, 0
	s_delay_alu instid0(VALU_DEP_1) | instskip(NEXT) | instid1(VALU_DEP_1)
	v_ldexp_f64 v[6:7], v[2:3], 0xffffffe0
	v_floor_f64_e32 v[6:7], v[6:7]
	s_delay_alu instid0(VALU_DEP_1) | instskip(SKIP_1) | instid1(VALU_DEP_2)
	v_fma_f64 v[2:3], 0xc1f00000, v[6:7], v[2:3]
	v_cvt_i32_f64_e32 v7, v[6:7]
	v_cvt_u32_f64_e32 v6, v[2:3]
	global_store_b64 v[4:5], v[6:7], off
.LBB193_2123:
	s_and_not1_b32 vcc_lo, exec_lo, s0
	s_cbranch_vccnz .LBB193_2125
; %bb.2124:
	s_waitcnt vmcnt(0)
	v_cvt_i32_f64_e32 v2, v[0:1]
	global_store_b32 v[4:5], v2, off
.LBB193_2125:
	s_mov_b32 s0, 0
.LBB193_2126:
	s_delay_alu instid0(SALU_CYCLE_1)
	s_and_not1_b32 vcc_lo, exec_lo, s0
	s_cbranch_vccnz .LBB193_2128
; %bb.2127:
	s_waitcnt vmcnt(0)
	v_cvt_i32_f64_e32 v2, v[0:1]
	global_store_b16 v[4:5], v2, off
.LBB193_2128:
	s_mov_b32 s0, 0
.LBB193_2129:
	s_delay_alu instid0(SALU_CYCLE_1)
	s_and_not1_b32 vcc_lo, exec_lo, s0
	s_cbranch_vccnz .LBB193_2134
; %bb.2130:
	v_cmp_lt_i16_e32 vcc_lo, 0, v15
	s_mov_b32 s0, -1
	s_cbranch_vccz .LBB193_2132
; %bb.2131:
	s_waitcnt vmcnt(0)
	v_cvt_i32_f64_e32 v2, v[0:1]
	s_mov_b32 s0, 0
	global_store_b8 v[4:5], v2, off
.LBB193_2132:
	s_and_not1_b32 vcc_lo, exec_lo, s0
	s_cbranch_vccnz .LBB193_2134
; %bb.2133:
	s_waitcnt vmcnt(0)
	v_trunc_f64_e32 v[0:1], v[0:1]
	s_delay_alu instid0(VALU_DEP_1) | instskip(NEXT) | instid1(VALU_DEP_1)
	v_ldexp_f64 v[2:3], v[0:1], 0xffffffe0
	v_floor_f64_e32 v[2:3], v[2:3]
	s_delay_alu instid0(VALU_DEP_1) | instskip(NEXT) | instid1(VALU_DEP_1)
	v_fma_f64 v[0:1], 0xc1f00000, v[2:3], v[0:1]
	v_cvt_u32_f64_e32 v0, v[0:1]
	global_store_b8 v[4:5], v0, off
	s_nop 0
	s_sendmsg sendmsg(MSG_DEALLOC_VGPRS)
	s_endpgm
.LBB193_2134:
	s_nop 0
	s_sendmsg sendmsg(MSG_DEALLOC_VGPRS)
	s_endpgm
.LBB193_2135:
	s_cbranch_execnz .LBB193_2139
; %bb.2136:
	s_or_b32 s2, s2, exec_lo
                                        ; implicit-def: $vgpr11_vgpr12
	s_cbranch_execz .LBB193_1608
	s_branch .LBB193_1609
.LBB193_2137:
	s_or_saveexec_b32 s7, s7
                                        ; implicit-def: $sgpr10
	s_delay_alu instid0(SALU_CYCLE_1)
	s_xor_b32 exec_lo, exec_lo, s7
	s_cbranch_execz .LBB193_1688
.LBB193_2138:
	v_add_f32_e64 v3, 0x46000000, |v2|
	s_and_not1_b32 s6, s6, exec_lo
	s_mov_b32 s10, 0
	s_delay_alu instid0(VALU_DEP_1) | instskip(NEXT) | instid1(VALU_DEP_1)
	v_and_b32_e32 v3, 0xff, v3
	v_cmp_ne_u32_e32 vcc_lo, 0, v3
	s_and_b32 s11, vcc_lo, exec_lo
	s_delay_alu instid0(SALU_CYCLE_1)
	s_or_b32 s6, s6, s11
	s_or_b32 exec_lo, exec_lo, s7
	v_mov_b32_e32 v16, s10
	s_and_saveexec_b32 s7, s6
	s_cbranch_execnz .LBB193_1689
	s_branch .LBB193_1690
.LBB193_2139:
	s_trap 2
	s_sendmsg_rtn_b32 s0, sendmsg(MSG_RTN_GET_DOORBELL)
	s_mov_b32 ttmp2, m0
	s_waitcnt lgkmcnt(0)
	s_and_b32 s0, s0, 0x3ff
	s_delay_alu instid0(SALU_CYCLE_1) | instskip(NEXT) | instid1(SALU_CYCLE_1)
	s_bitset1_b32 s0, 10
	s_mov_b32 m0, s0
	s_sendmsg sendmsg(MSG_INTERRUPT)
	s_mov_b32 m0, ttmp2
.LBB193_2140:                           ; =>This Inner Loop Header: Depth=1
	s_sethalt 5
	s_branch .LBB193_2140
.LBB193_2141:
	s_cbranch_execnz .LBB193_2147
; %bb.2142:
	s_or_b32 s2, s2, exec_lo
	s_cbranch_execz .LBB193_1736
	s_branch .LBB193_1737
.LBB193_2143:
	s_or_saveexec_b32 s6, s6
                                        ; implicit-def: $sgpr7
	s_delay_alu instid0(SALU_CYCLE_1)
	s_xor_b32 exec_lo, exec_lo, s6
	s_cbranch_execz .LBB193_1701
.LBB193_2144:
	v_add_f32_e64 v3, 0x42800000, |v2|
	s_and_not1_b32 s3, s3, exec_lo
	s_mov_b32 s7, 0
	s_delay_alu instid0(VALU_DEP_1) | instskip(NEXT) | instid1(VALU_DEP_1)
	v_and_b32_e32 v3, 0xff, v3
	v_cmp_ne_u32_e32 vcc_lo, 0, v3
	s_and_b32 s10, vcc_lo, exec_lo
	s_delay_alu instid0(SALU_CYCLE_1)
	s_or_b32 s3, s3, s10
	s_or_b32 exec_lo, exec_lo, s6
	v_mov_b32_e32 v16, s7
	s_and_saveexec_b32 s6, s3
	s_cbranch_execnz .LBB193_1702
	s_branch .LBB193_1703
.LBB193_2145:
	s_or_saveexec_b32 s7, s7
                                        ; implicit-def: $sgpr10
	s_delay_alu instid0(SALU_CYCLE_1)
	s_xor_b32 exec_lo, exec_lo, s7
	s_cbranch_execz .LBB193_1806
.LBB193_2146:
	v_add_f32_e64 v3, 0x46000000, |v2|
	s_and_not1_b32 s6, s6, exec_lo
	s_mov_b32 s10, 0
	s_delay_alu instid0(VALU_DEP_1) | instskip(NEXT) | instid1(VALU_DEP_1)
	v_and_b32_e32 v3, 0xff, v3
	v_cmp_ne_u32_e32 vcc_lo, 0, v3
	s_and_b32 s11, vcc_lo, exec_lo
	s_delay_alu instid0(SALU_CYCLE_1)
	s_or_b32 s6, s6, s11
	s_or_b32 exec_lo, exec_lo, s7
	v_mov_b32_e32 v8, s10
	s_and_saveexec_b32 s7, s6
	s_cbranch_execnz .LBB193_1807
	s_branch .LBB193_1808
.LBB193_2147:
	s_trap 2
	s_sendmsg_rtn_b32 s0, sendmsg(MSG_RTN_GET_DOORBELL)
	s_mov_b32 ttmp2, m0
	s_waitcnt lgkmcnt(0)
	s_and_b32 s0, s0, 0x3ff
	s_delay_alu instid0(SALU_CYCLE_1) | instskip(NEXT) | instid1(SALU_CYCLE_1)
	s_bitset1_b32 s0, 10
	s_mov_b32 m0, s0
	s_sendmsg sendmsg(MSG_INTERRUPT)
	s_mov_b32 m0, ttmp2
.LBB193_2148:                           ; =>This Inner Loop Header: Depth=1
	s_sethalt 5
	s_branch .LBB193_2148
.LBB193_2149:
	s_cbranch_execnz .LBB193_2155
; %bb.2150:
	s_or_b32 s2, s2, exec_lo
	s_cbranch_execz .LBB193_1854
	s_branch .LBB193_1855
.LBB193_2151:
	s_or_saveexec_b32 s6, s6
                                        ; implicit-def: $sgpr7
	s_delay_alu instid0(SALU_CYCLE_1)
	s_xor_b32 exec_lo, exec_lo, s6
	s_cbranch_execz .LBB193_1819
.LBB193_2152:
	v_add_f32_e64 v3, 0x42800000, |v2|
	s_and_not1_b32 s3, s3, exec_lo
	s_mov_b32 s7, 0
	s_delay_alu instid0(VALU_DEP_1) | instskip(NEXT) | instid1(VALU_DEP_1)
	v_and_b32_e32 v3, 0xff, v3
	v_cmp_ne_u32_e32 vcc_lo, 0, v3
	s_and_b32 s10, vcc_lo, exec_lo
	s_delay_alu instid0(SALU_CYCLE_1)
	s_or_b32 s3, s3, s10
	s_or_b32 exec_lo, exec_lo, s6
	v_mov_b32_e32 v8, s7
	s_and_saveexec_b32 s6, s3
	s_cbranch_execnz .LBB193_1820
	s_branch .LBB193_1821
.LBB193_2153:
	s_or_saveexec_b32 s7, s7
                                        ; implicit-def: $sgpr10
	s_delay_alu instid0(SALU_CYCLE_1)
	s_xor_b32 exec_lo, exec_lo, s7
	s_cbranch_execz .LBB193_1924
.LBB193_2154:
	v_add_f32_e64 v3, 0x46000000, |v2|
	s_and_not1_b32 s6, s6, exec_lo
	s_mov_b32 s10, 0
	s_delay_alu instid0(VALU_DEP_1) | instskip(NEXT) | instid1(VALU_DEP_1)
	v_and_b32_e32 v3, 0xff, v3
	v_cmp_ne_u32_e32 vcc_lo, 0, v3
	s_and_b32 s11, vcc_lo, exec_lo
	s_delay_alu instid0(SALU_CYCLE_1)
	s_or_b32 s6, s6, s11
	s_or_b32 exec_lo, exec_lo, s7
	v_mov_b32_e32 v7, s10
	s_and_saveexec_b32 s7, s6
	s_cbranch_execnz .LBB193_1925
	s_branch .LBB193_1926
.LBB193_2155:
	s_trap 2
	s_sendmsg_rtn_b32 s0, sendmsg(MSG_RTN_GET_DOORBELL)
	s_mov_b32 ttmp2, m0
	s_waitcnt lgkmcnt(0)
	s_and_b32 s0, s0, 0x3ff
	s_delay_alu instid0(SALU_CYCLE_1) | instskip(NEXT) | instid1(SALU_CYCLE_1)
	s_bitset1_b32 s0, 10
	s_mov_b32 m0, s0
	s_sendmsg sendmsg(MSG_INTERRUPT)
	s_mov_b32 m0, ttmp2
.LBB193_2156:                           ; =>This Inner Loop Header: Depth=1
	s_sethalt 5
	s_branch .LBB193_2156
.LBB193_2157:
	s_cbranch_execnz .LBB193_2163
; %bb.2158:
	s_or_b32 s2, s2, exec_lo
	s_cbranch_execz .LBB193_1972
	s_branch .LBB193_1973
.LBB193_2159:
	s_or_saveexec_b32 s6, s6
                                        ; implicit-def: $sgpr7
	s_delay_alu instid0(SALU_CYCLE_1)
	s_xor_b32 exec_lo, exec_lo, s6
	s_cbranch_execz .LBB193_1937
.LBB193_2160:
	v_add_f32_e64 v3, 0x42800000, |v2|
	s_and_not1_b32 s3, s3, exec_lo
	s_mov_b32 s7, 0
	s_delay_alu instid0(VALU_DEP_1) | instskip(NEXT) | instid1(VALU_DEP_1)
	v_and_b32_e32 v3, 0xff, v3
	v_cmp_ne_u32_e32 vcc_lo, 0, v3
	s_and_b32 s10, vcc_lo, exec_lo
	s_delay_alu instid0(SALU_CYCLE_1)
	s_or_b32 s3, s3, s10
	s_or_b32 exec_lo, exec_lo, s6
	v_mov_b32_e32 v7, s7
	s_and_saveexec_b32 s6, s3
	s_cbranch_execnz .LBB193_1938
	s_branch .LBB193_1939
.LBB193_2161:
	s_or_saveexec_b32 s5, s5
                                        ; implicit-def: $sgpr6
	s_delay_alu instid0(SALU_CYCLE_1)
	s_xor_b32 exec_lo, exec_lo, s5
	s_cbranch_execz .LBB193_2043
.LBB193_2162:
	v_add_f32_e64 v3, 0x46000000, |v2|
	s_and_not1_b32 s4, s4, exec_lo
	s_mov_b32 s6, 0
	s_delay_alu instid0(VALU_DEP_1) | instskip(NEXT) | instid1(VALU_DEP_1)
	v_and_b32_e32 v3, 0xff, v3
	v_cmp_ne_u32_e32 vcc_lo, 0, v3
	s_and_b32 s7, vcc_lo, exec_lo
	s_delay_alu instid0(SALU_CYCLE_1)
	s_or_b32 s4, s4, s7
	s_or_b32 exec_lo, exec_lo, s5
	v_mov_b32_e32 v6, s6
	s_and_saveexec_b32 s5, s4
	s_cbranch_execnz .LBB193_2044
	s_branch .LBB193_2045
.LBB193_2163:
	s_trap 2
	s_sendmsg_rtn_b32 s0, sendmsg(MSG_RTN_GET_DOORBELL)
	s_mov_b32 ttmp2, m0
	s_waitcnt lgkmcnt(0)
	s_and_b32 s0, s0, 0x3ff
	s_delay_alu instid0(SALU_CYCLE_1) | instskip(NEXT) | instid1(SALU_CYCLE_1)
	s_bitset1_b32 s0, 10
	s_mov_b32 m0, s0
	s_sendmsg sendmsg(MSG_INTERRUPT)
	s_mov_b32 m0, ttmp2
.LBB193_2164:                           ; =>This Inner Loop Header: Depth=1
	s_sethalt 5
	s_branch .LBB193_2164
.LBB193_2165:
	s_cbranch_execnz .LBB193_2169
; %bb.2166:
	s_mov_b32 s1, 0
	s_or_b32 s2, s2, exec_lo
	s_branch .LBB193_2089
.LBB193_2167:
	s_or_saveexec_b32 s4, s4
                                        ; implicit-def: $sgpr5
	s_delay_alu instid0(SALU_CYCLE_1)
	s_xor_b32 exec_lo, exec_lo, s4
	s_cbranch_execz .LBB193_2055
.LBB193_2168:
	v_add_f32_e64 v3, 0x42800000, |v2|
	s_and_not1_b32 s3, s3, exec_lo
	s_mov_b32 s5, 0
	s_delay_alu instid0(VALU_DEP_1) | instskip(NEXT) | instid1(VALU_DEP_1)
	v_and_b32_e32 v3, 0xff, v3
	v_cmp_ne_u32_e32 vcc_lo, 0, v3
	s_and_b32 s6, vcc_lo, exec_lo
	s_delay_alu instid0(SALU_CYCLE_1)
	s_or_b32 s3, s3, s6
	s_or_b32 exec_lo, exec_lo, s4
	v_mov_b32_e32 v6, s5
	s_and_saveexec_b32 s4, s3
	s_cbranch_execnz .LBB193_2056
	s_branch .LBB193_2057
.LBB193_2169:
	s_trap 2
	s_sendmsg_rtn_b32 s0, sendmsg(MSG_RTN_GET_DOORBELL)
	s_mov_b32 ttmp2, m0
	s_waitcnt lgkmcnt(0)
	s_and_b32 s0, s0, 0x3ff
	s_delay_alu instid0(SALU_CYCLE_1) | instskip(NEXT) | instid1(SALU_CYCLE_1)
	s_bitset1_b32 s0, 10
	s_mov_b32 m0, s0
	s_sendmsg sendmsg(MSG_INTERRUPT)
	s_mov_b32 m0, ttmp2
.LBB193_2170:                           ; =>This Inner Loop Header: Depth=1
	s_sethalt 5
	s_branch .LBB193_2170
	.section	.rodata,"a",@progbits
	.p2align	6, 0x0
	.amdhsa_kernel _ZN2at6native32elementwise_kernel_manual_unrollILi128ELi4EZNS0_15gpu_kernel_implIZZZNS0_17rsqrt_kernel_cudaERNS_18TensorIteratorBaseEENKUlvE0_clEvENKUlvE_clEvEUldE_EEvS4_RKT_EUlibE0_EEviT1_
		.amdhsa_group_segment_fixed_size 0
		.amdhsa_private_segment_fixed_size 0
		.amdhsa_kernarg_size 360
		.amdhsa_user_sgpr_count 15
		.amdhsa_user_sgpr_dispatch_ptr 0
		.amdhsa_user_sgpr_queue_ptr 0
		.amdhsa_user_sgpr_kernarg_segment_ptr 1
		.amdhsa_user_sgpr_dispatch_id 0
		.amdhsa_user_sgpr_private_segment_size 0
		.amdhsa_wavefront_size32 1
		.amdhsa_uses_dynamic_stack 0
		.amdhsa_enable_private_segment 0
		.amdhsa_system_sgpr_workgroup_id_x 1
		.amdhsa_system_sgpr_workgroup_id_y 0
		.amdhsa_system_sgpr_workgroup_id_z 0
		.amdhsa_system_sgpr_workgroup_info 0
		.amdhsa_system_vgpr_workitem_id 0
		.amdhsa_next_free_vgpr 18
		.amdhsa_next_free_sgpr 68
		.amdhsa_reserve_vcc 1
		.amdhsa_float_round_mode_32 0
		.amdhsa_float_round_mode_16_64 0
		.amdhsa_float_denorm_mode_32 3
		.amdhsa_float_denorm_mode_16_64 3
		.amdhsa_dx10_clamp 1
		.amdhsa_ieee_mode 1
		.amdhsa_fp16_overflow 0
		.amdhsa_workgroup_processor_mode 1
		.amdhsa_memory_ordered 1
		.amdhsa_forward_progress 0
		.amdhsa_shared_vgpr_count 0
		.amdhsa_exception_fp_ieee_invalid_op 0
		.amdhsa_exception_fp_denorm_src 0
		.amdhsa_exception_fp_ieee_div_zero 0
		.amdhsa_exception_fp_ieee_overflow 0
		.amdhsa_exception_fp_ieee_underflow 0
		.amdhsa_exception_fp_ieee_inexact 0
		.amdhsa_exception_int_div_zero 0
	.end_amdhsa_kernel
	.section	.text._ZN2at6native32elementwise_kernel_manual_unrollILi128ELi4EZNS0_15gpu_kernel_implIZZZNS0_17rsqrt_kernel_cudaERNS_18TensorIteratorBaseEENKUlvE0_clEvENKUlvE_clEvEUldE_EEvS4_RKT_EUlibE0_EEviT1_,"axG",@progbits,_ZN2at6native32elementwise_kernel_manual_unrollILi128ELi4EZNS0_15gpu_kernel_implIZZZNS0_17rsqrt_kernel_cudaERNS_18TensorIteratorBaseEENKUlvE0_clEvENKUlvE_clEvEUldE_EEvS4_RKT_EUlibE0_EEviT1_,comdat
.Lfunc_end193:
	.size	_ZN2at6native32elementwise_kernel_manual_unrollILi128ELi4EZNS0_15gpu_kernel_implIZZZNS0_17rsqrt_kernel_cudaERNS_18TensorIteratorBaseEENKUlvE0_clEvENKUlvE_clEvEUldE_EEvS4_RKT_EUlibE0_EEviT1_, .Lfunc_end193-_ZN2at6native32elementwise_kernel_manual_unrollILi128ELi4EZNS0_15gpu_kernel_implIZZZNS0_17rsqrt_kernel_cudaERNS_18TensorIteratorBaseEENKUlvE0_clEvENKUlvE_clEvEUldE_EEvS4_RKT_EUlibE0_EEviT1_
                                        ; -- End function
	.section	.AMDGPU.csdata,"",@progbits
; Kernel info:
; codeLenInByte = 41800
; NumSgprs: 70
; NumVgprs: 18
; ScratchSize: 0
; MemoryBound: 1
; FloatMode: 240
; IeeeMode: 1
; LDSByteSize: 0 bytes/workgroup (compile time only)
; SGPRBlocks: 8
; VGPRBlocks: 2
; NumSGPRsForWavesPerEU: 70
; NumVGPRsForWavesPerEU: 18
; Occupancy: 16
; WaveLimiterHint : 1
; COMPUTE_PGM_RSRC2:SCRATCH_EN: 0
; COMPUTE_PGM_RSRC2:USER_SGPR: 15
; COMPUTE_PGM_RSRC2:TRAP_HANDLER: 0
; COMPUTE_PGM_RSRC2:TGID_X_EN: 1
; COMPUTE_PGM_RSRC2:TGID_Y_EN: 0
; COMPUTE_PGM_RSRC2:TGID_Z_EN: 0
; COMPUTE_PGM_RSRC2:TIDIG_COMP_CNT: 0
	.section	.text._ZN2at6native29vectorized_elementwise_kernelILi16EZZZNS0_17rsqrt_kernel_cudaERNS_18TensorIteratorBaseEENKUlvE0_clEvENKUlvE0_clEvEUlfE_St5arrayIPcLm2EEEEviT0_T1_,"axG",@progbits,_ZN2at6native29vectorized_elementwise_kernelILi16EZZZNS0_17rsqrt_kernel_cudaERNS_18TensorIteratorBaseEENKUlvE0_clEvENKUlvE0_clEvEUlfE_St5arrayIPcLm2EEEEviT0_T1_,comdat
	.globl	_ZN2at6native29vectorized_elementwise_kernelILi16EZZZNS0_17rsqrt_kernel_cudaERNS_18TensorIteratorBaseEENKUlvE0_clEvENKUlvE0_clEvEUlfE_St5arrayIPcLm2EEEEviT0_T1_ ; -- Begin function _ZN2at6native29vectorized_elementwise_kernelILi16EZZZNS0_17rsqrt_kernel_cudaERNS_18TensorIteratorBaseEENKUlvE0_clEvENKUlvE0_clEvEUlfE_St5arrayIPcLm2EEEEviT0_T1_
	.p2align	8
	.type	_ZN2at6native29vectorized_elementwise_kernelILi16EZZZNS0_17rsqrt_kernel_cudaERNS_18TensorIteratorBaseEENKUlvE0_clEvENKUlvE0_clEvEUlfE_St5arrayIPcLm2EEEEviT0_T1_,@function
_ZN2at6native29vectorized_elementwise_kernelILi16EZZZNS0_17rsqrt_kernel_cudaERNS_18TensorIteratorBaseEENKUlvE0_clEvENKUlvE0_clEvEUlfE_St5arrayIPcLm2EEEEviT0_T1_: ; @_ZN2at6native29vectorized_elementwise_kernelILi16EZZZNS0_17rsqrt_kernel_cudaERNS_18TensorIteratorBaseEENKUlvE0_clEvENKUlvE0_clEvEUlfE_St5arrayIPcLm2EEEEviT0_T1_
; %bb.0:
	s_clause 0x1
	s_load_b32 s2, s[0:1], 0x0
	s_load_b128 s[4:7], s[0:1], 0x8
	s_lshl_b32 s8, s15, 10
	s_mov_b32 s0, -1
	s_waitcnt lgkmcnt(0)
	s_sub_i32 s3, s2, s8
	s_delay_alu instid0(SALU_CYCLE_1)
	s_cmpk_gt_i32 s3, 0x3ff
	s_cbranch_scc0 .LBB194_2
; %bb.1:
	s_ashr_i32 s9, s8, 31
	v_lshlrev_b32_e32 v25, 4, v0
	s_lshl_b64 s[10:11], s[8:9], 2
	s_delay_alu instid0(SALU_CYCLE_1)
	s_add_u32 s0, s6, s10
	s_addc_u32 s1, s7, s11
	s_add_u32 s10, s4, s10
	global_load_b128 v[1:4], v25, s[0:1]
	s_addc_u32 s11, s5, s11
	s_waitcnt vmcnt(0)
	v_cvt_f64_f32_e32 v[5:6], v1
	v_cvt_f64_f32_e32 v[1:2], v2
	;; [unrolled: 1-line block ×4, first 2 shown]
	s_delay_alu instid0(VALU_DEP_4) | instskip(NEXT) | instid1(VALU_DEP_3)
	v_rsq_f64_e32 v[9:10], v[5:6]
	v_rsq_f64_e32 v[11:12], v[1:2]
	s_delay_alu instid0(VALU_DEP_2) | instskip(NEXT) | instid1(VALU_DEP_1)
	v_rsq_f64_e32 v[13:14], v[7:8]
	v_rsq_f64_e32 v[15:16], v[3:4]
	v_mul_f64 v[5:6], v[9:10], -v[5:6]
	s_delay_alu instid0(TRANS32_DEP_3)
	v_mul_f64 v[1:2], v[11:12], -v[1:2]
	s_waitcnt_depctr 0xfff
	v_mul_f64 v[7:8], v[13:14], -v[7:8]
	v_mul_f64 v[3:4], v[15:16], -v[3:4]
	v_cmp_class_f64_e64 vcc_lo, v[9:10], 0x180
	v_cmp_class_f64_e64 s0, v[11:12], 0x180
	v_cmp_class_f64_e64 s1, v[13:14], 0x180
	v_cmp_class_f64_e64 s2, v[15:16], 0x180
	v_fma_f64 v[5:6], v[5:6], v[9:10], 1.0
	v_fma_f64 v[1:2], v[1:2], v[11:12], 1.0
	;; [unrolled: 1-line block ×4, first 2 shown]
	s_delay_alu instid0(VALU_DEP_4)
	v_mul_f64 v[17:18], v[9:10], v[5:6]
	v_fma_f64 v[5:6], 0x3fd80000, v[5:6], 0.5
	v_mul_f64 v[19:20], v[11:12], v[1:2]
	v_fma_f64 v[1:2], 0x3fd80000, v[1:2], 0.5
	;; [unrolled: 2-line block ×4, first 2 shown]
	v_fma_f64 v[5:6], v[17:18], v[5:6], v[9:10]
	v_fma_f64 v[1:2], v[19:20], v[1:2], v[11:12]
	;; [unrolled: 1-line block ×3, first 2 shown]
	s_delay_alu instid0(VALU_DEP_4) | instskip(NEXT) | instid1(VALU_DEP_4)
	v_fma_f64 v[3:4], v[23:24], v[3:4], v[15:16]
	v_dual_cndmask_b32 v6, v10, v6 :: v_dual_cndmask_b32 v5, v9, v5
	s_delay_alu instid0(VALU_DEP_4)
	v_cndmask_b32_e64 v10, v12, v2, s0
	v_cndmask_b32_e64 v9, v11, v1, s0
	;; [unrolled: 1-line block ×6, first 2 shown]
	v_cvt_f32_f64_e32 v1, v[5:6]
	v_cvt_f32_f64_e32 v2, v[9:10]
	v_cvt_f32_f64_e32 v3, v[7:8]
	s_mov_b32 s0, 0
	v_cvt_f32_f64_e32 v4, v[11:12]
	global_store_b128 v25, v[1:4], s[10:11]
.LBB194_2:
	s_and_not1_b32 vcc_lo, exec_lo, s0
	s_cbranch_vccnz .LBB194_20
; %bb.3:
	v_mov_b32_e32 v7, 0
	v_dual_mov_b32 v8, 0 :: v_dual_mov_b32 v1, v0
	v_cmp_gt_i32_e32 vcc_lo, s3, v0
	v_or_b32_e32 v5, s8, v0
	v_or_b32_e32 v15, 0x100, v0
	s_delay_alu instid0(VALU_DEP_4)
	v_dual_mov_b32 v12, v8 :: v_dual_mov_b32 v11, v7
	s_and_saveexec_b32 s1, vcc_lo
	s_cbranch_execz .LBB194_5
; %bb.4:
	v_mov_b32_e32 v6, 0
	s_delay_alu instid0(VALU_DEP_1) | instskip(NEXT) | instid1(VALU_DEP_1)
	v_lshlrev_b64 v[1:2], 2, v[5:6]
	v_add_co_u32 v1, s0, s6, v1
	s_delay_alu instid0(VALU_DEP_1)
	v_add_co_ci_u32_e64 v2, s0, s7, v2, s0
	global_load_b32 v1, v[1:2], off
	s_waitcnt vmcnt(0)
	v_cvt_f64_f32_e32 v[11:12], v1
	v_or_b32_e32 v1, 0x100, v0
.LBB194_5:
	s_or_b32 exec_lo, exec_lo, s1
	s_delay_alu instid0(SALU_CYCLE_1) | instskip(NEXT) | instid1(VALU_DEP_1)
	s_mov_b32 s1, exec_lo
	v_cmpx_gt_i32_e64 s3, v1
	s_cbranch_execz .LBB194_7
; %bb.6:
	v_dual_mov_b32 v3, 0 :: v_dual_add_nc_u32 v2, s8, v1
	v_add_nc_u32_e32 v1, 0x100, v1
	s_delay_alu instid0(VALU_DEP_2) | instskip(NEXT) | instid1(VALU_DEP_1)
	v_lshlrev_b64 v[2:3], 2, v[2:3]
	v_add_co_u32 v2, s0, s6, v2
	s_delay_alu instid0(VALU_DEP_1)
	v_add_co_ci_u32_e64 v3, s0, s7, v3, s0
	global_load_b32 v2, v[2:3], off
	s_waitcnt vmcnt(0)
	v_cvt_f64_f32_e32 v[7:8], v2
.LBB194_7:
	s_or_b32 exec_lo, exec_lo, s1
	v_mov_b32_e32 v9, 0
	v_mov_b32_e32 v10, 0
	s_mov_b32 s1, exec_lo
	s_delay_alu instid0(VALU_DEP_1)
	v_dual_mov_b32 v14, v10 :: v_dual_mov_b32 v13, v9
	v_cmpx_gt_i32_e64 s3, v1
	s_cbranch_execnz .LBB194_21
; %bb.8:
	s_or_b32 exec_lo, exec_lo, s1
	s_delay_alu instid0(SALU_CYCLE_1)
	s_mov_b32 s1, exec_lo
	v_cmpx_gt_i32_e64 s3, v1
	s_cbranch_execnz .LBB194_22
.LBB194_9:
	s_or_b32 exec_lo, exec_lo, s1
                                        ; implicit-def: $vgpr1_vgpr2_vgpr3_vgpr4
	s_and_saveexec_b32 s1, vcc_lo
	s_cbranch_execnz .LBB194_23
.LBB194_10:
	s_or_b32 exec_lo, exec_lo, s1
	s_delay_alu instid0(SALU_CYCLE_1)
	s_mov_b32 s1, exec_lo
	v_cmpx_gt_i32_e64 s3, v15
.LBB194_11:
	v_rsq_f64_e32 v[11:12], v[7:8]
	s_waitcnt_depctr 0xfff
	v_mul_f64 v[6:7], v[11:12], -v[7:8]
	v_cmp_class_f64_e64 s0, v[11:12], 0x180
	s_delay_alu instid0(VALU_DEP_2) | instskip(NEXT) | instid1(VALU_DEP_1)
	v_fma_f64 v[6:7], v[6:7], v[11:12], 1.0
	v_mul_f64 v[16:17], v[11:12], v[6:7]
	v_fma_f64 v[6:7], 0x3fd80000, v[6:7], 0.5
	s_delay_alu instid0(VALU_DEP_1) | instskip(NEXT) | instid1(VALU_DEP_1)
	v_fma_f64 v[6:7], v[16:17], v[6:7], v[11:12]
	v_cndmask_b32_e64 v7, v12, v7, s0
	s_delay_alu instid0(VALU_DEP_2) | instskip(NEXT) | instid1(VALU_DEP_1)
	v_cndmask_b32_e64 v6, v11, v6, s0
	v_cvt_f32_f64_e32 v2, v[6:7]
.LBB194_12:
	s_or_b32 exec_lo, exec_lo, s1
	v_or_b32_e32 v6, 0x200, v0
	s_mov_b32 s1, exec_lo
	s_delay_alu instid0(VALU_DEP_1)
	v_cmpx_gt_i32_e64 s3, v6
; %bb.13:
	v_rsq_f64_e32 v[6:7], v[13:14]
	s_waitcnt_depctr 0xfff
	v_mul_f64 v[11:12], v[6:7], -v[13:14]
	v_cmp_class_f64_e64 s0, v[6:7], 0x180
	s_delay_alu instid0(VALU_DEP_2) | instskip(NEXT) | instid1(VALU_DEP_1)
	v_fma_f64 v[11:12], v[11:12], v[6:7], 1.0
	v_mul_f64 v[13:14], v[6:7], v[11:12]
	v_fma_f64 v[11:12], 0x3fd80000, v[11:12], 0.5
	s_delay_alu instid0(VALU_DEP_1) | instskip(NEXT) | instid1(VALU_DEP_1)
	v_fma_f64 v[11:12], v[13:14], v[11:12], v[6:7]
	v_cndmask_b32_e64 v7, v7, v12, s0
	s_delay_alu instid0(VALU_DEP_2) | instskip(NEXT) | instid1(VALU_DEP_1)
	v_cndmask_b32_e64 v6, v6, v11, s0
	v_cvt_f32_f64_e32 v3, v[6:7]
; %bb.14:
	s_or_b32 exec_lo, exec_lo, s1
	v_or_b32_e32 v6, 0x300, v0
	s_mov_b32 s1, exec_lo
	s_delay_alu instid0(VALU_DEP_1)
	v_cmpx_gt_i32_e64 s3, v6
	s_cbranch_execnz .LBB194_24
; %bb.15:
	s_or_b32 exec_lo, exec_lo, s1
	s_and_saveexec_b32 s0, vcc_lo
	s_delay_alu instid0(SALU_CYCLE_1)
	s_xor_b32 s0, exec_lo, s0
	s_cbranch_execnz .LBB194_25
.LBB194_16:
	s_or_b32 exec_lo, exec_lo, s0
	s_delay_alu instid0(SALU_CYCLE_1)
	s_mov_b32 s0, exec_lo
	v_cmpx_gt_i32_e64 s3, v0
	s_cbranch_execnz .LBB194_26
.LBB194_17:
	s_or_b32 exec_lo, exec_lo, s0
	s_delay_alu instid0(SALU_CYCLE_1)
	s_mov_b32 s0, exec_lo
	v_cmpx_gt_i32_e64 s3, v0
	s_cbranch_execnz .LBB194_27
.LBB194_18:
	s_or_b32 exec_lo, exec_lo, s0
	s_delay_alu instid0(SALU_CYCLE_1)
	s_mov_b32 s0, exec_lo
	v_cmpx_gt_i32_e64 s3, v0
	s_cbranch_execz .LBB194_20
.LBB194_19:
	v_dual_mov_b32 v1, 0 :: v_dual_add_nc_u32 v0, s8, v0
	s_delay_alu instid0(VALU_DEP_1) | instskip(NEXT) | instid1(VALU_DEP_1)
	v_lshlrev_b64 v[0:1], 2, v[0:1]
	v_add_co_u32 v0, vcc_lo, s4, v0
	s_delay_alu instid0(VALU_DEP_2)
	v_add_co_ci_u32_e32 v1, vcc_lo, s5, v1, vcc_lo
	global_store_b32 v[0:1], v4, off
.LBB194_20:
	s_nop 0
	s_sendmsg sendmsg(MSG_DEALLOC_VGPRS)
	s_endpgm
.LBB194_21:
	v_dual_mov_b32 v3, 0 :: v_dual_add_nc_u32 v2, s8, v1
	v_add_nc_u32_e32 v1, 0x100, v1
	s_delay_alu instid0(VALU_DEP_2) | instskip(NEXT) | instid1(VALU_DEP_1)
	v_lshlrev_b64 v[2:3], 2, v[2:3]
	v_add_co_u32 v2, s0, s6, v2
	s_delay_alu instid0(VALU_DEP_1) | instskip(SKIP_4) | instid1(SALU_CYCLE_1)
	v_add_co_ci_u32_e64 v3, s0, s7, v3, s0
	global_load_b32 v2, v[2:3], off
	s_waitcnt vmcnt(0)
	v_cvt_f64_f32_e32 v[13:14], v2
	s_or_b32 exec_lo, exec_lo, s1
	s_mov_b32 s1, exec_lo
	v_cmpx_gt_i32_e64 s3, v1
	s_cbranch_execz .LBB194_9
.LBB194_22:
	v_dual_mov_b32 v2, 0 :: v_dual_add_nc_u32 v1, s8, v1
	s_delay_alu instid0(VALU_DEP_1) | instskip(NEXT) | instid1(VALU_DEP_1)
	v_lshlrev_b64 v[1:2], 2, v[1:2]
	v_add_co_u32 v1, s0, s6, v1
	s_delay_alu instid0(VALU_DEP_1)
	v_add_co_ci_u32_e64 v2, s0, s7, v2, s0
	global_load_b32 v1, v[1:2], off
	s_waitcnt vmcnt(0)
	v_cvt_f64_f32_e32 v[9:10], v1
	s_or_b32 exec_lo, exec_lo, s1
                                        ; implicit-def: $vgpr1_vgpr2_vgpr3_vgpr4
	s_and_saveexec_b32 s1, vcc_lo
	s_cbranch_execz .LBB194_10
.LBB194_23:
	v_rsq_f64_e32 v[1:2], v[11:12]
	s_waitcnt_depctr 0xfff
	v_mul_f64 v[3:4], v[1:2], -v[11:12]
	v_cmp_class_f64_e64 s0, v[1:2], 0x180
	s_delay_alu instid0(VALU_DEP_2) | instskip(NEXT) | instid1(VALU_DEP_1)
	v_fma_f64 v[3:4], v[3:4], v[1:2], 1.0
	v_mul_f64 v[11:12], v[1:2], v[3:4]
	v_fma_f64 v[3:4], 0x3fd80000, v[3:4], 0.5
	s_delay_alu instid0(VALU_DEP_1) | instskip(NEXT) | instid1(VALU_DEP_1)
	v_fma_f64 v[3:4], v[11:12], v[3:4], v[1:2]
	v_cndmask_b32_e64 v2, v2, v4, s0
	s_delay_alu instid0(VALU_DEP_2) | instskip(NEXT) | instid1(VALU_DEP_1)
	v_cndmask_b32_e64 v1, v1, v3, s0
	v_cvt_f32_f64_e32 v1, v[1:2]
	s_or_b32 exec_lo, exec_lo, s1
	s_delay_alu instid0(SALU_CYCLE_1)
	s_mov_b32 s1, exec_lo
	v_cmpx_gt_i32_e64 s3, v15
	s_cbranch_execnz .LBB194_11
	s_branch .LBB194_12
.LBB194_24:
	v_rsq_f64_e32 v[6:7], v[9:10]
	s_waitcnt_depctr 0xfff
	v_mul_f64 v[8:9], v[6:7], -v[9:10]
	v_cmp_class_f64_e64 s0, v[6:7], 0x180
	s_delay_alu instid0(VALU_DEP_2) | instskip(NEXT) | instid1(VALU_DEP_1)
	v_fma_f64 v[8:9], v[8:9], v[6:7], 1.0
	v_mul_f64 v[10:11], v[6:7], v[8:9]
	v_fma_f64 v[8:9], 0x3fd80000, v[8:9], 0.5
	s_delay_alu instid0(VALU_DEP_1) | instskip(NEXT) | instid1(VALU_DEP_1)
	v_fma_f64 v[8:9], v[10:11], v[8:9], v[6:7]
	v_cndmask_b32_e64 v7, v7, v9, s0
	s_delay_alu instid0(VALU_DEP_2) | instskip(NEXT) | instid1(VALU_DEP_1)
	v_cndmask_b32_e64 v6, v6, v8, s0
	v_cvt_f32_f64_e32 v4, v[6:7]
	s_or_b32 exec_lo, exec_lo, s1
	s_and_saveexec_b32 s0, vcc_lo
	s_delay_alu instid0(SALU_CYCLE_1)
	s_xor_b32 s0, exec_lo, s0
	s_cbranch_execz .LBB194_16
.LBB194_25:
	v_mov_b32_e32 v6, 0
	v_mov_b32_e32 v0, v15
	s_delay_alu instid0(VALU_DEP_2) | instskip(NEXT) | instid1(VALU_DEP_1)
	v_lshlrev_b64 v[5:6], 2, v[5:6]
	v_add_co_u32 v5, vcc_lo, s4, v5
	s_delay_alu instid0(VALU_DEP_2) | instskip(SKIP_2) | instid1(SALU_CYCLE_1)
	v_add_co_ci_u32_e32 v6, vcc_lo, s5, v6, vcc_lo
	global_store_b32 v[5:6], v1, off
	s_or_b32 exec_lo, exec_lo, s0
	s_mov_b32 s0, exec_lo
	v_cmpx_gt_i32_e64 s3, v0
	s_cbranch_execz .LBB194_17
.LBB194_26:
	v_dual_mov_b32 v6, 0 :: v_dual_add_nc_u32 v5, s8, v0
	v_add_nc_u32_e32 v0, 0x100, v0
	s_delay_alu instid0(VALU_DEP_2) | instskip(NEXT) | instid1(VALU_DEP_1)
	v_lshlrev_b64 v[5:6], 2, v[5:6]
	v_add_co_u32 v5, vcc_lo, s4, v5
	s_delay_alu instid0(VALU_DEP_2) | instskip(SKIP_2) | instid1(SALU_CYCLE_1)
	v_add_co_ci_u32_e32 v6, vcc_lo, s5, v6, vcc_lo
	global_store_b32 v[5:6], v2, off
	s_or_b32 exec_lo, exec_lo, s0
	s_mov_b32 s0, exec_lo
	v_cmpx_gt_i32_e64 s3, v0
	s_cbranch_execz .LBB194_18
.LBB194_27:
	v_dual_mov_b32 v2, 0 :: v_dual_add_nc_u32 v1, s8, v0
	v_add_nc_u32_e32 v0, 0x100, v0
	s_delay_alu instid0(VALU_DEP_2) | instskip(NEXT) | instid1(VALU_DEP_1)
	v_lshlrev_b64 v[1:2], 2, v[1:2]
	v_add_co_u32 v1, vcc_lo, s4, v1
	s_delay_alu instid0(VALU_DEP_2) | instskip(SKIP_2) | instid1(SALU_CYCLE_1)
	v_add_co_ci_u32_e32 v2, vcc_lo, s5, v2, vcc_lo
	global_store_b32 v[1:2], v3, off
	s_or_b32 exec_lo, exec_lo, s0
	s_mov_b32 s0, exec_lo
	v_cmpx_gt_i32_e64 s3, v0
	s_cbranch_execnz .LBB194_19
	s_branch .LBB194_20
	.section	.rodata,"a",@progbits
	.p2align	6, 0x0
	.amdhsa_kernel _ZN2at6native29vectorized_elementwise_kernelILi16EZZZNS0_17rsqrt_kernel_cudaERNS_18TensorIteratorBaseEENKUlvE0_clEvENKUlvE0_clEvEUlfE_St5arrayIPcLm2EEEEviT0_T1_
		.amdhsa_group_segment_fixed_size 0
		.amdhsa_private_segment_fixed_size 0
		.amdhsa_kernarg_size 24
		.amdhsa_user_sgpr_count 15
		.amdhsa_user_sgpr_dispatch_ptr 0
		.amdhsa_user_sgpr_queue_ptr 0
		.amdhsa_user_sgpr_kernarg_segment_ptr 1
		.amdhsa_user_sgpr_dispatch_id 0
		.amdhsa_user_sgpr_private_segment_size 0
		.amdhsa_wavefront_size32 1
		.amdhsa_uses_dynamic_stack 0
		.amdhsa_enable_private_segment 0
		.amdhsa_system_sgpr_workgroup_id_x 1
		.amdhsa_system_sgpr_workgroup_id_y 0
		.amdhsa_system_sgpr_workgroup_id_z 0
		.amdhsa_system_sgpr_workgroup_info 0
		.amdhsa_system_vgpr_workitem_id 0
		.amdhsa_next_free_vgpr 26
		.amdhsa_next_free_sgpr 16
		.amdhsa_reserve_vcc 1
		.amdhsa_float_round_mode_32 0
		.amdhsa_float_round_mode_16_64 0
		.amdhsa_float_denorm_mode_32 3
		.amdhsa_float_denorm_mode_16_64 3
		.amdhsa_dx10_clamp 1
		.amdhsa_ieee_mode 1
		.amdhsa_fp16_overflow 0
		.amdhsa_workgroup_processor_mode 1
		.amdhsa_memory_ordered 1
		.amdhsa_forward_progress 0
		.amdhsa_shared_vgpr_count 0
		.amdhsa_exception_fp_ieee_invalid_op 0
		.amdhsa_exception_fp_denorm_src 0
		.amdhsa_exception_fp_ieee_div_zero 0
		.amdhsa_exception_fp_ieee_overflow 0
		.amdhsa_exception_fp_ieee_underflow 0
		.amdhsa_exception_fp_ieee_inexact 0
		.amdhsa_exception_int_div_zero 0
	.end_amdhsa_kernel
	.section	.text._ZN2at6native29vectorized_elementwise_kernelILi16EZZZNS0_17rsqrt_kernel_cudaERNS_18TensorIteratorBaseEENKUlvE0_clEvENKUlvE0_clEvEUlfE_St5arrayIPcLm2EEEEviT0_T1_,"axG",@progbits,_ZN2at6native29vectorized_elementwise_kernelILi16EZZZNS0_17rsqrt_kernel_cudaERNS_18TensorIteratorBaseEENKUlvE0_clEvENKUlvE0_clEvEUlfE_St5arrayIPcLm2EEEEviT0_T1_,comdat
.Lfunc_end194:
	.size	_ZN2at6native29vectorized_elementwise_kernelILi16EZZZNS0_17rsqrt_kernel_cudaERNS_18TensorIteratorBaseEENKUlvE0_clEvENKUlvE0_clEvEUlfE_St5arrayIPcLm2EEEEviT0_T1_, .Lfunc_end194-_ZN2at6native29vectorized_elementwise_kernelILi16EZZZNS0_17rsqrt_kernel_cudaERNS_18TensorIteratorBaseEENKUlvE0_clEvENKUlvE0_clEvEUlfE_St5arrayIPcLm2EEEEviT0_T1_
                                        ; -- End function
	.section	.AMDGPU.csdata,"",@progbits
; Kernel info:
; codeLenInByte = 1764
; NumSgprs: 18
; NumVgprs: 26
; ScratchSize: 0
; MemoryBound: 0
; FloatMode: 240
; IeeeMode: 1
; LDSByteSize: 0 bytes/workgroup (compile time only)
; SGPRBlocks: 2
; VGPRBlocks: 3
; NumSGPRsForWavesPerEU: 18
; NumVGPRsForWavesPerEU: 26
; Occupancy: 16
; WaveLimiterHint : 0
; COMPUTE_PGM_RSRC2:SCRATCH_EN: 0
; COMPUTE_PGM_RSRC2:USER_SGPR: 15
; COMPUTE_PGM_RSRC2:TRAP_HANDLER: 0
; COMPUTE_PGM_RSRC2:TGID_X_EN: 1
; COMPUTE_PGM_RSRC2:TGID_Y_EN: 0
; COMPUTE_PGM_RSRC2:TGID_Z_EN: 0
; COMPUTE_PGM_RSRC2:TIDIG_COMP_CNT: 0
	.section	.text._ZN2at6native29vectorized_elementwise_kernelILi8EZZZNS0_17rsqrt_kernel_cudaERNS_18TensorIteratorBaseEENKUlvE0_clEvENKUlvE0_clEvEUlfE_St5arrayIPcLm2EEEEviT0_T1_,"axG",@progbits,_ZN2at6native29vectorized_elementwise_kernelILi8EZZZNS0_17rsqrt_kernel_cudaERNS_18TensorIteratorBaseEENKUlvE0_clEvENKUlvE0_clEvEUlfE_St5arrayIPcLm2EEEEviT0_T1_,comdat
	.globl	_ZN2at6native29vectorized_elementwise_kernelILi8EZZZNS0_17rsqrt_kernel_cudaERNS_18TensorIteratorBaseEENKUlvE0_clEvENKUlvE0_clEvEUlfE_St5arrayIPcLm2EEEEviT0_T1_ ; -- Begin function _ZN2at6native29vectorized_elementwise_kernelILi8EZZZNS0_17rsqrt_kernel_cudaERNS_18TensorIteratorBaseEENKUlvE0_clEvENKUlvE0_clEvEUlfE_St5arrayIPcLm2EEEEviT0_T1_
	.p2align	8
	.type	_ZN2at6native29vectorized_elementwise_kernelILi8EZZZNS0_17rsqrt_kernel_cudaERNS_18TensorIteratorBaseEENKUlvE0_clEvENKUlvE0_clEvEUlfE_St5arrayIPcLm2EEEEviT0_T1_,@function
_ZN2at6native29vectorized_elementwise_kernelILi8EZZZNS0_17rsqrt_kernel_cudaERNS_18TensorIteratorBaseEENKUlvE0_clEvENKUlvE0_clEvEUlfE_St5arrayIPcLm2EEEEviT0_T1_: ; @_ZN2at6native29vectorized_elementwise_kernelILi8EZZZNS0_17rsqrt_kernel_cudaERNS_18TensorIteratorBaseEENKUlvE0_clEvENKUlvE0_clEvEUlfE_St5arrayIPcLm2EEEEviT0_T1_
; %bb.0:
	s_clause 0x1
	s_load_b32 s2, s[0:1], 0x0
	s_load_b128 s[4:7], s[0:1], 0x8
	s_lshl_b32 s8, s15, 10
	s_mov_b32 s0, -1
	s_waitcnt lgkmcnt(0)
	s_sub_i32 s3, s2, s8
	s_delay_alu instid0(SALU_CYCLE_1)
	s_cmpk_gt_i32 s3, 0x3ff
	s_cbranch_scc0 .LBB195_2
; %bb.1:
	s_ashr_i32 s9, s8, 31
	v_lshlrev_b32_e32 v25, 4, v0
	s_lshl_b64 s[10:11], s[8:9], 2
	s_delay_alu instid0(SALU_CYCLE_1)
	s_add_u32 s0, s6, s10
	s_addc_u32 s1, s7, s11
	s_add_u32 s10, s4, s10
	global_load_b128 v[1:4], v25, s[0:1]
	s_addc_u32 s11, s5, s11
	s_waitcnt vmcnt(0)
	v_cvt_f64_f32_e32 v[5:6], v1
	v_cvt_f64_f32_e32 v[1:2], v2
	;; [unrolled: 1-line block ×4, first 2 shown]
	s_delay_alu instid0(VALU_DEP_4) | instskip(NEXT) | instid1(VALU_DEP_3)
	v_rsq_f64_e32 v[9:10], v[5:6]
	v_rsq_f64_e32 v[11:12], v[1:2]
	s_delay_alu instid0(VALU_DEP_2) | instskip(NEXT) | instid1(VALU_DEP_1)
	v_rsq_f64_e32 v[13:14], v[7:8]
	v_rsq_f64_e32 v[15:16], v[3:4]
	v_mul_f64 v[5:6], v[9:10], -v[5:6]
	s_delay_alu instid0(TRANS32_DEP_3)
	v_mul_f64 v[1:2], v[11:12], -v[1:2]
	s_waitcnt_depctr 0xfff
	v_mul_f64 v[7:8], v[13:14], -v[7:8]
	v_mul_f64 v[3:4], v[15:16], -v[3:4]
	v_cmp_class_f64_e64 vcc_lo, v[9:10], 0x180
	v_cmp_class_f64_e64 s0, v[11:12], 0x180
	v_cmp_class_f64_e64 s1, v[13:14], 0x180
	;; [unrolled: 1-line block ×3, first 2 shown]
	v_fma_f64 v[5:6], v[5:6], v[9:10], 1.0
	v_fma_f64 v[1:2], v[1:2], v[11:12], 1.0
	;; [unrolled: 1-line block ×4, first 2 shown]
	s_delay_alu instid0(VALU_DEP_4)
	v_mul_f64 v[17:18], v[9:10], v[5:6]
	v_fma_f64 v[5:6], 0x3fd80000, v[5:6], 0.5
	v_mul_f64 v[19:20], v[11:12], v[1:2]
	v_fma_f64 v[1:2], 0x3fd80000, v[1:2], 0.5
	;; [unrolled: 2-line block ×4, first 2 shown]
	v_fma_f64 v[5:6], v[17:18], v[5:6], v[9:10]
	v_fma_f64 v[1:2], v[19:20], v[1:2], v[11:12]
	;; [unrolled: 1-line block ×3, first 2 shown]
	s_delay_alu instid0(VALU_DEP_4) | instskip(NEXT) | instid1(VALU_DEP_4)
	v_fma_f64 v[3:4], v[23:24], v[3:4], v[15:16]
	v_dual_cndmask_b32 v6, v10, v6 :: v_dual_cndmask_b32 v5, v9, v5
	s_delay_alu instid0(VALU_DEP_4)
	v_cndmask_b32_e64 v10, v12, v2, s0
	v_cndmask_b32_e64 v9, v11, v1, s0
	v_cndmask_b32_e64 v8, v14, v8, s1
	v_cndmask_b32_e64 v7, v13, v7, s1
	v_cndmask_b32_e64 v12, v16, v4, s2
	v_cndmask_b32_e64 v11, v15, v3, s2
	v_cvt_f32_f64_e32 v1, v[5:6]
	v_cvt_f32_f64_e32 v2, v[9:10]
	;; [unrolled: 1-line block ×3, first 2 shown]
	s_mov_b32 s0, 0
	v_cvt_f32_f64_e32 v4, v[11:12]
	global_store_b128 v25, v[1:4], s[10:11]
.LBB195_2:
	s_and_not1_b32 vcc_lo, exec_lo, s0
	s_cbranch_vccnz .LBB195_20
; %bb.3:
	v_mov_b32_e32 v7, 0
	v_dual_mov_b32 v8, 0 :: v_dual_mov_b32 v1, v0
	v_cmp_gt_i32_e32 vcc_lo, s3, v0
	v_or_b32_e32 v5, s8, v0
	v_or_b32_e32 v15, 0x100, v0
	s_delay_alu instid0(VALU_DEP_4)
	v_dual_mov_b32 v12, v8 :: v_dual_mov_b32 v11, v7
	s_and_saveexec_b32 s1, vcc_lo
	s_cbranch_execz .LBB195_5
; %bb.4:
	v_mov_b32_e32 v6, 0
	s_delay_alu instid0(VALU_DEP_1) | instskip(NEXT) | instid1(VALU_DEP_1)
	v_lshlrev_b64 v[1:2], 2, v[5:6]
	v_add_co_u32 v1, s0, s6, v1
	s_delay_alu instid0(VALU_DEP_1)
	v_add_co_ci_u32_e64 v2, s0, s7, v2, s0
	global_load_b32 v1, v[1:2], off
	s_waitcnt vmcnt(0)
	v_cvt_f64_f32_e32 v[11:12], v1
	v_or_b32_e32 v1, 0x100, v0
.LBB195_5:
	s_or_b32 exec_lo, exec_lo, s1
	s_delay_alu instid0(SALU_CYCLE_1) | instskip(NEXT) | instid1(VALU_DEP_1)
	s_mov_b32 s1, exec_lo
	v_cmpx_gt_i32_e64 s3, v1
	s_cbranch_execz .LBB195_7
; %bb.6:
	v_dual_mov_b32 v3, 0 :: v_dual_add_nc_u32 v2, s8, v1
	v_add_nc_u32_e32 v1, 0x100, v1
	s_delay_alu instid0(VALU_DEP_2) | instskip(NEXT) | instid1(VALU_DEP_1)
	v_lshlrev_b64 v[2:3], 2, v[2:3]
	v_add_co_u32 v2, s0, s6, v2
	s_delay_alu instid0(VALU_DEP_1)
	v_add_co_ci_u32_e64 v3, s0, s7, v3, s0
	global_load_b32 v2, v[2:3], off
	s_waitcnt vmcnt(0)
	v_cvt_f64_f32_e32 v[7:8], v2
.LBB195_7:
	s_or_b32 exec_lo, exec_lo, s1
	v_mov_b32_e32 v9, 0
	v_mov_b32_e32 v10, 0
	s_mov_b32 s1, exec_lo
	s_delay_alu instid0(VALU_DEP_1)
	v_dual_mov_b32 v14, v10 :: v_dual_mov_b32 v13, v9
	v_cmpx_gt_i32_e64 s3, v1
	s_cbranch_execnz .LBB195_21
; %bb.8:
	s_or_b32 exec_lo, exec_lo, s1
	s_delay_alu instid0(SALU_CYCLE_1)
	s_mov_b32 s1, exec_lo
	v_cmpx_gt_i32_e64 s3, v1
	s_cbranch_execnz .LBB195_22
.LBB195_9:
	s_or_b32 exec_lo, exec_lo, s1
                                        ; implicit-def: $vgpr1_vgpr2_vgpr3_vgpr4
	s_and_saveexec_b32 s1, vcc_lo
	s_cbranch_execnz .LBB195_23
.LBB195_10:
	s_or_b32 exec_lo, exec_lo, s1
	s_delay_alu instid0(SALU_CYCLE_1)
	s_mov_b32 s1, exec_lo
	v_cmpx_gt_i32_e64 s3, v15
.LBB195_11:
	v_rsq_f64_e32 v[11:12], v[7:8]
	s_waitcnt_depctr 0xfff
	v_mul_f64 v[6:7], v[11:12], -v[7:8]
	v_cmp_class_f64_e64 s0, v[11:12], 0x180
	s_delay_alu instid0(VALU_DEP_2) | instskip(NEXT) | instid1(VALU_DEP_1)
	v_fma_f64 v[6:7], v[6:7], v[11:12], 1.0
	v_mul_f64 v[16:17], v[11:12], v[6:7]
	v_fma_f64 v[6:7], 0x3fd80000, v[6:7], 0.5
	s_delay_alu instid0(VALU_DEP_1) | instskip(NEXT) | instid1(VALU_DEP_1)
	v_fma_f64 v[6:7], v[16:17], v[6:7], v[11:12]
	v_cndmask_b32_e64 v7, v12, v7, s0
	s_delay_alu instid0(VALU_DEP_2) | instskip(NEXT) | instid1(VALU_DEP_1)
	v_cndmask_b32_e64 v6, v11, v6, s0
	v_cvt_f32_f64_e32 v2, v[6:7]
.LBB195_12:
	s_or_b32 exec_lo, exec_lo, s1
	v_or_b32_e32 v6, 0x200, v0
	s_mov_b32 s1, exec_lo
	s_delay_alu instid0(VALU_DEP_1)
	v_cmpx_gt_i32_e64 s3, v6
; %bb.13:
	v_rsq_f64_e32 v[6:7], v[13:14]
	s_waitcnt_depctr 0xfff
	v_mul_f64 v[11:12], v[6:7], -v[13:14]
	v_cmp_class_f64_e64 s0, v[6:7], 0x180
	s_delay_alu instid0(VALU_DEP_2) | instskip(NEXT) | instid1(VALU_DEP_1)
	v_fma_f64 v[11:12], v[11:12], v[6:7], 1.0
	v_mul_f64 v[13:14], v[6:7], v[11:12]
	v_fma_f64 v[11:12], 0x3fd80000, v[11:12], 0.5
	s_delay_alu instid0(VALU_DEP_1) | instskip(NEXT) | instid1(VALU_DEP_1)
	v_fma_f64 v[11:12], v[13:14], v[11:12], v[6:7]
	v_cndmask_b32_e64 v7, v7, v12, s0
	s_delay_alu instid0(VALU_DEP_2) | instskip(NEXT) | instid1(VALU_DEP_1)
	v_cndmask_b32_e64 v6, v6, v11, s0
	v_cvt_f32_f64_e32 v3, v[6:7]
; %bb.14:
	s_or_b32 exec_lo, exec_lo, s1
	v_or_b32_e32 v6, 0x300, v0
	s_mov_b32 s1, exec_lo
	s_delay_alu instid0(VALU_DEP_1)
	v_cmpx_gt_i32_e64 s3, v6
	s_cbranch_execnz .LBB195_24
; %bb.15:
	s_or_b32 exec_lo, exec_lo, s1
	s_and_saveexec_b32 s0, vcc_lo
	s_delay_alu instid0(SALU_CYCLE_1)
	s_xor_b32 s0, exec_lo, s0
	s_cbranch_execnz .LBB195_25
.LBB195_16:
	s_or_b32 exec_lo, exec_lo, s0
	s_delay_alu instid0(SALU_CYCLE_1)
	s_mov_b32 s0, exec_lo
	v_cmpx_gt_i32_e64 s3, v0
	s_cbranch_execnz .LBB195_26
.LBB195_17:
	s_or_b32 exec_lo, exec_lo, s0
	s_delay_alu instid0(SALU_CYCLE_1)
	s_mov_b32 s0, exec_lo
	v_cmpx_gt_i32_e64 s3, v0
	s_cbranch_execnz .LBB195_27
.LBB195_18:
	s_or_b32 exec_lo, exec_lo, s0
	s_delay_alu instid0(SALU_CYCLE_1)
	s_mov_b32 s0, exec_lo
	v_cmpx_gt_i32_e64 s3, v0
	s_cbranch_execz .LBB195_20
.LBB195_19:
	v_dual_mov_b32 v1, 0 :: v_dual_add_nc_u32 v0, s8, v0
	s_delay_alu instid0(VALU_DEP_1) | instskip(NEXT) | instid1(VALU_DEP_1)
	v_lshlrev_b64 v[0:1], 2, v[0:1]
	v_add_co_u32 v0, vcc_lo, s4, v0
	s_delay_alu instid0(VALU_DEP_2)
	v_add_co_ci_u32_e32 v1, vcc_lo, s5, v1, vcc_lo
	global_store_b32 v[0:1], v4, off
.LBB195_20:
	s_nop 0
	s_sendmsg sendmsg(MSG_DEALLOC_VGPRS)
	s_endpgm
.LBB195_21:
	v_dual_mov_b32 v3, 0 :: v_dual_add_nc_u32 v2, s8, v1
	v_add_nc_u32_e32 v1, 0x100, v1
	s_delay_alu instid0(VALU_DEP_2) | instskip(NEXT) | instid1(VALU_DEP_1)
	v_lshlrev_b64 v[2:3], 2, v[2:3]
	v_add_co_u32 v2, s0, s6, v2
	s_delay_alu instid0(VALU_DEP_1) | instskip(SKIP_4) | instid1(SALU_CYCLE_1)
	v_add_co_ci_u32_e64 v3, s0, s7, v3, s0
	global_load_b32 v2, v[2:3], off
	s_waitcnt vmcnt(0)
	v_cvt_f64_f32_e32 v[13:14], v2
	s_or_b32 exec_lo, exec_lo, s1
	s_mov_b32 s1, exec_lo
	v_cmpx_gt_i32_e64 s3, v1
	s_cbranch_execz .LBB195_9
.LBB195_22:
	v_dual_mov_b32 v2, 0 :: v_dual_add_nc_u32 v1, s8, v1
	s_delay_alu instid0(VALU_DEP_1) | instskip(NEXT) | instid1(VALU_DEP_1)
	v_lshlrev_b64 v[1:2], 2, v[1:2]
	v_add_co_u32 v1, s0, s6, v1
	s_delay_alu instid0(VALU_DEP_1)
	v_add_co_ci_u32_e64 v2, s0, s7, v2, s0
	global_load_b32 v1, v[1:2], off
	s_waitcnt vmcnt(0)
	v_cvt_f64_f32_e32 v[9:10], v1
	s_or_b32 exec_lo, exec_lo, s1
                                        ; implicit-def: $vgpr1_vgpr2_vgpr3_vgpr4
	s_and_saveexec_b32 s1, vcc_lo
	s_cbranch_execz .LBB195_10
.LBB195_23:
	v_rsq_f64_e32 v[1:2], v[11:12]
	s_waitcnt_depctr 0xfff
	v_mul_f64 v[3:4], v[1:2], -v[11:12]
	v_cmp_class_f64_e64 s0, v[1:2], 0x180
	s_delay_alu instid0(VALU_DEP_2) | instskip(NEXT) | instid1(VALU_DEP_1)
	v_fma_f64 v[3:4], v[3:4], v[1:2], 1.0
	v_mul_f64 v[11:12], v[1:2], v[3:4]
	v_fma_f64 v[3:4], 0x3fd80000, v[3:4], 0.5
	s_delay_alu instid0(VALU_DEP_1) | instskip(NEXT) | instid1(VALU_DEP_1)
	v_fma_f64 v[3:4], v[11:12], v[3:4], v[1:2]
	v_cndmask_b32_e64 v2, v2, v4, s0
	s_delay_alu instid0(VALU_DEP_2) | instskip(NEXT) | instid1(VALU_DEP_1)
	v_cndmask_b32_e64 v1, v1, v3, s0
	v_cvt_f32_f64_e32 v1, v[1:2]
	s_or_b32 exec_lo, exec_lo, s1
	s_delay_alu instid0(SALU_CYCLE_1)
	s_mov_b32 s1, exec_lo
	v_cmpx_gt_i32_e64 s3, v15
	s_cbranch_execnz .LBB195_11
	s_branch .LBB195_12
.LBB195_24:
	v_rsq_f64_e32 v[6:7], v[9:10]
	s_waitcnt_depctr 0xfff
	v_mul_f64 v[8:9], v[6:7], -v[9:10]
	v_cmp_class_f64_e64 s0, v[6:7], 0x180
	s_delay_alu instid0(VALU_DEP_2) | instskip(NEXT) | instid1(VALU_DEP_1)
	v_fma_f64 v[8:9], v[8:9], v[6:7], 1.0
	v_mul_f64 v[10:11], v[6:7], v[8:9]
	v_fma_f64 v[8:9], 0x3fd80000, v[8:9], 0.5
	s_delay_alu instid0(VALU_DEP_1) | instskip(NEXT) | instid1(VALU_DEP_1)
	v_fma_f64 v[8:9], v[10:11], v[8:9], v[6:7]
	v_cndmask_b32_e64 v7, v7, v9, s0
	s_delay_alu instid0(VALU_DEP_2) | instskip(NEXT) | instid1(VALU_DEP_1)
	v_cndmask_b32_e64 v6, v6, v8, s0
	v_cvt_f32_f64_e32 v4, v[6:7]
	s_or_b32 exec_lo, exec_lo, s1
	s_and_saveexec_b32 s0, vcc_lo
	s_delay_alu instid0(SALU_CYCLE_1)
	s_xor_b32 s0, exec_lo, s0
	s_cbranch_execz .LBB195_16
.LBB195_25:
	v_mov_b32_e32 v6, 0
	v_mov_b32_e32 v0, v15
	s_delay_alu instid0(VALU_DEP_2) | instskip(NEXT) | instid1(VALU_DEP_1)
	v_lshlrev_b64 v[5:6], 2, v[5:6]
	v_add_co_u32 v5, vcc_lo, s4, v5
	s_delay_alu instid0(VALU_DEP_2) | instskip(SKIP_2) | instid1(SALU_CYCLE_1)
	v_add_co_ci_u32_e32 v6, vcc_lo, s5, v6, vcc_lo
	global_store_b32 v[5:6], v1, off
	s_or_b32 exec_lo, exec_lo, s0
	s_mov_b32 s0, exec_lo
	v_cmpx_gt_i32_e64 s3, v0
	s_cbranch_execz .LBB195_17
.LBB195_26:
	v_dual_mov_b32 v6, 0 :: v_dual_add_nc_u32 v5, s8, v0
	v_add_nc_u32_e32 v0, 0x100, v0
	s_delay_alu instid0(VALU_DEP_2) | instskip(NEXT) | instid1(VALU_DEP_1)
	v_lshlrev_b64 v[5:6], 2, v[5:6]
	v_add_co_u32 v5, vcc_lo, s4, v5
	s_delay_alu instid0(VALU_DEP_2) | instskip(SKIP_2) | instid1(SALU_CYCLE_1)
	v_add_co_ci_u32_e32 v6, vcc_lo, s5, v6, vcc_lo
	global_store_b32 v[5:6], v2, off
	s_or_b32 exec_lo, exec_lo, s0
	s_mov_b32 s0, exec_lo
	v_cmpx_gt_i32_e64 s3, v0
	s_cbranch_execz .LBB195_18
.LBB195_27:
	v_dual_mov_b32 v2, 0 :: v_dual_add_nc_u32 v1, s8, v0
	v_add_nc_u32_e32 v0, 0x100, v0
	s_delay_alu instid0(VALU_DEP_2) | instskip(NEXT) | instid1(VALU_DEP_1)
	v_lshlrev_b64 v[1:2], 2, v[1:2]
	v_add_co_u32 v1, vcc_lo, s4, v1
	s_delay_alu instid0(VALU_DEP_2) | instskip(SKIP_2) | instid1(SALU_CYCLE_1)
	v_add_co_ci_u32_e32 v2, vcc_lo, s5, v2, vcc_lo
	global_store_b32 v[1:2], v3, off
	s_or_b32 exec_lo, exec_lo, s0
	s_mov_b32 s0, exec_lo
	v_cmpx_gt_i32_e64 s3, v0
	s_cbranch_execnz .LBB195_19
	s_branch .LBB195_20
	.section	.rodata,"a",@progbits
	.p2align	6, 0x0
	.amdhsa_kernel _ZN2at6native29vectorized_elementwise_kernelILi8EZZZNS0_17rsqrt_kernel_cudaERNS_18TensorIteratorBaseEENKUlvE0_clEvENKUlvE0_clEvEUlfE_St5arrayIPcLm2EEEEviT0_T1_
		.amdhsa_group_segment_fixed_size 0
		.amdhsa_private_segment_fixed_size 0
		.amdhsa_kernarg_size 24
		.amdhsa_user_sgpr_count 15
		.amdhsa_user_sgpr_dispatch_ptr 0
		.amdhsa_user_sgpr_queue_ptr 0
		.amdhsa_user_sgpr_kernarg_segment_ptr 1
		.amdhsa_user_sgpr_dispatch_id 0
		.amdhsa_user_sgpr_private_segment_size 0
		.amdhsa_wavefront_size32 1
		.amdhsa_uses_dynamic_stack 0
		.amdhsa_enable_private_segment 0
		.amdhsa_system_sgpr_workgroup_id_x 1
		.amdhsa_system_sgpr_workgroup_id_y 0
		.amdhsa_system_sgpr_workgroup_id_z 0
		.amdhsa_system_sgpr_workgroup_info 0
		.amdhsa_system_vgpr_workitem_id 0
		.amdhsa_next_free_vgpr 26
		.amdhsa_next_free_sgpr 16
		.amdhsa_reserve_vcc 1
		.amdhsa_float_round_mode_32 0
		.amdhsa_float_round_mode_16_64 0
		.amdhsa_float_denorm_mode_32 3
		.amdhsa_float_denorm_mode_16_64 3
		.amdhsa_dx10_clamp 1
		.amdhsa_ieee_mode 1
		.amdhsa_fp16_overflow 0
		.amdhsa_workgroup_processor_mode 1
		.amdhsa_memory_ordered 1
		.amdhsa_forward_progress 0
		.amdhsa_shared_vgpr_count 0
		.amdhsa_exception_fp_ieee_invalid_op 0
		.amdhsa_exception_fp_denorm_src 0
		.amdhsa_exception_fp_ieee_div_zero 0
		.amdhsa_exception_fp_ieee_overflow 0
		.amdhsa_exception_fp_ieee_underflow 0
		.amdhsa_exception_fp_ieee_inexact 0
		.amdhsa_exception_int_div_zero 0
	.end_amdhsa_kernel
	.section	.text._ZN2at6native29vectorized_elementwise_kernelILi8EZZZNS0_17rsqrt_kernel_cudaERNS_18TensorIteratorBaseEENKUlvE0_clEvENKUlvE0_clEvEUlfE_St5arrayIPcLm2EEEEviT0_T1_,"axG",@progbits,_ZN2at6native29vectorized_elementwise_kernelILi8EZZZNS0_17rsqrt_kernel_cudaERNS_18TensorIteratorBaseEENKUlvE0_clEvENKUlvE0_clEvEUlfE_St5arrayIPcLm2EEEEviT0_T1_,comdat
.Lfunc_end195:
	.size	_ZN2at6native29vectorized_elementwise_kernelILi8EZZZNS0_17rsqrt_kernel_cudaERNS_18TensorIteratorBaseEENKUlvE0_clEvENKUlvE0_clEvEUlfE_St5arrayIPcLm2EEEEviT0_T1_, .Lfunc_end195-_ZN2at6native29vectorized_elementwise_kernelILi8EZZZNS0_17rsqrt_kernel_cudaERNS_18TensorIteratorBaseEENKUlvE0_clEvENKUlvE0_clEvEUlfE_St5arrayIPcLm2EEEEviT0_T1_
                                        ; -- End function
	.section	.AMDGPU.csdata,"",@progbits
; Kernel info:
; codeLenInByte = 1764
; NumSgprs: 18
; NumVgprs: 26
; ScratchSize: 0
; MemoryBound: 0
; FloatMode: 240
; IeeeMode: 1
; LDSByteSize: 0 bytes/workgroup (compile time only)
; SGPRBlocks: 2
; VGPRBlocks: 3
; NumSGPRsForWavesPerEU: 18
; NumVGPRsForWavesPerEU: 26
; Occupancy: 16
; WaveLimiterHint : 0
; COMPUTE_PGM_RSRC2:SCRATCH_EN: 0
; COMPUTE_PGM_RSRC2:USER_SGPR: 15
; COMPUTE_PGM_RSRC2:TRAP_HANDLER: 0
; COMPUTE_PGM_RSRC2:TGID_X_EN: 1
; COMPUTE_PGM_RSRC2:TGID_Y_EN: 0
; COMPUTE_PGM_RSRC2:TGID_Z_EN: 0
; COMPUTE_PGM_RSRC2:TIDIG_COMP_CNT: 0
	.section	.text._ZN2at6native29vectorized_elementwise_kernelILi4EZZZNS0_17rsqrt_kernel_cudaERNS_18TensorIteratorBaseEENKUlvE0_clEvENKUlvE0_clEvEUlfE_St5arrayIPcLm2EEEEviT0_T1_,"axG",@progbits,_ZN2at6native29vectorized_elementwise_kernelILi4EZZZNS0_17rsqrt_kernel_cudaERNS_18TensorIteratorBaseEENKUlvE0_clEvENKUlvE0_clEvEUlfE_St5arrayIPcLm2EEEEviT0_T1_,comdat
	.globl	_ZN2at6native29vectorized_elementwise_kernelILi4EZZZNS0_17rsqrt_kernel_cudaERNS_18TensorIteratorBaseEENKUlvE0_clEvENKUlvE0_clEvEUlfE_St5arrayIPcLm2EEEEviT0_T1_ ; -- Begin function _ZN2at6native29vectorized_elementwise_kernelILi4EZZZNS0_17rsqrt_kernel_cudaERNS_18TensorIteratorBaseEENKUlvE0_clEvENKUlvE0_clEvEUlfE_St5arrayIPcLm2EEEEviT0_T1_
	.p2align	8
	.type	_ZN2at6native29vectorized_elementwise_kernelILi4EZZZNS0_17rsqrt_kernel_cudaERNS_18TensorIteratorBaseEENKUlvE0_clEvENKUlvE0_clEvEUlfE_St5arrayIPcLm2EEEEviT0_T1_,@function
_ZN2at6native29vectorized_elementwise_kernelILi4EZZZNS0_17rsqrt_kernel_cudaERNS_18TensorIteratorBaseEENKUlvE0_clEvENKUlvE0_clEvEUlfE_St5arrayIPcLm2EEEEviT0_T1_: ; @_ZN2at6native29vectorized_elementwise_kernelILi4EZZZNS0_17rsqrt_kernel_cudaERNS_18TensorIteratorBaseEENKUlvE0_clEvENKUlvE0_clEvEUlfE_St5arrayIPcLm2EEEEviT0_T1_
; %bb.0:
	s_clause 0x1
	s_load_b32 s2, s[0:1], 0x0
	s_load_b128 s[4:7], s[0:1], 0x8
	s_lshl_b32 s8, s15, 10
	s_mov_b32 s0, -1
	s_waitcnt lgkmcnt(0)
	s_sub_i32 s3, s2, s8
	s_delay_alu instid0(SALU_CYCLE_1)
	s_cmpk_gt_i32 s3, 0x3ff
	s_cbranch_scc0 .LBB196_2
; %bb.1:
	s_ashr_i32 s9, s8, 31
	v_lshlrev_b32_e32 v25, 4, v0
	s_lshl_b64 s[10:11], s[8:9], 2
	s_delay_alu instid0(SALU_CYCLE_1)
	s_add_u32 s0, s6, s10
	s_addc_u32 s1, s7, s11
	s_add_u32 s10, s4, s10
	global_load_b128 v[1:4], v25, s[0:1]
	s_addc_u32 s11, s5, s11
	s_waitcnt vmcnt(0)
	v_cvt_f64_f32_e32 v[5:6], v1
	v_cvt_f64_f32_e32 v[1:2], v2
	;; [unrolled: 1-line block ×4, first 2 shown]
	s_delay_alu instid0(VALU_DEP_4) | instskip(NEXT) | instid1(VALU_DEP_3)
	v_rsq_f64_e32 v[9:10], v[5:6]
	v_rsq_f64_e32 v[11:12], v[1:2]
	s_delay_alu instid0(VALU_DEP_2) | instskip(NEXT) | instid1(VALU_DEP_1)
	v_rsq_f64_e32 v[13:14], v[7:8]
	v_rsq_f64_e32 v[15:16], v[3:4]
	v_mul_f64 v[5:6], v[9:10], -v[5:6]
	s_delay_alu instid0(TRANS32_DEP_3)
	v_mul_f64 v[1:2], v[11:12], -v[1:2]
	s_waitcnt_depctr 0xfff
	v_mul_f64 v[7:8], v[13:14], -v[7:8]
	v_mul_f64 v[3:4], v[15:16], -v[3:4]
	v_cmp_class_f64_e64 vcc_lo, v[9:10], 0x180
	v_cmp_class_f64_e64 s0, v[11:12], 0x180
	v_cmp_class_f64_e64 s1, v[13:14], 0x180
	;; [unrolled: 1-line block ×3, first 2 shown]
	v_fma_f64 v[5:6], v[5:6], v[9:10], 1.0
	v_fma_f64 v[1:2], v[1:2], v[11:12], 1.0
	;; [unrolled: 1-line block ×4, first 2 shown]
	s_delay_alu instid0(VALU_DEP_4)
	v_mul_f64 v[17:18], v[9:10], v[5:6]
	v_fma_f64 v[5:6], 0x3fd80000, v[5:6], 0.5
	v_mul_f64 v[19:20], v[11:12], v[1:2]
	v_fma_f64 v[1:2], 0x3fd80000, v[1:2], 0.5
	;; [unrolled: 2-line block ×4, first 2 shown]
	v_fma_f64 v[5:6], v[17:18], v[5:6], v[9:10]
	v_fma_f64 v[1:2], v[19:20], v[1:2], v[11:12]
	;; [unrolled: 1-line block ×3, first 2 shown]
	s_delay_alu instid0(VALU_DEP_4) | instskip(NEXT) | instid1(VALU_DEP_4)
	v_fma_f64 v[3:4], v[23:24], v[3:4], v[15:16]
	v_dual_cndmask_b32 v6, v10, v6 :: v_dual_cndmask_b32 v5, v9, v5
	s_delay_alu instid0(VALU_DEP_4)
	v_cndmask_b32_e64 v10, v12, v2, s0
	v_cndmask_b32_e64 v9, v11, v1, s0
	;; [unrolled: 1-line block ×6, first 2 shown]
	v_cvt_f32_f64_e32 v1, v[5:6]
	v_cvt_f32_f64_e32 v2, v[9:10]
	;; [unrolled: 1-line block ×3, first 2 shown]
	s_mov_b32 s0, 0
	v_cvt_f32_f64_e32 v4, v[11:12]
	global_store_b128 v25, v[1:4], s[10:11]
.LBB196_2:
	s_and_not1_b32 vcc_lo, exec_lo, s0
	s_cbranch_vccnz .LBB196_20
; %bb.3:
	v_mov_b32_e32 v7, 0
	v_dual_mov_b32 v8, 0 :: v_dual_mov_b32 v1, v0
	v_cmp_gt_i32_e32 vcc_lo, s3, v0
	v_or_b32_e32 v5, s8, v0
	v_or_b32_e32 v15, 0x100, v0
	s_delay_alu instid0(VALU_DEP_4)
	v_dual_mov_b32 v12, v8 :: v_dual_mov_b32 v11, v7
	s_and_saveexec_b32 s1, vcc_lo
	s_cbranch_execz .LBB196_5
; %bb.4:
	v_mov_b32_e32 v6, 0
	s_delay_alu instid0(VALU_DEP_1) | instskip(NEXT) | instid1(VALU_DEP_1)
	v_lshlrev_b64 v[1:2], 2, v[5:6]
	v_add_co_u32 v1, s0, s6, v1
	s_delay_alu instid0(VALU_DEP_1)
	v_add_co_ci_u32_e64 v2, s0, s7, v2, s0
	global_load_b32 v1, v[1:2], off
	s_waitcnt vmcnt(0)
	v_cvt_f64_f32_e32 v[11:12], v1
	v_or_b32_e32 v1, 0x100, v0
.LBB196_5:
	s_or_b32 exec_lo, exec_lo, s1
	s_delay_alu instid0(SALU_CYCLE_1) | instskip(NEXT) | instid1(VALU_DEP_1)
	s_mov_b32 s1, exec_lo
	v_cmpx_gt_i32_e64 s3, v1
	s_cbranch_execz .LBB196_7
; %bb.6:
	v_dual_mov_b32 v3, 0 :: v_dual_add_nc_u32 v2, s8, v1
	v_add_nc_u32_e32 v1, 0x100, v1
	s_delay_alu instid0(VALU_DEP_2) | instskip(NEXT) | instid1(VALU_DEP_1)
	v_lshlrev_b64 v[2:3], 2, v[2:3]
	v_add_co_u32 v2, s0, s6, v2
	s_delay_alu instid0(VALU_DEP_1)
	v_add_co_ci_u32_e64 v3, s0, s7, v3, s0
	global_load_b32 v2, v[2:3], off
	s_waitcnt vmcnt(0)
	v_cvt_f64_f32_e32 v[7:8], v2
.LBB196_7:
	s_or_b32 exec_lo, exec_lo, s1
	v_mov_b32_e32 v9, 0
	v_mov_b32_e32 v10, 0
	s_mov_b32 s1, exec_lo
	s_delay_alu instid0(VALU_DEP_1)
	v_dual_mov_b32 v14, v10 :: v_dual_mov_b32 v13, v9
	v_cmpx_gt_i32_e64 s3, v1
	s_cbranch_execnz .LBB196_21
; %bb.8:
	s_or_b32 exec_lo, exec_lo, s1
	s_delay_alu instid0(SALU_CYCLE_1)
	s_mov_b32 s1, exec_lo
	v_cmpx_gt_i32_e64 s3, v1
	s_cbranch_execnz .LBB196_22
.LBB196_9:
	s_or_b32 exec_lo, exec_lo, s1
                                        ; implicit-def: $vgpr1_vgpr2_vgpr3_vgpr4
	s_and_saveexec_b32 s1, vcc_lo
	s_cbranch_execnz .LBB196_23
.LBB196_10:
	s_or_b32 exec_lo, exec_lo, s1
	s_delay_alu instid0(SALU_CYCLE_1)
	s_mov_b32 s1, exec_lo
	v_cmpx_gt_i32_e64 s3, v15
.LBB196_11:
	v_rsq_f64_e32 v[11:12], v[7:8]
	s_waitcnt_depctr 0xfff
	v_mul_f64 v[6:7], v[11:12], -v[7:8]
	v_cmp_class_f64_e64 s0, v[11:12], 0x180
	s_delay_alu instid0(VALU_DEP_2) | instskip(NEXT) | instid1(VALU_DEP_1)
	v_fma_f64 v[6:7], v[6:7], v[11:12], 1.0
	v_mul_f64 v[16:17], v[11:12], v[6:7]
	v_fma_f64 v[6:7], 0x3fd80000, v[6:7], 0.5
	s_delay_alu instid0(VALU_DEP_1) | instskip(NEXT) | instid1(VALU_DEP_1)
	v_fma_f64 v[6:7], v[16:17], v[6:7], v[11:12]
	v_cndmask_b32_e64 v7, v12, v7, s0
	s_delay_alu instid0(VALU_DEP_2) | instskip(NEXT) | instid1(VALU_DEP_1)
	v_cndmask_b32_e64 v6, v11, v6, s0
	v_cvt_f32_f64_e32 v2, v[6:7]
.LBB196_12:
	s_or_b32 exec_lo, exec_lo, s1
	v_or_b32_e32 v6, 0x200, v0
	s_mov_b32 s1, exec_lo
	s_delay_alu instid0(VALU_DEP_1)
	v_cmpx_gt_i32_e64 s3, v6
; %bb.13:
	v_rsq_f64_e32 v[6:7], v[13:14]
	s_waitcnt_depctr 0xfff
	v_mul_f64 v[11:12], v[6:7], -v[13:14]
	v_cmp_class_f64_e64 s0, v[6:7], 0x180
	s_delay_alu instid0(VALU_DEP_2) | instskip(NEXT) | instid1(VALU_DEP_1)
	v_fma_f64 v[11:12], v[11:12], v[6:7], 1.0
	v_mul_f64 v[13:14], v[6:7], v[11:12]
	v_fma_f64 v[11:12], 0x3fd80000, v[11:12], 0.5
	s_delay_alu instid0(VALU_DEP_1) | instskip(NEXT) | instid1(VALU_DEP_1)
	v_fma_f64 v[11:12], v[13:14], v[11:12], v[6:7]
	v_cndmask_b32_e64 v7, v7, v12, s0
	s_delay_alu instid0(VALU_DEP_2) | instskip(NEXT) | instid1(VALU_DEP_1)
	v_cndmask_b32_e64 v6, v6, v11, s0
	v_cvt_f32_f64_e32 v3, v[6:7]
; %bb.14:
	s_or_b32 exec_lo, exec_lo, s1
	v_or_b32_e32 v6, 0x300, v0
	s_mov_b32 s1, exec_lo
	s_delay_alu instid0(VALU_DEP_1)
	v_cmpx_gt_i32_e64 s3, v6
	s_cbranch_execnz .LBB196_24
; %bb.15:
	s_or_b32 exec_lo, exec_lo, s1
	s_and_saveexec_b32 s0, vcc_lo
	s_delay_alu instid0(SALU_CYCLE_1)
	s_xor_b32 s0, exec_lo, s0
	s_cbranch_execnz .LBB196_25
.LBB196_16:
	s_or_b32 exec_lo, exec_lo, s0
	s_delay_alu instid0(SALU_CYCLE_1)
	s_mov_b32 s0, exec_lo
	v_cmpx_gt_i32_e64 s3, v0
	s_cbranch_execnz .LBB196_26
.LBB196_17:
	s_or_b32 exec_lo, exec_lo, s0
	s_delay_alu instid0(SALU_CYCLE_1)
	s_mov_b32 s0, exec_lo
	v_cmpx_gt_i32_e64 s3, v0
	s_cbranch_execnz .LBB196_27
.LBB196_18:
	s_or_b32 exec_lo, exec_lo, s0
	s_delay_alu instid0(SALU_CYCLE_1)
	s_mov_b32 s0, exec_lo
	v_cmpx_gt_i32_e64 s3, v0
	s_cbranch_execz .LBB196_20
.LBB196_19:
	v_dual_mov_b32 v1, 0 :: v_dual_add_nc_u32 v0, s8, v0
	s_delay_alu instid0(VALU_DEP_1) | instskip(NEXT) | instid1(VALU_DEP_1)
	v_lshlrev_b64 v[0:1], 2, v[0:1]
	v_add_co_u32 v0, vcc_lo, s4, v0
	s_delay_alu instid0(VALU_DEP_2)
	v_add_co_ci_u32_e32 v1, vcc_lo, s5, v1, vcc_lo
	global_store_b32 v[0:1], v4, off
.LBB196_20:
	s_nop 0
	s_sendmsg sendmsg(MSG_DEALLOC_VGPRS)
	s_endpgm
.LBB196_21:
	v_dual_mov_b32 v3, 0 :: v_dual_add_nc_u32 v2, s8, v1
	v_add_nc_u32_e32 v1, 0x100, v1
	s_delay_alu instid0(VALU_DEP_2) | instskip(NEXT) | instid1(VALU_DEP_1)
	v_lshlrev_b64 v[2:3], 2, v[2:3]
	v_add_co_u32 v2, s0, s6, v2
	s_delay_alu instid0(VALU_DEP_1) | instskip(SKIP_4) | instid1(SALU_CYCLE_1)
	v_add_co_ci_u32_e64 v3, s0, s7, v3, s0
	global_load_b32 v2, v[2:3], off
	s_waitcnt vmcnt(0)
	v_cvt_f64_f32_e32 v[13:14], v2
	s_or_b32 exec_lo, exec_lo, s1
	s_mov_b32 s1, exec_lo
	v_cmpx_gt_i32_e64 s3, v1
	s_cbranch_execz .LBB196_9
.LBB196_22:
	v_dual_mov_b32 v2, 0 :: v_dual_add_nc_u32 v1, s8, v1
	s_delay_alu instid0(VALU_DEP_1) | instskip(NEXT) | instid1(VALU_DEP_1)
	v_lshlrev_b64 v[1:2], 2, v[1:2]
	v_add_co_u32 v1, s0, s6, v1
	s_delay_alu instid0(VALU_DEP_1)
	v_add_co_ci_u32_e64 v2, s0, s7, v2, s0
	global_load_b32 v1, v[1:2], off
	s_waitcnt vmcnt(0)
	v_cvt_f64_f32_e32 v[9:10], v1
	s_or_b32 exec_lo, exec_lo, s1
                                        ; implicit-def: $vgpr1_vgpr2_vgpr3_vgpr4
	s_and_saveexec_b32 s1, vcc_lo
	s_cbranch_execz .LBB196_10
.LBB196_23:
	v_rsq_f64_e32 v[1:2], v[11:12]
	s_waitcnt_depctr 0xfff
	v_mul_f64 v[3:4], v[1:2], -v[11:12]
	v_cmp_class_f64_e64 s0, v[1:2], 0x180
	s_delay_alu instid0(VALU_DEP_2) | instskip(NEXT) | instid1(VALU_DEP_1)
	v_fma_f64 v[3:4], v[3:4], v[1:2], 1.0
	v_mul_f64 v[11:12], v[1:2], v[3:4]
	v_fma_f64 v[3:4], 0x3fd80000, v[3:4], 0.5
	s_delay_alu instid0(VALU_DEP_1) | instskip(NEXT) | instid1(VALU_DEP_1)
	v_fma_f64 v[3:4], v[11:12], v[3:4], v[1:2]
	v_cndmask_b32_e64 v2, v2, v4, s0
	s_delay_alu instid0(VALU_DEP_2) | instskip(NEXT) | instid1(VALU_DEP_1)
	v_cndmask_b32_e64 v1, v1, v3, s0
	v_cvt_f32_f64_e32 v1, v[1:2]
	s_or_b32 exec_lo, exec_lo, s1
	s_delay_alu instid0(SALU_CYCLE_1)
	s_mov_b32 s1, exec_lo
	v_cmpx_gt_i32_e64 s3, v15
	s_cbranch_execnz .LBB196_11
	s_branch .LBB196_12
.LBB196_24:
	v_rsq_f64_e32 v[6:7], v[9:10]
	s_waitcnt_depctr 0xfff
	v_mul_f64 v[8:9], v[6:7], -v[9:10]
	v_cmp_class_f64_e64 s0, v[6:7], 0x180
	s_delay_alu instid0(VALU_DEP_2) | instskip(NEXT) | instid1(VALU_DEP_1)
	v_fma_f64 v[8:9], v[8:9], v[6:7], 1.0
	v_mul_f64 v[10:11], v[6:7], v[8:9]
	v_fma_f64 v[8:9], 0x3fd80000, v[8:9], 0.5
	s_delay_alu instid0(VALU_DEP_1) | instskip(NEXT) | instid1(VALU_DEP_1)
	v_fma_f64 v[8:9], v[10:11], v[8:9], v[6:7]
	v_cndmask_b32_e64 v7, v7, v9, s0
	s_delay_alu instid0(VALU_DEP_2) | instskip(NEXT) | instid1(VALU_DEP_1)
	v_cndmask_b32_e64 v6, v6, v8, s0
	v_cvt_f32_f64_e32 v4, v[6:7]
	s_or_b32 exec_lo, exec_lo, s1
	s_and_saveexec_b32 s0, vcc_lo
	s_delay_alu instid0(SALU_CYCLE_1)
	s_xor_b32 s0, exec_lo, s0
	s_cbranch_execz .LBB196_16
.LBB196_25:
	v_mov_b32_e32 v6, 0
	v_mov_b32_e32 v0, v15
	s_delay_alu instid0(VALU_DEP_2) | instskip(NEXT) | instid1(VALU_DEP_1)
	v_lshlrev_b64 v[5:6], 2, v[5:6]
	v_add_co_u32 v5, vcc_lo, s4, v5
	s_delay_alu instid0(VALU_DEP_2) | instskip(SKIP_2) | instid1(SALU_CYCLE_1)
	v_add_co_ci_u32_e32 v6, vcc_lo, s5, v6, vcc_lo
	global_store_b32 v[5:6], v1, off
	s_or_b32 exec_lo, exec_lo, s0
	s_mov_b32 s0, exec_lo
	v_cmpx_gt_i32_e64 s3, v0
	s_cbranch_execz .LBB196_17
.LBB196_26:
	v_dual_mov_b32 v6, 0 :: v_dual_add_nc_u32 v5, s8, v0
	v_add_nc_u32_e32 v0, 0x100, v0
	s_delay_alu instid0(VALU_DEP_2) | instskip(NEXT) | instid1(VALU_DEP_1)
	v_lshlrev_b64 v[5:6], 2, v[5:6]
	v_add_co_u32 v5, vcc_lo, s4, v5
	s_delay_alu instid0(VALU_DEP_2) | instskip(SKIP_2) | instid1(SALU_CYCLE_1)
	v_add_co_ci_u32_e32 v6, vcc_lo, s5, v6, vcc_lo
	global_store_b32 v[5:6], v2, off
	s_or_b32 exec_lo, exec_lo, s0
	s_mov_b32 s0, exec_lo
	v_cmpx_gt_i32_e64 s3, v0
	s_cbranch_execz .LBB196_18
.LBB196_27:
	v_dual_mov_b32 v2, 0 :: v_dual_add_nc_u32 v1, s8, v0
	v_add_nc_u32_e32 v0, 0x100, v0
	s_delay_alu instid0(VALU_DEP_2) | instskip(NEXT) | instid1(VALU_DEP_1)
	v_lshlrev_b64 v[1:2], 2, v[1:2]
	v_add_co_u32 v1, vcc_lo, s4, v1
	s_delay_alu instid0(VALU_DEP_2) | instskip(SKIP_2) | instid1(SALU_CYCLE_1)
	v_add_co_ci_u32_e32 v2, vcc_lo, s5, v2, vcc_lo
	global_store_b32 v[1:2], v3, off
	s_or_b32 exec_lo, exec_lo, s0
	s_mov_b32 s0, exec_lo
	v_cmpx_gt_i32_e64 s3, v0
	s_cbranch_execnz .LBB196_19
	s_branch .LBB196_20
	.section	.rodata,"a",@progbits
	.p2align	6, 0x0
	.amdhsa_kernel _ZN2at6native29vectorized_elementwise_kernelILi4EZZZNS0_17rsqrt_kernel_cudaERNS_18TensorIteratorBaseEENKUlvE0_clEvENKUlvE0_clEvEUlfE_St5arrayIPcLm2EEEEviT0_T1_
		.amdhsa_group_segment_fixed_size 0
		.amdhsa_private_segment_fixed_size 0
		.amdhsa_kernarg_size 24
		.amdhsa_user_sgpr_count 15
		.amdhsa_user_sgpr_dispatch_ptr 0
		.amdhsa_user_sgpr_queue_ptr 0
		.amdhsa_user_sgpr_kernarg_segment_ptr 1
		.amdhsa_user_sgpr_dispatch_id 0
		.amdhsa_user_sgpr_private_segment_size 0
		.amdhsa_wavefront_size32 1
		.amdhsa_uses_dynamic_stack 0
		.amdhsa_enable_private_segment 0
		.amdhsa_system_sgpr_workgroup_id_x 1
		.amdhsa_system_sgpr_workgroup_id_y 0
		.amdhsa_system_sgpr_workgroup_id_z 0
		.amdhsa_system_sgpr_workgroup_info 0
		.amdhsa_system_vgpr_workitem_id 0
		.amdhsa_next_free_vgpr 26
		.amdhsa_next_free_sgpr 16
		.amdhsa_reserve_vcc 1
		.amdhsa_float_round_mode_32 0
		.amdhsa_float_round_mode_16_64 0
		.amdhsa_float_denorm_mode_32 3
		.amdhsa_float_denorm_mode_16_64 3
		.amdhsa_dx10_clamp 1
		.amdhsa_ieee_mode 1
		.amdhsa_fp16_overflow 0
		.amdhsa_workgroup_processor_mode 1
		.amdhsa_memory_ordered 1
		.amdhsa_forward_progress 0
		.amdhsa_shared_vgpr_count 0
		.amdhsa_exception_fp_ieee_invalid_op 0
		.amdhsa_exception_fp_denorm_src 0
		.amdhsa_exception_fp_ieee_div_zero 0
		.amdhsa_exception_fp_ieee_overflow 0
		.amdhsa_exception_fp_ieee_underflow 0
		.amdhsa_exception_fp_ieee_inexact 0
		.amdhsa_exception_int_div_zero 0
	.end_amdhsa_kernel
	.section	.text._ZN2at6native29vectorized_elementwise_kernelILi4EZZZNS0_17rsqrt_kernel_cudaERNS_18TensorIteratorBaseEENKUlvE0_clEvENKUlvE0_clEvEUlfE_St5arrayIPcLm2EEEEviT0_T1_,"axG",@progbits,_ZN2at6native29vectorized_elementwise_kernelILi4EZZZNS0_17rsqrt_kernel_cudaERNS_18TensorIteratorBaseEENKUlvE0_clEvENKUlvE0_clEvEUlfE_St5arrayIPcLm2EEEEviT0_T1_,comdat
.Lfunc_end196:
	.size	_ZN2at6native29vectorized_elementwise_kernelILi4EZZZNS0_17rsqrt_kernel_cudaERNS_18TensorIteratorBaseEENKUlvE0_clEvENKUlvE0_clEvEUlfE_St5arrayIPcLm2EEEEviT0_T1_, .Lfunc_end196-_ZN2at6native29vectorized_elementwise_kernelILi4EZZZNS0_17rsqrt_kernel_cudaERNS_18TensorIteratorBaseEENKUlvE0_clEvENKUlvE0_clEvEUlfE_St5arrayIPcLm2EEEEviT0_T1_
                                        ; -- End function
	.section	.AMDGPU.csdata,"",@progbits
; Kernel info:
; codeLenInByte = 1764
; NumSgprs: 18
; NumVgprs: 26
; ScratchSize: 0
; MemoryBound: 0
; FloatMode: 240
; IeeeMode: 1
; LDSByteSize: 0 bytes/workgroup (compile time only)
; SGPRBlocks: 2
; VGPRBlocks: 3
; NumSGPRsForWavesPerEU: 18
; NumVGPRsForWavesPerEU: 26
; Occupancy: 16
; WaveLimiterHint : 0
; COMPUTE_PGM_RSRC2:SCRATCH_EN: 0
; COMPUTE_PGM_RSRC2:USER_SGPR: 15
; COMPUTE_PGM_RSRC2:TRAP_HANDLER: 0
; COMPUTE_PGM_RSRC2:TGID_X_EN: 1
; COMPUTE_PGM_RSRC2:TGID_Y_EN: 0
; COMPUTE_PGM_RSRC2:TGID_Z_EN: 0
; COMPUTE_PGM_RSRC2:TIDIG_COMP_CNT: 0
	.section	.text._ZN2at6native29vectorized_elementwise_kernelILi2EZZZNS0_17rsqrt_kernel_cudaERNS_18TensorIteratorBaseEENKUlvE0_clEvENKUlvE0_clEvEUlfE_St5arrayIPcLm2EEEEviT0_T1_,"axG",@progbits,_ZN2at6native29vectorized_elementwise_kernelILi2EZZZNS0_17rsqrt_kernel_cudaERNS_18TensorIteratorBaseEENKUlvE0_clEvENKUlvE0_clEvEUlfE_St5arrayIPcLm2EEEEviT0_T1_,comdat
	.globl	_ZN2at6native29vectorized_elementwise_kernelILi2EZZZNS0_17rsqrt_kernel_cudaERNS_18TensorIteratorBaseEENKUlvE0_clEvENKUlvE0_clEvEUlfE_St5arrayIPcLm2EEEEviT0_T1_ ; -- Begin function _ZN2at6native29vectorized_elementwise_kernelILi2EZZZNS0_17rsqrt_kernel_cudaERNS_18TensorIteratorBaseEENKUlvE0_clEvENKUlvE0_clEvEUlfE_St5arrayIPcLm2EEEEviT0_T1_
	.p2align	8
	.type	_ZN2at6native29vectorized_elementwise_kernelILi2EZZZNS0_17rsqrt_kernel_cudaERNS_18TensorIteratorBaseEENKUlvE0_clEvENKUlvE0_clEvEUlfE_St5arrayIPcLm2EEEEviT0_T1_,@function
_ZN2at6native29vectorized_elementwise_kernelILi2EZZZNS0_17rsqrt_kernel_cudaERNS_18TensorIteratorBaseEENKUlvE0_clEvENKUlvE0_clEvEUlfE_St5arrayIPcLm2EEEEviT0_T1_: ; @_ZN2at6native29vectorized_elementwise_kernelILi2EZZZNS0_17rsqrt_kernel_cudaERNS_18TensorIteratorBaseEENKUlvE0_clEvENKUlvE0_clEvEUlfE_St5arrayIPcLm2EEEEviT0_T1_
; %bb.0:
	s_clause 0x1
	s_load_b32 s2, s[0:1], 0x0
	s_load_b128 s[4:7], s[0:1], 0x8
	s_lshl_b32 s8, s15, 10
	s_mov_b32 s0, -1
	s_waitcnt lgkmcnt(0)
	s_sub_i32 s3, s2, s8
	s_delay_alu instid0(SALU_CYCLE_1)
	s_cmpk_gt_i32 s3, 0x3ff
	s_cbranch_scc0 .LBB197_2
; %bb.1:
	s_ashr_i32 s9, s8, 31
	v_lshlrev_b32_e32 v25, 3, v0
	s_lshl_b64 s[10:11], s[8:9], 2
	s_delay_alu instid0(SALU_CYCLE_1)
	s_add_u32 s0, s6, s10
	s_addc_u32 s1, s7, s11
	s_add_u32 s10, s4, s10
	s_clause 0x1
	global_load_b64 v[1:2], v25, s[0:1]
	global_load_b64 v[3:4], v25, s[0:1] offset:2048
	s_addc_u32 s11, s5, s11
	s_waitcnt vmcnt(1)
	v_cvt_f64_f32_e32 v[5:6], v1
	v_cvt_f64_f32_e32 v[1:2], v2
	s_waitcnt vmcnt(0)
	v_cvt_f64_f32_e32 v[7:8], v3
	v_cvt_f64_f32_e32 v[3:4], v4
	s_delay_alu instid0(VALU_DEP_4) | instskip(NEXT) | instid1(VALU_DEP_3)
	v_rsq_f64_e32 v[9:10], v[5:6]
	v_rsq_f64_e32 v[11:12], v[1:2]
	s_delay_alu instid0(VALU_DEP_2) | instskip(NEXT) | instid1(VALU_DEP_1)
	v_rsq_f64_e32 v[13:14], v[7:8]
	v_rsq_f64_e32 v[15:16], v[3:4]
	v_mul_f64 v[5:6], v[9:10], -v[5:6]
	s_delay_alu instid0(TRANS32_DEP_3)
	v_mul_f64 v[1:2], v[11:12], -v[1:2]
	s_waitcnt_depctr 0xfff
	v_mul_f64 v[7:8], v[13:14], -v[7:8]
	v_mul_f64 v[3:4], v[15:16], -v[3:4]
	v_cmp_class_f64_e64 vcc_lo, v[9:10], 0x180
	v_cmp_class_f64_e64 s0, v[11:12], 0x180
	v_cmp_class_f64_e64 s1, v[13:14], 0x180
	;; [unrolled: 1-line block ×3, first 2 shown]
	v_fma_f64 v[5:6], v[5:6], v[9:10], 1.0
	v_fma_f64 v[1:2], v[1:2], v[11:12], 1.0
	v_fma_f64 v[7:8], v[7:8], v[13:14], 1.0
	v_fma_f64 v[3:4], v[3:4], v[15:16], 1.0
	s_delay_alu instid0(VALU_DEP_4)
	v_mul_f64 v[17:18], v[9:10], v[5:6]
	v_fma_f64 v[5:6], 0x3fd80000, v[5:6], 0.5
	v_mul_f64 v[19:20], v[11:12], v[1:2]
	v_fma_f64 v[1:2], 0x3fd80000, v[1:2], 0.5
	v_mul_f64 v[21:22], v[13:14], v[7:8]
	v_fma_f64 v[7:8], 0x3fd80000, v[7:8], 0.5
	v_mul_f64 v[23:24], v[15:16], v[3:4]
	v_fma_f64 v[3:4], 0x3fd80000, v[3:4], 0.5
	v_fma_f64 v[5:6], v[17:18], v[5:6], v[9:10]
	v_fma_f64 v[1:2], v[19:20], v[1:2], v[11:12]
	;; [unrolled: 1-line block ×3, first 2 shown]
	s_delay_alu instid0(VALU_DEP_4) | instskip(NEXT) | instid1(VALU_DEP_4)
	v_fma_f64 v[3:4], v[23:24], v[3:4], v[15:16]
	v_dual_cndmask_b32 v6, v10, v6 :: v_dual_cndmask_b32 v5, v9, v5
	s_delay_alu instid0(VALU_DEP_4)
	v_cndmask_b32_e64 v2, v12, v2, s0
	v_cndmask_b32_e64 v1, v11, v1, s0
	;; [unrolled: 1-line block ×6, first 2 shown]
	v_cvt_f32_f64_e32 v5, v[5:6]
	v_cvt_f32_f64_e32 v6, v[1:2]
	;; [unrolled: 1-line block ×3, first 2 shown]
	s_mov_b32 s0, 0
	v_cvt_f32_f64_e32 v2, v[3:4]
	s_clause 0x1
	global_store_b64 v25, v[5:6], s[10:11]
	global_store_b64 v25, v[1:2], s[10:11] offset:2048
.LBB197_2:
	s_and_not1_b32 vcc_lo, exec_lo, s0
	s_cbranch_vccnz .LBB197_20
; %bb.3:
	v_mov_b32_e32 v7, 0
	v_dual_mov_b32 v8, 0 :: v_dual_mov_b32 v1, v0
	v_cmp_gt_i32_e32 vcc_lo, s3, v0
	v_or_b32_e32 v5, s8, v0
	v_or_b32_e32 v15, 0x100, v0
	s_delay_alu instid0(VALU_DEP_4)
	v_dual_mov_b32 v12, v8 :: v_dual_mov_b32 v11, v7
	s_and_saveexec_b32 s1, vcc_lo
	s_cbranch_execz .LBB197_5
; %bb.4:
	v_mov_b32_e32 v6, 0
	s_delay_alu instid0(VALU_DEP_1) | instskip(NEXT) | instid1(VALU_DEP_1)
	v_lshlrev_b64 v[1:2], 2, v[5:6]
	v_add_co_u32 v1, s0, s6, v1
	s_delay_alu instid0(VALU_DEP_1)
	v_add_co_ci_u32_e64 v2, s0, s7, v2, s0
	global_load_b32 v1, v[1:2], off
	s_waitcnt vmcnt(0)
	v_cvt_f64_f32_e32 v[11:12], v1
	v_or_b32_e32 v1, 0x100, v0
.LBB197_5:
	s_or_b32 exec_lo, exec_lo, s1
	s_delay_alu instid0(SALU_CYCLE_1) | instskip(NEXT) | instid1(VALU_DEP_1)
	s_mov_b32 s1, exec_lo
	v_cmpx_gt_i32_e64 s3, v1
	s_cbranch_execz .LBB197_7
; %bb.6:
	v_dual_mov_b32 v3, 0 :: v_dual_add_nc_u32 v2, s8, v1
	v_add_nc_u32_e32 v1, 0x100, v1
	s_delay_alu instid0(VALU_DEP_2) | instskip(NEXT) | instid1(VALU_DEP_1)
	v_lshlrev_b64 v[2:3], 2, v[2:3]
	v_add_co_u32 v2, s0, s6, v2
	s_delay_alu instid0(VALU_DEP_1)
	v_add_co_ci_u32_e64 v3, s0, s7, v3, s0
	global_load_b32 v2, v[2:3], off
	s_waitcnt vmcnt(0)
	v_cvt_f64_f32_e32 v[7:8], v2
.LBB197_7:
	s_or_b32 exec_lo, exec_lo, s1
	v_mov_b32_e32 v9, 0
	v_mov_b32_e32 v10, 0
	s_mov_b32 s1, exec_lo
	s_delay_alu instid0(VALU_DEP_1)
	v_dual_mov_b32 v14, v10 :: v_dual_mov_b32 v13, v9
	v_cmpx_gt_i32_e64 s3, v1
	s_cbranch_execnz .LBB197_21
; %bb.8:
	s_or_b32 exec_lo, exec_lo, s1
	s_delay_alu instid0(SALU_CYCLE_1)
	s_mov_b32 s1, exec_lo
	v_cmpx_gt_i32_e64 s3, v1
	s_cbranch_execnz .LBB197_22
.LBB197_9:
	s_or_b32 exec_lo, exec_lo, s1
                                        ; implicit-def: $vgpr1_vgpr2_vgpr3_vgpr4
	s_and_saveexec_b32 s1, vcc_lo
	s_cbranch_execnz .LBB197_23
.LBB197_10:
	s_or_b32 exec_lo, exec_lo, s1
	s_delay_alu instid0(SALU_CYCLE_1)
	s_mov_b32 s1, exec_lo
	v_cmpx_gt_i32_e64 s3, v15
.LBB197_11:
	v_rsq_f64_e32 v[11:12], v[7:8]
	s_waitcnt_depctr 0xfff
	v_mul_f64 v[6:7], v[11:12], -v[7:8]
	v_cmp_class_f64_e64 s0, v[11:12], 0x180
	s_delay_alu instid0(VALU_DEP_2) | instskip(NEXT) | instid1(VALU_DEP_1)
	v_fma_f64 v[6:7], v[6:7], v[11:12], 1.0
	v_mul_f64 v[16:17], v[11:12], v[6:7]
	v_fma_f64 v[6:7], 0x3fd80000, v[6:7], 0.5
	s_delay_alu instid0(VALU_DEP_1) | instskip(NEXT) | instid1(VALU_DEP_1)
	v_fma_f64 v[6:7], v[16:17], v[6:7], v[11:12]
	v_cndmask_b32_e64 v7, v12, v7, s0
	s_delay_alu instid0(VALU_DEP_2) | instskip(NEXT) | instid1(VALU_DEP_1)
	v_cndmask_b32_e64 v6, v11, v6, s0
	v_cvt_f32_f64_e32 v2, v[6:7]
.LBB197_12:
	s_or_b32 exec_lo, exec_lo, s1
	v_or_b32_e32 v6, 0x200, v0
	s_mov_b32 s1, exec_lo
	s_delay_alu instid0(VALU_DEP_1)
	v_cmpx_gt_i32_e64 s3, v6
; %bb.13:
	v_rsq_f64_e32 v[6:7], v[13:14]
	s_waitcnt_depctr 0xfff
	v_mul_f64 v[11:12], v[6:7], -v[13:14]
	v_cmp_class_f64_e64 s0, v[6:7], 0x180
	s_delay_alu instid0(VALU_DEP_2) | instskip(NEXT) | instid1(VALU_DEP_1)
	v_fma_f64 v[11:12], v[11:12], v[6:7], 1.0
	v_mul_f64 v[13:14], v[6:7], v[11:12]
	v_fma_f64 v[11:12], 0x3fd80000, v[11:12], 0.5
	s_delay_alu instid0(VALU_DEP_1) | instskip(NEXT) | instid1(VALU_DEP_1)
	v_fma_f64 v[11:12], v[13:14], v[11:12], v[6:7]
	v_cndmask_b32_e64 v7, v7, v12, s0
	s_delay_alu instid0(VALU_DEP_2) | instskip(NEXT) | instid1(VALU_DEP_1)
	v_cndmask_b32_e64 v6, v6, v11, s0
	v_cvt_f32_f64_e32 v3, v[6:7]
; %bb.14:
	s_or_b32 exec_lo, exec_lo, s1
	v_or_b32_e32 v6, 0x300, v0
	s_mov_b32 s1, exec_lo
	s_delay_alu instid0(VALU_DEP_1)
	v_cmpx_gt_i32_e64 s3, v6
	s_cbranch_execnz .LBB197_24
; %bb.15:
	s_or_b32 exec_lo, exec_lo, s1
	s_and_saveexec_b32 s0, vcc_lo
	s_delay_alu instid0(SALU_CYCLE_1)
	s_xor_b32 s0, exec_lo, s0
	s_cbranch_execnz .LBB197_25
.LBB197_16:
	s_or_b32 exec_lo, exec_lo, s0
	s_delay_alu instid0(SALU_CYCLE_1)
	s_mov_b32 s0, exec_lo
	v_cmpx_gt_i32_e64 s3, v0
	s_cbranch_execnz .LBB197_26
.LBB197_17:
	s_or_b32 exec_lo, exec_lo, s0
	s_delay_alu instid0(SALU_CYCLE_1)
	s_mov_b32 s0, exec_lo
	v_cmpx_gt_i32_e64 s3, v0
	s_cbranch_execnz .LBB197_27
.LBB197_18:
	s_or_b32 exec_lo, exec_lo, s0
	s_delay_alu instid0(SALU_CYCLE_1)
	s_mov_b32 s0, exec_lo
	v_cmpx_gt_i32_e64 s3, v0
	s_cbranch_execz .LBB197_20
.LBB197_19:
	v_dual_mov_b32 v1, 0 :: v_dual_add_nc_u32 v0, s8, v0
	s_delay_alu instid0(VALU_DEP_1) | instskip(NEXT) | instid1(VALU_DEP_1)
	v_lshlrev_b64 v[0:1], 2, v[0:1]
	v_add_co_u32 v0, vcc_lo, s4, v0
	s_delay_alu instid0(VALU_DEP_2)
	v_add_co_ci_u32_e32 v1, vcc_lo, s5, v1, vcc_lo
	global_store_b32 v[0:1], v4, off
.LBB197_20:
	s_nop 0
	s_sendmsg sendmsg(MSG_DEALLOC_VGPRS)
	s_endpgm
.LBB197_21:
	v_dual_mov_b32 v3, 0 :: v_dual_add_nc_u32 v2, s8, v1
	v_add_nc_u32_e32 v1, 0x100, v1
	s_delay_alu instid0(VALU_DEP_2) | instskip(NEXT) | instid1(VALU_DEP_1)
	v_lshlrev_b64 v[2:3], 2, v[2:3]
	v_add_co_u32 v2, s0, s6, v2
	s_delay_alu instid0(VALU_DEP_1) | instskip(SKIP_4) | instid1(SALU_CYCLE_1)
	v_add_co_ci_u32_e64 v3, s0, s7, v3, s0
	global_load_b32 v2, v[2:3], off
	s_waitcnt vmcnt(0)
	v_cvt_f64_f32_e32 v[13:14], v2
	s_or_b32 exec_lo, exec_lo, s1
	s_mov_b32 s1, exec_lo
	v_cmpx_gt_i32_e64 s3, v1
	s_cbranch_execz .LBB197_9
.LBB197_22:
	v_dual_mov_b32 v2, 0 :: v_dual_add_nc_u32 v1, s8, v1
	s_delay_alu instid0(VALU_DEP_1) | instskip(NEXT) | instid1(VALU_DEP_1)
	v_lshlrev_b64 v[1:2], 2, v[1:2]
	v_add_co_u32 v1, s0, s6, v1
	s_delay_alu instid0(VALU_DEP_1)
	v_add_co_ci_u32_e64 v2, s0, s7, v2, s0
	global_load_b32 v1, v[1:2], off
	s_waitcnt vmcnt(0)
	v_cvt_f64_f32_e32 v[9:10], v1
	s_or_b32 exec_lo, exec_lo, s1
                                        ; implicit-def: $vgpr1_vgpr2_vgpr3_vgpr4
	s_and_saveexec_b32 s1, vcc_lo
	s_cbranch_execz .LBB197_10
.LBB197_23:
	v_rsq_f64_e32 v[1:2], v[11:12]
	s_waitcnt_depctr 0xfff
	v_mul_f64 v[3:4], v[1:2], -v[11:12]
	v_cmp_class_f64_e64 s0, v[1:2], 0x180
	s_delay_alu instid0(VALU_DEP_2) | instskip(NEXT) | instid1(VALU_DEP_1)
	v_fma_f64 v[3:4], v[3:4], v[1:2], 1.0
	v_mul_f64 v[11:12], v[1:2], v[3:4]
	v_fma_f64 v[3:4], 0x3fd80000, v[3:4], 0.5
	s_delay_alu instid0(VALU_DEP_1) | instskip(NEXT) | instid1(VALU_DEP_1)
	v_fma_f64 v[3:4], v[11:12], v[3:4], v[1:2]
	v_cndmask_b32_e64 v2, v2, v4, s0
	s_delay_alu instid0(VALU_DEP_2) | instskip(NEXT) | instid1(VALU_DEP_1)
	v_cndmask_b32_e64 v1, v1, v3, s0
	v_cvt_f32_f64_e32 v1, v[1:2]
	s_or_b32 exec_lo, exec_lo, s1
	s_delay_alu instid0(SALU_CYCLE_1)
	s_mov_b32 s1, exec_lo
	v_cmpx_gt_i32_e64 s3, v15
	s_cbranch_execnz .LBB197_11
	s_branch .LBB197_12
.LBB197_24:
	v_rsq_f64_e32 v[6:7], v[9:10]
	s_waitcnt_depctr 0xfff
	v_mul_f64 v[8:9], v[6:7], -v[9:10]
	v_cmp_class_f64_e64 s0, v[6:7], 0x180
	s_delay_alu instid0(VALU_DEP_2) | instskip(NEXT) | instid1(VALU_DEP_1)
	v_fma_f64 v[8:9], v[8:9], v[6:7], 1.0
	v_mul_f64 v[10:11], v[6:7], v[8:9]
	v_fma_f64 v[8:9], 0x3fd80000, v[8:9], 0.5
	s_delay_alu instid0(VALU_DEP_1) | instskip(NEXT) | instid1(VALU_DEP_1)
	v_fma_f64 v[8:9], v[10:11], v[8:9], v[6:7]
	v_cndmask_b32_e64 v7, v7, v9, s0
	s_delay_alu instid0(VALU_DEP_2) | instskip(NEXT) | instid1(VALU_DEP_1)
	v_cndmask_b32_e64 v6, v6, v8, s0
	v_cvt_f32_f64_e32 v4, v[6:7]
	s_or_b32 exec_lo, exec_lo, s1
	s_and_saveexec_b32 s0, vcc_lo
	s_delay_alu instid0(SALU_CYCLE_1)
	s_xor_b32 s0, exec_lo, s0
	s_cbranch_execz .LBB197_16
.LBB197_25:
	v_mov_b32_e32 v6, 0
	v_mov_b32_e32 v0, v15
	s_delay_alu instid0(VALU_DEP_2) | instskip(NEXT) | instid1(VALU_DEP_1)
	v_lshlrev_b64 v[5:6], 2, v[5:6]
	v_add_co_u32 v5, vcc_lo, s4, v5
	s_delay_alu instid0(VALU_DEP_2) | instskip(SKIP_2) | instid1(SALU_CYCLE_1)
	v_add_co_ci_u32_e32 v6, vcc_lo, s5, v6, vcc_lo
	global_store_b32 v[5:6], v1, off
	s_or_b32 exec_lo, exec_lo, s0
	s_mov_b32 s0, exec_lo
	v_cmpx_gt_i32_e64 s3, v0
	s_cbranch_execz .LBB197_17
.LBB197_26:
	v_dual_mov_b32 v6, 0 :: v_dual_add_nc_u32 v5, s8, v0
	v_add_nc_u32_e32 v0, 0x100, v0
	s_delay_alu instid0(VALU_DEP_2) | instskip(NEXT) | instid1(VALU_DEP_1)
	v_lshlrev_b64 v[5:6], 2, v[5:6]
	v_add_co_u32 v5, vcc_lo, s4, v5
	s_delay_alu instid0(VALU_DEP_2) | instskip(SKIP_2) | instid1(SALU_CYCLE_1)
	v_add_co_ci_u32_e32 v6, vcc_lo, s5, v6, vcc_lo
	global_store_b32 v[5:6], v2, off
	s_or_b32 exec_lo, exec_lo, s0
	s_mov_b32 s0, exec_lo
	v_cmpx_gt_i32_e64 s3, v0
	s_cbranch_execz .LBB197_18
.LBB197_27:
	v_dual_mov_b32 v2, 0 :: v_dual_add_nc_u32 v1, s8, v0
	v_add_nc_u32_e32 v0, 0x100, v0
	s_delay_alu instid0(VALU_DEP_2) | instskip(NEXT) | instid1(VALU_DEP_1)
	v_lshlrev_b64 v[1:2], 2, v[1:2]
	v_add_co_u32 v1, vcc_lo, s4, v1
	s_delay_alu instid0(VALU_DEP_2) | instskip(SKIP_2) | instid1(SALU_CYCLE_1)
	v_add_co_ci_u32_e32 v2, vcc_lo, s5, v2, vcc_lo
	global_store_b32 v[1:2], v3, off
	s_or_b32 exec_lo, exec_lo, s0
	s_mov_b32 s0, exec_lo
	v_cmpx_gt_i32_e64 s3, v0
	s_cbranch_execnz .LBB197_19
	s_branch .LBB197_20
	.section	.rodata,"a",@progbits
	.p2align	6, 0x0
	.amdhsa_kernel _ZN2at6native29vectorized_elementwise_kernelILi2EZZZNS0_17rsqrt_kernel_cudaERNS_18TensorIteratorBaseEENKUlvE0_clEvENKUlvE0_clEvEUlfE_St5arrayIPcLm2EEEEviT0_T1_
		.amdhsa_group_segment_fixed_size 0
		.amdhsa_private_segment_fixed_size 0
		.amdhsa_kernarg_size 24
		.amdhsa_user_sgpr_count 15
		.amdhsa_user_sgpr_dispatch_ptr 0
		.amdhsa_user_sgpr_queue_ptr 0
		.amdhsa_user_sgpr_kernarg_segment_ptr 1
		.amdhsa_user_sgpr_dispatch_id 0
		.amdhsa_user_sgpr_private_segment_size 0
		.amdhsa_wavefront_size32 1
		.amdhsa_uses_dynamic_stack 0
		.amdhsa_enable_private_segment 0
		.amdhsa_system_sgpr_workgroup_id_x 1
		.amdhsa_system_sgpr_workgroup_id_y 0
		.amdhsa_system_sgpr_workgroup_id_z 0
		.amdhsa_system_sgpr_workgroup_info 0
		.amdhsa_system_vgpr_workitem_id 0
		.amdhsa_next_free_vgpr 26
		.amdhsa_next_free_sgpr 16
		.amdhsa_reserve_vcc 1
		.amdhsa_float_round_mode_32 0
		.amdhsa_float_round_mode_16_64 0
		.amdhsa_float_denorm_mode_32 3
		.amdhsa_float_denorm_mode_16_64 3
		.amdhsa_dx10_clamp 1
		.amdhsa_ieee_mode 1
		.amdhsa_fp16_overflow 0
		.amdhsa_workgroup_processor_mode 1
		.amdhsa_memory_ordered 1
		.amdhsa_forward_progress 0
		.amdhsa_shared_vgpr_count 0
		.amdhsa_exception_fp_ieee_invalid_op 0
		.amdhsa_exception_fp_denorm_src 0
		.amdhsa_exception_fp_ieee_div_zero 0
		.amdhsa_exception_fp_ieee_overflow 0
		.amdhsa_exception_fp_ieee_underflow 0
		.amdhsa_exception_fp_ieee_inexact 0
		.amdhsa_exception_int_div_zero 0
	.end_amdhsa_kernel
	.section	.text._ZN2at6native29vectorized_elementwise_kernelILi2EZZZNS0_17rsqrt_kernel_cudaERNS_18TensorIteratorBaseEENKUlvE0_clEvENKUlvE0_clEvEUlfE_St5arrayIPcLm2EEEEviT0_T1_,"axG",@progbits,_ZN2at6native29vectorized_elementwise_kernelILi2EZZZNS0_17rsqrt_kernel_cudaERNS_18TensorIteratorBaseEENKUlvE0_clEvENKUlvE0_clEvEUlfE_St5arrayIPcLm2EEEEviT0_T1_,comdat
.Lfunc_end197:
	.size	_ZN2at6native29vectorized_elementwise_kernelILi2EZZZNS0_17rsqrt_kernel_cudaERNS_18TensorIteratorBaseEENKUlvE0_clEvENKUlvE0_clEvEUlfE_St5arrayIPcLm2EEEEviT0_T1_, .Lfunc_end197-_ZN2at6native29vectorized_elementwise_kernelILi2EZZZNS0_17rsqrt_kernel_cudaERNS_18TensorIteratorBaseEENKUlvE0_clEvENKUlvE0_clEvEUlfE_St5arrayIPcLm2EEEEviT0_T1_
                                        ; -- End function
	.section	.AMDGPU.csdata,"",@progbits
; Kernel info:
; codeLenInByte = 1792
; NumSgprs: 18
; NumVgprs: 26
; ScratchSize: 0
; MemoryBound: 0
; FloatMode: 240
; IeeeMode: 1
; LDSByteSize: 0 bytes/workgroup (compile time only)
; SGPRBlocks: 2
; VGPRBlocks: 3
; NumSGPRsForWavesPerEU: 18
; NumVGPRsForWavesPerEU: 26
; Occupancy: 16
; WaveLimiterHint : 1
; COMPUTE_PGM_RSRC2:SCRATCH_EN: 0
; COMPUTE_PGM_RSRC2:USER_SGPR: 15
; COMPUTE_PGM_RSRC2:TRAP_HANDLER: 0
; COMPUTE_PGM_RSRC2:TGID_X_EN: 1
; COMPUTE_PGM_RSRC2:TGID_Y_EN: 0
; COMPUTE_PGM_RSRC2:TGID_Z_EN: 0
; COMPUTE_PGM_RSRC2:TIDIG_COMP_CNT: 0
	.section	.text._ZN2at6native27unrolled_elementwise_kernelIZZZNS0_17rsqrt_kernel_cudaERNS_18TensorIteratorBaseEENKUlvE0_clEvENKUlvE0_clEvEUlfE_St5arrayIPcLm2EELi4E23TrivialOffsetCalculatorILi1EjESB_NS0_6memory15LoadWithoutCastENSC_16StoreWithoutCastEEEviT_T0_T2_T3_T4_T5_,"axG",@progbits,_ZN2at6native27unrolled_elementwise_kernelIZZZNS0_17rsqrt_kernel_cudaERNS_18TensorIteratorBaseEENKUlvE0_clEvENKUlvE0_clEvEUlfE_St5arrayIPcLm2EELi4E23TrivialOffsetCalculatorILi1EjESB_NS0_6memory15LoadWithoutCastENSC_16StoreWithoutCastEEEviT_T0_T2_T3_T4_T5_,comdat
	.globl	_ZN2at6native27unrolled_elementwise_kernelIZZZNS0_17rsqrt_kernel_cudaERNS_18TensorIteratorBaseEENKUlvE0_clEvENKUlvE0_clEvEUlfE_St5arrayIPcLm2EELi4E23TrivialOffsetCalculatorILi1EjESB_NS0_6memory15LoadWithoutCastENSC_16StoreWithoutCastEEEviT_T0_T2_T3_T4_T5_ ; -- Begin function _ZN2at6native27unrolled_elementwise_kernelIZZZNS0_17rsqrt_kernel_cudaERNS_18TensorIteratorBaseEENKUlvE0_clEvENKUlvE0_clEvEUlfE_St5arrayIPcLm2EELi4E23TrivialOffsetCalculatorILi1EjESB_NS0_6memory15LoadWithoutCastENSC_16StoreWithoutCastEEEviT_T0_T2_T3_T4_T5_
	.p2align	8
	.type	_ZN2at6native27unrolled_elementwise_kernelIZZZNS0_17rsqrt_kernel_cudaERNS_18TensorIteratorBaseEENKUlvE0_clEvENKUlvE0_clEvEUlfE_St5arrayIPcLm2EELi4E23TrivialOffsetCalculatorILi1EjESB_NS0_6memory15LoadWithoutCastENSC_16StoreWithoutCastEEEviT_T0_T2_T3_T4_T5_,@function
_ZN2at6native27unrolled_elementwise_kernelIZZZNS0_17rsqrt_kernel_cudaERNS_18TensorIteratorBaseEENKUlvE0_clEvENKUlvE0_clEvEUlfE_St5arrayIPcLm2EELi4E23TrivialOffsetCalculatorILi1EjESB_NS0_6memory15LoadWithoutCastENSC_16StoreWithoutCastEEEviT_T0_T2_T3_T4_T5_: ; @_ZN2at6native27unrolled_elementwise_kernelIZZZNS0_17rsqrt_kernel_cudaERNS_18TensorIteratorBaseEENKUlvE0_clEvENKUlvE0_clEvEUlfE_St5arrayIPcLm2EELi4E23TrivialOffsetCalculatorILi1EjESB_NS0_6memory15LoadWithoutCastENSC_16StoreWithoutCastEEEviT_T0_T2_T3_T4_T5_
; %bb.0:
	s_clause 0x1
	s_load_b32 s2, s[0:1], 0x0
	s_load_b128 s[4:7], s[0:1], 0x8
	v_mov_b32_e32 v7, 0
	v_dual_mov_b32 v8, 0 :: v_dual_mov_b32 v1, v0
	s_lshl_b32 s1, s15, 10
	v_or_b32_e32 v15, 0x100, v0
	v_or_b32_e32 v5, s1, v0
	s_delay_alu instid0(VALU_DEP_3) | instskip(SKIP_2) | instid1(SALU_CYCLE_1)
	v_dual_mov_b32 v12, v8 :: v_dual_mov_b32 v11, v7
	s_waitcnt lgkmcnt(0)
	s_sub_i32 s2, s2, s1
	v_cmp_gt_i32_e32 vcc_lo, s2, v0
	s_and_saveexec_b32 s3, vcc_lo
	s_cbranch_execz .LBB198_2
; %bb.1:
	v_mov_b32_e32 v6, 0
	s_delay_alu instid0(VALU_DEP_1) | instskip(NEXT) | instid1(VALU_DEP_1)
	v_lshlrev_b64 v[1:2], 2, v[5:6]
	v_add_co_u32 v1, s0, s6, v1
	s_delay_alu instid0(VALU_DEP_1)
	v_add_co_ci_u32_e64 v2, s0, s7, v2, s0
	global_load_b32 v1, v[1:2], off
	s_waitcnt vmcnt(0)
	v_cvt_f64_f32_e32 v[11:12], v1
	v_or_b32_e32 v1, 0x100, v0
.LBB198_2:
	s_or_b32 exec_lo, exec_lo, s3
	s_delay_alu instid0(SALU_CYCLE_1) | instskip(NEXT) | instid1(VALU_DEP_1)
	s_mov_b32 s3, exec_lo
	v_cmpx_gt_i32_e64 s2, v1
	s_cbranch_execz .LBB198_4
; %bb.3:
	v_dual_mov_b32 v3, 0 :: v_dual_add_nc_u32 v2, s1, v1
	v_add_nc_u32_e32 v1, 0x100, v1
	s_delay_alu instid0(VALU_DEP_2) | instskip(NEXT) | instid1(VALU_DEP_1)
	v_lshlrev_b64 v[2:3], 2, v[2:3]
	v_add_co_u32 v2, s0, s6, v2
	s_delay_alu instid0(VALU_DEP_1)
	v_add_co_ci_u32_e64 v3, s0, s7, v3, s0
	global_load_b32 v2, v[2:3], off
	s_waitcnt vmcnt(0)
	v_cvt_f64_f32_e32 v[7:8], v2
.LBB198_4:
	s_or_b32 exec_lo, exec_lo, s3
	v_mov_b32_e32 v9, 0
	v_mov_b32_e32 v10, 0
	s_mov_b32 s3, exec_lo
	s_delay_alu instid0(VALU_DEP_1)
	v_dual_mov_b32 v14, v10 :: v_dual_mov_b32 v13, v9
	v_cmpx_gt_i32_e64 s2, v1
	s_cbranch_execnz .LBB198_17
; %bb.5:
	s_or_b32 exec_lo, exec_lo, s3
	s_delay_alu instid0(SALU_CYCLE_1)
	s_mov_b32 s3, exec_lo
	v_cmpx_gt_i32_e64 s2, v1
	s_cbranch_execnz .LBB198_18
.LBB198_6:
	s_or_b32 exec_lo, exec_lo, s3
                                        ; implicit-def: $vgpr1_vgpr2_vgpr3_vgpr4
	s_and_saveexec_b32 s3, vcc_lo
	s_cbranch_execnz .LBB198_19
.LBB198_7:
	s_or_b32 exec_lo, exec_lo, s3
	s_delay_alu instid0(SALU_CYCLE_1)
	s_mov_b32 s3, exec_lo
	v_cmpx_gt_i32_e64 s2, v15
.LBB198_8:
	v_rsq_f64_e32 v[11:12], v[7:8]
	s_waitcnt_depctr 0xfff
	v_mul_f64 v[6:7], v[11:12], -v[7:8]
	v_cmp_class_f64_e64 s0, v[11:12], 0x180
	s_delay_alu instid0(VALU_DEP_2) | instskip(NEXT) | instid1(VALU_DEP_1)
	v_fma_f64 v[6:7], v[6:7], v[11:12], 1.0
	v_mul_f64 v[16:17], v[11:12], v[6:7]
	v_fma_f64 v[6:7], 0x3fd80000, v[6:7], 0.5
	s_delay_alu instid0(VALU_DEP_1) | instskip(NEXT) | instid1(VALU_DEP_1)
	v_fma_f64 v[6:7], v[16:17], v[6:7], v[11:12]
	v_cndmask_b32_e64 v7, v12, v7, s0
	s_delay_alu instid0(VALU_DEP_2) | instskip(NEXT) | instid1(VALU_DEP_1)
	v_cndmask_b32_e64 v6, v11, v6, s0
	v_cvt_f32_f64_e32 v2, v[6:7]
.LBB198_9:
	s_or_b32 exec_lo, exec_lo, s3
	v_or_b32_e32 v6, 0x200, v0
	s_mov_b32 s3, exec_lo
	s_delay_alu instid0(VALU_DEP_1)
	v_cmpx_gt_i32_e64 s2, v6
; %bb.10:
	v_rsq_f64_e32 v[6:7], v[13:14]
	s_waitcnt_depctr 0xfff
	v_mul_f64 v[11:12], v[6:7], -v[13:14]
	v_cmp_class_f64_e64 s0, v[6:7], 0x180
	s_delay_alu instid0(VALU_DEP_2) | instskip(NEXT) | instid1(VALU_DEP_1)
	v_fma_f64 v[11:12], v[11:12], v[6:7], 1.0
	v_mul_f64 v[13:14], v[6:7], v[11:12]
	v_fma_f64 v[11:12], 0x3fd80000, v[11:12], 0.5
	s_delay_alu instid0(VALU_DEP_1) | instskip(NEXT) | instid1(VALU_DEP_1)
	v_fma_f64 v[11:12], v[13:14], v[11:12], v[6:7]
	v_cndmask_b32_e64 v7, v7, v12, s0
	s_delay_alu instid0(VALU_DEP_2) | instskip(NEXT) | instid1(VALU_DEP_1)
	v_cndmask_b32_e64 v6, v6, v11, s0
	v_cvt_f32_f64_e32 v3, v[6:7]
; %bb.11:
	s_or_b32 exec_lo, exec_lo, s3
	v_or_b32_e32 v6, 0x300, v0
	s_mov_b32 s3, exec_lo
	s_delay_alu instid0(VALU_DEP_1)
	v_cmpx_gt_i32_e64 s2, v6
	s_cbranch_execnz .LBB198_20
; %bb.12:
	s_or_b32 exec_lo, exec_lo, s3
	s_and_saveexec_b32 s0, vcc_lo
	s_delay_alu instid0(SALU_CYCLE_1)
	s_xor_b32 s0, exec_lo, s0
	s_cbranch_execnz .LBB198_21
.LBB198_13:
	s_or_b32 exec_lo, exec_lo, s0
	s_delay_alu instid0(SALU_CYCLE_1)
	s_mov_b32 s0, exec_lo
	v_cmpx_gt_i32_e64 s2, v0
	s_cbranch_execnz .LBB198_22
.LBB198_14:
	s_or_b32 exec_lo, exec_lo, s0
	s_delay_alu instid0(SALU_CYCLE_1)
	s_mov_b32 s0, exec_lo
	v_cmpx_gt_i32_e64 s2, v0
	s_cbranch_execnz .LBB198_23
.LBB198_15:
	s_or_b32 exec_lo, exec_lo, s0
	s_delay_alu instid0(SALU_CYCLE_1)
	s_mov_b32 s0, exec_lo
	v_cmpx_gt_i32_e64 s2, v0
	s_cbranch_execnz .LBB198_24
.LBB198_16:
	s_nop 0
	s_sendmsg sendmsg(MSG_DEALLOC_VGPRS)
	s_endpgm
.LBB198_17:
	v_dual_mov_b32 v3, 0 :: v_dual_add_nc_u32 v2, s1, v1
	v_add_nc_u32_e32 v1, 0x100, v1
	s_delay_alu instid0(VALU_DEP_2) | instskip(NEXT) | instid1(VALU_DEP_1)
	v_lshlrev_b64 v[2:3], 2, v[2:3]
	v_add_co_u32 v2, s0, s6, v2
	s_delay_alu instid0(VALU_DEP_1) | instskip(SKIP_4) | instid1(SALU_CYCLE_1)
	v_add_co_ci_u32_e64 v3, s0, s7, v3, s0
	global_load_b32 v2, v[2:3], off
	s_waitcnt vmcnt(0)
	v_cvt_f64_f32_e32 v[13:14], v2
	s_or_b32 exec_lo, exec_lo, s3
	s_mov_b32 s3, exec_lo
	v_cmpx_gt_i32_e64 s2, v1
	s_cbranch_execz .LBB198_6
.LBB198_18:
	v_dual_mov_b32 v2, 0 :: v_dual_add_nc_u32 v1, s1, v1
	s_delay_alu instid0(VALU_DEP_1) | instskip(NEXT) | instid1(VALU_DEP_1)
	v_lshlrev_b64 v[1:2], 2, v[1:2]
	v_add_co_u32 v1, s0, s6, v1
	s_delay_alu instid0(VALU_DEP_1)
	v_add_co_ci_u32_e64 v2, s0, s7, v2, s0
	global_load_b32 v1, v[1:2], off
	s_waitcnt vmcnt(0)
	v_cvt_f64_f32_e32 v[9:10], v1
	s_or_b32 exec_lo, exec_lo, s3
                                        ; implicit-def: $vgpr1_vgpr2_vgpr3_vgpr4
	s_and_saveexec_b32 s3, vcc_lo
	s_cbranch_execz .LBB198_7
.LBB198_19:
	v_rsq_f64_e32 v[1:2], v[11:12]
	s_waitcnt_depctr 0xfff
	v_mul_f64 v[3:4], v[1:2], -v[11:12]
	v_cmp_class_f64_e64 s0, v[1:2], 0x180
	s_delay_alu instid0(VALU_DEP_2) | instskip(NEXT) | instid1(VALU_DEP_1)
	v_fma_f64 v[3:4], v[3:4], v[1:2], 1.0
	v_mul_f64 v[11:12], v[1:2], v[3:4]
	v_fma_f64 v[3:4], 0x3fd80000, v[3:4], 0.5
	s_delay_alu instid0(VALU_DEP_1) | instskip(NEXT) | instid1(VALU_DEP_1)
	v_fma_f64 v[3:4], v[11:12], v[3:4], v[1:2]
	v_cndmask_b32_e64 v2, v2, v4, s0
	s_delay_alu instid0(VALU_DEP_2) | instskip(NEXT) | instid1(VALU_DEP_1)
	v_cndmask_b32_e64 v1, v1, v3, s0
	v_cvt_f32_f64_e32 v1, v[1:2]
	s_or_b32 exec_lo, exec_lo, s3
	s_delay_alu instid0(SALU_CYCLE_1)
	s_mov_b32 s3, exec_lo
	v_cmpx_gt_i32_e64 s2, v15
	s_cbranch_execnz .LBB198_8
	s_branch .LBB198_9
.LBB198_20:
	v_rsq_f64_e32 v[6:7], v[9:10]
	s_waitcnt_depctr 0xfff
	v_mul_f64 v[8:9], v[6:7], -v[9:10]
	v_cmp_class_f64_e64 s0, v[6:7], 0x180
	s_delay_alu instid0(VALU_DEP_2) | instskip(NEXT) | instid1(VALU_DEP_1)
	v_fma_f64 v[8:9], v[8:9], v[6:7], 1.0
	v_mul_f64 v[10:11], v[6:7], v[8:9]
	v_fma_f64 v[8:9], 0x3fd80000, v[8:9], 0.5
	s_delay_alu instid0(VALU_DEP_1) | instskip(NEXT) | instid1(VALU_DEP_1)
	v_fma_f64 v[8:9], v[10:11], v[8:9], v[6:7]
	v_cndmask_b32_e64 v7, v7, v9, s0
	s_delay_alu instid0(VALU_DEP_2) | instskip(NEXT) | instid1(VALU_DEP_1)
	v_cndmask_b32_e64 v6, v6, v8, s0
	v_cvt_f32_f64_e32 v4, v[6:7]
	s_or_b32 exec_lo, exec_lo, s3
	s_and_saveexec_b32 s0, vcc_lo
	s_delay_alu instid0(SALU_CYCLE_1)
	s_xor_b32 s0, exec_lo, s0
	s_cbranch_execz .LBB198_13
.LBB198_21:
	v_mov_b32_e32 v6, 0
	v_mov_b32_e32 v0, v15
	s_delay_alu instid0(VALU_DEP_2) | instskip(NEXT) | instid1(VALU_DEP_1)
	v_lshlrev_b64 v[5:6], 2, v[5:6]
	v_add_co_u32 v5, vcc_lo, s4, v5
	s_delay_alu instid0(VALU_DEP_2) | instskip(SKIP_2) | instid1(SALU_CYCLE_1)
	v_add_co_ci_u32_e32 v6, vcc_lo, s5, v6, vcc_lo
	global_store_b32 v[5:6], v1, off
	s_or_b32 exec_lo, exec_lo, s0
	s_mov_b32 s0, exec_lo
	v_cmpx_gt_i32_e64 s2, v0
	s_cbranch_execz .LBB198_14
.LBB198_22:
	v_dual_mov_b32 v6, 0 :: v_dual_add_nc_u32 v5, s1, v0
	v_add_nc_u32_e32 v0, 0x100, v0
	s_delay_alu instid0(VALU_DEP_2) | instskip(NEXT) | instid1(VALU_DEP_1)
	v_lshlrev_b64 v[5:6], 2, v[5:6]
	v_add_co_u32 v5, vcc_lo, s4, v5
	s_delay_alu instid0(VALU_DEP_2) | instskip(SKIP_2) | instid1(SALU_CYCLE_1)
	v_add_co_ci_u32_e32 v6, vcc_lo, s5, v6, vcc_lo
	global_store_b32 v[5:6], v2, off
	s_or_b32 exec_lo, exec_lo, s0
	s_mov_b32 s0, exec_lo
	v_cmpx_gt_i32_e64 s2, v0
	s_cbranch_execz .LBB198_15
.LBB198_23:
	v_dual_mov_b32 v2, 0 :: v_dual_add_nc_u32 v1, s1, v0
	v_add_nc_u32_e32 v0, 0x100, v0
	s_delay_alu instid0(VALU_DEP_2) | instskip(NEXT) | instid1(VALU_DEP_1)
	v_lshlrev_b64 v[1:2], 2, v[1:2]
	v_add_co_u32 v1, vcc_lo, s4, v1
	s_delay_alu instid0(VALU_DEP_2) | instskip(SKIP_2) | instid1(SALU_CYCLE_1)
	v_add_co_ci_u32_e32 v2, vcc_lo, s5, v2, vcc_lo
	global_store_b32 v[1:2], v3, off
	s_or_b32 exec_lo, exec_lo, s0
	s_mov_b32 s0, exec_lo
	v_cmpx_gt_i32_e64 s2, v0
	s_cbranch_execz .LBB198_16
.LBB198_24:
	v_dual_mov_b32 v1, 0 :: v_dual_add_nc_u32 v0, s1, v0
	s_delay_alu instid0(VALU_DEP_1) | instskip(NEXT) | instid1(VALU_DEP_1)
	v_lshlrev_b64 v[0:1], 2, v[0:1]
	v_add_co_u32 v0, vcc_lo, s4, v0
	s_delay_alu instid0(VALU_DEP_2)
	v_add_co_ci_u32_e32 v1, vcc_lo, s5, v1, vcc_lo
	global_store_b32 v[0:1], v4, off
	s_nop 0
	s_sendmsg sendmsg(MSG_DEALLOC_VGPRS)
	s_endpgm
	.section	.rodata,"a",@progbits
	.p2align	6, 0x0
	.amdhsa_kernel _ZN2at6native27unrolled_elementwise_kernelIZZZNS0_17rsqrt_kernel_cudaERNS_18TensorIteratorBaseEENKUlvE0_clEvENKUlvE0_clEvEUlfE_St5arrayIPcLm2EELi4E23TrivialOffsetCalculatorILi1EjESB_NS0_6memory15LoadWithoutCastENSC_16StoreWithoutCastEEEviT_T0_T2_T3_T4_T5_
		.amdhsa_group_segment_fixed_size 0
		.amdhsa_private_segment_fixed_size 0
		.amdhsa_kernarg_size 28
		.amdhsa_user_sgpr_count 15
		.amdhsa_user_sgpr_dispatch_ptr 0
		.amdhsa_user_sgpr_queue_ptr 0
		.amdhsa_user_sgpr_kernarg_segment_ptr 1
		.amdhsa_user_sgpr_dispatch_id 0
		.amdhsa_user_sgpr_private_segment_size 0
		.amdhsa_wavefront_size32 1
		.amdhsa_uses_dynamic_stack 0
		.amdhsa_enable_private_segment 0
		.amdhsa_system_sgpr_workgroup_id_x 1
		.amdhsa_system_sgpr_workgroup_id_y 0
		.amdhsa_system_sgpr_workgroup_id_z 0
		.amdhsa_system_sgpr_workgroup_info 0
		.amdhsa_system_vgpr_workitem_id 0
		.amdhsa_next_free_vgpr 18
		.amdhsa_next_free_sgpr 16
		.amdhsa_reserve_vcc 1
		.amdhsa_float_round_mode_32 0
		.amdhsa_float_round_mode_16_64 0
		.amdhsa_float_denorm_mode_32 3
		.amdhsa_float_denorm_mode_16_64 3
		.amdhsa_dx10_clamp 1
		.amdhsa_ieee_mode 1
		.amdhsa_fp16_overflow 0
		.amdhsa_workgroup_processor_mode 1
		.amdhsa_memory_ordered 1
		.amdhsa_forward_progress 0
		.amdhsa_shared_vgpr_count 0
		.amdhsa_exception_fp_ieee_invalid_op 0
		.amdhsa_exception_fp_denorm_src 0
		.amdhsa_exception_fp_ieee_div_zero 0
		.amdhsa_exception_fp_ieee_overflow 0
		.amdhsa_exception_fp_ieee_underflow 0
		.amdhsa_exception_fp_ieee_inexact 0
		.amdhsa_exception_int_div_zero 0
	.end_amdhsa_kernel
	.section	.text._ZN2at6native27unrolled_elementwise_kernelIZZZNS0_17rsqrt_kernel_cudaERNS_18TensorIteratorBaseEENKUlvE0_clEvENKUlvE0_clEvEUlfE_St5arrayIPcLm2EELi4E23TrivialOffsetCalculatorILi1EjESB_NS0_6memory15LoadWithoutCastENSC_16StoreWithoutCastEEEviT_T0_T2_T3_T4_T5_,"axG",@progbits,_ZN2at6native27unrolled_elementwise_kernelIZZZNS0_17rsqrt_kernel_cudaERNS_18TensorIteratorBaseEENKUlvE0_clEvENKUlvE0_clEvEUlfE_St5arrayIPcLm2EELi4E23TrivialOffsetCalculatorILi1EjESB_NS0_6memory15LoadWithoutCastENSC_16StoreWithoutCastEEEviT_T0_T2_T3_T4_T5_,comdat
.Lfunc_end198:
	.size	_ZN2at6native27unrolled_elementwise_kernelIZZZNS0_17rsqrt_kernel_cudaERNS_18TensorIteratorBaseEENKUlvE0_clEvENKUlvE0_clEvEUlfE_St5arrayIPcLm2EELi4E23TrivialOffsetCalculatorILi1EjESB_NS0_6memory15LoadWithoutCastENSC_16StoreWithoutCastEEEviT_T0_T2_T3_T4_T5_, .Lfunc_end198-_ZN2at6native27unrolled_elementwise_kernelIZZZNS0_17rsqrt_kernel_cudaERNS_18TensorIteratorBaseEENKUlvE0_clEvENKUlvE0_clEvEUlfE_St5arrayIPcLm2EELi4E23TrivialOffsetCalculatorILi1EjESB_NS0_6memory15LoadWithoutCastENSC_16StoreWithoutCastEEEviT_T0_T2_T3_T4_T5_
                                        ; -- End function
	.section	.AMDGPU.csdata,"",@progbits
; Kernel info:
; codeLenInByte = 1336
; NumSgprs: 18
; NumVgprs: 18
; ScratchSize: 0
; MemoryBound: 0
; FloatMode: 240
; IeeeMode: 1
; LDSByteSize: 0 bytes/workgroup (compile time only)
; SGPRBlocks: 2
; VGPRBlocks: 2
; NumSGPRsForWavesPerEU: 18
; NumVGPRsForWavesPerEU: 18
; Occupancy: 16
; WaveLimiterHint : 0
; COMPUTE_PGM_RSRC2:SCRATCH_EN: 0
; COMPUTE_PGM_RSRC2:USER_SGPR: 15
; COMPUTE_PGM_RSRC2:TRAP_HANDLER: 0
; COMPUTE_PGM_RSRC2:TGID_X_EN: 1
; COMPUTE_PGM_RSRC2:TGID_Y_EN: 0
; COMPUTE_PGM_RSRC2:TGID_Z_EN: 0
; COMPUTE_PGM_RSRC2:TIDIG_COMP_CNT: 0
	.section	.text._ZN2at6native32elementwise_kernel_manual_unrollILi128ELi4EZNS0_22gpu_kernel_impl_nocastIZZZNS0_17rsqrt_kernel_cudaERNS_18TensorIteratorBaseEENKUlvE0_clEvENKUlvE0_clEvEUlfE_EEvS4_RKT_EUlibE_EEviT1_,"axG",@progbits,_ZN2at6native32elementwise_kernel_manual_unrollILi128ELi4EZNS0_22gpu_kernel_impl_nocastIZZZNS0_17rsqrt_kernel_cudaERNS_18TensorIteratorBaseEENKUlvE0_clEvENKUlvE0_clEvEUlfE_EEvS4_RKT_EUlibE_EEviT1_,comdat
	.globl	_ZN2at6native32elementwise_kernel_manual_unrollILi128ELi4EZNS0_22gpu_kernel_impl_nocastIZZZNS0_17rsqrt_kernel_cudaERNS_18TensorIteratorBaseEENKUlvE0_clEvENKUlvE0_clEvEUlfE_EEvS4_RKT_EUlibE_EEviT1_ ; -- Begin function _ZN2at6native32elementwise_kernel_manual_unrollILi128ELi4EZNS0_22gpu_kernel_impl_nocastIZZZNS0_17rsqrt_kernel_cudaERNS_18TensorIteratorBaseEENKUlvE0_clEvENKUlvE0_clEvEUlfE_EEvS4_RKT_EUlibE_EEviT1_
	.p2align	8
	.type	_ZN2at6native32elementwise_kernel_manual_unrollILi128ELi4EZNS0_22gpu_kernel_impl_nocastIZZZNS0_17rsqrt_kernel_cudaERNS_18TensorIteratorBaseEENKUlvE0_clEvENKUlvE0_clEvEUlfE_EEvS4_RKT_EUlibE_EEviT1_,@function
_ZN2at6native32elementwise_kernel_manual_unrollILi128ELi4EZNS0_22gpu_kernel_impl_nocastIZZZNS0_17rsqrt_kernel_cudaERNS_18TensorIteratorBaseEENKUlvE0_clEvENKUlvE0_clEvEUlfE_EEvS4_RKT_EUlibE_EEviT1_: ; @_ZN2at6native32elementwise_kernel_manual_unrollILi128ELi4EZNS0_22gpu_kernel_impl_nocastIZZZNS0_17rsqrt_kernel_cudaERNS_18TensorIteratorBaseEENKUlvE0_clEvENKUlvE0_clEvEUlfE_EEvS4_RKT_EUlibE_EEviT1_
; %bb.0:
	s_clause 0x1
	s_load_b32 s22, s[0:1], 0x8
	s_load_b32 s27, s[0:1], 0x0
	v_lshl_or_b32 v4, s15, 9, v0
	s_or_b32 s0, s0, 8
	s_mov_b32 s2, exec_lo
	s_delay_alu instid0(VALU_DEP_1) | instskip(SKIP_2) | instid1(SALU_CYCLE_1)
	v_or_b32_e32 v8, 0x180, v4
	s_waitcnt lgkmcnt(0)
	s_add_i32 s23, s22, -1
	s_cmp_gt_u32 s23, 1
	s_cselect_b32 s24, -1, 0
	v_cmpx_le_i32_e64 s27, v8
	s_xor_b32 s25, exec_lo, s2
	s_cbranch_execz .LBB199_7
; %bb.1:
	s_clause 0x3
	s_load_b128 s[12:15], s[0:1], 0x4
	s_load_b64 s[2:3], s[0:1], 0x14
	s_load_b128 s[8:11], s[0:1], 0xc4
	s_load_b128 s[4:7], s[0:1], 0x148
	s_cmp_lg_u32 s22, 0
	s_mov_b32 s30, exec_lo
	s_cselect_b32 s29, -1, 0
	s_add_u32 s16, s0, 0xc4
	s_addc_u32 s17, s1, 0
	s_min_u32 s28, s23, 15
	s_cmp_gt_u32 s22, 1
	s_cselect_b32 s26, -1, 0
	v_cmpx_gt_i32_e64 s27, v4
	s_cbranch_execz .LBB199_14
; %bb.2:
	s_and_not1_b32 vcc_lo, exec_lo, s24
	s_cbranch_vccnz .LBB199_21
; %bb.3:
	v_dual_mov_b32 v0, 0 :: v_dual_mov_b32 v1, 0
	s_and_not1_b32 vcc_lo, exec_lo, s29
	s_mov_b32 s31, 0
	s_cbranch_vccnz .LBB199_73
; %bb.4:
	v_mov_b32_e32 v0, 0
	s_add_i32 s34, s28, 1
	s_cmp_eq_u32 s23, 2
	s_mov_b32 s33, 0
	s_cbranch_scc1 .LBB199_69
; %bb.5:
	v_dual_mov_b32 v1, 0 :: v_dual_mov_b32 v0, 0
	v_mov_b32_e32 v2, v4
	s_and_b32 s33, s34, 28
	s_mov_b32 s35, 0
	s_mov_b64 s[18:19], s[16:17]
	s_mov_b64 s[20:21], s[0:1]
.LBB199_6:                              ; =>This Inner Loop Header: Depth=1
	s_clause 0x1
	s_load_b256 s[36:43], s[20:21], 0x4
	s_load_b128 s[52:55], s[20:21], 0x24
	s_load_b256 s[44:51], s[18:19], 0x0
	s_add_u32 s20, s20, 48
	s_addc_u32 s21, s21, 0
	s_add_i32 s35, s35, 4
	s_add_u32 s18, s18, 32
	s_addc_u32 s19, s19, 0
	s_cmp_lg_u32 s33, s35
	s_waitcnt lgkmcnt(0)
	v_mul_hi_u32 v3, s37, v2
	s_delay_alu instid0(VALU_DEP_1) | instskip(NEXT) | instid1(VALU_DEP_1)
	v_add_nc_u32_e32 v3, v2, v3
	v_lshrrev_b32_e32 v3, s38, v3
	s_delay_alu instid0(VALU_DEP_1) | instskip(SKIP_1) | instid1(VALU_DEP_2)
	v_mul_hi_u32 v5, s40, v3
	v_mul_lo_u32 v7, v3, s36
	v_add_nc_u32_e32 v5, v3, v5
	s_delay_alu instid0(VALU_DEP_2) | instskip(NEXT) | instid1(VALU_DEP_2)
	v_sub_nc_u32_e32 v2, v2, v7
	v_lshrrev_b32_e32 v5, s41, v5
	s_delay_alu instid0(VALU_DEP_2) | instskip(SKIP_1) | instid1(VALU_DEP_3)
	v_mul_lo_u32 v7, v2, s44
	v_mul_lo_u32 v9, v2, s45
	v_mul_hi_u32 v6, s43, v5
	s_delay_alu instid0(VALU_DEP_1) | instskip(NEXT) | instid1(VALU_DEP_1)
	v_add_nc_u32_e32 v6, v5, v6
	v_lshrrev_b32_e32 v6, s52, v6
	s_delay_alu instid0(VALU_DEP_1) | instskip(SKIP_1) | instid1(VALU_DEP_2)
	v_mul_hi_u32 v8, s54, v6
	v_mul_lo_u32 v10, v6, s42
	v_add_nc_u32_e32 v2, v6, v8
	v_mul_lo_u32 v8, v5, s39
	s_delay_alu instid0(VALU_DEP_3) | instskip(NEXT) | instid1(VALU_DEP_3)
	v_sub_nc_u32_e32 v5, v5, v10
	v_lshrrev_b32_e32 v2, s55, v2
	s_delay_alu instid0(VALU_DEP_2) | instskip(SKIP_2) | instid1(VALU_DEP_4)
	v_mul_lo_u32 v10, v5, s48
	v_mul_lo_u32 v5, v5, s49
	v_sub_nc_u32_e32 v3, v3, v8
	v_mul_lo_u32 v11, v2, s53
	s_delay_alu instid0(VALU_DEP_2) | instskip(SKIP_1) | instid1(VALU_DEP_3)
	v_mul_lo_u32 v8, v3, s46
	v_mul_lo_u32 v3, v3, s47
	v_sub_nc_u32_e32 v6, v6, v11
	s_delay_alu instid0(VALU_DEP_3) | instskip(NEXT) | instid1(VALU_DEP_2)
	v_add3_u32 v0, v7, v0, v8
	v_mul_lo_u32 v11, v6, s50
	v_mul_lo_u32 v6, v6, s51
	v_add3_u32 v1, v9, v1, v3
	s_delay_alu instid0(VALU_DEP_3) | instskip(NEXT) | instid1(VALU_DEP_2)
	v_add3_u32 v0, v10, v0, v11
	v_add3_u32 v1, v5, v1, v6
	s_cbranch_scc1 .LBB199_6
	s_branch .LBB199_70
.LBB199_7:
	s_and_not1_saveexec_b32 s2, s25
	s_cbranch_execz .LBB199_94
.LBB199_8:
	v_cndmask_b32_e64 v6, 0, 1, s24
	s_and_not1_b32 vcc_lo, exec_lo, s24
	s_cbranch_vccnz .LBB199_20
; %bb.9:
	v_dual_mov_b32 v0, 0 :: v_dual_mov_b32 v1, 0
	s_cmp_lg_u32 s22, 0
	s_mov_b32 s6, 0
	s_cbranch_scc0 .LBB199_26
; %bb.10:
	s_min_u32 s7, s23, 15
	v_mov_b32_e32 v0, 0
	s_add_i32 s7, s7, 1
	s_cmp_eq_u32 s23, 2
	s_mov_b32 s8, 0
	s_cbranch_scc1 .LBB199_23
; %bb.11:
	v_dual_mov_b32 v1, 0 :: v_dual_mov_b32 v0, 0
	v_mov_b32_e32 v2, v4
	s_add_u32 s2, s0, 0xc4
	s_addc_u32 s3, s1, 0
	s_and_b32 s8, s7, 28
	s_mov_b32 s9, 0
	s_mov_b64 s[4:5], s[0:1]
.LBB199_12:                             ; =>This Inner Loop Header: Depth=1
	s_clause 0x1
	s_load_b256 s[12:19], s[4:5], 0x4
	s_load_b128 s[36:39], s[4:5], 0x24
	s_load_b256 s[24:31], s[2:3], 0x0
	s_add_u32 s4, s4, 48
	s_addc_u32 s5, s5, 0
	s_add_i32 s9, s9, 4
	s_add_u32 s2, s2, 32
	s_addc_u32 s3, s3, 0
	s_cmp_lg_u32 s8, s9
	s_waitcnt lgkmcnt(0)
	v_mul_hi_u32 v3, s13, v2
	s_delay_alu instid0(VALU_DEP_1) | instskip(NEXT) | instid1(VALU_DEP_1)
	v_add_nc_u32_e32 v3, v2, v3
	v_lshrrev_b32_e32 v3, s14, v3
	s_delay_alu instid0(VALU_DEP_1) | instskip(SKIP_1) | instid1(VALU_DEP_2)
	v_mul_hi_u32 v5, s16, v3
	v_mul_lo_u32 v9, v3, s12
	v_add_nc_u32_e32 v5, v3, v5
	s_delay_alu instid0(VALU_DEP_2) | instskip(NEXT) | instid1(VALU_DEP_2)
	v_sub_nc_u32_e32 v2, v2, v9
	v_lshrrev_b32_e32 v5, s17, v5
	s_delay_alu instid0(VALU_DEP_2) | instskip(SKIP_1) | instid1(VALU_DEP_3)
	v_mul_lo_u32 v9, v2, s24
	v_mul_lo_u32 v11, v2, s25
	v_mul_hi_u32 v7, s19, v5
	s_delay_alu instid0(VALU_DEP_1) | instskip(NEXT) | instid1(VALU_DEP_1)
	v_add_nc_u32_e32 v7, v5, v7
	v_lshrrev_b32_e32 v7, s36, v7
	s_delay_alu instid0(VALU_DEP_1) | instskip(SKIP_1) | instid1(VALU_DEP_2)
	v_mul_hi_u32 v10, s38, v7
	v_mul_lo_u32 v12, v7, s18
	v_add_nc_u32_e32 v2, v7, v10
	v_mul_lo_u32 v10, v5, s15
	s_delay_alu instid0(VALU_DEP_3) | instskip(NEXT) | instid1(VALU_DEP_3)
	v_sub_nc_u32_e32 v5, v5, v12
	v_lshrrev_b32_e32 v2, s39, v2
	s_delay_alu instid0(VALU_DEP_2) | instskip(SKIP_2) | instid1(VALU_DEP_4)
	v_mul_lo_u32 v12, v5, s28
	v_mul_lo_u32 v5, v5, s29
	v_sub_nc_u32_e32 v3, v3, v10
	v_mul_lo_u32 v13, v2, s37
	s_delay_alu instid0(VALU_DEP_2) | instskip(SKIP_1) | instid1(VALU_DEP_3)
	v_mul_lo_u32 v10, v3, s26
	v_mul_lo_u32 v3, v3, s27
	v_sub_nc_u32_e32 v7, v7, v13
	s_delay_alu instid0(VALU_DEP_3) | instskip(NEXT) | instid1(VALU_DEP_2)
	v_add3_u32 v0, v9, v0, v10
	v_mul_lo_u32 v13, v7, s30
	v_mul_lo_u32 v7, v7, s31
	v_add3_u32 v1, v11, v1, v3
	s_delay_alu instid0(VALU_DEP_3) | instskip(NEXT) | instid1(VALU_DEP_2)
	v_add3_u32 v0, v12, v0, v13
	v_add3_u32 v1, v5, v1, v7
	s_cbranch_scc1 .LBB199_12
; %bb.13:
	s_and_b32 s7, s7, 3
	s_delay_alu instid0(SALU_CYCLE_1)
	s_cmp_eq_u32 s7, 0
	s_cbranch_scc0 .LBB199_24
	s_branch .LBB199_26
.LBB199_14:
	s_or_b32 exec_lo, exec_lo, s30
	s_delay_alu instid0(SALU_CYCLE_1)
	s_mov_b32 s30, exec_lo
	v_cmpx_gt_i32_e64 s27, v4
	s_cbranch_execz .LBB199_77
.LBB199_15:
	s_and_not1_b32 vcc_lo, exec_lo, s24
	s_cbranch_vccnz .LBB199_22
; %bb.16:
	v_dual_mov_b32 v0, 0 :: v_dual_mov_b32 v1, 0
	s_and_not1_b32 vcc_lo, exec_lo, s29
	s_mov_b32 s31, 0
	s_cbranch_vccnz .LBB199_88
; %bb.17:
	v_mov_b32_e32 v0, 0
	s_add_i32 s34, s28, 1
	s_cmp_eq_u32 s23, 2
	s_mov_b32 s33, 0
	s_cbranch_scc1 .LBB199_84
; %bb.18:
	v_dual_mov_b32 v1, 0 :: v_dual_mov_b32 v0, 0
	v_mov_b32_e32 v2, v4
	s_and_b32 s33, s34, 28
	s_mov_b32 s35, 0
	s_mov_b64 s[18:19], s[16:17]
	s_mov_b64 s[20:21], s[0:1]
.LBB199_19:                             ; =>This Inner Loop Header: Depth=1
	s_clause 0x1
	s_load_b256 s[36:43], s[20:21], 0x4
	s_load_b128 s[52:55], s[20:21], 0x24
	s_load_b256 s[44:51], s[18:19], 0x0
	s_add_u32 s20, s20, 48
	s_addc_u32 s21, s21, 0
	s_add_i32 s35, s35, 4
	s_add_u32 s18, s18, 32
	s_addc_u32 s19, s19, 0
	s_cmp_eq_u32 s33, s35
	s_waitcnt lgkmcnt(0)
	v_mul_hi_u32 v3, s37, v2
	s_delay_alu instid0(VALU_DEP_1) | instskip(NEXT) | instid1(VALU_DEP_1)
	v_add_nc_u32_e32 v3, v2, v3
	v_lshrrev_b32_e32 v3, s38, v3
	s_delay_alu instid0(VALU_DEP_1) | instskip(SKIP_1) | instid1(VALU_DEP_2)
	v_mul_hi_u32 v5, s40, v3
	v_mul_lo_u32 v7, v3, s36
	v_add_nc_u32_e32 v5, v3, v5
	s_delay_alu instid0(VALU_DEP_2) | instskip(NEXT) | instid1(VALU_DEP_2)
	v_sub_nc_u32_e32 v2, v2, v7
	v_lshrrev_b32_e32 v5, s41, v5
	s_delay_alu instid0(VALU_DEP_2) | instskip(SKIP_1) | instid1(VALU_DEP_3)
	v_mul_lo_u32 v7, v2, s44
	v_mul_lo_u32 v9, v2, s45
	v_mul_hi_u32 v6, s43, v5
	s_delay_alu instid0(VALU_DEP_1) | instskip(NEXT) | instid1(VALU_DEP_1)
	v_add_nc_u32_e32 v6, v5, v6
	v_lshrrev_b32_e32 v6, s52, v6
	s_delay_alu instid0(VALU_DEP_1) | instskip(SKIP_1) | instid1(VALU_DEP_2)
	v_mul_hi_u32 v8, s54, v6
	v_mul_lo_u32 v10, v6, s42
	v_add_nc_u32_e32 v2, v6, v8
	v_mul_lo_u32 v8, v5, s39
	s_delay_alu instid0(VALU_DEP_3) | instskip(NEXT) | instid1(VALU_DEP_3)
	v_sub_nc_u32_e32 v5, v5, v10
	v_lshrrev_b32_e32 v2, s55, v2
	s_delay_alu instid0(VALU_DEP_2) | instskip(SKIP_2) | instid1(VALU_DEP_4)
	v_mul_lo_u32 v10, v5, s48
	v_mul_lo_u32 v5, v5, s49
	v_sub_nc_u32_e32 v3, v3, v8
	v_mul_lo_u32 v11, v2, s53
	s_delay_alu instid0(VALU_DEP_2) | instskip(SKIP_1) | instid1(VALU_DEP_3)
	v_mul_lo_u32 v8, v3, s46
	v_mul_lo_u32 v3, v3, s47
	v_sub_nc_u32_e32 v6, v6, v11
	s_delay_alu instid0(VALU_DEP_3) | instskip(NEXT) | instid1(VALU_DEP_2)
	v_add3_u32 v0, v7, v0, v8
	v_mul_lo_u32 v11, v6, s50
	v_mul_lo_u32 v6, v6, s51
	v_add3_u32 v1, v9, v1, v3
	s_delay_alu instid0(VALU_DEP_3) | instskip(NEXT) | instid1(VALU_DEP_2)
	v_add3_u32 v0, v10, v0, v11
	v_add3_u32 v1, v5, v1, v6
	s_cbranch_scc0 .LBB199_19
	s_branch .LBB199_85
.LBB199_20:
	s_mov_b32 s6, -1
                                        ; implicit-def: $vgpr0
                                        ; implicit-def: $vgpr1
	s_branch .LBB199_26
.LBB199_21:
	s_mov_b32 s31, -1
                                        ; implicit-def: $vgpr0
                                        ; implicit-def: $vgpr1
	s_branch .LBB199_73
.LBB199_22:
	s_mov_b32 s31, -1
                                        ; implicit-def: $vgpr0
                                        ; implicit-def: $vgpr1
	s_branch .LBB199_88
.LBB199_23:
	v_dual_mov_b32 v2, v4 :: v_dual_mov_b32 v1, 0
	s_and_b32 s7, s7, 3
	s_delay_alu instid0(SALU_CYCLE_1)
	s_cmp_eq_u32 s7, 0
	s_cbranch_scc1 .LBB199_26
.LBB199_24:
	s_lshl_b32 s2, s8, 3
	s_mul_i32 s4, s8, 12
	s_add_u32 s2, s2, s0
	s_addc_u32 s3, 0, s1
	s_add_u32 s2, s2, 0xc4
	s_addc_u32 s3, s3, 0
	;; [unrolled: 2-line block ×3, first 2 shown]
	.p2align	6
.LBB199_25:                             ; =>This Inner Loop Header: Depth=1
	s_clause 0x1
	s_load_b64 s[8:9], s[4:5], 0x4
	s_load_b32 s12, s[4:5], 0xc
	s_load_b64 s[10:11], s[2:3], 0x0
	s_add_u32 s4, s4, 12
	s_addc_u32 s5, s5, 0
	s_add_u32 s2, s2, 8
	s_addc_u32 s3, s3, 0
	s_add_i32 s7, s7, -1
	s_delay_alu instid0(SALU_CYCLE_1) | instskip(SKIP_2) | instid1(VALU_DEP_1)
	s_cmp_lg_u32 s7, 0
	s_waitcnt lgkmcnt(0)
	v_mul_hi_u32 v3, s9, v2
	v_add_nc_u32_e32 v3, v2, v3
	s_delay_alu instid0(VALU_DEP_1) | instskip(NEXT) | instid1(VALU_DEP_1)
	v_lshrrev_b32_e32 v3, s12, v3
	v_mul_lo_u32 v5, v3, s8
	s_delay_alu instid0(VALU_DEP_1) | instskip(NEXT) | instid1(VALU_DEP_1)
	v_sub_nc_u32_e32 v2, v2, v5
	v_mad_u64_u32 v[9:10], null, v2, s10, v[0:1]
	v_mad_u64_u32 v[10:11], null, v2, s11, v[1:2]
	v_mov_b32_e32 v2, v3
	s_delay_alu instid0(VALU_DEP_2)
	v_dual_mov_b32 v0, v9 :: v_dual_mov_b32 v1, v10
	s_cbranch_scc1 .LBB199_25
.LBB199_26:
	s_and_not1_b32 vcc_lo, exec_lo, s6
	s_cbranch_vccnz .LBB199_29
; %bb.27:
	s_clause 0x1
	s_load_b128 s[4:7], s[0:1], 0x4
	s_load_b64 s[2:3], s[0:1], 0xc4
	s_cmp_lt_u32 s22, 2
	s_waitcnt lgkmcnt(0)
	v_mul_hi_u32 v0, s5, v4
	s_delay_alu instid0(VALU_DEP_1) | instskip(NEXT) | instid1(VALU_DEP_1)
	v_add_nc_u32_e32 v0, v4, v0
	v_lshrrev_b32_e32 v2, s6, v0
	s_delay_alu instid0(VALU_DEP_1) | instskip(NEXT) | instid1(VALU_DEP_1)
	v_mul_lo_u32 v0, v2, s4
	v_sub_nc_u32_e32 v1, v4, v0
	s_delay_alu instid0(VALU_DEP_1)
	v_mul_lo_u32 v0, v1, s2
	v_mul_lo_u32 v1, v1, s3
	s_cbranch_scc1 .LBB199_29
; %bb.28:
	s_clause 0x1
	s_load_b128 s[4:7], s[0:1], 0x10
	s_load_b64 s[2:3], s[0:1], 0xcc
	s_waitcnt lgkmcnt(0)
	v_mul_hi_u32 v3, s5, v2
	s_delay_alu instid0(VALU_DEP_1) | instskip(NEXT) | instid1(VALU_DEP_1)
	v_add_nc_u32_e32 v3, v2, v3
	v_lshrrev_b32_e32 v3, s6, v3
	s_delay_alu instid0(VALU_DEP_1) | instskip(NEXT) | instid1(VALU_DEP_1)
	v_mul_lo_u32 v3, v3, s4
	v_sub_nc_u32_e32 v5, v2, v3
	s_delay_alu instid0(VALU_DEP_1) | instskip(NEXT) | instid1(VALU_DEP_1)
	v_mad_u64_u32 v[2:3], null, v5, s2, v[0:1]
	v_mad_u64_u32 v[9:10], null, v5, s3, v[1:2]
	s_delay_alu instid0(VALU_DEP_1)
	v_dual_mov_b32 v0, v2 :: v_dual_mov_b32 v1, v9
.LBB199_29:
	v_cmp_ne_u32_e32 vcc_lo, 1, v6
	v_add_nc_u32_e32 v5, 0x80, v4
	s_cbranch_vccnz .LBB199_35
; %bb.30:
	v_dual_mov_b32 v2, 0 :: v_dual_mov_b32 v3, 0
	s_cmp_lg_u32 s22, 0
	s_mov_b32 s6, 0
	s_cbranch_scc0 .LBB199_39
; %bb.31:
	s_min_u32 s7, s23, 15
	v_mov_b32_e32 v2, 0
	s_add_i32 s7, s7, 1
	s_cmp_eq_u32 s23, 2
	s_mov_b32 s8, 0
	s_cbranch_scc1 .LBB199_36
; %bb.32:
	v_dual_mov_b32 v3, 0 :: v_dual_mov_b32 v2, 0
	v_mov_b32_e32 v7, v5
	s_add_u32 s2, s0, 0xc4
	s_addc_u32 s3, s1, 0
	s_and_b32 s8, s7, 28
	s_mov_b32 s9, 0
	s_mov_b64 s[4:5], s[0:1]
.LBB199_33:                             ; =>This Inner Loop Header: Depth=1
	s_clause 0x1
	s_load_b256 s[12:19], s[4:5], 0x4
	s_load_b128 s[36:39], s[4:5], 0x24
	s_load_b256 s[24:31], s[2:3], 0x0
	s_add_u32 s4, s4, 48
	s_addc_u32 s5, s5, 0
	s_add_i32 s9, s9, 4
	s_add_u32 s2, s2, 32
	s_addc_u32 s3, s3, 0
	s_cmp_lg_u32 s8, s9
	s_waitcnt lgkmcnt(0)
	v_mul_hi_u32 v9, s13, v7
	s_delay_alu instid0(VALU_DEP_1) | instskip(NEXT) | instid1(VALU_DEP_1)
	v_add_nc_u32_e32 v9, v7, v9
	v_lshrrev_b32_e32 v9, s14, v9
	s_delay_alu instid0(VALU_DEP_1) | instskip(SKIP_1) | instid1(VALU_DEP_2)
	v_mul_hi_u32 v10, s16, v9
	v_mul_lo_u32 v12, v9, s12
	v_add_nc_u32_e32 v10, v9, v10
	s_delay_alu instid0(VALU_DEP_2) | instskip(NEXT) | instid1(VALU_DEP_2)
	v_sub_nc_u32_e32 v7, v7, v12
	v_lshrrev_b32_e32 v10, s17, v10
	s_delay_alu instid0(VALU_DEP_2) | instskip(SKIP_1) | instid1(VALU_DEP_3)
	v_mul_lo_u32 v12, v7, s24
	v_mul_lo_u32 v14, v7, s25
	v_mul_hi_u32 v11, s19, v10
	s_delay_alu instid0(VALU_DEP_1) | instskip(NEXT) | instid1(VALU_DEP_1)
	v_add_nc_u32_e32 v11, v10, v11
	v_lshrrev_b32_e32 v11, s36, v11
	s_delay_alu instid0(VALU_DEP_1) | instskip(SKIP_1) | instid1(VALU_DEP_2)
	v_mul_hi_u32 v13, s38, v11
	v_mul_lo_u32 v15, v11, s18
	v_add_nc_u32_e32 v7, v11, v13
	v_mul_lo_u32 v13, v10, s15
	s_delay_alu instid0(VALU_DEP_3) | instskip(NEXT) | instid1(VALU_DEP_3)
	v_sub_nc_u32_e32 v10, v10, v15
	v_lshrrev_b32_e32 v7, s39, v7
	s_delay_alu instid0(VALU_DEP_2) | instskip(SKIP_2) | instid1(VALU_DEP_4)
	v_mul_lo_u32 v15, v10, s28
	v_mul_lo_u32 v10, v10, s29
	v_sub_nc_u32_e32 v9, v9, v13
	v_mul_lo_u32 v16, v7, s37
	s_delay_alu instid0(VALU_DEP_2) | instskip(SKIP_1) | instid1(VALU_DEP_3)
	v_mul_lo_u32 v13, v9, s26
	v_mul_lo_u32 v9, v9, s27
	v_sub_nc_u32_e32 v11, v11, v16
	s_delay_alu instid0(VALU_DEP_3) | instskip(NEXT) | instid1(VALU_DEP_2)
	v_add3_u32 v2, v12, v2, v13
	v_mul_lo_u32 v16, v11, s30
	v_mul_lo_u32 v11, v11, s31
	v_add3_u32 v3, v14, v3, v9
	s_delay_alu instid0(VALU_DEP_3) | instskip(NEXT) | instid1(VALU_DEP_2)
	v_add3_u32 v2, v15, v2, v16
	v_add3_u32 v3, v10, v3, v11
	s_cbranch_scc1 .LBB199_33
; %bb.34:
	s_and_b32 s7, s7, 3
	s_delay_alu instid0(SALU_CYCLE_1)
	s_cmp_eq_u32 s7, 0
	s_cbranch_scc0 .LBB199_37
	s_branch .LBB199_39
.LBB199_35:
	s_mov_b32 s6, -1
                                        ; implicit-def: $vgpr2
                                        ; implicit-def: $vgpr3
	s_branch .LBB199_39
.LBB199_36:
	v_mov_b32_e32 v7, v5
	v_mov_b32_e32 v3, 0
	s_and_b32 s7, s7, 3
	s_delay_alu instid0(SALU_CYCLE_1)
	s_cmp_eq_u32 s7, 0
	s_cbranch_scc1 .LBB199_39
.LBB199_37:
	s_lshl_b32 s2, s8, 3
	s_mul_i32 s4, s8, 12
	s_add_u32 s2, s2, s0
	s_addc_u32 s3, 0, s1
	s_add_u32 s2, s2, 0xc4
	s_addc_u32 s3, s3, 0
	;; [unrolled: 2-line block ×3, first 2 shown]
	.p2align	6
.LBB199_38:                             ; =>This Inner Loop Header: Depth=1
	s_clause 0x1
	s_load_b64 s[8:9], s[4:5], 0x4
	s_load_b32 s12, s[4:5], 0xc
	s_load_b64 s[10:11], s[2:3], 0x0
	s_add_u32 s4, s4, 12
	s_addc_u32 s5, s5, 0
	s_add_u32 s2, s2, 8
	s_addc_u32 s3, s3, 0
	s_add_i32 s7, s7, -1
	s_delay_alu instid0(SALU_CYCLE_1) | instskip(SKIP_2) | instid1(VALU_DEP_1)
	s_cmp_lg_u32 s7, 0
	s_waitcnt lgkmcnt(0)
	v_mul_hi_u32 v9, s9, v7
	v_add_nc_u32_e32 v9, v7, v9
	s_delay_alu instid0(VALU_DEP_1) | instskip(NEXT) | instid1(VALU_DEP_1)
	v_lshrrev_b32_e32 v12, s12, v9
	v_mul_lo_u32 v9, v12, s8
	s_delay_alu instid0(VALU_DEP_1) | instskip(NEXT) | instid1(VALU_DEP_1)
	v_sub_nc_u32_e32 v7, v7, v9
	v_mad_u64_u32 v[9:10], null, v7, s10, v[2:3]
	v_mad_u64_u32 v[10:11], null, v7, s11, v[3:4]
	s_delay_alu instid0(VALU_DEP_2) | instskip(NEXT) | instid1(VALU_DEP_2)
	v_dual_mov_b32 v7, v12 :: v_dual_mov_b32 v2, v9
	v_mov_b32_e32 v3, v10
	s_cbranch_scc1 .LBB199_38
.LBB199_39:
	s_and_not1_b32 vcc_lo, exec_lo, s6
	s_cbranch_vccnz .LBB199_42
; %bb.40:
	s_clause 0x1
	s_load_b128 s[4:7], s[0:1], 0x4
	s_load_b64 s[2:3], s[0:1], 0xc4
	s_cmp_lt_u32 s22, 2
	s_waitcnt lgkmcnt(0)
	v_mul_hi_u32 v2, s5, v5
	s_delay_alu instid0(VALU_DEP_1) | instskip(NEXT) | instid1(VALU_DEP_1)
	v_add_nc_u32_e32 v2, v5, v2
	v_lshrrev_b32_e32 v7, s6, v2
	s_delay_alu instid0(VALU_DEP_1) | instskip(NEXT) | instid1(VALU_DEP_1)
	v_mul_lo_u32 v2, v7, s4
	v_sub_nc_u32_e32 v3, v5, v2
	s_delay_alu instid0(VALU_DEP_1)
	v_mul_lo_u32 v2, v3, s2
	v_mul_lo_u32 v3, v3, s3
	s_cbranch_scc1 .LBB199_42
; %bb.41:
	s_clause 0x1
	s_load_b128 s[4:7], s[0:1], 0x10
	s_load_b64 s[2:3], s[0:1], 0xcc
	s_waitcnt lgkmcnt(0)
	v_mul_hi_u32 v5, s5, v7
	s_delay_alu instid0(VALU_DEP_1) | instskip(NEXT) | instid1(VALU_DEP_1)
	v_add_nc_u32_e32 v5, v7, v5
	v_lshrrev_b32_e32 v5, s6, v5
	s_delay_alu instid0(VALU_DEP_1) | instskip(NEXT) | instid1(VALU_DEP_1)
	v_mul_lo_u32 v5, v5, s4
	v_sub_nc_u32_e32 v5, v7, v5
	s_delay_alu instid0(VALU_DEP_1) | instskip(SKIP_1) | instid1(VALU_DEP_1)
	v_mad_u64_u32 v[9:10], null, v5, s2, v[2:3]
	v_mad_u64_u32 v[10:11], null, v5, s3, v[3:4]
	v_dual_mov_b32 v2, v9 :: v_dual_mov_b32 v3, v10
.LBB199_42:
	v_cmp_ne_u32_e32 vcc_lo, 1, v6
	v_add_nc_u32_e32 v7, 0x100, v4
	s_cbranch_vccnz .LBB199_48
; %bb.43:
	v_dual_mov_b32 v4, 0 :: v_dual_mov_b32 v5, 0
	s_cmp_lg_u32 s22, 0
	s_mov_b32 s6, 0
	s_cbranch_scc0 .LBB199_52
; %bb.44:
	s_min_u32 s7, s23, 15
	v_mov_b32_e32 v4, 0
	s_add_i32 s7, s7, 1
	s_cmp_eq_u32 s23, 2
	s_mov_b32 s8, 0
	s_cbranch_scc1 .LBB199_49
; %bb.45:
	v_dual_mov_b32 v5, 0 :: v_dual_mov_b32 v4, 0
	v_mov_b32_e32 v9, v7
	s_add_u32 s2, s0, 0xc4
	s_addc_u32 s3, s1, 0
	s_and_b32 s8, s7, 28
	s_mov_b32 s9, 0
	s_mov_b64 s[4:5], s[0:1]
.LBB199_46:                             ; =>This Inner Loop Header: Depth=1
	s_clause 0x1
	s_load_b256 s[12:19], s[4:5], 0x4
	s_load_b128 s[36:39], s[4:5], 0x24
	s_load_b256 s[24:31], s[2:3], 0x0
	s_add_u32 s4, s4, 48
	s_addc_u32 s5, s5, 0
	s_add_i32 s9, s9, 4
	s_add_u32 s2, s2, 32
	s_addc_u32 s3, s3, 0
	s_cmp_lg_u32 s8, s9
	s_waitcnt lgkmcnt(0)
	v_mul_hi_u32 v10, s13, v9
	s_delay_alu instid0(VALU_DEP_1) | instskip(NEXT) | instid1(VALU_DEP_1)
	v_add_nc_u32_e32 v10, v9, v10
	v_lshrrev_b32_e32 v10, s14, v10
	s_delay_alu instid0(VALU_DEP_1) | instskip(SKIP_1) | instid1(VALU_DEP_2)
	v_mul_hi_u32 v11, s16, v10
	v_mul_lo_u32 v13, v10, s12
	v_add_nc_u32_e32 v11, v10, v11
	s_delay_alu instid0(VALU_DEP_2) | instskip(NEXT) | instid1(VALU_DEP_2)
	v_sub_nc_u32_e32 v9, v9, v13
	v_lshrrev_b32_e32 v11, s17, v11
	s_delay_alu instid0(VALU_DEP_2) | instskip(SKIP_1) | instid1(VALU_DEP_3)
	v_mul_lo_u32 v13, v9, s24
	v_mul_lo_u32 v15, v9, s25
	v_mul_hi_u32 v12, s19, v11
	s_delay_alu instid0(VALU_DEP_1) | instskip(NEXT) | instid1(VALU_DEP_1)
	v_add_nc_u32_e32 v12, v11, v12
	v_lshrrev_b32_e32 v12, s36, v12
	s_delay_alu instid0(VALU_DEP_1) | instskip(SKIP_1) | instid1(VALU_DEP_2)
	v_mul_hi_u32 v14, s38, v12
	v_mul_lo_u32 v16, v12, s18
	v_add_nc_u32_e32 v9, v12, v14
	v_mul_lo_u32 v14, v11, s15
	s_delay_alu instid0(VALU_DEP_3) | instskip(NEXT) | instid1(VALU_DEP_3)
	v_sub_nc_u32_e32 v11, v11, v16
	v_lshrrev_b32_e32 v9, s39, v9
	s_delay_alu instid0(VALU_DEP_2) | instskip(SKIP_2) | instid1(VALU_DEP_4)
	v_mul_lo_u32 v16, v11, s28
	v_mul_lo_u32 v11, v11, s29
	v_sub_nc_u32_e32 v10, v10, v14
	v_mul_lo_u32 v17, v9, s37
	s_delay_alu instid0(VALU_DEP_2) | instskip(SKIP_1) | instid1(VALU_DEP_3)
	v_mul_lo_u32 v14, v10, s26
	v_mul_lo_u32 v10, v10, s27
	v_sub_nc_u32_e32 v12, v12, v17
	s_delay_alu instid0(VALU_DEP_3) | instskip(NEXT) | instid1(VALU_DEP_2)
	v_add3_u32 v4, v13, v4, v14
	v_mul_lo_u32 v17, v12, s30
	v_mul_lo_u32 v12, v12, s31
	v_add3_u32 v5, v15, v5, v10
	s_delay_alu instid0(VALU_DEP_3) | instskip(NEXT) | instid1(VALU_DEP_2)
	v_add3_u32 v4, v16, v4, v17
	v_add3_u32 v5, v11, v5, v12
	s_cbranch_scc1 .LBB199_46
; %bb.47:
	s_and_b32 s7, s7, 3
	s_delay_alu instid0(SALU_CYCLE_1)
	s_cmp_eq_u32 s7, 0
	s_cbranch_scc0 .LBB199_50
	s_branch .LBB199_52
.LBB199_48:
	s_mov_b32 s6, -1
                                        ; implicit-def: $vgpr4
                                        ; implicit-def: $vgpr5
	s_branch .LBB199_52
.LBB199_49:
	v_mov_b32_e32 v9, v7
	v_mov_b32_e32 v5, 0
	s_and_b32 s7, s7, 3
	s_delay_alu instid0(SALU_CYCLE_1)
	s_cmp_eq_u32 s7, 0
	s_cbranch_scc1 .LBB199_52
.LBB199_50:
	s_lshl_b32 s2, s8, 3
	s_mul_i32 s4, s8, 12
	s_add_u32 s2, s2, s0
	s_addc_u32 s3, 0, s1
	s_add_u32 s2, s2, 0xc4
	s_addc_u32 s3, s3, 0
	;; [unrolled: 2-line block ×3, first 2 shown]
	.p2align	6
.LBB199_51:                             ; =>This Inner Loop Header: Depth=1
	s_clause 0x1
	s_load_b64 s[8:9], s[4:5], 0x4
	s_load_b32 s12, s[4:5], 0xc
	s_load_b64 s[10:11], s[2:3], 0x0
	s_add_u32 s4, s4, 12
	s_addc_u32 s5, s5, 0
	s_add_u32 s2, s2, 8
	s_addc_u32 s3, s3, 0
	s_add_i32 s7, s7, -1
	s_delay_alu instid0(SALU_CYCLE_1) | instskip(SKIP_2) | instid1(VALU_DEP_1)
	s_cmp_lg_u32 s7, 0
	s_waitcnt lgkmcnt(0)
	v_mul_hi_u32 v10, s9, v9
	v_add_nc_u32_e32 v10, v9, v10
	s_delay_alu instid0(VALU_DEP_1) | instskip(NEXT) | instid1(VALU_DEP_1)
	v_lshrrev_b32_e32 v13, s12, v10
	v_mul_lo_u32 v10, v13, s8
	s_delay_alu instid0(VALU_DEP_1) | instskip(NEXT) | instid1(VALU_DEP_1)
	v_sub_nc_u32_e32 v9, v9, v10
	v_mad_u64_u32 v[10:11], null, v9, s10, v[4:5]
	v_mad_u64_u32 v[11:12], null, v9, s11, v[5:6]
	s_delay_alu instid0(VALU_DEP_2) | instskip(NEXT) | instid1(VALU_DEP_2)
	v_dual_mov_b32 v9, v13 :: v_dual_mov_b32 v4, v10
	v_mov_b32_e32 v5, v11
	s_cbranch_scc1 .LBB199_51
.LBB199_52:
	s_and_not1_b32 vcc_lo, exec_lo, s6
	s_cbranch_vccnz .LBB199_55
; %bb.53:
	s_clause 0x1
	s_load_b128 s[4:7], s[0:1], 0x4
	s_load_b64 s[2:3], s[0:1], 0xc4
	s_cmp_lt_u32 s22, 2
	s_waitcnt lgkmcnt(0)
	v_mul_hi_u32 v4, s5, v7
	s_delay_alu instid0(VALU_DEP_1) | instskip(NEXT) | instid1(VALU_DEP_1)
	v_add_nc_u32_e32 v4, v7, v4
	v_lshrrev_b32_e32 v9, s6, v4
	s_delay_alu instid0(VALU_DEP_1) | instskip(NEXT) | instid1(VALU_DEP_1)
	v_mul_lo_u32 v4, v9, s4
	v_sub_nc_u32_e32 v5, v7, v4
	s_delay_alu instid0(VALU_DEP_1)
	v_mul_lo_u32 v4, v5, s2
	v_mul_lo_u32 v5, v5, s3
	s_cbranch_scc1 .LBB199_55
; %bb.54:
	s_clause 0x1
	s_load_b128 s[4:7], s[0:1], 0x10
	s_load_b64 s[2:3], s[0:1], 0xcc
	s_waitcnt lgkmcnt(0)
	v_mul_hi_u32 v7, s5, v9
	s_delay_alu instid0(VALU_DEP_1) | instskip(NEXT) | instid1(VALU_DEP_1)
	v_add_nc_u32_e32 v7, v9, v7
	v_lshrrev_b32_e32 v7, s6, v7
	s_delay_alu instid0(VALU_DEP_1) | instskip(NEXT) | instid1(VALU_DEP_1)
	v_mul_lo_u32 v7, v7, s4
	v_sub_nc_u32_e32 v7, v9, v7
	s_delay_alu instid0(VALU_DEP_1) | instskip(SKIP_1) | instid1(VALU_DEP_1)
	v_mad_u64_u32 v[9:10], null, v7, s2, v[4:5]
	v_mad_u64_u32 v[10:11], null, v7, s3, v[5:6]
	v_dual_mov_b32 v4, v9 :: v_dual_mov_b32 v5, v10
.LBB199_55:
	v_cmp_ne_u32_e32 vcc_lo, 1, v6
	s_cbranch_vccnz .LBB199_61
; %bb.56:
	v_dual_mov_b32 v6, 0 :: v_dual_mov_b32 v7, 0
	s_cmp_lg_u32 s22, 0
	s_mov_b32 s6, 0
	s_cbranch_scc0 .LBB199_65
; %bb.57:
	s_min_u32 s7, s23, 15
	v_mov_b32_e32 v6, 0
	s_add_i32 s7, s7, 1
	s_cmp_eq_u32 s23, 2
	s_mov_b32 s8, 0
	s_cbranch_scc1 .LBB199_62
; %bb.58:
	v_dual_mov_b32 v7, 0 :: v_dual_mov_b32 v6, 0
	v_mov_b32_e32 v9, v8
	s_add_u32 s2, s0, 0xc4
	s_addc_u32 s3, s1, 0
	s_and_b32 s8, s7, 28
	s_mov_b32 s9, 0
	s_mov_b64 s[4:5], s[0:1]
.LBB199_59:                             ; =>This Inner Loop Header: Depth=1
	s_clause 0x1
	s_load_b256 s[12:19], s[4:5], 0x4
	s_load_b128 s[36:39], s[4:5], 0x24
	s_load_b256 s[24:31], s[2:3], 0x0
	s_add_u32 s4, s4, 48
	s_addc_u32 s5, s5, 0
	s_add_i32 s9, s9, 4
	s_add_u32 s2, s2, 32
	s_addc_u32 s3, s3, 0
	s_cmp_lg_u32 s8, s9
	s_waitcnt lgkmcnt(0)
	v_mul_hi_u32 v10, s13, v9
	s_delay_alu instid0(VALU_DEP_1) | instskip(NEXT) | instid1(VALU_DEP_1)
	v_add_nc_u32_e32 v10, v9, v10
	v_lshrrev_b32_e32 v10, s14, v10
	s_delay_alu instid0(VALU_DEP_1) | instskip(SKIP_1) | instid1(VALU_DEP_2)
	v_mul_hi_u32 v11, s16, v10
	v_mul_lo_u32 v13, v10, s12
	v_add_nc_u32_e32 v11, v10, v11
	s_delay_alu instid0(VALU_DEP_2) | instskip(NEXT) | instid1(VALU_DEP_2)
	v_sub_nc_u32_e32 v9, v9, v13
	v_lshrrev_b32_e32 v11, s17, v11
	s_delay_alu instid0(VALU_DEP_2) | instskip(SKIP_1) | instid1(VALU_DEP_3)
	v_mul_lo_u32 v13, v9, s24
	v_mul_lo_u32 v15, v9, s25
	v_mul_hi_u32 v12, s19, v11
	s_delay_alu instid0(VALU_DEP_1) | instskip(NEXT) | instid1(VALU_DEP_1)
	v_add_nc_u32_e32 v12, v11, v12
	v_lshrrev_b32_e32 v12, s36, v12
	s_delay_alu instid0(VALU_DEP_1) | instskip(SKIP_1) | instid1(VALU_DEP_2)
	v_mul_hi_u32 v14, s38, v12
	v_mul_lo_u32 v16, v12, s18
	v_add_nc_u32_e32 v9, v12, v14
	v_mul_lo_u32 v14, v11, s15
	s_delay_alu instid0(VALU_DEP_3) | instskip(NEXT) | instid1(VALU_DEP_3)
	v_sub_nc_u32_e32 v11, v11, v16
	v_lshrrev_b32_e32 v9, s39, v9
	s_delay_alu instid0(VALU_DEP_2) | instskip(SKIP_2) | instid1(VALU_DEP_4)
	v_mul_lo_u32 v16, v11, s28
	v_mul_lo_u32 v11, v11, s29
	v_sub_nc_u32_e32 v10, v10, v14
	v_mul_lo_u32 v17, v9, s37
	s_delay_alu instid0(VALU_DEP_2) | instskip(SKIP_1) | instid1(VALU_DEP_3)
	v_mul_lo_u32 v14, v10, s26
	v_mul_lo_u32 v10, v10, s27
	v_sub_nc_u32_e32 v12, v12, v17
	s_delay_alu instid0(VALU_DEP_3) | instskip(NEXT) | instid1(VALU_DEP_2)
	v_add3_u32 v6, v13, v6, v14
	v_mul_lo_u32 v17, v12, s30
	v_mul_lo_u32 v12, v12, s31
	v_add3_u32 v7, v15, v7, v10
	s_delay_alu instid0(VALU_DEP_3) | instskip(NEXT) | instid1(VALU_DEP_2)
	v_add3_u32 v6, v16, v6, v17
	v_add3_u32 v7, v11, v7, v12
	s_cbranch_scc1 .LBB199_59
; %bb.60:
	s_and_b32 s7, s7, 3
	s_delay_alu instid0(SALU_CYCLE_1)
	s_cmp_eq_u32 s7, 0
	s_cbranch_scc0 .LBB199_63
	s_branch .LBB199_65
.LBB199_61:
	s_mov_b32 s6, -1
                                        ; implicit-def: $vgpr6
                                        ; implicit-def: $vgpr7
	s_branch .LBB199_65
.LBB199_62:
	v_mov_b32_e32 v9, v8
	v_mov_b32_e32 v7, 0
	s_and_b32 s7, s7, 3
	s_delay_alu instid0(SALU_CYCLE_1)
	s_cmp_eq_u32 s7, 0
	s_cbranch_scc1 .LBB199_65
.LBB199_63:
	s_lshl_b32 s2, s8, 3
	s_mul_i32 s4, s8, 12
	s_add_u32 s2, s2, s0
	s_addc_u32 s3, 0, s1
	s_add_u32 s2, s2, 0xc4
	s_addc_u32 s3, s3, 0
	;; [unrolled: 2-line block ×3, first 2 shown]
	.p2align	6
.LBB199_64:                             ; =>This Inner Loop Header: Depth=1
	s_clause 0x1
	s_load_b64 s[8:9], s[4:5], 0x4
	s_load_b32 s12, s[4:5], 0xc
	s_load_b64 s[10:11], s[2:3], 0x0
	s_add_u32 s4, s4, 12
	s_addc_u32 s5, s5, 0
	s_add_u32 s2, s2, 8
	s_addc_u32 s3, s3, 0
	s_add_i32 s7, s7, -1
	s_delay_alu instid0(SALU_CYCLE_1) | instskip(SKIP_2) | instid1(VALU_DEP_1)
	s_cmp_lg_u32 s7, 0
	s_waitcnt lgkmcnt(0)
	v_mul_hi_u32 v10, s9, v9
	v_add_nc_u32_e32 v10, v9, v10
	s_delay_alu instid0(VALU_DEP_1) | instskip(NEXT) | instid1(VALU_DEP_1)
	v_lshrrev_b32_e32 v13, s12, v10
	v_mul_lo_u32 v10, v13, s8
	s_delay_alu instid0(VALU_DEP_1) | instskip(NEXT) | instid1(VALU_DEP_1)
	v_sub_nc_u32_e32 v9, v9, v10
	v_mad_u64_u32 v[10:11], null, v9, s10, v[6:7]
	v_mad_u64_u32 v[11:12], null, v9, s11, v[7:8]
	s_delay_alu instid0(VALU_DEP_2) | instskip(NEXT) | instid1(VALU_DEP_2)
	v_dual_mov_b32 v9, v13 :: v_dual_mov_b32 v6, v10
	v_mov_b32_e32 v7, v11
	s_cbranch_scc1 .LBB199_64
.LBB199_65:
	s_and_not1_b32 vcc_lo, exec_lo, s6
	s_cbranch_vccnz .LBB199_68
; %bb.66:
	s_clause 0x1
	s_load_b128 s[4:7], s[0:1], 0x4
	s_load_b64 s[2:3], s[0:1], 0xc4
	s_cmp_lt_u32 s22, 2
	s_waitcnt lgkmcnt(0)
	v_mul_hi_u32 v6, s5, v8
	s_delay_alu instid0(VALU_DEP_1) | instskip(NEXT) | instid1(VALU_DEP_1)
	v_add_nc_u32_e32 v6, v8, v6
	v_lshrrev_b32_e32 v9, s6, v6
	s_delay_alu instid0(VALU_DEP_1) | instskip(NEXT) | instid1(VALU_DEP_1)
	v_mul_lo_u32 v6, v9, s4
	v_sub_nc_u32_e32 v7, v8, v6
	s_delay_alu instid0(VALU_DEP_1)
	v_mul_lo_u32 v6, v7, s2
	v_mul_lo_u32 v7, v7, s3
	s_cbranch_scc1 .LBB199_68
; %bb.67:
	s_clause 0x1
	s_load_b128 s[4:7], s[0:1], 0x10
	s_load_b64 s[2:3], s[0:1], 0xcc
	s_waitcnt lgkmcnt(0)
	v_mul_hi_u32 v8, s5, v9
	s_delay_alu instid0(VALU_DEP_1) | instskip(NEXT) | instid1(VALU_DEP_1)
	v_add_nc_u32_e32 v8, v9, v8
	v_lshrrev_b32_e32 v8, s6, v8
	s_delay_alu instid0(VALU_DEP_1) | instskip(NEXT) | instid1(VALU_DEP_1)
	v_mul_lo_u32 v8, v8, s4
	v_sub_nc_u32_e32 v11, v9, v8
	s_delay_alu instid0(VALU_DEP_1) | instskip(NEXT) | instid1(VALU_DEP_1)
	v_mad_u64_u32 v[8:9], null, v11, s2, v[6:7]
	v_mad_u64_u32 v[9:10], null, v11, s3, v[7:8]
	s_delay_alu instid0(VALU_DEP_1)
	v_dual_mov_b32 v6, v8 :: v_dual_mov_b32 v7, v9
.LBB199_68:
	s_load_b128 s[4:7], s[0:1], 0x148
	s_waitcnt lgkmcnt(0)
	s_clause 0x3
	global_load_b32 v1, v1, s[6:7]
	global_load_b32 v3, v3, s[6:7]
	;; [unrolled: 1-line block ×4, first 2 shown]
	s_waitcnt vmcnt(3)
	v_cvt_f64_f32_e32 v[7:8], v1
	s_waitcnt vmcnt(2)
	v_cvt_f64_f32_e32 v[9:10], v3
	;; [unrolled: 2-line block ×4, first 2 shown]
	s_delay_alu instid0(VALU_DEP_4) | instskip(NEXT) | instid1(VALU_DEP_3)
	v_rsq_f64_e32 v[15:16], v[7:8]
	v_rsq_f64_e32 v[17:18], v[9:10]
	s_delay_alu instid0(VALU_DEP_2) | instskip(NEXT) | instid1(VALU_DEP_1)
	v_rsq_f64_e32 v[19:20], v[11:12]
	v_rsq_f64_e32 v[21:22], v[13:14]
	v_mul_f64 v[7:8], v[15:16], -v[7:8]
	s_delay_alu instid0(TRANS32_DEP_3)
	v_mul_f64 v[9:10], v[17:18], -v[9:10]
	s_waitcnt_depctr 0xfff
	v_mul_f64 v[11:12], v[19:20], -v[11:12]
	v_mul_f64 v[13:14], v[21:22], -v[13:14]
	v_cmp_class_f64_e64 vcc_lo, v[15:16], 0x180
	v_cmp_class_f64_e64 s0, v[17:18], 0x180
	v_cmp_class_f64_e64 s1, v[19:20], 0x180
	;; [unrolled: 1-line block ×3, first 2 shown]
	v_fma_f64 v[7:8], v[7:8], v[15:16], 1.0
	v_fma_f64 v[9:10], v[9:10], v[17:18], 1.0
	;; [unrolled: 1-line block ×4, first 2 shown]
	s_delay_alu instid0(VALU_DEP_4)
	v_mul_f64 v[23:24], v[15:16], v[7:8]
	v_fma_f64 v[7:8], 0x3fd80000, v[7:8], 0.5
	v_mul_f64 v[25:26], v[17:18], v[9:10]
	v_fma_f64 v[9:10], 0x3fd80000, v[9:10], 0.5
	;; [unrolled: 2-line block ×4, first 2 shown]
	v_fma_f64 v[7:8], v[23:24], v[7:8], v[15:16]
	v_fma_f64 v[9:10], v[25:26], v[9:10], v[17:18]
	;; [unrolled: 1-line block ×3, first 2 shown]
	s_delay_alu instid0(VALU_DEP_4) | instskip(NEXT) | instid1(VALU_DEP_4)
	v_fma_f64 v[13:14], v[29:30], v[13:14], v[21:22]
	v_dual_cndmask_b32 v8, v16, v8 :: v_dual_cndmask_b32 v7, v15, v7
	s_delay_alu instid0(VALU_DEP_4)
	v_cndmask_b32_e64 v10, v18, v10, s0
	v_cndmask_b32_e64 v9, v17, v9, s0
	;; [unrolled: 1-line block ×6, first 2 shown]
	v_cvt_f32_f64_e32 v1, v[7:8]
	v_cvt_f32_f64_e32 v3, v[9:10]
	;; [unrolled: 1-line block ×3, first 2 shown]
	s_delay_alu instid0(VALU_DEP_4)
	v_cvt_f32_f64_e32 v7, v[13:14]
	s_clause 0x3
	global_store_b32 v0, v1, s[4:5]
	global_store_b32 v2, v3, s[4:5]
	;; [unrolled: 1-line block ×4, first 2 shown]
	s_nop 0
	s_sendmsg sendmsg(MSG_DEALLOC_VGPRS)
	s_endpgm
.LBB199_69:
	v_dual_mov_b32 v2, v4 :: v_dual_mov_b32 v1, 0
.LBB199_70:
	s_and_b32 s34, s34, 3
	s_delay_alu instid0(SALU_CYCLE_1)
	s_cmp_eq_u32 s34, 0
	s_cbranch_scc1 .LBB199_73
; %bb.71:
	s_lshl_b32 s18, s33, 3
	s_mul_i32 s20, s33, 12
	s_add_u32 s18, s18, s0
	s_addc_u32 s19, s1, 0
	s_add_u32 s18, s18, 0xc4
	s_addc_u32 s19, s19, 0
	;; [unrolled: 2-line block ×3, first 2 shown]
	.p2align	6
.LBB199_72:                             ; =>This Inner Loop Header: Depth=1
	s_clause 0x1
	s_load_b64 s[36:37], s[20:21], 0x4
	s_load_b32 s33, s[20:21], 0xc
	s_load_b64 s[38:39], s[18:19], 0x0
	s_add_u32 s20, s20, 12
	s_addc_u32 s21, s21, 0
	s_add_u32 s18, s18, 8
	s_addc_u32 s19, s19, 0
	s_add_i32 s34, s34, -1
	s_delay_alu instid0(SALU_CYCLE_1) | instskip(SKIP_2) | instid1(VALU_DEP_1)
	s_cmp_lg_u32 s34, 0
	s_waitcnt lgkmcnt(0)
	v_mul_hi_u32 v3, s37, v2
	v_add_nc_u32_e32 v3, v2, v3
	s_delay_alu instid0(VALU_DEP_1) | instskip(NEXT) | instid1(VALU_DEP_1)
	v_lshrrev_b32_e32 v3, s33, v3
	v_mul_lo_u32 v5, v3, s36
	s_delay_alu instid0(VALU_DEP_1) | instskip(NEXT) | instid1(VALU_DEP_1)
	v_sub_nc_u32_e32 v2, v2, v5
	v_mad_u64_u32 v[5:6], null, v2, s38, v[0:1]
	v_mad_u64_u32 v[6:7], null, v2, s39, v[1:2]
	v_mov_b32_e32 v2, v3
	s_delay_alu instid0(VALU_DEP_2)
	v_dual_mov_b32 v0, v5 :: v_dual_mov_b32 v1, v6
	s_cbranch_scc1 .LBB199_72
.LBB199_73:
	s_and_not1_b32 vcc_lo, exec_lo, s31
	s_cbranch_vccnz .LBB199_76
; %bb.74:
	s_waitcnt lgkmcnt(0)
	v_mul_hi_u32 v0, s13, v4
	s_and_not1_b32 vcc_lo, exec_lo, s26
	s_delay_alu instid0(VALU_DEP_1) | instskip(NEXT) | instid1(VALU_DEP_1)
	v_add_nc_u32_e32 v0, v4, v0
	v_lshrrev_b32_e32 v2, s14, v0
	s_delay_alu instid0(VALU_DEP_1) | instskip(NEXT) | instid1(VALU_DEP_1)
	v_mul_lo_u32 v0, v2, s12
	v_sub_nc_u32_e32 v1, v4, v0
	s_delay_alu instid0(VALU_DEP_1)
	v_mul_lo_u32 v0, v1, s8
	v_mul_lo_u32 v1, v1, s9
	s_cbranch_vccnz .LBB199_76
; %bb.75:
	v_mul_hi_u32 v3, s2, v2
	s_delay_alu instid0(VALU_DEP_1) | instskip(NEXT) | instid1(VALU_DEP_1)
	v_add_nc_u32_e32 v3, v2, v3
	v_lshrrev_b32_e32 v3, s3, v3
	s_delay_alu instid0(VALU_DEP_1) | instskip(NEXT) | instid1(VALU_DEP_1)
	v_mul_lo_u32 v3, v3, s15
	v_sub_nc_u32_e32 v7, v2, v3
	s_delay_alu instid0(VALU_DEP_1) | instskip(NEXT) | instid1(VALU_DEP_1)
	v_mad_u64_u32 v[2:3], null, v7, s10, v[0:1]
	v_mad_u64_u32 v[5:6], null, v7, s11, v[1:2]
	s_delay_alu instid0(VALU_DEP_1)
	v_dual_mov_b32 v0, v2 :: v_dual_mov_b32 v1, v5
.LBB199_76:
	s_waitcnt lgkmcnt(0)
	global_load_b32 v1, v1, s[6:7]
	v_add_nc_u32_e32 v4, 0x80, v4
	s_waitcnt vmcnt(0)
	v_cvt_f64_f32_e32 v[1:2], v1
	s_delay_alu instid0(VALU_DEP_1) | instskip(SKIP_3) | instid1(VALU_DEP_2)
	v_rsq_f64_e32 v[5:6], v[1:2]
	s_waitcnt_depctr 0xfff
	v_mul_f64 v[1:2], v[5:6], -v[1:2]
	v_cmp_class_f64_e64 vcc_lo, v[5:6], 0x180
	v_fma_f64 v[1:2], v[1:2], v[5:6], 1.0
	s_delay_alu instid0(VALU_DEP_1) | instskip(SKIP_1) | instid1(VALU_DEP_1)
	v_mul_f64 v[7:8], v[5:6], v[1:2]
	v_fma_f64 v[1:2], 0x3fd80000, v[1:2], 0.5
	v_fma_f64 v[1:2], v[7:8], v[1:2], v[5:6]
	s_delay_alu instid0(VALU_DEP_1) | instskip(NEXT) | instid1(VALU_DEP_1)
	v_dual_cndmask_b32 v2, v6, v2 :: v_dual_cndmask_b32 v1, v5, v1
	v_cvt_f32_f64_e32 v1, v[1:2]
	global_store_b32 v0, v1, s[4:5]
	s_or_b32 exec_lo, exec_lo, s30
	s_delay_alu instid0(SALU_CYCLE_1)
	s_mov_b32 s30, exec_lo
	v_cmpx_gt_i32_e64 s27, v4
	s_cbranch_execnz .LBB199_15
.LBB199_77:
	s_or_b32 exec_lo, exec_lo, s30
	s_delay_alu instid0(SALU_CYCLE_1)
	s_mov_b32 s30, exec_lo
	v_cmpx_gt_i32_e64 s27, v4
	s_cbranch_execz .LBB199_92
.LBB199_78:
	s_and_not1_b32 vcc_lo, exec_lo, s24
	s_cbranch_vccnz .LBB199_83
; %bb.79:
	v_dual_mov_b32 v0, 0 :: v_dual_mov_b32 v1, 0
	s_and_not1_b32 vcc_lo, exec_lo, s29
	s_mov_b32 s31, 0
	s_cbranch_vccnz .LBB199_99
; %bb.80:
	v_mov_b32_e32 v0, 0
	s_add_i32 s34, s28, 1
	s_cmp_eq_u32 s23, 2
	s_mov_b32 s33, 0
	s_cbranch_scc1 .LBB199_95
; %bb.81:
	v_dual_mov_b32 v1, 0 :: v_dual_mov_b32 v0, 0
	v_mov_b32_e32 v2, v4
	s_and_b32 s33, s34, 28
	s_mov_b32 s35, 0
	s_mov_b64 s[18:19], s[16:17]
	s_mov_b64 s[20:21], s[0:1]
.LBB199_82:                             ; =>This Inner Loop Header: Depth=1
	s_clause 0x1
	s_load_b256 s[36:43], s[20:21], 0x4
	s_load_b128 s[52:55], s[20:21], 0x24
	s_load_b256 s[44:51], s[18:19], 0x0
	s_add_u32 s20, s20, 48
	s_addc_u32 s21, s21, 0
	s_add_i32 s35, s35, 4
	s_add_u32 s18, s18, 32
	s_addc_u32 s19, s19, 0
	s_cmp_eq_u32 s33, s35
	s_waitcnt lgkmcnt(0)
	v_mul_hi_u32 v3, s37, v2
	s_delay_alu instid0(VALU_DEP_1) | instskip(NEXT) | instid1(VALU_DEP_1)
	v_add_nc_u32_e32 v3, v2, v3
	v_lshrrev_b32_e32 v3, s38, v3
	s_delay_alu instid0(VALU_DEP_1) | instskip(SKIP_1) | instid1(VALU_DEP_2)
	v_mul_hi_u32 v5, s40, v3
	v_mul_lo_u32 v7, v3, s36
	v_add_nc_u32_e32 v5, v3, v5
	s_delay_alu instid0(VALU_DEP_2) | instskip(NEXT) | instid1(VALU_DEP_2)
	v_sub_nc_u32_e32 v2, v2, v7
	v_lshrrev_b32_e32 v5, s41, v5
	s_delay_alu instid0(VALU_DEP_2) | instskip(SKIP_1) | instid1(VALU_DEP_3)
	v_mul_lo_u32 v7, v2, s44
	v_mul_lo_u32 v9, v2, s45
	v_mul_hi_u32 v6, s43, v5
	s_delay_alu instid0(VALU_DEP_1) | instskip(NEXT) | instid1(VALU_DEP_1)
	v_add_nc_u32_e32 v6, v5, v6
	v_lshrrev_b32_e32 v6, s52, v6
	s_delay_alu instid0(VALU_DEP_1) | instskip(SKIP_1) | instid1(VALU_DEP_2)
	v_mul_hi_u32 v8, s54, v6
	v_mul_lo_u32 v10, v6, s42
	v_add_nc_u32_e32 v2, v6, v8
	v_mul_lo_u32 v8, v5, s39
	s_delay_alu instid0(VALU_DEP_3) | instskip(NEXT) | instid1(VALU_DEP_3)
	v_sub_nc_u32_e32 v5, v5, v10
	v_lshrrev_b32_e32 v2, s55, v2
	s_delay_alu instid0(VALU_DEP_2) | instskip(SKIP_2) | instid1(VALU_DEP_4)
	v_mul_lo_u32 v10, v5, s48
	v_mul_lo_u32 v5, v5, s49
	v_sub_nc_u32_e32 v3, v3, v8
	v_mul_lo_u32 v11, v2, s53
	s_delay_alu instid0(VALU_DEP_2) | instskip(SKIP_1) | instid1(VALU_DEP_3)
	v_mul_lo_u32 v8, v3, s46
	v_mul_lo_u32 v3, v3, s47
	v_sub_nc_u32_e32 v6, v6, v11
	s_delay_alu instid0(VALU_DEP_3) | instskip(NEXT) | instid1(VALU_DEP_2)
	v_add3_u32 v0, v7, v0, v8
	v_mul_lo_u32 v11, v6, s50
	v_mul_lo_u32 v6, v6, s51
	v_add3_u32 v1, v9, v1, v3
	s_delay_alu instid0(VALU_DEP_3) | instskip(NEXT) | instid1(VALU_DEP_2)
	v_add3_u32 v0, v10, v0, v11
	v_add3_u32 v1, v5, v1, v6
	s_cbranch_scc0 .LBB199_82
	s_branch .LBB199_96
.LBB199_83:
	s_mov_b32 s31, -1
                                        ; implicit-def: $vgpr0
                                        ; implicit-def: $vgpr1
	s_branch .LBB199_99
.LBB199_84:
	v_dual_mov_b32 v2, v4 :: v_dual_mov_b32 v1, 0
.LBB199_85:
	s_and_b32 s34, s34, 3
	s_delay_alu instid0(SALU_CYCLE_1)
	s_cmp_eq_u32 s34, 0
	s_cbranch_scc1 .LBB199_88
; %bb.86:
	s_lshl_b32 s18, s33, 3
	s_mul_i32 s20, s33, 12
	s_add_u32 s18, s18, s0
	s_addc_u32 s19, s1, 0
	s_add_u32 s18, s18, 0xc4
	s_addc_u32 s19, s19, 0
	;; [unrolled: 2-line block ×3, first 2 shown]
	.p2align	6
.LBB199_87:                             ; =>This Inner Loop Header: Depth=1
	s_clause 0x1
	s_load_b64 s[36:37], s[20:21], 0x4
	s_load_b32 s33, s[20:21], 0xc
	s_load_b64 s[38:39], s[18:19], 0x0
	s_add_u32 s20, s20, 12
	s_addc_u32 s21, s21, 0
	s_add_u32 s18, s18, 8
	s_addc_u32 s19, s19, 0
	s_add_i32 s34, s34, -1
	s_delay_alu instid0(SALU_CYCLE_1) | instskip(SKIP_2) | instid1(VALU_DEP_1)
	s_cmp_lg_u32 s34, 0
	s_waitcnt lgkmcnt(0)
	v_mul_hi_u32 v3, s37, v2
	v_add_nc_u32_e32 v3, v2, v3
	s_delay_alu instid0(VALU_DEP_1) | instskip(NEXT) | instid1(VALU_DEP_1)
	v_lshrrev_b32_e32 v3, s33, v3
	v_mul_lo_u32 v5, v3, s36
	s_delay_alu instid0(VALU_DEP_1) | instskip(NEXT) | instid1(VALU_DEP_1)
	v_sub_nc_u32_e32 v2, v2, v5
	v_mad_u64_u32 v[5:6], null, v2, s38, v[0:1]
	v_mad_u64_u32 v[6:7], null, v2, s39, v[1:2]
	v_mov_b32_e32 v2, v3
	s_delay_alu instid0(VALU_DEP_2)
	v_dual_mov_b32 v0, v5 :: v_dual_mov_b32 v1, v6
	s_cbranch_scc1 .LBB199_87
.LBB199_88:
	s_and_not1_b32 vcc_lo, exec_lo, s31
	s_cbranch_vccnz .LBB199_91
; %bb.89:
	s_waitcnt lgkmcnt(0)
	v_mul_hi_u32 v0, s13, v4
	s_and_not1_b32 vcc_lo, exec_lo, s26
	s_delay_alu instid0(VALU_DEP_1) | instskip(NEXT) | instid1(VALU_DEP_1)
	v_add_nc_u32_e32 v0, v4, v0
	v_lshrrev_b32_e32 v2, s14, v0
	s_delay_alu instid0(VALU_DEP_1) | instskip(NEXT) | instid1(VALU_DEP_1)
	v_mul_lo_u32 v0, v2, s12
	v_sub_nc_u32_e32 v1, v4, v0
	s_delay_alu instid0(VALU_DEP_1)
	v_mul_lo_u32 v0, v1, s8
	v_mul_lo_u32 v1, v1, s9
	s_cbranch_vccnz .LBB199_91
; %bb.90:
	v_mul_hi_u32 v3, s2, v2
	s_delay_alu instid0(VALU_DEP_1) | instskip(NEXT) | instid1(VALU_DEP_1)
	v_add_nc_u32_e32 v3, v2, v3
	v_lshrrev_b32_e32 v3, s3, v3
	s_delay_alu instid0(VALU_DEP_1) | instskip(NEXT) | instid1(VALU_DEP_1)
	v_mul_lo_u32 v3, v3, s15
	v_sub_nc_u32_e32 v7, v2, v3
	s_delay_alu instid0(VALU_DEP_1) | instskip(NEXT) | instid1(VALU_DEP_1)
	v_mad_u64_u32 v[2:3], null, v7, s10, v[0:1]
	v_mad_u64_u32 v[5:6], null, v7, s11, v[1:2]
	s_delay_alu instid0(VALU_DEP_1)
	v_dual_mov_b32 v0, v2 :: v_dual_mov_b32 v1, v5
.LBB199_91:
	s_waitcnt lgkmcnt(0)
	global_load_b32 v1, v1, s[6:7]
	v_add_nc_u32_e32 v4, 0x80, v4
	s_waitcnt vmcnt(0)
	v_cvt_f64_f32_e32 v[1:2], v1
	s_delay_alu instid0(VALU_DEP_1) | instskip(SKIP_3) | instid1(VALU_DEP_2)
	v_rsq_f64_e32 v[5:6], v[1:2]
	s_waitcnt_depctr 0xfff
	v_mul_f64 v[1:2], v[5:6], -v[1:2]
	v_cmp_class_f64_e64 vcc_lo, v[5:6], 0x180
	v_fma_f64 v[1:2], v[1:2], v[5:6], 1.0
	s_delay_alu instid0(VALU_DEP_1) | instskip(SKIP_1) | instid1(VALU_DEP_1)
	v_mul_f64 v[7:8], v[5:6], v[1:2]
	v_fma_f64 v[1:2], 0x3fd80000, v[1:2], 0.5
	v_fma_f64 v[1:2], v[7:8], v[1:2], v[5:6]
	s_delay_alu instid0(VALU_DEP_1) | instskip(NEXT) | instid1(VALU_DEP_1)
	v_dual_cndmask_b32 v2, v6, v2 :: v_dual_cndmask_b32 v1, v5, v1
	v_cvt_f32_f64_e32 v1, v[1:2]
	global_store_b32 v0, v1, s[4:5]
	s_or_b32 exec_lo, exec_lo, s30
	s_delay_alu instid0(SALU_CYCLE_1)
	s_mov_b32 s30, exec_lo
	v_cmpx_gt_i32_e64 s27, v4
	s_cbranch_execnz .LBB199_78
.LBB199_92:
	s_or_b32 exec_lo, exec_lo, s30
	s_delay_alu instid0(SALU_CYCLE_1)
	s_mov_b32 s20, exec_lo
	v_cmpx_gt_i32_e64 s27, v4
	s_cbranch_execnz .LBB199_103
.LBB199_93:
	s_or_b32 exec_lo, exec_lo, s20
                                        ; implicit-def: $vgpr8
                                        ; implicit-def: $vgpr4
	s_waitcnt lgkmcnt(0)
	s_and_not1_saveexec_b32 s2, s25
	s_cbranch_execnz .LBB199_8
.LBB199_94:
	s_nop 0
	s_sendmsg sendmsg(MSG_DEALLOC_VGPRS)
	s_endpgm
.LBB199_95:
	v_dual_mov_b32 v2, v4 :: v_dual_mov_b32 v1, 0
.LBB199_96:
	s_and_b32 s34, s34, 3
	s_delay_alu instid0(SALU_CYCLE_1)
	s_cmp_eq_u32 s34, 0
	s_cbranch_scc1 .LBB199_99
; %bb.97:
	s_lshl_b32 s18, s33, 3
	s_mul_i32 s20, s33, 12
	s_add_u32 s18, s18, s0
	s_addc_u32 s19, s1, 0
	s_add_u32 s18, s18, 0xc4
	s_addc_u32 s19, s19, 0
	s_add_u32 s20, s0, s20
	s_addc_u32 s21, s1, 0
	.p2align	6
.LBB199_98:                             ; =>This Inner Loop Header: Depth=1
	s_clause 0x1
	s_load_b64 s[36:37], s[20:21], 0x4
	s_load_b32 s33, s[20:21], 0xc
	s_load_b64 s[38:39], s[18:19], 0x0
	s_add_u32 s20, s20, 12
	s_addc_u32 s21, s21, 0
	s_add_u32 s18, s18, 8
	s_addc_u32 s19, s19, 0
	s_add_i32 s34, s34, -1
	s_delay_alu instid0(SALU_CYCLE_1) | instskip(SKIP_2) | instid1(VALU_DEP_1)
	s_cmp_lg_u32 s34, 0
	s_waitcnt lgkmcnt(0)
	v_mul_hi_u32 v3, s37, v2
	v_add_nc_u32_e32 v3, v2, v3
	s_delay_alu instid0(VALU_DEP_1) | instskip(NEXT) | instid1(VALU_DEP_1)
	v_lshrrev_b32_e32 v3, s33, v3
	v_mul_lo_u32 v5, v3, s36
	s_delay_alu instid0(VALU_DEP_1) | instskip(NEXT) | instid1(VALU_DEP_1)
	v_sub_nc_u32_e32 v2, v2, v5
	v_mad_u64_u32 v[5:6], null, v2, s38, v[0:1]
	v_mad_u64_u32 v[6:7], null, v2, s39, v[1:2]
	v_mov_b32_e32 v2, v3
	s_delay_alu instid0(VALU_DEP_2)
	v_dual_mov_b32 v0, v5 :: v_dual_mov_b32 v1, v6
	s_cbranch_scc1 .LBB199_98
.LBB199_99:
	s_and_not1_b32 vcc_lo, exec_lo, s31
	s_cbranch_vccnz .LBB199_102
; %bb.100:
	s_waitcnt lgkmcnt(0)
	v_mul_hi_u32 v0, s13, v4
	s_and_not1_b32 vcc_lo, exec_lo, s26
	s_delay_alu instid0(VALU_DEP_1) | instskip(NEXT) | instid1(VALU_DEP_1)
	v_add_nc_u32_e32 v0, v4, v0
	v_lshrrev_b32_e32 v2, s14, v0
	s_delay_alu instid0(VALU_DEP_1) | instskip(NEXT) | instid1(VALU_DEP_1)
	v_mul_lo_u32 v0, v2, s12
	v_sub_nc_u32_e32 v1, v4, v0
	s_delay_alu instid0(VALU_DEP_1)
	v_mul_lo_u32 v0, v1, s8
	v_mul_lo_u32 v1, v1, s9
	s_cbranch_vccnz .LBB199_102
; %bb.101:
	v_mul_hi_u32 v3, s2, v2
	s_delay_alu instid0(VALU_DEP_1) | instskip(NEXT) | instid1(VALU_DEP_1)
	v_add_nc_u32_e32 v3, v2, v3
	v_lshrrev_b32_e32 v3, s3, v3
	s_delay_alu instid0(VALU_DEP_1) | instskip(NEXT) | instid1(VALU_DEP_1)
	v_mul_lo_u32 v3, v3, s15
	v_sub_nc_u32_e32 v7, v2, v3
	s_delay_alu instid0(VALU_DEP_1) | instskip(NEXT) | instid1(VALU_DEP_1)
	v_mad_u64_u32 v[2:3], null, v7, s10, v[0:1]
	v_mad_u64_u32 v[5:6], null, v7, s11, v[1:2]
	s_delay_alu instid0(VALU_DEP_1)
	v_dual_mov_b32 v0, v2 :: v_dual_mov_b32 v1, v5
.LBB199_102:
	s_waitcnt lgkmcnt(0)
	global_load_b32 v1, v1, s[6:7]
	v_add_nc_u32_e32 v4, 0x80, v4
	s_waitcnt vmcnt(0)
	v_cvt_f64_f32_e32 v[1:2], v1
	s_delay_alu instid0(VALU_DEP_1) | instskip(SKIP_3) | instid1(VALU_DEP_2)
	v_rsq_f64_e32 v[5:6], v[1:2]
	s_waitcnt_depctr 0xfff
	v_mul_f64 v[1:2], v[5:6], -v[1:2]
	v_cmp_class_f64_e64 vcc_lo, v[5:6], 0x180
	v_fma_f64 v[1:2], v[1:2], v[5:6], 1.0
	s_delay_alu instid0(VALU_DEP_1) | instskip(SKIP_1) | instid1(VALU_DEP_1)
	v_mul_f64 v[7:8], v[5:6], v[1:2]
	v_fma_f64 v[1:2], 0x3fd80000, v[1:2], 0.5
	v_fma_f64 v[1:2], v[7:8], v[1:2], v[5:6]
	s_delay_alu instid0(VALU_DEP_1) | instskip(NEXT) | instid1(VALU_DEP_1)
	v_dual_cndmask_b32 v2, v6, v2 :: v_dual_cndmask_b32 v1, v5, v1
	v_cvt_f32_f64_e32 v1, v[1:2]
	global_store_b32 v0, v1, s[4:5]
	s_or_b32 exec_lo, exec_lo, s30
	s_delay_alu instid0(SALU_CYCLE_1)
	s_mov_b32 s20, exec_lo
	v_cmpx_gt_i32_e64 s27, v4
	s_cbranch_execz .LBB199_93
.LBB199_103:
	s_and_not1_b32 vcc_lo, exec_lo, s24
	s_cbranch_vccnz .LBB199_108
; %bb.104:
	v_dual_mov_b32 v0, 0 :: v_dual_mov_b32 v1, 0
	s_and_not1_b32 vcc_lo, exec_lo, s29
	s_mov_b32 s21, 0
	s_cbranch_vccnz .LBB199_113
; %bb.105:
	v_mov_b32_e32 v0, 0
	s_add_i32 s28, s28, 1
	s_cmp_eq_u32 s23, 2
	s_mov_b32 s27, 0
	s_cbranch_scc1 .LBB199_109
; %bb.106:
	v_dual_mov_b32 v1, 0 :: v_dual_mov_b32 v0, 0
	v_mov_b32_e32 v2, v4
	s_and_b32 s27, s28, 28
	s_mov_b32 s29, 0
	s_mov_b64 s[18:19], s[0:1]
.LBB199_107:                            ; =>This Inner Loop Header: Depth=1
	s_clause 0x1
	s_load_b256 s[36:43], s[18:19], 0x4
	s_load_b128 s[52:55], s[18:19], 0x24
	s_load_b256 s[44:51], s[16:17], 0x0
	s_add_u32 s18, s18, 48
	s_addc_u32 s19, s19, 0
	s_add_i32 s29, s29, 4
	s_add_u32 s16, s16, 32
	s_addc_u32 s17, s17, 0
	s_cmp_eq_u32 s27, s29
	s_waitcnt lgkmcnt(0)
	v_mul_hi_u32 v3, s37, v2
	s_delay_alu instid0(VALU_DEP_1) | instskip(NEXT) | instid1(VALU_DEP_1)
	v_add_nc_u32_e32 v3, v2, v3
	v_lshrrev_b32_e32 v3, s38, v3
	s_delay_alu instid0(VALU_DEP_1) | instskip(SKIP_1) | instid1(VALU_DEP_2)
	v_mul_hi_u32 v5, s40, v3
	v_mul_lo_u32 v7, v3, s36
	v_add_nc_u32_e32 v5, v3, v5
	s_delay_alu instid0(VALU_DEP_2) | instskip(NEXT) | instid1(VALU_DEP_2)
	v_sub_nc_u32_e32 v2, v2, v7
	v_lshrrev_b32_e32 v5, s41, v5
	s_delay_alu instid0(VALU_DEP_2) | instskip(SKIP_1) | instid1(VALU_DEP_3)
	v_mul_lo_u32 v7, v2, s44
	v_mul_lo_u32 v9, v2, s45
	v_mul_hi_u32 v6, s43, v5
	s_delay_alu instid0(VALU_DEP_1) | instskip(NEXT) | instid1(VALU_DEP_1)
	v_add_nc_u32_e32 v6, v5, v6
	v_lshrrev_b32_e32 v6, s52, v6
	s_delay_alu instid0(VALU_DEP_1) | instskip(SKIP_1) | instid1(VALU_DEP_2)
	v_mul_hi_u32 v8, s54, v6
	v_mul_lo_u32 v10, v6, s42
	v_add_nc_u32_e32 v2, v6, v8
	v_mul_lo_u32 v8, v5, s39
	s_delay_alu instid0(VALU_DEP_3) | instskip(NEXT) | instid1(VALU_DEP_3)
	v_sub_nc_u32_e32 v5, v5, v10
	v_lshrrev_b32_e32 v2, s55, v2
	s_delay_alu instid0(VALU_DEP_2) | instskip(SKIP_2) | instid1(VALU_DEP_4)
	v_mul_lo_u32 v10, v5, s48
	v_mul_lo_u32 v5, v5, s49
	v_sub_nc_u32_e32 v3, v3, v8
	v_mul_lo_u32 v11, v2, s53
	s_delay_alu instid0(VALU_DEP_2) | instskip(SKIP_1) | instid1(VALU_DEP_3)
	v_mul_lo_u32 v8, v3, s46
	v_mul_lo_u32 v3, v3, s47
	v_sub_nc_u32_e32 v6, v6, v11
	s_delay_alu instid0(VALU_DEP_3) | instskip(NEXT) | instid1(VALU_DEP_2)
	v_add3_u32 v0, v7, v0, v8
	v_mul_lo_u32 v11, v6, s50
	v_mul_lo_u32 v6, v6, s51
	v_add3_u32 v1, v9, v1, v3
	s_delay_alu instid0(VALU_DEP_3) | instskip(NEXT) | instid1(VALU_DEP_2)
	v_add3_u32 v0, v10, v0, v11
	v_add3_u32 v1, v5, v1, v6
	s_cbranch_scc0 .LBB199_107
	s_branch .LBB199_110
.LBB199_108:
	s_mov_b32 s21, -1
                                        ; implicit-def: $vgpr0
                                        ; implicit-def: $vgpr1
	s_branch .LBB199_113
.LBB199_109:
	v_dual_mov_b32 v2, v4 :: v_dual_mov_b32 v1, 0
.LBB199_110:
	s_and_b32 s28, s28, 3
	s_delay_alu instid0(SALU_CYCLE_1)
	s_cmp_eq_u32 s28, 0
	s_cbranch_scc1 .LBB199_113
; %bb.111:
	s_lshl_b32 s16, s27, 3
	s_mul_i32 s18, s27, 12
	s_add_u32 s16, s16, s0
	s_addc_u32 s17, s1, 0
	s_add_u32 s16, s16, 0xc4
	s_addc_u32 s17, s17, 0
	;; [unrolled: 2-line block ×3, first 2 shown]
	.p2align	6
.LBB199_112:                            ; =>This Inner Loop Header: Depth=1
	s_clause 0x1
	s_load_b64 s[30:31], s[18:19], 0x4
	s_load_b32 s27, s[18:19], 0xc
	s_load_b64 s[34:35], s[16:17], 0x0
	s_add_u32 s18, s18, 12
	s_addc_u32 s19, s19, 0
	s_add_u32 s16, s16, 8
	s_addc_u32 s17, s17, 0
	s_add_i32 s28, s28, -1
	s_delay_alu instid0(SALU_CYCLE_1) | instskip(SKIP_2) | instid1(VALU_DEP_1)
	s_cmp_lg_u32 s28, 0
	s_waitcnt lgkmcnt(0)
	v_mul_hi_u32 v3, s31, v2
	v_add_nc_u32_e32 v3, v2, v3
	s_delay_alu instid0(VALU_DEP_1) | instskip(NEXT) | instid1(VALU_DEP_1)
	v_lshrrev_b32_e32 v3, s27, v3
	v_mul_lo_u32 v5, v3, s30
	s_delay_alu instid0(VALU_DEP_1) | instskip(NEXT) | instid1(VALU_DEP_1)
	v_sub_nc_u32_e32 v2, v2, v5
	v_mad_u64_u32 v[5:6], null, v2, s34, v[0:1]
	v_mad_u64_u32 v[6:7], null, v2, s35, v[1:2]
	v_mov_b32_e32 v2, v3
	s_delay_alu instid0(VALU_DEP_2)
	v_dual_mov_b32 v0, v5 :: v_dual_mov_b32 v1, v6
	s_cbranch_scc1 .LBB199_112
.LBB199_113:
	s_and_not1_b32 vcc_lo, exec_lo, s21
	s_cbranch_vccnz .LBB199_116
; %bb.114:
	s_waitcnt lgkmcnt(0)
	v_mul_hi_u32 v0, s13, v4
	s_and_not1_b32 vcc_lo, exec_lo, s26
	s_delay_alu instid0(VALU_DEP_1) | instskip(NEXT) | instid1(VALU_DEP_1)
	v_add_nc_u32_e32 v0, v4, v0
	v_lshrrev_b32_e32 v2, s14, v0
	s_delay_alu instid0(VALU_DEP_1) | instskip(NEXT) | instid1(VALU_DEP_1)
	v_mul_lo_u32 v0, v2, s12
	v_sub_nc_u32_e32 v1, v4, v0
	s_delay_alu instid0(VALU_DEP_1)
	v_mul_lo_u32 v0, v1, s8
	v_mul_lo_u32 v1, v1, s9
	s_cbranch_vccnz .LBB199_116
; %bb.115:
	v_mul_hi_u32 v3, s2, v2
	s_delay_alu instid0(VALU_DEP_1) | instskip(NEXT) | instid1(VALU_DEP_1)
	v_add_nc_u32_e32 v3, v2, v3
	v_lshrrev_b32_e32 v3, s3, v3
	s_delay_alu instid0(VALU_DEP_1) | instskip(NEXT) | instid1(VALU_DEP_1)
	v_mul_lo_u32 v3, v3, s15
	v_sub_nc_u32_e32 v5, v2, v3
	s_delay_alu instid0(VALU_DEP_1) | instskip(NEXT) | instid1(VALU_DEP_1)
	v_mad_u64_u32 v[2:3], null, v5, s10, v[0:1]
	v_mad_u64_u32 v[3:4], null, v5, s11, v[1:2]
	s_delay_alu instid0(VALU_DEP_1)
	v_dual_mov_b32 v0, v2 :: v_dual_mov_b32 v1, v3
.LBB199_116:
	s_waitcnt lgkmcnt(0)
	global_load_b32 v1, v1, s[6:7]
	s_waitcnt vmcnt(0)
	v_cvt_f64_f32_e32 v[1:2], v1
	s_delay_alu instid0(VALU_DEP_1) | instskip(SKIP_3) | instid1(VALU_DEP_2)
	v_rsq_f64_e32 v[3:4], v[1:2]
	s_waitcnt_depctr 0xfff
	v_mul_f64 v[1:2], v[3:4], -v[1:2]
	v_cmp_class_f64_e64 vcc_lo, v[3:4], 0x180
	v_fma_f64 v[1:2], v[1:2], v[3:4], 1.0
	s_delay_alu instid0(VALU_DEP_1) | instskip(SKIP_1) | instid1(VALU_DEP_1)
	v_mul_f64 v[5:6], v[3:4], v[1:2]
	v_fma_f64 v[1:2], 0x3fd80000, v[1:2], 0.5
	v_fma_f64 v[1:2], v[5:6], v[1:2], v[3:4]
	s_delay_alu instid0(VALU_DEP_1) | instskip(NEXT) | instid1(VALU_DEP_1)
	v_dual_cndmask_b32 v2, v4, v2 :: v_dual_cndmask_b32 v1, v3, v1
	v_cvt_f32_f64_e32 v1, v[1:2]
	global_store_b32 v0, v1, s[4:5]
	s_or_b32 exec_lo, exec_lo, s20
                                        ; implicit-def: $vgpr8
                                        ; implicit-def: $vgpr4
	s_and_not1_saveexec_b32 s2, s25
	s_cbranch_execz .LBB199_94
	s_branch .LBB199_8
	.section	.rodata,"a",@progbits
	.p2align	6, 0x0
	.amdhsa_kernel _ZN2at6native32elementwise_kernel_manual_unrollILi128ELi4EZNS0_22gpu_kernel_impl_nocastIZZZNS0_17rsqrt_kernel_cudaERNS_18TensorIteratorBaseEENKUlvE0_clEvENKUlvE0_clEvEUlfE_EEvS4_RKT_EUlibE_EEviT1_
		.amdhsa_group_segment_fixed_size 0
		.amdhsa_private_segment_fixed_size 0
		.amdhsa_kernarg_size 360
		.amdhsa_user_sgpr_count 15
		.amdhsa_user_sgpr_dispatch_ptr 0
		.amdhsa_user_sgpr_queue_ptr 0
		.amdhsa_user_sgpr_kernarg_segment_ptr 1
		.amdhsa_user_sgpr_dispatch_id 0
		.amdhsa_user_sgpr_private_segment_size 0
		.amdhsa_wavefront_size32 1
		.amdhsa_uses_dynamic_stack 0
		.amdhsa_enable_private_segment 0
		.amdhsa_system_sgpr_workgroup_id_x 1
		.amdhsa_system_sgpr_workgroup_id_y 0
		.amdhsa_system_sgpr_workgroup_id_z 0
		.amdhsa_system_sgpr_workgroup_info 0
		.amdhsa_system_vgpr_workitem_id 0
		.amdhsa_next_free_vgpr 31
		.amdhsa_next_free_sgpr 56
		.amdhsa_reserve_vcc 1
		.amdhsa_float_round_mode_32 0
		.amdhsa_float_round_mode_16_64 0
		.amdhsa_float_denorm_mode_32 3
		.amdhsa_float_denorm_mode_16_64 3
		.amdhsa_dx10_clamp 1
		.amdhsa_ieee_mode 1
		.amdhsa_fp16_overflow 0
		.amdhsa_workgroup_processor_mode 1
		.amdhsa_memory_ordered 1
		.amdhsa_forward_progress 0
		.amdhsa_shared_vgpr_count 0
		.amdhsa_exception_fp_ieee_invalid_op 0
		.amdhsa_exception_fp_denorm_src 0
		.amdhsa_exception_fp_ieee_div_zero 0
		.amdhsa_exception_fp_ieee_overflow 0
		.amdhsa_exception_fp_ieee_underflow 0
		.amdhsa_exception_fp_ieee_inexact 0
		.amdhsa_exception_int_div_zero 0
	.end_amdhsa_kernel
	.section	.text._ZN2at6native32elementwise_kernel_manual_unrollILi128ELi4EZNS0_22gpu_kernel_impl_nocastIZZZNS0_17rsqrt_kernel_cudaERNS_18TensorIteratorBaseEENKUlvE0_clEvENKUlvE0_clEvEUlfE_EEvS4_RKT_EUlibE_EEviT1_,"axG",@progbits,_ZN2at6native32elementwise_kernel_manual_unrollILi128ELi4EZNS0_22gpu_kernel_impl_nocastIZZZNS0_17rsqrt_kernel_cudaERNS_18TensorIteratorBaseEENKUlvE0_clEvENKUlvE0_clEvEUlfE_EEvS4_RKT_EUlibE_EEviT1_,comdat
.Lfunc_end199:
	.size	_ZN2at6native32elementwise_kernel_manual_unrollILi128ELi4EZNS0_22gpu_kernel_impl_nocastIZZZNS0_17rsqrt_kernel_cudaERNS_18TensorIteratorBaseEENKUlvE0_clEvENKUlvE0_clEvEUlfE_EEvS4_RKT_EUlibE_EEviT1_, .Lfunc_end199-_ZN2at6native32elementwise_kernel_manual_unrollILi128ELi4EZNS0_22gpu_kernel_impl_nocastIZZZNS0_17rsqrt_kernel_cudaERNS_18TensorIteratorBaseEENKUlvE0_clEvENKUlvE0_clEvEUlfE_EEvS4_RKT_EUlibE_EEviT1_
                                        ; -- End function
	.section	.AMDGPU.csdata,"",@progbits
; Kernel info:
; codeLenInByte = 7508
; NumSgprs: 58
; NumVgprs: 31
; ScratchSize: 0
; MemoryBound: 0
; FloatMode: 240
; IeeeMode: 1
; LDSByteSize: 0 bytes/workgroup (compile time only)
; SGPRBlocks: 7
; VGPRBlocks: 3
; NumSGPRsForWavesPerEU: 58
; NumVGPRsForWavesPerEU: 31
; Occupancy: 16
; WaveLimiterHint : 1
; COMPUTE_PGM_RSRC2:SCRATCH_EN: 0
; COMPUTE_PGM_RSRC2:USER_SGPR: 15
; COMPUTE_PGM_RSRC2:TRAP_HANDLER: 0
; COMPUTE_PGM_RSRC2:TGID_X_EN: 1
; COMPUTE_PGM_RSRC2:TGID_Y_EN: 0
; COMPUTE_PGM_RSRC2:TGID_Z_EN: 0
; COMPUTE_PGM_RSRC2:TIDIG_COMP_CNT: 0
	.section	.text._ZN2at6native32elementwise_kernel_manual_unrollILi128ELi4EZNS0_15gpu_kernel_implIZZZNS0_17rsqrt_kernel_cudaERNS_18TensorIteratorBaseEENKUlvE0_clEvENKUlvE0_clEvEUlfE_EEvS4_RKT_EUlibE_EEviT1_,"axG",@progbits,_ZN2at6native32elementwise_kernel_manual_unrollILi128ELi4EZNS0_15gpu_kernel_implIZZZNS0_17rsqrt_kernel_cudaERNS_18TensorIteratorBaseEENKUlvE0_clEvENKUlvE0_clEvEUlfE_EEvS4_RKT_EUlibE_EEviT1_,comdat
	.globl	_ZN2at6native32elementwise_kernel_manual_unrollILi128ELi4EZNS0_15gpu_kernel_implIZZZNS0_17rsqrt_kernel_cudaERNS_18TensorIteratorBaseEENKUlvE0_clEvENKUlvE0_clEvEUlfE_EEvS4_RKT_EUlibE_EEviT1_ ; -- Begin function _ZN2at6native32elementwise_kernel_manual_unrollILi128ELi4EZNS0_15gpu_kernel_implIZZZNS0_17rsqrt_kernel_cudaERNS_18TensorIteratorBaseEENKUlvE0_clEvENKUlvE0_clEvEUlfE_EEvS4_RKT_EUlibE_EEviT1_
	.p2align	8
	.type	_ZN2at6native32elementwise_kernel_manual_unrollILi128ELi4EZNS0_15gpu_kernel_implIZZZNS0_17rsqrt_kernel_cudaERNS_18TensorIteratorBaseEENKUlvE0_clEvENKUlvE0_clEvEUlfE_EEvS4_RKT_EUlibE_EEviT1_,@function
_ZN2at6native32elementwise_kernel_manual_unrollILi128ELi4EZNS0_15gpu_kernel_implIZZZNS0_17rsqrt_kernel_cudaERNS_18TensorIteratorBaseEENKUlvE0_clEvENKUlvE0_clEvEUlfE_EEvS4_RKT_EUlibE_EEviT1_: ; @_ZN2at6native32elementwise_kernel_manual_unrollILi128ELi4EZNS0_15gpu_kernel_implIZZZNS0_17rsqrt_kernel_cudaERNS_18TensorIteratorBaseEENKUlvE0_clEvENKUlvE0_clEvEUlfE_EEvS4_RKT_EUlibE_EEviT1_
; %bb.0:
	v_mov_b32_e32 v1, 0
	s_clause 0x2
	s_load_b32 s10, s[0:1], 0x0
	s_load_b64 s[2:3], s[0:1], 0x18
	s_load_b128 s[4:7], s[0:1], 0x8
	v_lshl_or_b32 v5, s15, 9, v0
	s_mov_b32 s9, 0
	global_load_u16 v4, v1, s[0:1] offset:33
	s_mov_b32 s1, 0
	v_or_b32_e32 v0, 0x180, v5
	s_mov_b32 s0, exec_lo
	s_waitcnt vmcnt(0)
	v_lshrrev_b16 v6, 8, v4
	s_waitcnt lgkmcnt(0)
	v_cmpx_le_i32_e64 s10, v0
	s_xor_b32 s8, exec_lo, s0
	s_cbranch_execz .LBB200_1033
; %bb.1:
	s_mov_b32 s15, -1
	s_mov_b32 s13, 0
	s_mov_b32 s11, 0
	s_mov_b32 s12, exec_lo
	v_cmpx_gt_i32_e64 s10, v5
	s_cbranch_execz .LBB200_252
; %bb.2:
	v_mul_lo_u32 v0, v5, s3
	v_cmp_gt_i16_e32 vcc_lo, 11, v6
	s_delay_alu instid0(VALU_DEP_2) | instskip(SKIP_1) | instid1(VALU_DEP_1)
	v_ashrrev_i32_e32 v1, 31, v0
	v_add_co_u32 v0, s0, s6, v0
	v_add_co_ci_u32_e64 v1, s0, s7, v1, s0
	s_cbranch_vccnz .LBB200_9
; %bb.3:
	v_cmp_lt_i16_e32 vcc_lo, 25, v6
	s_cbranch_vccz .LBB200_18
; %bb.4:
	v_cmp_lt_i16_e32 vcc_lo, 28, v6
	s_cbranch_vccz .LBB200_21
	;; [unrolled: 3-line block ×4, first 2 shown]
; %bb.7:
	v_cmp_eq_u16_e32 vcc_lo, 46, v6
	s_cbranch_vccz .LBB200_27
; %bb.8:
	global_load_b32 v2, v[0:1], off
	s_mov_b32 s0, -1
	s_waitcnt vmcnt(0)
	v_lshlrev_b32_e32 v2, 16, v2
	s_branch .LBB200_29
.LBB200_9:
	s_mov_b32 s0, 0
                                        ; implicit-def: $vgpr2
	s_cbranch_execnz .LBB200_202
.LBB200_10:
	s_and_not1_b32 vcc_lo, exec_lo, s0
	s_cbranch_vccnz .LBB200_249
.LBB200_11:
	s_waitcnt vmcnt(0)
	s_delay_alu instid0(VALU_DEP_1) | instskip(NEXT) | instid1(VALU_DEP_1)
	v_cvt_f64_f32_e32 v[0:1], v2
	v_rsq_f64_e32 v[2:3], v[0:1]
	s_waitcnt_depctr 0xfff
	v_mul_f64 v[0:1], v[2:3], -v[0:1]
	v_cmp_class_f64_e64 vcc_lo, v[2:3], 0x180
	s_delay_alu instid0(VALU_DEP_2) | instskip(NEXT) | instid1(VALU_DEP_1)
	v_fma_f64 v[0:1], v[0:1], v[2:3], 1.0
	v_mul_f64 v[7:8], v[2:3], v[0:1]
	v_fma_f64 v[0:1], 0x3fd80000, v[0:1], 0.5
	s_delay_alu instid0(VALU_DEP_1) | instskip(SKIP_1) | instid1(VALU_DEP_2)
	v_fma_f64 v[0:1], v[7:8], v[0:1], v[2:3]
	v_and_b32_e32 v7, 0xff, v4
	v_dual_cndmask_b32 v1, v3, v1 :: v_dual_cndmask_b32 v0, v2, v0
	s_delay_alu instid0(VALU_DEP_2) | instskip(NEXT) | instid1(VALU_DEP_2)
	v_cmp_gt_i16_e32 vcc_lo, 11, v7
	v_cvt_f32_f64_e32 v0, v[0:1]
	v_mul_lo_u32 v1, v5, s2
	s_delay_alu instid0(VALU_DEP_1) | instskip(SKIP_1) | instid1(VALU_DEP_1)
	v_ashrrev_i32_e32 v3, 31, v1
	v_add_co_u32 v2, s0, s4, v1
	v_add_co_ci_u32_e64 v3, s0, s5, v3, s0
	s_cbranch_vccnz .LBB200_19
; %bb.12:
	v_cmp_lt_i16_e32 vcc_lo, 25, v7
	s_cbranch_vccz .LBB200_22
; %bb.13:
	v_cmp_lt_i16_e32 vcc_lo, 28, v7
	s_cbranch_vccz .LBB200_24
	;; [unrolled: 3-line block ×4, first 2 shown]
; %bb.16:
	v_cmp_eq_u16_e32 vcc_lo, 46, v7
	s_mov_b32 s14, 0
	s_mov_b32 s0, -1
	s_mov_b32 s9, 0
	s_cbranch_vccz .LBB200_33
; %bb.17:
	v_bfe_u32 v1, v0, 16, 1
	v_cmp_o_f32_e32 vcc_lo, v0, v0
	s_mov_b32 s9, -1
	s_mov_b32 s0, 0
	s_delay_alu instid0(VALU_DEP_2) | instskip(NEXT) | instid1(VALU_DEP_1)
	v_add3_u32 v1, v0, v1, 0x7fff
	v_lshrrev_b32_e32 v1, 16, v1
	s_delay_alu instid0(VALU_DEP_1)
	v_cndmask_b32_e32 v1, 0x7fc0, v1, vcc_lo
	global_store_b32 v[2:3], v1, off
	s_branch .LBB200_33
.LBB200_18:
	s_mov_b32 s0, 0
                                        ; implicit-def: $vgpr2
	s_cbranch_execnz .LBB200_167
	s_branch .LBB200_201
.LBB200_19:
	s_mov_b32 s0, 0
	s_mov_b32 s9, 0
	s_cbranch_execnz .LBB200_102
.LBB200_20:
	s_and_not1_b32 vcc_lo, exec_lo, s9
	s_cbranch_vccnz .LBB200_250
	s_branch .LBB200_140
.LBB200_21:
	s_mov_b32 s9, -1
	s_mov_b32 s0, 0
                                        ; implicit-def: $vgpr2
	s_branch .LBB200_148
.LBB200_22:
	s_mov_b32 s14, -1
	s_mov_b32 s0, 0
	s_mov_b32 s9, 0
	s_branch .LBB200_60
.LBB200_23:
	s_mov_b32 s9, -1
	s_mov_b32 s0, 0
                                        ; implicit-def: $vgpr2
	s_branch .LBB200_143
.LBB200_24:
	s_mov_b32 s14, -1
	s_mov_b32 s0, 0
	s_mov_b32 s9, 0
	s_branch .LBB200_43
.LBB200_25:
	s_mov_b32 s9, -1
	s_branch .LBB200_28
.LBB200_26:
	s_mov_b32 s14, -1
	s_mov_b32 s0, 0
	s_mov_b32 s9, 0
	s_branch .LBB200_39
.LBB200_27:
	s_mov_b32 s11, -1
.LBB200_28:
	s_mov_b32 s0, 0
                                        ; implicit-def: $vgpr2
.LBB200_29:
	s_and_b32 vcc_lo, exec_lo, s9
	s_cbranch_vccz .LBB200_142
; %bb.30:
	v_cmp_eq_u16_e32 vcc_lo, 44, v6
	s_cbranch_vccz .LBB200_141
; %bb.31:
	global_load_u8 v2, v[0:1], off
	s_mov_b32 s11, 0
	s_mov_b32 s0, -1
	s_waitcnt vmcnt(0)
	v_lshlrev_b32_e32 v3, 23, v2
	v_cmp_ne_u32_e32 vcc_lo, 0xff, v2
	s_delay_alu instid0(VALU_DEP_2) | instskip(SKIP_1) | instid1(VALU_DEP_2)
	v_cndmask_b32_e32 v3, 0x7f800001, v3, vcc_lo
	v_cmp_ne_u32_e32 vcc_lo, 0, v2
	v_cndmask_b32_e32 v2, 0x400000, v3, vcc_lo
	s_branch .LBB200_142
.LBB200_32:
	s_mov_b32 s14, -1
	s_mov_b32 s0, 0
	s_mov_b32 s9, 0
.LBB200_33:
	s_and_b32 vcc_lo, exec_lo, s14
	s_cbranch_vccz .LBB200_38
; %bb.34:
	v_cmp_eq_u16_e32 vcc_lo, 44, v7
	s_mov_b32 s0, -1
	s_cbranch_vccz .LBB200_38
; %bb.35:
	v_bfe_u32 v8, v0, 23, 8
	v_mov_b32_e32 v1, 0xff
	s_mov_b32 s9, exec_lo
	s_delay_alu instid0(VALU_DEP_2)
	v_cmpx_ne_u32_e32 0xff, v8
; %bb.36:
	v_and_b32_e32 v1, 0x400000, v0
	v_and_or_b32 v8, 0x3fffff, v0, v8
	s_delay_alu instid0(VALU_DEP_2) | instskip(NEXT) | instid1(VALU_DEP_2)
	v_cmp_ne_u32_e32 vcc_lo, 0, v1
	v_cmp_ne_u32_e64 s0, 0, v8
	v_lshrrev_b32_e32 v1, 23, v0
	s_delay_alu instid0(VALU_DEP_2) | instskip(NEXT) | instid1(SALU_CYCLE_1)
	s_and_b32 s0, vcc_lo, s0
	v_cndmask_b32_e64 v8, 0, 1, s0
	s_delay_alu instid0(VALU_DEP_1)
	v_add_nc_u32_e32 v1, v1, v8
; %bb.37:
	s_or_b32 exec_lo, exec_lo, s9
	s_mov_b32 s9, -1
	s_mov_b32 s0, 0
	global_store_b8 v[2:3], v1, off
.LBB200_38:
	s_mov_b32 s14, 0
.LBB200_39:
	s_delay_alu instid0(SALU_CYCLE_1)
	s_and_b32 vcc_lo, exec_lo, s14
	s_cbranch_vccz .LBB200_42
; %bb.40:
	v_cmp_eq_u16_e32 vcc_lo, 29, v7
	s_mov_b32 s0, -1
	s_cbranch_vccz .LBB200_42
; %bb.41:
	v_trunc_f32_e32 v1, v0
	s_mov_b32 s9, -1
	s_mov_b32 s0, 0
	s_mov_b32 s14, 0
	s_delay_alu instid0(VALU_DEP_1) | instskip(NEXT) | instid1(VALU_DEP_1)
	v_mul_f32_e32 v8, 0x2f800000, v1
	v_floor_f32_e32 v8, v8
	s_delay_alu instid0(VALU_DEP_1) | instskip(SKIP_1) | instid1(VALU_DEP_2)
	v_fmamk_f32 v1, v8, 0xcf800000, v1
	v_cvt_u32_f32_e32 v9, v8
	v_cvt_u32_f32_e32 v8, v1
	global_store_b64 v[2:3], v[8:9], off
	s_branch .LBB200_43
.LBB200_42:
	s_mov_b32 s14, 0
.LBB200_43:
	s_delay_alu instid0(SALU_CYCLE_1)
	s_and_b32 vcc_lo, exec_lo, s14
	s_cbranch_vccz .LBB200_59
; %bb.44:
	v_cmp_gt_i16_e32 vcc_lo, 27, v7
	s_mov_b32 s9, -1
	s_cbranch_vccnz .LBB200_50
; %bb.45:
	v_cmp_lt_i16_e32 vcc_lo, 27, v7
	s_cbranch_vccz .LBB200_47
; %bb.46:
	v_cvt_u32_f32_e32 v1, v0
	s_mov_b32 s9, 0
	global_store_b32 v[2:3], v1, off
.LBB200_47:
	s_and_not1_b32 vcc_lo, exec_lo, s9
	s_cbranch_vccnz .LBB200_49
; %bb.48:
	v_cvt_u32_f32_e32 v1, v0
	global_store_b16 v[2:3], v1, off
.LBB200_49:
	s_mov_b32 s9, 0
.LBB200_50:
	s_delay_alu instid0(SALU_CYCLE_1)
	s_and_not1_b32 vcc_lo, exec_lo, s9
	s_cbranch_vccnz .LBB200_58
; %bb.51:
	v_and_b32_e32 v1, 0x7fffffff, v0
	v_mov_b32_e32 v8, 0x80
	s_mov_b32 s9, exec_lo
	s_delay_alu instid0(VALU_DEP_2)
	v_cmpx_gt_u32_e32 0x43800000, v1
	s_cbranch_execz .LBB200_57
; %bb.52:
	v_cmp_lt_u32_e32 vcc_lo, 0x3bffffff, v1
	s_mov_b32 s14, 0
                                        ; implicit-def: $vgpr1
	s_and_saveexec_b32 s15, vcc_lo
	s_delay_alu instid0(SALU_CYCLE_1)
	s_xor_b32 s15, exec_lo, s15
	s_cbranch_execz .LBB200_276
; %bb.53:
	v_bfe_u32 v1, v0, 20, 1
	s_mov_b32 s14, exec_lo
	s_delay_alu instid0(VALU_DEP_1) | instskip(NEXT) | instid1(VALU_DEP_1)
	v_add3_u32 v1, v0, v1, 0x487ffff
	v_lshrrev_b32_e32 v1, 20, v1
	s_or_saveexec_b32 s15, s15
                                        ; implicit-def: $sgpr16
	s_delay_alu instid0(SALU_CYCLE_1)
	s_xor_b32 exec_lo, exec_lo, s15
	s_cbranch_execnz .LBB200_277
.LBB200_54:
	s_or_b32 exec_lo, exec_lo, s15
	v_mov_b32_e32 v8, s16
	s_and_saveexec_b32 s15, s14
.LBB200_55:
	v_lshrrev_b32_e32 v8, 24, v0
	s_delay_alu instid0(VALU_DEP_1)
	v_and_or_b32 v8, 0x80, v8, v1
.LBB200_56:
	s_or_b32 exec_lo, exec_lo, s15
.LBB200_57:
	s_delay_alu instid0(SALU_CYCLE_1)
	s_or_b32 exec_lo, exec_lo, s9
	global_store_b8 v[2:3], v8, off
.LBB200_58:
	s_mov_b32 s9, -1
.LBB200_59:
	s_mov_b32 s14, 0
.LBB200_60:
	s_delay_alu instid0(SALU_CYCLE_1)
	s_and_b32 vcc_lo, exec_lo, s14
	s_cbranch_vccz .LBB200_101
; %bb.61:
	v_cmp_lt_i16_e32 vcc_lo, 22, v7
	s_mov_b32 s14, -1
	s_cbranch_vccz .LBB200_93
; %bb.62:
	v_cmp_gt_i16_e32 vcc_lo, 24, v7
	s_mov_b32 s9, -1
	s_cbranch_vccnz .LBB200_82
; %bb.63:
	v_cmp_lt_i16_e32 vcc_lo, 24, v7
	s_cbranch_vccz .LBB200_71
; %bb.64:
	v_and_b32_e32 v1, 0x7fffffff, v0
	v_mov_b32_e32 v8, 0x80
	s_mov_b32 s9, exec_lo
	s_delay_alu instid0(VALU_DEP_2)
	v_cmpx_gt_u32_e32 0x47800000, v1
	s_cbranch_execz .LBB200_70
; %bb.65:
	v_cmp_lt_u32_e32 vcc_lo, 0x37ffffff, v1
	s_mov_b32 s14, 0
                                        ; implicit-def: $vgpr1
	s_and_saveexec_b32 s15, vcc_lo
	s_delay_alu instid0(SALU_CYCLE_1)
	s_xor_b32 s15, exec_lo, s15
	s_cbranch_execz .LBB200_280
; %bb.66:
	v_bfe_u32 v1, v0, 21, 1
	s_mov_b32 s14, exec_lo
	s_delay_alu instid0(VALU_DEP_1) | instskip(NEXT) | instid1(VALU_DEP_1)
	v_add3_u32 v1, v0, v1, 0x88fffff
	v_lshrrev_b32_e32 v1, 21, v1
	s_or_saveexec_b32 s15, s15
                                        ; implicit-def: $sgpr16
	s_delay_alu instid0(SALU_CYCLE_1)
	s_xor_b32 exec_lo, exec_lo, s15
	s_cbranch_execnz .LBB200_281
.LBB200_67:
	s_or_b32 exec_lo, exec_lo, s15
	v_mov_b32_e32 v8, s16
	s_and_saveexec_b32 s15, s14
.LBB200_68:
	v_lshrrev_b32_e32 v8, 24, v0
	s_delay_alu instid0(VALU_DEP_1)
	v_and_or_b32 v8, 0x80, v8, v1
.LBB200_69:
	s_or_b32 exec_lo, exec_lo, s15
.LBB200_70:
	s_delay_alu instid0(SALU_CYCLE_1)
	s_or_b32 exec_lo, exec_lo, s9
	s_mov_b32 s9, 0
	global_store_b8 v[2:3], v8, off
.LBB200_71:
	s_and_b32 vcc_lo, exec_lo, s9
	s_cbranch_vccz .LBB200_81
; %bb.72:
	v_and_b32_e32 v8, 0x7fffffff, v0
	s_mov_b32 s9, exec_lo
                                        ; implicit-def: $vgpr1
	s_delay_alu instid0(VALU_DEP_1)
	v_cmpx_gt_u32_e32 0x43f00000, v8
	s_xor_b32 s9, exec_lo, s9
	s_cbranch_execz .LBB200_78
; %bb.73:
	s_mov_b32 s14, exec_lo
                                        ; implicit-def: $vgpr1
	v_cmpx_lt_u32_e32 0x3c7fffff, v8
	s_xor_b32 s14, exec_lo, s14
; %bb.74:
	v_bfe_u32 v1, v0, 20, 1
	s_delay_alu instid0(VALU_DEP_1) | instskip(NEXT) | instid1(VALU_DEP_1)
	v_add3_u32 v1, v0, v1, 0x407ffff
	v_and_b32_e32 v8, 0xff00000, v1
	v_lshrrev_b32_e32 v1, 20, v1
	s_delay_alu instid0(VALU_DEP_2) | instskip(NEXT) | instid1(VALU_DEP_2)
	v_cmp_ne_u32_e32 vcc_lo, 0x7f00000, v8
	v_cndmask_b32_e32 v1, 0x7e, v1, vcc_lo
; %bb.75:
	s_and_not1_saveexec_b32 s14, s14
; %bb.76:
	v_add_f32_e64 v1, 0x46800000, |v0|
; %bb.77:
	s_or_b32 exec_lo, exec_lo, s14
                                        ; implicit-def: $vgpr8
.LBB200_78:
	s_and_not1_saveexec_b32 s9, s9
; %bb.79:
	v_mov_b32_e32 v1, 0x7f
	v_cmp_lt_u32_e32 vcc_lo, 0x7f800000, v8
	s_delay_alu instid0(VALU_DEP_2)
	v_cndmask_b32_e32 v1, 0x7e, v1, vcc_lo
; %bb.80:
	s_or_b32 exec_lo, exec_lo, s9
	v_lshrrev_b32_e32 v8, 24, v0
	s_delay_alu instid0(VALU_DEP_1)
	v_and_or_b32 v1, 0x80, v8, v1
	global_store_b8 v[2:3], v1, off
.LBB200_81:
	s_mov_b32 s9, 0
.LBB200_82:
	s_delay_alu instid0(SALU_CYCLE_1)
	s_and_not1_b32 vcc_lo, exec_lo, s9
	s_cbranch_vccnz .LBB200_92
; %bb.83:
	v_and_b32_e32 v8, 0x7fffffff, v0
	s_mov_b32 s9, exec_lo
                                        ; implicit-def: $vgpr1
	s_delay_alu instid0(VALU_DEP_1)
	v_cmpx_gt_u32_e32 0x47800000, v8
	s_xor_b32 s9, exec_lo, s9
	s_cbranch_execz .LBB200_89
; %bb.84:
	s_mov_b32 s14, exec_lo
                                        ; implicit-def: $vgpr1
	v_cmpx_lt_u32_e32 0x387fffff, v8
	s_xor_b32 s14, exec_lo, s14
; %bb.85:
	v_bfe_u32 v1, v0, 21, 1
	s_delay_alu instid0(VALU_DEP_1) | instskip(NEXT) | instid1(VALU_DEP_1)
	v_add3_u32 v1, v0, v1, 0x80fffff
	v_lshrrev_b32_e32 v1, 21, v1
; %bb.86:
	s_and_not1_saveexec_b32 s14, s14
; %bb.87:
	v_add_f32_e64 v1, 0x43000000, |v0|
; %bb.88:
	s_or_b32 exec_lo, exec_lo, s14
                                        ; implicit-def: $vgpr8
.LBB200_89:
	s_and_not1_saveexec_b32 s9, s9
; %bb.90:
	v_mov_b32_e32 v1, 0x7f
	v_cmp_lt_u32_e32 vcc_lo, 0x7f800000, v8
	s_delay_alu instid0(VALU_DEP_2)
	v_cndmask_b32_e32 v1, 0x7c, v1, vcc_lo
; %bb.91:
	s_or_b32 exec_lo, exec_lo, s9
	v_lshrrev_b32_e32 v8, 24, v0
	s_delay_alu instid0(VALU_DEP_1)
	v_and_or_b32 v1, 0x80, v8, v1
	global_store_b8 v[2:3], v1, off
.LBB200_92:
	s_mov_b32 s14, 0
	s_mov_b32 s9, -1
.LBB200_93:
	s_and_not1_b32 vcc_lo, exec_lo, s14
	s_cbranch_vccnz .LBB200_101
; %bb.94:
	v_cmp_lt_i16_e32 vcc_lo, 14, v7
	s_mov_b32 s14, -1
	s_cbranch_vccz .LBB200_98
; %bb.95:
	v_cmp_eq_u16_e32 vcc_lo, 15, v7
	s_mov_b32 s0, -1
	s_cbranch_vccz .LBB200_97
; %bb.96:
	v_bfe_u32 v1, v0, 16, 1
	v_cmp_o_f32_e32 vcc_lo, v0, v0
	s_mov_b32 s9, -1
	s_mov_b32 s0, 0
	s_delay_alu instid0(VALU_DEP_2) | instskip(NEXT) | instid1(VALU_DEP_1)
	v_add3_u32 v1, v0, v1, 0x7fff
	v_lshrrev_b32_e32 v1, 16, v1
	s_delay_alu instid0(VALU_DEP_1)
	v_cndmask_b32_e32 v1, 0x7fc0, v1, vcc_lo
	global_store_b16 v[2:3], v1, off
.LBB200_97:
	s_mov_b32 s14, 0
.LBB200_98:
	s_delay_alu instid0(SALU_CYCLE_1)
	s_and_b32 vcc_lo, exec_lo, s14
	s_cbranch_vccz .LBB200_101
; %bb.99:
	v_cmp_eq_u16_e32 vcc_lo, 11, v7
	s_mov_b32 s0, -1
	s_cbranch_vccz .LBB200_101
; %bb.100:
	v_cmp_neq_f32_e32 vcc_lo, 0, v0
	s_mov_b32 s0, 0
	s_mov_b32 s9, -1
	v_cndmask_b32_e64 v1, 0, 1, vcc_lo
	global_store_b8 v[2:3], v1, off
.LBB200_101:
	s_branch .LBB200_20
.LBB200_102:
	v_cmp_gt_i16_e32 vcc_lo, 5, v7
	s_mov_b32 s9, -1
	s_cbranch_vccnz .LBB200_123
; %bb.103:
	v_cmp_gt_i16_e32 vcc_lo, 8, v7
	s_cbranch_vccnz .LBB200_113
; %bb.104:
	v_cmp_gt_i16_e32 vcc_lo, 9, v7
	s_cbranch_vccnz .LBB200_110
; %bb.105:
	v_cmp_lt_i16_e32 vcc_lo, 9, v7
	s_cbranch_vccz .LBB200_107
; %bb.106:
	v_cvt_f64_f32_e32 v[8:9], v0
	v_mov_b32_e32 v10, 0
	s_mov_b32 s9, 0
	s_delay_alu instid0(VALU_DEP_1)
	v_mov_b32_e32 v11, v10
	global_store_b128 v[2:3], v[8:11], off
.LBB200_107:
	s_and_not1_b32 vcc_lo, exec_lo, s9
	s_cbranch_vccnz .LBB200_109
; %bb.108:
	v_mov_b32_e32 v1, 0
	global_store_b64 v[2:3], v[0:1], off
.LBB200_109:
	s_mov_b32 s9, 0
.LBB200_110:
	s_delay_alu instid0(SALU_CYCLE_1)
	s_and_not1_b32 vcc_lo, exec_lo, s9
	s_cbranch_vccnz .LBB200_112
; %bb.111:
	v_cvt_f16_f32_e32 v1, v0
	s_delay_alu instid0(VALU_DEP_1)
	v_and_b32_e32 v1, 0xffff, v1
	global_store_b32 v[2:3], v1, off
.LBB200_112:
	s_mov_b32 s9, 0
.LBB200_113:
	s_delay_alu instid0(SALU_CYCLE_1)
	s_and_not1_b32 vcc_lo, exec_lo, s9
	s_cbranch_vccnz .LBB200_122
; %bb.114:
	v_cmp_gt_i16_e32 vcc_lo, 6, v7
	s_mov_b32 s9, -1
	s_cbranch_vccnz .LBB200_120
; %bb.115:
	v_cmp_lt_i16_e32 vcc_lo, 6, v7
	s_cbranch_vccz .LBB200_117
; %bb.116:
	v_cvt_f64_f32_e32 v[8:9], v0
	s_mov_b32 s9, 0
	global_store_b64 v[2:3], v[8:9], off
.LBB200_117:
	s_and_not1_b32 vcc_lo, exec_lo, s9
	s_cbranch_vccnz .LBB200_119
; %bb.118:
	global_store_b32 v[2:3], v0, off
.LBB200_119:
	s_mov_b32 s9, 0
.LBB200_120:
	s_delay_alu instid0(SALU_CYCLE_1)
	s_and_not1_b32 vcc_lo, exec_lo, s9
	s_cbranch_vccnz .LBB200_122
; %bb.121:
	v_cvt_f16_f32_e32 v1, v0
	global_store_b16 v[2:3], v1, off
.LBB200_122:
	s_mov_b32 s9, 0
.LBB200_123:
	s_delay_alu instid0(SALU_CYCLE_1)
	s_and_not1_b32 vcc_lo, exec_lo, s9
	s_cbranch_vccnz .LBB200_139
; %bb.124:
	v_cmp_gt_i16_e32 vcc_lo, 2, v7
	s_mov_b32 s9, -1
	s_cbranch_vccnz .LBB200_134
; %bb.125:
	v_cmp_gt_i16_e32 vcc_lo, 3, v7
	s_cbranch_vccnz .LBB200_131
; %bb.126:
	v_cmp_lt_i16_e32 vcc_lo, 3, v7
	s_cbranch_vccz .LBB200_128
; %bb.127:
	v_trunc_f32_e32 v1, v0
	s_mov_b32 s9, 0
	s_delay_alu instid0(VALU_DEP_1) | instskip(NEXT) | instid1(VALU_DEP_1)
	v_mul_f32_e64 v8, 0x2f800000, |v1|
	v_floor_f32_e32 v8, v8
	s_delay_alu instid0(VALU_DEP_1) | instskip(SKIP_2) | instid1(VALU_DEP_3)
	v_fma_f32 v9, 0xcf800000, v8, |v1|
	v_ashrrev_i32_e32 v1, 31, v1
	v_cvt_u32_f32_e32 v8, v8
	v_cvt_u32_f32_e32 v9, v9
	s_delay_alu instid0(VALU_DEP_2) | instskip(NEXT) | instid1(VALU_DEP_2)
	v_xor_b32_e32 v10, v8, v1
	v_xor_b32_e32 v9, v9, v1
	s_delay_alu instid0(VALU_DEP_1) | instskip(NEXT) | instid1(VALU_DEP_3)
	v_sub_co_u32 v8, vcc_lo, v9, v1
	v_sub_co_ci_u32_e32 v9, vcc_lo, v10, v1, vcc_lo
	global_store_b64 v[2:3], v[8:9], off
.LBB200_128:
	s_and_not1_b32 vcc_lo, exec_lo, s9
	s_cbranch_vccnz .LBB200_130
; %bb.129:
	v_cvt_i32_f32_e32 v1, v0
	global_store_b32 v[2:3], v1, off
.LBB200_130:
	s_mov_b32 s9, 0
.LBB200_131:
	s_delay_alu instid0(SALU_CYCLE_1)
	s_and_not1_b32 vcc_lo, exec_lo, s9
	s_cbranch_vccnz .LBB200_133
; %bb.132:
	v_cvt_i32_f32_e32 v1, v0
	global_store_b16 v[2:3], v1, off
.LBB200_133:
	s_mov_b32 s9, 0
.LBB200_134:
	s_delay_alu instid0(SALU_CYCLE_1)
	s_and_not1_b32 vcc_lo, exec_lo, s9
	s_cbranch_vccnz .LBB200_139
; %bb.135:
	v_cmp_lt_i16_e32 vcc_lo, 0, v7
	s_mov_b32 s9, -1
	s_cbranch_vccz .LBB200_137
; %bb.136:
	v_cvt_i32_f32_e32 v1, v0
	s_mov_b32 s9, 0
	global_store_b8 v[2:3], v1, off
.LBB200_137:
	s_and_not1_b32 vcc_lo, exec_lo, s9
	s_cbranch_vccnz .LBB200_139
; %bb.138:
	v_trunc_f32_e32 v0, v0
	s_delay_alu instid0(VALU_DEP_1) | instskip(NEXT) | instid1(VALU_DEP_1)
	v_mul_f32_e64 v1, 0x2f800000, |v0|
	v_floor_f32_e32 v1, v1
	s_delay_alu instid0(VALU_DEP_1) | instskip(SKIP_1) | instid1(VALU_DEP_2)
	v_fma_f32 v1, 0xcf800000, v1, |v0|
	v_ashrrev_i32_e32 v0, 31, v0
	v_cvt_u32_f32_e32 v1, v1
	s_delay_alu instid0(VALU_DEP_1) | instskip(NEXT) | instid1(VALU_DEP_1)
	v_xor_b32_e32 v1, v1, v0
	v_sub_nc_u32_e32 v0, v1, v0
	global_store_b8 v[2:3], v0, off
.LBB200_139:
.LBB200_140:
	v_add_nc_u32_e32 v5, 0x80, v5
	s_mov_b32 s14, -1
	s_branch .LBB200_251
.LBB200_141:
	s_mov_b32 s11, -1
                                        ; implicit-def: $vgpr2
.LBB200_142:
	s_mov_b32 s9, 0
.LBB200_143:
	s_delay_alu instid0(SALU_CYCLE_1)
	s_and_b32 vcc_lo, exec_lo, s9
	s_cbranch_vccz .LBB200_147
; %bb.144:
	v_cmp_eq_u16_e32 vcc_lo, 29, v6
	s_cbranch_vccz .LBB200_146
; %bb.145:
	global_load_b64 v[2:3], v[0:1], off
	s_mov_b32 s0, -1
	s_mov_b32 s11, 0
	s_mov_b32 s9, 0
	s_waitcnt vmcnt(0)
	v_clz_i32_u32_e32 v7, v3
	s_delay_alu instid0(VALU_DEP_1) | instskip(NEXT) | instid1(VALU_DEP_1)
	v_min_u32_e32 v7, 32, v7
	v_lshlrev_b64 v[2:3], v7, v[2:3]
	s_delay_alu instid0(VALU_DEP_1) | instskip(NEXT) | instid1(VALU_DEP_1)
	v_min_u32_e32 v2, 1, v2
	v_or_b32_e32 v2, v3, v2
	v_sub_nc_u32_e32 v3, 32, v7
	s_delay_alu instid0(VALU_DEP_2) | instskip(NEXT) | instid1(VALU_DEP_1)
	v_cvt_f32_u32_e32 v2, v2
	v_ldexp_f32 v2, v2, v3
	s_branch .LBB200_148
.LBB200_146:
	s_mov_b32 s11, -1
                                        ; implicit-def: $vgpr2
.LBB200_147:
	s_mov_b32 s9, 0
.LBB200_148:
	s_delay_alu instid0(SALU_CYCLE_1)
	s_and_b32 vcc_lo, exec_lo, s9
	s_cbranch_vccz .LBB200_166
; %bb.149:
	v_cmp_gt_i16_e32 vcc_lo, 27, v6
	s_cbranch_vccnz .LBB200_152
; %bb.150:
	v_cmp_lt_i16_e32 vcc_lo, 27, v6
	s_cbranch_vccz .LBB200_153
; %bb.151:
	global_load_b32 v2, v[0:1], off
	s_mov_b32 s0, 0
	s_waitcnt vmcnt(0)
	v_cvt_f32_u32_e32 v2, v2
	s_branch .LBB200_154
.LBB200_152:
	s_mov_b32 s0, -1
                                        ; implicit-def: $vgpr2
	s_branch .LBB200_157
.LBB200_153:
	s_mov_b32 s0, -1
                                        ; implicit-def: $vgpr2
.LBB200_154:
	s_delay_alu instid0(SALU_CYCLE_1)
	s_and_not1_b32 vcc_lo, exec_lo, s0
	s_cbranch_vccnz .LBB200_156
; %bb.155:
	global_load_u16 v2, v[0:1], off
	s_waitcnt vmcnt(0)
	v_cvt_f32_u32_e32 v2, v2
.LBB200_156:
	s_mov_b32 s0, 0
.LBB200_157:
	s_delay_alu instid0(SALU_CYCLE_1)
	s_and_not1_b32 vcc_lo, exec_lo, s0
	s_cbranch_vccnz .LBB200_165
; %bb.158:
	global_load_u8 v3, v[0:1], off
	s_mov_b32 s0, 0
	s_mov_b32 s14, exec_lo
                                        ; implicit-def: $sgpr9
	s_waitcnt vmcnt(0)
	v_cmpx_lt_i16_e32 0x7f, v3
	s_xor_b32 s14, exec_lo, s14
	s_cbranch_execz .LBB200_178
; %bb.159:
	s_mov_b32 s0, -1
	s_mov_b32 s15, exec_lo
                                        ; implicit-def: $sgpr9
	v_cmpx_eq_u16_e32 0x80, v3
; %bb.160:
	s_mov_b32 s9, 0x7f800001
	s_xor_b32 s0, exec_lo, -1
; %bb.161:
	s_or_b32 exec_lo, exec_lo, s15
	s_delay_alu instid0(SALU_CYCLE_1)
	s_and_b32 s0, s0, exec_lo
	s_or_saveexec_b32 s14, s14
	v_mov_b32_e32 v2, s9
	s_xor_b32 exec_lo, exec_lo, s14
	s_cbranch_execnz .LBB200_179
.LBB200_162:
	s_or_b32 exec_lo, exec_lo, s14
	s_and_saveexec_b32 s9, s0
	s_cbranch_execz .LBB200_164
.LBB200_163:
	v_and_b32_e32 v2, 0xffff, v3
	v_lshlrev_b32_e32 v3, 24, v3
	s_delay_alu instid0(VALU_DEP_2) | instskip(NEXT) | instid1(VALU_DEP_2)
	v_and_b32_e32 v7, 7, v2
	v_and_b32_e32 v3, 0x80000000, v3
	s_delay_alu instid0(VALU_DEP_2) | instskip(NEXT) | instid1(VALU_DEP_1)
	v_clz_i32_u32_e32 v8, v7
	v_min_u32_e32 v8, 32, v8
	s_delay_alu instid0(VALU_DEP_1) | instskip(SKIP_1) | instid1(VALU_DEP_2)
	v_subrev_nc_u32_e32 v9, 28, v8
	v_sub_nc_u32_e32 v8, 29, v8
	v_lshlrev_b32_e32 v9, v9, v2
	v_bfe_u32 v2, v2, 3, 4
	s_delay_alu instid0(VALU_DEP_2) | instskip(NEXT) | instid1(VALU_DEP_2)
	v_and_b32_e32 v9, 7, v9
	v_cmp_eq_u32_e32 vcc_lo, 0, v2
	s_delay_alu instid0(VALU_DEP_2) | instskip(NEXT) | instid1(VALU_DEP_1)
	v_dual_cndmask_b32 v2, v2, v8 :: v_dual_cndmask_b32 v7, v7, v9
	v_lshl_add_u32 v2, v2, 23, 0x3b800000
	s_delay_alu instid0(VALU_DEP_2) | instskip(NEXT) | instid1(VALU_DEP_1)
	v_lshlrev_b32_e32 v7, 20, v7
	v_or3_b32 v2, v3, v2, v7
.LBB200_164:
	s_or_b32 exec_lo, exec_lo, s9
.LBB200_165:
	s_mov_b32 s0, -1
.LBB200_166:
	s_branch .LBB200_201
.LBB200_167:
	v_cmp_lt_i16_e32 vcc_lo, 22, v6
	s_cbranch_vccz .LBB200_177
; %bb.168:
	v_cmp_gt_i16_e32 vcc_lo, 24, v6
	s_cbranch_vccnz .LBB200_180
; %bb.169:
	v_cmp_lt_i16_e32 vcc_lo, 24, v6
	s_cbranch_vccz .LBB200_181
; %bb.170:
	global_load_u8 v3, v[0:1], off
	s_mov_b32 s0, 0
	s_mov_b32 s14, exec_lo
                                        ; implicit-def: $sgpr9
	s_waitcnt vmcnt(0)
	v_cmpx_lt_i16_e32 0x7f, v3
	s_xor_b32 s14, exec_lo, s14
	s_cbranch_execz .LBB200_193
; %bb.171:
	s_mov_b32 s0, -1
	s_mov_b32 s15, exec_lo
                                        ; implicit-def: $sgpr9
	v_cmpx_eq_u16_e32 0x80, v3
; %bb.172:
	s_mov_b32 s9, 0x7f800001
	s_xor_b32 s0, exec_lo, -1
; %bb.173:
	s_or_b32 exec_lo, exec_lo, s15
	s_delay_alu instid0(SALU_CYCLE_1)
	s_and_b32 s0, s0, exec_lo
	s_or_saveexec_b32 s14, s14
	v_mov_b32_e32 v2, s9
	s_xor_b32 exec_lo, exec_lo, s14
	s_cbranch_execnz .LBB200_194
.LBB200_174:
	s_or_b32 exec_lo, exec_lo, s14
	s_and_saveexec_b32 s9, s0
	s_cbranch_execz .LBB200_176
.LBB200_175:
	v_and_b32_e32 v2, 0xffff, v3
	v_lshlrev_b32_e32 v3, 24, v3
	s_delay_alu instid0(VALU_DEP_2) | instskip(NEXT) | instid1(VALU_DEP_2)
	v_and_b32_e32 v7, 3, v2
	v_and_b32_e32 v3, 0x80000000, v3
	s_delay_alu instid0(VALU_DEP_2) | instskip(NEXT) | instid1(VALU_DEP_1)
	v_clz_i32_u32_e32 v8, v7
	v_min_u32_e32 v8, 32, v8
	s_delay_alu instid0(VALU_DEP_1) | instskip(SKIP_1) | instid1(VALU_DEP_2)
	v_subrev_nc_u32_e32 v9, 29, v8
	v_sub_nc_u32_e32 v8, 30, v8
	v_lshlrev_b32_e32 v9, v9, v2
	v_bfe_u32 v2, v2, 2, 5
	s_delay_alu instid0(VALU_DEP_2) | instskip(NEXT) | instid1(VALU_DEP_2)
	v_and_b32_e32 v9, 3, v9
	v_cmp_eq_u32_e32 vcc_lo, 0, v2
	s_delay_alu instid0(VALU_DEP_2) | instskip(NEXT) | instid1(VALU_DEP_1)
	v_dual_cndmask_b32 v2, v2, v8 :: v_dual_cndmask_b32 v7, v7, v9
	v_lshl_add_u32 v2, v2, 23, 0x37800000
	s_delay_alu instid0(VALU_DEP_2) | instskip(NEXT) | instid1(VALU_DEP_1)
	v_lshlrev_b32_e32 v7, 21, v7
	v_or3_b32 v2, v3, v2, v7
.LBB200_176:
	s_or_b32 exec_lo, exec_lo, s9
	s_mov_b32 s0, 0
	s_branch .LBB200_182
.LBB200_177:
	s_mov_b32 s9, -1
                                        ; implicit-def: $vgpr2
	s_branch .LBB200_188
.LBB200_178:
	s_or_saveexec_b32 s14, s14
	v_mov_b32_e32 v2, s9
	s_xor_b32 exec_lo, exec_lo, s14
	s_cbranch_execz .LBB200_162
.LBB200_179:
	v_cmp_ne_u16_e32 vcc_lo, 0, v3
	v_mov_b32_e32 v2, 0
	s_and_not1_b32 s0, s0, exec_lo
	s_and_b32 s9, vcc_lo, exec_lo
	s_delay_alu instid0(SALU_CYCLE_1)
	s_or_b32 s0, s0, s9
	s_or_b32 exec_lo, exec_lo, s14
	s_and_saveexec_b32 s9, s0
	s_cbranch_execnz .LBB200_163
	s_branch .LBB200_164
.LBB200_180:
	s_mov_b32 s0, -1
                                        ; implicit-def: $vgpr2
	s_branch .LBB200_185
.LBB200_181:
	s_mov_b32 s0, -1
                                        ; implicit-def: $vgpr2
.LBB200_182:
	s_delay_alu instid0(SALU_CYCLE_1)
	s_and_b32 vcc_lo, exec_lo, s0
	s_cbranch_vccz .LBB200_184
; %bb.183:
	global_load_u8 v2, v[0:1], off
	s_waitcnt vmcnt(0)
	v_lshlrev_b32_e32 v2, 24, v2
	s_delay_alu instid0(VALU_DEP_1) | instskip(NEXT) | instid1(VALU_DEP_1)
	v_and_b32_e32 v3, 0x7f000000, v2
	v_clz_i32_u32_e32 v7, v3
	v_add_nc_u32_e32 v9, 0x1000000, v3
	v_cmp_ne_u32_e32 vcc_lo, 0, v3
	s_delay_alu instid0(VALU_DEP_3) | instskip(NEXT) | instid1(VALU_DEP_1)
	v_min_u32_e32 v7, 32, v7
	v_sub_nc_u32_e64 v7, v7, 4 clamp
	s_delay_alu instid0(VALU_DEP_1) | instskip(SKIP_1) | instid1(VALU_DEP_2)
	v_lshlrev_b32_e32 v8, v7, v3
	v_lshlrev_b32_e32 v7, 23, v7
	v_lshrrev_b32_e32 v8, 4, v8
	s_delay_alu instid0(VALU_DEP_1) | instskip(SKIP_1) | instid1(VALU_DEP_2)
	v_sub_nc_u32_e32 v7, v8, v7
	v_ashrrev_i32_e32 v8, 8, v9
	v_add_nc_u32_e32 v7, 0x3c000000, v7
	s_delay_alu instid0(VALU_DEP_1) | instskip(NEXT) | instid1(VALU_DEP_1)
	v_and_or_b32 v7, 0x7f800000, v8, v7
	v_cndmask_b32_e32 v3, 0, v7, vcc_lo
	s_delay_alu instid0(VALU_DEP_1)
	v_and_or_b32 v2, 0x80000000, v2, v3
.LBB200_184:
	s_mov_b32 s0, 0
.LBB200_185:
	s_delay_alu instid0(SALU_CYCLE_1)
	s_and_not1_b32 vcc_lo, exec_lo, s0
	s_cbranch_vccnz .LBB200_187
; %bb.186:
	global_load_u8 v2, v[0:1], off
	s_waitcnt vmcnt(0)
	v_lshlrev_b32_e32 v3, 25, v2
	v_lshlrev_b16 v2, 8, v2
	s_delay_alu instid0(VALU_DEP_1) | instskip(SKIP_1) | instid1(VALU_DEP_2)
	v_and_or_b32 v8, 0x7f00, v2, 0.5
	v_bfe_i32 v2, v2, 0, 16
	v_add_f32_e32 v8, -0.5, v8
	v_lshrrev_b32_e32 v7, 4, v3
	v_cmp_gt_u32_e32 vcc_lo, 0x8000000, v3
	s_delay_alu instid0(VALU_DEP_2) | instskip(NEXT) | instid1(VALU_DEP_1)
	v_or_b32_e32 v7, 0x70000000, v7
	v_mul_f32_e32 v7, 0x7800000, v7
	s_delay_alu instid0(VALU_DEP_1) | instskip(NEXT) | instid1(VALU_DEP_1)
	v_cndmask_b32_e32 v3, v7, v8, vcc_lo
	v_and_or_b32 v2, 0x80000000, v2, v3
.LBB200_187:
	s_mov_b32 s9, 0
	s_mov_b32 s0, -1
.LBB200_188:
	s_and_not1_b32 vcc_lo, exec_lo, s9
	s_cbranch_vccnz .LBB200_201
; %bb.189:
	v_cmp_lt_i16_e32 vcc_lo, 14, v6
	s_cbranch_vccz .LBB200_192
; %bb.190:
	v_cmp_eq_u16_e32 vcc_lo, 15, v6
	s_cbranch_vccz .LBB200_195
; %bb.191:
	global_load_u16 v2, v[0:1], off
	s_mov_b32 s0, -1
	s_mov_b32 s11, 0
	s_waitcnt vmcnt(0)
	v_lshlrev_b32_e32 v2, 16, v2
	s_branch .LBB200_196
.LBB200_192:
	s_mov_b32 s9, -1
                                        ; implicit-def: $vgpr2
	s_branch .LBB200_197
.LBB200_193:
	s_or_saveexec_b32 s14, s14
	v_mov_b32_e32 v2, s9
	s_xor_b32 exec_lo, exec_lo, s14
	s_cbranch_execz .LBB200_174
.LBB200_194:
	v_cmp_ne_u16_e32 vcc_lo, 0, v3
	v_mov_b32_e32 v2, 0
	s_and_not1_b32 s0, s0, exec_lo
	s_and_b32 s9, vcc_lo, exec_lo
	s_delay_alu instid0(SALU_CYCLE_1)
	s_or_b32 s0, s0, s9
	s_or_b32 exec_lo, exec_lo, s14
	s_and_saveexec_b32 s9, s0
	s_cbranch_execnz .LBB200_175
	s_branch .LBB200_176
.LBB200_195:
	s_mov_b32 s11, -1
                                        ; implicit-def: $vgpr2
.LBB200_196:
	s_mov_b32 s9, 0
.LBB200_197:
	s_delay_alu instid0(SALU_CYCLE_1)
	s_and_b32 vcc_lo, exec_lo, s9
	s_cbranch_vccz .LBB200_201
; %bb.198:
	v_cmp_eq_u16_e32 vcc_lo, 11, v6
	s_cbranch_vccz .LBB200_200
; %bb.199:
	global_load_u8 v2, v[0:1], off
	s_mov_b32 s11, 0
	s_mov_b32 s0, -1
	s_waitcnt vmcnt(0)
	v_cmp_ne_u16_e32 vcc_lo, 0, v2
	v_cndmask_b32_e64 v2, 0, 1.0, vcc_lo
	s_branch .LBB200_201
.LBB200_200:
	s_mov_b32 s11, -1
                                        ; implicit-def: $vgpr2
.LBB200_201:
	s_branch .LBB200_10
.LBB200_202:
	v_cmp_gt_i16_e32 vcc_lo, 5, v6
	s_cbranch_vccnz .LBB200_207
; %bb.203:
	v_cmp_gt_i16_e32 vcc_lo, 8, v6
	s_cbranch_vccnz .LBB200_208
; %bb.204:
	;; [unrolled: 3-line block ×3, first 2 shown]
	v_cmp_lt_i16_e32 vcc_lo, 9, v6
	s_cbranch_vccz .LBB200_210
; %bb.206:
	global_load_b64 v[2:3], v[0:1], off
	s_mov_b32 s0, 0
	s_waitcnt vmcnt(0)
	v_cvt_f32_f64_e32 v2, v[2:3]
	s_branch .LBB200_211
.LBB200_207:
                                        ; implicit-def: $vgpr2
	s_branch .LBB200_229
.LBB200_208:
	s_mov_b32 s0, -1
                                        ; implicit-def: $vgpr2
	s_branch .LBB200_217
.LBB200_209:
	s_mov_b32 s0, -1
                                        ; implicit-def: $vgpr2
	s_branch .LBB200_214
.LBB200_210:
	s_mov_b32 s0, -1
                                        ; implicit-def: $vgpr2
.LBB200_211:
	s_delay_alu instid0(SALU_CYCLE_1)
	s_and_not1_b32 vcc_lo, exec_lo, s0
	s_cbranch_vccnz .LBB200_213
; %bb.212:
	global_load_b32 v2, v[0:1], off
.LBB200_213:
	s_mov_b32 s0, 0
.LBB200_214:
	s_delay_alu instid0(SALU_CYCLE_1)
	s_and_not1_b32 vcc_lo, exec_lo, s0
	s_cbranch_vccnz .LBB200_216
; %bb.215:
	global_load_b32 v2, v[0:1], off
	s_waitcnt vmcnt(0)
	v_cvt_f32_f16_e32 v2, v2
.LBB200_216:
	s_mov_b32 s0, 0
.LBB200_217:
	s_delay_alu instid0(SALU_CYCLE_1)
	s_and_not1_b32 vcc_lo, exec_lo, s0
	s_cbranch_vccnz .LBB200_228
; %bb.218:
	v_cmp_gt_i16_e32 vcc_lo, 6, v6
	s_cbranch_vccnz .LBB200_221
; %bb.219:
	v_cmp_lt_i16_e32 vcc_lo, 6, v6
	s_cbranch_vccz .LBB200_222
; %bb.220:
	global_load_b64 v[2:3], v[0:1], off
	s_mov_b32 s0, 0
	s_waitcnt vmcnt(0)
	v_cvt_f32_f64_e32 v2, v[2:3]
	s_branch .LBB200_223
.LBB200_221:
	s_mov_b32 s0, -1
                                        ; implicit-def: $vgpr2
	s_branch .LBB200_226
.LBB200_222:
	s_mov_b32 s0, -1
                                        ; implicit-def: $vgpr2
.LBB200_223:
	s_delay_alu instid0(SALU_CYCLE_1)
	s_and_not1_b32 vcc_lo, exec_lo, s0
	s_cbranch_vccnz .LBB200_225
; %bb.224:
	global_load_b32 v2, v[0:1], off
.LBB200_225:
	s_mov_b32 s0, 0
.LBB200_226:
	s_delay_alu instid0(SALU_CYCLE_1)
	s_and_not1_b32 vcc_lo, exec_lo, s0
	s_cbranch_vccnz .LBB200_228
; %bb.227:
	global_load_u16 v2, v[0:1], off
	s_waitcnt vmcnt(0)
	v_cvt_f32_f16_e32 v2, v2
.LBB200_228:
	s_cbranch_execnz .LBB200_248
.LBB200_229:
	v_cmp_gt_i16_e32 vcc_lo, 2, v6
	s_cbranch_vccnz .LBB200_233
; %bb.230:
	v_cmp_gt_i16_e32 vcc_lo, 3, v6
	s_cbranch_vccnz .LBB200_234
; %bb.231:
	v_cmp_lt_i16_e32 vcc_lo, 3, v6
	s_cbranch_vccz .LBB200_235
; %bb.232:
	global_load_b64 v[2:3], v[0:1], off
	s_mov_b32 s0, 0
	s_waitcnt vmcnt(0)
	v_xor_b32_e32 v7, v2, v3
	v_cls_i32_e32 v8, v3
	s_delay_alu instid0(VALU_DEP_2) | instskip(NEXT) | instid1(VALU_DEP_2)
	v_ashrrev_i32_e32 v7, 31, v7
	v_add_nc_u32_e32 v8, -1, v8
	s_delay_alu instid0(VALU_DEP_2) | instskip(NEXT) | instid1(VALU_DEP_1)
	v_add_nc_u32_e32 v7, 32, v7
	v_min_u32_e32 v7, v8, v7
	s_delay_alu instid0(VALU_DEP_1) | instskip(NEXT) | instid1(VALU_DEP_1)
	v_lshlrev_b64 v[2:3], v7, v[2:3]
	v_min_u32_e32 v2, 1, v2
	s_delay_alu instid0(VALU_DEP_1) | instskip(SKIP_1) | instid1(VALU_DEP_2)
	v_or_b32_e32 v2, v3, v2
	v_sub_nc_u32_e32 v3, 32, v7
	v_cvt_f32_i32_e32 v2, v2
	s_delay_alu instid0(VALU_DEP_1)
	v_ldexp_f32 v2, v2, v3
	s_branch .LBB200_236
.LBB200_233:
	s_mov_b32 s0, -1
                                        ; implicit-def: $vgpr2
	s_branch .LBB200_242
.LBB200_234:
	s_mov_b32 s0, -1
                                        ; implicit-def: $vgpr2
	s_branch .LBB200_239
.LBB200_235:
	s_mov_b32 s0, -1
                                        ; implicit-def: $vgpr2
.LBB200_236:
	s_delay_alu instid0(SALU_CYCLE_1)
	s_and_not1_b32 vcc_lo, exec_lo, s0
	s_cbranch_vccnz .LBB200_238
; %bb.237:
	global_load_b32 v2, v[0:1], off
	s_waitcnt vmcnt(0)
	v_cvt_f32_i32_e32 v2, v2
.LBB200_238:
	s_mov_b32 s0, 0
.LBB200_239:
	s_delay_alu instid0(SALU_CYCLE_1)
	s_and_not1_b32 vcc_lo, exec_lo, s0
	s_cbranch_vccnz .LBB200_241
; %bb.240:
	global_load_i16 v2, v[0:1], off
	s_waitcnt vmcnt(0)
	v_cvt_f32_i32_e32 v2, v2
.LBB200_241:
	s_mov_b32 s0, 0
.LBB200_242:
	s_delay_alu instid0(SALU_CYCLE_1)
	s_and_not1_b32 vcc_lo, exec_lo, s0
	s_cbranch_vccnz .LBB200_248
; %bb.243:
	v_cmp_lt_i16_e32 vcc_lo, 0, v6
	s_mov_b32 s0, 0
	s_cbranch_vccz .LBB200_245
; %bb.244:
	global_load_i8 v2, v[0:1], off
	s_waitcnt vmcnt(0)
	v_cvt_f32_i32_e32 v2, v2
	s_branch .LBB200_246
.LBB200_245:
	s_mov_b32 s0, -1
                                        ; implicit-def: $vgpr2
.LBB200_246:
	s_delay_alu instid0(SALU_CYCLE_1)
	s_and_not1_b32 vcc_lo, exec_lo, s0
	s_cbranch_vccnz .LBB200_248
; %bb.247:
	global_load_u8 v0, v[0:1], off
	s_waitcnt vmcnt(0)
	v_cvt_f32_ubyte0_e32 v2, v0
.LBB200_248:
	s_branch .LBB200_11
.LBB200_249:
	s_mov_b32 s0, 0
.LBB200_250:
	s_mov_b32 s14, 0
                                        ; implicit-def: $vgpr5
.LBB200_251:
	s_and_b32 s9, s0, exec_lo
	s_and_b32 s11, s11, exec_lo
	s_or_not1_b32 s15, s14, exec_lo
.LBB200_252:
	s_or_b32 exec_lo, exec_lo, s12
	s_mov_b32 s14, 0
	s_mov_b32 s0, 0
                                        ; implicit-def: $vgpr0_vgpr1
                                        ; implicit-def: $vgpr3
	s_and_saveexec_b32 s12, s15
	s_cbranch_execz .LBB200_860
; %bb.253:
	s_mov_b32 s17, -1
	s_mov_b32 s13, s11
	s_mov_b32 s14, s9
	s_mov_b32 s15, exec_lo
	v_cmpx_gt_i32_e64 s10, v5
	s_cbranch_execz .LBB200_512
; %bb.254:
	v_mul_lo_u32 v0, v5, s3
	v_cmp_gt_i16_e32 vcc_lo, 11, v6
	s_delay_alu instid0(VALU_DEP_2) | instskip(SKIP_1) | instid1(VALU_DEP_1)
	v_ashrrev_i32_e32 v1, 31, v0
	v_add_co_u32 v0, s0, s6, v0
	v_add_co_ci_u32_e64 v1, s0, s7, v1, s0
	s_cbranch_vccnz .LBB200_261
; %bb.255:
	v_cmp_lt_i16_e32 vcc_lo, 25, v6
	s_cbranch_vccz .LBB200_270
; %bb.256:
	v_cmp_lt_i16_e32 vcc_lo, 28, v6
	s_cbranch_vccz .LBB200_272
	;; [unrolled: 3-line block ×4, first 2 shown]
; %bb.259:
	v_cmp_eq_u16_e32 vcc_lo, 46, v6
	s_mov_b32 s14, 0
	s_cbranch_vccz .LBB200_282
; %bb.260:
	global_load_b32 v2, v[0:1], off
	s_mov_b32 s0, -1
	s_mov_b32 s13, 0
	s_waitcnt vmcnt(0)
	v_lshlrev_b32_e32 v2, 16, v2
	s_branch .LBB200_284
.LBB200_261:
	s_mov_b32 s0, 0
	s_mov_b32 s13, s11
                                        ; implicit-def: $vgpr2
	s_cbranch_execnz .LBB200_461
.LBB200_262:
	s_and_not1_b32 vcc_lo, exec_lo, s0
	s_cbranch_vccnz .LBB200_509
.LBB200_263:
	s_waitcnt vmcnt(0)
	s_delay_alu instid0(VALU_DEP_1) | instskip(NEXT) | instid1(VALU_DEP_1)
	v_cvt_f64_f32_e32 v[0:1], v2
	v_rsq_f64_e32 v[2:3], v[0:1]
	s_waitcnt_depctr 0xfff
	v_mul_f64 v[0:1], v[2:3], -v[0:1]
	v_cmp_class_f64_e64 vcc_lo, v[2:3], 0x180
	s_delay_alu instid0(VALU_DEP_2) | instskip(NEXT) | instid1(VALU_DEP_1)
	v_fma_f64 v[0:1], v[0:1], v[2:3], 1.0
	v_mul_f64 v[7:8], v[2:3], v[0:1]
	v_fma_f64 v[0:1], 0x3fd80000, v[0:1], 0.5
	s_delay_alu instid0(VALU_DEP_1) | instskip(SKIP_1) | instid1(VALU_DEP_2)
	v_fma_f64 v[0:1], v[7:8], v[0:1], v[2:3]
	v_and_b32_e32 v7, 0xff, v4
	v_dual_cndmask_b32 v1, v3, v1 :: v_dual_cndmask_b32 v0, v2, v0
	s_delay_alu instid0(VALU_DEP_2) | instskip(NEXT) | instid1(VALU_DEP_2)
	v_cmp_gt_i16_e32 vcc_lo, 11, v7
	v_cvt_f32_f64_e32 v0, v[0:1]
	v_mul_lo_u32 v1, v5, s2
	s_delay_alu instid0(VALU_DEP_1) | instskip(SKIP_1) | instid1(VALU_DEP_1)
	v_ashrrev_i32_e32 v3, 31, v1
	v_add_co_u32 v2, s0, s4, v1
	v_add_co_ci_u32_e64 v3, s0, s5, v3, s0
	s_cbranch_vccnz .LBB200_271
; %bb.264:
	v_cmp_lt_i16_e32 vcc_lo, 25, v7
	s_cbranch_vccz .LBB200_273
; %bb.265:
	v_cmp_lt_i16_e32 vcc_lo, 28, v7
	s_cbranch_vccz .LBB200_275
; %bb.266:
	v_cmp_lt_i16_e32 vcc_lo, 43, v7
	s_cbranch_vccz .LBB200_279
; %bb.267:
	v_cmp_lt_i16_e32 vcc_lo, 45, v7
	s_cbranch_vccz .LBB200_287
; %bb.268:
	v_cmp_eq_u16_e32 vcc_lo, 46, v7
	s_mov_b32 s16, 0
	s_mov_b32 s0, -1
	s_mov_b32 s14, 0
	s_cbranch_vccz .LBB200_288
; %bb.269:
	v_bfe_u32 v1, v0, 16, 1
	v_cmp_o_f32_e32 vcc_lo, v0, v0
	s_mov_b32 s14, -1
	s_mov_b32 s0, 0
	s_delay_alu instid0(VALU_DEP_2) | instskip(NEXT) | instid1(VALU_DEP_1)
	v_add3_u32 v1, v0, v1, 0x7fff
	v_lshrrev_b32_e32 v1, 16, v1
	s_delay_alu instid0(VALU_DEP_1)
	v_cndmask_b32_e32 v1, 0x7fc0, v1, vcc_lo
	global_store_b32 v[2:3], v1, off
	s_branch .LBB200_288
.LBB200_270:
	s_mov_b32 s14, -1
	s_mov_b32 s0, 0
	s_mov_b32 s13, s11
                                        ; implicit-def: $vgpr2
	s_branch .LBB200_425
.LBB200_271:
	s_mov_b32 s16, -1
	s_mov_b32 s14, 0
	s_mov_b32 s0, s9
	s_branch .LBB200_357
.LBB200_272:
	s_mov_b32 s14, -1
	s_mov_b32 s0, 0
	s_mov_b32 s13, s11
                                        ; implicit-def: $vgpr2
	s_branch .LBB200_406
.LBB200_273:
	s_mov_b32 s16, -1
	s_mov_b32 s14, 0
	s_mov_b32 s0, s9
	s_branch .LBB200_315
.LBB200_274:
	s_mov_b32 s14, -1
	s_mov_b32 s0, 0
	s_mov_b32 s13, s11
                                        ; implicit-def: $vgpr2
	s_branch .LBB200_401
.LBB200_275:
	s_mov_b32 s16, -1
	s_mov_b32 s14, 0
	s_mov_b32 s0, s9
	s_branch .LBB200_298
.LBB200_276:
	s_or_saveexec_b32 s15, s15
                                        ; implicit-def: $sgpr16
	s_delay_alu instid0(SALU_CYCLE_1)
	s_xor_b32 exec_lo, exec_lo, s15
	s_cbranch_execz .LBB200_54
.LBB200_277:
	v_add_f32_e64 v1, 0x46000000, |v0|
	s_and_not1_b32 s14, s14, exec_lo
	s_mov_b32 s16, 0
	s_delay_alu instid0(VALU_DEP_1) | instskip(NEXT) | instid1(VALU_DEP_1)
	v_and_b32_e32 v1, 0xff, v1
	v_cmp_ne_u32_e32 vcc_lo, 0, v1
	s_and_b32 s17, vcc_lo, exec_lo
	s_delay_alu instid0(SALU_CYCLE_1)
	s_or_b32 s14, s14, s17
	s_or_b32 exec_lo, exec_lo, s15
	v_mov_b32_e32 v8, s16
	s_and_saveexec_b32 s15, s14
	s_cbranch_execnz .LBB200_55
	s_branch .LBB200_56
.LBB200_278:
	s_mov_b32 s14, -1
	s_mov_b32 s0, 0
	s_mov_b32 s13, s11
	s_branch .LBB200_283
.LBB200_279:
	s_mov_b32 s16, -1
	s_mov_b32 s14, 0
	s_mov_b32 s0, s9
	s_branch .LBB200_294
.LBB200_280:
	s_or_saveexec_b32 s15, s15
                                        ; implicit-def: $sgpr16
	s_delay_alu instid0(SALU_CYCLE_1)
	s_xor_b32 exec_lo, exec_lo, s15
	s_cbranch_execz .LBB200_67
.LBB200_281:
	v_add_f32_e64 v1, 0x42800000, |v0|
	s_and_not1_b32 s14, s14, exec_lo
	s_mov_b32 s16, 0
	s_delay_alu instid0(VALU_DEP_1) | instskip(NEXT) | instid1(VALU_DEP_1)
	v_and_b32_e32 v1, 0xff, v1
	v_cmp_ne_u32_e32 vcc_lo, 0, v1
	s_and_b32 s17, vcc_lo, exec_lo
	s_delay_alu instid0(SALU_CYCLE_1)
	s_or_b32 s14, s14, s17
	s_or_b32 exec_lo, exec_lo, s15
	v_mov_b32_e32 v8, s16
	s_and_saveexec_b32 s15, s14
	s_cbranch_execnz .LBB200_68
	s_branch .LBB200_69
.LBB200_282:
	s_mov_b32 s13, -1
	s_mov_b32 s0, 0
.LBB200_283:
                                        ; implicit-def: $vgpr2
.LBB200_284:
	s_and_b32 vcc_lo, exec_lo, s14
	s_cbranch_vccz .LBB200_400
; %bb.285:
	v_cmp_eq_u16_e32 vcc_lo, 44, v6
	s_cbranch_vccz .LBB200_399
; %bb.286:
	global_load_u8 v2, v[0:1], off
	s_mov_b32 s13, 0
	s_mov_b32 s0, -1
	s_waitcnt vmcnt(0)
	v_lshlrev_b32_e32 v3, 23, v2
	v_cmp_ne_u32_e32 vcc_lo, 0xff, v2
	s_delay_alu instid0(VALU_DEP_2) | instskip(SKIP_1) | instid1(VALU_DEP_2)
	v_cndmask_b32_e32 v3, 0x7f800001, v3, vcc_lo
	v_cmp_ne_u32_e32 vcc_lo, 0, v2
	v_cndmask_b32_e32 v2, 0x400000, v3, vcc_lo
	s_branch .LBB200_400
.LBB200_287:
	s_mov_b32 s16, -1
	s_mov_b32 s14, 0
	s_mov_b32 s0, s9
.LBB200_288:
	s_and_b32 vcc_lo, exec_lo, s16
	s_cbranch_vccz .LBB200_293
; %bb.289:
	v_cmp_eq_u16_e32 vcc_lo, 44, v7
	s_mov_b32 s0, -1
	s_cbranch_vccz .LBB200_293
; %bb.290:
	v_bfe_u32 v8, v0, 23, 8
	v_mov_b32_e32 v1, 0xff
	s_mov_b32 s14, exec_lo
	s_delay_alu instid0(VALU_DEP_2)
	v_cmpx_ne_u32_e32 0xff, v8
; %bb.291:
	v_and_b32_e32 v1, 0x400000, v0
	v_and_or_b32 v8, 0x3fffff, v0, v8
	s_delay_alu instid0(VALU_DEP_2) | instskip(NEXT) | instid1(VALU_DEP_2)
	v_cmp_ne_u32_e32 vcc_lo, 0, v1
	v_cmp_ne_u32_e64 s0, 0, v8
	v_lshrrev_b32_e32 v1, 23, v0
	s_delay_alu instid0(VALU_DEP_2) | instskip(NEXT) | instid1(SALU_CYCLE_1)
	s_and_b32 s0, vcc_lo, s0
	v_cndmask_b32_e64 v8, 0, 1, s0
	s_delay_alu instid0(VALU_DEP_1)
	v_add_nc_u32_e32 v1, v1, v8
; %bb.292:
	s_or_b32 exec_lo, exec_lo, s14
	s_mov_b32 s14, -1
	s_mov_b32 s0, 0
	global_store_b8 v[2:3], v1, off
.LBB200_293:
	s_mov_b32 s16, 0
.LBB200_294:
	s_delay_alu instid0(SALU_CYCLE_1)
	s_and_b32 vcc_lo, exec_lo, s16
	s_cbranch_vccz .LBB200_297
; %bb.295:
	v_cmp_eq_u16_e32 vcc_lo, 29, v7
	s_mov_b32 s0, -1
	s_cbranch_vccz .LBB200_297
; %bb.296:
	v_trunc_f32_e32 v1, v0
	s_mov_b32 s14, -1
	s_mov_b32 s0, 0
	s_mov_b32 s16, 0
	s_delay_alu instid0(VALU_DEP_1) | instskip(NEXT) | instid1(VALU_DEP_1)
	v_mul_f32_e32 v8, 0x2f800000, v1
	v_floor_f32_e32 v8, v8
	s_delay_alu instid0(VALU_DEP_1) | instskip(SKIP_1) | instid1(VALU_DEP_2)
	v_fmamk_f32 v1, v8, 0xcf800000, v1
	v_cvt_u32_f32_e32 v9, v8
	v_cvt_u32_f32_e32 v8, v1
	global_store_b64 v[2:3], v[8:9], off
	s_branch .LBB200_298
.LBB200_297:
	s_mov_b32 s16, 0
.LBB200_298:
	s_delay_alu instid0(SALU_CYCLE_1)
	s_and_b32 vcc_lo, exec_lo, s16
	s_cbranch_vccz .LBB200_314
; %bb.299:
	v_cmp_gt_i16_e32 vcc_lo, 27, v7
	s_mov_b32 s14, -1
	s_cbranch_vccnz .LBB200_305
; %bb.300:
	v_cmp_lt_i16_e32 vcc_lo, 27, v7
	s_cbranch_vccz .LBB200_302
; %bb.301:
	v_cvt_u32_f32_e32 v1, v0
	s_mov_b32 s14, 0
	global_store_b32 v[2:3], v1, off
.LBB200_302:
	s_and_not1_b32 vcc_lo, exec_lo, s14
	s_cbranch_vccnz .LBB200_304
; %bb.303:
	v_cvt_u32_f32_e32 v1, v0
	global_store_b16 v[2:3], v1, off
.LBB200_304:
	s_mov_b32 s14, 0
.LBB200_305:
	s_delay_alu instid0(SALU_CYCLE_1)
	s_and_not1_b32 vcc_lo, exec_lo, s14
	s_cbranch_vccnz .LBB200_313
; %bb.306:
	v_and_b32_e32 v1, 0x7fffffff, v0
	v_mov_b32_e32 v8, 0x80
	s_mov_b32 s14, exec_lo
	s_delay_alu instid0(VALU_DEP_2)
	v_cmpx_gt_u32_e32 0x43800000, v1
	s_cbranch_execz .LBB200_312
; %bb.307:
	v_cmp_lt_u32_e32 vcc_lo, 0x3bffffff, v1
	s_mov_b32 s16, 0
                                        ; implicit-def: $vgpr1
	s_and_saveexec_b32 s17, vcc_lo
	s_delay_alu instid0(SALU_CYCLE_1)
	s_xor_b32 s17, exec_lo, s17
	s_cbranch_execz .LBB200_525
; %bb.308:
	v_bfe_u32 v1, v0, 20, 1
	s_mov_b32 s16, exec_lo
	s_delay_alu instid0(VALU_DEP_1) | instskip(NEXT) | instid1(VALU_DEP_1)
	v_add3_u32 v1, v0, v1, 0x487ffff
	v_lshrrev_b32_e32 v1, 20, v1
	s_or_saveexec_b32 s17, s17
                                        ; implicit-def: $sgpr18
	s_delay_alu instid0(SALU_CYCLE_1)
	s_xor_b32 exec_lo, exec_lo, s17
	s_cbranch_execnz .LBB200_526
.LBB200_309:
	s_or_b32 exec_lo, exec_lo, s17
	v_mov_b32_e32 v8, s18
	s_and_saveexec_b32 s17, s16
.LBB200_310:
	v_lshrrev_b32_e32 v8, 24, v0
	s_delay_alu instid0(VALU_DEP_1)
	v_and_or_b32 v8, 0x80, v8, v1
.LBB200_311:
	s_or_b32 exec_lo, exec_lo, s17
.LBB200_312:
	s_delay_alu instid0(SALU_CYCLE_1)
	s_or_b32 exec_lo, exec_lo, s14
	global_store_b8 v[2:3], v8, off
.LBB200_313:
	s_mov_b32 s14, -1
.LBB200_314:
	s_mov_b32 s16, 0
.LBB200_315:
	s_delay_alu instid0(SALU_CYCLE_1)
	s_and_b32 vcc_lo, exec_lo, s16
	s_cbranch_vccz .LBB200_356
; %bb.316:
	v_cmp_lt_i16_e32 vcc_lo, 22, v7
	s_mov_b32 s16, -1
	s_cbranch_vccz .LBB200_348
; %bb.317:
	v_cmp_gt_i16_e32 vcc_lo, 24, v7
	s_mov_b32 s14, -1
	s_cbranch_vccnz .LBB200_337
; %bb.318:
	v_cmp_lt_i16_e32 vcc_lo, 24, v7
	s_cbranch_vccz .LBB200_326
; %bb.319:
	v_and_b32_e32 v1, 0x7fffffff, v0
	v_mov_b32_e32 v8, 0x80
	s_mov_b32 s14, exec_lo
	s_delay_alu instid0(VALU_DEP_2)
	v_cmpx_gt_u32_e32 0x47800000, v1
	s_cbranch_execz .LBB200_325
; %bb.320:
	v_cmp_lt_u32_e32 vcc_lo, 0x37ffffff, v1
	s_mov_b32 s16, 0
                                        ; implicit-def: $vgpr1
	s_and_saveexec_b32 s17, vcc_lo
	s_delay_alu instid0(SALU_CYCLE_1)
	s_xor_b32 s17, exec_lo, s17
	s_cbranch_execz .LBB200_528
; %bb.321:
	v_bfe_u32 v1, v0, 21, 1
	s_mov_b32 s16, exec_lo
	s_delay_alu instid0(VALU_DEP_1) | instskip(NEXT) | instid1(VALU_DEP_1)
	v_add3_u32 v1, v0, v1, 0x88fffff
	v_lshrrev_b32_e32 v1, 21, v1
	s_or_saveexec_b32 s17, s17
                                        ; implicit-def: $sgpr18
	s_delay_alu instid0(SALU_CYCLE_1)
	s_xor_b32 exec_lo, exec_lo, s17
	s_cbranch_execnz .LBB200_529
.LBB200_322:
	s_or_b32 exec_lo, exec_lo, s17
	v_mov_b32_e32 v8, s18
	s_and_saveexec_b32 s17, s16
.LBB200_323:
	v_lshrrev_b32_e32 v8, 24, v0
	s_delay_alu instid0(VALU_DEP_1)
	v_and_or_b32 v8, 0x80, v8, v1
.LBB200_324:
	s_or_b32 exec_lo, exec_lo, s17
.LBB200_325:
	s_delay_alu instid0(SALU_CYCLE_1)
	s_or_b32 exec_lo, exec_lo, s14
	s_mov_b32 s14, 0
	global_store_b8 v[2:3], v8, off
.LBB200_326:
	s_and_b32 vcc_lo, exec_lo, s14
	s_cbranch_vccz .LBB200_336
; %bb.327:
	v_and_b32_e32 v8, 0x7fffffff, v0
	s_mov_b32 s14, exec_lo
                                        ; implicit-def: $vgpr1
	s_delay_alu instid0(VALU_DEP_1)
	v_cmpx_gt_u32_e32 0x43f00000, v8
	s_xor_b32 s14, exec_lo, s14
	s_cbranch_execz .LBB200_333
; %bb.328:
	s_mov_b32 s16, exec_lo
                                        ; implicit-def: $vgpr1
	v_cmpx_lt_u32_e32 0x3c7fffff, v8
	s_xor_b32 s16, exec_lo, s16
; %bb.329:
	v_bfe_u32 v1, v0, 20, 1
	s_delay_alu instid0(VALU_DEP_1) | instskip(NEXT) | instid1(VALU_DEP_1)
	v_add3_u32 v1, v0, v1, 0x407ffff
	v_and_b32_e32 v8, 0xff00000, v1
	v_lshrrev_b32_e32 v1, 20, v1
	s_delay_alu instid0(VALU_DEP_2) | instskip(NEXT) | instid1(VALU_DEP_2)
	v_cmp_ne_u32_e32 vcc_lo, 0x7f00000, v8
	v_cndmask_b32_e32 v1, 0x7e, v1, vcc_lo
; %bb.330:
	s_and_not1_saveexec_b32 s16, s16
; %bb.331:
	v_add_f32_e64 v1, 0x46800000, |v0|
; %bb.332:
	s_or_b32 exec_lo, exec_lo, s16
                                        ; implicit-def: $vgpr8
.LBB200_333:
	s_and_not1_saveexec_b32 s14, s14
; %bb.334:
	v_mov_b32_e32 v1, 0x7f
	v_cmp_lt_u32_e32 vcc_lo, 0x7f800000, v8
	s_delay_alu instid0(VALU_DEP_2)
	v_cndmask_b32_e32 v1, 0x7e, v1, vcc_lo
; %bb.335:
	s_or_b32 exec_lo, exec_lo, s14
	v_lshrrev_b32_e32 v8, 24, v0
	s_delay_alu instid0(VALU_DEP_1)
	v_and_or_b32 v1, 0x80, v8, v1
	global_store_b8 v[2:3], v1, off
.LBB200_336:
	s_mov_b32 s14, 0
.LBB200_337:
	s_delay_alu instid0(SALU_CYCLE_1)
	s_and_not1_b32 vcc_lo, exec_lo, s14
	s_cbranch_vccnz .LBB200_347
; %bb.338:
	v_and_b32_e32 v8, 0x7fffffff, v0
	s_mov_b32 s14, exec_lo
                                        ; implicit-def: $vgpr1
	s_delay_alu instid0(VALU_DEP_1)
	v_cmpx_gt_u32_e32 0x47800000, v8
	s_xor_b32 s14, exec_lo, s14
	s_cbranch_execz .LBB200_344
; %bb.339:
	s_mov_b32 s16, exec_lo
                                        ; implicit-def: $vgpr1
	v_cmpx_lt_u32_e32 0x387fffff, v8
	s_xor_b32 s16, exec_lo, s16
; %bb.340:
	v_bfe_u32 v1, v0, 21, 1
	s_delay_alu instid0(VALU_DEP_1) | instskip(NEXT) | instid1(VALU_DEP_1)
	v_add3_u32 v1, v0, v1, 0x80fffff
	v_lshrrev_b32_e32 v1, 21, v1
; %bb.341:
	s_and_not1_saveexec_b32 s16, s16
; %bb.342:
	v_add_f32_e64 v1, 0x43000000, |v0|
; %bb.343:
	s_or_b32 exec_lo, exec_lo, s16
                                        ; implicit-def: $vgpr8
.LBB200_344:
	s_and_not1_saveexec_b32 s14, s14
; %bb.345:
	v_mov_b32_e32 v1, 0x7f
	v_cmp_lt_u32_e32 vcc_lo, 0x7f800000, v8
	s_delay_alu instid0(VALU_DEP_2)
	v_cndmask_b32_e32 v1, 0x7c, v1, vcc_lo
; %bb.346:
	s_or_b32 exec_lo, exec_lo, s14
	v_lshrrev_b32_e32 v8, 24, v0
	s_delay_alu instid0(VALU_DEP_1)
	v_and_or_b32 v1, 0x80, v8, v1
	global_store_b8 v[2:3], v1, off
.LBB200_347:
	s_mov_b32 s16, 0
	s_mov_b32 s14, -1
.LBB200_348:
	s_and_not1_b32 vcc_lo, exec_lo, s16
	s_cbranch_vccnz .LBB200_356
; %bb.349:
	v_cmp_lt_i16_e32 vcc_lo, 14, v7
	s_mov_b32 s16, -1
	s_cbranch_vccz .LBB200_353
; %bb.350:
	v_cmp_eq_u16_e32 vcc_lo, 15, v7
	s_mov_b32 s0, -1
	s_cbranch_vccz .LBB200_352
; %bb.351:
	v_bfe_u32 v1, v0, 16, 1
	v_cmp_o_f32_e32 vcc_lo, v0, v0
	s_mov_b32 s14, -1
	s_mov_b32 s0, 0
	s_delay_alu instid0(VALU_DEP_2) | instskip(NEXT) | instid1(VALU_DEP_1)
	v_add3_u32 v1, v0, v1, 0x7fff
	v_lshrrev_b32_e32 v1, 16, v1
	s_delay_alu instid0(VALU_DEP_1)
	v_cndmask_b32_e32 v1, 0x7fc0, v1, vcc_lo
	global_store_b16 v[2:3], v1, off
.LBB200_352:
	s_mov_b32 s16, 0
.LBB200_353:
	s_delay_alu instid0(SALU_CYCLE_1)
	s_and_b32 vcc_lo, exec_lo, s16
	s_cbranch_vccz .LBB200_356
; %bb.354:
	v_cmp_eq_u16_e32 vcc_lo, 11, v7
	s_mov_b32 s0, -1
	s_cbranch_vccz .LBB200_356
; %bb.355:
	v_cmp_neq_f32_e32 vcc_lo, 0, v0
	s_mov_b32 s0, 0
	s_mov_b32 s14, -1
	v_cndmask_b32_e64 v1, 0, 1, vcc_lo
	global_store_b8 v[2:3], v1, off
.LBB200_356:
	s_mov_b32 s16, 0
.LBB200_357:
	s_delay_alu instid0(SALU_CYCLE_1)
	s_and_b32 vcc_lo, exec_lo, s16
	s_cbranch_vccz .LBB200_396
; %bb.358:
	v_cmp_gt_i16_e32 vcc_lo, 5, v7
	s_mov_b32 s14, -1
	s_cbranch_vccnz .LBB200_379
; %bb.359:
	v_cmp_gt_i16_e32 vcc_lo, 8, v7
	s_cbranch_vccnz .LBB200_369
; %bb.360:
	v_cmp_gt_i16_e32 vcc_lo, 9, v7
	s_cbranch_vccnz .LBB200_366
; %bb.361:
	v_cmp_lt_i16_e32 vcc_lo, 9, v7
	s_cbranch_vccz .LBB200_363
; %bb.362:
	v_cvt_f64_f32_e32 v[8:9], v0
	v_mov_b32_e32 v10, 0
	s_mov_b32 s14, 0
	s_delay_alu instid0(VALU_DEP_1)
	v_mov_b32_e32 v11, v10
	global_store_b128 v[2:3], v[8:11], off
.LBB200_363:
	s_and_not1_b32 vcc_lo, exec_lo, s14
	s_cbranch_vccnz .LBB200_365
; %bb.364:
	v_mov_b32_e32 v1, 0
	global_store_b64 v[2:3], v[0:1], off
.LBB200_365:
	s_mov_b32 s14, 0
.LBB200_366:
	s_delay_alu instid0(SALU_CYCLE_1)
	s_and_not1_b32 vcc_lo, exec_lo, s14
	s_cbranch_vccnz .LBB200_368
; %bb.367:
	v_cvt_f16_f32_e32 v1, v0
	s_delay_alu instid0(VALU_DEP_1)
	v_and_b32_e32 v1, 0xffff, v1
	global_store_b32 v[2:3], v1, off
.LBB200_368:
	s_mov_b32 s14, 0
.LBB200_369:
	s_delay_alu instid0(SALU_CYCLE_1)
	s_and_not1_b32 vcc_lo, exec_lo, s14
	s_cbranch_vccnz .LBB200_378
; %bb.370:
	v_cmp_gt_i16_e32 vcc_lo, 6, v7
	s_mov_b32 s14, -1
	s_cbranch_vccnz .LBB200_376
; %bb.371:
	v_cmp_lt_i16_e32 vcc_lo, 6, v7
	s_cbranch_vccz .LBB200_373
; %bb.372:
	v_cvt_f64_f32_e32 v[8:9], v0
	s_mov_b32 s14, 0
	global_store_b64 v[2:3], v[8:9], off
.LBB200_373:
	s_and_not1_b32 vcc_lo, exec_lo, s14
	s_cbranch_vccnz .LBB200_375
; %bb.374:
	global_store_b32 v[2:3], v0, off
.LBB200_375:
	s_mov_b32 s14, 0
.LBB200_376:
	s_delay_alu instid0(SALU_CYCLE_1)
	s_and_not1_b32 vcc_lo, exec_lo, s14
	s_cbranch_vccnz .LBB200_378
; %bb.377:
	v_cvt_f16_f32_e32 v1, v0
	global_store_b16 v[2:3], v1, off
.LBB200_378:
	s_mov_b32 s14, 0
.LBB200_379:
	s_delay_alu instid0(SALU_CYCLE_1)
	s_and_not1_b32 vcc_lo, exec_lo, s14
	s_cbranch_vccnz .LBB200_395
; %bb.380:
	v_cmp_gt_i16_e32 vcc_lo, 2, v7
	s_mov_b32 s14, -1
	s_cbranch_vccnz .LBB200_390
; %bb.381:
	v_cmp_gt_i16_e32 vcc_lo, 3, v7
	s_cbranch_vccnz .LBB200_387
; %bb.382:
	v_cmp_lt_i16_e32 vcc_lo, 3, v7
	s_cbranch_vccz .LBB200_384
; %bb.383:
	v_trunc_f32_e32 v1, v0
	s_mov_b32 s14, 0
	s_delay_alu instid0(VALU_DEP_1) | instskip(NEXT) | instid1(VALU_DEP_1)
	v_mul_f32_e64 v8, 0x2f800000, |v1|
	v_floor_f32_e32 v8, v8
	s_delay_alu instid0(VALU_DEP_1) | instskip(SKIP_2) | instid1(VALU_DEP_3)
	v_fma_f32 v9, 0xcf800000, v8, |v1|
	v_ashrrev_i32_e32 v1, 31, v1
	v_cvt_u32_f32_e32 v8, v8
	v_cvt_u32_f32_e32 v9, v9
	s_delay_alu instid0(VALU_DEP_2) | instskip(NEXT) | instid1(VALU_DEP_2)
	v_xor_b32_e32 v10, v8, v1
	v_xor_b32_e32 v9, v9, v1
	s_delay_alu instid0(VALU_DEP_1) | instskip(NEXT) | instid1(VALU_DEP_3)
	v_sub_co_u32 v8, vcc_lo, v9, v1
	v_sub_co_ci_u32_e32 v9, vcc_lo, v10, v1, vcc_lo
	global_store_b64 v[2:3], v[8:9], off
.LBB200_384:
	s_and_not1_b32 vcc_lo, exec_lo, s14
	s_cbranch_vccnz .LBB200_386
; %bb.385:
	v_cvt_i32_f32_e32 v1, v0
	global_store_b32 v[2:3], v1, off
.LBB200_386:
	s_mov_b32 s14, 0
.LBB200_387:
	s_delay_alu instid0(SALU_CYCLE_1)
	s_and_not1_b32 vcc_lo, exec_lo, s14
	s_cbranch_vccnz .LBB200_389
; %bb.388:
	v_cvt_i32_f32_e32 v1, v0
	global_store_b16 v[2:3], v1, off
.LBB200_389:
	s_mov_b32 s14, 0
.LBB200_390:
	s_delay_alu instid0(SALU_CYCLE_1)
	s_and_not1_b32 vcc_lo, exec_lo, s14
	s_cbranch_vccnz .LBB200_395
; %bb.391:
	v_cmp_lt_i16_e32 vcc_lo, 0, v7
	s_mov_b32 s14, -1
	s_cbranch_vccz .LBB200_393
; %bb.392:
	v_cvt_i32_f32_e32 v1, v0
	s_mov_b32 s14, 0
	global_store_b8 v[2:3], v1, off
.LBB200_393:
	s_and_not1_b32 vcc_lo, exec_lo, s14
	s_cbranch_vccnz .LBB200_395
; %bb.394:
	v_trunc_f32_e32 v0, v0
	s_delay_alu instid0(VALU_DEP_1) | instskip(NEXT) | instid1(VALU_DEP_1)
	v_mul_f32_e64 v1, 0x2f800000, |v0|
	v_floor_f32_e32 v1, v1
	s_delay_alu instid0(VALU_DEP_1) | instskip(SKIP_1) | instid1(VALU_DEP_2)
	v_fma_f32 v1, 0xcf800000, v1, |v0|
	v_ashrrev_i32_e32 v0, 31, v0
	v_cvt_u32_f32_e32 v1, v1
	s_delay_alu instid0(VALU_DEP_1) | instskip(NEXT) | instid1(VALU_DEP_1)
	v_xor_b32_e32 v1, v1, v0
	v_sub_nc_u32_e32 v0, v1, v0
	global_store_b8 v[2:3], v0, off
.LBB200_395:
	s_mov_b32 s14, -1
.LBB200_396:
	s_delay_alu instid0(SALU_CYCLE_1)
	s_and_not1_b32 vcc_lo, exec_lo, s14
	s_cbranch_vccnz .LBB200_398
; %bb.397:
	v_add_nc_u32_e32 v5, 0x80, v5
	s_mov_b32 s16, -1
	s_branch .LBB200_511
.LBB200_398:
	s_mov_b32 s16, 0
	s_branch .LBB200_510
.LBB200_399:
	s_mov_b32 s13, -1
                                        ; implicit-def: $vgpr2
.LBB200_400:
	s_mov_b32 s14, 0
.LBB200_401:
	s_delay_alu instid0(SALU_CYCLE_1)
	s_and_b32 vcc_lo, exec_lo, s14
	s_cbranch_vccz .LBB200_405
; %bb.402:
	v_cmp_eq_u16_e32 vcc_lo, 29, v6
	s_cbranch_vccz .LBB200_404
; %bb.403:
	global_load_b64 v[2:3], v[0:1], off
	s_mov_b32 s0, -1
	s_mov_b32 s13, 0
	s_mov_b32 s14, 0
	s_waitcnt vmcnt(0)
	v_clz_i32_u32_e32 v7, v3
	s_delay_alu instid0(VALU_DEP_1) | instskip(NEXT) | instid1(VALU_DEP_1)
	v_min_u32_e32 v7, 32, v7
	v_lshlrev_b64 v[2:3], v7, v[2:3]
	s_delay_alu instid0(VALU_DEP_1) | instskip(NEXT) | instid1(VALU_DEP_1)
	v_min_u32_e32 v2, 1, v2
	v_or_b32_e32 v2, v3, v2
	v_sub_nc_u32_e32 v3, 32, v7
	s_delay_alu instid0(VALU_DEP_2) | instskip(NEXT) | instid1(VALU_DEP_1)
	v_cvt_f32_u32_e32 v2, v2
	v_ldexp_f32 v2, v2, v3
	s_branch .LBB200_406
.LBB200_404:
	s_mov_b32 s13, -1
                                        ; implicit-def: $vgpr2
.LBB200_405:
	s_mov_b32 s14, 0
.LBB200_406:
	s_delay_alu instid0(SALU_CYCLE_1)
	s_and_b32 vcc_lo, exec_lo, s14
	s_cbranch_vccz .LBB200_424
; %bb.407:
	v_cmp_gt_i16_e32 vcc_lo, 27, v6
	s_cbranch_vccnz .LBB200_410
; %bb.408:
	v_cmp_lt_i16_e32 vcc_lo, 27, v6
	s_cbranch_vccz .LBB200_411
; %bb.409:
	global_load_b32 v2, v[0:1], off
	s_mov_b32 s0, 0
	s_waitcnt vmcnt(0)
	v_cvt_f32_u32_e32 v2, v2
	s_branch .LBB200_412
.LBB200_410:
	s_mov_b32 s0, -1
                                        ; implicit-def: $vgpr2
	s_branch .LBB200_415
.LBB200_411:
	s_mov_b32 s0, -1
                                        ; implicit-def: $vgpr2
.LBB200_412:
	s_delay_alu instid0(SALU_CYCLE_1)
	s_and_not1_b32 vcc_lo, exec_lo, s0
	s_cbranch_vccnz .LBB200_414
; %bb.413:
	global_load_u16 v2, v[0:1], off
	s_waitcnt vmcnt(0)
	v_cvt_f32_u32_e32 v2, v2
.LBB200_414:
	s_mov_b32 s0, 0
.LBB200_415:
	s_delay_alu instid0(SALU_CYCLE_1)
	s_and_not1_b32 vcc_lo, exec_lo, s0
	s_cbranch_vccnz .LBB200_423
; %bb.416:
	global_load_u8 v3, v[0:1], off
	s_mov_b32 s0, 0
	s_mov_b32 s16, exec_lo
                                        ; implicit-def: $sgpr14
	s_waitcnt vmcnt(0)
	v_cmpx_lt_i16_e32 0x7f, v3
	s_xor_b32 s16, exec_lo, s16
	s_cbranch_execz .LBB200_437
; %bb.417:
	s_mov_b32 s0, -1
	s_mov_b32 s17, exec_lo
                                        ; implicit-def: $sgpr14
	v_cmpx_eq_u16_e32 0x80, v3
; %bb.418:
	s_mov_b32 s14, 0x7f800001
	s_xor_b32 s0, exec_lo, -1
; %bb.419:
	s_or_b32 exec_lo, exec_lo, s17
	s_delay_alu instid0(SALU_CYCLE_1)
	s_and_b32 s0, s0, exec_lo
	s_or_saveexec_b32 s16, s16
	v_mov_b32_e32 v2, s14
	s_xor_b32 exec_lo, exec_lo, s16
	s_cbranch_execnz .LBB200_438
.LBB200_420:
	s_or_b32 exec_lo, exec_lo, s16
	s_and_saveexec_b32 s14, s0
	s_cbranch_execz .LBB200_422
.LBB200_421:
	v_and_b32_e32 v2, 0xffff, v3
	v_lshlrev_b32_e32 v3, 24, v3
	s_delay_alu instid0(VALU_DEP_2) | instskip(NEXT) | instid1(VALU_DEP_2)
	v_and_b32_e32 v7, 7, v2
	v_and_b32_e32 v3, 0x80000000, v3
	s_delay_alu instid0(VALU_DEP_2) | instskip(NEXT) | instid1(VALU_DEP_1)
	v_clz_i32_u32_e32 v8, v7
	v_min_u32_e32 v8, 32, v8
	s_delay_alu instid0(VALU_DEP_1) | instskip(SKIP_1) | instid1(VALU_DEP_2)
	v_subrev_nc_u32_e32 v9, 28, v8
	v_sub_nc_u32_e32 v8, 29, v8
	v_lshlrev_b32_e32 v9, v9, v2
	v_bfe_u32 v2, v2, 3, 4
	s_delay_alu instid0(VALU_DEP_2) | instskip(NEXT) | instid1(VALU_DEP_2)
	v_and_b32_e32 v9, 7, v9
	v_cmp_eq_u32_e32 vcc_lo, 0, v2
	s_delay_alu instid0(VALU_DEP_2) | instskip(NEXT) | instid1(VALU_DEP_1)
	v_dual_cndmask_b32 v2, v2, v8 :: v_dual_cndmask_b32 v7, v7, v9
	v_lshl_add_u32 v2, v2, 23, 0x3b800000
	s_delay_alu instid0(VALU_DEP_2) | instskip(NEXT) | instid1(VALU_DEP_1)
	v_lshlrev_b32_e32 v7, 20, v7
	v_or3_b32 v2, v3, v2, v7
.LBB200_422:
	s_or_b32 exec_lo, exec_lo, s14
.LBB200_423:
	s_mov_b32 s0, -1
.LBB200_424:
	s_mov_b32 s14, 0
.LBB200_425:
	s_delay_alu instid0(SALU_CYCLE_1)
	s_and_b32 vcc_lo, exec_lo, s14
	s_cbranch_vccz .LBB200_460
; %bb.426:
	v_cmp_lt_i16_e32 vcc_lo, 22, v6
	s_cbranch_vccz .LBB200_436
; %bb.427:
	v_cmp_gt_i16_e32 vcc_lo, 24, v6
	s_cbranch_vccnz .LBB200_439
; %bb.428:
	v_cmp_lt_i16_e32 vcc_lo, 24, v6
	s_cbranch_vccz .LBB200_440
; %bb.429:
	global_load_u8 v3, v[0:1], off
	s_mov_b32 s0, 0
	s_mov_b32 s16, exec_lo
                                        ; implicit-def: $sgpr14
	s_waitcnt vmcnt(0)
	v_cmpx_lt_i16_e32 0x7f, v3
	s_xor_b32 s16, exec_lo, s16
	s_cbranch_execz .LBB200_452
; %bb.430:
	s_mov_b32 s0, -1
	s_mov_b32 s17, exec_lo
                                        ; implicit-def: $sgpr14
	v_cmpx_eq_u16_e32 0x80, v3
; %bb.431:
	s_mov_b32 s14, 0x7f800001
	s_xor_b32 s0, exec_lo, -1
; %bb.432:
	s_or_b32 exec_lo, exec_lo, s17
	s_delay_alu instid0(SALU_CYCLE_1)
	s_and_b32 s0, s0, exec_lo
	s_or_saveexec_b32 s16, s16
	v_mov_b32_e32 v2, s14
	s_xor_b32 exec_lo, exec_lo, s16
	s_cbranch_execnz .LBB200_453
.LBB200_433:
	s_or_b32 exec_lo, exec_lo, s16
	s_and_saveexec_b32 s14, s0
	s_cbranch_execz .LBB200_435
.LBB200_434:
	v_and_b32_e32 v2, 0xffff, v3
	v_lshlrev_b32_e32 v3, 24, v3
	s_delay_alu instid0(VALU_DEP_2) | instskip(NEXT) | instid1(VALU_DEP_2)
	v_and_b32_e32 v7, 3, v2
	v_and_b32_e32 v3, 0x80000000, v3
	s_delay_alu instid0(VALU_DEP_2) | instskip(NEXT) | instid1(VALU_DEP_1)
	v_clz_i32_u32_e32 v8, v7
	v_min_u32_e32 v8, 32, v8
	s_delay_alu instid0(VALU_DEP_1) | instskip(SKIP_1) | instid1(VALU_DEP_2)
	v_subrev_nc_u32_e32 v9, 29, v8
	v_sub_nc_u32_e32 v8, 30, v8
	v_lshlrev_b32_e32 v9, v9, v2
	v_bfe_u32 v2, v2, 2, 5
	s_delay_alu instid0(VALU_DEP_2) | instskip(NEXT) | instid1(VALU_DEP_2)
	v_and_b32_e32 v9, 3, v9
	v_cmp_eq_u32_e32 vcc_lo, 0, v2
	s_delay_alu instid0(VALU_DEP_2) | instskip(NEXT) | instid1(VALU_DEP_1)
	v_dual_cndmask_b32 v2, v2, v8 :: v_dual_cndmask_b32 v7, v7, v9
	v_lshl_add_u32 v2, v2, 23, 0x37800000
	s_delay_alu instid0(VALU_DEP_2) | instskip(NEXT) | instid1(VALU_DEP_1)
	v_lshlrev_b32_e32 v7, 21, v7
	v_or3_b32 v2, v3, v2, v7
.LBB200_435:
	s_or_b32 exec_lo, exec_lo, s14
	s_mov_b32 s0, 0
	s_branch .LBB200_441
.LBB200_436:
	s_mov_b32 s14, -1
                                        ; implicit-def: $vgpr2
	s_branch .LBB200_447
.LBB200_437:
	s_or_saveexec_b32 s16, s16
	v_mov_b32_e32 v2, s14
	s_xor_b32 exec_lo, exec_lo, s16
	s_cbranch_execz .LBB200_420
.LBB200_438:
	v_cmp_ne_u16_e32 vcc_lo, 0, v3
	v_mov_b32_e32 v2, 0
	s_and_not1_b32 s0, s0, exec_lo
	s_and_b32 s14, vcc_lo, exec_lo
	s_delay_alu instid0(SALU_CYCLE_1)
	s_or_b32 s0, s0, s14
	s_or_b32 exec_lo, exec_lo, s16
	s_and_saveexec_b32 s14, s0
	s_cbranch_execnz .LBB200_421
	s_branch .LBB200_422
.LBB200_439:
	s_mov_b32 s0, -1
                                        ; implicit-def: $vgpr2
	s_branch .LBB200_444
.LBB200_440:
	s_mov_b32 s0, -1
                                        ; implicit-def: $vgpr2
.LBB200_441:
	s_delay_alu instid0(SALU_CYCLE_1)
	s_and_b32 vcc_lo, exec_lo, s0
	s_cbranch_vccz .LBB200_443
; %bb.442:
	global_load_u8 v2, v[0:1], off
	s_waitcnt vmcnt(0)
	v_lshlrev_b32_e32 v2, 24, v2
	s_delay_alu instid0(VALU_DEP_1) | instskip(NEXT) | instid1(VALU_DEP_1)
	v_and_b32_e32 v3, 0x7f000000, v2
	v_clz_i32_u32_e32 v7, v3
	v_add_nc_u32_e32 v9, 0x1000000, v3
	v_cmp_ne_u32_e32 vcc_lo, 0, v3
	s_delay_alu instid0(VALU_DEP_3) | instskip(NEXT) | instid1(VALU_DEP_1)
	v_min_u32_e32 v7, 32, v7
	v_sub_nc_u32_e64 v7, v7, 4 clamp
	s_delay_alu instid0(VALU_DEP_1) | instskip(SKIP_1) | instid1(VALU_DEP_2)
	v_lshlrev_b32_e32 v8, v7, v3
	v_lshlrev_b32_e32 v7, 23, v7
	v_lshrrev_b32_e32 v8, 4, v8
	s_delay_alu instid0(VALU_DEP_1) | instskip(SKIP_1) | instid1(VALU_DEP_2)
	v_sub_nc_u32_e32 v7, v8, v7
	v_ashrrev_i32_e32 v8, 8, v9
	v_add_nc_u32_e32 v7, 0x3c000000, v7
	s_delay_alu instid0(VALU_DEP_1) | instskip(NEXT) | instid1(VALU_DEP_1)
	v_and_or_b32 v7, 0x7f800000, v8, v7
	v_cndmask_b32_e32 v3, 0, v7, vcc_lo
	s_delay_alu instid0(VALU_DEP_1)
	v_and_or_b32 v2, 0x80000000, v2, v3
.LBB200_443:
	s_mov_b32 s0, 0
.LBB200_444:
	s_delay_alu instid0(SALU_CYCLE_1)
	s_and_not1_b32 vcc_lo, exec_lo, s0
	s_cbranch_vccnz .LBB200_446
; %bb.445:
	global_load_u8 v2, v[0:1], off
	s_waitcnt vmcnt(0)
	v_lshlrev_b32_e32 v3, 25, v2
	v_lshlrev_b16 v2, 8, v2
	s_delay_alu instid0(VALU_DEP_1) | instskip(SKIP_1) | instid1(VALU_DEP_2)
	v_and_or_b32 v8, 0x7f00, v2, 0.5
	v_bfe_i32 v2, v2, 0, 16
	v_add_f32_e32 v8, -0.5, v8
	v_lshrrev_b32_e32 v7, 4, v3
	v_cmp_gt_u32_e32 vcc_lo, 0x8000000, v3
	s_delay_alu instid0(VALU_DEP_2) | instskip(NEXT) | instid1(VALU_DEP_1)
	v_or_b32_e32 v7, 0x70000000, v7
	v_mul_f32_e32 v7, 0x7800000, v7
	s_delay_alu instid0(VALU_DEP_1) | instskip(NEXT) | instid1(VALU_DEP_1)
	v_cndmask_b32_e32 v3, v7, v8, vcc_lo
	v_and_or_b32 v2, 0x80000000, v2, v3
.LBB200_446:
	s_mov_b32 s14, 0
	s_mov_b32 s0, -1
.LBB200_447:
	s_and_not1_b32 vcc_lo, exec_lo, s14
	s_cbranch_vccnz .LBB200_460
; %bb.448:
	v_cmp_lt_i16_e32 vcc_lo, 14, v6
	s_cbranch_vccz .LBB200_451
; %bb.449:
	v_cmp_eq_u16_e32 vcc_lo, 15, v6
	s_cbranch_vccz .LBB200_454
; %bb.450:
	global_load_u16 v2, v[0:1], off
	s_mov_b32 s0, -1
	s_mov_b32 s13, 0
	s_waitcnt vmcnt(0)
	v_lshlrev_b32_e32 v2, 16, v2
	s_branch .LBB200_455
.LBB200_451:
	s_mov_b32 s14, -1
                                        ; implicit-def: $vgpr2
	s_branch .LBB200_456
.LBB200_452:
	s_or_saveexec_b32 s16, s16
	v_mov_b32_e32 v2, s14
	s_xor_b32 exec_lo, exec_lo, s16
	s_cbranch_execz .LBB200_433
.LBB200_453:
	v_cmp_ne_u16_e32 vcc_lo, 0, v3
	v_mov_b32_e32 v2, 0
	s_and_not1_b32 s0, s0, exec_lo
	s_and_b32 s14, vcc_lo, exec_lo
	s_delay_alu instid0(SALU_CYCLE_1)
	s_or_b32 s0, s0, s14
	s_or_b32 exec_lo, exec_lo, s16
	s_and_saveexec_b32 s14, s0
	s_cbranch_execnz .LBB200_434
	s_branch .LBB200_435
.LBB200_454:
	s_mov_b32 s13, -1
                                        ; implicit-def: $vgpr2
.LBB200_455:
	s_mov_b32 s14, 0
.LBB200_456:
	s_delay_alu instid0(SALU_CYCLE_1)
	s_and_b32 vcc_lo, exec_lo, s14
	s_cbranch_vccz .LBB200_460
; %bb.457:
	v_cmp_eq_u16_e32 vcc_lo, 11, v6
	s_cbranch_vccz .LBB200_459
; %bb.458:
	global_load_u8 v2, v[0:1], off
	s_mov_b32 s13, 0
	s_mov_b32 s0, -1
	s_waitcnt vmcnt(0)
	v_cmp_ne_u16_e32 vcc_lo, 0, v2
	v_cndmask_b32_e64 v2, 0, 1.0, vcc_lo
	s_branch .LBB200_460
.LBB200_459:
	s_mov_b32 s13, -1
                                        ; implicit-def: $vgpr2
.LBB200_460:
	s_branch .LBB200_262
.LBB200_461:
	v_cmp_gt_i16_e32 vcc_lo, 5, v6
	s_cbranch_vccnz .LBB200_466
; %bb.462:
	v_cmp_gt_i16_e32 vcc_lo, 8, v6
	s_cbranch_vccnz .LBB200_467
; %bb.463:
	;; [unrolled: 3-line block ×3, first 2 shown]
	v_cmp_lt_i16_e32 vcc_lo, 9, v6
	s_cbranch_vccz .LBB200_469
; %bb.465:
	global_load_b64 v[2:3], v[0:1], off
	s_mov_b32 s0, 0
	s_waitcnt vmcnt(0)
	v_cvt_f32_f64_e32 v2, v[2:3]
	s_branch .LBB200_470
.LBB200_466:
	s_mov_b32 s0, -1
                                        ; implicit-def: $vgpr2
	s_branch .LBB200_488
.LBB200_467:
	s_mov_b32 s0, -1
                                        ; implicit-def: $vgpr2
	s_branch .LBB200_476
.LBB200_468:
	s_mov_b32 s0, -1
                                        ; implicit-def: $vgpr2
	s_branch .LBB200_473
.LBB200_469:
	s_mov_b32 s0, -1
                                        ; implicit-def: $vgpr2
.LBB200_470:
	s_delay_alu instid0(SALU_CYCLE_1)
	s_and_not1_b32 vcc_lo, exec_lo, s0
	s_cbranch_vccnz .LBB200_472
; %bb.471:
	global_load_b32 v2, v[0:1], off
.LBB200_472:
	s_mov_b32 s0, 0
.LBB200_473:
	s_delay_alu instid0(SALU_CYCLE_1)
	s_and_not1_b32 vcc_lo, exec_lo, s0
	s_cbranch_vccnz .LBB200_475
; %bb.474:
	global_load_b32 v2, v[0:1], off
	s_waitcnt vmcnt(0)
	v_cvt_f32_f16_e32 v2, v2
.LBB200_475:
	s_mov_b32 s0, 0
.LBB200_476:
	s_delay_alu instid0(SALU_CYCLE_1)
	s_and_not1_b32 vcc_lo, exec_lo, s0
	s_cbranch_vccnz .LBB200_487
; %bb.477:
	v_cmp_gt_i16_e32 vcc_lo, 6, v6
	s_cbranch_vccnz .LBB200_480
; %bb.478:
	v_cmp_lt_i16_e32 vcc_lo, 6, v6
	s_cbranch_vccz .LBB200_481
; %bb.479:
	global_load_b64 v[2:3], v[0:1], off
	s_mov_b32 s0, 0
	s_waitcnt vmcnt(0)
	v_cvt_f32_f64_e32 v2, v[2:3]
	s_branch .LBB200_482
.LBB200_480:
	s_mov_b32 s0, -1
                                        ; implicit-def: $vgpr2
	s_branch .LBB200_485
.LBB200_481:
	s_mov_b32 s0, -1
                                        ; implicit-def: $vgpr2
.LBB200_482:
	s_delay_alu instid0(SALU_CYCLE_1)
	s_and_not1_b32 vcc_lo, exec_lo, s0
	s_cbranch_vccnz .LBB200_484
; %bb.483:
	global_load_b32 v2, v[0:1], off
.LBB200_484:
	s_mov_b32 s0, 0
.LBB200_485:
	s_delay_alu instid0(SALU_CYCLE_1)
	s_and_not1_b32 vcc_lo, exec_lo, s0
	s_cbranch_vccnz .LBB200_487
; %bb.486:
	global_load_u16 v2, v[0:1], off
	s_waitcnt vmcnt(0)
	v_cvt_f32_f16_e32 v2, v2
.LBB200_487:
	s_mov_b32 s0, 0
.LBB200_488:
	s_delay_alu instid0(SALU_CYCLE_1)
	s_and_not1_b32 vcc_lo, exec_lo, s0
	s_cbranch_vccnz .LBB200_508
; %bb.489:
	v_cmp_gt_i16_e32 vcc_lo, 2, v6
	s_cbranch_vccnz .LBB200_493
; %bb.490:
	v_cmp_gt_i16_e32 vcc_lo, 3, v6
	s_cbranch_vccnz .LBB200_494
; %bb.491:
	v_cmp_lt_i16_e32 vcc_lo, 3, v6
	s_cbranch_vccz .LBB200_495
; %bb.492:
	global_load_b64 v[2:3], v[0:1], off
	s_mov_b32 s0, 0
	s_waitcnt vmcnt(0)
	v_xor_b32_e32 v7, v2, v3
	v_cls_i32_e32 v8, v3
	s_delay_alu instid0(VALU_DEP_2) | instskip(NEXT) | instid1(VALU_DEP_2)
	v_ashrrev_i32_e32 v7, 31, v7
	v_add_nc_u32_e32 v8, -1, v8
	s_delay_alu instid0(VALU_DEP_2) | instskip(NEXT) | instid1(VALU_DEP_1)
	v_add_nc_u32_e32 v7, 32, v7
	v_min_u32_e32 v7, v8, v7
	s_delay_alu instid0(VALU_DEP_1) | instskip(NEXT) | instid1(VALU_DEP_1)
	v_lshlrev_b64 v[2:3], v7, v[2:3]
	v_min_u32_e32 v2, 1, v2
	s_delay_alu instid0(VALU_DEP_1) | instskip(SKIP_1) | instid1(VALU_DEP_2)
	v_or_b32_e32 v2, v3, v2
	v_sub_nc_u32_e32 v3, 32, v7
	v_cvt_f32_i32_e32 v2, v2
	s_delay_alu instid0(VALU_DEP_1)
	v_ldexp_f32 v2, v2, v3
	s_branch .LBB200_496
.LBB200_493:
	s_mov_b32 s0, -1
                                        ; implicit-def: $vgpr2
	s_branch .LBB200_502
.LBB200_494:
	s_mov_b32 s0, -1
                                        ; implicit-def: $vgpr2
	s_branch .LBB200_499
.LBB200_495:
	s_mov_b32 s0, -1
                                        ; implicit-def: $vgpr2
.LBB200_496:
	s_delay_alu instid0(SALU_CYCLE_1)
	s_and_not1_b32 vcc_lo, exec_lo, s0
	s_cbranch_vccnz .LBB200_498
; %bb.497:
	global_load_b32 v2, v[0:1], off
	s_waitcnt vmcnt(0)
	v_cvt_f32_i32_e32 v2, v2
.LBB200_498:
	s_mov_b32 s0, 0
.LBB200_499:
	s_delay_alu instid0(SALU_CYCLE_1)
	s_and_not1_b32 vcc_lo, exec_lo, s0
	s_cbranch_vccnz .LBB200_501
; %bb.500:
	global_load_i16 v2, v[0:1], off
	s_waitcnt vmcnt(0)
	v_cvt_f32_i32_e32 v2, v2
.LBB200_501:
	s_mov_b32 s0, 0
.LBB200_502:
	s_delay_alu instid0(SALU_CYCLE_1)
	s_and_not1_b32 vcc_lo, exec_lo, s0
	s_cbranch_vccnz .LBB200_508
; %bb.503:
	v_cmp_lt_i16_e32 vcc_lo, 0, v6
	s_mov_b32 s0, 0
	s_cbranch_vccz .LBB200_505
; %bb.504:
	global_load_i8 v2, v[0:1], off
	s_waitcnt vmcnt(0)
	v_cvt_f32_i32_e32 v2, v2
	s_branch .LBB200_506
.LBB200_505:
	s_mov_b32 s0, -1
                                        ; implicit-def: $vgpr2
.LBB200_506:
	s_delay_alu instid0(SALU_CYCLE_1)
	s_and_not1_b32 vcc_lo, exec_lo, s0
	s_cbranch_vccnz .LBB200_508
; %bb.507:
	global_load_u8 v0, v[0:1], off
	s_waitcnt vmcnt(0)
	v_cvt_f32_ubyte0_e32 v2, v0
.LBB200_508:
	s_branch .LBB200_263
.LBB200_509:
	s_mov_b32 s16, 0
	s_mov_b32 s0, s9
.LBB200_510:
                                        ; implicit-def: $vgpr5
.LBB200_511:
	s_and_not1_b32 s14, s9, exec_lo
	s_and_b32 s0, s0, exec_lo
	s_and_not1_b32 s17, s11, exec_lo
	s_and_b32 s13, s13, exec_lo
	s_or_b32 s14, s14, s0
	s_or_b32 s13, s17, s13
	s_or_not1_b32 s17, s16, exec_lo
.LBB200_512:
	s_or_b32 exec_lo, exec_lo, s15
	s_mov_b32 s16, 0
	s_mov_b32 s18, 0
	;; [unrolled: 1-line block ×3, first 2 shown]
                                        ; implicit-def: $vgpr0_vgpr1
                                        ; implicit-def: $vgpr3
	s_and_saveexec_b32 s15, s17
	s_cbranch_execz .LBB200_859
; %bb.513:
	s_mov_b32 s0, -1
	s_mov_b32 s17, s13
	s_mov_b32 s18, s14
	s_mov_b32 s16, exec_lo
	v_cmpx_gt_i32_e64 s10, v5
	s_cbranch_execz .LBB200_773
; %bb.514:
	v_mul_lo_u32 v0, v5, s3
	v_cmp_gt_i16_e32 vcc_lo, 11, v6
	s_delay_alu instid0(VALU_DEP_2) | instskip(SKIP_1) | instid1(VALU_DEP_1)
	v_ashrrev_i32_e32 v1, 31, v0
	v_add_co_u32 v0, s0, s6, v0
	v_add_co_ci_u32_e64 v1, s0, s7, v1, s0
	s_cbranch_vccnz .LBB200_521
; %bb.515:
	v_cmp_lt_i16_e32 vcc_lo, 25, v6
	s_cbranch_vccz .LBB200_522
; %bb.516:
	v_cmp_lt_i16_e32 vcc_lo, 28, v6
	s_cbranch_vccz .LBB200_523
	;; [unrolled: 3-line block ×4, first 2 shown]
; %bb.519:
	v_cmp_eq_u16_e32 vcc_lo, 46, v6
	s_mov_b32 s18, 0
	s_cbranch_vccz .LBB200_530
; %bb.520:
	global_load_b32 v2, v[0:1], off
	s_mov_b32 s0, -1
	s_mov_b32 s17, 0
	s_waitcnt vmcnt(0)
	v_lshlrev_b32_e32 v2, 16, v2
	s_branch .LBB200_532
.LBB200_521:
	s_mov_b32 s18, -1
	s_mov_b32 s0, 0
	s_mov_b32 s17, s13
                                        ; implicit-def: $vgpr2
	s_branch .LBB200_597
.LBB200_522:
	s_mov_b32 s18, -1
	s_mov_b32 s0, 0
	s_mov_b32 s17, s13
                                        ; implicit-def: $vgpr2
	s_branch .LBB200_561
.LBB200_523:
	s_mov_b32 s18, -1
	s_mov_b32 s0, 0
	s_mov_b32 s17, s13
                                        ; implicit-def: $vgpr2
	s_branch .LBB200_542
.LBB200_524:
	s_mov_b32 s18, -1
	s_mov_b32 s0, 0
	s_mov_b32 s17, s13
                                        ; implicit-def: $vgpr2
	s_branch .LBB200_537
.LBB200_525:
	s_or_saveexec_b32 s17, s17
                                        ; implicit-def: $sgpr18
	s_delay_alu instid0(SALU_CYCLE_1)
	s_xor_b32 exec_lo, exec_lo, s17
	s_cbranch_execz .LBB200_309
.LBB200_526:
	v_add_f32_e64 v1, 0x46000000, |v0|
	s_and_not1_b32 s16, s16, exec_lo
	s_mov_b32 s18, 0
	s_delay_alu instid0(VALU_DEP_1) | instskip(NEXT) | instid1(VALU_DEP_1)
	v_and_b32_e32 v1, 0xff, v1
	v_cmp_ne_u32_e32 vcc_lo, 0, v1
	s_and_b32 s19, vcc_lo, exec_lo
	s_delay_alu instid0(SALU_CYCLE_1)
	s_or_b32 s16, s16, s19
	s_or_b32 exec_lo, exec_lo, s17
	v_mov_b32_e32 v8, s18
	s_and_saveexec_b32 s17, s16
	s_cbranch_execnz .LBB200_310
	s_branch .LBB200_311
.LBB200_527:
	s_mov_b32 s18, -1
	s_mov_b32 s0, 0
	s_mov_b32 s17, s13
	s_branch .LBB200_531
.LBB200_528:
	s_or_saveexec_b32 s17, s17
                                        ; implicit-def: $sgpr18
	s_delay_alu instid0(SALU_CYCLE_1)
	s_xor_b32 exec_lo, exec_lo, s17
	s_cbranch_execz .LBB200_322
.LBB200_529:
	v_add_f32_e64 v1, 0x42800000, |v0|
	s_and_not1_b32 s16, s16, exec_lo
	s_mov_b32 s18, 0
	s_delay_alu instid0(VALU_DEP_1) | instskip(NEXT) | instid1(VALU_DEP_1)
	v_and_b32_e32 v1, 0xff, v1
	v_cmp_ne_u32_e32 vcc_lo, 0, v1
	s_and_b32 s19, vcc_lo, exec_lo
	s_delay_alu instid0(SALU_CYCLE_1)
	s_or_b32 s16, s16, s19
	s_or_b32 exec_lo, exec_lo, s17
	v_mov_b32_e32 v8, s18
	s_and_saveexec_b32 s17, s16
	s_cbranch_execnz .LBB200_323
	s_branch .LBB200_324
.LBB200_530:
	s_mov_b32 s17, -1
	s_mov_b32 s0, 0
.LBB200_531:
                                        ; implicit-def: $vgpr2
.LBB200_532:
	s_and_b32 vcc_lo, exec_lo, s18
	s_cbranch_vccz .LBB200_536
; %bb.533:
	v_cmp_eq_u16_e32 vcc_lo, 44, v6
	s_cbranch_vccz .LBB200_535
; %bb.534:
	global_load_u8 v2, v[0:1], off
	s_mov_b32 s17, 0
	s_mov_b32 s0, -1
	s_waitcnt vmcnt(0)
	v_lshlrev_b32_e32 v3, 23, v2
	v_cmp_ne_u32_e32 vcc_lo, 0xff, v2
	s_delay_alu instid0(VALU_DEP_2) | instskip(SKIP_1) | instid1(VALU_DEP_2)
	v_cndmask_b32_e32 v3, 0x7f800001, v3, vcc_lo
	v_cmp_ne_u32_e32 vcc_lo, 0, v2
	v_cndmask_b32_e32 v2, 0x400000, v3, vcc_lo
	s_branch .LBB200_536
.LBB200_535:
	s_mov_b32 s17, -1
                                        ; implicit-def: $vgpr2
.LBB200_536:
	s_mov_b32 s18, 0
.LBB200_537:
	s_delay_alu instid0(SALU_CYCLE_1)
	s_and_b32 vcc_lo, exec_lo, s18
	s_cbranch_vccz .LBB200_541
; %bb.538:
	v_cmp_eq_u16_e32 vcc_lo, 29, v6
	s_cbranch_vccz .LBB200_540
; %bb.539:
	global_load_b64 v[2:3], v[0:1], off
	s_mov_b32 s0, -1
	s_mov_b32 s17, 0
	s_mov_b32 s18, 0
	s_waitcnt vmcnt(0)
	v_clz_i32_u32_e32 v7, v3
	s_delay_alu instid0(VALU_DEP_1) | instskip(NEXT) | instid1(VALU_DEP_1)
	v_min_u32_e32 v7, 32, v7
	v_lshlrev_b64 v[2:3], v7, v[2:3]
	s_delay_alu instid0(VALU_DEP_1) | instskip(NEXT) | instid1(VALU_DEP_1)
	v_min_u32_e32 v2, 1, v2
	v_or_b32_e32 v2, v3, v2
	v_sub_nc_u32_e32 v3, 32, v7
	s_delay_alu instid0(VALU_DEP_2) | instskip(NEXT) | instid1(VALU_DEP_1)
	v_cvt_f32_u32_e32 v2, v2
	v_ldexp_f32 v2, v2, v3
	s_branch .LBB200_542
.LBB200_540:
	s_mov_b32 s17, -1
                                        ; implicit-def: $vgpr2
.LBB200_541:
	s_mov_b32 s18, 0
.LBB200_542:
	s_delay_alu instid0(SALU_CYCLE_1)
	s_and_b32 vcc_lo, exec_lo, s18
	s_cbranch_vccz .LBB200_560
; %bb.543:
	v_cmp_gt_i16_e32 vcc_lo, 27, v6
	s_cbranch_vccnz .LBB200_546
; %bb.544:
	v_cmp_lt_i16_e32 vcc_lo, 27, v6
	s_cbranch_vccz .LBB200_547
; %bb.545:
	global_load_b32 v2, v[0:1], off
	s_mov_b32 s0, 0
	s_waitcnt vmcnt(0)
	v_cvt_f32_u32_e32 v2, v2
	s_branch .LBB200_548
.LBB200_546:
	s_mov_b32 s0, -1
                                        ; implicit-def: $vgpr2
	s_branch .LBB200_551
.LBB200_547:
	s_mov_b32 s0, -1
                                        ; implicit-def: $vgpr2
.LBB200_548:
	s_delay_alu instid0(SALU_CYCLE_1)
	s_and_not1_b32 vcc_lo, exec_lo, s0
	s_cbranch_vccnz .LBB200_550
; %bb.549:
	global_load_u16 v2, v[0:1], off
	s_waitcnt vmcnt(0)
	v_cvt_f32_u32_e32 v2, v2
.LBB200_550:
	s_mov_b32 s0, 0
.LBB200_551:
	s_delay_alu instid0(SALU_CYCLE_1)
	s_and_not1_b32 vcc_lo, exec_lo, s0
	s_cbranch_vccnz .LBB200_559
; %bb.552:
	global_load_u8 v3, v[0:1], off
	s_mov_b32 s0, 0
	s_mov_b32 s19, exec_lo
                                        ; implicit-def: $sgpr18
	s_waitcnt vmcnt(0)
	v_cmpx_lt_i16_e32 0x7f, v3
	s_xor_b32 s19, exec_lo, s19
	s_cbranch_execz .LBB200_573
; %bb.553:
	s_mov_b32 s0, -1
	s_mov_b32 s20, exec_lo
                                        ; implicit-def: $sgpr18
	v_cmpx_eq_u16_e32 0x80, v3
; %bb.554:
	s_mov_b32 s18, 0x7f800001
	s_xor_b32 s0, exec_lo, -1
; %bb.555:
	s_or_b32 exec_lo, exec_lo, s20
	s_delay_alu instid0(SALU_CYCLE_1)
	s_and_b32 s0, s0, exec_lo
	s_or_saveexec_b32 s19, s19
	v_mov_b32_e32 v2, s18
	s_xor_b32 exec_lo, exec_lo, s19
	s_cbranch_execnz .LBB200_574
.LBB200_556:
	s_or_b32 exec_lo, exec_lo, s19
	s_and_saveexec_b32 s18, s0
	s_cbranch_execz .LBB200_558
.LBB200_557:
	v_and_b32_e32 v2, 0xffff, v3
	v_lshlrev_b32_e32 v3, 24, v3
	s_delay_alu instid0(VALU_DEP_2) | instskip(NEXT) | instid1(VALU_DEP_2)
	v_and_b32_e32 v7, 7, v2
	v_and_b32_e32 v3, 0x80000000, v3
	s_delay_alu instid0(VALU_DEP_2) | instskip(NEXT) | instid1(VALU_DEP_1)
	v_clz_i32_u32_e32 v8, v7
	v_min_u32_e32 v8, 32, v8
	s_delay_alu instid0(VALU_DEP_1) | instskip(SKIP_1) | instid1(VALU_DEP_2)
	v_subrev_nc_u32_e32 v9, 28, v8
	v_sub_nc_u32_e32 v8, 29, v8
	v_lshlrev_b32_e32 v9, v9, v2
	v_bfe_u32 v2, v2, 3, 4
	s_delay_alu instid0(VALU_DEP_2) | instskip(NEXT) | instid1(VALU_DEP_2)
	v_and_b32_e32 v9, 7, v9
	v_cmp_eq_u32_e32 vcc_lo, 0, v2
	s_delay_alu instid0(VALU_DEP_2) | instskip(NEXT) | instid1(VALU_DEP_1)
	v_dual_cndmask_b32 v2, v2, v8 :: v_dual_cndmask_b32 v7, v7, v9
	v_lshl_add_u32 v2, v2, 23, 0x3b800000
	s_delay_alu instid0(VALU_DEP_2) | instskip(NEXT) | instid1(VALU_DEP_1)
	v_lshlrev_b32_e32 v7, 20, v7
	v_or3_b32 v2, v3, v2, v7
.LBB200_558:
	s_or_b32 exec_lo, exec_lo, s18
.LBB200_559:
	s_mov_b32 s0, -1
.LBB200_560:
	s_mov_b32 s18, 0
.LBB200_561:
	s_delay_alu instid0(SALU_CYCLE_1)
	s_and_b32 vcc_lo, exec_lo, s18
	s_cbranch_vccz .LBB200_596
; %bb.562:
	v_cmp_lt_i16_e32 vcc_lo, 22, v6
	s_cbranch_vccz .LBB200_572
; %bb.563:
	v_cmp_gt_i16_e32 vcc_lo, 24, v6
	s_cbranch_vccnz .LBB200_575
; %bb.564:
	v_cmp_lt_i16_e32 vcc_lo, 24, v6
	s_cbranch_vccz .LBB200_576
; %bb.565:
	global_load_u8 v3, v[0:1], off
	s_mov_b32 s0, 0
	s_mov_b32 s19, exec_lo
                                        ; implicit-def: $sgpr18
	s_waitcnt vmcnt(0)
	v_cmpx_lt_i16_e32 0x7f, v3
	s_xor_b32 s19, exec_lo, s19
	s_cbranch_execz .LBB200_588
; %bb.566:
	s_mov_b32 s0, -1
	s_mov_b32 s20, exec_lo
                                        ; implicit-def: $sgpr18
	v_cmpx_eq_u16_e32 0x80, v3
; %bb.567:
	s_mov_b32 s18, 0x7f800001
	s_xor_b32 s0, exec_lo, -1
; %bb.568:
	s_or_b32 exec_lo, exec_lo, s20
	s_delay_alu instid0(SALU_CYCLE_1)
	s_and_b32 s0, s0, exec_lo
	s_or_saveexec_b32 s19, s19
	v_mov_b32_e32 v2, s18
	s_xor_b32 exec_lo, exec_lo, s19
	s_cbranch_execnz .LBB200_589
.LBB200_569:
	s_or_b32 exec_lo, exec_lo, s19
	s_and_saveexec_b32 s18, s0
	s_cbranch_execz .LBB200_571
.LBB200_570:
	v_and_b32_e32 v2, 0xffff, v3
	v_lshlrev_b32_e32 v3, 24, v3
	s_delay_alu instid0(VALU_DEP_2) | instskip(NEXT) | instid1(VALU_DEP_2)
	v_and_b32_e32 v7, 3, v2
	v_and_b32_e32 v3, 0x80000000, v3
	s_delay_alu instid0(VALU_DEP_2) | instskip(NEXT) | instid1(VALU_DEP_1)
	v_clz_i32_u32_e32 v8, v7
	v_min_u32_e32 v8, 32, v8
	s_delay_alu instid0(VALU_DEP_1) | instskip(SKIP_1) | instid1(VALU_DEP_2)
	v_subrev_nc_u32_e32 v9, 29, v8
	v_sub_nc_u32_e32 v8, 30, v8
	v_lshlrev_b32_e32 v9, v9, v2
	v_bfe_u32 v2, v2, 2, 5
	s_delay_alu instid0(VALU_DEP_2) | instskip(NEXT) | instid1(VALU_DEP_2)
	v_and_b32_e32 v9, 3, v9
	v_cmp_eq_u32_e32 vcc_lo, 0, v2
	s_delay_alu instid0(VALU_DEP_2) | instskip(NEXT) | instid1(VALU_DEP_1)
	v_dual_cndmask_b32 v2, v2, v8 :: v_dual_cndmask_b32 v7, v7, v9
	v_lshl_add_u32 v2, v2, 23, 0x37800000
	s_delay_alu instid0(VALU_DEP_2) | instskip(NEXT) | instid1(VALU_DEP_1)
	v_lshlrev_b32_e32 v7, 21, v7
	v_or3_b32 v2, v3, v2, v7
.LBB200_571:
	s_or_b32 exec_lo, exec_lo, s18
	s_mov_b32 s0, 0
	s_branch .LBB200_577
.LBB200_572:
	s_mov_b32 s18, -1
                                        ; implicit-def: $vgpr2
	s_branch .LBB200_583
.LBB200_573:
	s_or_saveexec_b32 s19, s19
	v_mov_b32_e32 v2, s18
	s_xor_b32 exec_lo, exec_lo, s19
	s_cbranch_execz .LBB200_556
.LBB200_574:
	v_cmp_ne_u16_e32 vcc_lo, 0, v3
	v_mov_b32_e32 v2, 0
	s_and_not1_b32 s0, s0, exec_lo
	s_and_b32 s18, vcc_lo, exec_lo
	s_delay_alu instid0(SALU_CYCLE_1)
	s_or_b32 s0, s0, s18
	s_or_b32 exec_lo, exec_lo, s19
	s_and_saveexec_b32 s18, s0
	s_cbranch_execnz .LBB200_557
	s_branch .LBB200_558
.LBB200_575:
	s_mov_b32 s0, -1
                                        ; implicit-def: $vgpr2
	s_branch .LBB200_580
.LBB200_576:
	s_mov_b32 s0, -1
                                        ; implicit-def: $vgpr2
.LBB200_577:
	s_delay_alu instid0(SALU_CYCLE_1)
	s_and_b32 vcc_lo, exec_lo, s0
	s_cbranch_vccz .LBB200_579
; %bb.578:
	global_load_u8 v2, v[0:1], off
	s_waitcnt vmcnt(0)
	v_lshlrev_b32_e32 v2, 24, v2
	s_delay_alu instid0(VALU_DEP_1) | instskip(NEXT) | instid1(VALU_DEP_1)
	v_and_b32_e32 v3, 0x7f000000, v2
	v_clz_i32_u32_e32 v7, v3
	v_add_nc_u32_e32 v9, 0x1000000, v3
	v_cmp_ne_u32_e32 vcc_lo, 0, v3
	s_delay_alu instid0(VALU_DEP_3) | instskip(NEXT) | instid1(VALU_DEP_1)
	v_min_u32_e32 v7, 32, v7
	v_sub_nc_u32_e64 v7, v7, 4 clamp
	s_delay_alu instid0(VALU_DEP_1) | instskip(SKIP_1) | instid1(VALU_DEP_2)
	v_lshlrev_b32_e32 v8, v7, v3
	v_lshlrev_b32_e32 v7, 23, v7
	v_lshrrev_b32_e32 v8, 4, v8
	s_delay_alu instid0(VALU_DEP_1) | instskip(SKIP_1) | instid1(VALU_DEP_2)
	v_sub_nc_u32_e32 v7, v8, v7
	v_ashrrev_i32_e32 v8, 8, v9
	v_add_nc_u32_e32 v7, 0x3c000000, v7
	s_delay_alu instid0(VALU_DEP_1) | instskip(NEXT) | instid1(VALU_DEP_1)
	v_and_or_b32 v7, 0x7f800000, v8, v7
	v_cndmask_b32_e32 v3, 0, v7, vcc_lo
	s_delay_alu instid0(VALU_DEP_1)
	v_and_or_b32 v2, 0x80000000, v2, v3
.LBB200_579:
	s_mov_b32 s0, 0
.LBB200_580:
	s_delay_alu instid0(SALU_CYCLE_1)
	s_and_not1_b32 vcc_lo, exec_lo, s0
	s_cbranch_vccnz .LBB200_582
; %bb.581:
	global_load_u8 v2, v[0:1], off
	s_waitcnt vmcnt(0)
	v_lshlrev_b32_e32 v3, 25, v2
	v_lshlrev_b16 v2, 8, v2
	s_delay_alu instid0(VALU_DEP_1) | instskip(SKIP_1) | instid1(VALU_DEP_2)
	v_and_or_b32 v8, 0x7f00, v2, 0.5
	v_bfe_i32 v2, v2, 0, 16
	v_add_f32_e32 v8, -0.5, v8
	v_lshrrev_b32_e32 v7, 4, v3
	v_cmp_gt_u32_e32 vcc_lo, 0x8000000, v3
	s_delay_alu instid0(VALU_DEP_2) | instskip(NEXT) | instid1(VALU_DEP_1)
	v_or_b32_e32 v7, 0x70000000, v7
	v_mul_f32_e32 v7, 0x7800000, v7
	s_delay_alu instid0(VALU_DEP_1) | instskip(NEXT) | instid1(VALU_DEP_1)
	v_cndmask_b32_e32 v3, v7, v8, vcc_lo
	v_and_or_b32 v2, 0x80000000, v2, v3
.LBB200_582:
	s_mov_b32 s18, 0
	s_mov_b32 s0, -1
.LBB200_583:
	s_and_not1_b32 vcc_lo, exec_lo, s18
	s_cbranch_vccnz .LBB200_596
; %bb.584:
	v_cmp_lt_i16_e32 vcc_lo, 14, v6
	s_cbranch_vccz .LBB200_587
; %bb.585:
	v_cmp_eq_u16_e32 vcc_lo, 15, v6
	s_cbranch_vccz .LBB200_590
; %bb.586:
	global_load_u16 v2, v[0:1], off
	s_mov_b32 s0, -1
	s_mov_b32 s17, 0
	s_waitcnt vmcnt(0)
	v_lshlrev_b32_e32 v2, 16, v2
	s_branch .LBB200_591
.LBB200_587:
	s_mov_b32 s18, -1
                                        ; implicit-def: $vgpr2
	s_branch .LBB200_592
.LBB200_588:
	s_or_saveexec_b32 s19, s19
	v_mov_b32_e32 v2, s18
	s_xor_b32 exec_lo, exec_lo, s19
	s_cbranch_execz .LBB200_569
.LBB200_589:
	v_cmp_ne_u16_e32 vcc_lo, 0, v3
	v_mov_b32_e32 v2, 0
	s_and_not1_b32 s0, s0, exec_lo
	s_and_b32 s18, vcc_lo, exec_lo
	s_delay_alu instid0(SALU_CYCLE_1)
	s_or_b32 s0, s0, s18
	s_or_b32 exec_lo, exec_lo, s19
	s_and_saveexec_b32 s18, s0
	s_cbranch_execnz .LBB200_570
	s_branch .LBB200_571
.LBB200_590:
	s_mov_b32 s17, -1
                                        ; implicit-def: $vgpr2
.LBB200_591:
	s_mov_b32 s18, 0
.LBB200_592:
	s_delay_alu instid0(SALU_CYCLE_1)
	s_and_b32 vcc_lo, exec_lo, s18
	s_cbranch_vccz .LBB200_596
; %bb.593:
	v_cmp_eq_u16_e32 vcc_lo, 11, v6
	s_cbranch_vccz .LBB200_595
; %bb.594:
	global_load_u8 v2, v[0:1], off
	s_mov_b32 s17, 0
	s_mov_b32 s0, -1
	s_waitcnt vmcnt(0)
	v_cmp_ne_u16_e32 vcc_lo, 0, v2
	v_cndmask_b32_e64 v2, 0, 1.0, vcc_lo
	s_branch .LBB200_596
.LBB200_595:
	s_mov_b32 s17, -1
                                        ; implicit-def: $vgpr2
.LBB200_596:
	s_mov_b32 s18, 0
.LBB200_597:
	s_delay_alu instid0(SALU_CYCLE_1)
	s_and_b32 vcc_lo, exec_lo, s18
	s_cbranch_vccz .LBB200_646
; %bb.598:
	v_cmp_gt_i16_e32 vcc_lo, 5, v6
	s_cbranch_vccnz .LBB200_603
; %bb.599:
	v_cmp_gt_i16_e32 vcc_lo, 8, v6
	s_cbranch_vccnz .LBB200_604
	;; [unrolled: 3-line block ×3, first 2 shown]
; %bb.601:
	v_cmp_lt_i16_e32 vcc_lo, 9, v6
	s_cbranch_vccz .LBB200_606
; %bb.602:
	global_load_b64 v[2:3], v[0:1], off
	s_mov_b32 s0, 0
	s_waitcnt vmcnt(0)
	v_cvt_f32_f64_e32 v2, v[2:3]
	s_branch .LBB200_607
.LBB200_603:
	s_mov_b32 s0, -1
                                        ; implicit-def: $vgpr2
	s_branch .LBB200_625
.LBB200_604:
	s_mov_b32 s0, -1
                                        ; implicit-def: $vgpr2
	s_branch .LBB200_613
.LBB200_605:
	s_mov_b32 s0, -1
                                        ; implicit-def: $vgpr2
	s_branch .LBB200_610
.LBB200_606:
	s_mov_b32 s0, -1
                                        ; implicit-def: $vgpr2
.LBB200_607:
	s_delay_alu instid0(SALU_CYCLE_1)
	s_and_not1_b32 vcc_lo, exec_lo, s0
	s_cbranch_vccnz .LBB200_609
; %bb.608:
	global_load_b32 v2, v[0:1], off
.LBB200_609:
	s_mov_b32 s0, 0
.LBB200_610:
	s_delay_alu instid0(SALU_CYCLE_1)
	s_and_not1_b32 vcc_lo, exec_lo, s0
	s_cbranch_vccnz .LBB200_612
; %bb.611:
	global_load_b32 v2, v[0:1], off
	s_waitcnt vmcnt(0)
	v_cvt_f32_f16_e32 v2, v2
.LBB200_612:
	s_mov_b32 s0, 0
.LBB200_613:
	s_delay_alu instid0(SALU_CYCLE_1)
	s_and_not1_b32 vcc_lo, exec_lo, s0
	s_cbranch_vccnz .LBB200_624
; %bb.614:
	v_cmp_gt_i16_e32 vcc_lo, 6, v6
	s_cbranch_vccnz .LBB200_617
; %bb.615:
	v_cmp_lt_i16_e32 vcc_lo, 6, v6
	s_cbranch_vccz .LBB200_618
; %bb.616:
	global_load_b64 v[2:3], v[0:1], off
	s_mov_b32 s0, 0
	s_waitcnt vmcnt(0)
	v_cvt_f32_f64_e32 v2, v[2:3]
	s_branch .LBB200_619
.LBB200_617:
	s_mov_b32 s0, -1
                                        ; implicit-def: $vgpr2
	s_branch .LBB200_622
.LBB200_618:
	s_mov_b32 s0, -1
                                        ; implicit-def: $vgpr2
.LBB200_619:
	s_delay_alu instid0(SALU_CYCLE_1)
	s_and_not1_b32 vcc_lo, exec_lo, s0
	s_cbranch_vccnz .LBB200_621
; %bb.620:
	global_load_b32 v2, v[0:1], off
.LBB200_621:
	s_mov_b32 s0, 0
.LBB200_622:
	s_delay_alu instid0(SALU_CYCLE_1)
	s_and_not1_b32 vcc_lo, exec_lo, s0
	s_cbranch_vccnz .LBB200_624
; %bb.623:
	global_load_u16 v2, v[0:1], off
	s_waitcnt vmcnt(0)
	v_cvt_f32_f16_e32 v2, v2
.LBB200_624:
	s_mov_b32 s0, 0
.LBB200_625:
	s_delay_alu instid0(SALU_CYCLE_1)
	s_and_not1_b32 vcc_lo, exec_lo, s0
	s_cbranch_vccnz .LBB200_645
; %bb.626:
	v_cmp_gt_i16_e32 vcc_lo, 2, v6
	s_cbranch_vccnz .LBB200_630
; %bb.627:
	v_cmp_gt_i16_e32 vcc_lo, 3, v6
	s_cbranch_vccnz .LBB200_631
; %bb.628:
	v_cmp_lt_i16_e32 vcc_lo, 3, v6
	s_cbranch_vccz .LBB200_632
; %bb.629:
	global_load_b64 v[2:3], v[0:1], off
	s_mov_b32 s0, 0
	s_waitcnt vmcnt(0)
	v_xor_b32_e32 v7, v2, v3
	v_cls_i32_e32 v8, v3
	s_delay_alu instid0(VALU_DEP_2) | instskip(NEXT) | instid1(VALU_DEP_2)
	v_ashrrev_i32_e32 v7, 31, v7
	v_add_nc_u32_e32 v8, -1, v8
	s_delay_alu instid0(VALU_DEP_2) | instskip(NEXT) | instid1(VALU_DEP_1)
	v_add_nc_u32_e32 v7, 32, v7
	v_min_u32_e32 v7, v8, v7
	s_delay_alu instid0(VALU_DEP_1) | instskip(NEXT) | instid1(VALU_DEP_1)
	v_lshlrev_b64 v[2:3], v7, v[2:3]
	v_min_u32_e32 v2, 1, v2
	s_delay_alu instid0(VALU_DEP_1) | instskip(SKIP_1) | instid1(VALU_DEP_2)
	v_or_b32_e32 v2, v3, v2
	v_sub_nc_u32_e32 v3, 32, v7
	v_cvt_f32_i32_e32 v2, v2
	s_delay_alu instid0(VALU_DEP_1)
	v_ldexp_f32 v2, v2, v3
	s_branch .LBB200_633
.LBB200_630:
	s_mov_b32 s0, -1
                                        ; implicit-def: $vgpr2
	s_branch .LBB200_639
.LBB200_631:
	s_mov_b32 s0, -1
                                        ; implicit-def: $vgpr2
	s_branch .LBB200_636
.LBB200_632:
	s_mov_b32 s0, -1
                                        ; implicit-def: $vgpr2
.LBB200_633:
	s_delay_alu instid0(SALU_CYCLE_1)
	s_and_not1_b32 vcc_lo, exec_lo, s0
	s_cbranch_vccnz .LBB200_635
; %bb.634:
	global_load_b32 v2, v[0:1], off
	s_waitcnt vmcnt(0)
	v_cvt_f32_i32_e32 v2, v2
.LBB200_635:
	s_mov_b32 s0, 0
.LBB200_636:
	s_delay_alu instid0(SALU_CYCLE_1)
	s_and_not1_b32 vcc_lo, exec_lo, s0
	s_cbranch_vccnz .LBB200_638
; %bb.637:
	global_load_i16 v2, v[0:1], off
	s_waitcnt vmcnt(0)
	v_cvt_f32_i32_e32 v2, v2
.LBB200_638:
	s_mov_b32 s0, 0
.LBB200_639:
	s_delay_alu instid0(SALU_CYCLE_1)
	s_and_not1_b32 vcc_lo, exec_lo, s0
	s_cbranch_vccnz .LBB200_645
; %bb.640:
	v_cmp_lt_i16_e32 vcc_lo, 0, v6
	s_mov_b32 s0, 0
	s_cbranch_vccz .LBB200_642
; %bb.641:
	global_load_i8 v2, v[0:1], off
	s_waitcnt vmcnt(0)
	v_cvt_f32_i32_e32 v2, v2
	s_branch .LBB200_643
.LBB200_642:
	s_mov_b32 s0, -1
                                        ; implicit-def: $vgpr2
.LBB200_643:
	s_delay_alu instid0(SALU_CYCLE_1)
	s_and_not1_b32 vcc_lo, exec_lo, s0
	s_cbranch_vccnz .LBB200_645
; %bb.644:
	global_load_u8 v0, v[0:1], off
	s_waitcnt vmcnt(0)
	v_cvt_f32_ubyte0_e32 v2, v0
.LBB200_645:
	s_mov_b32 s0, -1
.LBB200_646:
	s_delay_alu instid0(SALU_CYCLE_1)
	s_and_not1_b32 vcc_lo, exec_lo, s0
	s_cbranch_vccnz .LBB200_654
; %bb.647:
	s_waitcnt vmcnt(0)
	s_delay_alu instid0(VALU_DEP_1) | instskip(NEXT) | instid1(VALU_DEP_1)
	v_cvt_f64_f32_e32 v[0:1], v2
	v_rsq_f64_e32 v[2:3], v[0:1]
	s_waitcnt_depctr 0xfff
	v_mul_f64 v[0:1], v[2:3], -v[0:1]
	v_cmp_class_f64_e64 vcc_lo, v[2:3], 0x180
	s_delay_alu instid0(VALU_DEP_2) | instskip(NEXT) | instid1(VALU_DEP_1)
	v_fma_f64 v[0:1], v[0:1], v[2:3], 1.0
	v_mul_f64 v[7:8], v[2:3], v[0:1]
	v_fma_f64 v[0:1], 0x3fd80000, v[0:1], 0.5
	s_delay_alu instid0(VALU_DEP_1) | instskip(SKIP_1) | instid1(VALU_DEP_2)
	v_fma_f64 v[0:1], v[7:8], v[0:1], v[2:3]
	v_and_b32_e32 v7, 0xff, v4
	v_dual_cndmask_b32 v1, v3, v1 :: v_dual_cndmask_b32 v0, v2, v0
	s_delay_alu instid0(VALU_DEP_2) | instskip(NEXT) | instid1(VALU_DEP_2)
	v_cmp_gt_i16_e32 vcc_lo, 11, v7
	v_cvt_f32_f64_e32 v0, v[0:1]
	v_mul_lo_u32 v1, v5, s2
	s_delay_alu instid0(VALU_DEP_1) | instskip(SKIP_1) | instid1(VALU_DEP_1)
	v_ashrrev_i32_e32 v3, 31, v1
	v_add_co_u32 v2, s0, s4, v1
	v_add_co_ci_u32_e64 v3, s0, s5, v3, s0
	s_cbranch_vccnz .LBB200_655
; %bb.648:
	v_cmp_lt_i16_e32 vcc_lo, 25, v7
	s_cbranch_vccz .LBB200_656
; %bb.649:
	v_cmp_lt_i16_e32 vcc_lo, 28, v7
	s_cbranch_vccz .LBB200_657
	;; [unrolled: 3-line block ×4, first 2 shown]
; %bb.652:
	v_cmp_eq_u16_e32 vcc_lo, 46, v7
	s_mov_b32 s19, 0
	s_mov_b32 s0, -1
	s_mov_b32 s18, 0
	s_cbranch_vccz .LBB200_660
; %bb.653:
	v_bfe_u32 v1, v0, 16, 1
	v_cmp_o_f32_e32 vcc_lo, v0, v0
	s_mov_b32 s18, -1
	s_mov_b32 s0, 0
	s_delay_alu instid0(VALU_DEP_2) | instskip(NEXT) | instid1(VALU_DEP_1)
	v_add3_u32 v1, v0, v1, 0x7fff
	v_lshrrev_b32_e32 v1, 16, v1
	s_delay_alu instid0(VALU_DEP_1)
	v_cndmask_b32_e32 v1, 0x7fc0, v1, vcc_lo
	global_store_b32 v[2:3], v1, off
	s_branch .LBB200_660
.LBB200_654:
	s_mov_b32 s19, 0
	s_mov_b32 s0, s14
	s_branch .LBB200_771
.LBB200_655:
	s_mov_b32 s19, -1
	s_mov_b32 s18, 0
	s_mov_b32 s0, s14
	s_branch .LBB200_729
.LBB200_656:
	s_mov_b32 s19, -1
	s_mov_b32 s18, 0
	s_mov_b32 s0, s14
	s_branch .LBB200_687
.LBB200_657:
	s_mov_b32 s19, -1
	s_mov_b32 s18, 0
	s_mov_b32 s0, s14
	s_branch .LBB200_670
.LBB200_658:
	s_mov_b32 s19, -1
	s_mov_b32 s18, 0
	s_mov_b32 s0, s14
	s_branch .LBB200_666
.LBB200_659:
	s_mov_b32 s19, -1
	s_mov_b32 s18, 0
	s_mov_b32 s0, s14
.LBB200_660:
	s_and_b32 vcc_lo, exec_lo, s19
	s_cbranch_vccz .LBB200_665
; %bb.661:
	v_cmp_eq_u16_e32 vcc_lo, 44, v7
	s_mov_b32 s0, -1
	s_cbranch_vccz .LBB200_665
; %bb.662:
	v_bfe_u32 v8, v0, 23, 8
	v_mov_b32_e32 v1, 0xff
	s_mov_b32 s18, exec_lo
	s_delay_alu instid0(VALU_DEP_2)
	v_cmpx_ne_u32_e32 0xff, v8
; %bb.663:
	v_and_b32_e32 v1, 0x400000, v0
	v_and_or_b32 v8, 0x3fffff, v0, v8
	s_delay_alu instid0(VALU_DEP_2) | instskip(NEXT) | instid1(VALU_DEP_2)
	v_cmp_ne_u32_e32 vcc_lo, 0, v1
	v_cmp_ne_u32_e64 s0, 0, v8
	v_lshrrev_b32_e32 v1, 23, v0
	s_delay_alu instid0(VALU_DEP_2) | instskip(NEXT) | instid1(SALU_CYCLE_1)
	s_and_b32 s0, vcc_lo, s0
	v_cndmask_b32_e64 v8, 0, 1, s0
	s_delay_alu instid0(VALU_DEP_1)
	v_add_nc_u32_e32 v1, v1, v8
; %bb.664:
	s_or_b32 exec_lo, exec_lo, s18
	s_mov_b32 s18, -1
	s_mov_b32 s0, 0
	global_store_b8 v[2:3], v1, off
.LBB200_665:
	s_mov_b32 s19, 0
.LBB200_666:
	s_delay_alu instid0(SALU_CYCLE_1)
	s_and_b32 vcc_lo, exec_lo, s19
	s_cbranch_vccz .LBB200_669
; %bb.667:
	v_cmp_eq_u16_e32 vcc_lo, 29, v7
	s_mov_b32 s0, -1
	s_cbranch_vccz .LBB200_669
; %bb.668:
	v_trunc_f32_e32 v1, v0
	s_mov_b32 s18, -1
	s_mov_b32 s0, 0
	s_mov_b32 s19, 0
	s_delay_alu instid0(VALU_DEP_1) | instskip(NEXT) | instid1(VALU_DEP_1)
	v_mul_f32_e32 v8, 0x2f800000, v1
	v_floor_f32_e32 v8, v8
	s_delay_alu instid0(VALU_DEP_1) | instskip(SKIP_1) | instid1(VALU_DEP_2)
	v_fmamk_f32 v1, v8, 0xcf800000, v1
	v_cvt_u32_f32_e32 v9, v8
	v_cvt_u32_f32_e32 v8, v1
	global_store_b64 v[2:3], v[8:9], off
	s_branch .LBB200_670
.LBB200_669:
	s_mov_b32 s19, 0
.LBB200_670:
	s_delay_alu instid0(SALU_CYCLE_1)
	s_and_b32 vcc_lo, exec_lo, s19
	s_cbranch_vccz .LBB200_686
; %bb.671:
	v_cmp_gt_i16_e32 vcc_lo, 27, v7
	s_mov_b32 s18, -1
	s_cbranch_vccnz .LBB200_677
; %bb.672:
	v_cmp_lt_i16_e32 vcc_lo, 27, v7
	s_cbranch_vccz .LBB200_674
; %bb.673:
	v_cvt_u32_f32_e32 v1, v0
	s_mov_b32 s18, 0
	global_store_b32 v[2:3], v1, off
.LBB200_674:
	s_and_not1_b32 vcc_lo, exec_lo, s18
	s_cbranch_vccnz .LBB200_676
; %bb.675:
	v_cvt_u32_f32_e32 v1, v0
	global_store_b16 v[2:3], v1, off
.LBB200_676:
	s_mov_b32 s18, 0
.LBB200_677:
	s_delay_alu instid0(SALU_CYCLE_1)
	s_and_not1_b32 vcc_lo, exec_lo, s18
	s_cbranch_vccnz .LBB200_685
; %bb.678:
	v_and_b32_e32 v1, 0x7fffffff, v0
	v_mov_b32_e32 v8, 0x80
	s_mov_b32 s18, exec_lo
	s_delay_alu instid0(VALU_DEP_2)
	v_cmpx_gt_u32_e32 0x43800000, v1
	s_cbranch_execz .LBB200_684
; %bb.679:
	v_cmp_lt_u32_e32 vcc_lo, 0x3bffffff, v1
	s_mov_b32 s19, 0
                                        ; implicit-def: $vgpr1
	s_and_saveexec_b32 s20, vcc_lo
	s_delay_alu instid0(SALU_CYCLE_1)
	s_xor_b32 s20, exec_lo, s20
	s_cbranch_execz .LBB200_786
; %bb.680:
	v_bfe_u32 v1, v0, 20, 1
	s_mov_b32 s19, exec_lo
	s_delay_alu instid0(VALU_DEP_1) | instskip(NEXT) | instid1(VALU_DEP_1)
	v_add3_u32 v1, v0, v1, 0x487ffff
	v_lshrrev_b32_e32 v1, 20, v1
	s_or_saveexec_b32 s20, s20
                                        ; implicit-def: $sgpr21
	s_delay_alu instid0(SALU_CYCLE_1)
	s_xor_b32 exec_lo, exec_lo, s20
	s_cbranch_execnz .LBB200_787
.LBB200_681:
	s_or_b32 exec_lo, exec_lo, s20
	v_mov_b32_e32 v8, s21
	s_and_saveexec_b32 s20, s19
.LBB200_682:
	v_lshrrev_b32_e32 v8, 24, v0
	s_delay_alu instid0(VALU_DEP_1)
	v_and_or_b32 v8, 0x80, v8, v1
.LBB200_683:
	s_or_b32 exec_lo, exec_lo, s20
.LBB200_684:
	s_delay_alu instid0(SALU_CYCLE_1)
	s_or_b32 exec_lo, exec_lo, s18
	global_store_b8 v[2:3], v8, off
.LBB200_685:
	s_mov_b32 s18, -1
.LBB200_686:
	s_mov_b32 s19, 0
.LBB200_687:
	s_delay_alu instid0(SALU_CYCLE_1)
	s_and_b32 vcc_lo, exec_lo, s19
	s_cbranch_vccz .LBB200_728
; %bb.688:
	v_cmp_lt_i16_e32 vcc_lo, 22, v7
	s_mov_b32 s19, -1
	s_cbranch_vccz .LBB200_720
; %bb.689:
	v_cmp_gt_i16_e32 vcc_lo, 24, v7
	s_mov_b32 s18, -1
	s_cbranch_vccnz .LBB200_709
; %bb.690:
	v_cmp_lt_i16_e32 vcc_lo, 24, v7
	s_cbranch_vccz .LBB200_698
; %bb.691:
	v_and_b32_e32 v1, 0x7fffffff, v0
	v_mov_b32_e32 v8, 0x80
	s_mov_b32 s18, exec_lo
	s_delay_alu instid0(VALU_DEP_2)
	v_cmpx_gt_u32_e32 0x47800000, v1
	s_cbranch_execz .LBB200_697
; %bb.692:
	v_cmp_lt_u32_e32 vcc_lo, 0x37ffffff, v1
	s_mov_b32 s19, 0
                                        ; implicit-def: $vgpr1
	s_and_saveexec_b32 s20, vcc_lo
	s_delay_alu instid0(SALU_CYCLE_1)
	s_xor_b32 s20, exec_lo, s20
	s_cbranch_execz .LBB200_789
; %bb.693:
	v_bfe_u32 v1, v0, 21, 1
	s_mov_b32 s19, exec_lo
	s_delay_alu instid0(VALU_DEP_1) | instskip(NEXT) | instid1(VALU_DEP_1)
	v_add3_u32 v1, v0, v1, 0x88fffff
	v_lshrrev_b32_e32 v1, 21, v1
	s_or_saveexec_b32 s20, s20
                                        ; implicit-def: $sgpr21
	s_delay_alu instid0(SALU_CYCLE_1)
	s_xor_b32 exec_lo, exec_lo, s20
	s_cbranch_execnz .LBB200_790
.LBB200_694:
	s_or_b32 exec_lo, exec_lo, s20
	v_mov_b32_e32 v8, s21
	s_and_saveexec_b32 s20, s19
.LBB200_695:
	v_lshrrev_b32_e32 v8, 24, v0
	s_delay_alu instid0(VALU_DEP_1)
	v_and_or_b32 v8, 0x80, v8, v1
.LBB200_696:
	s_or_b32 exec_lo, exec_lo, s20
.LBB200_697:
	s_delay_alu instid0(SALU_CYCLE_1)
	s_or_b32 exec_lo, exec_lo, s18
	s_mov_b32 s18, 0
	global_store_b8 v[2:3], v8, off
.LBB200_698:
	s_and_b32 vcc_lo, exec_lo, s18
	s_cbranch_vccz .LBB200_708
; %bb.699:
	v_and_b32_e32 v8, 0x7fffffff, v0
	s_mov_b32 s18, exec_lo
                                        ; implicit-def: $vgpr1
	s_delay_alu instid0(VALU_DEP_1)
	v_cmpx_gt_u32_e32 0x43f00000, v8
	s_xor_b32 s18, exec_lo, s18
	s_cbranch_execz .LBB200_705
; %bb.700:
	s_mov_b32 s19, exec_lo
                                        ; implicit-def: $vgpr1
	v_cmpx_lt_u32_e32 0x3c7fffff, v8
	s_xor_b32 s19, exec_lo, s19
; %bb.701:
	v_bfe_u32 v1, v0, 20, 1
	s_delay_alu instid0(VALU_DEP_1) | instskip(NEXT) | instid1(VALU_DEP_1)
	v_add3_u32 v1, v0, v1, 0x407ffff
	v_and_b32_e32 v8, 0xff00000, v1
	v_lshrrev_b32_e32 v1, 20, v1
	s_delay_alu instid0(VALU_DEP_2) | instskip(NEXT) | instid1(VALU_DEP_2)
	v_cmp_ne_u32_e32 vcc_lo, 0x7f00000, v8
	v_cndmask_b32_e32 v1, 0x7e, v1, vcc_lo
; %bb.702:
	s_and_not1_saveexec_b32 s19, s19
; %bb.703:
	v_add_f32_e64 v1, 0x46800000, |v0|
; %bb.704:
	s_or_b32 exec_lo, exec_lo, s19
                                        ; implicit-def: $vgpr8
.LBB200_705:
	s_and_not1_saveexec_b32 s18, s18
; %bb.706:
	v_mov_b32_e32 v1, 0x7f
	v_cmp_lt_u32_e32 vcc_lo, 0x7f800000, v8
	s_delay_alu instid0(VALU_DEP_2)
	v_cndmask_b32_e32 v1, 0x7e, v1, vcc_lo
; %bb.707:
	s_or_b32 exec_lo, exec_lo, s18
	v_lshrrev_b32_e32 v8, 24, v0
	s_delay_alu instid0(VALU_DEP_1)
	v_and_or_b32 v1, 0x80, v8, v1
	global_store_b8 v[2:3], v1, off
.LBB200_708:
	s_mov_b32 s18, 0
.LBB200_709:
	s_delay_alu instid0(SALU_CYCLE_1)
	s_and_not1_b32 vcc_lo, exec_lo, s18
	s_cbranch_vccnz .LBB200_719
; %bb.710:
	v_and_b32_e32 v8, 0x7fffffff, v0
	s_mov_b32 s18, exec_lo
                                        ; implicit-def: $vgpr1
	s_delay_alu instid0(VALU_DEP_1)
	v_cmpx_gt_u32_e32 0x47800000, v8
	s_xor_b32 s18, exec_lo, s18
	s_cbranch_execz .LBB200_716
; %bb.711:
	s_mov_b32 s19, exec_lo
                                        ; implicit-def: $vgpr1
	v_cmpx_lt_u32_e32 0x387fffff, v8
	s_xor_b32 s19, exec_lo, s19
; %bb.712:
	v_bfe_u32 v1, v0, 21, 1
	s_delay_alu instid0(VALU_DEP_1) | instskip(NEXT) | instid1(VALU_DEP_1)
	v_add3_u32 v1, v0, v1, 0x80fffff
	v_lshrrev_b32_e32 v1, 21, v1
; %bb.713:
	s_and_not1_saveexec_b32 s19, s19
; %bb.714:
	v_add_f32_e64 v1, 0x43000000, |v0|
; %bb.715:
	s_or_b32 exec_lo, exec_lo, s19
                                        ; implicit-def: $vgpr8
.LBB200_716:
	s_and_not1_saveexec_b32 s18, s18
; %bb.717:
	v_mov_b32_e32 v1, 0x7f
	v_cmp_lt_u32_e32 vcc_lo, 0x7f800000, v8
	s_delay_alu instid0(VALU_DEP_2)
	v_cndmask_b32_e32 v1, 0x7c, v1, vcc_lo
; %bb.718:
	s_or_b32 exec_lo, exec_lo, s18
	v_lshrrev_b32_e32 v8, 24, v0
	s_delay_alu instid0(VALU_DEP_1)
	v_and_or_b32 v1, 0x80, v8, v1
	global_store_b8 v[2:3], v1, off
.LBB200_719:
	s_mov_b32 s19, 0
	s_mov_b32 s18, -1
.LBB200_720:
	s_and_not1_b32 vcc_lo, exec_lo, s19
	s_cbranch_vccnz .LBB200_728
; %bb.721:
	v_cmp_lt_i16_e32 vcc_lo, 14, v7
	s_mov_b32 s19, -1
	s_cbranch_vccz .LBB200_725
; %bb.722:
	v_cmp_eq_u16_e32 vcc_lo, 15, v7
	s_mov_b32 s0, -1
	s_cbranch_vccz .LBB200_724
; %bb.723:
	v_bfe_u32 v1, v0, 16, 1
	v_cmp_o_f32_e32 vcc_lo, v0, v0
	s_mov_b32 s18, -1
	s_mov_b32 s0, 0
	s_delay_alu instid0(VALU_DEP_2) | instskip(NEXT) | instid1(VALU_DEP_1)
	v_add3_u32 v1, v0, v1, 0x7fff
	v_lshrrev_b32_e32 v1, 16, v1
	s_delay_alu instid0(VALU_DEP_1)
	v_cndmask_b32_e32 v1, 0x7fc0, v1, vcc_lo
	global_store_b16 v[2:3], v1, off
.LBB200_724:
	s_mov_b32 s19, 0
.LBB200_725:
	s_delay_alu instid0(SALU_CYCLE_1)
	s_and_b32 vcc_lo, exec_lo, s19
	s_cbranch_vccz .LBB200_728
; %bb.726:
	v_cmp_eq_u16_e32 vcc_lo, 11, v7
	s_mov_b32 s0, -1
	s_cbranch_vccz .LBB200_728
; %bb.727:
	v_cmp_neq_f32_e32 vcc_lo, 0, v0
	s_mov_b32 s0, 0
	s_mov_b32 s18, -1
	v_cndmask_b32_e64 v1, 0, 1, vcc_lo
	global_store_b8 v[2:3], v1, off
.LBB200_728:
	s_mov_b32 s19, 0
.LBB200_729:
	s_delay_alu instid0(SALU_CYCLE_1)
	s_and_b32 vcc_lo, exec_lo, s19
	s_cbranch_vccz .LBB200_768
; %bb.730:
	v_cmp_gt_i16_e32 vcc_lo, 5, v7
	s_mov_b32 s18, -1
	s_cbranch_vccnz .LBB200_751
; %bb.731:
	v_cmp_gt_i16_e32 vcc_lo, 8, v7
	s_cbranch_vccnz .LBB200_741
; %bb.732:
	v_cmp_gt_i16_e32 vcc_lo, 9, v7
	s_cbranch_vccnz .LBB200_738
; %bb.733:
	v_cmp_lt_i16_e32 vcc_lo, 9, v7
	s_cbranch_vccz .LBB200_735
; %bb.734:
	v_cvt_f64_f32_e32 v[8:9], v0
	v_mov_b32_e32 v10, 0
	s_mov_b32 s18, 0
	s_delay_alu instid0(VALU_DEP_1)
	v_mov_b32_e32 v11, v10
	global_store_b128 v[2:3], v[8:11], off
.LBB200_735:
	s_and_not1_b32 vcc_lo, exec_lo, s18
	s_cbranch_vccnz .LBB200_737
; %bb.736:
	v_mov_b32_e32 v1, 0
	global_store_b64 v[2:3], v[0:1], off
.LBB200_737:
	s_mov_b32 s18, 0
.LBB200_738:
	s_delay_alu instid0(SALU_CYCLE_1)
	s_and_not1_b32 vcc_lo, exec_lo, s18
	s_cbranch_vccnz .LBB200_740
; %bb.739:
	v_cvt_f16_f32_e32 v1, v0
	s_delay_alu instid0(VALU_DEP_1)
	v_and_b32_e32 v1, 0xffff, v1
	global_store_b32 v[2:3], v1, off
.LBB200_740:
	s_mov_b32 s18, 0
.LBB200_741:
	s_delay_alu instid0(SALU_CYCLE_1)
	s_and_not1_b32 vcc_lo, exec_lo, s18
	s_cbranch_vccnz .LBB200_750
; %bb.742:
	v_cmp_gt_i16_e32 vcc_lo, 6, v7
	s_mov_b32 s18, -1
	s_cbranch_vccnz .LBB200_748
; %bb.743:
	v_cmp_lt_i16_e32 vcc_lo, 6, v7
	s_cbranch_vccz .LBB200_745
; %bb.744:
	v_cvt_f64_f32_e32 v[8:9], v0
	s_mov_b32 s18, 0
	global_store_b64 v[2:3], v[8:9], off
.LBB200_745:
	s_and_not1_b32 vcc_lo, exec_lo, s18
	s_cbranch_vccnz .LBB200_747
; %bb.746:
	global_store_b32 v[2:3], v0, off
.LBB200_747:
	s_mov_b32 s18, 0
.LBB200_748:
	s_delay_alu instid0(SALU_CYCLE_1)
	s_and_not1_b32 vcc_lo, exec_lo, s18
	s_cbranch_vccnz .LBB200_750
; %bb.749:
	v_cvt_f16_f32_e32 v1, v0
	global_store_b16 v[2:3], v1, off
.LBB200_750:
	s_mov_b32 s18, 0
.LBB200_751:
	s_delay_alu instid0(SALU_CYCLE_1)
	s_and_not1_b32 vcc_lo, exec_lo, s18
	s_cbranch_vccnz .LBB200_767
; %bb.752:
	v_cmp_gt_i16_e32 vcc_lo, 2, v7
	s_mov_b32 s18, -1
	s_cbranch_vccnz .LBB200_762
; %bb.753:
	v_cmp_gt_i16_e32 vcc_lo, 3, v7
	s_cbranch_vccnz .LBB200_759
; %bb.754:
	v_cmp_lt_i16_e32 vcc_lo, 3, v7
	s_cbranch_vccz .LBB200_756
; %bb.755:
	v_trunc_f32_e32 v1, v0
	s_mov_b32 s18, 0
	s_delay_alu instid0(VALU_DEP_1) | instskip(NEXT) | instid1(VALU_DEP_1)
	v_mul_f32_e64 v8, 0x2f800000, |v1|
	v_floor_f32_e32 v8, v8
	s_delay_alu instid0(VALU_DEP_1) | instskip(SKIP_2) | instid1(VALU_DEP_3)
	v_fma_f32 v9, 0xcf800000, v8, |v1|
	v_ashrrev_i32_e32 v1, 31, v1
	v_cvt_u32_f32_e32 v8, v8
	v_cvt_u32_f32_e32 v9, v9
	s_delay_alu instid0(VALU_DEP_2) | instskip(NEXT) | instid1(VALU_DEP_2)
	v_xor_b32_e32 v10, v8, v1
	v_xor_b32_e32 v9, v9, v1
	s_delay_alu instid0(VALU_DEP_1) | instskip(NEXT) | instid1(VALU_DEP_3)
	v_sub_co_u32 v8, vcc_lo, v9, v1
	v_sub_co_ci_u32_e32 v9, vcc_lo, v10, v1, vcc_lo
	global_store_b64 v[2:3], v[8:9], off
.LBB200_756:
	s_and_not1_b32 vcc_lo, exec_lo, s18
	s_cbranch_vccnz .LBB200_758
; %bb.757:
	v_cvt_i32_f32_e32 v1, v0
	global_store_b32 v[2:3], v1, off
.LBB200_758:
	s_mov_b32 s18, 0
.LBB200_759:
	s_delay_alu instid0(SALU_CYCLE_1)
	s_and_not1_b32 vcc_lo, exec_lo, s18
	s_cbranch_vccnz .LBB200_761
; %bb.760:
	v_cvt_i32_f32_e32 v1, v0
	global_store_b16 v[2:3], v1, off
.LBB200_761:
	s_mov_b32 s18, 0
.LBB200_762:
	s_delay_alu instid0(SALU_CYCLE_1)
	s_and_not1_b32 vcc_lo, exec_lo, s18
	s_cbranch_vccnz .LBB200_767
; %bb.763:
	v_cmp_lt_i16_e32 vcc_lo, 0, v7
	s_mov_b32 s18, -1
	s_cbranch_vccz .LBB200_765
; %bb.764:
	v_cvt_i32_f32_e32 v1, v0
	s_mov_b32 s18, 0
	global_store_b8 v[2:3], v1, off
.LBB200_765:
	s_and_not1_b32 vcc_lo, exec_lo, s18
	s_cbranch_vccnz .LBB200_767
; %bb.766:
	v_trunc_f32_e32 v0, v0
	s_delay_alu instid0(VALU_DEP_1) | instskip(NEXT) | instid1(VALU_DEP_1)
	v_mul_f32_e64 v1, 0x2f800000, |v0|
	v_floor_f32_e32 v1, v1
	s_delay_alu instid0(VALU_DEP_1) | instskip(SKIP_1) | instid1(VALU_DEP_2)
	v_fma_f32 v1, 0xcf800000, v1, |v0|
	v_ashrrev_i32_e32 v0, 31, v0
	v_cvt_u32_f32_e32 v1, v1
	s_delay_alu instid0(VALU_DEP_1) | instskip(NEXT) | instid1(VALU_DEP_1)
	v_xor_b32_e32 v1, v1, v0
	v_sub_nc_u32_e32 v0, v1, v0
	global_store_b8 v[2:3], v0, off
.LBB200_767:
	s_mov_b32 s18, -1
.LBB200_768:
	s_delay_alu instid0(SALU_CYCLE_1)
	s_and_not1_b32 vcc_lo, exec_lo, s18
	s_cbranch_vccnz .LBB200_770
; %bb.769:
	v_add_nc_u32_e32 v5, 0x80, v5
	s_mov_b32 s19, -1
	s_branch .LBB200_772
.LBB200_770:
	s_mov_b32 s19, 0
.LBB200_771:
                                        ; implicit-def: $vgpr5
.LBB200_772:
	s_and_not1_b32 s18, s14, exec_lo
	s_and_b32 s0, s0, exec_lo
	s_and_not1_b32 s20, s13, exec_lo
	s_and_b32 s17, s17, exec_lo
	s_or_b32 s18, s18, s0
	s_or_b32 s17, s20, s17
	s_or_not1_b32 s0, s19, exec_lo
.LBB200_773:
	s_or_b32 exec_lo, exec_lo, s16
	s_mov_b32 s19, 0
	s_mov_b32 s20, 0
	;; [unrolled: 1-line block ×3, first 2 shown]
                                        ; implicit-def: $vgpr0_vgpr1
                                        ; implicit-def: $vgpr3
	s_and_saveexec_b32 s16, s0
	s_cbranch_execz .LBB200_858
; %bb.774:
	v_cmp_gt_i32_e32 vcc_lo, s10, v5
	s_mov_b32 s0, 0
	s_mov_b32 s19, s17
                                        ; implicit-def: $vgpr0_vgpr1
                                        ; implicit-def: $vgpr3
	s_and_saveexec_b32 s10, vcc_lo
	s_cbranch_execz .LBB200_857
; %bb.775:
	v_mul_lo_u32 v0, v5, s3
	v_cmp_gt_i16_e32 vcc_lo, 11, v6
	s_delay_alu instid0(VALU_DEP_2) | instskip(SKIP_1) | instid1(VALU_DEP_1)
	v_ashrrev_i32_e32 v1, 31, v0
	v_add_co_u32 v0, s0, s6, v0
	v_add_co_ci_u32_e64 v1, s0, s7, v1, s0
	s_cbranch_vccnz .LBB200_782
; %bb.776:
	v_cmp_lt_i16_e32 vcc_lo, 25, v6
	s_mov_b32 s19, 0
	s_cbranch_vccz .LBB200_783
; %bb.777:
	v_cmp_lt_i16_e32 vcc_lo, 28, v6
	s_cbranch_vccz .LBB200_784
; %bb.778:
	v_cmp_lt_i16_e32 vcc_lo, 43, v6
	;; [unrolled: 3-line block ×3, first 2 shown]
	s_cbranch_vccz .LBB200_788
; %bb.780:
	v_cmp_eq_u16_e32 vcc_lo, 46, v6
	s_cbranch_vccz .LBB200_791
; %bb.781:
	global_load_b32 v2, v[0:1], off
	s_mov_b32 s0, 0
	s_mov_b32 s20, -1
	s_waitcnt vmcnt(0)
	v_lshlrev_b32_e32 v3, 16, v2
	s_branch .LBB200_793
.LBB200_782:
	s_mov_b32 s22, -1
	s_mov_b32 s19, 0
	s_mov_b32 s0, s17
                                        ; implicit-def: $vgpr3
	s_branch .LBB200_856
.LBB200_783:
	s_mov_b32 s21, -1
	s_mov_b32 s0, s17
                                        ; implicit-def: $vgpr3
	s_branch .LBB200_822
.LBB200_784:
	s_mov_b32 s21, -1
	s_mov_b32 s0, s17
                                        ; implicit-def: $vgpr3
	s_branch .LBB200_803
.LBB200_785:
	s_mov_b32 s21, -1
	s_mov_b32 s0, s17
                                        ; implicit-def: $vgpr3
	s_branch .LBB200_798
.LBB200_786:
	s_or_saveexec_b32 s20, s20
                                        ; implicit-def: $sgpr21
	s_delay_alu instid0(SALU_CYCLE_1)
	s_xor_b32 exec_lo, exec_lo, s20
	s_cbranch_execz .LBB200_681
.LBB200_787:
	v_add_f32_e64 v1, 0x46000000, |v0|
	s_and_not1_b32 s19, s19, exec_lo
	s_mov_b32 s21, 0
	s_delay_alu instid0(VALU_DEP_1) | instskip(NEXT) | instid1(VALU_DEP_1)
	v_and_b32_e32 v1, 0xff, v1
	v_cmp_ne_u32_e32 vcc_lo, 0, v1
	s_and_b32 s22, vcc_lo, exec_lo
	s_delay_alu instid0(SALU_CYCLE_1)
	s_or_b32 s19, s19, s22
	s_or_b32 exec_lo, exec_lo, s20
	v_mov_b32_e32 v8, s21
	s_and_saveexec_b32 s20, s19
	s_cbranch_execnz .LBB200_682
	s_branch .LBB200_683
.LBB200_788:
	s_mov_b32 s21, -1
	s_mov_b32 s0, s17
	s_branch .LBB200_792
.LBB200_789:
	s_or_saveexec_b32 s20, s20
                                        ; implicit-def: $sgpr21
	s_delay_alu instid0(SALU_CYCLE_1)
	s_xor_b32 exec_lo, exec_lo, s20
	s_cbranch_execz .LBB200_694
.LBB200_790:
	v_add_f32_e64 v1, 0x42800000, |v0|
	s_and_not1_b32 s19, s19, exec_lo
	s_mov_b32 s21, 0
	s_delay_alu instid0(VALU_DEP_1) | instskip(NEXT) | instid1(VALU_DEP_1)
	v_and_b32_e32 v1, 0xff, v1
	v_cmp_ne_u32_e32 vcc_lo, 0, v1
	s_and_b32 s22, vcc_lo, exec_lo
	s_delay_alu instid0(SALU_CYCLE_1)
	s_or_b32 s19, s19, s22
	s_or_b32 exec_lo, exec_lo, s20
	v_mov_b32_e32 v8, s21
	s_and_saveexec_b32 s20, s19
	s_cbranch_execnz .LBB200_695
	s_branch .LBB200_696
.LBB200_791:
	s_mov_b32 s0, -1
.LBB200_792:
                                        ; implicit-def: $vgpr3
.LBB200_793:
	s_and_b32 vcc_lo, exec_lo, s21
	s_cbranch_vccz .LBB200_797
; %bb.794:
	v_cmp_eq_u16_e32 vcc_lo, 44, v6
	s_cbranch_vccz .LBB200_796
; %bb.795:
	global_load_u8 v2, v[0:1], off
	s_mov_b32 s0, 0
	s_mov_b32 s20, -1
	s_waitcnt vmcnt(0)
	v_lshlrev_b32_e32 v3, 23, v2
	v_cmp_ne_u32_e32 vcc_lo, 0xff, v2
	s_delay_alu instid0(VALU_DEP_2) | instskip(SKIP_1) | instid1(VALU_DEP_2)
	v_cndmask_b32_e32 v3, 0x7f800001, v3, vcc_lo
	v_cmp_ne_u32_e32 vcc_lo, 0, v2
	v_cndmask_b32_e32 v3, 0x400000, v3, vcc_lo
	s_branch .LBB200_797
.LBB200_796:
	s_mov_b32 s0, -1
                                        ; implicit-def: $vgpr3
.LBB200_797:
	s_mov_b32 s21, 0
.LBB200_798:
	s_delay_alu instid0(SALU_CYCLE_1)
	s_and_b32 vcc_lo, exec_lo, s21
	s_cbranch_vccz .LBB200_802
; %bb.799:
	v_cmp_eq_u16_e32 vcc_lo, 29, v6
	s_cbranch_vccz .LBB200_801
; %bb.800:
	global_load_b64 v[2:3], v[0:1], off
	s_mov_b32 s0, 0
	s_mov_b32 s20, -1
	s_mov_b32 s21, 0
	s_waitcnt vmcnt(0)
	v_clz_i32_u32_e32 v7, v3
	s_delay_alu instid0(VALU_DEP_1) | instskip(NEXT) | instid1(VALU_DEP_1)
	v_min_u32_e32 v7, 32, v7
	v_lshlrev_b64 v[2:3], v7, v[2:3]
	s_delay_alu instid0(VALU_DEP_1) | instskip(NEXT) | instid1(VALU_DEP_1)
	v_min_u32_e32 v2, 1, v2
	v_or_b32_e32 v2, v3, v2
	v_sub_nc_u32_e32 v3, 32, v7
	s_delay_alu instid0(VALU_DEP_2) | instskip(NEXT) | instid1(VALU_DEP_1)
	v_cvt_f32_u32_e32 v2, v2
	v_ldexp_f32 v3, v2, v3
	s_branch .LBB200_803
.LBB200_801:
	s_mov_b32 s0, -1
                                        ; implicit-def: $vgpr3
.LBB200_802:
	s_mov_b32 s21, 0
.LBB200_803:
	s_delay_alu instid0(SALU_CYCLE_1)
	s_and_b32 vcc_lo, exec_lo, s21
	s_cbranch_vccz .LBB200_821
; %bb.804:
	v_cmp_gt_i16_e32 vcc_lo, 27, v6
	s_cbranch_vccnz .LBB200_807
; %bb.805:
	v_cmp_lt_i16_e32 vcc_lo, 27, v6
	s_cbranch_vccz .LBB200_808
; %bb.806:
	global_load_b32 v2, v[0:1], off
	s_mov_b32 s20, 0
	s_waitcnt vmcnt(0)
	v_cvt_f32_u32_e32 v3, v2
	s_branch .LBB200_809
.LBB200_807:
	s_mov_b32 s20, -1
                                        ; implicit-def: $vgpr3
	s_branch .LBB200_812
.LBB200_808:
	s_mov_b32 s20, -1
                                        ; implicit-def: $vgpr3
.LBB200_809:
	s_delay_alu instid0(SALU_CYCLE_1)
	s_and_not1_b32 vcc_lo, exec_lo, s20
	s_cbranch_vccnz .LBB200_811
; %bb.810:
	global_load_u16 v2, v[0:1], off
	s_waitcnt vmcnt(0)
	v_cvt_f32_u32_e32 v3, v2
.LBB200_811:
	s_mov_b32 s20, 0
.LBB200_812:
	s_delay_alu instid0(SALU_CYCLE_1)
	s_and_not1_b32 vcc_lo, exec_lo, s20
	s_cbranch_vccnz .LBB200_820
; %bb.813:
	global_load_u8 v2, v[0:1], off
	s_mov_b32 s20, 0
	s_mov_b32 s22, exec_lo
                                        ; implicit-def: $sgpr21
	s_waitcnt vmcnt(0)
	v_cmpx_lt_i16_e32 0x7f, v2
	s_xor_b32 s22, exec_lo, s22
	s_cbranch_execz .LBB200_834
; %bb.814:
	s_mov_b32 s20, -1
	s_mov_b32 s23, exec_lo
                                        ; implicit-def: $sgpr21
	v_cmpx_eq_u16_e32 0x80, v2
; %bb.815:
	s_mov_b32 s21, 0x7f800001
	s_xor_b32 s20, exec_lo, -1
; %bb.816:
	s_or_b32 exec_lo, exec_lo, s23
	s_delay_alu instid0(SALU_CYCLE_1)
	s_and_b32 s20, s20, exec_lo
	s_or_saveexec_b32 s22, s22
	v_mov_b32_e32 v3, s21
	s_xor_b32 exec_lo, exec_lo, s22
	s_cbranch_execnz .LBB200_835
.LBB200_817:
	s_or_b32 exec_lo, exec_lo, s22
	s_and_saveexec_b32 s21, s20
	s_cbranch_execz .LBB200_819
.LBB200_818:
	v_and_b32_e32 v3, 0xffff, v2
	s_delay_alu instid0(VALU_DEP_1) | instskip(NEXT) | instid1(VALU_DEP_1)
	v_and_b32_e32 v7, 7, v3
	v_clz_i32_u32_e32 v8, v7
	s_delay_alu instid0(VALU_DEP_1) | instskip(NEXT) | instid1(VALU_DEP_1)
	v_min_u32_e32 v8, 32, v8
	v_subrev_nc_u32_e32 v9, 28, v8
	v_sub_nc_u32_e32 v8, 29, v8
	s_delay_alu instid0(VALU_DEP_2) | instskip(SKIP_1) | instid1(VALU_DEP_2)
	v_lshlrev_b32_e32 v9, v9, v3
	v_bfe_u32 v3, v3, 3, 4
	v_and_b32_e32 v9, 7, v9
	s_delay_alu instid0(VALU_DEP_2) | instskip(SKIP_1) | instid1(VALU_DEP_1)
	v_cmp_eq_u32_e32 vcc_lo, 0, v3
	v_dual_cndmask_b32 v3, v3, v8 :: v_dual_lshlrev_b32 v2, 24, v2
	v_dual_cndmask_b32 v7, v7, v9 :: v_dual_and_b32 v2, 0x80000000, v2
	s_delay_alu instid0(VALU_DEP_2) | instskip(NEXT) | instid1(VALU_DEP_2)
	v_lshl_add_u32 v3, v3, 23, 0x3b800000
	v_lshlrev_b32_e32 v7, 20, v7
	s_delay_alu instid0(VALU_DEP_1)
	v_or3_b32 v3, v2, v3, v7
.LBB200_819:
	s_or_b32 exec_lo, exec_lo, s21
.LBB200_820:
	s_mov_b32 s20, -1
.LBB200_821:
	s_mov_b32 s21, 0
.LBB200_822:
	s_delay_alu instid0(SALU_CYCLE_1)
	s_and_b32 vcc_lo, exec_lo, s21
	s_cbranch_vccz .LBB200_855
; %bb.823:
	v_cmp_lt_i16_e32 vcc_lo, 22, v6
	s_cbranch_vccz .LBB200_833
; %bb.824:
	v_cmp_gt_i16_e32 vcc_lo, 24, v6
	s_cbranch_vccnz .LBB200_836
; %bb.825:
	v_cmp_lt_i16_e32 vcc_lo, 24, v6
	s_cbranch_vccz .LBB200_837
; %bb.826:
	global_load_u8 v2, v[0:1], off
	s_mov_b32 s21, exec_lo
                                        ; implicit-def: $sgpr20
	s_waitcnt vmcnt(0)
	v_cmpx_lt_i16_e32 0x7f, v2
	s_xor_b32 s21, exec_lo, s21
	s_cbranch_execz .LBB200_849
; %bb.827:
	s_mov_b32 s19, -1
	s_mov_b32 s22, exec_lo
                                        ; implicit-def: $sgpr20
	v_cmpx_eq_u16_e32 0x80, v2
; %bb.828:
	s_mov_b32 s20, 0x7f800001
	s_xor_b32 s19, exec_lo, -1
; %bb.829:
	s_or_b32 exec_lo, exec_lo, s22
	s_delay_alu instid0(SALU_CYCLE_1)
	s_and_b32 s19, s19, exec_lo
	s_or_saveexec_b32 s21, s21
	v_mov_b32_e32 v3, s20
	s_xor_b32 exec_lo, exec_lo, s21
	s_cbranch_execnz .LBB200_850
.LBB200_830:
	s_or_b32 exec_lo, exec_lo, s21
	s_and_saveexec_b32 s20, s19
	s_cbranch_execz .LBB200_832
.LBB200_831:
	v_and_b32_e32 v3, 0xffff, v2
	s_delay_alu instid0(VALU_DEP_1) | instskip(NEXT) | instid1(VALU_DEP_1)
	v_and_b32_e32 v7, 3, v3
	v_clz_i32_u32_e32 v8, v7
	s_delay_alu instid0(VALU_DEP_1) | instskip(NEXT) | instid1(VALU_DEP_1)
	v_min_u32_e32 v8, 32, v8
	v_subrev_nc_u32_e32 v9, 29, v8
	v_sub_nc_u32_e32 v8, 30, v8
	s_delay_alu instid0(VALU_DEP_2) | instskip(SKIP_1) | instid1(VALU_DEP_2)
	v_lshlrev_b32_e32 v9, v9, v3
	v_bfe_u32 v3, v3, 2, 5
	v_and_b32_e32 v9, 3, v9
	s_delay_alu instid0(VALU_DEP_2) | instskip(SKIP_1) | instid1(VALU_DEP_1)
	v_cmp_eq_u32_e32 vcc_lo, 0, v3
	v_dual_cndmask_b32 v3, v3, v8 :: v_dual_lshlrev_b32 v2, 24, v2
	v_dual_cndmask_b32 v7, v7, v9 :: v_dual_and_b32 v2, 0x80000000, v2
	s_delay_alu instid0(VALU_DEP_2) | instskip(NEXT) | instid1(VALU_DEP_2)
	v_lshl_add_u32 v3, v3, 23, 0x37800000
	v_lshlrev_b32_e32 v7, 21, v7
	s_delay_alu instid0(VALU_DEP_1)
	v_or3_b32 v3, v2, v3, v7
.LBB200_832:
	s_or_b32 exec_lo, exec_lo, s20
	s_mov_b32 s19, 0
	s_branch .LBB200_838
.LBB200_833:
	s_mov_b32 s19, -1
                                        ; implicit-def: $vgpr3
	s_branch .LBB200_844
.LBB200_834:
	s_or_saveexec_b32 s22, s22
	v_mov_b32_e32 v3, s21
	s_xor_b32 exec_lo, exec_lo, s22
	s_cbranch_execz .LBB200_817
.LBB200_835:
	v_cmp_ne_u16_e32 vcc_lo, 0, v2
	v_mov_b32_e32 v3, 0
	s_and_not1_b32 s20, s20, exec_lo
	s_and_b32 s21, vcc_lo, exec_lo
	s_delay_alu instid0(SALU_CYCLE_1)
	s_or_b32 s20, s20, s21
	s_or_b32 exec_lo, exec_lo, s22
	s_and_saveexec_b32 s21, s20
	s_cbranch_execnz .LBB200_818
	s_branch .LBB200_819
.LBB200_836:
	s_mov_b32 s19, -1
                                        ; implicit-def: $vgpr3
	s_branch .LBB200_841
.LBB200_837:
	s_mov_b32 s19, -1
                                        ; implicit-def: $vgpr3
.LBB200_838:
	s_delay_alu instid0(SALU_CYCLE_1)
	s_and_b32 vcc_lo, exec_lo, s19
	s_cbranch_vccz .LBB200_840
; %bb.839:
	global_load_u8 v2, v[0:1], off
	s_waitcnt vmcnt(0)
	v_lshlrev_b32_e32 v2, 24, v2
	s_delay_alu instid0(VALU_DEP_1) | instskip(NEXT) | instid1(VALU_DEP_1)
	v_and_b32_e32 v3, 0x7f000000, v2
	v_clz_i32_u32_e32 v7, v3
	v_add_nc_u32_e32 v9, 0x1000000, v3
	v_cmp_ne_u32_e32 vcc_lo, 0, v3
	s_delay_alu instid0(VALU_DEP_3) | instskip(NEXT) | instid1(VALU_DEP_1)
	v_min_u32_e32 v7, 32, v7
	v_sub_nc_u32_e64 v7, v7, 4 clamp
	s_delay_alu instid0(VALU_DEP_1) | instskip(SKIP_1) | instid1(VALU_DEP_2)
	v_lshlrev_b32_e32 v8, v7, v3
	v_lshlrev_b32_e32 v7, 23, v7
	v_lshrrev_b32_e32 v8, 4, v8
	s_delay_alu instid0(VALU_DEP_1) | instskip(SKIP_1) | instid1(VALU_DEP_2)
	v_sub_nc_u32_e32 v7, v8, v7
	v_ashrrev_i32_e32 v8, 8, v9
	v_add_nc_u32_e32 v7, 0x3c000000, v7
	s_delay_alu instid0(VALU_DEP_1) | instskip(NEXT) | instid1(VALU_DEP_1)
	v_and_or_b32 v7, 0x7f800000, v8, v7
	v_cndmask_b32_e32 v3, 0, v7, vcc_lo
	s_delay_alu instid0(VALU_DEP_1)
	v_and_or_b32 v3, 0x80000000, v2, v3
.LBB200_840:
	s_mov_b32 s19, 0
.LBB200_841:
	s_delay_alu instid0(SALU_CYCLE_1)
	s_and_not1_b32 vcc_lo, exec_lo, s19
	s_cbranch_vccnz .LBB200_843
; %bb.842:
	global_load_u8 v2, v[0:1], off
	s_waitcnt vmcnt(0)
	v_lshlrev_b32_e32 v3, 25, v2
	v_lshlrev_b16 v2, 8, v2
	s_delay_alu instid0(VALU_DEP_1) | instskip(SKIP_1) | instid1(VALU_DEP_2)
	v_and_or_b32 v8, 0x7f00, v2, 0.5
	v_bfe_i32 v2, v2, 0, 16
	v_add_f32_e32 v8, -0.5, v8
	v_lshrrev_b32_e32 v7, 4, v3
	v_cmp_gt_u32_e32 vcc_lo, 0x8000000, v3
	s_delay_alu instid0(VALU_DEP_2) | instskip(NEXT) | instid1(VALU_DEP_1)
	v_or_b32_e32 v7, 0x70000000, v7
	v_mul_f32_e32 v7, 0x7800000, v7
	s_delay_alu instid0(VALU_DEP_1) | instskip(NEXT) | instid1(VALU_DEP_1)
	v_cndmask_b32_e32 v3, v7, v8, vcc_lo
	v_and_or_b32 v3, 0x80000000, v2, v3
.LBB200_843:
	s_mov_b32 s19, 0
	s_mov_b32 s20, -1
.LBB200_844:
	s_and_not1_b32 vcc_lo, exec_lo, s19
	s_mov_b32 s19, 0
	s_cbranch_vccnz .LBB200_855
; %bb.845:
	v_cmp_lt_i16_e32 vcc_lo, 14, v6
	s_cbranch_vccz .LBB200_848
; %bb.846:
	v_cmp_eq_u16_e32 vcc_lo, 15, v6
	s_cbranch_vccz .LBB200_851
; %bb.847:
	global_load_u16 v2, v[0:1], off
	s_mov_b32 s0, 0
	s_mov_b32 s20, -1
	s_waitcnt vmcnt(0)
	v_lshlrev_b32_e32 v3, 16, v2
	s_branch .LBB200_853
.LBB200_848:
	s_mov_b32 s19, -1
	s_branch .LBB200_852
.LBB200_849:
	s_or_saveexec_b32 s21, s21
	v_mov_b32_e32 v3, s20
	s_xor_b32 exec_lo, exec_lo, s21
	s_cbranch_execz .LBB200_830
.LBB200_850:
	v_cmp_ne_u16_e32 vcc_lo, 0, v2
	v_mov_b32_e32 v3, 0
	s_and_not1_b32 s19, s19, exec_lo
	s_and_b32 s20, vcc_lo, exec_lo
	s_delay_alu instid0(SALU_CYCLE_1)
	s_or_b32 s19, s19, s20
	s_or_b32 exec_lo, exec_lo, s21
	s_and_saveexec_b32 s20, s19
	s_cbranch_execnz .LBB200_831
	s_branch .LBB200_832
.LBB200_851:
	s_mov_b32 s0, -1
.LBB200_852:
                                        ; implicit-def: $vgpr3
.LBB200_853:
	s_and_b32 vcc_lo, exec_lo, s19
	s_mov_b32 s19, 0
	s_cbranch_vccz .LBB200_855
; %bb.854:
	v_cmp_ne_u16_e32 vcc_lo, 11, v6
	s_and_not1_b32 s0, s0, exec_lo
	s_mov_b32 s19, -1
                                        ; implicit-def: $vgpr3
	s_and_b32 s21, vcc_lo, exec_lo
	s_delay_alu instid0(SALU_CYCLE_1)
	s_or_b32 s0, s0, s21
.LBB200_855:
	s_mov_b32 s22, 0
.LBB200_856:
	s_and_b32 s21, s20, exec_lo
	s_and_b32 s20, s22, exec_lo
	s_and_not1_b32 s22, s17, exec_lo
	s_and_b32 s23, s0, exec_lo
	s_and_b32 s0, s19, exec_lo
	s_or_b32 s19, s22, s23
.LBB200_857:
	s_or_b32 exec_lo, exec_lo, s10
	s_delay_alu instid0(SALU_CYCLE_1)
	s_and_not1_b32 s10, s17, exec_lo
	s_and_b32 s17, s19, exec_lo
	s_and_b32 s21, s21, exec_lo
	;; [unrolled: 1-line block ×4, first 2 shown]
	s_or_b32 s17, s10, s17
.LBB200_858:
	s_or_b32 exec_lo, exec_lo, s16
	s_delay_alu instid0(SALU_CYCLE_1)
	s_and_not1_b32 s0, s14, exec_lo
	s_and_b32 s10, s18, exec_lo
	s_and_b32 s18, s20, exec_lo
	s_or_b32 s14, s0, s10
	s_and_not1_b32 s10, s13, exec_lo
	s_and_b32 s13, s17, exec_lo
	s_and_b32 s0, s21, exec_lo
	;; [unrolled: 1-line block ×3, first 2 shown]
	s_or_b32 s13, s10, s13
.LBB200_859:
	s_or_b32 exec_lo, exec_lo, s15
	s_delay_alu instid0(SALU_CYCLE_1)
	s_and_not1_b32 s9, s9, exec_lo
	s_and_b32 s10, s14, exec_lo
	s_and_b32 s0, s0, exec_lo
	s_or_b32 s9, s9, s10
	s_and_not1_b32 s10, s11, exec_lo
	s_and_b32 s11, s13, exec_lo
	s_and_b32 s14, s18, exec_lo
	;; [unrolled: 1-line block ×3, first 2 shown]
	s_or_b32 s11, s10, s11
.LBB200_860:
	s_or_b32 exec_lo, exec_lo, s12
	s_mov_b32 s10, 0
	s_and_saveexec_b32 s12, s11
	s_cbranch_execnz .LBB200_872
; %bb.861:
	s_or_b32 exec_lo, exec_lo, s12
	s_and_saveexec_b32 s11, s13
	s_delay_alu instid0(SALU_CYCLE_1)
	s_xor_b32 s11, exec_lo, s11
	s_cbranch_execz .LBB200_863
.LBB200_862:
	global_load_u8 v2, v[0:1], off
	s_or_b32 s0, s0, exec_lo
	s_waitcnt vmcnt(0)
	v_cmp_ne_u16_e32 vcc_lo, 0, v2
	v_cndmask_b32_e64 v3, 0, 1.0, vcc_lo
.LBB200_863:
	s_or_b32 exec_lo, exec_lo, s11
	s_and_saveexec_b32 s11, s14
	s_cbranch_execz .LBB200_911
; %bb.864:
	v_cmp_gt_i16_e32 vcc_lo, 5, v6
	s_cbranch_vccnz .LBB200_869
; %bb.865:
	v_cmp_gt_i16_e32 vcc_lo, 8, v6
	s_cbranch_vccnz .LBB200_870
	;; [unrolled: 3-line block ×3, first 2 shown]
; %bb.867:
	v_cmp_lt_i16_e32 vcc_lo, 9, v6
	s_cbranch_vccz .LBB200_874
; %bb.868:
	global_load_b64 v[2:3], v[0:1], off
	s_mov_b32 s12, 0
	s_waitcnt vmcnt(0)
	v_cvt_f32_f64_e32 v3, v[2:3]
	s_branch .LBB200_875
.LBB200_869:
                                        ; implicit-def: $vgpr3
	s_branch .LBB200_892
.LBB200_870:
                                        ; implicit-def: $vgpr3
	s_branch .LBB200_881
.LBB200_871:
	s_mov_b32 s12, -1
                                        ; implicit-def: $vgpr3
	s_branch .LBB200_878
.LBB200_872:
	s_cbranch_execnz .LBB200_920
; %bb.873:
	s_mov_b32 s10, exec_lo
	s_and_not1_b32 s13, s13, exec_lo
                                        ; implicit-def: $vgpr3
	s_or_b32 exec_lo, exec_lo, s12
	s_and_saveexec_b32 s11, s13
	s_delay_alu instid0(SALU_CYCLE_1)
	s_xor_b32 s11, exec_lo, s11
	s_cbranch_execnz .LBB200_862
	s_branch .LBB200_863
.LBB200_874:
	s_mov_b32 s12, -1
                                        ; implicit-def: $vgpr3
.LBB200_875:
	s_delay_alu instid0(SALU_CYCLE_1)
	s_and_not1_b32 vcc_lo, exec_lo, s12
	s_cbranch_vccnz .LBB200_877
; %bb.876:
	global_load_b32 v3, v[0:1], off
.LBB200_877:
	s_mov_b32 s12, 0
.LBB200_878:
	s_delay_alu instid0(SALU_CYCLE_1)
	s_and_not1_b32 vcc_lo, exec_lo, s12
	s_cbranch_vccnz .LBB200_880
; %bb.879:
	global_load_b32 v2, v[0:1], off
	s_waitcnt vmcnt(0)
	v_cvt_f32_f16_e32 v3, v2
.LBB200_880:
	s_cbranch_execnz .LBB200_891
.LBB200_881:
	v_cmp_gt_i16_e32 vcc_lo, 6, v6
	s_cbranch_vccnz .LBB200_884
; %bb.882:
	v_cmp_lt_i16_e32 vcc_lo, 6, v6
	s_cbranch_vccz .LBB200_885
; %bb.883:
	global_load_b64 v[2:3], v[0:1], off
	s_mov_b32 s12, 0
	s_waitcnt vmcnt(0)
	v_cvt_f32_f64_e32 v3, v[2:3]
	s_branch .LBB200_886
.LBB200_884:
	s_mov_b32 s12, -1
                                        ; implicit-def: $vgpr3
	s_branch .LBB200_889
.LBB200_885:
	s_mov_b32 s12, -1
                                        ; implicit-def: $vgpr3
.LBB200_886:
	s_delay_alu instid0(SALU_CYCLE_1)
	s_and_not1_b32 vcc_lo, exec_lo, s12
	s_cbranch_vccnz .LBB200_888
; %bb.887:
	global_load_b32 v3, v[0:1], off
.LBB200_888:
	s_mov_b32 s12, 0
.LBB200_889:
	s_delay_alu instid0(SALU_CYCLE_1)
	s_and_not1_b32 vcc_lo, exec_lo, s12
	s_cbranch_vccnz .LBB200_891
; %bb.890:
	global_load_u16 v2, v[0:1], off
	s_waitcnt vmcnt(0)
	v_cvt_f32_f16_e32 v3, v2
.LBB200_891:
	s_cbranch_execnz .LBB200_910
.LBB200_892:
	v_cmp_gt_i16_e32 vcc_lo, 2, v6
	s_cbranch_vccnz .LBB200_896
; %bb.893:
	v_cmp_gt_i16_e32 vcc_lo, 3, v6
	s_cbranch_vccnz .LBB200_897
; %bb.894:
	v_cmp_lt_i16_e32 vcc_lo, 3, v6
	s_cbranch_vccz .LBB200_898
; %bb.895:
	global_load_b64 v[2:3], v[0:1], off
	s_mov_b32 s12, 0
	s_waitcnt vmcnt(0)
	v_xor_b32_e32 v7, v2, v3
	v_cls_i32_e32 v8, v3
	s_delay_alu instid0(VALU_DEP_2) | instskip(NEXT) | instid1(VALU_DEP_2)
	v_ashrrev_i32_e32 v7, 31, v7
	v_add_nc_u32_e32 v8, -1, v8
	s_delay_alu instid0(VALU_DEP_2) | instskip(NEXT) | instid1(VALU_DEP_1)
	v_add_nc_u32_e32 v7, 32, v7
	v_min_u32_e32 v7, v8, v7
	s_delay_alu instid0(VALU_DEP_1) | instskip(NEXT) | instid1(VALU_DEP_1)
	v_lshlrev_b64 v[2:3], v7, v[2:3]
	v_min_u32_e32 v2, 1, v2
	s_delay_alu instid0(VALU_DEP_1) | instskip(SKIP_1) | instid1(VALU_DEP_2)
	v_or_b32_e32 v2, v3, v2
	v_sub_nc_u32_e32 v3, 32, v7
	v_cvt_f32_i32_e32 v2, v2
	s_delay_alu instid0(VALU_DEP_1)
	v_ldexp_f32 v3, v2, v3
	s_branch .LBB200_899
.LBB200_896:
                                        ; implicit-def: $vgpr3
	s_branch .LBB200_905
.LBB200_897:
	s_mov_b32 s12, -1
                                        ; implicit-def: $vgpr3
	s_branch .LBB200_902
.LBB200_898:
	s_mov_b32 s12, -1
                                        ; implicit-def: $vgpr3
.LBB200_899:
	s_delay_alu instid0(SALU_CYCLE_1)
	s_and_not1_b32 vcc_lo, exec_lo, s12
	s_cbranch_vccnz .LBB200_901
; %bb.900:
	global_load_b32 v2, v[0:1], off
	s_waitcnt vmcnt(0)
	v_cvt_f32_i32_e32 v3, v2
.LBB200_901:
	s_mov_b32 s12, 0
.LBB200_902:
	s_delay_alu instid0(SALU_CYCLE_1)
	s_and_not1_b32 vcc_lo, exec_lo, s12
	s_cbranch_vccnz .LBB200_904
; %bb.903:
	global_load_i16 v2, v[0:1], off
	s_waitcnt vmcnt(0)
	v_cvt_f32_i32_e32 v3, v2
.LBB200_904:
	s_cbranch_execnz .LBB200_910
.LBB200_905:
	v_cmp_lt_i16_e32 vcc_lo, 0, v6
	s_mov_b32 s12, 0
	s_cbranch_vccz .LBB200_907
; %bb.906:
	global_load_i8 v2, v[0:1], off
	s_waitcnt vmcnt(0)
	v_cvt_f32_i32_e32 v3, v2
	s_branch .LBB200_908
.LBB200_907:
	s_mov_b32 s12, -1
                                        ; implicit-def: $vgpr3
.LBB200_908:
	s_delay_alu instid0(SALU_CYCLE_1)
	s_and_not1_b32 vcc_lo, exec_lo, s12
	s_cbranch_vccnz .LBB200_910
; %bb.909:
	global_load_u8 v0, v[0:1], off
	s_waitcnt vmcnt(0)
	v_cvt_f32_ubyte0_e32 v3, v0
.LBB200_910:
	s_or_b32 s0, s0, exec_lo
.LBB200_911:
	s_or_b32 exec_lo, exec_lo, s11
	s_mov_b32 s13, 0
	s_mov_b32 s12, 0
                                        ; implicit-def: $vgpr6
                                        ; implicit-def: $vgpr0_vgpr1
                                        ; implicit-def: $vgpr2
	s_and_saveexec_b32 s11, s0
	s_cbranch_execz .LBB200_991
; %bb.912:
	s_waitcnt vmcnt(0)
	s_delay_alu instid0(VALU_DEP_1) | instskip(NEXT) | instid1(VALU_DEP_1)
	v_cvt_f64_f32_e32 v[0:1], v3
	v_rsq_f64_e32 v[2:3], v[0:1]
	s_waitcnt_depctr 0xfff
	v_mul_f64 v[0:1], v[2:3], -v[0:1]
	v_cmp_class_f64_e64 vcc_lo, v[2:3], 0x180
	s_delay_alu instid0(VALU_DEP_2) | instskip(NEXT) | instid1(VALU_DEP_1)
	v_fma_f64 v[0:1], v[0:1], v[2:3], 1.0
	v_mul_f64 v[6:7], v[2:3], v[0:1]
	v_fma_f64 v[0:1], 0x3fd80000, v[0:1], 0.5
	s_delay_alu instid0(VALU_DEP_1) | instskip(NEXT) | instid1(VALU_DEP_1)
	v_fma_f64 v[0:1], v[6:7], v[0:1], v[2:3]
	v_dual_cndmask_b32 v1, v3, v1 :: v_dual_and_b32 v6, 0xff, v4
	s_delay_alu instid0(VALU_DEP_2) | instskip(NEXT) | instid1(VALU_DEP_2)
	v_cndmask_b32_e32 v0, v2, v0, vcc_lo
	v_cmp_gt_i16_e32 vcc_lo, 11, v6
	s_delay_alu instid0(VALU_DEP_2) | instskip(SKIP_1) | instid1(VALU_DEP_1)
	v_cvt_f32_f64_e32 v2, v[0:1]
	v_mul_lo_u32 v0, v5, s2
	v_ashrrev_i32_e32 v1, 31, v0
	v_add_co_u32 v0, s0, s4, v0
	s_delay_alu instid0(VALU_DEP_1)
	v_add_co_ci_u32_e64 v1, s0, s5, v1, s0
	s_cbranch_vccnz .LBB200_919
; %bb.913:
	v_cmp_lt_i16_e32 vcc_lo, 25, v6
	s_mov_b32 s12, -1
	s_mov_b32 s0, s9
	s_cbranch_vccz .LBB200_949
; %bb.914:
	v_cmp_lt_i16_e32 vcc_lo, 28, v6
	s_mov_b32 s0, s9
	s_cbranch_vccz .LBB200_933
; %bb.915:
	v_cmp_lt_i16_e32 vcc_lo, 43, v6
	;; [unrolled: 4-line block ×3, first 2 shown]
	s_mov_b32 s0, s9
	s_cbranch_vccz .LBB200_923
; %bb.917:
	v_cmp_eq_u16_e32 vcc_lo, 46, v6
	s_mov_b32 s0, -1
	s_cbranch_vccz .LBB200_922
; %bb.918:
	v_bfe_u32 v3, v2, 16, 1
	v_cmp_o_f32_e32 vcc_lo, v2, v2
	s_mov_b32 s0, 0
	s_mov_b32 s12, 0
	s_delay_alu instid0(VALU_DEP_2) | instskip(NEXT) | instid1(VALU_DEP_1)
	v_add3_u32 v3, v2, v3, 0x7fff
	v_lshrrev_b32_e32 v3, 16, v3
	s_delay_alu instid0(VALU_DEP_1)
	v_cndmask_b32_e32 v3, 0x7fc0, v3, vcc_lo
	global_store_b32 v[0:1], v3, off
	s_branch .LBB200_923
.LBB200_919:
	s_mov_b32 s12, -1
	s_mov_b32 s0, s9
	s_branch .LBB200_990
.LBB200_920:
	s_trap 2
	s_sendmsg_rtn_b32 s0, sendmsg(MSG_RTN_GET_DOORBELL)
	s_mov_b32 ttmp2, m0
	s_waitcnt lgkmcnt(0)
	s_and_b32 s0, s0, 0x3ff
	s_delay_alu instid0(SALU_CYCLE_1) | instskip(NEXT) | instid1(SALU_CYCLE_1)
	s_bitset1_b32 s0, 10
	s_mov_b32 m0, s0
	s_sendmsg sendmsg(MSG_INTERRUPT)
	s_mov_b32 m0, ttmp2
.LBB200_921:                            ; =>This Inner Loop Header: Depth=1
	s_sethalt 5
	s_branch .LBB200_921
.LBB200_922:
	s_mov_b32 s12, 0
.LBB200_923:
	s_delay_alu instid0(SALU_CYCLE_1)
	s_and_b32 vcc_lo, exec_lo, s12
	s_cbranch_vccz .LBB200_928
; %bb.924:
	v_cmp_eq_u16_e32 vcc_lo, 44, v6
	s_mov_b32 s0, -1
	s_cbranch_vccz .LBB200_928
; %bb.925:
	v_bfe_u32 v4, v2, 23, 8
	v_mov_b32_e32 v3, 0xff
	s_mov_b32 s12, exec_lo
	s_delay_alu instid0(VALU_DEP_2)
	v_cmpx_ne_u32_e32 0xff, v4
; %bb.926:
	v_and_b32_e32 v3, 0x400000, v2
	v_and_or_b32 v4, 0x3fffff, v2, v4
	s_delay_alu instid0(VALU_DEP_2) | instskip(NEXT) | instid1(VALU_DEP_2)
	v_cmp_ne_u32_e32 vcc_lo, 0, v3
	v_cmp_ne_u32_e64 s0, 0, v4
	v_lshrrev_b32_e32 v3, 23, v2
	s_delay_alu instid0(VALU_DEP_2) | instskip(NEXT) | instid1(SALU_CYCLE_1)
	s_and_b32 s0, vcc_lo, s0
	v_cndmask_b32_e64 v4, 0, 1, s0
	s_delay_alu instid0(VALU_DEP_1)
	v_add_nc_u32_e32 v3, v3, v4
; %bb.927:
	s_or_b32 exec_lo, exec_lo, s12
	s_mov_b32 s0, 0
	global_store_b8 v[0:1], v3, off
.LBB200_928:
	s_mov_b32 s12, 0
.LBB200_929:
	s_delay_alu instid0(SALU_CYCLE_1)
	s_and_b32 vcc_lo, exec_lo, s12
	s_cbranch_vccz .LBB200_932
; %bb.930:
	v_cmp_eq_u16_e32 vcc_lo, 29, v6
	s_mov_b32 s0, -1
	s_cbranch_vccz .LBB200_932
; %bb.931:
	v_trunc_f32_e32 v3, v2
	s_mov_b32 s0, 0
	s_mov_b32 s12, 0
	s_delay_alu instid0(VALU_DEP_1) | instskip(NEXT) | instid1(VALU_DEP_1)
	v_mul_f32_e32 v4, 0x2f800000, v3
	v_floor_f32_e32 v4, v4
	s_delay_alu instid0(VALU_DEP_1) | instskip(SKIP_1) | instid1(VALU_DEP_2)
	v_fmamk_f32 v3, v4, 0xcf800000, v3
	v_cvt_u32_f32_e32 v4, v4
	v_cvt_u32_f32_e32 v3, v3
	global_store_b64 v[0:1], v[3:4], off
	s_branch .LBB200_933
.LBB200_932:
	s_mov_b32 s12, 0
.LBB200_933:
	s_delay_alu instid0(SALU_CYCLE_1)
	s_and_b32 vcc_lo, exec_lo, s12
	s_cbranch_vccz .LBB200_948
; %bb.934:
	v_cmp_gt_i16_e32 vcc_lo, 27, v6
	s_mov_b32 s12, -1
	s_cbranch_vccnz .LBB200_940
; %bb.935:
	v_cmp_lt_i16_e32 vcc_lo, 27, v6
	v_cvt_u32_f32_e32 v3, v2
	s_cbranch_vccz .LBB200_937
; %bb.936:
	s_mov_b32 s12, 0
	global_store_b32 v[0:1], v3, off
.LBB200_937:
	s_and_not1_b32 vcc_lo, exec_lo, s12
	s_cbranch_vccnz .LBB200_939
; %bb.938:
	global_store_b16 v[0:1], v3, off
.LBB200_939:
	s_mov_b32 s12, 0
.LBB200_940:
	s_delay_alu instid0(SALU_CYCLE_1)
	s_and_not1_b32 vcc_lo, exec_lo, s12
	s_cbranch_vccnz .LBB200_948
; %bb.941:
	v_and_b32_e32 v3, 0x7fffffff, v2
	v_mov_b32_e32 v4, 0x80
	s_mov_b32 s12, exec_lo
	s_delay_alu instid0(VALU_DEP_2)
	v_cmpx_gt_u32_e32 0x43800000, v3
	s_cbranch_execz .LBB200_947
; %bb.942:
	v_cmp_lt_u32_e32 vcc_lo, 0x3bffffff, v3
                                        ; implicit-def: $vgpr3
	s_and_saveexec_b32 s14, vcc_lo
	s_delay_alu instid0(SALU_CYCLE_1)
	s_xor_b32 s14, exec_lo, s14
	s_cbranch_execz .LBB200_1182
; %bb.943:
	v_bfe_u32 v3, v2, 20, 1
	s_mov_b32 s13, exec_lo
	s_delay_alu instid0(VALU_DEP_1) | instskip(NEXT) | instid1(VALU_DEP_1)
	v_add3_u32 v3, v2, v3, 0x487ffff
	v_lshrrev_b32_e32 v3, 20, v3
	s_or_saveexec_b32 s14, s14
                                        ; implicit-def: $sgpr15
	s_delay_alu instid0(SALU_CYCLE_1)
	s_xor_b32 exec_lo, exec_lo, s14
	s_cbranch_execnz .LBB200_1183
.LBB200_944:
	s_or_b32 exec_lo, exec_lo, s14
	v_mov_b32_e32 v4, s15
	s_and_saveexec_b32 s14, s13
.LBB200_945:
	v_lshrrev_b32_e32 v4, 24, v2
	s_delay_alu instid0(VALU_DEP_1)
	v_and_or_b32 v4, 0x80, v4, v3
.LBB200_946:
	s_or_b32 exec_lo, exec_lo, s14
.LBB200_947:
	s_delay_alu instid0(SALU_CYCLE_1)
	s_or_b32 exec_lo, exec_lo, s12
	global_store_b8 v[0:1], v4, off
.LBB200_948:
	s_mov_b32 s12, 0
.LBB200_949:
	s_delay_alu instid0(SALU_CYCLE_1)
	s_and_b32 vcc_lo, exec_lo, s12
	s_mov_b32 s12, 0
	s_cbranch_vccz .LBB200_989
; %bb.950:
	v_cmp_lt_i16_e32 vcc_lo, 22, v6
	s_mov_b32 s13, -1
	s_cbranch_vccz .LBB200_982
; %bb.951:
	v_cmp_gt_i16_e32 vcc_lo, 24, v6
	s_cbranch_vccnz .LBB200_971
; %bb.952:
	v_cmp_lt_i16_e32 vcc_lo, 24, v6
	s_cbranch_vccz .LBB200_960
; %bb.953:
	v_and_b32_e32 v3, 0x7fffffff, v2
	v_mov_b32_e32 v4, 0x80
	s_mov_b32 s13, exec_lo
	s_delay_alu instid0(VALU_DEP_2)
	v_cmpx_gt_u32_e32 0x47800000, v3
	s_cbranch_execz .LBB200_959
; %bb.954:
	v_cmp_lt_u32_e32 vcc_lo, 0x37ffffff, v3
	s_mov_b32 s14, 0
                                        ; implicit-def: $vgpr3
	s_and_saveexec_b32 s15, vcc_lo
	s_delay_alu instid0(SALU_CYCLE_1)
	s_xor_b32 s15, exec_lo, s15
	s_cbranch_execz .LBB200_1226
; %bb.955:
	v_bfe_u32 v3, v2, 21, 1
	s_mov_b32 s14, exec_lo
	s_delay_alu instid0(VALU_DEP_1) | instskip(NEXT) | instid1(VALU_DEP_1)
	v_add3_u32 v3, v2, v3, 0x88fffff
	v_lshrrev_b32_e32 v3, 21, v3
	s_or_saveexec_b32 s15, s15
                                        ; implicit-def: $sgpr16
	s_delay_alu instid0(SALU_CYCLE_1)
	s_xor_b32 exec_lo, exec_lo, s15
	s_cbranch_execnz .LBB200_1227
.LBB200_956:
	s_or_b32 exec_lo, exec_lo, s15
	v_mov_b32_e32 v4, s16
	s_and_saveexec_b32 s15, s14
.LBB200_957:
	v_lshrrev_b32_e32 v4, 24, v2
	s_delay_alu instid0(VALU_DEP_1)
	v_and_or_b32 v4, 0x80, v4, v3
.LBB200_958:
	s_or_b32 exec_lo, exec_lo, s15
.LBB200_959:
	s_delay_alu instid0(SALU_CYCLE_1)
	s_or_b32 exec_lo, exec_lo, s13
	s_mov_b32 s13, 0
	global_store_b8 v[0:1], v4, off
.LBB200_960:
	s_and_b32 vcc_lo, exec_lo, s13
	s_cbranch_vccz .LBB200_970
; %bb.961:
	v_and_b32_e32 v4, 0x7fffffff, v2
	s_mov_b32 s13, exec_lo
                                        ; implicit-def: $vgpr3
	s_delay_alu instid0(VALU_DEP_1)
	v_cmpx_gt_u32_e32 0x43f00000, v4
	s_xor_b32 s13, exec_lo, s13
	s_cbranch_execz .LBB200_967
; %bb.962:
	s_mov_b32 s14, exec_lo
                                        ; implicit-def: $vgpr3
	v_cmpx_lt_u32_e32 0x3c7fffff, v4
	s_xor_b32 s14, exec_lo, s14
; %bb.963:
	v_bfe_u32 v3, v2, 20, 1
	s_delay_alu instid0(VALU_DEP_1) | instskip(NEXT) | instid1(VALU_DEP_1)
	v_add3_u32 v3, v2, v3, 0x407ffff
	v_and_b32_e32 v4, 0xff00000, v3
	v_lshrrev_b32_e32 v3, 20, v3
	s_delay_alu instid0(VALU_DEP_2) | instskip(NEXT) | instid1(VALU_DEP_2)
	v_cmp_ne_u32_e32 vcc_lo, 0x7f00000, v4
	v_cndmask_b32_e32 v3, 0x7e, v3, vcc_lo
; %bb.964:
	s_and_not1_saveexec_b32 s14, s14
; %bb.965:
	v_add_f32_e64 v3, 0x46800000, |v2|
; %bb.966:
	s_or_b32 exec_lo, exec_lo, s14
                                        ; implicit-def: $vgpr4
.LBB200_967:
	s_and_not1_saveexec_b32 s13, s13
; %bb.968:
	v_mov_b32_e32 v3, 0x7f
	v_cmp_lt_u32_e32 vcc_lo, 0x7f800000, v4
	s_delay_alu instid0(VALU_DEP_2)
	v_cndmask_b32_e32 v3, 0x7e, v3, vcc_lo
; %bb.969:
	s_or_b32 exec_lo, exec_lo, s13
	v_lshrrev_b32_e32 v4, 24, v2
	s_delay_alu instid0(VALU_DEP_1)
	v_and_or_b32 v3, 0x80, v4, v3
	global_store_b8 v[0:1], v3, off
.LBB200_970:
	s_mov_b32 s13, 0
.LBB200_971:
	s_delay_alu instid0(SALU_CYCLE_1)
	s_and_not1_b32 vcc_lo, exec_lo, s13
	s_cbranch_vccnz .LBB200_981
; %bb.972:
	v_and_b32_e32 v4, 0x7fffffff, v2
	s_mov_b32 s13, exec_lo
                                        ; implicit-def: $vgpr3
	s_delay_alu instid0(VALU_DEP_1)
	v_cmpx_gt_u32_e32 0x47800000, v4
	s_xor_b32 s13, exec_lo, s13
	s_cbranch_execz .LBB200_978
; %bb.973:
	s_mov_b32 s14, exec_lo
                                        ; implicit-def: $vgpr3
	v_cmpx_lt_u32_e32 0x387fffff, v4
	s_xor_b32 s14, exec_lo, s14
; %bb.974:
	v_bfe_u32 v3, v2, 21, 1
	s_delay_alu instid0(VALU_DEP_1) | instskip(NEXT) | instid1(VALU_DEP_1)
	v_add3_u32 v3, v2, v3, 0x80fffff
	v_lshrrev_b32_e32 v3, 21, v3
; %bb.975:
	s_and_not1_saveexec_b32 s14, s14
; %bb.976:
	v_add_f32_e64 v3, 0x43000000, |v2|
; %bb.977:
	s_or_b32 exec_lo, exec_lo, s14
                                        ; implicit-def: $vgpr4
.LBB200_978:
	s_and_not1_saveexec_b32 s13, s13
; %bb.979:
	v_mov_b32_e32 v3, 0x7f
	v_cmp_lt_u32_e32 vcc_lo, 0x7f800000, v4
	s_delay_alu instid0(VALU_DEP_2)
	v_cndmask_b32_e32 v3, 0x7c, v3, vcc_lo
; %bb.980:
	s_or_b32 exec_lo, exec_lo, s13
	v_lshrrev_b32_e32 v4, 24, v2
	s_delay_alu instid0(VALU_DEP_1)
	v_and_or_b32 v3, 0x80, v4, v3
	global_store_b8 v[0:1], v3, off
.LBB200_981:
	s_mov_b32 s13, 0
.LBB200_982:
	s_delay_alu instid0(SALU_CYCLE_1)
	s_and_not1_b32 vcc_lo, exec_lo, s13
	s_mov_b32 s13, 0
	s_cbranch_vccnz .LBB200_990
; %bb.983:
	v_cmp_lt_i16_e32 vcc_lo, 14, v6
	s_mov_b32 s13, -1
	s_cbranch_vccz .LBB200_987
; %bb.984:
	v_cmp_eq_u16_e32 vcc_lo, 15, v6
	s_mov_b32 s0, -1
	s_cbranch_vccz .LBB200_986
; %bb.985:
	v_bfe_u32 v3, v2, 16, 1
	v_cmp_o_f32_e32 vcc_lo, v2, v2
	s_mov_b32 s0, 0
	s_delay_alu instid0(VALU_DEP_2) | instskip(NEXT) | instid1(VALU_DEP_1)
	v_add3_u32 v3, v2, v3, 0x7fff
	v_lshrrev_b32_e32 v3, 16, v3
	s_delay_alu instid0(VALU_DEP_1)
	v_cndmask_b32_e32 v3, 0x7fc0, v3, vcc_lo
	global_store_b16 v[0:1], v3, off
.LBB200_986:
	s_mov_b32 s13, 0
.LBB200_987:
	s_delay_alu instid0(SALU_CYCLE_1)
	s_and_b32 vcc_lo, exec_lo, s13
	s_mov_b32 s13, 0
	s_cbranch_vccz .LBB200_990
; %bb.988:
	v_cmp_ne_u16_e32 vcc_lo, 11, v6
	s_and_not1_b32 s0, s0, exec_lo
	s_mov_b32 s13, -1
	s_and_b32 s14, vcc_lo, exec_lo
	s_delay_alu instid0(SALU_CYCLE_1)
	s_or_b32 s0, s0, s14
	s_branch .LBB200_990
.LBB200_989:
	s_mov_b32 s13, 0
.LBB200_990:
	s_and_not1_b32 s9, s9, exec_lo
	s_and_b32 s0, s0, exec_lo
	s_and_b32 s12, s12, exec_lo
	;; [unrolled: 1-line block ×3, first 2 shown]
	s_or_b32 s9, s9, s0
.LBB200_991:
	s_or_b32 exec_lo, exec_lo, s11
	s_and_saveexec_b32 s0, s9
	s_cbranch_execnz .LBB200_1053
; %bb.992:
	s_or_b32 exec_lo, exec_lo, s0
	s_and_saveexec_b32 s0, s13
	s_delay_alu instid0(SALU_CYCLE_1)
	s_xor_b32 s0, exec_lo, s0
	s_cbranch_execz .LBB200_994
.LBB200_993:
	s_waitcnt vmcnt(0)
	v_cmp_neq_f32_e32 vcc_lo, 0, v2
	v_cndmask_b32_e64 v3, 0, 1, vcc_lo
	global_store_b8 v[0:1], v3, off
.LBB200_994:
	s_or_b32 exec_lo, exec_lo, s0
	s_and_saveexec_b32 s0, s12
	s_delay_alu instid0(SALU_CYCLE_1)
	s_xor_b32 s0, exec_lo, s0
	s_cbranch_execz .LBB200_1032
; %bb.995:
	v_cmp_gt_i16_e32 vcc_lo, 5, v6
	s_mov_b32 s9, -1
	s_cbranch_vccnz .LBB200_1016
; %bb.996:
	v_cmp_gt_i16_e32 vcc_lo, 8, v6
	s_cbranch_vccnz .LBB200_1006
; %bb.997:
	v_cmp_gt_i16_e32 vcc_lo, 9, v6
	s_cbranch_vccnz .LBB200_1003
; %bb.998:
	v_cmp_lt_i16_e32 vcc_lo, 9, v6
	s_cbranch_vccz .LBB200_1000
; %bb.999:
	s_waitcnt vmcnt(0)
	v_cvt_f64_f32_e32 v[7:8], v2
	v_mov_b32_e32 v9, 0
	s_mov_b32 s9, 0
	s_delay_alu instid0(VALU_DEP_1)
	v_mov_b32_e32 v10, v9
	global_store_b128 v[0:1], v[7:10], off
.LBB200_1000:
	s_and_not1_b32 vcc_lo, exec_lo, s9
	s_cbranch_vccnz .LBB200_1002
; %bb.1001:
	s_waitcnt vmcnt(0)
	v_mov_b32_e32 v3, 0
	global_store_b64 v[0:1], v[2:3], off
.LBB200_1002:
	s_mov_b32 s9, 0
.LBB200_1003:
	s_delay_alu instid0(SALU_CYCLE_1)
	s_and_not1_b32 vcc_lo, exec_lo, s9
	s_cbranch_vccnz .LBB200_1005
; %bb.1004:
	s_waitcnt vmcnt(0)
	v_cvt_f16_f32_e32 v3, v2
	s_delay_alu instid0(VALU_DEP_1)
	v_and_b32_e32 v3, 0xffff, v3
	global_store_b32 v[0:1], v3, off
.LBB200_1005:
	s_mov_b32 s9, 0
.LBB200_1006:
	s_delay_alu instid0(SALU_CYCLE_1)
	s_and_not1_b32 vcc_lo, exec_lo, s9
	s_cbranch_vccnz .LBB200_1015
; %bb.1007:
	v_cmp_gt_i16_e32 vcc_lo, 6, v6
	s_mov_b32 s9, -1
	s_cbranch_vccnz .LBB200_1013
; %bb.1008:
	v_cmp_lt_i16_e32 vcc_lo, 6, v6
	s_cbranch_vccz .LBB200_1010
; %bb.1009:
	s_waitcnt vmcnt(0)
	v_cvt_f64_f32_e32 v[3:4], v2
	s_mov_b32 s9, 0
	global_store_b64 v[0:1], v[3:4], off
.LBB200_1010:
	s_and_not1_b32 vcc_lo, exec_lo, s9
	s_cbranch_vccnz .LBB200_1012
; %bb.1011:
	s_waitcnt vmcnt(0)
	global_store_b32 v[0:1], v2, off
.LBB200_1012:
	s_mov_b32 s9, 0
.LBB200_1013:
	s_delay_alu instid0(SALU_CYCLE_1)
	s_and_not1_b32 vcc_lo, exec_lo, s9
	s_cbranch_vccnz .LBB200_1015
; %bb.1014:
	s_waitcnt vmcnt(0)
	v_cvt_f16_f32_e32 v3, v2
	global_store_b16 v[0:1], v3, off
.LBB200_1015:
	s_mov_b32 s9, 0
.LBB200_1016:
	s_delay_alu instid0(SALU_CYCLE_1)
	s_and_not1_b32 vcc_lo, exec_lo, s9
	s_cbranch_vccnz .LBB200_1032
; %bb.1017:
	v_cmp_gt_i16_e32 vcc_lo, 2, v6
	s_mov_b32 s9, -1
	s_cbranch_vccnz .LBB200_1027
; %bb.1018:
	v_cmp_gt_i16_e32 vcc_lo, 3, v6
	s_cbranch_vccnz .LBB200_1024
; %bb.1019:
	v_cmp_lt_i16_e32 vcc_lo, 3, v6
	s_cbranch_vccz .LBB200_1021
; %bb.1020:
	s_waitcnt vmcnt(0)
	v_trunc_f32_e32 v3, v2
	s_mov_b32 s9, 0
	s_delay_alu instid0(VALU_DEP_1) | instskip(SKIP_1) | instid1(VALU_DEP_2)
	v_mul_f32_e64 v4, 0x2f800000, |v3|
	v_ashrrev_i32_e32 v7, 31, v3
	v_floor_f32_e32 v4, v4
	s_delay_alu instid0(VALU_DEP_1) | instskip(SKIP_1) | instid1(VALU_DEP_2)
	v_fma_f32 v5, 0xcf800000, v4, |v3|
	v_cvt_u32_f32_e32 v4, v4
	v_cvt_u32_f32_e32 v3, v5
	s_delay_alu instid0(VALU_DEP_2) | instskip(NEXT) | instid1(VALU_DEP_2)
	v_xor_b32_e32 v4, v4, v7
	v_xor_b32_e32 v3, v3, v7
	s_delay_alu instid0(VALU_DEP_1) | instskip(NEXT) | instid1(VALU_DEP_3)
	v_sub_co_u32 v3, vcc_lo, v3, v7
	v_sub_co_ci_u32_e32 v4, vcc_lo, v4, v7, vcc_lo
	global_store_b64 v[0:1], v[3:4], off
.LBB200_1021:
	s_and_not1_b32 vcc_lo, exec_lo, s9
	s_cbranch_vccnz .LBB200_1023
; %bb.1022:
	s_waitcnt vmcnt(0)
	v_cvt_i32_f32_e32 v3, v2
	global_store_b32 v[0:1], v3, off
.LBB200_1023:
	s_mov_b32 s9, 0
.LBB200_1024:
	s_delay_alu instid0(SALU_CYCLE_1)
	s_and_not1_b32 vcc_lo, exec_lo, s9
	s_cbranch_vccnz .LBB200_1026
; %bb.1025:
	s_waitcnt vmcnt(0)
	v_cvt_i32_f32_e32 v3, v2
	global_store_b16 v[0:1], v3, off
.LBB200_1026:
	s_mov_b32 s9, 0
.LBB200_1027:
	s_delay_alu instid0(SALU_CYCLE_1)
	s_and_not1_b32 vcc_lo, exec_lo, s9
	s_cbranch_vccnz .LBB200_1032
; %bb.1028:
	v_cmp_lt_i16_e32 vcc_lo, 0, v6
	s_mov_b32 s9, -1
	s_cbranch_vccz .LBB200_1030
; %bb.1029:
	s_waitcnt vmcnt(0)
	v_cvt_i32_f32_e32 v3, v2
	s_mov_b32 s9, 0
	global_store_b8 v[0:1], v3, off
.LBB200_1030:
	s_and_not1_b32 vcc_lo, exec_lo, s9
	s_cbranch_vccnz .LBB200_1032
; %bb.1031:
	s_waitcnt vmcnt(0)
	v_trunc_f32_e32 v2, v2
	s_delay_alu instid0(VALU_DEP_1) | instskip(NEXT) | instid1(VALU_DEP_1)
	v_mul_f32_e64 v3, 0x2f800000, |v2|
	v_floor_f32_e32 v3, v3
	s_delay_alu instid0(VALU_DEP_1) | instskip(SKIP_1) | instid1(VALU_DEP_2)
	v_fma_f32 v3, 0xcf800000, v3, |v2|
	v_ashrrev_i32_e32 v2, 31, v2
	v_cvt_u32_f32_e32 v3, v3
	s_delay_alu instid0(VALU_DEP_1) | instskip(NEXT) | instid1(VALU_DEP_1)
	v_xor_b32_e32 v3, v3, v2
	v_sub_nc_u32_e32 v2, v3, v2
	global_store_b8 v[0:1], v2, off
.LBB200_1032:
	s_or_b32 exec_lo, exec_lo, s0
	s_delay_alu instid0(SALU_CYCLE_1)
	s_and_b32 s9, s10, exec_lo
                                        ; implicit-def: $vgpr5
                                        ; implicit-def: $vgpr6
                                        ; implicit-def: $vgpr4
.LBB200_1033:
	s_or_saveexec_b32 s8, s8
	s_mov_b32 s0, 0
                                        ; implicit-def: $vgpr7
                                        ; implicit-def: $vgpr0_vgpr1
                                        ; implicit-def: $vgpr2
	s_xor_b32 exec_lo, exec_lo, s8
	s_cbranch_execz .LBB200_1998
; %bb.1034:
	s_waitcnt vmcnt(0)
	v_mul_lo_u32 v3, s3, v5
	v_cmp_gt_i16_e32 vcc_lo, 11, v6
	s_delay_alu instid0(VALU_DEP_2) | instskip(SKIP_1) | instid1(VALU_DEP_1)
	v_ashrrev_i32_e32 v1, 31, v3
	v_add_co_u32 v0, s0, s6, v3
	v_add_co_ci_u32_e64 v1, s0, s7, v1, s0
	s_cbranch_vccnz .LBB200_1041
; %bb.1035:
	v_cmp_lt_i16_e32 vcc_lo, 25, v6
	s_mov_b32 s10, 0
	s_cbranch_vccz .LBB200_1047
; %bb.1036:
	v_cmp_lt_i16_e32 vcc_lo, 28, v6
	s_cbranch_vccz .LBB200_1049
; %bb.1037:
	v_cmp_lt_i16_e32 vcc_lo, 43, v6
	;; [unrolled: 3-line block ×3, first 2 shown]
	s_cbranch_vccz .LBB200_1055
; %bb.1039:
	v_cmp_eq_u16_e32 vcc_lo, 46, v6
	s_cbranch_vccz .LBB200_1095
; %bb.1040:
	global_load_b32 v2, v[0:1], off
	s_mov_b32 s0, 0
	s_mov_b32 s11, -1
	s_waitcnt vmcnt(0)
	v_lshlrev_b32_e32 v2, 16, v2
	s_branch .LBB200_1097
.LBB200_1041:
	s_mov_b32 s11, 0
	s_mov_b32 s1, s9
                                        ; implicit-def: $vgpr2
	s_cbranch_execz .LBB200_1160
; %bb.1042:
	v_cmp_gt_i16_e32 vcc_lo, 5, v6
	s_cbranch_vccnz .LBB200_1048
; %bb.1043:
	v_cmp_gt_i16_e32 vcc_lo, 8, v6
	s_cbranch_vccnz .LBB200_1050
	;; [unrolled: 3-line block ×3, first 2 shown]
; %bb.1045:
	v_cmp_lt_i16_e32 vcc_lo, 9, v6
	s_cbranch_vccz .LBB200_1056
; %bb.1046:
	global_load_b64 v[7:8], v[0:1], off
	s_mov_b32 s0, 0
	s_waitcnt vmcnt(0)
	v_cvt_f32_f64_e32 v2, v[7:8]
	s_branch .LBB200_1057
.LBB200_1047:
	s_mov_b32 s11, 0
	s_mov_b32 s0, 0
                                        ; implicit-def: $vgpr2
	s_cbranch_execnz .LBB200_1125
	s_branch .LBB200_1156
.LBB200_1048:
                                        ; implicit-def: $vgpr2
	s_branch .LBB200_1074
.LBB200_1049:
	s_mov_b32 s1, -1
	s_mov_b32 s11, 0
	s_mov_b32 s0, 0
                                        ; implicit-def: $vgpr2
	s_branch .LBB200_1106
.LBB200_1050:
                                        ; implicit-def: $vgpr2
	s_branch .LBB200_1063
.LBB200_1051:
	s_mov_b32 s11, 0
	s_mov_b32 s0, 0
                                        ; implicit-def: $vgpr2
	s_cbranch_execnz .LBB200_1102
	s_branch .LBB200_1105
.LBB200_1052:
	s_mov_b32 s0, -1
                                        ; implicit-def: $vgpr2
	s_branch .LBB200_1060
.LBB200_1053:
	s_cbranch_execnz .LBB200_1093
; %bb.1054:
	s_or_b32 s10, s10, exec_lo
	s_and_not1_b32 s13, s13, exec_lo
	s_or_b32 exec_lo, exec_lo, s0
	s_and_saveexec_b32 s0, s13
	s_delay_alu instid0(SALU_CYCLE_1)
	s_xor_b32 s0, exec_lo, s0
	s_cbranch_execnz .LBB200_993
	s_branch .LBB200_994
.LBB200_1055:
	s_mov_b32 s1, -1
	s_mov_b32 s11, 0
	s_mov_b32 s0, 0
	s_branch .LBB200_1096
.LBB200_1056:
	s_mov_b32 s0, -1
                                        ; implicit-def: $vgpr2
.LBB200_1057:
	s_delay_alu instid0(SALU_CYCLE_1)
	s_and_not1_b32 vcc_lo, exec_lo, s0
	s_cbranch_vccnz .LBB200_1059
; %bb.1058:
	global_load_b32 v2, v[0:1], off
.LBB200_1059:
	s_mov_b32 s0, 0
.LBB200_1060:
	s_delay_alu instid0(SALU_CYCLE_1)
	s_and_not1_b32 vcc_lo, exec_lo, s0
	s_cbranch_vccnz .LBB200_1062
; %bb.1061:
	global_load_b32 v2, v[0:1], off
	s_waitcnt vmcnt(0)
	v_cvt_f32_f16_e32 v2, v2
.LBB200_1062:
	s_cbranch_execnz .LBB200_1073
.LBB200_1063:
	v_cmp_gt_i16_e32 vcc_lo, 6, v6
	s_cbranch_vccnz .LBB200_1066
; %bb.1064:
	v_cmp_lt_i16_e32 vcc_lo, 6, v6
	s_cbranch_vccz .LBB200_1067
; %bb.1065:
	global_load_b64 v[7:8], v[0:1], off
	s_mov_b32 s0, 0
	s_waitcnt vmcnt(0)
	v_cvt_f32_f64_e32 v2, v[7:8]
	s_branch .LBB200_1068
.LBB200_1066:
	s_mov_b32 s0, -1
                                        ; implicit-def: $vgpr2
	s_branch .LBB200_1071
.LBB200_1067:
	s_mov_b32 s0, -1
                                        ; implicit-def: $vgpr2
.LBB200_1068:
	s_delay_alu instid0(SALU_CYCLE_1)
	s_and_not1_b32 vcc_lo, exec_lo, s0
	s_cbranch_vccnz .LBB200_1070
; %bb.1069:
	global_load_b32 v2, v[0:1], off
.LBB200_1070:
	s_mov_b32 s0, 0
.LBB200_1071:
	s_delay_alu instid0(SALU_CYCLE_1)
	s_and_not1_b32 vcc_lo, exec_lo, s0
	s_cbranch_vccnz .LBB200_1073
; %bb.1072:
	global_load_u16 v2, v[0:1], off
	s_waitcnt vmcnt(0)
	v_cvt_f32_f16_e32 v2, v2
.LBB200_1073:
	s_cbranch_execnz .LBB200_1092
.LBB200_1074:
	v_cmp_gt_i16_e32 vcc_lo, 2, v6
	s_cbranch_vccnz .LBB200_1078
; %bb.1075:
	v_cmp_gt_i16_e32 vcc_lo, 3, v6
	s_cbranch_vccnz .LBB200_1079
; %bb.1076:
	v_cmp_lt_i16_e32 vcc_lo, 3, v6
	s_cbranch_vccz .LBB200_1080
; %bb.1077:
	global_load_b64 v[7:8], v[0:1], off
	s_mov_b32 s0, 0
	s_waitcnt vmcnt(0)
	v_xor_b32_e32 v2, v7, v8
	v_cls_i32_e32 v9, v8
	s_delay_alu instid0(VALU_DEP_2) | instskip(NEXT) | instid1(VALU_DEP_2)
	v_ashrrev_i32_e32 v2, 31, v2
	v_add_nc_u32_e32 v9, -1, v9
	s_delay_alu instid0(VALU_DEP_2) | instskip(NEXT) | instid1(VALU_DEP_1)
	v_add_nc_u32_e32 v2, 32, v2
	v_min_u32_e32 v2, v9, v2
	s_delay_alu instid0(VALU_DEP_1) | instskip(SKIP_1) | instid1(VALU_DEP_2)
	v_lshlrev_b64 v[7:8], v2, v[7:8]
	v_sub_nc_u32_e32 v2, 32, v2
	v_min_u32_e32 v7, 1, v7
	s_delay_alu instid0(VALU_DEP_1) | instskip(NEXT) | instid1(VALU_DEP_1)
	v_or_b32_e32 v7, v8, v7
	v_cvt_f32_i32_e32 v7, v7
	s_delay_alu instid0(VALU_DEP_1)
	v_ldexp_f32 v2, v7, v2
	s_branch .LBB200_1081
.LBB200_1078:
                                        ; implicit-def: $vgpr2
	s_branch .LBB200_1087
.LBB200_1079:
	s_mov_b32 s0, -1
                                        ; implicit-def: $vgpr2
	s_branch .LBB200_1084
.LBB200_1080:
	s_mov_b32 s0, -1
                                        ; implicit-def: $vgpr2
.LBB200_1081:
	s_delay_alu instid0(SALU_CYCLE_1)
	s_and_not1_b32 vcc_lo, exec_lo, s0
	s_cbranch_vccnz .LBB200_1083
; %bb.1082:
	global_load_b32 v2, v[0:1], off
	s_waitcnt vmcnt(0)
	v_cvt_f32_i32_e32 v2, v2
.LBB200_1083:
	s_mov_b32 s0, 0
.LBB200_1084:
	s_delay_alu instid0(SALU_CYCLE_1)
	s_and_not1_b32 vcc_lo, exec_lo, s0
	s_cbranch_vccnz .LBB200_1086
; %bb.1085:
	global_load_i16 v2, v[0:1], off
	s_waitcnt vmcnt(0)
	v_cvt_f32_i32_e32 v2, v2
.LBB200_1086:
	s_cbranch_execnz .LBB200_1092
.LBB200_1087:
	v_cmp_lt_i16_e32 vcc_lo, 0, v6
	s_mov_b32 s0, 0
	s_cbranch_vccz .LBB200_1089
; %bb.1088:
	global_load_i8 v2, v[0:1], off
	s_waitcnt vmcnt(0)
	v_cvt_f32_i32_e32 v2, v2
	s_branch .LBB200_1090
.LBB200_1089:
	s_mov_b32 s0, -1
                                        ; implicit-def: $vgpr2
.LBB200_1090:
	s_delay_alu instid0(SALU_CYCLE_1)
	s_and_not1_b32 vcc_lo, exec_lo, s0
	s_cbranch_vccnz .LBB200_1092
; %bb.1091:
	global_load_u8 v0, v[0:1], off
	s_waitcnt vmcnt(0)
	v_cvt_f32_ubyte0_e32 v2, v0
.LBB200_1092:
	s_branch .LBB200_1161
.LBB200_1093:
	s_trap 2
	s_sendmsg_rtn_b32 s0, sendmsg(MSG_RTN_GET_DOORBELL)
	s_mov_b32 ttmp2, m0
	s_waitcnt lgkmcnt(0)
	s_and_b32 s0, s0, 0x3ff
	s_delay_alu instid0(SALU_CYCLE_1) | instskip(NEXT) | instid1(SALU_CYCLE_1)
	s_bitset1_b32 s0, 10
	s_mov_b32 m0, s0
	s_sendmsg sendmsg(MSG_INTERRUPT)
	s_mov_b32 m0, ttmp2
.LBB200_1094:                           ; =>This Inner Loop Header: Depth=1
	s_sethalt 5
	s_branch .LBB200_1094
.LBB200_1095:
	s_mov_b32 s0, -1
	s_mov_b32 s11, 0
.LBB200_1096:
                                        ; implicit-def: $vgpr2
.LBB200_1097:
	s_and_b32 vcc_lo, exec_lo, s1
	s_cbranch_vccz .LBB200_1100
; %bb.1098:
	v_cmp_eq_u16_e32 vcc_lo, 44, v6
	s_cbranch_vccz .LBB200_1101
; %bb.1099:
	global_load_u8 v2, v[0:1], off
	s_mov_b32 s0, 0
	s_mov_b32 s11, -1
	s_waitcnt vmcnt(0)
	v_lshlrev_b32_e32 v7, 23, v2
	v_cmp_ne_u32_e32 vcc_lo, 0xff, v2
	s_delay_alu instid0(VALU_DEP_2) | instskip(SKIP_1) | instid1(VALU_DEP_2)
	v_cndmask_b32_e32 v7, 0x7f800001, v7, vcc_lo
	v_cmp_ne_u32_e32 vcc_lo, 0, v2
	v_cndmask_b32_e32 v2, 0x400000, v7, vcc_lo
.LBB200_1100:
	s_branch .LBB200_1105
.LBB200_1101:
	s_mov_b32 s0, -1
                                        ; implicit-def: $vgpr2
	s_branch .LBB200_1105
.LBB200_1102:
	v_cmp_eq_u16_e32 vcc_lo, 29, v6
	s_cbranch_vccz .LBB200_1104
; %bb.1103:
	global_load_b64 v[7:8], v[0:1], off
	s_mov_b32 s0, 0
	s_mov_b32 s11, -1
	s_mov_b32 s1, 0
	s_waitcnt vmcnt(0)
	v_clz_i32_u32_e32 v2, v8
	s_delay_alu instid0(VALU_DEP_1) | instskip(NEXT) | instid1(VALU_DEP_1)
	v_min_u32_e32 v2, 32, v2
	v_lshlrev_b64 v[7:8], v2, v[7:8]
	v_sub_nc_u32_e32 v2, 32, v2
	s_delay_alu instid0(VALU_DEP_2) | instskip(NEXT) | instid1(VALU_DEP_1)
	v_min_u32_e32 v7, 1, v7
	v_or_b32_e32 v7, v8, v7
	s_delay_alu instid0(VALU_DEP_1) | instskip(NEXT) | instid1(VALU_DEP_1)
	v_cvt_f32_u32_e32 v7, v7
	v_ldexp_f32 v2, v7, v2
	s_branch .LBB200_1106
.LBB200_1104:
	s_mov_b32 s0, -1
                                        ; implicit-def: $vgpr2
.LBB200_1105:
	s_mov_b32 s1, 0
.LBB200_1106:
	s_delay_alu instid0(SALU_CYCLE_1)
	s_and_b32 vcc_lo, exec_lo, s1
	s_cbranch_vccz .LBB200_1124
; %bb.1107:
	v_cmp_gt_i16_e32 vcc_lo, 27, v6
	s_cbranch_vccnz .LBB200_1110
; %bb.1108:
	v_cmp_lt_i16_e32 vcc_lo, 27, v6
	s_cbranch_vccz .LBB200_1111
; %bb.1109:
	global_load_b32 v2, v[0:1], off
	s_mov_b32 s1, 0
	s_waitcnt vmcnt(0)
	v_cvt_f32_u32_e32 v2, v2
	s_branch .LBB200_1112
.LBB200_1110:
	s_mov_b32 s1, -1
                                        ; implicit-def: $vgpr2
	s_branch .LBB200_1115
.LBB200_1111:
	s_mov_b32 s1, -1
                                        ; implicit-def: $vgpr2
.LBB200_1112:
	s_delay_alu instid0(SALU_CYCLE_1)
	s_and_not1_b32 vcc_lo, exec_lo, s1
	s_cbranch_vccnz .LBB200_1114
; %bb.1113:
	global_load_u16 v2, v[0:1], off
	s_waitcnt vmcnt(0)
	v_cvt_f32_u32_e32 v2, v2
.LBB200_1114:
	s_mov_b32 s1, 0
.LBB200_1115:
	s_delay_alu instid0(SALU_CYCLE_1)
	s_and_not1_b32 vcc_lo, exec_lo, s1
	s_cbranch_vccnz .LBB200_1123
; %bb.1116:
	global_load_u8 v7, v[0:1], off
	s_mov_b32 s1, 0
	s_mov_b32 s12, exec_lo
                                        ; implicit-def: $sgpr11
	s_waitcnt vmcnt(0)
	v_cmpx_lt_i16_e32 0x7f, v7
	s_xor_b32 s12, exec_lo, s12
	s_cbranch_execz .LBB200_1136
; %bb.1117:
	s_mov_b32 s1, -1
	s_mov_b32 s13, exec_lo
                                        ; implicit-def: $sgpr11
	v_cmpx_eq_u16_e32 0x80, v7
; %bb.1118:
	s_mov_b32 s11, 0x7f800001
	s_xor_b32 s1, exec_lo, -1
; %bb.1119:
	s_or_b32 exec_lo, exec_lo, s13
	s_delay_alu instid0(SALU_CYCLE_1)
	s_and_b32 s1, s1, exec_lo
	s_or_saveexec_b32 s12, s12
	v_mov_b32_e32 v2, s11
	s_xor_b32 exec_lo, exec_lo, s12
	s_cbranch_execnz .LBB200_1137
.LBB200_1120:
	s_or_b32 exec_lo, exec_lo, s12
	s_and_saveexec_b32 s11, s1
	s_cbranch_execz .LBB200_1122
.LBB200_1121:
	v_and_b32_e32 v2, 0xffff, v7
	s_delay_alu instid0(VALU_DEP_1) | instskip(NEXT) | instid1(VALU_DEP_1)
	v_and_b32_e32 v8, 7, v2
	v_clz_i32_u32_e32 v9, v8
	s_delay_alu instid0(VALU_DEP_1) | instskip(NEXT) | instid1(VALU_DEP_1)
	v_min_u32_e32 v9, 32, v9
	v_subrev_nc_u32_e32 v10, 28, v9
	v_sub_nc_u32_e32 v9, 29, v9
	s_delay_alu instid0(VALU_DEP_2) | instskip(SKIP_1) | instid1(VALU_DEP_2)
	v_lshlrev_b32_e32 v10, v10, v2
	v_bfe_u32 v2, v2, 3, 4
	v_and_b32_e32 v10, 7, v10
	s_delay_alu instid0(VALU_DEP_2) | instskip(SKIP_1) | instid1(VALU_DEP_1)
	v_cmp_eq_u32_e32 vcc_lo, 0, v2
	v_dual_cndmask_b32 v2, v2, v9 :: v_dual_lshlrev_b32 v7, 24, v7
	v_dual_cndmask_b32 v8, v8, v10 :: v_dual_and_b32 v7, 0x80000000, v7
	s_delay_alu instid0(VALU_DEP_2) | instskip(NEXT) | instid1(VALU_DEP_2)
	v_lshl_add_u32 v2, v2, 23, 0x3b800000
	v_lshlrev_b32_e32 v8, 20, v8
	s_delay_alu instid0(VALU_DEP_1)
	v_or3_b32 v2, v7, v2, v8
.LBB200_1122:
	s_or_b32 exec_lo, exec_lo, s11
.LBB200_1123:
	s_mov_b32 s11, -1
.LBB200_1124:
	s_branch .LBB200_1156
.LBB200_1125:
	v_cmp_lt_i16_e32 vcc_lo, 22, v6
	s_cbranch_vccz .LBB200_1135
; %bb.1126:
	v_cmp_gt_i16_e32 vcc_lo, 24, v6
	s_cbranch_vccnz .LBB200_1138
; %bb.1127:
	v_cmp_lt_i16_e32 vcc_lo, 24, v6
	s_cbranch_vccz .LBB200_1139
; %bb.1128:
	global_load_u8 v7, v[0:1], off
	s_mov_b32 s1, 0
	s_mov_b32 s11, exec_lo
                                        ; implicit-def: $sgpr10
	s_waitcnt vmcnt(0)
	v_cmpx_lt_i16_e32 0x7f, v7
	s_xor_b32 s11, exec_lo, s11
	s_cbranch_execz .LBB200_1150
; %bb.1129:
	s_mov_b32 s1, -1
	s_mov_b32 s12, exec_lo
                                        ; implicit-def: $sgpr10
	v_cmpx_eq_u16_e32 0x80, v7
; %bb.1130:
	s_mov_b32 s10, 0x7f800001
	s_xor_b32 s1, exec_lo, -1
; %bb.1131:
	s_or_b32 exec_lo, exec_lo, s12
	s_delay_alu instid0(SALU_CYCLE_1)
	s_and_b32 s1, s1, exec_lo
	s_or_saveexec_b32 s11, s11
	v_mov_b32_e32 v2, s10
	s_xor_b32 exec_lo, exec_lo, s11
	s_cbranch_execnz .LBB200_1151
.LBB200_1132:
	s_or_b32 exec_lo, exec_lo, s11
	s_and_saveexec_b32 s10, s1
	s_cbranch_execz .LBB200_1134
.LBB200_1133:
	v_and_b32_e32 v2, 0xffff, v7
	s_delay_alu instid0(VALU_DEP_1) | instskip(NEXT) | instid1(VALU_DEP_1)
	v_and_b32_e32 v8, 3, v2
	v_clz_i32_u32_e32 v9, v8
	s_delay_alu instid0(VALU_DEP_1) | instskip(NEXT) | instid1(VALU_DEP_1)
	v_min_u32_e32 v9, 32, v9
	v_subrev_nc_u32_e32 v10, 29, v9
	v_sub_nc_u32_e32 v9, 30, v9
	s_delay_alu instid0(VALU_DEP_2) | instskip(SKIP_1) | instid1(VALU_DEP_2)
	v_lshlrev_b32_e32 v10, v10, v2
	v_bfe_u32 v2, v2, 2, 5
	v_and_b32_e32 v10, 3, v10
	s_delay_alu instid0(VALU_DEP_2) | instskip(SKIP_1) | instid1(VALU_DEP_1)
	v_cmp_eq_u32_e32 vcc_lo, 0, v2
	v_dual_cndmask_b32 v2, v2, v9 :: v_dual_lshlrev_b32 v7, 24, v7
	v_dual_cndmask_b32 v8, v8, v10 :: v_dual_and_b32 v7, 0x80000000, v7
	s_delay_alu instid0(VALU_DEP_2) | instskip(NEXT) | instid1(VALU_DEP_2)
	v_lshl_add_u32 v2, v2, 23, 0x37800000
	v_lshlrev_b32_e32 v8, 21, v8
	s_delay_alu instid0(VALU_DEP_1)
	v_or3_b32 v2, v7, v2, v8
.LBB200_1134:
	s_or_b32 exec_lo, exec_lo, s10
	s_mov_b32 s1, 0
	s_branch .LBB200_1140
.LBB200_1135:
                                        ; implicit-def: $vgpr2
	s_mov_b32 s10, 0
	s_branch .LBB200_1146
.LBB200_1136:
	s_or_saveexec_b32 s12, s12
	v_mov_b32_e32 v2, s11
	s_xor_b32 exec_lo, exec_lo, s12
	s_cbranch_execz .LBB200_1120
.LBB200_1137:
	v_cmp_ne_u16_e32 vcc_lo, 0, v7
	v_mov_b32_e32 v2, 0
	s_and_not1_b32 s1, s1, exec_lo
	s_and_b32 s11, vcc_lo, exec_lo
	s_delay_alu instid0(SALU_CYCLE_1)
	s_or_b32 s1, s1, s11
	s_or_b32 exec_lo, exec_lo, s12
	s_and_saveexec_b32 s11, s1
	s_cbranch_execnz .LBB200_1121
	s_branch .LBB200_1122
.LBB200_1138:
	s_mov_b32 s1, -1
                                        ; implicit-def: $vgpr2
	s_branch .LBB200_1143
.LBB200_1139:
	s_mov_b32 s1, -1
                                        ; implicit-def: $vgpr2
.LBB200_1140:
	s_delay_alu instid0(SALU_CYCLE_1)
	s_and_b32 vcc_lo, exec_lo, s1
	s_cbranch_vccz .LBB200_1142
; %bb.1141:
	global_load_u8 v2, v[0:1], off
	s_waitcnt vmcnt(0)
	v_lshlrev_b32_e32 v2, 24, v2
	s_delay_alu instid0(VALU_DEP_1) | instskip(NEXT) | instid1(VALU_DEP_1)
	v_and_b32_e32 v7, 0x7f000000, v2
	v_clz_i32_u32_e32 v8, v7
	v_add_nc_u32_e32 v10, 0x1000000, v7
	v_cmp_ne_u32_e32 vcc_lo, 0, v7
	s_delay_alu instid0(VALU_DEP_3) | instskip(NEXT) | instid1(VALU_DEP_1)
	v_min_u32_e32 v8, 32, v8
	v_sub_nc_u32_e64 v8, v8, 4 clamp
	s_delay_alu instid0(VALU_DEP_1) | instskip(SKIP_1) | instid1(VALU_DEP_2)
	v_lshlrev_b32_e32 v9, v8, v7
	v_lshlrev_b32_e32 v8, 23, v8
	v_lshrrev_b32_e32 v9, 4, v9
	s_delay_alu instid0(VALU_DEP_1) | instskip(SKIP_1) | instid1(VALU_DEP_2)
	v_sub_nc_u32_e32 v8, v9, v8
	v_ashrrev_i32_e32 v9, 8, v10
	v_add_nc_u32_e32 v8, 0x3c000000, v8
	s_delay_alu instid0(VALU_DEP_1) | instskip(NEXT) | instid1(VALU_DEP_1)
	v_and_or_b32 v8, 0x7f800000, v9, v8
	v_cndmask_b32_e32 v7, 0, v8, vcc_lo
	s_delay_alu instid0(VALU_DEP_1)
	v_and_or_b32 v2, 0x80000000, v2, v7
.LBB200_1142:
	s_mov_b32 s1, 0
.LBB200_1143:
	s_delay_alu instid0(SALU_CYCLE_1)
	s_and_not1_b32 vcc_lo, exec_lo, s1
	s_cbranch_vccnz .LBB200_1145
; %bb.1144:
	global_load_u8 v2, v[0:1], off
	s_waitcnt vmcnt(0)
	v_lshlrev_b32_e32 v7, 25, v2
	v_lshlrev_b16 v2, 8, v2
	s_delay_alu instid0(VALU_DEP_2) | instskip(NEXT) | instid1(VALU_DEP_2)
	v_lshrrev_b32_e32 v8, 4, v7
	v_and_or_b32 v9, 0x7f00, v2, 0.5
	v_bfe_i32 v2, v2, 0, 16
	s_delay_alu instid0(VALU_DEP_3) | instskip(NEXT) | instid1(VALU_DEP_1)
	v_or_b32_e32 v8, 0x70000000, v8
	v_dual_add_f32 v9, -0.5, v9 :: v_dual_mul_f32 v8, 0x7800000, v8
	v_cmp_gt_u32_e32 vcc_lo, 0x8000000, v7
	s_delay_alu instid0(VALU_DEP_2) | instskip(NEXT) | instid1(VALU_DEP_1)
	v_cndmask_b32_e32 v7, v8, v9, vcc_lo
	v_and_or_b32 v2, 0x80000000, v2, v7
.LBB200_1145:
	s_mov_b32 s11, -1
	s_mov_b32 s10, 0
	s_cbranch_execnz .LBB200_1156
.LBB200_1146:
	v_cmp_lt_i16_e32 vcc_lo, 14, v6
	s_cbranch_vccz .LBB200_1149
; %bb.1147:
	v_cmp_eq_u16_e32 vcc_lo, 15, v6
	s_cbranch_vccz .LBB200_1152
; %bb.1148:
	global_load_u16 v2, v[0:1], off
	s_mov_b32 s0, 0
	s_mov_b32 s11, -1
	s_waitcnt vmcnt(0)
	v_lshlrev_b32_e32 v2, 16, v2
	s_branch .LBB200_1153
.LBB200_1149:
	s_mov_b32 s1, -1
                                        ; implicit-def: $vgpr2
	s_branch .LBB200_1154
.LBB200_1150:
	s_or_saveexec_b32 s11, s11
	v_mov_b32_e32 v2, s10
	s_xor_b32 exec_lo, exec_lo, s11
	s_cbranch_execz .LBB200_1132
.LBB200_1151:
	v_cmp_ne_u16_e32 vcc_lo, 0, v7
	v_mov_b32_e32 v2, 0
	s_and_not1_b32 s1, s1, exec_lo
	s_and_b32 s10, vcc_lo, exec_lo
	s_delay_alu instid0(SALU_CYCLE_1)
	s_or_b32 s1, s1, s10
	s_or_b32 exec_lo, exec_lo, s11
	s_and_saveexec_b32 s10, s1
	s_cbranch_execnz .LBB200_1133
	s_branch .LBB200_1134
.LBB200_1152:
	s_mov_b32 s0, -1
                                        ; implicit-def: $vgpr2
.LBB200_1153:
	s_mov_b32 s1, 0
.LBB200_1154:
	s_delay_alu instid0(SALU_CYCLE_1)
	s_and_b32 vcc_lo, exec_lo, s1
	s_cbranch_vccz .LBB200_1156
; %bb.1155:
	v_cmp_ne_u16_e64 s0, 11, v6
	s_mov_b32 s10, -1
                                        ; implicit-def: $vgpr2
.LBB200_1156:
	s_delay_alu instid0(VALU_DEP_1)
	s_and_b32 vcc_lo, exec_lo, s0
	s_mov_b32 s1, s9
	s_cbranch_vccnz .LBB200_1180
; %bb.1157:
	s_and_not1_b32 vcc_lo, exec_lo, s10
	s_cbranch_vccnz .LBB200_1159
.LBB200_1158:
	global_load_u8 v2, v[0:1], off
	s_mov_b32 s11, -1
	s_waitcnt vmcnt(0)
	v_cmp_ne_u16_e32 vcc_lo, 0, v2
	v_cndmask_b32_e64 v2, 0, 1.0, vcc_lo
.LBB200_1159:
.LBB200_1160:
	s_and_not1_b32 vcc_lo, exec_lo, s11
	s_cbranch_vccnz .LBB200_1996
.LBB200_1161:
	s_lshl_b32 s3, s3, 7
	v_cmp_gt_i16_e32 vcc_lo, 11, v6
	v_add_nc_u32_e32 v3, s3, v3
	s_delay_alu instid0(VALU_DEP_1) | instskip(SKIP_1) | instid1(VALU_DEP_1)
	v_ashrrev_i32_e32 v1, 31, v3
	v_add_co_u32 v0, s0, s6, v3
	v_add_co_ci_u32_e64 v1, s0, s7, v1, s0
	s_cbranch_vccnz .LBB200_1168
; %bb.1162:
	v_cmp_lt_i16_e32 vcc_lo, 25, v6
	s_mov_b32 s10, 0
	s_cbranch_vccz .LBB200_1174
; %bb.1163:
	v_cmp_lt_i16_e32 vcc_lo, 28, v6
	s_cbranch_vccz .LBB200_1176
; %bb.1164:
	v_cmp_lt_i16_e32 vcc_lo, 43, v6
	s_cbranch_vccz .LBB200_1178
; %bb.1165:
	v_cmp_lt_i16_e32 vcc_lo, 45, v6
	s_cbranch_vccz .LBB200_1184
; %bb.1166:
	v_cmp_eq_u16_e32 vcc_lo, 46, v6
	s_mov_b32 s12, 0
	s_cbranch_vccz .LBB200_1228
; %bb.1167:
	global_load_b32 v7, v[0:1], off
	s_mov_b32 s0, 0
	s_mov_b32 s11, -1
	s_waitcnt vmcnt(0)
	v_lshlrev_b32_e32 v10, 16, v7
	s_branch .LBB200_1230
.LBB200_1168:
	s_mov_b32 s11, 0
                                        ; implicit-def: $vgpr10
	s_cbranch_execz .LBB200_1295
; %bb.1169:
	v_cmp_gt_i16_e32 vcc_lo, 5, v6
	s_cbranch_vccnz .LBB200_1175
; %bb.1170:
	v_cmp_gt_i16_e32 vcc_lo, 8, v6
	s_cbranch_vccnz .LBB200_1177
	;; [unrolled: 3-line block ×3, first 2 shown]
; %bb.1172:
	v_cmp_lt_i16_e32 vcc_lo, 9, v6
	s_cbranch_vccz .LBB200_1185
; %bb.1173:
	global_load_b64 v[7:8], v[0:1], off
	s_mov_b32 s0, 0
	s_waitcnt vmcnt(0)
	v_cvt_f32_f64_e32 v10, v[7:8]
	s_branch .LBB200_1186
.LBB200_1174:
	s_mov_b32 s11, 0
	s_mov_b32 s0, 0
                                        ; implicit-def: $vgpr10
	s_cbranch_execnz .LBB200_1259
	s_branch .LBB200_1291
.LBB200_1175:
                                        ; implicit-def: $vgpr10
	s_branch .LBB200_1204
.LBB200_1176:
	s_mov_b32 s12, -1
	s_mov_b32 s11, 0
	s_mov_b32 s0, 0
                                        ; implicit-def: $vgpr10
	s_branch .LBB200_1240
.LBB200_1177:
	s_mov_b32 s0, -1
                                        ; implicit-def: $vgpr10
	s_branch .LBB200_1192
.LBB200_1178:
	s_mov_b32 s12, -1
	s_mov_b32 s11, 0
	s_mov_b32 s0, 0
                                        ; implicit-def: $vgpr10
	s_branch .LBB200_1235
.LBB200_1179:
	s_mov_b32 s0, -1
                                        ; implicit-def: $vgpr10
	s_branch .LBB200_1189
.LBB200_1180:
	s_cbranch_execnz .LBB200_1224
; %bb.1181:
	s_or_b32 s1, s9, exec_lo
                                        ; implicit-def: $vgpr2
	s_cbranch_execz .LBB200_1158
	s_branch .LBB200_1159
.LBB200_1182:
	s_or_saveexec_b32 s14, s14
                                        ; implicit-def: $sgpr15
	s_delay_alu instid0(SALU_CYCLE_1)
	s_xor_b32 exec_lo, exec_lo, s14
	s_cbranch_execz .LBB200_944
.LBB200_1183:
	v_add_f32_e64 v3, 0x46000000, |v2|
	s_and_not1_b32 s13, s13, exec_lo
	s_mov_b32 s15, 0
	s_delay_alu instid0(VALU_DEP_1) | instskip(NEXT) | instid1(VALU_DEP_1)
	v_and_b32_e32 v3, 0xff, v3
	v_cmp_ne_u32_e32 vcc_lo, 0, v3
	s_and_b32 s16, vcc_lo, exec_lo
	s_delay_alu instid0(SALU_CYCLE_1)
	s_or_b32 s13, s13, s16
	s_or_b32 exec_lo, exec_lo, s14
	v_mov_b32_e32 v4, s15
	s_and_saveexec_b32 s14, s13
	s_cbranch_execnz .LBB200_945
	s_branch .LBB200_946
.LBB200_1184:
	s_mov_b32 s12, -1
	s_mov_b32 s11, 0
	s_mov_b32 s0, 0
	s_branch .LBB200_1229
.LBB200_1185:
	s_mov_b32 s0, -1
                                        ; implicit-def: $vgpr10
.LBB200_1186:
	s_delay_alu instid0(SALU_CYCLE_1)
	s_and_not1_b32 vcc_lo, exec_lo, s0
	s_cbranch_vccnz .LBB200_1188
; %bb.1187:
	global_load_b32 v10, v[0:1], off
.LBB200_1188:
	s_mov_b32 s0, 0
.LBB200_1189:
	s_delay_alu instid0(SALU_CYCLE_1)
	s_and_not1_b32 vcc_lo, exec_lo, s0
	s_cbranch_vccnz .LBB200_1191
; %bb.1190:
	global_load_b32 v7, v[0:1], off
	s_waitcnt vmcnt(0)
	v_cvt_f32_f16_e32 v10, v7
.LBB200_1191:
	s_mov_b32 s0, 0
.LBB200_1192:
	s_delay_alu instid0(SALU_CYCLE_1)
	s_and_not1_b32 vcc_lo, exec_lo, s0
	s_cbranch_vccnz .LBB200_1203
; %bb.1193:
	v_cmp_gt_i16_e32 vcc_lo, 6, v6
	s_cbranch_vccnz .LBB200_1196
; %bb.1194:
	v_cmp_lt_i16_e32 vcc_lo, 6, v6
	s_cbranch_vccz .LBB200_1197
; %bb.1195:
	global_load_b64 v[7:8], v[0:1], off
	s_mov_b32 s0, 0
	s_waitcnt vmcnt(0)
	v_cvt_f32_f64_e32 v10, v[7:8]
	s_branch .LBB200_1198
.LBB200_1196:
	s_mov_b32 s0, -1
                                        ; implicit-def: $vgpr10
	s_branch .LBB200_1201
.LBB200_1197:
	s_mov_b32 s0, -1
                                        ; implicit-def: $vgpr10
.LBB200_1198:
	s_delay_alu instid0(SALU_CYCLE_1)
	s_and_not1_b32 vcc_lo, exec_lo, s0
	s_cbranch_vccnz .LBB200_1200
; %bb.1199:
	global_load_b32 v10, v[0:1], off
.LBB200_1200:
	s_mov_b32 s0, 0
.LBB200_1201:
	s_delay_alu instid0(SALU_CYCLE_1)
	s_and_not1_b32 vcc_lo, exec_lo, s0
	s_cbranch_vccnz .LBB200_1203
; %bb.1202:
	global_load_u16 v7, v[0:1], off
	s_waitcnt vmcnt(0)
	v_cvt_f32_f16_e32 v10, v7
.LBB200_1203:
	s_cbranch_execnz .LBB200_1223
.LBB200_1204:
	v_cmp_gt_i16_e32 vcc_lo, 2, v6
	s_cbranch_vccnz .LBB200_1208
; %bb.1205:
	v_cmp_gt_i16_e32 vcc_lo, 3, v6
	s_cbranch_vccnz .LBB200_1209
; %bb.1206:
	v_cmp_lt_i16_e32 vcc_lo, 3, v6
	s_cbranch_vccz .LBB200_1210
; %bb.1207:
	global_load_b64 v[7:8], v[0:1], off
	s_mov_b32 s0, 0
	s_waitcnt vmcnt(0)
	v_xor_b32_e32 v9, v7, v8
	v_cls_i32_e32 v10, v8
	s_delay_alu instid0(VALU_DEP_2) | instskip(NEXT) | instid1(VALU_DEP_2)
	v_ashrrev_i32_e32 v9, 31, v9
	v_add_nc_u32_e32 v10, -1, v10
	s_delay_alu instid0(VALU_DEP_2) | instskip(NEXT) | instid1(VALU_DEP_1)
	v_add_nc_u32_e32 v9, 32, v9
	v_min_u32_e32 v9, v10, v9
	s_delay_alu instid0(VALU_DEP_1) | instskip(NEXT) | instid1(VALU_DEP_1)
	v_lshlrev_b64 v[7:8], v9, v[7:8]
	v_min_u32_e32 v7, 1, v7
	s_delay_alu instid0(VALU_DEP_1) | instskip(SKIP_1) | instid1(VALU_DEP_2)
	v_or_b32_e32 v7, v8, v7
	v_sub_nc_u32_e32 v8, 32, v9
	v_cvt_f32_i32_e32 v7, v7
	s_delay_alu instid0(VALU_DEP_1)
	v_ldexp_f32 v10, v7, v8
	s_branch .LBB200_1211
.LBB200_1208:
	s_mov_b32 s0, -1
                                        ; implicit-def: $vgpr10
	s_branch .LBB200_1217
.LBB200_1209:
	s_mov_b32 s0, -1
                                        ; implicit-def: $vgpr10
	s_branch .LBB200_1214
.LBB200_1210:
	s_mov_b32 s0, -1
                                        ; implicit-def: $vgpr10
.LBB200_1211:
	s_delay_alu instid0(SALU_CYCLE_1)
	s_and_not1_b32 vcc_lo, exec_lo, s0
	s_cbranch_vccnz .LBB200_1213
; %bb.1212:
	global_load_b32 v7, v[0:1], off
	s_waitcnt vmcnt(0)
	v_cvt_f32_i32_e32 v10, v7
.LBB200_1213:
	s_mov_b32 s0, 0
.LBB200_1214:
	s_delay_alu instid0(SALU_CYCLE_1)
	s_and_not1_b32 vcc_lo, exec_lo, s0
	s_cbranch_vccnz .LBB200_1216
; %bb.1215:
	global_load_i16 v7, v[0:1], off
	s_waitcnt vmcnt(0)
	v_cvt_f32_i32_e32 v10, v7
.LBB200_1216:
	s_mov_b32 s0, 0
.LBB200_1217:
	s_delay_alu instid0(SALU_CYCLE_1)
	s_and_not1_b32 vcc_lo, exec_lo, s0
	s_cbranch_vccnz .LBB200_1223
; %bb.1218:
	v_cmp_lt_i16_e32 vcc_lo, 0, v6
	s_mov_b32 s0, 0
	s_cbranch_vccz .LBB200_1220
; %bb.1219:
	global_load_i8 v7, v[0:1], off
	s_waitcnt vmcnt(0)
	v_cvt_f32_i32_e32 v10, v7
	s_branch .LBB200_1221
.LBB200_1220:
	s_mov_b32 s0, -1
                                        ; implicit-def: $vgpr10
.LBB200_1221:
	s_delay_alu instid0(SALU_CYCLE_1)
	s_and_not1_b32 vcc_lo, exec_lo, s0
	s_cbranch_vccnz .LBB200_1223
; %bb.1222:
	global_load_u8 v0, v[0:1], off
	s_waitcnt vmcnt(0)
	v_cvt_f32_ubyte0_e32 v10, v0
.LBB200_1223:
	s_branch .LBB200_1296
.LBB200_1224:
	s_trap 2
	s_sendmsg_rtn_b32 s0, sendmsg(MSG_RTN_GET_DOORBELL)
	s_mov_b32 ttmp2, m0
	s_waitcnt lgkmcnt(0)
	s_and_b32 s0, s0, 0x3ff
	s_delay_alu instid0(SALU_CYCLE_1) | instskip(NEXT) | instid1(SALU_CYCLE_1)
	s_bitset1_b32 s0, 10
	s_mov_b32 m0, s0
	s_sendmsg sendmsg(MSG_INTERRUPT)
	s_mov_b32 m0, ttmp2
.LBB200_1225:                           ; =>This Inner Loop Header: Depth=1
	s_sethalt 5
	s_branch .LBB200_1225
.LBB200_1226:
	s_or_saveexec_b32 s15, s15
                                        ; implicit-def: $sgpr16
	s_delay_alu instid0(SALU_CYCLE_1)
	s_xor_b32 exec_lo, exec_lo, s15
	s_cbranch_execz .LBB200_956
.LBB200_1227:
	v_add_f32_e64 v3, 0x42800000, |v2|
	s_and_not1_b32 s14, s14, exec_lo
	s_mov_b32 s16, 0
	s_delay_alu instid0(VALU_DEP_1) | instskip(NEXT) | instid1(VALU_DEP_1)
	v_and_b32_e32 v3, 0xff, v3
	v_cmp_ne_u32_e32 vcc_lo, 0, v3
	s_and_b32 s17, vcc_lo, exec_lo
	s_delay_alu instid0(SALU_CYCLE_1)
	s_or_b32 s14, s14, s17
	s_or_b32 exec_lo, exec_lo, s15
	v_mov_b32_e32 v4, s16
	s_and_saveexec_b32 s15, s14
	s_cbranch_execnz .LBB200_957
	s_branch .LBB200_958
.LBB200_1228:
	s_mov_b32 s0, -1
	s_mov_b32 s11, 0
.LBB200_1229:
                                        ; implicit-def: $vgpr10
.LBB200_1230:
	s_and_b32 vcc_lo, exec_lo, s12
	s_cbranch_vccz .LBB200_1234
; %bb.1231:
	v_cmp_eq_u16_e32 vcc_lo, 44, v6
	s_cbranch_vccz .LBB200_1233
; %bb.1232:
	global_load_u8 v7, v[0:1], off
	s_mov_b32 s0, 0
	s_mov_b32 s11, -1
	s_waitcnt vmcnt(0)
	v_lshlrev_b32_e32 v8, 23, v7
	v_cmp_ne_u32_e32 vcc_lo, 0xff, v7
	s_delay_alu instid0(VALU_DEP_2) | instskip(SKIP_1) | instid1(VALU_DEP_2)
	v_cndmask_b32_e32 v8, 0x7f800001, v8, vcc_lo
	v_cmp_ne_u32_e32 vcc_lo, 0, v7
	v_cndmask_b32_e32 v10, 0x400000, v8, vcc_lo
	s_branch .LBB200_1234
.LBB200_1233:
	s_mov_b32 s0, -1
                                        ; implicit-def: $vgpr10
.LBB200_1234:
	s_mov_b32 s12, 0
.LBB200_1235:
	s_delay_alu instid0(SALU_CYCLE_1)
	s_and_b32 vcc_lo, exec_lo, s12
	s_cbranch_vccz .LBB200_1239
; %bb.1236:
	v_cmp_eq_u16_e32 vcc_lo, 29, v6
	s_cbranch_vccz .LBB200_1238
; %bb.1237:
	global_load_b64 v[7:8], v[0:1], off
	s_mov_b32 s0, 0
	s_mov_b32 s11, -1
	s_mov_b32 s12, 0
	s_waitcnt vmcnt(0)
	v_clz_i32_u32_e32 v9, v8
	s_delay_alu instid0(VALU_DEP_1) | instskip(NEXT) | instid1(VALU_DEP_1)
	v_min_u32_e32 v9, 32, v9
	v_lshlrev_b64 v[7:8], v9, v[7:8]
	s_delay_alu instid0(VALU_DEP_1) | instskip(NEXT) | instid1(VALU_DEP_1)
	v_min_u32_e32 v7, 1, v7
	v_or_b32_e32 v7, v8, v7
	v_sub_nc_u32_e32 v8, 32, v9
	s_delay_alu instid0(VALU_DEP_2) | instskip(NEXT) | instid1(VALU_DEP_1)
	v_cvt_f32_u32_e32 v7, v7
	v_ldexp_f32 v10, v7, v8
	s_branch .LBB200_1240
.LBB200_1238:
	s_mov_b32 s0, -1
                                        ; implicit-def: $vgpr10
.LBB200_1239:
	s_mov_b32 s12, 0
.LBB200_1240:
	s_delay_alu instid0(SALU_CYCLE_1)
	s_and_b32 vcc_lo, exec_lo, s12
	s_cbranch_vccz .LBB200_1258
; %bb.1241:
	v_cmp_gt_i16_e32 vcc_lo, 27, v6
	s_cbranch_vccnz .LBB200_1244
; %bb.1242:
	v_cmp_lt_i16_e32 vcc_lo, 27, v6
	s_cbranch_vccz .LBB200_1245
; %bb.1243:
	global_load_b32 v7, v[0:1], off
	s_mov_b32 s11, 0
	s_waitcnt vmcnt(0)
	v_cvt_f32_u32_e32 v10, v7
	s_branch .LBB200_1246
.LBB200_1244:
	s_mov_b32 s11, -1
                                        ; implicit-def: $vgpr10
	s_branch .LBB200_1249
.LBB200_1245:
	s_mov_b32 s11, -1
                                        ; implicit-def: $vgpr10
.LBB200_1246:
	s_delay_alu instid0(SALU_CYCLE_1)
	s_and_not1_b32 vcc_lo, exec_lo, s11
	s_cbranch_vccnz .LBB200_1248
; %bb.1247:
	global_load_u16 v7, v[0:1], off
	s_waitcnt vmcnt(0)
	v_cvt_f32_u32_e32 v10, v7
.LBB200_1248:
	s_mov_b32 s11, 0
.LBB200_1249:
	s_delay_alu instid0(SALU_CYCLE_1)
	s_and_not1_b32 vcc_lo, exec_lo, s11
	s_cbranch_vccnz .LBB200_1257
; %bb.1250:
	global_load_u8 v7, v[0:1], off
	s_mov_b32 s11, 0
	s_mov_b32 s13, exec_lo
                                        ; implicit-def: $sgpr12
	s_waitcnt vmcnt(0)
	v_cmpx_lt_i16_e32 0x7f, v7
	s_xor_b32 s13, exec_lo, s13
	s_cbranch_execz .LBB200_1270
; %bb.1251:
	s_mov_b32 s11, -1
	s_mov_b32 s14, exec_lo
                                        ; implicit-def: $sgpr12
	v_cmpx_eq_u16_e32 0x80, v7
; %bb.1252:
	s_mov_b32 s12, 0x7f800001
	s_xor_b32 s11, exec_lo, -1
; %bb.1253:
	s_or_b32 exec_lo, exec_lo, s14
	s_delay_alu instid0(SALU_CYCLE_1)
	s_and_b32 s11, s11, exec_lo
	s_or_saveexec_b32 s13, s13
	v_mov_b32_e32 v10, s12
	s_xor_b32 exec_lo, exec_lo, s13
	s_cbranch_execnz .LBB200_1271
.LBB200_1254:
	s_or_b32 exec_lo, exec_lo, s13
	s_and_saveexec_b32 s12, s11
	s_cbranch_execz .LBB200_1256
.LBB200_1255:
	v_and_b32_e32 v8, 0xffff, v7
	v_lshlrev_b32_e32 v7, 24, v7
	s_delay_alu instid0(VALU_DEP_2) | instskip(NEXT) | instid1(VALU_DEP_2)
	v_and_b32_e32 v9, 7, v8
	v_and_b32_e32 v7, 0x80000000, v7
	s_delay_alu instid0(VALU_DEP_2) | instskip(NEXT) | instid1(VALU_DEP_1)
	v_clz_i32_u32_e32 v10, v9
	v_min_u32_e32 v10, 32, v10
	s_delay_alu instid0(VALU_DEP_1) | instskip(SKIP_1) | instid1(VALU_DEP_2)
	v_subrev_nc_u32_e32 v11, 28, v10
	v_sub_nc_u32_e32 v10, 29, v10
	v_lshlrev_b32_e32 v11, v11, v8
	v_bfe_u32 v8, v8, 3, 4
	s_delay_alu instid0(VALU_DEP_2) | instskip(NEXT) | instid1(VALU_DEP_2)
	v_and_b32_e32 v11, 7, v11
	v_cmp_eq_u32_e32 vcc_lo, 0, v8
	s_delay_alu instid0(VALU_DEP_2) | instskip(NEXT) | instid1(VALU_DEP_1)
	v_dual_cndmask_b32 v8, v8, v10 :: v_dual_cndmask_b32 v9, v9, v11
	v_lshl_add_u32 v8, v8, 23, 0x3b800000
	s_delay_alu instid0(VALU_DEP_2) | instskip(NEXT) | instid1(VALU_DEP_1)
	v_lshlrev_b32_e32 v9, 20, v9
	v_or3_b32 v10, v7, v8, v9
.LBB200_1256:
	s_or_b32 exec_lo, exec_lo, s12
.LBB200_1257:
	s_mov_b32 s11, -1
.LBB200_1258:
	s_branch .LBB200_1291
.LBB200_1259:
	v_cmp_lt_i16_e32 vcc_lo, 22, v6
	s_cbranch_vccz .LBB200_1269
; %bb.1260:
	v_cmp_gt_i16_e32 vcc_lo, 24, v6
	s_cbranch_vccnz .LBB200_1272
; %bb.1261:
	v_cmp_lt_i16_e32 vcc_lo, 24, v6
	s_cbranch_vccz .LBB200_1273
; %bb.1262:
	global_load_u8 v7, v[0:1], off
	s_mov_b32 s12, exec_lo
                                        ; implicit-def: $sgpr11
	s_waitcnt vmcnt(0)
	v_cmpx_lt_i16_e32 0x7f, v7
	s_xor_b32 s12, exec_lo, s12
	s_cbranch_execz .LBB200_1285
; %bb.1263:
	s_mov_b32 s10, -1
	s_mov_b32 s13, exec_lo
                                        ; implicit-def: $sgpr11
	v_cmpx_eq_u16_e32 0x80, v7
; %bb.1264:
	s_mov_b32 s11, 0x7f800001
	s_xor_b32 s10, exec_lo, -1
; %bb.1265:
	s_or_b32 exec_lo, exec_lo, s13
	s_delay_alu instid0(SALU_CYCLE_1)
	s_and_b32 s10, s10, exec_lo
	s_or_saveexec_b32 s12, s12
	v_mov_b32_e32 v10, s11
	s_xor_b32 exec_lo, exec_lo, s12
	s_cbranch_execnz .LBB200_1286
.LBB200_1266:
	s_or_b32 exec_lo, exec_lo, s12
	s_and_saveexec_b32 s11, s10
	s_cbranch_execz .LBB200_1268
.LBB200_1267:
	v_and_b32_e32 v8, 0xffff, v7
	v_lshlrev_b32_e32 v7, 24, v7
	s_delay_alu instid0(VALU_DEP_2) | instskip(NEXT) | instid1(VALU_DEP_2)
	v_and_b32_e32 v9, 3, v8
	v_and_b32_e32 v7, 0x80000000, v7
	s_delay_alu instid0(VALU_DEP_2) | instskip(NEXT) | instid1(VALU_DEP_1)
	v_clz_i32_u32_e32 v10, v9
	v_min_u32_e32 v10, 32, v10
	s_delay_alu instid0(VALU_DEP_1) | instskip(SKIP_1) | instid1(VALU_DEP_2)
	v_subrev_nc_u32_e32 v11, 29, v10
	v_sub_nc_u32_e32 v10, 30, v10
	v_lshlrev_b32_e32 v11, v11, v8
	v_bfe_u32 v8, v8, 2, 5
	s_delay_alu instid0(VALU_DEP_2) | instskip(NEXT) | instid1(VALU_DEP_2)
	v_and_b32_e32 v11, 3, v11
	v_cmp_eq_u32_e32 vcc_lo, 0, v8
	s_delay_alu instid0(VALU_DEP_2) | instskip(NEXT) | instid1(VALU_DEP_1)
	v_dual_cndmask_b32 v8, v8, v10 :: v_dual_cndmask_b32 v9, v9, v11
	v_lshl_add_u32 v8, v8, 23, 0x37800000
	s_delay_alu instid0(VALU_DEP_2) | instskip(NEXT) | instid1(VALU_DEP_1)
	v_lshlrev_b32_e32 v9, 21, v9
	v_or3_b32 v10, v7, v8, v9
.LBB200_1268:
	s_or_b32 exec_lo, exec_lo, s11
	s_mov_b32 s10, 0
	s_branch .LBB200_1274
.LBB200_1269:
	s_mov_b32 s10, -1
                                        ; implicit-def: $vgpr10
	s_branch .LBB200_1280
.LBB200_1270:
	s_or_saveexec_b32 s13, s13
	v_mov_b32_e32 v10, s12
	s_xor_b32 exec_lo, exec_lo, s13
	s_cbranch_execz .LBB200_1254
.LBB200_1271:
	v_cmp_ne_u16_e32 vcc_lo, 0, v7
	v_mov_b32_e32 v10, 0
	s_and_not1_b32 s11, s11, exec_lo
	s_and_b32 s12, vcc_lo, exec_lo
	s_delay_alu instid0(SALU_CYCLE_1)
	s_or_b32 s11, s11, s12
	s_or_b32 exec_lo, exec_lo, s13
	s_and_saveexec_b32 s12, s11
	s_cbranch_execnz .LBB200_1255
	s_branch .LBB200_1256
.LBB200_1272:
	s_mov_b32 s10, -1
                                        ; implicit-def: $vgpr10
	s_branch .LBB200_1277
.LBB200_1273:
	s_mov_b32 s10, -1
                                        ; implicit-def: $vgpr10
.LBB200_1274:
	s_delay_alu instid0(SALU_CYCLE_1)
	s_and_b32 vcc_lo, exec_lo, s10
	s_cbranch_vccz .LBB200_1276
; %bb.1275:
	global_load_u8 v7, v[0:1], off
	s_waitcnt vmcnt(0)
	v_lshlrev_b32_e32 v7, 24, v7
	s_delay_alu instid0(VALU_DEP_1) | instskip(NEXT) | instid1(VALU_DEP_1)
	v_and_b32_e32 v8, 0x7f000000, v7
	v_clz_i32_u32_e32 v9, v8
	v_add_nc_u32_e32 v11, 0x1000000, v8
	v_cmp_ne_u32_e32 vcc_lo, 0, v8
	s_delay_alu instid0(VALU_DEP_3) | instskip(NEXT) | instid1(VALU_DEP_1)
	v_min_u32_e32 v9, 32, v9
	v_sub_nc_u32_e64 v9, v9, 4 clamp
	s_delay_alu instid0(VALU_DEP_1) | instskip(SKIP_1) | instid1(VALU_DEP_2)
	v_lshlrev_b32_e32 v10, v9, v8
	v_lshlrev_b32_e32 v9, 23, v9
	v_lshrrev_b32_e32 v10, 4, v10
	s_delay_alu instid0(VALU_DEP_1) | instskip(SKIP_1) | instid1(VALU_DEP_2)
	v_sub_nc_u32_e32 v9, v10, v9
	v_ashrrev_i32_e32 v10, 8, v11
	v_add_nc_u32_e32 v9, 0x3c000000, v9
	s_delay_alu instid0(VALU_DEP_1) | instskip(NEXT) | instid1(VALU_DEP_1)
	v_and_or_b32 v9, 0x7f800000, v10, v9
	v_cndmask_b32_e32 v8, 0, v9, vcc_lo
	s_delay_alu instid0(VALU_DEP_1)
	v_and_or_b32 v10, 0x80000000, v7, v8
.LBB200_1276:
	s_mov_b32 s10, 0
.LBB200_1277:
	s_delay_alu instid0(SALU_CYCLE_1)
	s_and_not1_b32 vcc_lo, exec_lo, s10
	s_cbranch_vccnz .LBB200_1279
; %bb.1278:
	global_load_u8 v7, v[0:1], off
	s_waitcnt vmcnt(0)
	v_lshlrev_b32_e32 v8, 25, v7
	v_lshlrev_b16 v7, 8, v7
	s_delay_alu instid0(VALU_DEP_2) | instskip(NEXT) | instid1(VALU_DEP_2)
	v_lshrrev_b32_e32 v9, 4, v8
	v_and_or_b32 v10, 0x7f00, v7, 0.5
	v_bfe_i32 v7, v7, 0, 16
	s_delay_alu instid0(VALU_DEP_3) | instskip(NEXT) | instid1(VALU_DEP_1)
	v_or_b32_e32 v9, 0x70000000, v9
	v_dual_add_f32 v10, -0.5, v10 :: v_dual_mul_f32 v9, 0x7800000, v9
	v_cmp_gt_u32_e32 vcc_lo, 0x8000000, v8
	s_delay_alu instid0(VALU_DEP_2) | instskip(NEXT) | instid1(VALU_DEP_1)
	v_cndmask_b32_e32 v8, v9, v10, vcc_lo
	v_and_or_b32 v10, 0x80000000, v7, v8
.LBB200_1279:
	s_mov_b32 s10, 0
	s_mov_b32 s11, -1
.LBB200_1280:
	s_and_not1_b32 vcc_lo, exec_lo, s10
	s_mov_b32 s10, 0
	s_cbranch_vccnz .LBB200_1291
; %bb.1281:
	v_cmp_lt_i16_e32 vcc_lo, 14, v6
	s_cbranch_vccz .LBB200_1284
; %bb.1282:
	v_cmp_eq_u16_e32 vcc_lo, 15, v6
	s_cbranch_vccz .LBB200_1287
; %bb.1283:
	global_load_u16 v7, v[0:1], off
	s_mov_b32 s0, 0
	s_mov_b32 s11, -1
	s_waitcnt vmcnt(0)
	v_lshlrev_b32_e32 v10, 16, v7
	s_branch .LBB200_1289
.LBB200_1284:
	s_mov_b32 s10, -1
	s_branch .LBB200_1288
.LBB200_1285:
	s_or_saveexec_b32 s12, s12
	v_mov_b32_e32 v10, s11
	s_xor_b32 exec_lo, exec_lo, s12
	s_cbranch_execz .LBB200_1266
.LBB200_1286:
	v_cmp_ne_u16_e32 vcc_lo, 0, v7
	v_mov_b32_e32 v10, 0
	s_and_not1_b32 s10, s10, exec_lo
	s_and_b32 s11, vcc_lo, exec_lo
	s_delay_alu instid0(SALU_CYCLE_1)
	s_or_b32 s10, s10, s11
	s_or_b32 exec_lo, exec_lo, s12
	s_and_saveexec_b32 s11, s10
	s_cbranch_execnz .LBB200_1267
	s_branch .LBB200_1268
.LBB200_1287:
	s_mov_b32 s0, -1
.LBB200_1288:
                                        ; implicit-def: $vgpr10
.LBB200_1289:
	s_and_b32 vcc_lo, exec_lo, s10
	s_mov_b32 s10, 0
	s_cbranch_vccz .LBB200_1291
; %bb.1290:
	v_cmp_ne_u16_e64 s0, 11, v6
	s_mov_b32 s10, -1
                                        ; implicit-def: $vgpr10
.LBB200_1291:
	s_delay_alu instid0(VALU_DEP_1)
	s_and_b32 vcc_lo, exec_lo, s0
	s_cbranch_vccnz .LBB200_1315
; %bb.1292:
	s_and_not1_b32 vcc_lo, exec_lo, s10
	s_cbranch_vccnz .LBB200_1294
.LBB200_1293:
	global_load_u8 v7, v[0:1], off
	s_mov_b32 s11, -1
	s_waitcnt vmcnt(0)
	v_cmp_ne_u16_e32 vcc_lo, 0, v7
	v_cndmask_b32_e64 v10, 0, 1.0, vcc_lo
.LBB200_1294:
.LBB200_1295:
	s_and_not1_b32 vcc_lo, exec_lo, s11
	s_cbranch_vccnz .LBB200_1996
.LBB200_1296:
	v_add_nc_u32_e32 v3, s3, v3
	v_cmp_gt_i16_e32 vcc_lo, 11, v6
	s_delay_alu instid0(VALU_DEP_2) | instskip(SKIP_1) | instid1(VALU_DEP_1)
	v_ashrrev_i32_e32 v1, 31, v3
	v_add_co_u32 v0, s0, s6, v3
	v_add_co_ci_u32_e64 v1, s0, s7, v1, s0
	s_cbranch_vccnz .LBB200_1303
; %bb.1297:
	v_cmp_lt_i16_e32 vcc_lo, 25, v6
	s_mov_b32 s10, 0
	s_cbranch_vccz .LBB200_1309
; %bb.1298:
	v_cmp_lt_i16_e32 vcc_lo, 28, v6
	s_cbranch_vccz .LBB200_1311
; %bb.1299:
	v_cmp_lt_i16_e32 vcc_lo, 43, v6
	;; [unrolled: 3-line block ×3, first 2 shown]
	s_cbranch_vccz .LBB200_1317
; %bb.1301:
	v_cmp_eq_u16_e32 vcc_lo, 46, v6
	s_mov_b32 s12, 0
	s_cbranch_vccz .LBB200_1360
; %bb.1302:
	global_load_b32 v7, v[0:1], off
	s_mov_b32 s0, 0
	s_mov_b32 s11, -1
	s_waitcnt vmcnt(0)
	v_lshlrev_b32_e32 v8, 16, v7
	s_branch .LBB200_1362
.LBB200_1303:
	s_mov_b32 s11, 0
                                        ; implicit-def: $vgpr8
	s_cbranch_execz .LBB200_1428
; %bb.1304:
	v_cmp_gt_i16_e32 vcc_lo, 5, v6
	s_cbranch_vccnz .LBB200_1310
; %bb.1305:
	v_cmp_gt_i16_e32 vcc_lo, 8, v6
	s_cbranch_vccnz .LBB200_1312
	;; [unrolled: 3-line block ×3, first 2 shown]
; %bb.1307:
	v_cmp_lt_i16_e32 vcc_lo, 9, v6
	s_cbranch_vccz .LBB200_1318
; %bb.1308:
	global_load_b64 v[7:8], v[0:1], off
	s_mov_b32 s0, 0
	s_waitcnt vmcnt(0)
	v_cvt_f32_f64_e32 v8, v[7:8]
	s_branch .LBB200_1319
.LBB200_1309:
	s_mov_b32 s12, -1
	s_mov_b32 s11, 0
	s_mov_b32 s0, 0
                                        ; implicit-def: $vgpr8
	s_branch .LBB200_1391
.LBB200_1310:
	s_mov_b32 s0, -1
                                        ; implicit-def: $vgpr8
	s_branch .LBB200_1337
.LBB200_1311:
	s_mov_b32 s12, -1
	s_mov_b32 s11, 0
	s_mov_b32 s0, 0
                                        ; implicit-def: $vgpr8
	s_branch .LBB200_1372
.LBB200_1312:
	s_mov_b32 s0, -1
                                        ; implicit-def: $vgpr8
	s_branch .LBB200_1325
.LBB200_1313:
	s_mov_b32 s12, -1
	s_mov_b32 s11, 0
	s_mov_b32 s0, 0
                                        ; implicit-def: $vgpr8
	s_branch .LBB200_1367
.LBB200_1314:
	s_mov_b32 s0, -1
                                        ; implicit-def: $vgpr8
	s_branch .LBB200_1322
.LBB200_1315:
	s_cbranch_execnz .LBB200_1358
; %bb.1316:
	s_or_b32 s1, s1, exec_lo
                                        ; implicit-def: $vgpr10
	s_cbranch_execz .LBB200_1293
	s_branch .LBB200_1294
.LBB200_1317:
	s_mov_b32 s12, -1
	s_mov_b32 s11, 0
	s_mov_b32 s0, 0
	s_branch .LBB200_1361
.LBB200_1318:
	s_mov_b32 s0, -1
                                        ; implicit-def: $vgpr8
.LBB200_1319:
	s_delay_alu instid0(SALU_CYCLE_1)
	s_and_not1_b32 vcc_lo, exec_lo, s0
	s_cbranch_vccnz .LBB200_1321
; %bb.1320:
	global_load_b32 v8, v[0:1], off
.LBB200_1321:
	s_mov_b32 s0, 0
.LBB200_1322:
	s_delay_alu instid0(SALU_CYCLE_1)
	s_and_not1_b32 vcc_lo, exec_lo, s0
	s_cbranch_vccnz .LBB200_1324
; %bb.1323:
	global_load_b32 v7, v[0:1], off
	s_waitcnt vmcnt(0)
	v_cvt_f32_f16_e32 v8, v7
.LBB200_1324:
	s_mov_b32 s0, 0
.LBB200_1325:
	s_delay_alu instid0(SALU_CYCLE_1)
	s_and_not1_b32 vcc_lo, exec_lo, s0
	s_cbranch_vccnz .LBB200_1336
; %bb.1326:
	v_cmp_gt_i16_e32 vcc_lo, 6, v6
	s_cbranch_vccnz .LBB200_1329
; %bb.1327:
	v_cmp_lt_i16_e32 vcc_lo, 6, v6
	s_cbranch_vccz .LBB200_1330
; %bb.1328:
	global_load_b64 v[7:8], v[0:1], off
	s_mov_b32 s0, 0
	s_waitcnt vmcnt(0)
	v_cvt_f32_f64_e32 v8, v[7:8]
	s_branch .LBB200_1331
.LBB200_1329:
	s_mov_b32 s0, -1
                                        ; implicit-def: $vgpr8
	s_branch .LBB200_1334
.LBB200_1330:
	s_mov_b32 s0, -1
                                        ; implicit-def: $vgpr8
.LBB200_1331:
	s_delay_alu instid0(SALU_CYCLE_1)
	s_and_not1_b32 vcc_lo, exec_lo, s0
	s_cbranch_vccnz .LBB200_1333
; %bb.1332:
	global_load_b32 v8, v[0:1], off
.LBB200_1333:
	s_mov_b32 s0, 0
.LBB200_1334:
	s_delay_alu instid0(SALU_CYCLE_1)
	s_and_not1_b32 vcc_lo, exec_lo, s0
	s_cbranch_vccnz .LBB200_1336
; %bb.1335:
	global_load_u16 v7, v[0:1], off
	s_waitcnt vmcnt(0)
	v_cvt_f32_f16_e32 v8, v7
.LBB200_1336:
	s_mov_b32 s0, 0
.LBB200_1337:
	s_delay_alu instid0(SALU_CYCLE_1)
	s_and_not1_b32 vcc_lo, exec_lo, s0
	s_cbranch_vccnz .LBB200_1357
; %bb.1338:
	v_cmp_gt_i16_e32 vcc_lo, 2, v6
	s_cbranch_vccnz .LBB200_1342
; %bb.1339:
	v_cmp_gt_i16_e32 vcc_lo, 3, v6
	s_cbranch_vccnz .LBB200_1343
; %bb.1340:
	v_cmp_lt_i16_e32 vcc_lo, 3, v6
	s_cbranch_vccz .LBB200_1344
; %bb.1341:
	global_load_b64 v[7:8], v[0:1], off
	s_mov_b32 s0, 0
	s_waitcnt vmcnt(0)
	v_xor_b32_e32 v9, v7, v8
	v_cls_i32_e32 v11, v8
	s_delay_alu instid0(VALU_DEP_2) | instskip(NEXT) | instid1(VALU_DEP_2)
	v_ashrrev_i32_e32 v9, 31, v9
	v_add_nc_u32_e32 v11, -1, v11
	s_delay_alu instid0(VALU_DEP_2) | instskip(NEXT) | instid1(VALU_DEP_1)
	v_add_nc_u32_e32 v9, 32, v9
	v_min_u32_e32 v9, v11, v9
	s_delay_alu instid0(VALU_DEP_1) | instskip(NEXT) | instid1(VALU_DEP_1)
	v_lshlrev_b64 v[7:8], v9, v[7:8]
	v_min_u32_e32 v7, 1, v7
	s_delay_alu instid0(VALU_DEP_1) | instskip(SKIP_1) | instid1(VALU_DEP_2)
	v_or_b32_e32 v7, v8, v7
	v_sub_nc_u32_e32 v8, 32, v9
	v_cvt_f32_i32_e32 v7, v7
	s_delay_alu instid0(VALU_DEP_1)
	v_ldexp_f32 v8, v7, v8
	s_branch .LBB200_1345
.LBB200_1342:
	s_mov_b32 s0, -1
                                        ; implicit-def: $vgpr8
	s_branch .LBB200_1351
.LBB200_1343:
	s_mov_b32 s0, -1
                                        ; implicit-def: $vgpr8
	s_branch .LBB200_1348
.LBB200_1344:
	s_mov_b32 s0, -1
                                        ; implicit-def: $vgpr8
.LBB200_1345:
	s_delay_alu instid0(SALU_CYCLE_1)
	s_and_not1_b32 vcc_lo, exec_lo, s0
	s_cbranch_vccnz .LBB200_1347
; %bb.1346:
	global_load_b32 v7, v[0:1], off
	s_waitcnt vmcnt(0)
	v_cvt_f32_i32_e32 v8, v7
.LBB200_1347:
	s_mov_b32 s0, 0
.LBB200_1348:
	s_delay_alu instid0(SALU_CYCLE_1)
	s_and_not1_b32 vcc_lo, exec_lo, s0
	s_cbranch_vccnz .LBB200_1350
; %bb.1349:
	global_load_i16 v7, v[0:1], off
	s_waitcnt vmcnt(0)
	v_cvt_f32_i32_e32 v8, v7
.LBB200_1350:
	s_mov_b32 s0, 0
.LBB200_1351:
	s_delay_alu instid0(SALU_CYCLE_1)
	s_and_not1_b32 vcc_lo, exec_lo, s0
	s_cbranch_vccnz .LBB200_1357
; %bb.1352:
	v_cmp_lt_i16_e32 vcc_lo, 0, v6
	s_mov_b32 s0, 0
	s_cbranch_vccz .LBB200_1354
; %bb.1353:
	global_load_i8 v7, v[0:1], off
	s_waitcnt vmcnt(0)
	v_cvt_f32_i32_e32 v8, v7
	s_branch .LBB200_1355
.LBB200_1354:
	s_mov_b32 s0, -1
                                        ; implicit-def: $vgpr8
.LBB200_1355:
	s_delay_alu instid0(SALU_CYCLE_1)
	s_and_not1_b32 vcc_lo, exec_lo, s0
	s_cbranch_vccnz .LBB200_1357
; %bb.1356:
	global_load_u8 v0, v[0:1], off
	s_waitcnt vmcnt(0)
	v_cvt_f32_ubyte0_e32 v8, v0
.LBB200_1357:
	s_branch .LBB200_1429
.LBB200_1358:
	s_trap 2
	s_sendmsg_rtn_b32 s0, sendmsg(MSG_RTN_GET_DOORBELL)
	s_mov_b32 ttmp2, m0
	s_waitcnt lgkmcnt(0)
	s_and_b32 s0, s0, 0x3ff
	s_delay_alu instid0(SALU_CYCLE_1) | instskip(NEXT) | instid1(SALU_CYCLE_1)
	s_bitset1_b32 s0, 10
	s_mov_b32 m0, s0
	s_sendmsg sendmsg(MSG_INTERRUPT)
	s_mov_b32 m0, ttmp2
.LBB200_1359:                           ; =>This Inner Loop Header: Depth=1
	s_sethalt 5
	s_branch .LBB200_1359
.LBB200_1360:
	s_mov_b32 s0, -1
	s_mov_b32 s11, 0
.LBB200_1361:
                                        ; implicit-def: $vgpr8
.LBB200_1362:
	s_and_b32 vcc_lo, exec_lo, s12
	s_cbranch_vccz .LBB200_1366
; %bb.1363:
	v_cmp_eq_u16_e32 vcc_lo, 44, v6
	s_cbranch_vccz .LBB200_1365
; %bb.1364:
	global_load_u8 v7, v[0:1], off
	s_mov_b32 s0, 0
	s_mov_b32 s11, -1
	s_waitcnt vmcnt(0)
	v_lshlrev_b32_e32 v8, 23, v7
	v_cmp_ne_u32_e32 vcc_lo, 0xff, v7
	s_delay_alu instid0(VALU_DEP_2) | instskip(SKIP_1) | instid1(VALU_DEP_2)
	v_cndmask_b32_e32 v8, 0x7f800001, v8, vcc_lo
	v_cmp_ne_u32_e32 vcc_lo, 0, v7
	v_cndmask_b32_e32 v8, 0x400000, v8, vcc_lo
	s_branch .LBB200_1366
.LBB200_1365:
	s_mov_b32 s0, -1
                                        ; implicit-def: $vgpr8
.LBB200_1366:
	s_mov_b32 s12, 0
.LBB200_1367:
	s_delay_alu instid0(SALU_CYCLE_1)
	s_and_b32 vcc_lo, exec_lo, s12
	s_cbranch_vccz .LBB200_1371
; %bb.1368:
	v_cmp_eq_u16_e32 vcc_lo, 29, v6
	s_cbranch_vccz .LBB200_1370
; %bb.1369:
	global_load_b64 v[7:8], v[0:1], off
	s_mov_b32 s0, 0
	s_mov_b32 s11, -1
	s_mov_b32 s12, 0
	s_waitcnt vmcnt(0)
	v_clz_i32_u32_e32 v9, v8
	s_delay_alu instid0(VALU_DEP_1) | instskip(NEXT) | instid1(VALU_DEP_1)
	v_min_u32_e32 v9, 32, v9
	v_lshlrev_b64 v[7:8], v9, v[7:8]
	s_delay_alu instid0(VALU_DEP_1) | instskip(NEXT) | instid1(VALU_DEP_1)
	v_min_u32_e32 v7, 1, v7
	v_or_b32_e32 v7, v8, v7
	v_sub_nc_u32_e32 v8, 32, v9
	s_delay_alu instid0(VALU_DEP_2) | instskip(NEXT) | instid1(VALU_DEP_1)
	v_cvt_f32_u32_e32 v7, v7
	v_ldexp_f32 v8, v7, v8
	s_branch .LBB200_1372
.LBB200_1370:
	s_mov_b32 s0, -1
                                        ; implicit-def: $vgpr8
.LBB200_1371:
	s_mov_b32 s12, 0
.LBB200_1372:
	s_delay_alu instid0(SALU_CYCLE_1)
	s_and_b32 vcc_lo, exec_lo, s12
	s_cbranch_vccz .LBB200_1390
; %bb.1373:
	v_cmp_gt_i16_e32 vcc_lo, 27, v6
	s_cbranch_vccnz .LBB200_1376
; %bb.1374:
	v_cmp_lt_i16_e32 vcc_lo, 27, v6
	s_cbranch_vccz .LBB200_1377
; %bb.1375:
	global_load_b32 v7, v[0:1], off
	s_mov_b32 s11, 0
	s_waitcnt vmcnt(0)
	v_cvt_f32_u32_e32 v8, v7
	s_branch .LBB200_1378
.LBB200_1376:
	s_mov_b32 s11, -1
                                        ; implicit-def: $vgpr8
	s_branch .LBB200_1381
.LBB200_1377:
	s_mov_b32 s11, -1
                                        ; implicit-def: $vgpr8
.LBB200_1378:
	s_delay_alu instid0(SALU_CYCLE_1)
	s_and_not1_b32 vcc_lo, exec_lo, s11
	s_cbranch_vccnz .LBB200_1380
; %bb.1379:
	global_load_u16 v7, v[0:1], off
	s_waitcnt vmcnt(0)
	v_cvt_f32_u32_e32 v8, v7
.LBB200_1380:
	s_mov_b32 s11, 0
.LBB200_1381:
	s_delay_alu instid0(SALU_CYCLE_1)
	s_and_not1_b32 vcc_lo, exec_lo, s11
	s_cbranch_vccnz .LBB200_1389
; %bb.1382:
	global_load_u8 v7, v[0:1], off
	s_mov_b32 s11, 0
	s_mov_b32 s13, exec_lo
                                        ; implicit-def: $sgpr12
	s_waitcnt vmcnt(0)
	v_cmpx_lt_i16_e32 0x7f, v7
	s_xor_b32 s13, exec_lo, s13
	s_cbranch_execz .LBB200_1403
; %bb.1383:
	s_mov_b32 s11, -1
	s_mov_b32 s14, exec_lo
                                        ; implicit-def: $sgpr12
	v_cmpx_eq_u16_e32 0x80, v7
; %bb.1384:
	s_mov_b32 s12, 0x7f800001
	s_xor_b32 s11, exec_lo, -1
; %bb.1385:
	s_or_b32 exec_lo, exec_lo, s14
	s_delay_alu instid0(SALU_CYCLE_1)
	s_and_b32 s11, s11, exec_lo
	s_or_saveexec_b32 s13, s13
	v_mov_b32_e32 v8, s12
	s_xor_b32 exec_lo, exec_lo, s13
	s_cbranch_execnz .LBB200_1404
.LBB200_1386:
	s_or_b32 exec_lo, exec_lo, s13
	s_and_saveexec_b32 s12, s11
	s_cbranch_execz .LBB200_1388
.LBB200_1387:
	v_and_b32_e32 v8, 0xffff, v7
	v_lshlrev_b32_e32 v7, 24, v7
	s_delay_alu instid0(VALU_DEP_2) | instskip(NEXT) | instid1(VALU_DEP_2)
	v_and_b32_e32 v9, 7, v8
	v_and_b32_e32 v7, 0x80000000, v7
	s_delay_alu instid0(VALU_DEP_2) | instskip(NEXT) | instid1(VALU_DEP_1)
	v_clz_i32_u32_e32 v11, v9
	v_min_u32_e32 v11, 32, v11
	s_delay_alu instid0(VALU_DEP_1) | instskip(SKIP_1) | instid1(VALU_DEP_2)
	v_subrev_nc_u32_e32 v12, 28, v11
	v_sub_nc_u32_e32 v11, 29, v11
	v_lshlrev_b32_e32 v12, v12, v8
	v_bfe_u32 v8, v8, 3, 4
	s_delay_alu instid0(VALU_DEP_2) | instskip(NEXT) | instid1(VALU_DEP_2)
	v_and_b32_e32 v12, 7, v12
	v_cmp_eq_u32_e32 vcc_lo, 0, v8
	s_delay_alu instid0(VALU_DEP_2) | instskip(NEXT) | instid1(VALU_DEP_1)
	v_dual_cndmask_b32 v8, v8, v11 :: v_dual_cndmask_b32 v9, v9, v12
	v_lshl_add_u32 v8, v8, 23, 0x3b800000
	s_delay_alu instid0(VALU_DEP_2) | instskip(NEXT) | instid1(VALU_DEP_1)
	v_lshlrev_b32_e32 v9, 20, v9
	v_or3_b32 v8, v7, v8, v9
.LBB200_1388:
	s_or_b32 exec_lo, exec_lo, s12
.LBB200_1389:
	s_mov_b32 s11, -1
.LBB200_1390:
	s_mov_b32 s12, 0
.LBB200_1391:
	s_delay_alu instid0(SALU_CYCLE_1)
	s_and_b32 vcc_lo, exec_lo, s12
	s_cbranch_vccz .LBB200_1424
; %bb.1392:
	v_cmp_lt_i16_e32 vcc_lo, 22, v6
	s_cbranch_vccz .LBB200_1402
; %bb.1393:
	v_cmp_gt_i16_e32 vcc_lo, 24, v6
	s_cbranch_vccnz .LBB200_1405
; %bb.1394:
	v_cmp_lt_i16_e32 vcc_lo, 24, v6
	s_cbranch_vccz .LBB200_1406
; %bb.1395:
	global_load_u8 v7, v[0:1], off
	s_mov_b32 s12, exec_lo
                                        ; implicit-def: $sgpr11
	s_waitcnt vmcnt(0)
	v_cmpx_lt_i16_e32 0x7f, v7
	s_xor_b32 s12, exec_lo, s12
	s_cbranch_execz .LBB200_1418
; %bb.1396:
	s_mov_b32 s10, -1
	s_mov_b32 s13, exec_lo
                                        ; implicit-def: $sgpr11
	v_cmpx_eq_u16_e32 0x80, v7
; %bb.1397:
	s_mov_b32 s11, 0x7f800001
	s_xor_b32 s10, exec_lo, -1
; %bb.1398:
	s_or_b32 exec_lo, exec_lo, s13
	s_delay_alu instid0(SALU_CYCLE_1)
	s_and_b32 s10, s10, exec_lo
	s_or_saveexec_b32 s12, s12
	v_mov_b32_e32 v8, s11
	s_xor_b32 exec_lo, exec_lo, s12
	s_cbranch_execnz .LBB200_1419
.LBB200_1399:
	s_or_b32 exec_lo, exec_lo, s12
	s_and_saveexec_b32 s11, s10
	s_cbranch_execz .LBB200_1401
.LBB200_1400:
	v_and_b32_e32 v8, 0xffff, v7
	v_lshlrev_b32_e32 v7, 24, v7
	s_delay_alu instid0(VALU_DEP_2) | instskip(NEXT) | instid1(VALU_DEP_2)
	v_and_b32_e32 v9, 3, v8
	v_and_b32_e32 v7, 0x80000000, v7
	s_delay_alu instid0(VALU_DEP_2) | instskip(NEXT) | instid1(VALU_DEP_1)
	v_clz_i32_u32_e32 v11, v9
	v_min_u32_e32 v11, 32, v11
	s_delay_alu instid0(VALU_DEP_1) | instskip(SKIP_1) | instid1(VALU_DEP_2)
	v_subrev_nc_u32_e32 v12, 29, v11
	v_sub_nc_u32_e32 v11, 30, v11
	v_lshlrev_b32_e32 v12, v12, v8
	v_bfe_u32 v8, v8, 2, 5
	s_delay_alu instid0(VALU_DEP_2) | instskip(NEXT) | instid1(VALU_DEP_2)
	v_and_b32_e32 v12, 3, v12
	v_cmp_eq_u32_e32 vcc_lo, 0, v8
	s_delay_alu instid0(VALU_DEP_2) | instskip(NEXT) | instid1(VALU_DEP_1)
	v_dual_cndmask_b32 v8, v8, v11 :: v_dual_cndmask_b32 v9, v9, v12
	v_lshl_add_u32 v8, v8, 23, 0x37800000
	s_delay_alu instid0(VALU_DEP_2) | instskip(NEXT) | instid1(VALU_DEP_1)
	v_lshlrev_b32_e32 v9, 21, v9
	v_or3_b32 v8, v7, v8, v9
.LBB200_1401:
	s_or_b32 exec_lo, exec_lo, s11
	s_mov_b32 s10, 0
	s_branch .LBB200_1407
.LBB200_1402:
	s_mov_b32 s10, -1
                                        ; implicit-def: $vgpr8
	s_branch .LBB200_1413
.LBB200_1403:
	s_or_saveexec_b32 s13, s13
	v_mov_b32_e32 v8, s12
	s_xor_b32 exec_lo, exec_lo, s13
	s_cbranch_execz .LBB200_1386
.LBB200_1404:
	v_cmp_ne_u16_e32 vcc_lo, 0, v7
	v_mov_b32_e32 v8, 0
	s_and_not1_b32 s11, s11, exec_lo
	s_and_b32 s12, vcc_lo, exec_lo
	s_delay_alu instid0(SALU_CYCLE_1)
	s_or_b32 s11, s11, s12
	s_or_b32 exec_lo, exec_lo, s13
	s_and_saveexec_b32 s12, s11
	s_cbranch_execnz .LBB200_1387
	s_branch .LBB200_1388
.LBB200_1405:
	s_mov_b32 s10, -1
                                        ; implicit-def: $vgpr8
	s_branch .LBB200_1410
.LBB200_1406:
	s_mov_b32 s10, -1
                                        ; implicit-def: $vgpr8
.LBB200_1407:
	s_delay_alu instid0(SALU_CYCLE_1)
	s_and_b32 vcc_lo, exec_lo, s10
	s_cbranch_vccz .LBB200_1409
; %bb.1408:
	global_load_u8 v7, v[0:1], off
	s_waitcnt vmcnt(0)
	v_lshlrev_b32_e32 v7, 24, v7
	s_delay_alu instid0(VALU_DEP_1) | instskip(NEXT) | instid1(VALU_DEP_1)
	v_and_b32_e32 v8, 0x7f000000, v7
	v_clz_i32_u32_e32 v9, v8
	v_add_nc_u32_e32 v12, 0x1000000, v8
	v_cmp_ne_u32_e32 vcc_lo, 0, v8
	s_delay_alu instid0(VALU_DEP_3) | instskip(NEXT) | instid1(VALU_DEP_1)
	v_min_u32_e32 v9, 32, v9
	v_sub_nc_u32_e64 v9, v9, 4 clamp
	s_delay_alu instid0(VALU_DEP_1) | instskip(SKIP_1) | instid1(VALU_DEP_2)
	v_lshlrev_b32_e32 v11, v9, v8
	v_lshlrev_b32_e32 v9, 23, v9
	v_lshrrev_b32_e32 v11, 4, v11
	s_delay_alu instid0(VALU_DEP_1) | instskip(SKIP_1) | instid1(VALU_DEP_2)
	v_sub_nc_u32_e32 v9, v11, v9
	v_ashrrev_i32_e32 v11, 8, v12
	v_add_nc_u32_e32 v9, 0x3c000000, v9
	s_delay_alu instid0(VALU_DEP_1) | instskip(NEXT) | instid1(VALU_DEP_1)
	v_and_or_b32 v9, 0x7f800000, v11, v9
	v_cndmask_b32_e32 v8, 0, v9, vcc_lo
	s_delay_alu instid0(VALU_DEP_1)
	v_and_or_b32 v8, 0x80000000, v7, v8
.LBB200_1409:
	s_mov_b32 s10, 0
.LBB200_1410:
	s_delay_alu instid0(SALU_CYCLE_1)
	s_and_not1_b32 vcc_lo, exec_lo, s10
	s_cbranch_vccnz .LBB200_1412
; %bb.1411:
	global_load_u8 v7, v[0:1], off
	s_waitcnt vmcnt(0)
	v_lshlrev_b32_e32 v8, 25, v7
	v_lshlrev_b16 v7, 8, v7
	s_delay_alu instid0(VALU_DEP_2) | instskip(NEXT) | instid1(VALU_DEP_2)
	v_lshrrev_b32_e32 v9, 4, v8
	v_and_or_b32 v11, 0x7f00, v7, 0.5
	v_bfe_i32 v7, v7, 0, 16
	s_delay_alu instid0(VALU_DEP_3) | instskip(NEXT) | instid1(VALU_DEP_3)
	v_or_b32_e32 v9, 0x70000000, v9
	v_add_f32_e32 v11, -0.5, v11
	s_delay_alu instid0(VALU_DEP_2) | instskip(SKIP_1) | instid1(VALU_DEP_2)
	v_mul_f32_e32 v9, 0x7800000, v9
	v_cmp_gt_u32_e32 vcc_lo, 0x8000000, v8
	v_cndmask_b32_e32 v8, v9, v11, vcc_lo
	s_delay_alu instid0(VALU_DEP_1)
	v_and_or_b32 v8, 0x80000000, v7, v8
.LBB200_1412:
	s_mov_b32 s10, 0
	s_mov_b32 s11, -1
.LBB200_1413:
	s_and_not1_b32 vcc_lo, exec_lo, s10
	s_mov_b32 s10, 0
	s_cbranch_vccnz .LBB200_1424
; %bb.1414:
	v_cmp_lt_i16_e32 vcc_lo, 14, v6
	s_cbranch_vccz .LBB200_1417
; %bb.1415:
	v_cmp_eq_u16_e32 vcc_lo, 15, v6
	s_cbranch_vccz .LBB200_1420
; %bb.1416:
	global_load_u16 v7, v[0:1], off
	s_mov_b32 s0, 0
	s_mov_b32 s11, -1
	s_waitcnt vmcnt(0)
	v_lshlrev_b32_e32 v8, 16, v7
	s_branch .LBB200_1422
.LBB200_1417:
	s_mov_b32 s10, -1
	s_branch .LBB200_1421
.LBB200_1418:
	s_or_saveexec_b32 s12, s12
	v_mov_b32_e32 v8, s11
	s_xor_b32 exec_lo, exec_lo, s12
	s_cbranch_execz .LBB200_1399
.LBB200_1419:
	v_cmp_ne_u16_e32 vcc_lo, 0, v7
	v_mov_b32_e32 v8, 0
	s_and_not1_b32 s10, s10, exec_lo
	s_and_b32 s11, vcc_lo, exec_lo
	s_delay_alu instid0(SALU_CYCLE_1)
	s_or_b32 s10, s10, s11
	s_or_b32 exec_lo, exec_lo, s12
	s_and_saveexec_b32 s11, s10
	s_cbranch_execnz .LBB200_1400
	s_branch .LBB200_1401
.LBB200_1420:
	s_mov_b32 s0, -1
.LBB200_1421:
                                        ; implicit-def: $vgpr8
.LBB200_1422:
	s_and_b32 vcc_lo, exec_lo, s10
	s_mov_b32 s10, 0
	s_cbranch_vccz .LBB200_1424
; %bb.1423:
	v_cmp_ne_u16_e64 s0, 11, v6
	s_mov_b32 s10, -1
                                        ; implicit-def: $vgpr8
.LBB200_1424:
	s_delay_alu instid0(VALU_DEP_1)
	s_and_b32 vcc_lo, exec_lo, s0
	s_cbranch_vccnz .LBB200_1440
; %bb.1425:
	s_and_not1_b32 vcc_lo, exec_lo, s10
	s_cbranch_vccnz .LBB200_1427
.LBB200_1426:
	global_load_u8 v7, v[0:1], off
	s_mov_b32 s11, -1
	s_waitcnt vmcnt(0)
	v_cmp_ne_u16_e32 vcc_lo, 0, v7
	v_cndmask_b32_e64 v8, 0, 1.0, vcc_lo
.LBB200_1427:
.LBB200_1428:
	s_and_not1_b32 vcc_lo, exec_lo, s11
	s_cbranch_vccnz .LBB200_1996
.LBB200_1429:
	v_add_nc_u32_e32 v0, s3, v3
	v_cmp_gt_i16_e32 vcc_lo, 11, v6
	s_delay_alu instid0(VALU_DEP_2) | instskip(SKIP_1) | instid1(VALU_DEP_1)
	v_ashrrev_i32_e32 v1, 31, v0
	v_add_co_u32 v0, s0, s6, v0
	v_add_co_ci_u32_e64 v1, s0, s7, v1, s0
	s_cbranch_vccnz .LBB200_1436
; %bb.1430:
	v_cmp_lt_i16_e32 vcc_lo, 25, v6
	s_mov_b32 s3, 0
	s_cbranch_vccz .LBB200_1437
; %bb.1431:
	v_cmp_lt_i16_e32 vcc_lo, 28, v6
	s_cbranch_vccz .LBB200_1438
; %bb.1432:
	v_cmp_lt_i16_e32 vcc_lo, 43, v6
	s_cbranch_vccz .LBB200_1439
; %bb.1433:
	v_cmp_lt_i16_e32 vcc_lo, 45, v6
	s_cbranch_vccz .LBB200_1442
; %bb.1434:
	v_cmp_eq_u16_e32 vcc_lo, 46, v6
	s_mov_b32 s7, 0
	s_cbranch_vccz .LBB200_1445
; %bb.1435:
	global_load_b32 v3, v[0:1], off
	s_mov_b32 s0, 0
	s_mov_b32 s6, -1
	s_waitcnt vmcnt(0)
	v_lshlrev_b32_e32 v9, 16, v3
	s_branch .LBB200_1447
.LBB200_1436:
	s_mov_b32 s0, -1
	s_mov_b32 s6, 0
                                        ; implicit-def: $vgpr9
	s_branch .LBB200_1513
.LBB200_1437:
	s_mov_b32 s7, -1
	s_mov_b32 s6, 0
	s_mov_b32 s0, 0
                                        ; implicit-def: $vgpr9
	s_branch .LBB200_1476
.LBB200_1438:
	s_mov_b32 s7, -1
	s_mov_b32 s6, 0
	s_mov_b32 s0, 0
                                        ; implicit-def: $vgpr9
	s_branch .LBB200_1457
.LBB200_1439:
	s_mov_b32 s7, -1
	s_mov_b32 s6, 0
	s_mov_b32 s0, 0
                                        ; implicit-def: $vgpr9
	s_branch .LBB200_1452
.LBB200_1440:
	s_cbranch_execnz .LBB200_1443
; %bb.1441:
	s_or_b32 s1, s1, exec_lo
                                        ; implicit-def: $vgpr8
	s_cbranch_execz .LBB200_1426
	s_branch .LBB200_1427
.LBB200_1442:
	s_mov_b32 s7, -1
	s_mov_b32 s6, 0
	s_mov_b32 s0, 0
	s_branch .LBB200_1446
.LBB200_1443:
	s_trap 2
	s_sendmsg_rtn_b32 s0, sendmsg(MSG_RTN_GET_DOORBELL)
	s_mov_b32 ttmp2, m0
	s_waitcnt lgkmcnt(0)
	s_and_b32 s0, s0, 0x3ff
	s_delay_alu instid0(SALU_CYCLE_1) | instskip(NEXT) | instid1(SALU_CYCLE_1)
	s_bitset1_b32 s0, 10
	s_mov_b32 m0, s0
	s_sendmsg sendmsg(MSG_INTERRUPT)
	s_mov_b32 m0, ttmp2
.LBB200_1444:                           ; =>This Inner Loop Header: Depth=1
	s_sethalt 5
	s_branch .LBB200_1444
.LBB200_1445:
	s_mov_b32 s0, -1
	s_mov_b32 s6, 0
.LBB200_1446:
                                        ; implicit-def: $vgpr9
.LBB200_1447:
	s_and_b32 vcc_lo, exec_lo, s7
	s_cbranch_vccz .LBB200_1451
; %bb.1448:
	v_cmp_eq_u16_e32 vcc_lo, 44, v6
	s_cbranch_vccz .LBB200_1450
; %bb.1449:
	global_load_u8 v3, v[0:1], off
	s_mov_b32 s0, 0
	s_mov_b32 s6, -1
	s_waitcnt vmcnt(0)
	v_lshlrev_b32_e32 v7, 23, v3
	v_cmp_ne_u32_e32 vcc_lo, 0xff, v3
	s_delay_alu instid0(VALU_DEP_2) | instskip(SKIP_1) | instid1(VALU_DEP_2)
	v_cndmask_b32_e32 v7, 0x7f800001, v7, vcc_lo
	v_cmp_ne_u32_e32 vcc_lo, 0, v3
	v_cndmask_b32_e32 v9, 0x400000, v7, vcc_lo
	s_branch .LBB200_1451
.LBB200_1450:
	s_mov_b32 s0, -1
                                        ; implicit-def: $vgpr9
.LBB200_1451:
	s_mov_b32 s7, 0
.LBB200_1452:
	s_delay_alu instid0(SALU_CYCLE_1)
	s_and_b32 vcc_lo, exec_lo, s7
	s_cbranch_vccz .LBB200_1456
; %bb.1453:
	v_cmp_eq_u16_e32 vcc_lo, 29, v6
	s_cbranch_vccz .LBB200_1455
; %bb.1454:
	global_load_b64 v[11:12], v[0:1], off
	s_mov_b32 s0, 0
	s_mov_b32 s6, -1
	s_mov_b32 s7, 0
	s_waitcnt vmcnt(0)
	v_clz_i32_u32_e32 v3, v12
	s_delay_alu instid0(VALU_DEP_1) | instskip(NEXT) | instid1(VALU_DEP_1)
	v_min_u32_e32 v3, 32, v3
	v_lshlrev_b64 v[11:12], v3, v[11:12]
	v_sub_nc_u32_e32 v3, 32, v3
	s_delay_alu instid0(VALU_DEP_2) | instskip(NEXT) | instid1(VALU_DEP_1)
	v_min_u32_e32 v7, 1, v11
	v_or_b32_e32 v7, v12, v7
	s_delay_alu instid0(VALU_DEP_1) | instskip(NEXT) | instid1(VALU_DEP_1)
	v_cvt_f32_u32_e32 v7, v7
	v_ldexp_f32 v9, v7, v3
	s_branch .LBB200_1457
.LBB200_1455:
	s_mov_b32 s0, -1
                                        ; implicit-def: $vgpr9
.LBB200_1456:
	s_mov_b32 s7, 0
.LBB200_1457:
	s_delay_alu instid0(SALU_CYCLE_1)
	s_and_b32 vcc_lo, exec_lo, s7
	s_cbranch_vccz .LBB200_1475
; %bb.1458:
	v_cmp_gt_i16_e32 vcc_lo, 27, v6
	s_cbranch_vccnz .LBB200_1461
; %bb.1459:
	v_cmp_lt_i16_e32 vcc_lo, 27, v6
	s_cbranch_vccz .LBB200_1462
; %bb.1460:
	global_load_b32 v3, v[0:1], off
	s_mov_b32 s6, 0
	s_waitcnt vmcnt(0)
	v_cvt_f32_u32_e32 v9, v3
	s_branch .LBB200_1463
.LBB200_1461:
	s_mov_b32 s6, -1
                                        ; implicit-def: $vgpr9
	s_branch .LBB200_1466
.LBB200_1462:
	s_mov_b32 s6, -1
                                        ; implicit-def: $vgpr9
.LBB200_1463:
	s_delay_alu instid0(SALU_CYCLE_1)
	s_and_not1_b32 vcc_lo, exec_lo, s6
	s_cbranch_vccnz .LBB200_1465
; %bb.1464:
	global_load_u16 v3, v[0:1], off
	s_waitcnt vmcnt(0)
	v_cvt_f32_u32_e32 v9, v3
.LBB200_1465:
	s_mov_b32 s6, 0
.LBB200_1466:
	s_delay_alu instid0(SALU_CYCLE_1)
	s_and_not1_b32 vcc_lo, exec_lo, s6
	s_cbranch_vccnz .LBB200_1474
; %bb.1467:
	global_load_u8 v3, v[0:1], off
	s_mov_b32 s6, 0
	s_mov_b32 s10, exec_lo
                                        ; implicit-def: $sgpr7
	s_waitcnt vmcnt(0)
	v_cmpx_lt_i16_e32 0x7f, v3
	s_xor_b32 s10, exec_lo, s10
	s_cbranch_execz .LBB200_1488
; %bb.1468:
	s_mov_b32 s6, -1
	s_mov_b32 s11, exec_lo
                                        ; implicit-def: $sgpr7
	v_cmpx_eq_u16_e32 0x80, v3
; %bb.1469:
	s_mov_b32 s7, 0x7f800001
	s_xor_b32 s6, exec_lo, -1
; %bb.1470:
	s_or_b32 exec_lo, exec_lo, s11
	s_delay_alu instid0(SALU_CYCLE_1)
	s_and_b32 s6, s6, exec_lo
	s_or_saveexec_b32 s10, s10
	v_mov_b32_e32 v9, s7
	s_xor_b32 exec_lo, exec_lo, s10
	s_cbranch_execnz .LBB200_1489
.LBB200_1471:
	s_or_b32 exec_lo, exec_lo, s10
	s_and_saveexec_b32 s7, s6
	s_cbranch_execz .LBB200_1473
.LBB200_1472:
	v_and_b32_e32 v7, 0xffff, v3
	v_lshlrev_b32_e32 v3, 24, v3
	s_delay_alu instid0(VALU_DEP_2) | instskip(NEXT) | instid1(VALU_DEP_2)
	v_and_b32_e32 v9, 7, v7
	v_and_b32_e32 v3, 0x80000000, v3
	s_delay_alu instid0(VALU_DEP_2) | instskip(NEXT) | instid1(VALU_DEP_1)
	v_clz_i32_u32_e32 v11, v9
	v_min_u32_e32 v11, 32, v11
	s_delay_alu instid0(VALU_DEP_1) | instskip(SKIP_1) | instid1(VALU_DEP_2)
	v_subrev_nc_u32_e32 v12, 28, v11
	v_sub_nc_u32_e32 v11, 29, v11
	v_lshlrev_b32_e32 v12, v12, v7
	v_bfe_u32 v7, v7, 3, 4
	s_delay_alu instid0(VALU_DEP_1) | instskip(NEXT) | instid1(VALU_DEP_3)
	v_cmp_eq_u32_e32 vcc_lo, 0, v7
	v_dual_cndmask_b32 v7, v7, v11 :: v_dual_and_b32 v12, 7, v12
	s_delay_alu instid0(VALU_DEP_1) | instskip(NEXT) | instid1(VALU_DEP_2)
	v_cndmask_b32_e32 v9, v9, v12, vcc_lo
	v_lshl_add_u32 v7, v7, 23, 0x3b800000
	s_delay_alu instid0(VALU_DEP_2) | instskip(NEXT) | instid1(VALU_DEP_1)
	v_lshlrev_b32_e32 v9, 20, v9
	v_or3_b32 v9, v3, v7, v9
.LBB200_1473:
	s_or_b32 exec_lo, exec_lo, s7
.LBB200_1474:
	s_mov_b32 s6, -1
.LBB200_1475:
	s_mov_b32 s7, 0
.LBB200_1476:
	s_delay_alu instid0(SALU_CYCLE_1)
	s_and_b32 vcc_lo, exec_lo, s7
	s_cbranch_vccz .LBB200_1509
; %bb.1477:
	v_cmp_lt_i16_e32 vcc_lo, 22, v6
	s_cbranch_vccz .LBB200_1487
; %bb.1478:
	v_cmp_gt_i16_e32 vcc_lo, 24, v6
	s_cbranch_vccnz .LBB200_1490
; %bb.1479:
	v_cmp_lt_i16_e32 vcc_lo, 24, v6
	s_cbranch_vccz .LBB200_1491
; %bb.1480:
	global_load_u8 v3, v[0:1], off
	s_mov_b32 s7, exec_lo
                                        ; implicit-def: $sgpr6
	s_waitcnt vmcnt(0)
	v_cmpx_lt_i16_e32 0x7f, v3
	s_xor_b32 s7, exec_lo, s7
	s_cbranch_execz .LBB200_1503
; %bb.1481:
	s_mov_b32 s3, -1
	s_mov_b32 s10, exec_lo
                                        ; implicit-def: $sgpr6
	v_cmpx_eq_u16_e32 0x80, v3
; %bb.1482:
	s_mov_b32 s6, 0x7f800001
	s_xor_b32 s3, exec_lo, -1
; %bb.1483:
	s_or_b32 exec_lo, exec_lo, s10
	s_delay_alu instid0(SALU_CYCLE_1)
	s_and_b32 s3, s3, exec_lo
	s_or_saveexec_b32 s7, s7
	v_mov_b32_e32 v9, s6
	s_xor_b32 exec_lo, exec_lo, s7
	s_cbranch_execnz .LBB200_1504
.LBB200_1484:
	s_or_b32 exec_lo, exec_lo, s7
	s_and_saveexec_b32 s6, s3
	s_cbranch_execz .LBB200_1486
.LBB200_1485:
	v_and_b32_e32 v7, 0xffff, v3
	v_lshlrev_b32_e32 v3, 24, v3
	s_delay_alu instid0(VALU_DEP_2) | instskip(NEXT) | instid1(VALU_DEP_2)
	v_and_b32_e32 v9, 3, v7
	v_and_b32_e32 v3, 0x80000000, v3
	s_delay_alu instid0(VALU_DEP_2) | instskip(NEXT) | instid1(VALU_DEP_1)
	v_clz_i32_u32_e32 v11, v9
	v_min_u32_e32 v11, 32, v11
	s_delay_alu instid0(VALU_DEP_1) | instskip(SKIP_1) | instid1(VALU_DEP_2)
	v_subrev_nc_u32_e32 v12, 29, v11
	v_sub_nc_u32_e32 v11, 30, v11
	v_lshlrev_b32_e32 v12, v12, v7
	v_bfe_u32 v7, v7, 2, 5
	s_delay_alu instid0(VALU_DEP_1) | instskip(NEXT) | instid1(VALU_DEP_3)
	v_cmp_eq_u32_e32 vcc_lo, 0, v7
	v_dual_cndmask_b32 v7, v7, v11 :: v_dual_and_b32 v12, 3, v12
	s_delay_alu instid0(VALU_DEP_1) | instskip(NEXT) | instid1(VALU_DEP_2)
	v_cndmask_b32_e32 v9, v9, v12, vcc_lo
	v_lshl_add_u32 v7, v7, 23, 0x37800000
	s_delay_alu instid0(VALU_DEP_2) | instskip(NEXT) | instid1(VALU_DEP_1)
	v_lshlrev_b32_e32 v9, 21, v9
	v_or3_b32 v9, v3, v7, v9
.LBB200_1486:
	s_or_b32 exec_lo, exec_lo, s6
	s_mov_b32 s3, 0
	s_branch .LBB200_1492
.LBB200_1487:
	s_mov_b32 s3, -1
                                        ; implicit-def: $vgpr9
	s_branch .LBB200_1498
.LBB200_1488:
	s_or_saveexec_b32 s10, s10
	v_mov_b32_e32 v9, s7
	s_xor_b32 exec_lo, exec_lo, s10
	s_cbranch_execz .LBB200_1471
.LBB200_1489:
	v_cmp_ne_u16_e32 vcc_lo, 0, v3
	v_mov_b32_e32 v9, 0
	s_and_not1_b32 s6, s6, exec_lo
	s_and_b32 s7, vcc_lo, exec_lo
	s_delay_alu instid0(SALU_CYCLE_1)
	s_or_b32 s6, s6, s7
	s_or_b32 exec_lo, exec_lo, s10
	s_and_saveexec_b32 s7, s6
	s_cbranch_execnz .LBB200_1472
	s_branch .LBB200_1473
.LBB200_1490:
	s_mov_b32 s3, -1
                                        ; implicit-def: $vgpr9
	s_branch .LBB200_1495
.LBB200_1491:
	s_mov_b32 s3, -1
                                        ; implicit-def: $vgpr9
.LBB200_1492:
	s_delay_alu instid0(SALU_CYCLE_1)
	s_and_b32 vcc_lo, exec_lo, s3
	s_cbranch_vccz .LBB200_1494
; %bb.1493:
	global_load_u8 v3, v[0:1], off
	s_waitcnt vmcnt(0)
	v_lshlrev_b32_e32 v3, 24, v3
	s_delay_alu instid0(VALU_DEP_1) | instskip(NEXT) | instid1(VALU_DEP_1)
	v_and_b32_e32 v7, 0x7f000000, v3
	v_clz_i32_u32_e32 v9, v7
	v_cmp_ne_u32_e32 vcc_lo, 0, v7
	v_add_nc_u32_e32 v12, 0x1000000, v7
	s_delay_alu instid0(VALU_DEP_3) | instskip(NEXT) | instid1(VALU_DEP_1)
	v_min_u32_e32 v9, 32, v9
	v_sub_nc_u32_e64 v9, v9, 4 clamp
	s_delay_alu instid0(VALU_DEP_1) | instskip(SKIP_1) | instid1(VALU_DEP_2)
	v_lshlrev_b32_e32 v11, v9, v7
	v_lshlrev_b32_e32 v9, 23, v9
	v_lshrrev_b32_e32 v11, 4, v11
	s_delay_alu instid0(VALU_DEP_1) | instskip(SKIP_1) | instid1(VALU_DEP_2)
	v_sub_nc_u32_e32 v9, v11, v9
	v_ashrrev_i32_e32 v11, 8, v12
	v_add_nc_u32_e32 v9, 0x3c000000, v9
	s_delay_alu instid0(VALU_DEP_1) | instskip(NEXT) | instid1(VALU_DEP_1)
	v_and_or_b32 v9, 0x7f800000, v11, v9
	v_cndmask_b32_e32 v7, 0, v9, vcc_lo
	s_delay_alu instid0(VALU_DEP_1)
	v_and_or_b32 v9, 0x80000000, v3, v7
.LBB200_1494:
	s_mov_b32 s3, 0
.LBB200_1495:
	s_delay_alu instid0(SALU_CYCLE_1)
	s_and_not1_b32 vcc_lo, exec_lo, s3
	s_cbranch_vccnz .LBB200_1497
; %bb.1496:
	global_load_u8 v3, v[0:1], off
	s_waitcnt vmcnt(0)
	v_lshlrev_b32_e32 v7, 25, v3
	v_lshlrev_b16 v3, 8, v3
	s_delay_alu instid0(VALU_DEP_2) | instskip(NEXT) | instid1(VALU_DEP_2)
	v_lshrrev_b32_e32 v9, 4, v7
	v_and_or_b32 v11, 0x7f00, v3, 0.5
	v_cmp_gt_u32_e32 vcc_lo, 0x8000000, v7
	v_bfe_i32 v3, v3, 0, 16
	s_delay_alu instid0(VALU_DEP_4) | instskip(NEXT) | instid1(VALU_DEP_4)
	v_or_b32_e32 v9, 0x70000000, v9
	v_add_f32_e32 v11, -0.5, v11
	s_delay_alu instid0(VALU_DEP_2) | instskip(NEXT) | instid1(VALU_DEP_1)
	v_mul_f32_e32 v9, 0x7800000, v9
	v_cndmask_b32_e32 v7, v9, v11, vcc_lo
	s_delay_alu instid0(VALU_DEP_1)
	v_and_or_b32 v9, 0x80000000, v3, v7
.LBB200_1497:
	s_mov_b32 s3, 0
	s_mov_b32 s6, -1
.LBB200_1498:
	s_and_not1_b32 vcc_lo, exec_lo, s3
	s_mov_b32 s3, 0
	s_cbranch_vccnz .LBB200_1509
; %bb.1499:
	v_cmp_lt_i16_e32 vcc_lo, 14, v6
	s_cbranch_vccz .LBB200_1502
; %bb.1500:
	v_cmp_eq_u16_e32 vcc_lo, 15, v6
	s_cbranch_vccz .LBB200_1505
; %bb.1501:
	global_load_u16 v3, v[0:1], off
	s_mov_b32 s0, 0
	s_mov_b32 s6, -1
	s_waitcnt vmcnt(0)
	v_lshlrev_b32_e32 v9, 16, v3
	s_branch .LBB200_1507
.LBB200_1502:
	s_mov_b32 s3, -1
	s_branch .LBB200_1506
.LBB200_1503:
	s_or_saveexec_b32 s7, s7
	v_mov_b32_e32 v9, s6
	s_xor_b32 exec_lo, exec_lo, s7
	s_cbranch_execz .LBB200_1484
.LBB200_1504:
	v_cmp_ne_u16_e32 vcc_lo, 0, v3
	v_mov_b32_e32 v9, 0
	s_and_not1_b32 s3, s3, exec_lo
	s_and_b32 s6, vcc_lo, exec_lo
	s_delay_alu instid0(SALU_CYCLE_1)
	s_or_b32 s3, s3, s6
	s_or_b32 exec_lo, exec_lo, s7
	s_and_saveexec_b32 s6, s3
	s_cbranch_execnz .LBB200_1485
	s_branch .LBB200_1486
.LBB200_1505:
	s_mov_b32 s0, -1
.LBB200_1506:
                                        ; implicit-def: $vgpr9
.LBB200_1507:
	s_and_b32 vcc_lo, exec_lo, s3
	s_mov_b32 s3, 0
	s_cbranch_vccz .LBB200_1509
; %bb.1508:
	v_cmp_ne_u16_e64 s0, 11, v6
	s_mov_b32 s3, -1
                                        ; implicit-def: $vgpr9
.LBB200_1509:
	s_delay_alu instid0(VALU_DEP_1)
	s_and_b32 vcc_lo, exec_lo, s0
	s_cbranch_vccnz .LBB200_2042
; %bb.1510:
	s_and_not1_b32 vcc_lo, exec_lo, s3
	s_cbranch_vccnz .LBB200_1512
.LBB200_1511:
	global_load_u8 v3, v[0:1], off
	s_mov_b32 s6, -1
	s_waitcnt vmcnt(0)
	v_cmp_ne_u16_e32 vcc_lo, 0, v3
	v_cndmask_b32_e64 v9, 0, 1.0, vcc_lo
.LBB200_1512:
	s_mov_b32 s0, 0
.LBB200_1513:
	s_delay_alu instid0(SALU_CYCLE_1)
	s_and_b32 vcc_lo, exec_lo, s0
	s_cbranch_vccz .LBB200_1562
; %bb.1514:
	v_cmp_gt_i16_e32 vcc_lo, 5, v6
	s_cbranch_vccnz .LBB200_1519
; %bb.1515:
	v_cmp_gt_i16_e32 vcc_lo, 8, v6
	s_cbranch_vccnz .LBB200_1520
	;; [unrolled: 3-line block ×3, first 2 shown]
; %bb.1517:
	v_cmp_lt_i16_e32 vcc_lo, 9, v6
	s_cbranch_vccz .LBB200_1522
; %bb.1518:
	global_load_b64 v[11:12], v[0:1], off
	s_mov_b32 s0, 0
	s_waitcnt vmcnt(0)
	v_cvt_f32_f64_e32 v9, v[11:12]
	s_branch .LBB200_1523
.LBB200_1519:
	s_mov_b32 s0, -1
                                        ; implicit-def: $vgpr9
	s_branch .LBB200_1541
.LBB200_1520:
	s_mov_b32 s0, -1
                                        ; implicit-def: $vgpr9
	s_branch .LBB200_1529
.LBB200_1521:
	s_mov_b32 s0, -1
                                        ; implicit-def: $vgpr9
	s_branch .LBB200_1526
.LBB200_1522:
	s_mov_b32 s0, -1
                                        ; implicit-def: $vgpr9
.LBB200_1523:
	s_delay_alu instid0(SALU_CYCLE_1)
	s_and_not1_b32 vcc_lo, exec_lo, s0
	s_cbranch_vccnz .LBB200_1525
; %bb.1524:
	global_load_b32 v9, v[0:1], off
.LBB200_1525:
	s_mov_b32 s0, 0
.LBB200_1526:
	s_delay_alu instid0(SALU_CYCLE_1)
	s_and_not1_b32 vcc_lo, exec_lo, s0
	s_cbranch_vccnz .LBB200_1528
; %bb.1527:
	global_load_b32 v3, v[0:1], off
	s_waitcnt vmcnt(0)
	v_cvt_f32_f16_e32 v9, v3
.LBB200_1528:
	s_mov_b32 s0, 0
.LBB200_1529:
	s_delay_alu instid0(SALU_CYCLE_1)
	s_and_not1_b32 vcc_lo, exec_lo, s0
	s_cbranch_vccnz .LBB200_1540
; %bb.1530:
	v_cmp_gt_i16_e32 vcc_lo, 6, v6
	s_cbranch_vccnz .LBB200_1533
; %bb.1531:
	v_cmp_lt_i16_e32 vcc_lo, 6, v6
	s_cbranch_vccz .LBB200_1534
; %bb.1532:
	global_load_b64 v[11:12], v[0:1], off
	s_mov_b32 s0, 0
	s_waitcnt vmcnt(0)
	v_cvt_f32_f64_e32 v9, v[11:12]
	s_branch .LBB200_1535
.LBB200_1533:
	s_mov_b32 s0, -1
                                        ; implicit-def: $vgpr9
	s_branch .LBB200_1538
.LBB200_1534:
	s_mov_b32 s0, -1
                                        ; implicit-def: $vgpr9
.LBB200_1535:
	s_delay_alu instid0(SALU_CYCLE_1)
	s_and_not1_b32 vcc_lo, exec_lo, s0
	s_cbranch_vccnz .LBB200_1537
; %bb.1536:
	global_load_b32 v9, v[0:1], off
.LBB200_1537:
	s_mov_b32 s0, 0
.LBB200_1538:
	s_delay_alu instid0(SALU_CYCLE_1)
	s_and_not1_b32 vcc_lo, exec_lo, s0
	s_cbranch_vccnz .LBB200_1540
; %bb.1539:
	global_load_u16 v3, v[0:1], off
	s_waitcnt vmcnt(0)
	v_cvt_f32_f16_e32 v9, v3
.LBB200_1540:
	s_mov_b32 s0, 0
.LBB200_1541:
	s_delay_alu instid0(SALU_CYCLE_1)
	s_and_not1_b32 vcc_lo, exec_lo, s0
	s_cbranch_vccnz .LBB200_1561
; %bb.1542:
	v_cmp_gt_i16_e32 vcc_lo, 2, v6
	s_cbranch_vccnz .LBB200_1546
; %bb.1543:
	v_cmp_gt_i16_e32 vcc_lo, 3, v6
	s_cbranch_vccnz .LBB200_1547
; %bb.1544:
	v_cmp_lt_i16_e32 vcc_lo, 3, v6
	s_cbranch_vccz .LBB200_1548
; %bb.1545:
	global_load_b64 v[11:12], v[0:1], off
	s_mov_b32 s0, 0
	s_waitcnt vmcnt(0)
	v_xor_b32_e32 v3, v11, v12
	v_cls_i32_e32 v7, v12
	s_delay_alu instid0(VALU_DEP_2) | instskip(NEXT) | instid1(VALU_DEP_2)
	v_ashrrev_i32_e32 v3, 31, v3
	v_add_nc_u32_e32 v7, -1, v7
	s_delay_alu instid0(VALU_DEP_2) | instskip(NEXT) | instid1(VALU_DEP_1)
	v_add_nc_u32_e32 v3, 32, v3
	v_min_u32_e32 v3, v7, v3
	s_delay_alu instid0(VALU_DEP_1) | instskip(SKIP_1) | instid1(VALU_DEP_2)
	v_lshlrev_b64 v[11:12], v3, v[11:12]
	v_sub_nc_u32_e32 v3, 32, v3
	v_min_u32_e32 v7, 1, v11
	s_delay_alu instid0(VALU_DEP_1) | instskip(NEXT) | instid1(VALU_DEP_1)
	v_or_b32_e32 v7, v12, v7
	v_cvt_f32_i32_e32 v7, v7
	s_delay_alu instid0(VALU_DEP_1)
	v_ldexp_f32 v9, v7, v3
	s_branch .LBB200_1549
.LBB200_1546:
	s_mov_b32 s0, -1
                                        ; implicit-def: $vgpr9
	s_branch .LBB200_1555
.LBB200_1547:
	s_mov_b32 s0, -1
                                        ; implicit-def: $vgpr9
	s_branch .LBB200_1552
.LBB200_1548:
	s_mov_b32 s0, -1
                                        ; implicit-def: $vgpr9
.LBB200_1549:
	s_delay_alu instid0(SALU_CYCLE_1)
	s_and_not1_b32 vcc_lo, exec_lo, s0
	s_cbranch_vccnz .LBB200_1551
; %bb.1550:
	global_load_b32 v3, v[0:1], off
	s_waitcnt vmcnt(0)
	v_cvt_f32_i32_e32 v9, v3
.LBB200_1551:
	s_mov_b32 s0, 0
.LBB200_1552:
	s_delay_alu instid0(SALU_CYCLE_1)
	s_and_not1_b32 vcc_lo, exec_lo, s0
	s_cbranch_vccnz .LBB200_1554
; %bb.1553:
	global_load_i16 v3, v[0:1], off
	s_waitcnt vmcnt(0)
	v_cvt_f32_i32_e32 v9, v3
.LBB200_1554:
	s_mov_b32 s0, 0
.LBB200_1555:
	s_delay_alu instid0(SALU_CYCLE_1)
	s_and_not1_b32 vcc_lo, exec_lo, s0
	s_cbranch_vccnz .LBB200_1561
; %bb.1556:
	v_cmp_lt_i16_e32 vcc_lo, 0, v6
	s_mov_b32 s0, 0
	s_cbranch_vccz .LBB200_1558
; %bb.1557:
	global_load_i8 v3, v[0:1], off
	s_waitcnt vmcnt(0)
	v_cvt_f32_i32_e32 v9, v3
	s_branch .LBB200_1559
.LBB200_1558:
	s_mov_b32 s0, -1
                                        ; implicit-def: $vgpr9
.LBB200_1559:
	s_delay_alu instid0(SALU_CYCLE_1)
	s_and_not1_b32 vcc_lo, exec_lo, s0
	s_cbranch_vccnz .LBB200_1561
; %bb.1560:
	global_load_u8 v0, v[0:1], off
	s_waitcnt vmcnt(0)
	v_cvt_f32_ubyte0_e32 v9, v0
.LBB200_1561:
	s_mov_b32 s6, -1
.LBB200_1562:
	s_delay_alu instid0(SALU_CYCLE_1)
	s_and_not1_b32 vcc_lo, exec_lo, s6
	s_cbranch_vccnz .LBB200_1996
; %bb.1563:
	s_waitcnt vmcnt(0)
	v_cvt_f64_f32_e32 v[0:1], v2
	v_mul_lo_u32 v5, s2, v5
	s_delay_alu instid0(VALU_DEP_2) | instskip(SKIP_3) | instid1(VALU_DEP_2)
	v_rsq_f64_e32 v[2:3], v[0:1]
	s_waitcnt_depctr 0xfff
	v_mul_f64 v[0:1], v[2:3], -v[0:1]
	v_cmp_class_f64_e64 vcc_lo, v[2:3], 0x180
	v_fma_f64 v[0:1], v[0:1], v[2:3], 1.0
	s_delay_alu instid0(VALU_DEP_1) | instskip(SKIP_1) | instid1(VALU_DEP_1)
	v_mul_f64 v[6:7], v[2:3], v[0:1]
	v_fma_f64 v[0:1], 0x3fd80000, v[0:1], 0.5
	v_fma_f64 v[0:1], v[6:7], v[0:1], v[2:3]
	v_and_b32_e32 v7, 0xff, v4
	s_delay_alu instid0(VALU_DEP_2) | instskip(NEXT) | instid1(VALU_DEP_2)
	v_dual_cndmask_b32 v1, v3, v1 :: v_dual_cndmask_b32 v0, v2, v0
	v_cmp_gt_i16_e32 vcc_lo, 11, v7
	v_add_co_u32 v2, s0, s4, v5
	s_delay_alu instid0(VALU_DEP_3) | instskip(SKIP_1) | instid1(VALU_DEP_1)
	v_cvt_f32_f64_e32 v0, v[0:1]
	v_ashrrev_i32_e32 v1, 31, v5
	v_add_co_ci_u32_e64 v3, s0, s5, v1, s0
	s_cbranch_vccnz .LBB200_1641
; %bb.1564:
	v_cmp_lt_i16_e32 vcc_lo, 25, v7
	s_mov_b32 s7, -1
	s_mov_b32 s3, 0
	s_mov_b32 s6, 0
	;; [unrolled: 1-line block ×3, first 2 shown]
	s_cbranch_vccz .LBB200_1597
; %bb.1565:
	v_cmp_lt_i16_e32 vcc_lo, 28, v7
	s_cbranch_vccz .LBB200_1580
; %bb.1566:
	v_cmp_lt_i16_e32 vcc_lo, 43, v7
	;; [unrolled: 3-line block ×3, first 2 shown]
	s_cbranch_vccz .LBB200_1570
; %bb.1568:
	v_cmp_eq_u16_e32 vcc_lo, 46, v7
	s_mov_b32 s0, -1
	s_mov_b32 s7, 0
	s_cbranch_vccz .LBB200_1570
; %bb.1569:
	v_bfe_u32 v1, v0, 16, 1
	v_cmp_o_f32_e32 vcc_lo, v0, v0
	s_mov_b32 s0, 0
	s_mov_b32 s6, -1
	s_delay_alu instid0(VALU_DEP_2) | instskip(NEXT) | instid1(VALU_DEP_1)
	v_add3_u32 v1, v0, v1, 0x7fff
	v_lshrrev_b32_e32 v1, 16, v1
	s_delay_alu instid0(VALU_DEP_1)
	v_cndmask_b32_e32 v1, 0x7fc0, v1, vcc_lo
	global_store_b32 v[2:3], v1, off
.LBB200_1570:
	s_and_b32 vcc_lo, exec_lo, s7
	s_cbranch_vccz .LBB200_1575
; %bb.1571:
	v_cmp_eq_u16_e32 vcc_lo, 44, v7
	s_mov_b32 s0, -1
	s_cbranch_vccz .LBB200_1575
; %bb.1572:
	v_bfe_u32 v4, v0, 23, 8
	v_mov_b32_e32 v1, 0xff
	s_mov_b32 s6, exec_lo
	s_delay_alu instid0(VALU_DEP_2)
	v_cmpx_ne_u32_e32 0xff, v4
; %bb.1573:
	v_and_b32_e32 v1, 0x400000, v0
	v_and_or_b32 v4, 0x3fffff, v0, v4
	s_delay_alu instid0(VALU_DEP_2) | instskip(NEXT) | instid1(VALU_DEP_2)
	v_cmp_ne_u32_e32 vcc_lo, 0, v1
	v_cmp_ne_u32_e64 s0, 0, v4
	v_lshrrev_b32_e32 v1, 23, v0
	s_delay_alu instid0(VALU_DEP_2) | instskip(NEXT) | instid1(SALU_CYCLE_1)
	s_and_b32 s0, vcc_lo, s0
	v_cndmask_b32_e64 v4, 0, 1, s0
	s_delay_alu instid0(VALU_DEP_1)
	v_add_nc_u32_e32 v1, v1, v4
; %bb.1574:
	s_or_b32 exec_lo, exec_lo, s6
	s_mov_b32 s0, 0
	s_mov_b32 s6, -1
	global_store_b8 v[2:3], v1, off
.LBB200_1575:
	s_mov_b32 s7, 0
.LBB200_1576:
	s_delay_alu instid0(SALU_CYCLE_1)
	s_and_b32 vcc_lo, exec_lo, s7
	s_cbranch_vccz .LBB200_1579
; %bb.1577:
	v_cmp_eq_u16_e32 vcc_lo, 29, v7
	s_mov_b32 s0, -1
	s_cbranch_vccz .LBB200_1579
; %bb.1578:
	v_trunc_f32_e32 v1, v0
	s_mov_b32 s0, 0
	s_mov_b32 s6, -1
	s_delay_alu instid0(VALU_DEP_1) | instskip(NEXT) | instid1(VALU_DEP_1)
	v_mul_f32_e32 v4, 0x2f800000, v1
	v_floor_f32_e32 v4, v4
	s_delay_alu instid0(VALU_DEP_1) | instskip(SKIP_1) | instid1(VALU_DEP_2)
	v_fmamk_f32 v1, v4, 0xcf800000, v1
	v_cvt_u32_f32_e32 v12, v4
	v_cvt_u32_f32_e32 v11, v1
	global_store_b64 v[2:3], v[11:12], off
.LBB200_1579:
	s_mov_b32 s7, 0
.LBB200_1580:
	s_delay_alu instid0(SALU_CYCLE_1)
	s_and_b32 vcc_lo, exec_lo, s7
	s_cbranch_vccz .LBB200_1596
; %bb.1581:
	v_cmp_gt_i16_e32 vcc_lo, 27, v7
	s_mov_b32 s6, -1
	s_cbranch_vccnz .LBB200_1587
; %bb.1582:
	v_cmp_lt_i16_e32 vcc_lo, 27, v7
	v_cvt_u32_f32_e32 v1, v0
	s_cbranch_vccz .LBB200_1584
; %bb.1583:
	s_mov_b32 s6, 0
	global_store_b32 v[2:3], v1, off
.LBB200_1584:
	s_and_not1_b32 vcc_lo, exec_lo, s6
	s_cbranch_vccnz .LBB200_1586
; %bb.1585:
	global_store_b16 v[2:3], v1, off
.LBB200_1586:
	s_mov_b32 s6, 0
.LBB200_1587:
	s_delay_alu instid0(SALU_CYCLE_1)
	s_and_not1_b32 vcc_lo, exec_lo, s6
	s_cbranch_vccnz .LBB200_1595
; %bb.1588:
	v_and_b32_e32 v1, 0x7fffffff, v0
	v_mov_b32_e32 v4, 0x80
	s_mov_b32 s6, exec_lo
	s_delay_alu instid0(VALU_DEP_2)
	v_cmpx_gt_u32_e32 0x43800000, v1
	s_cbranch_execz .LBB200_1594
; %bb.1589:
	v_cmp_lt_u32_e32 vcc_lo, 0x3bffffff, v1
	s_mov_b32 s7, 0
                                        ; implicit-def: $vgpr1
	s_and_saveexec_b32 s10, vcc_lo
	s_delay_alu instid0(SALU_CYCLE_1)
	s_xor_b32 s10, exec_lo, s10
	s_cbranch_execz .LBB200_2044
; %bb.1590:
	v_bfe_u32 v1, v0, 20, 1
	s_mov_b32 s7, exec_lo
	s_delay_alu instid0(VALU_DEP_1) | instskip(NEXT) | instid1(VALU_DEP_1)
	v_add3_u32 v1, v0, v1, 0x487ffff
	v_lshrrev_b32_e32 v1, 20, v1
	s_or_saveexec_b32 s10, s10
                                        ; implicit-def: $sgpr11
	s_delay_alu instid0(SALU_CYCLE_1)
	s_xor_b32 exec_lo, exec_lo, s10
	s_cbranch_execnz .LBB200_2045
.LBB200_1591:
	s_or_b32 exec_lo, exec_lo, s10
	v_mov_b32_e32 v4, s11
	s_and_saveexec_b32 s10, s7
.LBB200_1592:
	v_lshrrev_b32_e32 v4, 24, v0
	s_delay_alu instid0(VALU_DEP_1)
	v_and_or_b32 v4, 0x80, v4, v1
.LBB200_1593:
	s_or_b32 exec_lo, exec_lo, s10
.LBB200_1594:
	s_delay_alu instid0(SALU_CYCLE_1)
	s_or_b32 exec_lo, exec_lo, s6
	global_store_b8 v[2:3], v4, off
.LBB200_1595:
	s_mov_b32 s6, -1
.LBB200_1596:
	s_mov_b32 s7, 0
.LBB200_1597:
	s_delay_alu instid0(SALU_CYCLE_1)
	s_and_b32 vcc_lo, exec_lo, s7
	s_cbranch_vccz .LBB200_1637
; %bb.1598:
	v_cmp_lt_i16_e32 vcc_lo, 22, v7
	s_mov_b32 s3, -1
	s_cbranch_vccz .LBB200_1630
; %bb.1599:
	v_cmp_gt_i16_e32 vcc_lo, 24, v7
	s_cbranch_vccnz .LBB200_1619
; %bb.1600:
	v_cmp_lt_i16_e32 vcc_lo, 24, v7
	s_cbranch_vccz .LBB200_1608
; %bb.1601:
	v_and_b32_e32 v1, 0x7fffffff, v0
	v_mov_b32_e32 v4, 0x80
	s_mov_b32 s3, exec_lo
	s_delay_alu instid0(VALU_DEP_2)
	v_cmpx_gt_u32_e32 0x47800000, v1
	s_cbranch_execz .LBB200_1607
; %bb.1602:
	v_cmp_lt_u32_e32 vcc_lo, 0x37ffffff, v1
	s_mov_b32 s6, 0
                                        ; implicit-def: $vgpr1
	s_and_saveexec_b32 s7, vcc_lo
	s_delay_alu instid0(SALU_CYCLE_1)
	s_xor_b32 s7, exec_lo, s7
	s_cbranch_execz .LBB200_2050
; %bb.1603:
	v_bfe_u32 v1, v0, 21, 1
	s_mov_b32 s6, exec_lo
	s_delay_alu instid0(VALU_DEP_1) | instskip(NEXT) | instid1(VALU_DEP_1)
	v_add3_u32 v1, v0, v1, 0x88fffff
	v_lshrrev_b32_e32 v1, 21, v1
	s_or_saveexec_b32 s7, s7
                                        ; implicit-def: $sgpr10
	s_delay_alu instid0(SALU_CYCLE_1)
	s_xor_b32 exec_lo, exec_lo, s7
	s_cbranch_execnz .LBB200_2051
.LBB200_1604:
	s_or_b32 exec_lo, exec_lo, s7
	v_mov_b32_e32 v4, s10
	s_and_saveexec_b32 s7, s6
.LBB200_1605:
	v_lshrrev_b32_e32 v4, 24, v0
	s_delay_alu instid0(VALU_DEP_1)
	v_and_or_b32 v4, 0x80, v4, v1
.LBB200_1606:
	s_or_b32 exec_lo, exec_lo, s7
.LBB200_1607:
	s_delay_alu instid0(SALU_CYCLE_1)
	s_or_b32 exec_lo, exec_lo, s3
	s_mov_b32 s3, 0
	global_store_b8 v[2:3], v4, off
.LBB200_1608:
	s_and_b32 vcc_lo, exec_lo, s3
	s_cbranch_vccz .LBB200_1618
; %bb.1609:
	v_and_b32_e32 v4, 0x7fffffff, v0
	s_mov_b32 s3, exec_lo
                                        ; implicit-def: $vgpr1
	s_delay_alu instid0(VALU_DEP_1)
	v_cmpx_gt_u32_e32 0x43f00000, v4
	s_xor_b32 s3, exec_lo, s3
	s_cbranch_execz .LBB200_1615
; %bb.1610:
	s_mov_b32 s6, exec_lo
                                        ; implicit-def: $vgpr1
	v_cmpx_lt_u32_e32 0x3c7fffff, v4
	s_xor_b32 s6, exec_lo, s6
; %bb.1611:
	v_bfe_u32 v1, v0, 20, 1
	s_delay_alu instid0(VALU_DEP_1) | instskip(NEXT) | instid1(VALU_DEP_1)
	v_add3_u32 v1, v0, v1, 0x407ffff
	v_and_b32_e32 v4, 0xff00000, v1
	v_lshrrev_b32_e32 v1, 20, v1
	s_delay_alu instid0(VALU_DEP_2) | instskip(NEXT) | instid1(VALU_DEP_2)
	v_cmp_ne_u32_e32 vcc_lo, 0x7f00000, v4
	v_cndmask_b32_e32 v1, 0x7e, v1, vcc_lo
; %bb.1612:
	s_and_not1_saveexec_b32 s6, s6
; %bb.1613:
	v_add_f32_e64 v1, 0x46800000, |v0|
; %bb.1614:
	s_or_b32 exec_lo, exec_lo, s6
                                        ; implicit-def: $vgpr4
.LBB200_1615:
	s_and_not1_saveexec_b32 s3, s3
; %bb.1616:
	v_mov_b32_e32 v1, 0x7f
	v_cmp_lt_u32_e32 vcc_lo, 0x7f800000, v4
	s_delay_alu instid0(VALU_DEP_2)
	v_cndmask_b32_e32 v1, 0x7e, v1, vcc_lo
; %bb.1617:
	s_or_b32 exec_lo, exec_lo, s3
	v_lshrrev_b32_e32 v4, 24, v0
	s_delay_alu instid0(VALU_DEP_1)
	v_and_or_b32 v1, 0x80, v4, v1
	global_store_b8 v[2:3], v1, off
.LBB200_1618:
	s_mov_b32 s3, 0
.LBB200_1619:
	s_delay_alu instid0(SALU_CYCLE_1)
	s_and_not1_b32 vcc_lo, exec_lo, s3
	s_cbranch_vccnz .LBB200_1629
; %bb.1620:
	v_and_b32_e32 v4, 0x7fffffff, v0
	s_mov_b32 s3, exec_lo
                                        ; implicit-def: $vgpr1
	s_delay_alu instid0(VALU_DEP_1)
	v_cmpx_gt_u32_e32 0x47800000, v4
	s_xor_b32 s3, exec_lo, s3
	s_cbranch_execz .LBB200_1626
; %bb.1621:
	s_mov_b32 s6, exec_lo
                                        ; implicit-def: $vgpr1
	v_cmpx_lt_u32_e32 0x387fffff, v4
	s_xor_b32 s6, exec_lo, s6
; %bb.1622:
	v_bfe_u32 v1, v0, 21, 1
	s_delay_alu instid0(VALU_DEP_1) | instskip(NEXT) | instid1(VALU_DEP_1)
	v_add3_u32 v1, v0, v1, 0x80fffff
	v_lshrrev_b32_e32 v1, 21, v1
; %bb.1623:
	s_and_not1_saveexec_b32 s6, s6
; %bb.1624:
	v_add_f32_e64 v1, 0x43000000, |v0|
; %bb.1625:
	s_or_b32 exec_lo, exec_lo, s6
                                        ; implicit-def: $vgpr4
.LBB200_1626:
	s_and_not1_saveexec_b32 s3, s3
; %bb.1627:
	v_mov_b32_e32 v1, 0x7f
	v_cmp_lt_u32_e32 vcc_lo, 0x7f800000, v4
	s_delay_alu instid0(VALU_DEP_2)
	v_cndmask_b32_e32 v1, 0x7c, v1, vcc_lo
; %bb.1628:
	s_or_b32 exec_lo, exec_lo, s3
	v_lshrrev_b32_e32 v4, 24, v0
	s_delay_alu instid0(VALU_DEP_1)
	v_and_or_b32 v1, 0x80, v4, v1
	global_store_b8 v[2:3], v1, off
.LBB200_1629:
	s_mov_b32 s3, 0
	s_mov_b32 s6, -1
.LBB200_1630:
	s_and_not1_b32 vcc_lo, exec_lo, s3
	s_mov_b32 s3, 0
	s_cbranch_vccnz .LBB200_1637
; %bb.1631:
	v_cmp_lt_i16_e32 vcc_lo, 14, v7
	s_mov_b32 s3, -1
	s_cbranch_vccz .LBB200_1635
; %bb.1632:
	v_cmp_eq_u16_e32 vcc_lo, 15, v7
	s_mov_b32 s0, -1
	s_cbranch_vccz .LBB200_1634
; %bb.1633:
	v_bfe_u32 v1, v0, 16, 1
	v_cmp_o_f32_e32 vcc_lo, v0, v0
	s_mov_b32 s0, 0
	s_mov_b32 s6, -1
	s_delay_alu instid0(VALU_DEP_2) | instskip(NEXT) | instid1(VALU_DEP_1)
	v_add3_u32 v1, v0, v1, 0x7fff
	v_lshrrev_b32_e32 v1, 16, v1
	s_delay_alu instid0(VALU_DEP_1)
	v_cndmask_b32_e32 v1, 0x7fc0, v1, vcc_lo
	global_store_b16 v[2:3], v1, off
.LBB200_1634:
	s_mov_b32 s3, 0
.LBB200_1635:
	s_delay_alu instid0(SALU_CYCLE_1)
	s_and_b32 vcc_lo, exec_lo, s3
	s_mov_b32 s3, 0
	s_cbranch_vccz .LBB200_1637
; %bb.1636:
	v_cmp_ne_u16_e64 s0, 11, v7
	s_mov_b32 s3, -1
.LBB200_1637:
	s_delay_alu instid0(VALU_DEP_1)
	s_and_b32 vcc_lo, exec_lo, s0
	s_cbranch_vccnz .LBB200_2048
; %bb.1638:
	s_and_not1_b32 vcc_lo, exec_lo, s3
	s_cbranch_vccnz .LBB200_1640
.LBB200_1639:
	s_delay_alu instid0(VALU_DEP_4)
	v_cmp_neq_f32_e32 vcc_lo, 0, v0
	s_mov_b32 s6, -1
	v_cndmask_b32_e64 v1, 0, 1, vcc_lo
	global_store_b8 v[2:3], v1, off
.LBB200_1640:
	s_mov_b32 s0, 0
	s_branch .LBB200_1642
.LBB200_1641:
	s_mov_b32 s0, -1
	s_mov_b32 s6, 0
.LBB200_1642:
	s_and_b32 vcc_lo, exec_lo, s0
	s_cbranch_vccz .LBB200_1681
; %bb.1643:
	v_cmp_gt_i16_e32 vcc_lo, 5, v7
	s_mov_b32 s0, -1
	s_cbranch_vccnz .LBB200_1664
; %bb.1644:
	v_cmp_gt_i16_e32 vcc_lo, 8, v7
	s_cbranch_vccnz .LBB200_1654
; %bb.1645:
	v_cmp_gt_i16_e32 vcc_lo, 9, v7
	s_cbranch_vccnz .LBB200_1651
; %bb.1646:
	v_cmp_lt_i16_e32 vcc_lo, 9, v7
	s_cbranch_vccz .LBB200_1648
; %bb.1647:
	v_cvt_f64_f32_e32 v[11:12], v0
	v_mov_b32_e32 v13, 0
	s_mov_b32 s0, 0
	s_delay_alu instid0(VALU_DEP_1)
	v_mov_b32_e32 v14, v13
	global_store_b128 v[2:3], v[11:14], off
.LBB200_1648:
	s_and_not1_b32 vcc_lo, exec_lo, s0
	s_cbranch_vccnz .LBB200_1650
; %bb.1649:
	v_mov_b32_e32 v1, 0
	global_store_b64 v[2:3], v[0:1], off
.LBB200_1650:
	s_mov_b32 s0, 0
.LBB200_1651:
	s_delay_alu instid0(SALU_CYCLE_1)
	s_and_not1_b32 vcc_lo, exec_lo, s0
	s_cbranch_vccnz .LBB200_1653
; %bb.1652:
	v_cvt_f16_f32_e32 v1, v0
	s_delay_alu instid0(VALU_DEP_1)
	v_and_b32_e32 v1, 0xffff, v1
	global_store_b32 v[2:3], v1, off
.LBB200_1653:
	s_mov_b32 s0, 0
.LBB200_1654:
	s_delay_alu instid0(SALU_CYCLE_1)
	s_and_not1_b32 vcc_lo, exec_lo, s0
	s_cbranch_vccnz .LBB200_1663
; %bb.1655:
	v_cmp_gt_i16_e32 vcc_lo, 6, v7
	s_mov_b32 s0, -1
	s_cbranch_vccnz .LBB200_1661
; %bb.1656:
	v_cmp_lt_i16_e32 vcc_lo, 6, v7
	s_cbranch_vccz .LBB200_1658
; %bb.1657:
	v_cvt_f64_f32_e32 v[11:12], v0
	s_mov_b32 s0, 0
	global_store_b64 v[2:3], v[11:12], off
.LBB200_1658:
	s_and_not1_b32 vcc_lo, exec_lo, s0
	s_cbranch_vccnz .LBB200_1660
; %bb.1659:
	global_store_b32 v[2:3], v0, off
.LBB200_1660:
	s_mov_b32 s0, 0
.LBB200_1661:
	s_delay_alu instid0(SALU_CYCLE_1)
	s_and_not1_b32 vcc_lo, exec_lo, s0
	s_cbranch_vccnz .LBB200_1663
; %bb.1662:
	v_cvt_f16_f32_e32 v1, v0
	global_store_b16 v[2:3], v1, off
.LBB200_1663:
	s_mov_b32 s0, 0
.LBB200_1664:
	s_delay_alu instid0(SALU_CYCLE_1)
	s_and_not1_b32 vcc_lo, exec_lo, s0
	s_cbranch_vccnz .LBB200_1680
; %bb.1665:
	v_cmp_gt_i16_e32 vcc_lo, 2, v7
	s_mov_b32 s0, -1
	s_cbranch_vccnz .LBB200_1675
; %bb.1666:
	v_cmp_gt_i16_e32 vcc_lo, 3, v7
	s_cbranch_vccnz .LBB200_1672
; %bb.1667:
	v_cmp_lt_i16_e32 vcc_lo, 3, v7
	s_cbranch_vccz .LBB200_1669
; %bb.1668:
	v_trunc_f32_e32 v1, v0
	s_mov_b32 s0, 0
	s_delay_alu instid0(VALU_DEP_1) | instskip(NEXT) | instid1(VALU_DEP_1)
	v_mul_f32_e64 v4, 0x2f800000, |v1|
	v_floor_f32_e32 v4, v4
	s_delay_alu instid0(VALU_DEP_1) | instskip(SKIP_2) | instid1(VALU_DEP_3)
	v_fma_f32 v6, 0xcf800000, v4, |v1|
	v_ashrrev_i32_e32 v1, 31, v1
	v_cvt_u32_f32_e32 v4, v4
	v_cvt_u32_f32_e32 v6, v6
	s_delay_alu instid0(VALU_DEP_2) | instskip(NEXT) | instid1(VALU_DEP_2)
	v_xor_b32_e32 v4, v4, v1
	v_xor_b32_e32 v6, v6, v1
	s_delay_alu instid0(VALU_DEP_1) | instskip(NEXT) | instid1(VALU_DEP_3)
	v_sub_co_u32 v11, vcc_lo, v6, v1
	v_sub_co_ci_u32_e32 v12, vcc_lo, v4, v1, vcc_lo
	global_store_b64 v[2:3], v[11:12], off
.LBB200_1669:
	s_and_not1_b32 vcc_lo, exec_lo, s0
	s_cbranch_vccnz .LBB200_1671
; %bb.1670:
	v_cvt_i32_f32_e32 v1, v0
	global_store_b32 v[2:3], v1, off
.LBB200_1671:
	s_mov_b32 s0, 0
.LBB200_1672:
	s_delay_alu instid0(SALU_CYCLE_1)
	s_and_not1_b32 vcc_lo, exec_lo, s0
	s_cbranch_vccnz .LBB200_1674
; %bb.1673:
	v_cvt_i32_f32_e32 v1, v0
	global_store_b16 v[2:3], v1, off
.LBB200_1674:
	s_mov_b32 s0, 0
.LBB200_1675:
	s_delay_alu instid0(SALU_CYCLE_1)
	s_and_not1_b32 vcc_lo, exec_lo, s0
	s_cbranch_vccnz .LBB200_1680
; %bb.1676:
	v_cmp_lt_i16_e32 vcc_lo, 0, v7
	s_mov_b32 s0, -1
	s_cbranch_vccz .LBB200_1678
; %bb.1677:
	v_cvt_i32_f32_e32 v1, v0
	s_mov_b32 s0, 0
	global_store_b8 v[2:3], v1, off
.LBB200_1678:
	s_and_not1_b32 vcc_lo, exec_lo, s0
	s_cbranch_vccnz .LBB200_1680
; %bb.1679:
	v_trunc_f32_e32 v0, v0
	s_delay_alu instid0(VALU_DEP_1) | instskip(NEXT) | instid1(VALU_DEP_1)
	v_mul_f32_e64 v1, 0x2f800000, |v0|
	v_floor_f32_e32 v1, v1
	s_delay_alu instid0(VALU_DEP_1) | instskip(SKIP_1) | instid1(VALU_DEP_2)
	v_fma_f32 v1, 0xcf800000, v1, |v0|
	v_ashrrev_i32_e32 v0, 31, v0
	v_cvt_u32_f32_e32 v1, v1
	s_delay_alu instid0(VALU_DEP_1) | instskip(NEXT) | instid1(VALU_DEP_1)
	v_xor_b32_e32 v1, v1, v0
	v_sub_nc_u32_e32 v0, v1, v0
	global_store_b8 v[2:3], v0, off
.LBB200_1680:
	s_mov_b32 s6, -1
.LBB200_1681:
	s_delay_alu instid0(SALU_CYCLE_1)
	s_and_not1_b32 vcc_lo, exec_lo, s6
	s_cbranch_vccnz .LBB200_1996
; %bb.1682:
	v_cvt_f64_f32_e32 v[0:1], v10
	s_lshl_b32 s2, s2, 7
	s_delay_alu instid0(SALU_CYCLE_1) | instskip(NEXT) | instid1(VALU_DEP_2)
	v_add_nc_u32_e32 v4, s2, v5
	v_rsq_f64_e32 v[2:3], v[0:1]
	s_waitcnt_depctr 0xfff
	v_mul_f64 v[0:1], v[2:3], -v[0:1]
	v_cmp_class_f64_e64 vcc_lo, v[2:3], 0x180
	s_delay_alu instid0(VALU_DEP_2) | instskip(NEXT) | instid1(VALU_DEP_1)
	v_fma_f64 v[0:1], v[0:1], v[2:3], 1.0
	v_mul_f64 v[10:11], v[2:3], v[0:1]
	v_fma_f64 v[0:1], 0x3fd80000, v[0:1], 0.5
	s_delay_alu instid0(VALU_DEP_1) | instskip(NEXT) | instid1(VALU_DEP_1)
	v_fma_f64 v[0:1], v[10:11], v[0:1], v[2:3]
	v_dual_cndmask_b32 v1, v3, v1 :: v_dual_cndmask_b32 v0, v2, v0
	v_cmp_gt_i16_e32 vcc_lo, 11, v7
	s_delay_alu instid0(VALU_DEP_2) | instskip(SKIP_2) | instid1(VALU_DEP_1)
	v_cvt_f32_f64_e32 v2, v[0:1]
	v_ashrrev_i32_e32 v1, 31, v4
	v_add_co_u32 v0, s0, s4, v4
	v_add_co_ci_u32_e64 v1, s0, s5, v1, s0
	s_cbranch_vccnz .LBB200_1760
; %bb.1683:
	v_cmp_lt_i16_e32 vcc_lo, 25, v7
	s_mov_b32 s7, -1
	s_mov_b32 s3, 0
	s_mov_b32 s6, 0
	;; [unrolled: 1-line block ×3, first 2 shown]
	s_cbranch_vccz .LBB200_1716
; %bb.1684:
	v_cmp_lt_i16_e32 vcc_lo, 28, v7
	s_cbranch_vccz .LBB200_1699
; %bb.1685:
	v_cmp_lt_i16_e32 vcc_lo, 43, v7
	;; [unrolled: 3-line block ×3, first 2 shown]
	s_cbranch_vccz .LBB200_1689
; %bb.1687:
	v_cmp_eq_u16_e32 vcc_lo, 46, v7
	s_mov_b32 s0, -1
	s_mov_b32 s7, 0
	s_cbranch_vccz .LBB200_1689
; %bb.1688:
	v_bfe_u32 v3, v2, 16, 1
	v_cmp_o_f32_e32 vcc_lo, v2, v2
	s_mov_b32 s0, 0
	s_mov_b32 s6, -1
	s_delay_alu instid0(VALU_DEP_2) | instskip(NEXT) | instid1(VALU_DEP_1)
	v_add3_u32 v3, v2, v3, 0x7fff
	v_lshrrev_b32_e32 v3, 16, v3
	s_delay_alu instid0(VALU_DEP_1)
	v_cndmask_b32_e32 v3, 0x7fc0, v3, vcc_lo
	global_store_b32 v[0:1], v3, off
.LBB200_1689:
	s_and_b32 vcc_lo, exec_lo, s7
	s_cbranch_vccz .LBB200_1694
; %bb.1690:
	v_cmp_eq_u16_e32 vcc_lo, 44, v7
	s_mov_b32 s0, -1
	s_cbranch_vccz .LBB200_1694
; %bb.1691:
	v_bfe_u32 v5, v2, 23, 8
	v_mov_b32_e32 v3, 0xff
	s_mov_b32 s6, exec_lo
	s_delay_alu instid0(VALU_DEP_2)
	v_cmpx_ne_u32_e32 0xff, v5
; %bb.1692:
	v_and_b32_e32 v3, 0x400000, v2
	v_and_or_b32 v5, 0x3fffff, v2, v5
	s_delay_alu instid0(VALU_DEP_2) | instskip(NEXT) | instid1(VALU_DEP_2)
	v_cmp_ne_u32_e32 vcc_lo, 0, v3
	v_cmp_ne_u32_e64 s0, 0, v5
	v_lshrrev_b32_e32 v3, 23, v2
	s_delay_alu instid0(VALU_DEP_2) | instskip(NEXT) | instid1(SALU_CYCLE_1)
	s_and_b32 s0, vcc_lo, s0
	v_cndmask_b32_e64 v5, 0, 1, s0
	s_delay_alu instid0(VALU_DEP_1)
	v_add_nc_u32_e32 v3, v3, v5
; %bb.1693:
	s_or_b32 exec_lo, exec_lo, s6
	s_mov_b32 s0, 0
	s_mov_b32 s6, -1
	global_store_b8 v[0:1], v3, off
.LBB200_1694:
	s_mov_b32 s7, 0
.LBB200_1695:
	s_delay_alu instid0(SALU_CYCLE_1)
	s_and_b32 vcc_lo, exec_lo, s7
	s_cbranch_vccz .LBB200_1698
; %bb.1696:
	v_cmp_eq_u16_e32 vcc_lo, 29, v7
	s_mov_b32 s0, -1
	s_cbranch_vccz .LBB200_1698
; %bb.1697:
	v_trunc_f32_e32 v3, v2
	s_mov_b32 s0, 0
	s_mov_b32 s6, -1
	s_delay_alu instid0(VALU_DEP_1) | instskip(NEXT) | instid1(VALU_DEP_1)
	v_mul_f32_e32 v5, 0x2f800000, v3
	v_floor_f32_e32 v5, v5
	s_delay_alu instid0(VALU_DEP_1) | instskip(SKIP_1) | instid1(VALU_DEP_2)
	v_fmamk_f32 v3, v5, 0xcf800000, v3
	v_cvt_u32_f32_e32 v6, v5
	v_cvt_u32_f32_e32 v5, v3
	global_store_b64 v[0:1], v[5:6], off
.LBB200_1698:
	s_mov_b32 s7, 0
.LBB200_1699:
	s_delay_alu instid0(SALU_CYCLE_1)
	s_and_b32 vcc_lo, exec_lo, s7
	s_cbranch_vccz .LBB200_1715
; %bb.1700:
	v_cmp_gt_i16_e32 vcc_lo, 27, v7
	s_mov_b32 s6, -1
	s_cbranch_vccnz .LBB200_1706
; %bb.1701:
	v_cmp_lt_i16_e32 vcc_lo, 27, v7
	v_cvt_u32_f32_e32 v3, v2
	s_cbranch_vccz .LBB200_1703
; %bb.1702:
	s_mov_b32 s6, 0
	global_store_b32 v[0:1], v3, off
.LBB200_1703:
	s_and_not1_b32 vcc_lo, exec_lo, s6
	s_cbranch_vccnz .LBB200_1705
; %bb.1704:
	global_store_b16 v[0:1], v3, off
.LBB200_1705:
	s_mov_b32 s6, 0
.LBB200_1706:
	s_delay_alu instid0(SALU_CYCLE_1)
	s_and_not1_b32 vcc_lo, exec_lo, s6
	s_cbranch_vccnz .LBB200_1714
; %bb.1707:
	v_and_b32_e32 v3, 0x7fffffff, v2
	v_mov_b32_e32 v5, 0x80
	s_mov_b32 s6, exec_lo
	s_delay_alu instid0(VALU_DEP_2)
	v_cmpx_gt_u32_e32 0x43800000, v3
	s_cbranch_execz .LBB200_1713
; %bb.1708:
	v_cmp_lt_u32_e32 vcc_lo, 0x3bffffff, v3
	s_mov_b32 s7, 0
                                        ; implicit-def: $vgpr3
	s_and_saveexec_b32 s10, vcc_lo
	s_delay_alu instid0(SALU_CYCLE_1)
	s_xor_b32 s10, exec_lo, s10
	s_cbranch_execz .LBB200_2052
; %bb.1709:
	v_bfe_u32 v3, v2, 20, 1
	s_mov_b32 s7, exec_lo
	s_delay_alu instid0(VALU_DEP_1) | instskip(NEXT) | instid1(VALU_DEP_1)
	v_add3_u32 v3, v2, v3, 0x487ffff
	v_lshrrev_b32_e32 v3, 20, v3
	s_or_saveexec_b32 s10, s10
                                        ; implicit-def: $sgpr11
	s_delay_alu instid0(SALU_CYCLE_1)
	s_xor_b32 exec_lo, exec_lo, s10
	s_cbranch_execnz .LBB200_2053
.LBB200_1710:
	s_or_b32 exec_lo, exec_lo, s10
	v_mov_b32_e32 v5, s11
	s_and_saveexec_b32 s10, s7
.LBB200_1711:
	v_lshrrev_b32_e32 v5, 24, v2
	s_delay_alu instid0(VALU_DEP_1)
	v_and_or_b32 v5, 0x80, v5, v3
.LBB200_1712:
	s_or_b32 exec_lo, exec_lo, s10
.LBB200_1713:
	s_delay_alu instid0(SALU_CYCLE_1)
	s_or_b32 exec_lo, exec_lo, s6
	global_store_b8 v[0:1], v5, off
.LBB200_1714:
	s_mov_b32 s6, -1
.LBB200_1715:
	s_mov_b32 s7, 0
.LBB200_1716:
	s_delay_alu instid0(SALU_CYCLE_1)
	s_and_b32 vcc_lo, exec_lo, s7
	s_cbranch_vccz .LBB200_1756
; %bb.1717:
	v_cmp_lt_i16_e32 vcc_lo, 22, v7
	s_mov_b32 s3, -1
	s_cbranch_vccz .LBB200_1749
; %bb.1718:
	v_cmp_gt_i16_e32 vcc_lo, 24, v7
	s_cbranch_vccnz .LBB200_1738
; %bb.1719:
	v_cmp_lt_i16_e32 vcc_lo, 24, v7
	s_cbranch_vccz .LBB200_1727
; %bb.1720:
	v_and_b32_e32 v3, 0x7fffffff, v2
	v_mov_b32_e32 v5, 0x80
	s_mov_b32 s3, exec_lo
	s_delay_alu instid0(VALU_DEP_2)
	v_cmpx_gt_u32_e32 0x47800000, v3
	s_cbranch_execz .LBB200_1726
; %bb.1721:
	v_cmp_lt_u32_e32 vcc_lo, 0x37ffffff, v3
	s_mov_b32 s6, 0
                                        ; implicit-def: $vgpr3
	s_and_saveexec_b32 s7, vcc_lo
	s_delay_alu instid0(SALU_CYCLE_1)
	s_xor_b32 s7, exec_lo, s7
	s_cbranch_execz .LBB200_2058
; %bb.1722:
	v_bfe_u32 v3, v2, 21, 1
	s_mov_b32 s6, exec_lo
	s_delay_alu instid0(VALU_DEP_1) | instskip(NEXT) | instid1(VALU_DEP_1)
	v_add3_u32 v3, v2, v3, 0x88fffff
	v_lshrrev_b32_e32 v3, 21, v3
	s_or_saveexec_b32 s7, s7
                                        ; implicit-def: $sgpr10
	s_delay_alu instid0(SALU_CYCLE_1)
	s_xor_b32 exec_lo, exec_lo, s7
	s_cbranch_execnz .LBB200_2059
.LBB200_1723:
	s_or_b32 exec_lo, exec_lo, s7
	v_mov_b32_e32 v5, s10
	s_and_saveexec_b32 s7, s6
.LBB200_1724:
	v_lshrrev_b32_e32 v5, 24, v2
	s_delay_alu instid0(VALU_DEP_1)
	v_and_or_b32 v5, 0x80, v5, v3
.LBB200_1725:
	s_or_b32 exec_lo, exec_lo, s7
.LBB200_1726:
	s_delay_alu instid0(SALU_CYCLE_1)
	s_or_b32 exec_lo, exec_lo, s3
	s_mov_b32 s3, 0
	global_store_b8 v[0:1], v5, off
.LBB200_1727:
	s_and_b32 vcc_lo, exec_lo, s3
	s_cbranch_vccz .LBB200_1737
; %bb.1728:
	v_and_b32_e32 v5, 0x7fffffff, v2
	s_mov_b32 s3, exec_lo
                                        ; implicit-def: $vgpr3
	s_delay_alu instid0(VALU_DEP_1)
	v_cmpx_gt_u32_e32 0x43f00000, v5
	s_xor_b32 s3, exec_lo, s3
	s_cbranch_execz .LBB200_1734
; %bb.1729:
	s_mov_b32 s6, exec_lo
                                        ; implicit-def: $vgpr3
	v_cmpx_lt_u32_e32 0x3c7fffff, v5
	s_xor_b32 s6, exec_lo, s6
; %bb.1730:
	v_bfe_u32 v3, v2, 20, 1
	s_delay_alu instid0(VALU_DEP_1) | instskip(NEXT) | instid1(VALU_DEP_1)
	v_add3_u32 v3, v2, v3, 0x407ffff
	v_and_b32_e32 v5, 0xff00000, v3
	v_lshrrev_b32_e32 v3, 20, v3
	s_delay_alu instid0(VALU_DEP_2) | instskip(NEXT) | instid1(VALU_DEP_2)
	v_cmp_ne_u32_e32 vcc_lo, 0x7f00000, v5
	v_cndmask_b32_e32 v3, 0x7e, v3, vcc_lo
; %bb.1731:
	s_and_not1_saveexec_b32 s6, s6
; %bb.1732:
	v_add_f32_e64 v3, 0x46800000, |v2|
; %bb.1733:
	s_or_b32 exec_lo, exec_lo, s6
                                        ; implicit-def: $vgpr5
.LBB200_1734:
	s_and_not1_saveexec_b32 s3, s3
; %bb.1735:
	v_mov_b32_e32 v3, 0x7f
	v_cmp_lt_u32_e32 vcc_lo, 0x7f800000, v5
	s_delay_alu instid0(VALU_DEP_2)
	v_cndmask_b32_e32 v3, 0x7e, v3, vcc_lo
; %bb.1736:
	s_or_b32 exec_lo, exec_lo, s3
	v_lshrrev_b32_e32 v5, 24, v2
	s_delay_alu instid0(VALU_DEP_1)
	v_and_or_b32 v3, 0x80, v5, v3
	global_store_b8 v[0:1], v3, off
.LBB200_1737:
	s_mov_b32 s3, 0
.LBB200_1738:
	s_delay_alu instid0(SALU_CYCLE_1)
	s_and_not1_b32 vcc_lo, exec_lo, s3
	s_cbranch_vccnz .LBB200_1748
; %bb.1739:
	v_and_b32_e32 v5, 0x7fffffff, v2
	s_mov_b32 s3, exec_lo
                                        ; implicit-def: $vgpr3
	s_delay_alu instid0(VALU_DEP_1)
	v_cmpx_gt_u32_e32 0x47800000, v5
	s_xor_b32 s3, exec_lo, s3
	s_cbranch_execz .LBB200_1745
; %bb.1740:
	s_mov_b32 s6, exec_lo
                                        ; implicit-def: $vgpr3
	v_cmpx_lt_u32_e32 0x387fffff, v5
	s_xor_b32 s6, exec_lo, s6
; %bb.1741:
	v_bfe_u32 v3, v2, 21, 1
	s_delay_alu instid0(VALU_DEP_1) | instskip(NEXT) | instid1(VALU_DEP_1)
	v_add3_u32 v3, v2, v3, 0x80fffff
	v_lshrrev_b32_e32 v3, 21, v3
; %bb.1742:
	s_and_not1_saveexec_b32 s6, s6
; %bb.1743:
	v_add_f32_e64 v3, 0x43000000, |v2|
; %bb.1744:
	s_or_b32 exec_lo, exec_lo, s6
                                        ; implicit-def: $vgpr5
.LBB200_1745:
	s_and_not1_saveexec_b32 s3, s3
; %bb.1746:
	v_mov_b32_e32 v3, 0x7f
	v_cmp_lt_u32_e32 vcc_lo, 0x7f800000, v5
	s_delay_alu instid0(VALU_DEP_2)
	v_cndmask_b32_e32 v3, 0x7c, v3, vcc_lo
; %bb.1747:
	s_or_b32 exec_lo, exec_lo, s3
	v_lshrrev_b32_e32 v5, 24, v2
	s_delay_alu instid0(VALU_DEP_1)
	v_and_or_b32 v3, 0x80, v5, v3
	global_store_b8 v[0:1], v3, off
.LBB200_1748:
	s_mov_b32 s3, 0
	s_mov_b32 s6, -1
.LBB200_1749:
	s_and_not1_b32 vcc_lo, exec_lo, s3
	s_mov_b32 s3, 0
	s_cbranch_vccnz .LBB200_1756
; %bb.1750:
	v_cmp_lt_i16_e32 vcc_lo, 14, v7
	s_mov_b32 s3, -1
	s_cbranch_vccz .LBB200_1754
; %bb.1751:
	v_cmp_eq_u16_e32 vcc_lo, 15, v7
	s_mov_b32 s0, -1
	s_cbranch_vccz .LBB200_1753
; %bb.1752:
	v_bfe_u32 v3, v2, 16, 1
	v_cmp_o_f32_e32 vcc_lo, v2, v2
	s_mov_b32 s0, 0
	s_mov_b32 s6, -1
	s_delay_alu instid0(VALU_DEP_2) | instskip(NEXT) | instid1(VALU_DEP_1)
	v_add3_u32 v3, v2, v3, 0x7fff
	v_lshrrev_b32_e32 v3, 16, v3
	s_delay_alu instid0(VALU_DEP_1)
	v_cndmask_b32_e32 v3, 0x7fc0, v3, vcc_lo
	global_store_b16 v[0:1], v3, off
.LBB200_1753:
	s_mov_b32 s3, 0
.LBB200_1754:
	s_delay_alu instid0(SALU_CYCLE_1)
	s_and_b32 vcc_lo, exec_lo, s3
	s_mov_b32 s3, 0
	s_cbranch_vccz .LBB200_1756
; %bb.1755:
	v_cmp_ne_u16_e64 s0, 11, v7
	s_mov_b32 s3, -1
.LBB200_1756:
	s_delay_alu instid0(VALU_DEP_1)
	s_and_b32 vcc_lo, exec_lo, s0
	s_cbranch_vccnz .LBB200_2056
; %bb.1757:
	s_and_not1_b32 vcc_lo, exec_lo, s3
	s_cbranch_vccnz .LBB200_1759
.LBB200_1758:
	v_cmp_neq_f32_e32 vcc_lo, 0, v2
	s_mov_b32 s6, -1
	v_cndmask_b32_e64 v3, 0, 1, vcc_lo
	global_store_b8 v[0:1], v3, off
.LBB200_1759:
	s_mov_b32 s0, 0
	s_branch .LBB200_1761
.LBB200_1760:
	s_mov_b32 s0, -1
	s_mov_b32 s6, 0
.LBB200_1761:
	s_and_b32 vcc_lo, exec_lo, s0
	s_cbranch_vccz .LBB200_1800
; %bb.1762:
	v_cmp_gt_i16_e32 vcc_lo, 5, v7
	s_mov_b32 s0, -1
	s_cbranch_vccnz .LBB200_1783
; %bb.1763:
	v_cmp_gt_i16_e32 vcc_lo, 8, v7
	s_cbranch_vccnz .LBB200_1773
; %bb.1764:
	v_cmp_gt_i16_e32 vcc_lo, 9, v7
	s_cbranch_vccnz .LBB200_1770
; %bb.1765:
	v_cmp_lt_i16_e32 vcc_lo, 9, v7
	s_cbranch_vccz .LBB200_1767
; %bb.1766:
	v_cvt_f64_f32_e32 v[10:11], v2
	v_mov_b32_e32 v12, 0
	s_mov_b32 s0, 0
	s_delay_alu instid0(VALU_DEP_1)
	v_mov_b32_e32 v13, v12
	global_store_b128 v[0:1], v[10:13], off
.LBB200_1767:
	s_and_not1_b32 vcc_lo, exec_lo, s0
	s_cbranch_vccnz .LBB200_1769
; %bb.1768:
	v_mov_b32_e32 v3, 0
	global_store_b64 v[0:1], v[2:3], off
.LBB200_1769:
	s_mov_b32 s0, 0
.LBB200_1770:
	s_delay_alu instid0(SALU_CYCLE_1)
	s_and_not1_b32 vcc_lo, exec_lo, s0
	s_cbranch_vccnz .LBB200_1772
; %bb.1771:
	v_cvt_f16_f32_e32 v3, v2
	s_delay_alu instid0(VALU_DEP_1)
	v_and_b32_e32 v3, 0xffff, v3
	global_store_b32 v[0:1], v3, off
.LBB200_1772:
	s_mov_b32 s0, 0
.LBB200_1773:
	s_delay_alu instid0(SALU_CYCLE_1)
	s_and_not1_b32 vcc_lo, exec_lo, s0
	s_cbranch_vccnz .LBB200_1782
; %bb.1774:
	v_cmp_gt_i16_e32 vcc_lo, 6, v7
	s_mov_b32 s0, -1
	s_cbranch_vccnz .LBB200_1780
; %bb.1775:
	v_cmp_lt_i16_e32 vcc_lo, 6, v7
	s_cbranch_vccz .LBB200_1777
; %bb.1776:
	v_cvt_f64_f32_e32 v[5:6], v2
	s_mov_b32 s0, 0
	global_store_b64 v[0:1], v[5:6], off
.LBB200_1777:
	s_and_not1_b32 vcc_lo, exec_lo, s0
	s_cbranch_vccnz .LBB200_1779
; %bb.1778:
	global_store_b32 v[0:1], v2, off
.LBB200_1779:
	s_mov_b32 s0, 0
.LBB200_1780:
	s_delay_alu instid0(SALU_CYCLE_1)
	s_and_not1_b32 vcc_lo, exec_lo, s0
	s_cbranch_vccnz .LBB200_1782
; %bb.1781:
	v_cvt_f16_f32_e32 v3, v2
	global_store_b16 v[0:1], v3, off
.LBB200_1782:
	s_mov_b32 s0, 0
.LBB200_1783:
	s_delay_alu instid0(SALU_CYCLE_1)
	s_and_not1_b32 vcc_lo, exec_lo, s0
	s_cbranch_vccnz .LBB200_1799
; %bb.1784:
	v_cmp_gt_i16_e32 vcc_lo, 2, v7
	s_mov_b32 s0, -1
	s_cbranch_vccnz .LBB200_1794
; %bb.1785:
	v_cmp_gt_i16_e32 vcc_lo, 3, v7
	s_cbranch_vccnz .LBB200_1791
; %bb.1786:
	v_cmp_lt_i16_e32 vcc_lo, 3, v7
	s_cbranch_vccz .LBB200_1788
; %bb.1787:
	v_trunc_f32_e32 v3, v2
	s_mov_b32 s0, 0
	s_delay_alu instid0(VALU_DEP_1) | instskip(NEXT) | instid1(VALU_DEP_1)
	v_mul_f32_e64 v5, 0x2f800000, |v3|
	v_floor_f32_e32 v5, v5
	s_delay_alu instid0(VALU_DEP_1) | instskip(SKIP_2) | instid1(VALU_DEP_3)
	v_fma_f32 v6, 0xcf800000, v5, |v3|
	v_ashrrev_i32_e32 v3, 31, v3
	v_cvt_u32_f32_e32 v5, v5
	v_cvt_u32_f32_e32 v6, v6
	s_delay_alu instid0(VALU_DEP_2) | instskip(NEXT) | instid1(VALU_DEP_2)
	v_xor_b32_e32 v10, v5, v3
	v_xor_b32_e32 v6, v6, v3
	s_delay_alu instid0(VALU_DEP_1) | instskip(NEXT) | instid1(VALU_DEP_3)
	v_sub_co_u32 v5, vcc_lo, v6, v3
	v_sub_co_ci_u32_e32 v6, vcc_lo, v10, v3, vcc_lo
	global_store_b64 v[0:1], v[5:6], off
.LBB200_1788:
	s_and_not1_b32 vcc_lo, exec_lo, s0
	s_cbranch_vccnz .LBB200_1790
; %bb.1789:
	v_cvt_i32_f32_e32 v3, v2
	global_store_b32 v[0:1], v3, off
.LBB200_1790:
	s_mov_b32 s0, 0
.LBB200_1791:
	s_delay_alu instid0(SALU_CYCLE_1)
	s_and_not1_b32 vcc_lo, exec_lo, s0
	s_cbranch_vccnz .LBB200_1793
; %bb.1792:
	v_cvt_i32_f32_e32 v3, v2
	global_store_b16 v[0:1], v3, off
.LBB200_1793:
	s_mov_b32 s0, 0
.LBB200_1794:
	s_delay_alu instid0(SALU_CYCLE_1)
	s_and_not1_b32 vcc_lo, exec_lo, s0
	s_cbranch_vccnz .LBB200_1799
; %bb.1795:
	v_cmp_lt_i16_e32 vcc_lo, 0, v7
	s_mov_b32 s0, -1
	s_cbranch_vccz .LBB200_1797
; %bb.1796:
	v_cvt_i32_f32_e32 v3, v2
	s_mov_b32 s0, 0
	global_store_b8 v[0:1], v3, off
.LBB200_1797:
	s_and_not1_b32 vcc_lo, exec_lo, s0
	s_cbranch_vccnz .LBB200_1799
; %bb.1798:
	v_trunc_f32_e32 v2, v2
	s_delay_alu instid0(VALU_DEP_1) | instskip(NEXT) | instid1(VALU_DEP_1)
	v_mul_f32_e64 v3, 0x2f800000, |v2|
	v_floor_f32_e32 v3, v3
	s_delay_alu instid0(VALU_DEP_1) | instskip(SKIP_1) | instid1(VALU_DEP_2)
	v_fma_f32 v3, 0xcf800000, v3, |v2|
	v_ashrrev_i32_e32 v2, 31, v2
	v_cvt_u32_f32_e32 v3, v3
	s_delay_alu instid0(VALU_DEP_1) | instskip(NEXT) | instid1(VALU_DEP_1)
	v_xor_b32_e32 v3, v3, v2
	v_sub_nc_u32_e32 v2, v3, v2
	global_store_b8 v[0:1], v2, off
.LBB200_1799:
	s_mov_b32 s6, -1
.LBB200_1800:
	s_delay_alu instid0(SALU_CYCLE_1)
	s_and_not1_b32 vcc_lo, exec_lo, s6
	s_cbranch_vccnz .LBB200_1996
; %bb.1801:
	v_cvt_f64_f32_e32 v[0:1], v8
	v_add_nc_u32_e32 v4, s2, v4
	s_delay_alu instid0(VALU_DEP_2) | instskip(SKIP_3) | instid1(VALU_DEP_2)
	v_rsq_f64_e32 v[2:3], v[0:1]
	s_waitcnt_depctr 0xfff
	v_mul_f64 v[0:1], v[2:3], -v[0:1]
	v_cmp_class_f64_e64 vcc_lo, v[2:3], 0x180
	v_fma_f64 v[0:1], v[0:1], v[2:3], 1.0
	s_delay_alu instid0(VALU_DEP_1) | instskip(SKIP_1) | instid1(VALU_DEP_1)
	v_mul_f64 v[5:6], v[2:3], v[0:1]
	v_fma_f64 v[0:1], 0x3fd80000, v[0:1], 0.5
	v_fma_f64 v[0:1], v[5:6], v[0:1], v[2:3]
	s_delay_alu instid0(VALU_DEP_1) | instskip(SKIP_1) | instid1(VALU_DEP_2)
	v_dual_cndmask_b32 v1, v3, v1 :: v_dual_cndmask_b32 v0, v2, v0
	v_cmp_gt_i16_e32 vcc_lo, 11, v7
	v_cvt_f32_f64_e32 v2, v[0:1]
	v_ashrrev_i32_e32 v1, 31, v4
	v_add_co_u32 v0, s0, s4, v4
	s_delay_alu instid0(VALU_DEP_1)
	v_add_co_ci_u32_e64 v1, s0, s5, v1, s0
	s_cbranch_vccnz .LBB200_1879
; %bb.1802:
	v_cmp_lt_i16_e32 vcc_lo, 25, v7
	s_mov_b32 s7, -1
	s_mov_b32 s3, 0
	s_mov_b32 s6, 0
	;; [unrolled: 1-line block ×3, first 2 shown]
	s_cbranch_vccz .LBB200_1835
; %bb.1803:
	v_cmp_lt_i16_e32 vcc_lo, 28, v7
	s_cbranch_vccz .LBB200_1818
; %bb.1804:
	v_cmp_lt_i16_e32 vcc_lo, 43, v7
	;; [unrolled: 3-line block ×3, first 2 shown]
	s_cbranch_vccz .LBB200_1808
; %bb.1806:
	v_cmp_eq_u16_e32 vcc_lo, 46, v7
	s_mov_b32 s0, -1
	s_mov_b32 s7, 0
	s_cbranch_vccz .LBB200_1808
; %bb.1807:
	v_bfe_u32 v3, v2, 16, 1
	v_cmp_o_f32_e32 vcc_lo, v2, v2
	s_mov_b32 s0, 0
	s_mov_b32 s6, -1
	s_delay_alu instid0(VALU_DEP_2) | instskip(NEXT) | instid1(VALU_DEP_1)
	v_add3_u32 v3, v2, v3, 0x7fff
	v_lshrrev_b32_e32 v3, 16, v3
	s_delay_alu instid0(VALU_DEP_1)
	v_cndmask_b32_e32 v3, 0x7fc0, v3, vcc_lo
	global_store_b32 v[0:1], v3, off
.LBB200_1808:
	s_and_b32 vcc_lo, exec_lo, s7
	s_cbranch_vccz .LBB200_1813
; %bb.1809:
	v_cmp_eq_u16_e32 vcc_lo, 44, v7
	s_mov_b32 s0, -1
	s_cbranch_vccz .LBB200_1813
; %bb.1810:
	v_bfe_u32 v5, v2, 23, 8
	v_mov_b32_e32 v3, 0xff
	s_mov_b32 s6, exec_lo
	s_delay_alu instid0(VALU_DEP_2)
	v_cmpx_ne_u32_e32 0xff, v5
; %bb.1811:
	v_and_b32_e32 v3, 0x400000, v2
	v_and_or_b32 v5, 0x3fffff, v2, v5
	s_delay_alu instid0(VALU_DEP_2) | instskip(NEXT) | instid1(VALU_DEP_2)
	v_cmp_ne_u32_e32 vcc_lo, 0, v3
	v_cmp_ne_u32_e64 s0, 0, v5
	v_lshrrev_b32_e32 v3, 23, v2
	s_delay_alu instid0(VALU_DEP_2) | instskip(NEXT) | instid1(SALU_CYCLE_1)
	s_and_b32 s0, vcc_lo, s0
	v_cndmask_b32_e64 v5, 0, 1, s0
	s_delay_alu instid0(VALU_DEP_1)
	v_add_nc_u32_e32 v3, v3, v5
; %bb.1812:
	s_or_b32 exec_lo, exec_lo, s6
	s_mov_b32 s0, 0
	s_mov_b32 s6, -1
	global_store_b8 v[0:1], v3, off
.LBB200_1813:
	s_mov_b32 s7, 0
.LBB200_1814:
	s_delay_alu instid0(SALU_CYCLE_1)
	s_and_b32 vcc_lo, exec_lo, s7
	s_cbranch_vccz .LBB200_1817
; %bb.1815:
	v_cmp_eq_u16_e32 vcc_lo, 29, v7
	s_mov_b32 s0, -1
	s_cbranch_vccz .LBB200_1817
; %bb.1816:
	v_trunc_f32_e32 v3, v2
	s_mov_b32 s0, 0
	s_mov_b32 s6, -1
	s_delay_alu instid0(VALU_DEP_1) | instskip(NEXT) | instid1(VALU_DEP_1)
	v_mul_f32_e32 v5, 0x2f800000, v3
	v_floor_f32_e32 v5, v5
	s_delay_alu instid0(VALU_DEP_1) | instskip(SKIP_1) | instid1(VALU_DEP_2)
	v_fmamk_f32 v3, v5, 0xcf800000, v3
	v_cvt_u32_f32_e32 v6, v5
	v_cvt_u32_f32_e32 v5, v3
	global_store_b64 v[0:1], v[5:6], off
.LBB200_1817:
	s_mov_b32 s7, 0
.LBB200_1818:
	s_delay_alu instid0(SALU_CYCLE_1)
	s_and_b32 vcc_lo, exec_lo, s7
	s_cbranch_vccz .LBB200_1834
; %bb.1819:
	v_cmp_gt_i16_e32 vcc_lo, 27, v7
	s_mov_b32 s6, -1
	s_cbranch_vccnz .LBB200_1825
; %bb.1820:
	v_cmp_lt_i16_e32 vcc_lo, 27, v7
	v_cvt_u32_f32_e32 v3, v2
	s_cbranch_vccz .LBB200_1822
; %bb.1821:
	s_mov_b32 s6, 0
	global_store_b32 v[0:1], v3, off
.LBB200_1822:
	s_and_not1_b32 vcc_lo, exec_lo, s6
	s_cbranch_vccnz .LBB200_1824
; %bb.1823:
	global_store_b16 v[0:1], v3, off
.LBB200_1824:
	s_mov_b32 s6, 0
.LBB200_1825:
	s_delay_alu instid0(SALU_CYCLE_1)
	s_and_not1_b32 vcc_lo, exec_lo, s6
	s_cbranch_vccnz .LBB200_1833
; %bb.1826:
	v_and_b32_e32 v3, 0x7fffffff, v2
	v_mov_b32_e32 v5, 0x80
	s_mov_b32 s6, exec_lo
	s_delay_alu instid0(VALU_DEP_2)
	v_cmpx_gt_u32_e32 0x43800000, v3
	s_cbranch_execz .LBB200_1832
; %bb.1827:
	v_cmp_lt_u32_e32 vcc_lo, 0x3bffffff, v3
	s_mov_b32 s7, 0
                                        ; implicit-def: $vgpr3
	s_and_saveexec_b32 s10, vcc_lo
	s_delay_alu instid0(SALU_CYCLE_1)
	s_xor_b32 s10, exec_lo, s10
	s_cbranch_execz .LBB200_2060
; %bb.1828:
	v_bfe_u32 v3, v2, 20, 1
	s_mov_b32 s7, exec_lo
	s_delay_alu instid0(VALU_DEP_1) | instskip(NEXT) | instid1(VALU_DEP_1)
	v_add3_u32 v3, v2, v3, 0x487ffff
	v_lshrrev_b32_e32 v3, 20, v3
	s_or_saveexec_b32 s10, s10
                                        ; implicit-def: $sgpr11
	s_delay_alu instid0(SALU_CYCLE_1)
	s_xor_b32 exec_lo, exec_lo, s10
	s_cbranch_execnz .LBB200_2061
.LBB200_1829:
	s_or_b32 exec_lo, exec_lo, s10
	v_mov_b32_e32 v5, s11
	s_and_saveexec_b32 s10, s7
.LBB200_1830:
	v_lshrrev_b32_e32 v5, 24, v2
	s_delay_alu instid0(VALU_DEP_1)
	v_and_or_b32 v5, 0x80, v5, v3
.LBB200_1831:
	s_or_b32 exec_lo, exec_lo, s10
.LBB200_1832:
	s_delay_alu instid0(SALU_CYCLE_1)
	s_or_b32 exec_lo, exec_lo, s6
	global_store_b8 v[0:1], v5, off
.LBB200_1833:
	s_mov_b32 s6, -1
.LBB200_1834:
	s_mov_b32 s7, 0
.LBB200_1835:
	s_delay_alu instid0(SALU_CYCLE_1)
	s_and_b32 vcc_lo, exec_lo, s7
	s_cbranch_vccz .LBB200_1875
; %bb.1836:
	v_cmp_lt_i16_e32 vcc_lo, 22, v7
	s_mov_b32 s3, -1
	s_cbranch_vccz .LBB200_1868
; %bb.1837:
	v_cmp_gt_i16_e32 vcc_lo, 24, v7
	s_cbranch_vccnz .LBB200_1857
; %bb.1838:
	v_cmp_lt_i16_e32 vcc_lo, 24, v7
	s_cbranch_vccz .LBB200_1846
; %bb.1839:
	v_and_b32_e32 v3, 0x7fffffff, v2
	v_mov_b32_e32 v5, 0x80
	s_mov_b32 s3, exec_lo
	s_delay_alu instid0(VALU_DEP_2)
	v_cmpx_gt_u32_e32 0x47800000, v3
	s_cbranch_execz .LBB200_1845
; %bb.1840:
	v_cmp_lt_u32_e32 vcc_lo, 0x37ffffff, v3
	s_mov_b32 s6, 0
                                        ; implicit-def: $vgpr3
	s_and_saveexec_b32 s7, vcc_lo
	s_delay_alu instid0(SALU_CYCLE_1)
	s_xor_b32 s7, exec_lo, s7
	s_cbranch_execz .LBB200_2066
; %bb.1841:
	v_bfe_u32 v3, v2, 21, 1
	s_mov_b32 s6, exec_lo
	s_delay_alu instid0(VALU_DEP_1) | instskip(NEXT) | instid1(VALU_DEP_1)
	v_add3_u32 v3, v2, v3, 0x88fffff
	v_lshrrev_b32_e32 v3, 21, v3
	s_or_saveexec_b32 s7, s7
                                        ; implicit-def: $sgpr10
	s_delay_alu instid0(SALU_CYCLE_1)
	s_xor_b32 exec_lo, exec_lo, s7
	s_cbranch_execnz .LBB200_2067
.LBB200_1842:
	s_or_b32 exec_lo, exec_lo, s7
	v_mov_b32_e32 v5, s10
	s_and_saveexec_b32 s7, s6
.LBB200_1843:
	v_lshrrev_b32_e32 v5, 24, v2
	s_delay_alu instid0(VALU_DEP_1)
	v_and_or_b32 v5, 0x80, v5, v3
.LBB200_1844:
	s_or_b32 exec_lo, exec_lo, s7
.LBB200_1845:
	s_delay_alu instid0(SALU_CYCLE_1)
	s_or_b32 exec_lo, exec_lo, s3
	s_mov_b32 s3, 0
	global_store_b8 v[0:1], v5, off
.LBB200_1846:
	s_and_b32 vcc_lo, exec_lo, s3
	s_cbranch_vccz .LBB200_1856
; %bb.1847:
	v_and_b32_e32 v5, 0x7fffffff, v2
	s_mov_b32 s3, exec_lo
                                        ; implicit-def: $vgpr3
	s_delay_alu instid0(VALU_DEP_1)
	v_cmpx_gt_u32_e32 0x43f00000, v5
	s_xor_b32 s3, exec_lo, s3
	s_cbranch_execz .LBB200_1853
; %bb.1848:
	s_mov_b32 s6, exec_lo
                                        ; implicit-def: $vgpr3
	v_cmpx_lt_u32_e32 0x3c7fffff, v5
	s_xor_b32 s6, exec_lo, s6
; %bb.1849:
	v_bfe_u32 v3, v2, 20, 1
	s_delay_alu instid0(VALU_DEP_1) | instskip(NEXT) | instid1(VALU_DEP_1)
	v_add3_u32 v3, v2, v3, 0x407ffff
	v_and_b32_e32 v5, 0xff00000, v3
	v_lshrrev_b32_e32 v3, 20, v3
	s_delay_alu instid0(VALU_DEP_2) | instskip(NEXT) | instid1(VALU_DEP_2)
	v_cmp_ne_u32_e32 vcc_lo, 0x7f00000, v5
	v_cndmask_b32_e32 v3, 0x7e, v3, vcc_lo
; %bb.1850:
	s_and_not1_saveexec_b32 s6, s6
; %bb.1851:
	v_add_f32_e64 v3, 0x46800000, |v2|
; %bb.1852:
	s_or_b32 exec_lo, exec_lo, s6
                                        ; implicit-def: $vgpr5
.LBB200_1853:
	s_and_not1_saveexec_b32 s3, s3
; %bb.1854:
	v_mov_b32_e32 v3, 0x7f
	v_cmp_lt_u32_e32 vcc_lo, 0x7f800000, v5
	s_delay_alu instid0(VALU_DEP_2)
	v_cndmask_b32_e32 v3, 0x7e, v3, vcc_lo
; %bb.1855:
	s_or_b32 exec_lo, exec_lo, s3
	v_lshrrev_b32_e32 v5, 24, v2
	s_delay_alu instid0(VALU_DEP_1)
	v_and_or_b32 v3, 0x80, v5, v3
	global_store_b8 v[0:1], v3, off
.LBB200_1856:
	s_mov_b32 s3, 0
.LBB200_1857:
	s_delay_alu instid0(SALU_CYCLE_1)
	s_and_not1_b32 vcc_lo, exec_lo, s3
	s_cbranch_vccnz .LBB200_1867
; %bb.1858:
	v_and_b32_e32 v5, 0x7fffffff, v2
	s_mov_b32 s3, exec_lo
                                        ; implicit-def: $vgpr3
	s_delay_alu instid0(VALU_DEP_1)
	v_cmpx_gt_u32_e32 0x47800000, v5
	s_xor_b32 s3, exec_lo, s3
	s_cbranch_execz .LBB200_1864
; %bb.1859:
	s_mov_b32 s6, exec_lo
                                        ; implicit-def: $vgpr3
	v_cmpx_lt_u32_e32 0x387fffff, v5
	s_xor_b32 s6, exec_lo, s6
; %bb.1860:
	v_bfe_u32 v3, v2, 21, 1
	s_delay_alu instid0(VALU_DEP_1) | instskip(NEXT) | instid1(VALU_DEP_1)
	v_add3_u32 v3, v2, v3, 0x80fffff
	v_lshrrev_b32_e32 v3, 21, v3
; %bb.1861:
	s_and_not1_saveexec_b32 s6, s6
; %bb.1862:
	v_add_f32_e64 v3, 0x43000000, |v2|
; %bb.1863:
	s_or_b32 exec_lo, exec_lo, s6
                                        ; implicit-def: $vgpr5
.LBB200_1864:
	s_and_not1_saveexec_b32 s3, s3
; %bb.1865:
	v_mov_b32_e32 v3, 0x7f
	v_cmp_lt_u32_e32 vcc_lo, 0x7f800000, v5
	s_delay_alu instid0(VALU_DEP_2)
	v_cndmask_b32_e32 v3, 0x7c, v3, vcc_lo
; %bb.1866:
	s_or_b32 exec_lo, exec_lo, s3
	v_lshrrev_b32_e32 v5, 24, v2
	s_delay_alu instid0(VALU_DEP_1)
	v_and_or_b32 v3, 0x80, v5, v3
	global_store_b8 v[0:1], v3, off
.LBB200_1867:
	s_mov_b32 s3, 0
	s_mov_b32 s6, -1
.LBB200_1868:
	s_and_not1_b32 vcc_lo, exec_lo, s3
	s_mov_b32 s3, 0
	s_cbranch_vccnz .LBB200_1875
; %bb.1869:
	v_cmp_lt_i16_e32 vcc_lo, 14, v7
	s_mov_b32 s3, -1
	s_cbranch_vccz .LBB200_1873
; %bb.1870:
	v_cmp_eq_u16_e32 vcc_lo, 15, v7
	s_mov_b32 s0, -1
	s_cbranch_vccz .LBB200_1872
; %bb.1871:
	v_bfe_u32 v3, v2, 16, 1
	v_cmp_o_f32_e32 vcc_lo, v2, v2
	s_mov_b32 s0, 0
	s_mov_b32 s6, -1
	s_delay_alu instid0(VALU_DEP_2) | instskip(NEXT) | instid1(VALU_DEP_1)
	v_add3_u32 v3, v2, v3, 0x7fff
	v_lshrrev_b32_e32 v3, 16, v3
	s_delay_alu instid0(VALU_DEP_1)
	v_cndmask_b32_e32 v3, 0x7fc0, v3, vcc_lo
	global_store_b16 v[0:1], v3, off
.LBB200_1872:
	s_mov_b32 s3, 0
.LBB200_1873:
	s_delay_alu instid0(SALU_CYCLE_1)
	s_and_b32 vcc_lo, exec_lo, s3
	s_mov_b32 s3, 0
	s_cbranch_vccz .LBB200_1875
; %bb.1874:
	v_cmp_ne_u16_e64 s0, 11, v7
	s_mov_b32 s3, -1
.LBB200_1875:
	s_delay_alu instid0(VALU_DEP_1)
	s_and_b32 vcc_lo, exec_lo, s0
	s_cbranch_vccnz .LBB200_2064
; %bb.1876:
	s_and_not1_b32 vcc_lo, exec_lo, s3
	s_cbranch_vccnz .LBB200_1878
.LBB200_1877:
	v_cmp_neq_f32_e32 vcc_lo, 0, v2
	s_mov_b32 s6, -1
	v_cndmask_b32_e64 v3, 0, 1, vcc_lo
	global_store_b8 v[0:1], v3, off
.LBB200_1878:
	s_mov_b32 s0, 0
	s_branch .LBB200_1880
.LBB200_1879:
	s_mov_b32 s0, -1
	s_mov_b32 s6, 0
.LBB200_1880:
	s_and_b32 vcc_lo, exec_lo, s0
	s_cbranch_vccz .LBB200_1919
; %bb.1881:
	v_cmp_gt_i16_e32 vcc_lo, 5, v7
	s_mov_b32 s0, -1
	s_cbranch_vccnz .LBB200_1902
; %bb.1882:
	v_cmp_gt_i16_e32 vcc_lo, 8, v7
	s_cbranch_vccnz .LBB200_1892
; %bb.1883:
	v_cmp_gt_i16_e32 vcc_lo, 9, v7
	s_cbranch_vccnz .LBB200_1889
; %bb.1884:
	v_cmp_lt_i16_e32 vcc_lo, 9, v7
	s_cbranch_vccz .LBB200_1886
; %bb.1885:
	v_cvt_f64_f32_e32 v[10:11], v2
	v_mov_b32_e32 v12, 0
	s_mov_b32 s0, 0
	s_delay_alu instid0(VALU_DEP_1)
	v_mov_b32_e32 v13, v12
	global_store_b128 v[0:1], v[10:13], off
.LBB200_1886:
	s_and_not1_b32 vcc_lo, exec_lo, s0
	s_cbranch_vccnz .LBB200_1888
; %bb.1887:
	v_mov_b32_e32 v3, 0
	global_store_b64 v[0:1], v[2:3], off
.LBB200_1888:
	s_mov_b32 s0, 0
.LBB200_1889:
	s_delay_alu instid0(SALU_CYCLE_1)
	s_and_not1_b32 vcc_lo, exec_lo, s0
	s_cbranch_vccnz .LBB200_1891
; %bb.1890:
	v_cvt_f16_f32_e32 v3, v2
	s_delay_alu instid0(VALU_DEP_1)
	v_and_b32_e32 v3, 0xffff, v3
	global_store_b32 v[0:1], v3, off
.LBB200_1891:
	s_mov_b32 s0, 0
.LBB200_1892:
	s_delay_alu instid0(SALU_CYCLE_1)
	s_and_not1_b32 vcc_lo, exec_lo, s0
	s_cbranch_vccnz .LBB200_1901
; %bb.1893:
	v_cmp_gt_i16_e32 vcc_lo, 6, v7
	s_mov_b32 s0, -1
	s_cbranch_vccnz .LBB200_1899
; %bb.1894:
	v_cmp_lt_i16_e32 vcc_lo, 6, v7
	s_cbranch_vccz .LBB200_1896
; %bb.1895:
	v_cvt_f64_f32_e32 v[5:6], v2
	s_mov_b32 s0, 0
	global_store_b64 v[0:1], v[5:6], off
.LBB200_1896:
	s_and_not1_b32 vcc_lo, exec_lo, s0
	s_cbranch_vccnz .LBB200_1898
; %bb.1897:
	global_store_b32 v[0:1], v2, off
.LBB200_1898:
	s_mov_b32 s0, 0
.LBB200_1899:
	s_delay_alu instid0(SALU_CYCLE_1)
	s_and_not1_b32 vcc_lo, exec_lo, s0
	s_cbranch_vccnz .LBB200_1901
; %bb.1900:
	v_cvt_f16_f32_e32 v3, v2
	global_store_b16 v[0:1], v3, off
.LBB200_1901:
	s_mov_b32 s0, 0
.LBB200_1902:
	s_delay_alu instid0(SALU_CYCLE_1)
	s_and_not1_b32 vcc_lo, exec_lo, s0
	s_cbranch_vccnz .LBB200_1918
; %bb.1903:
	v_cmp_gt_i16_e32 vcc_lo, 2, v7
	s_mov_b32 s0, -1
	s_cbranch_vccnz .LBB200_1913
; %bb.1904:
	v_cmp_gt_i16_e32 vcc_lo, 3, v7
	s_cbranch_vccnz .LBB200_1910
; %bb.1905:
	v_cmp_lt_i16_e32 vcc_lo, 3, v7
	s_cbranch_vccz .LBB200_1907
; %bb.1906:
	v_trunc_f32_e32 v3, v2
	s_mov_b32 s0, 0
	s_delay_alu instid0(VALU_DEP_1) | instskip(NEXT) | instid1(VALU_DEP_1)
	v_mul_f32_e64 v5, 0x2f800000, |v3|
	v_floor_f32_e32 v5, v5
	s_delay_alu instid0(VALU_DEP_1) | instskip(SKIP_2) | instid1(VALU_DEP_3)
	v_fma_f32 v6, 0xcf800000, v5, |v3|
	v_ashrrev_i32_e32 v3, 31, v3
	v_cvt_u32_f32_e32 v5, v5
	v_cvt_u32_f32_e32 v6, v6
	s_delay_alu instid0(VALU_DEP_2) | instskip(NEXT) | instid1(VALU_DEP_2)
	v_xor_b32_e32 v8, v5, v3
	v_xor_b32_e32 v6, v6, v3
	s_delay_alu instid0(VALU_DEP_1) | instskip(NEXT) | instid1(VALU_DEP_3)
	v_sub_co_u32 v5, vcc_lo, v6, v3
	v_sub_co_ci_u32_e32 v6, vcc_lo, v8, v3, vcc_lo
	global_store_b64 v[0:1], v[5:6], off
.LBB200_1907:
	s_and_not1_b32 vcc_lo, exec_lo, s0
	s_cbranch_vccnz .LBB200_1909
; %bb.1908:
	v_cvt_i32_f32_e32 v3, v2
	global_store_b32 v[0:1], v3, off
.LBB200_1909:
	s_mov_b32 s0, 0
.LBB200_1910:
	s_delay_alu instid0(SALU_CYCLE_1)
	s_and_not1_b32 vcc_lo, exec_lo, s0
	s_cbranch_vccnz .LBB200_1912
; %bb.1911:
	v_cvt_i32_f32_e32 v3, v2
	global_store_b16 v[0:1], v3, off
.LBB200_1912:
	s_mov_b32 s0, 0
.LBB200_1913:
	s_delay_alu instid0(SALU_CYCLE_1)
	s_and_not1_b32 vcc_lo, exec_lo, s0
	s_cbranch_vccnz .LBB200_1918
; %bb.1914:
	v_cmp_lt_i16_e32 vcc_lo, 0, v7
	s_mov_b32 s0, -1
	s_cbranch_vccz .LBB200_1916
; %bb.1915:
	v_cvt_i32_f32_e32 v3, v2
	s_mov_b32 s0, 0
	global_store_b8 v[0:1], v3, off
.LBB200_1916:
	s_and_not1_b32 vcc_lo, exec_lo, s0
	s_cbranch_vccnz .LBB200_1918
; %bb.1917:
	v_trunc_f32_e32 v2, v2
	s_delay_alu instid0(VALU_DEP_1) | instskip(NEXT) | instid1(VALU_DEP_1)
	v_mul_f32_e64 v3, 0x2f800000, |v2|
	v_floor_f32_e32 v3, v3
	s_delay_alu instid0(VALU_DEP_1) | instskip(SKIP_1) | instid1(VALU_DEP_2)
	v_fma_f32 v3, 0xcf800000, v3, |v2|
	v_ashrrev_i32_e32 v2, 31, v2
	v_cvt_u32_f32_e32 v3, v3
	s_delay_alu instid0(VALU_DEP_1) | instskip(NEXT) | instid1(VALU_DEP_1)
	v_xor_b32_e32 v3, v3, v2
	v_sub_nc_u32_e32 v2, v3, v2
	global_store_b8 v[0:1], v2, off
.LBB200_1918:
	s_mov_b32 s6, -1
.LBB200_1919:
	s_delay_alu instid0(SALU_CYCLE_1)
	s_and_not1_b32 vcc_lo, exec_lo, s6
	s_cbranch_vccnz .LBB200_1996
; %bb.1920:
	v_cvt_f64_f32_e32 v[0:1], v9
	s_delay_alu instid0(VALU_DEP_1) | instskip(SKIP_3) | instid1(VALU_DEP_2)
	v_rsq_f64_e32 v[2:3], v[0:1]
	s_waitcnt_depctr 0xfff
	v_mul_f64 v[0:1], v[2:3], -v[0:1]
	v_cmp_class_f64_e64 vcc_lo, v[2:3], 0x180
	v_fma_f64 v[0:1], v[0:1], v[2:3], 1.0
	s_delay_alu instid0(VALU_DEP_1) | instskip(SKIP_1) | instid1(VALU_DEP_1)
	v_mul_f64 v[5:6], v[2:3], v[0:1]
	v_fma_f64 v[0:1], 0x3fd80000, v[0:1], 0.5
	v_fma_f64 v[0:1], v[5:6], v[0:1], v[2:3]
	s_delay_alu instid0(VALU_DEP_1) | instskip(SKIP_1) | instid1(VALU_DEP_2)
	v_dual_cndmask_b32 v1, v3, v1 :: v_dual_cndmask_b32 v0, v2, v0
	v_cmp_gt_i16_e32 vcc_lo, 11, v7
	v_cvt_f32_f64_e32 v2, v[0:1]
	v_add_nc_u32_e32 v0, s2, v4
	s_delay_alu instid0(VALU_DEP_1) | instskip(SKIP_1) | instid1(VALU_DEP_1)
	v_ashrrev_i32_e32 v1, 31, v0
	v_add_co_u32 v0, s0, s4, v0
	v_add_co_ci_u32_e64 v1, s0, s5, v1, s0
	s_cbranch_vccnz .LBB200_2041
; %bb.1921:
	v_cmp_lt_i16_e32 vcc_lo, 25, v7
	s_mov_b32 s3, -1
	s_mov_b32 s2, 0
	s_mov_b32 s0, 0
	s_cbranch_vccz .LBB200_1954
; %bb.1922:
	v_cmp_lt_i16_e32 vcc_lo, 28, v7
	s_cbranch_vccz .LBB200_1938
; %bb.1923:
	v_cmp_lt_i16_e32 vcc_lo, 43, v7
	;; [unrolled: 3-line block ×3, first 2 shown]
	s_cbranch_vccz .LBB200_1928
; %bb.1925:
	v_cmp_eq_u16_e32 vcc_lo, 46, v7
	s_mov_b32 s0, -1
	s_cbranch_vccz .LBB200_1927
; %bb.1926:
	v_bfe_u32 v3, v2, 16, 1
	v_cmp_o_f32_e32 vcc_lo, v2, v2
	s_mov_b32 s0, 0
	s_delay_alu instid0(VALU_DEP_2) | instskip(NEXT) | instid1(VALU_DEP_1)
	v_add3_u32 v3, v2, v3, 0x7fff
	v_lshrrev_b32_e32 v3, 16, v3
	s_delay_alu instid0(VALU_DEP_1)
	v_cndmask_b32_e32 v3, 0x7fc0, v3, vcc_lo
	global_store_b32 v[0:1], v3, off
.LBB200_1927:
	s_mov_b32 s3, 0
.LBB200_1928:
	s_delay_alu instid0(SALU_CYCLE_1)
	s_and_b32 vcc_lo, exec_lo, s3
	s_cbranch_vccz .LBB200_1933
; %bb.1929:
	v_cmp_eq_u16_e32 vcc_lo, 44, v7
	s_mov_b32 s0, -1
	s_cbranch_vccz .LBB200_1933
; %bb.1930:
	v_bfe_u32 v4, v2, 23, 8
	v_mov_b32_e32 v3, 0xff
	s_mov_b32 s3, exec_lo
	s_delay_alu instid0(VALU_DEP_2)
	v_cmpx_ne_u32_e32 0xff, v4
; %bb.1931:
	v_and_b32_e32 v3, 0x400000, v2
	v_and_or_b32 v4, 0x3fffff, v2, v4
	s_delay_alu instid0(VALU_DEP_2) | instskip(NEXT) | instid1(VALU_DEP_2)
	v_cmp_ne_u32_e32 vcc_lo, 0, v3
	v_cmp_ne_u32_e64 s0, 0, v4
	v_lshrrev_b32_e32 v3, 23, v2
	s_delay_alu instid0(VALU_DEP_2) | instskip(NEXT) | instid1(SALU_CYCLE_1)
	s_and_b32 s0, vcc_lo, s0
	v_cndmask_b32_e64 v4, 0, 1, s0
	s_delay_alu instid0(VALU_DEP_1)
	v_add_nc_u32_e32 v3, v3, v4
; %bb.1932:
	s_or_b32 exec_lo, exec_lo, s3
	s_mov_b32 s0, 0
	global_store_b8 v[0:1], v3, off
.LBB200_1933:
	s_mov_b32 s3, 0
.LBB200_1934:
	s_delay_alu instid0(SALU_CYCLE_1)
	s_and_b32 vcc_lo, exec_lo, s3
	s_cbranch_vccz .LBB200_1937
; %bb.1935:
	v_cmp_eq_u16_e32 vcc_lo, 29, v7
	s_mov_b32 s0, -1
	s_cbranch_vccz .LBB200_1937
; %bb.1936:
	v_trunc_f32_e32 v3, v2
	s_mov_b32 s0, 0
	s_delay_alu instid0(VALU_DEP_1) | instskip(NEXT) | instid1(VALU_DEP_1)
	v_mul_f32_e32 v4, 0x2f800000, v3
	v_floor_f32_e32 v4, v4
	s_delay_alu instid0(VALU_DEP_1) | instskip(SKIP_1) | instid1(VALU_DEP_2)
	v_fmamk_f32 v3, v4, 0xcf800000, v3
	v_cvt_u32_f32_e32 v4, v4
	v_cvt_u32_f32_e32 v3, v3
	global_store_b64 v[0:1], v[3:4], off
.LBB200_1937:
	s_mov_b32 s3, 0
.LBB200_1938:
	s_delay_alu instid0(SALU_CYCLE_1)
	s_and_b32 vcc_lo, exec_lo, s3
	s_cbranch_vccz .LBB200_1953
; %bb.1939:
	v_cmp_gt_i16_e32 vcc_lo, 27, v7
	s_mov_b32 s3, -1
	s_cbranch_vccnz .LBB200_1945
; %bb.1940:
	v_cmp_lt_i16_e32 vcc_lo, 27, v7
	v_cvt_u32_f32_e32 v3, v2
	s_cbranch_vccz .LBB200_1942
; %bb.1941:
	s_mov_b32 s3, 0
	global_store_b32 v[0:1], v3, off
.LBB200_1942:
	s_and_not1_b32 vcc_lo, exec_lo, s3
	s_cbranch_vccnz .LBB200_1944
; %bb.1943:
	global_store_b16 v[0:1], v3, off
.LBB200_1944:
	s_mov_b32 s3, 0
.LBB200_1945:
	s_delay_alu instid0(SALU_CYCLE_1)
	s_and_not1_b32 vcc_lo, exec_lo, s3
	s_cbranch_vccnz .LBB200_1953
; %bb.1946:
	v_and_b32_e32 v3, 0x7fffffff, v2
	v_mov_b32_e32 v4, 0x80
	s_mov_b32 s3, exec_lo
	s_delay_alu instid0(VALU_DEP_2)
	v_cmpx_gt_u32_e32 0x43800000, v3
	s_cbranch_execz .LBB200_1952
; %bb.1947:
	v_cmp_lt_u32_e32 vcc_lo, 0x3bffffff, v3
	s_mov_b32 s4, 0
                                        ; implicit-def: $vgpr3
	s_and_saveexec_b32 s5, vcc_lo
	s_delay_alu instid0(SALU_CYCLE_1)
	s_xor_b32 s5, exec_lo, s5
	s_cbranch_execz .LBB200_2068
; %bb.1948:
	v_bfe_u32 v3, v2, 20, 1
	s_mov_b32 s4, exec_lo
	s_delay_alu instid0(VALU_DEP_1) | instskip(NEXT) | instid1(VALU_DEP_1)
	v_add3_u32 v3, v2, v3, 0x487ffff
	v_lshrrev_b32_e32 v3, 20, v3
	s_or_saveexec_b32 s5, s5
                                        ; implicit-def: $sgpr6
	s_delay_alu instid0(SALU_CYCLE_1)
	s_xor_b32 exec_lo, exec_lo, s5
	s_cbranch_execnz .LBB200_2069
.LBB200_1949:
	s_or_b32 exec_lo, exec_lo, s5
	v_mov_b32_e32 v4, s6
	s_and_saveexec_b32 s5, s4
.LBB200_1950:
	v_lshrrev_b32_e32 v4, 24, v2
	s_delay_alu instid0(VALU_DEP_1)
	v_and_or_b32 v4, 0x80, v4, v3
.LBB200_1951:
	s_or_b32 exec_lo, exec_lo, s5
.LBB200_1952:
	s_delay_alu instid0(SALU_CYCLE_1)
	s_or_b32 exec_lo, exec_lo, s3
	global_store_b8 v[0:1], v4, off
.LBB200_1953:
	s_mov_b32 s3, 0
.LBB200_1954:
	s_delay_alu instid0(SALU_CYCLE_1)
	s_and_b32 vcc_lo, exec_lo, s3
	s_cbranch_vccz .LBB200_1994
; %bb.1955:
	v_cmp_lt_i16_e32 vcc_lo, 22, v7
	s_mov_b32 s2, -1
	s_cbranch_vccz .LBB200_1987
; %bb.1956:
	v_cmp_gt_i16_e32 vcc_lo, 24, v7
	s_cbranch_vccnz .LBB200_1976
; %bb.1957:
	v_cmp_lt_i16_e32 vcc_lo, 24, v7
	s_cbranch_vccz .LBB200_1965
; %bb.1958:
	v_and_b32_e32 v3, 0x7fffffff, v2
	v_mov_b32_e32 v4, 0x80
	s_mov_b32 s2, exec_lo
	s_delay_alu instid0(VALU_DEP_2)
	v_cmpx_gt_u32_e32 0x47800000, v3
	s_cbranch_execz .LBB200_1964
; %bb.1959:
	v_cmp_lt_u32_e32 vcc_lo, 0x37ffffff, v3
	s_mov_b32 s3, 0
                                        ; implicit-def: $vgpr3
	s_and_saveexec_b32 s4, vcc_lo
	s_delay_alu instid0(SALU_CYCLE_1)
	s_xor_b32 s4, exec_lo, s4
	s_cbranch_execz .LBB200_2074
; %bb.1960:
	v_bfe_u32 v3, v2, 21, 1
	s_mov_b32 s3, exec_lo
	s_delay_alu instid0(VALU_DEP_1) | instskip(NEXT) | instid1(VALU_DEP_1)
	v_add3_u32 v3, v2, v3, 0x88fffff
	v_lshrrev_b32_e32 v3, 21, v3
	s_or_saveexec_b32 s4, s4
                                        ; implicit-def: $sgpr5
	s_delay_alu instid0(SALU_CYCLE_1)
	s_xor_b32 exec_lo, exec_lo, s4
	s_cbranch_execnz .LBB200_2075
.LBB200_1961:
	s_or_b32 exec_lo, exec_lo, s4
	v_mov_b32_e32 v4, s5
	s_and_saveexec_b32 s4, s3
.LBB200_1962:
	v_lshrrev_b32_e32 v4, 24, v2
	s_delay_alu instid0(VALU_DEP_1)
	v_and_or_b32 v4, 0x80, v4, v3
.LBB200_1963:
	s_or_b32 exec_lo, exec_lo, s4
.LBB200_1964:
	s_delay_alu instid0(SALU_CYCLE_1)
	s_or_b32 exec_lo, exec_lo, s2
	s_mov_b32 s2, 0
	global_store_b8 v[0:1], v4, off
.LBB200_1965:
	s_and_b32 vcc_lo, exec_lo, s2
	s_cbranch_vccz .LBB200_1975
; %bb.1966:
	v_and_b32_e32 v4, 0x7fffffff, v2
	s_mov_b32 s2, exec_lo
                                        ; implicit-def: $vgpr3
	s_delay_alu instid0(VALU_DEP_1)
	v_cmpx_gt_u32_e32 0x43f00000, v4
	s_xor_b32 s2, exec_lo, s2
	s_cbranch_execz .LBB200_1972
; %bb.1967:
	s_mov_b32 s3, exec_lo
                                        ; implicit-def: $vgpr3
	v_cmpx_lt_u32_e32 0x3c7fffff, v4
	s_xor_b32 s3, exec_lo, s3
; %bb.1968:
	v_bfe_u32 v3, v2, 20, 1
	s_delay_alu instid0(VALU_DEP_1) | instskip(NEXT) | instid1(VALU_DEP_1)
	v_add3_u32 v3, v2, v3, 0x407ffff
	v_and_b32_e32 v4, 0xff00000, v3
	v_lshrrev_b32_e32 v3, 20, v3
	s_delay_alu instid0(VALU_DEP_2) | instskip(NEXT) | instid1(VALU_DEP_2)
	v_cmp_ne_u32_e32 vcc_lo, 0x7f00000, v4
	v_cndmask_b32_e32 v3, 0x7e, v3, vcc_lo
; %bb.1969:
	s_and_not1_saveexec_b32 s3, s3
; %bb.1970:
	v_add_f32_e64 v3, 0x46800000, |v2|
; %bb.1971:
	s_or_b32 exec_lo, exec_lo, s3
                                        ; implicit-def: $vgpr4
.LBB200_1972:
	s_and_not1_saveexec_b32 s2, s2
; %bb.1973:
	v_mov_b32_e32 v3, 0x7f
	v_cmp_lt_u32_e32 vcc_lo, 0x7f800000, v4
	s_delay_alu instid0(VALU_DEP_2)
	v_cndmask_b32_e32 v3, 0x7e, v3, vcc_lo
; %bb.1974:
	s_or_b32 exec_lo, exec_lo, s2
	v_lshrrev_b32_e32 v4, 24, v2
	s_delay_alu instid0(VALU_DEP_1)
	v_and_or_b32 v3, 0x80, v4, v3
	global_store_b8 v[0:1], v3, off
.LBB200_1975:
	s_mov_b32 s2, 0
.LBB200_1976:
	s_delay_alu instid0(SALU_CYCLE_1)
	s_and_not1_b32 vcc_lo, exec_lo, s2
	s_cbranch_vccnz .LBB200_1986
; %bb.1977:
	v_and_b32_e32 v4, 0x7fffffff, v2
	s_mov_b32 s2, exec_lo
                                        ; implicit-def: $vgpr3
	s_delay_alu instid0(VALU_DEP_1)
	v_cmpx_gt_u32_e32 0x47800000, v4
	s_xor_b32 s2, exec_lo, s2
	s_cbranch_execz .LBB200_1983
; %bb.1978:
	s_mov_b32 s3, exec_lo
                                        ; implicit-def: $vgpr3
	v_cmpx_lt_u32_e32 0x387fffff, v4
	s_xor_b32 s3, exec_lo, s3
; %bb.1979:
	v_bfe_u32 v3, v2, 21, 1
	s_delay_alu instid0(VALU_DEP_1) | instskip(NEXT) | instid1(VALU_DEP_1)
	v_add3_u32 v3, v2, v3, 0x80fffff
	v_lshrrev_b32_e32 v3, 21, v3
; %bb.1980:
	s_and_not1_saveexec_b32 s3, s3
; %bb.1981:
	v_add_f32_e64 v3, 0x43000000, |v2|
; %bb.1982:
	s_or_b32 exec_lo, exec_lo, s3
                                        ; implicit-def: $vgpr4
.LBB200_1983:
	s_and_not1_saveexec_b32 s2, s2
; %bb.1984:
	v_mov_b32_e32 v3, 0x7f
	v_cmp_lt_u32_e32 vcc_lo, 0x7f800000, v4
	s_delay_alu instid0(VALU_DEP_2)
	v_cndmask_b32_e32 v3, 0x7c, v3, vcc_lo
; %bb.1985:
	s_or_b32 exec_lo, exec_lo, s2
	v_lshrrev_b32_e32 v4, 24, v2
	s_delay_alu instid0(VALU_DEP_1)
	v_and_or_b32 v3, 0x80, v4, v3
	global_store_b8 v[0:1], v3, off
.LBB200_1986:
	s_mov_b32 s2, 0
.LBB200_1987:
	s_delay_alu instid0(SALU_CYCLE_1)
	s_and_not1_b32 vcc_lo, exec_lo, s2
	s_mov_b32 s2, 0
	s_cbranch_vccnz .LBB200_1994
; %bb.1988:
	v_cmp_lt_i16_e32 vcc_lo, 14, v7
	s_mov_b32 s2, -1
	s_cbranch_vccz .LBB200_1992
; %bb.1989:
	v_cmp_eq_u16_e32 vcc_lo, 15, v7
	s_mov_b32 s0, -1
	s_cbranch_vccz .LBB200_1991
; %bb.1990:
	v_bfe_u32 v3, v2, 16, 1
	v_cmp_o_f32_e32 vcc_lo, v2, v2
	s_mov_b32 s0, 0
	s_delay_alu instid0(VALU_DEP_2) | instskip(NEXT) | instid1(VALU_DEP_1)
	v_add3_u32 v3, v2, v3, 0x7fff
	v_lshrrev_b32_e32 v3, 16, v3
	s_delay_alu instid0(VALU_DEP_1)
	v_cndmask_b32_e32 v3, 0x7fc0, v3, vcc_lo
	global_store_b16 v[0:1], v3, off
.LBB200_1991:
	s_mov_b32 s2, 0
.LBB200_1992:
	s_delay_alu instid0(SALU_CYCLE_1)
	s_and_b32 vcc_lo, exec_lo, s2
	s_mov_b32 s2, 0
	s_cbranch_vccz .LBB200_1994
; %bb.1993:
	v_cmp_ne_u16_e64 s0, 11, v7
	s_mov_b32 s2, -1
.LBB200_1994:
	s_delay_alu instid0(VALU_DEP_1)
	s_and_b32 vcc_lo, exec_lo, s0
	s_cbranch_vccnz .LBB200_2072
.LBB200_1995:
	s_mov_b32 s0, 0
	s_branch .LBB200_1997
.LBB200_1996:
	s_mov_b32 s0, 0
	s_mov_b32 s2, 0
                                        ; implicit-def: $vgpr7
                                        ; implicit-def: $vgpr0_vgpr1
                                        ; implicit-def: $vgpr2
.LBB200_1997:
	s_and_not1_b32 s3, s9, exec_lo
	s_and_b32 s4, s1, exec_lo
	s_and_b32 s0, s0, exec_lo
	;; [unrolled: 1-line block ×3, first 2 shown]
	s_or_b32 s9, s3, s4
.LBB200_1998:
	s_or_b32 exec_lo, exec_lo, s8
	s_and_saveexec_b32 s2, s9
	s_cbranch_execz .LBB200_2001
; %bb.1999:
	; divergent unreachable
	s_or_b32 exec_lo, exec_lo, s2
	s_and_saveexec_b32 s2, s1
	s_delay_alu instid0(SALU_CYCLE_1)
	s_xor_b32 s1, exec_lo, s2
	s_cbranch_execnz .LBB200_2002
.LBB200_2000:
	s_or_b32 exec_lo, exec_lo, s1
	s_and_saveexec_b32 s1, s0
	s_cbranch_execnz .LBB200_2003
	s_branch .LBB200_2040
.LBB200_2001:
	s_or_b32 exec_lo, exec_lo, s2
	s_and_saveexec_b32 s2, s1
	s_delay_alu instid0(SALU_CYCLE_1)
	s_xor_b32 s1, exec_lo, s2
	s_cbranch_execz .LBB200_2000
.LBB200_2002:
	s_waitcnt vmcnt(0)
	s_delay_alu instid0(VALU_DEP_1)
	v_cmp_neq_f32_e32 vcc_lo, 0, v2
	v_cndmask_b32_e64 v3, 0, 1, vcc_lo
	global_store_b8 v[0:1], v3, off
	s_or_b32 exec_lo, exec_lo, s1
	s_and_saveexec_b32 s1, s0
	s_cbranch_execz .LBB200_2040
.LBB200_2003:
	v_cmp_gt_i16_e32 vcc_lo, 5, v7
	s_mov_b32 s0, -1
	s_cbranch_vccnz .LBB200_2024
; %bb.2004:
	v_cmp_gt_i16_e32 vcc_lo, 8, v7
	s_cbranch_vccnz .LBB200_2014
; %bb.2005:
	v_cmp_gt_i16_e32 vcc_lo, 9, v7
	s_cbranch_vccnz .LBB200_2011
; %bb.2006:
	v_cmp_lt_i16_e32 vcc_lo, 9, v7
	s_cbranch_vccz .LBB200_2008
; %bb.2007:
	s_waitcnt vmcnt(0)
	v_cvt_f64_f32_e32 v[3:4], v2
	v_mov_b32_e32 v5, 0
	s_mov_b32 s0, 0
	s_delay_alu instid0(VALU_DEP_1)
	v_mov_b32_e32 v6, v5
	global_store_b128 v[0:1], v[3:6], off
.LBB200_2008:
	s_and_not1_b32 vcc_lo, exec_lo, s0
	s_cbranch_vccnz .LBB200_2010
; %bb.2009:
	s_waitcnt vmcnt(0)
	v_mov_b32_e32 v3, 0
	global_store_b64 v[0:1], v[2:3], off
.LBB200_2010:
	s_mov_b32 s0, 0
.LBB200_2011:
	s_delay_alu instid0(SALU_CYCLE_1)
	s_and_not1_b32 vcc_lo, exec_lo, s0
	s_cbranch_vccnz .LBB200_2013
; %bb.2012:
	s_waitcnt vmcnt(0)
	v_cvt_f16_f32_e32 v3, v2
	s_delay_alu instid0(VALU_DEP_1)
	v_and_b32_e32 v3, 0xffff, v3
	global_store_b32 v[0:1], v3, off
.LBB200_2013:
	s_mov_b32 s0, 0
.LBB200_2014:
	s_delay_alu instid0(SALU_CYCLE_1)
	s_and_not1_b32 vcc_lo, exec_lo, s0
	s_cbranch_vccnz .LBB200_2023
; %bb.2015:
	v_cmp_gt_i16_e32 vcc_lo, 6, v7
	s_mov_b32 s0, -1
	s_cbranch_vccnz .LBB200_2021
; %bb.2016:
	v_cmp_lt_i16_e32 vcc_lo, 6, v7
	s_cbranch_vccz .LBB200_2018
; %bb.2017:
	s_waitcnt vmcnt(0)
	v_cvt_f64_f32_e32 v[3:4], v2
	s_mov_b32 s0, 0
	global_store_b64 v[0:1], v[3:4], off
.LBB200_2018:
	s_and_not1_b32 vcc_lo, exec_lo, s0
	s_cbranch_vccnz .LBB200_2020
; %bb.2019:
	s_waitcnt vmcnt(0)
	global_store_b32 v[0:1], v2, off
.LBB200_2020:
	s_mov_b32 s0, 0
.LBB200_2021:
	s_delay_alu instid0(SALU_CYCLE_1)
	s_and_not1_b32 vcc_lo, exec_lo, s0
	s_cbranch_vccnz .LBB200_2023
; %bb.2022:
	s_waitcnt vmcnt(0)
	v_cvt_f16_f32_e32 v3, v2
	global_store_b16 v[0:1], v3, off
.LBB200_2023:
	s_mov_b32 s0, 0
.LBB200_2024:
	s_delay_alu instid0(SALU_CYCLE_1)
	s_and_not1_b32 vcc_lo, exec_lo, s0
	s_cbranch_vccnz .LBB200_2040
; %bb.2025:
	v_cmp_gt_i16_e32 vcc_lo, 2, v7
	s_mov_b32 s0, -1
	s_cbranch_vccnz .LBB200_2035
; %bb.2026:
	v_cmp_gt_i16_e32 vcc_lo, 3, v7
	s_cbranch_vccnz .LBB200_2032
; %bb.2027:
	v_cmp_lt_i16_e32 vcc_lo, 3, v7
	s_cbranch_vccz .LBB200_2029
; %bb.2028:
	s_waitcnt vmcnt(0)
	v_trunc_f32_e32 v3, v2
	s_mov_b32 s0, 0
	s_delay_alu instid0(VALU_DEP_1) | instskip(SKIP_1) | instid1(VALU_DEP_2)
	v_mul_f32_e64 v4, 0x2f800000, |v3|
	v_ashrrev_i32_e32 v6, 31, v3
	v_floor_f32_e32 v4, v4
	s_delay_alu instid0(VALU_DEP_1) | instskip(SKIP_1) | instid1(VALU_DEP_2)
	v_fma_f32 v5, 0xcf800000, v4, |v3|
	v_cvt_u32_f32_e32 v4, v4
	v_cvt_u32_f32_e32 v3, v5
	s_delay_alu instid0(VALU_DEP_2) | instskip(NEXT) | instid1(VALU_DEP_2)
	v_xor_b32_e32 v4, v4, v6
	v_xor_b32_e32 v3, v3, v6
	s_delay_alu instid0(VALU_DEP_1) | instskip(NEXT) | instid1(VALU_DEP_3)
	v_sub_co_u32 v3, vcc_lo, v3, v6
	v_sub_co_ci_u32_e32 v4, vcc_lo, v4, v6, vcc_lo
	global_store_b64 v[0:1], v[3:4], off
.LBB200_2029:
	s_and_not1_b32 vcc_lo, exec_lo, s0
	s_cbranch_vccnz .LBB200_2031
; %bb.2030:
	s_waitcnt vmcnt(0)
	v_cvt_i32_f32_e32 v3, v2
	global_store_b32 v[0:1], v3, off
.LBB200_2031:
	s_mov_b32 s0, 0
.LBB200_2032:
	s_delay_alu instid0(SALU_CYCLE_1)
	s_and_not1_b32 vcc_lo, exec_lo, s0
	s_cbranch_vccnz .LBB200_2034
; %bb.2033:
	s_waitcnt vmcnt(0)
	v_cvt_i32_f32_e32 v3, v2
	global_store_b16 v[0:1], v3, off
.LBB200_2034:
	s_mov_b32 s0, 0
.LBB200_2035:
	s_delay_alu instid0(SALU_CYCLE_1)
	s_and_not1_b32 vcc_lo, exec_lo, s0
	s_cbranch_vccnz .LBB200_2040
; %bb.2036:
	v_cmp_lt_i16_e32 vcc_lo, 0, v7
	s_mov_b32 s0, -1
	s_cbranch_vccz .LBB200_2038
; %bb.2037:
	s_waitcnt vmcnt(0)
	v_cvt_i32_f32_e32 v3, v2
	s_mov_b32 s0, 0
	global_store_b8 v[0:1], v3, off
.LBB200_2038:
	s_and_not1_b32 vcc_lo, exec_lo, s0
	s_cbranch_vccnz .LBB200_2040
; %bb.2039:
	s_waitcnt vmcnt(0)
	v_trunc_f32_e32 v2, v2
	s_delay_alu instid0(VALU_DEP_1) | instskip(NEXT) | instid1(VALU_DEP_1)
	v_mul_f32_e64 v3, 0x2f800000, |v2|
	v_floor_f32_e32 v3, v3
	s_delay_alu instid0(VALU_DEP_1) | instskip(SKIP_1) | instid1(VALU_DEP_2)
	v_fma_f32 v3, 0xcf800000, v3, |v2|
	v_ashrrev_i32_e32 v2, 31, v2
	v_cvt_u32_f32_e32 v3, v3
	s_delay_alu instid0(VALU_DEP_1) | instskip(NEXT) | instid1(VALU_DEP_1)
	v_xor_b32_e32 v3, v3, v2
	v_sub_nc_u32_e32 v2, v3, v2
	global_store_b8 v[0:1], v2, off
	s_nop 0
	s_sendmsg sendmsg(MSG_DEALLOC_VGPRS)
	s_endpgm
.LBB200_2040:
	s_nop 0
	s_sendmsg sendmsg(MSG_DEALLOC_VGPRS)
	s_endpgm
.LBB200_2041:
	s_mov_b32 s2, 0
	s_mov_b32 s0, -1
	s_branch .LBB200_1997
.LBB200_2042:
	s_cbranch_execnz .LBB200_2046
; %bb.2043:
	s_or_b32 s1, s1, exec_lo
                                        ; implicit-def: $vgpr9
	s_cbranch_execz .LBB200_1511
	s_branch .LBB200_1512
.LBB200_2044:
	s_or_saveexec_b32 s10, s10
                                        ; implicit-def: $sgpr11
	s_delay_alu instid0(SALU_CYCLE_1)
	s_xor_b32 exec_lo, exec_lo, s10
	s_cbranch_execz .LBB200_1591
.LBB200_2045:
	v_add_f32_e64 v1, 0x46000000, |v0|
	s_and_not1_b32 s7, s7, exec_lo
	s_mov_b32 s11, 0
	s_delay_alu instid0(VALU_DEP_1) | instskip(NEXT) | instid1(VALU_DEP_1)
	v_and_b32_e32 v1, 0xff, v1
	v_cmp_ne_u32_e32 vcc_lo, 0, v1
	s_and_b32 s12, vcc_lo, exec_lo
	s_delay_alu instid0(SALU_CYCLE_1)
	s_or_b32 s7, s7, s12
	s_or_b32 exec_lo, exec_lo, s10
	v_mov_b32_e32 v4, s11
	s_and_saveexec_b32 s10, s7
	s_cbranch_execnz .LBB200_1592
	s_branch .LBB200_1593
.LBB200_2046:
	s_trap 2
	s_sendmsg_rtn_b32 s0, sendmsg(MSG_RTN_GET_DOORBELL)
	s_mov_b32 ttmp2, m0
	s_waitcnt lgkmcnt(0)
	s_and_b32 s0, s0, 0x3ff
	s_delay_alu instid0(SALU_CYCLE_1) | instskip(NEXT) | instid1(SALU_CYCLE_1)
	s_bitset1_b32 s0, 10
	s_mov_b32 m0, s0
	s_sendmsg sendmsg(MSG_INTERRUPT)
	s_mov_b32 m0, ttmp2
.LBB200_2047:                           ; =>This Inner Loop Header: Depth=1
	s_sethalt 5
	s_branch .LBB200_2047
.LBB200_2048:
	s_cbranch_execnz .LBB200_2054
; %bb.2049:
	s_or_b32 s1, s1, exec_lo
	s_cbranch_execz .LBB200_1639
	s_branch .LBB200_1640
.LBB200_2050:
	s_or_saveexec_b32 s7, s7
                                        ; implicit-def: $sgpr10
	s_delay_alu instid0(SALU_CYCLE_1)
	s_xor_b32 exec_lo, exec_lo, s7
	s_cbranch_execz .LBB200_1604
.LBB200_2051:
	v_add_f32_e64 v1, 0x42800000, |v0|
	s_and_not1_b32 s6, s6, exec_lo
	s_mov_b32 s10, 0
	s_delay_alu instid0(VALU_DEP_1) | instskip(NEXT) | instid1(VALU_DEP_1)
	v_and_b32_e32 v1, 0xff, v1
	v_cmp_ne_u32_e32 vcc_lo, 0, v1
	s_and_b32 s11, vcc_lo, exec_lo
	s_delay_alu instid0(SALU_CYCLE_1)
	s_or_b32 s6, s6, s11
	s_or_b32 exec_lo, exec_lo, s7
	v_mov_b32_e32 v4, s10
	s_and_saveexec_b32 s7, s6
	s_cbranch_execnz .LBB200_1605
	s_branch .LBB200_1606
.LBB200_2052:
	s_or_saveexec_b32 s10, s10
                                        ; implicit-def: $sgpr11
	s_delay_alu instid0(SALU_CYCLE_1)
	s_xor_b32 exec_lo, exec_lo, s10
	s_cbranch_execz .LBB200_1710
.LBB200_2053:
	v_add_f32_e64 v3, 0x46000000, |v2|
	s_and_not1_b32 s7, s7, exec_lo
	s_mov_b32 s11, 0
	s_delay_alu instid0(VALU_DEP_1) | instskip(NEXT) | instid1(VALU_DEP_1)
	v_and_b32_e32 v3, 0xff, v3
	v_cmp_ne_u32_e32 vcc_lo, 0, v3
	s_and_b32 s12, vcc_lo, exec_lo
	s_delay_alu instid0(SALU_CYCLE_1)
	s_or_b32 s7, s7, s12
	s_or_b32 exec_lo, exec_lo, s10
	v_mov_b32_e32 v5, s11
	s_and_saveexec_b32 s10, s7
	s_cbranch_execnz .LBB200_1711
	s_branch .LBB200_1712
.LBB200_2054:
	s_trap 2
	s_sendmsg_rtn_b32 s0, sendmsg(MSG_RTN_GET_DOORBELL)
	s_mov_b32 ttmp2, m0
	s_waitcnt lgkmcnt(0)
	s_and_b32 s0, s0, 0x3ff
	s_delay_alu instid0(SALU_CYCLE_1) | instskip(NEXT) | instid1(SALU_CYCLE_1)
	s_bitset1_b32 s0, 10
	s_mov_b32 m0, s0
	s_sendmsg sendmsg(MSG_INTERRUPT)
	s_mov_b32 m0, ttmp2
.LBB200_2055:                           ; =>This Inner Loop Header: Depth=1
	s_sethalt 5
	s_branch .LBB200_2055
.LBB200_2056:
	s_cbranch_execnz .LBB200_2062
; %bb.2057:
	s_or_b32 s1, s1, exec_lo
	s_cbranch_execz .LBB200_1758
	s_branch .LBB200_1759
.LBB200_2058:
	s_or_saveexec_b32 s7, s7
                                        ; implicit-def: $sgpr10
	s_delay_alu instid0(SALU_CYCLE_1)
	s_xor_b32 exec_lo, exec_lo, s7
	s_cbranch_execz .LBB200_1723
.LBB200_2059:
	v_add_f32_e64 v3, 0x42800000, |v2|
	s_and_not1_b32 s6, s6, exec_lo
	s_mov_b32 s10, 0
	s_delay_alu instid0(VALU_DEP_1) | instskip(NEXT) | instid1(VALU_DEP_1)
	v_and_b32_e32 v3, 0xff, v3
	v_cmp_ne_u32_e32 vcc_lo, 0, v3
	s_and_b32 s11, vcc_lo, exec_lo
	s_delay_alu instid0(SALU_CYCLE_1)
	s_or_b32 s6, s6, s11
	s_or_b32 exec_lo, exec_lo, s7
	v_mov_b32_e32 v5, s10
	s_and_saveexec_b32 s7, s6
	s_cbranch_execnz .LBB200_1724
	s_branch .LBB200_1725
.LBB200_2060:
	s_or_saveexec_b32 s10, s10
                                        ; implicit-def: $sgpr11
	s_delay_alu instid0(SALU_CYCLE_1)
	s_xor_b32 exec_lo, exec_lo, s10
	s_cbranch_execz .LBB200_1829
.LBB200_2061:
	v_add_f32_e64 v3, 0x46000000, |v2|
	s_and_not1_b32 s7, s7, exec_lo
	s_mov_b32 s11, 0
	s_delay_alu instid0(VALU_DEP_1) | instskip(NEXT) | instid1(VALU_DEP_1)
	v_and_b32_e32 v3, 0xff, v3
	v_cmp_ne_u32_e32 vcc_lo, 0, v3
	s_and_b32 s12, vcc_lo, exec_lo
	s_delay_alu instid0(SALU_CYCLE_1)
	s_or_b32 s7, s7, s12
	s_or_b32 exec_lo, exec_lo, s10
	v_mov_b32_e32 v5, s11
	s_and_saveexec_b32 s10, s7
	s_cbranch_execnz .LBB200_1830
	s_branch .LBB200_1831
.LBB200_2062:
	s_trap 2
	s_sendmsg_rtn_b32 s0, sendmsg(MSG_RTN_GET_DOORBELL)
	s_mov_b32 ttmp2, m0
	s_waitcnt lgkmcnt(0)
	s_and_b32 s0, s0, 0x3ff
	s_delay_alu instid0(SALU_CYCLE_1) | instskip(NEXT) | instid1(SALU_CYCLE_1)
	s_bitset1_b32 s0, 10
	s_mov_b32 m0, s0
	s_sendmsg sendmsg(MSG_INTERRUPT)
	s_mov_b32 m0, ttmp2
.LBB200_2063:                           ; =>This Inner Loop Header: Depth=1
	s_sethalt 5
	s_branch .LBB200_2063
.LBB200_2064:
	s_cbranch_execnz .LBB200_2070
; %bb.2065:
	s_or_b32 s1, s1, exec_lo
	s_cbranch_execz .LBB200_1877
	s_branch .LBB200_1878
.LBB200_2066:
	s_or_saveexec_b32 s7, s7
                                        ; implicit-def: $sgpr10
	s_delay_alu instid0(SALU_CYCLE_1)
	s_xor_b32 exec_lo, exec_lo, s7
	s_cbranch_execz .LBB200_1842
.LBB200_2067:
	v_add_f32_e64 v3, 0x42800000, |v2|
	s_and_not1_b32 s6, s6, exec_lo
	s_mov_b32 s10, 0
	s_delay_alu instid0(VALU_DEP_1) | instskip(NEXT) | instid1(VALU_DEP_1)
	v_and_b32_e32 v3, 0xff, v3
	v_cmp_ne_u32_e32 vcc_lo, 0, v3
	s_and_b32 s11, vcc_lo, exec_lo
	s_delay_alu instid0(SALU_CYCLE_1)
	s_or_b32 s6, s6, s11
	s_or_b32 exec_lo, exec_lo, s7
	v_mov_b32_e32 v5, s10
	s_and_saveexec_b32 s7, s6
	s_cbranch_execnz .LBB200_1843
	s_branch .LBB200_1844
.LBB200_2068:
	s_or_saveexec_b32 s5, s5
                                        ; implicit-def: $sgpr6
	s_delay_alu instid0(SALU_CYCLE_1)
	s_xor_b32 exec_lo, exec_lo, s5
	s_cbranch_execz .LBB200_1949
.LBB200_2069:
	v_add_f32_e64 v3, 0x46000000, |v2|
	s_and_not1_b32 s4, s4, exec_lo
	s_mov_b32 s6, 0
	s_delay_alu instid0(VALU_DEP_1) | instskip(NEXT) | instid1(VALU_DEP_1)
	v_and_b32_e32 v3, 0xff, v3
	v_cmp_ne_u32_e32 vcc_lo, 0, v3
	s_and_b32 s7, vcc_lo, exec_lo
	s_delay_alu instid0(SALU_CYCLE_1)
	s_or_b32 s4, s4, s7
	s_or_b32 exec_lo, exec_lo, s5
	v_mov_b32_e32 v4, s6
	s_and_saveexec_b32 s5, s4
	s_cbranch_execnz .LBB200_1950
	s_branch .LBB200_1951
.LBB200_2070:
	s_trap 2
	s_sendmsg_rtn_b32 s0, sendmsg(MSG_RTN_GET_DOORBELL)
	s_mov_b32 ttmp2, m0
	s_waitcnt lgkmcnt(0)
	s_and_b32 s0, s0, 0x3ff
	s_delay_alu instid0(SALU_CYCLE_1) | instskip(NEXT) | instid1(SALU_CYCLE_1)
	s_bitset1_b32 s0, 10
	s_mov_b32 m0, s0
	s_sendmsg sendmsg(MSG_INTERRUPT)
	s_mov_b32 m0, ttmp2
.LBB200_2071:                           ; =>This Inner Loop Header: Depth=1
	s_sethalt 5
	s_branch .LBB200_2071
.LBB200_2072:
	s_cbranch_execnz .LBB200_2076
; %bb.2073:
	s_mov_b32 s2, 0
	s_or_b32 s1, s1, exec_lo
	s_branch .LBB200_1995
.LBB200_2074:
	s_or_saveexec_b32 s4, s4
                                        ; implicit-def: $sgpr5
	s_delay_alu instid0(SALU_CYCLE_1)
	s_xor_b32 exec_lo, exec_lo, s4
	s_cbranch_execz .LBB200_1961
.LBB200_2075:
	v_add_f32_e64 v3, 0x42800000, |v2|
	s_and_not1_b32 s3, s3, exec_lo
	s_mov_b32 s5, 0
	s_delay_alu instid0(VALU_DEP_1) | instskip(NEXT) | instid1(VALU_DEP_1)
	v_and_b32_e32 v3, 0xff, v3
	v_cmp_ne_u32_e32 vcc_lo, 0, v3
	s_and_b32 s6, vcc_lo, exec_lo
	s_delay_alu instid0(SALU_CYCLE_1)
	s_or_b32 s3, s3, s6
	s_or_b32 exec_lo, exec_lo, s4
	v_mov_b32_e32 v4, s5
	s_and_saveexec_b32 s4, s3
	s_cbranch_execnz .LBB200_1962
	s_branch .LBB200_1963
.LBB200_2076:
	s_trap 2
	s_sendmsg_rtn_b32 s0, sendmsg(MSG_RTN_GET_DOORBELL)
	s_mov_b32 ttmp2, m0
	s_waitcnt lgkmcnt(0)
	s_and_b32 s0, s0, 0x3ff
	s_delay_alu instid0(SALU_CYCLE_1) | instskip(NEXT) | instid1(SALU_CYCLE_1)
	s_bitset1_b32 s0, 10
	s_mov_b32 m0, s0
	s_sendmsg sendmsg(MSG_INTERRUPT)
	s_mov_b32 m0, ttmp2
.LBB200_2077:                           ; =>This Inner Loop Header: Depth=1
	s_sethalt 5
	s_branch .LBB200_2077
	.section	.rodata,"a",@progbits
	.p2align	6, 0x0
	.amdhsa_kernel _ZN2at6native32elementwise_kernel_manual_unrollILi128ELi4EZNS0_15gpu_kernel_implIZZZNS0_17rsqrt_kernel_cudaERNS_18TensorIteratorBaseEENKUlvE0_clEvENKUlvE0_clEvEUlfE_EEvS4_RKT_EUlibE_EEviT1_
		.amdhsa_group_segment_fixed_size 0
		.amdhsa_private_segment_fixed_size 0
		.amdhsa_kernarg_size 40
		.amdhsa_user_sgpr_count 15
		.amdhsa_user_sgpr_dispatch_ptr 0
		.amdhsa_user_sgpr_queue_ptr 0
		.amdhsa_user_sgpr_kernarg_segment_ptr 1
		.amdhsa_user_sgpr_dispatch_id 0
		.amdhsa_user_sgpr_private_segment_size 0
		.amdhsa_wavefront_size32 1
		.amdhsa_uses_dynamic_stack 0
		.amdhsa_enable_private_segment 0
		.amdhsa_system_sgpr_workgroup_id_x 1
		.amdhsa_system_sgpr_workgroup_id_y 0
		.amdhsa_system_sgpr_workgroup_id_z 0
		.amdhsa_system_sgpr_workgroup_info 0
		.amdhsa_system_vgpr_workitem_id 0
		.amdhsa_next_free_vgpr 15
		.amdhsa_next_free_sgpr 24
		.amdhsa_reserve_vcc 1
		.amdhsa_float_round_mode_32 0
		.amdhsa_float_round_mode_16_64 0
		.amdhsa_float_denorm_mode_32 3
		.amdhsa_float_denorm_mode_16_64 3
		.amdhsa_dx10_clamp 1
		.amdhsa_ieee_mode 1
		.amdhsa_fp16_overflow 0
		.amdhsa_workgroup_processor_mode 1
		.amdhsa_memory_ordered 1
		.amdhsa_forward_progress 0
		.amdhsa_shared_vgpr_count 0
		.amdhsa_exception_fp_ieee_invalid_op 0
		.amdhsa_exception_fp_denorm_src 0
		.amdhsa_exception_fp_ieee_div_zero 0
		.amdhsa_exception_fp_ieee_overflow 0
		.amdhsa_exception_fp_ieee_underflow 0
		.amdhsa_exception_fp_ieee_inexact 0
		.amdhsa_exception_int_div_zero 0
	.end_amdhsa_kernel
	.section	.text._ZN2at6native32elementwise_kernel_manual_unrollILi128ELi4EZNS0_15gpu_kernel_implIZZZNS0_17rsqrt_kernel_cudaERNS_18TensorIteratorBaseEENKUlvE0_clEvENKUlvE0_clEvEUlfE_EEvS4_RKT_EUlibE_EEviT1_,"axG",@progbits,_ZN2at6native32elementwise_kernel_manual_unrollILi128ELi4EZNS0_15gpu_kernel_implIZZZNS0_17rsqrt_kernel_cudaERNS_18TensorIteratorBaseEENKUlvE0_clEvENKUlvE0_clEvEUlfE_EEvS4_RKT_EUlibE_EEviT1_,comdat
.Lfunc_end200:
	.size	_ZN2at6native32elementwise_kernel_manual_unrollILi128ELi4EZNS0_15gpu_kernel_implIZZZNS0_17rsqrt_kernel_cudaERNS_18TensorIteratorBaseEENKUlvE0_clEvENKUlvE0_clEvEUlfE_EEvS4_RKT_EUlibE_EEviT1_, .Lfunc_end200-_ZN2at6native32elementwise_kernel_manual_unrollILi128ELi4EZNS0_15gpu_kernel_implIZZZNS0_17rsqrt_kernel_cudaERNS_18TensorIteratorBaseEENKUlvE0_clEvENKUlvE0_clEvEUlfE_EEvS4_RKT_EUlibE_EEviT1_
                                        ; -- End function
	.section	.AMDGPU.csdata,"",@progbits
; Kernel info:
; codeLenInByte = 36220
; NumSgprs: 26
; NumVgprs: 15
; ScratchSize: 0
; MemoryBound: 1
; FloatMode: 240
; IeeeMode: 1
; LDSByteSize: 0 bytes/workgroup (compile time only)
; SGPRBlocks: 3
; VGPRBlocks: 1
; NumSGPRsForWavesPerEU: 26
; NumVGPRsForWavesPerEU: 15
; Occupancy: 16
; WaveLimiterHint : 0
; COMPUTE_PGM_RSRC2:SCRATCH_EN: 0
; COMPUTE_PGM_RSRC2:USER_SGPR: 15
; COMPUTE_PGM_RSRC2:TRAP_HANDLER: 0
; COMPUTE_PGM_RSRC2:TGID_X_EN: 1
; COMPUTE_PGM_RSRC2:TGID_Y_EN: 0
; COMPUTE_PGM_RSRC2:TGID_Z_EN: 0
; COMPUTE_PGM_RSRC2:TIDIG_COMP_CNT: 0
	.section	.text._ZN2at6native32elementwise_kernel_manual_unrollILi128ELi4EZNS0_15gpu_kernel_implIZZZNS0_17rsqrt_kernel_cudaERNS_18TensorIteratorBaseEENKUlvE0_clEvENKUlvE0_clEvEUlfE_EEvS4_RKT_EUlibE0_EEviT1_,"axG",@progbits,_ZN2at6native32elementwise_kernel_manual_unrollILi128ELi4EZNS0_15gpu_kernel_implIZZZNS0_17rsqrt_kernel_cudaERNS_18TensorIteratorBaseEENKUlvE0_clEvENKUlvE0_clEvEUlfE_EEvS4_RKT_EUlibE0_EEviT1_,comdat
	.globl	_ZN2at6native32elementwise_kernel_manual_unrollILi128ELi4EZNS0_15gpu_kernel_implIZZZNS0_17rsqrt_kernel_cudaERNS_18TensorIteratorBaseEENKUlvE0_clEvENKUlvE0_clEvEUlfE_EEvS4_RKT_EUlibE0_EEviT1_ ; -- Begin function _ZN2at6native32elementwise_kernel_manual_unrollILi128ELi4EZNS0_15gpu_kernel_implIZZZNS0_17rsqrt_kernel_cudaERNS_18TensorIteratorBaseEENKUlvE0_clEvENKUlvE0_clEvEUlfE_EEvS4_RKT_EUlibE0_EEviT1_
	.p2align	8
	.type	_ZN2at6native32elementwise_kernel_manual_unrollILi128ELi4EZNS0_15gpu_kernel_implIZZZNS0_17rsqrt_kernel_cudaERNS_18TensorIteratorBaseEENKUlvE0_clEvENKUlvE0_clEvEUlfE_EEvS4_RKT_EUlibE0_EEviT1_,@function
_ZN2at6native32elementwise_kernel_manual_unrollILi128ELi4EZNS0_15gpu_kernel_implIZZZNS0_17rsqrt_kernel_cudaERNS_18TensorIteratorBaseEENKUlvE0_clEvENKUlvE0_clEvEUlfE_EEvS4_RKT_EUlibE0_EEviT1_: ; @_ZN2at6native32elementwise_kernel_manual_unrollILi128ELi4EZNS0_15gpu_kernel_implIZZZNS0_17rsqrt_kernel_cudaERNS_18TensorIteratorBaseEENKUlvE0_clEvENKUlvE0_clEvEUlfE_EEvS4_RKT_EUlibE0_EEviT1_
; %bb.0:
	s_clause 0x1
	s_load_b32 s24, s[0:1], 0x8
	s_load_b32 s30, s[0:1], 0x0
	v_lshl_or_b32 v8, s15, 9, v0
	s_or_b32 s16, s0, 8
	s_mov_b32 s3, -1
	s_mov_b32 s26, 0
	s_mov_b32 s17, s1
	v_or_b32_e32 v10, 0x180, v8
	s_mov_b32 s8, 0
	s_mov_b32 s2, exec_lo
	s_waitcnt lgkmcnt(0)
	s_add_i32 s25, s24, -1
	s_delay_alu instid0(SALU_CYCLE_1)
	s_cmp_gt_u32 s25, 1
	s_cselect_b32 s27, -1, 0
	v_cmpx_le_i32_e64 s30, v10
	s_xor_b32 s28, exec_lo, s2
	s_cbranch_execz .LBB201_1076
; %bb.1:
	v_mov_b32_e32 v0, 0
	s_clause 0x3
	s_load_b128 s[12:15], s[16:17], 0x4
	s_load_b64 s[18:19], s[16:17], 0x14
	s_load_b128 s[8:11], s[16:17], 0xc4
	s_load_b128 s[4:7], s[16:17], 0x148
	s_cmp_lg_u32 s24, 0
	s_mov_b32 s37, 0
	s_cselect_b32 s33, -1, 0
	global_load_u16 v4, v0, s[16:17] offset:345
	s_add_u32 s20, s16, 0xc4
	s_addc_u32 s21, s17, 0
	s_min_u32 s31, s25, 15
	s_cmp_gt_u32 s24, 1
	s_mov_b32 s35, 0
	s_cselect_b32 s29, -1, 0
	s_mov_b32 s34, 0
	s_mov_b32 s36, exec_lo
	s_waitcnt vmcnt(0)
	v_lshrrev_b16 v5, 8, v4
	v_cmpx_gt_i32_e64 s30, v8
	s_cbranch_execz .LBB201_263
; %bb.2:
	s_and_not1_b32 vcc_lo, exec_lo, s27
	s_cbranch_vccnz .LBB201_7
; %bb.3:
	v_dual_mov_b32 v0, 0 :: v_dual_mov_b32 v1, 0
	s_and_not1_b32 vcc_lo, exec_lo, s33
	s_cbranch_vccnz .LBB201_12
; %bb.4:
	v_mov_b32_e32 v0, 0
	s_add_i32 s38, s31, 1
	s_cmp_eq_u32 s25, 2
	s_cbranch_scc1 .LBB201_8
; %bb.5:
	v_dual_mov_b32 v1, 0 :: v_dual_mov_b32 v0, 0
	v_mov_b32_e32 v2, v8
	s_and_b32 s35, s38, 28
	s_mov_b32 s39, 0
	s_mov_b64 s[2:3], s[20:21]
	s_mov_b64 s[22:23], s[16:17]
.LBB201_6:                              ; =>This Inner Loop Header: Depth=1
	s_clause 0x1
	s_load_b256 s[40:47], s[22:23], 0x4
	s_load_b128 s[56:59], s[22:23], 0x24
	s_load_b256 s[48:55], s[2:3], 0x0
	s_add_u32 s22, s22, 48
	s_addc_u32 s23, s23, 0
	s_add_i32 s39, s39, 4
	s_add_u32 s2, s2, 32
	s_addc_u32 s3, s3, 0
	s_cmp_lg_u32 s35, s39
	s_waitcnt lgkmcnt(0)
	v_mul_hi_u32 v3, s41, v2
	s_delay_alu instid0(VALU_DEP_1) | instskip(NEXT) | instid1(VALU_DEP_1)
	v_add_nc_u32_e32 v3, v2, v3
	v_lshrrev_b32_e32 v3, s42, v3
	s_delay_alu instid0(VALU_DEP_1) | instskip(SKIP_1) | instid1(VALU_DEP_2)
	v_mul_hi_u32 v6, s44, v3
	v_mul_lo_u32 v9, v3, s40
	v_add_nc_u32_e32 v6, v3, v6
	s_delay_alu instid0(VALU_DEP_2) | instskip(NEXT) | instid1(VALU_DEP_2)
	v_sub_nc_u32_e32 v2, v2, v9
	v_lshrrev_b32_e32 v6, s45, v6
	s_delay_alu instid0(VALU_DEP_2) | instskip(SKIP_1) | instid1(VALU_DEP_3)
	v_mul_lo_u32 v9, v2, s48
	v_mul_lo_u32 v11, v2, s49
	v_mul_hi_u32 v7, s47, v6
	s_delay_alu instid0(VALU_DEP_1) | instskip(NEXT) | instid1(VALU_DEP_1)
	v_add_nc_u32_e32 v7, v6, v7
	v_lshrrev_b32_e32 v7, s56, v7
	s_delay_alu instid0(VALU_DEP_1) | instskip(SKIP_1) | instid1(VALU_DEP_2)
	v_mul_hi_u32 v10, s58, v7
	v_mul_lo_u32 v12, v7, s46
	v_add_nc_u32_e32 v2, v7, v10
	v_mul_lo_u32 v10, v6, s43
	s_delay_alu instid0(VALU_DEP_3) | instskip(NEXT) | instid1(VALU_DEP_3)
	v_sub_nc_u32_e32 v6, v6, v12
	v_lshrrev_b32_e32 v2, s59, v2
	s_delay_alu instid0(VALU_DEP_2) | instskip(SKIP_2) | instid1(VALU_DEP_4)
	v_mul_lo_u32 v12, v6, s52
	v_mul_lo_u32 v6, v6, s53
	v_sub_nc_u32_e32 v3, v3, v10
	v_mul_lo_u32 v13, v2, s57
	s_delay_alu instid0(VALU_DEP_2) | instskip(SKIP_1) | instid1(VALU_DEP_3)
	v_mul_lo_u32 v10, v3, s50
	v_mul_lo_u32 v3, v3, s51
	v_sub_nc_u32_e32 v7, v7, v13
	s_delay_alu instid0(VALU_DEP_3) | instskip(NEXT) | instid1(VALU_DEP_2)
	v_add3_u32 v0, v9, v0, v10
	v_mul_lo_u32 v13, v7, s54
	v_mul_lo_u32 v7, v7, s55
	v_add3_u32 v1, v11, v1, v3
	s_delay_alu instid0(VALU_DEP_3) | instskip(NEXT) | instid1(VALU_DEP_2)
	v_add3_u32 v0, v12, v0, v13
	v_add3_u32 v1, v6, v1, v7
	s_cbranch_scc1 .LBB201_6
	s_branch .LBB201_9
.LBB201_7:
	s_mov_b32 s34, -1
                                        ; implicit-def: $vgpr0
                                        ; implicit-def: $vgpr1
	s_branch .LBB201_12
.LBB201_8:
	v_dual_mov_b32 v2, v8 :: v_dual_mov_b32 v1, 0
.LBB201_9:
	s_and_b32 s38, s38, 3
	s_delay_alu instid0(SALU_CYCLE_1)
	s_cmp_eq_u32 s38, 0
	s_cbranch_scc1 .LBB201_12
; %bb.10:
	s_lshl_b32 s2, s35, 3
	s_mul_i32 s22, s35, 12
	s_add_u32 s2, s2, s16
	s_addc_u32 s3, s17, 0
	s_add_u32 s2, s2, 0xc4
	s_addc_u32 s3, s3, 0
	;; [unrolled: 2-line block ×3, first 2 shown]
	.p2align	6
.LBB201_11:                             ; =>This Inner Loop Header: Depth=1
	s_clause 0x1
	s_load_b64 s[40:41], s[22:23], 0x4
	s_load_b32 s35, s[22:23], 0xc
	s_load_b64 s[42:43], s[2:3], 0x0
	s_add_u32 s22, s22, 12
	s_addc_u32 s23, s23, 0
	s_add_u32 s2, s2, 8
	s_addc_u32 s3, s3, 0
	s_add_i32 s38, s38, -1
	s_delay_alu instid0(SALU_CYCLE_1) | instskip(SKIP_2) | instid1(VALU_DEP_1)
	s_cmp_lg_u32 s38, 0
	s_waitcnt lgkmcnt(0)
	v_mul_hi_u32 v3, s41, v2
	v_add_nc_u32_e32 v3, v2, v3
	s_delay_alu instid0(VALU_DEP_1) | instskip(NEXT) | instid1(VALU_DEP_1)
	v_lshrrev_b32_e32 v3, s35, v3
	v_mul_lo_u32 v6, v3, s40
	s_delay_alu instid0(VALU_DEP_1) | instskip(NEXT) | instid1(VALU_DEP_1)
	v_sub_nc_u32_e32 v2, v2, v6
	v_mad_u64_u32 v[6:7], null, v2, s42, v[0:1]
	v_mad_u64_u32 v[9:10], null, v2, s43, v[1:2]
	v_mov_b32_e32 v2, v3
	s_delay_alu instid0(VALU_DEP_2)
	v_dual_mov_b32 v0, v6 :: v_dual_mov_b32 v1, v9
	s_cbranch_scc1 .LBB201_11
.LBB201_12:
	s_and_not1_b32 vcc_lo, exec_lo, s34
	s_cbranch_vccnz .LBB201_15
; %bb.13:
	s_waitcnt lgkmcnt(0)
	v_mul_hi_u32 v0, s13, v8
	s_and_not1_b32 vcc_lo, exec_lo, s29
	s_delay_alu instid0(VALU_DEP_1) | instskip(NEXT) | instid1(VALU_DEP_1)
	v_add_nc_u32_e32 v0, v8, v0
	v_lshrrev_b32_e32 v2, s14, v0
	s_delay_alu instid0(VALU_DEP_1) | instskip(NEXT) | instid1(VALU_DEP_1)
	v_mul_lo_u32 v0, v2, s12
	v_sub_nc_u32_e32 v1, v8, v0
	s_delay_alu instid0(VALU_DEP_1)
	v_mul_lo_u32 v0, v1, s8
	v_mul_lo_u32 v1, v1, s9
	s_cbranch_vccnz .LBB201_15
; %bb.14:
	v_mul_hi_u32 v3, s18, v2
	s_delay_alu instid0(VALU_DEP_1) | instskip(NEXT) | instid1(VALU_DEP_1)
	v_add_nc_u32_e32 v3, v2, v3
	v_lshrrev_b32_e32 v3, s19, v3
	s_delay_alu instid0(VALU_DEP_1) | instskip(NEXT) | instid1(VALU_DEP_1)
	v_mul_lo_u32 v3, v3, s15
	v_sub_nc_u32_e32 v9, v2, v3
	s_delay_alu instid0(VALU_DEP_1) | instskip(NEXT) | instid1(VALU_DEP_1)
	v_mad_u64_u32 v[2:3], null, v9, s10, v[0:1]
	v_mad_u64_u32 v[6:7], null, v9, s11, v[1:2]
	v_mov_b32_e32 v0, v2
	s_delay_alu instid0(VALU_DEP_2)
	v_mov_b32_e32 v1, v6
.LBB201_15:
	v_cmp_gt_i16_e32 vcc_lo, 11, v5
	s_waitcnt lgkmcnt(0)
	s_delay_alu instid0(VALU_DEP_2) | instskip(NEXT) | instid1(VALU_DEP_1)
	v_add_co_u32 v1, s2, s6, v1
	v_add_co_ci_u32_e64 v2, null, s7, 0, s2
	s_mov_b32 s3, 0
	s_cbranch_vccnz .LBB201_22
; %bb.16:
	v_cmp_lt_i16_e32 vcc_lo, 25, v5
	s_cbranch_vccz .LBB201_141
; %bb.17:
	v_cmp_lt_i16_e32 vcc_lo, 28, v5
	s_cbranch_vccz .LBB201_142
	;; [unrolled: 3-line block ×4, first 2 shown]
; %bb.20:
	v_cmp_eq_u16_e32 vcc_lo, 46, v5
	s_mov_b32 s22, 0
	s_cbranch_vccz .LBB201_145
; %bb.21:
	global_load_b32 v3, v[1:2], off
	s_mov_b32 s2, -1
	s_waitcnt vmcnt(0)
	v_lshlrev_b32_e32 v3, 16, v3
	s_branch .LBB201_147
.LBB201_22:
	s_mov_b32 s2, 0
                                        ; implicit-def: $vgpr3
	s_cbranch_execnz .LBB201_213
.LBB201_23:
	s_and_not1_b32 vcc_lo, exec_lo, s2
	s_cbranch_vccnz .LBB201_260
.LBB201_24:
	s_waitcnt vmcnt(0)
	s_delay_alu instid0(VALU_DEP_1) | instskip(SKIP_3) | instid1(VALU_DEP_2)
	v_cvt_f64_f32_e32 v[1:2], v3
	v_add_co_u32 v0, s22, s4, v0
	s_mov_b32 s2, 0
	s_mov_b32 s23, -1
	v_rsq_f64_e32 v[6:7], v[1:2]
	s_waitcnt_depctr 0xfff
	v_mul_f64 v[1:2], v[6:7], -v[1:2]
	v_cmp_class_f64_e64 vcc_lo, v[6:7], 0x180
	s_delay_alu instid0(VALU_DEP_2) | instskip(NEXT) | instid1(VALU_DEP_1)
	v_fma_f64 v[1:2], v[1:2], v[6:7], 1.0
	v_mul_f64 v[9:10], v[6:7], v[1:2]
	v_fma_f64 v[1:2], 0x3fd80000, v[1:2], 0.5
	s_delay_alu instid0(VALU_DEP_1) | instskip(NEXT) | instid1(VALU_DEP_1)
	v_fma_f64 v[1:2], v[9:10], v[1:2], v[6:7]
	v_dual_cndmask_b32 v2, v7, v2 :: v_dual_cndmask_b32 v1, v6, v1
	v_and_b32_e32 v6, 0xff, v4
	s_delay_alu instid0(VALU_DEP_2) | instskip(NEXT) | instid1(VALU_DEP_2)
	v_cvt_f32_f64_e32 v2, v[1:2]
	v_cmp_gt_i16_e32 vcc_lo, 11, v6
	v_add_co_ci_u32_e64 v1, null, s5, 0, s22
	s_mov_b32 s22, 0
	s_cbranch_vccnz .LBB201_101
; %bb.25:
	v_cmp_lt_i16_e32 vcc_lo, 25, v6
	s_cbranch_vccz .LBB201_58
; %bb.26:
	v_cmp_lt_i16_e32 vcc_lo, 28, v6
	s_cbranch_vccz .LBB201_41
	;; [unrolled: 3-line block ×4, first 2 shown]
; %bb.29:
	v_cmp_eq_u16_e32 vcc_lo, 46, v6
	s_mov_b32 s23, 0
	s_mov_b32 s2, -1
	s_cbranch_vccz .LBB201_31
; %bb.30:
	v_bfe_u32 v3, v2, 16, 1
	v_cmp_o_f32_e32 vcc_lo, v2, v2
	s_mov_b32 s22, -1
	s_mov_b32 s2, 0
	s_delay_alu instid0(VALU_DEP_2) | instskip(NEXT) | instid1(VALU_DEP_1)
	v_add3_u32 v3, v2, v3, 0x7fff
	v_lshrrev_b32_e32 v3, 16, v3
	s_delay_alu instid0(VALU_DEP_1)
	v_cndmask_b32_e32 v3, 0x7fc0, v3, vcc_lo
	global_store_b32 v[0:1], v3, off
.LBB201_31:
	s_and_b32 vcc_lo, exec_lo, s23
	s_cbranch_vccz .LBB201_36
; %bb.32:
	v_cmp_eq_u16_e32 vcc_lo, 44, v6
	s_mov_b32 s2, -1
	s_cbranch_vccz .LBB201_36
; %bb.33:
	v_bfe_u32 v7, v2, 23, 8
	v_mov_b32_e32 v3, 0xff
	s_mov_b32 s22, exec_lo
	s_delay_alu instid0(VALU_DEP_2)
	v_cmpx_ne_u32_e32 0xff, v7
; %bb.34:
	v_and_b32_e32 v3, 0x400000, v2
	v_and_or_b32 v7, 0x3fffff, v2, v7
	s_delay_alu instid0(VALU_DEP_2) | instskip(NEXT) | instid1(VALU_DEP_2)
	v_cmp_ne_u32_e32 vcc_lo, 0, v3
	v_cmp_ne_u32_e64 s2, 0, v7
	v_lshrrev_b32_e32 v3, 23, v2
	s_delay_alu instid0(VALU_DEP_2) | instskip(NEXT) | instid1(SALU_CYCLE_1)
	s_and_b32 s2, vcc_lo, s2
	v_cndmask_b32_e64 v7, 0, 1, s2
	s_delay_alu instid0(VALU_DEP_1)
	v_add_nc_u32_e32 v3, v3, v7
; %bb.35:
	s_or_b32 exec_lo, exec_lo, s22
	s_mov_b32 s22, -1
	s_mov_b32 s2, 0
	global_store_b8 v[0:1], v3, off
.LBB201_36:
	s_mov_b32 s23, 0
.LBB201_37:
	s_delay_alu instid0(SALU_CYCLE_1)
	s_and_b32 vcc_lo, exec_lo, s23
	s_cbranch_vccz .LBB201_40
; %bb.38:
	v_cmp_eq_u16_e32 vcc_lo, 29, v6
	s_mov_b32 s2, -1
	s_cbranch_vccz .LBB201_40
; %bb.39:
	v_trunc_f32_e32 v3, v2
	s_mov_b32 s22, -1
	s_mov_b32 s2, 0
	s_delay_alu instid0(VALU_DEP_1) | instskip(NEXT) | instid1(VALU_DEP_1)
	v_mul_f32_e32 v7, 0x2f800000, v3
	v_floor_f32_e32 v7, v7
	s_delay_alu instid0(VALU_DEP_1) | instskip(SKIP_1) | instid1(VALU_DEP_2)
	v_fmamk_f32 v3, v7, 0xcf800000, v3
	v_cvt_u32_f32_e32 v10, v7
	v_cvt_u32_f32_e32 v9, v3
	global_store_b64 v[0:1], v[9:10], off
.LBB201_40:
	s_mov_b32 s23, 0
.LBB201_41:
	s_delay_alu instid0(SALU_CYCLE_1)
	s_and_b32 vcc_lo, exec_lo, s23
	s_cbranch_vccz .LBB201_57
; %bb.42:
	v_cmp_gt_i16_e32 vcc_lo, 27, v6
	s_mov_b32 s22, -1
	s_cbranch_vccnz .LBB201_48
; %bb.43:
	v_cmp_lt_i16_e32 vcc_lo, 27, v6
	s_cbranch_vccz .LBB201_45
; %bb.44:
	v_cvt_u32_f32_e32 v3, v2
	s_mov_b32 s22, 0
	global_store_b32 v[0:1], v3, off
.LBB201_45:
	s_and_not1_b32 vcc_lo, exec_lo, s22
	s_cbranch_vccnz .LBB201_47
; %bb.46:
	v_cvt_u32_f32_e32 v3, v2
	global_store_b16 v[0:1], v3, off
.LBB201_47:
	s_mov_b32 s22, 0
.LBB201_48:
	s_delay_alu instid0(SALU_CYCLE_1)
	s_and_not1_b32 vcc_lo, exec_lo, s22
	s_cbranch_vccnz .LBB201_56
; %bb.49:
	v_and_b32_e32 v3, 0x7fffffff, v2
	v_mov_b32_e32 v7, 0x80
	s_mov_b32 s22, exec_lo
	s_delay_alu instid0(VALU_DEP_2)
	v_cmpx_gt_u32_e32 0x43800000, v3
	s_cbranch_execz .LBB201_55
; %bb.50:
	v_cmp_lt_u32_e32 vcc_lo, 0x3bffffff, v3
	s_mov_b32 s23, 0
                                        ; implicit-def: $vgpr3
	s_and_saveexec_b32 s34, vcc_lo
	s_delay_alu instid0(SALU_CYCLE_1)
	s_xor_b32 s34, exec_lo, s34
	s_cbranch_execz .LBB201_150
; %bb.51:
	v_bfe_u32 v3, v2, 20, 1
	s_mov_b32 s23, exec_lo
	s_delay_alu instid0(VALU_DEP_1) | instskip(NEXT) | instid1(VALU_DEP_1)
	v_add3_u32 v3, v2, v3, 0x487ffff
	v_lshrrev_b32_e32 v3, 20, v3
	s_or_saveexec_b32 s34, s34
                                        ; implicit-def: $sgpr35
	s_delay_alu instid0(SALU_CYCLE_1)
	s_xor_b32 exec_lo, exec_lo, s34
	s_cbranch_execnz .LBB201_151
.LBB201_52:
	s_or_b32 exec_lo, exec_lo, s34
	v_mov_b32_e32 v7, s35
	s_and_saveexec_b32 s34, s23
.LBB201_53:
	v_lshrrev_b32_e32 v7, 24, v2
	s_delay_alu instid0(VALU_DEP_1)
	v_and_or_b32 v7, 0x80, v7, v3
.LBB201_54:
	s_or_b32 exec_lo, exec_lo, s34
.LBB201_55:
	s_delay_alu instid0(SALU_CYCLE_1)
	s_or_b32 exec_lo, exec_lo, s22
	global_store_b8 v[0:1], v7, off
.LBB201_56:
	s_mov_b32 s22, -1
.LBB201_57:
	s_mov_b32 s23, 0
.LBB201_58:
	s_delay_alu instid0(SALU_CYCLE_1)
	s_and_b32 vcc_lo, exec_lo, s23
	s_cbranch_vccz .LBB201_99
; %bb.59:
	v_cmp_lt_i16_e32 vcc_lo, 22, v6
	s_mov_b32 s23, -1
	s_cbranch_vccz .LBB201_91
; %bb.60:
	v_cmp_gt_i16_e32 vcc_lo, 24, v6
	s_mov_b32 s22, -1
	s_cbranch_vccnz .LBB201_80
; %bb.61:
	v_cmp_lt_i16_e32 vcc_lo, 24, v6
	s_cbranch_vccz .LBB201_69
; %bb.62:
	v_and_b32_e32 v3, 0x7fffffff, v2
	v_mov_b32_e32 v7, 0x80
	s_mov_b32 s22, exec_lo
	s_delay_alu instid0(VALU_DEP_2)
	v_cmpx_gt_u32_e32 0x47800000, v3
	s_cbranch_execz .LBB201_68
; %bb.63:
	v_cmp_lt_u32_e32 vcc_lo, 0x37ffffff, v3
	s_mov_b32 s23, 0
                                        ; implicit-def: $vgpr3
	s_and_saveexec_b32 s34, vcc_lo
	s_delay_alu instid0(SALU_CYCLE_1)
	s_xor_b32 s34, exec_lo, s34
	s_cbranch_execz .LBB201_341
; %bb.64:
	v_bfe_u32 v3, v2, 21, 1
	s_mov_b32 s23, exec_lo
	s_delay_alu instid0(VALU_DEP_1) | instskip(NEXT) | instid1(VALU_DEP_1)
	v_add3_u32 v3, v2, v3, 0x88fffff
	v_lshrrev_b32_e32 v3, 21, v3
	s_or_saveexec_b32 s34, s34
                                        ; implicit-def: $sgpr35
	s_delay_alu instid0(SALU_CYCLE_1)
	s_xor_b32 exec_lo, exec_lo, s34
	s_cbranch_execnz .LBB201_342
.LBB201_65:
	s_or_b32 exec_lo, exec_lo, s34
	v_mov_b32_e32 v7, s35
	s_and_saveexec_b32 s34, s23
.LBB201_66:
	v_lshrrev_b32_e32 v7, 24, v2
	s_delay_alu instid0(VALU_DEP_1)
	v_and_or_b32 v7, 0x80, v7, v3
.LBB201_67:
	s_or_b32 exec_lo, exec_lo, s34
.LBB201_68:
	s_delay_alu instid0(SALU_CYCLE_1)
	s_or_b32 exec_lo, exec_lo, s22
	s_mov_b32 s22, 0
	global_store_b8 v[0:1], v7, off
.LBB201_69:
	s_and_b32 vcc_lo, exec_lo, s22
	s_cbranch_vccz .LBB201_79
; %bb.70:
	v_and_b32_e32 v7, 0x7fffffff, v2
	s_mov_b32 s22, exec_lo
                                        ; implicit-def: $vgpr3
	s_delay_alu instid0(VALU_DEP_1)
	v_cmpx_gt_u32_e32 0x43f00000, v7
	s_xor_b32 s22, exec_lo, s22
	s_cbranch_execz .LBB201_76
; %bb.71:
	s_mov_b32 s23, exec_lo
                                        ; implicit-def: $vgpr3
	v_cmpx_lt_u32_e32 0x3c7fffff, v7
	s_xor_b32 s23, exec_lo, s23
; %bb.72:
	v_bfe_u32 v3, v2, 20, 1
	s_delay_alu instid0(VALU_DEP_1) | instskip(NEXT) | instid1(VALU_DEP_1)
	v_add3_u32 v3, v2, v3, 0x407ffff
	v_and_b32_e32 v7, 0xff00000, v3
	v_lshrrev_b32_e32 v3, 20, v3
	s_delay_alu instid0(VALU_DEP_2) | instskip(NEXT) | instid1(VALU_DEP_2)
	v_cmp_ne_u32_e32 vcc_lo, 0x7f00000, v7
	v_cndmask_b32_e32 v3, 0x7e, v3, vcc_lo
; %bb.73:
	s_and_not1_saveexec_b32 s23, s23
; %bb.74:
	v_add_f32_e64 v3, 0x46800000, |v2|
; %bb.75:
	s_or_b32 exec_lo, exec_lo, s23
                                        ; implicit-def: $vgpr7
.LBB201_76:
	s_and_not1_saveexec_b32 s22, s22
; %bb.77:
	v_mov_b32_e32 v3, 0x7f
	v_cmp_lt_u32_e32 vcc_lo, 0x7f800000, v7
	s_delay_alu instid0(VALU_DEP_2)
	v_cndmask_b32_e32 v3, 0x7e, v3, vcc_lo
; %bb.78:
	s_or_b32 exec_lo, exec_lo, s22
	v_lshrrev_b32_e32 v7, 24, v2
	s_delay_alu instid0(VALU_DEP_1)
	v_and_or_b32 v3, 0x80, v7, v3
	global_store_b8 v[0:1], v3, off
.LBB201_79:
	s_mov_b32 s22, 0
.LBB201_80:
	s_delay_alu instid0(SALU_CYCLE_1)
	s_and_not1_b32 vcc_lo, exec_lo, s22
	s_cbranch_vccnz .LBB201_90
; %bb.81:
	v_and_b32_e32 v7, 0x7fffffff, v2
	s_mov_b32 s22, exec_lo
                                        ; implicit-def: $vgpr3
	s_delay_alu instid0(VALU_DEP_1)
	v_cmpx_gt_u32_e32 0x47800000, v7
	s_xor_b32 s22, exec_lo, s22
	s_cbranch_execz .LBB201_87
; %bb.82:
	s_mov_b32 s23, exec_lo
                                        ; implicit-def: $vgpr3
	v_cmpx_lt_u32_e32 0x387fffff, v7
	s_xor_b32 s23, exec_lo, s23
; %bb.83:
	v_bfe_u32 v3, v2, 21, 1
	s_delay_alu instid0(VALU_DEP_1) | instskip(NEXT) | instid1(VALU_DEP_1)
	v_add3_u32 v3, v2, v3, 0x80fffff
	v_lshrrev_b32_e32 v3, 21, v3
; %bb.84:
	s_and_not1_saveexec_b32 s23, s23
; %bb.85:
	v_add_f32_e64 v3, 0x43000000, |v2|
; %bb.86:
	s_or_b32 exec_lo, exec_lo, s23
                                        ; implicit-def: $vgpr7
.LBB201_87:
	s_and_not1_saveexec_b32 s22, s22
; %bb.88:
	v_mov_b32_e32 v3, 0x7f
	v_cmp_lt_u32_e32 vcc_lo, 0x7f800000, v7
	s_delay_alu instid0(VALU_DEP_2)
	v_cndmask_b32_e32 v3, 0x7c, v3, vcc_lo
; %bb.89:
	s_or_b32 exec_lo, exec_lo, s22
	v_lshrrev_b32_e32 v7, 24, v2
	s_delay_alu instid0(VALU_DEP_1)
	v_and_or_b32 v3, 0x80, v7, v3
	global_store_b8 v[0:1], v3, off
.LBB201_90:
	s_mov_b32 s23, 0
	s_mov_b32 s22, -1
.LBB201_91:
	s_and_not1_b32 vcc_lo, exec_lo, s23
	s_cbranch_vccnz .LBB201_99
; %bb.92:
	v_cmp_lt_i16_e32 vcc_lo, 14, v6
	s_mov_b32 s23, -1
	s_cbranch_vccz .LBB201_96
; %bb.93:
	v_cmp_eq_u16_e32 vcc_lo, 15, v6
	s_mov_b32 s2, -1
	s_cbranch_vccz .LBB201_95
; %bb.94:
	v_bfe_u32 v3, v2, 16, 1
	v_cmp_o_f32_e32 vcc_lo, v2, v2
	s_mov_b32 s22, -1
	s_mov_b32 s2, 0
	s_delay_alu instid0(VALU_DEP_2) | instskip(NEXT) | instid1(VALU_DEP_1)
	v_add3_u32 v3, v2, v3, 0x7fff
	v_lshrrev_b32_e32 v3, 16, v3
	s_delay_alu instid0(VALU_DEP_1)
	v_cndmask_b32_e32 v3, 0x7fc0, v3, vcc_lo
	global_store_b16 v[0:1], v3, off
.LBB201_95:
	s_mov_b32 s23, 0
.LBB201_96:
	s_delay_alu instid0(SALU_CYCLE_1)
	s_and_b32 vcc_lo, exec_lo, s23
	s_cbranch_vccz .LBB201_99
; %bb.97:
	v_cmp_eq_u16_e32 vcc_lo, 11, v6
	s_mov_b32 s2, -1
	s_cbranch_vccz .LBB201_99
; %bb.98:
	v_cmp_neq_f32_e32 vcc_lo, 0, v2
	s_mov_b32 s2, 0
	s_mov_b32 s22, -1
	v_cndmask_b32_e64 v3, 0, 1, vcc_lo
	global_store_b8 v[0:1], v3, off
.LBB201_99:
.LBB201_100:
	s_and_not1_b32 vcc_lo, exec_lo, s22
	s_cbranch_vccz .LBB201_140
	s_branch .LBB201_261
.LBB201_101:
	s_and_b32 vcc_lo, exec_lo, s23
	s_cbranch_vccz .LBB201_100
; %bb.102:
	v_cmp_gt_i16_e32 vcc_lo, 5, v6
	s_mov_b32 s22, -1
	s_cbranch_vccnz .LBB201_123
; %bb.103:
	v_cmp_gt_i16_e32 vcc_lo, 8, v6
	s_cbranch_vccnz .LBB201_113
; %bb.104:
	v_cmp_gt_i16_e32 vcc_lo, 9, v6
	s_cbranch_vccnz .LBB201_110
; %bb.105:
	v_cmp_lt_i16_e32 vcc_lo, 9, v6
	s_cbranch_vccz .LBB201_107
; %bb.106:
	v_cvt_f64_f32_e32 v[9:10], v2
	v_mov_b32_e32 v11, 0
	s_mov_b32 s22, 0
	s_delay_alu instid0(VALU_DEP_1)
	v_mov_b32_e32 v12, v11
	global_store_b128 v[0:1], v[9:12], off
.LBB201_107:
	s_and_not1_b32 vcc_lo, exec_lo, s22
	s_cbranch_vccnz .LBB201_109
; %bb.108:
	v_mov_b32_e32 v3, 0
	global_store_b64 v[0:1], v[2:3], off
.LBB201_109:
	s_mov_b32 s22, 0
.LBB201_110:
	s_delay_alu instid0(SALU_CYCLE_1)
	s_and_not1_b32 vcc_lo, exec_lo, s22
	s_cbranch_vccnz .LBB201_112
; %bb.111:
	v_cvt_f16_f32_e32 v3, v2
	s_delay_alu instid0(VALU_DEP_1)
	v_and_b32_e32 v3, 0xffff, v3
	global_store_b32 v[0:1], v3, off
.LBB201_112:
	s_mov_b32 s22, 0
.LBB201_113:
	s_delay_alu instid0(SALU_CYCLE_1)
	s_and_not1_b32 vcc_lo, exec_lo, s22
	s_cbranch_vccnz .LBB201_122
; %bb.114:
	v_cmp_gt_i16_e32 vcc_lo, 6, v6
	s_mov_b32 s22, -1
	s_cbranch_vccnz .LBB201_120
; %bb.115:
	v_cmp_lt_i16_e32 vcc_lo, 6, v6
	s_cbranch_vccz .LBB201_117
; %bb.116:
	v_cvt_f64_f32_e32 v[9:10], v2
	s_mov_b32 s22, 0
	global_store_b64 v[0:1], v[9:10], off
.LBB201_117:
	s_and_not1_b32 vcc_lo, exec_lo, s22
	s_cbranch_vccnz .LBB201_119
; %bb.118:
	global_store_b32 v[0:1], v2, off
.LBB201_119:
	s_mov_b32 s22, 0
.LBB201_120:
	s_delay_alu instid0(SALU_CYCLE_1)
	s_and_not1_b32 vcc_lo, exec_lo, s22
	s_cbranch_vccnz .LBB201_122
; %bb.121:
	v_cvt_f16_f32_e32 v3, v2
	global_store_b16 v[0:1], v3, off
.LBB201_122:
	s_mov_b32 s22, 0
.LBB201_123:
	s_delay_alu instid0(SALU_CYCLE_1)
	s_and_not1_b32 vcc_lo, exec_lo, s22
	s_cbranch_vccnz .LBB201_139
; %bb.124:
	v_cmp_gt_i16_e32 vcc_lo, 2, v6
	s_mov_b32 s22, -1
	s_cbranch_vccnz .LBB201_134
; %bb.125:
	v_cmp_gt_i16_e32 vcc_lo, 3, v6
	s_cbranch_vccnz .LBB201_131
; %bb.126:
	v_cmp_lt_i16_e32 vcc_lo, 3, v6
	s_cbranch_vccz .LBB201_128
; %bb.127:
	v_trunc_f32_e32 v3, v2
	s_mov_b32 s22, 0
	s_delay_alu instid0(VALU_DEP_1) | instskip(NEXT) | instid1(VALU_DEP_1)
	v_mul_f32_e64 v7, 0x2f800000, |v3|
	v_floor_f32_e32 v7, v7
	s_delay_alu instid0(VALU_DEP_1) | instskip(SKIP_2) | instid1(VALU_DEP_3)
	v_fma_f32 v9, 0xcf800000, v7, |v3|
	v_ashrrev_i32_e32 v3, 31, v3
	v_cvt_u32_f32_e32 v7, v7
	v_cvt_u32_f32_e32 v9, v9
	s_delay_alu instid0(VALU_DEP_2) | instskip(NEXT) | instid1(VALU_DEP_2)
	v_xor_b32_e32 v7, v7, v3
	v_xor_b32_e32 v9, v9, v3
	s_delay_alu instid0(VALU_DEP_1) | instskip(NEXT) | instid1(VALU_DEP_3)
	v_sub_co_u32 v9, vcc_lo, v9, v3
	v_sub_co_ci_u32_e32 v10, vcc_lo, v7, v3, vcc_lo
	global_store_b64 v[0:1], v[9:10], off
.LBB201_128:
	s_and_not1_b32 vcc_lo, exec_lo, s22
	s_cbranch_vccnz .LBB201_130
; %bb.129:
	v_cvt_i32_f32_e32 v3, v2
	global_store_b32 v[0:1], v3, off
.LBB201_130:
	s_mov_b32 s22, 0
.LBB201_131:
	s_delay_alu instid0(SALU_CYCLE_1)
	s_and_not1_b32 vcc_lo, exec_lo, s22
	s_cbranch_vccnz .LBB201_133
; %bb.132:
	v_cvt_i32_f32_e32 v3, v2
	global_store_b16 v[0:1], v3, off
.LBB201_133:
	s_mov_b32 s22, 0
.LBB201_134:
	s_delay_alu instid0(SALU_CYCLE_1)
	s_and_not1_b32 vcc_lo, exec_lo, s22
	s_cbranch_vccnz .LBB201_139
; %bb.135:
	v_cmp_lt_i16_e32 vcc_lo, 0, v6
	s_mov_b32 s22, -1
	s_cbranch_vccz .LBB201_137
; %bb.136:
	v_cvt_i32_f32_e32 v3, v2
	s_mov_b32 s22, 0
	global_store_b8 v[0:1], v3, off
.LBB201_137:
	s_and_not1_b32 vcc_lo, exec_lo, s22
	s_cbranch_vccnz .LBB201_139
; %bb.138:
	v_trunc_f32_e32 v2, v2
	s_delay_alu instid0(VALU_DEP_1) | instskip(NEXT) | instid1(VALU_DEP_1)
	v_mul_f32_e64 v3, 0x2f800000, |v2|
	v_floor_f32_e32 v3, v3
	s_delay_alu instid0(VALU_DEP_1) | instskip(SKIP_1) | instid1(VALU_DEP_2)
	v_fma_f32 v3, 0xcf800000, v3, |v2|
	v_ashrrev_i32_e32 v2, 31, v2
	v_cvt_u32_f32_e32 v3, v3
	s_delay_alu instid0(VALU_DEP_1) | instskip(NEXT) | instid1(VALU_DEP_1)
	v_xor_b32_e32 v3, v3, v2
	v_sub_nc_u32_e32 v2, v3, v2
	global_store_b8 v[0:1], v2, off
.LBB201_139:
.LBB201_140:
	v_add_nc_u32_e32 v8, 0x80, v8
	s_mov_b32 s22, -1
	s_branch .LBB201_262
.LBB201_141:
	s_mov_b32 s2, 0
                                        ; implicit-def: $vgpr3
	s_cbranch_execnz .LBB201_178
	s_branch .LBB201_212
.LBB201_142:
	s_mov_b32 s22, -1
	s_mov_b32 s2, 0
                                        ; implicit-def: $vgpr3
	s_branch .LBB201_159
.LBB201_143:
	s_mov_b32 s22, -1
	s_mov_b32 s2, 0
                                        ; implicit-def: $vgpr3
	s_branch .LBB201_154
.LBB201_144:
	s_mov_b32 s22, -1
	s_branch .LBB201_146
.LBB201_145:
	s_mov_b32 s3, -1
.LBB201_146:
	s_mov_b32 s2, 0
                                        ; implicit-def: $vgpr3
.LBB201_147:
	s_and_b32 vcc_lo, exec_lo, s22
	s_cbranch_vccz .LBB201_153
; %bb.148:
	v_cmp_eq_u16_e32 vcc_lo, 44, v5
	s_cbranch_vccz .LBB201_152
; %bb.149:
	global_load_u8 v3, v[1:2], off
	s_mov_b32 s3, 0
	s_mov_b32 s2, -1
	s_waitcnt vmcnt(0)
	v_lshlrev_b32_e32 v6, 23, v3
	v_cmp_ne_u32_e32 vcc_lo, 0xff, v3
	s_delay_alu instid0(VALU_DEP_2) | instskip(SKIP_1) | instid1(VALU_DEP_2)
	v_cndmask_b32_e32 v6, 0x7f800001, v6, vcc_lo
	v_cmp_ne_u32_e32 vcc_lo, 0, v3
	v_cndmask_b32_e32 v3, 0x400000, v6, vcc_lo
	s_branch .LBB201_153
.LBB201_150:
	s_or_saveexec_b32 s34, s34
                                        ; implicit-def: $sgpr35
	s_delay_alu instid0(SALU_CYCLE_1)
	s_xor_b32 exec_lo, exec_lo, s34
	s_cbranch_execz .LBB201_52
.LBB201_151:
	v_add_f32_e64 v3, 0x46000000, |v2|
	s_and_not1_b32 s23, s23, exec_lo
	s_mov_b32 s35, 0
	s_delay_alu instid0(VALU_DEP_1) | instskip(NEXT) | instid1(VALU_DEP_1)
	v_and_b32_e32 v3, 0xff, v3
	v_cmp_ne_u32_e32 vcc_lo, 0, v3
	s_and_b32 s38, vcc_lo, exec_lo
	s_delay_alu instid0(SALU_CYCLE_1)
	s_or_b32 s23, s23, s38
	s_or_b32 exec_lo, exec_lo, s34
	v_mov_b32_e32 v7, s35
	s_and_saveexec_b32 s34, s23
	s_cbranch_execnz .LBB201_53
	s_branch .LBB201_54
.LBB201_152:
	s_mov_b32 s3, -1
                                        ; implicit-def: $vgpr3
.LBB201_153:
	s_mov_b32 s22, 0
.LBB201_154:
	s_delay_alu instid0(SALU_CYCLE_1)
	s_and_b32 vcc_lo, exec_lo, s22
	s_cbranch_vccz .LBB201_158
; %bb.155:
	v_cmp_eq_u16_e32 vcc_lo, 29, v5
	s_cbranch_vccz .LBB201_157
; %bb.156:
	global_load_b64 v[6:7], v[1:2], off
	s_mov_b32 s2, -1
	s_mov_b32 s3, 0
	s_mov_b32 s22, 0
	s_waitcnt vmcnt(0)
	v_clz_i32_u32_e32 v3, v7
	s_delay_alu instid0(VALU_DEP_1) | instskip(NEXT) | instid1(VALU_DEP_1)
	v_min_u32_e32 v3, 32, v3
	v_lshlrev_b64 v[6:7], v3, v[6:7]
	v_sub_nc_u32_e32 v3, 32, v3
	s_delay_alu instid0(VALU_DEP_2) | instskip(NEXT) | instid1(VALU_DEP_1)
	v_min_u32_e32 v6, 1, v6
	v_or_b32_e32 v6, v7, v6
	s_delay_alu instid0(VALU_DEP_1) | instskip(NEXT) | instid1(VALU_DEP_1)
	v_cvt_f32_u32_e32 v6, v6
	v_ldexp_f32 v3, v6, v3
	s_branch .LBB201_159
.LBB201_157:
	s_mov_b32 s3, -1
                                        ; implicit-def: $vgpr3
.LBB201_158:
	s_mov_b32 s22, 0
.LBB201_159:
	s_delay_alu instid0(SALU_CYCLE_1)
	s_and_b32 vcc_lo, exec_lo, s22
	s_cbranch_vccz .LBB201_177
; %bb.160:
	v_cmp_gt_i16_e32 vcc_lo, 27, v5
	s_cbranch_vccnz .LBB201_163
; %bb.161:
	v_cmp_lt_i16_e32 vcc_lo, 27, v5
	s_cbranch_vccz .LBB201_164
; %bb.162:
	global_load_b32 v3, v[1:2], off
	s_mov_b32 s2, 0
	s_waitcnt vmcnt(0)
	v_cvt_f32_u32_e32 v3, v3
	s_branch .LBB201_165
.LBB201_163:
	s_mov_b32 s2, -1
                                        ; implicit-def: $vgpr3
	s_branch .LBB201_168
.LBB201_164:
	s_mov_b32 s2, -1
                                        ; implicit-def: $vgpr3
.LBB201_165:
	s_delay_alu instid0(SALU_CYCLE_1)
	s_and_not1_b32 vcc_lo, exec_lo, s2
	s_cbranch_vccnz .LBB201_167
; %bb.166:
	global_load_u16 v3, v[1:2], off
	s_waitcnt vmcnt(0)
	v_cvt_f32_u32_e32 v3, v3
.LBB201_167:
	s_mov_b32 s2, 0
.LBB201_168:
	s_delay_alu instid0(SALU_CYCLE_1)
	s_and_not1_b32 vcc_lo, exec_lo, s2
	s_cbranch_vccnz .LBB201_176
; %bb.169:
	global_load_u8 v6, v[1:2], off
	s_mov_b32 s2, 0
	s_mov_b32 s23, exec_lo
                                        ; implicit-def: $sgpr22
	s_waitcnt vmcnt(0)
	v_cmpx_lt_i16_e32 0x7f, v6
	s_xor_b32 s23, exec_lo, s23
	s_cbranch_execz .LBB201_189
; %bb.170:
	s_mov_b32 s2, -1
	s_mov_b32 s34, exec_lo
                                        ; implicit-def: $sgpr22
	v_cmpx_eq_u16_e32 0x80, v6
; %bb.171:
	s_mov_b32 s22, 0x7f800001
	s_xor_b32 s2, exec_lo, -1
; %bb.172:
	s_or_b32 exec_lo, exec_lo, s34
	s_delay_alu instid0(SALU_CYCLE_1)
	s_and_b32 s2, s2, exec_lo
	s_or_saveexec_b32 s23, s23
	v_mov_b32_e32 v3, s22
	s_xor_b32 exec_lo, exec_lo, s23
	s_cbranch_execnz .LBB201_190
.LBB201_173:
	s_or_b32 exec_lo, exec_lo, s23
	s_and_saveexec_b32 s22, s2
	s_cbranch_execz .LBB201_175
.LBB201_174:
	v_and_b32_e32 v3, 0xffff, v6
	v_lshlrev_b32_e32 v6, 24, v6
	s_delay_alu instid0(VALU_DEP_2) | instskip(NEXT) | instid1(VALU_DEP_2)
	v_and_b32_e32 v7, 7, v3
	v_and_b32_e32 v6, 0x80000000, v6
	s_delay_alu instid0(VALU_DEP_2) | instskip(NEXT) | instid1(VALU_DEP_1)
	v_clz_i32_u32_e32 v9, v7
	v_min_u32_e32 v9, 32, v9
	s_delay_alu instid0(VALU_DEP_1) | instskip(SKIP_1) | instid1(VALU_DEP_2)
	v_subrev_nc_u32_e32 v10, 28, v9
	v_sub_nc_u32_e32 v9, 29, v9
	v_lshlrev_b32_e32 v10, v10, v3
	v_bfe_u32 v3, v3, 3, 4
	s_delay_alu instid0(VALU_DEP_1) | instskip(NEXT) | instid1(VALU_DEP_3)
	v_cmp_eq_u32_e32 vcc_lo, 0, v3
	v_dual_cndmask_b32 v3, v3, v9 :: v_dual_and_b32 v10, 7, v10
	s_delay_alu instid0(VALU_DEP_1) | instskip(NEXT) | instid1(VALU_DEP_2)
	v_lshl_add_u32 v3, v3, 23, 0x3b800000
	v_cndmask_b32_e32 v7, v7, v10, vcc_lo
	s_delay_alu instid0(VALU_DEP_1) | instskip(NEXT) | instid1(VALU_DEP_1)
	v_lshlrev_b32_e32 v7, 20, v7
	v_or3_b32 v3, v6, v3, v7
.LBB201_175:
	s_or_b32 exec_lo, exec_lo, s22
.LBB201_176:
	s_mov_b32 s2, -1
.LBB201_177:
	s_branch .LBB201_212
.LBB201_178:
	v_cmp_lt_i16_e32 vcc_lo, 22, v5
	s_cbranch_vccz .LBB201_188
; %bb.179:
	v_cmp_gt_i16_e32 vcc_lo, 24, v5
	s_cbranch_vccnz .LBB201_191
; %bb.180:
	v_cmp_lt_i16_e32 vcc_lo, 24, v5
	s_cbranch_vccz .LBB201_192
; %bb.181:
	global_load_u8 v6, v[1:2], off
	s_mov_b32 s2, 0
	s_mov_b32 s23, exec_lo
                                        ; implicit-def: $sgpr22
	s_waitcnt vmcnt(0)
	v_cmpx_lt_i16_e32 0x7f, v6
	s_xor_b32 s23, exec_lo, s23
	s_cbranch_execz .LBB201_204
; %bb.182:
	s_mov_b32 s2, -1
	s_mov_b32 s34, exec_lo
                                        ; implicit-def: $sgpr22
	v_cmpx_eq_u16_e32 0x80, v6
; %bb.183:
	s_mov_b32 s22, 0x7f800001
	s_xor_b32 s2, exec_lo, -1
; %bb.184:
	s_or_b32 exec_lo, exec_lo, s34
	s_delay_alu instid0(SALU_CYCLE_1)
	s_and_b32 s2, s2, exec_lo
	s_or_saveexec_b32 s23, s23
	v_mov_b32_e32 v3, s22
	s_xor_b32 exec_lo, exec_lo, s23
	s_cbranch_execnz .LBB201_205
.LBB201_185:
	s_or_b32 exec_lo, exec_lo, s23
	s_and_saveexec_b32 s22, s2
	s_cbranch_execz .LBB201_187
.LBB201_186:
	v_and_b32_e32 v3, 0xffff, v6
	v_lshlrev_b32_e32 v6, 24, v6
	s_delay_alu instid0(VALU_DEP_2) | instskip(NEXT) | instid1(VALU_DEP_2)
	v_and_b32_e32 v7, 3, v3
	v_and_b32_e32 v6, 0x80000000, v6
	s_delay_alu instid0(VALU_DEP_2) | instskip(NEXT) | instid1(VALU_DEP_1)
	v_clz_i32_u32_e32 v9, v7
	v_min_u32_e32 v9, 32, v9
	s_delay_alu instid0(VALU_DEP_1) | instskip(SKIP_1) | instid1(VALU_DEP_2)
	v_subrev_nc_u32_e32 v10, 29, v9
	v_sub_nc_u32_e32 v9, 30, v9
	v_lshlrev_b32_e32 v10, v10, v3
	v_bfe_u32 v3, v3, 2, 5
	s_delay_alu instid0(VALU_DEP_1) | instskip(NEXT) | instid1(VALU_DEP_3)
	v_cmp_eq_u32_e32 vcc_lo, 0, v3
	v_dual_cndmask_b32 v3, v3, v9 :: v_dual_and_b32 v10, 3, v10
	s_delay_alu instid0(VALU_DEP_1) | instskip(NEXT) | instid1(VALU_DEP_2)
	v_lshl_add_u32 v3, v3, 23, 0x37800000
	v_cndmask_b32_e32 v7, v7, v10, vcc_lo
	s_delay_alu instid0(VALU_DEP_1) | instskip(NEXT) | instid1(VALU_DEP_1)
	v_lshlrev_b32_e32 v7, 21, v7
	v_or3_b32 v3, v6, v3, v7
.LBB201_187:
	s_or_b32 exec_lo, exec_lo, s22
	s_mov_b32 s2, 0
	s_branch .LBB201_193
.LBB201_188:
	s_mov_b32 s22, -1
                                        ; implicit-def: $vgpr3
	s_branch .LBB201_199
.LBB201_189:
	s_or_saveexec_b32 s23, s23
	v_mov_b32_e32 v3, s22
	s_xor_b32 exec_lo, exec_lo, s23
	s_cbranch_execz .LBB201_173
.LBB201_190:
	v_cmp_ne_u16_e32 vcc_lo, 0, v6
	v_mov_b32_e32 v3, 0
	s_and_not1_b32 s2, s2, exec_lo
	s_and_b32 s22, vcc_lo, exec_lo
	s_delay_alu instid0(SALU_CYCLE_1)
	s_or_b32 s2, s2, s22
	s_or_b32 exec_lo, exec_lo, s23
	s_and_saveexec_b32 s22, s2
	s_cbranch_execnz .LBB201_174
	s_branch .LBB201_175
.LBB201_191:
	s_mov_b32 s2, -1
                                        ; implicit-def: $vgpr3
	s_branch .LBB201_196
.LBB201_192:
	s_mov_b32 s2, -1
                                        ; implicit-def: $vgpr3
.LBB201_193:
	s_delay_alu instid0(SALU_CYCLE_1)
	s_and_b32 vcc_lo, exec_lo, s2
	s_cbranch_vccz .LBB201_195
; %bb.194:
	global_load_u8 v3, v[1:2], off
	s_waitcnt vmcnt(0)
	v_lshlrev_b32_e32 v3, 24, v3
	s_delay_alu instid0(VALU_DEP_1) | instskip(NEXT) | instid1(VALU_DEP_1)
	v_and_b32_e32 v6, 0x7f000000, v3
	v_clz_i32_u32_e32 v7, v6
	v_cmp_ne_u32_e32 vcc_lo, 0, v6
	v_add_nc_u32_e32 v10, 0x1000000, v6
	s_delay_alu instid0(VALU_DEP_3) | instskip(NEXT) | instid1(VALU_DEP_1)
	v_min_u32_e32 v7, 32, v7
	v_sub_nc_u32_e64 v7, v7, 4 clamp
	s_delay_alu instid0(VALU_DEP_1) | instskip(SKIP_1) | instid1(VALU_DEP_2)
	v_lshlrev_b32_e32 v9, v7, v6
	v_lshlrev_b32_e32 v7, 23, v7
	v_lshrrev_b32_e32 v9, 4, v9
	s_delay_alu instid0(VALU_DEP_1) | instskip(SKIP_1) | instid1(VALU_DEP_2)
	v_sub_nc_u32_e32 v7, v9, v7
	v_ashrrev_i32_e32 v9, 8, v10
	v_add_nc_u32_e32 v7, 0x3c000000, v7
	s_delay_alu instid0(VALU_DEP_1) | instskip(NEXT) | instid1(VALU_DEP_1)
	v_and_or_b32 v7, 0x7f800000, v9, v7
	v_cndmask_b32_e32 v6, 0, v7, vcc_lo
	s_delay_alu instid0(VALU_DEP_1)
	v_and_or_b32 v3, 0x80000000, v3, v6
.LBB201_195:
	s_mov_b32 s2, 0
.LBB201_196:
	s_delay_alu instid0(SALU_CYCLE_1)
	s_and_not1_b32 vcc_lo, exec_lo, s2
	s_cbranch_vccnz .LBB201_198
; %bb.197:
	global_load_u8 v3, v[1:2], off
	s_waitcnt vmcnt(0)
	v_lshlrev_b32_e32 v6, 25, v3
	v_lshlrev_b16 v3, 8, v3
	s_delay_alu instid0(VALU_DEP_1) | instskip(SKIP_1) | instid1(VALU_DEP_2)
	v_and_or_b32 v9, 0x7f00, v3, 0.5
	v_bfe_i32 v3, v3, 0, 16
	v_add_f32_e32 v9, -0.5, v9
	v_lshrrev_b32_e32 v7, 4, v6
	v_cmp_gt_u32_e32 vcc_lo, 0x8000000, v6
	s_delay_alu instid0(VALU_DEP_2) | instskip(NEXT) | instid1(VALU_DEP_1)
	v_or_b32_e32 v7, 0x70000000, v7
	v_mul_f32_e32 v7, 0x7800000, v7
	s_delay_alu instid0(VALU_DEP_1) | instskip(NEXT) | instid1(VALU_DEP_1)
	v_cndmask_b32_e32 v6, v7, v9, vcc_lo
	v_and_or_b32 v3, 0x80000000, v3, v6
.LBB201_198:
	s_mov_b32 s22, 0
	s_mov_b32 s2, -1
.LBB201_199:
	s_and_not1_b32 vcc_lo, exec_lo, s22
	s_cbranch_vccnz .LBB201_212
; %bb.200:
	v_cmp_lt_i16_e32 vcc_lo, 14, v5
	s_cbranch_vccz .LBB201_203
; %bb.201:
	v_cmp_eq_u16_e32 vcc_lo, 15, v5
	s_cbranch_vccz .LBB201_206
; %bb.202:
	global_load_u16 v3, v[1:2], off
	s_mov_b32 s2, -1
	s_mov_b32 s3, 0
	s_waitcnt vmcnt(0)
	v_lshlrev_b32_e32 v3, 16, v3
	s_branch .LBB201_207
.LBB201_203:
	s_mov_b32 s22, -1
                                        ; implicit-def: $vgpr3
	s_branch .LBB201_208
.LBB201_204:
	s_or_saveexec_b32 s23, s23
	v_mov_b32_e32 v3, s22
	s_xor_b32 exec_lo, exec_lo, s23
	s_cbranch_execz .LBB201_185
.LBB201_205:
	v_cmp_ne_u16_e32 vcc_lo, 0, v6
	v_mov_b32_e32 v3, 0
	s_and_not1_b32 s2, s2, exec_lo
	s_and_b32 s22, vcc_lo, exec_lo
	s_delay_alu instid0(SALU_CYCLE_1)
	s_or_b32 s2, s2, s22
	s_or_b32 exec_lo, exec_lo, s23
	s_and_saveexec_b32 s22, s2
	s_cbranch_execnz .LBB201_186
	s_branch .LBB201_187
.LBB201_206:
	s_mov_b32 s3, -1
                                        ; implicit-def: $vgpr3
.LBB201_207:
	s_mov_b32 s22, 0
.LBB201_208:
	s_delay_alu instid0(SALU_CYCLE_1)
	s_and_b32 vcc_lo, exec_lo, s22
	s_cbranch_vccz .LBB201_212
; %bb.209:
	v_cmp_eq_u16_e32 vcc_lo, 11, v5
	s_cbranch_vccz .LBB201_211
; %bb.210:
	global_load_u8 v3, v[1:2], off
	s_mov_b32 s3, 0
	s_mov_b32 s2, -1
	s_waitcnt vmcnt(0)
	v_cmp_ne_u16_e32 vcc_lo, 0, v3
	v_cndmask_b32_e64 v3, 0, 1.0, vcc_lo
	s_branch .LBB201_212
.LBB201_211:
	s_mov_b32 s3, -1
                                        ; implicit-def: $vgpr3
.LBB201_212:
	s_branch .LBB201_23
.LBB201_213:
	v_cmp_gt_i16_e32 vcc_lo, 5, v5
	s_cbranch_vccnz .LBB201_218
; %bb.214:
	v_cmp_gt_i16_e32 vcc_lo, 8, v5
	s_cbranch_vccnz .LBB201_219
; %bb.215:
	;; [unrolled: 3-line block ×3, first 2 shown]
	v_cmp_lt_i16_e32 vcc_lo, 9, v5
	s_cbranch_vccz .LBB201_221
; %bb.217:
	global_load_b64 v[6:7], v[1:2], off
	s_mov_b32 s2, 0
	s_waitcnt vmcnt(0)
	v_cvt_f32_f64_e32 v3, v[6:7]
	s_branch .LBB201_222
.LBB201_218:
                                        ; implicit-def: $vgpr3
	s_branch .LBB201_240
.LBB201_219:
	s_mov_b32 s2, -1
                                        ; implicit-def: $vgpr3
	s_branch .LBB201_228
.LBB201_220:
	s_mov_b32 s2, -1
                                        ; implicit-def: $vgpr3
	s_branch .LBB201_225
.LBB201_221:
	s_mov_b32 s2, -1
                                        ; implicit-def: $vgpr3
.LBB201_222:
	s_delay_alu instid0(SALU_CYCLE_1)
	s_and_not1_b32 vcc_lo, exec_lo, s2
	s_cbranch_vccnz .LBB201_224
; %bb.223:
	global_load_b32 v3, v[1:2], off
.LBB201_224:
	s_mov_b32 s2, 0
.LBB201_225:
	s_delay_alu instid0(SALU_CYCLE_1)
	s_and_not1_b32 vcc_lo, exec_lo, s2
	s_cbranch_vccnz .LBB201_227
; %bb.226:
	global_load_b32 v3, v[1:2], off
	s_waitcnt vmcnt(0)
	v_cvt_f32_f16_e32 v3, v3
.LBB201_227:
	s_mov_b32 s2, 0
.LBB201_228:
	s_delay_alu instid0(SALU_CYCLE_1)
	s_and_not1_b32 vcc_lo, exec_lo, s2
	s_cbranch_vccnz .LBB201_239
; %bb.229:
	v_cmp_gt_i16_e32 vcc_lo, 6, v5
	s_cbranch_vccnz .LBB201_232
; %bb.230:
	v_cmp_lt_i16_e32 vcc_lo, 6, v5
	s_cbranch_vccz .LBB201_233
; %bb.231:
	global_load_b64 v[6:7], v[1:2], off
	s_mov_b32 s2, 0
	s_waitcnt vmcnt(0)
	v_cvt_f32_f64_e32 v3, v[6:7]
	s_branch .LBB201_234
.LBB201_232:
	s_mov_b32 s2, -1
                                        ; implicit-def: $vgpr3
	s_branch .LBB201_237
.LBB201_233:
	s_mov_b32 s2, -1
                                        ; implicit-def: $vgpr3
.LBB201_234:
	s_delay_alu instid0(SALU_CYCLE_1)
	s_and_not1_b32 vcc_lo, exec_lo, s2
	s_cbranch_vccnz .LBB201_236
; %bb.235:
	global_load_b32 v3, v[1:2], off
.LBB201_236:
	s_mov_b32 s2, 0
.LBB201_237:
	s_delay_alu instid0(SALU_CYCLE_1)
	s_and_not1_b32 vcc_lo, exec_lo, s2
	s_cbranch_vccnz .LBB201_239
; %bb.238:
	global_load_u16 v3, v[1:2], off
	s_waitcnt vmcnt(0)
	v_cvt_f32_f16_e32 v3, v3
.LBB201_239:
	s_cbranch_execnz .LBB201_259
.LBB201_240:
	v_cmp_gt_i16_e32 vcc_lo, 2, v5
	s_cbranch_vccnz .LBB201_244
; %bb.241:
	v_cmp_gt_i16_e32 vcc_lo, 3, v5
	s_cbranch_vccnz .LBB201_245
; %bb.242:
	v_cmp_lt_i16_e32 vcc_lo, 3, v5
	s_cbranch_vccz .LBB201_246
; %bb.243:
	global_load_b64 v[6:7], v[1:2], off
	s_mov_b32 s2, 0
	s_waitcnt vmcnt(0)
	v_xor_b32_e32 v3, v6, v7
	v_cls_i32_e32 v9, v7
	s_delay_alu instid0(VALU_DEP_2) | instskip(NEXT) | instid1(VALU_DEP_2)
	v_ashrrev_i32_e32 v3, 31, v3
	v_add_nc_u32_e32 v9, -1, v9
	s_delay_alu instid0(VALU_DEP_2) | instskip(NEXT) | instid1(VALU_DEP_1)
	v_add_nc_u32_e32 v3, 32, v3
	v_min_u32_e32 v3, v9, v3
	s_delay_alu instid0(VALU_DEP_1) | instskip(SKIP_1) | instid1(VALU_DEP_2)
	v_lshlrev_b64 v[6:7], v3, v[6:7]
	v_sub_nc_u32_e32 v3, 32, v3
	v_min_u32_e32 v6, 1, v6
	s_delay_alu instid0(VALU_DEP_1) | instskip(NEXT) | instid1(VALU_DEP_1)
	v_or_b32_e32 v6, v7, v6
	v_cvt_f32_i32_e32 v6, v6
	s_delay_alu instid0(VALU_DEP_1)
	v_ldexp_f32 v3, v6, v3
	s_branch .LBB201_247
.LBB201_244:
	s_mov_b32 s2, -1
                                        ; implicit-def: $vgpr3
	s_branch .LBB201_253
.LBB201_245:
	s_mov_b32 s2, -1
                                        ; implicit-def: $vgpr3
	s_branch .LBB201_250
.LBB201_246:
	s_mov_b32 s2, -1
                                        ; implicit-def: $vgpr3
.LBB201_247:
	s_delay_alu instid0(SALU_CYCLE_1)
	s_and_not1_b32 vcc_lo, exec_lo, s2
	s_cbranch_vccnz .LBB201_249
; %bb.248:
	global_load_b32 v3, v[1:2], off
	s_waitcnt vmcnt(0)
	v_cvt_f32_i32_e32 v3, v3
.LBB201_249:
	s_mov_b32 s2, 0
.LBB201_250:
	s_delay_alu instid0(SALU_CYCLE_1)
	s_and_not1_b32 vcc_lo, exec_lo, s2
	s_cbranch_vccnz .LBB201_252
; %bb.251:
	global_load_i16 v3, v[1:2], off
	s_waitcnt vmcnt(0)
	v_cvt_f32_i32_e32 v3, v3
.LBB201_252:
	s_mov_b32 s2, 0
.LBB201_253:
	s_delay_alu instid0(SALU_CYCLE_1)
	s_and_not1_b32 vcc_lo, exec_lo, s2
	s_cbranch_vccnz .LBB201_259
; %bb.254:
	v_cmp_lt_i16_e32 vcc_lo, 0, v5
	s_mov_b32 s2, 0
	s_cbranch_vccz .LBB201_256
; %bb.255:
	global_load_i8 v3, v[1:2], off
	s_waitcnt vmcnt(0)
	v_cvt_f32_i32_e32 v3, v3
	s_branch .LBB201_257
.LBB201_256:
	s_mov_b32 s2, -1
                                        ; implicit-def: $vgpr3
.LBB201_257:
	s_delay_alu instid0(SALU_CYCLE_1)
	s_and_not1_b32 vcc_lo, exec_lo, s2
	s_cbranch_vccnz .LBB201_259
; %bb.258:
	global_load_u8 v1, v[1:2], off
	s_waitcnt vmcnt(0)
	v_cvt_f32_ubyte0_e32 v3, v1
.LBB201_259:
	s_branch .LBB201_24
.LBB201_260:
	s_mov_b32 s2, 0
.LBB201_261:
	s_mov_b32 s22, 0
                                        ; implicit-def: $vgpr8
.LBB201_262:
	s_and_b32 s34, s2, exec_lo
	s_and_b32 s35, s3, exec_lo
	s_or_not1_b32 s3, s22, exec_lo
.LBB201_263:
	s_or_b32 exec_lo, exec_lo, s36
	s_mov_b32 s22, 0
	s_mov_b32 s2, 0
                                        ; implicit-def: $vgpr1_vgpr2
                                        ; implicit-def: $vgpr0
                                        ; implicit-def: $vgpr6
	s_and_saveexec_b32 s36, s3
	s_cbranch_execz .LBB201_906
; %bb.264:
	s_mov_b32 s2, -1
	s_mov_b32 s37, s35
	s_mov_b32 s38, s34
	s_mov_b32 s39, exec_lo
	v_cmpx_gt_i32_e64 s30, v8
	s_cbranch_execz .LBB201_533
; %bb.265:
	s_and_not1_b32 vcc_lo, exec_lo, s27
	s_cbranch_vccnz .LBB201_270
; %bb.266:
	v_dual_mov_b32 v0, 0 :: v_dual_mov_b32 v1, 0
	s_and_not1_b32 vcc_lo, exec_lo, s33
	s_mov_b32 s37, 0
	s_cbranch_vccnz .LBB201_275
; %bb.267:
	v_mov_b32_e32 v0, 0
	s_add_i32 s40, s31, 1
	s_cmp_eq_u32 s25, 2
	s_mov_b32 s38, 0
	s_cbranch_scc1 .LBB201_271
; %bb.268:
	v_dual_mov_b32 v1, 0 :: v_dual_mov_b32 v0, 0
	v_mov_b32_e32 v2, v8
	s_and_b32 s38, s40, 28
	s_mov_b32 s41, 0
	s_mov_b64 s[2:3], s[20:21]
	s_mov_b64 s[22:23], s[16:17]
.LBB201_269:                            ; =>This Inner Loop Header: Depth=1
	s_clause 0x1
	s_load_b256 s[44:51], s[22:23], 0x4
	s_load_b128 s[60:63], s[22:23], 0x24
	s_load_b256 s[52:59], s[2:3], 0x0
	s_add_u32 s22, s22, 48
	s_addc_u32 s23, s23, 0
	s_add_i32 s41, s41, 4
	s_add_u32 s2, s2, 32
	s_addc_u32 s3, s3, 0
	s_cmp_eq_u32 s38, s41
	s_waitcnt vmcnt(0) lgkmcnt(0)
	v_mul_hi_u32 v3, s45, v2
	s_delay_alu instid0(VALU_DEP_1) | instskip(NEXT) | instid1(VALU_DEP_1)
	v_add_nc_u32_e32 v3, v2, v3
	v_lshrrev_b32_e32 v3, s46, v3
	s_delay_alu instid0(VALU_DEP_1) | instskip(SKIP_1) | instid1(VALU_DEP_2)
	v_mul_hi_u32 v6, s48, v3
	v_mul_lo_u32 v9, v3, s44
	v_add_nc_u32_e32 v6, v3, v6
	s_delay_alu instid0(VALU_DEP_2) | instskip(NEXT) | instid1(VALU_DEP_2)
	v_sub_nc_u32_e32 v2, v2, v9
	v_lshrrev_b32_e32 v6, s49, v6
	s_delay_alu instid0(VALU_DEP_2) | instskip(SKIP_1) | instid1(VALU_DEP_3)
	v_mul_lo_u32 v9, v2, s52
	v_mul_lo_u32 v11, v2, s53
	v_mul_hi_u32 v7, s51, v6
	s_delay_alu instid0(VALU_DEP_1) | instskip(NEXT) | instid1(VALU_DEP_1)
	v_add_nc_u32_e32 v7, v6, v7
	v_lshrrev_b32_e32 v7, s60, v7
	s_delay_alu instid0(VALU_DEP_1) | instskip(SKIP_1) | instid1(VALU_DEP_2)
	v_mul_hi_u32 v10, s62, v7
	v_mul_lo_u32 v12, v7, s50
	v_add_nc_u32_e32 v2, v7, v10
	v_mul_lo_u32 v10, v6, s47
	s_delay_alu instid0(VALU_DEP_3) | instskip(NEXT) | instid1(VALU_DEP_3)
	v_sub_nc_u32_e32 v6, v6, v12
	v_lshrrev_b32_e32 v2, s63, v2
	s_delay_alu instid0(VALU_DEP_2) | instskip(SKIP_2) | instid1(VALU_DEP_4)
	v_mul_lo_u32 v12, v6, s56
	v_mul_lo_u32 v6, v6, s57
	v_sub_nc_u32_e32 v3, v3, v10
	v_mul_lo_u32 v13, v2, s61
	s_delay_alu instid0(VALU_DEP_2) | instskip(SKIP_1) | instid1(VALU_DEP_3)
	v_mul_lo_u32 v10, v3, s54
	v_mul_lo_u32 v3, v3, s55
	v_sub_nc_u32_e32 v7, v7, v13
	s_delay_alu instid0(VALU_DEP_3) | instskip(NEXT) | instid1(VALU_DEP_2)
	v_add3_u32 v0, v9, v0, v10
	v_mul_lo_u32 v13, v7, s58
	v_mul_lo_u32 v7, v7, s59
	v_add3_u32 v1, v11, v1, v3
	s_delay_alu instid0(VALU_DEP_3) | instskip(NEXT) | instid1(VALU_DEP_2)
	v_add3_u32 v0, v12, v0, v13
	v_add3_u32 v1, v6, v1, v7
	s_cbranch_scc0 .LBB201_269
	s_branch .LBB201_272
.LBB201_270:
	s_mov_b32 s37, -1
                                        ; implicit-def: $vgpr0
                                        ; implicit-def: $vgpr1
	s_branch .LBB201_275
.LBB201_271:
	v_dual_mov_b32 v2, v8 :: v_dual_mov_b32 v1, 0
.LBB201_272:
	s_and_b32 s40, s40, 3
	s_delay_alu instid0(SALU_CYCLE_1)
	s_cmp_eq_u32 s40, 0
	s_cbranch_scc1 .LBB201_275
; %bb.273:
	s_lshl_b32 s2, s38, 3
	s_mul_i32 s22, s38, 12
	s_add_u32 s2, s2, s16
	s_addc_u32 s3, s17, 0
	s_add_u32 s2, s2, 0xc4
	s_addc_u32 s3, s3, 0
	;; [unrolled: 2-line block ×3, first 2 shown]
	.p2align	6
.LBB201_274:                            ; =>This Inner Loop Header: Depth=1
	s_clause 0x1
	s_load_b64 s[42:43], s[22:23], 0x4
	s_load_b32 s38, s[22:23], 0xc
	s_load_b64 s[44:45], s[2:3], 0x0
	s_add_u32 s22, s22, 12
	s_addc_u32 s23, s23, 0
	s_add_u32 s2, s2, 8
	s_addc_u32 s3, s3, 0
	s_add_i32 s40, s40, -1
	s_delay_alu instid0(SALU_CYCLE_1) | instskip(SKIP_2) | instid1(VALU_DEP_1)
	s_cmp_lg_u32 s40, 0
	s_waitcnt vmcnt(0) lgkmcnt(0)
	v_mul_hi_u32 v3, s43, v2
	v_add_nc_u32_e32 v3, v2, v3
	s_delay_alu instid0(VALU_DEP_1) | instskip(NEXT) | instid1(VALU_DEP_1)
	v_lshrrev_b32_e32 v3, s38, v3
	v_mul_lo_u32 v6, v3, s42
	s_delay_alu instid0(VALU_DEP_1) | instskip(NEXT) | instid1(VALU_DEP_1)
	v_sub_nc_u32_e32 v2, v2, v6
	v_mad_u64_u32 v[6:7], null, v2, s44, v[0:1]
	v_mad_u64_u32 v[9:10], null, v2, s45, v[1:2]
	v_mov_b32_e32 v2, v3
	s_delay_alu instid0(VALU_DEP_2)
	v_dual_mov_b32 v0, v6 :: v_dual_mov_b32 v1, v9
	s_cbranch_scc1 .LBB201_274
.LBB201_275:
	s_and_not1_b32 vcc_lo, exec_lo, s37
	s_cbranch_vccnz .LBB201_278
; %bb.276:
	s_waitcnt lgkmcnt(0)
	v_mul_hi_u32 v0, s13, v8
	s_and_not1_b32 vcc_lo, exec_lo, s29
	s_delay_alu instid0(VALU_DEP_1) | instskip(NEXT) | instid1(VALU_DEP_1)
	v_add_nc_u32_e32 v0, v8, v0
	v_lshrrev_b32_e32 v2, s14, v0
	s_delay_alu instid0(VALU_DEP_1) | instskip(NEXT) | instid1(VALU_DEP_1)
	v_mul_lo_u32 v0, v2, s12
	v_sub_nc_u32_e32 v1, v8, v0
	s_delay_alu instid0(VALU_DEP_1)
	v_mul_lo_u32 v0, v1, s8
	v_mul_lo_u32 v1, v1, s9
	s_cbranch_vccnz .LBB201_278
; %bb.277:
	s_waitcnt vmcnt(0)
	v_mul_hi_u32 v3, s18, v2
	s_delay_alu instid0(VALU_DEP_1) | instskip(NEXT) | instid1(VALU_DEP_1)
	v_add_nc_u32_e32 v3, v2, v3
	v_lshrrev_b32_e32 v3, s19, v3
	s_delay_alu instid0(VALU_DEP_1) | instskip(NEXT) | instid1(VALU_DEP_1)
	v_mul_lo_u32 v3, v3, s15
	v_sub_nc_u32_e32 v9, v2, v3
	s_delay_alu instid0(VALU_DEP_1) | instskip(NEXT) | instid1(VALU_DEP_1)
	v_mad_u64_u32 v[2:3], null, v9, s10, v[0:1]
	v_mad_u64_u32 v[6:7], null, v9, s11, v[1:2]
	v_mov_b32_e32 v0, v2
	s_delay_alu instid0(VALU_DEP_2)
	v_mov_b32_e32 v1, v6
.LBB201_278:
	v_cmp_gt_i16_e32 vcc_lo, 11, v5
	s_waitcnt lgkmcnt(0)
	s_delay_alu instid0(VALU_DEP_2) | instskip(NEXT) | instid1(VALU_DEP_1)
	v_add_co_u32 v1, s2, s6, v1
	v_add_co_ci_u32_e64 v2, null, s7, 0, s2
	s_mov_b32 s2, 0
	s_cbranch_vccnz .LBB201_285
; %bb.279:
	v_cmp_lt_i16_e32 vcc_lo, 25, v5
	s_cbranch_vccz .LBB201_334
; %bb.280:
	v_cmp_lt_i16_e32 vcc_lo, 28, v5
	s_cbranch_vccz .LBB201_335
	;; [unrolled: 3-line block ×4, first 2 shown]
; %bb.283:
	v_cmp_eq_u16_e32 vcc_lo, 46, v5
	s_mov_b32 s22, 0
	s_cbranch_vccz .LBB201_343
; %bb.284:
	global_load_b32 v3, v[1:2], off
	s_mov_b32 s2, -1
	s_mov_b32 s3, 0
	s_waitcnt vmcnt(0)
	v_lshlrev_b32_e32 v3, 16, v3
	s_branch .LBB201_345
.LBB201_285:
	s_mov_b32 s3, s35
                                        ; implicit-def: $vgpr3
	s_cbranch_execnz .LBB201_482
.LBB201_286:
	s_and_not1_b32 vcc_lo, exec_lo, s2
	s_cbranch_vccnz .LBB201_530
.LBB201_287:
	s_waitcnt vmcnt(0)
	s_delay_alu instid0(VALU_DEP_1) | instskip(SKIP_3) | instid1(VALU_DEP_2)
	v_cvt_f64_f32_e32 v[1:2], v3
	v_add_co_u32 v0, s2, s4, v0
	s_mov_b32 s22, 0
	s_mov_b32 s23, -1
	v_rsq_f64_e32 v[6:7], v[1:2]
	s_waitcnt_depctr 0xfff
	v_mul_f64 v[1:2], v[6:7], -v[1:2]
	v_cmp_class_f64_e64 vcc_lo, v[6:7], 0x180
	s_delay_alu instid0(VALU_DEP_2) | instskip(NEXT) | instid1(VALU_DEP_1)
	v_fma_f64 v[1:2], v[1:2], v[6:7], 1.0
	v_mul_f64 v[9:10], v[6:7], v[1:2]
	v_fma_f64 v[1:2], 0x3fd80000, v[1:2], 0.5
	s_delay_alu instid0(VALU_DEP_1) | instskip(NEXT) | instid1(VALU_DEP_1)
	v_fma_f64 v[1:2], v[9:10], v[1:2], v[6:7]
	v_dual_cndmask_b32 v2, v7, v2 :: v_dual_cndmask_b32 v1, v6, v1
	v_and_b32_e32 v6, 0xff, v4
	s_delay_alu instid0(VALU_DEP_2) | instskip(NEXT) | instid1(VALU_DEP_2)
	v_cvt_f32_f64_e32 v2, v[1:2]
	v_cmp_gt_i16_e32 vcc_lo, 11, v6
	v_add_co_ci_u32_e64 v1, null, s5, 0, s2
	s_mov_b32 s2, s34
	s_cbranch_vccnz .LBB201_294
; %bb.288:
	v_cmp_lt_i16_e32 vcc_lo, 25, v6
	s_cbranch_vccz .LBB201_336
; %bb.289:
	v_cmp_lt_i16_e32 vcc_lo, 28, v6
	s_cbranch_vccz .LBB201_338
	;; [unrolled: 3-line block ×4, first 2 shown]
; %bb.292:
	v_cmp_eq_u16_e32 vcc_lo, 46, v6
	s_mov_b32 s23, 0
	s_mov_b32 s2, -1
	s_cbranch_vccz .LBB201_349
; %bb.293:
	v_bfe_u32 v3, v2, 16, 1
	v_cmp_o_f32_e32 vcc_lo, v2, v2
	s_mov_b32 s22, -1
	s_mov_b32 s2, 0
	s_delay_alu instid0(VALU_DEP_2) | instskip(NEXT) | instid1(VALU_DEP_1)
	v_add3_u32 v3, v2, v3, 0x7fff
	v_lshrrev_b32_e32 v3, 16, v3
	s_delay_alu instid0(VALU_DEP_1)
	v_cndmask_b32_e32 v3, 0x7fc0, v3, vcc_lo
	global_store_b32 v[0:1], v3, off
	s_branch .LBB201_349
.LBB201_294:
	s_and_b32 vcc_lo, exec_lo, s23
	s_cbranch_vccz .LBB201_418
; %bb.295:
	v_cmp_gt_i16_e32 vcc_lo, 5, v6
	s_mov_b32 s22, -1
	s_cbranch_vccnz .LBB201_316
; %bb.296:
	v_cmp_gt_i16_e32 vcc_lo, 8, v6
	s_cbranch_vccnz .LBB201_306
; %bb.297:
	v_cmp_gt_i16_e32 vcc_lo, 9, v6
	s_cbranch_vccnz .LBB201_303
; %bb.298:
	v_cmp_lt_i16_e32 vcc_lo, 9, v6
	s_cbranch_vccz .LBB201_300
; %bb.299:
	v_cvt_f64_f32_e32 v[9:10], v2
	v_mov_b32_e32 v11, 0
	s_mov_b32 s22, 0
	s_delay_alu instid0(VALU_DEP_1)
	v_mov_b32_e32 v12, v11
	global_store_b128 v[0:1], v[9:12], off
.LBB201_300:
	s_and_not1_b32 vcc_lo, exec_lo, s22
	s_cbranch_vccnz .LBB201_302
; %bb.301:
	v_mov_b32_e32 v3, 0
	global_store_b64 v[0:1], v[2:3], off
.LBB201_302:
	s_mov_b32 s22, 0
.LBB201_303:
	s_delay_alu instid0(SALU_CYCLE_1)
	s_and_not1_b32 vcc_lo, exec_lo, s22
	s_cbranch_vccnz .LBB201_305
; %bb.304:
	v_cvt_f16_f32_e32 v3, v2
	s_delay_alu instid0(VALU_DEP_1)
	v_and_b32_e32 v3, 0xffff, v3
	global_store_b32 v[0:1], v3, off
.LBB201_305:
	s_mov_b32 s22, 0
.LBB201_306:
	s_delay_alu instid0(SALU_CYCLE_1)
	s_and_not1_b32 vcc_lo, exec_lo, s22
	s_cbranch_vccnz .LBB201_315
; %bb.307:
	v_cmp_gt_i16_e32 vcc_lo, 6, v6
	s_mov_b32 s22, -1
	s_cbranch_vccnz .LBB201_313
; %bb.308:
	v_cmp_lt_i16_e32 vcc_lo, 6, v6
	s_cbranch_vccz .LBB201_310
; %bb.309:
	v_cvt_f64_f32_e32 v[9:10], v2
	s_mov_b32 s22, 0
	global_store_b64 v[0:1], v[9:10], off
.LBB201_310:
	s_and_not1_b32 vcc_lo, exec_lo, s22
	s_cbranch_vccnz .LBB201_312
; %bb.311:
	global_store_b32 v[0:1], v2, off
.LBB201_312:
	s_mov_b32 s22, 0
.LBB201_313:
	s_delay_alu instid0(SALU_CYCLE_1)
	s_and_not1_b32 vcc_lo, exec_lo, s22
	s_cbranch_vccnz .LBB201_315
; %bb.314:
	v_cvt_f16_f32_e32 v3, v2
	global_store_b16 v[0:1], v3, off
.LBB201_315:
	s_mov_b32 s22, 0
.LBB201_316:
	s_delay_alu instid0(SALU_CYCLE_1)
	s_and_not1_b32 vcc_lo, exec_lo, s22
	s_cbranch_vccnz .LBB201_332
; %bb.317:
	v_cmp_gt_i16_e32 vcc_lo, 2, v6
	s_mov_b32 s22, -1
	s_cbranch_vccnz .LBB201_327
; %bb.318:
	v_cmp_gt_i16_e32 vcc_lo, 3, v6
	s_cbranch_vccnz .LBB201_324
; %bb.319:
	v_cmp_lt_i16_e32 vcc_lo, 3, v6
	s_cbranch_vccz .LBB201_321
; %bb.320:
	v_trunc_f32_e32 v3, v2
	s_mov_b32 s22, 0
	s_delay_alu instid0(VALU_DEP_1) | instskip(NEXT) | instid1(VALU_DEP_1)
	v_mul_f32_e64 v7, 0x2f800000, |v3|
	v_floor_f32_e32 v7, v7
	s_delay_alu instid0(VALU_DEP_1) | instskip(SKIP_2) | instid1(VALU_DEP_3)
	v_fma_f32 v9, 0xcf800000, v7, |v3|
	v_ashrrev_i32_e32 v3, 31, v3
	v_cvt_u32_f32_e32 v7, v7
	v_cvt_u32_f32_e32 v9, v9
	s_delay_alu instid0(VALU_DEP_2) | instskip(NEXT) | instid1(VALU_DEP_2)
	v_xor_b32_e32 v7, v7, v3
	v_xor_b32_e32 v9, v9, v3
	s_delay_alu instid0(VALU_DEP_1) | instskip(NEXT) | instid1(VALU_DEP_3)
	v_sub_co_u32 v9, vcc_lo, v9, v3
	v_sub_co_ci_u32_e32 v10, vcc_lo, v7, v3, vcc_lo
	global_store_b64 v[0:1], v[9:10], off
.LBB201_321:
	s_and_not1_b32 vcc_lo, exec_lo, s22
	s_cbranch_vccnz .LBB201_323
; %bb.322:
	v_cvt_i32_f32_e32 v3, v2
	global_store_b32 v[0:1], v3, off
.LBB201_323:
	s_mov_b32 s22, 0
.LBB201_324:
	s_delay_alu instid0(SALU_CYCLE_1)
	s_and_not1_b32 vcc_lo, exec_lo, s22
	s_cbranch_vccnz .LBB201_326
; %bb.325:
	v_cvt_i32_f32_e32 v3, v2
	global_store_b16 v[0:1], v3, off
.LBB201_326:
	s_mov_b32 s22, 0
.LBB201_327:
	s_delay_alu instid0(SALU_CYCLE_1)
	s_and_not1_b32 vcc_lo, exec_lo, s22
	s_cbranch_vccnz .LBB201_332
; %bb.328:
	v_cmp_lt_i16_e32 vcc_lo, 0, v6
	s_mov_b32 s22, -1
	s_cbranch_vccz .LBB201_330
; %bb.329:
	v_cvt_i32_f32_e32 v3, v2
	s_mov_b32 s22, 0
	global_store_b8 v[0:1], v3, off
.LBB201_330:
	s_and_not1_b32 vcc_lo, exec_lo, s22
	s_cbranch_vccnz .LBB201_332
; %bb.331:
	v_trunc_f32_e32 v2, v2
	s_delay_alu instid0(VALU_DEP_1) | instskip(NEXT) | instid1(VALU_DEP_1)
	v_mul_f32_e64 v3, 0x2f800000, |v2|
	v_floor_f32_e32 v3, v3
	s_delay_alu instid0(VALU_DEP_1) | instskip(SKIP_1) | instid1(VALU_DEP_2)
	v_fma_f32 v3, 0xcf800000, v3, |v2|
	v_ashrrev_i32_e32 v2, 31, v2
	v_cvt_u32_f32_e32 v3, v3
	s_delay_alu instid0(VALU_DEP_1) | instskip(NEXT) | instid1(VALU_DEP_1)
	v_xor_b32_e32 v3, v3, v2
	v_sub_nc_u32_e32 v2, v3, v2
	global_store_b8 v[0:1], v2, off
.LBB201_332:
	s_branch .LBB201_419
.LBB201_333:
	s_mov_b32 s22, 0
	s_branch .LBB201_531
.LBB201_334:
	s_mov_b32 s22, -1
	s_mov_b32 s3, s35
                                        ; implicit-def: $vgpr3
	s_branch .LBB201_446
.LBB201_335:
	s_mov_b32 s22, -1
	s_mov_b32 s3, s35
                                        ; implicit-def: $vgpr3
	s_branch .LBB201_427
.LBB201_336:
	s_mov_b32 s2, s34
	s_branch .LBB201_376
.LBB201_337:
	s_mov_b32 s22, -1
	s_mov_b32 s3, s35
                                        ; implicit-def: $vgpr3
	s_branch .LBB201_422
.LBB201_338:
	s_mov_b32 s2, s34
	s_branch .LBB201_359
.LBB201_339:
	s_mov_b32 s22, -1
	s_mov_b32 s3, s35
	s_branch .LBB201_344
.LBB201_340:
	s_mov_b32 s2, s34
	s_branch .LBB201_355
.LBB201_341:
	s_or_saveexec_b32 s34, s34
                                        ; implicit-def: $sgpr35
	s_delay_alu instid0(SALU_CYCLE_1)
	s_xor_b32 exec_lo, exec_lo, s34
	s_cbranch_execz .LBB201_65
.LBB201_342:
	v_add_f32_e64 v3, 0x42800000, |v2|
	s_and_not1_b32 s23, s23, exec_lo
	s_mov_b32 s35, 0
	s_delay_alu instid0(VALU_DEP_1) | instskip(NEXT) | instid1(VALU_DEP_1)
	v_and_b32_e32 v3, 0xff, v3
	v_cmp_ne_u32_e32 vcc_lo, 0, v3
	s_and_b32 s38, vcc_lo, exec_lo
	s_delay_alu instid0(SALU_CYCLE_1)
	s_or_b32 s23, s23, s38
	s_or_b32 exec_lo, exec_lo, s34
	v_mov_b32_e32 v7, s35
	s_and_saveexec_b32 s34, s23
	s_cbranch_execnz .LBB201_66
	s_branch .LBB201_67
.LBB201_343:
	s_mov_b32 s3, -1
.LBB201_344:
                                        ; implicit-def: $vgpr3
.LBB201_345:
	s_and_b32 vcc_lo, exec_lo, s22
	s_cbranch_vccz .LBB201_421
; %bb.346:
	v_cmp_eq_u16_e32 vcc_lo, 44, v5
	s_cbranch_vccz .LBB201_420
; %bb.347:
	global_load_u8 v3, v[1:2], off
	s_mov_b32 s3, 0
	s_mov_b32 s2, -1
	s_waitcnt vmcnt(0)
	v_lshlrev_b32_e32 v6, 23, v3
	v_cmp_ne_u32_e32 vcc_lo, 0xff, v3
	s_delay_alu instid0(VALU_DEP_2) | instskip(SKIP_1) | instid1(VALU_DEP_2)
	v_cndmask_b32_e32 v6, 0x7f800001, v6, vcc_lo
	v_cmp_ne_u32_e32 vcc_lo, 0, v3
	v_cndmask_b32_e32 v3, 0x400000, v6, vcc_lo
	s_branch .LBB201_421
.LBB201_348:
	s_mov_b32 s2, s34
.LBB201_349:
	s_and_b32 vcc_lo, exec_lo, s23
	s_cbranch_vccz .LBB201_354
; %bb.350:
	v_cmp_eq_u16_e32 vcc_lo, 44, v6
	s_mov_b32 s2, -1
	s_cbranch_vccz .LBB201_354
; %bb.351:
	v_bfe_u32 v7, v2, 23, 8
	v_mov_b32_e32 v3, 0xff
	s_mov_b32 s22, exec_lo
	s_delay_alu instid0(VALU_DEP_2)
	v_cmpx_ne_u32_e32 0xff, v7
; %bb.352:
	v_and_b32_e32 v3, 0x400000, v2
	v_and_or_b32 v7, 0x3fffff, v2, v7
	s_delay_alu instid0(VALU_DEP_2) | instskip(NEXT) | instid1(VALU_DEP_2)
	v_cmp_ne_u32_e32 vcc_lo, 0, v3
	v_cmp_ne_u32_e64 s2, 0, v7
	v_lshrrev_b32_e32 v3, 23, v2
	s_delay_alu instid0(VALU_DEP_2) | instskip(NEXT) | instid1(SALU_CYCLE_1)
	s_and_b32 s2, vcc_lo, s2
	v_cndmask_b32_e64 v7, 0, 1, s2
	s_delay_alu instid0(VALU_DEP_1)
	v_add_nc_u32_e32 v3, v3, v7
; %bb.353:
	s_or_b32 exec_lo, exec_lo, s22
	s_mov_b32 s22, -1
	s_mov_b32 s2, 0
	global_store_b8 v[0:1], v3, off
.LBB201_354:
	s_mov_b32 s23, 0
.LBB201_355:
	s_delay_alu instid0(SALU_CYCLE_1)
	s_and_b32 vcc_lo, exec_lo, s23
	s_cbranch_vccz .LBB201_358
; %bb.356:
	v_cmp_eq_u16_e32 vcc_lo, 29, v6
	s_mov_b32 s2, -1
	s_cbranch_vccz .LBB201_358
; %bb.357:
	v_trunc_f32_e32 v3, v2
	s_mov_b32 s22, -1
	s_mov_b32 s2, 0
	s_mov_b32 s23, 0
	s_delay_alu instid0(VALU_DEP_1) | instskip(NEXT) | instid1(VALU_DEP_1)
	v_mul_f32_e32 v7, 0x2f800000, v3
	v_floor_f32_e32 v7, v7
	s_delay_alu instid0(VALU_DEP_1) | instskip(SKIP_1) | instid1(VALU_DEP_2)
	v_fmamk_f32 v3, v7, 0xcf800000, v3
	v_cvt_u32_f32_e32 v10, v7
	v_cvt_u32_f32_e32 v9, v3
	global_store_b64 v[0:1], v[9:10], off
	s_branch .LBB201_359
.LBB201_358:
	s_mov_b32 s23, 0
.LBB201_359:
	s_delay_alu instid0(SALU_CYCLE_1)
	s_and_b32 vcc_lo, exec_lo, s23
	s_cbranch_vccz .LBB201_375
; %bb.360:
	v_cmp_gt_i16_e32 vcc_lo, 27, v6
	s_mov_b32 s22, -1
	s_cbranch_vccnz .LBB201_366
; %bb.361:
	v_cmp_lt_i16_e32 vcc_lo, 27, v6
	s_cbranch_vccz .LBB201_363
; %bb.362:
	v_cvt_u32_f32_e32 v3, v2
	s_mov_b32 s22, 0
	global_store_b32 v[0:1], v3, off
.LBB201_363:
	s_and_not1_b32 vcc_lo, exec_lo, s22
	s_cbranch_vccnz .LBB201_365
; %bb.364:
	v_cvt_u32_f32_e32 v3, v2
	global_store_b16 v[0:1], v3, off
.LBB201_365:
	s_mov_b32 s22, 0
.LBB201_366:
	s_delay_alu instid0(SALU_CYCLE_1)
	s_and_not1_b32 vcc_lo, exec_lo, s22
	s_cbranch_vccnz .LBB201_374
; %bb.367:
	v_and_b32_e32 v3, 0x7fffffff, v2
	v_mov_b32_e32 v7, 0x80
	s_mov_b32 s22, exec_lo
	s_delay_alu instid0(VALU_DEP_2)
	v_cmpx_gt_u32_e32 0x43800000, v3
	s_cbranch_execz .LBB201_373
; %bb.368:
	v_cmp_lt_u32_e32 vcc_lo, 0x3bffffff, v3
	s_mov_b32 s23, 0
                                        ; implicit-def: $vgpr3
	s_and_saveexec_b32 s37, vcc_lo
	s_delay_alu instid0(SALU_CYCLE_1)
	s_xor_b32 s37, exec_lo, s37
	s_cbranch_execz .LBB201_559
; %bb.369:
	v_bfe_u32 v3, v2, 20, 1
	s_mov_b32 s23, exec_lo
	s_delay_alu instid0(VALU_DEP_1) | instskip(NEXT) | instid1(VALU_DEP_1)
	v_add3_u32 v3, v2, v3, 0x487ffff
	v_lshrrev_b32_e32 v3, 20, v3
	s_or_saveexec_b32 s37, s37
                                        ; implicit-def: $sgpr38
	s_delay_alu instid0(SALU_CYCLE_1)
	s_xor_b32 exec_lo, exec_lo, s37
	s_cbranch_execnz .LBB201_560
.LBB201_370:
	s_or_b32 exec_lo, exec_lo, s37
	v_mov_b32_e32 v7, s38
	s_and_saveexec_b32 s37, s23
.LBB201_371:
	v_lshrrev_b32_e32 v7, 24, v2
	s_delay_alu instid0(VALU_DEP_1)
	v_and_or_b32 v7, 0x80, v7, v3
.LBB201_372:
	s_or_b32 exec_lo, exec_lo, s37
.LBB201_373:
	s_delay_alu instid0(SALU_CYCLE_1)
	s_or_b32 exec_lo, exec_lo, s22
	global_store_b8 v[0:1], v7, off
.LBB201_374:
	s_mov_b32 s22, -1
.LBB201_375:
	s_mov_b32 s23, 0
.LBB201_376:
	s_delay_alu instid0(SALU_CYCLE_1)
	s_and_b32 vcc_lo, exec_lo, s23
	s_cbranch_vccz .LBB201_417
; %bb.377:
	v_cmp_lt_i16_e32 vcc_lo, 22, v6
	s_mov_b32 s23, -1
	s_cbranch_vccz .LBB201_409
; %bb.378:
	v_cmp_gt_i16_e32 vcc_lo, 24, v6
	s_mov_b32 s22, -1
	s_cbranch_vccnz .LBB201_398
; %bb.379:
	v_cmp_lt_i16_e32 vcc_lo, 24, v6
	s_cbranch_vccz .LBB201_387
; %bb.380:
	v_and_b32_e32 v3, 0x7fffffff, v2
	v_mov_b32_e32 v7, 0x80
	s_mov_b32 s22, exec_lo
	s_delay_alu instid0(VALU_DEP_2)
	v_cmpx_gt_u32_e32 0x47800000, v3
	s_cbranch_execz .LBB201_386
; %bb.381:
	v_cmp_lt_u32_e32 vcc_lo, 0x37ffffff, v3
	s_mov_b32 s23, 0
                                        ; implicit-def: $vgpr3
	s_and_saveexec_b32 s37, vcc_lo
	s_delay_alu instid0(SALU_CYCLE_1)
	s_xor_b32 s37, exec_lo, s37
	s_cbranch_execz .LBB201_562
; %bb.382:
	v_bfe_u32 v3, v2, 21, 1
	s_mov_b32 s23, exec_lo
	s_delay_alu instid0(VALU_DEP_1) | instskip(NEXT) | instid1(VALU_DEP_1)
	v_add3_u32 v3, v2, v3, 0x88fffff
	v_lshrrev_b32_e32 v3, 21, v3
	s_or_saveexec_b32 s37, s37
                                        ; implicit-def: $sgpr38
	s_delay_alu instid0(SALU_CYCLE_1)
	s_xor_b32 exec_lo, exec_lo, s37
	s_cbranch_execnz .LBB201_563
.LBB201_383:
	s_or_b32 exec_lo, exec_lo, s37
	v_mov_b32_e32 v7, s38
	s_and_saveexec_b32 s37, s23
.LBB201_384:
	v_lshrrev_b32_e32 v7, 24, v2
	s_delay_alu instid0(VALU_DEP_1)
	v_and_or_b32 v7, 0x80, v7, v3
.LBB201_385:
	s_or_b32 exec_lo, exec_lo, s37
.LBB201_386:
	s_delay_alu instid0(SALU_CYCLE_1)
	s_or_b32 exec_lo, exec_lo, s22
	s_mov_b32 s22, 0
	global_store_b8 v[0:1], v7, off
.LBB201_387:
	s_and_b32 vcc_lo, exec_lo, s22
	s_cbranch_vccz .LBB201_397
; %bb.388:
	v_and_b32_e32 v7, 0x7fffffff, v2
	s_mov_b32 s22, exec_lo
                                        ; implicit-def: $vgpr3
	s_delay_alu instid0(VALU_DEP_1)
	v_cmpx_gt_u32_e32 0x43f00000, v7
	s_xor_b32 s22, exec_lo, s22
	s_cbranch_execz .LBB201_394
; %bb.389:
	s_mov_b32 s23, exec_lo
                                        ; implicit-def: $vgpr3
	v_cmpx_lt_u32_e32 0x3c7fffff, v7
	s_xor_b32 s23, exec_lo, s23
; %bb.390:
	v_bfe_u32 v3, v2, 20, 1
	s_delay_alu instid0(VALU_DEP_1) | instskip(NEXT) | instid1(VALU_DEP_1)
	v_add3_u32 v3, v2, v3, 0x407ffff
	v_and_b32_e32 v7, 0xff00000, v3
	v_lshrrev_b32_e32 v3, 20, v3
	s_delay_alu instid0(VALU_DEP_2) | instskip(NEXT) | instid1(VALU_DEP_2)
	v_cmp_ne_u32_e32 vcc_lo, 0x7f00000, v7
	v_cndmask_b32_e32 v3, 0x7e, v3, vcc_lo
; %bb.391:
	s_and_not1_saveexec_b32 s23, s23
; %bb.392:
	v_add_f32_e64 v3, 0x46800000, |v2|
; %bb.393:
	s_or_b32 exec_lo, exec_lo, s23
                                        ; implicit-def: $vgpr7
.LBB201_394:
	s_and_not1_saveexec_b32 s22, s22
; %bb.395:
	v_mov_b32_e32 v3, 0x7f
	v_cmp_lt_u32_e32 vcc_lo, 0x7f800000, v7
	s_delay_alu instid0(VALU_DEP_2)
	v_cndmask_b32_e32 v3, 0x7e, v3, vcc_lo
; %bb.396:
	s_or_b32 exec_lo, exec_lo, s22
	v_lshrrev_b32_e32 v7, 24, v2
	s_delay_alu instid0(VALU_DEP_1)
	v_and_or_b32 v3, 0x80, v7, v3
	global_store_b8 v[0:1], v3, off
.LBB201_397:
	s_mov_b32 s22, 0
.LBB201_398:
	s_delay_alu instid0(SALU_CYCLE_1)
	s_and_not1_b32 vcc_lo, exec_lo, s22
	s_cbranch_vccnz .LBB201_408
; %bb.399:
	v_and_b32_e32 v7, 0x7fffffff, v2
	s_mov_b32 s22, exec_lo
                                        ; implicit-def: $vgpr3
	s_delay_alu instid0(VALU_DEP_1)
	v_cmpx_gt_u32_e32 0x47800000, v7
	s_xor_b32 s22, exec_lo, s22
	s_cbranch_execz .LBB201_405
; %bb.400:
	s_mov_b32 s23, exec_lo
                                        ; implicit-def: $vgpr3
	v_cmpx_lt_u32_e32 0x387fffff, v7
	s_xor_b32 s23, exec_lo, s23
; %bb.401:
	v_bfe_u32 v3, v2, 21, 1
	s_delay_alu instid0(VALU_DEP_1) | instskip(NEXT) | instid1(VALU_DEP_1)
	v_add3_u32 v3, v2, v3, 0x80fffff
	v_lshrrev_b32_e32 v3, 21, v3
; %bb.402:
	s_and_not1_saveexec_b32 s23, s23
; %bb.403:
	v_add_f32_e64 v3, 0x43000000, |v2|
; %bb.404:
	s_or_b32 exec_lo, exec_lo, s23
                                        ; implicit-def: $vgpr7
.LBB201_405:
	s_and_not1_saveexec_b32 s22, s22
; %bb.406:
	v_mov_b32_e32 v3, 0x7f
	v_cmp_lt_u32_e32 vcc_lo, 0x7f800000, v7
	s_delay_alu instid0(VALU_DEP_2)
	v_cndmask_b32_e32 v3, 0x7c, v3, vcc_lo
; %bb.407:
	s_or_b32 exec_lo, exec_lo, s22
	v_lshrrev_b32_e32 v7, 24, v2
	s_delay_alu instid0(VALU_DEP_1)
	v_and_or_b32 v3, 0x80, v7, v3
	global_store_b8 v[0:1], v3, off
.LBB201_408:
	s_mov_b32 s23, 0
	s_mov_b32 s22, -1
.LBB201_409:
	s_and_not1_b32 vcc_lo, exec_lo, s23
	s_cbranch_vccnz .LBB201_417
; %bb.410:
	v_cmp_lt_i16_e32 vcc_lo, 14, v6
	s_mov_b32 s23, -1
	s_cbranch_vccz .LBB201_414
; %bb.411:
	v_cmp_eq_u16_e32 vcc_lo, 15, v6
	s_mov_b32 s2, -1
	s_cbranch_vccz .LBB201_413
; %bb.412:
	v_bfe_u32 v3, v2, 16, 1
	v_cmp_o_f32_e32 vcc_lo, v2, v2
	s_mov_b32 s22, -1
	s_mov_b32 s2, 0
	s_delay_alu instid0(VALU_DEP_2) | instskip(NEXT) | instid1(VALU_DEP_1)
	v_add3_u32 v3, v2, v3, 0x7fff
	v_lshrrev_b32_e32 v3, 16, v3
	s_delay_alu instid0(VALU_DEP_1)
	v_cndmask_b32_e32 v3, 0x7fc0, v3, vcc_lo
	global_store_b16 v[0:1], v3, off
.LBB201_413:
	s_mov_b32 s23, 0
.LBB201_414:
	s_delay_alu instid0(SALU_CYCLE_1)
	s_and_b32 vcc_lo, exec_lo, s23
	s_cbranch_vccz .LBB201_417
; %bb.415:
	v_cmp_eq_u16_e32 vcc_lo, 11, v6
	s_mov_b32 s2, -1
	s_cbranch_vccz .LBB201_417
; %bb.416:
	v_cmp_neq_f32_e32 vcc_lo, 0, v2
	s_mov_b32 s2, 0
	s_mov_b32 s22, -1
	v_cndmask_b32_e64 v3, 0, 1, vcc_lo
	global_store_b8 v[0:1], v3, off
.LBB201_417:
.LBB201_418:
	s_and_not1_b32 vcc_lo, exec_lo, s22
	s_cbranch_vccnz .LBB201_333
.LBB201_419:
	v_add_nc_u32_e32 v8, 0x80, v8
	s_mov_b32 s22, -1
	s_branch .LBB201_532
.LBB201_420:
	s_mov_b32 s3, -1
                                        ; implicit-def: $vgpr3
.LBB201_421:
	s_mov_b32 s22, 0
.LBB201_422:
	s_delay_alu instid0(SALU_CYCLE_1)
	s_and_b32 vcc_lo, exec_lo, s22
	s_cbranch_vccz .LBB201_426
; %bb.423:
	v_cmp_eq_u16_e32 vcc_lo, 29, v5
	s_cbranch_vccz .LBB201_425
; %bb.424:
	global_load_b64 v[6:7], v[1:2], off
	s_mov_b32 s2, -1
	s_mov_b32 s3, 0
	s_mov_b32 s22, 0
	s_waitcnt vmcnt(0)
	v_clz_i32_u32_e32 v3, v7
	s_delay_alu instid0(VALU_DEP_1) | instskip(NEXT) | instid1(VALU_DEP_1)
	v_min_u32_e32 v3, 32, v3
	v_lshlrev_b64 v[6:7], v3, v[6:7]
	v_sub_nc_u32_e32 v3, 32, v3
	s_delay_alu instid0(VALU_DEP_2) | instskip(NEXT) | instid1(VALU_DEP_1)
	v_min_u32_e32 v6, 1, v6
	v_or_b32_e32 v6, v7, v6
	s_delay_alu instid0(VALU_DEP_1) | instskip(NEXT) | instid1(VALU_DEP_1)
	v_cvt_f32_u32_e32 v6, v6
	v_ldexp_f32 v3, v6, v3
	s_branch .LBB201_427
.LBB201_425:
	s_mov_b32 s3, -1
                                        ; implicit-def: $vgpr3
.LBB201_426:
	s_mov_b32 s22, 0
.LBB201_427:
	s_delay_alu instid0(SALU_CYCLE_1)
	s_and_b32 vcc_lo, exec_lo, s22
	s_cbranch_vccz .LBB201_445
; %bb.428:
	v_cmp_gt_i16_e32 vcc_lo, 27, v5
	s_cbranch_vccnz .LBB201_431
; %bb.429:
	v_cmp_lt_i16_e32 vcc_lo, 27, v5
	s_cbranch_vccz .LBB201_432
; %bb.430:
	global_load_b32 v3, v[1:2], off
	s_mov_b32 s2, 0
	s_waitcnt vmcnt(0)
	v_cvt_f32_u32_e32 v3, v3
	s_branch .LBB201_433
.LBB201_431:
	s_mov_b32 s2, -1
                                        ; implicit-def: $vgpr3
	s_branch .LBB201_436
.LBB201_432:
	s_mov_b32 s2, -1
                                        ; implicit-def: $vgpr3
.LBB201_433:
	s_delay_alu instid0(SALU_CYCLE_1)
	s_and_not1_b32 vcc_lo, exec_lo, s2
	s_cbranch_vccnz .LBB201_435
; %bb.434:
	global_load_u16 v3, v[1:2], off
	s_waitcnt vmcnt(0)
	v_cvt_f32_u32_e32 v3, v3
.LBB201_435:
	s_mov_b32 s2, 0
.LBB201_436:
	s_delay_alu instid0(SALU_CYCLE_1)
	s_and_not1_b32 vcc_lo, exec_lo, s2
	s_cbranch_vccnz .LBB201_444
; %bb.437:
	global_load_u8 v6, v[1:2], off
	s_mov_b32 s2, 0
	s_mov_b32 s23, exec_lo
                                        ; implicit-def: $sgpr22
	s_waitcnt vmcnt(0)
	v_cmpx_lt_i16_e32 0x7f, v6
	s_xor_b32 s23, exec_lo, s23
	s_cbranch_execz .LBB201_458
; %bb.438:
	s_mov_b32 s2, -1
	s_mov_b32 s37, exec_lo
                                        ; implicit-def: $sgpr22
	v_cmpx_eq_u16_e32 0x80, v6
; %bb.439:
	s_mov_b32 s22, 0x7f800001
	s_xor_b32 s2, exec_lo, -1
; %bb.440:
	s_or_b32 exec_lo, exec_lo, s37
	s_delay_alu instid0(SALU_CYCLE_1)
	s_and_b32 s2, s2, exec_lo
	s_or_saveexec_b32 s23, s23
	v_mov_b32_e32 v3, s22
	s_xor_b32 exec_lo, exec_lo, s23
	s_cbranch_execnz .LBB201_459
.LBB201_441:
	s_or_b32 exec_lo, exec_lo, s23
	s_and_saveexec_b32 s22, s2
	s_cbranch_execz .LBB201_443
.LBB201_442:
	v_and_b32_e32 v3, 0xffff, v6
	v_lshlrev_b32_e32 v6, 24, v6
	s_delay_alu instid0(VALU_DEP_2) | instskip(NEXT) | instid1(VALU_DEP_2)
	v_and_b32_e32 v7, 7, v3
	v_and_b32_e32 v6, 0x80000000, v6
	s_delay_alu instid0(VALU_DEP_2) | instskip(NEXT) | instid1(VALU_DEP_1)
	v_clz_i32_u32_e32 v9, v7
	v_min_u32_e32 v9, 32, v9
	s_delay_alu instid0(VALU_DEP_1) | instskip(SKIP_1) | instid1(VALU_DEP_2)
	v_subrev_nc_u32_e32 v10, 28, v9
	v_sub_nc_u32_e32 v9, 29, v9
	v_lshlrev_b32_e32 v10, v10, v3
	v_bfe_u32 v3, v3, 3, 4
	s_delay_alu instid0(VALU_DEP_1) | instskip(NEXT) | instid1(VALU_DEP_3)
	v_cmp_eq_u32_e32 vcc_lo, 0, v3
	v_dual_cndmask_b32 v3, v3, v9 :: v_dual_and_b32 v10, 7, v10
	s_delay_alu instid0(VALU_DEP_1) | instskip(NEXT) | instid1(VALU_DEP_2)
	v_lshl_add_u32 v3, v3, 23, 0x3b800000
	v_cndmask_b32_e32 v7, v7, v10, vcc_lo
	s_delay_alu instid0(VALU_DEP_1) | instskip(NEXT) | instid1(VALU_DEP_1)
	v_lshlrev_b32_e32 v7, 20, v7
	v_or3_b32 v3, v6, v3, v7
.LBB201_443:
	s_or_b32 exec_lo, exec_lo, s22
.LBB201_444:
	s_mov_b32 s2, -1
.LBB201_445:
	s_mov_b32 s22, 0
.LBB201_446:
	s_delay_alu instid0(SALU_CYCLE_1)
	s_and_b32 vcc_lo, exec_lo, s22
	s_cbranch_vccz .LBB201_481
; %bb.447:
	v_cmp_lt_i16_e32 vcc_lo, 22, v5
	s_cbranch_vccz .LBB201_457
; %bb.448:
	v_cmp_gt_i16_e32 vcc_lo, 24, v5
	s_cbranch_vccnz .LBB201_460
; %bb.449:
	v_cmp_lt_i16_e32 vcc_lo, 24, v5
	s_cbranch_vccz .LBB201_461
; %bb.450:
	global_load_u8 v6, v[1:2], off
	s_mov_b32 s2, 0
	s_mov_b32 s23, exec_lo
                                        ; implicit-def: $sgpr22
	s_waitcnt vmcnt(0)
	v_cmpx_lt_i16_e32 0x7f, v6
	s_xor_b32 s23, exec_lo, s23
	s_cbranch_execz .LBB201_473
; %bb.451:
	s_mov_b32 s2, -1
	s_mov_b32 s37, exec_lo
                                        ; implicit-def: $sgpr22
	v_cmpx_eq_u16_e32 0x80, v6
; %bb.452:
	s_mov_b32 s22, 0x7f800001
	s_xor_b32 s2, exec_lo, -1
; %bb.453:
	s_or_b32 exec_lo, exec_lo, s37
	s_delay_alu instid0(SALU_CYCLE_1)
	s_and_b32 s2, s2, exec_lo
	s_or_saveexec_b32 s23, s23
	v_mov_b32_e32 v3, s22
	s_xor_b32 exec_lo, exec_lo, s23
	s_cbranch_execnz .LBB201_474
.LBB201_454:
	s_or_b32 exec_lo, exec_lo, s23
	s_and_saveexec_b32 s22, s2
	s_cbranch_execz .LBB201_456
.LBB201_455:
	v_and_b32_e32 v3, 0xffff, v6
	v_lshlrev_b32_e32 v6, 24, v6
	s_delay_alu instid0(VALU_DEP_2) | instskip(NEXT) | instid1(VALU_DEP_2)
	v_and_b32_e32 v7, 3, v3
	v_and_b32_e32 v6, 0x80000000, v6
	s_delay_alu instid0(VALU_DEP_2) | instskip(NEXT) | instid1(VALU_DEP_1)
	v_clz_i32_u32_e32 v9, v7
	v_min_u32_e32 v9, 32, v9
	s_delay_alu instid0(VALU_DEP_1) | instskip(SKIP_1) | instid1(VALU_DEP_2)
	v_subrev_nc_u32_e32 v10, 29, v9
	v_sub_nc_u32_e32 v9, 30, v9
	v_lshlrev_b32_e32 v10, v10, v3
	v_bfe_u32 v3, v3, 2, 5
	s_delay_alu instid0(VALU_DEP_1) | instskip(NEXT) | instid1(VALU_DEP_3)
	v_cmp_eq_u32_e32 vcc_lo, 0, v3
	v_dual_cndmask_b32 v3, v3, v9 :: v_dual_and_b32 v10, 3, v10
	s_delay_alu instid0(VALU_DEP_1) | instskip(NEXT) | instid1(VALU_DEP_2)
	v_lshl_add_u32 v3, v3, 23, 0x37800000
	v_cndmask_b32_e32 v7, v7, v10, vcc_lo
	s_delay_alu instid0(VALU_DEP_1) | instskip(NEXT) | instid1(VALU_DEP_1)
	v_lshlrev_b32_e32 v7, 21, v7
	v_or3_b32 v3, v6, v3, v7
.LBB201_456:
	s_or_b32 exec_lo, exec_lo, s22
	s_mov_b32 s2, 0
	s_branch .LBB201_462
.LBB201_457:
	s_mov_b32 s22, -1
                                        ; implicit-def: $vgpr3
	s_branch .LBB201_468
.LBB201_458:
	s_or_saveexec_b32 s23, s23
	v_mov_b32_e32 v3, s22
	s_xor_b32 exec_lo, exec_lo, s23
	s_cbranch_execz .LBB201_441
.LBB201_459:
	v_cmp_ne_u16_e32 vcc_lo, 0, v6
	v_mov_b32_e32 v3, 0
	s_and_not1_b32 s2, s2, exec_lo
	s_and_b32 s22, vcc_lo, exec_lo
	s_delay_alu instid0(SALU_CYCLE_1)
	s_or_b32 s2, s2, s22
	s_or_b32 exec_lo, exec_lo, s23
	s_and_saveexec_b32 s22, s2
	s_cbranch_execnz .LBB201_442
	s_branch .LBB201_443
.LBB201_460:
	s_mov_b32 s2, -1
                                        ; implicit-def: $vgpr3
	s_branch .LBB201_465
.LBB201_461:
	s_mov_b32 s2, -1
                                        ; implicit-def: $vgpr3
.LBB201_462:
	s_delay_alu instid0(SALU_CYCLE_1)
	s_and_b32 vcc_lo, exec_lo, s2
	s_cbranch_vccz .LBB201_464
; %bb.463:
	global_load_u8 v3, v[1:2], off
	s_waitcnt vmcnt(0)
	v_lshlrev_b32_e32 v3, 24, v3
	s_delay_alu instid0(VALU_DEP_1) | instskip(NEXT) | instid1(VALU_DEP_1)
	v_and_b32_e32 v6, 0x7f000000, v3
	v_clz_i32_u32_e32 v7, v6
	v_cmp_ne_u32_e32 vcc_lo, 0, v6
	v_add_nc_u32_e32 v10, 0x1000000, v6
	s_delay_alu instid0(VALU_DEP_3) | instskip(NEXT) | instid1(VALU_DEP_1)
	v_min_u32_e32 v7, 32, v7
	v_sub_nc_u32_e64 v7, v7, 4 clamp
	s_delay_alu instid0(VALU_DEP_1) | instskip(SKIP_1) | instid1(VALU_DEP_2)
	v_lshlrev_b32_e32 v9, v7, v6
	v_lshlrev_b32_e32 v7, 23, v7
	v_lshrrev_b32_e32 v9, 4, v9
	s_delay_alu instid0(VALU_DEP_1) | instskip(SKIP_1) | instid1(VALU_DEP_2)
	v_sub_nc_u32_e32 v7, v9, v7
	v_ashrrev_i32_e32 v9, 8, v10
	v_add_nc_u32_e32 v7, 0x3c000000, v7
	s_delay_alu instid0(VALU_DEP_1) | instskip(NEXT) | instid1(VALU_DEP_1)
	v_and_or_b32 v7, 0x7f800000, v9, v7
	v_cndmask_b32_e32 v6, 0, v7, vcc_lo
	s_delay_alu instid0(VALU_DEP_1)
	v_and_or_b32 v3, 0x80000000, v3, v6
.LBB201_464:
	s_mov_b32 s2, 0
.LBB201_465:
	s_delay_alu instid0(SALU_CYCLE_1)
	s_and_not1_b32 vcc_lo, exec_lo, s2
	s_cbranch_vccnz .LBB201_467
; %bb.466:
	global_load_u8 v3, v[1:2], off
	s_waitcnt vmcnt(0)
	v_lshlrev_b32_e32 v6, 25, v3
	v_lshlrev_b16 v3, 8, v3
	s_delay_alu instid0(VALU_DEP_1) | instskip(SKIP_1) | instid1(VALU_DEP_2)
	v_and_or_b32 v9, 0x7f00, v3, 0.5
	v_bfe_i32 v3, v3, 0, 16
	v_add_f32_e32 v9, -0.5, v9
	v_lshrrev_b32_e32 v7, 4, v6
	v_cmp_gt_u32_e32 vcc_lo, 0x8000000, v6
	s_delay_alu instid0(VALU_DEP_2) | instskip(NEXT) | instid1(VALU_DEP_1)
	v_or_b32_e32 v7, 0x70000000, v7
	v_mul_f32_e32 v7, 0x7800000, v7
	s_delay_alu instid0(VALU_DEP_1) | instskip(NEXT) | instid1(VALU_DEP_1)
	v_cndmask_b32_e32 v6, v7, v9, vcc_lo
	v_and_or_b32 v3, 0x80000000, v3, v6
.LBB201_467:
	s_mov_b32 s22, 0
	s_mov_b32 s2, -1
.LBB201_468:
	s_and_not1_b32 vcc_lo, exec_lo, s22
	s_cbranch_vccnz .LBB201_481
; %bb.469:
	v_cmp_lt_i16_e32 vcc_lo, 14, v5
	s_cbranch_vccz .LBB201_472
; %bb.470:
	v_cmp_eq_u16_e32 vcc_lo, 15, v5
	s_cbranch_vccz .LBB201_475
; %bb.471:
	global_load_u16 v3, v[1:2], off
	s_mov_b32 s2, -1
	s_mov_b32 s3, 0
	s_waitcnt vmcnt(0)
	v_lshlrev_b32_e32 v3, 16, v3
	s_branch .LBB201_476
.LBB201_472:
	s_mov_b32 s22, -1
                                        ; implicit-def: $vgpr3
	s_branch .LBB201_477
.LBB201_473:
	s_or_saveexec_b32 s23, s23
	v_mov_b32_e32 v3, s22
	s_xor_b32 exec_lo, exec_lo, s23
	s_cbranch_execz .LBB201_454
.LBB201_474:
	v_cmp_ne_u16_e32 vcc_lo, 0, v6
	v_mov_b32_e32 v3, 0
	s_and_not1_b32 s2, s2, exec_lo
	s_and_b32 s22, vcc_lo, exec_lo
	s_delay_alu instid0(SALU_CYCLE_1)
	s_or_b32 s2, s2, s22
	s_or_b32 exec_lo, exec_lo, s23
	s_and_saveexec_b32 s22, s2
	s_cbranch_execnz .LBB201_455
	s_branch .LBB201_456
.LBB201_475:
	s_mov_b32 s3, -1
                                        ; implicit-def: $vgpr3
.LBB201_476:
	s_mov_b32 s22, 0
.LBB201_477:
	s_delay_alu instid0(SALU_CYCLE_1)
	s_and_b32 vcc_lo, exec_lo, s22
	s_cbranch_vccz .LBB201_481
; %bb.478:
	v_cmp_eq_u16_e32 vcc_lo, 11, v5
	s_cbranch_vccz .LBB201_480
; %bb.479:
	global_load_u8 v3, v[1:2], off
	s_mov_b32 s3, 0
	s_mov_b32 s2, -1
	s_waitcnt vmcnt(0)
	v_cmp_ne_u16_e32 vcc_lo, 0, v3
	v_cndmask_b32_e64 v3, 0, 1.0, vcc_lo
	s_branch .LBB201_481
.LBB201_480:
	s_mov_b32 s3, -1
                                        ; implicit-def: $vgpr3
.LBB201_481:
	s_branch .LBB201_286
.LBB201_482:
	v_cmp_gt_i16_e32 vcc_lo, 5, v5
	s_cbranch_vccnz .LBB201_487
; %bb.483:
	v_cmp_gt_i16_e32 vcc_lo, 8, v5
	s_cbranch_vccnz .LBB201_488
; %bb.484:
	;; [unrolled: 3-line block ×3, first 2 shown]
	v_cmp_lt_i16_e32 vcc_lo, 9, v5
	s_cbranch_vccz .LBB201_490
; %bb.486:
	global_load_b64 v[6:7], v[1:2], off
	s_mov_b32 s2, 0
	s_waitcnt vmcnt(0)
	v_cvt_f32_f64_e32 v3, v[6:7]
	s_branch .LBB201_491
.LBB201_487:
	s_mov_b32 s2, -1
                                        ; implicit-def: $vgpr3
	s_branch .LBB201_509
.LBB201_488:
	s_mov_b32 s2, -1
                                        ; implicit-def: $vgpr3
	s_branch .LBB201_497
.LBB201_489:
	s_mov_b32 s2, -1
                                        ; implicit-def: $vgpr3
	s_branch .LBB201_494
.LBB201_490:
	s_mov_b32 s2, -1
                                        ; implicit-def: $vgpr3
.LBB201_491:
	s_delay_alu instid0(SALU_CYCLE_1)
	s_and_not1_b32 vcc_lo, exec_lo, s2
	s_cbranch_vccnz .LBB201_493
; %bb.492:
	global_load_b32 v3, v[1:2], off
.LBB201_493:
	s_mov_b32 s2, 0
.LBB201_494:
	s_delay_alu instid0(SALU_CYCLE_1)
	s_and_not1_b32 vcc_lo, exec_lo, s2
	s_cbranch_vccnz .LBB201_496
; %bb.495:
	global_load_b32 v3, v[1:2], off
	s_waitcnt vmcnt(0)
	v_cvt_f32_f16_e32 v3, v3
.LBB201_496:
	s_mov_b32 s2, 0
.LBB201_497:
	s_delay_alu instid0(SALU_CYCLE_1)
	s_and_not1_b32 vcc_lo, exec_lo, s2
	s_cbranch_vccnz .LBB201_508
; %bb.498:
	v_cmp_gt_i16_e32 vcc_lo, 6, v5
	s_cbranch_vccnz .LBB201_501
; %bb.499:
	v_cmp_lt_i16_e32 vcc_lo, 6, v5
	s_cbranch_vccz .LBB201_502
; %bb.500:
	global_load_b64 v[6:7], v[1:2], off
	s_mov_b32 s2, 0
	s_waitcnt vmcnt(0)
	v_cvt_f32_f64_e32 v3, v[6:7]
	s_branch .LBB201_503
.LBB201_501:
	s_mov_b32 s2, -1
                                        ; implicit-def: $vgpr3
	s_branch .LBB201_506
.LBB201_502:
	s_mov_b32 s2, -1
                                        ; implicit-def: $vgpr3
.LBB201_503:
	s_delay_alu instid0(SALU_CYCLE_1)
	s_and_not1_b32 vcc_lo, exec_lo, s2
	s_cbranch_vccnz .LBB201_505
; %bb.504:
	global_load_b32 v3, v[1:2], off
.LBB201_505:
	s_mov_b32 s2, 0
.LBB201_506:
	s_delay_alu instid0(SALU_CYCLE_1)
	s_and_not1_b32 vcc_lo, exec_lo, s2
	s_cbranch_vccnz .LBB201_508
; %bb.507:
	global_load_u16 v3, v[1:2], off
	s_waitcnt vmcnt(0)
	v_cvt_f32_f16_e32 v3, v3
.LBB201_508:
	s_mov_b32 s2, 0
.LBB201_509:
	s_delay_alu instid0(SALU_CYCLE_1)
	s_and_not1_b32 vcc_lo, exec_lo, s2
	s_cbranch_vccnz .LBB201_529
; %bb.510:
	v_cmp_gt_i16_e32 vcc_lo, 2, v5
	s_cbranch_vccnz .LBB201_514
; %bb.511:
	v_cmp_gt_i16_e32 vcc_lo, 3, v5
	s_cbranch_vccnz .LBB201_515
; %bb.512:
	v_cmp_lt_i16_e32 vcc_lo, 3, v5
	s_cbranch_vccz .LBB201_516
; %bb.513:
	global_load_b64 v[6:7], v[1:2], off
	s_mov_b32 s2, 0
	s_waitcnt vmcnt(0)
	v_xor_b32_e32 v3, v6, v7
	v_cls_i32_e32 v9, v7
	s_delay_alu instid0(VALU_DEP_2) | instskip(NEXT) | instid1(VALU_DEP_2)
	v_ashrrev_i32_e32 v3, 31, v3
	v_add_nc_u32_e32 v9, -1, v9
	s_delay_alu instid0(VALU_DEP_2) | instskip(NEXT) | instid1(VALU_DEP_1)
	v_add_nc_u32_e32 v3, 32, v3
	v_min_u32_e32 v3, v9, v3
	s_delay_alu instid0(VALU_DEP_1) | instskip(SKIP_1) | instid1(VALU_DEP_2)
	v_lshlrev_b64 v[6:7], v3, v[6:7]
	v_sub_nc_u32_e32 v3, 32, v3
	v_min_u32_e32 v6, 1, v6
	s_delay_alu instid0(VALU_DEP_1) | instskip(NEXT) | instid1(VALU_DEP_1)
	v_or_b32_e32 v6, v7, v6
	v_cvt_f32_i32_e32 v6, v6
	s_delay_alu instid0(VALU_DEP_1)
	v_ldexp_f32 v3, v6, v3
	s_branch .LBB201_517
.LBB201_514:
	s_mov_b32 s2, -1
                                        ; implicit-def: $vgpr3
	s_branch .LBB201_523
.LBB201_515:
	s_mov_b32 s2, -1
                                        ; implicit-def: $vgpr3
	s_branch .LBB201_520
.LBB201_516:
	s_mov_b32 s2, -1
                                        ; implicit-def: $vgpr3
.LBB201_517:
	s_delay_alu instid0(SALU_CYCLE_1)
	s_and_not1_b32 vcc_lo, exec_lo, s2
	s_cbranch_vccnz .LBB201_519
; %bb.518:
	global_load_b32 v3, v[1:2], off
	s_waitcnt vmcnt(0)
	v_cvt_f32_i32_e32 v3, v3
.LBB201_519:
	s_mov_b32 s2, 0
.LBB201_520:
	s_delay_alu instid0(SALU_CYCLE_1)
	s_and_not1_b32 vcc_lo, exec_lo, s2
	s_cbranch_vccnz .LBB201_522
; %bb.521:
	global_load_i16 v3, v[1:2], off
	s_waitcnt vmcnt(0)
	v_cvt_f32_i32_e32 v3, v3
.LBB201_522:
	s_mov_b32 s2, 0
.LBB201_523:
	s_delay_alu instid0(SALU_CYCLE_1)
	s_and_not1_b32 vcc_lo, exec_lo, s2
	s_cbranch_vccnz .LBB201_529
; %bb.524:
	v_cmp_lt_i16_e32 vcc_lo, 0, v5
	s_mov_b32 s2, 0
	s_cbranch_vccz .LBB201_526
; %bb.525:
	global_load_i8 v3, v[1:2], off
	s_waitcnt vmcnt(0)
	v_cvt_f32_i32_e32 v3, v3
	s_branch .LBB201_527
.LBB201_526:
	s_mov_b32 s2, -1
                                        ; implicit-def: $vgpr3
.LBB201_527:
	s_delay_alu instid0(SALU_CYCLE_1)
	s_and_not1_b32 vcc_lo, exec_lo, s2
	s_cbranch_vccnz .LBB201_529
; %bb.528:
	global_load_u8 v1, v[1:2], off
	s_waitcnt vmcnt(0)
	v_cvt_f32_ubyte0_e32 v3, v1
.LBB201_529:
	s_branch .LBB201_287
.LBB201_530:
	s_mov_b32 s22, 0
	s_mov_b32 s2, s34
.LBB201_531:
                                        ; implicit-def: $vgpr8
.LBB201_532:
	s_and_not1_b32 s23, s34, exec_lo
	s_and_b32 s2, s2, exec_lo
	s_and_not1_b32 s37, s35, exec_lo
	s_and_b32 s3, s3, exec_lo
	s_or_b32 s38, s23, s2
	s_or_b32 s37, s37, s3
	s_or_not1_b32 s2, s22, exec_lo
.LBB201_533:
	s_or_b32 exec_lo, exec_lo, s39
	s_mov_b32 s3, 0
	s_mov_b32 s23, 0
	s_mov_b32 s40, 0
                                        ; implicit-def: $vgpr1_vgpr2
                                        ; implicit-def: $vgpr0
                                        ; implicit-def: $vgpr6
	s_and_saveexec_b32 s39, s2
	s_cbranch_execz .LBB201_905
; %bb.534:
	s_mov_b32 s42, -1
	s_mov_b32 s22, s37
	s_mov_b32 s23, s38
	s_mov_b32 s40, exec_lo
	v_cmpx_gt_i32_e64 s30, v8
	s_cbranch_execz .LBB201_806
; %bb.535:
	s_and_not1_b32 vcc_lo, exec_lo, s27
	s_cbranch_vccnz .LBB201_540
; %bb.536:
	v_dual_mov_b32 v0, 0 :: v_dual_mov_b32 v1, 0
	s_and_not1_b32 vcc_lo, exec_lo, s33
	s_mov_b32 s41, 0
	s_cbranch_vccnz .LBB201_545
; %bb.537:
	v_mov_b32_e32 v0, 0
	s_add_i32 s43, s31, 1
	s_cmp_eq_u32 s25, 2
	s_mov_b32 s42, 0
	s_cbranch_scc1 .LBB201_541
; %bb.538:
	v_dual_mov_b32 v1, 0 :: v_dual_mov_b32 v0, 0
	v_mov_b32_e32 v2, v8
	s_and_b32 s42, s43, 28
	s_mov_b32 s44, 0
	s_mov_b64 s[2:3], s[20:21]
	s_mov_b64 s[22:23], s[16:17]
.LBB201_539:                            ; =>This Inner Loop Header: Depth=1
	s_clause 0x1
	s_load_b256 s[48:55], s[22:23], 0x4
	s_load_b128 s[64:67], s[22:23], 0x24
	s_load_b256 s[56:63], s[2:3], 0x0
	s_add_u32 s22, s22, 48
	s_addc_u32 s23, s23, 0
	s_add_i32 s44, s44, 4
	s_add_u32 s2, s2, 32
	s_addc_u32 s3, s3, 0
	s_cmp_eq_u32 s42, s44
	s_waitcnt vmcnt(0) lgkmcnt(0)
	v_mul_hi_u32 v3, s49, v2
	s_delay_alu instid0(VALU_DEP_1) | instskip(NEXT) | instid1(VALU_DEP_1)
	v_add_nc_u32_e32 v3, v2, v3
	v_lshrrev_b32_e32 v3, s50, v3
	s_delay_alu instid0(VALU_DEP_1) | instskip(SKIP_1) | instid1(VALU_DEP_2)
	v_mul_hi_u32 v6, s52, v3
	v_mul_lo_u32 v9, v3, s48
	v_add_nc_u32_e32 v6, v3, v6
	s_delay_alu instid0(VALU_DEP_2) | instskip(NEXT) | instid1(VALU_DEP_2)
	v_sub_nc_u32_e32 v2, v2, v9
	v_lshrrev_b32_e32 v6, s53, v6
	s_delay_alu instid0(VALU_DEP_2) | instskip(SKIP_1) | instid1(VALU_DEP_3)
	v_mul_lo_u32 v9, v2, s56
	v_mul_lo_u32 v11, v2, s57
	v_mul_hi_u32 v7, s55, v6
	s_delay_alu instid0(VALU_DEP_1) | instskip(NEXT) | instid1(VALU_DEP_1)
	v_add_nc_u32_e32 v7, v6, v7
	v_lshrrev_b32_e32 v7, s64, v7
	s_delay_alu instid0(VALU_DEP_1) | instskip(SKIP_1) | instid1(VALU_DEP_2)
	v_mul_hi_u32 v10, s66, v7
	v_mul_lo_u32 v12, v7, s54
	v_add_nc_u32_e32 v2, v7, v10
	v_mul_lo_u32 v10, v6, s51
	s_delay_alu instid0(VALU_DEP_3) | instskip(NEXT) | instid1(VALU_DEP_3)
	v_sub_nc_u32_e32 v6, v6, v12
	v_lshrrev_b32_e32 v2, s67, v2
	s_delay_alu instid0(VALU_DEP_2) | instskip(SKIP_2) | instid1(VALU_DEP_4)
	v_mul_lo_u32 v12, v6, s60
	v_mul_lo_u32 v6, v6, s61
	v_sub_nc_u32_e32 v3, v3, v10
	v_mul_lo_u32 v13, v2, s65
	s_delay_alu instid0(VALU_DEP_2) | instskip(SKIP_1) | instid1(VALU_DEP_3)
	v_mul_lo_u32 v10, v3, s58
	v_mul_lo_u32 v3, v3, s59
	v_sub_nc_u32_e32 v7, v7, v13
	s_delay_alu instid0(VALU_DEP_3) | instskip(NEXT) | instid1(VALU_DEP_2)
	v_add3_u32 v0, v9, v0, v10
	v_mul_lo_u32 v13, v7, s62
	v_mul_lo_u32 v7, v7, s63
	v_add3_u32 v1, v11, v1, v3
	s_delay_alu instid0(VALU_DEP_3) | instskip(NEXT) | instid1(VALU_DEP_2)
	v_add3_u32 v0, v12, v0, v13
	v_add3_u32 v1, v6, v1, v7
	s_cbranch_scc0 .LBB201_539
	s_branch .LBB201_542
.LBB201_540:
	s_mov_b32 s41, -1
                                        ; implicit-def: $vgpr0
                                        ; implicit-def: $vgpr1
	s_branch .LBB201_545
.LBB201_541:
	v_dual_mov_b32 v2, v8 :: v_dual_mov_b32 v1, 0
.LBB201_542:
	s_and_b32 s43, s43, 3
	s_delay_alu instid0(SALU_CYCLE_1)
	s_cmp_eq_u32 s43, 0
	s_cbranch_scc1 .LBB201_545
; %bb.543:
	s_lshl_b32 s2, s42, 3
	s_mul_i32 s22, s42, 12
	s_add_u32 s2, s2, s16
	s_addc_u32 s3, s17, 0
	s_add_u32 s2, s2, 0xc4
	s_addc_u32 s3, s3, 0
	;; [unrolled: 2-line block ×3, first 2 shown]
	.p2align	6
.LBB201_544:                            ; =>This Inner Loop Header: Depth=1
	s_clause 0x1
	s_load_b64 s[44:45], s[22:23], 0x4
	s_load_b32 s42, s[22:23], 0xc
	s_load_b64 s[46:47], s[2:3], 0x0
	s_add_u32 s22, s22, 12
	s_addc_u32 s23, s23, 0
	s_add_u32 s2, s2, 8
	s_addc_u32 s3, s3, 0
	s_add_i32 s43, s43, -1
	s_delay_alu instid0(SALU_CYCLE_1) | instskip(SKIP_2) | instid1(VALU_DEP_1)
	s_cmp_lg_u32 s43, 0
	s_waitcnt vmcnt(0) lgkmcnt(0)
	v_mul_hi_u32 v3, s45, v2
	v_add_nc_u32_e32 v3, v2, v3
	s_delay_alu instid0(VALU_DEP_1) | instskip(NEXT) | instid1(VALU_DEP_1)
	v_lshrrev_b32_e32 v3, s42, v3
	v_mul_lo_u32 v6, v3, s44
	s_delay_alu instid0(VALU_DEP_1) | instskip(NEXT) | instid1(VALU_DEP_1)
	v_sub_nc_u32_e32 v2, v2, v6
	v_mad_u64_u32 v[6:7], null, v2, s46, v[0:1]
	v_mad_u64_u32 v[9:10], null, v2, s47, v[1:2]
	v_mov_b32_e32 v2, v3
	s_delay_alu instid0(VALU_DEP_2)
	v_dual_mov_b32 v0, v6 :: v_dual_mov_b32 v1, v9
	s_cbranch_scc1 .LBB201_544
.LBB201_545:
	s_and_not1_b32 vcc_lo, exec_lo, s41
	s_cbranch_vccnz .LBB201_548
; %bb.546:
	s_waitcnt lgkmcnt(0)
	v_mul_hi_u32 v0, s13, v8
	s_and_not1_b32 vcc_lo, exec_lo, s29
	s_delay_alu instid0(VALU_DEP_1) | instskip(NEXT) | instid1(VALU_DEP_1)
	v_add_nc_u32_e32 v0, v8, v0
	v_lshrrev_b32_e32 v2, s14, v0
	s_delay_alu instid0(VALU_DEP_1) | instskip(NEXT) | instid1(VALU_DEP_1)
	v_mul_lo_u32 v0, v2, s12
	v_sub_nc_u32_e32 v1, v8, v0
	s_delay_alu instid0(VALU_DEP_1)
	v_mul_lo_u32 v0, v1, s8
	v_mul_lo_u32 v1, v1, s9
	s_cbranch_vccnz .LBB201_548
; %bb.547:
	s_waitcnt vmcnt(0)
	v_mul_hi_u32 v3, s18, v2
	s_delay_alu instid0(VALU_DEP_1) | instskip(NEXT) | instid1(VALU_DEP_1)
	v_add_nc_u32_e32 v3, v2, v3
	v_lshrrev_b32_e32 v3, s19, v3
	s_delay_alu instid0(VALU_DEP_1) | instskip(NEXT) | instid1(VALU_DEP_1)
	v_mul_lo_u32 v3, v3, s15
	v_sub_nc_u32_e32 v9, v2, v3
	s_delay_alu instid0(VALU_DEP_1) | instskip(NEXT) | instid1(VALU_DEP_1)
	v_mad_u64_u32 v[2:3], null, v9, s10, v[0:1]
	v_mad_u64_u32 v[6:7], null, v9, s11, v[1:2]
	v_mov_b32_e32 v0, v2
	s_delay_alu instid0(VALU_DEP_2)
	v_mov_b32_e32 v1, v6
.LBB201_548:
	v_cmp_gt_i16_e32 vcc_lo, 11, v5
	s_waitcnt lgkmcnt(0)
	s_delay_alu instid0(VALU_DEP_2) | instskip(NEXT) | instid1(VALU_DEP_1)
	v_add_co_u32 v1, s2, s6, v1
	v_add_co_ci_u32_e64 v2, null, s7, 0, s2
	s_mov_b32 s2, 0
	s_cbranch_vccnz .LBB201_555
; %bb.549:
	v_cmp_lt_i16_e32 vcc_lo, 25, v5
	s_cbranch_vccz .LBB201_556
; %bb.550:
	v_cmp_lt_i16_e32 vcc_lo, 28, v5
	s_cbranch_vccz .LBB201_557
	;; [unrolled: 3-line block ×4, first 2 shown]
; %bb.553:
	v_cmp_eq_u16_e32 vcc_lo, 46, v5
	s_mov_b32 s22, 0
	s_cbranch_vccz .LBB201_564
; %bb.554:
	global_load_b32 v3, v[1:2], off
	s_mov_b32 s2, -1
	s_mov_b32 s3, 0
	s_waitcnt vmcnt(0)
	v_lshlrev_b32_e32 v3, 16, v3
	s_branch .LBB201_566
.LBB201_555:
	s_mov_b32 s22, -1
	s_mov_b32 s3, s37
                                        ; implicit-def: $vgpr3
	s_branch .LBB201_631
.LBB201_556:
	s_mov_b32 s22, -1
	s_mov_b32 s3, s37
                                        ; implicit-def: $vgpr3
	s_branch .LBB201_595
.LBB201_557:
	s_mov_b32 s22, -1
	s_mov_b32 s3, s37
                                        ; implicit-def: $vgpr3
	s_branch .LBB201_576
.LBB201_558:
	s_mov_b32 s22, -1
	s_mov_b32 s3, s37
                                        ; implicit-def: $vgpr3
	s_branch .LBB201_571
.LBB201_559:
	s_or_saveexec_b32 s37, s37
                                        ; implicit-def: $sgpr38
	s_delay_alu instid0(SALU_CYCLE_1)
	s_xor_b32 exec_lo, exec_lo, s37
	s_cbranch_execz .LBB201_370
.LBB201_560:
	v_add_f32_e64 v3, 0x46000000, |v2|
	s_and_not1_b32 s23, s23, exec_lo
	s_mov_b32 s38, 0
	s_delay_alu instid0(VALU_DEP_1) | instskip(NEXT) | instid1(VALU_DEP_1)
	v_and_b32_e32 v3, 0xff, v3
	v_cmp_ne_u32_e32 vcc_lo, 0, v3
	s_and_b32 s40, vcc_lo, exec_lo
	s_delay_alu instid0(SALU_CYCLE_1)
	s_or_b32 s23, s23, s40
	s_or_b32 exec_lo, exec_lo, s37
	v_mov_b32_e32 v7, s38
	s_and_saveexec_b32 s37, s23
	s_cbranch_execnz .LBB201_371
	s_branch .LBB201_372
.LBB201_561:
	s_mov_b32 s22, -1
	s_mov_b32 s3, s37
	s_branch .LBB201_565
.LBB201_562:
	s_or_saveexec_b32 s37, s37
                                        ; implicit-def: $sgpr38
	s_delay_alu instid0(SALU_CYCLE_1)
	s_xor_b32 exec_lo, exec_lo, s37
	s_cbranch_execz .LBB201_383
.LBB201_563:
	v_add_f32_e64 v3, 0x42800000, |v2|
	s_and_not1_b32 s23, s23, exec_lo
	s_mov_b32 s38, 0
	s_delay_alu instid0(VALU_DEP_1) | instskip(NEXT) | instid1(VALU_DEP_1)
	v_and_b32_e32 v3, 0xff, v3
	v_cmp_ne_u32_e32 vcc_lo, 0, v3
	s_and_b32 s40, vcc_lo, exec_lo
	s_delay_alu instid0(SALU_CYCLE_1)
	s_or_b32 s23, s23, s40
	s_or_b32 exec_lo, exec_lo, s37
	v_mov_b32_e32 v7, s38
	s_and_saveexec_b32 s37, s23
	s_cbranch_execnz .LBB201_384
	s_branch .LBB201_385
.LBB201_564:
	s_mov_b32 s3, -1
.LBB201_565:
                                        ; implicit-def: $vgpr3
.LBB201_566:
	s_and_b32 vcc_lo, exec_lo, s22
	s_cbranch_vccz .LBB201_570
; %bb.567:
	v_cmp_eq_u16_e32 vcc_lo, 44, v5
	s_cbranch_vccz .LBB201_569
; %bb.568:
	global_load_u8 v3, v[1:2], off
	s_mov_b32 s3, 0
	s_mov_b32 s2, -1
	s_waitcnt vmcnt(0)
	v_lshlrev_b32_e32 v6, 23, v3
	v_cmp_ne_u32_e32 vcc_lo, 0xff, v3
	s_delay_alu instid0(VALU_DEP_2) | instskip(SKIP_1) | instid1(VALU_DEP_2)
	v_cndmask_b32_e32 v6, 0x7f800001, v6, vcc_lo
	v_cmp_ne_u32_e32 vcc_lo, 0, v3
	v_cndmask_b32_e32 v3, 0x400000, v6, vcc_lo
	s_branch .LBB201_570
.LBB201_569:
	s_mov_b32 s3, -1
                                        ; implicit-def: $vgpr3
.LBB201_570:
	s_mov_b32 s22, 0
.LBB201_571:
	s_delay_alu instid0(SALU_CYCLE_1)
	s_and_b32 vcc_lo, exec_lo, s22
	s_cbranch_vccz .LBB201_575
; %bb.572:
	v_cmp_eq_u16_e32 vcc_lo, 29, v5
	s_cbranch_vccz .LBB201_574
; %bb.573:
	global_load_b64 v[6:7], v[1:2], off
	s_mov_b32 s2, -1
	s_mov_b32 s3, 0
	s_mov_b32 s22, 0
	s_waitcnt vmcnt(0)
	v_clz_i32_u32_e32 v3, v7
	s_delay_alu instid0(VALU_DEP_1) | instskip(NEXT) | instid1(VALU_DEP_1)
	v_min_u32_e32 v3, 32, v3
	v_lshlrev_b64 v[6:7], v3, v[6:7]
	v_sub_nc_u32_e32 v3, 32, v3
	s_delay_alu instid0(VALU_DEP_2) | instskip(NEXT) | instid1(VALU_DEP_1)
	v_min_u32_e32 v6, 1, v6
	v_or_b32_e32 v6, v7, v6
	s_delay_alu instid0(VALU_DEP_1) | instskip(NEXT) | instid1(VALU_DEP_1)
	v_cvt_f32_u32_e32 v6, v6
	v_ldexp_f32 v3, v6, v3
	s_branch .LBB201_576
.LBB201_574:
	s_mov_b32 s3, -1
                                        ; implicit-def: $vgpr3
.LBB201_575:
	s_mov_b32 s22, 0
.LBB201_576:
	s_delay_alu instid0(SALU_CYCLE_1)
	s_and_b32 vcc_lo, exec_lo, s22
	s_cbranch_vccz .LBB201_594
; %bb.577:
	v_cmp_gt_i16_e32 vcc_lo, 27, v5
	s_cbranch_vccnz .LBB201_580
; %bb.578:
	v_cmp_lt_i16_e32 vcc_lo, 27, v5
	s_cbranch_vccz .LBB201_581
; %bb.579:
	global_load_b32 v3, v[1:2], off
	s_mov_b32 s2, 0
	s_waitcnt vmcnt(0)
	v_cvt_f32_u32_e32 v3, v3
	s_branch .LBB201_582
.LBB201_580:
	s_mov_b32 s2, -1
                                        ; implicit-def: $vgpr3
	s_branch .LBB201_585
.LBB201_581:
	s_mov_b32 s2, -1
                                        ; implicit-def: $vgpr3
.LBB201_582:
	s_delay_alu instid0(SALU_CYCLE_1)
	s_and_not1_b32 vcc_lo, exec_lo, s2
	s_cbranch_vccnz .LBB201_584
; %bb.583:
	global_load_u16 v3, v[1:2], off
	s_waitcnt vmcnt(0)
	v_cvt_f32_u32_e32 v3, v3
.LBB201_584:
	s_mov_b32 s2, 0
.LBB201_585:
	s_delay_alu instid0(SALU_CYCLE_1)
	s_and_not1_b32 vcc_lo, exec_lo, s2
	s_cbranch_vccnz .LBB201_593
; %bb.586:
	global_load_u8 v6, v[1:2], off
	s_mov_b32 s2, 0
	s_mov_b32 s23, exec_lo
                                        ; implicit-def: $sgpr22
	s_waitcnt vmcnt(0)
	v_cmpx_lt_i16_e32 0x7f, v6
	s_xor_b32 s23, exec_lo, s23
	s_cbranch_execz .LBB201_607
; %bb.587:
	s_mov_b32 s2, -1
	s_mov_b32 s41, exec_lo
                                        ; implicit-def: $sgpr22
	v_cmpx_eq_u16_e32 0x80, v6
; %bb.588:
	s_mov_b32 s22, 0x7f800001
	s_xor_b32 s2, exec_lo, -1
; %bb.589:
	s_or_b32 exec_lo, exec_lo, s41
	s_delay_alu instid0(SALU_CYCLE_1)
	s_and_b32 s2, s2, exec_lo
	s_or_saveexec_b32 s23, s23
	v_mov_b32_e32 v3, s22
	s_xor_b32 exec_lo, exec_lo, s23
	s_cbranch_execnz .LBB201_608
.LBB201_590:
	s_or_b32 exec_lo, exec_lo, s23
	s_and_saveexec_b32 s22, s2
	s_cbranch_execz .LBB201_592
.LBB201_591:
	v_and_b32_e32 v3, 0xffff, v6
	v_lshlrev_b32_e32 v6, 24, v6
	s_delay_alu instid0(VALU_DEP_2) | instskip(NEXT) | instid1(VALU_DEP_2)
	v_and_b32_e32 v7, 7, v3
	v_and_b32_e32 v6, 0x80000000, v6
	s_delay_alu instid0(VALU_DEP_2) | instskip(NEXT) | instid1(VALU_DEP_1)
	v_clz_i32_u32_e32 v9, v7
	v_min_u32_e32 v9, 32, v9
	s_delay_alu instid0(VALU_DEP_1) | instskip(SKIP_1) | instid1(VALU_DEP_2)
	v_subrev_nc_u32_e32 v10, 28, v9
	v_sub_nc_u32_e32 v9, 29, v9
	v_lshlrev_b32_e32 v10, v10, v3
	v_bfe_u32 v3, v3, 3, 4
	s_delay_alu instid0(VALU_DEP_1) | instskip(NEXT) | instid1(VALU_DEP_3)
	v_cmp_eq_u32_e32 vcc_lo, 0, v3
	v_dual_cndmask_b32 v3, v3, v9 :: v_dual_and_b32 v10, 7, v10
	s_delay_alu instid0(VALU_DEP_1) | instskip(NEXT) | instid1(VALU_DEP_2)
	v_lshl_add_u32 v3, v3, 23, 0x3b800000
	v_cndmask_b32_e32 v7, v7, v10, vcc_lo
	s_delay_alu instid0(VALU_DEP_1) | instskip(NEXT) | instid1(VALU_DEP_1)
	v_lshlrev_b32_e32 v7, 20, v7
	v_or3_b32 v3, v6, v3, v7
.LBB201_592:
	s_or_b32 exec_lo, exec_lo, s22
.LBB201_593:
	s_mov_b32 s2, -1
.LBB201_594:
	s_mov_b32 s22, 0
.LBB201_595:
	s_delay_alu instid0(SALU_CYCLE_1)
	s_and_b32 vcc_lo, exec_lo, s22
	s_cbranch_vccz .LBB201_630
; %bb.596:
	v_cmp_lt_i16_e32 vcc_lo, 22, v5
	s_cbranch_vccz .LBB201_606
; %bb.597:
	v_cmp_gt_i16_e32 vcc_lo, 24, v5
	s_cbranch_vccnz .LBB201_609
; %bb.598:
	v_cmp_lt_i16_e32 vcc_lo, 24, v5
	s_cbranch_vccz .LBB201_610
; %bb.599:
	global_load_u8 v6, v[1:2], off
	s_mov_b32 s2, 0
	s_mov_b32 s23, exec_lo
                                        ; implicit-def: $sgpr22
	s_waitcnt vmcnt(0)
	v_cmpx_lt_i16_e32 0x7f, v6
	s_xor_b32 s23, exec_lo, s23
	s_cbranch_execz .LBB201_622
; %bb.600:
	s_mov_b32 s2, -1
	s_mov_b32 s41, exec_lo
                                        ; implicit-def: $sgpr22
	v_cmpx_eq_u16_e32 0x80, v6
; %bb.601:
	s_mov_b32 s22, 0x7f800001
	s_xor_b32 s2, exec_lo, -1
; %bb.602:
	s_or_b32 exec_lo, exec_lo, s41
	s_delay_alu instid0(SALU_CYCLE_1)
	s_and_b32 s2, s2, exec_lo
	s_or_saveexec_b32 s23, s23
	v_mov_b32_e32 v3, s22
	s_xor_b32 exec_lo, exec_lo, s23
	s_cbranch_execnz .LBB201_623
.LBB201_603:
	s_or_b32 exec_lo, exec_lo, s23
	s_and_saveexec_b32 s22, s2
	s_cbranch_execz .LBB201_605
.LBB201_604:
	v_and_b32_e32 v3, 0xffff, v6
	v_lshlrev_b32_e32 v6, 24, v6
	s_delay_alu instid0(VALU_DEP_2) | instskip(NEXT) | instid1(VALU_DEP_2)
	v_and_b32_e32 v7, 3, v3
	v_and_b32_e32 v6, 0x80000000, v6
	s_delay_alu instid0(VALU_DEP_2) | instskip(NEXT) | instid1(VALU_DEP_1)
	v_clz_i32_u32_e32 v9, v7
	v_min_u32_e32 v9, 32, v9
	s_delay_alu instid0(VALU_DEP_1) | instskip(SKIP_1) | instid1(VALU_DEP_2)
	v_subrev_nc_u32_e32 v10, 29, v9
	v_sub_nc_u32_e32 v9, 30, v9
	v_lshlrev_b32_e32 v10, v10, v3
	v_bfe_u32 v3, v3, 2, 5
	s_delay_alu instid0(VALU_DEP_1) | instskip(NEXT) | instid1(VALU_DEP_3)
	v_cmp_eq_u32_e32 vcc_lo, 0, v3
	v_dual_cndmask_b32 v3, v3, v9 :: v_dual_and_b32 v10, 3, v10
	s_delay_alu instid0(VALU_DEP_1) | instskip(NEXT) | instid1(VALU_DEP_2)
	v_lshl_add_u32 v3, v3, 23, 0x37800000
	v_cndmask_b32_e32 v7, v7, v10, vcc_lo
	s_delay_alu instid0(VALU_DEP_1) | instskip(NEXT) | instid1(VALU_DEP_1)
	v_lshlrev_b32_e32 v7, 21, v7
	v_or3_b32 v3, v6, v3, v7
.LBB201_605:
	s_or_b32 exec_lo, exec_lo, s22
	s_mov_b32 s2, 0
	s_branch .LBB201_611
.LBB201_606:
	s_mov_b32 s22, -1
                                        ; implicit-def: $vgpr3
	s_branch .LBB201_617
.LBB201_607:
	s_or_saveexec_b32 s23, s23
	v_mov_b32_e32 v3, s22
	s_xor_b32 exec_lo, exec_lo, s23
	s_cbranch_execz .LBB201_590
.LBB201_608:
	v_cmp_ne_u16_e32 vcc_lo, 0, v6
	v_mov_b32_e32 v3, 0
	s_and_not1_b32 s2, s2, exec_lo
	s_and_b32 s22, vcc_lo, exec_lo
	s_delay_alu instid0(SALU_CYCLE_1)
	s_or_b32 s2, s2, s22
	s_or_b32 exec_lo, exec_lo, s23
	s_and_saveexec_b32 s22, s2
	s_cbranch_execnz .LBB201_591
	s_branch .LBB201_592
.LBB201_609:
	s_mov_b32 s2, -1
                                        ; implicit-def: $vgpr3
	s_branch .LBB201_614
.LBB201_610:
	s_mov_b32 s2, -1
                                        ; implicit-def: $vgpr3
.LBB201_611:
	s_delay_alu instid0(SALU_CYCLE_1)
	s_and_b32 vcc_lo, exec_lo, s2
	s_cbranch_vccz .LBB201_613
; %bb.612:
	global_load_u8 v3, v[1:2], off
	s_waitcnt vmcnt(0)
	v_lshlrev_b32_e32 v3, 24, v3
	s_delay_alu instid0(VALU_DEP_1) | instskip(NEXT) | instid1(VALU_DEP_1)
	v_and_b32_e32 v6, 0x7f000000, v3
	v_clz_i32_u32_e32 v7, v6
	v_cmp_ne_u32_e32 vcc_lo, 0, v6
	v_add_nc_u32_e32 v10, 0x1000000, v6
	s_delay_alu instid0(VALU_DEP_3) | instskip(NEXT) | instid1(VALU_DEP_1)
	v_min_u32_e32 v7, 32, v7
	v_sub_nc_u32_e64 v7, v7, 4 clamp
	s_delay_alu instid0(VALU_DEP_1) | instskip(SKIP_1) | instid1(VALU_DEP_2)
	v_lshlrev_b32_e32 v9, v7, v6
	v_lshlrev_b32_e32 v7, 23, v7
	v_lshrrev_b32_e32 v9, 4, v9
	s_delay_alu instid0(VALU_DEP_1) | instskip(SKIP_1) | instid1(VALU_DEP_2)
	v_sub_nc_u32_e32 v7, v9, v7
	v_ashrrev_i32_e32 v9, 8, v10
	v_add_nc_u32_e32 v7, 0x3c000000, v7
	s_delay_alu instid0(VALU_DEP_1) | instskip(NEXT) | instid1(VALU_DEP_1)
	v_and_or_b32 v7, 0x7f800000, v9, v7
	v_cndmask_b32_e32 v6, 0, v7, vcc_lo
	s_delay_alu instid0(VALU_DEP_1)
	v_and_or_b32 v3, 0x80000000, v3, v6
.LBB201_613:
	s_mov_b32 s2, 0
.LBB201_614:
	s_delay_alu instid0(SALU_CYCLE_1)
	s_and_not1_b32 vcc_lo, exec_lo, s2
	s_cbranch_vccnz .LBB201_616
; %bb.615:
	global_load_u8 v3, v[1:2], off
	s_waitcnt vmcnt(0)
	v_lshlrev_b32_e32 v6, 25, v3
	v_lshlrev_b16 v3, 8, v3
	s_delay_alu instid0(VALU_DEP_1) | instskip(SKIP_1) | instid1(VALU_DEP_2)
	v_and_or_b32 v9, 0x7f00, v3, 0.5
	v_bfe_i32 v3, v3, 0, 16
	v_add_f32_e32 v9, -0.5, v9
	v_lshrrev_b32_e32 v7, 4, v6
	v_cmp_gt_u32_e32 vcc_lo, 0x8000000, v6
	s_delay_alu instid0(VALU_DEP_2) | instskip(NEXT) | instid1(VALU_DEP_1)
	v_or_b32_e32 v7, 0x70000000, v7
	v_mul_f32_e32 v7, 0x7800000, v7
	s_delay_alu instid0(VALU_DEP_1) | instskip(NEXT) | instid1(VALU_DEP_1)
	v_cndmask_b32_e32 v6, v7, v9, vcc_lo
	v_and_or_b32 v3, 0x80000000, v3, v6
.LBB201_616:
	s_mov_b32 s22, 0
	s_mov_b32 s2, -1
.LBB201_617:
	s_and_not1_b32 vcc_lo, exec_lo, s22
	s_cbranch_vccnz .LBB201_630
; %bb.618:
	v_cmp_lt_i16_e32 vcc_lo, 14, v5
	s_cbranch_vccz .LBB201_621
; %bb.619:
	v_cmp_eq_u16_e32 vcc_lo, 15, v5
	s_cbranch_vccz .LBB201_624
; %bb.620:
	global_load_u16 v3, v[1:2], off
	s_mov_b32 s2, -1
	s_mov_b32 s3, 0
	s_waitcnt vmcnt(0)
	v_lshlrev_b32_e32 v3, 16, v3
	s_branch .LBB201_625
.LBB201_621:
	s_mov_b32 s22, -1
                                        ; implicit-def: $vgpr3
	s_branch .LBB201_626
.LBB201_622:
	s_or_saveexec_b32 s23, s23
	v_mov_b32_e32 v3, s22
	s_xor_b32 exec_lo, exec_lo, s23
	s_cbranch_execz .LBB201_603
.LBB201_623:
	v_cmp_ne_u16_e32 vcc_lo, 0, v6
	v_mov_b32_e32 v3, 0
	s_and_not1_b32 s2, s2, exec_lo
	s_and_b32 s22, vcc_lo, exec_lo
	s_delay_alu instid0(SALU_CYCLE_1)
	s_or_b32 s2, s2, s22
	s_or_b32 exec_lo, exec_lo, s23
	s_and_saveexec_b32 s22, s2
	s_cbranch_execnz .LBB201_604
	s_branch .LBB201_605
.LBB201_624:
	s_mov_b32 s3, -1
                                        ; implicit-def: $vgpr3
.LBB201_625:
	s_mov_b32 s22, 0
.LBB201_626:
	s_delay_alu instid0(SALU_CYCLE_1)
	s_and_b32 vcc_lo, exec_lo, s22
	s_cbranch_vccz .LBB201_630
; %bb.627:
	v_cmp_eq_u16_e32 vcc_lo, 11, v5
	s_cbranch_vccz .LBB201_629
; %bb.628:
	global_load_u8 v3, v[1:2], off
	s_mov_b32 s3, 0
	s_mov_b32 s2, -1
	s_waitcnt vmcnt(0)
	v_cmp_ne_u16_e32 vcc_lo, 0, v3
	v_cndmask_b32_e64 v3, 0, 1.0, vcc_lo
	s_branch .LBB201_630
.LBB201_629:
	s_mov_b32 s3, -1
                                        ; implicit-def: $vgpr3
.LBB201_630:
	s_mov_b32 s22, 0
.LBB201_631:
	s_delay_alu instid0(SALU_CYCLE_1)
	s_and_b32 vcc_lo, exec_lo, s22
	s_cbranch_vccz .LBB201_680
; %bb.632:
	v_cmp_gt_i16_e32 vcc_lo, 5, v5
	s_cbranch_vccnz .LBB201_637
; %bb.633:
	v_cmp_gt_i16_e32 vcc_lo, 8, v5
	s_cbranch_vccnz .LBB201_638
	;; [unrolled: 3-line block ×3, first 2 shown]
; %bb.635:
	v_cmp_lt_i16_e32 vcc_lo, 9, v5
	s_cbranch_vccz .LBB201_640
; %bb.636:
	global_load_b64 v[6:7], v[1:2], off
	s_mov_b32 s2, 0
	s_waitcnt vmcnt(0)
	v_cvt_f32_f64_e32 v3, v[6:7]
	s_branch .LBB201_641
.LBB201_637:
	s_mov_b32 s2, -1
                                        ; implicit-def: $vgpr3
	s_branch .LBB201_659
.LBB201_638:
	s_mov_b32 s2, -1
                                        ; implicit-def: $vgpr3
	s_branch .LBB201_647
.LBB201_639:
	s_mov_b32 s2, -1
                                        ; implicit-def: $vgpr3
	s_branch .LBB201_644
.LBB201_640:
	s_mov_b32 s2, -1
                                        ; implicit-def: $vgpr3
.LBB201_641:
	s_delay_alu instid0(SALU_CYCLE_1)
	s_and_not1_b32 vcc_lo, exec_lo, s2
	s_cbranch_vccnz .LBB201_643
; %bb.642:
	global_load_b32 v3, v[1:2], off
.LBB201_643:
	s_mov_b32 s2, 0
.LBB201_644:
	s_delay_alu instid0(SALU_CYCLE_1)
	s_and_not1_b32 vcc_lo, exec_lo, s2
	s_cbranch_vccnz .LBB201_646
; %bb.645:
	global_load_b32 v3, v[1:2], off
	s_waitcnt vmcnt(0)
	v_cvt_f32_f16_e32 v3, v3
.LBB201_646:
	s_mov_b32 s2, 0
.LBB201_647:
	s_delay_alu instid0(SALU_CYCLE_1)
	s_and_not1_b32 vcc_lo, exec_lo, s2
	s_cbranch_vccnz .LBB201_658
; %bb.648:
	v_cmp_gt_i16_e32 vcc_lo, 6, v5
	s_cbranch_vccnz .LBB201_651
; %bb.649:
	v_cmp_lt_i16_e32 vcc_lo, 6, v5
	s_cbranch_vccz .LBB201_652
; %bb.650:
	global_load_b64 v[6:7], v[1:2], off
	s_mov_b32 s2, 0
	s_waitcnt vmcnt(0)
	v_cvt_f32_f64_e32 v3, v[6:7]
	s_branch .LBB201_653
.LBB201_651:
	s_mov_b32 s2, -1
                                        ; implicit-def: $vgpr3
	s_branch .LBB201_656
.LBB201_652:
	s_mov_b32 s2, -1
                                        ; implicit-def: $vgpr3
.LBB201_653:
	s_delay_alu instid0(SALU_CYCLE_1)
	s_and_not1_b32 vcc_lo, exec_lo, s2
	s_cbranch_vccnz .LBB201_655
; %bb.654:
	global_load_b32 v3, v[1:2], off
.LBB201_655:
	s_mov_b32 s2, 0
.LBB201_656:
	s_delay_alu instid0(SALU_CYCLE_1)
	s_and_not1_b32 vcc_lo, exec_lo, s2
	s_cbranch_vccnz .LBB201_658
; %bb.657:
	global_load_u16 v3, v[1:2], off
	s_waitcnt vmcnt(0)
	v_cvt_f32_f16_e32 v3, v3
.LBB201_658:
	s_mov_b32 s2, 0
.LBB201_659:
	s_delay_alu instid0(SALU_CYCLE_1)
	s_and_not1_b32 vcc_lo, exec_lo, s2
	s_cbranch_vccnz .LBB201_679
; %bb.660:
	v_cmp_gt_i16_e32 vcc_lo, 2, v5
	s_cbranch_vccnz .LBB201_664
; %bb.661:
	v_cmp_gt_i16_e32 vcc_lo, 3, v5
	s_cbranch_vccnz .LBB201_665
; %bb.662:
	v_cmp_lt_i16_e32 vcc_lo, 3, v5
	s_cbranch_vccz .LBB201_666
; %bb.663:
	global_load_b64 v[6:7], v[1:2], off
	s_mov_b32 s2, 0
	s_waitcnt vmcnt(0)
	v_xor_b32_e32 v3, v6, v7
	v_cls_i32_e32 v9, v7
	s_delay_alu instid0(VALU_DEP_2) | instskip(NEXT) | instid1(VALU_DEP_2)
	v_ashrrev_i32_e32 v3, 31, v3
	v_add_nc_u32_e32 v9, -1, v9
	s_delay_alu instid0(VALU_DEP_2) | instskip(NEXT) | instid1(VALU_DEP_1)
	v_add_nc_u32_e32 v3, 32, v3
	v_min_u32_e32 v3, v9, v3
	s_delay_alu instid0(VALU_DEP_1) | instskip(SKIP_1) | instid1(VALU_DEP_2)
	v_lshlrev_b64 v[6:7], v3, v[6:7]
	v_sub_nc_u32_e32 v3, 32, v3
	v_min_u32_e32 v6, 1, v6
	s_delay_alu instid0(VALU_DEP_1) | instskip(NEXT) | instid1(VALU_DEP_1)
	v_or_b32_e32 v6, v7, v6
	v_cvt_f32_i32_e32 v6, v6
	s_delay_alu instid0(VALU_DEP_1)
	v_ldexp_f32 v3, v6, v3
	s_branch .LBB201_667
.LBB201_664:
	s_mov_b32 s2, -1
                                        ; implicit-def: $vgpr3
	s_branch .LBB201_673
.LBB201_665:
	s_mov_b32 s2, -1
                                        ; implicit-def: $vgpr3
	s_branch .LBB201_670
.LBB201_666:
	s_mov_b32 s2, -1
                                        ; implicit-def: $vgpr3
.LBB201_667:
	s_delay_alu instid0(SALU_CYCLE_1)
	s_and_not1_b32 vcc_lo, exec_lo, s2
	s_cbranch_vccnz .LBB201_669
; %bb.668:
	global_load_b32 v3, v[1:2], off
	s_waitcnt vmcnt(0)
	v_cvt_f32_i32_e32 v3, v3
.LBB201_669:
	s_mov_b32 s2, 0
.LBB201_670:
	s_delay_alu instid0(SALU_CYCLE_1)
	s_and_not1_b32 vcc_lo, exec_lo, s2
	s_cbranch_vccnz .LBB201_672
; %bb.671:
	global_load_i16 v3, v[1:2], off
	s_waitcnt vmcnt(0)
	v_cvt_f32_i32_e32 v3, v3
.LBB201_672:
	s_mov_b32 s2, 0
.LBB201_673:
	s_delay_alu instid0(SALU_CYCLE_1)
	s_and_not1_b32 vcc_lo, exec_lo, s2
	s_cbranch_vccnz .LBB201_679
; %bb.674:
	v_cmp_lt_i16_e32 vcc_lo, 0, v5
	s_mov_b32 s2, 0
	s_cbranch_vccz .LBB201_676
; %bb.675:
	global_load_i8 v3, v[1:2], off
	s_waitcnt vmcnt(0)
	v_cvt_f32_i32_e32 v3, v3
	s_branch .LBB201_677
.LBB201_676:
	s_mov_b32 s2, -1
                                        ; implicit-def: $vgpr3
.LBB201_677:
	s_delay_alu instid0(SALU_CYCLE_1)
	s_and_not1_b32 vcc_lo, exec_lo, s2
	s_cbranch_vccnz .LBB201_679
; %bb.678:
	global_load_u8 v1, v[1:2], off
	s_waitcnt vmcnt(0)
	v_cvt_f32_ubyte0_e32 v3, v1
.LBB201_679:
	s_mov_b32 s2, -1
.LBB201_680:
	s_delay_alu instid0(SALU_CYCLE_1)
	s_and_not1_b32 vcc_lo, exec_lo, s2
	s_cbranch_vccnz .LBB201_688
; %bb.681:
	s_waitcnt vmcnt(0)
	s_delay_alu instid0(VALU_DEP_1) | instskip(SKIP_3) | instid1(VALU_DEP_2)
	v_cvt_f64_f32_e32 v[1:2], v3
	v_add_co_u32 v0, s2, s4, v0
	s_mov_b32 s22, 0
	s_mov_b32 s23, -1
	v_rsq_f64_e32 v[6:7], v[1:2]
	s_waitcnt_depctr 0xfff
	v_mul_f64 v[1:2], v[6:7], -v[1:2]
	v_cmp_class_f64_e64 vcc_lo, v[6:7], 0x180
	s_delay_alu instid0(VALU_DEP_2) | instskip(NEXT) | instid1(VALU_DEP_1)
	v_fma_f64 v[1:2], v[1:2], v[6:7], 1.0
	v_mul_f64 v[9:10], v[6:7], v[1:2]
	v_fma_f64 v[1:2], 0x3fd80000, v[1:2], 0.5
	s_delay_alu instid0(VALU_DEP_1) | instskip(NEXT) | instid1(VALU_DEP_1)
	v_fma_f64 v[1:2], v[9:10], v[1:2], v[6:7]
	v_dual_cndmask_b32 v2, v7, v2 :: v_dual_cndmask_b32 v1, v6, v1
	v_and_b32_e32 v6, 0xff, v4
	s_delay_alu instid0(VALU_DEP_2) | instskip(NEXT) | instid1(VALU_DEP_2)
	v_cvt_f32_f64_e32 v2, v[1:2]
	v_cmp_gt_i16_e32 vcc_lo, 11, v6
	v_add_co_ci_u32_e64 v1, null, s5, 0, s2
	s_mov_b32 s2, s38
	s_cbranch_vccnz .LBB201_689
; %bb.682:
	v_cmp_lt_i16_e32 vcc_lo, 25, v6
	s_cbranch_vccz .LBB201_730
; %bb.683:
	v_cmp_lt_i16_e32 vcc_lo, 28, v6
	s_cbranch_vccz .LBB201_731
	;; [unrolled: 3-line block ×4, first 2 shown]
; %bb.686:
	v_cmp_eq_u16_e32 vcc_lo, 46, v6
	s_mov_b32 s23, 0
	s_mov_b32 s2, -1
	s_cbranch_vccz .LBB201_734
; %bb.687:
	v_bfe_u32 v3, v2, 16, 1
	v_cmp_o_f32_e32 vcc_lo, v2, v2
	s_mov_b32 s22, -1
	s_mov_b32 s2, 0
	s_delay_alu instid0(VALU_DEP_2) | instskip(NEXT) | instid1(VALU_DEP_1)
	v_add3_u32 v3, v2, v3, 0x7fff
	v_lshrrev_b32_e32 v3, 16, v3
	s_delay_alu instid0(VALU_DEP_1)
	v_cndmask_b32_e32 v3, 0x7fc0, v3, vcc_lo
	global_store_b32 v[0:1], v3, off
	s_branch .LBB201_734
.LBB201_688:
	s_mov_b32 s41, 0
	s_mov_b32 s2, s38
	s_branch .LBB201_729
.LBB201_689:
	s_and_b32 vcc_lo, exec_lo, s23
	s_cbranch_vccz .LBB201_803
; %bb.690:
	v_cmp_gt_i16_e32 vcc_lo, 5, v6
	s_mov_b32 s22, -1
	s_cbranch_vccnz .LBB201_711
; %bb.691:
	v_cmp_gt_i16_e32 vcc_lo, 8, v6
	s_cbranch_vccnz .LBB201_701
; %bb.692:
	v_cmp_gt_i16_e32 vcc_lo, 9, v6
	s_cbranch_vccnz .LBB201_698
; %bb.693:
	v_cmp_lt_i16_e32 vcc_lo, 9, v6
	s_cbranch_vccz .LBB201_695
; %bb.694:
	v_cvt_f64_f32_e32 v[9:10], v2
	v_mov_b32_e32 v11, 0
	s_mov_b32 s22, 0
	s_delay_alu instid0(VALU_DEP_1)
	v_mov_b32_e32 v12, v11
	global_store_b128 v[0:1], v[9:12], off
.LBB201_695:
	s_and_not1_b32 vcc_lo, exec_lo, s22
	s_cbranch_vccnz .LBB201_697
; %bb.696:
	v_mov_b32_e32 v3, 0
	global_store_b64 v[0:1], v[2:3], off
.LBB201_697:
	s_mov_b32 s22, 0
.LBB201_698:
	s_delay_alu instid0(SALU_CYCLE_1)
	s_and_not1_b32 vcc_lo, exec_lo, s22
	s_cbranch_vccnz .LBB201_700
; %bb.699:
	v_cvt_f16_f32_e32 v3, v2
	s_delay_alu instid0(VALU_DEP_1)
	v_and_b32_e32 v3, 0xffff, v3
	global_store_b32 v[0:1], v3, off
.LBB201_700:
	s_mov_b32 s22, 0
.LBB201_701:
	s_delay_alu instid0(SALU_CYCLE_1)
	s_and_not1_b32 vcc_lo, exec_lo, s22
	s_cbranch_vccnz .LBB201_710
; %bb.702:
	v_cmp_gt_i16_e32 vcc_lo, 6, v6
	s_mov_b32 s22, -1
	s_cbranch_vccnz .LBB201_708
; %bb.703:
	v_cmp_lt_i16_e32 vcc_lo, 6, v6
	s_cbranch_vccz .LBB201_705
; %bb.704:
	v_cvt_f64_f32_e32 v[9:10], v2
	s_mov_b32 s22, 0
	global_store_b64 v[0:1], v[9:10], off
.LBB201_705:
	s_and_not1_b32 vcc_lo, exec_lo, s22
	s_cbranch_vccnz .LBB201_707
; %bb.706:
	global_store_b32 v[0:1], v2, off
.LBB201_707:
	s_mov_b32 s22, 0
.LBB201_708:
	s_delay_alu instid0(SALU_CYCLE_1)
	s_and_not1_b32 vcc_lo, exec_lo, s22
	s_cbranch_vccnz .LBB201_710
; %bb.709:
	v_cvt_f16_f32_e32 v3, v2
	global_store_b16 v[0:1], v3, off
.LBB201_710:
	s_mov_b32 s22, 0
.LBB201_711:
	s_delay_alu instid0(SALU_CYCLE_1)
	s_and_not1_b32 vcc_lo, exec_lo, s22
	s_cbranch_vccnz .LBB201_727
; %bb.712:
	v_cmp_gt_i16_e32 vcc_lo, 2, v6
	s_mov_b32 s22, -1
	s_cbranch_vccnz .LBB201_722
; %bb.713:
	v_cmp_gt_i16_e32 vcc_lo, 3, v6
	s_cbranch_vccnz .LBB201_719
; %bb.714:
	v_cmp_lt_i16_e32 vcc_lo, 3, v6
	s_cbranch_vccz .LBB201_716
; %bb.715:
	v_trunc_f32_e32 v3, v2
	s_mov_b32 s22, 0
	s_delay_alu instid0(VALU_DEP_1) | instskip(NEXT) | instid1(VALU_DEP_1)
	v_mul_f32_e64 v7, 0x2f800000, |v3|
	v_floor_f32_e32 v7, v7
	s_delay_alu instid0(VALU_DEP_1) | instskip(SKIP_2) | instid1(VALU_DEP_3)
	v_fma_f32 v9, 0xcf800000, v7, |v3|
	v_ashrrev_i32_e32 v3, 31, v3
	v_cvt_u32_f32_e32 v7, v7
	v_cvt_u32_f32_e32 v9, v9
	s_delay_alu instid0(VALU_DEP_2) | instskip(NEXT) | instid1(VALU_DEP_2)
	v_xor_b32_e32 v7, v7, v3
	v_xor_b32_e32 v9, v9, v3
	s_delay_alu instid0(VALU_DEP_1) | instskip(NEXT) | instid1(VALU_DEP_3)
	v_sub_co_u32 v9, vcc_lo, v9, v3
	v_sub_co_ci_u32_e32 v10, vcc_lo, v7, v3, vcc_lo
	global_store_b64 v[0:1], v[9:10], off
.LBB201_716:
	s_and_not1_b32 vcc_lo, exec_lo, s22
	s_cbranch_vccnz .LBB201_718
; %bb.717:
	v_cvt_i32_f32_e32 v3, v2
	global_store_b32 v[0:1], v3, off
.LBB201_718:
	s_mov_b32 s22, 0
.LBB201_719:
	s_delay_alu instid0(SALU_CYCLE_1)
	s_and_not1_b32 vcc_lo, exec_lo, s22
	s_cbranch_vccnz .LBB201_721
; %bb.720:
	v_cvt_i32_f32_e32 v3, v2
	global_store_b16 v[0:1], v3, off
.LBB201_721:
	s_mov_b32 s22, 0
.LBB201_722:
	s_delay_alu instid0(SALU_CYCLE_1)
	s_and_not1_b32 vcc_lo, exec_lo, s22
	s_cbranch_vccnz .LBB201_727
; %bb.723:
	v_cmp_lt_i16_e32 vcc_lo, 0, v6
	s_mov_b32 s22, -1
	s_cbranch_vccz .LBB201_725
; %bb.724:
	v_cvt_i32_f32_e32 v3, v2
	s_mov_b32 s22, 0
	global_store_b8 v[0:1], v3, off
.LBB201_725:
	s_and_not1_b32 vcc_lo, exec_lo, s22
	s_cbranch_vccnz .LBB201_727
; %bb.726:
	v_trunc_f32_e32 v2, v2
	s_delay_alu instid0(VALU_DEP_1) | instskip(NEXT) | instid1(VALU_DEP_1)
	v_mul_f32_e64 v3, 0x2f800000, |v2|
	v_floor_f32_e32 v3, v3
	s_delay_alu instid0(VALU_DEP_1) | instskip(SKIP_1) | instid1(VALU_DEP_2)
	v_fma_f32 v3, 0xcf800000, v3, |v2|
	v_ashrrev_i32_e32 v2, 31, v2
	v_cvt_u32_f32_e32 v3, v3
	s_delay_alu instid0(VALU_DEP_1) | instskip(NEXT) | instid1(VALU_DEP_1)
	v_xor_b32_e32 v3, v3, v2
	v_sub_nc_u32_e32 v2, v3, v2
	global_store_b8 v[0:1], v2, off
.LBB201_727:
	s_branch .LBB201_804
.LBB201_728:
	s_mov_b32 s41, 0
.LBB201_729:
                                        ; implicit-def: $vgpr8
	s_branch .LBB201_805
.LBB201_730:
	s_mov_b32 s2, s38
	s_branch .LBB201_761
.LBB201_731:
	s_mov_b32 s2, s38
	s_branch .LBB201_744
.LBB201_732:
	s_mov_b32 s2, s38
	s_branch .LBB201_740
.LBB201_733:
	s_mov_b32 s2, s38
.LBB201_734:
	s_and_b32 vcc_lo, exec_lo, s23
	s_cbranch_vccz .LBB201_739
; %bb.735:
	v_cmp_eq_u16_e32 vcc_lo, 44, v6
	s_mov_b32 s2, -1
	s_cbranch_vccz .LBB201_739
; %bb.736:
	v_bfe_u32 v7, v2, 23, 8
	v_mov_b32_e32 v3, 0xff
	s_mov_b32 s22, exec_lo
	s_delay_alu instid0(VALU_DEP_2)
	v_cmpx_ne_u32_e32 0xff, v7
; %bb.737:
	v_and_b32_e32 v3, 0x400000, v2
	v_and_or_b32 v7, 0x3fffff, v2, v7
	s_delay_alu instid0(VALU_DEP_2) | instskip(NEXT) | instid1(VALU_DEP_2)
	v_cmp_ne_u32_e32 vcc_lo, 0, v3
	v_cmp_ne_u32_e64 s2, 0, v7
	v_lshrrev_b32_e32 v3, 23, v2
	s_delay_alu instid0(VALU_DEP_2) | instskip(NEXT) | instid1(SALU_CYCLE_1)
	s_and_b32 s2, vcc_lo, s2
	v_cndmask_b32_e64 v7, 0, 1, s2
	s_delay_alu instid0(VALU_DEP_1)
	v_add_nc_u32_e32 v3, v3, v7
; %bb.738:
	s_or_b32 exec_lo, exec_lo, s22
	s_mov_b32 s22, -1
	s_mov_b32 s2, 0
	global_store_b8 v[0:1], v3, off
.LBB201_739:
	s_mov_b32 s23, 0
.LBB201_740:
	s_delay_alu instid0(SALU_CYCLE_1)
	s_and_b32 vcc_lo, exec_lo, s23
	s_cbranch_vccz .LBB201_743
; %bb.741:
	v_cmp_eq_u16_e32 vcc_lo, 29, v6
	s_mov_b32 s2, -1
	s_cbranch_vccz .LBB201_743
; %bb.742:
	v_trunc_f32_e32 v3, v2
	s_mov_b32 s22, -1
	s_mov_b32 s2, 0
	s_mov_b32 s23, 0
	s_delay_alu instid0(VALU_DEP_1) | instskip(NEXT) | instid1(VALU_DEP_1)
	v_mul_f32_e32 v7, 0x2f800000, v3
	v_floor_f32_e32 v7, v7
	s_delay_alu instid0(VALU_DEP_1) | instskip(SKIP_1) | instid1(VALU_DEP_2)
	v_fmamk_f32 v3, v7, 0xcf800000, v3
	v_cvt_u32_f32_e32 v10, v7
	v_cvt_u32_f32_e32 v9, v3
	global_store_b64 v[0:1], v[9:10], off
	s_branch .LBB201_744
.LBB201_743:
	s_mov_b32 s23, 0
.LBB201_744:
	s_delay_alu instid0(SALU_CYCLE_1)
	s_and_b32 vcc_lo, exec_lo, s23
	s_cbranch_vccz .LBB201_760
; %bb.745:
	v_cmp_gt_i16_e32 vcc_lo, 27, v6
	s_mov_b32 s22, -1
	s_cbranch_vccnz .LBB201_751
; %bb.746:
	v_cmp_lt_i16_e32 vcc_lo, 27, v6
	s_cbranch_vccz .LBB201_748
; %bb.747:
	v_cvt_u32_f32_e32 v3, v2
	s_mov_b32 s22, 0
	global_store_b32 v[0:1], v3, off
.LBB201_748:
	s_and_not1_b32 vcc_lo, exec_lo, s22
	s_cbranch_vccnz .LBB201_750
; %bb.749:
	v_cvt_u32_f32_e32 v3, v2
	global_store_b16 v[0:1], v3, off
.LBB201_750:
	s_mov_b32 s22, 0
.LBB201_751:
	s_delay_alu instid0(SALU_CYCLE_1)
	s_and_not1_b32 vcc_lo, exec_lo, s22
	s_cbranch_vccnz .LBB201_759
; %bb.752:
	v_and_b32_e32 v3, 0x7fffffff, v2
	v_mov_b32_e32 v7, 0x80
	s_mov_b32 s22, exec_lo
	s_delay_alu instid0(VALU_DEP_2)
	v_cmpx_gt_u32_e32 0x43800000, v3
	s_cbranch_execz .LBB201_758
; %bb.753:
	v_cmp_lt_u32_e32 vcc_lo, 0x3bffffff, v3
	s_mov_b32 s23, 0
                                        ; implicit-def: $vgpr3
	s_and_saveexec_b32 s41, vcc_lo
	s_delay_alu instid0(SALU_CYCLE_1)
	s_xor_b32 s41, exec_lo, s41
	s_cbranch_execz .LBB201_832
; %bb.754:
	v_bfe_u32 v3, v2, 20, 1
	s_mov_b32 s23, exec_lo
	s_delay_alu instid0(VALU_DEP_1) | instskip(NEXT) | instid1(VALU_DEP_1)
	v_add3_u32 v3, v2, v3, 0x487ffff
	v_lshrrev_b32_e32 v3, 20, v3
	s_or_saveexec_b32 s41, s41
                                        ; implicit-def: $sgpr42
	s_delay_alu instid0(SALU_CYCLE_1)
	s_xor_b32 exec_lo, exec_lo, s41
	s_cbranch_execnz .LBB201_833
.LBB201_755:
	s_or_b32 exec_lo, exec_lo, s41
	v_mov_b32_e32 v7, s42
	s_and_saveexec_b32 s41, s23
.LBB201_756:
	v_lshrrev_b32_e32 v7, 24, v2
	s_delay_alu instid0(VALU_DEP_1)
	v_and_or_b32 v7, 0x80, v7, v3
.LBB201_757:
	s_or_b32 exec_lo, exec_lo, s41
.LBB201_758:
	s_delay_alu instid0(SALU_CYCLE_1)
	s_or_b32 exec_lo, exec_lo, s22
	global_store_b8 v[0:1], v7, off
.LBB201_759:
	s_mov_b32 s22, -1
.LBB201_760:
	s_mov_b32 s23, 0
.LBB201_761:
	s_delay_alu instid0(SALU_CYCLE_1)
	s_and_b32 vcc_lo, exec_lo, s23
	s_cbranch_vccz .LBB201_802
; %bb.762:
	v_cmp_lt_i16_e32 vcc_lo, 22, v6
	s_mov_b32 s23, -1
	s_cbranch_vccz .LBB201_794
; %bb.763:
	v_cmp_gt_i16_e32 vcc_lo, 24, v6
	s_mov_b32 s22, -1
	s_cbranch_vccnz .LBB201_783
; %bb.764:
	v_cmp_lt_i16_e32 vcc_lo, 24, v6
	s_cbranch_vccz .LBB201_772
; %bb.765:
	v_and_b32_e32 v3, 0x7fffffff, v2
	v_mov_b32_e32 v7, 0x80
	s_mov_b32 s22, exec_lo
	s_delay_alu instid0(VALU_DEP_2)
	v_cmpx_gt_u32_e32 0x47800000, v3
	s_cbranch_execz .LBB201_771
; %bb.766:
	v_cmp_lt_u32_e32 vcc_lo, 0x37ffffff, v3
	s_mov_b32 s23, 0
                                        ; implicit-def: $vgpr3
	s_and_saveexec_b32 s41, vcc_lo
	s_delay_alu instid0(SALU_CYCLE_1)
	s_xor_b32 s41, exec_lo, s41
	s_cbranch_execz .LBB201_835
; %bb.767:
	v_bfe_u32 v3, v2, 21, 1
	s_mov_b32 s23, exec_lo
	s_delay_alu instid0(VALU_DEP_1) | instskip(NEXT) | instid1(VALU_DEP_1)
	v_add3_u32 v3, v2, v3, 0x88fffff
	v_lshrrev_b32_e32 v3, 21, v3
	s_or_saveexec_b32 s41, s41
                                        ; implicit-def: $sgpr42
	s_delay_alu instid0(SALU_CYCLE_1)
	s_xor_b32 exec_lo, exec_lo, s41
	s_cbranch_execnz .LBB201_836
.LBB201_768:
	s_or_b32 exec_lo, exec_lo, s41
	v_mov_b32_e32 v7, s42
	s_and_saveexec_b32 s41, s23
.LBB201_769:
	v_lshrrev_b32_e32 v7, 24, v2
	s_delay_alu instid0(VALU_DEP_1)
	v_and_or_b32 v7, 0x80, v7, v3
.LBB201_770:
	s_or_b32 exec_lo, exec_lo, s41
.LBB201_771:
	s_delay_alu instid0(SALU_CYCLE_1)
	s_or_b32 exec_lo, exec_lo, s22
	s_mov_b32 s22, 0
	global_store_b8 v[0:1], v7, off
.LBB201_772:
	s_and_b32 vcc_lo, exec_lo, s22
	s_cbranch_vccz .LBB201_782
; %bb.773:
	v_and_b32_e32 v7, 0x7fffffff, v2
	s_mov_b32 s22, exec_lo
                                        ; implicit-def: $vgpr3
	s_delay_alu instid0(VALU_DEP_1)
	v_cmpx_gt_u32_e32 0x43f00000, v7
	s_xor_b32 s22, exec_lo, s22
	s_cbranch_execz .LBB201_779
; %bb.774:
	s_mov_b32 s23, exec_lo
                                        ; implicit-def: $vgpr3
	v_cmpx_lt_u32_e32 0x3c7fffff, v7
	s_xor_b32 s23, exec_lo, s23
; %bb.775:
	v_bfe_u32 v3, v2, 20, 1
	s_delay_alu instid0(VALU_DEP_1) | instskip(NEXT) | instid1(VALU_DEP_1)
	v_add3_u32 v3, v2, v3, 0x407ffff
	v_and_b32_e32 v7, 0xff00000, v3
	v_lshrrev_b32_e32 v3, 20, v3
	s_delay_alu instid0(VALU_DEP_2) | instskip(NEXT) | instid1(VALU_DEP_2)
	v_cmp_ne_u32_e32 vcc_lo, 0x7f00000, v7
	v_cndmask_b32_e32 v3, 0x7e, v3, vcc_lo
; %bb.776:
	s_and_not1_saveexec_b32 s23, s23
; %bb.777:
	v_add_f32_e64 v3, 0x46800000, |v2|
; %bb.778:
	s_or_b32 exec_lo, exec_lo, s23
                                        ; implicit-def: $vgpr7
.LBB201_779:
	s_and_not1_saveexec_b32 s22, s22
; %bb.780:
	v_mov_b32_e32 v3, 0x7f
	v_cmp_lt_u32_e32 vcc_lo, 0x7f800000, v7
	s_delay_alu instid0(VALU_DEP_2)
	v_cndmask_b32_e32 v3, 0x7e, v3, vcc_lo
; %bb.781:
	s_or_b32 exec_lo, exec_lo, s22
	v_lshrrev_b32_e32 v7, 24, v2
	s_delay_alu instid0(VALU_DEP_1)
	v_and_or_b32 v3, 0x80, v7, v3
	global_store_b8 v[0:1], v3, off
.LBB201_782:
	s_mov_b32 s22, 0
.LBB201_783:
	s_delay_alu instid0(SALU_CYCLE_1)
	s_and_not1_b32 vcc_lo, exec_lo, s22
	s_cbranch_vccnz .LBB201_793
; %bb.784:
	v_and_b32_e32 v7, 0x7fffffff, v2
	s_mov_b32 s22, exec_lo
                                        ; implicit-def: $vgpr3
	s_delay_alu instid0(VALU_DEP_1)
	v_cmpx_gt_u32_e32 0x47800000, v7
	s_xor_b32 s22, exec_lo, s22
	s_cbranch_execz .LBB201_790
; %bb.785:
	s_mov_b32 s23, exec_lo
                                        ; implicit-def: $vgpr3
	v_cmpx_lt_u32_e32 0x387fffff, v7
	s_xor_b32 s23, exec_lo, s23
; %bb.786:
	v_bfe_u32 v3, v2, 21, 1
	s_delay_alu instid0(VALU_DEP_1) | instskip(NEXT) | instid1(VALU_DEP_1)
	v_add3_u32 v3, v2, v3, 0x80fffff
	v_lshrrev_b32_e32 v3, 21, v3
; %bb.787:
	s_and_not1_saveexec_b32 s23, s23
; %bb.788:
	v_add_f32_e64 v3, 0x43000000, |v2|
; %bb.789:
	s_or_b32 exec_lo, exec_lo, s23
                                        ; implicit-def: $vgpr7
.LBB201_790:
	s_and_not1_saveexec_b32 s22, s22
; %bb.791:
	v_mov_b32_e32 v3, 0x7f
	v_cmp_lt_u32_e32 vcc_lo, 0x7f800000, v7
	s_delay_alu instid0(VALU_DEP_2)
	v_cndmask_b32_e32 v3, 0x7c, v3, vcc_lo
; %bb.792:
	s_or_b32 exec_lo, exec_lo, s22
	v_lshrrev_b32_e32 v7, 24, v2
	s_delay_alu instid0(VALU_DEP_1)
	v_and_or_b32 v3, 0x80, v7, v3
	global_store_b8 v[0:1], v3, off
.LBB201_793:
	s_mov_b32 s23, 0
	s_mov_b32 s22, -1
.LBB201_794:
	s_and_not1_b32 vcc_lo, exec_lo, s23
	s_cbranch_vccnz .LBB201_802
; %bb.795:
	v_cmp_lt_i16_e32 vcc_lo, 14, v6
	s_mov_b32 s23, -1
	s_cbranch_vccz .LBB201_799
; %bb.796:
	v_cmp_eq_u16_e32 vcc_lo, 15, v6
	s_mov_b32 s2, -1
	s_cbranch_vccz .LBB201_798
; %bb.797:
	v_bfe_u32 v3, v2, 16, 1
	v_cmp_o_f32_e32 vcc_lo, v2, v2
	s_mov_b32 s22, -1
	s_mov_b32 s2, 0
	s_delay_alu instid0(VALU_DEP_2) | instskip(NEXT) | instid1(VALU_DEP_1)
	v_add3_u32 v3, v2, v3, 0x7fff
	v_lshrrev_b32_e32 v3, 16, v3
	s_delay_alu instid0(VALU_DEP_1)
	v_cndmask_b32_e32 v3, 0x7fc0, v3, vcc_lo
	global_store_b16 v[0:1], v3, off
.LBB201_798:
	s_mov_b32 s23, 0
.LBB201_799:
	s_delay_alu instid0(SALU_CYCLE_1)
	s_and_b32 vcc_lo, exec_lo, s23
	s_cbranch_vccz .LBB201_802
; %bb.800:
	v_cmp_eq_u16_e32 vcc_lo, 11, v6
	s_mov_b32 s2, -1
	s_cbranch_vccz .LBB201_802
; %bb.801:
	v_cmp_neq_f32_e32 vcc_lo, 0, v2
	s_mov_b32 s2, 0
	s_mov_b32 s22, -1
	v_cndmask_b32_e64 v3, 0, 1, vcc_lo
	global_store_b8 v[0:1], v3, off
.LBB201_802:
.LBB201_803:
	s_and_not1_b32 vcc_lo, exec_lo, s22
	s_cbranch_vccnz .LBB201_728
.LBB201_804:
	v_add_nc_u32_e32 v8, 0x80, v8
	s_mov_b32 s41, -1
.LBB201_805:
	s_and_not1_b32 s22, s38, exec_lo
	s_and_b32 s2, s2, exec_lo
	s_and_not1_b32 s42, s37, exec_lo
	s_and_b32 s3, s3, exec_lo
	s_or_b32 s23, s22, s2
	s_or_b32 s22, s42, s3
	s_or_not1_b32 s42, s41, exec_lo
.LBB201_806:
	s_or_b32 exec_lo, exec_lo, s40
	s_mov_b32 s2, 0
	s_mov_b32 s3, 0
	s_mov_b32 s41, 0
                                        ; implicit-def: $vgpr1_vgpr2
                                        ; implicit-def: $vgpr0
                                        ; implicit-def: $vgpr6
	s_and_saveexec_b32 s40, s42
	s_cbranch_execz .LBB201_904
; %bb.807:
	v_cmp_gt_i32_e32 vcc_lo, s30, v8
	s_mov_b32 s43, s22
	s_mov_b32 s42, 0
                                        ; implicit-def: $vgpr1_vgpr2
                                        ; implicit-def: $vgpr0
                                        ; implicit-def: $vgpr6
	s_and_saveexec_b32 s30, vcc_lo
	s_cbranch_execz .LBB201_903
; %bb.808:
	s_and_not1_b32 vcc_lo, exec_lo, s27
	s_cbranch_vccnz .LBB201_813
; %bb.809:
	v_dual_mov_b32 v0, 0 :: v_dual_mov_b32 v1, 0
	s_and_not1_b32 vcc_lo, exec_lo, s33
	s_mov_b32 s33, 0
	s_cbranch_vccnz .LBB201_818
; %bb.810:
	v_mov_b32_e32 v0, 0
	s_add_i32 s41, s31, 1
	s_cmp_eq_u32 s25, 2
	s_mov_b32 s31, 0
	s_cbranch_scc1 .LBB201_814
; %bb.811:
	v_dual_mov_b32 v1, 0 :: v_dual_mov_b32 v0, 0
	v_mov_b32_e32 v2, v8
	s_and_b32 s31, s41, 28
	s_mov_b64 s[2:3], s[16:17]
.LBB201_812:                            ; =>This Inner Loop Header: Depth=1
	s_clause 0x1
	s_load_b256 s[44:51], s[2:3], 0x4
	s_load_b128 s[60:63], s[2:3], 0x24
	s_load_b256 s[52:59], s[20:21], 0x0
	s_add_u32 s2, s2, 48
	s_addc_u32 s3, s3, 0
	s_add_i32 s42, s42, 4
	s_add_u32 s20, s20, 32
	s_addc_u32 s21, s21, 0
	s_cmp_eq_u32 s31, s42
	s_waitcnt vmcnt(0) lgkmcnt(0)
	v_mul_hi_u32 v3, s45, v2
	s_delay_alu instid0(VALU_DEP_1) | instskip(NEXT) | instid1(VALU_DEP_1)
	v_add_nc_u32_e32 v3, v2, v3
	v_lshrrev_b32_e32 v3, s46, v3
	s_delay_alu instid0(VALU_DEP_1) | instskip(SKIP_1) | instid1(VALU_DEP_2)
	v_mul_hi_u32 v6, s48, v3
	v_mul_lo_u32 v9, v3, s44
	v_add_nc_u32_e32 v6, v3, v6
	s_delay_alu instid0(VALU_DEP_2) | instskip(NEXT) | instid1(VALU_DEP_2)
	v_sub_nc_u32_e32 v2, v2, v9
	v_lshrrev_b32_e32 v6, s49, v6
	s_delay_alu instid0(VALU_DEP_2) | instskip(SKIP_1) | instid1(VALU_DEP_3)
	v_mul_lo_u32 v9, v2, s52
	v_mul_lo_u32 v11, v2, s53
	v_mul_hi_u32 v7, s51, v6
	s_delay_alu instid0(VALU_DEP_1) | instskip(NEXT) | instid1(VALU_DEP_1)
	v_add_nc_u32_e32 v7, v6, v7
	v_lshrrev_b32_e32 v7, s60, v7
	s_delay_alu instid0(VALU_DEP_1) | instskip(SKIP_1) | instid1(VALU_DEP_2)
	v_mul_hi_u32 v10, s62, v7
	v_mul_lo_u32 v12, v7, s50
	v_add_nc_u32_e32 v2, v7, v10
	v_mul_lo_u32 v10, v6, s47
	s_delay_alu instid0(VALU_DEP_3) | instskip(NEXT) | instid1(VALU_DEP_3)
	v_sub_nc_u32_e32 v6, v6, v12
	v_lshrrev_b32_e32 v2, s63, v2
	s_delay_alu instid0(VALU_DEP_2) | instskip(SKIP_2) | instid1(VALU_DEP_4)
	v_mul_lo_u32 v12, v6, s56
	v_mul_lo_u32 v6, v6, s57
	v_sub_nc_u32_e32 v3, v3, v10
	v_mul_lo_u32 v13, v2, s61
	s_delay_alu instid0(VALU_DEP_2) | instskip(SKIP_1) | instid1(VALU_DEP_3)
	v_mul_lo_u32 v10, v3, s54
	v_mul_lo_u32 v3, v3, s55
	v_sub_nc_u32_e32 v7, v7, v13
	s_delay_alu instid0(VALU_DEP_3) | instskip(NEXT) | instid1(VALU_DEP_2)
	v_add3_u32 v0, v9, v0, v10
	v_mul_lo_u32 v13, v7, s58
	v_mul_lo_u32 v7, v7, s59
	v_add3_u32 v1, v11, v1, v3
	s_delay_alu instid0(VALU_DEP_3) | instskip(NEXT) | instid1(VALU_DEP_2)
	v_add3_u32 v0, v12, v0, v13
	v_add3_u32 v1, v6, v1, v7
	s_cbranch_scc0 .LBB201_812
	s_branch .LBB201_815
.LBB201_813:
	s_mov_b32 s33, -1
                                        ; implicit-def: $vgpr0
                                        ; implicit-def: $vgpr1
	s_branch .LBB201_818
.LBB201_814:
	v_dual_mov_b32 v2, v8 :: v_dual_mov_b32 v1, 0
.LBB201_815:
	s_and_b32 s41, s41, 3
	s_delay_alu instid0(SALU_CYCLE_1)
	s_cmp_eq_u32 s41, 0
	s_cbranch_scc1 .LBB201_818
; %bb.816:
	s_lshl_b32 s2, s31, 3
	s_mul_i32 s20, s31, 12
	s_add_u32 s2, s2, s16
	s_addc_u32 s3, s17, 0
	s_add_u32 s2, s2, 0xc4
	s_addc_u32 s3, s3, 0
	;; [unrolled: 2-line block ×3, first 2 shown]
.LBB201_817:                            ; =>This Inner Loop Header: Depth=1
	s_clause 0x1
	s_load_b64 s[42:43], s[20:21], 0x4
	s_load_b32 s31, s[20:21], 0xc
	s_load_b64 s[44:45], s[2:3], 0x0
	s_add_u32 s20, s20, 12
	s_addc_u32 s21, s21, 0
	s_add_u32 s2, s2, 8
	s_addc_u32 s3, s3, 0
	s_add_i32 s41, s41, -1
	s_delay_alu instid0(SALU_CYCLE_1) | instskip(SKIP_2) | instid1(VALU_DEP_1)
	s_cmp_lg_u32 s41, 0
	s_waitcnt vmcnt(0) lgkmcnt(0)
	v_mul_hi_u32 v3, s43, v2
	v_add_nc_u32_e32 v3, v2, v3
	s_delay_alu instid0(VALU_DEP_1) | instskip(NEXT) | instid1(VALU_DEP_1)
	v_lshrrev_b32_e32 v3, s31, v3
	v_mul_lo_u32 v6, v3, s42
	s_delay_alu instid0(VALU_DEP_1) | instskip(NEXT) | instid1(VALU_DEP_1)
	v_sub_nc_u32_e32 v2, v2, v6
	v_mad_u64_u32 v[6:7], null, v2, s44, v[0:1]
	v_mad_u64_u32 v[9:10], null, v2, s45, v[1:2]
	v_mov_b32_e32 v2, v3
	s_delay_alu instid0(VALU_DEP_2)
	v_dual_mov_b32 v0, v6 :: v_dual_mov_b32 v1, v9
	s_cbranch_scc1 .LBB201_817
.LBB201_818:
	s_and_not1_b32 vcc_lo, exec_lo, s33
	s_cbranch_vccnz .LBB201_821
; %bb.819:
	s_waitcnt lgkmcnt(0)
	v_mul_hi_u32 v0, s13, v8
	s_and_not1_b32 vcc_lo, exec_lo, s29
	s_delay_alu instid0(VALU_DEP_1) | instskip(NEXT) | instid1(VALU_DEP_1)
	v_add_nc_u32_e32 v0, v8, v0
	v_lshrrev_b32_e32 v2, s14, v0
	s_delay_alu instid0(VALU_DEP_1) | instskip(NEXT) | instid1(VALU_DEP_1)
	v_mul_lo_u32 v0, v2, s12
	v_sub_nc_u32_e32 v1, v8, v0
	s_delay_alu instid0(VALU_DEP_1)
	v_mul_lo_u32 v0, v1, s8
	v_mul_lo_u32 v1, v1, s9
	s_cbranch_vccnz .LBB201_821
; %bb.820:
	s_waitcnt vmcnt(0)
	v_mul_hi_u32 v3, s18, v2
	s_delay_alu instid0(VALU_DEP_1) | instskip(NEXT) | instid1(VALU_DEP_1)
	v_add_nc_u32_e32 v3, v2, v3
	v_lshrrev_b32_e32 v3, s19, v3
	s_delay_alu instid0(VALU_DEP_1) | instskip(NEXT) | instid1(VALU_DEP_1)
	v_mul_lo_u32 v3, v3, s15
	v_sub_nc_u32_e32 v8, v2, v3
	s_delay_alu instid0(VALU_DEP_1) | instskip(NEXT) | instid1(VALU_DEP_1)
	v_mad_u64_u32 v[2:3], null, v8, s10, v[0:1]
	v_mad_u64_u32 v[6:7], null, v8, s11, v[1:2]
	v_mov_b32_e32 v0, v2
	s_delay_alu instid0(VALU_DEP_2)
	v_mov_b32_e32 v1, v6
.LBB201_821:
	v_cmp_gt_i16_e32 vcc_lo, 11, v5
	s_waitcnt lgkmcnt(0)
	s_delay_alu instid0(VALU_DEP_2) | instskip(NEXT) | instid1(VALU_DEP_1)
	v_add_co_u32 v1, s2, s6, v1
	v_add_co_ci_u32_e64 v2, null, s7, 0, s2
	s_mov_b32 s6, 0
	s_cbranch_vccnz .LBB201_828
; %bb.822:
	v_cmp_lt_i16_e32 vcc_lo, 25, v5
	s_mov_b32 s3, 0
	s_cbranch_vccz .LBB201_829
; %bb.823:
	v_cmp_lt_i16_e32 vcc_lo, 28, v5
	s_cbranch_vccz .LBB201_830
; %bb.824:
	v_cmp_lt_i16_e32 vcc_lo, 43, v5
	;; [unrolled: 3-line block ×3, first 2 shown]
	s_cbranch_vccz .LBB201_834
; %bb.826:
	v_cmp_eq_u16_e32 vcc_lo, 46, v5
	s_mov_b32 s7, 0
	s_cbranch_vccz .LBB201_837
; %bb.827:
	global_load_b32 v3, v[1:2], off
	s_mov_b32 s2, 0
	s_mov_b32 s6, -1
	s_waitcnt vmcnt(0)
	v_lshlrev_b32_e32 v6, 16, v3
	s_branch .LBB201_839
.LBB201_828:
	s_mov_b32 s7, -1
	s_mov_b32 s3, 0
	s_mov_b32 s2, s22
                                        ; implicit-def: $vgpr6
	s_branch .LBB201_902
.LBB201_829:
	s_mov_b32 s7, -1
	s_mov_b32 s2, s22
                                        ; implicit-def: $vgpr6
	s_branch .LBB201_868
.LBB201_830:
	s_mov_b32 s7, -1
	s_mov_b32 s2, s22
                                        ; implicit-def: $vgpr6
	s_branch .LBB201_849
.LBB201_831:
	s_mov_b32 s7, -1
	s_mov_b32 s2, s22
                                        ; implicit-def: $vgpr6
	s_branch .LBB201_844
.LBB201_832:
	s_or_saveexec_b32 s41, s41
                                        ; implicit-def: $sgpr42
	s_delay_alu instid0(SALU_CYCLE_1)
	s_xor_b32 exec_lo, exec_lo, s41
	s_cbranch_execz .LBB201_755
.LBB201_833:
	v_add_f32_e64 v3, 0x46000000, |v2|
	s_and_not1_b32 s23, s23, exec_lo
	s_mov_b32 s42, 0
	s_delay_alu instid0(VALU_DEP_1) | instskip(NEXT) | instid1(VALU_DEP_1)
	v_and_b32_e32 v3, 0xff, v3
	v_cmp_ne_u32_e32 vcc_lo, 0, v3
	s_and_b32 s43, vcc_lo, exec_lo
	s_delay_alu instid0(SALU_CYCLE_1)
	s_or_b32 s23, s23, s43
	s_or_b32 exec_lo, exec_lo, s41
	v_mov_b32_e32 v7, s42
	s_and_saveexec_b32 s41, s23
	s_cbranch_execnz .LBB201_756
	s_branch .LBB201_757
.LBB201_834:
	s_mov_b32 s7, -1
	s_mov_b32 s2, s22
	s_branch .LBB201_838
.LBB201_835:
	s_or_saveexec_b32 s41, s41
                                        ; implicit-def: $sgpr42
	s_delay_alu instid0(SALU_CYCLE_1)
	s_xor_b32 exec_lo, exec_lo, s41
	s_cbranch_execz .LBB201_768
.LBB201_836:
	v_add_f32_e64 v3, 0x42800000, |v2|
	s_and_not1_b32 s23, s23, exec_lo
	s_mov_b32 s42, 0
	s_delay_alu instid0(VALU_DEP_1) | instskip(NEXT) | instid1(VALU_DEP_1)
	v_and_b32_e32 v3, 0xff, v3
	v_cmp_ne_u32_e32 vcc_lo, 0, v3
	s_and_b32 s43, vcc_lo, exec_lo
	s_delay_alu instid0(SALU_CYCLE_1)
	s_or_b32 s23, s23, s43
	s_or_b32 exec_lo, exec_lo, s41
	v_mov_b32_e32 v7, s42
	s_and_saveexec_b32 s41, s23
	s_cbranch_execnz .LBB201_769
	s_branch .LBB201_770
.LBB201_837:
	s_mov_b32 s2, -1
.LBB201_838:
                                        ; implicit-def: $vgpr6
.LBB201_839:
	s_and_b32 vcc_lo, exec_lo, s7
	s_cbranch_vccz .LBB201_843
; %bb.840:
	v_cmp_eq_u16_e32 vcc_lo, 44, v5
	s_cbranch_vccz .LBB201_842
; %bb.841:
	global_load_u8 v3, v[1:2], off
	s_mov_b32 s2, 0
	s_mov_b32 s6, -1
	s_waitcnt vmcnt(0)
	v_lshlrev_b32_e32 v6, 23, v3
	v_cmp_ne_u32_e32 vcc_lo, 0xff, v3
	s_delay_alu instid0(VALU_DEP_2) | instskip(SKIP_1) | instid1(VALU_DEP_2)
	v_cndmask_b32_e32 v6, 0x7f800001, v6, vcc_lo
	v_cmp_ne_u32_e32 vcc_lo, 0, v3
	v_cndmask_b32_e32 v6, 0x400000, v6, vcc_lo
	s_branch .LBB201_843
.LBB201_842:
	s_mov_b32 s2, -1
                                        ; implicit-def: $vgpr6
.LBB201_843:
	s_mov_b32 s7, 0
.LBB201_844:
	s_delay_alu instid0(SALU_CYCLE_1)
	s_and_b32 vcc_lo, exec_lo, s7
	s_cbranch_vccz .LBB201_848
; %bb.845:
	v_cmp_eq_u16_e32 vcc_lo, 29, v5
	s_cbranch_vccz .LBB201_847
; %bb.846:
	global_load_b64 v[6:7], v[1:2], off
	s_mov_b32 s2, 0
	s_mov_b32 s6, -1
	s_mov_b32 s7, 0
	s_waitcnt vmcnt(0)
	v_clz_i32_u32_e32 v3, v7
	s_delay_alu instid0(VALU_DEP_1) | instskip(NEXT) | instid1(VALU_DEP_1)
	v_min_u32_e32 v3, 32, v3
	v_lshlrev_b64 v[6:7], v3, v[6:7]
	v_sub_nc_u32_e32 v3, 32, v3
	s_delay_alu instid0(VALU_DEP_2) | instskip(NEXT) | instid1(VALU_DEP_1)
	v_min_u32_e32 v6, 1, v6
	v_or_b32_e32 v6, v7, v6
	s_delay_alu instid0(VALU_DEP_1) | instskip(NEXT) | instid1(VALU_DEP_1)
	v_cvt_f32_u32_e32 v6, v6
	v_ldexp_f32 v6, v6, v3
	s_branch .LBB201_849
.LBB201_847:
	s_mov_b32 s2, -1
                                        ; implicit-def: $vgpr6
.LBB201_848:
	s_mov_b32 s7, 0
.LBB201_849:
	s_delay_alu instid0(SALU_CYCLE_1)
	s_and_b32 vcc_lo, exec_lo, s7
	s_cbranch_vccz .LBB201_867
; %bb.850:
	v_cmp_gt_i16_e32 vcc_lo, 27, v5
	s_cbranch_vccnz .LBB201_853
; %bb.851:
	v_cmp_lt_i16_e32 vcc_lo, 27, v5
	s_cbranch_vccz .LBB201_854
; %bb.852:
	global_load_b32 v3, v[1:2], off
	s_mov_b32 s6, 0
	s_waitcnt vmcnt(0)
	v_cvt_f32_u32_e32 v6, v3
	s_branch .LBB201_855
.LBB201_853:
	s_mov_b32 s6, -1
                                        ; implicit-def: $vgpr6
	s_branch .LBB201_858
.LBB201_854:
	s_mov_b32 s6, -1
                                        ; implicit-def: $vgpr6
.LBB201_855:
	s_delay_alu instid0(SALU_CYCLE_1)
	s_and_not1_b32 vcc_lo, exec_lo, s6
	s_cbranch_vccnz .LBB201_857
; %bb.856:
	global_load_u16 v3, v[1:2], off
	s_waitcnt vmcnt(0)
	v_cvt_f32_u32_e32 v6, v3
.LBB201_857:
	s_mov_b32 s6, 0
.LBB201_858:
	s_delay_alu instid0(SALU_CYCLE_1)
	s_and_not1_b32 vcc_lo, exec_lo, s6
	s_cbranch_vccnz .LBB201_866
; %bb.859:
	global_load_u8 v3, v[1:2], off
	s_mov_b32 s6, 0
	s_mov_b32 s8, exec_lo
                                        ; implicit-def: $sgpr7
	s_waitcnt vmcnt(0)
	v_cmpx_lt_i16_e32 0x7f, v3
	s_xor_b32 s8, exec_lo, s8
	s_cbranch_execz .LBB201_880
; %bb.860:
	s_mov_b32 s6, -1
	s_mov_b32 s9, exec_lo
                                        ; implicit-def: $sgpr7
	v_cmpx_eq_u16_e32 0x80, v3
; %bb.861:
	s_mov_b32 s7, 0x7f800001
	s_xor_b32 s6, exec_lo, -1
; %bb.862:
	s_or_b32 exec_lo, exec_lo, s9
	s_delay_alu instid0(SALU_CYCLE_1)
	s_and_b32 s6, s6, exec_lo
	s_or_saveexec_b32 s8, s8
	v_mov_b32_e32 v6, s7
	s_xor_b32 exec_lo, exec_lo, s8
	s_cbranch_execnz .LBB201_881
.LBB201_863:
	s_or_b32 exec_lo, exec_lo, s8
	s_and_saveexec_b32 s7, s6
	s_cbranch_execz .LBB201_865
.LBB201_864:
	v_and_b32_e32 v6, 0xffff, v3
	v_lshlrev_b32_e32 v3, 24, v3
	s_delay_alu instid0(VALU_DEP_2) | instskip(NEXT) | instid1(VALU_DEP_2)
	v_and_b32_e32 v7, 7, v6
	v_and_b32_e32 v3, 0x80000000, v3
	s_delay_alu instid0(VALU_DEP_2) | instskip(NEXT) | instid1(VALU_DEP_1)
	v_clz_i32_u32_e32 v8, v7
	v_min_u32_e32 v8, 32, v8
	s_delay_alu instid0(VALU_DEP_1) | instskip(SKIP_1) | instid1(VALU_DEP_2)
	v_subrev_nc_u32_e32 v9, 28, v8
	v_sub_nc_u32_e32 v8, 29, v8
	v_lshlrev_b32_e32 v9, v9, v6
	v_bfe_u32 v6, v6, 3, 4
	s_delay_alu instid0(VALU_DEP_2) | instskip(NEXT) | instid1(VALU_DEP_2)
	v_and_b32_e32 v9, 7, v9
	v_cmp_eq_u32_e32 vcc_lo, 0, v6
	s_delay_alu instid0(VALU_DEP_2) | instskip(NEXT) | instid1(VALU_DEP_1)
	v_dual_cndmask_b32 v6, v6, v8 :: v_dual_cndmask_b32 v7, v7, v9
	v_lshl_add_u32 v6, v6, 23, 0x3b800000
	s_delay_alu instid0(VALU_DEP_2) | instskip(NEXT) | instid1(VALU_DEP_1)
	v_lshlrev_b32_e32 v7, 20, v7
	v_or3_b32 v6, v3, v6, v7
.LBB201_865:
	s_or_b32 exec_lo, exec_lo, s7
.LBB201_866:
	s_mov_b32 s6, -1
.LBB201_867:
	s_mov_b32 s7, 0
.LBB201_868:
	s_delay_alu instid0(SALU_CYCLE_1)
	s_and_b32 vcc_lo, exec_lo, s7
	s_cbranch_vccz .LBB201_901
; %bb.869:
	v_cmp_lt_i16_e32 vcc_lo, 22, v5
	s_cbranch_vccz .LBB201_879
; %bb.870:
	v_cmp_gt_i16_e32 vcc_lo, 24, v5
	s_cbranch_vccnz .LBB201_882
; %bb.871:
	v_cmp_lt_i16_e32 vcc_lo, 24, v5
	s_cbranch_vccz .LBB201_883
; %bb.872:
	global_load_u8 v3, v[1:2], off
	s_mov_b32 s7, exec_lo
                                        ; implicit-def: $sgpr6
	s_waitcnt vmcnt(0)
	v_cmpx_lt_i16_e32 0x7f, v3
	s_xor_b32 s7, exec_lo, s7
	s_cbranch_execz .LBB201_895
; %bb.873:
	s_mov_b32 s3, -1
	s_mov_b32 s8, exec_lo
                                        ; implicit-def: $sgpr6
	v_cmpx_eq_u16_e32 0x80, v3
; %bb.874:
	s_mov_b32 s6, 0x7f800001
	s_xor_b32 s3, exec_lo, -1
; %bb.875:
	s_or_b32 exec_lo, exec_lo, s8
	s_delay_alu instid0(SALU_CYCLE_1)
	s_and_b32 s3, s3, exec_lo
	s_or_saveexec_b32 s7, s7
	v_mov_b32_e32 v6, s6
	s_xor_b32 exec_lo, exec_lo, s7
	s_cbranch_execnz .LBB201_896
.LBB201_876:
	s_or_b32 exec_lo, exec_lo, s7
	s_and_saveexec_b32 s6, s3
	s_cbranch_execz .LBB201_878
.LBB201_877:
	v_and_b32_e32 v6, 0xffff, v3
	v_lshlrev_b32_e32 v3, 24, v3
	s_delay_alu instid0(VALU_DEP_2) | instskip(NEXT) | instid1(VALU_DEP_2)
	v_and_b32_e32 v7, 3, v6
	v_and_b32_e32 v3, 0x80000000, v3
	s_delay_alu instid0(VALU_DEP_2) | instskip(NEXT) | instid1(VALU_DEP_1)
	v_clz_i32_u32_e32 v8, v7
	v_min_u32_e32 v8, 32, v8
	s_delay_alu instid0(VALU_DEP_1) | instskip(SKIP_1) | instid1(VALU_DEP_2)
	v_subrev_nc_u32_e32 v9, 29, v8
	v_sub_nc_u32_e32 v8, 30, v8
	v_lshlrev_b32_e32 v9, v9, v6
	v_bfe_u32 v6, v6, 2, 5
	s_delay_alu instid0(VALU_DEP_2) | instskip(NEXT) | instid1(VALU_DEP_2)
	v_and_b32_e32 v9, 3, v9
	v_cmp_eq_u32_e32 vcc_lo, 0, v6
	s_delay_alu instid0(VALU_DEP_2) | instskip(NEXT) | instid1(VALU_DEP_1)
	v_dual_cndmask_b32 v6, v6, v8 :: v_dual_cndmask_b32 v7, v7, v9
	v_lshl_add_u32 v6, v6, 23, 0x37800000
	s_delay_alu instid0(VALU_DEP_2) | instskip(NEXT) | instid1(VALU_DEP_1)
	v_lshlrev_b32_e32 v7, 21, v7
	v_or3_b32 v6, v3, v6, v7
.LBB201_878:
	s_or_b32 exec_lo, exec_lo, s6
	s_mov_b32 s3, 0
	s_branch .LBB201_884
.LBB201_879:
	s_mov_b32 s3, -1
                                        ; implicit-def: $vgpr6
	s_branch .LBB201_890
.LBB201_880:
	s_or_saveexec_b32 s8, s8
	v_mov_b32_e32 v6, s7
	s_xor_b32 exec_lo, exec_lo, s8
	s_cbranch_execz .LBB201_863
.LBB201_881:
	v_cmp_ne_u16_e32 vcc_lo, 0, v3
	v_mov_b32_e32 v6, 0
	s_and_not1_b32 s6, s6, exec_lo
	s_and_b32 s7, vcc_lo, exec_lo
	s_delay_alu instid0(SALU_CYCLE_1)
	s_or_b32 s6, s6, s7
	s_or_b32 exec_lo, exec_lo, s8
	s_and_saveexec_b32 s7, s6
	s_cbranch_execnz .LBB201_864
	s_branch .LBB201_865
.LBB201_882:
	s_mov_b32 s3, -1
                                        ; implicit-def: $vgpr6
	s_branch .LBB201_887
.LBB201_883:
	s_mov_b32 s3, -1
                                        ; implicit-def: $vgpr6
.LBB201_884:
	s_delay_alu instid0(SALU_CYCLE_1)
	s_and_b32 vcc_lo, exec_lo, s3
	s_cbranch_vccz .LBB201_886
; %bb.885:
	global_load_u8 v3, v[1:2], off
	s_waitcnt vmcnt(0)
	v_lshlrev_b32_e32 v3, 24, v3
	s_delay_alu instid0(VALU_DEP_1) | instskip(NEXT) | instid1(VALU_DEP_1)
	v_and_b32_e32 v6, 0x7f000000, v3
	v_clz_i32_u32_e32 v7, v6
	v_cmp_ne_u32_e32 vcc_lo, 0, v6
	v_add_nc_u32_e32 v9, 0x1000000, v6
	s_delay_alu instid0(VALU_DEP_3) | instskip(NEXT) | instid1(VALU_DEP_1)
	v_min_u32_e32 v7, 32, v7
	v_sub_nc_u32_e64 v7, v7, 4 clamp
	s_delay_alu instid0(VALU_DEP_1) | instskip(SKIP_1) | instid1(VALU_DEP_2)
	v_lshlrev_b32_e32 v8, v7, v6
	v_lshlrev_b32_e32 v7, 23, v7
	v_lshrrev_b32_e32 v8, 4, v8
	s_delay_alu instid0(VALU_DEP_1) | instskip(SKIP_1) | instid1(VALU_DEP_2)
	v_sub_nc_u32_e32 v7, v8, v7
	v_ashrrev_i32_e32 v8, 8, v9
	v_add_nc_u32_e32 v7, 0x3c000000, v7
	s_delay_alu instid0(VALU_DEP_1) | instskip(NEXT) | instid1(VALU_DEP_1)
	v_and_or_b32 v7, 0x7f800000, v8, v7
	v_cndmask_b32_e32 v6, 0, v7, vcc_lo
	s_delay_alu instid0(VALU_DEP_1)
	v_and_or_b32 v6, 0x80000000, v3, v6
.LBB201_886:
	s_mov_b32 s3, 0
.LBB201_887:
	s_delay_alu instid0(SALU_CYCLE_1)
	s_and_not1_b32 vcc_lo, exec_lo, s3
	s_cbranch_vccnz .LBB201_889
; %bb.888:
	global_load_u8 v3, v[1:2], off
	s_waitcnt vmcnt(0)
	v_lshlrev_b32_e32 v6, 25, v3
	v_lshlrev_b16 v3, 8, v3
	s_delay_alu instid0(VALU_DEP_2) | instskip(NEXT) | instid1(VALU_DEP_2)
	v_lshrrev_b32_e32 v7, 4, v6
	v_and_or_b32 v8, 0x7f00, v3, 0.5
	v_cmp_gt_u32_e32 vcc_lo, 0x8000000, v6
	v_bfe_i32 v3, v3, 0, 16
	s_delay_alu instid0(VALU_DEP_4) | instskip(NEXT) | instid1(VALU_DEP_1)
	v_or_b32_e32 v7, 0x70000000, v7
	v_dual_add_f32 v8, -0.5, v8 :: v_dual_mul_f32 v7, 0x7800000, v7
	s_delay_alu instid0(VALU_DEP_1) | instskip(NEXT) | instid1(VALU_DEP_1)
	v_cndmask_b32_e32 v6, v7, v8, vcc_lo
	v_and_or_b32 v6, 0x80000000, v3, v6
.LBB201_889:
	s_mov_b32 s3, 0
	s_mov_b32 s6, -1
.LBB201_890:
	s_and_not1_b32 vcc_lo, exec_lo, s3
	s_mov_b32 s3, 0
	s_cbranch_vccnz .LBB201_901
; %bb.891:
	v_cmp_lt_i16_e32 vcc_lo, 14, v5
	s_cbranch_vccz .LBB201_894
; %bb.892:
	v_cmp_eq_u16_e32 vcc_lo, 15, v5
	s_cbranch_vccz .LBB201_897
; %bb.893:
	global_load_u16 v3, v[1:2], off
	s_mov_b32 s2, 0
	s_mov_b32 s6, -1
	s_waitcnt vmcnt(0)
	v_lshlrev_b32_e32 v6, 16, v3
	s_branch .LBB201_899
.LBB201_894:
	s_mov_b32 s3, -1
	s_branch .LBB201_898
.LBB201_895:
	s_or_saveexec_b32 s7, s7
	v_mov_b32_e32 v6, s6
	s_xor_b32 exec_lo, exec_lo, s7
	s_cbranch_execz .LBB201_876
.LBB201_896:
	v_cmp_ne_u16_e32 vcc_lo, 0, v3
	v_mov_b32_e32 v6, 0
	s_and_not1_b32 s3, s3, exec_lo
	s_and_b32 s6, vcc_lo, exec_lo
	s_delay_alu instid0(SALU_CYCLE_1)
	s_or_b32 s3, s3, s6
	s_or_b32 exec_lo, exec_lo, s7
	s_and_saveexec_b32 s6, s3
	s_cbranch_execnz .LBB201_877
	s_branch .LBB201_878
.LBB201_897:
	s_mov_b32 s2, -1
.LBB201_898:
                                        ; implicit-def: $vgpr6
.LBB201_899:
	s_and_b32 vcc_lo, exec_lo, s3
	s_mov_b32 s3, 0
	s_cbranch_vccz .LBB201_901
; %bb.900:
	v_cmp_ne_u16_e32 vcc_lo, 11, v5
	s_and_not1_b32 s2, s2, exec_lo
	s_mov_b32 s3, -1
                                        ; implicit-def: $vgpr6
	s_and_b32 s7, vcc_lo, exec_lo
	s_delay_alu instid0(SALU_CYCLE_1)
	s_or_b32 s2, s2, s7
.LBB201_901:
	s_mov_b32 s7, 0
.LBB201_902:
	s_and_b32 s41, s6, exec_lo
	s_and_b32 s42, s7, exec_lo
	s_and_not1_b32 s6, s22, exec_lo
	s_and_b32 s7, s2, exec_lo
	s_and_b32 s2, s3, exec_lo
	s_or_b32 s43, s6, s7
.LBB201_903:
	s_or_b32 exec_lo, exec_lo, s30
	s_waitcnt lgkmcnt(0)
	s_and_not1_b32 s6, s22, exec_lo
	s_and_b32 s7, s43, exec_lo
	s_and_b32 s41, s41, exec_lo
	;; [unrolled: 1-line block ×4, first 2 shown]
	s_or_b32 s22, s6, s7
.LBB201_904:
	s_or_b32 exec_lo, exec_lo, s40
	s_waitcnt lgkmcnt(0)
	s_and_not1_b32 s6, s38, exec_lo
	s_and_b32 s7, s23, exec_lo
	s_and_b32 s40, s41, exec_lo
	s_or_b32 s38, s6, s7
	s_and_not1_b32 s6, s37, exec_lo
	s_and_b32 s7, s22, exec_lo
	s_and_b32 s23, s3, exec_lo
	s_and_b32 s3, s2, exec_lo
	s_or_b32 s37, s6, s7
.LBB201_905:
	s_or_b32 exec_lo, exec_lo, s39
	s_delay_alu instid0(SALU_CYCLE_1)
	s_and_not1_b32 s2, s34, exec_lo
	s_waitcnt lgkmcnt(0)
	s_and_b32 s6, s38, exec_lo
	s_and_b32 s7, s37, exec_lo
	s_or_b32 s34, s2, s6
	s_and_not1_b32 s6, s35, exec_lo
	s_and_b32 s2, s40, exec_lo
	s_and_b32 s22, s23, exec_lo
	;; [unrolled: 1-line block ×3, first 2 shown]
	s_or_b32 s35, s6, s7
.LBB201_906:
	s_or_b32 exec_lo, exec_lo, s36
	s_mov_b32 s3, 0
	s_waitcnt lgkmcnt(0)
	s_and_saveexec_b32 s6, s35
	s_cbranch_execnz .LBB201_918
; %bb.907:
	s_or_b32 exec_lo, exec_lo, s6
	s_and_saveexec_b32 s6, s37
	s_delay_alu instid0(SALU_CYCLE_1)
	s_xor_b32 s6, exec_lo, s6
	s_cbranch_execz .LBB201_909
.LBB201_908:
	global_load_u8 v3, v[1:2], off
	s_or_b32 s2, s2, exec_lo
	s_waitcnt vmcnt(0)
	v_cmp_ne_u16_e32 vcc_lo, 0, v3
	v_cndmask_b32_e64 v6, 0, 1.0, vcc_lo
.LBB201_909:
	s_or_b32 exec_lo, exec_lo, s6
	s_and_saveexec_b32 s6, s22
	s_cbranch_execz .LBB201_957
; %bb.910:
	v_cmp_gt_i16_e32 vcc_lo, 5, v5
	s_cbranch_vccnz .LBB201_915
; %bb.911:
	v_cmp_gt_i16_e32 vcc_lo, 8, v5
	s_cbranch_vccnz .LBB201_916
	;; [unrolled: 3-line block ×3, first 2 shown]
; %bb.913:
	v_cmp_lt_i16_e32 vcc_lo, 9, v5
	s_cbranch_vccz .LBB201_920
; %bb.914:
	global_load_b64 v[6:7], v[1:2], off
	s_mov_b32 s7, 0
	s_waitcnt vmcnt(0)
	v_cvt_f32_f64_e32 v6, v[6:7]
	s_branch .LBB201_921
.LBB201_915:
                                        ; implicit-def: $vgpr6
	s_branch .LBB201_938
.LBB201_916:
                                        ; implicit-def: $vgpr6
	s_branch .LBB201_927
.LBB201_917:
	s_mov_b32 s7, -1
                                        ; implicit-def: $vgpr6
	s_branch .LBB201_924
.LBB201_918:
	s_cbranch_execnz .LBB201_1188
; %bb.919:
	s_mov_b32 s3, exec_lo
	s_and_not1_b32 s37, s37, exec_lo
                                        ; implicit-def: $vgpr6
	s_or_b32 exec_lo, exec_lo, s6
	s_and_saveexec_b32 s6, s37
	s_delay_alu instid0(SALU_CYCLE_1)
	s_xor_b32 s6, exec_lo, s6
	s_cbranch_execnz .LBB201_908
	s_branch .LBB201_909
.LBB201_920:
	s_mov_b32 s7, -1
                                        ; implicit-def: $vgpr6
.LBB201_921:
	s_delay_alu instid0(SALU_CYCLE_1)
	s_and_not1_b32 vcc_lo, exec_lo, s7
	s_cbranch_vccnz .LBB201_923
; %bb.922:
	global_load_b32 v6, v[1:2], off
.LBB201_923:
	s_mov_b32 s7, 0
.LBB201_924:
	s_delay_alu instid0(SALU_CYCLE_1)
	s_and_not1_b32 vcc_lo, exec_lo, s7
	s_cbranch_vccnz .LBB201_926
; %bb.925:
	global_load_b32 v3, v[1:2], off
	s_waitcnt vmcnt(0)
	v_cvt_f32_f16_e32 v6, v3
.LBB201_926:
	s_cbranch_execnz .LBB201_937
.LBB201_927:
	v_cmp_gt_i16_e32 vcc_lo, 6, v5
	s_cbranch_vccnz .LBB201_930
; %bb.928:
	v_cmp_lt_i16_e32 vcc_lo, 6, v5
	s_cbranch_vccz .LBB201_931
; %bb.929:
	global_load_b64 v[6:7], v[1:2], off
	s_mov_b32 s7, 0
	s_waitcnt vmcnt(0)
	v_cvt_f32_f64_e32 v6, v[6:7]
	s_branch .LBB201_932
.LBB201_930:
	s_mov_b32 s7, -1
                                        ; implicit-def: $vgpr6
	s_branch .LBB201_935
.LBB201_931:
	s_mov_b32 s7, -1
                                        ; implicit-def: $vgpr6
.LBB201_932:
	s_delay_alu instid0(SALU_CYCLE_1)
	s_and_not1_b32 vcc_lo, exec_lo, s7
	s_cbranch_vccnz .LBB201_934
; %bb.933:
	global_load_b32 v6, v[1:2], off
.LBB201_934:
	s_mov_b32 s7, 0
.LBB201_935:
	s_delay_alu instid0(SALU_CYCLE_1)
	s_and_not1_b32 vcc_lo, exec_lo, s7
	s_cbranch_vccnz .LBB201_937
; %bb.936:
	global_load_u16 v3, v[1:2], off
	s_waitcnt vmcnt(0)
	v_cvt_f32_f16_e32 v6, v3
.LBB201_937:
	s_cbranch_execnz .LBB201_956
.LBB201_938:
	v_cmp_gt_i16_e32 vcc_lo, 2, v5
	s_cbranch_vccnz .LBB201_942
; %bb.939:
	v_cmp_gt_i16_e32 vcc_lo, 3, v5
	s_cbranch_vccnz .LBB201_943
; %bb.940:
	v_cmp_lt_i16_e32 vcc_lo, 3, v5
	s_cbranch_vccz .LBB201_944
; %bb.941:
	global_load_b64 v[6:7], v[1:2], off
	s_mov_b32 s7, 0
	s_waitcnt vmcnt(0)
	v_xor_b32_e32 v3, v6, v7
	v_cls_i32_e32 v8, v7
	s_delay_alu instid0(VALU_DEP_2) | instskip(NEXT) | instid1(VALU_DEP_2)
	v_ashrrev_i32_e32 v3, 31, v3
	v_add_nc_u32_e32 v8, -1, v8
	s_delay_alu instid0(VALU_DEP_2) | instskip(NEXT) | instid1(VALU_DEP_1)
	v_add_nc_u32_e32 v3, 32, v3
	v_min_u32_e32 v3, v8, v3
	s_delay_alu instid0(VALU_DEP_1) | instskip(SKIP_1) | instid1(VALU_DEP_2)
	v_lshlrev_b64 v[6:7], v3, v[6:7]
	v_sub_nc_u32_e32 v3, 32, v3
	v_min_u32_e32 v6, 1, v6
	s_delay_alu instid0(VALU_DEP_1) | instskip(NEXT) | instid1(VALU_DEP_1)
	v_or_b32_e32 v6, v7, v6
	v_cvt_f32_i32_e32 v6, v6
	s_delay_alu instid0(VALU_DEP_1)
	v_ldexp_f32 v6, v6, v3
	s_branch .LBB201_945
.LBB201_942:
                                        ; implicit-def: $vgpr6
	s_branch .LBB201_951
.LBB201_943:
	s_mov_b32 s7, -1
                                        ; implicit-def: $vgpr6
	s_branch .LBB201_948
.LBB201_944:
	s_mov_b32 s7, -1
                                        ; implicit-def: $vgpr6
.LBB201_945:
	s_delay_alu instid0(SALU_CYCLE_1)
	s_and_not1_b32 vcc_lo, exec_lo, s7
	s_cbranch_vccnz .LBB201_947
; %bb.946:
	global_load_b32 v3, v[1:2], off
	s_waitcnt vmcnt(0)
	v_cvt_f32_i32_e32 v6, v3
.LBB201_947:
	s_mov_b32 s7, 0
.LBB201_948:
	s_delay_alu instid0(SALU_CYCLE_1)
	s_and_not1_b32 vcc_lo, exec_lo, s7
	s_cbranch_vccnz .LBB201_950
; %bb.949:
	global_load_i16 v3, v[1:2], off
	s_waitcnt vmcnt(0)
	v_cvt_f32_i32_e32 v6, v3
.LBB201_950:
	s_cbranch_execnz .LBB201_956
.LBB201_951:
	v_cmp_lt_i16_e32 vcc_lo, 0, v5
	s_mov_b32 s7, 0
	s_cbranch_vccz .LBB201_953
; %bb.952:
	global_load_i8 v3, v[1:2], off
	s_waitcnt vmcnt(0)
	v_cvt_f32_i32_e32 v6, v3
	s_branch .LBB201_954
.LBB201_953:
	s_mov_b32 s7, -1
                                        ; implicit-def: $vgpr6
.LBB201_954:
	s_delay_alu instid0(SALU_CYCLE_1)
	s_and_not1_b32 vcc_lo, exec_lo, s7
	s_cbranch_vccnz .LBB201_956
; %bb.955:
	global_load_u8 v1, v[1:2], off
	s_waitcnt vmcnt(0)
	v_cvt_f32_ubyte0_e32 v6, v1
.LBB201_956:
	s_or_b32 s2, s2, exec_lo
.LBB201_957:
	s_or_b32 exec_lo, exec_lo, s6
	s_mov_b32 s8, 0
	s_mov_b32 s7, 0
                                        ; implicit-def: $vgpr5
                                        ; implicit-def: $vgpr1_vgpr2
                                        ; implicit-def: $vgpr3
	s_and_saveexec_b32 s6, s2
	s_cbranch_execz .LBB201_1034
; %bb.958:
	s_waitcnt vmcnt(0)
	s_delay_alu instid0(VALU_DEP_1) | instskip(NEXT) | instid1(VALU_DEP_1)
	v_cvt_f64_f32_e32 v[1:2], v6
	v_rsq_f64_e32 v[5:6], v[1:2]
	s_waitcnt_depctr 0xfff
	v_mul_f64 v[1:2], v[5:6], -v[1:2]
	v_cmp_class_f64_e64 vcc_lo, v[5:6], 0x180
	s_delay_alu instid0(VALU_DEP_2) | instskip(NEXT) | instid1(VALU_DEP_1)
	v_fma_f64 v[1:2], v[1:2], v[5:6], 1.0
	v_mul_f64 v[7:8], v[5:6], v[1:2]
	v_fma_f64 v[1:2], 0x3fd80000, v[1:2], 0.5
	s_delay_alu instid0(VALU_DEP_1) | instskip(NEXT) | instid1(VALU_DEP_1)
	v_fma_f64 v[1:2], v[7:8], v[1:2], v[5:6]
	v_dual_cndmask_b32 v2, v6, v2 :: v_dual_cndmask_b32 v1, v5, v1
	v_and_b32_e32 v5, 0xff, v4
	s_delay_alu instid0(VALU_DEP_2) | instskip(NEXT) | instid1(VALU_DEP_2)
	v_cvt_f32_f64_e32 v3, v[1:2]
	v_cmp_gt_i16_e32 vcc_lo, 11, v5
	v_add_co_u32 v1, s2, s4, v0
	s_delay_alu instid0(VALU_DEP_1)
	v_add_co_ci_u32_e64 v2, null, s5, 0, s2
	s_mov_b32 s4, -1
	s_mov_b32 s2, s34
	s_cbranch_vccnz .LBB201_1033
; %bb.959:
	v_cmp_lt_i16_e32 vcc_lo, 25, v5
	s_mov_b32 s2, s34
	s_cbranch_vccz .LBB201_992
; %bb.960:
	v_cmp_lt_i16_e32 vcc_lo, 28, v5
	s_mov_b32 s2, s34
	s_cbranch_vccz .LBB201_976
	;; [unrolled: 4-line block ×4, first 2 shown]
; %bb.963:
	v_cmp_eq_u16_e32 vcc_lo, 46, v5
	s_mov_b32 s2, -1
	s_cbranch_vccz .LBB201_965
; %bb.964:
	v_bfe_u32 v0, v3, 16, 1
	v_cmp_o_f32_e32 vcc_lo, v3, v3
	s_mov_b32 s2, 0
	s_delay_alu instid0(VALU_DEP_2) | instskip(NEXT) | instid1(VALU_DEP_1)
	v_add3_u32 v0, v3, v0, 0x7fff
	v_lshrrev_b32_e32 v0, 16, v0
	s_delay_alu instid0(VALU_DEP_1)
	v_cndmask_b32_e32 v0, 0x7fc0, v0, vcc_lo
	global_store_b32 v[1:2], v0, off
.LBB201_965:
	s_mov_b32 s4, 0
.LBB201_966:
	s_delay_alu instid0(SALU_CYCLE_1)
	s_and_b32 vcc_lo, exec_lo, s4
	s_cbranch_vccz .LBB201_971
; %bb.967:
	v_cmp_eq_u16_e32 vcc_lo, 44, v5
	s_mov_b32 s2, -1
	s_cbranch_vccz .LBB201_971
; %bb.968:
	v_bfe_u32 v4, v3, 23, 8
	v_mov_b32_e32 v0, 0xff
	s_mov_b32 s4, exec_lo
	s_delay_alu instid0(VALU_DEP_2)
	v_cmpx_ne_u32_e32 0xff, v4
; %bb.969:
	v_and_b32_e32 v0, 0x400000, v3
	v_and_or_b32 v4, 0x3fffff, v3, v4
	s_delay_alu instid0(VALU_DEP_2) | instskip(NEXT) | instid1(VALU_DEP_2)
	v_cmp_ne_u32_e32 vcc_lo, 0, v0
	v_cmp_ne_u32_e64 s2, 0, v4
	v_lshrrev_b32_e32 v0, 23, v3
	s_delay_alu instid0(VALU_DEP_2) | instskip(NEXT) | instid1(SALU_CYCLE_1)
	s_and_b32 s2, vcc_lo, s2
	v_cndmask_b32_e64 v4, 0, 1, s2
	s_delay_alu instid0(VALU_DEP_1)
	v_add_nc_u32_e32 v0, v0, v4
; %bb.970:
	s_or_b32 exec_lo, exec_lo, s4
	s_mov_b32 s2, 0
	global_store_b8 v[1:2], v0, off
.LBB201_971:
	s_mov_b32 s4, 0
.LBB201_972:
	s_delay_alu instid0(SALU_CYCLE_1)
	s_and_b32 vcc_lo, exec_lo, s4
	s_cbranch_vccz .LBB201_975
; %bb.973:
	v_cmp_eq_u16_e32 vcc_lo, 29, v5
	s_mov_b32 s2, -1
	s_cbranch_vccz .LBB201_975
; %bb.974:
	v_trunc_f32_e32 v0, v3
	s_mov_b32 s2, 0
	s_delay_alu instid0(VALU_DEP_1) | instskip(NEXT) | instid1(VALU_DEP_1)
	v_mul_f32_e32 v4, 0x2f800000, v0
	v_floor_f32_e32 v4, v4
	s_delay_alu instid0(VALU_DEP_1) | instskip(SKIP_1) | instid1(VALU_DEP_2)
	v_fmamk_f32 v0, v4, 0xcf800000, v0
	v_cvt_u32_f32_e32 v7, v4
	v_cvt_u32_f32_e32 v6, v0
	global_store_b64 v[1:2], v[6:7], off
.LBB201_975:
	s_mov_b32 s4, 0
.LBB201_976:
	s_delay_alu instid0(SALU_CYCLE_1)
	s_and_b32 vcc_lo, exec_lo, s4
	s_cbranch_vccz .LBB201_991
; %bb.977:
	v_cmp_gt_i16_e32 vcc_lo, 27, v5
	s_mov_b32 s4, -1
	s_cbranch_vccnz .LBB201_983
; %bb.978:
	v_cmp_lt_i16_e32 vcc_lo, 27, v5
	v_cvt_u32_f32_e32 v0, v3
	s_cbranch_vccz .LBB201_980
; %bb.979:
	s_mov_b32 s4, 0
	global_store_b32 v[1:2], v0, off
.LBB201_980:
	s_and_not1_b32 vcc_lo, exec_lo, s4
	s_cbranch_vccnz .LBB201_982
; %bb.981:
	global_store_b16 v[1:2], v0, off
.LBB201_982:
	s_mov_b32 s4, 0
.LBB201_983:
	s_delay_alu instid0(SALU_CYCLE_1)
	s_and_not1_b32 vcc_lo, exec_lo, s4
	s_cbranch_vccnz .LBB201_991
; %bb.984:
	v_and_b32_e32 v0, 0x7fffffff, v3
	v_mov_b32_e32 v4, 0x80
	s_mov_b32 s4, exec_lo
	s_delay_alu instid0(VALU_DEP_2)
	v_cmpx_gt_u32_e32 0x43800000, v0
	s_cbranch_execz .LBB201_990
; %bb.985:
	v_cmp_lt_u32_e32 vcc_lo, 0x3bffffff, v0
	s_mov_b32 s5, 0
                                        ; implicit-def: $vgpr0
	s_and_saveexec_b32 s7, vcc_lo
	s_delay_alu instid0(SALU_CYCLE_1)
	s_xor_b32 s7, exec_lo, s7
	s_cbranch_execz .LBB201_1279
; %bb.986:
	v_bfe_u32 v0, v3, 20, 1
	s_mov_b32 s5, exec_lo
	s_delay_alu instid0(VALU_DEP_1) | instskip(NEXT) | instid1(VALU_DEP_1)
	v_add3_u32 v0, v3, v0, 0x487ffff
	v_lshrrev_b32_e32 v0, 20, v0
	s_or_saveexec_b32 s7, s7
                                        ; implicit-def: $sgpr8
	s_delay_alu instid0(SALU_CYCLE_1)
	s_xor_b32 exec_lo, exec_lo, s7
	s_cbranch_execnz .LBB201_1280
.LBB201_987:
	s_or_b32 exec_lo, exec_lo, s7
	v_mov_b32_e32 v4, s8
	s_and_saveexec_b32 s7, s5
.LBB201_988:
	v_lshrrev_b32_e32 v4, 24, v3
	s_delay_alu instid0(VALU_DEP_1)
	v_and_or_b32 v4, 0x80, v4, v0
.LBB201_989:
	s_or_b32 exec_lo, exec_lo, s7
.LBB201_990:
	s_delay_alu instid0(SALU_CYCLE_1)
	s_or_b32 exec_lo, exec_lo, s4
	global_store_b8 v[1:2], v4, off
.LBB201_991:
	s_mov_b32 s4, 0
.LBB201_992:
	s_delay_alu instid0(SALU_CYCLE_1)
	s_and_b32 vcc_lo, exec_lo, s4
	s_mov_b32 s4, 0
	s_cbranch_vccz .LBB201_1032
; %bb.993:
	v_cmp_lt_i16_e32 vcc_lo, 22, v5
	s_mov_b32 s5, -1
	s_cbranch_vccz .LBB201_1025
; %bb.994:
	v_cmp_gt_i16_e32 vcc_lo, 24, v5
	s_cbranch_vccnz .LBB201_1014
; %bb.995:
	v_cmp_lt_i16_e32 vcc_lo, 24, v5
	s_cbranch_vccz .LBB201_1003
; %bb.996:
	v_and_b32_e32 v0, 0x7fffffff, v3
	v_mov_b32_e32 v4, 0x80
	s_mov_b32 s5, exec_lo
	s_delay_alu instid0(VALU_DEP_2)
	v_cmpx_gt_u32_e32 0x47800000, v0
	s_cbranch_execz .LBB201_1002
; %bb.997:
	v_cmp_lt_u32_e32 vcc_lo, 0x37ffffff, v0
	s_mov_b32 s7, 0
                                        ; implicit-def: $vgpr0
	s_and_saveexec_b32 s8, vcc_lo
	s_delay_alu instid0(SALU_CYCLE_1)
	s_xor_b32 s8, exec_lo, s8
	s_cbranch_execz .LBB201_1323
; %bb.998:
	v_bfe_u32 v0, v3, 21, 1
	s_mov_b32 s7, exec_lo
	s_delay_alu instid0(VALU_DEP_1) | instskip(NEXT) | instid1(VALU_DEP_1)
	v_add3_u32 v0, v3, v0, 0x88fffff
	v_lshrrev_b32_e32 v0, 21, v0
	s_or_saveexec_b32 s8, s8
                                        ; implicit-def: $sgpr9
	s_delay_alu instid0(SALU_CYCLE_1)
	s_xor_b32 exec_lo, exec_lo, s8
	s_cbranch_execnz .LBB201_1324
.LBB201_999:
	s_or_b32 exec_lo, exec_lo, s8
	v_mov_b32_e32 v4, s9
	s_and_saveexec_b32 s8, s7
.LBB201_1000:
	v_lshrrev_b32_e32 v4, 24, v3
	s_delay_alu instid0(VALU_DEP_1)
	v_and_or_b32 v4, 0x80, v4, v0
.LBB201_1001:
	s_or_b32 exec_lo, exec_lo, s8
.LBB201_1002:
	s_delay_alu instid0(SALU_CYCLE_1)
	s_or_b32 exec_lo, exec_lo, s5
	s_mov_b32 s5, 0
	global_store_b8 v[1:2], v4, off
.LBB201_1003:
	s_and_b32 vcc_lo, exec_lo, s5
	s_cbranch_vccz .LBB201_1013
; %bb.1004:
	v_and_b32_e32 v4, 0x7fffffff, v3
	s_mov_b32 s5, exec_lo
                                        ; implicit-def: $vgpr0
	s_delay_alu instid0(VALU_DEP_1)
	v_cmpx_gt_u32_e32 0x43f00000, v4
	s_xor_b32 s5, exec_lo, s5
	s_cbranch_execz .LBB201_1010
; %bb.1005:
	s_mov_b32 s7, exec_lo
                                        ; implicit-def: $vgpr0
	v_cmpx_lt_u32_e32 0x3c7fffff, v4
	s_xor_b32 s7, exec_lo, s7
; %bb.1006:
	v_bfe_u32 v0, v3, 20, 1
	s_delay_alu instid0(VALU_DEP_1) | instskip(NEXT) | instid1(VALU_DEP_1)
	v_add3_u32 v0, v3, v0, 0x407ffff
	v_and_b32_e32 v4, 0xff00000, v0
	v_lshrrev_b32_e32 v0, 20, v0
	s_delay_alu instid0(VALU_DEP_2) | instskip(NEXT) | instid1(VALU_DEP_2)
	v_cmp_ne_u32_e32 vcc_lo, 0x7f00000, v4
	v_cndmask_b32_e32 v0, 0x7e, v0, vcc_lo
; %bb.1007:
	s_and_not1_saveexec_b32 s7, s7
; %bb.1008:
	v_add_f32_e64 v0, 0x46800000, |v3|
; %bb.1009:
	s_or_b32 exec_lo, exec_lo, s7
                                        ; implicit-def: $vgpr4
.LBB201_1010:
	s_and_not1_saveexec_b32 s5, s5
; %bb.1011:
	v_mov_b32_e32 v0, 0x7f
	v_cmp_lt_u32_e32 vcc_lo, 0x7f800000, v4
	s_delay_alu instid0(VALU_DEP_2)
	v_cndmask_b32_e32 v0, 0x7e, v0, vcc_lo
; %bb.1012:
	s_or_b32 exec_lo, exec_lo, s5
	v_lshrrev_b32_e32 v4, 24, v3
	s_delay_alu instid0(VALU_DEP_1)
	v_and_or_b32 v0, 0x80, v4, v0
	global_store_b8 v[1:2], v0, off
.LBB201_1013:
	s_mov_b32 s5, 0
.LBB201_1014:
	s_delay_alu instid0(SALU_CYCLE_1)
	s_and_not1_b32 vcc_lo, exec_lo, s5
	s_cbranch_vccnz .LBB201_1024
; %bb.1015:
	v_and_b32_e32 v4, 0x7fffffff, v3
	s_mov_b32 s5, exec_lo
                                        ; implicit-def: $vgpr0
	s_delay_alu instid0(VALU_DEP_1)
	v_cmpx_gt_u32_e32 0x47800000, v4
	s_xor_b32 s5, exec_lo, s5
	s_cbranch_execz .LBB201_1021
; %bb.1016:
	s_mov_b32 s7, exec_lo
                                        ; implicit-def: $vgpr0
	v_cmpx_lt_u32_e32 0x387fffff, v4
	s_xor_b32 s7, exec_lo, s7
; %bb.1017:
	v_bfe_u32 v0, v3, 21, 1
	s_delay_alu instid0(VALU_DEP_1) | instskip(NEXT) | instid1(VALU_DEP_1)
	v_add3_u32 v0, v3, v0, 0x80fffff
	v_lshrrev_b32_e32 v0, 21, v0
; %bb.1018:
	s_and_not1_saveexec_b32 s7, s7
; %bb.1019:
	v_add_f32_e64 v0, 0x43000000, |v3|
; %bb.1020:
	s_or_b32 exec_lo, exec_lo, s7
                                        ; implicit-def: $vgpr4
.LBB201_1021:
	s_and_not1_saveexec_b32 s5, s5
; %bb.1022:
	v_mov_b32_e32 v0, 0x7f
	v_cmp_lt_u32_e32 vcc_lo, 0x7f800000, v4
	s_delay_alu instid0(VALU_DEP_2)
	v_cndmask_b32_e32 v0, 0x7c, v0, vcc_lo
; %bb.1023:
	s_or_b32 exec_lo, exec_lo, s5
	v_lshrrev_b32_e32 v4, 24, v3
	s_delay_alu instid0(VALU_DEP_1)
	v_and_or_b32 v0, 0x80, v4, v0
	global_store_b8 v[1:2], v0, off
.LBB201_1024:
	s_mov_b32 s5, 0
.LBB201_1025:
	s_delay_alu instid0(SALU_CYCLE_1)
	s_and_not1_b32 vcc_lo, exec_lo, s5
	s_mov_b32 s8, 0
	s_cbranch_vccnz .LBB201_1033
; %bb.1026:
	v_cmp_lt_i16_e32 vcc_lo, 14, v5
	s_mov_b32 s5, -1
	s_cbranch_vccz .LBB201_1030
; %bb.1027:
	v_cmp_eq_u16_e32 vcc_lo, 15, v5
	s_mov_b32 s2, -1
	s_cbranch_vccz .LBB201_1029
; %bb.1028:
	v_bfe_u32 v0, v3, 16, 1
	v_cmp_o_f32_e32 vcc_lo, v3, v3
	s_mov_b32 s2, 0
	s_delay_alu instid0(VALU_DEP_2) | instskip(NEXT) | instid1(VALU_DEP_1)
	v_add3_u32 v0, v3, v0, 0x7fff
	v_lshrrev_b32_e32 v0, 16, v0
	s_delay_alu instid0(VALU_DEP_1)
	v_cndmask_b32_e32 v0, 0x7fc0, v0, vcc_lo
	global_store_b16 v[1:2], v0, off
.LBB201_1029:
	s_mov_b32 s5, 0
.LBB201_1030:
	s_delay_alu instid0(SALU_CYCLE_1)
	s_and_b32 vcc_lo, exec_lo, s5
	s_cbranch_vccz .LBB201_1033
; %bb.1031:
	v_cmp_ne_u16_e32 vcc_lo, 11, v5
	s_and_not1_b32 s2, s2, exec_lo
	s_mov_b32 s8, -1
	s_and_b32 s5, vcc_lo, exec_lo
	s_delay_alu instid0(SALU_CYCLE_1)
	s_or_b32 s2, s2, s5
	s_branch .LBB201_1033
.LBB201_1032:
	s_mov_b32 s8, 0
.LBB201_1033:
	s_and_b32 s7, s4, exec_lo
	s_and_not1_b32 s4, s34, exec_lo
	s_and_b32 s2, s2, exec_lo
	s_and_b32 s8, s8, exec_lo
	s_or_b32 s34, s4, s2
.LBB201_1034:
	s_or_b32 exec_lo, exec_lo, s6
	s_and_saveexec_b32 s2, s34
	s_cbranch_execnz .LBB201_1148
; %bb.1035:
	s_or_b32 exec_lo, exec_lo, s2
	s_and_saveexec_b32 s2, s8
	s_delay_alu instid0(SALU_CYCLE_1)
	s_xor_b32 s2, exec_lo, s2
	s_cbranch_execz .LBB201_1037
.LBB201_1036:
	s_waitcnt vmcnt(0)
	s_delay_alu instid0(VALU_DEP_4)
	v_cmp_neq_f32_e32 vcc_lo, 0, v3
	v_cndmask_b32_e64 v0, 0, 1, vcc_lo
	global_store_b8 v[1:2], v0, off
.LBB201_1037:
	s_or_b32 exec_lo, exec_lo, s2
	s_and_saveexec_b32 s2, s7
	s_delay_alu instid0(SALU_CYCLE_1)
	s_xor_b32 s2, exec_lo, s2
	s_cbranch_execz .LBB201_1075
; %bb.1038:
	v_cmp_gt_i16_e32 vcc_lo, 5, v5
	s_mov_b32 s4, -1
	s_cbranch_vccnz .LBB201_1059
; %bb.1039:
	v_cmp_gt_i16_e32 vcc_lo, 8, v5
	s_cbranch_vccnz .LBB201_1049
; %bb.1040:
	v_cmp_gt_i16_e32 vcc_lo, 9, v5
	s_cbranch_vccnz .LBB201_1046
; %bb.1041:
	v_cmp_lt_i16_e32 vcc_lo, 9, v5
	s_cbranch_vccz .LBB201_1043
; %bb.1042:
	s_waitcnt vmcnt(0)
	v_cvt_f64_f32_e32 v[6:7], v3
	v_mov_b32_e32 v8, 0
	s_mov_b32 s4, 0
	s_delay_alu instid0(VALU_DEP_1)
	v_mov_b32_e32 v9, v8
	global_store_b128 v[1:2], v[6:9], off
.LBB201_1043:
	s_and_not1_b32 vcc_lo, exec_lo, s4
	s_cbranch_vccnz .LBB201_1045
; %bb.1044:
	v_mov_b32_e32 v4, 0
	s_waitcnt vmcnt(0)
	global_store_b64 v[1:2], v[3:4], off
.LBB201_1045:
	s_mov_b32 s4, 0
.LBB201_1046:
	s_delay_alu instid0(SALU_CYCLE_1)
	s_and_not1_b32 vcc_lo, exec_lo, s4
	s_cbranch_vccnz .LBB201_1048
; %bb.1047:
	s_waitcnt vmcnt(0)
	v_cvt_f16_f32_e32 v0, v3
	s_delay_alu instid0(VALU_DEP_1)
	v_and_b32_e32 v0, 0xffff, v0
	global_store_b32 v[1:2], v0, off
.LBB201_1048:
	s_mov_b32 s4, 0
.LBB201_1049:
	s_delay_alu instid0(SALU_CYCLE_1)
	s_and_not1_b32 vcc_lo, exec_lo, s4
	s_cbranch_vccnz .LBB201_1058
; %bb.1050:
	v_cmp_gt_i16_e32 vcc_lo, 6, v5
	s_mov_b32 s4, -1
	s_cbranch_vccnz .LBB201_1056
; %bb.1051:
	v_cmp_lt_i16_e32 vcc_lo, 6, v5
	s_cbranch_vccz .LBB201_1053
; %bb.1052:
	s_waitcnt vmcnt(0)
	v_cvt_f64_f32_e32 v[6:7], v3
	s_mov_b32 s4, 0
	global_store_b64 v[1:2], v[6:7], off
.LBB201_1053:
	s_and_not1_b32 vcc_lo, exec_lo, s4
	s_cbranch_vccnz .LBB201_1055
; %bb.1054:
	s_waitcnt vmcnt(0)
	global_store_b32 v[1:2], v3, off
.LBB201_1055:
	s_mov_b32 s4, 0
.LBB201_1056:
	s_delay_alu instid0(SALU_CYCLE_1)
	s_and_not1_b32 vcc_lo, exec_lo, s4
	s_cbranch_vccnz .LBB201_1058
; %bb.1057:
	s_waitcnt vmcnt(0)
	v_cvt_f16_f32_e32 v0, v3
	global_store_b16 v[1:2], v0, off
.LBB201_1058:
	s_mov_b32 s4, 0
.LBB201_1059:
	s_delay_alu instid0(SALU_CYCLE_1)
	s_and_not1_b32 vcc_lo, exec_lo, s4
	s_cbranch_vccnz .LBB201_1075
; %bb.1060:
	v_cmp_gt_i16_e32 vcc_lo, 2, v5
	s_mov_b32 s4, -1
	s_cbranch_vccnz .LBB201_1070
; %bb.1061:
	v_cmp_gt_i16_e32 vcc_lo, 3, v5
	s_cbranch_vccnz .LBB201_1067
; %bb.1062:
	v_cmp_lt_i16_e32 vcc_lo, 3, v5
	s_cbranch_vccz .LBB201_1064
; %bb.1063:
	s_waitcnt vmcnt(0)
	v_trunc_f32_e32 v0, v3
	s_mov_b32 s4, 0
	s_delay_alu instid0(VALU_DEP_1) | instskip(NEXT) | instid1(VALU_DEP_1)
	v_mul_f32_e64 v4, 0x2f800000, |v0|
	v_floor_f32_e32 v4, v4
	s_delay_alu instid0(VALU_DEP_1) | instskip(SKIP_2) | instid1(VALU_DEP_3)
	v_fma_f32 v6, 0xcf800000, v4, |v0|
	v_ashrrev_i32_e32 v0, 31, v0
	v_cvt_u32_f32_e32 v4, v4
	v_cvt_u32_f32_e32 v6, v6
	s_delay_alu instid0(VALU_DEP_2) | instskip(NEXT) | instid1(VALU_DEP_2)
	v_xor_b32_e32 v4, v4, v0
	v_xor_b32_e32 v6, v6, v0
	s_delay_alu instid0(VALU_DEP_1) | instskip(NEXT) | instid1(VALU_DEP_3)
	v_sub_co_u32 v6, vcc_lo, v6, v0
	v_sub_co_ci_u32_e32 v7, vcc_lo, v4, v0, vcc_lo
	global_store_b64 v[1:2], v[6:7], off
.LBB201_1064:
	s_and_not1_b32 vcc_lo, exec_lo, s4
	s_cbranch_vccnz .LBB201_1066
; %bb.1065:
	s_waitcnt vmcnt(0)
	v_cvt_i32_f32_e32 v0, v3
	global_store_b32 v[1:2], v0, off
.LBB201_1066:
	s_mov_b32 s4, 0
.LBB201_1067:
	s_delay_alu instid0(SALU_CYCLE_1)
	s_and_not1_b32 vcc_lo, exec_lo, s4
	s_cbranch_vccnz .LBB201_1069
; %bb.1068:
	s_waitcnt vmcnt(0)
	v_cvt_i32_f32_e32 v0, v3
	global_store_b16 v[1:2], v0, off
.LBB201_1069:
	s_mov_b32 s4, 0
.LBB201_1070:
	s_delay_alu instid0(SALU_CYCLE_1)
	s_and_not1_b32 vcc_lo, exec_lo, s4
	s_cbranch_vccnz .LBB201_1075
; %bb.1071:
	v_cmp_lt_i16_e32 vcc_lo, 0, v5
	s_mov_b32 s4, -1
	s_cbranch_vccz .LBB201_1073
; %bb.1072:
	s_waitcnt vmcnt(0)
	v_cvt_i32_f32_e32 v0, v3
	s_mov_b32 s4, 0
	global_store_b8 v[1:2], v0, off
.LBB201_1073:
	s_and_not1_b32 vcc_lo, exec_lo, s4
	s_cbranch_vccnz .LBB201_1075
; %bb.1074:
	s_waitcnt vmcnt(0)
	v_trunc_f32_e32 v0, v3
	s_delay_alu instid0(VALU_DEP_1) | instskip(NEXT) | instid1(VALU_DEP_1)
	v_mul_f32_e64 v3, 0x2f800000, |v0|
	v_floor_f32_e32 v3, v3
	s_delay_alu instid0(VALU_DEP_1) | instskip(SKIP_1) | instid1(VALU_DEP_2)
	v_fma_f32 v3, 0xcf800000, v3, |v0|
	v_ashrrev_i32_e32 v0, 31, v0
	v_cvt_u32_f32_e32 v3, v3
	s_delay_alu instid0(VALU_DEP_1) | instskip(NEXT) | instid1(VALU_DEP_1)
	v_xor_b32_e32 v3, v3, v0
	v_sub_nc_u32_e32 v0, v3, v0
	global_store_b8 v[1:2], v0, off
.LBB201_1075:
	s_or_b32 exec_lo, exec_lo, s2
	s_delay_alu instid0(SALU_CYCLE_1)
	s_and_b32 s8, s3, exec_lo
                                        ; implicit-def: $vgpr10
                                        ; implicit-def: $vgpr8
.LBB201_1076:
	s_or_saveexec_b32 s9, s28
	s_mov_b32 s3, 0
                                        ; implicit-def: $vgpr0_vgpr1
                                        ; implicit-def: $vgpr9
                                        ; implicit-def: $vgpr2
	s_xor_b32 exec_lo, exec_lo, s9
	s_cbranch_execz .LBB201_2092
; %bb.1077:
	v_cndmask_b32_e64 v0, 0, 1, s27
	s_and_not1_b32 vcc_lo, exec_lo, s27
	s_cbranch_vccnz .LBB201_1083
; %bb.1078:
	s_waitcnt vmcnt(0)
	v_mov_b32_e32 v3, 0
	v_mov_b32_e32 v7, 0
	s_cmp_lg_u32 s24, 0
	s_mov_b32 s6, 0
	s_cbranch_scc0 .LBB201_1087
; %bb.1079:
	s_min_u32 s7, s25, 15
	v_mov_b32_e32 v3, 0
	s_add_i32 s7, s7, 1
	s_cmp_eq_u32 s25, 2
	s_mov_b32 s10, 0
	s_cbranch_scc1 .LBB201_1084
; %bb.1080:
	v_mov_b32_e32 v7, 0
	v_mov_b32_e32 v3, 0
	;; [unrolled: 1-line block ×3, first 2 shown]
	s_add_u32 s2, s16, 0xc4
	s_addc_u32 s3, s17, 0
	s_and_b32 s10, s7, 28
	s_mov_b32 s11, 0
	s_mov_b64 s[4:5], s[16:17]
.LBB201_1081:                           ; =>This Inner Loop Header: Depth=1
	s_clause 0x1
	s_load_b256 s[36:43], s[4:5], 0x4
	s_load_b128 s[12:15], s[4:5], 0x24
	s_load_b256 s[44:51], s[2:3], 0x0
	s_add_u32 s4, s4, 48
	s_addc_u32 s5, s5, 0
	s_add_i32 s11, s11, 4
	s_add_u32 s2, s2, 32
	s_addc_u32 s3, s3, 0
	s_cmp_lg_u32 s10, s11
	s_waitcnt lgkmcnt(0)
	v_mul_hi_u32 v2, s37, v1
	s_delay_alu instid0(VALU_DEP_1) | instskip(NEXT) | instid1(VALU_DEP_1)
	v_add_nc_u32_e32 v2, v1, v2
	v_lshrrev_b32_e32 v2, s38, v2
	s_delay_alu instid0(VALU_DEP_1) | instskip(SKIP_1) | instid1(VALU_DEP_2)
	v_mul_hi_u32 v4, s40, v2
	v_mul_lo_u32 v6, v2, s36
	v_add_nc_u32_e32 v4, v2, v4
	s_delay_alu instid0(VALU_DEP_2) | instskip(NEXT) | instid1(VALU_DEP_2)
	v_sub_nc_u32_e32 v1, v1, v6
	v_lshrrev_b32_e32 v4, s41, v4
	s_delay_alu instid0(VALU_DEP_2) | instskip(SKIP_1) | instid1(VALU_DEP_3)
	v_mul_lo_u32 v6, v1, s44
	v_mul_lo_u32 v11, v1, s45
	v_mul_hi_u32 v5, s43, v4
	s_delay_alu instid0(VALU_DEP_1) | instskip(NEXT) | instid1(VALU_DEP_1)
	v_add_nc_u32_e32 v5, v4, v5
	v_lshrrev_b32_e32 v5, s12, v5
	s_delay_alu instid0(VALU_DEP_1) | instskip(SKIP_1) | instid1(VALU_DEP_2)
	v_mul_hi_u32 v9, s14, v5
	v_mul_lo_u32 v12, v5, s42
	v_add_nc_u32_e32 v1, v5, v9
	v_mul_lo_u32 v9, v4, s39
	s_delay_alu instid0(VALU_DEP_3) | instskip(NEXT) | instid1(VALU_DEP_3)
	v_sub_nc_u32_e32 v4, v4, v12
	v_lshrrev_b32_e32 v1, s15, v1
	s_delay_alu instid0(VALU_DEP_2) | instskip(SKIP_2) | instid1(VALU_DEP_4)
	v_mul_lo_u32 v12, v4, s48
	v_mul_lo_u32 v4, v4, s49
	v_sub_nc_u32_e32 v2, v2, v9
	v_mul_lo_u32 v13, v1, s13
	s_delay_alu instid0(VALU_DEP_2) | instskip(SKIP_1) | instid1(VALU_DEP_3)
	v_mul_lo_u32 v9, v2, s46
	v_mul_lo_u32 v2, v2, s47
	v_sub_nc_u32_e32 v5, v5, v13
	s_delay_alu instid0(VALU_DEP_3) | instskip(NEXT) | instid1(VALU_DEP_2)
	v_add3_u32 v3, v6, v3, v9
	v_mul_lo_u32 v13, v5, s50
	v_mul_lo_u32 v5, v5, s51
	v_add3_u32 v2, v11, v7, v2
	s_delay_alu instid0(VALU_DEP_3) | instskip(NEXT) | instid1(VALU_DEP_2)
	v_add3_u32 v3, v12, v3, v13
	v_add3_u32 v7, v4, v2, v5
	s_cbranch_scc1 .LBB201_1081
; %bb.1082:
	s_and_b32 s7, s7, 3
	s_delay_alu instid0(SALU_CYCLE_1)
	s_cmp_eq_u32 s7, 0
	s_cbranch_scc0 .LBB201_1085
	s_branch .LBB201_1087
.LBB201_1083:
	s_mov_b32 s6, -1
                                        ; implicit-def: $vgpr3
                                        ; implicit-def: $vgpr7
	s_branch .LBB201_1087
.LBB201_1084:
	v_mov_b32_e32 v1, v8
	v_mov_b32_e32 v7, 0
	s_and_b32 s7, s7, 3
	s_delay_alu instid0(SALU_CYCLE_1)
	s_cmp_eq_u32 s7, 0
	s_cbranch_scc1 .LBB201_1087
.LBB201_1085:
	s_lshl_b32 s2, s10, 3
	s_mul_i32 s4, s10, 12
	s_add_u32 s2, s2, s16
	s_addc_u32 s3, 0, s17
	s_add_u32 s2, s2, 0xc4
	s_addc_u32 s3, s3, 0
	;; [unrolled: 2-line block ×3, first 2 shown]
	.p2align	6
.LBB201_1086:                           ; =>This Inner Loop Header: Depth=1
	s_clause 0x1
	s_load_b64 s[10:11], s[4:5], 0x4
	s_load_b32 s14, s[4:5], 0xc
	s_load_b64 s[12:13], s[2:3], 0x0
	s_add_u32 s4, s4, 12
	s_addc_u32 s5, s5, 0
	s_add_u32 s2, s2, 8
	s_addc_u32 s3, s3, 0
	s_add_i32 s7, s7, -1
	s_delay_alu instid0(SALU_CYCLE_1) | instskip(SKIP_2) | instid1(VALU_DEP_1)
	s_cmp_lg_u32 s7, 0
	s_waitcnt lgkmcnt(0)
	v_mul_hi_u32 v2, s11, v1
	v_add_nc_u32_e32 v2, v1, v2
	s_delay_alu instid0(VALU_DEP_1) | instskip(NEXT) | instid1(VALU_DEP_1)
	v_lshrrev_b32_e32 v6, s14, v2
	v_mul_lo_u32 v2, v6, s10
	s_delay_alu instid0(VALU_DEP_1) | instskip(NEXT) | instid1(VALU_DEP_1)
	v_sub_nc_u32_e32 v1, v1, v2
	v_mad_u64_u32 v[4:5], null, v1, s12, v[3:4]
	v_mad_u64_u32 v[2:3], null, v1, s13, v[7:8]
	v_mov_b32_e32 v1, v6
	s_delay_alu instid0(VALU_DEP_3) | instskip(NEXT) | instid1(VALU_DEP_3)
	v_mov_b32_e32 v3, v4
	v_mov_b32_e32 v7, v2
	s_cbranch_scc1 .LBB201_1086
.LBB201_1087:
	s_and_not1_b32 vcc_lo, exec_lo, s6
	s_cbranch_vccnz .LBB201_1090
; %bb.1088:
	s_clause 0x1
	s_load_b128 s[4:7], s[16:17], 0x4
	s_load_b64 s[2:3], s[16:17], 0xc4
	s_cmp_lt_u32 s24, 2
	s_waitcnt lgkmcnt(0)
	v_mul_hi_u32 v1, s5, v8
	s_delay_alu instid0(VALU_DEP_1) | instskip(NEXT) | instid1(VALU_DEP_1)
	v_add_nc_u32_e32 v1, v8, v1
	v_lshrrev_b32_e32 v1, s6, v1
	s_delay_alu instid0(VALU_DEP_1) | instskip(NEXT) | instid1(VALU_DEP_1)
	v_mul_lo_u32 v2, v1, s4
	v_sub_nc_u32_e32 v2, v8, v2
	s_waitcnt vmcnt(0)
	s_delay_alu instid0(VALU_DEP_1)
	v_mul_lo_u32 v3, v2, s2
	v_mul_lo_u32 v7, v2, s3
	s_cbranch_scc1 .LBB201_1090
; %bb.1089:
	s_clause 0x1
	s_load_b128 s[4:7], s[16:17], 0x10
	s_load_b64 s[2:3], s[16:17], 0xcc
	s_waitcnt lgkmcnt(0)
	v_mul_hi_u32 v2, s5, v1
	s_delay_alu instid0(VALU_DEP_1) | instskip(NEXT) | instid1(VALU_DEP_1)
	v_add_nc_u32_e32 v2, v1, v2
	v_lshrrev_b32_e32 v2, s6, v2
	s_delay_alu instid0(VALU_DEP_1) | instskip(NEXT) | instid1(VALU_DEP_1)
	v_mul_lo_u32 v2, v2, s4
	v_sub_nc_u32_e32 v4, v1, v2
	s_delay_alu instid0(VALU_DEP_1) | instskip(SKIP_1) | instid1(VALU_DEP_2)
	v_mad_u64_u32 v[1:2], null, v4, s2, v[3:4]
	v_mad_u64_u32 v[2:3], null, v4, s3, v[7:8]
	v_mov_b32_e32 v3, v1
	s_delay_alu instid0(VALU_DEP_2)
	v_mov_b32_e32 v7, v2
.LBB201_1090:
	v_cmp_ne_u32_e32 vcc_lo, 1, v0
	v_add_nc_u32_e32 v1, 0x80, v8
	s_cbranch_vccnz .LBB201_1096
; %bb.1091:
	v_mov_b32_e32 v2, 0
	s_waitcnt vmcnt(0)
	v_mov_b32_e32 v6, 0
	s_cmp_lg_u32 s24, 0
	s_mov_b32 s6, 0
	s_cbranch_scc0 .LBB201_1100
; %bb.1092:
	s_min_u32 s7, s25, 15
	v_mov_b32_e32 v2, 0
	s_add_i32 s7, s7, 1
	s_cmp_eq_u32 s25, 2
	s_mov_b32 s10, 0
	s_cbranch_scc1 .LBB201_1097
; %bb.1093:
	v_mov_b32_e32 v6, 0
	v_mov_b32_e32 v2, 0
	;; [unrolled: 1-line block ×3, first 2 shown]
	s_add_u32 s2, s16, 0xc4
	s_addc_u32 s3, s17, 0
	s_and_b32 s10, s7, 28
	s_mov_b32 s11, 0
	s_mov_b64 s[4:5], s[16:17]
.LBB201_1094:                           ; =>This Inner Loop Header: Depth=1
	s_clause 0x1
	s_load_b256 s[36:43], s[4:5], 0x4
	s_load_b128 s[12:15], s[4:5], 0x24
	s_load_b256 s[44:51], s[2:3], 0x0
	s_add_u32 s4, s4, 48
	s_addc_u32 s5, s5, 0
	s_add_i32 s11, s11, 4
	s_add_u32 s2, s2, 32
	s_addc_u32 s3, s3, 0
	s_cmp_lg_u32 s10, s11
	s_waitcnt lgkmcnt(0)
	v_mul_hi_u32 v5, s37, v4
	s_delay_alu instid0(VALU_DEP_1) | instskip(NEXT) | instid1(VALU_DEP_1)
	v_add_nc_u32_e32 v5, v4, v5
	v_lshrrev_b32_e32 v5, s38, v5
	s_delay_alu instid0(VALU_DEP_1) | instskip(SKIP_1) | instid1(VALU_DEP_2)
	v_mul_hi_u32 v9, s40, v5
	v_mul_lo_u32 v12, v5, s36
	v_add_nc_u32_e32 v9, v5, v9
	s_delay_alu instid0(VALU_DEP_2) | instskip(NEXT) | instid1(VALU_DEP_2)
	v_sub_nc_u32_e32 v4, v4, v12
	v_lshrrev_b32_e32 v9, s41, v9
	s_delay_alu instid0(VALU_DEP_2) | instskip(SKIP_1) | instid1(VALU_DEP_3)
	v_mul_lo_u32 v12, v4, s44
	v_mul_lo_u32 v14, v4, s45
	v_mul_hi_u32 v11, s43, v9
	s_delay_alu instid0(VALU_DEP_1) | instskip(NEXT) | instid1(VALU_DEP_1)
	v_add_nc_u32_e32 v11, v9, v11
	v_lshrrev_b32_e32 v11, s12, v11
	s_delay_alu instid0(VALU_DEP_1) | instskip(SKIP_1) | instid1(VALU_DEP_2)
	v_mul_hi_u32 v13, s14, v11
	v_mul_lo_u32 v15, v11, s42
	v_add_nc_u32_e32 v4, v11, v13
	v_mul_lo_u32 v13, v9, s39
	s_delay_alu instid0(VALU_DEP_3) | instskip(NEXT) | instid1(VALU_DEP_3)
	v_sub_nc_u32_e32 v9, v9, v15
	v_lshrrev_b32_e32 v4, s15, v4
	s_delay_alu instid0(VALU_DEP_2) | instskip(SKIP_2) | instid1(VALU_DEP_4)
	v_mul_lo_u32 v15, v9, s48
	v_mul_lo_u32 v9, v9, s49
	v_sub_nc_u32_e32 v5, v5, v13
	v_mul_lo_u32 v16, v4, s13
	s_delay_alu instid0(VALU_DEP_2) | instskip(SKIP_1) | instid1(VALU_DEP_3)
	v_mul_lo_u32 v13, v5, s46
	v_mul_lo_u32 v5, v5, s47
	v_sub_nc_u32_e32 v11, v11, v16
	s_delay_alu instid0(VALU_DEP_3) | instskip(NEXT) | instid1(VALU_DEP_2)
	v_add3_u32 v2, v12, v2, v13
	v_mul_lo_u32 v16, v11, s50
	v_mul_lo_u32 v11, v11, s51
	v_add3_u32 v5, v14, v6, v5
	s_delay_alu instid0(VALU_DEP_3) | instskip(NEXT) | instid1(VALU_DEP_2)
	v_add3_u32 v2, v15, v2, v16
	v_add3_u32 v6, v9, v5, v11
	s_cbranch_scc1 .LBB201_1094
; %bb.1095:
	s_and_b32 s7, s7, 3
	s_delay_alu instid0(SALU_CYCLE_1)
	s_cmp_eq_u32 s7, 0
	s_cbranch_scc0 .LBB201_1098
	s_branch .LBB201_1100
.LBB201_1096:
	s_mov_b32 s6, -1
                                        ; implicit-def: $vgpr2
                                        ; implicit-def: $vgpr6
	s_branch .LBB201_1100
.LBB201_1097:
	v_mov_b32_e32 v4, v1
	v_mov_b32_e32 v6, 0
	s_and_b32 s7, s7, 3
	s_delay_alu instid0(SALU_CYCLE_1)
	s_cmp_eq_u32 s7, 0
	s_cbranch_scc1 .LBB201_1100
.LBB201_1098:
	s_lshl_b32 s2, s10, 3
	s_mul_i32 s4, s10, 12
	s_add_u32 s2, s2, s16
	s_addc_u32 s3, 0, s17
	s_add_u32 s2, s2, 0xc4
	s_addc_u32 s3, s3, 0
	;; [unrolled: 2-line block ×3, first 2 shown]
	.p2align	6
.LBB201_1099:                           ; =>This Inner Loop Header: Depth=1
	s_clause 0x1
	s_load_b64 s[10:11], s[4:5], 0x4
	s_load_b32 s14, s[4:5], 0xc
	s_load_b64 s[12:13], s[2:3], 0x0
	s_add_u32 s4, s4, 12
	s_addc_u32 s5, s5, 0
	s_add_u32 s2, s2, 8
	s_addc_u32 s3, s3, 0
	s_add_i32 s7, s7, -1
	s_delay_alu instid0(SALU_CYCLE_1) | instskip(SKIP_2) | instid1(VALU_DEP_1)
	s_cmp_lg_u32 s7, 0
	s_waitcnt lgkmcnt(0)
	v_mul_hi_u32 v5, s11, v4
	v_add_nc_u32_e32 v5, v4, v5
	s_delay_alu instid0(VALU_DEP_1) | instskip(NEXT) | instid1(VALU_DEP_1)
	v_lshrrev_b32_e32 v5, s14, v5
	v_mul_lo_u32 v9, v5, s10
	s_delay_alu instid0(VALU_DEP_1) | instskip(NEXT) | instid1(VALU_DEP_1)
	v_sub_nc_u32_e32 v4, v4, v9
	v_mad_u64_u32 v[11:12], null, v4, s12, v[2:3]
	v_mad_u64_u32 v[12:13], null, v4, s13, v[6:7]
	v_mov_b32_e32 v4, v5
	s_delay_alu instid0(VALU_DEP_3) | instskip(NEXT) | instid1(VALU_DEP_3)
	v_mov_b32_e32 v2, v11
	v_mov_b32_e32 v6, v12
	s_cbranch_scc1 .LBB201_1099
.LBB201_1100:
	s_and_not1_b32 vcc_lo, exec_lo, s6
	s_cbranch_vccnz .LBB201_1103
; %bb.1101:
	s_clause 0x1
	s_load_b128 s[4:7], s[16:17], 0x4
	s_load_b64 s[2:3], s[16:17], 0xc4
	s_cmp_lt_u32 s24, 2
	s_waitcnt lgkmcnt(0)
	v_mul_hi_u32 v2, s5, v1
	s_delay_alu instid0(VALU_DEP_1) | instskip(NEXT) | instid1(VALU_DEP_1)
	v_add_nc_u32_e32 v2, v1, v2
	v_lshrrev_b32_e32 v4, s6, v2
	s_delay_alu instid0(VALU_DEP_1) | instskip(NEXT) | instid1(VALU_DEP_1)
	v_mul_lo_u32 v2, v4, s4
	v_sub_nc_u32_e32 v1, v1, v2
	s_delay_alu instid0(VALU_DEP_1)
	v_mul_lo_u32 v2, v1, s2
	s_waitcnt vmcnt(0)
	v_mul_lo_u32 v6, v1, s3
	s_cbranch_scc1 .LBB201_1103
; %bb.1102:
	s_clause 0x1
	s_load_b128 s[4:7], s[16:17], 0x10
	s_load_b64 s[2:3], s[16:17], 0xcc
	s_waitcnt lgkmcnt(0)
	v_mul_hi_u32 v1, s5, v4
	s_delay_alu instid0(VALU_DEP_1) | instskip(NEXT) | instid1(VALU_DEP_1)
	v_add_nc_u32_e32 v1, v4, v1
	v_lshrrev_b32_e32 v1, s6, v1
	s_delay_alu instid0(VALU_DEP_1) | instskip(NEXT) | instid1(VALU_DEP_1)
	v_mul_lo_u32 v1, v1, s4
	v_sub_nc_u32_e32 v9, v4, v1
	s_delay_alu instid0(VALU_DEP_1) | instskip(SKIP_1) | instid1(VALU_DEP_2)
	v_mad_u64_u32 v[4:5], null, v9, s2, v[2:3]
	v_mad_u64_u32 v[1:2], null, v9, s3, v[6:7]
	v_mov_b32_e32 v2, v4
	s_delay_alu instid0(VALU_DEP_2)
	v_mov_b32_e32 v6, v1
.LBB201_1103:
	v_cmp_ne_u32_e32 vcc_lo, 1, v0
	v_add_nc_u32_e32 v4, 0x100, v8
	s_cbranch_vccnz .LBB201_1109
; %bb.1104:
	v_mov_b32_e32 v1, 0
	v_mov_b32_e32 v5, 0
	s_cmp_lg_u32 s24, 0
	s_mov_b32 s6, 0
	s_cbranch_scc0 .LBB201_1113
; %bb.1105:
	s_min_u32 s7, s25, 15
	v_mov_b32_e32 v1, 0
	s_add_i32 s7, s7, 1
	s_cmp_eq_u32 s25, 2
	s_mov_b32 s10, 0
	s_cbranch_scc1 .LBB201_1110
; %bb.1106:
	v_dual_mov_b32 v5, 0 :: v_dual_mov_b32 v8, v4
	v_mov_b32_e32 v1, 0
	s_add_u32 s2, s16, 0xc4
	s_addc_u32 s3, s17, 0
	s_and_b32 s10, s7, 28
	s_mov_b32 s11, 0
	s_mov_b64 s[4:5], s[16:17]
.LBB201_1107:                           ; =>This Inner Loop Header: Depth=1
	s_clause 0x1
	s_load_b256 s[36:43], s[4:5], 0x4
	s_load_b128 s[12:15], s[4:5], 0x24
	s_load_b256 s[44:51], s[2:3], 0x0
	s_add_u32 s4, s4, 48
	s_addc_u32 s5, s5, 0
	s_add_i32 s11, s11, 4
	s_add_u32 s2, s2, 32
	s_addc_u32 s3, s3, 0
	s_cmp_lg_u32 s10, s11
	s_waitcnt lgkmcnt(0)
	v_mul_hi_u32 v9, s37, v8
	s_delay_alu instid0(VALU_DEP_1) | instskip(NEXT) | instid1(VALU_DEP_1)
	v_add_nc_u32_e32 v9, v8, v9
	v_lshrrev_b32_e32 v9, s38, v9
	s_delay_alu instid0(VALU_DEP_1) | instskip(SKIP_1) | instid1(VALU_DEP_2)
	v_mul_hi_u32 v11, s40, v9
	v_mul_lo_u32 v13, v9, s36
	v_add_nc_u32_e32 v11, v9, v11
	s_delay_alu instid0(VALU_DEP_2) | instskip(NEXT) | instid1(VALU_DEP_2)
	v_sub_nc_u32_e32 v8, v8, v13
	v_lshrrev_b32_e32 v11, s41, v11
	s_delay_alu instid0(VALU_DEP_2) | instskip(SKIP_1) | instid1(VALU_DEP_3)
	v_mul_lo_u32 v13, v8, s44
	v_mul_lo_u32 v15, v8, s45
	v_mul_hi_u32 v12, s43, v11
	s_delay_alu instid0(VALU_DEP_1) | instskip(NEXT) | instid1(VALU_DEP_1)
	v_add_nc_u32_e32 v12, v11, v12
	v_lshrrev_b32_e32 v12, s12, v12
	s_delay_alu instid0(VALU_DEP_1) | instskip(SKIP_1) | instid1(VALU_DEP_2)
	v_mul_hi_u32 v14, s14, v12
	v_mul_lo_u32 v16, v12, s42
	v_add_nc_u32_e32 v8, v12, v14
	v_mul_lo_u32 v14, v11, s39
	s_delay_alu instid0(VALU_DEP_3) | instskip(NEXT) | instid1(VALU_DEP_3)
	v_sub_nc_u32_e32 v11, v11, v16
	v_lshrrev_b32_e32 v8, s15, v8
	s_delay_alu instid0(VALU_DEP_2) | instskip(SKIP_2) | instid1(VALU_DEP_4)
	v_mul_lo_u32 v16, v11, s48
	v_mul_lo_u32 v11, v11, s49
	v_sub_nc_u32_e32 v9, v9, v14
	v_mul_lo_u32 v17, v8, s13
	s_delay_alu instid0(VALU_DEP_2) | instskip(SKIP_1) | instid1(VALU_DEP_3)
	v_mul_lo_u32 v14, v9, s46
	v_mul_lo_u32 v9, v9, s47
	v_sub_nc_u32_e32 v12, v12, v17
	s_delay_alu instid0(VALU_DEP_3) | instskip(NEXT) | instid1(VALU_DEP_2)
	v_add3_u32 v1, v13, v1, v14
	v_mul_lo_u32 v17, v12, s50
	v_mul_lo_u32 v12, v12, s51
	v_add3_u32 v5, v15, v5, v9
	s_delay_alu instid0(VALU_DEP_3) | instskip(NEXT) | instid1(VALU_DEP_2)
	v_add3_u32 v1, v16, v1, v17
	v_add3_u32 v5, v11, v5, v12
	s_cbranch_scc1 .LBB201_1107
; %bb.1108:
	s_and_b32 s7, s7, 3
	s_delay_alu instid0(SALU_CYCLE_1)
	s_cmp_eq_u32 s7, 0
	s_cbranch_scc0 .LBB201_1111
	s_branch .LBB201_1113
.LBB201_1109:
	s_mov_b32 s6, -1
                                        ; implicit-def: $vgpr1
                                        ; implicit-def: $vgpr5
	s_branch .LBB201_1113
.LBB201_1110:
	v_dual_mov_b32 v8, v4 :: v_dual_mov_b32 v5, 0
	s_and_b32 s7, s7, 3
	s_delay_alu instid0(SALU_CYCLE_1)
	s_cmp_eq_u32 s7, 0
	s_cbranch_scc1 .LBB201_1113
.LBB201_1111:
	s_lshl_b32 s2, s10, 3
	s_mul_i32 s4, s10, 12
	s_add_u32 s2, s2, s16
	s_addc_u32 s3, 0, s17
	s_add_u32 s2, s2, 0xc4
	s_addc_u32 s3, s3, 0
	;; [unrolled: 2-line block ×3, first 2 shown]
	.p2align	6
.LBB201_1112:                           ; =>This Inner Loop Header: Depth=1
	s_clause 0x1
	s_load_b64 s[10:11], s[4:5], 0x4
	s_load_b32 s14, s[4:5], 0xc
	s_load_b64 s[12:13], s[2:3], 0x0
	s_add_u32 s4, s4, 12
	s_addc_u32 s5, s5, 0
	s_add_u32 s2, s2, 8
	s_addc_u32 s3, s3, 0
	s_add_i32 s7, s7, -1
	s_delay_alu instid0(SALU_CYCLE_1) | instskip(SKIP_2) | instid1(VALU_DEP_1)
	s_cmp_lg_u32 s7, 0
	s_waitcnt lgkmcnt(0)
	v_mul_hi_u32 v9, s11, v8
	v_add_nc_u32_e32 v9, v8, v9
	s_delay_alu instid0(VALU_DEP_1) | instskip(NEXT) | instid1(VALU_DEP_1)
	v_lshrrev_b32_e32 v9, s14, v9
	v_mul_lo_u32 v11, v9, s10
	s_delay_alu instid0(VALU_DEP_1) | instskip(NEXT) | instid1(VALU_DEP_1)
	v_sub_nc_u32_e32 v8, v8, v11
	v_mad_u64_u32 v[11:12], null, v8, s12, v[1:2]
	s_waitcnt vmcnt(0)
	v_mad_u64_u32 v[12:13], null, v8, s13, v[5:6]
	s_delay_alu instid0(VALU_DEP_2) | instskip(NEXT) | instid1(VALU_DEP_2)
	v_dual_mov_b32 v8, v9 :: v_dual_mov_b32 v1, v11
	v_mov_b32_e32 v5, v12
	s_cbranch_scc1 .LBB201_1112
.LBB201_1113:
	s_and_not1_b32 vcc_lo, exec_lo, s6
	s_cbranch_vccnz .LBB201_1116
; %bb.1114:
	s_clause 0x1
	s_load_b128 s[4:7], s[16:17], 0x4
	s_load_b64 s[2:3], s[16:17], 0xc4
	s_cmp_lt_u32 s24, 2
	s_waitcnt lgkmcnt(0)
	v_mul_hi_u32 v1, s5, v4
	s_delay_alu instid0(VALU_DEP_1) | instskip(NEXT) | instid1(VALU_DEP_1)
	v_add_nc_u32_e32 v1, v4, v1
	v_lshrrev_b32_e32 v8, s6, v1
	s_delay_alu instid0(VALU_DEP_1) | instskip(NEXT) | instid1(VALU_DEP_1)
	v_mul_lo_u32 v1, v8, s4
	v_sub_nc_u32_e32 v4, v4, v1
	s_delay_alu instid0(VALU_DEP_1)
	v_mul_lo_u32 v1, v4, s2
	v_mul_lo_u32 v5, v4, s3
	s_cbranch_scc1 .LBB201_1116
; %bb.1115:
	s_clause 0x1
	s_load_b128 s[4:7], s[16:17], 0x10
	s_load_b64 s[2:3], s[16:17], 0xcc
	s_waitcnt lgkmcnt(0)
	v_mul_hi_u32 v4, s5, v8
	s_delay_alu instid0(VALU_DEP_1) | instskip(NEXT) | instid1(VALU_DEP_1)
	v_add_nc_u32_e32 v4, v8, v4
	v_lshrrev_b32_e32 v4, s6, v4
	s_delay_alu instid0(VALU_DEP_1) | instskip(NEXT) | instid1(VALU_DEP_1)
	v_mul_lo_u32 v4, v4, s4
	v_sub_nc_u32_e32 v4, v8, v4
	s_delay_alu instid0(VALU_DEP_1) | instskip(SKIP_2) | instid1(VALU_DEP_2)
	v_mad_u64_u32 v[8:9], null, v4, s2, v[1:2]
	s_waitcnt vmcnt(0)
	v_mad_u64_u32 v[11:12], null, v4, s3, v[5:6]
	v_mov_b32_e32 v1, v8
	s_delay_alu instid0(VALU_DEP_2)
	v_mov_b32_e32 v5, v11
.LBB201_1116:
	v_cmp_ne_u32_e32 vcc_lo, 1, v0
	s_cbranch_vccnz .LBB201_1122
; %bb.1117:
	v_mov_b32_e32 v0, 0
	v_mov_b32_e32 v4, 0
	s_cmp_lg_u32 s24, 0
	s_mov_b32 s6, 0
	s_cbranch_scc0 .LBB201_1126
; %bb.1118:
	s_min_u32 s7, s25, 15
	v_mov_b32_e32 v0, 0
	s_add_i32 s7, s7, 1
	s_cmp_eq_u32 s25, 2
	s_mov_b32 s10, 0
	s_cbranch_scc1 .LBB201_1123
; %bb.1119:
	v_mov_b32_e32 v4, 0
	v_mov_b32_e32 v0, 0
	;; [unrolled: 1-line block ×3, first 2 shown]
	s_add_u32 s2, s16, 0xc4
	s_addc_u32 s3, s17, 0
	s_and_b32 s10, s7, 28
	s_mov_b32 s11, 0
	s_mov_b64 s[4:5], s[16:17]
.LBB201_1120:                           ; =>This Inner Loop Header: Depth=1
	s_clause 0x1
	s_load_b256 s[36:43], s[4:5], 0x4
	s_load_b128 s[12:15], s[4:5], 0x24
	s_load_b256 s[44:51], s[2:3], 0x0
	s_add_u32 s4, s4, 48
	s_addc_u32 s5, s5, 0
	s_add_i32 s11, s11, 4
	s_add_u32 s2, s2, 32
	s_addc_u32 s3, s3, 0
	s_cmp_lg_u32 s10, s11
	s_waitcnt lgkmcnt(0)
	v_mul_hi_u32 v9, s37, v8
	s_delay_alu instid0(VALU_DEP_1) | instskip(NEXT) | instid1(VALU_DEP_1)
	v_add_nc_u32_e32 v9, v8, v9
	v_lshrrev_b32_e32 v9, s38, v9
	s_delay_alu instid0(VALU_DEP_1) | instskip(SKIP_1) | instid1(VALU_DEP_2)
	v_mul_hi_u32 v11, s40, v9
	v_mul_lo_u32 v13, v9, s36
	v_add_nc_u32_e32 v11, v9, v11
	s_delay_alu instid0(VALU_DEP_2) | instskip(NEXT) | instid1(VALU_DEP_2)
	v_sub_nc_u32_e32 v8, v8, v13
	v_lshrrev_b32_e32 v11, s41, v11
	s_delay_alu instid0(VALU_DEP_2) | instskip(SKIP_1) | instid1(VALU_DEP_3)
	v_mul_lo_u32 v13, v8, s44
	v_mul_lo_u32 v15, v8, s45
	v_mul_hi_u32 v12, s43, v11
	s_delay_alu instid0(VALU_DEP_1) | instskip(NEXT) | instid1(VALU_DEP_1)
	v_add_nc_u32_e32 v12, v11, v12
	v_lshrrev_b32_e32 v12, s12, v12
	s_delay_alu instid0(VALU_DEP_1) | instskip(SKIP_1) | instid1(VALU_DEP_2)
	v_mul_hi_u32 v14, s14, v12
	v_mul_lo_u32 v16, v12, s42
	v_add_nc_u32_e32 v8, v12, v14
	v_mul_lo_u32 v14, v11, s39
	s_delay_alu instid0(VALU_DEP_3) | instskip(NEXT) | instid1(VALU_DEP_3)
	v_sub_nc_u32_e32 v11, v11, v16
	v_lshrrev_b32_e32 v8, s15, v8
	s_delay_alu instid0(VALU_DEP_2) | instskip(SKIP_2) | instid1(VALU_DEP_4)
	v_mul_lo_u32 v16, v11, s48
	v_mul_lo_u32 v11, v11, s49
	v_sub_nc_u32_e32 v9, v9, v14
	v_mul_lo_u32 v17, v8, s13
	s_delay_alu instid0(VALU_DEP_2) | instskip(SKIP_1) | instid1(VALU_DEP_3)
	v_mul_lo_u32 v14, v9, s46
	v_mul_lo_u32 v9, v9, s47
	v_sub_nc_u32_e32 v12, v12, v17
	s_delay_alu instid0(VALU_DEP_3) | instskip(NEXT) | instid1(VALU_DEP_2)
	v_add3_u32 v0, v13, v0, v14
	v_mul_lo_u32 v17, v12, s50
	v_mul_lo_u32 v12, v12, s51
	v_add3_u32 v4, v15, v4, v9
	s_delay_alu instid0(VALU_DEP_3) | instskip(NEXT) | instid1(VALU_DEP_2)
	v_add3_u32 v0, v16, v0, v17
	v_add3_u32 v4, v11, v4, v12
	s_cbranch_scc1 .LBB201_1120
; %bb.1121:
	s_and_b32 s7, s7, 3
	s_delay_alu instid0(SALU_CYCLE_1)
	s_cmp_eq_u32 s7, 0
	s_cbranch_scc0 .LBB201_1124
	s_branch .LBB201_1126
.LBB201_1122:
	s_mov_b32 s6, -1
                                        ; implicit-def: $vgpr0
                                        ; implicit-def: $vgpr4
	s_branch .LBB201_1126
.LBB201_1123:
	v_mov_b32_e32 v8, v10
	v_mov_b32_e32 v4, 0
	s_and_b32 s7, s7, 3
	s_delay_alu instid0(SALU_CYCLE_1)
	s_cmp_eq_u32 s7, 0
	s_cbranch_scc1 .LBB201_1126
.LBB201_1124:
	s_lshl_b32 s2, s10, 3
	s_mul_i32 s4, s10, 12
	s_add_u32 s2, s2, s16
	s_addc_u32 s3, 0, s17
	s_add_u32 s2, s2, 0xc4
	s_addc_u32 s3, s3, 0
	;; [unrolled: 2-line block ×3, first 2 shown]
	.p2align	6
.LBB201_1125:                           ; =>This Inner Loop Header: Depth=1
	s_clause 0x1
	s_load_b64 s[10:11], s[4:5], 0x4
	s_load_b32 s14, s[4:5], 0xc
	s_load_b64 s[12:13], s[2:3], 0x0
	s_add_u32 s4, s4, 12
	s_addc_u32 s5, s5, 0
	s_add_u32 s2, s2, 8
	s_addc_u32 s3, s3, 0
	s_add_i32 s7, s7, -1
	s_delay_alu instid0(SALU_CYCLE_1) | instskip(SKIP_2) | instid1(VALU_DEP_1)
	s_cmp_lg_u32 s7, 0
	s_waitcnt lgkmcnt(0)
	v_mul_hi_u32 v9, s11, v8
	v_add_nc_u32_e32 v9, v8, v9
	s_delay_alu instid0(VALU_DEP_1) | instskip(NEXT) | instid1(VALU_DEP_1)
	v_lshrrev_b32_e32 v9, s14, v9
	v_mul_lo_u32 v11, v9, s10
	s_delay_alu instid0(VALU_DEP_1) | instskip(NEXT) | instid1(VALU_DEP_1)
	v_sub_nc_u32_e32 v8, v8, v11
	v_mad_u64_u32 v[11:12], null, v8, s12, v[0:1]
	v_mad_u64_u32 v[12:13], null, v8, s13, v[4:5]
	v_mov_b32_e32 v8, v9
	s_delay_alu instid0(VALU_DEP_3) | instskip(NEXT) | instid1(VALU_DEP_3)
	v_mov_b32_e32 v0, v11
	v_mov_b32_e32 v4, v12
	s_cbranch_scc1 .LBB201_1125
.LBB201_1126:
	s_and_not1_b32 vcc_lo, exec_lo, s6
	s_cbranch_vccnz .LBB201_1129
; %bb.1127:
	s_clause 0x1
	s_load_b128 s[4:7], s[16:17], 0x4
	s_load_b64 s[2:3], s[16:17], 0xc4
	s_cmp_lt_u32 s24, 2
	s_waitcnt lgkmcnt(0)
	v_mul_hi_u32 v0, s5, v10
	s_delay_alu instid0(VALU_DEP_1) | instskip(NEXT) | instid1(VALU_DEP_1)
	v_add_nc_u32_e32 v0, v10, v0
	v_lshrrev_b32_e32 v8, s6, v0
	s_delay_alu instid0(VALU_DEP_1) | instskip(NEXT) | instid1(VALU_DEP_1)
	v_mul_lo_u32 v0, v8, s4
	v_sub_nc_u32_e32 v4, v10, v0
	s_delay_alu instid0(VALU_DEP_1)
	v_mul_lo_u32 v0, v4, s2
	v_mul_lo_u32 v4, v4, s3
	s_cbranch_scc1 .LBB201_1129
; %bb.1128:
	s_clause 0x1
	s_load_b128 s[4:7], s[16:17], 0x10
	s_load_b64 s[2:3], s[16:17], 0xcc
	s_waitcnt lgkmcnt(0)
	v_mul_hi_u32 v9, s5, v8
	s_delay_alu instid0(VALU_DEP_1) | instskip(NEXT) | instid1(VALU_DEP_1)
	v_add_nc_u32_e32 v9, v8, v9
	v_lshrrev_b32_e32 v9, s6, v9
	s_delay_alu instid0(VALU_DEP_1) | instskip(NEXT) | instid1(VALU_DEP_1)
	v_mul_lo_u32 v9, v9, s4
	v_sub_nc_u32_e32 v11, v8, v9
	s_delay_alu instid0(VALU_DEP_1) | instskip(SKIP_1) | instid1(VALU_DEP_2)
	v_mad_u64_u32 v[8:9], null, v11, s2, v[0:1]
	v_mad_u64_u32 v[9:10], null, v11, s3, v[4:5]
	v_mov_b32_e32 v0, v8
	s_delay_alu instid0(VALU_DEP_2)
	v_mov_b32_e32 v4, v9
.LBB201_1129:
	s_clause 0x1
	s_load_b32 s0, s[0:1], 0x160
	s_load_b128 s[4:7], s[16:17], 0x148
	s_mov_b32 s3, 0
	s_waitcnt lgkmcnt(0)
	s_lshr_b32 s1, s0, 16
	s_delay_alu instid0(SALU_CYCLE_1) | instskip(SKIP_1) | instid1(VALU_DEP_1)
	v_and_b32_e64 v9, 0xff, s1
	v_add_co_u32 v7, s1, s6, v7
	v_add_co_ci_u32_e64 v8, null, s7, 0, s1
	s_delay_alu instid0(VALU_DEP_3)
	v_cmp_gt_i16_e32 vcc_lo, 11, v9
	s_cbranch_vccnz .LBB201_1136
; %bb.1130:
	v_cmp_lt_i16_e32 vcc_lo, 25, v9
	s_mov_b32 s2, 0
	s_cbranch_vccz .LBB201_1142
; %bb.1131:
	v_cmp_lt_i16_e32 vcc_lo, 28, v9
	s_cbranch_vccz .LBB201_1144
; %bb.1132:
	v_cmp_lt_i16_e32 vcc_lo, 43, v9
	;; [unrolled: 3-line block ×3, first 2 shown]
	s_cbranch_vccz .LBB201_1150
; %bb.1134:
	v_cmp_eq_u16_e32 vcc_lo, 46, v9
	s_mov_b32 s10, 0
	s_cbranch_vccz .LBB201_1192
; %bb.1135:
	global_load_b32 v10, v[7:8], off
	s_mov_b32 s1, 0
	s_mov_b32 s3, -1
	s_waitcnt vmcnt(0)
	v_lshlrev_b32_e32 v12, 16, v10
	s_branch .LBB201_1194
.LBB201_1136:
	s_mov_b32 s1, s8
                                        ; implicit-def: $vgpr12
	s_cbranch_execz .LBB201_1257
; %bb.1137:
	v_cmp_gt_i16_e32 vcc_lo, 5, v9
	s_cbranch_vccnz .LBB201_1143
; %bb.1138:
	v_cmp_gt_i16_e32 vcc_lo, 8, v9
	s_cbranch_vccnz .LBB201_1145
	;; [unrolled: 3-line block ×3, first 2 shown]
; %bb.1140:
	v_cmp_lt_i16_e32 vcc_lo, 9, v9
	s_cbranch_vccz .LBB201_1151
; %bb.1141:
	global_load_b64 v[10:11], v[7:8], off
	s_mov_b32 s2, 0
	s_waitcnt vmcnt(0)
	v_cvt_f32_f64_e32 v12, v[10:11]
	s_branch .LBB201_1152
.LBB201_1142:
	s_mov_b32 s1, 0
                                        ; implicit-def: $vgpr12
	s_cbranch_execnz .LBB201_1222
	s_branch .LBB201_1253
.LBB201_1143:
                                        ; implicit-def: $vgpr12
	s_branch .LBB201_1169
.LBB201_1144:
	s_mov_b32 s10, -1
	s_mov_b32 s1, 0
                                        ; implicit-def: $vgpr12
	s_branch .LBB201_1203
.LBB201_1145:
                                        ; implicit-def: $vgpr12
	s_branch .LBB201_1158
.LBB201_1146:
	s_mov_b32 s1, 0
                                        ; implicit-def: $vgpr12
	s_cbranch_execnz .LBB201_1199
	s_branch .LBB201_1202
.LBB201_1147:
	s_mov_b32 s2, -1
                                        ; implicit-def: $vgpr12
	s_branch .LBB201_1155
.LBB201_1148:
	s_cbranch_execnz .LBB201_1190
; %bb.1149:
	s_or_b32 s3, s3, exec_lo
	s_and_not1_b32 s8, s8, exec_lo
	s_or_b32 exec_lo, exec_lo, s2
	s_and_saveexec_b32 s2, s8
	s_delay_alu instid0(SALU_CYCLE_1)
	s_xor_b32 s2, exec_lo, s2
	s_cbranch_execnz .LBB201_1036
	s_branch .LBB201_1037
.LBB201_1150:
	s_mov_b32 s10, -1
	s_mov_b32 s1, 0
	s_branch .LBB201_1193
.LBB201_1151:
	s_mov_b32 s2, -1
                                        ; implicit-def: $vgpr12
.LBB201_1152:
	s_delay_alu instid0(SALU_CYCLE_1)
	s_and_not1_b32 vcc_lo, exec_lo, s2
	s_cbranch_vccnz .LBB201_1154
; %bb.1153:
	global_load_b32 v12, v[7:8], off
.LBB201_1154:
	s_mov_b32 s2, 0
.LBB201_1155:
	s_delay_alu instid0(SALU_CYCLE_1)
	s_and_not1_b32 vcc_lo, exec_lo, s2
	s_cbranch_vccnz .LBB201_1157
; %bb.1156:
	global_load_b32 v10, v[7:8], off
	s_waitcnt vmcnt(0)
	v_cvt_f32_f16_e32 v12, v10
.LBB201_1157:
	s_cbranch_execnz .LBB201_1168
.LBB201_1158:
	v_cmp_gt_i16_e32 vcc_lo, 6, v9
	s_cbranch_vccnz .LBB201_1161
; %bb.1159:
	v_cmp_lt_i16_e32 vcc_lo, 6, v9
	s_cbranch_vccz .LBB201_1162
; %bb.1160:
	global_load_b64 v[10:11], v[7:8], off
	s_mov_b32 s2, 0
	s_waitcnt vmcnt(0)
	v_cvt_f32_f64_e32 v12, v[10:11]
	s_branch .LBB201_1163
.LBB201_1161:
	s_mov_b32 s2, -1
                                        ; implicit-def: $vgpr12
	s_branch .LBB201_1166
.LBB201_1162:
	s_mov_b32 s2, -1
                                        ; implicit-def: $vgpr12
.LBB201_1163:
	s_delay_alu instid0(SALU_CYCLE_1)
	s_and_not1_b32 vcc_lo, exec_lo, s2
	s_cbranch_vccnz .LBB201_1165
; %bb.1164:
	global_load_b32 v12, v[7:8], off
.LBB201_1165:
	s_mov_b32 s2, 0
.LBB201_1166:
	s_delay_alu instid0(SALU_CYCLE_1)
	s_and_not1_b32 vcc_lo, exec_lo, s2
	s_cbranch_vccnz .LBB201_1168
; %bb.1167:
	global_load_u16 v10, v[7:8], off
	s_waitcnt vmcnt(0)
	v_cvt_f32_f16_e32 v12, v10
.LBB201_1168:
	s_cbranch_execnz .LBB201_1187
.LBB201_1169:
	v_cmp_gt_i16_e32 vcc_lo, 2, v9
	s_cbranch_vccnz .LBB201_1173
; %bb.1170:
	v_cmp_gt_i16_e32 vcc_lo, 3, v9
	s_cbranch_vccnz .LBB201_1174
; %bb.1171:
	v_cmp_lt_i16_e32 vcc_lo, 3, v9
	s_cbranch_vccz .LBB201_1175
; %bb.1172:
	global_load_b64 v[10:11], v[7:8], off
	s_mov_b32 s2, 0
	s_waitcnt vmcnt(0)
	v_xor_b32_e32 v12, v10, v11
	v_cls_i32_e32 v13, v11
	s_delay_alu instid0(VALU_DEP_2) | instskip(NEXT) | instid1(VALU_DEP_2)
	v_ashrrev_i32_e32 v12, 31, v12
	v_add_nc_u32_e32 v13, -1, v13
	s_delay_alu instid0(VALU_DEP_2) | instskip(NEXT) | instid1(VALU_DEP_1)
	v_add_nc_u32_e32 v12, 32, v12
	v_min_u32_e32 v12, v13, v12
	s_delay_alu instid0(VALU_DEP_1) | instskip(NEXT) | instid1(VALU_DEP_1)
	v_lshlrev_b64 v[10:11], v12, v[10:11]
	v_min_u32_e32 v10, 1, v10
	s_delay_alu instid0(VALU_DEP_1) | instskip(SKIP_1) | instid1(VALU_DEP_2)
	v_or_b32_e32 v10, v11, v10
	v_sub_nc_u32_e32 v11, 32, v12
	v_cvt_f32_i32_e32 v10, v10
	s_delay_alu instid0(VALU_DEP_1)
	v_ldexp_f32 v12, v10, v11
	s_branch .LBB201_1176
.LBB201_1173:
                                        ; implicit-def: $vgpr12
	s_branch .LBB201_1182
.LBB201_1174:
	s_mov_b32 s2, -1
                                        ; implicit-def: $vgpr12
	s_branch .LBB201_1179
.LBB201_1175:
	s_mov_b32 s2, -1
                                        ; implicit-def: $vgpr12
.LBB201_1176:
	s_delay_alu instid0(SALU_CYCLE_1)
	s_and_not1_b32 vcc_lo, exec_lo, s2
	s_cbranch_vccnz .LBB201_1178
; %bb.1177:
	global_load_b32 v10, v[7:8], off
	s_waitcnt vmcnt(0)
	v_cvt_f32_i32_e32 v12, v10
.LBB201_1178:
	s_mov_b32 s2, 0
.LBB201_1179:
	s_delay_alu instid0(SALU_CYCLE_1)
	s_and_not1_b32 vcc_lo, exec_lo, s2
	s_cbranch_vccnz .LBB201_1181
; %bb.1180:
	global_load_i16 v10, v[7:8], off
	s_waitcnt vmcnt(0)
	v_cvt_f32_i32_e32 v12, v10
.LBB201_1181:
	s_cbranch_execnz .LBB201_1187
.LBB201_1182:
	v_cmp_lt_i16_e32 vcc_lo, 0, v9
	s_mov_b32 s2, 0
	s_cbranch_vccz .LBB201_1184
; %bb.1183:
	global_load_i8 v10, v[7:8], off
	s_waitcnt vmcnt(0)
	v_cvt_f32_i32_e32 v12, v10
	s_branch .LBB201_1185
.LBB201_1184:
	s_mov_b32 s2, -1
                                        ; implicit-def: $vgpr12
.LBB201_1185:
	s_delay_alu instid0(SALU_CYCLE_1)
	s_and_not1_b32 vcc_lo, exec_lo, s2
	s_cbranch_vccnz .LBB201_1187
; %bb.1186:
	global_load_u8 v7, v[7:8], off
	s_waitcnt vmcnt(0)
	v_cvt_f32_ubyte0_e32 v12, v7
.LBB201_1187:
	s_branch .LBB201_1258
.LBB201_1188:
	s_trap 2
	s_sendmsg_rtn_b32 s0, sendmsg(MSG_RTN_GET_DOORBELL)
	s_mov_b32 ttmp2, m0
	s_waitcnt lgkmcnt(0)
	s_and_b32 s0, s0, 0x3ff
	s_delay_alu instid0(SALU_CYCLE_1) | instskip(NEXT) | instid1(SALU_CYCLE_1)
	s_bitset1_b32 s0, 10
	s_mov_b32 m0, s0
	s_sendmsg sendmsg(MSG_INTERRUPT)
	s_mov_b32 m0, ttmp2
.LBB201_1189:                           ; =>This Inner Loop Header: Depth=1
	s_sethalt 5
	s_branch .LBB201_1189
.LBB201_1190:
	s_trap 2
	s_sendmsg_rtn_b32 s0, sendmsg(MSG_RTN_GET_DOORBELL)
	s_mov_b32 ttmp2, m0
	s_waitcnt lgkmcnt(0)
	s_and_b32 s0, s0, 0x3ff
	s_delay_alu instid0(SALU_CYCLE_1) | instskip(NEXT) | instid1(SALU_CYCLE_1)
	s_bitset1_b32 s0, 10
	s_mov_b32 m0, s0
	s_sendmsg sendmsg(MSG_INTERRUPT)
	s_mov_b32 m0, ttmp2
.LBB201_1191:                           ; =>This Inner Loop Header: Depth=1
	s_sethalt 5
	s_branch .LBB201_1191
.LBB201_1192:
	s_mov_b32 s1, -1
.LBB201_1193:
                                        ; implicit-def: $vgpr12
.LBB201_1194:
	s_and_b32 vcc_lo, exec_lo, s10
	s_cbranch_vccz .LBB201_1197
; %bb.1195:
	v_cmp_eq_u16_e32 vcc_lo, 44, v9
	s_cbranch_vccz .LBB201_1198
; %bb.1196:
	global_load_u8 v10, v[7:8], off
	s_mov_b32 s1, 0
	s_mov_b32 s3, -1
	s_waitcnt vmcnt(0)
	v_lshlrev_b32_e32 v11, 23, v10
	v_cmp_ne_u32_e32 vcc_lo, 0xff, v10
	s_delay_alu instid0(VALU_DEP_2) | instskip(SKIP_1) | instid1(VALU_DEP_2)
	v_cndmask_b32_e32 v11, 0x7f800001, v11, vcc_lo
	v_cmp_ne_u32_e32 vcc_lo, 0, v10
	v_cndmask_b32_e32 v12, 0x400000, v11, vcc_lo
.LBB201_1197:
	s_branch .LBB201_1202
.LBB201_1198:
	s_mov_b32 s1, -1
                                        ; implicit-def: $vgpr12
	s_branch .LBB201_1202
.LBB201_1199:
	v_cmp_eq_u16_e32 vcc_lo, 29, v9
	s_cbranch_vccz .LBB201_1201
; %bb.1200:
	global_load_b64 v[10:11], v[7:8], off
	s_mov_b32 s1, 0
	s_mov_b32 s3, -1
	s_mov_b32 s10, 0
	s_waitcnt vmcnt(0)
	v_clz_i32_u32_e32 v12, v11
	s_delay_alu instid0(VALU_DEP_1) | instskip(NEXT) | instid1(VALU_DEP_1)
	v_min_u32_e32 v12, 32, v12
	v_lshlrev_b64 v[10:11], v12, v[10:11]
	s_delay_alu instid0(VALU_DEP_1) | instskip(NEXT) | instid1(VALU_DEP_1)
	v_min_u32_e32 v10, 1, v10
	v_or_b32_e32 v10, v11, v10
	v_sub_nc_u32_e32 v11, 32, v12
	s_delay_alu instid0(VALU_DEP_2) | instskip(NEXT) | instid1(VALU_DEP_1)
	v_cvt_f32_u32_e32 v10, v10
	v_ldexp_f32 v12, v10, v11
	s_branch .LBB201_1203
.LBB201_1201:
	s_mov_b32 s1, -1
                                        ; implicit-def: $vgpr12
.LBB201_1202:
	s_mov_b32 s10, 0
.LBB201_1203:
	s_delay_alu instid0(SALU_CYCLE_1)
	s_and_b32 vcc_lo, exec_lo, s10
	s_cbranch_vccz .LBB201_1221
; %bb.1204:
	v_cmp_gt_i16_e32 vcc_lo, 27, v9
	s_cbranch_vccnz .LBB201_1207
; %bb.1205:
	v_cmp_lt_i16_e32 vcc_lo, 27, v9
	s_cbranch_vccz .LBB201_1208
; %bb.1206:
	global_load_b32 v10, v[7:8], off
	s_mov_b32 s3, 0
	s_waitcnt vmcnt(0)
	v_cvt_f32_u32_e32 v12, v10
	s_branch .LBB201_1209
.LBB201_1207:
	s_mov_b32 s3, -1
                                        ; implicit-def: $vgpr12
	s_branch .LBB201_1212
.LBB201_1208:
	s_mov_b32 s3, -1
                                        ; implicit-def: $vgpr12
.LBB201_1209:
	s_delay_alu instid0(SALU_CYCLE_1)
	s_and_not1_b32 vcc_lo, exec_lo, s3
	s_cbranch_vccnz .LBB201_1211
; %bb.1210:
	global_load_u16 v10, v[7:8], off
	s_waitcnt vmcnt(0)
	v_cvt_f32_u32_e32 v12, v10
.LBB201_1211:
	s_mov_b32 s3, 0
.LBB201_1212:
	s_delay_alu instid0(SALU_CYCLE_1)
	s_and_not1_b32 vcc_lo, exec_lo, s3
	s_cbranch_vccnz .LBB201_1220
; %bb.1213:
	global_load_u8 v10, v[7:8], off
	s_mov_b32 s3, 0
	s_mov_b32 s11, exec_lo
                                        ; implicit-def: $sgpr10
	s_waitcnt vmcnt(0)
	v_cmpx_lt_i16_e32 0x7f, v10
	s_xor_b32 s11, exec_lo, s11
	s_cbranch_execz .LBB201_1233
; %bb.1214:
	s_mov_b32 s3, -1
	s_mov_b32 s12, exec_lo
                                        ; implicit-def: $sgpr10
	v_cmpx_eq_u16_e32 0x80, v10
; %bb.1215:
	s_mov_b32 s10, 0x7f800001
	s_xor_b32 s3, exec_lo, -1
; %bb.1216:
	s_or_b32 exec_lo, exec_lo, s12
	s_delay_alu instid0(SALU_CYCLE_1)
	s_and_b32 s3, s3, exec_lo
	s_or_saveexec_b32 s11, s11
	v_mov_b32_e32 v12, s10
	s_xor_b32 exec_lo, exec_lo, s11
	s_cbranch_execnz .LBB201_1234
.LBB201_1217:
	s_or_b32 exec_lo, exec_lo, s11
	s_and_saveexec_b32 s10, s3
	s_cbranch_execz .LBB201_1219
.LBB201_1218:
	v_and_b32_e32 v11, 0xffff, v10
	v_lshlrev_b32_e32 v10, 24, v10
	s_delay_alu instid0(VALU_DEP_2) | instskip(NEXT) | instid1(VALU_DEP_2)
	v_and_b32_e32 v12, 7, v11
	v_and_b32_e32 v10, 0x80000000, v10
	s_delay_alu instid0(VALU_DEP_2) | instskip(NEXT) | instid1(VALU_DEP_1)
	v_clz_i32_u32_e32 v13, v12
	v_min_u32_e32 v13, 32, v13
	s_delay_alu instid0(VALU_DEP_1) | instskip(SKIP_1) | instid1(VALU_DEP_2)
	v_subrev_nc_u32_e32 v14, 28, v13
	v_sub_nc_u32_e32 v13, 29, v13
	v_lshlrev_b32_e32 v14, v14, v11
	v_bfe_u32 v11, v11, 3, 4
	s_delay_alu instid0(VALU_DEP_2) | instskip(NEXT) | instid1(VALU_DEP_2)
	v_and_b32_e32 v14, 7, v14
	v_cmp_eq_u32_e32 vcc_lo, 0, v11
	s_delay_alu instid0(VALU_DEP_2) | instskip(NEXT) | instid1(VALU_DEP_1)
	v_dual_cndmask_b32 v11, v11, v13 :: v_dual_cndmask_b32 v12, v12, v14
	v_lshl_add_u32 v11, v11, 23, 0x3b800000
	s_delay_alu instid0(VALU_DEP_2) | instskip(NEXT) | instid1(VALU_DEP_1)
	v_lshlrev_b32_e32 v12, 20, v12
	v_or3_b32 v12, v10, v11, v12
.LBB201_1219:
	s_or_b32 exec_lo, exec_lo, s10
.LBB201_1220:
	s_mov_b32 s3, -1
.LBB201_1221:
	s_branch .LBB201_1253
.LBB201_1222:
	v_cmp_lt_i16_e32 vcc_lo, 22, v9
	s_cbranch_vccz .LBB201_1232
; %bb.1223:
	v_cmp_gt_i16_e32 vcc_lo, 24, v9
	s_cbranch_vccnz .LBB201_1235
; %bb.1224:
	v_cmp_lt_i16_e32 vcc_lo, 24, v9
	s_cbranch_vccz .LBB201_1236
; %bb.1225:
	global_load_u8 v10, v[7:8], off
	s_mov_b32 s10, exec_lo
                                        ; implicit-def: $sgpr3
	s_waitcnt vmcnt(0)
	v_cmpx_lt_i16_e32 0x7f, v10
	s_xor_b32 s10, exec_lo, s10
	s_cbranch_execz .LBB201_1247
; %bb.1226:
	s_mov_b32 s2, -1
	s_mov_b32 s11, exec_lo
                                        ; implicit-def: $sgpr3
	v_cmpx_eq_u16_e32 0x80, v10
; %bb.1227:
	s_mov_b32 s3, 0x7f800001
	s_xor_b32 s2, exec_lo, -1
; %bb.1228:
	s_or_b32 exec_lo, exec_lo, s11
	s_delay_alu instid0(SALU_CYCLE_1)
	s_and_b32 s2, s2, exec_lo
	s_or_saveexec_b32 s10, s10
	v_mov_b32_e32 v12, s3
	s_xor_b32 exec_lo, exec_lo, s10
	s_cbranch_execnz .LBB201_1248
.LBB201_1229:
	s_or_b32 exec_lo, exec_lo, s10
	s_and_saveexec_b32 s3, s2
	s_cbranch_execz .LBB201_1231
.LBB201_1230:
	v_and_b32_e32 v11, 0xffff, v10
	v_lshlrev_b32_e32 v10, 24, v10
	s_delay_alu instid0(VALU_DEP_2) | instskip(NEXT) | instid1(VALU_DEP_2)
	v_and_b32_e32 v12, 3, v11
	v_and_b32_e32 v10, 0x80000000, v10
	s_delay_alu instid0(VALU_DEP_2) | instskip(NEXT) | instid1(VALU_DEP_1)
	v_clz_i32_u32_e32 v13, v12
	v_min_u32_e32 v13, 32, v13
	s_delay_alu instid0(VALU_DEP_1) | instskip(SKIP_1) | instid1(VALU_DEP_2)
	v_subrev_nc_u32_e32 v14, 29, v13
	v_sub_nc_u32_e32 v13, 30, v13
	v_lshlrev_b32_e32 v14, v14, v11
	v_bfe_u32 v11, v11, 2, 5
	s_delay_alu instid0(VALU_DEP_2) | instskip(NEXT) | instid1(VALU_DEP_2)
	v_and_b32_e32 v14, 3, v14
	v_cmp_eq_u32_e32 vcc_lo, 0, v11
	s_delay_alu instid0(VALU_DEP_2) | instskip(NEXT) | instid1(VALU_DEP_1)
	v_dual_cndmask_b32 v11, v11, v13 :: v_dual_cndmask_b32 v12, v12, v14
	v_lshl_add_u32 v11, v11, 23, 0x37800000
	s_delay_alu instid0(VALU_DEP_2) | instskip(NEXT) | instid1(VALU_DEP_1)
	v_lshlrev_b32_e32 v12, 21, v12
	v_or3_b32 v12, v10, v11, v12
.LBB201_1231:
	s_or_b32 exec_lo, exec_lo, s3
	s_mov_b32 s2, 0
	s_branch .LBB201_1237
.LBB201_1232:
                                        ; implicit-def: $vgpr12
	s_mov_b32 s2, 0
	s_branch .LBB201_1243
.LBB201_1233:
	s_or_saveexec_b32 s11, s11
	v_mov_b32_e32 v12, s10
	s_xor_b32 exec_lo, exec_lo, s11
	s_cbranch_execz .LBB201_1217
.LBB201_1234:
	v_cmp_ne_u16_e32 vcc_lo, 0, v10
	v_mov_b32_e32 v12, 0
	s_and_not1_b32 s3, s3, exec_lo
	s_and_b32 s10, vcc_lo, exec_lo
	s_delay_alu instid0(SALU_CYCLE_1)
	s_or_b32 s3, s3, s10
	s_or_b32 exec_lo, exec_lo, s11
	s_and_saveexec_b32 s10, s3
	s_cbranch_execnz .LBB201_1218
	s_branch .LBB201_1219
.LBB201_1235:
	s_mov_b32 s2, -1
                                        ; implicit-def: $vgpr12
	s_branch .LBB201_1240
.LBB201_1236:
	s_mov_b32 s2, -1
                                        ; implicit-def: $vgpr12
.LBB201_1237:
	s_delay_alu instid0(SALU_CYCLE_1)
	s_and_b32 vcc_lo, exec_lo, s2
	s_cbranch_vccz .LBB201_1239
; %bb.1238:
	global_load_u8 v10, v[7:8], off
	s_waitcnt vmcnt(0)
	v_lshlrev_b32_e32 v10, 24, v10
	s_delay_alu instid0(VALU_DEP_1) | instskip(NEXT) | instid1(VALU_DEP_1)
	v_and_b32_e32 v11, 0x7f000000, v10
	v_clz_i32_u32_e32 v12, v11
	v_add_nc_u32_e32 v14, 0x1000000, v11
	v_cmp_ne_u32_e32 vcc_lo, 0, v11
	s_delay_alu instid0(VALU_DEP_3) | instskip(NEXT) | instid1(VALU_DEP_1)
	v_min_u32_e32 v12, 32, v12
	v_sub_nc_u32_e64 v12, v12, 4 clamp
	s_delay_alu instid0(VALU_DEP_1) | instskip(SKIP_1) | instid1(VALU_DEP_2)
	v_lshlrev_b32_e32 v13, v12, v11
	v_lshlrev_b32_e32 v12, 23, v12
	v_lshrrev_b32_e32 v13, 4, v13
	s_delay_alu instid0(VALU_DEP_1) | instskip(SKIP_1) | instid1(VALU_DEP_2)
	v_sub_nc_u32_e32 v12, v13, v12
	v_ashrrev_i32_e32 v13, 8, v14
	v_add_nc_u32_e32 v12, 0x3c000000, v12
	s_delay_alu instid0(VALU_DEP_1) | instskip(NEXT) | instid1(VALU_DEP_1)
	v_and_or_b32 v12, 0x7f800000, v13, v12
	v_cndmask_b32_e32 v11, 0, v12, vcc_lo
	s_delay_alu instid0(VALU_DEP_1)
	v_and_or_b32 v12, 0x80000000, v10, v11
.LBB201_1239:
	s_mov_b32 s2, 0
.LBB201_1240:
	s_delay_alu instid0(SALU_CYCLE_1)
	s_and_not1_b32 vcc_lo, exec_lo, s2
	s_cbranch_vccnz .LBB201_1242
; %bb.1241:
	global_load_u8 v10, v[7:8], off
	s_waitcnt vmcnt(0)
	v_lshlrev_b32_e32 v11, 25, v10
	v_lshlrev_b16 v10, 8, v10
	s_delay_alu instid0(VALU_DEP_2) | instskip(NEXT) | instid1(VALU_DEP_2)
	v_lshrrev_b32_e32 v12, 4, v11
	v_and_or_b32 v13, 0x7f00, v10, 0.5
	v_bfe_i32 v10, v10, 0, 16
	s_delay_alu instid0(VALU_DEP_3) | instskip(NEXT) | instid1(VALU_DEP_1)
	v_or_b32_e32 v12, 0x70000000, v12
	v_dual_add_f32 v13, -0.5, v13 :: v_dual_mul_f32 v12, 0x7800000, v12
	v_cmp_gt_u32_e32 vcc_lo, 0x8000000, v11
	s_delay_alu instid0(VALU_DEP_2) | instskip(NEXT) | instid1(VALU_DEP_1)
	v_cndmask_b32_e32 v11, v12, v13, vcc_lo
	v_and_or_b32 v12, 0x80000000, v10, v11
.LBB201_1242:
	s_mov_b32 s3, -1
	s_mov_b32 s2, 0
	s_cbranch_execnz .LBB201_1253
.LBB201_1243:
	v_cmp_lt_i16_e32 vcc_lo, 14, v9
	s_cbranch_vccz .LBB201_1246
; %bb.1244:
	v_cmp_eq_u16_e32 vcc_lo, 15, v9
	s_cbranch_vccz .LBB201_1249
; %bb.1245:
	global_load_u16 v10, v[7:8], off
	s_mov_b32 s1, 0
	s_mov_b32 s3, -1
	s_waitcnt vmcnt(0)
	v_lshlrev_b32_e32 v12, 16, v10
	s_branch .LBB201_1251
.LBB201_1246:
	s_mov_b32 s2, -1
	s_branch .LBB201_1250
.LBB201_1247:
	s_or_saveexec_b32 s10, s10
	v_mov_b32_e32 v12, s3
	s_xor_b32 exec_lo, exec_lo, s10
	s_cbranch_execz .LBB201_1229
.LBB201_1248:
	v_cmp_ne_u16_e32 vcc_lo, 0, v10
	v_mov_b32_e32 v12, 0
	s_and_not1_b32 s2, s2, exec_lo
	s_and_b32 s3, vcc_lo, exec_lo
	s_delay_alu instid0(SALU_CYCLE_1)
	s_or_b32 s2, s2, s3
	s_or_b32 exec_lo, exec_lo, s10
	s_and_saveexec_b32 s3, s2
	s_cbranch_execnz .LBB201_1230
	s_branch .LBB201_1231
.LBB201_1249:
	s_mov_b32 s1, -1
.LBB201_1250:
                                        ; implicit-def: $vgpr12
.LBB201_1251:
	s_and_b32 vcc_lo, exec_lo, s2
	s_mov_b32 s2, 0
	s_cbranch_vccz .LBB201_1253
; %bb.1252:
	v_cmp_ne_u16_e64 s1, 11, v9
	s_mov_b32 s2, -1
                                        ; implicit-def: $vgpr12
.LBB201_1253:
	s_delay_alu instid0(VALU_DEP_1)
	s_and_b32 vcc_lo, exec_lo, s1
	s_mov_b32 s1, s8
	s_cbranch_vccnz .LBB201_1277
; %bb.1254:
	s_and_not1_b32 vcc_lo, exec_lo, s2
	s_cbranch_vccnz .LBB201_1256
.LBB201_1255:
	global_load_u8 v10, v[7:8], off
	s_mov_b32 s3, -1
	s_waitcnt vmcnt(0)
	v_cmp_ne_u16_e32 vcc_lo, 0, v10
	v_cndmask_b32_e64 v12, 0, 1.0, vcc_lo
.LBB201_1256:
.LBB201_1257:
	s_and_not1_b32 vcc_lo, exec_lo, s3
	s_cbranch_vccnz .LBB201_2090
.LBB201_1258:
	v_cmp_gt_i16_e32 vcc_lo, 11, v9
	s_waitcnt vmcnt(0)
	v_add_co_u32 v6, s2, s6, v6
	s_delay_alu instid0(VALU_DEP_1)
	v_add_co_ci_u32_e64 v7, null, s7, 0, s2
	s_mov_b32 s10, 0
	s_cbranch_vccnz .LBB201_1265
; %bb.1259:
	v_cmp_lt_i16_e32 vcc_lo, 25, v9
	s_mov_b32 s3, 0
	s_cbranch_vccz .LBB201_1271
; %bb.1260:
	v_cmp_lt_i16_e32 vcc_lo, 28, v9
	s_cbranch_vccz .LBB201_1273
; %bb.1261:
	v_cmp_lt_i16_e32 vcc_lo, 43, v9
	s_cbranch_vccz .LBB201_1275
; %bb.1262:
	v_cmp_lt_i16_e32 vcc_lo, 45, v9
	s_cbranch_vccz .LBB201_1281
; %bb.1263:
	v_cmp_eq_u16_e32 vcc_lo, 46, v9
	s_mov_b32 s11, 0
	s_cbranch_vccz .LBB201_1325
; %bb.1264:
	global_load_b32 v8, v[6:7], off
	s_mov_b32 s2, 0
	s_mov_b32 s10, -1
	s_waitcnt vmcnt(0)
	v_lshlrev_b32_e32 v8, 16, v8
	s_branch .LBB201_1327
.LBB201_1265:
                                        ; implicit-def: $vgpr8
	s_cbranch_execz .LBB201_1392
; %bb.1266:
	v_cmp_gt_i16_e32 vcc_lo, 5, v9
	s_cbranch_vccnz .LBB201_1272
; %bb.1267:
	v_cmp_gt_i16_e32 vcc_lo, 8, v9
	s_cbranch_vccnz .LBB201_1274
	;; [unrolled: 3-line block ×3, first 2 shown]
; %bb.1269:
	v_cmp_lt_i16_e32 vcc_lo, 9, v9
	s_cbranch_vccz .LBB201_1282
; %bb.1270:
	global_load_b64 v[10:11], v[6:7], off
	s_mov_b32 s2, 0
	s_waitcnt vmcnt(0)
	v_cvt_f32_f64_e32 v8, v[10:11]
	s_branch .LBB201_1283
.LBB201_1271:
	s_mov_b32 s2, 0
                                        ; implicit-def: $vgpr8
	s_cbranch_execnz .LBB201_1356
	s_branch .LBB201_1388
.LBB201_1272:
                                        ; implicit-def: $vgpr8
	s_branch .LBB201_1301
.LBB201_1273:
	s_mov_b32 s11, -1
	s_mov_b32 s2, 0
                                        ; implicit-def: $vgpr8
	s_branch .LBB201_1337
.LBB201_1274:
	s_mov_b32 s2, -1
                                        ; implicit-def: $vgpr8
	s_branch .LBB201_1289
.LBB201_1275:
	s_mov_b32 s11, -1
	s_mov_b32 s2, 0
                                        ; implicit-def: $vgpr8
	s_branch .LBB201_1332
.LBB201_1276:
	s_mov_b32 s2, -1
                                        ; implicit-def: $vgpr8
	s_branch .LBB201_1286
.LBB201_1277:
	s_cbranch_execnz .LBB201_1321
; %bb.1278:
	s_or_b32 s1, s8, exec_lo
                                        ; implicit-def: $vgpr12
	s_cbranch_execz .LBB201_1255
	s_branch .LBB201_1256
.LBB201_1279:
	s_or_saveexec_b32 s7, s7
                                        ; implicit-def: $sgpr8
	s_delay_alu instid0(SALU_CYCLE_1)
	s_xor_b32 exec_lo, exec_lo, s7
	s_cbranch_execz .LBB201_987
.LBB201_1280:
	v_add_f32_e64 v0, 0x46000000, |v3|
	s_and_not1_b32 s5, s5, exec_lo
	s_mov_b32 s8, 0
	s_delay_alu instid0(VALU_DEP_1) | instskip(NEXT) | instid1(VALU_DEP_1)
	v_and_b32_e32 v0, 0xff, v0
	v_cmp_ne_u32_e32 vcc_lo, 0, v0
	s_and_b32 s9, vcc_lo, exec_lo
	s_delay_alu instid0(SALU_CYCLE_1)
	s_or_b32 s5, s5, s9
	s_or_b32 exec_lo, exec_lo, s7
	v_mov_b32_e32 v4, s8
	s_and_saveexec_b32 s7, s5
	s_cbranch_execnz .LBB201_988
	s_branch .LBB201_989
.LBB201_1281:
	s_mov_b32 s11, -1
	s_mov_b32 s2, 0
	s_branch .LBB201_1326
.LBB201_1282:
	s_mov_b32 s2, -1
                                        ; implicit-def: $vgpr8
.LBB201_1283:
	s_delay_alu instid0(SALU_CYCLE_1)
	s_and_not1_b32 vcc_lo, exec_lo, s2
	s_cbranch_vccnz .LBB201_1285
; %bb.1284:
	global_load_b32 v8, v[6:7], off
.LBB201_1285:
	s_mov_b32 s2, 0
.LBB201_1286:
	s_delay_alu instid0(SALU_CYCLE_1)
	s_and_not1_b32 vcc_lo, exec_lo, s2
	s_cbranch_vccnz .LBB201_1288
; %bb.1287:
	global_load_b32 v8, v[6:7], off
	s_waitcnt vmcnt(0)
	v_cvt_f32_f16_e32 v8, v8
.LBB201_1288:
	s_mov_b32 s2, 0
.LBB201_1289:
	s_delay_alu instid0(SALU_CYCLE_1)
	s_and_not1_b32 vcc_lo, exec_lo, s2
	s_cbranch_vccnz .LBB201_1300
; %bb.1290:
	v_cmp_gt_i16_e32 vcc_lo, 6, v9
	s_cbranch_vccnz .LBB201_1293
; %bb.1291:
	v_cmp_lt_i16_e32 vcc_lo, 6, v9
	s_cbranch_vccz .LBB201_1294
; %bb.1292:
	global_load_b64 v[10:11], v[6:7], off
	s_mov_b32 s2, 0
	s_waitcnt vmcnt(0)
	v_cvt_f32_f64_e32 v8, v[10:11]
	s_branch .LBB201_1295
.LBB201_1293:
	s_mov_b32 s2, -1
                                        ; implicit-def: $vgpr8
	s_branch .LBB201_1298
.LBB201_1294:
	s_mov_b32 s2, -1
                                        ; implicit-def: $vgpr8
.LBB201_1295:
	s_delay_alu instid0(SALU_CYCLE_1)
	s_and_not1_b32 vcc_lo, exec_lo, s2
	s_cbranch_vccnz .LBB201_1297
; %bb.1296:
	global_load_b32 v8, v[6:7], off
.LBB201_1297:
	s_mov_b32 s2, 0
.LBB201_1298:
	s_delay_alu instid0(SALU_CYCLE_1)
	s_and_not1_b32 vcc_lo, exec_lo, s2
	s_cbranch_vccnz .LBB201_1300
; %bb.1299:
	global_load_u16 v8, v[6:7], off
	s_waitcnt vmcnt(0)
	v_cvt_f32_f16_e32 v8, v8
.LBB201_1300:
	s_cbranch_execnz .LBB201_1320
.LBB201_1301:
	v_cmp_gt_i16_e32 vcc_lo, 2, v9
	s_cbranch_vccnz .LBB201_1305
; %bb.1302:
	v_cmp_gt_i16_e32 vcc_lo, 3, v9
	s_cbranch_vccnz .LBB201_1306
; %bb.1303:
	v_cmp_lt_i16_e32 vcc_lo, 3, v9
	s_cbranch_vccz .LBB201_1307
; %bb.1304:
	global_load_b64 v[10:11], v[6:7], off
	s_mov_b32 s2, 0
	s_waitcnt vmcnt(0)
	v_xor_b32_e32 v8, v10, v11
	v_cls_i32_e32 v13, v11
	s_delay_alu instid0(VALU_DEP_2) | instskip(NEXT) | instid1(VALU_DEP_2)
	v_ashrrev_i32_e32 v8, 31, v8
	v_add_nc_u32_e32 v13, -1, v13
	s_delay_alu instid0(VALU_DEP_2) | instskip(NEXT) | instid1(VALU_DEP_1)
	v_add_nc_u32_e32 v8, 32, v8
	v_min_u32_e32 v8, v13, v8
	s_delay_alu instid0(VALU_DEP_1) | instskip(SKIP_1) | instid1(VALU_DEP_2)
	v_lshlrev_b64 v[10:11], v8, v[10:11]
	v_sub_nc_u32_e32 v8, 32, v8
	v_min_u32_e32 v10, 1, v10
	s_delay_alu instid0(VALU_DEP_1) | instskip(NEXT) | instid1(VALU_DEP_1)
	v_or_b32_e32 v10, v11, v10
	v_cvt_f32_i32_e32 v10, v10
	s_delay_alu instid0(VALU_DEP_1)
	v_ldexp_f32 v8, v10, v8
	s_branch .LBB201_1308
.LBB201_1305:
	s_mov_b32 s2, -1
                                        ; implicit-def: $vgpr8
	s_branch .LBB201_1314
.LBB201_1306:
	s_mov_b32 s2, -1
                                        ; implicit-def: $vgpr8
	s_branch .LBB201_1311
.LBB201_1307:
	s_mov_b32 s2, -1
                                        ; implicit-def: $vgpr8
.LBB201_1308:
	s_delay_alu instid0(SALU_CYCLE_1)
	s_and_not1_b32 vcc_lo, exec_lo, s2
	s_cbranch_vccnz .LBB201_1310
; %bb.1309:
	global_load_b32 v8, v[6:7], off
	s_waitcnt vmcnt(0)
	v_cvt_f32_i32_e32 v8, v8
.LBB201_1310:
	s_mov_b32 s2, 0
.LBB201_1311:
	s_delay_alu instid0(SALU_CYCLE_1)
	s_and_not1_b32 vcc_lo, exec_lo, s2
	s_cbranch_vccnz .LBB201_1313
; %bb.1312:
	global_load_i16 v8, v[6:7], off
	s_waitcnt vmcnt(0)
	v_cvt_f32_i32_e32 v8, v8
.LBB201_1313:
	s_mov_b32 s2, 0
.LBB201_1314:
	s_delay_alu instid0(SALU_CYCLE_1)
	s_and_not1_b32 vcc_lo, exec_lo, s2
	s_cbranch_vccnz .LBB201_1320
; %bb.1315:
	v_cmp_lt_i16_e32 vcc_lo, 0, v9
	s_mov_b32 s2, 0
	s_cbranch_vccz .LBB201_1317
; %bb.1316:
	global_load_i8 v8, v[6:7], off
	s_waitcnt vmcnt(0)
	v_cvt_f32_i32_e32 v8, v8
	s_branch .LBB201_1318
.LBB201_1317:
	s_mov_b32 s2, -1
                                        ; implicit-def: $vgpr8
.LBB201_1318:
	s_delay_alu instid0(SALU_CYCLE_1)
	s_and_not1_b32 vcc_lo, exec_lo, s2
	s_cbranch_vccnz .LBB201_1320
; %bb.1319:
	global_load_u8 v6, v[6:7], off
	s_waitcnt vmcnt(0)
	v_cvt_f32_ubyte0_e32 v8, v6
.LBB201_1320:
	s_branch .LBB201_1393
.LBB201_1321:
	s_trap 2
	s_sendmsg_rtn_b32 s0, sendmsg(MSG_RTN_GET_DOORBELL)
	s_mov_b32 ttmp2, m0
	s_waitcnt lgkmcnt(0)
	s_and_b32 s0, s0, 0x3ff
	s_delay_alu instid0(SALU_CYCLE_1) | instskip(NEXT) | instid1(SALU_CYCLE_1)
	s_bitset1_b32 s0, 10
	s_mov_b32 m0, s0
	s_sendmsg sendmsg(MSG_INTERRUPT)
	s_mov_b32 m0, ttmp2
.LBB201_1322:                           ; =>This Inner Loop Header: Depth=1
	s_sethalt 5
	s_branch .LBB201_1322
.LBB201_1323:
	s_or_saveexec_b32 s8, s8
                                        ; implicit-def: $sgpr9
	s_delay_alu instid0(SALU_CYCLE_1)
	s_xor_b32 exec_lo, exec_lo, s8
	s_cbranch_execz .LBB201_999
.LBB201_1324:
	v_add_f32_e64 v0, 0x42800000, |v3|
	s_and_not1_b32 s7, s7, exec_lo
	s_mov_b32 s9, 0
	s_delay_alu instid0(VALU_DEP_1) | instskip(NEXT) | instid1(VALU_DEP_1)
	v_and_b32_e32 v0, 0xff, v0
	v_cmp_ne_u32_e32 vcc_lo, 0, v0
	s_and_b32 s10, vcc_lo, exec_lo
	s_delay_alu instid0(SALU_CYCLE_1)
	s_or_b32 s7, s7, s10
	s_or_b32 exec_lo, exec_lo, s8
	v_mov_b32_e32 v4, s9
	s_and_saveexec_b32 s8, s7
	s_cbranch_execnz .LBB201_1000
	s_branch .LBB201_1001
.LBB201_1325:
	s_mov_b32 s2, -1
.LBB201_1326:
                                        ; implicit-def: $vgpr8
.LBB201_1327:
	s_and_b32 vcc_lo, exec_lo, s11
	s_cbranch_vccz .LBB201_1331
; %bb.1328:
	v_cmp_eq_u16_e32 vcc_lo, 44, v9
	s_cbranch_vccz .LBB201_1330
; %bb.1329:
	global_load_u8 v8, v[6:7], off
	s_mov_b32 s2, 0
	s_mov_b32 s10, -1
	s_waitcnt vmcnt(0)
	v_lshlrev_b32_e32 v10, 23, v8
	v_cmp_ne_u32_e32 vcc_lo, 0xff, v8
	s_delay_alu instid0(VALU_DEP_2) | instskip(SKIP_1) | instid1(VALU_DEP_2)
	v_cndmask_b32_e32 v10, 0x7f800001, v10, vcc_lo
	v_cmp_ne_u32_e32 vcc_lo, 0, v8
	v_cndmask_b32_e32 v8, 0x400000, v10, vcc_lo
	s_branch .LBB201_1331
.LBB201_1330:
	s_mov_b32 s2, -1
                                        ; implicit-def: $vgpr8
.LBB201_1331:
	s_mov_b32 s11, 0
.LBB201_1332:
	s_delay_alu instid0(SALU_CYCLE_1)
	s_and_b32 vcc_lo, exec_lo, s11
	s_cbranch_vccz .LBB201_1336
; %bb.1333:
	v_cmp_eq_u16_e32 vcc_lo, 29, v9
	s_cbranch_vccz .LBB201_1335
; %bb.1334:
	global_load_b64 v[10:11], v[6:7], off
	s_mov_b32 s2, 0
	s_mov_b32 s10, -1
	s_mov_b32 s11, 0
	s_waitcnt vmcnt(0)
	v_clz_i32_u32_e32 v8, v11
	s_delay_alu instid0(VALU_DEP_1) | instskip(NEXT) | instid1(VALU_DEP_1)
	v_min_u32_e32 v8, 32, v8
	v_lshlrev_b64 v[10:11], v8, v[10:11]
	v_sub_nc_u32_e32 v8, 32, v8
	s_delay_alu instid0(VALU_DEP_2) | instskip(NEXT) | instid1(VALU_DEP_1)
	v_min_u32_e32 v10, 1, v10
	v_or_b32_e32 v10, v11, v10
	s_delay_alu instid0(VALU_DEP_1) | instskip(NEXT) | instid1(VALU_DEP_1)
	v_cvt_f32_u32_e32 v10, v10
	v_ldexp_f32 v8, v10, v8
	s_branch .LBB201_1337
.LBB201_1335:
	s_mov_b32 s2, -1
                                        ; implicit-def: $vgpr8
.LBB201_1336:
	s_mov_b32 s11, 0
.LBB201_1337:
	s_delay_alu instid0(SALU_CYCLE_1)
	s_and_b32 vcc_lo, exec_lo, s11
	s_cbranch_vccz .LBB201_1355
; %bb.1338:
	v_cmp_gt_i16_e32 vcc_lo, 27, v9
	s_cbranch_vccnz .LBB201_1341
; %bb.1339:
	v_cmp_lt_i16_e32 vcc_lo, 27, v9
	s_cbranch_vccz .LBB201_1342
; %bb.1340:
	global_load_b32 v8, v[6:7], off
	s_mov_b32 s10, 0
	s_waitcnt vmcnt(0)
	v_cvt_f32_u32_e32 v8, v8
	s_branch .LBB201_1343
.LBB201_1341:
	s_mov_b32 s10, -1
                                        ; implicit-def: $vgpr8
	s_branch .LBB201_1346
.LBB201_1342:
	s_mov_b32 s10, -1
                                        ; implicit-def: $vgpr8
.LBB201_1343:
	s_delay_alu instid0(SALU_CYCLE_1)
	s_and_not1_b32 vcc_lo, exec_lo, s10
	s_cbranch_vccnz .LBB201_1345
; %bb.1344:
	global_load_u16 v8, v[6:7], off
	s_waitcnt vmcnt(0)
	v_cvt_f32_u32_e32 v8, v8
.LBB201_1345:
	s_mov_b32 s10, 0
.LBB201_1346:
	s_delay_alu instid0(SALU_CYCLE_1)
	s_and_not1_b32 vcc_lo, exec_lo, s10
	s_cbranch_vccnz .LBB201_1354
; %bb.1347:
	global_load_u8 v10, v[6:7], off
	s_mov_b32 s10, 0
	s_mov_b32 s12, exec_lo
                                        ; implicit-def: $sgpr11
	s_waitcnt vmcnt(0)
	v_cmpx_lt_i16_e32 0x7f, v10
	s_xor_b32 s12, exec_lo, s12
	s_cbranch_execz .LBB201_1367
; %bb.1348:
	s_mov_b32 s10, -1
	s_mov_b32 s13, exec_lo
                                        ; implicit-def: $sgpr11
	v_cmpx_eq_u16_e32 0x80, v10
; %bb.1349:
	s_mov_b32 s11, 0x7f800001
	s_xor_b32 s10, exec_lo, -1
; %bb.1350:
	s_or_b32 exec_lo, exec_lo, s13
	s_delay_alu instid0(SALU_CYCLE_1)
	s_and_b32 s10, s10, exec_lo
	s_or_saveexec_b32 s12, s12
	v_mov_b32_e32 v8, s11
	s_xor_b32 exec_lo, exec_lo, s12
	s_cbranch_execnz .LBB201_1368
.LBB201_1351:
	s_or_b32 exec_lo, exec_lo, s12
	s_and_saveexec_b32 s11, s10
	s_cbranch_execz .LBB201_1353
.LBB201_1352:
	v_and_b32_e32 v8, 0xffff, v10
	v_lshlrev_b32_e32 v10, 24, v10
	s_delay_alu instid0(VALU_DEP_2) | instskip(NEXT) | instid1(VALU_DEP_2)
	v_and_b32_e32 v11, 7, v8
	v_and_b32_e32 v10, 0x80000000, v10
	s_delay_alu instid0(VALU_DEP_2) | instskip(NEXT) | instid1(VALU_DEP_1)
	v_clz_i32_u32_e32 v13, v11
	v_min_u32_e32 v13, 32, v13
	s_delay_alu instid0(VALU_DEP_1) | instskip(SKIP_1) | instid1(VALU_DEP_2)
	v_subrev_nc_u32_e32 v14, 28, v13
	v_sub_nc_u32_e32 v13, 29, v13
	v_lshlrev_b32_e32 v14, v14, v8
	v_bfe_u32 v8, v8, 3, 4
	s_delay_alu instid0(VALU_DEP_2) | instskip(NEXT) | instid1(VALU_DEP_2)
	v_and_b32_e32 v14, 7, v14
	v_cmp_eq_u32_e32 vcc_lo, 0, v8
	s_delay_alu instid0(VALU_DEP_2) | instskip(NEXT) | instid1(VALU_DEP_1)
	v_dual_cndmask_b32 v8, v8, v13 :: v_dual_cndmask_b32 v11, v11, v14
	v_lshl_add_u32 v8, v8, 23, 0x3b800000
	s_delay_alu instid0(VALU_DEP_2) | instskip(NEXT) | instid1(VALU_DEP_1)
	v_lshlrev_b32_e32 v11, 20, v11
	v_or3_b32 v8, v10, v8, v11
.LBB201_1353:
	s_or_b32 exec_lo, exec_lo, s11
.LBB201_1354:
	s_mov_b32 s10, -1
.LBB201_1355:
	s_branch .LBB201_1388
.LBB201_1356:
	v_cmp_lt_i16_e32 vcc_lo, 22, v9
	s_cbranch_vccz .LBB201_1366
; %bb.1357:
	v_cmp_gt_i16_e32 vcc_lo, 24, v9
	s_cbranch_vccnz .LBB201_1369
; %bb.1358:
	v_cmp_lt_i16_e32 vcc_lo, 24, v9
	s_cbranch_vccz .LBB201_1370
; %bb.1359:
	global_load_u8 v10, v[6:7], off
	s_mov_b32 s11, exec_lo
                                        ; implicit-def: $sgpr10
	s_waitcnt vmcnt(0)
	v_cmpx_lt_i16_e32 0x7f, v10
	s_xor_b32 s11, exec_lo, s11
	s_cbranch_execz .LBB201_1382
; %bb.1360:
	s_mov_b32 s3, -1
	s_mov_b32 s12, exec_lo
                                        ; implicit-def: $sgpr10
	v_cmpx_eq_u16_e32 0x80, v10
; %bb.1361:
	s_mov_b32 s10, 0x7f800001
	s_xor_b32 s3, exec_lo, -1
; %bb.1362:
	s_or_b32 exec_lo, exec_lo, s12
	s_delay_alu instid0(SALU_CYCLE_1)
	s_and_b32 s3, s3, exec_lo
	s_or_saveexec_b32 s11, s11
	v_mov_b32_e32 v8, s10
	s_xor_b32 exec_lo, exec_lo, s11
	s_cbranch_execnz .LBB201_1383
.LBB201_1363:
	s_or_b32 exec_lo, exec_lo, s11
	s_and_saveexec_b32 s10, s3
	s_cbranch_execz .LBB201_1365
.LBB201_1364:
	v_and_b32_e32 v8, 0xffff, v10
	v_lshlrev_b32_e32 v10, 24, v10
	s_delay_alu instid0(VALU_DEP_2) | instskip(NEXT) | instid1(VALU_DEP_2)
	v_and_b32_e32 v11, 3, v8
	v_and_b32_e32 v10, 0x80000000, v10
	s_delay_alu instid0(VALU_DEP_2) | instskip(NEXT) | instid1(VALU_DEP_1)
	v_clz_i32_u32_e32 v13, v11
	v_min_u32_e32 v13, 32, v13
	s_delay_alu instid0(VALU_DEP_1) | instskip(SKIP_1) | instid1(VALU_DEP_2)
	v_subrev_nc_u32_e32 v14, 29, v13
	v_sub_nc_u32_e32 v13, 30, v13
	v_lshlrev_b32_e32 v14, v14, v8
	v_bfe_u32 v8, v8, 2, 5
	s_delay_alu instid0(VALU_DEP_2) | instskip(NEXT) | instid1(VALU_DEP_2)
	v_and_b32_e32 v14, 3, v14
	v_cmp_eq_u32_e32 vcc_lo, 0, v8
	s_delay_alu instid0(VALU_DEP_2) | instskip(NEXT) | instid1(VALU_DEP_1)
	v_dual_cndmask_b32 v8, v8, v13 :: v_dual_cndmask_b32 v11, v11, v14
	v_lshl_add_u32 v8, v8, 23, 0x37800000
	s_delay_alu instid0(VALU_DEP_2) | instskip(NEXT) | instid1(VALU_DEP_1)
	v_lshlrev_b32_e32 v11, 21, v11
	v_or3_b32 v8, v10, v8, v11
.LBB201_1365:
	s_or_b32 exec_lo, exec_lo, s10
	s_mov_b32 s3, 0
	s_branch .LBB201_1371
.LBB201_1366:
	s_mov_b32 s3, -1
                                        ; implicit-def: $vgpr8
	s_branch .LBB201_1377
.LBB201_1367:
	s_or_saveexec_b32 s12, s12
	v_mov_b32_e32 v8, s11
	s_xor_b32 exec_lo, exec_lo, s12
	s_cbranch_execz .LBB201_1351
.LBB201_1368:
	v_cmp_ne_u16_e32 vcc_lo, 0, v10
	v_mov_b32_e32 v8, 0
	s_and_not1_b32 s10, s10, exec_lo
	s_and_b32 s11, vcc_lo, exec_lo
	s_delay_alu instid0(SALU_CYCLE_1)
	s_or_b32 s10, s10, s11
	s_or_b32 exec_lo, exec_lo, s12
	s_and_saveexec_b32 s11, s10
	s_cbranch_execnz .LBB201_1352
	s_branch .LBB201_1353
.LBB201_1369:
	s_mov_b32 s3, -1
                                        ; implicit-def: $vgpr8
	s_branch .LBB201_1374
.LBB201_1370:
	s_mov_b32 s3, -1
                                        ; implicit-def: $vgpr8
.LBB201_1371:
	s_delay_alu instid0(SALU_CYCLE_1)
	s_and_b32 vcc_lo, exec_lo, s3
	s_cbranch_vccz .LBB201_1373
; %bb.1372:
	global_load_u8 v8, v[6:7], off
	s_waitcnt vmcnt(0)
	v_lshlrev_b32_e32 v8, 24, v8
	s_delay_alu instid0(VALU_DEP_1) | instskip(NEXT) | instid1(VALU_DEP_1)
	v_and_b32_e32 v10, 0x7f000000, v8
	v_clz_i32_u32_e32 v11, v10
	v_cmp_ne_u32_e32 vcc_lo, 0, v10
	v_add_nc_u32_e32 v14, 0x1000000, v10
	s_delay_alu instid0(VALU_DEP_3) | instskip(NEXT) | instid1(VALU_DEP_1)
	v_min_u32_e32 v11, 32, v11
	v_sub_nc_u32_e64 v11, v11, 4 clamp
	s_delay_alu instid0(VALU_DEP_1) | instskip(SKIP_1) | instid1(VALU_DEP_2)
	v_lshlrev_b32_e32 v13, v11, v10
	v_lshlrev_b32_e32 v11, 23, v11
	v_lshrrev_b32_e32 v13, 4, v13
	s_delay_alu instid0(VALU_DEP_1) | instskip(SKIP_1) | instid1(VALU_DEP_2)
	v_sub_nc_u32_e32 v11, v13, v11
	v_ashrrev_i32_e32 v13, 8, v14
	v_add_nc_u32_e32 v11, 0x3c000000, v11
	s_delay_alu instid0(VALU_DEP_1) | instskip(NEXT) | instid1(VALU_DEP_1)
	v_and_or_b32 v11, 0x7f800000, v13, v11
	v_cndmask_b32_e32 v10, 0, v11, vcc_lo
	s_delay_alu instid0(VALU_DEP_1)
	v_and_or_b32 v8, 0x80000000, v8, v10
.LBB201_1373:
	s_mov_b32 s3, 0
.LBB201_1374:
	s_delay_alu instid0(SALU_CYCLE_1)
	s_and_not1_b32 vcc_lo, exec_lo, s3
	s_cbranch_vccnz .LBB201_1376
; %bb.1375:
	global_load_u8 v8, v[6:7], off
	s_waitcnt vmcnt(0)
	v_lshlrev_b32_e32 v10, 25, v8
	v_lshlrev_b16 v8, 8, v8
	s_delay_alu instid0(VALU_DEP_1) | instskip(SKIP_1) | instid1(VALU_DEP_2)
	v_and_or_b32 v13, 0x7f00, v8, 0.5
	v_bfe_i32 v8, v8, 0, 16
	v_add_f32_e32 v13, -0.5, v13
	v_lshrrev_b32_e32 v11, 4, v10
	v_cmp_gt_u32_e32 vcc_lo, 0x8000000, v10
	s_delay_alu instid0(VALU_DEP_2) | instskip(NEXT) | instid1(VALU_DEP_1)
	v_or_b32_e32 v11, 0x70000000, v11
	v_mul_f32_e32 v11, 0x7800000, v11
	s_delay_alu instid0(VALU_DEP_1) | instskip(NEXT) | instid1(VALU_DEP_1)
	v_cndmask_b32_e32 v10, v11, v13, vcc_lo
	v_and_or_b32 v8, 0x80000000, v8, v10
.LBB201_1376:
	s_mov_b32 s3, 0
	s_mov_b32 s10, -1
.LBB201_1377:
	s_and_not1_b32 vcc_lo, exec_lo, s3
	s_mov_b32 s3, 0
	s_cbranch_vccnz .LBB201_1388
; %bb.1378:
	v_cmp_lt_i16_e32 vcc_lo, 14, v9
	s_cbranch_vccz .LBB201_1381
; %bb.1379:
	v_cmp_eq_u16_e32 vcc_lo, 15, v9
	s_cbranch_vccz .LBB201_1384
; %bb.1380:
	global_load_u16 v8, v[6:7], off
	s_mov_b32 s2, 0
	s_mov_b32 s10, -1
	s_waitcnt vmcnt(0)
	v_lshlrev_b32_e32 v8, 16, v8
	s_branch .LBB201_1386
.LBB201_1381:
	s_mov_b32 s3, -1
	s_branch .LBB201_1385
.LBB201_1382:
	s_or_saveexec_b32 s11, s11
	v_mov_b32_e32 v8, s10
	s_xor_b32 exec_lo, exec_lo, s11
	s_cbranch_execz .LBB201_1363
.LBB201_1383:
	v_cmp_ne_u16_e32 vcc_lo, 0, v10
	v_mov_b32_e32 v8, 0
	s_and_not1_b32 s3, s3, exec_lo
	s_and_b32 s10, vcc_lo, exec_lo
	s_delay_alu instid0(SALU_CYCLE_1)
	s_or_b32 s3, s3, s10
	s_or_b32 exec_lo, exec_lo, s11
	s_and_saveexec_b32 s10, s3
	s_cbranch_execnz .LBB201_1364
	s_branch .LBB201_1365
.LBB201_1384:
	s_mov_b32 s2, -1
.LBB201_1385:
                                        ; implicit-def: $vgpr8
.LBB201_1386:
	s_and_b32 vcc_lo, exec_lo, s3
	s_mov_b32 s3, 0
	s_cbranch_vccz .LBB201_1388
; %bb.1387:
	v_cmp_ne_u16_e64 s2, 11, v9
	s_mov_b32 s3, -1
                                        ; implicit-def: $vgpr8
.LBB201_1388:
	s_delay_alu instid0(VALU_DEP_1)
	s_and_b32 vcc_lo, exec_lo, s2
	s_cbranch_vccnz .LBB201_1412
; %bb.1389:
	s_and_not1_b32 vcc_lo, exec_lo, s3
	s_cbranch_vccnz .LBB201_1391
.LBB201_1390:
	global_load_u8 v8, v[6:7], off
	s_mov_b32 s10, -1
	s_waitcnt vmcnt(0)
	v_cmp_ne_u16_e32 vcc_lo, 0, v8
	v_cndmask_b32_e64 v8, 0, 1.0, vcc_lo
.LBB201_1391:
.LBB201_1392:
	s_and_not1_b32 vcc_lo, exec_lo, s10
	s_cbranch_vccnz .LBB201_2090
.LBB201_1393:
	v_cmp_gt_i16_e32 vcc_lo, 11, v9
	v_add_co_u32 v5, s2, s6, v5
	s_delay_alu instid0(VALU_DEP_1)
	v_add_co_ci_u32_e64 v6, null, s7, 0, s2
	s_mov_b32 s10, 0
	s_cbranch_vccnz .LBB201_1400
; %bb.1394:
	v_cmp_lt_i16_e32 vcc_lo, 25, v9
	s_mov_b32 s3, 0
	s_cbranch_vccz .LBB201_1406
; %bb.1395:
	v_cmp_lt_i16_e32 vcc_lo, 28, v9
	s_cbranch_vccz .LBB201_1408
; %bb.1396:
	v_cmp_lt_i16_e32 vcc_lo, 43, v9
	;; [unrolled: 3-line block ×3, first 2 shown]
	s_cbranch_vccz .LBB201_1414
; %bb.1398:
	v_cmp_eq_u16_e32 vcc_lo, 46, v9
	s_mov_b32 s11, 0
	s_cbranch_vccz .LBB201_1457
; %bb.1399:
	global_load_b32 v7, v[5:6], off
	s_mov_b32 s2, 0
	s_mov_b32 s10, -1
	s_waitcnt vmcnt(0)
	v_lshlrev_b32_e32 v10, 16, v7
	s_branch .LBB201_1459
.LBB201_1400:
                                        ; implicit-def: $vgpr10
	s_cbranch_execz .LBB201_1525
; %bb.1401:
	v_cmp_gt_i16_e32 vcc_lo, 5, v9
	s_cbranch_vccnz .LBB201_1407
; %bb.1402:
	v_cmp_gt_i16_e32 vcc_lo, 8, v9
	s_cbranch_vccnz .LBB201_1409
	;; [unrolled: 3-line block ×3, first 2 shown]
; %bb.1404:
	v_cmp_lt_i16_e32 vcc_lo, 9, v9
	s_cbranch_vccz .LBB201_1415
; %bb.1405:
	global_load_b64 v[10:11], v[5:6], off
	s_mov_b32 s2, 0
	s_waitcnt vmcnt(0)
	v_cvt_f32_f64_e32 v10, v[10:11]
	s_branch .LBB201_1416
.LBB201_1406:
	s_mov_b32 s11, -1
	s_mov_b32 s2, 0
                                        ; implicit-def: $vgpr10
	s_branch .LBB201_1488
.LBB201_1407:
	s_mov_b32 s2, -1
                                        ; implicit-def: $vgpr10
	s_branch .LBB201_1434
.LBB201_1408:
	s_mov_b32 s11, -1
	s_mov_b32 s2, 0
                                        ; implicit-def: $vgpr10
	s_branch .LBB201_1469
.LBB201_1409:
	s_mov_b32 s2, -1
                                        ; implicit-def: $vgpr10
	s_branch .LBB201_1422
.LBB201_1410:
	s_mov_b32 s11, -1
	s_mov_b32 s2, 0
                                        ; implicit-def: $vgpr10
	s_branch .LBB201_1464
.LBB201_1411:
	s_mov_b32 s2, -1
                                        ; implicit-def: $vgpr10
	s_branch .LBB201_1419
.LBB201_1412:
	s_cbranch_execnz .LBB201_1455
; %bb.1413:
	s_or_b32 s1, s1, exec_lo
                                        ; implicit-def: $vgpr8
	s_cbranch_execz .LBB201_1390
	s_branch .LBB201_1391
.LBB201_1414:
	s_mov_b32 s11, -1
	s_mov_b32 s2, 0
	s_branch .LBB201_1458
.LBB201_1415:
	s_mov_b32 s2, -1
                                        ; implicit-def: $vgpr10
.LBB201_1416:
	s_delay_alu instid0(SALU_CYCLE_1)
	s_and_not1_b32 vcc_lo, exec_lo, s2
	s_cbranch_vccnz .LBB201_1418
; %bb.1417:
	global_load_b32 v10, v[5:6], off
.LBB201_1418:
	s_mov_b32 s2, 0
.LBB201_1419:
	s_delay_alu instid0(SALU_CYCLE_1)
	s_and_not1_b32 vcc_lo, exec_lo, s2
	s_cbranch_vccnz .LBB201_1421
; %bb.1420:
	global_load_b32 v7, v[5:6], off
	s_waitcnt vmcnt(0)
	v_cvt_f32_f16_e32 v10, v7
.LBB201_1421:
	s_mov_b32 s2, 0
.LBB201_1422:
	s_delay_alu instid0(SALU_CYCLE_1)
	s_and_not1_b32 vcc_lo, exec_lo, s2
	s_cbranch_vccnz .LBB201_1433
; %bb.1423:
	v_cmp_gt_i16_e32 vcc_lo, 6, v9
	s_cbranch_vccnz .LBB201_1426
; %bb.1424:
	v_cmp_lt_i16_e32 vcc_lo, 6, v9
	s_cbranch_vccz .LBB201_1427
; %bb.1425:
	global_load_b64 v[10:11], v[5:6], off
	s_mov_b32 s2, 0
	s_waitcnt vmcnt(0)
	v_cvt_f32_f64_e32 v10, v[10:11]
	s_branch .LBB201_1428
.LBB201_1426:
	s_mov_b32 s2, -1
                                        ; implicit-def: $vgpr10
	s_branch .LBB201_1431
.LBB201_1427:
	s_mov_b32 s2, -1
                                        ; implicit-def: $vgpr10
.LBB201_1428:
	s_delay_alu instid0(SALU_CYCLE_1)
	s_and_not1_b32 vcc_lo, exec_lo, s2
	s_cbranch_vccnz .LBB201_1430
; %bb.1429:
	global_load_b32 v10, v[5:6], off
.LBB201_1430:
	s_mov_b32 s2, 0
.LBB201_1431:
	s_delay_alu instid0(SALU_CYCLE_1)
	s_and_not1_b32 vcc_lo, exec_lo, s2
	s_cbranch_vccnz .LBB201_1433
; %bb.1432:
	global_load_u16 v7, v[5:6], off
	s_waitcnt vmcnt(0)
	v_cvt_f32_f16_e32 v10, v7
.LBB201_1433:
	s_mov_b32 s2, 0
.LBB201_1434:
	s_delay_alu instid0(SALU_CYCLE_1)
	s_and_not1_b32 vcc_lo, exec_lo, s2
	s_cbranch_vccnz .LBB201_1454
; %bb.1435:
	v_cmp_gt_i16_e32 vcc_lo, 2, v9
	s_cbranch_vccnz .LBB201_1439
; %bb.1436:
	v_cmp_gt_i16_e32 vcc_lo, 3, v9
	s_cbranch_vccnz .LBB201_1440
; %bb.1437:
	v_cmp_lt_i16_e32 vcc_lo, 3, v9
	s_cbranch_vccz .LBB201_1441
; %bb.1438:
	global_load_b64 v[10:11], v[5:6], off
	s_mov_b32 s2, 0
	s_waitcnt vmcnt(0)
	v_xor_b32_e32 v7, v10, v11
	v_cls_i32_e32 v13, v11
	s_delay_alu instid0(VALU_DEP_2) | instskip(NEXT) | instid1(VALU_DEP_2)
	v_ashrrev_i32_e32 v7, 31, v7
	v_add_nc_u32_e32 v13, -1, v13
	s_delay_alu instid0(VALU_DEP_2) | instskip(NEXT) | instid1(VALU_DEP_1)
	v_add_nc_u32_e32 v7, 32, v7
	v_min_u32_e32 v7, v13, v7
	s_delay_alu instid0(VALU_DEP_1) | instskip(SKIP_1) | instid1(VALU_DEP_2)
	v_lshlrev_b64 v[10:11], v7, v[10:11]
	v_sub_nc_u32_e32 v7, 32, v7
	v_min_u32_e32 v10, 1, v10
	s_delay_alu instid0(VALU_DEP_1) | instskip(NEXT) | instid1(VALU_DEP_1)
	v_or_b32_e32 v10, v11, v10
	v_cvt_f32_i32_e32 v10, v10
	s_delay_alu instid0(VALU_DEP_1)
	v_ldexp_f32 v10, v10, v7
	s_branch .LBB201_1442
.LBB201_1439:
	s_mov_b32 s2, -1
                                        ; implicit-def: $vgpr10
	s_branch .LBB201_1448
.LBB201_1440:
	s_mov_b32 s2, -1
                                        ; implicit-def: $vgpr10
	s_branch .LBB201_1445
.LBB201_1441:
	s_mov_b32 s2, -1
                                        ; implicit-def: $vgpr10
.LBB201_1442:
	s_delay_alu instid0(SALU_CYCLE_1)
	s_and_not1_b32 vcc_lo, exec_lo, s2
	s_cbranch_vccnz .LBB201_1444
; %bb.1443:
	global_load_b32 v7, v[5:6], off
	s_waitcnt vmcnt(0)
	v_cvt_f32_i32_e32 v10, v7
.LBB201_1444:
	s_mov_b32 s2, 0
.LBB201_1445:
	s_delay_alu instid0(SALU_CYCLE_1)
	s_and_not1_b32 vcc_lo, exec_lo, s2
	s_cbranch_vccnz .LBB201_1447
; %bb.1446:
	global_load_i16 v7, v[5:6], off
	s_waitcnt vmcnt(0)
	v_cvt_f32_i32_e32 v10, v7
.LBB201_1447:
	s_mov_b32 s2, 0
.LBB201_1448:
	s_delay_alu instid0(SALU_CYCLE_1)
	s_and_not1_b32 vcc_lo, exec_lo, s2
	s_cbranch_vccnz .LBB201_1454
; %bb.1449:
	v_cmp_lt_i16_e32 vcc_lo, 0, v9
	s_mov_b32 s2, 0
	s_cbranch_vccz .LBB201_1451
; %bb.1450:
	global_load_i8 v7, v[5:6], off
	s_waitcnt vmcnt(0)
	v_cvt_f32_i32_e32 v10, v7
	s_branch .LBB201_1452
.LBB201_1451:
	s_mov_b32 s2, -1
                                        ; implicit-def: $vgpr10
.LBB201_1452:
	s_delay_alu instid0(SALU_CYCLE_1)
	s_and_not1_b32 vcc_lo, exec_lo, s2
	s_cbranch_vccnz .LBB201_1454
; %bb.1453:
	global_load_u8 v5, v[5:6], off
	s_waitcnt vmcnt(0)
	v_cvt_f32_ubyte0_e32 v10, v5
.LBB201_1454:
	s_branch .LBB201_1526
.LBB201_1455:
	s_trap 2
	s_sendmsg_rtn_b32 s0, sendmsg(MSG_RTN_GET_DOORBELL)
	s_mov_b32 ttmp2, m0
	s_waitcnt lgkmcnt(0)
	s_and_b32 s0, s0, 0x3ff
	s_delay_alu instid0(SALU_CYCLE_1) | instskip(NEXT) | instid1(SALU_CYCLE_1)
	s_bitset1_b32 s0, 10
	s_mov_b32 m0, s0
	s_sendmsg sendmsg(MSG_INTERRUPT)
	s_mov_b32 m0, ttmp2
.LBB201_1456:                           ; =>This Inner Loop Header: Depth=1
	s_sethalt 5
	s_branch .LBB201_1456
.LBB201_1457:
	s_mov_b32 s2, -1
.LBB201_1458:
                                        ; implicit-def: $vgpr10
.LBB201_1459:
	s_and_b32 vcc_lo, exec_lo, s11
	s_cbranch_vccz .LBB201_1463
; %bb.1460:
	v_cmp_eq_u16_e32 vcc_lo, 44, v9
	s_cbranch_vccz .LBB201_1462
; %bb.1461:
	global_load_u8 v7, v[5:6], off
	s_mov_b32 s2, 0
	s_mov_b32 s10, -1
	s_waitcnt vmcnt(0)
	v_lshlrev_b32_e32 v10, 23, v7
	v_cmp_ne_u32_e32 vcc_lo, 0xff, v7
	s_delay_alu instid0(VALU_DEP_2) | instskip(SKIP_1) | instid1(VALU_DEP_2)
	v_cndmask_b32_e32 v10, 0x7f800001, v10, vcc_lo
	v_cmp_ne_u32_e32 vcc_lo, 0, v7
	v_cndmask_b32_e32 v10, 0x400000, v10, vcc_lo
	s_branch .LBB201_1463
.LBB201_1462:
	s_mov_b32 s2, -1
                                        ; implicit-def: $vgpr10
.LBB201_1463:
	s_mov_b32 s11, 0
.LBB201_1464:
	s_delay_alu instid0(SALU_CYCLE_1)
	s_and_b32 vcc_lo, exec_lo, s11
	s_cbranch_vccz .LBB201_1468
; %bb.1465:
	v_cmp_eq_u16_e32 vcc_lo, 29, v9
	s_cbranch_vccz .LBB201_1467
; %bb.1466:
	global_load_b64 v[10:11], v[5:6], off
	s_mov_b32 s2, 0
	s_mov_b32 s10, -1
	s_mov_b32 s11, 0
	s_waitcnt vmcnt(0)
	v_clz_i32_u32_e32 v7, v11
	s_delay_alu instid0(VALU_DEP_1) | instskip(NEXT) | instid1(VALU_DEP_1)
	v_min_u32_e32 v7, 32, v7
	v_lshlrev_b64 v[10:11], v7, v[10:11]
	v_sub_nc_u32_e32 v7, 32, v7
	s_delay_alu instid0(VALU_DEP_2) | instskip(NEXT) | instid1(VALU_DEP_1)
	v_min_u32_e32 v10, 1, v10
	v_or_b32_e32 v10, v11, v10
	s_delay_alu instid0(VALU_DEP_1) | instskip(NEXT) | instid1(VALU_DEP_1)
	v_cvt_f32_u32_e32 v10, v10
	v_ldexp_f32 v10, v10, v7
	s_branch .LBB201_1469
.LBB201_1467:
	s_mov_b32 s2, -1
                                        ; implicit-def: $vgpr10
.LBB201_1468:
	s_mov_b32 s11, 0
.LBB201_1469:
	s_delay_alu instid0(SALU_CYCLE_1)
	s_and_b32 vcc_lo, exec_lo, s11
	s_cbranch_vccz .LBB201_1487
; %bb.1470:
	v_cmp_gt_i16_e32 vcc_lo, 27, v9
	s_cbranch_vccnz .LBB201_1473
; %bb.1471:
	v_cmp_lt_i16_e32 vcc_lo, 27, v9
	s_cbranch_vccz .LBB201_1474
; %bb.1472:
	global_load_b32 v7, v[5:6], off
	s_mov_b32 s10, 0
	s_waitcnt vmcnt(0)
	v_cvt_f32_u32_e32 v10, v7
	s_branch .LBB201_1475
.LBB201_1473:
	s_mov_b32 s10, -1
                                        ; implicit-def: $vgpr10
	s_branch .LBB201_1478
.LBB201_1474:
	s_mov_b32 s10, -1
                                        ; implicit-def: $vgpr10
.LBB201_1475:
	s_delay_alu instid0(SALU_CYCLE_1)
	s_and_not1_b32 vcc_lo, exec_lo, s10
	s_cbranch_vccnz .LBB201_1477
; %bb.1476:
	global_load_u16 v7, v[5:6], off
	s_waitcnt vmcnt(0)
	v_cvt_f32_u32_e32 v10, v7
.LBB201_1477:
	s_mov_b32 s10, 0
.LBB201_1478:
	s_delay_alu instid0(SALU_CYCLE_1)
	s_and_not1_b32 vcc_lo, exec_lo, s10
	s_cbranch_vccnz .LBB201_1486
; %bb.1479:
	global_load_u8 v7, v[5:6], off
	s_mov_b32 s10, 0
	s_mov_b32 s12, exec_lo
                                        ; implicit-def: $sgpr11
	s_waitcnt vmcnt(0)
	v_cmpx_lt_i16_e32 0x7f, v7
	s_xor_b32 s12, exec_lo, s12
	s_cbranch_execz .LBB201_1500
; %bb.1480:
	s_mov_b32 s10, -1
	s_mov_b32 s13, exec_lo
                                        ; implicit-def: $sgpr11
	v_cmpx_eq_u16_e32 0x80, v7
; %bb.1481:
	s_mov_b32 s11, 0x7f800001
	s_xor_b32 s10, exec_lo, -1
; %bb.1482:
	s_or_b32 exec_lo, exec_lo, s13
	s_delay_alu instid0(SALU_CYCLE_1)
	s_and_b32 s10, s10, exec_lo
	s_or_saveexec_b32 s12, s12
	v_mov_b32_e32 v10, s11
	s_xor_b32 exec_lo, exec_lo, s12
	s_cbranch_execnz .LBB201_1501
.LBB201_1483:
	s_or_b32 exec_lo, exec_lo, s12
	s_and_saveexec_b32 s11, s10
	s_cbranch_execz .LBB201_1485
.LBB201_1484:
	v_and_b32_e32 v10, 0xffff, v7
	v_lshlrev_b32_e32 v7, 24, v7
	s_delay_alu instid0(VALU_DEP_2) | instskip(NEXT) | instid1(VALU_DEP_2)
	v_and_b32_e32 v11, 7, v10
	v_and_b32_e32 v7, 0x80000000, v7
	s_delay_alu instid0(VALU_DEP_2) | instskip(NEXT) | instid1(VALU_DEP_1)
	v_clz_i32_u32_e32 v13, v11
	v_min_u32_e32 v13, 32, v13
	s_delay_alu instid0(VALU_DEP_1) | instskip(SKIP_1) | instid1(VALU_DEP_2)
	v_subrev_nc_u32_e32 v14, 28, v13
	v_sub_nc_u32_e32 v13, 29, v13
	v_lshlrev_b32_e32 v14, v14, v10
	v_bfe_u32 v10, v10, 3, 4
	s_delay_alu instid0(VALU_DEP_2) | instskip(NEXT) | instid1(VALU_DEP_2)
	v_and_b32_e32 v14, 7, v14
	v_cmp_eq_u32_e32 vcc_lo, 0, v10
	s_delay_alu instid0(VALU_DEP_2) | instskip(NEXT) | instid1(VALU_DEP_1)
	v_dual_cndmask_b32 v10, v10, v13 :: v_dual_cndmask_b32 v11, v11, v14
	v_lshl_add_u32 v10, v10, 23, 0x3b800000
	s_delay_alu instid0(VALU_DEP_2) | instskip(NEXT) | instid1(VALU_DEP_1)
	v_lshlrev_b32_e32 v11, 20, v11
	v_or3_b32 v10, v7, v10, v11
.LBB201_1485:
	s_or_b32 exec_lo, exec_lo, s11
.LBB201_1486:
	s_mov_b32 s10, -1
.LBB201_1487:
	s_mov_b32 s11, 0
.LBB201_1488:
	s_delay_alu instid0(SALU_CYCLE_1)
	s_and_b32 vcc_lo, exec_lo, s11
	s_cbranch_vccz .LBB201_1521
; %bb.1489:
	v_cmp_lt_i16_e32 vcc_lo, 22, v9
	s_cbranch_vccz .LBB201_1499
; %bb.1490:
	v_cmp_gt_i16_e32 vcc_lo, 24, v9
	s_cbranch_vccnz .LBB201_1502
; %bb.1491:
	v_cmp_lt_i16_e32 vcc_lo, 24, v9
	s_cbranch_vccz .LBB201_1503
; %bb.1492:
	global_load_u8 v7, v[5:6], off
	s_mov_b32 s11, exec_lo
                                        ; implicit-def: $sgpr10
	s_waitcnt vmcnt(0)
	v_cmpx_lt_i16_e32 0x7f, v7
	s_xor_b32 s11, exec_lo, s11
	s_cbranch_execz .LBB201_1515
; %bb.1493:
	s_mov_b32 s3, -1
	s_mov_b32 s12, exec_lo
                                        ; implicit-def: $sgpr10
	v_cmpx_eq_u16_e32 0x80, v7
; %bb.1494:
	s_mov_b32 s10, 0x7f800001
	s_xor_b32 s3, exec_lo, -1
; %bb.1495:
	s_or_b32 exec_lo, exec_lo, s12
	s_delay_alu instid0(SALU_CYCLE_1)
	s_and_b32 s3, s3, exec_lo
	s_or_saveexec_b32 s11, s11
	v_mov_b32_e32 v10, s10
	s_xor_b32 exec_lo, exec_lo, s11
	s_cbranch_execnz .LBB201_1516
.LBB201_1496:
	s_or_b32 exec_lo, exec_lo, s11
	s_and_saveexec_b32 s10, s3
	s_cbranch_execz .LBB201_1498
.LBB201_1497:
	v_and_b32_e32 v10, 0xffff, v7
	v_lshlrev_b32_e32 v7, 24, v7
	s_delay_alu instid0(VALU_DEP_2) | instskip(NEXT) | instid1(VALU_DEP_2)
	v_and_b32_e32 v11, 3, v10
	v_and_b32_e32 v7, 0x80000000, v7
	s_delay_alu instid0(VALU_DEP_2) | instskip(NEXT) | instid1(VALU_DEP_1)
	v_clz_i32_u32_e32 v13, v11
	v_min_u32_e32 v13, 32, v13
	s_delay_alu instid0(VALU_DEP_1) | instskip(SKIP_1) | instid1(VALU_DEP_2)
	v_subrev_nc_u32_e32 v14, 29, v13
	v_sub_nc_u32_e32 v13, 30, v13
	v_lshlrev_b32_e32 v14, v14, v10
	v_bfe_u32 v10, v10, 2, 5
	s_delay_alu instid0(VALU_DEP_2) | instskip(NEXT) | instid1(VALU_DEP_2)
	v_and_b32_e32 v14, 3, v14
	v_cmp_eq_u32_e32 vcc_lo, 0, v10
	s_delay_alu instid0(VALU_DEP_2) | instskip(NEXT) | instid1(VALU_DEP_1)
	v_dual_cndmask_b32 v10, v10, v13 :: v_dual_cndmask_b32 v11, v11, v14
	v_lshl_add_u32 v10, v10, 23, 0x37800000
	s_delay_alu instid0(VALU_DEP_2) | instskip(NEXT) | instid1(VALU_DEP_1)
	v_lshlrev_b32_e32 v11, 21, v11
	v_or3_b32 v10, v7, v10, v11
.LBB201_1498:
	s_or_b32 exec_lo, exec_lo, s10
	s_mov_b32 s3, 0
	s_branch .LBB201_1504
.LBB201_1499:
	s_mov_b32 s3, -1
                                        ; implicit-def: $vgpr10
	s_branch .LBB201_1510
.LBB201_1500:
	s_or_saveexec_b32 s12, s12
	v_mov_b32_e32 v10, s11
	s_xor_b32 exec_lo, exec_lo, s12
	s_cbranch_execz .LBB201_1483
.LBB201_1501:
	v_cmp_ne_u16_e32 vcc_lo, 0, v7
	v_mov_b32_e32 v10, 0
	s_and_not1_b32 s10, s10, exec_lo
	s_and_b32 s11, vcc_lo, exec_lo
	s_delay_alu instid0(SALU_CYCLE_1)
	s_or_b32 s10, s10, s11
	s_or_b32 exec_lo, exec_lo, s12
	s_and_saveexec_b32 s11, s10
	s_cbranch_execnz .LBB201_1484
	s_branch .LBB201_1485
.LBB201_1502:
	s_mov_b32 s3, -1
                                        ; implicit-def: $vgpr10
	s_branch .LBB201_1507
.LBB201_1503:
	s_mov_b32 s3, -1
                                        ; implicit-def: $vgpr10
.LBB201_1504:
	s_delay_alu instid0(SALU_CYCLE_1)
	s_and_b32 vcc_lo, exec_lo, s3
	s_cbranch_vccz .LBB201_1506
; %bb.1505:
	global_load_u8 v7, v[5:6], off
	s_waitcnt vmcnt(0)
	v_lshlrev_b32_e32 v7, 24, v7
	s_delay_alu instid0(VALU_DEP_1) | instskip(NEXT) | instid1(VALU_DEP_1)
	v_and_b32_e32 v10, 0x7f000000, v7
	v_clz_i32_u32_e32 v11, v10
	v_cmp_ne_u32_e32 vcc_lo, 0, v10
	v_add_nc_u32_e32 v14, 0x1000000, v10
	s_delay_alu instid0(VALU_DEP_3) | instskip(NEXT) | instid1(VALU_DEP_1)
	v_min_u32_e32 v11, 32, v11
	v_sub_nc_u32_e64 v11, v11, 4 clamp
	s_delay_alu instid0(VALU_DEP_1) | instskip(SKIP_1) | instid1(VALU_DEP_2)
	v_lshlrev_b32_e32 v13, v11, v10
	v_lshlrev_b32_e32 v11, 23, v11
	v_lshrrev_b32_e32 v13, 4, v13
	s_delay_alu instid0(VALU_DEP_1) | instskip(SKIP_1) | instid1(VALU_DEP_2)
	v_sub_nc_u32_e32 v11, v13, v11
	v_ashrrev_i32_e32 v13, 8, v14
	v_add_nc_u32_e32 v11, 0x3c000000, v11
	s_delay_alu instid0(VALU_DEP_1) | instskip(NEXT) | instid1(VALU_DEP_1)
	v_and_or_b32 v11, 0x7f800000, v13, v11
	v_cndmask_b32_e32 v10, 0, v11, vcc_lo
	s_delay_alu instid0(VALU_DEP_1)
	v_and_or_b32 v10, 0x80000000, v7, v10
.LBB201_1506:
	s_mov_b32 s3, 0
.LBB201_1507:
	s_delay_alu instid0(SALU_CYCLE_1)
	s_and_not1_b32 vcc_lo, exec_lo, s3
	s_cbranch_vccnz .LBB201_1509
; %bb.1508:
	global_load_u8 v7, v[5:6], off
	s_waitcnt vmcnt(0)
	v_lshlrev_b32_e32 v10, 25, v7
	v_lshlrev_b16 v7, 8, v7
	s_delay_alu instid0(VALU_DEP_1) | instskip(SKIP_1) | instid1(VALU_DEP_2)
	v_and_or_b32 v13, 0x7f00, v7, 0.5
	v_bfe_i32 v7, v7, 0, 16
	v_add_f32_e32 v13, -0.5, v13
	v_lshrrev_b32_e32 v11, 4, v10
	v_cmp_gt_u32_e32 vcc_lo, 0x8000000, v10
	s_delay_alu instid0(VALU_DEP_2) | instskip(NEXT) | instid1(VALU_DEP_1)
	v_or_b32_e32 v11, 0x70000000, v11
	v_mul_f32_e32 v11, 0x7800000, v11
	s_delay_alu instid0(VALU_DEP_1) | instskip(NEXT) | instid1(VALU_DEP_1)
	v_cndmask_b32_e32 v10, v11, v13, vcc_lo
	v_and_or_b32 v10, 0x80000000, v7, v10
.LBB201_1509:
	s_mov_b32 s3, 0
	s_mov_b32 s10, -1
.LBB201_1510:
	s_and_not1_b32 vcc_lo, exec_lo, s3
	s_mov_b32 s3, 0
	s_cbranch_vccnz .LBB201_1521
; %bb.1511:
	v_cmp_lt_i16_e32 vcc_lo, 14, v9
	s_cbranch_vccz .LBB201_1514
; %bb.1512:
	v_cmp_eq_u16_e32 vcc_lo, 15, v9
	s_cbranch_vccz .LBB201_1517
; %bb.1513:
	global_load_u16 v7, v[5:6], off
	s_mov_b32 s2, 0
	s_mov_b32 s10, -1
	s_waitcnt vmcnt(0)
	v_lshlrev_b32_e32 v10, 16, v7
	s_branch .LBB201_1519
.LBB201_1514:
	s_mov_b32 s3, -1
	s_branch .LBB201_1518
.LBB201_1515:
	s_or_saveexec_b32 s11, s11
	v_mov_b32_e32 v10, s10
	s_xor_b32 exec_lo, exec_lo, s11
	s_cbranch_execz .LBB201_1496
.LBB201_1516:
	v_cmp_ne_u16_e32 vcc_lo, 0, v7
	v_mov_b32_e32 v10, 0
	s_and_not1_b32 s3, s3, exec_lo
	s_and_b32 s10, vcc_lo, exec_lo
	s_delay_alu instid0(SALU_CYCLE_1)
	s_or_b32 s3, s3, s10
	s_or_b32 exec_lo, exec_lo, s11
	s_and_saveexec_b32 s10, s3
	s_cbranch_execnz .LBB201_1497
	s_branch .LBB201_1498
.LBB201_1517:
	s_mov_b32 s2, -1
.LBB201_1518:
                                        ; implicit-def: $vgpr10
.LBB201_1519:
	s_and_b32 vcc_lo, exec_lo, s3
	s_mov_b32 s3, 0
	s_cbranch_vccz .LBB201_1521
; %bb.1520:
	v_cmp_ne_u16_e64 s2, 11, v9
	s_mov_b32 s3, -1
                                        ; implicit-def: $vgpr10
.LBB201_1521:
	s_delay_alu instid0(VALU_DEP_1)
	s_and_b32 vcc_lo, exec_lo, s2
	s_cbranch_vccnz .LBB201_1537
; %bb.1522:
	s_and_not1_b32 vcc_lo, exec_lo, s3
	s_cbranch_vccnz .LBB201_1524
.LBB201_1523:
	global_load_u8 v7, v[5:6], off
	s_mov_b32 s10, -1
	s_waitcnt vmcnt(0)
	v_cmp_ne_u16_e32 vcc_lo, 0, v7
	v_cndmask_b32_e64 v10, 0, 1.0, vcc_lo
.LBB201_1524:
.LBB201_1525:
	s_and_not1_b32 vcc_lo, exec_lo, s10
	s_cbranch_vccnz .LBB201_2090
.LBB201_1526:
	v_cmp_gt_i16_e32 vcc_lo, 11, v9
	v_add_co_u32 v4, s2, s6, v4
	s_delay_alu instid0(VALU_DEP_1)
	v_add_co_ci_u32_e64 v5, null, s7, 0, s2
	s_mov_b32 s6, 0
	s_cbranch_vccnz .LBB201_1533
; %bb.1527:
	v_cmp_lt_i16_e32 vcc_lo, 25, v9
	s_mov_b32 s3, 0
	s_cbranch_vccz .LBB201_1534
; %bb.1528:
	v_cmp_lt_i16_e32 vcc_lo, 28, v9
	s_cbranch_vccz .LBB201_1535
; %bb.1529:
	v_cmp_lt_i16_e32 vcc_lo, 43, v9
	;; [unrolled: 3-line block ×3, first 2 shown]
	s_cbranch_vccz .LBB201_1539
; %bb.1531:
	v_cmp_eq_u16_e32 vcc_lo, 46, v9
	s_mov_b32 s7, 0
	s_cbranch_vccz .LBB201_1542
; %bb.1532:
	global_load_b32 v6, v[4:5], off
	s_mov_b32 s2, 0
	s_mov_b32 s6, -1
	s_waitcnt vmcnt(0)
	v_lshlrev_b32_e32 v11, 16, v6
	s_branch .LBB201_1544
.LBB201_1533:
	s_mov_b32 s2, -1
                                        ; implicit-def: $vgpr11
	s_branch .LBB201_1610
.LBB201_1534:
	s_mov_b32 s7, -1
	s_mov_b32 s2, 0
                                        ; implicit-def: $vgpr11
	s_branch .LBB201_1573
.LBB201_1535:
	s_mov_b32 s7, -1
	s_mov_b32 s2, 0
                                        ; implicit-def: $vgpr11
	s_branch .LBB201_1554
.LBB201_1536:
	s_mov_b32 s7, -1
	s_mov_b32 s2, 0
                                        ; implicit-def: $vgpr11
	s_branch .LBB201_1549
.LBB201_1537:
	s_cbranch_execnz .LBB201_1540
; %bb.1538:
	s_or_b32 s1, s1, exec_lo
                                        ; implicit-def: $vgpr10
	s_cbranch_execz .LBB201_1523
	s_branch .LBB201_1524
.LBB201_1539:
	s_mov_b32 s7, -1
	s_mov_b32 s2, 0
	s_branch .LBB201_1543
.LBB201_1540:
	s_trap 2
	s_sendmsg_rtn_b32 s0, sendmsg(MSG_RTN_GET_DOORBELL)
	s_mov_b32 ttmp2, m0
	s_waitcnt lgkmcnt(0)
	s_and_b32 s0, s0, 0x3ff
	s_delay_alu instid0(SALU_CYCLE_1) | instskip(NEXT) | instid1(SALU_CYCLE_1)
	s_bitset1_b32 s0, 10
	s_mov_b32 m0, s0
	s_sendmsg sendmsg(MSG_INTERRUPT)
	s_mov_b32 m0, ttmp2
.LBB201_1541:                           ; =>This Inner Loop Header: Depth=1
	s_sethalt 5
	s_branch .LBB201_1541
.LBB201_1542:
	s_mov_b32 s2, -1
.LBB201_1543:
                                        ; implicit-def: $vgpr11
.LBB201_1544:
	s_and_b32 vcc_lo, exec_lo, s7
	s_cbranch_vccz .LBB201_1548
; %bb.1545:
	v_cmp_eq_u16_e32 vcc_lo, 44, v9
	s_cbranch_vccz .LBB201_1547
; %bb.1546:
	global_load_u8 v6, v[4:5], off
	s_mov_b32 s2, 0
	s_mov_b32 s6, -1
	s_waitcnt vmcnt(0)
	v_lshlrev_b32_e32 v7, 23, v6
	v_cmp_ne_u32_e32 vcc_lo, 0xff, v6
	s_delay_alu instid0(VALU_DEP_2) | instskip(SKIP_1) | instid1(VALU_DEP_2)
	v_cndmask_b32_e32 v7, 0x7f800001, v7, vcc_lo
	v_cmp_ne_u32_e32 vcc_lo, 0, v6
	v_cndmask_b32_e32 v11, 0x400000, v7, vcc_lo
	s_branch .LBB201_1548
.LBB201_1547:
	s_mov_b32 s2, -1
                                        ; implicit-def: $vgpr11
.LBB201_1548:
	s_mov_b32 s7, 0
.LBB201_1549:
	s_delay_alu instid0(SALU_CYCLE_1)
	s_and_b32 vcc_lo, exec_lo, s7
	s_cbranch_vccz .LBB201_1553
; %bb.1550:
	v_cmp_eq_u16_e32 vcc_lo, 29, v9
	s_cbranch_vccz .LBB201_1552
; %bb.1551:
	global_load_b64 v[6:7], v[4:5], off
	s_mov_b32 s2, 0
	s_mov_b32 s6, -1
	s_mov_b32 s7, 0
	s_waitcnt vmcnt(0)
	v_clz_i32_u32_e32 v11, v7
	s_delay_alu instid0(VALU_DEP_1) | instskip(NEXT) | instid1(VALU_DEP_1)
	v_min_u32_e32 v11, 32, v11
	v_lshlrev_b64 v[6:7], v11, v[6:7]
	s_delay_alu instid0(VALU_DEP_1) | instskip(NEXT) | instid1(VALU_DEP_1)
	v_min_u32_e32 v6, 1, v6
	v_or_b32_e32 v6, v7, v6
	v_sub_nc_u32_e32 v7, 32, v11
	s_delay_alu instid0(VALU_DEP_2) | instskip(NEXT) | instid1(VALU_DEP_1)
	v_cvt_f32_u32_e32 v6, v6
	v_ldexp_f32 v11, v6, v7
	s_branch .LBB201_1554
.LBB201_1552:
	s_mov_b32 s2, -1
                                        ; implicit-def: $vgpr11
.LBB201_1553:
	s_mov_b32 s7, 0
.LBB201_1554:
	s_delay_alu instid0(SALU_CYCLE_1)
	s_and_b32 vcc_lo, exec_lo, s7
	s_cbranch_vccz .LBB201_1572
; %bb.1555:
	v_cmp_gt_i16_e32 vcc_lo, 27, v9
	s_cbranch_vccnz .LBB201_1558
; %bb.1556:
	v_cmp_lt_i16_e32 vcc_lo, 27, v9
	s_cbranch_vccz .LBB201_1559
; %bb.1557:
	global_load_b32 v6, v[4:5], off
	s_mov_b32 s6, 0
	s_waitcnt vmcnt(0)
	v_cvt_f32_u32_e32 v11, v6
	s_branch .LBB201_1560
.LBB201_1558:
	s_mov_b32 s6, -1
                                        ; implicit-def: $vgpr11
	s_branch .LBB201_1563
.LBB201_1559:
	s_mov_b32 s6, -1
                                        ; implicit-def: $vgpr11
.LBB201_1560:
	s_delay_alu instid0(SALU_CYCLE_1)
	s_and_not1_b32 vcc_lo, exec_lo, s6
	s_cbranch_vccnz .LBB201_1562
; %bb.1561:
	global_load_u16 v6, v[4:5], off
	s_waitcnt vmcnt(0)
	v_cvt_f32_u32_e32 v11, v6
.LBB201_1562:
	s_mov_b32 s6, 0
.LBB201_1563:
	s_delay_alu instid0(SALU_CYCLE_1)
	s_and_not1_b32 vcc_lo, exec_lo, s6
	s_cbranch_vccnz .LBB201_1571
; %bb.1564:
	global_load_u8 v6, v[4:5], off
	s_mov_b32 s6, 0
	s_mov_b32 s10, exec_lo
                                        ; implicit-def: $sgpr7
	s_waitcnt vmcnt(0)
	v_cmpx_lt_i16_e32 0x7f, v6
	s_xor_b32 s10, exec_lo, s10
	s_cbranch_execz .LBB201_1585
; %bb.1565:
	s_mov_b32 s6, -1
	s_mov_b32 s11, exec_lo
                                        ; implicit-def: $sgpr7
	v_cmpx_eq_u16_e32 0x80, v6
; %bb.1566:
	s_mov_b32 s7, 0x7f800001
	s_xor_b32 s6, exec_lo, -1
; %bb.1567:
	s_or_b32 exec_lo, exec_lo, s11
	s_delay_alu instid0(SALU_CYCLE_1)
	s_and_b32 s6, s6, exec_lo
	s_or_saveexec_b32 s10, s10
	v_mov_b32_e32 v11, s7
	s_xor_b32 exec_lo, exec_lo, s10
	s_cbranch_execnz .LBB201_1586
.LBB201_1568:
	s_or_b32 exec_lo, exec_lo, s10
	s_and_saveexec_b32 s7, s6
	s_cbranch_execz .LBB201_1570
.LBB201_1569:
	v_and_b32_e32 v7, 0xffff, v6
	v_lshlrev_b32_e32 v6, 24, v6
	s_delay_alu instid0(VALU_DEP_2) | instskip(NEXT) | instid1(VALU_DEP_2)
	v_and_b32_e32 v11, 7, v7
	v_and_b32_e32 v6, 0x80000000, v6
	s_delay_alu instid0(VALU_DEP_2) | instskip(NEXT) | instid1(VALU_DEP_1)
	v_clz_i32_u32_e32 v13, v11
	v_min_u32_e32 v13, 32, v13
	s_delay_alu instid0(VALU_DEP_1) | instskip(SKIP_1) | instid1(VALU_DEP_2)
	v_subrev_nc_u32_e32 v14, 28, v13
	v_sub_nc_u32_e32 v13, 29, v13
	v_lshlrev_b32_e32 v14, v14, v7
	v_bfe_u32 v7, v7, 3, 4
	s_delay_alu instid0(VALU_DEP_1) | instskip(NEXT) | instid1(VALU_DEP_3)
	v_cmp_eq_u32_e32 vcc_lo, 0, v7
	v_dual_cndmask_b32 v7, v7, v13 :: v_dual_and_b32 v14, 7, v14
	s_delay_alu instid0(VALU_DEP_1) | instskip(NEXT) | instid1(VALU_DEP_2)
	v_lshl_add_u32 v7, v7, 23, 0x3b800000
	v_cndmask_b32_e32 v11, v11, v14, vcc_lo
	s_delay_alu instid0(VALU_DEP_1) | instskip(NEXT) | instid1(VALU_DEP_1)
	v_lshlrev_b32_e32 v11, 20, v11
	v_or3_b32 v11, v6, v7, v11
.LBB201_1570:
	s_or_b32 exec_lo, exec_lo, s7
.LBB201_1571:
	s_mov_b32 s6, -1
.LBB201_1572:
	s_mov_b32 s7, 0
.LBB201_1573:
	s_delay_alu instid0(SALU_CYCLE_1)
	s_and_b32 vcc_lo, exec_lo, s7
	s_cbranch_vccz .LBB201_1606
; %bb.1574:
	v_cmp_lt_i16_e32 vcc_lo, 22, v9
	s_cbranch_vccz .LBB201_1584
; %bb.1575:
	v_cmp_gt_i16_e32 vcc_lo, 24, v9
	s_cbranch_vccnz .LBB201_1587
; %bb.1576:
	v_cmp_lt_i16_e32 vcc_lo, 24, v9
	s_cbranch_vccz .LBB201_1588
; %bb.1577:
	global_load_u8 v6, v[4:5], off
	s_mov_b32 s7, exec_lo
                                        ; implicit-def: $sgpr6
	s_waitcnt vmcnt(0)
	v_cmpx_lt_i16_e32 0x7f, v6
	s_xor_b32 s7, exec_lo, s7
	s_cbranch_execz .LBB201_1600
; %bb.1578:
	s_mov_b32 s3, -1
	s_mov_b32 s10, exec_lo
                                        ; implicit-def: $sgpr6
	v_cmpx_eq_u16_e32 0x80, v6
; %bb.1579:
	s_mov_b32 s6, 0x7f800001
	s_xor_b32 s3, exec_lo, -1
; %bb.1580:
	s_or_b32 exec_lo, exec_lo, s10
	s_delay_alu instid0(SALU_CYCLE_1)
	s_and_b32 s3, s3, exec_lo
	s_or_saveexec_b32 s7, s7
	v_mov_b32_e32 v11, s6
	s_xor_b32 exec_lo, exec_lo, s7
	s_cbranch_execnz .LBB201_1601
.LBB201_1581:
	s_or_b32 exec_lo, exec_lo, s7
	s_and_saveexec_b32 s6, s3
	s_cbranch_execz .LBB201_1583
.LBB201_1582:
	v_and_b32_e32 v7, 0xffff, v6
	v_lshlrev_b32_e32 v6, 24, v6
	s_delay_alu instid0(VALU_DEP_2) | instskip(NEXT) | instid1(VALU_DEP_2)
	v_and_b32_e32 v11, 3, v7
	v_and_b32_e32 v6, 0x80000000, v6
	s_delay_alu instid0(VALU_DEP_2) | instskip(NEXT) | instid1(VALU_DEP_1)
	v_clz_i32_u32_e32 v13, v11
	v_min_u32_e32 v13, 32, v13
	s_delay_alu instid0(VALU_DEP_1) | instskip(SKIP_1) | instid1(VALU_DEP_2)
	v_subrev_nc_u32_e32 v14, 29, v13
	v_sub_nc_u32_e32 v13, 30, v13
	v_lshlrev_b32_e32 v14, v14, v7
	v_bfe_u32 v7, v7, 2, 5
	s_delay_alu instid0(VALU_DEP_1) | instskip(NEXT) | instid1(VALU_DEP_3)
	v_cmp_eq_u32_e32 vcc_lo, 0, v7
	v_dual_cndmask_b32 v7, v7, v13 :: v_dual_and_b32 v14, 3, v14
	s_delay_alu instid0(VALU_DEP_1) | instskip(NEXT) | instid1(VALU_DEP_2)
	v_lshl_add_u32 v7, v7, 23, 0x37800000
	v_cndmask_b32_e32 v11, v11, v14, vcc_lo
	s_delay_alu instid0(VALU_DEP_1) | instskip(NEXT) | instid1(VALU_DEP_1)
	v_lshlrev_b32_e32 v11, 21, v11
	v_or3_b32 v11, v6, v7, v11
.LBB201_1583:
	s_or_b32 exec_lo, exec_lo, s6
	s_mov_b32 s3, 0
	s_branch .LBB201_1589
.LBB201_1584:
	s_mov_b32 s3, -1
                                        ; implicit-def: $vgpr11
	s_branch .LBB201_1595
.LBB201_1585:
	s_or_saveexec_b32 s10, s10
	v_mov_b32_e32 v11, s7
	s_xor_b32 exec_lo, exec_lo, s10
	s_cbranch_execz .LBB201_1568
.LBB201_1586:
	v_cmp_ne_u16_e32 vcc_lo, 0, v6
	v_mov_b32_e32 v11, 0
	s_and_not1_b32 s6, s6, exec_lo
	s_and_b32 s7, vcc_lo, exec_lo
	s_delay_alu instid0(SALU_CYCLE_1)
	s_or_b32 s6, s6, s7
	s_or_b32 exec_lo, exec_lo, s10
	s_and_saveexec_b32 s7, s6
	s_cbranch_execnz .LBB201_1569
	s_branch .LBB201_1570
.LBB201_1587:
	s_mov_b32 s3, -1
                                        ; implicit-def: $vgpr11
	s_branch .LBB201_1592
.LBB201_1588:
	s_mov_b32 s3, -1
                                        ; implicit-def: $vgpr11
.LBB201_1589:
	s_delay_alu instid0(SALU_CYCLE_1)
	s_and_b32 vcc_lo, exec_lo, s3
	s_cbranch_vccz .LBB201_1591
; %bb.1590:
	global_load_u8 v6, v[4:5], off
	s_waitcnt vmcnt(0)
	v_lshlrev_b32_e32 v6, 24, v6
	s_delay_alu instid0(VALU_DEP_1) | instskip(NEXT) | instid1(VALU_DEP_1)
	v_and_b32_e32 v7, 0x7f000000, v6
	v_clz_i32_u32_e32 v11, v7
	v_add_nc_u32_e32 v14, 0x1000000, v7
	v_cmp_ne_u32_e32 vcc_lo, 0, v7
	s_delay_alu instid0(VALU_DEP_3) | instskip(NEXT) | instid1(VALU_DEP_1)
	v_min_u32_e32 v11, 32, v11
	v_sub_nc_u32_e64 v11, v11, 4 clamp
	s_delay_alu instid0(VALU_DEP_1) | instskip(SKIP_1) | instid1(VALU_DEP_2)
	v_lshlrev_b32_e32 v13, v11, v7
	v_lshlrev_b32_e32 v11, 23, v11
	v_lshrrev_b32_e32 v13, 4, v13
	s_delay_alu instid0(VALU_DEP_1) | instskip(SKIP_1) | instid1(VALU_DEP_2)
	v_sub_nc_u32_e32 v11, v13, v11
	v_ashrrev_i32_e32 v13, 8, v14
	v_add_nc_u32_e32 v11, 0x3c000000, v11
	s_delay_alu instid0(VALU_DEP_1) | instskip(NEXT) | instid1(VALU_DEP_1)
	v_and_or_b32 v11, 0x7f800000, v13, v11
	v_cndmask_b32_e32 v7, 0, v11, vcc_lo
	s_delay_alu instid0(VALU_DEP_1)
	v_and_or_b32 v11, 0x80000000, v6, v7
.LBB201_1591:
	s_mov_b32 s3, 0
.LBB201_1592:
	s_delay_alu instid0(SALU_CYCLE_1)
	s_and_not1_b32 vcc_lo, exec_lo, s3
	s_cbranch_vccnz .LBB201_1594
; %bb.1593:
	global_load_u8 v6, v[4:5], off
	s_waitcnt vmcnt(0)
	v_lshlrev_b32_e32 v7, 25, v6
	v_lshlrev_b16 v6, 8, v6
	s_delay_alu instid0(VALU_DEP_2) | instskip(NEXT) | instid1(VALU_DEP_2)
	v_lshrrev_b32_e32 v11, 4, v7
	v_and_or_b32 v13, 0x7f00, v6, 0.5
	v_cmp_gt_u32_e32 vcc_lo, 0x8000000, v7
	v_bfe_i32 v6, v6, 0, 16
	s_delay_alu instid0(VALU_DEP_4) | instskip(NEXT) | instid1(VALU_DEP_4)
	v_or_b32_e32 v11, 0x70000000, v11
	v_add_f32_e32 v13, -0.5, v13
	s_delay_alu instid0(VALU_DEP_2) | instskip(NEXT) | instid1(VALU_DEP_1)
	v_mul_f32_e32 v11, 0x7800000, v11
	v_cndmask_b32_e32 v7, v11, v13, vcc_lo
	s_delay_alu instid0(VALU_DEP_1)
	v_and_or_b32 v11, 0x80000000, v6, v7
.LBB201_1594:
	s_mov_b32 s3, 0
	s_mov_b32 s6, -1
.LBB201_1595:
	s_and_not1_b32 vcc_lo, exec_lo, s3
	s_mov_b32 s3, 0
	s_cbranch_vccnz .LBB201_1606
; %bb.1596:
	v_cmp_lt_i16_e32 vcc_lo, 14, v9
	s_cbranch_vccz .LBB201_1599
; %bb.1597:
	v_cmp_eq_u16_e32 vcc_lo, 15, v9
	s_cbranch_vccz .LBB201_1602
; %bb.1598:
	global_load_u16 v6, v[4:5], off
	s_mov_b32 s2, 0
	s_mov_b32 s6, -1
	s_waitcnt vmcnt(0)
	v_lshlrev_b32_e32 v11, 16, v6
	s_branch .LBB201_1604
.LBB201_1599:
	s_mov_b32 s3, -1
	s_branch .LBB201_1603
.LBB201_1600:
	s_or_saveexec_b32 s7, s7
	v_mov_b32_e32 v11, s6
	s_xor_b32 exec_lo, exec_lo, s7
	s_cbranch_execz .LBB201_1581
.LBB201_1601:
	v_cmp_ne_u16_e32 vcc_lo, 0, v6
	v_mov_b32_e32 v11, 0
	s_and_not1_b32 s3, s3, exec_lo
	s_and_b32 s6, vcc_lo, exec_lo
	s_delay_alu instid0(SALU_CYCLE_1)
	s_or_b32 s3, s3, s6
	s_or_b32 exec_lo, exec_lo, s7
	s_and_saveexec_b32 s6, s3
	s_cbranch_execnz .LBB201_1582
	s_branch .LBB201_1583
.LBB201_1602:
	s_mov_b32 s2, -1
.LBB201_1603:
                                        ; implicit-def: $vgpr11
.LBB201_1604:
	s_and_b32 vcc_lo, exec_lo, s3
	s_mov_b32 s3, 0
	s_cbranch_vccz .LBB201_1606
; %bb.1605:
	v_cmp_ne_u16_e64 s2, 11, v9
	s_mov_b32 s3, -1
                                        ; implicit-def: $vgpr11
.LBB201_1606:
	s_delay_alu instid0(VALU_DEP_1)
	s_and_b32 vcc_lo, exec_lo, s2
	s_cbranch_vccnz .LBB201_2135
; %bb.1607:
	s_and_not1_b32 vcc_lo, exec_lo, s3
	s_cbranch_vccnz .LBB201_1609
.LBB201_1608:
	global_load_u8 v6, v[4:5], off
	s_mov_b32 s6, -1
	s_waitcnt vmcnt(0)
	v_cmp_ne_u16_e32 vcc_lo, 0, v6
	v_cndmask_b32_e64 v11, 0, 1.0, vcc_lo
.LBB201_1609:
	s_mov_b32 s2, 0
.LBB201_1610:
	s_delay_alu instid0(SALU_CYCLE_1)
	s_and_b32 vcc_lo, exec_lo, s2
	s_cbranch_vccz .LBB201_1659
; %bb.1611:
	v_cmp_gt_i16_e32 vcc_lo, 5, v9
	s_cbranch_vccnz .LBB201_1616
; %bb.1612:
	v_cmp_gt_i16_e32 vcc_lo, 8, v9
	s_cbranch_vccnz .LBB201_1617
	;; [unrolled: 3-line block ×3, first 2 shown]
; %bb.1614:
	v_cmp_lt_i16_e32 vcc_lo, 9, v9
	s_cbranch_vccz .LBB201_1619
; %bb.1615:
	global_load_b64 v[6:7], v[4:5], off
	s_mov_b32 s2, 0
	s_waitcnt vmcnt(0)
	v_cvt_f32_f64_e32 v11, v[6:7]
	s_branch .LBB201_1620
.LBB201_1616:
	s_mov_b32 s2, -1
                                        ; implicit-def: $vgpr11
	s_branch .LBB201_1638
.LBB201_1617:
	s_mov_b32 s2, -1
                                        ; implicit-def: $vgpr11
	s_branch .LBB201_1626
.LBB201_1618:
	s_mov_b32 s2, -1
                                        ; implicit-def: $vgpr11
	s_branch .LBB201_1623
.LBB201_1619:
	s_mov_b32 s2, -1
                                        ; implicit-def: $vgpr11
.LBB201_1620:
	s_delay_alu instid0(SALU_CYCLE_1)
	s_and_not1_b32 vcc_lo, exec_lo, s2
	s_cbranch_vccnz .LBB201_1622
; %bb.1621:
	global_load_b32 v11, v[4:5], off
.LBB201_1622:
	s_mov_b32 s2, 0
.LBB201_1623:
	s_delay_alu instid0(SALU_CYCLE_1)
	s_and_not1_b32 vcc_lo, exec_lo, s2
	s_cbranch_vccnz .LBB201_1625
; %bb.1624:
	global_load_b32 v6, v[4:5], off
	s_waitcnt vmcnt(0)
	v_cvt_f32_f16_e32 v11, v6
.LBB201_1625:
	s_mov_b32 s2, 0
.LBB201_1626:
	s_delay_alu instid0(SALU_CYCLE_1)
	s_and_not1_b32 vcc_lo, exec_lo, s2
	s_cbranch_vccnz .LBB201_1637
; %bb.1627:
	v_cmp_gt_i16_e32 vcc_lo, 6, v9
	s_cbranch_vccnz .LBB201_1630
; %bb.1628:
	v_cmp_lt_i16_e32 vcc_lo, 6, v9
	s_cbranch_vccz .LBB201_1631
; %bb.1629:
	global_load_b64 v[6:7], v[4:5], off
	s_mov_b32 s2, 0
	s_waitcnt vmcnt(0)
	v_cvt_f32_f64_e32 v11, v[6:7]
	s_branch .LBB201_1632
.LBB201_1630:
	s_mov_b32 s2, -1
                                        ; implicit-def: $vgpr11
	s_branch .LBB201_1635
.LBB201_1631:
	s_mov_b32 s2, -1
                                        ; implicit-def: $vgpr11
.LBB201_1632:
	s_delay_alu instid0(SALU_CYCLE_1)
	s_and_not1_b32 vcc_lo, exec_lo, s2
	s_cbranch_vccnz .LBB201_1634
; %bb.1633:
	global_load_b32 v11, v[4:5], off
.LBB201_1634:
	s_mov_b32 s2, 0
.LBB201_1635:
	s_delay_alu instid0(SALU_CYCLE_1)
	s_and_not1_b32 vcc_lo, exec_lo, s2
	s_cbranch_vccnz .LBB201_1637
; %bb.1636:
	global_load_u16 v6, v[4:5], off
	s_waitcnt vmcnt(0)
	v_cvt_f32_f16_e32 v11, v6
.LBB201_1637:
	s_mov_b32 s2, 0
.LBB201_1638:
	s_delay_alu instid0(SALU_CYCLE_1)
	s_and_not1_b32 vcc_lo, exec_lo, s2
	s_cbranch_vccnz .LBB201_1658
; %bb.1639:
	v_cmp_gt_i16_e32 vcc_lo, 2, v9
	s_cbranch_vccnz .LBB201_1643
; %bb.1640:
	v_cmp_gt_i16_e32 vcc_lo, 3, v9
	s_cbranch_vccnz .LBB201_1644
; %bb.1641:
	v_cmp_lt_i16_e32 vcc_lo, 3, v9
	s_cbranch_vccz .LBB201_1645
; %bb.1642:
	global_load_b64 v[6:7], v[4:5], off
	s_mov_b32 s2, 0
	s_waitcnt vmcnt(0)
	v_xor_b32_e32 v11, v6, v7
	v_cls_i32_e32 v13, v7
	s_delay_alu instid0(VALU_DEP_2) | instskip(NEXT) | instid1(VALU_DEP_2)
	v_ashrrev_i32_e32 v11, 31, v11
	v_add_nc_u32_e32 v13, -1, v13
	s_delay_alu instid0(VALU_DEP_2) | instskip(NEXT) | instid1(VALU_DEP_1)
	v_add_nc_u32_e32 v11, 32, v11
	v_min_u32_e32 v11, v13, v11
	s_delay_alu instid0(VALU_DEP_1) | instskip(NEXT) | instid1(VALU_DEP_1)
	v_lshlrev_b64 v[6:7], v11, v[6:7]
	v_min_u32_e32 v6, 1, v6
	s_delay_alu instid0(VALU_DEP_1) | instskip(SKIP_1) | instid1(VALU_DEP_2)
	v_or_b32_e32 v6, v7, v6
	v_sub_nc_u32_e32 v7, 32, v11
	v_cvt_f32_i32_e32 v6, v6
	s_delay_alu instid0(VALU_DEP_1)
	v_ldexp_f32 v11, v6, v7
	s_branch .LBB201_1646
.LBB201_1643:
	s_mov_b32 s2, -1
                                        ; implicit-def: $vgpr11
	s_branch .LBB201_1652
.LBB201_1644:
	s_mov_b32 s2, -1
                                        ; implicit-def: $vgpr11
	s_branch .LBB201_1649
.LBB201_1645:
	s_mov_b32 s2, -1
                                        ; implicit-def: $vgpr11
.LBB201_1646:
	s_delay_alu instid0(SALU_CYCLE_1)
	s_and_not1_b32 vcc_lo, exec_lo, s2
	s_cbranch_vccnz .LBB201_1648
; %bb.1647:
	global_load_b32 v6, v[4:5], off
	s_waitcnt vmcnt(0)
	v_cvt_f32_i32_e32 v11, v6
.LBB201_1648:
	s_mov_b32 s2, 0
.LBB201_1649:
	s_delay_alu instid0(SALU_CYCLE_1)
	s_and_not1_b32 vcc_lo, exec_lo, s2
	s_cbranch_vccnz .LBB201_1651
; %bb.1650:
	global_load_i16 v6, v[4:5], off
	s_waitcnt vmcnt(0)
	v_cvt_f32_i32_e32 v11, v6
.LBB201_1651:
	s_mov_b32 s2, 0
.LBB201_1652:
	s_delay_alu instid0(SALU_CYCLE_1)
	s_and_not1_b32 vcc_lo, exec_lo, s2
	s_cbranch_vccnz .LBB201_1658
; %bb.1653:
	v_cmp_lt_i16_e32 vcc_lo, 0, v9
	s_mov_b32 s2, 0
	s_cbranch_vccz .LBB201_1655
; %bb.1654:
	global_load_i8 v6, v[4:5], off
	s_waitcnt vmcnt(0)
	v_cvt_f32_i32_e32 v11, v6
	s_branch .LBB201_1656
.LBB201_1655:
	s_mov_b32 s2, -1
                                        ; implicit-def: $vgpr11
.LBB201_1656:
	s_delay_alu instid0(SALU_CYCLE_1)
	s_and_not1_b32 vcc_lo, exec_lo, s2
	s_cbranch_vccnz .LBB201_1658
; %bb.1657:
	global_load_u8 v4, v[4:5], off
	s_waitcnt vmcnt(0)
	v_cvt_f32_ubyte0_e32 v11, v4
.LBB201_1658:
	s_mov_b32 s6, -1
.LBB201_1659:
	s_delay_alu instid0(SALU_CYCLE_1)
	s_and_not1_b32 vcc_lo, exec_lo, s6
	s_cbranch_vccnz .LBB201_2090
; %bb.1660:
	v_cvt_f64_f32_e32 v[4:5], v12
	s_lshr_b32 s0, s0, 8
	s_mov_b32 s3, 0
	v_and_b32_e64 v9, 0xff, s0
	s_delay_alu instid0(VALU_DEP_2) | instskip(SKIP_3) | instid1(VALU_DEP_2)
	v_rsq_f64_e32 v[6:7], v[4:5]
	s_waitcnt_depctr 0xfff
	v_mul_f64 v[4:5], v[6:7], -v[4:5]
	v_cmp_class_f64_e64 vcc_lo, v[6:7], 0x180
	v_fma_f64 v[4:5], v[4:5], v[6:7], 1.0
	s_delay_alu instid0(VALU_DEP_1) | instskip(SKIP_1) | instid1(VALU_DEP_1)
	v_mul_f64 v[12:13], v[6:7], v[4:5]
	v_fma_f64 v[4:5], 0x3fd80000, v[4:5], 0.5
	v_fma_f64 v[4:5], v[12:13], v[4:5], v[6:7]
	s_delay_alu instid0(VALU_DEP_1) | instskip(SKIP_2) | instid1(VALU_DEP_1)
	v_dual_cndmask_b32 v5, v7, v5 :: v_dual_cndmask_b32 v4, v6, v4
	v_cmp_gt_i16_e32 vcc_lo, 11, v9
	v_add_co_u32 v6, s0, s4, v3
	v_add_co_ci_u32_e64 v7, null, s5, 0, s0
	s_delay_alu instid0(VALU_DEP_4)
	v_cvt_f32_f64_e32 v4, v[4:5]
	s_mov_b32 s0, -1
	s_cbranch_vccnz .LBB201_1738
; %bb.1661:
	v_cmp_lt_i16_e32 vcc_lo, 25, v9
	s_mov_b32 s6, -1
	s_mov_b32 s2, 0
	s_mov_b32 s0, 0
	s_cbranch_vccz .LBB201_1694
; %bb.1662:
	v_cmp_lt_i16_e32 vcc_lo, 28, v9
	s_cbranch_vccz .LBB201_1677
; %bb.1663:
	v_cmp_lt_i16_e32 vcc_lo, 43, v9
	s_cbranch_vccz .LBB201_1673
; %bb.1664:
	v_cmp_lt_i16_e32 vcc_lo, 45, v9
	s_cbranch_vccz .LBB201_1667
; %bb.1665:
	v_cmp_eq_u16_e32 vcc_lo, 46, v9
	s_mov_b32 s0, -1
	s_mov_b32 s6, 0
	s_cbranch_vccz .LBB201_1667
; %bb.1666:
	v_bfe_u32 v3, v4, 16, 1
	v_cmp_o_f32_e32 vcc_lo, v4, v4
	s_mov_b32 s0, 0
	s_mov_b32 s3, -1
	s_delay_alu instid0(VALU_DEP_2) | instskip(NEXT) | instid1(VALU_DEP_1)
	v_add3_u32 v3, v4, v3, 0x7fff
	v_lshrrev_b32_e32 v3, 16, v3
	s_delay_alu instid0(VALU_DEP_1)
	v_cndmask_b32_e32 v3, 0x7fc0, v3, vcc_lo
	global_store_b32 v[6:7], v3, off
.LBB201_1667:
	s_and_b32 vcc_lo, exec_lo, s6
	s_cbranch_vccz .LBB201_1672
; %bb.1668:
	v_cmp_eq_u16_e32 vcc_lo, 44, v9
	s_mov_b32 s0, -1
	s_cbranch_vccz .LBB201_1672
; %bb.1669:
	v_bfe_u32 v5, v4, 23, 8
	v_mov_b32_e32 v3, 0xff
	s_mov_b32 s3, exec_lo
	s_delay_alu instid0(VALU_DEP_2)
	v_cmpx_ne_u32_e32 0xff, v5
; %bb.1670:
	v_and_b32_e32 v3, 0x400000, v4
	v_and_or_b32 v5, 0x3fffff, v4, v5
	s_delay_alu instid0(VALU_DEP_2) | instskip(NEXT) | instid1(VALU_DEP_2)
	v_cmp_ne_u32_e32 vcc_lo, 0, v3
	v_cmp_ne_u32_e64 s0, 0, v5
	v_lshrrev_b32_e32 v3, 23, v4
	s_delay_alu instid0(VALU_DEP_2) | instskip(NEXT) | instid1(SALU_CYCLE_1)
	s_and_b32 s0, vcc_lo, s0
	v_cndmask_b32_e64 v5, 0, 1, s0
	s_delay_alu instid0(VALU_DEP_1)
	v_add_nc_u32_e32 v3, v3, v5
; %bb.1671:
	s_or_b32 exec_lo, exec_lo, s3
	s_mov_b32 s0, 0
	s_mov_b32 s3, -1
	global_store_b8 v[6:7], v3, off
.LBB201_1672:
	s_mov_b32 s6, 0
.LBB201_1673:
	s_delay_alu instid0(SALU_CYCLE_1)
	s_and_b32 vcc_lo, exec_lo, s6
	s_cbranch_vccz .LBB201_1676
; %bb.1674:
	v_cmp_eq_u16_e32 vcc_lo, 29, v9
	s_mov_b32 s0, -1
	s_cbranch_vccz .LBB201_1676
; %bb.1675:
	v_trunc_f32_e32 v3, v4
	s_mov_b32 s0, 0
	s_mov_b32 s3, -1
	s_delay_alu instid0(VALU_DEP_1) | instskip(NEXT) | instid1(VALU_DEP_1)
	v_mul_f32_e32 v5, 0x2f800000, v3
	v_floor_f32_e32 v5, v5
	s_delay_alu instid0(VALU_DEP_1) | instskip(SKIP_1) | instid1(VALU_DEP_2)
	v_fmamk_f32 v3, v5, 0xcf800000, v3
	v_cvt_u32_f32_e32 v13, v5
	v_cvt_u32_f32_e32 v12, v3
	global_store_b64 v[6:7], v[12:13], off
.LBB201_1676:
	s_mov_b32 s6, 0
.LBB201_1677:
	s_delay_alu instid0(SALU_CYCLE_1)
	s_and_b32 vcc_lo, exec_lo, s6
	s_cbranch_vccz .LBB201_1693
; %bb.1678:
	v_cmp_gt_i16_e32 vcc_lo, 27, v9
	s_mov_b32 s3, -1
	s_cbranch_vccnz .LBB201_1684
; %bb.1679:
	v_cmp_lt_i16_e32 vcc_lo, 27, v9
	v_cvt_u32_f32_e32 v3, v4
	s_cbranch_vccz .LBB201_1681
; %bb.1680:
	s_mov_b32 s3, 0
	global_store_b32 v[6:7], v3, off
.LBB201_1681:
	s_and_not1_b32 vcc_lo, exec_lo, s3
	s_cbranch_vccnz .LBB201_1683
; %bb.1682:
	global_store_b16 v[6:7], v3, off
.LBB201_1683:
	s_mov_b32 s3, 0
.LBB201_1684:
	s_delay_alu instid0(SALU_CYCLE_1)
	s_and_not1_b32 vcc_lo, exec_lo, s3
	s_cbranch_vccnz .LBB201_1692
; %bb.1685:
	s_delay_alu instid0(VALU_DEP_4) | instskip(SKIP_2) | instid1(VALU_DEP_2)
	v_and_b32_e32 v3, 0x7fffffff, v4
	v_mov_b32_e32 v5, 0x80
	s_mov_b32 s3, exec_lo
	v_cmpx_gt_u32_e32 0x43800000, v3
	s_cbranch_execz .LBB201_1691
; %bb.1686:
	v_cmp_lt_u32_e32 vcc_lo, 0x3bffffff, v3
	s_mov_b32 s6, 0
                                        ; implicit-def: $vgpr3
	s_and_saveexec_b32 s7, vcc_lo
	s_delay_alu instid0(SALU_CYCLE_1)
	s_xor_b32 s7, exec_lo, s7
	s_cbranch_execz .LBB201_2137
; %bb.1687:
	v_bfe_u32 v3, v4, 20, 1
	s_mov_b32 s6, exec_lo
	s_delay_alu instid0(VALU_DEP_1) | instskip(NEXT) | instid1(VALU_DEP_1)
	v_add3_u32 v3, v4, v3, 0x487ffff
	v_lshrrev_b32_e32 v3, 20, v3
	s_or_saveexec_b32 s7, s7
                                        ; implicit-def: $sgpr10
	s_delay_alu instid0(SALU_CYCLE_1)
	s_xor_b32 exec_lo, exec_lo, s7
	s_cbranch_execnz .LBB201_2138
.LBB201_1688:
	s_or_b32 exec_lo, exec_lo, s7
	v_mov_b32_e32 v5, s10
	s_and_saveexec_b32 s7, s6
.LBB201_1689:
	v_lshrrev_b32_e32 v5, 24, v4
	s_delay_alu instid0(VALU_DEP_1)
	v_and_or_b32 v5, 0x80, v5, v3
.LBB201_1690:
	s_or_b32 exec_lo, exec_lo, s7
.LBB201_1691:
	s_delay_alu instid0(SALU_CYCLE_1)
	s_or_b32 exec_lo, exec_lo, s3
	global_store_b8 v[6:7], v5, off
.LBB201_1692:
	s_mov_b32 s3, -1
.LBB201_1693:
	s_mov_b32 s6, 0
.LBB201_1694:
	s_delay_alu instid0(SALU_CYCLE_1)
	s_and_b32 vcc_lo, exec_lo, s6
	s_cbranch_vccz .LBB201_1734
; %bb.1695:
	v_cmp_lt_i16_e32 vcc_lo, 22, v9
	s_mov_b32 s2, -1
	s_cbranch_vccz .LBB201_1727
; %bb.1696:
	v_cmp_gt_i16_e32 vcc_lo, 24, v9
	s_cbranch_vccnz .LBB201_1716
; %bb.1697:
	v_cmp_lt_i16_e32 vcc_lo, 24, v9
	s_cbranch_vccz .LBB201_1705
; %bb.1698:
	v_and_b32_e32 v3, 0x7fffffff, v4
	v_mov_b32_e32 v5, 0x80
	s_mov_b32 s2, exec_lo
	s_delay_alu instid0(VALU_DEP_2)
	v_cmpx_gt_u32_e32 0x47800000, v3
	s_cbranch_execz .LBB201_1704
; %bb.1699:
	v_cmp_lt_u32_e32 vcc_lo, 0x37ffffff, v3
	s_mov_b32 s3, 0
                                        ; implicit-def: $vgpr3
	s_and_saveexec_b32 s6, vcc_lo
	s_delay_alu instid0(SALU_CYCLE_1)
	s_xor_b32 s6, exec_lo, s6
	s_cbranch_execz .LBB201_2143
; %bb.1700:
	v_bfe_u32 v3, v4, 21, 1
	s_mov_b32 s3, exec_lo
	s_delay_alu instid0(VALU_DEP_1) | instskip(NEXT) | instid1(VALU_DEP_1)
	v_add3_u32 v3, v4, v3, 0x88fffff
	v_lshrrev_b32_e32 v3, 21, v3
	s_or_saveexec_b32 s6, s6
                                        ; implicit-def: $sgpr7
	s_delay_alu instid0(SALU_CYCLE_1)
	s_xor_b32 exec_lo, exec_lo, s6
	s_cbranch_execnz .LBB201_2144
.LBB201_1701:
	s_or_b32 exec_lo, exec_lo, s6
	v_mov_b32_e32 v5, s7
	s_and_saveexec_b32 s6, s3
.LBB201_1702:
	v_lshrrev_b32_e32 v5, 24, v4
	s_delay_alu instid0(VALU_DEP_1)
	v_and_or_b32 v5, 0x80, v5, v3
.LBB201_1703:
	s_or_b32 exec_lo, exec_lo, s6
.LBB201_1704:
	s_delay_alu instid0(SALU_CYCLE_1)
	s_or_b32 exec_lo, exec_lo, s2
	s_mov_b32 s2, 0
	global_store_b8 v[6:7], v5, off
.LBB201_1705:
	s_and_b32 vcc_lo, exec_lo, s2
	s_cbranch_vccz .LBB201_1715
; %bb.1706:
	v_and_b32_e32 v5, 0x7fffffff, v4
	s_mov_b32 s2, exec_lo
                                        ; implicit-def: $vgpr3
	s_delay_alu instid0(VALU_DEP_1)
	v_cmpx_gt_u32_e32 0x43f00000, v5
	s_xor_b32 s2, exec_lo, s2
	s_cbranch_execz .LBB201_1712
; %bb.1707:
	s_mov_b32 s3, exec_lo
                                        ; implicit-def: $vgpr3
	v_cmpx_lt_u32_e32 0x3c7fffff, v5
	s_xor_b32 s3, exec_lo, s3
; %bb.1708:
	v_bfe_u32 v3, v4, 20, 1
	s_delay_alu instid0(VALU_DEP_1) | instskip(NEXT) | instid1(VALU_DEP_1)
	v_add3_u32 v3, v4, v3, 0x407ffff
	v_and_b32_e32 v5, 0xff00000, v3
	v_lshrrev_b32_e32 v3, 20, v3
	s_delay_alu instid0(VALU_DEP_2) | instskip(NEXT) | instid1(VALU_DEP_2)
	v_cmp_ne_u32_e32 vcc_lo, 0x7f00000, v5
	v_cndmask_b32_e32 v3, 0x7e, v3, vcc_lo
; %bb.1709:
	s_and_not1_saveexec_b32 s3, s3
; %bb.1710:
	v_add_f32_e64 v3, 0x46800000, |v4|
; %bb.1711:
	s_or_b32 exec_lo, exec_lo, s3
                                        ; implicit-def: $vgpr5
.LBB201_1712:
	s_and_not1_saveexec_b32 s2, s2
; %bb.1713:
	v_mov_b32_e32 v3, 0x7f
	v_cmp_lt_u32_e32 vcc_lo, 0x7f800000, v5
	s_delay_alu instid0(VALU_DEP_2)
	v_cndmask_b32_e32 v3, 0x7e, v3, vcc_lo
; %bb.1714:
	s_or_b32 exec_lo, exec_lo, s2
	v_lshrrev_b32_e32 v5, 24, v4
	s_delay_alu instid0(VALU_DEP_1)
	v_and_or_b32 v3, 0x80, v5, v3
	global_store_b8 v[6:7], v3, off
.LBB201_1715:
	s_mov_b32 s2, 0
.LBB201_1716:
	s_delay_alu instid0(SALU_CYCLE_1)
	s_and_not1_b32 vcc_lo, exec_lo, s2
	s_cbranch_vccnz .LBB201_1726
; %bb.1717:
	s_delay_alu instid0(VALU_DEP_4) | instskip(SKIP_1) | instid1(VALU_DEP_1)
	v_and_b32_e32 v5, 0x7fffffff, v4
	s_mov_b32 s2, exec_lo
                                        ; implicit-def: $vgpr3
	v_cmpx_gt_u32_e32 0x47800000, v5
	s_xor_b32 s2, exec_lo, s2
	s_cbranch_execz .LBB201_1723
; %bb.1718:
	s_mov_b32 s3, exec_lo
                                        ; implicit-def: $vgpr3
	v_cmpx_lt_u32_e32 0x387fffff, v5
	s_xor_b32 s3, exec_lo, s3
; %bb.1719:
	v_bfe_u32 v3, v4, 21, 1
	s_delay_alu instid0(VALU_DEP_1) | instskip(NEXT) | instid1(VALU_DEP_1)
	v_add3_u32 v3, v4, v3, 0x80fffff
	v_lshrrev_b32_e32 v3, 21, v3
; %bb.1720:
	s_and_not1_saveexec_b32 s3, s3
; %bb.1721:
	v_add_f32_e64 v3, 0x43000000, |v4|
; %bb.1722:
	s_or_b32 exec_lo, exec_lo, s3
                                        ; implicit-def: $vgpr5
.LBB201_1723:
	s_and_not1_saveexec_b32 s2, s2
; %bb.1724:
	v_mov_b32_e32 v3, 0x7f
	v_cmp_lt_u32_e32 vcc_lo, 0x7f800000, v5
	s_delay_alu instid0(VALU_DEP_2)
	v_cndmask_b32_e32 v3, 0x7c, v3, vcc_lo
; %bb.1725:
	s_or_b32 exec_lo, exec_lo, s2
	v_lshrrev_b32_e32 v5, 24, v4
	s_delay_alu instid0(VALU_DEP_1)
	v_and_or_b32 v3, 0x80, v5, v3
	global_store_b8 v[6:7], v3, off
.LBB201_1726:
	s_mov_b32 s2, 0
	s_mov_b32 s3, -1
.LBB201_1727:
	s_and_not1_b32 vcc_lo, exec_lo, s2
	s_mov_b32 s2, 0
	s_cbranch_vccnz .LBB201_1734
; %bb.1728:
	v_cmp_lt_i16_e32 vcc_lo, 14, v9
	s_mov_b32 s2, -1
	s_cbranch_vccz .LBB201_1732
; %bb.1729:
	v_cmp_eq_u16_e32 vcc_lo, 15, v9
	s_mov_b32 s0, -1
	s_cbranch_vccz .LBB201_1731
; %bb.1730:
	v_bfe_u32 v3, v4, 16, 1
	v_cmp_o_f32_e32 vcc_lo, v4, v4
	s_mov_b32 s0, 0
	s_mov_b32 s3, -1
	s_delay_alu instid0(VALU_DEP_2) | instskip(NEXT) | instid1(VALU_DEP_1)
	v_add3_u32 v3, v4, v3, 0x7fff
	v_lshrrev_b32_e32 v3, 16, v3
	s_delay_alu instid0(VALU_DEP_1)
	v_cndmask_b32_e32 v3, 0x7fc0, v3, vcc_lo
	global_store_b16 v[6:7], v3, off
.LBB201_1731:
	s_mov_b32 s2, 0
.LBB201_1732:
	s_delay_alu instid0(SALU_CYCLE_1)
	s_and_b32 vcc_lo, exec_lo, s2
	s_mov_b32 s2, 0
	s_cbranch_vccz .LBB201_1734
; %bb.1733:
	v_cmp_ne_u16_e64 s0, 11, v9
	s_mov_b32 s2, -1
.LBB201_1734:
	s_delay_alu instid0(VALU_DEP_1)
	s_and_b32 vcc_lo, exec_lo, s0
	s_cbranch_vccnz .LBB201_2141
; %bb.1735:
	s_and_not1_b32 vcc_lo, exec_lo, s2
	s_cbranch_vccnz .LBB201_1737
.LBB201_1736:
	s_delay_alu instid0(VALU_DEP_2)
	v_cmp_neq_f32_e32 vcc_lo, 0, v4
	s_mov_b32 s3, -1
	v_cndmask_b32_e64 v3, 0, 1, vcc_lo
	global_store_b8 v[6:7], v3, off
.LBB201_1737:
	s_mov_b32 s0, 0
.LBB201_1738:
	s_delay_alu instid0(SALU_CYCLE_1)
	s_and_b32 vcc_lo, exec_lo, s0
	s_cbranch_vccz .LBB201_1777
; %bb.1739:
	v_cmp_gt_i16_e32 vcc_lo, 5, v9
	s_mov_b32 s0, -1
	s_cbranch_vccnz .LBB201_1760
; %bb.1740:
	v_cmp_gt_i16_e32 vcc_lo, 8, v9
	s_cbranch_vccnz .LBB201_1750
; %bb.1741:
	v_cmp_gt_i16_e32 vcc_lo, 9, v9
	s_cbranch_vccnz .LBB201_1747
; %bb.1742:
	v_cmp_lt_i16_e32 vcc_lo, 9, v9
	s_cbranch_vccz .LBB201_1744
; %bb.1743:
	v_cvt_f64_f32_e32 v[12:13], v4
	v_mov_b32_e32 v14, 0
	s_mov_b32 s0, 0
	s_delay_alu instid0(VALU_DEP_1)
	v_mov_b32_e32 v15, v14
	global_store_b128 v[6:7], v[12:15], off
.LBB201_1744:
	s_and_not1_b32 vcc_lo, exec_lo, s0
	s_cbranch_vccnz .LBB201_1746
; %bb.1745:
	v_mov_b32_e32 v5, 0
	global_store_b64 v[6:7], v[4:5], off
.LBB201_1746:
	s_mov_b32 s0, 0
.LBB201_1747:
	s_delay_alu instid0(SALU_CYCLE_1)
	s_and_not1_b32 vcc_lo, exec_lo, s0
	s_cbranch_vccnz .LBB201_1749
; %bb.1748:
	s_delay_alu instid0(VALU_DEP_4) | instskip(NEXT) | instid1(VALU_DEP_1)
	v_cvt_f16_f32_e32 v3, v4
	v_and_b32_e32 v3, 0xffff, v3
	global_store_b32 v[6:7], v3, off
.LBB201_1749:
	s_mov_b32 s0, 0
.LBB201_1750:
	s_delay_alu instid0(SALU_CYCLE_1)
	s_and_not1_b32 vcc_lo, exec_lo, s0
	s_cbranch_vccnz .LBB201_1759
; %bb.1751:
	v_cmp_gt_i16_e32 vcc_lo, 6, v9
	s_mov_b32 s0, -1
	s_cbranch_vccnz .LBB201_1757
; %bb.1752:
	v_cmp_lt_i16_e32 vcc_lo, 6, v9
	s_cbranch_vccz .LBB201_1754
; %bb.1753:
	v_cvt_f64_f32_e32 v[12:13], v4
	s_mov_b32 s0, 0
	global_store_b64 v[6:7], v[12:13], off
.LBB201_1754:
	s_and_not1_b32 vcc_lo, exec_lo, s0
	s_cbranch_vccnz .LBB201_1756
; %bb.1755:
	global_store_b32 v[6:7], v4, off
.LBB201_1756:
	s_mov_b32 s0, 0
.LBB201_1757:
	s_delay_alu instid0(SALU_CYCLE_1)
	s_and_not1_b32 vcc_lo, exec_lo, s0
	s_cbranch_vccnz .LBB201_1759
; %bb.1758:
	s_delay_alu instid0(VALU_DEP_4)
	v_cvt_f16_f32_e32 v3, v4
	global_store_b16 v[6:7], v3, off
.LBB201_1759:
	s_mov_b32 s0, 0
.LBB201_1760:
	s_delay_alu instid0(SALU_CYCLE_1)
	s_and_not1_b32 vcc_lo, exec_lo, s0
	s_cbranch_vccnz .LBB201_1776
; %bb.1761:
	v_cmp_gt_i16_e32 vcc_lo, 2, v9
	s_mov_b32 s0, -1
	s_cbranch_vccnz .LBB201_1771
; %bb.1762:
	v_cmp_gt_i16_e32 vcc_lo, 3, v9
	s_cbranch_vccnz .LBB201_1768
; %bb.1763:
	v_cmp_lt_i16_e32 vcc_lo, 3, v9
	s_cbranch_vccz .LBB201_1765
; %bb.1764:
	v_trunc_f32_e32 v3, v4
	s_mov_b32 s0, 0
	s_delay_alu instid0(VALU_DEP_1) | instskip(NEXT) | instid1(VALU_DEP_1)
	v_mul_f32_e64 v5, 0x2f800000, |v3|
	v_floor_f32_e32 v5, v5
	s_delay_alu instid0(VALU_DEP_1) | instskip(SKIP_2) | instid1(VALU_DEP_3)
	v_fma_f32 v12, 0xcf800000, v5, |v3|
	v_ashrrev_i32_e32 v3, 31, v3
	v_cvt_u32_f32_e32 v5, v5
	v_cvt_u32_f32_e32 v12, v12
	s_delay_alu instid0(VALU_DEP_2) | instskip(NEXT) | instid1(VALU_DEP_2)
	v_xor_b32_e32 v5, v5, v3
	v_xor_b32_e32 v12, v12, v3
	s_delay_alu instid0(VALU_DEP_1) | instskip(NEXT) | instid1(VALU_DEP_3)
	v_sub_co_u32 v12, vcc_lo, v12, v3
	v_sub_co_ci_u32_e32 v13, vcc_lo, v5, v3, vcc_lo
	global_store_b64 v[6:7], v[12:13], off
.LBB201_1765:
	s_and_not1_b32 vcc_lo, exec_lo, s0
	s_cbranch_vccnz .LBB201_1767
; %bb.1766:
	v_cvt_i32_f32_e32 v3, v4
	global_store_b32 v[6:7], v3, off
.LBB201_1767:
	s_mov_b32 s0, 0
.LBB201_1768:
	s_delay_alu instid0(SALU_CYCLE_1)
	s_and_not1_b32 vcc_lo, exec_lo, s0
	s_cbranch_vccnz .LBB201_1770
; %bb.1769:
	s_delay_alu instid0(VALU_DEP_4)
	v_cvt_i32_f32_e32 v3, v4
	global_store_b16 v[6:7], v3, off
.LBB201_1770:
	s_mov_b32 s0, 0
.LBB201_1771:
	s_delay_alu instid0(SALU_CYCLE_1)
	s_and_not1_b32 vcc_lo, exec_lo, s0
	s_cbranch_vccnz .LBB201_1776
; %bb.1772:
	v_cmp_lt_i16_e32 vcc_lo, 0, v9
	s_mov_b32 s0, -1
	s_cbranch_vccz .LBB201_1774
; %bb.1773:
	s_delay_alu instid0(VALU_DEP_4)
	v_cvt_i32_f32_e32 v3, v4
	s_mov_b32 s0, 0
	global_store_b8 v[6:7], v3, off
.LBB201_1774:
	s_and_not1_b32 vcc_lo, exec_lo, s0
	s_cbranch_vccnz .LBB201_1776
; %bb.1775:
	s_delay_alu instid0(VALU_DEP_4) | instskip(NEXT) | instid1(VALU_DEP_1)
	v_trunc_f32_e32 v3, v4
	v_mul_f32_e64 v4, 0x2f800000, |v3|
	s_delay_alu instid0(VALU_DEP_1) | instskip(NEXT) | instid1(VALU_DEP_1)
	v_floor_f32_e32 v4, v4
	v_fma_f32 v4, 0xcf800000, v4, |v3|
	v_ashrrev_i32_e32 v3, 31, v3
	s_delay_alu instid0(VALU_DEP_2) | instskip(NEXT) | instid1(VALU_DEP_1)
	v_cvt_u32_f32_e32 v4, v4
	v_xor_b32_e32 v4, v4, v3
	s_delay_alu instid0(VALU_DEP_1)
	v_sub_nc_u32_e32 v3, v4, v3
	global_store_b8 v[6:7], v3, off
.LBB201_1776:
	s_mov_b32 s3, -1
.LBB201_1777:
	s_delay_alu instid0(SALU_CYCLE_1)
	s_and_not1_b32 vcc_lo, exec_lo, s3
	s_cbranch_vccnz .LBB201_2090
; %bb.1778:
	s_waitcnt vmcnt(0)
	v_cvt_f64_f32_e32 v[3:4], v8
	v_add_co_u32 v2, s0, s4, v2
	s_mov_b32 s3, 0
	s_delay_alu instid0(VALU_DEP_2) | instskip(SKIP_3) | instid1(VALU_DEP_2)
	v_rsq_f64_e32 v[5:6], v[3:4]
	s_waitcnt_depctr 0xfff
	v_mul_f64 v[3:4], v[5:6], -v[3:4]
	v_cmp_class_f64_e64 vcc_lo, v[5:6], 0x180
	v_fma_f64 v[3:4], v[3:4], v[5:6], 1.0
	s_delay_alu instid0(VALU_DEP_1) | instskip(SKIP_1) | instid1(VALU_DEP_1)
	v_mul_f64 v[7:8], v[5:6], v[3:4]
	v_fma_f64 v[3:4], 0x3fd80000, v[3:4], 0.5
	v_fma_f64 v[3:4], v[7:8], v[3:4], v[5:6]
	s_delay_alu instid0(VALU_DEP_1) | instskip(SKIP_1) | instid1(VALU_DEP_2)
	v_dual_cndmask_b32 v4, v6, v4 :: v_dual_cndmask_b32 v3, v5, v3
	v_cmp_gt_i16_e32 vcc_lo, 11, v9
	v_cvt_f32_f64_e32 v4, v[3:4]
	v_add_co_ci_u32_e64 v3, null, s5, 0, s0
	s_mov_b32 s0, -1
	s_cbranch_vccnz .LBB201_1856
; %bb.1779:
	v_cmp_lt_i16_e32 vcc_lo, 25, v9
	s_mov_b32 s6, -1
	s_mov_b32 s2, 0
	s_mov_b32 s0, 0
	s_cbranch_vccz .LBB201_1812
; %bb.1780:
	v_cmp_lt_i16_e32 vcc_lo, 28, v9
	s_cbranch_vccz .LBB201_1795
; %bb.1781:
	v_cmp_lt_i16_e32 vcc_lo, 43, v9
	;; [unrolled: 3-line block ×3, first 2 shown]
	s_cbranch_vccz .LBB201_1785
; %bb.1783:
	v_cmp_eq_u16_e32 vcc_lo, 46, v9
	s_mov_b32 s0, -1
	s_mov_b32 s6, 0
	s_cbranch_vccz .LBB201_1785
; %bb.1784:
	v_bfe_u32 v5, v4, 16, 1
	v_cmp_o_f32_e32 vcc_lo, v4, v4
	s_mov_b32 s0, 0
	s_mov_b32 s3, -1
	s_delay_alu instid0(VALU_DEP_2) | instskip(NEXT) | instid1(VALU_DEP_1)
	v_add3_u32 v5, v4, v5, 0x7fff
	v_lshrrev_b32_e32 v5, 16, v5
	s_delay_alu instid0(VALU_DEP_1)
	v_cndmask_b32_e32 v5, 0x7fc0, v5, vcc_lo
	global_store_b32 v[2:3], v5, off
.LBB201_1785:
	s_and_b32 vcc_lo, exec_lo, s6
	s_cbranch_vccz .LBB201_1790
; %bb.1786:
	v_cmp_eq_u16_e32 vcc_lo, 44, v9
	s_mov_b32 s0, -1
	s_cbranch_vccz .LBB201_1790
; %bb.1787:
	v_bfe_u32 v6, v4, 23, 8
	v_mov_b32_e32 v5, 0xff
	s_mov_b32 s3, exec_lo
	s_delay_alu instid0(VALU_DEP_2)
	v_cmpx_ne_u32_e32 0xff, v6
; %bb.1788:
	v_and_b32_e32 v5, 0x400000, v4
	v_and_or_b32 v6, 0x3fffff, v4, v6
	s_delay_alu instid0(VALU_DEP_2) | instskip(NEXT) | instid1(VALU_DEP_2)
	v_cmp_ne_u32_e32 vcc_lo, 0, v5
	v_cmp_ne_u32_e64 s0, 0, v6
	v_lshrrev_b32_e32 v5, 23, v4
	s_delay_alu instid0(VALU_DEP_2) | instskip(NEXT) | instid1(SALU_CYCLE_1)
	s_and_b32 s0, vcc_lo, s0
	v_cndmask_b32_e64 v6, 0, 1, s0
	s_delay_alu instid0(VALU_DEP_1)
	v_add_nc_u32_e32 v5, v5, v6
; %bb.1789:
	s_or_b32 exec_lo, exec_lo, s3
	s_mov_b32 s0, 0
	s_mov_b32 s3, -1
	global_store_b8 v[2:3], v5, off
.LBB201_1790:
	s_mov_b32 s6, 0
.LBB201_1791:
	s_delay_alu instid0(SALU_CYCLE_1)
	s_and_b32 vcc_lo, exec_lo, s6
	s_cbranch_vccz .LBB201_1794
; %bb.1792:
	v_cmp_eq_u16_e32 vcc_lo, 29, v9
	s_mov_b32 s0, -1
	s_cbranch_vccz .LBB201_1794
; %bb.1793:
	v_trunc_f32_e32 v5, v4
	s_mov_b32 s0, 0
	s_mov_b32 s3, -1
	s_delay_alu instid0(VALU_DEP_1) | instskip(NEXT) | instid1(VALU_DEP_1)
	v_mul_f32_e32 v6, 0x2f800000, v5
	v_floor_f32_e32 v6, v6
	s_delay_alu instid0(VALU_DEP_1) | instskip(SKIP_1) | instid1(VALU_DEP_2)
	v_fmamk_f32 v5, v6, 0xcf800000, v5
	v_cvt_u32_f32_e32 v6, v6
	v_cvt_u32_f32_e32 v5, v5
	global_store_b64 v[2:3], v[5:6], off
.LBB201_1794:
	s_mov_b32 s6, 0
.LBB201_1795:
	s_delay_alu instid0(SALU_CYCLE_1)
	s_and_b32 vcc_lo, exec_lo, s6
	s_cbranch_vccz .LBB201_1811
; %bb.1796:
	v_cmp_gt_i16_e32 vcc_lo, 27, v9
	s_mov_b32 s3, -1
	s_cbranch_vccnz .LBB201_1802
; %bb.1797:
	v_cmp_lt_i16_e32 vcc_lo, 27, v9
	v_cvt_u32_f32_e32 v5, v4
	s_cbranch_vccz .LBB201_1799
; %bb.1798:
	s_mov_b32 s3, 0
	global_store_b32 v[2:3], v5, off
.LBB201_1799:
	s_and_not1_b32 vcc_lo, exec_lo, s3
	s_cbranch_vccnz .LBB201_1801
; %bb.1800:
	global_store_b16 v[2:3], v5, off
.LBB201_1801:
	s_mov_b32 s3, 0
.LBB201_1802:
	s_delay_alu instid0(SALU_CYCLE_1)
	s_and_not1_b32 vcc_lo, exec_lo, s3
	s_cbranch_vccnz .LBB201_1810
; %bb.1803:
	v_and_b32_e32 v5, 0x7fffffff, v4
	v_mov_b32_e32 v6, 0x80
	s_mov_b32 s3, exec_lo
	s_delay_alu instid0(VALU_DEP_2)
	v_cmpx_gt_u32_e32 0x43800000, v5
	s_cbranch_execz .LBB201_1809
; %bb.1804:
	v_cmp_lt_u32_e32 vcc_lo, 0x3bffffff, v5
	s_mov_b32 s6, 0
                                        ; implicit-def: $vgpr5
	s_and_saveexec_b32 s7, vcc_lo
	s_delay_alu instid0(SALU_CYCLE_1)
	s_xor_b32 s7, exec_lo, s7
	s_cbranch_execz .LBB201_2145
; %bb.1805:
	v_bfe_u32 v5, v4, 20, 1
	s_mov_b32 s6, exec_lo
	s_delay_alu instid0(VALU_DEP_1) | instskip(NEXT) | instid1(VALU_DEP_1)
	v_add3_u32 v5, v4, v5, 0x487ffff
	v_lshrrev_b32_e32 v5, 20, v5
	s_or_saveexec_b32 s7, s7
                                        ; implicit-def: $sgpr10
	s_delay_alu instid0(SALU_CYCLE_1)
	s_xor_b32 exec_lo, exec_lo, s7
	s_cbranch_execnz .LBB201_2146
.LBB201_1806:
	s_or_b32 exec_lo, exec_lo, s7
	v_mov_b32_e32 v6, s10
	s_and_saveexec_b32 s7, s6
.LBB201_1807:
	v_lshrrev_b32_e32 v6, 24, v4
	s_delay_alu instid0(VALU_DEP_1)
	v_and_or_b32 v6, 0x80, v6, v5
.LBB201_1808:
	s_or_b32 exec_lo, exec_lo, s7
.LBB201_1809:
	s_delay_alu instid0(SALU_CYCLE_1)
	s_or_b32 exec_lo, exec_lo, s3
	global_store_b8 v[2:3], v6, off
.LBB201_1810:
	s_mov_b32 s3, -1
.LBB201_1811:
	s_mov_b32 s6, 0
.LBB201_1812:
	s_delay_alu instid0(SALU_CYCLE_1)
	s_and_b32 vcc_lo, exec_lo, s6
	s_cbranch_vccz .LBB201_1852
; %bb.1813:
	v_cmp_lt_i16_e32 vcc_lo, 22, v9
	s_mov_b32 s2, -1
	s_cbranch_vccz .LBB201_1845
; %bb.1814:
	v_cmp_gt_i16_e32 vcc_lo, 24, v9
	s_cbranch_vccnz .LBB201_1834
; %bb.1815:
	v_cmp_lt_i16_e32 vcc_lo, 24, v9
	s_cbranch_vccz .LBB201_1823
; %bb.1816:
	v_and_b32_e32 v5, 0x7fffffff, v4
	v_mov_b32_e32 v6, 0x80
	s_mov_b32 s2, exec_lo
	s_delay_alu instid0(VALU_DEP_2)
	v_cmpx_gt_u32_e32 0x47800000, v5
	s_cbranch_execz .LBB201_1822
; %bb.1817:
	v_cmp_lt_u32_e32 vcc_lo, 0x37ffffff, v5
	s_mov_b32 s3, 0
                                        ; implicit-def: $vgpr5
	s_and_saveexec_b32 s6, vcc_lo
	s_delay_alu instid0(SALU_CYCLE_1)
	s_xor_b32 s6, exec_lo, s6
	s_cbranch_execz .LBB201_2151
; %bb.1818:
	v_bfe_u32 v5, v4, 21, 1
	s_mov_b32 s3, exec_lo
	s_delay_alu instid0(VALU_DEP_1) | instskip(NEXT) | instid1(VALU_DEP_1)
	v_add3_u32 v5, v4, v5, 0x88fffff
	v_lshrrev_b32_e32 v5, 21, v5
	s_or_saveexec_b32 s6, s6
                                        ; implicit-def: $sgpr7
	s_delay_alu instid0(SALU_CYCLE_1)
	s_xor_b32 exec_lo, exec_lo, s6
	s_cbranch_execnz .LBB201_2152
.LBB201_1819:
	s_or_b32 exec_lo, exec_lo, s6
	v_mov_b32_e32 v6, s7
	s_and_saveexec_b32 s6, s3
.LBB201_1820:
	v_lshrrev_b32_e32 v6, 24, v4
	s_delay_alu instid0(VALU_DEP_1)
	v_and_or_b32 v6, 0x80, v6, v5
.LBB201_1821:
	s_or_b32 exec_lo, exec_lo, s6
.LBB201_1822:
	s_delay_alu instid0(SALU_CYCLE_1)
	s_or_b32 exec_lo, exec_lo, s2
	s_mov_b32 s2, 0
	global_store_b8 v[2:3], v6, off
.LBB201_1823:
	s_and_b32 vcc_lo, exec_lo, s2
	s_cbranch_vccz .LBB201_1833
; %bb.1824:
	v_and_b32_e32 v6, 0x7fffffff, v4
	s_mov_b32 s2, exec_lo
                                        ; implicit-def: $vgpr5
	s_delay_alu instid0(VALU_DEP_1)
	v_cmpx_gt_u32_e32 0x43f00000, v6
	s_xor_b32 s2, exec_lo, s2
	s_cbranch_execz .LBB201_1830
; %bb.1825:
	s_mov_b32 s3, exec_lo
                                        ; implicit-def: $vgpr5
	v_cmpx_lt_u32_e32 0x3c7fffff, v6
	s_xor_b32 s3, exec_lo, s3
; %bb.1826:
	v_bfe_u32 v5, v4, 20, 1
	s_delay_alu instid0(VALU_DEP_1) | instskip(NEXT) | instid1(VALU_DEP_1)
	v_add3_u32 v5, v4, v5, 0x407ffff
	v_and_b32_e32 v6, 0xff00000, v5
	v_lshrrev_b32_e32 v5, 20, v5
	s_delay_alu instid0(VALU_DEP_2) | instskip(NEXT) | instid1(VALU_DEP_2)
	v_cmp_ne_u32_e32 vcc_lo, 0x7f00000, v6
	v_cndmask_b32_e32 v5, 0x7e, v5, vcc_lo
; %bb.1827:
	s_and_not1_saveexec_b32 s3, s3
; %bb.1828:
	v_add_f32_e64 v5, 0x46800000, |v4|
; %bb.1829:
	s_or_b32 exec_lo, exec_lo, s3
                                        ; implicit-def: $vgpr6
.LBB201_1830:
	s_and_not1_saveexec_b32 s2, s2
; %bb.1831:
	v_mov_b32_e32 v5, 0x7f
	v_cmp_lt_u32_e32 vcc_lo, 0x7f800000, v6
	s_delay_alu instid0(VALU_DEP_2)
	v_cndmask_b32_e32 v5, 0x7e, v5, vcc_lo
; %bb.1832:
	s_or_b32 exec_lo, exec_lo, s2
	v_lshrrev_b32_e32 v6, 24, v4
	s_delay_alu instid0(VALU_DEP_1)
	v_and_or_b32 v5, 0x80, v6, v5
	global_store_b8 v[2:3], v5, off
.LBB201_1833:
	s_mov_b32 s2, 0
.LBB201_1834:
	s_delay_alu instid0(SALU_CYCLE_1)
	s_and_not1_b32 vcc_lo, exec_lo, s2
	s_cbranch_vccnz .LBB201_1844
; %bb.1835:
	v_and_b32_e32 v6, 0x7fffffff, v4
	s_mov_b32 s2, exec_lo
                                        ; implicit-def: $vgpr5
	s_delay_alu instid0(VALU_DEP_1)
	v_cmpx_gt_u32_e32 0x47800000, v6
	s_xor_b32 s2, exec_lo, s2
	s_cbranch_execz .LBB201_1841
; %bb.1836:
	s_mov_b32 s3, exec_lo
                                        ; implicit-def: $vgpr5
	v_cmpx_lt_u32_e32 0x387fffff, v6
	s_xor_b32 s3, exec_lo, s3
; %bb.1837:
	v_bfe_u32 v5, v4, 21, 1
	s_delay_alu instid0(VALU_DEP_1) | instskip(NEXT) | instid1(VALU_DEP_1)
	v_add3_u32 v5, v4, v5, 0x80fffff
	v_lshrrev_b32_e32 v5, 21, v5
; %bb.1838:
	s_and_not1_saveexec_b32 s3, s3
; %bb.1839:
	v_add_f32_e64 v5, 0x43000000, |v4|
; %bb.1840:
	s_or_b32 exec_lo, exec_lo, s3
                                        ; implicit-def: $vgpr6
.LBB201_1841:
	s_and_not1_saveexec_b32 s2, s2
; %bb.1842:
	v_mov_b32_e32 v5, 0x7f
	v_cmp_lt_u32_e32 vcc_lo, 0x7f800000, v6
	s_delay_alu instid0(VALU_DEP_2)
	v_cndmask_b32_e32 v5, 0x7c, v5, vcc_lo
; %bb.1843:
	s_or_b32 exec_lo, exec_lo, s2
	v_lshrrev_b32_e32 v6, 24, v4
	s_delay_alu instid0(VALU_DEP_1)
	v_and_or_b32 v5, 0x80, v6, v5
	global_store_b8 v[2:3], v5, off
.LBB201_1844:
	s_mov_b32 s2, 0
	s_mov_b32 s3, -1
.LBB201_1845:
	s_and_not1_b32 vcc_lo, exec_lo, s2
	s_mov_b32 s2, 0
	s_cbranch_vccnz .LBB201_1852
; %bb.1846:
	v_cmp_lt_i16_e32 vcc_lo, 14, v9
	s_mov_b32 s2, -1
	s_cbranch_vccz .LBB201_1850
; %bb.1847:
	v_cmp_eq_u16_e32 vcc_lo, 15, v9
	s_mov_b32 s0, -1
	s_cbranch_vccz .LBB201_1849
; %bb.1848:
	v_bfe_u32 v5, v4, 16, 1
	v_cmp_o_f32_e32 vcc_lo, v4, v4
	s_mov_b32 s0, 0
	s_mov_b32 s3, -1
	s_delay_alu instid0(VALU_DEP_2) | instskip(NEXT) | instid1(VALU_DEP_1)
	v_add3_u32 v5, v4, v5, 0x7fff
	v_lshrrev_b32_e32 v5, 16, v5
	s_delay_alu instid0(VALU_DEP_1)
	v_cndmask_b32_e32 v5, 0x7fc0, v5, vcc_lo
	global_store_b16 v[2:3], v5, off
.LBB201_1849:
	s_mov_b32 s2, 0
.LBB201_1850:
	s_delay_alu instid0(SALU_CYCLE_1)
	s_and_b32 vcc_lo, exec_lo, s2
	s_mov_b32 s2, 0
	s_cbranch_vccz .LBB201_1852
; %bb.1851:
	v_cmp_ne_u16_e64 s0, 11, v9
	s_mov_b32 s2, -1
.LBB201_1852:
	s_delay_alu instid0(VALU_DEP_1)
	s_and_b32 vcc_lo, exec_lo, s0
	s_cbranch_vccnz .LBB201_2149
; %bb.1853:
	s_and_not1_b32 vcc_lo, exec_lo, s2
	s_cbranch_vccnz .LBB201_1855
.LBB201_1854:
	s_delay_alu instid0(VALU_DEP_3)
	v_cmp_neq_f32_e32 vcc_lo, 0, v4
	s_mov_b32 s3, -1
	v_cndmask_b32_e64 v5, 0, 1, vcc_lo
	global_store_b8 v[2:3], v5, off
.LBB201_1855:
	s_mov_b32 s0, 0
.LBB201_1856:
	s_delay_alu instid0(SALU_CYCLE_1)
	s_and_b32 vcc_lo, exec_lo, s0
	s_cbranch_vccz .LBB201_1895
; %bb.1857:
	v_cmp_gt_i16_e32 vcc_lo, 5, v9
	s_mov_b32 s0, -1
	s_cbranch_vccnz .LBB201_1878
; %bb.1858:
	v_cmp_gt_i16_e32 vcc_lo, 8, v9
	s_cbranch_vccnz .LBB201_1868
; %bb.1859:
	v_cmp_gt_i16_e32 vcc_lo, 9, v9
	s_cbranch_vccnz .LBB201_1865
; %bb.1860:
	v_cmp_lt_i16_e32 vcc_lo, 9, v9
	s_cbranch_vccz .LBB201_1862
; %bb.1861:
	v_cvt_f64_f32_e32 v[5:6], v4
	v_mov_b32_e32 v7, 0
	s_mov_b32 s0, 0
	s_delay_alu instid0(VALU_DEP_1)
	v_mov_b32_e32 v8, v7
	global_store_b128 v[2:3], v[5:8], off
.LBB201_1862:
	s_and_not1_b32 vcc_lo, exec_lo, s0
	s_cbranch_vccnz .LBB201_1864
; %bb.1863:
	v_mov_b32_e32 v5, 0
	global_store_b64 v[2:3], v[4:5], off
.LBB201_1864:
	s_mov_b32 s0, 0
.LBB201_1865:
	s_delay_alu instid0(SALU_CYCLE_1)
	s_and_not1_b32 vcc_lo, exec_lo, s0
	s_cbranch_vccnz .LBB201_1867
; %bb.1866:
	v_cvt_f16_f32_e32 v5, v4
	s_delay_alu instid0(VALU_DEP_1)
	v_and_b32_e32 v5, 0xffff, v5
	global_store_b32 v[2:3], v5, off
.LBB201_1867:
	s_mov_b32 s0, 0
.LBB201_1868:
	s_delay_alu instid0(SALU_CYCLE_1)
	s_and_not1_b32 vcc_lo, exec_lo, s0
	s_cbranch_vccnz .LBB201_1877
; %bb.1869:
	v_cmp_gt_i16_e32 vcc_lo, 6, v9
	s_mov_b32 s0, -1
	s_cbranch_vccnz .LBB201_1875
; %bb.1870:
	v_cmp_lt_i16_e32 vcc_lo, 6, v9
	s_cbranch_vccz .LBB201_1872
; %bb.1871:
	v_cvt_f64_f32_e32 v[5:6], v4
	s_mov_b32 s0, 0
	global_store_b64 v[2:3], v[5:6], off
.LBB201_1872:
	s_and_not1_b32 vcc_lo, exec_lo, s0
	s_cbranch_vccnz .LBB201_1874
; %bb.1873:
	global_store_b32 v[2:3], v4, off
.LBB201_1874:
	s_mov_b32 s0, 0
.LBB201_1875:
	s_delay_alu instid0(SALU_CYCLE_1)
	s_and_not1_b32 vcc_lo, exec_lo, s0
	s_cbranch_vccnz .LBB201_1877
; %bb.1876:
	v_cvt_f16_f32_e32 v5, v4
	global_store_b16 v[2:3], v5, off
.LBB201_1877:
	s_mov_b32 s0, 0
.LBB201_1878:
	s_delay_alu instid0(SALU_CYCLE_1)
	s_and_not1_b32 vcc_lo, exec_lo, s0
	s_cbranch_vccnz .LBB201_1894
; %bb.1879:
	v_cmp_gt_i16_e32 vcc_lo, 2, v9
	s_mov_b32 s0, -1
	s_cbranch_vccnz .LBB201_1889
; %bb.1880:
	v_cmp_gt_i16_e32 vcc_lo, 3, v9
	s_cbranch_vccnz .LBB201_1886
; %bb.1881:
	v_cmp_lt_i16_e32 vcc_lo, 3, v9
	s_cbranch_vccz .LBB201_1883
; %bb.1882:
	v_trunc_f32_e32 v5, v4
	s_mov_b32 s0, 0
	s_delay_alu instid0(VALU_DEP_1) | instskip(SKIP_1) | instid1(VALU_DEP_2)
	v_mul_f32_e64 v6, 0x2f800000, |v5|
	v_ashrrev_i32_e32 v8, 31, v5
	v_floor_f32_e32 v6, v6
	s_delay_alu instid0(VALU_DEP_1) | instskip(SKIP_1) | instid1(VALU_DEP_2)
	v_fma_f32 v7, 0xcf800000, v6, |v5|
	v_cvt_u32_f32_e32 v6, v6
	v_cvt_u32_f32_e32 v5, v7
	s_delay_alu instid0(VALU_DEP_2) | instskip(NEXT) | instid1(VALU_DEP_2)
	v_xor_b32_e32 v6, v6, v8
	v_xor_b32_e32 v5, v5, v8
	s_delay_alu instid0(VALU_DEP_1) | instskip(NEXT) | instid1(VALU_DEP_3)
	v_sub_co_u32 v5, vcc_lo, v5, v8
	v_sub_co_ci_u32_e32 v6, vcc_lo, v6, v8, vcc_lo
	global_store_b64 v[2:3], v[5:6], off
.LBB201_1883:
	s_and_not1_b32 vcc_lo, exec_lo, s0
	s_cbranch_vccnz .LBB201_1885
; %bb.1884:
	v_cvt_i32_f32_e32 v5, v4
	global_store_b32 v[2:3], v5, off
.LBB201_1885:
	s_mov_b32 s0, 0
.LBB201_1886:
	s_delay_alu instid0(SALU_CYCLE_1)
	s_and_not1_b32 vcc_lo, exec_lo, s0
	s_cbranch_vccnz .LBB201_1888
; %bb.1887:
	v_cvt_i32_f32_e32 v5, v4
	global_store_b16 v[2:3], v5, off
.LBB201_1888:
	s_mov_b32 s0, 0
.LBB201_1889:
	s_delay_alu instid0(SALU_CYCLE_1)
	s_and_not1_b32 vcc_lo, exec_lo, s0
	s_cbranch_vccnz .LBB201_1894
; %bb.1890:
	v_cmp_lt_i16_e32 vcc_lo, 0, v9
	s_mov_b32 s0, -1
	s_cbranch_vccz .LBB201_1892
; %bb.1891:
	v_cvt_i32_f32_e32 v5, v4
	s_mov_b32 s0, 0
	global_store_b8 v[2:3], v5, off
.LBB201_1892:
	s_and_not1_b32 vcc_lo, exec_lo, s0
	s_cbranch_vccnz .LBB201_1894
; %bb.1893:
	v_trunc_f32_e32 v4, v4
	s_delay_alu instid0(VALU_DEP_1) | instskip(NEXT) | instid1(VALU_DEP_1)
	v_mul_f32_e64 v5, 0x2f800000, |v4|
	v_floor_f32_e32 v5, v5
	s_delay_alu instid0(VALU_DEP_1) | instskip(SKIP_1) | instid1(VALU_DEP_2)
	v_fma_f32 v5, 0xcf800000, v5, |v4|
	v_ashrrev_i32_e32 v4, 31, v4
	v_cvt_u32_f32_e32 v5, v5
	s_delay_alu instid0(VALU_DEP_1) | instskip(NEXT) | instid1(VALU_DEP_1)
	v_xor_b32_e32 v5, v5, v4
	v_sub_nc_u32_e32 v4, v5, v4
	global_store_b8 v[2:3], v4, off
.LBB201_1894:
	s_mov_b32 s3, -1
.LBB201_1895:
	s_delay_alu instid0(SALU_CYCLE_1)
	s_and_not1_b32 vcc_lo, exec_lo, s3
	s_cbranch_vccnz .LBB201_2090
; %bb.1896:
	v_cvt_f64_f32_e32 v[2:3], v10
	v_add_co_u32 v1, s0, s4, v1
	s_mov_b32 s3, 0
	s_delay_alu instid0(VALU_DEP_2) | instskip(SKIP_3) | instid1(VALU_DEP_2)
	v_rsq_f64_e32 v[4:5], v[2:3]
	s_waitcnt_depctr 0xfff
	v_mul_f64 v[2:3], v[4:5], -v[2:3]
	v_cmp_class_f64_e64 vcc_lo, v[4:5], 0x180
	v_fma_f64 v[2:3], v[2:3], v[4:5], 1.0
	s_delay_alu instid0(VALU_DEP_1) | instskip(SKIP_1) | instid1(VALU_DEP_1)
	v_mul_f64 v[6:7], v[4:5], v[2:3]
	v_fma_f64 v[2:3], 0x3fd80000, v[2:3], 0.5
	v_fma_f64 v[2:3], v[6:7], v[2:3], v[4:5]
	s_delay_alu instid0(VALU_DEP_1) | instskip(SKIP_1) | instid1(VALU_DEP_2)
	v_dual_cndmask_b32 v3, v5, v3 :: v_dual_cndmask_b32 v2, v4, v2
	v_cmp_gt_i16_e32 vcc_lo, 11, v9
	v_cvt_f32_f64_e32 v3, v[2:3]
	v_add_co_ci_u32_e64 v2, null, s5, 0, s0
	s_mov_b32 s0, -1
	s_cbranch_vccnz .LBB201_1974
; %bb.1897:
	v_cmp_lt_i16_e32 vcc_lo, 25, v9
	s_mov_b32 s6, -1
	s_mov_b32 s2, 0
	s_mov_b32 s0, 0
	s_cbranch_vccz .LBB201_1930
; %bb.1898:
	v_cmp_lt_i16_e32 vcc_lo, 28, v9
	s_cbranch_vccz .LBB201_1913
; %bb.1899:
	v_cmp_lt_i16_e32 vcc_lo, 43, v9
	;; [unrolled: 3-line block ×3, first 2 shown]
	s_cbranch_vccz .LBB201_1903
; %bb.1901:
	v_cmp_eq_u16_e32 vcc_lo, 46, v9
	s_mov_b32 s0, -1
	s_mov_b32 s6, 0
	s_cbranch_vccz .LBB201_1903
; %bb.1902:
	v_bfe_u32 v4, v3, 16, 1
	v_cmp_o_f32_e32 vcc_lo, v3, v3
	s_mov_b32 s0, 0
	s_mov_b32 s3, -1
	s_delay_alu instid0(VALU_DEP_2) | instskip(NEXT) | instid1(VALU_DEP_1)
	v_add3_u32 v4, v3, v4, 0x7fff
	v_lshrrev_b32_e32 v4, 16, v4
	s_delay_alu instid0(VALU_DEP_1)
	v_cndmask_b32_e32 v4, 0x7fc0, v4, vcc_lo
	global_store_b32 v[1:2], v4, off
.LBB201_1903:
	s_and_b32 vcc_lo, exec_lo, s6
	s_cbranch_vccz .LBB201_1908
; %bb.1904:
	v_cmp_eq_u16_e32 vcc_lo, 44, v9
	s_mov_b32 s0, -1
	s_cbranch_vccz .LBB201_1908
; %bb.1905:
	v_bfe_u32 v5, v3, 23, 8
	v_mov_b32_e32 v4, 0xff
	s_mov_b32 s3, exec_lo
	s_delay_alu instid0(VALU_DEP_2)
	v_cmpx_ne_u32_e32 0xff, v5
; %bb.1906:
	v_and_b32_e32 v4, 0x400000, v3
	v_and_or_b32 v5, 0x3fffff, v3, v5
	s_delay_alu instid0(VALU_DEP_2) | instskip(NEXT) | instid1(VALU_DEP_2)
	v_cmp_ne_u32_e32 vcc_lo, 0, v4
	v_cmp_ne_u32_e64 s0, 0, v5
	v_lshrrev_b32_e32 v4, 23, v3
	s_delay_alu instid0(VALU_DEP_2) | instskip(NEXT) | instid1(SALU_CYCLE_1)
	s_and_b32 s0, vcc_lo, s0
	v_cndmask_b32_e64 v5, 0, 1, s0
	s_delay_alu instid0(VALU_DEP_1)
	v_add_nc_u32_e32 v4, v4, v5
; %bb.1907:
	s_or_b32 exec_lo, exec_lo, s3
	s_mov_b32 s0, 0
	s_mov_b32 s3, -1
	global_store_b8 v[1:2], v4, off
.LBB201_1908:
	s_mov_b32 s6, 0
.LBB201_1909:
	s_delay_alu instid0(SALU_CYCLE_1)
	s_and_b32 vcc_lo, exec_lo, s6
	s_cbranch_vccz .LBB201_1912
; %bb.1910:
	v_cmp_eq_u16_e32 vcc_lo, 29, v9
	s_mov_b32 s0, -1
	s_cbranch_vccz .LBB201_1912
; %bb.1911:
	v_trunc_f32_e32 v4, v3
	s_mov_b32 s0, 0
	s_mov_b32 s3, -1
	s_delay_alu instid0(VALU_DEP_1) | instskip(NEXT) | instid1(VALU_DEP_1)
	v_mul_f32_e32 v5, 0x2f800000, v4
	v_floor_f32_e32 v5, v5
	s_delay_alu instid0(VALU_DEP_1) | instskip(SKIP_1) | instid1(VALU_DEP_2)
	v_fmamk_f32 v4, v5, 0xcf800000, v4
	v_cvt_u32_f32_e32 v5, v5
	v_cvt_u32_f32_e32 v4, v4
	global_store_b64 v[1:2], v[4:5], off
.LBB201_1912:
	s_mov_b32 s6, 0
.LBB201_1913:
	s_delay_alu instid0(SALU_CYCLE_1)
	s_and_b32 vcc_lo, exec_lo, s6
	s_cbranch_vccz .LBB201_1929
; %bb.1914:
	v_cmp_gt_i16_e32 vcc_lo, 27, v9
	s_mov_b32 s3, -1
	s_cbranch_vccnz .LBB201_1920
; %bb.1915:
	v_cmp_lt_i16_e32 vcc_lo, 27, v9
	v_cvt_u32_f32_e32 v4, v3
	s_cbranch_vccz .LBB201_1917
; %bb.1916:
	s_mov_b32 s3, 0
	global_store_b32 v[1:2], v4, off
.LBB201_1917:
	s_and_not1_b32 vcc_lo, exec_lo, s3
	s_cbranch_vccnz .LBB201_1919
; %bb.1918:
	global_store_b16 v[1:2], v4, off
.LBB201_1919:
	s_mov_b32 s3, 0
.LBB201_1920:
	s_delay_alu instid0(SALU_CYCLE_1)
	s_and_not1_b32 vcc_lo, exec_lo, s3
	s_cbranch_vccnz .LBB201_1928
; %bb.1921:
	v_and_b32_e32 v4, 0x7fffffff, v3
	v_mov_b32_e32 v5, 0x80
	s_mov_b32 s3, exec_lo
	s_delay_alu instid0(VALU_DEP_2)
	v_cmpx_gt_u32_e32 0x43800000, v4
	s_cbranch_execz .LBB201_1927
; %bb.1922:
	v_cmp_lt_u32_e32 vcc_lo, 0x3bffffff, v4
	s_mov_b32 s6, 0
                                        ; implicit-def: $vgpr4
	s_and_saveexec_b32 s7, vcc_lo
	s_delay_alu instid0(SALU_CYCLE_1)
	s_xor_b32 s7, exec_lo, s7
	s_cbranch_execz .LBB201_2153
; %bb.1923:
	v_bfe_u32 v4, v3, 20, 1
	s_mov_b32 s6, exec_lo
	s_delay_alu instid0(VALU_DEP_1) | instskip(NEXT) | instid1(VALU_DEP_1)
	v_add3_u32 v4, v3, v4, 0x487ffff
	v_lshrrev_b32_e32 v4, 20, v4
	s_or_saveexec_b32 s7, s7
                                        ; implicit-def: $sgpr10
	s_delay_alu instid0(SALU_CYCLE_1)
	s_xor_b32 exec_lo, exec_lo, s7
	s_cbranch_execnz .LBB201_2154
.LBB201_1924:
	s_or_b32 exec_lo, exec_lo, s7
	v_mov_b32_e32 v5, s10
	s_and_saveexec_b32 s7, s6
.LBB201_1925:
	v_lshrrev_b32_e32 v5, 24, v3
	s_delay_alu instid0(VALU_DEP_1)
	v_and_or_b32 v5, 0x80, v5, v4
.LBB201_1926:
	s_or_b32 exec_lo, exec_lo, s7
.LBB201_1927:
	s_delay_alu instid0(SALU_CYCLE_1)
	s_or_b32 exec_lo, exec_lo, s3
	global_store_b8 v[1:2], v5, off
.LBB201_1928:
	s_mov_b32 s3, -1
.LBB201_1929:
	s_mov_b32 s6, 0
.LBB201_1930:
	s_delay_alu instid0(SALU_CYCLE_1)
	s_and_b32 vcc_lo, exec_lo, s6
	s_cbranch_vccz .LBB201_1970
; %bb.1931:
	v_cmp_lt_i16_e32 vcc_lo, 22, v9
	s_mov_b32 s2, -1
	s_cbranch_vccz .LBB201_1963
; %bb.1932:
	v_cmp_gt_i16_e32 vcc_lo, 24, v9
	s_cbranch_vccnz .LBB201_1952
; %bb.1933:
	v_cmp_lt_i16_e32 vcc_lo, 24, v9
	s_cbranch_vccz .LBB201_1941
; %bb.1934:
	v_and_b32_e32 v4, 0x7fffffff, v3
	v_mov_b32_e32 v5, 0x80
	s_mov_b32 s2, exec_lo
	s_delay_alu instid0(VALU_DEP_2)
	v_cmpx_gt_u32_e32 0x47800000, v4
	s_cbranch_execz .LBB201_1940
; %bb.1935:
	v_cmp_lt_u32_e32 vcc_lo, 0x37ffffff, v4
	s_mov_b32 s3, 0
                                        ; implicit-def: $vgpr4
	s_and_saveexec_b32 s6, vcc_lo
	s_delay_alu instid0(SALU_CYCLE_1)
	s_xor_b32 s6, exec_lo, s6
	s_cbranch_execz .LBB201_2159
; %bb.1936:
	v_bfe_u32 v4, v3, 21, 1
	s_mov_b32 s3, exec_lo
	s_delay_alu instid0(VALU_DEP_1) | instskip(NEXT) | instid1(VALU_DEP_1)
	v_add3_u32 v4, v3, v4, 0x88fffff
	v_lshrrev_b32_e32 v4, 21, v4
	s_or_saveexec_b32 s6, s6
                                        ; implicit-def: $sgpr7
	s_delay_alu instid0(SALU_CYCLE_1)
	s_xor_b32 exec_lo, exec_lo, s6
	s_cbranch_execnz .LBB201_2160
.LBB201_1937:
	s_or_b32 exec_lo, exec_lo, s6
	v_mov_b32_e32 v5, s7
	s_and_saveexec_b32 s6, s3
.LBB201_1938:
	v_lshrrev_b32_e32 v5, 24, v3
	s_delay_alu instid0(VALU_DEP_1)
	v_and_or_b32 v5, 0x80, v5, v4
.LBB201_1939:
	s_or_b32 exec_lo, exec_lo, s6
.LBB201_1940:
	s_delay_alu instid0(SALU_CYCLE_1)
	s_or_b32 exec_lo, exec_lo, s2
	s_mov_b32 s2, 0
	global_store_b8 v[1:2], v5, off
.LBB201_1941:
	s_and_b32 vcc_lo, exec_lo, s2
	s_cbranch_vccz .LBB201_1951
; %bb.1942:
	v_and_b32_e32 v5, 0x7fffffff, v3
	s_mov_b32 s2, exec_lo
                                        ; implicit-def: $vgpr4
	s_delay_alu instid0(VALU_DEP_1)
	v_cmpx_gt_u32_e32 0x43f00000, v5
	s_xor_b32 s2, exec_lo, s2
	s_cbranch_execz .LBB201_1948
; %bb.1943:
	s_mov_b32 s3, exec_lo
                                        ; implicit-def: $vgpr4
	v_cmpx_lt_u32_e32 0x3c7fffff, v5
	s_xor_b32 s3, exec_lo, s3
; %bb.1944:
	v_bfe_u32 v4, v3, 20, 1
	s_delay_alu instid0(VALU_DEP_1) | instskip(NEXT) | instid1(VALU_DEP_1)
	v_add3_u32 v4, v3, v4, 0x407ffff
	v_and_b32_e32 v5, 0xff00000, v4
	v_lshrrev_b32_e32 v4, 20, v4
	s_delay_alu instid0(VALU_DEP_2) | instskip(NEXT) | instid1(VALU_DEP_2)
	v_cmp_ne_u32_e32 vcc_lo, 0x7f00000, v5
	v_cndmask_b32_e32 v4, 0x7e, v4, vcc_lo
; %bb.1945:
	s_and_not1_saveexec_b32 s3, s3
; %bb.1946:
	v_add_f32_e64 v4, 0x46800000, |v3|
; %bb.1947:
	s_or_b32 exec_lo, exec_lo, s3
                                        ; implicit-def: $vgpr5
.LBB201_1948:
	s_and_not1_saveexec_b32 s2, s2
; %bb.1949:
	v_mov_b32_e32 v4, 0x7f
	v_cmp_lt_u32_e32 vcc_lo, 0x7f800000, v5
	s_delay_alu instid0(VALU_DEP_2)
	v_cndmask_b32_e32 v4, 0x7e, v4, vcc_lo
; %bb.1950:
	s_or_b32 exec_lo, exec_lo, s2
	v_lshrrev_b32_e32 v5, 24, v3
	s_delay_alu instid0(VALU_DEP_1)
	v_and_or_b32 v4, 0x80, v5, v4
	global_store_b8 v[1:2], v4, off
.LBB201_1951:
	s_mov_b32 s2, 0
.LBB201_1952:
	s_delay_alu instid0(SALU_CYCLE_1)
	s_and_not1_b32 vcc_lo, exec_lo, s2
	s_cbranch_vccnz .LBB201_1962
; %bb.1953:
	v_and_b32_e32 v5, 0x7fffffff, v3
	s_mov_b32 s2, exec_lo
                                        ; implicit-def: $vgpr4
	s_delay_alu instid0(VALU_DEP_1)
	v_cmpx_gt_u32_e32 0x47800000, v5
	s_xor_b32 s2, exec_lo, s2
	s_cbranch_execz .LBB201_1959
; %bb.1954:
	s_mov_b32 s3, exec_lo
                                        ; implicit-def: $vgpr4
	v_cmpx_lt_u32_e32 0x387fffff, v5
	s_xor_b32 s3, exec_lo, s3
; %bb.1955:
	v_bfe_u32 v4, v3, 21, 1
	s_delay_alu instid0(VALU_DEP_1) | instskip(NEXT) | instid1(VALU_DEP_1)
	v_add3_u32 v4, v3, v4, 0x80fffff
	v_lshrrev_b32_e32 v4, 21, v4
; %bb.1956:
	s_and_not1_saveexec_b32 s3, s3
; %bb.1957:
	v_add_f32_e64 v4, 0x43000000, |v3|
; %bb.1958:
	s_or_b32 exec_lo, exec_lo, s3
                                        ; implicit-def: $vgpr5
.LBB201_1959:
	s_and_not1_saveexec_b32 s2, s2
; %bb.1960:
	v_mov_b32_e32 v4, 0x7f
	v_cmp_lt_u32_e32 vcc_lo, 0x7f800000, v5
	s_delay_alu instid0(VALU_DEP_2)
	v_cndmask_b32_e32 v4, 0x7c, v4, vcc_lo
; %bb.1961:
	s_or_b32 exec_lo, exec_lo, s2
	v_lshrrev_b32_e32 v5, 24, v3
	s_delay_alu instid0(VALU_DEP_1)
	v_and_or_b32 v4, 0x80, v5, v4
	global_store_b8 v[1:2], v4, off
.LBB201_1962:
	s_mov_b32 s2, 0
	s_mov_b32 s3, -1
.LBB201_1963:
	s_and_not1_b32 vcc_lo, exec_lo, s2
	s_mov_b32 s2, 0
	s_cbranch_vccnz .LBB201_1970
; %bb.1964:
	v_cmp_lt_i16_e32 vcc_lo, 14, v9
	s_mov_b32 s2, -1
	s_cbranch_vccz .LBB201_1968
; %bb.1965:
	v_cmp_eq_u16_e32 vcc_lo, 15, v9
	s_mov_b32 s0, -1
	s_cbranch_vccz .LBB201_1967
; %bb.1966:
	v_bfe_u32 v4, v3, 16, 1
	v_cmp_o_f32_e32 vcc_lo, v3, v3
	s_mov_b32 s0, 0
	s_mov_b32 s3, -1
	s_delay_alu instid0(VALU_DEP_2) | instskip(NEXT) | instid1(VALU_DEP_1)
	v_add3_u32 v4, v3, v4, 0x7fff
	v_lshrrev_b32_e32 v4, 16, v4
	s_delay_alu instid0(VALU_DEP_1)
	v_cndmask_b32_e32 v4, 0x7fc0, v4, vcc_lo
	global_store_b16 v[1:2], v4, off
.LBB201_1967:
	s_mov_b32 s2, 0
.LBB201_1968:
	s_delay_alu instid0(SALU_CYCLE_1)
	s_and_b32 vcc_lo, exec_lo, s2
	s_mov_b32 s2, 0
	s_cbranch_vccz .LBB201_1970
; %bb.1969:
	v_cmp_ne_u16_e64 s0, 11, v9
	s_mov_b32 s2, -1
.LBB201_1970:
	s_delay_alu instid0(VALU_DEP_1)
	s_and_b32 vcc_lo, exec_lo, s0
	s_cbranch_vccnz .LBB201_2157
; %bb.1971:
	s_and_not1_b32 vcc_lo, exec_lo, s2
	s_cbranch_vccnz .LBB201_1973
.LBB201_1972:
	s_delay_alu instid0(VALU_DEP_3)
	v_cmp_neq_f32_e32 vcc_lo, 0, v3
	s_mov_b32 s3, -1
	v_cndmask_b32_e64 v4, 0, 1, vcc_lo
	global_store_b8 v[1:2], v4, off
.LBB201_1973:
	s_mov_b32 s0, 0
.LBB201_1974:
	s_delay_alu instid0(SALU_CYCLE_1)
	s_and_b32 vcc_lo, exec_lo, s0
	s_cbranch_vccz .LBB201_2013
; %bb.1975:
	v_cmp_gt_i16_e32 vcc_lo, 5, v9
	s_mov_b32 s0, -1
	s_cbranch_vccnz .LBB201_1996
; %bb.1976:
	v_cmp_gt_i16_e32 vcc_lo, 8, v9
	s_cbranch_vccnz .LBB201_1986
; %bb.1977:
	v_cmp_gt_i16_e32 vcc_lo, 9, v9
	s_cbranch_vccnz .LBB201_1983
; %bb.1978:
	v_cmp_lt_i16_e32 vcc_lo, 9, v9
	s_cbranch_vccz .LBB201_1980
; %bb.1979:
	v_cvt_f64_f32_e32 v[4:5], v3
	v_mov_b32_e32 v6, 0
	s_mov_b32 s0, 0
	s_delay_alu instid0(VALU_DEP_1)
	v_mov_b32_e32 v7, v6
	global_store_b128 v[1:2], v[4:7], off
.LBB201_1980:
	s_and_not1_b32 vcc_lo, exec_lo, s0
	s_cbranch_vccnz .LBB201_1982
; %bb.1981:
	v_mov_b32_e32 v4, 0
	global_store_b64 v[1:2], v[3:4], off
.LBB201_1982:
	s_mov_b32 s0, 0
.LBB201_1983:
	s_delay_alu instid0(SALU_CYCLE_1)
	s_and_not1_b32 vcc_lo, exec_lo, s0
	s_cbranch_vccnz .LBB201_1985
; %bb.1984:
	v_cvt_f16_f32_e32 v4, v3
	s_delay_alu instid0(VALU_DEP_1)
	v_and_b32_e32 v4, 0xffff, v4
	global_store_b32 v[1:2], v4, off
.LBB201_1985:
	s_mov_b32 s0, 0
.LBB201_1986:
	s_delay_alu instid0(SALU_CYCLE_1)
	s_and_not1_b32 vcc_lo, exec_lo, s0
	s_cbranch_vccnz .LBB201_1995
; %bb.1987:
	v_cmp_gt_i16_e32 vcc_lo, 6, v9
	s_mov_b32 s0, -1
	s_cbranch_vccnz .LBB201_1993
; %bb.1988:
	v_cmp_lt_i16_e32 vcc_lo, 6, v9
	s_cbranch_vccz .LBB201_1990
; %bb.1989:
	v_cvt_f64_f32_e32 v[4:5], v3
	s_mov_b32 s0, 0
	global_store_b64 v[1:2], v[4:5], off
.LBB201_1990:
	s_and_not1_b32 vcc_lo, exec_lo, s0
	s_cbranch_vccnz .LBB201_1992
; %bb.1991:
	global_store_b32 v[1:2], v3, off
.LBB201_1992:
	s_mov_b32 s0, 0
.LBB201_1993:
	s_delay_alu instid0(SALU_CYCLE_1)
	s_and_not1_b32 vcc_lo, exec_lo, s0
	s_cbranch_vccnz .LBB201_1995
; %bb.1994:
	v_cvt_f16_f32_e32 v4, v3
	global_store_b16 v[1:2], v4, off
.LBB201_1995:
	s_mov_b32 s0, 0
.LBB201_1996:
	s_delay_alu instid0(SALU_CYCLE_1)
	s_and_not1_b32 vcc_lo, exec_lo, s0
	s_cbranch_vccnz .LBB201_2012
; %bb.1997:
	v_cmp_gt_i16_e32 vcc_lo, 2, v9
	s_mov_b32 s0, -1
	s_cbranch_vccnz .LBB201_2007
; %bb.1998:
	v_cmp_gt_i16_e32 vcc_lo, 3, v9
	s_cbranch_vccnz .LBB201_2004
; %bb.1999:
	v_cmp_lt_i16_e32 vcc_lo, 3, v9
	s_cbranch_vccz .LBB201_2001
; %bb.2000:
	v_trunc_f32_e32 v4, v3
	s_mov_b32 s0, 0
	s_delay_alu instid0(VALU_DEP_1) | instskip(SKIP_1) | instid1(VALU_DEP_2)
	v_mul_f32_e64 v5, 0x2f800000, |v4|
	v_ashrrev_i32_e32 v7, 31, v4
	v_floor_f32_e32 v5, v5
	s_delay_alu instid0(VALU_DEP_1) | instskip(SKIP_1) | instid1(VALU_DEP_2)
	v_fma_f32 v6, 0xcf800000, v5, |v4|
	v_cvt_u32_f32_e32 v5, v5
	v_cvt_u32_f32_e32 v4, v6
	s_delay_alu instid0(VALU_DEP_2) | instskip(NEXT) | instid1(VALU_DEP_2)
	v_xor_b32_e32 v5, v5, v7
	v_xor_b32_e32 v4, v4, v7
	s_delay_alu instid0(VALU_DEP_1) | instskip(NEXT) | instid1(VALU_DEP_3)
	v_sub_co_u32 v4, vcc_lo, v4, v7
	v_sub_co_ci_u32_e32 v5, vcc_lo, v5, v7, vcc_lo
	global_store_b64 v[1:2], v[4:5], off
.LBB201_2001:
	s_and_not1_b32 vcc_lo, exec_lo, s0
	s_cbranch_vccnz .LBB201_2003
; %bb.2002:
	v_cvt_i32_f32_e32 v4, v3
	global_store_b32 v[1:2], v4, off
.LBB201_2003:
	s_mov_b32 s0, 0
.LBB201_2004:
	s_delay_alu instid0(SALU_CYCLE_1)
	s_and_not1_b32 vcc_lo, exec_lo, s0
	s_cbranch_vccnz .LBB201_2006
; %bb.2005:
	v_cvt_i32_f32_e32 v4, v3
	global_store_b16 v[1:2], v4, off
.LBB201_2006:
	s_mov_b32 s0, 0
.LBB201_2007:
	s_delay_alu instid0(SALU_CYCLE_1)
	s_and_not1_b32 vcc_lo, exec_lo, s0
	s_cbranch_vccnz .LBB201_2012
; %bb.2008:
	v_cmp_lt_i16_e32 vcc_lo, 0, v9
	s_mov_b32 s0, -1
	s_cbranch_vccz .LBB201_2010
; %bb.2009:
	v_cvt_i32_f32_e32 v4, v3
	s_mov_b32 s0, 0
	global_store_b8 v[1:2], v4, off
.LBB201_2010:
	s_and_not1_b32 vcc_lo, exec_lo, s0
	s_cbranch_vccnz .LBB201_2012
; %bb.2011:
	v_trunc_f32_e32 v3, v3
	s_delay_alu instid0(VALU_DEP_1) | instskip(NEXT) | instid1(VALU_DEP_1)
	v_mul_f32_e64 v4, 0x2f800000, |v3|
	v_floor_f32_e32 v4, v4
	s_delay_alu instid0(VALU_DEP_1) | instskip(SKIP_1) | instid1(VALU_DEP_2)
	v_fma_f32 v4, 0xcf800000, v4, |v3|
	v_ashrrev_i32_e32 v3, 31, v3
	v_cvt_u32_f32_e32 v4, v4
	s_delay_alu instid0(VALU_DEP_1) | instskip(NEXT) | instid1(VALU_DEP_1)
	v_xor_b32_e32 v4, v4, v3
	v_sub_nc_u32_e32 v3, v4, v3
	global_store_b8 v[1:2], v3, off
.LBB201_2012:
	s_mov_b32 s3, -1
.LBB201_2013:
	s_delay_alu instid0(SALU_CYCLE_1)
	s_and_not1_b32 vcc_lo, exec_lo, s3
	s_cbranch_vccnz .LBB201_2090
; %bb.2014:
	v_cvt_f64_f32_e32 v[1:2], v11
	v_add_co_u32 v0, s0, s4, v0
	s_mov_b32 s2, 0
	s_delay_alu instid0(VALU_DEP_2) | instskip(SKIP_3) | instid1(VALU_DEP_2)
	v_rsq_f64_e32 v[3:4], v[1:2]
	s_waitcnt_depctr 0xfff
	v_mul_f64 v[1:2], v[3:4], -v[1:2]
	v_cmp_class_f64_e64 vcc_lo, v[3:4], 0x180
	v_fma_f64 v[1:2], v[1:2], v[3:4], 1.0
	s_delay_alu instid0(VALU_DEP_1) | instskip(SKIP_1) | instid1(VALU_DEP_1)
	v_mul_f64 v[5:6], v[3:4], v[1:2]
	v_fma_f64 v[1:2], 0x3fd80000, v[1:2], 0.5
	v_fma_f64 v[1:2], v[5:6], v[1:2], v[3:4]
	s_delay_alu instid0(VALU_DEP_1) | instskip(SKIP_1) | instid1(VALU_DEP_2)
	v_dual_cndmask_b32 v2, v4, v2 :: v_dual_cndmask_b32 v1, v3, v1
	v_cmp_gt_i16_e32 vcc_lo, 11, v9
	v_cvt_f32_f64_e32 v2, v[1:2]
	v_add_co_ci_u32_e64 v1, null, s5, 0, s0
	s_mov_b32 s0, -1
	s_cbranch_vccnz .LBB201_2091
; %bb.2015:
	v_cmp_lt_i16_e32 vcc_lo, 25, v9
	s_mov_b32 s3, -1
	s_mov_b32 s0, 0
	s_cbranch_vccz .LBB201_2048
; %bb.2016:
	v_cmp_lt_i16_e32 vcc_lo, 28, v9
	s_cbranch_vccz .LBB201_2032
; %bb.2017:
	v_cmp_lt_i16_e32 vcc_lo, 43, v9
	;; [unrolled: 3-line block ×3, first 2 shown]
	s_cbranch_vccz .LBB201_2022
; %bb.2019:
	v_cmp_eq_u16_e32 vcc_lo, 46, v9
	s_mov_b32 s0, -1
	s_cbranch_vccz .LBB201_2021
; %bb.2020:
	v_bfe_u32 v3, v2, 16, 1
	v_cmp_o_f32_e32 vcc_lo, v2, v2
	s_mov_b32 s0, 0
	s_delay_alu instid0(VALU_DEP_2) | instskip(NEXT) | instid1(VALU_DEP_1)
	v_add3_u32 v3, v2, v3, 0x7fff
	v_lshrrev_b32_e32 v3, 16, v3
	s_delay_alu instid0(VALU_DEP_1)
	v_cndmask_b32_e32 v3, 0x7fc0, v3, vcc_lo
	global_store_b32 v[0:1], v3, off
.LBB201_2021:
	s_mov_b32 s3, 0
.LBB201_2022:
	s_delay_alu instid0(SALU_CYCLE_1)
	s_and_b32 vcc_lo, exec_lo, s3
	s_cbranch_vccz .LBB201_2027
; %bb.2023:
	v_cmp_eq_u16_e32 vcc_lo, 44, v9
	s_mov_b32 s0, -1
	s_cbranch_vccz .LBB201_2027
; %bb.2024:
	v_bfe_u32 v4, v2, 23, 8
	v_mov_b32_e32 v3, 0xff
	s_mov_b32 s3, exec_lo
	s_delay_alu instid0(VALU_DEP_2)
	v_cmpx_ne_u32_e32 0xff, v4
; %bb.2025:
	v_and_b32_e32 v3, 0x400000, v2
	v_and_or_b32 v4, 0x3fffff, v2, v4
	s_delay_alu instid0(VALU_DEP_2) | instskip(NEXT) | instid1(VALU_DEP_2)
	v_cmp_ne_u32_e32 vcc_lo, 0, v3
	v_cmp_ne_u32_e64 s0, 0, v4
	v_lshrrev_b32_e32 v3, 23, v2
	s_delay_alu instid0(VALU_DEP_2) | instskip(NEXT) | instid1(SALU_CYCLE_1)
	s_and_b32 s0, vcc_lo, s0
	v_cndmask_b32_e64 v4, 0, 1, s0
	s_delay_alu instid0(VALU_DEP_1)
	v_add_nc_u32_e32 v3, v3, v4
; %bb.2026:
	s_or_b32 exec_lo, exec_lo, s3
	s_mov_b32 s0, 0
	global_store_b8 v[0:1], v3, off
.LBB201_2027:
	s_mov_b32 s3, 0
.LBB201_2028:
	s_delay_alu instid0(SALU_CYCLE_1)
	s_and_b32 vcc_lo, exec_lo, s3
	s_cbranch_vccz .LBB201_2031
; %bb.2029:
	v_cmp_eq_u16_e32 vcc_lo, 29, v9
	s_mov_b32 s0, -1
	s_cbranch_vccz .LBB201_2031
; %bb.2030:
	v_trunc_f32_e32 v3, v2
	s_mov_b32 s0, 0
	s_delay_alu instid0(VALU_DEP_1) | instskip(NEXT) | instid1(VALU_DEP_1)
	v_mul_f32_e32 v4, 0x2f800000, v3
	v_floor_f32_e32 v4, v4
	s_delay_alu instid0(VALU_DEP_1) | instskip(SKIP_1) | instid1(VALU_DEP_2)
	v_fmamk_f32 v3, v4, 0xcf800000, v3
	v_cvt_u32_f32_e32 v4, v4
	v_cvt_u32_f32_e32 v3, v3
	global_store_b64 v[0:1], v[3:4], off
.LBB201_2031:
	s_mov_b32 s3, 0
.LBB201_2032:
	s_delay_alu instid0(SALU_CYCLE_1)
	s_and_b32 vcc_lo, exec_lo, s3
	s_cbranch_vccz .LBB201_2047
; %bb.2033:
	v_cmp_gt_i16_e32 vcc_lo, 27, v9
	s_mov_b32 s3, -1
	s_cbranch_vccnz .LBB201_2039
; %bb.2034:
	v_cmp_lt_i16_e32 vcc_lo, 27, v9
	v_cvt_u32_f32_e32 v3, v2
	s_cbranch_vccz .LBB201_2036
; %bb.2035:
	s_mov_b32 s3, 0
	global_store_b32 v[0:1], v3, off
.LBB201_2036:
	s_and_not1_b32 vcc_lo, exec_lo, s3
	s_cbranch_vccnz .LBB201_2038
; %bb.2037:
	global_store_b16 v[0:1], v3, off
.LBB201_2038:
	s_mov_b32 s3, 0
.LBB201_2039:
	s_delay_alu instid0(SALU_CYCLE_1)
	s_and_not1_b32 vcc_lo, exec_lo, s3
	s_cbranch_vccnz .LBB201_2047
; %bb.2040:
	v_and_b32_e32 v3, 0x7fffffff, v2
	v_mov_b32_e32 v4, 0x80
	s_mov_b32 s3, exec_lo
	s_delay_alu instid0(VALU_DEP_2)
	v_cmpx_gt_u32_e32 0x43800000, v3
	s_cbranch_execz .LBB201_2046
; %bb.2041:
	v_cmp_lt_u32_e32 vcc_lo, 0x3bffffff, v3
	s_mov_b32 s4, 0
                                        ; implicit-def: $vgpr3
	s_and_saveexec_b32 s5, vcc_lo
	s_delay_alu instid0(SALU_CYCLE_1)
	s_xor_b32 s5, exec_lo, s5
	s_cbranch_execz .LBB201_2161
; %bb.2042:
	v_bfe_u32 v3, v2, 20, 1
	s_mov_b32 s4, exec_lo
	s_delay_alu instid0(VALU_DEP_1) | instskip(NEXT) | instid1(VALU_DEP_1)
	v_add3_u32 v3, v2, v3, 0x487ffff
	v_lshrrev_b32_e32 v3, 20, v3
	s_or_saveexec_b32 s5, s5
                                        ; implicit-def: $sgpr6
	s_delay_alu instid0(SALU_CYCLE_1)
	s_xor_b32 exec_lo, exec_lo, s5
	s_cbranch_execnz .LBB201_2162
.LBB201_2043:
	s_or_b32 exec_lo, exec_lo, s5
	v_mov_b32_e32 v4, s6
	s_and_saveexec_b32 s5, s4
.LBB201_2044:
	v_lshrrev_b32_e32 v4, 24, v2
	s_delay_alu instid0(VALU_DEP_1)
	v_and_or_b32 v4, 0x80, v4, v3
.LBB201_2045:
	s_or_b32 exec_lo, exec_lo, s5
.LBB201_2046:
	s_delay_alu instid0(SALU_CYCLE_1)
	s_or_b32 exec_lo, exec_lo, s3
	global_store_b8 v[0:1], v4, off
.LBB201_2047:
	s_mov_b32 s3, 0
.LBB201_2048:
	s_delay_alu instid0(SALU_CYCLE_1)
	s_and_b32 vcc_lo, exec_lo, s3
	s_cbranch_vccz .LBB201_2088
; %bb.2049:
	v_cmp_lt_i16_e32 vcc_lo, 22, v9
	s_mov_b32 s2, -1
	s_cbranch_vccz .LBB201_2081
; %bb.2050:
	v_cmp_gt_i16_e32 vcc_lo, 24, v9
	s_cbranch_vccnz .LBB201_2070
; %bb.2051:
	v_cmp_lt_i16_e32 vcc_lo, 24, v9
	s_cbranch_vccz .LBB201_2059
; %bb.2052:
	v_and_b32_e32 v3, 0x7fffffff, v2
	v_mov_b32_e32 v4, 0x80
	s_mov_b32 s2, exec_lo
	s_delay_alu instid0(VALU_DEP_2)
	v_cmpx_gt_u32_e32 0x47800000, v3
	s_cbranch_execz .LBB201_2058
; %bb.2053:
	v_cmp_lt_u32_e32 vcc_lo, 0x37ffffff, v3
	s_mov_b32 s3, 0
                                        ; implicit-def: $vgpr3
	s_and_saveexec_b32 s4, vcc_lo
	s_delay_alu instid0(SALU_CYCLE_1)
	s_xor_b32 s4, exec_lo, s4
	s_cbranch_execz .LBB201_2167
; %bb.2054:
	v_bfe_u32 v3, v2, 21, 1
	s_mov_b32 s3, exec_lo
	s_delay_alu instid0(VALU_DEP_1) | instskip(NEXT) | instid1(VALU_DEP_1)
	v_add3_u32 v3, v2, v3, 0x88fffff
	v_lshrrev_b32_e32 v3, 21, v3
	s_or_saveexec_b32 s4, s4
                                        ; implicit-def: $sgpr5
	s_delay_alu instid0(SALU_CYCLE_1)
	s_xor_b32 exec_lo, exec_lo, s4
	s_cbranch_execnz .LBB201_2168
.LBB201_2055:
	s_or_b32 exec_lo, exec_lo, s4
	v_mov_b32_e32 v4, s5
	s_and_saveexec_b32 s4, s3
.LBB201_2056:
	v_lshrrev_b32_e32 v4, 24, v2
	s_delay_alu instid0(VALU_DEP_1)
	v_and_or_b32 v4, 0x80, v4, v3
.LBB201_2057:
	s_or_b32 exec_lo, exec_lo, s4
.LBB201_2058:
	s_delay_alu instid0(SALU_CYCLE_1)
	s_or_b32 exec_lo, exec_lo, s2
	s_mov_b32 s2, 0
	global_store_b8 v[0:1], v4, off
.LBB201_2059:
	s_and_b32 vcc_lo, exec_lo, s2
	s_cbranch_vccz .LBB201_2069
; %bb.2060:
	v_and_b32_e32 v4, 0x7fffffff, v2
	s_mov_b32 s2, exec_lo
                                        ; implicit-def: $vgpr3
	s_delay_alu instid0(VALU_DEP_1)
	v_cmpx_gt_u32_e32 0x43f00000, v4
	s_xor_b32 s2, exec_lo, s2
	s_cbranch_execz .LBB201_2066
; %bb.2061:
	s_mov_b32 s3, exec_lo
                                        ; implicit-def: $vgpr3
	v_cmpx_lt_u32_e32 0x3c7fffff, v4
	s_xor_b32 s3, exec_lo, s3
; %bb.2062:
	v_bfe_u32 v3, v2, 20, 1
	s_delay_alu instid0(VALU_DEP_1) | instskip(NEXT) | instid1(VALU_DEP_1)
	v_add3_u32 v3, v2, v3, 0x407ffff
	v_and_b32_e32 v4, 0xff00000, v3
	v_lshrrev_b32_e32 v3, 20, v3
	s_delay_alu instid0(VALU_DEP_2) | instskip(NEXT) | instid1(VALU_DEP_2)
	v_cmp_ne_u32_e32 vcc_lo, 0x7f00000, v4
	v_cndmask_b32_e32 v3, 0x7e, v3, vcc_lo
; %bb.2063:
	s_and_not1_saveexec_b32 s3, s3
; %bb.2064:
	v_add_f32_e64 v3, 0x46800000, |v2|
; %bb.2065:
	s_or_b32 exec_lo, exec_lo, s3
                                        ; implicit-def: $vgpr4
.LBB201_2066:
	s_and_not1_saveexec_b32 s2, s2
; %bb.2067:
	v_mov_b32_e32 v3, 0x7f
	v_cmp_lt_u32_e32 vcc_lo, 0x7f800000, v4
	s_delay_alu instid0(VALU_DEP_2)
	v_cndmask_b32_e32 v3, 0x7e, v3, vcc_lo
; %bb.2068:
	s_or_b32 exec_lo, exec_lo, s2
	v_lshrrev_b32_e32 v4, 24, v2
	s_delay_alu instid0(VALU_DEP_1)
	v_and_or_b32 v3, 0x80, v4, v3
	global_store_b8 v[0:1], v3, off
.LBB201_2069:
	s_mov_b32 s2, 0
.LBB201_2070:
	s_delay_alu instid0(SALU_CYCLE_1)
	s_and_not1_b32 vcc_lo, exec_lo, s2
	s_cbranch_vccnz .LBB201_2080
; %bb.2071:
	v_and_b32_e32 v4, 0x7fffffff, v2
	s_mov_b32 s2, exec_lo
                                        ; implicit-def: $vgpr3
	s_delay_alu instid0(VALU_DEP_1)
	v_cmpx_gt_u32_e32 0x47800000, v4
	s_xor_b32 s2, exec_lo, s2
	s_cbranch_execz .LBB201_2077
; %bb.2072:
	s_mov_b32 s3, exec_lo
                                        ; implicit-def: $vgpr3
	v_cmpx_lt_u32_e32 0x387fffff, v4
	s_xor_b32 s3, exec_lo, s3
; %bb.2073:
	v_bfe_u32 v3, v2, 21, 1
	s_delay_alu instid0(VALU_DEP_1) | instskip(NEXT) | instid1(VALU_DEP_1)
	v_add3_u32 v3, v2, v3, 0x80fffff
	v_lshrrev_b32_e32 v3, 21, v3
; %bb.2074:
	s_and_not1_saveexec_b32 s3, s3
; %bb.2075:
	v_add_f32_e64 v3, 0x43000000, |v2|
; %bb.2076:
	s_or_b32 exec_lo, exec_lo, s3
                                        ; implicit-def: $vgpr4
.LBB201_2077:
	s_and_not1_saveexec_b32 s2, s2
; %bb.2078:
	v_mov_b32_e32 v3, 0x7f
	v_cmp_lt_u32_e32 vcc_lo, 0x7f800000, v4
	s_delay_alu instid0(VALU_DEP_2)
	v_cndmask_b32_e32 v3, 0x7c, v3, vcc_lo
; %bb.2079:
	s_or_b32 exec_lo, exec_lo, s2
	v_lshrrev_b32_e32 v4, 24, v2
	s_delay_alu instid0(VALU_DEP_1)
	v_and_or_b32 v3, 0x80, v4, v3
	global_store_b8 v[0:1], v3, off
.LBB201_2080:
	s_mov_b32 s2, 0
.LBB201_2081:
	s_delay_alu instid0(SALU_CYCLE_1)
	s_and_not1_b32 vcc_lo, exec_lo, s2
	s_mov_b32 s2, 0
	s_cbranch_vccnz .LBB201_2088
; %bb.2082:
	v_cmp_lt_i16_e32 vcc_lo, 14, v9
	s_mov_b32 s2, -1
	s_cbranch_vccz .LBB201_2086
; %bb.2083:
	v_cmp_eq_u16_e32 vcc_lo, 15, v9
	s_mov_b32 s0, -1
	s_cbranch_vccz .LBB201_2085
; %bb.2084:
	v_bfe_u32 v3, v2, 16, 1
	v_cmp_o_f32_e32 vcc_lo, v2, v2
	s_mov_b32 s0, 0
	s_delay_alu instid0(VALU_DEP_2) | instskip(NEXT) | instid1(VALU_DEP_1)
	v_add3_u32 v3, v2, v3, 0x7fff
	v_lshrrev_b32_e32 v3, 16, v3
	s_delay_alu instid0(VALU_DEP_1)
	v_cndmask_b32_e32 v3, 0x7fc0, v3, vcc_lo
	global_store_b16 v[0:1], v3, off
.LBB201_2085:
	s_mov_b32 s2, 0
.LBB201_2086:
	s_delay_alu instid0(SALU_CYCLE_1)
	s_and_b32 vcc_lo, exec_lo, s2
	s_mov_b32 s2, 0
	s_cbranch_vccz .LBB201_2088
; %bb.2087:
	v_cmp_ne_u16_e64 s0, 11, v9
	s_mov_b32 s2, -1
.LBB201_2088:
	s_delay_alu instid0(VALU_DEP_1)
	s_and_b32 vcc_lo, exec_lo, s0
	s_cbranch_vccnz .LBB201_2165
.LBB201_2089:
	s_mov_b32 s0, 0
	s_branch .LBB201_2091
.LBB201_2090:
	s_mov_b32 s0, 0
	s_mov_b32 s2, 0
                                        ; implicit-def: $vgpr0_vgpr1
                                        ; implicit-def: $vgpr9
                                        ; implicit-def: $vgpr2
.LBB201_2091:
	s_and_b32 s3, s0, exec_lo
	s_and_not1_b32 s0, s8, exec_lo
	s_and_b32 s1, s1, exec_lo
	s_and_b32 s26, s2, exec_lo
	s_or_b32 s8, s0, s1
.LBB201_2092:
	s_or_b32 exec_lo, exec_lo, s9
	s_and_saveexec_b32 s0, s8
	s_cbranch_execz .LBB201_2095
; %bb.2093:
	; divergent unreachable
	s_or_b32 exec_lo, exec_lo, s0
	s_and_saveexec_b32 s0, s26
	s_delay_alu instid0(SALU_CYCLE_1)
	s_xor_b32 s0, exec_lo, s0
	s_cbranch_execnz .LBB201_2096
.LBB201_2094:
	s_or_b32 exec_lo, exec_lo, s0
	s_and_saveexec_b32 s0, s3
	s_cbranch_execnz .LBB201_2097
	s_branch .LBB201_2134
.LBB201_2095:
	s_or_b32 exec_lo, exec_lo, s0
	s_and_saveexec_b32 s0, s26
	s_delay_alu instid0(SALU_CYCLE_1)
	s_xor_b32 s0, exec_lo, s0
	s_cbranch_execz .LBB201_2094
.LBB201_2096:
	s_delay_alu instid0(VALU_DEP_2)
	v_cmp_neq_f32_e32 vcc_lo, 0, v2
	s_waitcnt vmcnt(0)
	v_cndmask_b32_e64 v3, 0, 1, vcc_lo
	global_store_b8 v[0:1], v3, off
	s_or_b32 exec_lo, exec_lo, s0
	s_and_saveexec_b32 s0, s3
	s_cbranch_execz .LBB201_2134
.LBB201_2097:
	v_cmp_gt_i16_e32 vcc_lo, 5, v9
	s_mov_b32 s0, -1
	s_cbranch_vccnz .LBB201_2118
; %bb.2098:
	v_cmp_gt_i16_e32 vcc_lo, 8, v9
	s_cbranch_vccnz .LBB201_2108
; %bb.2099:
	v_cmp_gt_i16_e32 vcc_lo, 9, v9
	s_cbranch_vccnz .LBB201_2105
; %bb.2100:
	v_cmp_lt_i16_e32 vcc_lo, 9, v9
	s_cbranch_vccz .LBB201_2102
; %bb.2101:
	s_waitcnt vmcnt(0)
	v_cvt_f64_f32_e32 v[3:4], v2
	v_mov_b32_e32 v5, 0
	s_mov_b32 s0, 0
	s_delay_alu instid0(VALU_DEP_1)
	v_mov_b32_e32 v6, v5
	global_store_b128 v[0:1], v[3:6], off
.LBB201_2102:
	s_and_not1_b32 vcc_lo, exec_lo, s0
	s_cbranch_vccnz .LBB201_2104
; %bb.2103:
	s_waitcnt vmcnt(0)
	v_mov_b32_e32 v3, 0
	global_store_b64 v[0:1], v[2:3], off
.LBB201_2104:
	s_mov_b32 s0, 0
.LBB201_2105:
	s_delay_alu instid0(SALU_CYCLE_1)
	s_and_not1_b32 vcc_lo, exec_lo, s0
	s_cbranch_vccnz .LBB201_2107
; %bb.2106:
	s_waitcnt vmcnt(0)
	v_cvt_f16_f32_e32 v3, v2
	s_delay_alu instid0(VALU_DEP_1)
	v_and_b32_e32 v3, 0xffff, v3
	global_store_b32 v[0:1], v3, off
.LBB201_2107:
	s_mov_b32 s0, 0
.LBB201_2108:
	s_delay_alu instid0(SALU_CYCLE_1)
	s_and_not1_b32 vcc_lo, exec_lo, s0
	s_cbranch_vccnz .LBB201_2117
; %bb.2109:
	v_cmp_gt_i16_e32 vcc_lo, 6, v9
	s_mov_b32 s0, -1
	s_cbranch_vccnz .LBB201_2115
; %bb.2110:
	v_cmp_lt_i16_e32 vcc_lo, 6, v9
	s_cbranch_vccz .LBB201_2112
; %bb.2111:
	s_waitcnt vmcnt(0)
	v_cvt_f64_f32_e32 v[3:4], v2
	s_mov_b32 s0, 0
	global_store_b64 v[0:1], v[3:4], off
.LBB201_2112:
	s_and_not1_b32 vcc_lo, exec_lo, s0
	s_cbranch_vccnz .LBB201_2114
; %bb.2113:
	global_store_b32 v[0:1], v2, off
.LBB201_2114:
	s_mov_b32 s0, 0
.LBB201_2115:
	s_delay_alu instid0(SALU_CYCLE_1)
	s_and_not1_b32 vcc_lo, exec_lo, s0
	s_cbranch_vccnz .LBB201_2117
; %bb.2116:
	s_waitcnt vmcnt(0)
	v_cvt_f16_f32_e32 v3, v2
	global_store_b16 v[0:1], v3, off
.LBB201_2117:
	s_mov_b32 s0, 0
.LBB201_2118:
	s_delay_alu instid0(SALU_CYCLE_1)
	s_and_not1_b32 vcc_lo, exec_lo, s0
	s_cbranch_vccnz .LBB201_2134
; %bb.2119:
	v_cmp_gt_i16_e32 vcc_lo, 2, v9
	s_mov_b32 s0, -1
	s_cbranch_vccnz .LBB201_2129
; %bb.2120:
	v_cmp_gt_i16_e32 vcc_lo, 3, v9
	s_cbranch_vccnz .LBB201_2126
; %bb.2121:
	v_cmp_lt_i16_e32 vcc_lo, 3, v9
	s_cbranch_vccz .LBB201_2123
; %bb.2122:
	s_waitcnt vmcnt(0)
	v_trunc_f32_e32 v3, v2
	s_mov_b32 s0, 0
	s_delay_alu instid0(VALU_DEP_1) | instskip(SKIP_1) | instid1(VALU_DEP_2)
	v_mul_f32_e64 v4, 0x2f800000, |v3|
	v_ashrrev_i32_e32 v6, 31, v3
	v_floor_f32_e32 v4, v4
	s_delay_alu instid0(VALU_DEP_1) | instskip(SKIP_1) | instid1(VALU_DEP_2)
	v_fma_f32 v5, 0xcf800000, v4, |v3|
	v_cvt_u32_f32_e32 v4, v4
	v_cvt_u32_f32_e32 v3, v5
	s_delay_alu instid0(VALU_DEP_2) | instskip(NEXT) | instid1(VALU_DEP_2)
	v_xor_b32_e32 v4, v4, v6
	v_xor_b32_e32 v3, v3, v6
	s_delay_alu instid0(VALU_DEP_1) | instskip(NEXT) | instid1(VALU_DEP_3)
	v_sub_co_u32 v3, vcc_lo, v3, v6
	v_sub_co_ci_u32_e32 v4, vcc_lo, v4, v6, vcc_lo
	global_store_b64 v[0:1], v[3:4], off
.LBB201_2123:
	s_and_not1_b32 vcc_lo, exec_lo, s0
	s_cbranch_vccnz .LBB201_2125
; %bb.2124:
	s_waitcnt vmcnt(0)
	v_cvt_i32_f32_e32 v3, v2
	global_store_b32 v[0:1], v3, off
.LBB201_2125:
	s_mov_b32 s0, 0
.LBB201_2126:
	s_delay_alu instid0(SALU_CYCLE_1)
	s_and_not1_b32 vcc_lo, exec_lo, s0
	s_cbranch_vccnz .LBB201_2128
; %bb.2127:
	s_waitcnt vmcnt(0)
	v_cvt_i32_f32_e32 v3, v2
	global_store_b16 v[0:1], v3, off
.LBB201_2128:
	s_mov_b32 s0, 0
.LBB201_2129:
	s_delay_alu instid0(SALU_CYCLE_1)
	s_and_not1_b32 vcc_lo, exec_lo, s0
	s_cbranch_vccnz .LBB201_2134
; %bb.2130:
	v_cmp_lt_i16_e32 vcc_lo, 0, v9
	s_mov_b32 s0, -1
	s_cbranch_vccz .LBB201_2132
; %bb.2131:
	s_waitcnt vmcnt(0)
	v_cvt_i32_f32_e32 v3, v2
	s_mov_b32 s0, 0
	global_store_b8 v[0:1], v3, off
.LBB201_2132:
	s_and_not1_b32 vcc_lo, exec_lo, s0
	s_cbranch_vccnz .LBB201_2134
; %bb.2133:
	v_trunc_f32_e32 v2, v2
	s_waitcnt vmcnt(0)
	s_delay_alu instid0(VALU_DEP_1) | instskip(NEXT) | instid1(VALU_DEP_1)
	v_mul_f32_e64 v3, 0x2f800000, |v2|
	v_floor_f32_e32 v3, v3
	s_delay_alu instid0(VALU_DEP_1) | instskip(SKIP_1) | instid1(VALU_DEP_2)
	v_fma_f32 v3, 0xcf800000, v3, |v2|
	v_ashrrev_i32_e32 v2, 31, v2
	v_cvt_u32_f32_e32 v3, v3
	s_delay_alu instid0(VALU_DEP_1) | instskip(NEXT) | instid1(VALU_DEP_1)
	v_xor_b32_e32 v3, v3, v2
	v_sub_nc_u32_e32 v2, v3, v2
	global_store_b8 v[0:1], v2, off
	s_nop 0
	s_sendmsg sendmsg(MSG_DEALLOC_VGPRS)
	s_endpgm
.LBB201_2134:
	s_nop 0
	s_sendmsg sendmsg(MSG_DEALLOC_VGPRS)
	s_endpgm
.LBB201_2135:
	s_cbranch_execnz .LBB201_2139
; %bb.2136:
	s_or_b32 s1, s1, exec_lo
                                        ; implicit-def: $vgpr11
	s_cbranch_execz .LBB201_1608
	s_branch .LBB201_1609
.LBB201_2137:
	s_or_saveexec_b32 s7, s7
                                        ; implicit-def: $sgpr10
	s_delay_alu instid0(SALU_CYCLE_1)
	s_xor_b32 exec_lo, exec_lo, s7
	s_cbranch_execz .LBB201_1688
.LBB201_2138:
	v_add_f32_e64 v3, 0x46000000, |v4|
	s_and_not1_b32 s6, s6, exec_lo
	s_mov_b32 s10, 0
	s_delay_alu instid0(VALU_DEP_1) | instskip(NEXT) | instid1(VALU_DEP_1)
	v_and_b32_e32 v3, 0xff, v3
	v_cmp_ne_u32_e32 vcc_lo, 0, v3
	s_and_b32 s11, vcc_lo, exec_lo
	s_delay_alu instid0(SALU_CYCLE_1)
	s_or_b32 s6, s6, s11
	s_or_b32 exec_lo, exec_lo, s7
	v_mov_b32_e32 v5, s10
	s_and_saveexec_b32 s7, s6
	s_cbranch_execnz .LBB201_1689
	s_branch .LBB201_1690
.LBB201_2139:
	s_trap 2
	s_sendmsg_rtn_b32 s0, sendmsg(MSG_RTN_GET_DOORBELL)
	s_mov_b32 ttmp2, m0
	s_waitcnt lgkmcnt(0)
	s_and_b32 s0, s0, 0x3ff
	s_delay_alu instid0(SALU_CYCLE_1) | instskip(NEXT) | instid1(SALU_CYCLE_1)
	s_bitset1_b32 s0, 10
	s_mov_b32 m0, s0
	s_sendmsg sendmsg(MSG_INTERRUPT)
	s_mov_b32 m0, ttmp2
.LBB201_2140:                           ; =>This Inner Loop Header: Depth=1
	s_sethalt 5
	s_branch .LBB201_2140
.LBB201_2141:
	s_cbranch_execnz .LBB201_2147
; %bb.2142:
	s_or_b32 s1, s1, exec_lo
	s_cbranch_execz .LBB201_1736
	s_branch .LBB201_1737
.LBB201_2143:
	s_or_saveexec_b32 s6, s6
                                        ; implicit-def: $sgpr7
	s_delay_alu instid0(SALU_CYCLE_1)
	s_xor_b32 exec_lo, exec_lo, s6
	s_cbranch_execz .LBB201_1701
.LBB201_2144:
	v_add_f32_e64 v3, 0x42800000, |v4|
	s_and_not1_b32 s3, s3, exec_lo
	s_mov_b32 s7, 0
	s_delay_alu instid0(VALU_DEP_1) | instskip(NEXT) | instid1(VALU_DEP_1)
	v_and_b32_e32 v3, 0xff, v3
	v_cmp_ne_u32_e32 vcc_lo, 0, v3
	s_and_b32 s10, vcc_lo, exec_lo
	s_delay_alu instid0(SALU_CYCLE_1)
	s_or_b32 s3, s3, s10
	s_or_b32 exec_lo, exec_lo, s6
	v_mov_b32_e32 v5, s7
	s_and_saveexec_b32 s6, s3
	s_cbranch_execnz .LBB201_1702
	s_branch .LBB201_1703
.LBB201_2145:
	s_or_saveexec_b32 s7, s7
                                        ; implicit-def: $sgpr10
	s_delay_alu instid0(SALU_CYCLE_1)
	s_xor_b32 exec_lo, exec_lo, s7
	s_cbranch_execz .LBB201_1806
.LBB201_2146:
	v_add_f32_e64 v5, 0x46000000, |v4|
	s_and_not1_b32 s6, s6, exec_lo
	s_mov_b32 s10, 0
	s_delay_alu instid0(VALU_DEP_1) | instskip(NEXT) | instid1(VALU_DEP_1)
	v_and_b32_e32 v5, 0xff, v5
	v_cmp_ne_u32_e32 vcc_lo, 0, v5
	s_and_b32 s11, vcc_lo, exec_lo
	s_delay_alu instid0(SALU_CYCLE_1)
	s_or_b32 s6, s6, s11
	s_or_b32 exec_lo, exec_lo, s7
	v_mov_b32_e32 v6, s10
	s_and_saveexec_b32 s7, s6
	s_cbranch_execnz .LBB201_1807
	s_branch .LBB201_1808
.LBB201_2147:
	s_trap 2
	s_sendmsg_rtn_b32 s0, sendmsg(MSG_RTN_GET_DOORBELL)
	s_mov_b32 ttmp2, m0
	s_waitcnt lgkmcnt(0)
	s_and_b32 s0, s0, 0x3ff
	s_delay_alu instid0(SALU_CYCLE_1) | instskip(NEXT) | instid1(SALU_CYCLE_1)
	s_bitset1_b32 s0, 10
	s_mov_b32 m0, s0
	s_sendmsg sendmsg(MSG_INTERRUPT)
	s_mov_b32 m0, ttmp2
.LBB201_2148:                           ; =>This Inner Loop Header: Depth=1
	s_sethalt 5
	s_branch .LBB201_2148
.LBB201_2149:
	s_cbranch_execnz .LBB201_2155
; %bb.2150:
	s_or_b32 s1, s1, exec_lo
	s_cbranch_execz .LBB201_1854
	s_branch .LBB201_1855
.LBB201_2151:
	s_or_saveexec_b32 s6, s6
                                        ; implicit-def: $sgpr7
	s_delay_alu instid0(SALU_CYCLE_1)
	s_xor_b32 exec_lo, exec_lo, s6
	s_cbranch_execz .LBB201_1819
.LBB201_2152:
	v_add_f32_e64 v5, 0x42800000, |v4|
	s_and_not1_b32 s3, s3, exec_lo
	s_mov_b32 s7, 0
	s_delay_alu instid0(VALU_DEP_1) | instskip(NEXT) | instid1(VALU_DEP_1)
	v_and_b32_e32 v5, 0xff, v5
	v_cmp_ne_u32_e32 vcc_lo, 0, v5
	s_and_b32 s10, vcc_lo, exec_lo
	s_delay_alu instid0(SALU_CYCLE_1)
	s_or_b32 s3, s3, s10
	s_or_b32 exec_lo, exec_lo, s6
	v_mov_b32_e32 v6, s7
	s_and_saveexec_b32 s6, s3
	s_cbranch_execnz .LBB201_1820
	s_branch .LBB201_1821
.LBB201_2153:
	s_or_saveexec_b32 s7, s7
                                        ; implicit-def: $sgpr10
	s_delay_alu instid0(SALU_CYCLE_1)
	s_xor_b32 exec_lo, exec_lo, s7
	s_cbranch_execz .LBB201_1924
.LBB201_2154:
	v_add_f32_e64 v4, 0x46000000, |v3|
	s_and_not1_b32 s6, s6, exec_lo
	s_mov_b32 s10, 0
	s_delay_alu instid0(VALU_DEP_1) | instskip(NEXT) | instid1(VALU_DEP_1)
	v_and_b32_e32 v4, 0xff, v4
	v_cmp_ne_u32_e32 vcc_lo, 0, v4
	s_and_b32 s11, vcc_lo, exec_lo
	s_delay_alu instid0(SALU_CYCLE_1)
	s_or_b32 s6, s6, s11
	s_or_b32 exec_lo, exec_lo, s7
	v_mov_b32_e32 v5, s10
	s_and_saveexec_b32 s7, s6
	s_cbranch_execnz .LBB201_1925
	s_branch .LBB201_1926
.LBB201_2155:
	s_trap 2
	s_sendmsg_rtn_b32 s0, sendmsg(MSG_RTN_GET_DOORBELL)
	s_mov_b32 ttmp2, m0
	s_waitcnt lgkmcnt(0)
	s_and_b32 s0, s0, 0x3ff
	s_delay_alu instid0(SALU_CYCLE_1) | instskip(NEXT) | instid1(SALU_CYCLE_1)
	s_bitset1_b32 s0, 10
	s_mov_b32 m0, s0
	s_sendmsg sendmsg(MSG_INTERRUPT)
	s_mov_b32 m0, ttmp2
.LBB201_2156:                           ; =>This Inner Loop Header: Depth=1
	s_sethalt 5
	s_branch .LBB201_2156
.LBB201_2157:
	s_cbranch_execnz .LBB201_2163
; %bb.2158:
	s_or_b32 s1, s1, exec_lo
	s_cbranch_execz .LBB201_1972
	s_branch .LBB201_1973
.LBB201_2159:
	s_or_saveexec_b32 s6, s6
                                        ; implicit-def: $sgpr7
	s_delay_alu instid0(SALU_CYCLE_1)
	s_xor_b32 exec_lo, exec_lo, s6
	s_cbranch_execz .LBB201_1937
.LBB201_2160:
	v_add_f32_e64 v4, 0x42800000, |v3|
	s_and_not1_b32 s3, s3, exec_lo
	s_mov_b32 s7, 0
	s_delay_alu instid0(VALU_DEP_1) | instskip(NEXT) | instid1(VALU_DEP_1)
	v_and_b32_e32 v4, 0xff, v4
	v_cmp_ne_u32_e32 vcc_lo, 0, v4
	s_and_b32 s10, vcc_lo, exec_lo
	s_delay_alu instid0(SALU_CYCLE_1)
	s_or_b32 s3, s3, s10
	s_or_b32 exec_lo, exec_lo, s6
	v_mov_b32_e32 v5, s7
	s_and_saveexec_b32 s6, s3
	s_cbranch_execnz .LBB201_1938
	s_branch .LBB201_1939
.LBB201_2161:
	s_or_saveexec_b32 s5, s5
                                        ; implicit-def: $sgpr6
	s_delay_alu instid0(SALU_CYCLE_1)
	s_xor_b32 exec_lo, exec_lo, s5
	s_cbranch_execz .LBB201_2043
.LBB201_2162:
	v_add_f32_e64 v3, 0x46000000, |v2|
	s_and_not1_b32 s4, s4, exec_lo
	s_mov_b32 s6, 0
	s_delay_alu instid0(VALU_DEP_1) | instskip(NEXT) | instid1(VALU_DEP_1)
	v_and_b32_e32 v3, 0xff, v3
	v_cmp_ne_u32_e32 vcc_lo, 0, v3
	s_and_b32 s7, vcc_lo, exec_lo
	s_delay_alu instid0(SALU_CYCLE_1)
	s_or_b32 s4, s4, s7
	s_or_b32 exec_lo, exec_lo, s5
	v_mov_b32_e32 v4, s6
	s_and_saveexec_b32 s5, s4
	s_cbranch_execnz .LBB201_2044
	s_branch .LBB201_2045
.LBB201_2163:
	s_trap 2
	s_sendmsg_rtn_b32 s0, sendmsg(MSG_RTN_GET_DOORBELL)
	s_mov_b32 ttmp2, m0
	s_waitcnt lgkmcnt(0)
	s_and_b32 s0, s0, 0x3ff
	s_delay_alu instid0(SALU_CYCLE_1) | instskip(NEXT) | instid1(SALU_CYCLE_1)
	s_bitset1_b32 s0, 10
	s_mov_b32 m0, s0
	s_sendmsg sendmsg(MSG_INTERRUPT)
	s_mov_b32 m0, ttmp2
.LBB201_2164:                           ; =>This Inner Loop Header: Depth=1
	s_sethalt 5
	s_branch .LBB201_2164
.LBB201_2165:
	s_cbranch_execnz .LBB201_2169
; %bb.2166:
	s_mov_b32 s2, 0
	s_or_b32 s1, s1, exec_lo
	s_branch .LBB201_2089
.LBB201_2167:
	s_or_saveexec_b32 s4, s4
                                        ; implicit-def: $sgpr5
	s_delay_alu instid0(SALU_CYCLE_1)
	s_xor_b32 exec_lo, exec_lo, s4
	s_cbranch_execz .LBB201_2055
.LBB201_2168:
	v_add_f32_e64 v3, 0x42800000, |v2|
	s_and_not1_b32 s3, s3, exec_lo
	s_mov_b32 s5, 0
	s_delay_alu instid0(VALU_DEP_1) | instskip(NEXT) | instid1(VALU_DEP_1)
	v_and_b32_e32 v3, 0xff, v3
	v_cmp_ne_u32_e32 vcc_lo, 0, v3
	s_and_b32 s6, vcc_lo, exec_lo
	s_delay_alu instid0(SALU_CYCLE_1)
	s_or_b32 s3, s3, s6
	s_or_b32 exec_lo, exec_lo, s4
	v_mov_b32_e32 v4, s5
	s_and_saveexec_b32 s4, s3
	s_cbranch_execnz .LBB201_2056
	s_branch .LBB201_2057
.LBB201_2169:
	s_trap 2
	s_sendmsg_rtn_b32 s0, sendmsg(MSG_RTN_GET_DOORBELL)
	s_mov_b32 ttmp2, m0
	s_waitcnt lgkmcnt(0)
	s_and_b32 s0, s0, 0x3ff
	s_delay_alu instid0(SALU_CYCLE_1) | instskip(NEXT) | instid1(SALU_CYCLE_1)
	s_bitset1_b32 s0, 10
	s_mov_b32 m0, s0
	s_sendmsg sendmsg(MSG_INTERRUPT)
	s_mov_b32 m0, ttmp2
.LBB201_2170:                           ; =>This Inner Loop Header: Depth=1
	s_sethalt 5
	s_branch .LBB201_2170
	.section	.rodata,"a",@progbits
	.p2align	6, 0x0
	.amdhsa_kernel _ZN2at6native32elementwise_kernel_manual_unrollILi128ELi4EZNS0_15gpu_kernel_implIZZZNS0_17rsqrt_kernel_cudaERNS_18TensorIteratorBaseEENKUlvE0_clEvENKUlvE0_clEvEUlfE_EEvS4_RKT_EUlibE0_EEviT1_
		.amdhsa_group_segment_fixed_size 0
		.amdhsa_private_segment_fixed_size 0
		.amdhsa_kernarg_size 360
		.amdhsa_user_sgpr_count 15
		.amdhsa_user_sgpr_dispatch_ptr 0
		.amdhsa_user_sgpr_queue_ptr 0
		.amdhsa_user_sgpr_kernarg_segment_ptr 1
		.amdhsa_user_sgpr_dispatch_id 0
		.amdhsa_user_sgpr_private_segment_size 0
		.amdhsa_wavefront_size32 1
		.amdhsa_uses_dynamic_stack 0
		.amdhsa_enable_private_segment 0
		.amdhsa_system_sgpr_workgroup_id_x 1
		.amdhsa_system_sgpr_workgroup_id_y 0
		.amdhsa_system_sgpr_workgroup_id_z 0
		.amdhsa_system_sgpr_workgroup_info 0
		.amdhsa_system_vgpr_workitem_id 0
		.amdhsa_next_free_vgpr 18
		.amdhsa_next_free_sgpr 68
		.amdhsa_reserve_vcc 1
		.amdhsa_float_round_mode_32 0
		.amdhsa_float_round_mode_16_64 0
		.amdhsa_float_denorm_mode_32 3
		.amdhsa_float_denorm_mode_16_64 3
		.amdhsa_dx10_clamp 1
		.amdhsa_ieee_mode 1
		.amdhsa_fp16_overflow 0
		.amdhsa_workgroup_processor_mode 1
		.amdhsa_memory_ordered 1
		.amdhsa_forward_progress 0
		.amdhsa_shared_vgpr_count 0
		.amdhsa_exception_fp_ieee_invalid_op 0
		.amdhsa_exception_fp_denorm_src 0
		.amdhsa_exception_fp_ieee_div_zero 0
		.amdhsa_exception_fp_ieee_overflow 0
		.amdhsa_exception_fp_ieee_underflow 0
		.amdhsa_exception_fp_ieee_inexact 0
		.amdhsa_exception_int_div_zero 0
	.end_amdhsa_kernel
	.section	.text._ZN2at6native32elementwise_kernel_manual_unrollILi128ELi4EZNS0_15gpu_kernel_implIZZZNS0_17rsqrt_kernel_cudaERNS_18TensorIteratorBaseEENKUlvE0_clEvENKUlvE0_clEvEUlfE_EEvS4_RKT_EUlibE0_EEviT1_,"axG",@progbits,_ZN2at6native32elementwise_kernel_manual_unrollILi128ELi4EZNS0_15gpu_kernel_implIZZZNS0_17rsqrt_kernel_cudaERNS_18TensorIteratorBaseEENKUlvE0_clEvENKUlvE0_clEvEUlfE_EEvS4_RKT_EUlibE0_EEviT1_,comdat
.Lfunc_end201:
	.size	_ZN2at6native32elementwise_kernel_manual_unrollILi128ELi4EZNS0_15gpu_kernel_implIZZZNS0_17rsqrt_kernel_cudaERNS_18TensorIteratorBaseEENKUlvE0_clEvENKUlvE0_clEvEUlfE_EEvS4_RKT_EUlibE0_EEviT1_, .Lfunc_end201-_ZN2at6native32elementwise_kernel_manual_unrollILi128ELi4EZNS0_15gpu_kernel_implIZZZNS0_17rsqrt_kernel_cudaERNS_18TensorIteratorBaseEENKUlvE0_clEvENKUlvE0_clEvEUlfE_EEvS4_RKT_EUlibE0_EEviT1_
                                        ; -- End function
	.section	.AMDGPU.csdata,"",@progbits
; Kernel info:
; codeLenInByte = 42092
; NumSgprs: 70
; NumVgprs: 18
; ScratchSize: 0
; MemoryBound: 1
; FloatMode: 240
; IeeeMode: 1
; LDSByteSize: 0 bytes/workgroup (compile time only)
; SGPRBlocks: 8
; VGPRBlocks: 2
; NumSGPRsForWavesPerEU: 70
; NumVGPRsForWavesPerEU: 18
; Occupancy: 16
; WaveLimiterHint : 1
; COMPUTE_PGM_RSRC2:SCRATCH_EN: 0
; COMPUTE_PGM_RSRC2:USER_SGPR: 15
; COMPUTE_PGM_RSRC2:TRAP_HANDLER: 0
; COMPUTE_PGM_RSRC2:TGID_X_EN: 1
; COMPUTE_PGM_RSRC2:TGID_Y_EN: 0
; COMPUTE_PGM_RSRC2:TGID_Z_EN: 0
; COMPUTE_PGM_RSRC2:TIDIG_COMP_CNT: 0
	.section	.text._ZN2at6native29vectorized_elementwise_kernelILi16EZZZNS0_17rsqrt_kernel_cudaERNS_18TensorIteratorBaseEENKUlvE0_clEvENKUlvE1_clEvEUlN3c108BFloat16EE_St5arrayIPcLm2EEEEviT0_T1_,"axG",@progbits,_ZN2at6native29vectorized_elementwise_kernelILi16EZZZNS0_17rsqrt_kernel_cudaERNS_18TensorIteratorBaseEENKUlvE0_clEvENKUlvE1_clEvEUlN3c108BFloat16EE_St5arrayIPcLm2EEEEviT0_T1_,comdat
	.globl	_ZN2at6native29vectorized_elementwise_kernelILi16EZZZNS0_17rsqrt_kernel_cudaERNS_18TensorIteratorBaseEENKUlvE0_clEvENKUlvE1_clEvEUlN3c108BFloat16EE_St5arrayIPcLm2EEEEviT0_T1_ ; -- Begin function _ZN2at6native29vectorized_elementwise_kernelILi16EZZZNS0_17rsqrt_kernel_cudaERNS_18TensorIteratorBaseEENKUlvE0_clEvENKUlvE1_clEvEUlN3c108BFloat16EE_St5arrayIPcLm2EEEEviT0_T1_
	.p2align	8
	.type	_ZN2at6native29vectorized_elementwise_kernelILi16EZZZNS0_17rsqrt_kernel_cudaERNS_18TensorIteratorBaseEENKUlvE0_clEvENKUlvE1_clEvEUlN3c108BFloat16EE_St5arrayIPcLm2EEEEviT0_T1_,@function
_ZN2at6native29vectorized_elementwise_kernelILi16EZZZNS0_17rsqrt_kernel_cudaERNS_18TensorIteratorBaseEENKUlvE0_clEvENKUlvE1_clEvEUlN3c108BFloat16EE_St5arrayIPcLm2EEEEviT0_T1_: ; @_ZN2at6native29vectorized_elementwise_kernelILi16EZZZNS0_17rsqrt_kernel_cudaERNS_18TensorIteratorBaseEENKUlvE0_clEvENKUlvE1_clEvEUlN3c108BFloat16EE_St5arrayIPcLm2EEEEviT0_T1_
; %bb.0:
	s_clause 0x1
	s_load_b32 s2, s[0:1], 0x0
	s_load_b128 s[8:11], s[0:1], 0x8
	s_lshl_b32 s12, s15, 11
	s_mov_b32 s0, -1
	s_waitcnt lgkmcnt(0)
	s_sub_i32 s7, s2, s12
	s_delay_alu instid0(SALU_CYCLE_1)
	s_cmpk_gt_i32 s7, 0x7ff
	s_cbranch_scc0 .LBB202_2
; %bb.1:
	s_ashr_i32 s13, s12, 31
	v_lshlrev_b32_e32 v49, 4, v0
	s_lshl_b64 s[14:15], s[12:13], 1
	s_delay_alu instid0(SALU_CYCLE_1)
	s_add_u32 s0, s10, s14
	s_addc_u32 s1, s11, s15
	global_load_b128 v[1:4], v49, s[0:1]
	s_waitcnt vmcnt(0)
	v_and_b32_e32 v5, 0xffff0000, v1
	v_lshlrev_b32_e32 v1, 16, v1
	v_and_b32_e32 v7, 0xffff0000, v2
	v_lshlrev_b32_e32 v15, 16, v4
	v_lshlrev_b32_e32 v9, 16, v2
	v_cvt_f64_f32_e32 v[5:6], v5
	v_cvt_f64_f32_e32 v[1:2], v1
	;; [unrolled: 1-line block ×4, first 2 shown]
	v_and_b32_e32 v11, 0xffff0000, v3
	v_cvt_f64_f32_e32 v[9:10], v9
	v_and_b32_e32 v13, 0xffff0000, v4
	s_delay_alu instid0(VALU_DEP_3) | instskip(NEXT) | instid1(VALU_DEP_2)
	v_cvt_f64_f32_e32 v[11:12], v11
	v_cvt_f64_f32_e32 v[13:14], v13
	v_rsq_f64_e32 v[17:18], v[5:6]
	v_rsq_f64_e32 v[19:20], v[1:2]
	;; [unrolled: 1-line block ×4, first 2 shown]
	s_delay_alu instid0(VALU_DEP_4) | instskip(NEXT) | instid1(VALU_DEP_2)
	v_rsq_f64_e32 v[23:24], v[9:10]
	v_rsq_f64_e32 v[25:26], v[11:12]
	s_delay_alu instid0(VALU_DEP_1)
	v_rsq_f64_e32 v[29:30], v[13:14]
	v_mul_f64 v[5:6], v[17:18], -v[5:6]
	v_mul_f64 v[1:2], v[19:20], -v[1:2]
	;; [unrolled: 1-line block ×4, first 2 shown]
	v_cmp_class_f64_e64 s0, v[19:20], 0x180
	v_cmp_class_f64_e64 s1, v[21:22], 0x180
	v_cmp_class_f64_e64 s6, v[31:32], 0x180
	s_delay_alu instid0(TRANS32_DEP_3) | instskip(SKIP_1) | instid1(TRANS32_DEP_2)
	v_mul_f64 v[9:10], v[23:24], -v[9:10]
	v_cmp_class_f64_e64 vcc_lo, v[17:18], 0x180
	v_mul_f64 v[11:12], v[25:26], -v[11:12]
	v_cmp_class_f64_e64 s2, v[23:24], 0x180
	s_delay_alu instid0(TRANS32_DEP_1)
	v_mul_f64 v[13:14], v[29:30], -v[13:14]
	v_cmp_class_f64_e64 s3, v[25:26], 0x180
	v_cmp_class_f64_e64 s5, v[29:30], 0x180
	v_fma_f64 v[5:6], v[5:6], v[17:18], 1.0
	v_fma_f64 v[1:2], v[1:2], v[19:20], 1.0
	;; [unrolled: 1-line block ×7, first 2 shown]
	v_mul_f64 v[33:34], v[17:18], v[5:6]
	v_mul_f64 v[35:36], v[19:20], v[1:2]
	v_fma_f64 v[1:2], 0x3fd80000, v[1:2], 0.5
	v_mul_f64 v[37:38], v[21:22], v[7:8]
	v_fma_f64 v[7:8], 0x3fd80000, v[7:8], 0.5
	;; [unrolled: 2-line block ×3, first 2 shown]
	v_fma_f64 v[5:6], 0x3fd80000, v[5:6], 0.5
	v_mul_f64 v[39:40], v[23:24], v[9:10]
	v_fma_f64 v[9:10], 0x3fd80000, v[9:10], 0.5
	v_mul_f64 v[41:42], v[25:26], v[11:12]
	;; [unrolled: 2-line block ×3, first 2 shown]
	v_fma_f64 v[13:14], 0x3fd80000, v[13:14], 0.5
	v_fma_f64 v[1:2], v[35:36], v[1:2], v[19:20]
	v_fma_f64 v[7:8], v[37:38], v[7:8], v[21:22]
	;; [unrolled: 1-line block ×7, first 2 shown]
	v_cndmask_b32_e64 v2, v20, v2, s0
	v_cndmask_b32_e64 v1, v19, v1, s0
	;; [unrolled: 1-line block ×6, first 2 shown]
	v_cvt_f32_f64_e32 v1, v[1:2]
	v_cndmask_b32_e32 v6, v18, v6, vcc_lo
	v_cvt_f32_f64_e32 v2, v[7:8]
	v_cndmask_b32_e32 v5, v17, v5, vcc_lo
	v_cvt_f32_f64_e32 v8, v[15:16]
	v_cndmask_b32_e64 v10, v24, v10, s2
	v_cndmask_b32_e64 v9, v23, v9, s2
	;; [unrolled: 1-line block ×3, first 2 shown]
	v_cvt_f32_f64_e32 v5, v[5:6]
	v_cndmask_b32_e64 v11, v25, v11, s3
	v_cndmask_b32_e64 v14, v30, v14, s5
	v_cvt_f32_f64_e32 v6, v[9:10]
	v_cndmask_b32_e64 v13, v29, v13, s5
	s_add_u32 s2, s8, s14
	v_cvt_f32_f64_e32 v7, v[11:12]
	s_addc_u32 s3, s9, s15
	s_mov_b32 s0, 0
	v_bfe_u32 v10, v1, 16, 1
	v_bfe_u32 v11, v2, 16, 1
	v_bfe_u32 v16, v8, 16, 1
	s_delay_alu instid0(VALU_DEP_3) | instskip(NEXT) | instid1(VALU_DEP_3)
	v_add3_u32 v10, v1, v10, 0x7fff
	v_add3_u32 v11, v2, v11, 0x7fff
	v_bfe_u32 v9, v5, 16, 1
	s_delay_alu instid0(VALU_DEP_4)
	v_add3_u32 v16, v8, v16, 0x7fff
	v_cmp_o_f32_e32 vcc_lo, v5, v5
	v_bfe_u32 v12, v6, 16, 1
	v_lshrrev_b32_e32 v11, 16, v11
	v_add3_u32 v9, v5, v9, 0x7fff
	v_lshrrev_b32_e32 v16, 16, v16
	v_lshlrev_b32_e32 v3, 16, v3
	v_add3_u32 v12, v6, v12, 0x7fff
	v_lshrrev_b32_e32 v10, 16, v10
	v_lshrrev_b32_e32 v9, 16, v9
	s_delay_alu instid0(VALU_DEP_4) | instskip(NEXT) | instid1(VALU_DEP_4)
	v_cvt_f64_f32_e32 v[3:4], v3
	v_lshrrev_b32_e32 v12, 16, v12
	s_delay_alu instid0(VALU_DEP_3)
	v_cndmask_b32_e32 v5, 0x7fc0, v9, vcc_lo
	v_cmp_o_f32_e32 vcc_lo, v2, v2
	v_cndmask_b32_e32 v2, 0x7fc0, v11, vcc_lo
	v_cmp_o_f32_e32 vcc_lo, v6, v6
	;; [unrolled: 2-line block ×3, first 2 shown]
	s_delay_alu instid0(VALU_DEP_2) | instskip(SKIP_4) | instid1(VALU_DEP_2)
	v_perm_b32 v2, v2, v6, 0x5040100
	v_rsq_f64_e32 v[27:28], v[3:4]
	s_waitcnt_depctr 0xfff
	v_mul_f64 v[3:4], v[27:28], -v[3:4]
	v_cmp_class_f64_e64 s4, v[27:28], 0x180
	v_fma_f64 v[3:4], v[3:4], v[27:28], 1.0
	s_delay_alu instid0(VALU_DEP_1) | instskip(SKIP_1) | instid1(VALU_DEP_1)
	v_mul_f64 v[43:44], v[27:28], v[3:4]
	v_fma_f64 v[3:4], 0x3fd80000, v[3:4], 0.5
	v_fma_f64 v[3:4], v[43:44], v[3:4], v[27:28]
	s_delay_alu instid0(VALU_DEP_1) | instskip(NEXT) | instid1(VALU_DEP_2)
	v_cndmask_b32_e64 v4, v28, v4, s4
	v_cndmask_b32_e64 v3, v27, v3, s4
	s_delay_alu instid0(VALU_DEP_1) | instskip(SKIP_2) | instid1(VALU_DEP_1)
	v_cvt_f32_f64_e32 v3, v[3:4]
	v_cvt_f32_f64_e32 v4, v[13:14]
	v_bfe_u32 v13, v7, 16, 1
	v_add3_u32 v13, v7, v13, 0x7fff
	s_delay_alu instid0(VALU_DEP_1) | instskip(NEXT) | instid1(VALU_DEP_1)
	v_lshrrev_b32_e32 v13, 16, v13
	v_cndmask_b32_e32 v7, 0x7fc0, v13, vcc_lo
	v_bfe_u32 v14, v3, 16, 1
	v_bfe_u32 v15, v4, 16, 1
	v_cmp_o_f32_e32 vcc_lo, v4, v4
	s_delay_alu instid0(VALU_DEP_3) | instskip(NEXT) | instid1(VALU_DEP_3)
	v_add3_u32 v14, v3, v14, 0x7fff
	v_add3_u32 v15, v4, v15, 0x7fff
	s_delay_alu instid0(VALU_DEP_2) | instskip(NEXT) | instid1(VALU_DEP_2)
	v_lshrrev_b32_e32 v14, 16, v14
	v_lshrrev_b32_e32 v15, 16, v15
	s_delay_alu instid0(VALU_DEP_1) | instskip(SKIP_3) | instid1(VALU_DEP_2)
	v_cndmask_b32_e32 v4, 0x7fc0, v15, vcc_lo
	v_cmp_o_f32_e32 vcc_lo, v8, v8
	v_cndmask_b32_e32 v8, 0x7fc0, v16, vcc_lo
	v_cmp_o_f32_e32 vcc_lo, v3, v3
	v_perm_b32 v4, v4, v8, 0x5040100
	v_cndmask_b32_e32 v3, 0x7fc0, v14, vcc_lo
	v_cmp_o_f32_e32 vcc_lo, v1, v1
	s_delay_alu instid0(VALU_DEP_2) | instskip(SKIP_1) | instid1(VALU_DEP_1)
	v_perm_b32 v3, v7, v3, 0x5040100
	v_cndmask_b32_e32 v1, 0x7fc0, v10, vcc_lo
	v_perm_b32 v1, v5, v1, 0x5040100
	global_store_b128 v49, v[1:4], s[2:3]
.LBB202_2:
	s_and_not1_b32 vcc_lo, exec_lo, s0
	s_cbranch_vccnz .LBB202_41
; %bb.3:
	v_cmp_gt_i32_e32 vcc_lo, s7, v0
	v_dual_mov_b32 v7, 0 :: v_dual_mov_b32 v8, 0
	v_or_b32_e32 v1, s12, v0
	v_or_b32_e32 v3, 0x100, v0
	v_mov_b32_e32 v5, v0
	s_and_saveexec_b32 s1, vcc_lo
	s_cbranch_execz .LBB202_5
; %bb.4:
	v_mov_b32_e32 v2, 0
	s_delay_alu instid0(VALU_DEP_1) | instskip(NEXT) | instid1(VALU_DEP_1)
	v_lshlrev_b64 v[4:5], 1, v[1:2]
	v_add_co_u32 v4, s0, s10, v4
	s_delay_alu instid0(VALU_DEP_1)
	v_add_co_ci_u32_e64 v5, s0, s11, v5, s0
	global_load_u16 v8, v[4:5], off
	v_or_b32_e32 v5, 0x100, v0
.LBB202_5:
	s_or_b32 exec_lo, exec_lo, s1
	s_delay_alu instid0(SALU_CYCLE_1) | instskip(NEXT) | instid1(VALU_DEP_1)
	s_mov_b32 s1, exec_lo
	v_cmpx_gt_i32_e64 s7, v5
	s_cbranch_execz .LBB202_7
; %bb.6:
	v_dual_mov_b32 v7, 0 :: v_dual_add_nc_u32 v6, s12, v5
	v_add_nc_u32_e32 v5, 0x100, v5
	s_delay_alu instid0(VALU_DEP_2) | instskip(NEXT) | instid1(VALU_DEP_1)
	v_lshlrev_b64 v[6:7], 1, v[6:7]
	v_add_co_u32 v6, s0, s10, v6
	s_delay_alu instid0(VALU_DEP_1)
	v_add_co_ci_u32_e64 v7, s0, s11, v7, s0
	global_load_u16 v7, v[6:7], off
.LBB202_7:
	s_or_b32 exec_lo, exec_lo, s1
	v_dual_mov_b32 v6, 0 :: v_dual_mov_b32 v11, 0
	s_mov_b32 s1, exec_lo
	v_cmpx_gt_i32_e64 s7, v5
	s_cbranch_execz .LBB202_9
; %bb.8:
	v_dual_mov_b32 v10, 0 :: v_dual_add_nc_u32 v9, s12, v5
	v_add_nc_u32_e32 v5, 0x100, v5
	s_delay_alu instid0(VALU_DEP_2) | instskip(NEXT) | instid1(VALU_DEP_1)
	v_lshlrev_b64 v[9:10], 1, v[9:10]
	v_add_co_u32 v9, s0, s10, v9
	s_delay_alu instid0(VALU_DEP_1)
	v_add_co_ci_u32_e64 v10, s0, s11, v10, s0
	global_load_u16 v11, v[9:10], off
.LBB202_9:
	s_or_b32 exec_lo, exec_lo, s1
	s_delay_alu instid0(SALU_CYCLE_1)
	s_mov_b32 s1, exec_lo
	v_cmpx_gt_i32_e64 s7, v5
	s_cbranch_execz .LBB202_11
; %bb.10:
	v_dual_mov_b32 v10, 0 :: v_dual_add_nc_u32 v9, s12, v5
	v_add_nc_u32_e32 v5, 0x100, v5
	s_delay_alu instid0(VALU_DEP_2) | instskip(NEXT) | instid1(VALU_DEP_1)
	v_lshlrev_b64 v[9:10], 1, v[9:10]
	v_add_co_u32 v9, s0, s10, v9
	s_delay_alu instid0(VALU_DEP_1)
	v_add_co_ci_u32_e64 v10, s0, s11, v10, s0
	global_load_u16 v6, v[9:10], off
.LBB202_11:
	s_or_b32 exec_lo, exec_lo, s1
	v_mov_b32_e32 v4, 0
	v_mov_b32_e32 v10, 0
	s_mov_b32 s1, exec_lo
	v_cmpx_gt_i32_e64 s7, v5
	s_cbranch_execz .LBB202_13
; %bb.12:
	v_dual_mov_b32 v10, 0 :: v_dual_add_nc_u32 v9, s12, v5
	v_add_nc_u32_e32 v5, 0x100, v5
	s_delay_alu instid0(VALU_DEP_2) | instskip(NEXT) | instid1(VALU_DEP_1)
	v_lshlrev_b64 v[9:10], 1, v[9:10]
	v_add_co_u32 v9, s0, s10, v9
	s_delay_alu instid0(VALU_DEP_1)
	v_add_co_ci_u32_e64 v10, s0, s11, v10, s0
	global_load_u16 v10, v[9:10], off
.LBB202_13:
	s_or_b32 exec_lo, exec_lo, s1
	s_delay_alu instid0(SALU_CYCLE_1)
	s_mov_b32 s1, exec_lo
	v_cmpx_gt_i32_e64 s7, v5
	s_cbranch_execz .LBB202_15
; %bb.14:
	v_dual_mov_b32 v13, 0 :: v_dual_add_nc_u32 v12, s12, v5
	v_add_nc_u32_e32 v5, 0x100, v5
	s_delay_alu instid0(VALU_DEP_2) | instskip(NEXT) | instid1(VALU_DEP_1)
	v_lshlrev_b64 v[12:13], 1, v[12:13]
	v_add_co_u32 v12, s0, s10, v12
	s_delay_alu instid0(VALU_DEP_1)
	v_add_co_ci_u32_e64 v13, s0, s11, v13, s0
	global_load_u16 v4, v[12:13], off
.LBB202_15:
	s_or_b32 exec_lo, exec_lo, s1
	v_dual_mov_b32 v2, 0 :: v_dual_mov_b32 v9, 0
	s_mov_b32 s1, exec_lo
	v_cmpx_gt_i32_e64 s7, v5
	s_cbranch_execz .LBB202_42
; %bb.16:
	v_dual_mov_b32 v13, 0 :: v_dual_add_nc_u32 v12, s12, v5
	v_add_nc_u32_e32 v5, 0x100, v5
	s_delay_alu instid0(VALU_DEP_2) | instskip(NEXT) | instid1(VALU_DEP_1)
	v_lshlrev_b64 v[12:13], 1, v[12:13]
	v_add_co_u32 v12, s0, s10, v12
	s_delay_alu instid0(VALU_DEP_1) | instskip(SKIP_2) | instid1(SALU_CYCLE_1)
	v_add_co_ci_u32_e64 v13, s0, s11, v13, s0
	global_load_u16 v9, v[12:13], off
	s_or_b32 exec_lo, exec_lo, s1
	s_mov_b32 s1, exec_lo
	v_cmpx_gt_i32_e64 s7, v5
	s_cbranch_execnz .LBB202_43
.LBB202_17:
	s_or_b32 exec_lo, exec_lo, s1
                                        ; implicit-def: $vgpr5
	s_and_saveexec_b32 s1, vcc_lo
	s_cbranch_execz .LBB202_19
.LBB202_18:
	s_waitcnt vmcnt(0)
	v_lshlrev_b32_e32 v5, 16, v8
	s_delay_alu instid0(VALU_DEP_1) | instskip(NEXT) | instid1(VALU_DEP_1)
	v_cvt_f64_f32_e32 v[12:13], v5
	v_rsq_f64_e32 v[14:15], v[12:13]
	s_waitcnt_depctr 0xfff
	v_mul_f64 v[12:13], v[14:15], -v[12:13]
	v_cmp_class_f64_e64 s0, v[14:15], 0x180
	s_delay_alu instid0(VALU_DEP_2) | instskip(NEXT) | instid1(VALU_DEP_1)
	v_fma_f64 v[12:13], v[12:13], v[14:15], 1.0
	v_mul_f64 v[16:17], v[14:15], v[12:13]
	v_fma_f64 v[12:13], 0x3fd80000, v[12:13], 0.5
	s_delay_alu instid0(VALU_DEP_1) | instskip(NEXT) | instid1(VALU_DEP_1)
	v_fma_f64 v[12:13], v[16:17], v[12:13], v[14:15]
	v_cndmask_b32_e64 v13, v15, v13, s0
	s_delay_alu instid0(VALU_DEP_2) | instskip(NEXT) | instid1(VALU_DEP_1)
	v_cndmask_b32_e64 v12, v14, v12, s0
	v_cvt_f32_f64_e32 v5, v[12:13]
	s_delay_alu instid0(VALU_DEP_1) | instskip(SKIP_1) | instid1(VALU_DEP_2)
	v_bfe_u32 v8, v5, 16, 1
	v_cmp_o_f32_e64 s0, v5, v5
	v_add3_u32 v8, v5, v8, 0x7fff
	s_delay_alu instid0(VALU_DEP_1) | instskip(NEXT) | instid1(VALU_DEP_1)
	v_lshrrev_b32_e32 v8, 16, v8
	v_cndmask_b32_e64 v5, 0x7fc0, v8, s0
.LBB202_19:
	s_or_b32 exec_lo, exec_lo, s1
	s_delay_alu instid0(SALU_CYCLE_1)
	s_mov_b32 s1, exec_lo
                                        ; implicit-def: $vgpr8
	v_cmpx_gt_i32_e64 s7, v3
	s_cbranch_execz .LBB202_21
; %bb.20:
	s_waitcnt vmcnt(0)
	v_lshlrev_b32_e32 v7, 16, v7
	s_delay_alu instid0(VALU_DEP_1) | instskip(NEXT) | instid1(VALU_DEP_1)
	v_cvt_f64_f32_e32 v[7:8], v7
	v_rsq_f64_e32 v[12:13], v[7:8]
	s_waitcnt_depctr 0xfff
	v_mul_f64 v[7:8], v[12:13], -v[7:8]
	v_cmp_class_f64_e64 s0, v[12:13], 0x180
	s_delay_alu instid0(VALU_DEP_2) | instskip(NEXT) | instid1(VALU_DEP_1)
	v_fma_f64 v[7:8], v[7:8], v[12:13], 1.0
	v_mul_f64 v[14:15], v[12:13], v[7:8]
	v_fma_f64 v[7:8], 0x3fd80000, v[7:8], 0.5
	s_delay_alu instid0(VALU_DEP_1) | instskip(NEXT) | instid1(VALU_DEP_1)
	v_fma_f64 v[7:8], v[14:15], v[7:8], v[12:13]
	v_cndmask_b32_e64 v8, v13, v8, s0
	s_delay_alu instid0(VALU_DEP_2) | instskip(NEXT) | instid1(VALU_DEP_1)
	v_cndmask_b32_e64 v7, v12, v7, s0
	v_cvt_f32_f64_e32 v7, v[7:8]
	s_delay_alu instid0(VALU_DEP_1) | instskip(SKIP_1) | instid1(VALU_DEP_2)
	v_bfe_u32 v8, v7, 16, 1
	v_cmp_o_f32_e64 s0, v7, v7
	v_add3_u32 v8, v7, v8, 0x7fff
	s_delay_alu instid0(VALU_DEP_1) | instskip(NEXT) | instid1(VALU_DEP_1)
	v_lshrrev_b32_e32 v8, 16, v8
	v_cndmask_b32_e64 v8, 0x7fc0, v8, s0
.LBB202_21:
	s_or_b32 exec_lo, exec_lo, s1
	s_waitcnt vmcnt(0)
	v_or_b32_e32 v7, 0x200, v0
	s_delay_alu instid0(VALU_DEP_1) | instskip(NEXT) | instid1(VALU_DEP_1)
	v_cmp_gt_i32_e64 s0, s7, v7
                                        ; implicit-def: $vgpr7
	s_and_saveexec_b32 s1, s0
	s_cbranch_execz .LBB202_23
; %bb.22:
	v_lshlrev_b32_e32 v7, 16, v11
	s_delay_alu instid0(VALU_DEP_1) | instskip(NEXT) | instid1(VALU_DEP_1)
	v_cvt_f64_f32_e32 v[11:12], v7
	v_rsq_f64_e32 v[13:14], v[11:12]
	s_waitcnt_depctr 0xfff
	v_mul_f64 v[11:12], v[13:14], -v[11:12]
	v_cmp_class_f64_e64 s0, v[13:14], 0x180
	s_delay_alu instid0(VALU_DEP_2) | instskip(NEXT) | instid1(VALU_DEP_1)
	v_fma_f64 v[11:12], v[11:12], v[13:14], 1.0
	v_mul_f64 v[15:16], v[13:14], v[11:12]
	v_fma_f64 v[11:12], 0x3fd80000, v[11:12], 0.5
	s_delay_alu instid0(VALU_DEP_1) | instskip(NEXT) | instid1(VALU_DEP_1)
	v_fma_f64 v[11:12], v[15:16], v[11:12], v[13:14]
	v_cndmask_b32_e64 v12, v14, v12, s0
	s_delay_alu instid0(VALU_DEP_2) | instskip(NEXT) | instid1(VALU_DEP_1)
	v_cndmask_b32_e64 v11, v13, v11, s0
	v_cvt_f32_f64_e32 v7, v[11:12]
	s_delay_alu instid0(VALU_DEP_1) | instskip(SKIP_1) | instid1(VALU_DEP_2)
	v_bfe_u32 v11, v7, 16, 1
	v_cmp_o_f32_e64 s0, v7, v7
	v_add3_u32 v11, v7, v11, 0x7fff
	s_delay_alu instid0(VALU_DEP_1) | instskip(NEXT) | instid1(VALU_DEP_1)
	v_lshrrev_b32_e32 v11, 16, v11
	v_cndmask_b32_e64 v7, 0x7fc0, v11, s0
.LBB202_23:
	s_or_b32 exec_lo, exec_lo, s1
	v_or_b32_e32 v11, 0x300, v0
	s_delay_alu instid0(VALU_DEP_1) | instskip(NEXT) | instid1(VALU_DEP_1)
	v_cmp_gt_i32_e64 s0, s7, v11
                                        ; implicit-def: $vgpr11
	s_and_saveexec_b32 s1, s0
	s_cbranch_execz .LBB202_25
; %bb.24:
	v_lshlrev_b32_e32 v6, 16, v6
	s_delay_alu instid0(VALU_DEP_1) | instskip(NEXT) | instid1(VALU_DEP_1)
	v_cvt_f64_f32_e32 v[11:12], v6
	v_rsq_f64_e32 v[13:14], v[11:12]
	s_waitcnt_depctr 0xfff
	v_mul_f64 v[11:12], v[13:14], -v[11:12]
	v_cmp_class_f64_e64 s0, v[13:14], 0x180
	s_delay_alu instid0(VALU_DEP_2) | instskip(NEXT) | instid1(VALU_DEP_1)
	v_fma_f64 v[11:12], v[11:12], v[13:14], 1.0
	v_mul_f64 v[15:16], v[13:14], v[11:12]
	v_fma_f64 v[11:12], 0x3fd80000, v[11:12], 0.5
	s_delay_alu instid0(VALU_DEP_1) | instskip(NEXT) | instid1(VALU_DEP_1)
	v_fma_f64 v[11:12], v[15:16], v[11:12], v[13:14]
	v_cndmask_b32_e64 v12, v14, v12, s0
	s_delay_alu instid0(VALU_DEP_2) | instskip(NEXT) | instid1(VALU_DEP_1)
	v_cndmask_b32_e64 v11, v13, v11, s0
	v_cvt_f32_f64_e32 v6, v[11:12]
	s_delay_alu instid0(VALU_DEP_1) | instskip(SKIP_1) | instid1(VALU_DEP_2)
	v_bfe_u32 v11, v6, 16, 1
	v_cmp_o_f32_e64 s0, v6, v6
	v_add3_u32 v11, v6, v11, 0x7fff
	s_delay_alu instid0(VALU_DEP_1) | instskip(NEXT) | instid1(VALU_DEP_1)
	v_lshrrev_b32_e32 v11, 16, v11
	v_cndmask_b32_e64 v11, 0x7fc0, v11, s0
.LBB202_25:
	s_or_b32 exec_lo, exec_lo, s1
	v_or_b32_e32 v6, 0x400, v0
	s_delay_alu instid0(VALU_DEP_1) | instskip(NEXT) | instid1(VALU_DEP_1)
	v_cmp_gt_i32_e64 s0, s7, v6
                                        ; implicit-def: $vgpr6
	s_and_saveexec_b32 s1, s0
	s_cbranch_execz .LBB202_27
; %bb.26:
	v_lshlrev_b32_e32 v6, 16, v10
	s_delay_alu instid0(VALU_DEP_1) | instskip(NEXT) | instid1(VALU_DEP_1)
	v_cvt_f64_f32_e32 v[12:13], v6
	v_rsq_f64_e32 v[14:15], v[12:13]
	s_waitcnt_depctr 0xfff
	v_mul_f64 v[12:13], v[14:15], -v[12:13]
	v_cmp_class_f64_e64 s0, v[14:15], 0x180
	s_delay_alu instid0(VALU_DEP_2) | instskip(NEXT) | instid1(VALU_DEP_1)
	v_fma_f64 v[12:13], v[12:13], v[14:15], 1.0
	v_mul_f64 v[16:17], v[14:15], v[12:13]
	v_fma_f64 v[12:13], 0x3fd80000, v[12:13], 0.5
	s_delay_alu instid0(VALU_DEP_1) | instskip(NEXT) | instid1(VALU_DEP_1)
	v_fma_f64 v[12:13], v[16:17], v[12:13], v[14:15]
	v_cndmask_b32_e64 v13, v15, v13, s0
	s_delay_alu instid0(VALU_DEP_2) | instskip(NEXT) | instid1(VALU_DEP_1)
	v_cndmask_b32_e64 v12, v14, v12, s0
	v_cvt_f32_f64_e32 v6, v[12:13]
	s_delay_alu instid0(VALU_DEP_1) | instskip(SKIP_1) | instid1(VALU_DEP_2)
	v_bfe_u32 v10, v6, 16, 1
	v_cmp_o_f32_e64 s0, v6, v6
	v_add3_u32 v10, v6, v10, 0x7fff
	s_delay_alu instid0(VALU_DEP_1) | instskip(NEXT) | instid1(VALU_DEP_1)
	v_lshrrev_b32_e32 v10, 16, v10
	v_cndmask_b32_e64 v6, 0x7fc0, v10, s0
.LBB202_27:
	s_or_b32 exec_lo, exec_lo, s1
	v_or_b32_e32 v10, 0x500, v0
	s_delay_alu instid0(VALU_DEP_1) | instskip(NEXT) | instid1(VALU_DEP_1)
	v_cmp_gt_i32_e64 s0, s7, v10
                                        ; implicit-def: $vgpr10
	s_and_saveexec_b32 s1, s0
	s_cbranch_execz .LBB202_29
; %bb.28:
	v_lshlrev_b32_e32 v4, 16, v4
	s_delay_alu instid0(VALU_DEP_1) | instskip(NEXT) | instid1(VALU_DEP_1)
	v_cvt_f64_f32_e32 v[12:13], v4
	v_rsq_f64_e32 v[14:15], v[12:13]
	s_waitcnt_depctr 0xfff
	v_mul_f64 v[12:13], v[14:15], -v[12:13]
	v_cmp_class_f64_e64 s0, v[14:15], 0x180
	s_delay_alu instid0(VALU_DEP_2) | instskip(NEXT) | instid1(VALU_DEP_1)
	v_fma_f64 v[12:13], v[12:13], v[14:15], 1.0
	v_mul_f64 v[16:17], v[14:15], v[12:13]
	v_fma_f64 v[12:13], 0x3fd80000, v[12:13], 0.5
	s_delay_alu instid0(VALU_DEP_1) | instskip(NEXT) | instid1(VALU_DEP_1)
	v_fma_f64 v[12:13], v[16:17], v[12:13], v[14:15]
	v_cndmask_b32_e64 v13, v15, v13, s0
	s_delay_alu instid0(VALU_DEP_2) | instskip(NEXT) | instid1(VALU_DEP_1)
	v_cndmask_b32_e64 v12, v14, v12, s0
	v_cvt_f32_f64_e32 v4, v[12:13]
	s_delay_alu instid0(VALU_DEP_1) | instskip(SKIP_1) | instid1(VALU_DEP_2)
	v_bfe_u32 v10, v4, 16, 1
	v_cmp_o_f32_e64 s0, v4, v4
	v_add3_u32 v10, v4, v10, 0x7fff
	s_delay_alu instid0(VALU_DEP_1) | instskip(NEXT) | instid1(VALU_DEP_1)
	v_lshrrev_b32_e32 v10, 16, v10
	v_cndmask_b32_e64 v10, 0x7fc0, v10, s0
.LBB202_29:
	s_or_b32 exec_lo, exec_lo, s1
	v_or_b32_e32 v4, 0x600, v0
	s_delay_alu instid0(VALU_DEP_1) | instskip(NEXT) | instid1(VALU_DEP_1)
	v_cmp_gt_i32_e64 s0, s7, v4
                                        ; implicit-def: $vgpr4
	s_and_saveexec_b32 s1, s0
	s_cbranch_execz .LBB202_31
; %bb.30:
	v_lshlrev_b32_e32 v4, 16, v9
	s_delay_alu instid0(VALU_DEP_1) | instskip(NEXT) | instid1(VALU_DEP_1)
	v_cvt_f64_f32_e32 v[12:13], v4
	v_rsq_f64_e32 v[14:15], v[12:13]
	s_waitcnt_depctr 0xfff
	v_mul_f64 v[12:13], v[14:15], -v[12:13]
	v_cmp_class_f64_e64 s0, v[14:15], 0x180
	s_delay_alu instid0(VALU_DEP_2) | instskip(NEXT) | instid1(VALU_DEP_1)
	v_fma_f64 v[12:13], v[12:13], v[14:15], 1.0
	v_mul_f64 v[16:17], v[14:15], v[12:13]
	v_fma_f64 v[12:13], 0x3fd80000, v[12:13], 0.5
	s_delay_alu instid0(VALU_DEP_1) | instskip(NEXT) | instid1(VALU_DEP_1)
	v_fma_f64 v[12:13], v[16:17], v[12:13], v[14:15]
	v_cndmask_b32_e64 v13, v15, v13, s0
	s_delay_alu instid0(VALU_DEP_2) | instskip(NEXT) | instid1(VALU_DEP_1)
	v_cndmask_b32_e64 v12, v14, v12, s0
	v_cvt_f32_f64_e32 v4, v[12:13]
	s_delay_alu instid0(VALU_DEP_1) | instskip(SKIP_1) | instid1(VALU_DEP_2)
	v_bfe_u32 v9, v4, 16, 1
	v_cmp_o_f32_e64 s0, v4, v4
	v_add3_u32 v9, v4, v9, 0x7fff
	s_delay_alu instid0(VALU_DEP_1) | instskip(NEXT) | instid1(VALU_DEP_1)
	v_lshrrev_b32_e32 v9, 16, v9
	v_cndmask_b32_e64 v4, 0x7fc0, v9, s0
.LBB202_31:
	s_or_b32 exec_lo, exec_lo, s1
	v_or_b32_e32 v9, 0x700, v0
	s_delay_alu instid0(VALU_DEP_1) | instskip(NEXT) | instid1(VALU_DEP_1)
	v_cmp_gt_i32_e64 s0, s7, v9
                                        ; implicit-def: $vgpr9
	s_and_saveexec_b32 s1, s0
	s_cbranch_execz .LBB202_44
; %bb.32:
	v_lshlrev_b32_e32 v2, 16, v2
	s_delay_alu instid0(VALU_DEP_1) | instskip(NEXT) | instid1(VALU_DEP_1)
	v_cvt_f64_f32_e32 v[12:13], v2
	v_rsq_f64_e32 v[14:15], v[12:13]
	s_waitcnt_depctr 0xfff
	v_mul_f64 v[12:13], v[14:15], -v[12:13]
	v_cmp_class_f64_e64 s0, v[14:15], 0x180
	s_delay_alu instid0(VALU_DEP_2) | instskip(NEXT) | instid1(VALU_DEP_1)
	v_fma_f64 v[12:13], v[12:13], v[14:15], 1.0
	v_mul_f64 v[16:17], v[14:15], v[12:13]
	v_fma_f64 v[12:13], 0x3fd80000, v[12:13], 0.5
	s_delay_alu instid0(VALU_DEP_1) | instskip(NEXT) | instid1(VALU_DEP_1)
	v_fma_f64 v[12:13], v[16:17], v[12:13], v[14:15]
	v_cndmask_b32_e64 v13, v15, v13, s0
	s_delay_alu instid0(VALU_DEP_2) | instskip(NEXT) | instid1(VALU_DEP_1)
	v_cndmask_b32_e64 v12, v14, v12, s0
	v_cvt_f32_f64_e32 v2, v[12:13]
	s_delay_alu instid0(VALU_DEP_1) | instskip(SKIP_1) | instid1(VALU_DEP_2)
	v_bfe_u32 v9, v2, 16, 1
	v_cmp_o_f32_e64 s0, v2, v2
	v_add3_u32 v9, v2, v9, 0x7fff
	s_delay_alu instid0(VALU_DEP_1) | instskip(NEXT) | instid1(VALU_DEP_1)
	v_lshrrev_b32_e32 v9, 16, v9
	v_cndmask_b32_e64 v9, 0x7fc0, v9, s0
	s_or_b32 exec_lo, exec_lo, s1
	s_and_saveexec_b32 s0, vcc_lo
	s_delay_alu instid0(SALU_CYCLE_1)
	s_xor_b32 s0, exec_lo, s0
	s_cbranch_execnz .LBB202_45
.LBB202_33:
	s_or_b32 exec_lo, exec_lo, s0
	s_delay_alu instid0(SALU_CYCLE_1)
	s_mov_b32 s0, exec_lo
	v_cmpx_gt_i32_e64 s7, v0
	s_cbranch_execz .LBB202_46
.LBB202_34:
	v_dual_mov_b32 v2, 0 :: v_dual_add_nc_u32 v1, s12, v0
	v_add_nc_u32_e32 v0, 0x100, v0
	s_delay_alu instid0(VALU_DEP_2) | instskip(NEXT) | instid1(VALU_DEP_1)
	v_lshlrev_b64 v[1:2], 1, v[1:2]
	v_add_co_u32 v1, vcc_lo, s8, v1
	s_delay_alu instid0(VALU_DEP_2) | instskip(SKIP_2) | instid1(SALU_CYCLE_1)
	v_add_co_ci_u32_e32 v2, vcc_lo, s9, v2, vcc_lo
	global_store_b16 v[1:2], v8, off
	s_or_b32 exec_lo, exec_lo, s0
	s_mov_b32 s0, exec_lo
	v_cmpx_gt_i32_e64 s7, v0
	s_cbranch_execnz .LBB202_47
.LBB202_35:
	s_or_b32 exec_lo, exec_lo, s0
	s_delay_alu instid0(SALU_CYCLE_1)
	s_mov_b32 s0, exec_lo
	v_cmpx_gt_i32_e64 s7, v0
	s_cbranch_execz .LBB202_48
.LBB202_36:
	v_dual_mov_b32 v2, 0 :: v_dual_add_nc_u32 v1, s12, v0
	v_add_nc_u32_e32 v0, 0x100, v0
	s_delay_alu instid0(VALU_DEP_2) | instskip(NEXT) | instid1(VALU_DEP_1)
	v_lshlrev_b64 v[1:2], 1, v[1:2]
	v_add_co_u32 v1, vcc_lo, s8, v1
	s_delay_alu instid0(VALU_DEP_2) | instskip(SKIP_2) | instid1(SALU_CYCLE_1)
	v_add_co_ci_u32_e32 v2, vcc_lo, s9, v2, vcc_lo
	global_store_b16 v[1:2], v11, off
	s_or_b32 exec_lo, exec_lo, s0
	s_mov_b32 s0, exec_lo
	v_cmpx_gt_i32_e64 s7, v0
	s_cbranch_execnz .LBB202_49
.LBB202_37:
	s_or_b32 exec_lo, exec_lo, s0
	s_delay_alu instid0(SALU_CYCLE_1)
	s_mov_b32 s0, exec_lo
	v_cmpx_gt_i32_e64 s7, v0
	s_cbranch_execz .LBB202_50
.LBB202_38:
	v_dual_mov_b32 v2, 0 :: v_dual_add_nc_u32 v1, s12, v0
	v_add_nc_u32_e32 v0, 0x100, v0
	s_delay_alu instid0(VALU_DEP_2) | instskip(NEXT) | instid1(VALU_DEP_1)
	v_lshlrev_b64 v[1:2], 1, v[1:2]
	v_add_co_u32 v1, vcc_lo, s8, v1
	s_delay_alu instid0(VALU_DEP_2) | instskip(SKIP_2) | instid1(SALU_CYCLE_1)
	v_add_co_ci_u32_e32 v2, vcc_lo, s9, v2, vcc_lo
	global_store_b16 v[1:2], v10, off
	s_or_b32 exec_lo, exec_lo, s0
	s_mov_b32 s0, exec_lo
	v_cmpx_gt_i32_e64 s7, v0
	s_cbranch_execnz .LBB202_51
.LBB202_39:
	s_or_b32 exec_lo, exec_lo, s0
	s_delay_alu instid0(SALU_CYCLE_1)
	s_mov_b32 s0, exec_lo
	v_cmpx_gt_i32_e64 s7, v0
	s_cbranch_execz .LBB202_41
.LBB202_40:
	v_dual_mov_b32 v1, 0 :: v_dual_add_nc_u32 v0, s12, v0
	s_delay_alu instid0(VALU_DEP_1) | instskip(NEXT) | instid1(VALU_DEP_1)
	v_lshlrev_b64 v[0:1], 1, v[0:1]
	v_add_co_u32 v0, vcc_lo, s8, v0
	s_delay_alu instid0(VALU_DEP_2)
	v_add_co_ci_u32_e32 v1, vcc_lo, s9, v1, vcc_lo
	global_store_b16 v[0:1], v9, off
.LBB202_41:
	s_nop 0
	s_sendmsg sendmsg(MSG_DEALLOC_VGPRS)
	s_endpgm
.LBB202_42:
	s_or_b32 exec_lo, exec_lo, s1
	s_delay_alu instid0(SALU_CYCLE_1)
	s_mov_b32 s1, exec_lo
	v_cmpx_gt_i32_e64 s7, v5
	s_cbranch_execz .LBB202_17
.LBB202_43:
	v_dual_mov_b32 v13, 0 :: v_dual_add_nc_u32 v12, s12, v5
	s_delay_alu instid0(VALU_DEP_1) | instskip(NEXT) | instid1(VALU_DEP_1)
	v_lshlrev_b64 v[12:13], 1, v[12:13]
	v_add_co_u32 v12, s0, s10, v12
	s_delay_alu instid0(VALU_DEP_1)
	v_add_co_ci_u32_e64 v13, s0, s11, v13, s0
	global_load_u16 v2, v[12:13], off
	s_or_b32 exec_lo, exec_lo, s1
                                        ; implicit-def: $vgpr5
	s_and_saveexec_b32 s1, vcc_lo
	s_cbranch_execz .LBB202_19
	s_branch .LBB202_18
.LBB202_44:
	s_or_b32 exec_lo, exec_lo, s1
	s_and_saveexec_b32 s0, vcc_lo
	s_delay_alu instid0(SALU_CYCLE_1)
	s_xor_b32 s0, exec_lo, s0
	s_cbranch_execz .LBB202_33
.LBB202_45:
	v_mov_b32_e32 v2, 0
	s_delay_alu instid0(VALU_DEP_1) | instskip(NEXT) | instid1(VALU_DEP_1)
	v_lshlrev_b64 v[0:1], 1, v[1:2]
	v_add_co_u32 v12, vcc_lo, s8, v0
	s_delay_alu instid0(VALU_DEP_2) | instskip(SKIP_3) | instid1(SALU_CYCLE_1)
	v_add_co_ci_u32_e32 v13, vcc_lo, s9, v1, vcc_lo
	v_mov_b32_e32 v0, v3
	global_store_b16 v[12:13], v5, off
	s_or_b32 exec_lo, exec_lo, s0
	s_mov_b32 s0, exec_lo
	v_cmpx_gt_i32_e64 s7, v0
	s_cbranch_execnz .LBB202_34
.LBB202_46:
	s_or_b32 exec_lo, exec_lo, s0
	s_delay_alu instid0(SALU_CYCLE_1)
	s_mov_b32 s0, exec_lo
	v_cmpx_gt_i32_e64 s7, v0
	s_cbranch_execz .LBB202_35
.LBB202_47:
	v_dual_mov_b32 v2, 0 :: v_dual_add_nc_u32 v1, s12, v0
	v_add_nc_u32_e32 v0, 0x100, v0
	s_delay_alu instid0(VALU_DEP_2) | instskip(NEXT) | instid1(VALU_DEP_1)
	v_lshlrev_b64 v[1:2], 1, v[1:2]
	v_add_co_u32 v1, vcc_lo, s8, v1
	s_delay_alu instid0(VALU_DEP_2) | instskip(SKIP_2) | instid1(SALU_CYCLE_1)
	v_add_co_ci_u32_e32 v2, vcc_lo, s9, v2, vcc_lo
	global_store_b16 v[1:2], v7, off
	s_or_b32 exec_lo, exec_lo, s0
	s_mov_b32 s0, exec_lo
	v_cmpx_gt_i32_e64 s7, v0
	s_cbranch_execnz .LBB202_36
.LBB202_48:
	s_or_b32 exec_lo, exec_lo, s0
	s_delay_alu instid0(SALU_CYCLE_1)
	s_mov_b32 s0, exec_lo
	v_cmpx_gt_i32_e64 s7, v0
	s_cbranch_execz .LBB202_37
.LBB202_49:
	v_dual_mov_b32 v2, 0 :: v_dual_add_nc_u32 v1, s12, v0
	v_add_nc_u32_e32 v0, 0x100, v0
	s_delay_alu instid0(VALU_DEP_2) | instskip(NEXT) | instid1(VALU_DEP_1)
	v_lshlrev_b64 v[1:2], 1, v[1:2]
	v_add_co_u32 v1, vcc_lo, s8, v1
	s_delay_alu instid0(VALU_DEP_2) | instskip(SKIP_2) | instid1(SALU_CYCLE_1)
	v_add_co_ci_u32_e32 v2, vcc_lo, s9, v2, vcc_lo
	global_store_b16 v[1:2], v6, off
	s_or_b32 exec_lo, exec_lo, s0
	s_mov_b32 s0, exec_lo
	v_cmpx_gt_i32_e64 s7, v0
	s_cbranch_execnz .LBB202_38
.LBB202_50:
	s_or_b32 exec_lo, exec_lo, s0
	s_delay_alu instid0(SALU_CYCLE_1)
	s_mov_b32 s0, exec_lo
	v_cmpx_gt_i32_e64 s7, v0
	s_cbranch_execz .LBB202_39
.LBB202_51:
	v_dual_mov_b32 v2, 0 :: v_dual_add_nc_u32 v1, s12, v0
	v_add_nc_u32_e32 v0, 0x100, v0
	s_delay_alu instid0(VALU_DEP_2) | instskip(NEXT) | instid1(VALU_DEP_1)
	v_lshlrev_b64 v[1:2], 1, v[1:2]
	v_add_co_u32 v1, vcc_lo, s8, v1
	s_delay_alu instid0(VALU_DEP_2) | instskip(SKIP_2) | instid1(SALU_CYCLE_1)
	v_add_co_ci_u32_e32 v2, vcc_lo, s9, v2, vcc_lo
	global_store_b16 v[1:2], v4, off
	s_or_b32 exec_lo, exec_lo, s0
	s_mov_b32 s0, exec_lo
	v_cmpx_gt_i32_e64 s7, v0
	s_cbranch_execnz .LBB202_40
	s_branch .LBB202_41
	.section	.rodata,"a",@progbits
	.p2align	6, 0x0
	.amdhsa_kernel _ZN2at6native29vectorized_elementwise_kernelILi16EZZZNS0_17rsqrt_kernel_cudaERNS_18TensorIteratorBaseEENKUlvE0_clEvENKUlvE1_clEvEUlN3c108BFloat16EE_St5arrayIPcLm2EEEEviT0_T1_
		.amdhsa_group_segment_fixed_size 0
		.amdhsa_private_segment_fixed_size 0
		.amdhsa_kernarg_size 24
		.amdhsa_user_sgpr_count 15
		.amdhsa_user_sgpr_dispatch_ptr 0
		.amdhsa_user_sgpr_queue_ptr 0
		.amdhsa_user_sgpr_kernarg_segment_ptr 1
		.amdhsa_user_sgpr_dispatch_id 0
		.amdhsa_user_sgpr_private_segment_size 0
		.amdhsa_wavefront_size32 1
		.amdhsa_uses_dynamic_stack 0
		.amdhsa_enable_private_segment 0
		.amdhsa_system_sgpr_workgroup_id_x 1
		.amdhsa_system_sgpr_workgroup_id_y 0
		.amdhsa_system_sgpr_workgroup_id_z 0
		.amdhsa_system_sgpr_workgroup_info 0
		.amdhsa_system_vgpr_workitem_id 0
		.amdhsa_next_free_vgpr 50
		.amdhsa_next_free_sgpr 16
		.amdhsa_reserve_vcc 1
		.amdhsa_float_round_mode_32 0
		.amdhsa_float_round_mode_16_64 0
		.amdhsa_float_denorm_mode_32 3
		.amdhsa_float_denorm_mode_16_64 3
		.amdhsa_dx10_clamp 1
		.amdhsa_ieee_mode 1
		.amdhsa_fp16_overflow 0
		.amdhsa_workgroup_processor_mode 1
		.amdhsa_memory_ordered 1
		.amdhsa_forward_progress 0
		.amdhsa_shared_vgpr_count 0
		.amdhsa_exception_fp_ieee_invalid_op 0
		.amdhsa_exception_fp_denorm_src 0
		.amdhsa_exception_fp_ieee_div_zero 0
		.amdhsa_exception_fp_ieee_overflow 0
		.amdhsa_exception_fp_ieee_underflow 0
		.amdhsa_exception_fp_ieee_inexact 0
		.amdhsa_exception_int_div_zero 0
	.end_amdhsa_kernel
	.section	.text._ZN2at6native29vectorized_elementwise_kernelILi16EZZZNS0_17rsqrt_kernel_cudaERNS_18TensorIteratorBaseEENKUlvE0_clEvENKUlvE1_clEvEUlN3c108BFloat16EE_St5arrayIPcLm2EEEEviT0_T1_,"axG",@progbits,_ZN2at6native29vectorized_elementwise_kernelILi16EZZZNS0_17rsqrt_kernel_cudaERNS_18TensorIteratorBaseEENKUlvE0_clEvENKUlvE1_clEvEUlN3c108BFloat16EE_St5arrayIPcLm2EEEEviT0_T1_,comdat
.Lfunc_end202:
	.size	_ZN2at6native29vectorized_elementwise_kernelILi16EZZZNS0_17rsqrt_kernel_cudaERNS_18TensorIteratorBaseEENKUlvE0_clEvENKUlvE1_clEvEUlN3c108BFloat16EE_St5arrayIPcLm2EEEEviT0_T1_, .Lfunc_end202-_ZN2at6native29vectorized_elementwise_kernelILi16EZZZNS0_17rsqrt_kernel_cudaERNS_18TensorIteratorBaseEENKUlvE0_clEvENKUlvE1_clEvEUlN3c108BFloat16EE_St5arrayIPcLm2EEEEviT0_T1_
                                        ; -- End function
	.section	.AMDGPU.csdata,"",@progbits
; Kernel info:
; codeLenInByte = 4208
; NumSgprs: 18
; NumVgprs: 50
; ScratchSize: 0
; MemoryBound: 0
; FloatMode: 240
; IeeeMode: 1
; LDSByteSize: 0 bytes/workgroup (compile time only)
; SGPRBlocks: 2
; VGPRBlocks: 6
; NumSGPRsForWavesPerEU: 18
; NumVGPRsForWavesPerEU: 50
; Occupancy: 16
; WaveLimiterHint : 0
; COMPUTE_PGM_RSRC2:SCRATCH_EN: 0
; COMPUTE_PGM_RSRC2:USER_SGPR: 15
; COMPUTE_PGM_RSRC2:TRAP_HANDLER: 0
; COMPUTE_PGM_RSRC2:TGID_X_EN: 1
; COMPUTE_PGM_RSRC2:TGID_Y_EN: 0
; COMPUTE_PGM_RSRC2:TGID_Z_EN: 0
; COMPUTE_PGM_RSRC2:TIDIG_COMP_CNT: 0
	.section	.text._ZN2at6native29vectorized_elementwise_kernelILi8EZZZNS0_17rsqrt_kernel_cudaERNS_18TensorIteratorBaseEENKUlvE0_clEvENKUlvE1_clEvEUlN3c108BFloat16EE_St5arrayIPcLm2EEEEviT0_T1_,"axG",@progbits,_ZN2at6native29vectorized_elementwise_kernelILi8EZZZNS0_17rsqrt_kernel_cudaERNS_18TensorIteratorBaseEENKUlvE0_clEvENKUlvE1_clEvEUlN3c108BFloat16EE_St5arrayIPcLm2EEEEviT0_T1_,comdat
	.globl	_ZN2at6native29vectorized_elementwise_kernelILi8EZZZNS0_17rsqrt_kernel_cudaERNS_18TensorIteratorBaseEENKUlvE0_clEvENKUlvE1_clEvEUlN3c108BFloat16EE_St5arrayIPcLm2EEEEviT0_T1_ ; -- Begin function _ZN2at6native29vectorized_elementwise_kernelILi8EZZZNS0_17rsqrt_kernel_cudaERNS_18TensorIteratorBaseEENKUlvE0_clEvENKUlvE1_clEvEUlN3c108BFloat16EE_St5arrayIPcLm2EEEEviT0_T1_
	.p2align	8
	.type	_ZN2at6native29vectorized_elementwise_kernelILi8EZZZNS0_17rsqrt_kernel_cudaERNS_18TensorIteratorBaseEENKUlvE0_clEvENKUlvE1_clEvEUlN3c108BFloat16EE_St5arrayIPcLm2EEEEviT0_T1_,@function
_ZN2at6native29vectorized_elementwise_kernelILi8EZZZNS0_17rsqrt_kernel_cudaERNS_18TensorIteratorBaseEENKUlvE0_clEvENKUlvE1_clEvEUlN3c108BFloat16EE_St5arrayIPcLm2EEEEviT0_T1_: ; @_ZN2at6native29vectorized_elementwise_kernelILi8EZZZNS0_17rsqrt_kernel_cudaERNS_18TensorIteratorBaseEENKUlvE0_clEvENKUlvE1_clEvEUlN3c108BFloat16EE_St5arrayIPcLm2EEEEviT0_T1_
; %bb.0:
	s_clause 0x1
	s_load_b32 s2, s[0:1], 0x0
	s_load_b128 s[8:11], s[0:1], 0x8
	s_lshl_b32 s12, s15, 11
	s_mov_b32 s0, -1
	s_waitcnt lgkmcnt(0)
	s_sub_i32 s7, s2, s12
	s_delay_alu instid0(SALU_CYCLE_1)
	s_cmpk_gt_i32 s7, 0x7ff
	s_cbranch_scc0 .LBB203_2
; %bb.1:
	s_ashr_i32 s13, s12, 31
	v_lshlrev_b32_e32 v49, 4, v0
	s_lshl_b64 s[14:15], s[12:13], 1
	s_delay_alu instid0(SALU_CYCLE_1)
	s_add_u32 s0, s10, s14
	s_addc_u32 s1, s11, s15
	global_load_b128 v[1:4], v49, s[0:1]
	s_waitcnt vmcnt(0)
	v_and_b32_e32 v5, 0xffff0000, v1
	v_lshlrev_b32_e32 v1, 16, v1
	v_and_b32_e32 v7, 0xffff0000, v2
	v_lshlrev_b32_e32 v15, 16, v4
	v_lshlrev_b32_e32 v9, 16, v2
	v_cvt_f64_f32_e32 v[5:6], v5
	v_cvt_f64_f32_e32 v[1:2], v1
	;; [unrolled: 1-line block ×4, first 2 shown]
	v_and_b32_e32 v11, 0xffff0000, v3
	v_cvt_f64_f32_e32 v[9:10], v9
	v_and_b32_e32 v13, 0xffff0000, v4
	s_delay_alu instid0(VALU_DEP_3) | instskip(NEXT) | instid1(VALU_DEP_2)
	v_cvt_f64_f32_e32 v[11:12], v11
	v_cvt_f64_f32_e32 v[13:14], v13
	v_rsq_f64_e32 v[17:18], v[5:6]
	v_rsq_f64_e32 v[19:20], v[1:2]
	;; [unrolled: 1-line block ×4, first 2 shown]
	s_delay_alu instid0(VALU_DEP_4) | instskip(NEXT) | instid1(VALU_DEP_2)
	v_rsq_f64_e32 v[23:24], v[9:10]
	v_rsq_f64_e32 v[25:26], v[11:12]
	s_delay_alu instid0(VALU_DEP_1)
	v_rsq_f64_e32 v[29:30], v[13:14]
	v_mul_f64 v[5:6], v[17:18], -v[5:6]
	v_mul_f64 v[1:2], v[19:20], -v[1:2]
	;; [unrolled: 1-line block ×4, first 2 shown]
	v_cmp_class_f64_e64 s0, v[19:20], 0x180
	v_cmp_class_f64_e64 s1, v[21:22], 0x180
	;; [unrolled: 1-line block ×3, first 2 shown]
	s_delay_alu instid0(TRANS32_DEP_3) | instskip(SKIP_1) | instid1(TRANS32_DEP_2)
	v_mul_f64 v[9:10], v[23:24], -v[9:10]
	v_cmp_class_f64_e64 vcc_lo, v[17:18], 0x180
	v_mul_f64 v[11:12], v[25:26], -v[11:12]
	v_cmp_class_f64_e64 s2, v[23:24], 0x180
	s_delay_alu instid0(TRANS32_DEP_1)
	v_mul_f64 v[13:14], v[29:30], -v[13:14]
	v_cmp_class_f64_e64 s3, v[25:26], 0x180
	v_cmp_class_f64_e64 s5, v[29:30], 0x180
	v_fma_f64 v[5:6], v[5:6], v[17:18], 1.0
	v_fma_f64 v[1:2], v[1:2], v[19:20], 1.0
	;; [unrolled: 1-line block ×7, first 2 shown]
	v_mul_f64 v[33:34], v[17:18], v[5:6]
	v_mul_f64 v[35:36], v[19:20], v[1:2]
	v_fma_f64 v[1:2], 0x3fd80000, v[1:2], 0.5
	v_mul_f64 v[37:38], v[21:22], v[7:8]
	v_fma_f64 v[7:8], 0x3fd80000, v[7:8], 0.5
	;; [unrolled: 2-line block ×3, first 2 shown]
	v_fma_f64 v[5:6], 0x3fd80000, v[5:6], 0.5
	v_mul_f64 v[39:40], v[23:24], v[9:10]
	v_fma_f64 v[9:10], 0x3fd80000, v[9:10], 0.5
	v_mul_f64 v[41:42], v[25:26], v[11:12]
	v_fma_f64 v[11:12], 0x3fd80000, v[11:12], 0.5
	v_mul_f64 v[45:46], v[29:30], v[13:14]
	v_fma_f64 v[13:14], 0x3fd80000, v[13:14], 0.5
	v_fma_f64 v[1:2], v[35:36], v[1:2], v[19:20]
	v_fma_f64 v[7:8], v[37:38], v[7:8], v[21:22]
	;; [unrolled: 1-line block ×7, first 2 shown]
	v_cndmask_b32_e64 v2, v20, v2, s0
	v_cndmask_b32_e64 v1, v19, v1, s0
	;; [unrolled: 1-line block ×6, first 2 shown]
	v_cvt_f32_f64_e32 v1, v[1:2]
	v_cndmask_b32_e32 v6, v18, v6, vcc_lo
	v_cvt_f32_f64_e32 v2, v[7:8]
	v_cndmask_b32_e32 v5, v17, v5, vcc_lo
	v_cvt_f32_f64_e32 v8, v[15:16]
	v_cndmask_b32_e64 v10, v24, v10, s2
	v_cndmask_b32_e64 v9, v23, v9, s2
	v_cndmask_b32_e64 v12, v26, v12, s3
	v_cvt_f32_f64_e32 v5, v[5:6]
	v_cndmask_b32_e64 v11, v25, v11, s3
	v_cndmask_b32_e64 v14, v30, v14, s5
	v_cvt_f32_f64_e32 v6, v[9:10]
	v_cndmask_b32_e64 v13, v29, v13, s5
	s_add_u32 s2, s8, s14
	v_cvt_f32_f64_e32 v7, v[11:12]
	s_addc_u32 s3, s9, s15
	s_mov_b32 s0, 0
	v_bfe_u32 v10, v1, 16, 1
	v_bfe_u32 v11, v2, 16, 1
	;; [unrolled: 1-line block ×3, first 2 shown]
	s_delay_alu instid0(VALU_DEP_3) | instskip(NEXT) | instid1(VALU_DEP_3)
	v_add3_u32 v10, v1, v10, 0x7fff
	v_add3_u32 v11, v2, v11, 0x7fff
	v_bfe_u32 v9, v5, 16, 1
	s_delay_alu instid0(VALU_DEP_4)
	v_add3_u32 v16, v8, v16, 0x7fff
	v_cmp_o_f32_e32 vcc_lo, v5, v5
	v_bfe_u32 v12, v6, 16, 1
	v_lshrrev_b32_e32 v11, 16, v11
	v_add3_u32 v9, v5, v9, 0x7fff
	v_lshrrev_b32_e32 v16, 16, v16
	v_lshlrev_b32_e32 v3, 16, v3
	v_add3_u32 v12, v6, v12, 0x7fff
	v_lshrrev_b32_e32 v10, 16, v10
	v_lshrrev_b32_e32 v9, 16, v9
	s_delay_alu instid0(VALU_DEP_4) | instskip(NEXT) | instid1(VALU_DEP_4)
	v_cvt_f64_f32_e32 v[3:4], v3
	v_lshrrev_b32_e32 v12, 16, v12
	s_delay_alu instid0(VALU_DEP_3)
	v_cndmask_b32_e32 v5, 0x7fc0, v9, vcc_lo
	v_cmp_o_f32_e32 vcc_lo, v2, v2
	v_cndmask_b32_e32 v2, 0x7fc0, v11, vcc_lo
	v_cmp_o_f32_e32 vcc_lo, v6, v6
	v_cndmask_b32_e32 v6, 0x7fc0, v12, vcc_lo
	v_cmp_o_f32_e32 vcc_lo, v7, v7
	s_delay_alu instid0(VALU_DEP_2) | instskip(SKIP_4) | instid1(VALU_DEP_2)
	v_perm_b32 v2, v2, v6, 0x5040100
	v_rsq_f64_e32 v[27:28], v[3:4]
	s_waitcnt_depctr 0xfff
	v_mul_f64 v[3:4], v[27:28], -v[3:4]
	v_cmp_class_f64_e64 s4, v[27:28], 0x180
	v_fma_f64 v[3:4], v[3:4], v[27:28], 1.0
	s_delay_alu instid0(VALU_DEP_1) | instskip(SKIP_1) | instid1(VALU_DEP_1)
	v_mul_f64 v[43:44], v[27:28], v[3:4]
	v_fma_f64 v[3:4], 0x3fd80000, v[3:4], 0.5
	v_fma_f64 v[3:4], v[43:44], v[3:4], v[27:28]
	s_delay_alu instid0(VALU_DEP_1) | instskip(NEXT) | instid1(VALU_DEP_2)
	v_cndmask_b32_e64 v4, v28, v4, s4
	v_cndmask_b32_e64 v3, v27, v3, s4
	s_delay_alu instid0(VALU_DEP_1) | instskip(SKIP_2) | instid1(VALU_DEP_1)
	v_cvt_f32_f64_e32 v3, v[3:4]
	v_cvt_f32_f64_e32 v4, v[13:14]
	v_bfe_u32 v13, v7, 16, 1
	v_add3_u32 v13, v7, v13, 0x7fff
	s_delay_alu instid0(VALU_DEP_1) | instskip(NEXT) | instid1(VALU_DEP_1)
	v_lshrrev_b32_e32 v13, 16, v13
	v_cndmask_b32_e32 v7, 0x7fc0, v13, vcc_lo
	v_bfe_u32 v14, v3, 16, 1
	v_bfe_u32 v15, v4, 16, 1
	v_cmp_o_f32_e32 vcc_lo, v4, v4
	s_delay_alu instid0(VALU_DEP_3) | instskip(NEXT) | instid1(VALU_DEP_3)
	v_add3_u32 v14, v3, v14, 0x7fff
	v_add3_u32 v15, v4, v15, 0x7fff
	s_delay_alu instid0(VALU_DEP_2) | instskip(NEXT) | instid1(VALU_DEP_2)
	v_lshrrev_b32_e32 v14, 16, v14
	v_lshrrev_b32_e32 v15, 16, v15
	s_delay_alu instid0(VALU_DEP_1) | instskip(SKIP_3) | instid1(VALU_DEP_2)
	v_cndmask_b32_e32 v4, 0x7fc0, v15, vcc_lo
	v_cmp_o_f32_e32 vcc_lo, v8, v8
	v_cndmask_b32_e32 v8, 0x7fc0, v16, vcc_lo
	v_cmp_o_f32_e32 vcc_lo, v3, v3
	v_perm_b32 v4, v4, v8, 0x5040100
	v_cndmask_b32_e32 v3, 0x7fc0, v14, vcc_lo
	v_cmp_o_f32_e32 vcc_lo, v1, v1
	s_delay_alu instid0(VALU_DEP_2) | instskip(SKIP_1) | instid1(VALU_DEP_1)
	v_perm_b32 v3, v7, v3, 0x5040100
	v_cndmask_b32_e32 v1, 0x7fc0, v10, vcc_lo
	v_perm_b32 v1, v5, v1, 0x5040100
	global_store_b128 v49, v[1:4], s[2:3]
.LBB203_2:
	s_and_not1_b32 vcc_lo, exec_lo, s0
	s_cbranch_vccnz .LBB203_41
; %bb.3:
	v_cmp_gt_i32_e32 vcc_lo, s7, v0
	v_dual_mov_b32 v7, 0 :: v_dual_mov_b32 v8, 0
	v_or_b32_e32 v1, s12, v0
	v_or_b32_e32 v3, 0x100, v0
	v_mov_b32_e32 v5, v0
	s_and_saveexec_b32 s1, vcc_lo
	s_cbranch_execz .LBB203_5
; %bb.4:
	v_mov_b32_e32 v2, 0
	s_delay_alu instid0(VALU_DEP_1) | instskip(NEXT) | instid1(VALU_DEP_1)
	v_lshlrev_b64 v[4:5], 1, v[1:2]
	v_add_co_u32 v4, s0, s10, v4
	s_delay_alu instid0(VALU_DEP_1)
	v_add_co_ci_u32_e64 v5, s0, s11, v5, s0
	global_load_u16 v8, v[4:5], off
	v_or_b32_e32 v5, 0x100, v0
.LBB203_5:
	s_or_b32 exec_lo, exec_lo, s1
	s_delay_alu instid0(SALU_CYCLE_1) | instskip(NEXT) | instid1(VALU_DEP_1)
	s_mov_b32 s1, exec_lo
	v_cmpx_gt_i32_e64 s7, v5
	s_cbranch_execz .LBB203_7
; %bb.6:
	v_dual_mov_b32 v7, 0 :: v_dual_add_nc_u32 v6, s12, v5
	v_add_nc_u32_e32 v5, 0x100, v5
	s_delay_alu instid0(VALU_DEP_2) | instskip(NEXT) | instid1(VALU_DEP_1)
	v_lshlrev_b64 v[6:7], 1, v[6:7]
	v_add_co_u32 v6, s0, s10, v6
	s_delay_alu instid0(VALU_DEP_1)
	v_add_co_ci_u32_e64 v7, s0, s11, v7, s0
	global_load_u16 v7, v[6:7], off
.LBB203_7:
	s_or_b32 exec_lo, exec_lo, s1
	v_dual_mov_b32 v6, 0 :: v_dual_mov_b32 v11, 0
	s_mov_b32 s1, exec_lo
	v_cmpx_gt_i32_e64 s7, v5
	s_cbranch_execz .LBB203_9
; %bb.8:
	v_dual_mov_b32 v10, 0 :: v_dual_add_nc_u32 v9, s12, v5
	v_add_nc_u32_e32 v5, 0x100, v5
	s_delay_alu instid0(VALU_DEP_2) | instskip(NEXT) | instid1(VALU_DEP_1)
	v_lshlrev_b64 v[9:10], 1, v[9:10]
	v_add_co_u32 v9, s0, s10, v9
	s_delay_alu instid0(VALU_DEP_1)
	v_add_co_ci_u32_e64 v10, s0, s11, v10, s0
	global_load_u16 v11, v[9:10], off
.LBB203_9:
	s_or_b32 exec_lo, exec_lo, s1
	s_delay_alu instid0(SALU_CYCLE_1)
	s_mov_b32 s1, exec_lo
	v_cmpx_gt_i32_e64 s7, v5
	s_cbranch_execz .LBB203_11
; %bb.10:
	v_dual_mov_b32 v10, 0 :: v_dual_add_nc_u32 v9, s12, v5
	v_add_nc_u32_e32 v5, 0x100, v5
	s_delay_alu instid0(VALU_DEP_2) | instskip(NEXT) | instid1(VALU_DEP_1)
	v_lshlrev_b64 v[9:10], 1, v[9:10]
	v_add_co_u32 v9, s0, s10, v9
	s_delay_alu instid0(VALU_DEP_1)
	v_add_co_ci_u32_e64 v10, s0, s11, v10, s0
	global_load_u16 v6, v[9:10], off
.LBB203_11:
	s_or_b32 exec_lo, exec_lo, s1
	v_mov_b32_e32 v4, 0
	v_mov_b32_e32 v10, 0
	s_mov_b32 s1, exec_lo
	v_cmpx_gt_i32_e64 s7, v5
	s_cbranch_execz .LBB203_13
; %bb.12:
	v_dual_mov_b32 v10, 0 :: v_dual_add_nc_u32 v9, s12, v5
	v_add_nc_u32_e32 v5, 0x100, v5
	s_delay_alu instid0(VALU_DEP_2) | instskip(NEXT) | instid1(VALU_DEP_1)
	v_lshlrev_b64 v[9:10], 1, v[9:10]
	v_add_co_u32 v9, s0, s10, v9
	s_delay_alu instid0(VALU_DEP_1)
	v_add_co_ci_u32_e64 v10, s0, s11, v10, s0
	global_load_u16 v10, v[9:10], off
.LBB203_13:
	s_or_b32 exec_lo, exec_lo, s1
	s_delay_alu instid0(SALU_CYCLE_1)
	s_mov_b32 s1, exec_lo
	v_cmpx_gt_i32_e64 s7, v5
	s_cbranch_execz .LBB203_15
; %bb.14:
	v_dual_mov_b32 v13, 0 :: v_dual_add_nc_u32 v12, s12, v5
	v_add_nc_u32_e32 v5, 0x100, v5
	s_delay_alu instid0(VALU_DEP_2) | instskip(NEXT) | instid1(VALU_DEP_1)
	v_lshlrev_b64 v[12:13], 1, v[12:13]
	v_add_co_u32 v12, s0, s10, v12
	s_delay_alu instid0(VALU_DEP_1)
	v_add_co_ci_u32_e64 v13, s0, s11, v13, s0
	global_load_u16 v4, v[12:13], off
.LBB203_15:
	s_or_b32 exec_lo, exec_lo, s1
	v_dual_mov_b32 v2, 0 :: v_dual_mov_b32 v9, 0
	s_mov_b32 s1, exec_lo
	v_cmpx_gt_i32_e64 s7, v5
	s_cbranch_execz .LBB203_42
; %bb.16:
	v_dual_mov_b32 v13, 0 :: v_dual_add_nc_u32 v12, s12, v5
	v_add_nc_u32_e32 v5, 0x100, v5
	s_delay_alu instid0(VALU_DEP_2) | instskip(NEXT) | instid1(VALU_DEP_1)
	v_lshlrev_b64 v[12:13], 1, v[12:13]
	v_add_co_u32 v12, s0, s10, v12
	s_delay_alu instid0(VALU_DEP_1) | instskip(SKIP_2) | instid1(SALU_CYCLE_1)
	v_add_co_ci_u32_e64 v13, s0, s11, v13, s0
	global_load_u16 v9, v[12:13], off
	s_or_b32 exec_lo, exec_lo, s1
	s_mov_b32 s1, exec_lo
	v_cmpx_gt_i32_e64 s7, v5
	s_cbranch_execnz .LBB203_43
.LBB203_17:
	s_or_b32 exec_lo, exec_lo, s1
                                        ; implicit-def: $vgpr5
	s_and_saveexec_b32 s1, vcc_lo
	s_cbranch_execz .LBB203_19
.LBB203_18:
	s_waitcnt vmcnt(0)
	v_lshlrev_b32_e32 v5, 16, v8
	s_delay_alu instid0(VALU_DEP_1) | instskip(NEXT) | instid1(VALU_DEP_1)
	v_cvt_f64_f32_e32 v[12:13], v5
	v_rsq_f64_e32 v[14:15], v[12:13]
	s_waitcnt_depctr 0xfff
	v_mul_f64 v[12:13], v[14:15], -v[12:13]
	v_cmp_class_f64_e64 s0, v[14:15], 0x180
	s_delay_alu instid0(VALU_DEP_2) | instskip(NEXT) | instid1(VALU_DEP_1)
	v_fma_f64 v[12:13], v[12:13], v[14:15], 1.0
	v_mul_f64 v[16:17], v[14:15], v[12:13]
	v_fma_f64 v[12:13], 0x3fd80000, v[12:13], 0.5
	s_delay_alu instid0(VALU_DEP_1) | instskip(NEXT) | instid1(VALU_DEP_1)
	v_fma_f64 v[12:13], v[16:17], v[12:13], v[14:15]
	v_cndmask_b32_e64 v13, v15, v13, s0
	s_delay_alu instid0(VALU_DEP_2) | instskip(NEXT) | instid1(VALU_DEP_1)
	v_cndmask_b32_e64 v12, v14, v12, s0
	v_cvt_f32_f64_e32 v5, v[12:13]
	s_delay_alu instid0(VALU_DEP_1) | instskip(SKIP_1) | instid1(VALU_DEP_2)
	v_bfe_u32 v8, v5, 16, 1
	v_cmp_o_f32_e64 s0, v5, v5
	v_add3_u32 v8, v5, v8, 0x7fff
	s_delay_alu instid0(VALU_DEP_1) | instskip(NEXT) | instid1(VALU_DEP_1)
	v_lshrrev_b32_e32 v8, 16, v8
	v_cndmask_b32_e64 v5, 0x7fc0, v8, s0
.LBB203_19:
	s_or_b32 exec_lo, exec_lo, s1
	s_delay_alu instid0(SALU_CYCLE_1)
	s_mov_b32 s1, exec_lo
                                        ; implicit-def: $vgpr8
	v_cmpx_gt_i32_e64 s7, v3
	s_cbranch_execz .LBB203_21
; %bb.20:
	s_waitcnt vmcnt(0)
	v_lshlrev_b32_e32 v7, 16, v7
	s_delay_alu instid0(VALU_DEP_1) | instskip(NEXT) | instid1(VALU_DEP_1)
	v_cvt_f64_f32_e32 v[7:8], v7
	v_rsq_f64_e32 v[12:13], v[7:8]
	s_waitcnt_depctr 0xfff
	v_mul_f64 v[7:8], v[12:13], -v[7:8]
	v_cmp_class_f64_e64 s0, v[12:13], 0x180
	s_delay_alu instid0(VALU_DEP_2) | instskip(NEXT) | instid1(VALU_DEP_1)
	v_fma_f64 v[7:8], v[7:8], v[12:13], 1.0
	v_mul_f64 v[14:15], v[12:13], v[7:8]
	v_fma_f64 v[7:8], 0x3fd80000, v[7:8], 0.5
	s_delay_alu instid0(VALU_DEP_1) | instskip(NEXT) | instid1(VALU_DEP_1)
	v_fma_f64 v[7:8], v[14:15], v[7:8], v[12:13]
	v_cndmask_b32_e64 v8, v13, v8, s0
	s_delay_alu instid0(VALU_DEP_2) | instskip(NEXT) | instid1(VALU_DEP_1)
	v_cndmask_b32_e64 v7, v12, v7, s0
	v_cvt_f32_f64_e32 v7, v[7:8]
	s_delay_alu instid0(VALU_DEP_1) | instskip(SKIP_1) | instid1(VALU_DEP_2)
	v_bfe_u32 v8, v7, 16, 1
	v_cmp_o_f32_e64 s0, v7, v7
	v_add3_u32 v8, v7, v8, 0x7fff
	s_delay_alu instid0(VALU_DEP_1) | instskip(NEXT) | instid1(VALU_DEP_1)
	v_lshrrev_b32_e32 v8, 16, v8
	v_cndmask_b32_e64 v8, 0x7fc0, v8, s0
.LBB203_21:
	s_or_b32 exec_lo, exec_lo, s1
	s_waitcnt vmcnt(0)
	v_or_b32_e32 v7, 0x200, v0
	s_delay_alu instid0(VALU_DEP_1) | instskip(NEXT) | instid1(VALU_DEP_1)
	v_cmp_gt_i32_e64 s0, s7, v7
                                        ; implicit-def: $vgpr7
	s_and_saveexec_b32 s1, s0
	s_cbranch_execz .LBB203_23
; %bb.22:
	v_lshlrev_b32_e32 v7, 16, v11
	s_delay_alu instid0(VALU_DEP_1) | instskip(NEXT) | instid1(VALU_DEP_1)
	v_cvt_f64_f32_e32 v[11:12], v7
	v_rsq_f64_e32 v[13:14], v[11:12]
	s_waitcnt_depctr 0xfff
	v_mul_f64 v[11:12], v[13:14], -v[11:12]
	v_cmp_class_f64_e64 s0, v[13:14], 0x180
	s_delay_alu instid0(VALU_DEP_2) | instskip(NEXT) | instid1(VALU_DEP_1)
	v_fma_f64 v[11:12], v[11:12], v[13:14], 1.0
	v_mul_f64 v[15:16], v[13:14], v[11:12]
	v_fma_f64 v[11:12], 0x3fd80000, v[11:12], 0.5
	s_delay_alu instid0(VALU_DEP_1) | instskip(NEXT) | instid1(VALU_DEP_1)
	v_fma_f64 v[11:12], v[15:16], v[11:12], v[13:14]
	v_cndmask_b32_e64 v12, v14, v12, s0
	s_delay_alu instid0(VALU_DEP_2) | instskip(NEXT) | instid1(VALU_DEP_1)
	v_cndmask_b32_e64 v11, v13, v11, s0
	v_cvt_f32_f64_e32 v7, v[11:12]
	s_delay_alu instid0(VALU_DEP_1) | instskip(SKIP_1) | instid1(VALU_DEP_2)
	v_bfe_u32 v11, v7, 16, 1
	v_cmp_o_f32_e64 s0, v7, v7
	v_add3_u32 v11, v7, v11, 0x7fff
	s_delay_alu instid0(VALU_DEP_1) | instskip(NEXT) | instid1(VALU_DEP_1)
	v_lshrrev_b32_e32 v11, 16, v11
	v_cndmask_b32_e64 v7, 0x7fc0, v11, s0
.LBB203_23:
	s_or_b32 exec_lo, exec_lo, s1
	v_or_b32_e32 v11, 0x300, v0
	s_delay_alu instid0(VALU_DEP_1) | instskip(NEXT) | instid1(VALU_DEP_1)
	v_cmp_gt_i32_e64 s0, s7, v11
                                        ; implicit-def: $vgpr11
	s_and_saveexec_b32 s1, s0
	s_cbranch_execz .LBB203_25
; %bb.24:
	v_lshlrev_b32_e32 v6, 16, v6
	s_delay_alu instid0(VALU_DEP_1) | instskip(NEXT) | instid1(VALU_DEP_1)
	v_cvt_f64_f32_e32 v[11:12], v6
	v_rsq_f64_e32 v[13:14], v[11:12]
	s_waitcnt_depctr 0xfff
	v_mul_f64 v[11:12], v[13:14], -v[11:12]
	v_cmp_class_f64_e64 s0, v[13:14], 0x180
	s_delay_alu instid0(VALU_DEP_2) | instskip(NEXT) | instid1(VALU_DEP_1)
	v_fma_f64 v[11:12], v[11:12], v[13:14], 1.0
	v_mul_f64 v[15:16], v[13:14], v[11:12]
	v_fma_f64 v[11:12], 0x3fd80000, v[11:12], 0.5
	s_delay_alu instid0(VALU_DEP_1) | instskip(NEXT) | instid1(VALU_DEP_1)
	v_fma_f64 v[11:12], v[15:16], v[11:12], v[13:14]
	v_cndmask_b32_e64 v12, v14, v12, s0
	s_delay_alu instid0(VALU_DEP_2) | instskip(NEXT) | instid1(VALU_DEP_1)
	v_cndmask_b32_e64 v11, v13, v11, s0
	v_cvt_f32_f64_e32 v6, v[11:12]
	s_delay_alu instid0(VALU_DEP_1) | instskip(SKIP_1) | instid1(VALU_DEP_2)
	v_bfe_u32 v11, v6, 16, 1
	v_cmp_o_f32_e64 s0, v6, v6
	v_add3_u32 v11, v6, v11, 0x7fff
	s_delay_alu instid0(VALU_DEP_1) | instskip(NEXT) | instid1(VALU_DEP_1)
	v_lshrrev_b32_e32 v11, 16, v11
	v_cndmask_b32_e64 v11, 0x7fc0, v11, s0
.LBB203_25:
	s_or_b32 exec_lo, exec_lo, s1
	v_or_b32_e32 v6, 0x400, v0
	s_delay_alu instid0(VALU_DEP_1) | instskip(NEXT) | instid1(VALU_DEP_1)
	v_cmp_gt_i32_e64 s0, s7, v6
                                        ; implicit-def: $vgpr6
	s_and_saveexec_b32 s1, s0
	s_cbranch_execz .LBB203_27
; %bb.26:
	v_lshlrev_b32_e32 v6, 16, v10
	s_delay_alu instid0(VALU_DEP_1) | instskip(NEXT) | instid1(VALU_DEP_1)
	v_cvt_f64_f32_e32 v[12:13], v6
	v_rsq_f64_e32 v[14:15], v[12:13]
	s_waitcnt_depctr 0xfff
	v_mul_f64 v[12:13], v[14:15], -v[12:13]
	v_cmp_class_f64_e64 s0, v[14:15], 0x180
	s_delay_alu instid0(VALU_DEP_2) | instskip(NEXT) | instid1(VALU_DEP_1)
	v_fma_f64 v[12:13], v[12:13], v[14:15], 1.0
	v_mul_f64 v[16:17], v[14:15], v[12:13]
	v_fma_f64 v[12:13], 0x3fd80000, v[12:13], 0.5
	s_delay_alu instid0(VALU_DEP_1) | instskip(NEXT) | instid1(VALU_DEP_1)
	v_fma_f64 v[12:13], v[16:17], v[12:13], v[14:15]
	v_cndmask_b32_e64 v13, v15, v13, s0
	s_delay_alu instid0(VALU_DEP_2) | instskip(NEXT) | instid1(VALU_DEP_1)
	v_cndmask_b32_e64 v12, v14, v12, s0
	v_cvt_f32_f64_e32 v6, v[12:13]
	s_delay_alu instid0(VALU_DEP_1) | instskip(SKIP_1) | instid1(VALU_DEP_2)
	v_bfe_u32 v10, v6, 16, 1
	v_cmp_o_f32_e64 s0, v6, v6
	v_add3_u32 v10, v6, v10, 0x7fff
	s_delay_alu instid0(VALU_DEP_1) | instskip(NEXT) | instid1(VALU_DEP_1)
	v_lshrrev_b32_e32 v10, 16, v10
	v_cndmask_b32_e64 v6, 0x7fc0, v10, s0
.LBB203_27:
	s_or_b32 exec_lo, exec_lo, s1
	v_or_b32_e32 v10, 0x500, v0
	s_delay_alu instid0(VALU_DEP_1) | instskip(NEXT) | instid1(VALU_DEP_1)
	v_cmp_gt_i32_e64 s0, s7, v10
                                        ; implicit-def: $vgpr10
	s_and_saveexec_b32 s1, s0
	s_cbranch_execz .LBB203_29
; %bb.28:
	v_lshlrev_b32_e32 v4, 16, v4
	s_delay_alu instid0(VALU_DEP_1) | instskip(NEXT) | instid1(VALU_DEP_1)
	v_cvt_f64_f32_e32 v[12:13], v4
	v_rsq_f64_e32 v[14:15], v[12:13]
	s_waitcnt_depctr 0xfff
	v_mul_f64 v[12:13], v[14:15], -v[12:13]
	v_cmp_class_f64_e64 s0, v[14:15], 0x180
	s_delay_alu instid0(VALU_DEP_2) | instskip(NEXT) | instid1(VALU_DEP_1)
	v_fma_f64 v[12:13], v[12:13], v[14:15], 1.0
	v_mul_f64 v[16:17], v[14:15], v[12:13]
	v_fma_f64 v[12:13], 0x3fd80000, v[12:13], 0.5
	s_delay_alu instid0(VALU_DEP_1) | instskip(NEXT) | instid1(VALU_DEP_1)
	v_fma_f64 v[12:13], v[16:17], v[12:13], v[14:15]
	v_cndmask_b32_e64 v13, v15, v13, s0
	s_delay_alu instid0(VALU_DEP_2) | instskip(NEXT) | instid1(VALU_DEP_1)
	v_cndmask_b32_e64 v12, v14, v12, s0
	v_cvt_f32_f64_e32 v4, v[12:13]
	s_delay_alu instid0(VALU_DEP_1) | instskip(SKIP_1) | instid1(VALU_DEP_2)
	v_bfe_u32 v10, v4, 16, 1
	v_cmp_o_f32_e64 s0, v4, v4
	v_add3_u32 v10, v4, v10, 0x7fff
	s_delay_alu instid0(VALU_DEP_1) | instskip(NEXT) | instid1(VALU_DEP_1)
	v_lshrrev_b32_e32 v10, 16, v10
	v_cndmask_b32_e64 v10, 0x7fc0, v10, s0
.LBB203_29:
	s_or_b32 exec_lo, exec_lo, s1
	v_or_b32_e32 v4, 0x600, v0
	s_delay_alu instid0(VALU_DEP_1) | instskip(NEXT) | instid1(VALU_DEP_1)
	v_cmp_gt_i32_e64 s0, s7, v4
                                        ; implicit-def: $vgpr4
	s_and_saveexec_b32 s1, s0
	s_cbranch_execz .LBB203_31
; %bb.30:
	v_lshlrev_b32_e32 v4, 16, v9
	s_delay_alu instid0(VALU_DEP_1) | instskip(NEXT) | instid1(VALU_DEP_1)
	v_cvt_f64_f32_e32 v[12:13], v4
	v_rsq_f64_e32 v[14:15], v[12:13]
	s_waitcnt_depctr 0xfff
	v_mul_f64 v[12:13], v[14:15], -v[12:13]
	v_cmp_class_f64_e64 s0, v[14:15], 0x180
	s_delay_alu instid0(VALU_DEP_2) | instskip(NEXT) | instid1(VALU_DEP_1)
	v_fma_f64 v[12:13], v[12:13], v[14:15], 1.0
	v_mul_f64 v[16:17], v[14:15], v[12:13]
	v_fma_f64 v[12:13], 0x3fd80000, v[12:13], 0.5
	s_delay_alu instid0(VALU_DEP_1) | instskip(NEXT) | instid1(VALU_DEP_1)
	v_fma_f64 v[12:13], v[16:17], v[12:13], v[14:15]
	v_cndmask_b32_e64 v13, v15, v13, s0
	s_delay_alu instid0(VALU_DEP_2) | instskip(NEXT) | instid1(VALU_DEP_1)
	v_cndmask_b32_e64 v12, v14, v12, s0
	v_cvt_f32_f64_e32 v4, v[12:13]
	s_delay_alu instid0(VALU_DEP_1) | instskip(SKIP_1) | instid1(VALU_DEP_2)
	v_bfe_u32 v9, v4, 16, 1
	v_cmp_o_f32_e64 s0, v4, v4
	v_add3_u32 v9, v4, v9, 0x7fff
	s_delay_alu instid0(VALU_DEP_1) | instskip(NEXT) | instid1(VALU_DEP_1)
	v_lshrrev_b32_e32 v9, 16, v9
	v_cndmask_b32_e64 v4, 0x7fc0, v9, s0
.LBB203_31:
	s_or_b32 exec_lo, exec_lo, s1
	v_or_b32_e32 v9, 0x700, v0
	s_delay_alu instid0(VALU_DEP_1) | instskip(NEXT) | instid1(VALU_DEP_1)
	v_cmp_gt_i32_e64 s0, s7, v9
                                        ; implicit-def: $vgpr9
	s_and_saveexec_b32 s1, s0
	s_cbranch_execz .LBB203_44
; %bb.32:
	v_lshlrev_b32_e32 v2, 16, v2
	s_delay_alu instid0(VALU_DEP_1) | instskip(NEXT) | instid1(VALU_DEP_1)
	v_cvt_f64_f32_e32 v[12:13], v2
	v_rsq_f64_e32 v[14:15], v[12:13]
	s_waitcnt_depctr 0xfff
	v_mul_f64 v[12:13], v[14:15], -v[12:13]
	v_cmp_class_f64_e64 s0, v[14:15], 0x180
	s_delay_alu instid0(VALU_DEP_2) | instskip(NEXT) | instid1(VALU_DEP_1)
	v_fma_f64 v[12:13], v[12:13], v[14:15], 1.0
	v_mul_f64 v[16:17], v[14:15], v[12:13]
	v_fma_f64 v[12:13], 0x3fd80000, v[12:13], 0.5
	s_delay_alu instid0(VALU_DEP_1) | instskip(NEXT) | instid1(VALU_DEP_1)
	v_fma_f64 v[12:13], v[16:17], v[12:13], v[14:15]
	v_cndmask_b32_e64 v13, v15, v13, s0
	s_delay_alu instid0(VALU_DEP_2) | instskip(NEXT) | instid1(VALU_DEP_1)
	v_cndmask_b32_e64 v12, v14, v12, s0
	v_cvt_f32_f64_e32 v2, v[12:13]
	s_delay_alu instid0(VALU_DEP_1) | instskip(SKIP_1) | instid1(VALU_DEP_2)
	v_bfe_u32 v9, v2, 16, 1
	v_cmp_o_f32_e64 s0, v2, v2
	v_add3_u32 v9, v2, v9, 0x7fff
	s_delay_alu instid0(VALU_DEP_1) | instskip(NEXT) | instid1(VALU_DEP_1)
	v_lshrrev_b32_e32 v9, 16, v9
	v_cndmask_b32_e64 v9, 0x7fc0, v9, s0
	s_or_b32 exec_lo, exec_lo, s1
	s_and_saveexec_b32 s0, vcc_lo
	s_delay_alu instid0(SALU_CYCLE_1)
	s_xor_b32 s0, exec_lo, s0
	s_cbranch_execnz .LBB203_45
.LBB203_33:
	s_or_b32 exec_lo, exec_lo, s0
	s_delay_alu instid0(SALU_CYCLE_1)
	s_mov_b32 s0, exec_lo
	v_cmpx_gt_i32_e64 s7, v0
	s_cbranch_execz .LBB203_46
.LBB203_34:
	v_dual_mov_b32 v2, 0 :: v_dual_add_nc_u32 v1, s12, v0
	v_add_nc_u32_e32 v0, 0x100, v0
	s_delay_alu instid0(VALU_DEP_2) | instskip(NEXT) | instid1(VALU_DEP_1)
	v_lshlrev_b64 v[1:2], 1, v[1:2]
	v_add_co_u32 v1, vcc_lo, s8, v1
	s_delay_alu instid0(VALU_DEP_2) | instskip(SKIP_2) | instid1(SALU_CYCLE_1)
	v_add_co_ci_u32_e32 v2, vcc_lo, s9, v2, vcc_lo
	global_store_b16 v[1:2], v8, off
	s_or_b32 exec_lo, exec_lo, s0
	s_mov_b32 s0, exec_lo
	v_cmpx_gt_i32_e64 s7, v0
	s_cbranch_execnz .LBB203_47
.LBB203_35:
	s_or_b32 exec_lo, exec_lo, s0
	s_delay_alu instid0(SALU_CYCLE_1)
	s_mov_b32 s0, exec_lo
	v_cmpx_gt_i32_e64 s7, v0
	s_cbranch_execz .LBB203_48
.LBB203_36:
	v_dual_mov_b32 v2, 0 :: v_dual_add_nc_u32 v1, s12, v0
	v_add_nc_u32_e32 v0, 0x100, v0
	s_delay_alu instid0(VALU_DEP_2) | instskip(NEXT) | instid1(VALU_DEP_1)
	v_lshlrev_b64 v[1:2], 1, v[1:2]
	v_add_co_u32 v1, vcc_lo, s8, v1
	s_delay_alu instid0(VALU_DEP_2) | instskip(SKIP_2) | instid1(SALU_CYCLE_1)
	v_add_co_ci_u32_e32 v2, vcc_lo, s9, v2, vcc_lo
	global_store_b16 v[1:2], v11, off
	s_or_b32 exec_lo, exec_lo, s0
	s_mov_b32 s0, exec_lo
	v_cmpx_gt_i32_e64 s7, v0
	s_cbranch_execnz .LBB203_49
.LBB203_37:
	s_or_b32 exec_lo, exec_lo, s0
	s_delay_alu instid0(SALU_CYCLE_1)
	s_mov_b32 s0, exec_lo
	v_cmpx_gt_i32_e64 s7, v0
	s_cbranch_execz .LBB203_50
.LBB203_38:
	v_dual_mov_b32 v2, 0 :: v_dual_add_nc_u32 v1, s12, v0
	v_add_nc_u32_e32 v0, 0x100, v0
	s_delay_alu instid0(VALU_DEP_2) | instskip(NEXT) | instid1(VALU_DEP_1)
	v_lshlrev_b64 v[1:2], 1, v[1:2]
	v_add_co_u32 v1, vcc_lo, s8, v1
	s_delay_alu instid0(VALU_DEP_2) | instskip(SKIP_2) | instid1(SALU_CYCLE_1)
	v_add_co_ci_u32_e32 v2, vcc_lo, s9, v2, vcc_lo
	global_store_b16 v[1:2], v10, off
	s_or_b32 exec_lo, exec_lo, s0
	s_mov_b32 s0, exec_lo
	v_cmpx_gt_i32_e64 s7, v0
	s_cbranch_execnz .LBB203_51
.LBB203_39:
	s_or_b32 exec_lo, exec_lo, s0
	s_delay_alu instid0(SALU_CYCLE_1)
	s_mov_b32 s0, exec_lo
	v_cmpx_gt_i32_e64 s7, v0
	s_cbranch_execz .LBB203_41
.LBB203_40:
	v_dual_mov_b32 v1, 0 :: v_dual_add_nc_u32 v0, s12, v0
	s_delay_alu instid0(VALU_DEP_1) | instskip(NEXT) | instid1(VALU_DEP_1)
	v_lshlrev_b64 v[0:1], 1, v[0:1]
	v_add_co_u32 v0, vcc_lo, s8, v0
	s_delay_alu instid0(VALU_DEP_2)
	v_add_co_ci_u32_e32 v1, vcc_lo, s9, v1, vcc_lo
	global_store_b16 v[0:1], v9, off
.LBB203_41:
	s_nop 0
	s_sendmsg sendmsg(MSG_DEALLOC_VGPRS)
	s_endpgm
.LBB203_42:
	s_or_b32 exec_lo, exec_lo, s1
	s_delay_alu instid0(SALU_CYCLE_1)
	s_mov_b32 s1, exec_lo
	v_cmpx_gt_i32_e64 s7, v5
	s_cbranch_execz .LBB203_17
.LBB203_43:
	v_dual_mov_b32 v13, 0 :: v_dual_add_nc_u32 v12, s12, v5
	s_delay_alu instid0(VALU_DEP_1) | instskip(NEXT) | instid1(VALU_DEP_1)
	v_lshlrev_b64 v[12:13], 1, v[12:13]
	v_add_co_u32 v12, s0, s10, v12
	s_delay_alu instid0(VALU_DEP_1)
	v_add_co_ci_u32_e64 v13, s0, s11, v13, s0
	global_load_u16 v2, v[12:13], off
	s_or_b32 exec_lo, exec_lo, s1
                                        ; implicit-def: $vgpr5
	s_and_saveexec_b32 s1, vcc_lo
	s_cbranch_execz .LBB203_19
	s_branch .LBB203_18
.LBB203_44:
	s_or_b32 exec_lo, exec_lo, s1
	s_and_saveexec_b32 s0, vcc_lo
	s_delay_alu instid0(SALU_CYCLE_1)
	s_xor_b32 s0, exec_lo, s0
	s_cbranch_execz .LBB203_33
.LBB203_45:
	v_mov_b32_e32 v2, 0
	s_delay_alu instid0(VALU_DEP_1) | instskip(NEXT) | instid1(VALU_DEP_1)
	v_lshlrev_b64 v[0:1], 1, v[1:2]
	v_add_co_u32 v12, vcc_lo, s8, v0
	s_delay_alu instid0(VALU_DEP_2) | instskip(SKIP_3) | instid1(SALU_CYCLE_1)
	v_add_co_ci_u32_e32 v13, vcc_lo, s9, v1, vcc_lo
	v_mov_b32_e32 v0, v3
	global_store_b16 v[12:13], v5, off
	s_or_b32 exec_lo, exec_lo, s0
	s_mov_b32 s0, exec_lo
	v_cmpx_gt_i32_e64 s7, v0
	s_cbranch_execnz .LBB203_34
.LBB203_46:
	s_or_b32 exec_lo, exec_lo, s0
	s_delay_alu instid0(SALU_CYCLE_1)
	s_mov_b32 s0, exec_lo
	v_cmpx_gt_i32_e64 s7, v0
	s_cbranch_execz .LBB203_35
.LBB203_47:
	v_dual_mov_b32 v2, 0 :: v_dual_add_nc_u32 v1, s12, v0
	v_add_nc_u32_e32 v0, 0x100, v0
	s_delay_alu instid0(VALU_DEP_2) | instskip(NEXT) | instid1(VALU_DEP_1)
	v_lshlrev_b64 v[1:2], 1, v[1:2]
	v_add_co_u32 v1, vcc_lo, s8, v1
	s_delay_alu instid0(VALU_DEP_2) | instskip(SKIP_2) | instid1(SALU_CYCLE_1)
	v_add_co_ci_u32_e32 v2, vcc_lo, s9, v2, vcc_lo
	global_store_b16 v[1:2], v7, off
	s_or_b32 exec_lo, exec_lo, s0
	s_mov_b32 s0, exec_lo
	v_cmpx_gt_i32_e64 s7, v0
	s_cbranch_execnz .LBB203_36
.LBB203_48:
	s_or_b32 exec_lo, exec_lo, s0
	s_delay_alu instid0(SALU_CYCLE_1)
	s_mov_b32 s0, exec_lo
	v_cmpx_gt_i32_e64 s7, v0
	s_cbranch_execz .LBB203_37
.LBB203_49:
	v_dual_mov_b32 v2, 0 :: v_dual_add_nc_u32 v1, s12, v0
	v_add_nc_u32_e32 v0, 0x100, v0
	s_delay_alu instid0(VALU_DEP_2) | instskip(NEXT) | instid1(VALU_DEP_1)
	v_lshlrev_b64 v[1:2], 1, v[1:2]
	v_add_co_u32 v1, vcc_lo, s8, v1
	s_delay_alu instid0(VALU_DEP_2) | instskip(SKIP_2) | instid1(SALU_CYCLE_1)
	v_add_co_ci_u32_e32 v2, vcc_lo, s9, v2, vcc_lo
	global_store_b16 v[1:2], v6, off
	s_or_b32 exec_lo, exec_lo, s0
	s_mov_b32 s0, exec_lo
	v_cmpx_gt_i32_e64 s7, v0
	s_cbranch_execnz .LBB203_38
.LBB203_50:
	s_or_b32 exec_lo, exec_lo, s0
	s_delay_alu instid0(SALU_CYCLE_1)
	s_mov_b32 s0, exec_lo
	v_cmpx_gt_i32_e64 s7, v0
	s_cbranch_execz .LBB203_39
.LBB203_51:
	v_dual_mov_b32 v2, 0 :: v_dual_add_nc_u32 v1, s12, v0
	v_add_nc_u32_e32 v0, 0x100, v0
	s_delay_alu instid0(VALU_DEP_2) | instskip(NEXT) | instid1(VALU_DEP_1)
	v_lshlrev_b64 v[1:2], 1, v[1:2]
	v_add_co_u32 v1, vcc_lo, s8, v1
	s_delay_alu instid0(VALU_DEP_2) | instskip(SKIP_2) | instid1(SALU_CYCLE_1)
	v_add_co_ci_u32_e32 v2, vcc_lo, s9, v2, vcc_lo
	global_store_b16 v[1:2], v4, off
	s_or_b32 exec_lo, exec_lo, s0
	s_mov_b32 s0, exec_lo
	v_cmpx_gt_i32_e64 s7, v0
	s_cbranch_execnz .LBB203_40
	s_branch .LBB203_41
	.section	.rodata,"a",@progbits
	.p2align	6, 0x0
	.amdhsa_kernel _ZN2at6native29vectorized_elementwise_kernelILi8EZZZNS0_17rsqrt_kernel_cudaERNS_18TensorIteratorBaseEENKUlvE0_clEvENKUlvE1_clEvEUlN3c108BFloat16EE_St5arrayIPcLm2EEEEviT0_T1_
		.amdhsa_group_segment_fixed_size 0
		.amdhsa_private_segment_fixed_size 0
		.amdhsa_kernarg_size 24
		.amdhsa_user_sgpr_count 15
		.amdhsa_user_sgpr_dispatch_ptr 0
		.amdhsa_user_sgpr_queue_ptr 0
		.amdhsa_user_sgpr_kernarg_segment_ptr 1
		.amdhsa_user_sgpr_dispatch_id 0
		.amdhsa_user_sgpr_private_segment_size 0
		.amdhsa_wavefront_size32 1
		.amdhsa_uses_dynamic_stack 0
		.amdhsa_enable_private_segment 0
		.amdhsa_system_sgpr_workgroup_id_x 1
		.amdhsa_system_sgpr_workgroup_id_y 0
		.amdhsa_system_sgpr_workgroup_id_z 0
		.amdhsa_system_sgpr_workgroup_info 0
		.amdhsa_system_vgpr_workitem_id 0
		.amdhsa_next_free_vgpr 50
		.amdhsa_next_free_sgpr 16
		.amdhsa_reserve_vcc 1
		.amdhsa_float_round_mode_32 0
		.amdhsa_float_round_mode_16_64 0
		.amdhsa_float_denorm_mode_32 3
		.amdhsa_float_denorm_mode_16_64 3
		.amdhsa_dx10_clamp 1
		.amdhsa_ieee_mode 1
		.amdhsa_fp16_overflow 0
		.amdhsa_workgroup_processor_mode 1
		.amdhsa_memory_ordered 1
		.amdhsa_forward_progress 0
		.amdhsa_shared_vgpr_count 0
		.amdhsa_exception_fp_ieee_invalid_op 0
		.amdhsa_exception_fp_denorm_src 0
		.amdhsa_exception_fp_ieee_div_zero 0
		.amdhsa_exception_fp_ieee_overflow 0
		.amdhsa_exception_fp_ieee_underflow 0
		.amdhsa_exception_fp_ieee_inexact 0
		.amdhsa_exception_int_div_zero 0
	.end_amdhsa_kernel
	.section	.text._ZN2at6native29vectorized_elementwise_kernelILi8EZZZNS0_17rsqrt_kernel_cudaERNS_18TensorIteratorBaseEENKUlvE0_clEvENKUlvE1_clEvEUlN3c108BFloat16EE_St5arrayIPcLm2EEEEviT0_T1_,"axG",@progbits,_ZN2at6native29vectorized_elementwise_kernelILi8EZZZNS0_17rsqrt_kernel_cudaERNS_18TensorIteratorBaseEENKUlvE0_clEvENKUlvE1_clEvEUlN3c108BFloat16EE_St5arrayIPcLm2EEEEviT0_T1_,comdat
.Lfunc_end203:
	.size	_ZN2at6native29vectorized_elementwise_kernelILi8EZZZNS0_17rsqrt_kernel_cudaERNS_18TensorIteratorBaseEENKUlvE0_clEvENKUlvE1_clEvEUlN3c108BFloat16EE_St5arrayIPcLm2EEEEviT0_T1_, .Lfunc_end203-_ZN2at6native29vectorized_elementwise_kernelILi8EZZZNS0_17rsqrt_kernel_cudaERNS_18TensorIteratorBaseEENKUlvE0_clEvENKUlvE1_clEvEUlN3c108BFloat16EE_St5arrayIPcLm2EEEEviT0_T1_
                                        ; -- End function
	.section	.AMDGPU.csdata,"",@progbits
; Kernel info:
; codeLenInByte = 4208
; NumSgprs: 18
; NumVgprs: 50
; ScratchSize: 0
; MemoryBound: 0
; FloatMode: 240
; IeeeMode: 1
; LDSByteSize: 0 bytes/workgroup (compile time only)
; SGPRBlocks: 2
; VGPRBlocks: 6
; NumSGPRsForWavesPerEU: 18
; NumVGPRsForWavesPerEU: 50
; Occupancy: 16
; WaveLimiterHint : 0
; COMPUTE_PGM_RSRC2:SCRATCH_EN: 0
; COMPUTE_PGM_RSRC2:USER_SGPR: 15
; COMPUTE_PGM_RSRC2:TRAP_HANDLER: 0
; COMPUTE_PGM_RSRC2:TGID_X_EN: 1
; COMPUTE_PGM_RSRC2:TGID_Y_EN: 0
; COMPUTE_PGM_RSRC2:TGID_Z_EN: 0
; COMPUTE_PGM_RSRC2:TIDIG_COMP_CNT: 0
	.section	.text._ZN2at6native29vectorized_elementwise_kernelILi4EZZZNS0_17rsqrt_kernel_cudaERNS_18TensorIteratorBaseEENKUlvE0_clEvENKUlvE1_clEvEUlN3c108BFloat16EE_St5arrayIPcLm2EEEEviT0_T1_,"axG",@progbits,_ZN2at6native29vectorized_elementwise_kernelILi4EZZZNS0_17rsqrt_kernel_cudaERNS_18TensorIteratorBaseEENKUlvE0_clEvENKUlvE1_clEvEUlN3c108BFloat16EE_St5arrayIPcLm2EEEEviT0_T1_,comdat
	.globl	_ZN2at6native29vectorized_elementwise_kernelILi4EZZZNS0_17rsqrt_kernel_cudaERNS_18TensorIteratorBaseEENKUlvE0_clEvENKUlvE1_clEvEUlN3c108BFloat16EE_St5arrayIPcLm2EEEEviT0_T1_ ; -- Begin function _ZN2at6native29vectorized_elementwise_kernelILi4EZZZNS0_17rsqrt_kernel_cudaERNS_18TensorIteratorBaseEENKUlvE0_clEvENKUlvE1_clEvEUlN3c108BFloat16EE_St5arrayIPcLm2EEEEviT0_T1_
	.p2align	8
	.type	_ZN2at6native29vectorized_elementwise_kernelILi4EZZZNS0_17rsqrt_kernel_cudaERNS_18TensorIteratorBaseEENKUlvE0_clEvENKUlvE1_clEvEUlN3c108BFloat16EE_St5arrayIPcLm2EEEEviT0_T1_,@function
_ZN2at6native29vectorized_elementwise_kernelILi4EZZZNS0_17rsqrt_kernel_cudaERNS_18TensorIteratorBaseEENKUlvE0_clEvENKUlvE1_clEvEUlN3c108BFloat16EE_St5arrayIPcLm2EEEEviT0_T1_: ; @_ZN2at6native29vectorized_elementwise_kernelILi4EZZZNS0_17rsqrt_kernel_cudaERNS_18TensorIteratorBaseEENKUlvE0_clEvENKUlvE1_clEvEUlN3c108BFloat16EE_St5arrayIPcLm2EEEEviT0_T1_
; %bb.0:
	s_clause 0x1
	s_load_b32 s2, s[0:1], 0x0
	s_load_b128 s[8:11], s[0:1], 0x8
	s_lshl_b32 s12, s15, 11
	s_mov_b32 s0, -1
	s_waitcnt lgkmcnt(0)
	s_sub_i32 s7, s2, s12
	s_delay_alu instid0(SALU_CYCLE_1)
	s_cmpk_gt_i32 s7, 0x7ff
	s_cbranch_scc0 .LBB204_2
; %bb.1:
	s_ashr_i32 s13, s12, 31
	v_lshlrev_b32_e32 v49, 3, v0
	s_lshl_b64 s[14:15], s[12:13], 1
	s_delay_alu instid0(SALU_CYCLE_1)
	s_add_u32 s0, s10, s14
	s_addc_u32 s1, s11, s15
	s_clause 0x1
	global_load_b64 v[1:2], v49, s[0:1]
	global_load_b64 v[3:4], v49, s[0:1] offset:2048
	s_waitcnt vmcnt(1)
	v_lshlrev_b32_e32 v5, 16, v1
	v_and_b32_e32 v1, 0xffff0000, v1
	v_lshlrev_b32_e32 v7, 16, v2
	s_waitcnt vmcnt(0)
	v_and_b32_e32 v15, 0xffff0000, v4
	v_and_b32_e32 v9, 0xffff0000, v2
	v_cvt_f64_f32_e32 v[5:6], v5
	v_cvt_f64_f32_e32 v[1:2], v1
	v_cvt_f64_f32_e32 v[7:8], v7
	v_cvt_f64_f32_e32 v[15:16], v15
	v_cvt_f64_f32_e32 v[9:10], v9
	v_lshlrev_b32_e32 v13, 16, v4
	s_delay_alu instid0(VALU_DEP_1) | instskip(SKIP_3) | instid1(VALU_DEP_4)
	v_cvt_f64_f32_e32 v[13:14], v13
	v_rsq_f64_e32 v[17:18], v[5:6]
	v_rsq_f64_e32 v[19:20], v[1:2]
	v_rsq_f64_e32 v[21:22], v[7:8]
	v_rsq_f64_e32 v[31:32], v[15:16]
	s_delay_alu instid0(VALU_DEP_3) | instskip(NEXT) | instid1(VALU_DEP_1)
	v_rsq_f64_e32 v[23:24], v[9:10]
	v_rsq_f64_e32 v[29:30], v[13:14]
	v_mul_f64 v[5:6], v[17:18], -v[5:6]
	v_mul_f64 v[1:2], v[19:20], -v[1:2]
	;; [unrolled: 1-line block ×3, first 2 shown]
	s_delay_alu instid0(TRANS32_DEP_3) | instskip(SKIP_3) | instid1(TRANS32_DEP_2)
	v_mul_f64 v[15:16], v[31:32], -v[15:16]
	v_cmp_class_f64_e64 s0, v[19:20], 0x180
	v_cmp_class_f64_e64 s1, v[21:22], 0x180
	;; [unrolled: 1-line block ×3, first 2 shown]
	v_mul_f64 v[9:10], v[23:24], -v[9:10]
	v_cmp_class_f64_e64 vcc_lo, v[17:18], 0x180
	v_cmp_class_f64_e64 s2, v[23:24], 0x180
	s_delay_alu instid0(TRANS32_DEP_1)
	v_mul_f64 v[13:14], v[29:30], -v[13:14]
	v_cmp_class_f64_e64 s5, v[29:30], 0x180
	v_fma_f64 v[5:6], v[5:6], v[17:18], 1.0
	v_fma_f64 v[1:2], v[1:2], v[19:20], 1.0
	;; [unrolled: 1-line block ×6, first 2 shown]
	v_mul_f64 v[33:34], v[17:18], v[5:6]
	v_mul_f64 v[35:36], v[19:20], v[1:2]
	v_fma_f64 v[1:2], 0x3fd80000, v[1:2], 0.5
	v_mul_f64 v[37:38], v[21:22], v[7:8]
	v_fma_f64 v[7:8], 0x3fd80000, v[7:8], 0.5
	;; [unrolled: 2-line block ×3, first 2 shown]
	v_fma_f64 v[5:6], 0x3fd80000, v[5:6], 0.5
	v_mul_f64 v[39:40], v[23:24], v[9:10]
	v_fma_f64 v[9:10], 0x3fd80000, v[9:10], 0.5
	v_mul_f64 v[45:46], v[29:30], v[13:14]
	v_fma_f64 v[13:14], 0x3fd80000, v[13:14], 0.5
	v_fma_f64 v[1:2], v[35:36], v[1:2], v[19:20]
	v_fma_f64 v[7:8], v[37:38], v[7:8], v[21:22]
	;; [unrolled: 1-line block ×6, first 2 shown]
	v_cndmask_b32_e64 v2, v20, v2, s0
	v_cndmask_b32_e64 v1, v19, v1, s0
	;; [unrolled: 1-line block ×6, first 2 shown]
	v_cvt_f32_f64_e32 v1, v[1:2]
	v_cndmask_b32_e32 v6, v18, v6, vcc_lo
	v_cvt_f32_f64_e32 v2, v[7:8]
	v_cndmask_b32_e32 v5, v17, v5, vcc_lo
	v_cvt_f32_f64_e32 v8, v[15:16]
	v_cndmask_b32_e64 v10, v24, v10, s2
	v_cndmask_b32_e64 v9, v23, v9, s2
	;; [unrolled: 1-line block ×3, first 2 shown]
	v_cvt_f32_f64_e32 v5, v[5:6]
	v_cndmask_b32_e64 v13, v29, v13, s5
	s_add_u32 s2, s8, s14
	v_cvt_f32_f64_e32 v6, v[9:10]
	s_mov_b32 s0, 0
	v_bfe_u32 v10, v1, 16, 1
	v_bfe_u32 v16, v8, 16, 1
	s_delay_alu instid0(VALU_DEP_2) | instskip(SKIP_1) | instid1(VALU_DEP_3)
	v_add3_u32 v10, v1, v10, 0x7fff
	v_bfe_u32 v9, v5, 16, 1
	v_add3_u32 v16, v8, v16, 0x7fff
	s_delay_alu instid0(VALU_DEP_3) | instskip(SKIP_1) | instid1(VALU_DEP_4)
	v_and_b32_e32 v10, 0xffff0000, v10
	v_cmp_o_f32_e32 vcc_lo, v6, v6
	v_add3_u32 v9, v5, v9, 0x7fff
	s_delay_alu instid0(VALU_DEP_4) | instskip(SKIP_2) | instid1(VALU_DEP_4)
	v_and_b32_e32 v16, 0xffff0000, v16
	v_lshlrev_b32_e32 v11, 16, v3
	v_and_b32_e32 v3, 0xffff0000, v3
	v_lshrrev_b32_e32 v9, 16, v9
	s_delay_alu instid0(VALU_DEP_3) | instskip(NEXT) | instid1(VALU_DEP_3)
	v_cvt_f64_f32_e32 v[11:12], v11
	v_cvt_f64_f32_e32 v[3:4], v3
	s_delay_alu instid0(VALU_DEP_2) | instskip(NEXT) | instid1(VALU_DEP_1)
	v_rsq_f64_e32 v[25:26], v[11:12]
	v_rsq_f64_e32 v[27:28], v[3:4]
	s_waitcnt_depctr 0xfff
	v_mul_f64 v[11:12], v[25:26], -v[11:12]
	v_mul_f64 v[3:4], v[27:28], -v[3:4]
	v_cmp_class_f64_e64 s4, v[27:28], 0x180
	v_cmp_class_f64_e64 s3, v[25:26], 0x180
	s_delay_alu instid0(VALU_DEP_4) | instskip(NEXT) | instid1(VALU_DEP_4)
	v_fma_f64 v[11:12], v[11:12], v[25:26], 1.0
	v_fma_f64 v[3:4], v[3:4], v[27:28], 1.0
	s_delay_alu instid0(VALU_DEP_2) | instskip(NEXT) | instid1(VALU_DEP_2)
	v_mul_f64 v[41:42], v[25:26], v[11:12]
	v_mul_f64 v[43:44], v[27:28], v[3:4]
	v_fma_f64 v[3:4], 0x3fd80000, v[3:4], 0.5
	v_fma_f64 v[11:12], 0x3fd80000, v[11:12], 0.5
	s_delay_alu instid0(VALU_DEP_2) | instskip(NEXT) | instid1(VALU_DEP_2)
	v_fma_f64 v[3:4], v[43:44], v[3:4], v[27:28]
	v_fma_f64 v[11:12], v[41:42], v[11:12], v[25:26]
	s_delay_alu instid0(VALU_DEP_2) | instskip(NEXT) | instid1(VALU_DEP_3)
	v_cndmask_b32_e64 v4, v28, v4, s4
	v_cndmask_b32_e64 v3, v27, v3, s4
	s_delay_alu instid0(VALU_DEP_3) | instskip(NEXT) | instid1(VALU_DEP_4)
	v_cndmask_b32_e64 v12, v26, v12, s3
	v_cndmask_b32_e64 v11, v25, v11, s3
	s_addc_u32 s3, s9, s15
	s_delay_alu instid0(VALU_DEP_3) | instskip(SKIP_1) | instid1(VALU_DEP_3)
	v_cvt_f32_f64_e32 v3, v[3:4]
	v_cvt_f32_f64_e32 v4, v[13:14]
	;; [unrolled: 1-line block ×3, first 2 shown]
	v_bfe_u32 v12, v6, 16, 1
	v_bfe_u32 v11, v2, 16, 1
	s_delay_alu instid0(VALU_DEP_2) | instskip(NEXT) | instid1(VALU_DEP_2)
	v_add3_u32 v12, v6, v12, 0x7fff
	v_add3_u32 v11, v2, v11, 0x7fff
	s_delay_alu instid0(VALU_DEP_2) | instskip(NEXT) | instid1(VALU_DEP_2)
	v_and_b32_e32 v12, 0xffff0000, v12
	v_lshrrev_b32_e32 v11, 16, v11
	s_delay_alu instid0(VALU_DEP_2) | instskip(SKIP_1) | instid1(VALU_DEP_3)
	v_cndmask_b32_e32 v6, 0x7fc00000, v12, vcc_lo
	v_cmp_o_f32_e32 vcc_lo, v2, v2
	v_cndmask_b32_e32 v2, 0x7fc0, v11, vcc_lo
	v_cmp_o_f32_e32 vcc_lo, v1, v1
	s_delay_alu instid0(VALU_DEP_2)
	v_or3_b32 v2, 0, v2, v6
	v_cndmask_b32_e32 v1, 0x7fc00000, v10, vcc_lo
	v_cmp_o_f32_e32 vcc_lo, v5, v5
	v_cndmask_b32_e32 v5, 0x7fc0, v9, vcc_lo
	v_bfe_u32 v14, v3, 16, 1
	v_cmp_o_f32_e32 vcc_lo, v3, v3
	v_bfe_u32 v13, v7, 16, 1
	v_bfe_u32 v15, v4, 16, 1
	v_or_b32_e32 v1, v1, v5
	v_add3_u32 v14, v3, v14, 0x7fff
	s_delay_alu instid0(VALU_DEP_4) | instskip(NEXT) | instid1(VALU_DEP_4)
	v_add3_u32 v13, v7, v13, 0x7fff
	v_add3_u32 v15, v4, v15, 0x7fff
	s_delay_alu instid0(VALU_DEP_4) | instskip(NEXT) | instid1(VALU_DEP_4)
	v_or3_b32 v1, v1, 0, 0
	v_and_b32_e32 v14, 0xffff0000, v14
	s_delay_alu instid0(VALU_DEP_4) | instskip(NEXT) | instid1(VALU_DEP_4)
	v_lshrrev_b32_e32 v13, 16, v13
	v_lshrrev_b32_e32 v15, 16, v15
	s_delay_alu instid0(VALU_DEP_3) | instskip(SKIP_1) | instid1(VALU_DEP_4)
	v_cndmask_b32_e32 v3, 0x7fc00000, v14, vcc_lo
	v_cmp_o_f32_e32 vcc_lo, v7, v7
	v_cndmask_b32_e32 v7, 0x7fc0, v13, vcc_lo
	v_cmp_o_f32_e32 vcc_lo, v8, v8
	s_delay_alu instid0(VALU_DEP_2) | instskip(SKIP_2) | instid1(VALU_DEP_3)
	v_or_b32_e32 v3, v3, v7
	v_cndmask_b32_e32 v8, 0x7fc00000, v16, vcc_lo
	v_cmp_o_f32_e32 vcc_lo, v4, v4
	v_or3_b32 v3, v3, 0, 0
	v_cndmask_b32_e32 v4, 0x7fc0, v15, vcc_lo
	s_delay_alu instid0(VALU_DEP_1)
	v_or3_b32 v4, 0, v4, v8
	s_clause 0x1
	global_store_b64 v49, v[1:2], s[2:3]
	global_store_b64 v49, v[3:4], s[2:3] offset:2048
.LBB204_2:
	s_and_not1_b32 vcc_lo, exec_lo, s0
	s_cbranch_vccnz .LBB204_41
; %bb.3:
	v_cmp_gt_i32_e32 vcc_lo, s7, v0
	v_dual_mov_b32 v7, 0 :: v_dual_mov_b32 v8, 0
	v_or_b32_e32 v1, s12, v0
	v_or_b32_e32 v3, 0x100, v0
	v_mov_b32_e32 v5, v0
	s_and_saveexec_b32 s1, vcc_lo
	s_cbranch_execz .LBB204_5
; %bb.4:
	v_mov_b32_e32 v2, 0
	s_delay_alu instid0(VALU_DEP_1) | instskip(NEXT) | instid1(VALU_DEP_1)
	v_lshlrev_b64 v[4:5], 1, v[1:2]
	v_add_co_u32 v4, s0, s10, v4
	s_delay_alu instid0(VALU_DEP_1)
	v_add_co_ci_u32_e64 v5, s0, s11, v5, s0
	global_load_u16 v8, v[4:5], off
	v_or_b32_e32 v5, 0x100, v0
.LBB204_5:
	s_or_b32 exec_lo, exec_lo, s1
	s_delay_alu instid0(SALU_CYCLE_1) | instskip(NEXT) | instid1(VALU_DEP_1)
	s_mov_b32 s1, exec_lo
	v_cmpx_gt_i32_e64 s7, v5
	s_cbranch_execz .LBB204_7
; %bb.6:
	v_dual_mov_b32 v7, 0 :: v_dual_add_nc_u32 v6, s12, v5
	v_add_nc_u32_e32 v5, 0x100, v5
	s_delay_alu instid0(VALU_DEP_2) | instskip(NEXT) | instid1(VALU_DEP_1)
	v_lshlrev_b64 v[6:7], 1, v[6:7]
	v_add_co_u32 v6, s0, s10, v6
	s_delay_alu instid0(VALU_DEP_1)
	v_add_co_ci_u32_e64 v7, s0, s11, v7, s0
	global_load_u16 v7, v[6:7], off
.LBB204_7:
	s_or_b32 exec_lo, exec_lo, s1
	v_dual_mov_b32 v6, 0 :: v_dual_mov_b32 v11, 0
	s_mov_b32 s1, exec_lo
	v_cmpx_gt_i32_e64 s7, v5
	s_cbranch_execz .LBB204_9
; %bb.8:
	v_dual_mov_b32 v10, 0 :: v_dual_add_nc_u32 v9, s12, v5
	v_add_nc_u32_e32 v5, 0x100, v5
	s_delay_alu instid0(VALU_DEP_2) | instskip(NEXT) | instid1(VALU_DEP_1)
	v_lshlrev_b64 v[9:10], 1, v[9:10]
	v_add_co_u32 v9, s0, s10, v9
	s_delay_alu instid0(VALU_DEP_1)
	v_add_co_ci_u32_e64 v10, s0, s11, v10, s0
	global_load_u16 v11, v[9:10], off
.LBB204_9:
	s_or_b32 exec_lo, exec_lo, s1
	s_delay_alu instid0(SALU_CYCLE_1)
	s_mov_b32 s1, exec_lo
	v_cmpx_gt_i32_e64 s7, v5
	s_cbranch_execz .LBB204_11
; %bb.10:
	v_dual_mov_b32 v10, 0 :: v_dual_add_nc_u32 v9, s12, v5
	v_add_nc_u32_e32 v5, 0x100, v5
	s_delay_alu instid0(VALU_DEP_2) | instskip(NEXT) | instid1(VALU_DEP_1)
	v_lshlrev_b64 v[9:10], 1, v[9:10]
	v_add_co_u32 v9, s0, s10, v9
	s_delay_alu instid0(VALU_DEP_1)
	v_add_co_ci_u32_e64 v10, s0, s11, v10, s0
	global_load_u16 v6, v[9:10], off
.LBB204_11:
	s_or_b32 exec_lo, exec_lo, s1
	v_mov_b32_e32 v4, 0
	v_mov_b32_e32 v10, 0
	s_mov_b32 s1, exec_lo
	v_cmpx_gt_i32_e64 s7, v5
	s_cbranch_execz .LBB204_13
; %bb.12:
	v_dual_mov_b32 v10, 0 :: v_dual_add_nc_u32 v9, s12, v5
	v_add_nc_u32_e32 v5, 0x100, v5
	s_delay_alu instid0(VALU_DEP_2) | instskip(NEXT) | instid1(VALU_DEP_1)
	v_lshlrev_b64 v[9:10], 1, v[9:10]
	v_add_co_u32 v9, s0, s10, v9
	s_delay_alu instid0(VALU_DEP_1)
	v_add_co_ci_u32_e64 v10, s0, s11, v10, s0
	global_load_u16 v10, v[9:10], off
.LBB204_13:
	s_or_b32 exec_lo, exec_lo, s1
	s_delay_alu instid0(SALU_CYCLE_1)
	s_mov_b32 s1, exec_lo
	v_cmpx_gt_i32_e64 s7, v5
	s_cbranch_execz .LBB204_15
; %bb.14:
	v_dual_mov_b32 v13, 0 :: v_dual_add_nc_u32 v12, s12, v5
	v_add_nc_u32_e32 v5, 0x100, v5
	s_delay_alu instid0(VALU_DEP_2) | instskip(NEXT) | instid1(VALU_DEP_1)
	v_lshlrev_b64 v[12:13], 1, v[12:13]
	v_add_co_u32 v12, s0, s10, v12
	s_delay_alu instid0(VALU_DEP_1)
	v_add_co_ci_u32_e64 v13, s0, s11, v13, s0
	global_load_u16 v4, v[12:13], off
.LBB204_15:
	s_or_b32 exec_lo, exec_lo, s1
	v_dual_mov_b32 v2, 0 :: v_dual_mov_b32 v9, 0
	s_mov_b32 s1, exec_lo
	v_cmpx_gt_i32_e64 s7, v5
	s_cbranch_execz .LBB204_42
; %bb.16:
	v_dual_mov_b32 v13, 0 :: v_dual_add_nc_u32 v12, s12, v5
	v_add_nc_u32_e32 v5, 0x100, v5
	s_delay_alu instid0(VALU_DEP_2) | instskip(NEXT) | instid1(VALU_DEP_1)
	v_lshlrev_b64 v[12:13], 1, v[12:13]
	v_add_co_u32 v12, s0, s10, v12
	s_delay_alu instid0(VALU_DEP_1) | instskip(SKIP_2) | instid1(SALU_CYCLE_1)
	v_add_co_ci_u32_e64 v13, s0, s11, v13, s0
	global_load_u16 v9, v[12:13], off
	s_or_b32 exec_lo, exec_lo, s1
	s_mov_b32 s1, exec_lo
	v_cmpx_gt_i32_e64 s7, v5
	s_cbranch_execnz .LBB204_43
.LBB204_17:
	s_or_b32 exec_lo, exec_lo, s1
                                        ; implicit-def: $vgpr5
	s_and_saveexec_b32 s1, vcc_lo
	s_cbranch_execz .LBB204_19
.LBB204_18:
	s_waitcnt vmcnt(0)
	v_lshlrev_b32_e32 v5, 16, v8
	s_delay_alu instid0(VALU_DEP_1) | instskip(NEXT) | instid1(VALU_DEP_1)
	v_cvt_f64_f32_e32 v[12:13], v5
	v_rsq_f64_e32 v[14:15], v[12:13]
	s_waitcnt_depctr 0xfff
	v_mul_f64 v[12:13], v[14:15], -v[12:13]
	v_cmp_class_f64_e64 s0, v[14:15], 0x180
	s_delay_alu instid0(VALU_DEP_2) | instskip(NEXT) | instid1(VALU_DEP_1)
	v_fma_f64 v[12:13], v[12:13], v[14:15], 1.0
	v_mul_f64 v[16:17], v[14:15], v[12:13]
	v_fma_f64 v[12:13], 0x3fd80000, v[12:13], 0.5
	s_delay_alu instid0(VALU_DEP_1) | instskip(NEXT) | instid1(VALU_DEP_1)
	v_fma_f64 v[12:13], v[16:17], v[12:13], v[14:15]
	v_cndmask_b32_e64 v13, v15, v13, s0
	s_delay_alu instid0(VALU_DEP_2) | instskip(NEXT) | instid1(VALU_DEP_1)
	v_cndmask_b32_e64 v12, v14, v12, s0
	v_cvt_f32_f64_e32 v5, v[12:13]
	s_delay_alu instid0(VALU_DEP_1) | instskip(SKIP_1) | instid1(VALU_DEP_2)
	v_bfe_u32 v8, v5, 16, 1
	v_cmp_o_f32_e64 s0, v5, v5
	v_add3_u32 v8, v5, v8, 0x7fff
	s_delay_alu instid0(VALU_DEP_1) | instskip(NEXT) | instid1(VALU_DEP_1)
	v_lshrrev_b32_e32 v8, 16, v8
	v_cndmask_b32_e64 v5, 0x7fc0, v8, s0
.LBB204_19:
	s_or_b32 exec_lo, exec_lo, s1
	s_delay_alu instid0(SALU_CYCLE_1)
	s_mov_b32 s1, exec_lo
                                        ; implicit-def: $vgpr8
	v_cmpx_gt_i32_e64 s7, v3
	s_cbranch_execz .LBB204_21
; %bb.20:
	s_waitcnt vmcnt(0)
	v_lshlrev_b32_e32 v7, 16, v7
	s_delay_alu instid0(VALU_DEP_1) | instskip(NEXT) | instid1(VALU_DEP_1)
	v_cvt_f64_f32_e32 v[7:8], v7
	v_rsq_f64_e32 v[12:13], v[7:8]
	s_waitcnt_depctr 0xfff
	v_mul_f64 v[7:8], v[12:13], -v[7:8]
	v_cmp_class_f64_e64 s0, v[12:13], 0x180
	s_delay_alu instid0(VALU_DEP_2) | instskip(NEXT) | instid1(VALU_DEP_1)
	v_fma_f64 v[7:8], v[7:8], v[12:13], 1.0
	v_mul_f64 v[14:15], v[12:13], v[7:8]
	v_fma_f64 v[7:8], 0x3fd80000, v[7:8], 0.5
	s_delay_alu instid0(VALU_DEP_1) | instskip(NEXT) | instid1(VALU_DEP_1)
	v_fma_f64 v[7:8], v[14:15], v[7:8], v[12:13]
	v_cndmask_b32_e64 v8, v13, v8, s0
	s_delay_alu instid0(VALU_DEP_2) | instskip(NEXT) | instid1(VALU_DEP_1)
	v_cndmask_b32_e64 v7, v12, v7, s0
	v_cvt_f32_f64_e32 v7, v[7:8]
	s_delay_alu instid0(VALU_DEP_1) | instskip(SKIP_1) | instid1(VALU_DEP_2)
	v_bfe_u32 v8, v7, 16, 1
	v_cmp_o_f32_e64 s0, v7, v7
	v_add3_u32 v8, v7, v8, 0x7fff
	s_delay_alu instid0(VALU_DEP_1) | instskip(NEXT) | instid1(VALU_DEP_1)
	v_lshrrev_b32_e32 v8, 16, v8
	v_cndmask_b32_e64 v8, 0x7fc0, v8, s0
.LBB204_21:
	s_or_b32 exec_lo, exec_lo, s1
	s_waitcnt vmcnt(0)
	v_or_b32_e32 v7, 0x200, v0
	s_delay_alu instid0(VALU_DEP_1) | instskip(NEXT) | instid1(VALU_DEP_1)
	v_cmp_gt_i32_e64 s0, s7, v7
                                        ; implicit-def: $vgpr7
	s_and_saveexec_b32 s1, s0
	s_cbranch_execz .LBB204_23
; %bb.22:
	v_lshlrev_b32_e32 v7, 16, v11
	s_delay_alu instid0(VALU_DEP_1) | instskip(NEXT) | instid1(VALU_DEP_1)
	v_cvt_f64_f32_e32 v[11:12], v7
	v_rsq_f64_e32 v[13:14], v[11:12]
	s_waitcnt_depctr 0xfff
	v_mul_f64 v[11:12], v[13:14], -v[11:12]
	v_cmp_class_f64_e64 s0, v[13:14], 0x180
	s_delay_alu instid0(VALU_DEP_2) | instskip(NEXT) | instid1(VALU_DEP_1)
	v_fma_f64 v[11:12], v[11:12], v[13:14], 1.0
	v_mul_f64 v[15:16], v[13:14], v[11:12]
	v_fma_f64 v[11:12], 0x3fd80000, v[11:12], 0.5
	s_delay_alu instid0(VALU_DEP_1) | instskip(NEXT) | instid1(VALU_DEP_1)
	v_fma_f64 v[11:12], v[15:16], v[11:12], v[13:14]
	v_cndmask_b32_e64 v12, v14, v12, s0
	s_delay_alu instid0(VALU_DEP_2) | instskip(NEXT) | instid1(VALU_DEP_1)
	v_cndmask_b32_e64 v11, v13, v11, s0
	v_cvt_f32_f64_e32 v7, v[11:12]
	s_delay_alu instid0(VALU_DEP_1) | instskip(SKIP_1) | instid1(VALU_DEP_2)
	v_bfe_u32 v11, v7, 16, 1
	v_cmp_o_f32_e64 s0, v7, v7
	v_add3_u32 v11, v7, v11, 0x7fff
	s_delay_alu instid0(VALU_DEP_1) | instskip(NEXT) | instid1(VALU_DEP_1)
	v_lshrrev_b32_e32 v11, 16, v11
	v_cndmask_b32_e64 v7, 0x7fc0, v11, s0
.LBB204_23:
	s_or_b32 exec_lo, exec_lo, s1
	v_or_b32_e32 v11, 0x300, v0
	s_delay_alu instid0(VALU_DEP_1) | instskip(NEXT) | instid1(VALU_DEP_1)
	v_cmp_gt_i32_e64 s0, s7, v11
                                        ; implicit-def: $vgpr11
	s_and_saveexec_b32 s1, s0
	s_cbranch_execz .LBB204_25
; %bb.24:
	v_lshlrev_b32_e32 v6, 16, v6
	s_delay_alu instid0(VALU_DEP_1) | instskip(NEXT) | instid1(VALU_DEP_1)
	v_cvt_f64_f32_e32 v[11:12], v6
	v_rsq_f64_e32 v[13:14], v[11:12]
	s_waitcnt_depctr 0xfff
	v_mul_f64 v[11:12], v[13:14], -v[11:12]
	v_cmp_class_f64_e64 s0, v[13:14], 0x180
	s_delay_alu instid0(VALU_DEP_2) | instskip(NEXT) | instid1(VALU_DEP_1)
	v_fma_f64 v[11:12], v[11:12], v[13:14], 1.0
	v_mul_f64 v[15:16], v[13:14], v[11:12]
	v_fma_f64 v[11:12], 0x3fd80000, v[11:12], 0.5
	s_delay_alu instid0(VALU_DEP_1) | instskip(NEXT) | instid1(VALU_DEP_1)
	v_fma_f64 v[11:12], v[15:16], v[11:12], v[13:14]
	v_cndmask_b32_e64 v12, v14, v12, s0
	s_delay_alu instid0(VALU_DEP_2) | instskip(NEXT) | instid1(VALU_DEP_1)
	v_cndmask_b32_e64 v11, v13, v11, s0
	v_cvt_f32_f64_e32 v6, v[11:12]
	s_delay_alu instid0(VALU_DEP_1) | instskip(SKIP_1) | instid1(VALU_DEP_2)
	v_bfe_u32 v11, v6, 16, 1
	v_cmp_o_f32_e64 s0, v6, v6
	v_add3_u32 v11, v6, v11, 0x7fff
	s_delay_alu instid0(VALU_DEP_1) | instskip(NEXT) | instid1(VALU_DEP_1)
	v_lshrrev_b32_e32 v11, 16, v11
	v_cndmask_b32_e64 v11, 0x7fc0, v11, s0
.LBB204_25:
	s_or_b32 exec_lo, exec_lo, s1
	v_or_b32_e32 v6, 0x400, v0
	s_delay_alu instid0(VALU_DEP_1) | instskip(NEXT) | instid1(VALU_DEP_1)
	v_cmp_gt_i32_e64 s0, s7, v6
                                        ; implicit-def: $vgpr6
	s_and_saveexec_b32 s1, s0
	s_cbranch_execz .LBB204_27
; %bb.26:
	v_lshlrev_b32_e32 v6, 16, v10
	s_delay_alu instid0(VALU_DEP_1) | instskip(NEXT) | instid1(VALU_DEP_1)
	v_cvt_f64_f32_e32 v[12:13], v6
	v_rsq_f64_e32 v[14:15], v[12:13]
	s_waitcnt_depctr 0xfff
	v_mul_f64 v[12:13], v[14:15], -v[12:13]
	v_cmp_class_f64_e64 s0, v[14:15], 0x180
	s_delay_alu instid0(VALU_DEP_2) | instskip(NEXT) | instid1(VALU_DEP_1)
	v_fma_f64 v[12:13], v[12:13], v[14:15], 1.0
	v_mul_f64 v[16:17], v[14:15], v[12:13]
	v_fma_f64 v[12:13], 0x3fd80000, v[12:13], 0.5
	s_delay_alu instid0(VALU_DEP_1) | instskip(NEXT) | instid1(VALU_DEP_1)
	v_fma_f64 v[12:13], v[16:17], v[12:13], v[14:15]
	v_cndmask_b32_e64 v13, v15, v13, s0
	s_delay_alu instid0(VALU_DEP_2) | instskip(NEXT) | instid1(VALU_DEP_1)
	v_cndmask_b32_e64 v12, v14, v12, s0
	v_cvt_f32_f64_e32 v6, v[12:13]
	s_delay_alu instid0(VALU_DEP_1) | instskip(SKIP_1) | instid1(VALU_DEP_2)
	v_bfe_u32 v10, v6, 16, 1
	v_cmp_o_f32_e64 s0, v6, v6
	v_add3_u32 v10, v6, v10, 0x7fff
	s_delay_alu instid0(VALU_DEP_1) | instskip(NEXT) | instid1(VALU_DEP_1)
	v_lshrrev_b32_e32 v10, 16, v10
	v_cndmask_b32_e64 v6, 0x7fc0, v10, s0
.LBB204_27:
	s_or_b32 exec_lo, exec_lo, s1
	v_or_b32_e32 v10, 0x500, v0
	s_delay_alu instid0(VALU_DEP_1) | instskip(NEXT) | instid1(VALU_DEP_1)
	v_cmp_gt_i32_e64 s0, s7, v10
                                        ; implicit-def: $vgpr10
	s_and_saveexec_b32 s1, s0
	s_cbranch_execz .LBB204_29
; %bb.28:
	v_lshlrev_b32_e32 v4, 16, v4
	s_delay_alu instid0(VALU_DEP_1) | instskip(NEXT) | instid1(VALU_DEP_1)
	v_cvt_f64_f32_e32 v[12:13], v4
	v_rsq_f64_e32 v[14:15], v[12:13]
	s_waitcnt_depctr 0xfff
	v_mul_f64 v[12:13], v[14:15], -v[12:13]
	v_cmp_class_f64_e64 s0, v[14:15], 0x180
	s_delay_alu instid0(VALU_DEP_2) | instskip(NEXT) | instid1(VALU_DEP_1)
	v_fma_f64 v[12:13], v[12:13], v[14:15], 1.0
	v_mul_f64 v[16:17], v[14:15], v[12:13]
	v_fma_f64 v[12:13], 0x3fd80000, v[12:13], 0.5
	s_delay_alu instid0(VALU_DEP_1) | instskip(NEXT) | instid1(VALU_DEP_1)
	v_fma_f64 v[12:13], v[16:17], v[12:13], v[14:15]
	v_cndmask_b32_e64 v13, v15, v13, s0
	s_delay_alu instid0(VALU_DEP_2) | instskip(NEXT) | instid1(VALU_DEP_1)
	v_cndmask_b32_e64 v12, v14, v12, s0
	v_cvt_f32_f64_e32 v4, v[12:13]
	s_delay_alu instid0(VALU_DEP_1) | instskip(SKIP_1) | instid1(VALU_DEP_2)
	v_bfe_u32 v10, v4, 16, 1
	v_cmp_o_f32_e64 s0, v4, v4
	v_add3_u32 v10, v4, v10, 0x7fff
	s_delay_alu instid0(VALU_DEP_1) | instskip(NEXT) | instid1(VALU_DEP_1)
	v_lshrrev_b32_e32 v10, 16, v10
	v_cndmask_b32_e64 v10, 0x7fc0, v10, s0
.LBB204_29:
	s_or_b32 exec_lo, exec_lo, s1
	v_or_b32_e32 v4, 0x600, v0
	s_delay_alu instid0(VALU_DEP_1) | instskip(NEXT) | instid1(VALU_DEP_1)
	v_cmp_gt_i32_e64 s0, s7, v4
                                        ; implicit-def: $vgpr4
	s_and_saveexec_b32 s1, s0
	s_cbranch_execz .LBB204_31
; %bb.30:
	v_lshlrev_b32_e32 v4, 16, v9
	s_delay_alu instid0(VALU_DEP_1) | instskip(NEXT) | instid1(VALU_DEP_1)
	v_cvt_f64_f32_e32 v[12:13], v4
	v_rsq_f64_e32 v[14:15], v[12:13]
	s_waitcnt_depctr 0xfff
	v_mul_f64 v[12:13], v[14:15], -v[12:13]
	v_cmp_class_f64_e64 s0, v[14:15], 0x180
	s_delay_alu instid0(VALU_DEP_2) | instskip(NEXT) | instid1(VALU_DEP_1)
	v_fma_f64 v[12:13], v[12:13], v[14:15], 1.0
	v_mul_f64 v[16:17], v[14:15], v[12:13]
	v_fma_f64 v[12:13], 0x3fd80000, v[12:13], 0.5
	s_delay_alu instid0(VALU_DEP_1) | instskip(NEXT) | instid1(VALU_DEP_1)
	v_fma_f64 v[12:13], v[16:17], v[12:13], v[14:15]
	v_cndmask_b32_e64 v13, v15, v13, s0
	s_delay_alu instid0(VALU_DEP_2) | instskip(NEXT) | instid1(VALU_DEP_1)
	v_cndmask_b32_e64 v12, v14, v12, s0
	v_cvt_f32_f64_e32 v4, v[12:13]
	s_delay_alu instid0(VALU_DEP_1) | instskip(SKIP_1) | instid1(VALU_DEP_2)
	v_bfe_u32 v9, v4, 16, 1
	v_cmp_o_f32_e64 s0, v4, v4
	v_add3_u32 v9, v4, v9, 0x7fff
	s_delay_alu instid0(VALU_DEP_1) | instskip(NEXT) | instid1(VALU_DEP_1)
	v_lshrrev_b32_e32 v9, 16, v9
	v_cndmask_b32_e64 v4, 0x7fc0, v9, s0
.LBB204_31:
	s_or_b32 exec_lo, exec_lo, s1
	v_or_b32_e32 v9, 0x700, v0
	s_delay_alu instid0(VALU_DEP_1) | instskip(NEXT) | instid1(VALU_DEP_1)
	v_cmp_gt_i32_e64 s0, s7, v9
                                        ; implicit-def: $vgpr9
	s_and_saveexec_b32 s1, s0
	s_cbranch_execz .LBB204_44
; %bb.32:
	v_lshlrev_b32_e32 v2, 16, v2
	s_delay_alu instid0(VALU_DEP_1) | instskip(NEXT) | instid1(VALU_DEP_1)
	v_cvt_f64_f32_e32 v[12:13], v2
	v_rsq_f64_e32 v[14:15], v[12:13]
	s_waitcnt_depctr 0xfff
	v_mul_f64 v[12:13], v[14:15], -v[12:13]
	v_cmp_class_f64_e64 s0, v[14:15], 0x180
	s_delay_alu instid0(VALU_DEP_2) | instskip(NEXT) | instid1(VALU_DEP_1)
	v_fma_f64 v[12:13], v[12:13], v[14:15], 1.0
	v_mul_f64 v[16:17], v[14:15], v[12:13]
	v_fma_f64 v[12:13], 0x3fd80000, v[12:13], 0.5
	s_delay_alu instid0(VALU_DEP_1) | instskip(NEXT) | instid1(VALU_DEP_1)
	v_fma_f64 v[12:13], v[16:17], v[12:13], v[14:15]
	v_cndmask_b32_e64 v13, v15, v13, s0
	s_delay_alu instid0(VALU_DEP_2) | instskip(NEXT) | instid1(VALU_DEP_1)
	v_cndmask_b32_e64 v12, v14, v12, s0
	v_cvt_f32_f64_e32 v2, v[12:13]
	s_delay_alu instid0(VALU_DEP_1) | instskip(SKIP_1) | instid1(VALU_DEP_2)
	v_bfe_u32 v9, v2, 16, 1
	v_cmp_o_f32_e64 s0, v2, v2
	v_add3_u32 v9, v2, v9, 0x7fff
	s_delay_alu instid0(VALU_DEP_1) | instskip(NEXT) | instid1(VALU_DEP_1)
	v_lshrrev_b32_e32 v9, 16, v9
	v_cndmask_b32_e64 v9, 0x7fc0, v9, s0
	s_or_b32 exec_lo, exec_lo, s1
	s_and_saveexec_b32 s0, vcc_lo
	s_delay_alu instid0(SALU_CYCLE_1)
	s_xor_b32 s0, exec_lo, s0
	s_cbranch_execnz .LBB204_45
.LBB204_33:
	s_or_b32 exec_lo, exec_lo, s0
	s_delay_alu instid0(SALU_CYCLE_1)
	s_mov_b32 s0, exec_lo
	v_cmpx_gt_i32_e64 s7, v0
	s_cbranch_execz .LBB204_46
.LBB204_34:
	v_dual_mov_b32 v2, 0 :: v_dual_add_nc_u32 v1, s12, v0
	v_add_nc_u32_e32 v0, 0x100, v0
	s_delay_alu instid0(VALU_DEP_2) | instskip(NEXT) | instid1(VALU_DEP_1)
	v_lshlrev_b64 v[1:2], 1, v[1:2]
	v_add_co_u32 v1, vcc_lo, s8, v1
	s_delay_alu instid0(VALU_DEP_2) | instskip(SKIP_2) | instid1(SALU_CYCLE_1)
	v_add_co_ci_u32_e32 v2, vcc_lo, s9, v2, vcc_lo
	global_store_b16 v[1:2], v8, off
	s_or_b32 exec_lo, exec_lo, s0
	s_mov_b32 s0, exec_lo
	v_cmpx_gt_i32_e64 s7, v0
	s_cbranch_execnz .LBB204_47
.LBB204_35:
	s_or_b32 exec_lo, exec_lo, s0
	s_delay_alu instid0(SALU_CYCLE_1)
	s_mov_b32 s0, exec_lo
	v_cmpx_gt_i32_e64 s7, v0
	s_cbranch_execz .LBB204_48
.LBB204_36:
	v_dual_mov_b32 v2, 0 :: v_dual_add_nc_u32 v1, s12, v0
	v_add_nc_u32_e32 v0, 0x100, v0
	s_delay_alu instid0(VALU_DEP_2) | instskip(NEXT) | instid1(VALU_DEP_1)
	v_lshlrev_b64 v[1:2], 1, v[1:2]
	v_add_co_u32 v1, vcc_lo, s8, v1
	s_delay_alu instid0(VALU_DEP_2) | instskip(SKIP_2) | instid1(SALU_CYCLE_1)
	v_add_co_ci_u32_e32 v2, vcc_lo, s9, v2, vcc_lo
	global_store_b16 v[1:2], v11, off
	s_or_b32 exec_lo, exec_lo, s0
	s_mov_b32 s0, exec_lo
	v_cmpx_gt_i32_e64 s7, v0
	s_cbranch_execnz .LBB204_49
.LBB204_37:
	s_or_b32 exec_lo, exec_lo, s0
	s_delay_alu instid0(SALU_CYCLE_1)
	s_mov_b32 s0, exec_lo
	v_cmpx_gt_i32_e64 s7, v0
	s_cbranch_execz .LBB204_50
.LBB204_38:
	v_dual_mov_b32 v2, 0 :: v_dual_add_nc_u32 v1, s12, v0
	v_add_nc_u32_e32 v0, 0x100, v0
	s_delay_alu instid0(VALU_DEP_2) | instskip(NEXT) | instid1(VALU_DEP_1)
	v_lshlrev_b64 v[1:2], 1, v[1:2]
	v_add_co_u32 v1, vcc_lo, s8, v1
	s_delay_alu instid0(VALU_DEP_2) | instskip(SKIP_2) | instid1(SALU_CYCLE_1)
	v_add_co_ci_u32_e32 v2, vcc_lo, s9, v2, vcc_lo
	global_store_b16 v[1:2], v10, off
	s_or_b32 exec_lo, exec_lo, s0
	s_mov_b32 s0, exec_lo
	v_cmpx_gt_i32_e64 s7, v0
	s_cbranch_execnz .LBB204_51
.LBB204_39:
	s_or_b32 exec_lo, exec_lo, s0
	s_delay_alu instid0(SALU_CYCLE_1)
	s_mov_b32 s0, exec_lo
	v_cmpx_gt_i32_e64 s7, v0
	s_cbranch_execz .LBB204_41
.LBB204_40:
	v_dual_mov_b32 v1, 0 :: v_dual_add_nc_u32 v0, s12, v0
	s_delay_alu instid0(VALU_DEP_1) | instskip(NEXT) | instid1(VALU_DEP_1)
	v_lshlrev_b64 v[0:1], 1, v[0:1]
	v_add_co_u32 v0, vcc_lo, s8, v0
	s_delay_alu instid0(VALU_DEP_2)
	v_add_co_ci_u32_e32 v1, vcc_lo, s9, v1, vcc_lo
	global_store_b16 v[0:1], v9, off
.LBB204_41:
	s_nop 0
	s_sendmsg sendmsg(MSG_DEALLOC_VGPRS)
	s_endpgm
.LBB204_42:
	s_or_b32 exec_lo, exec_lo, s1
	s_delay_alu instid0(SALU_CYCLE_1)
	s_mov_b32 s1, exec_lo
	v_cmpx_gt_i32_e64 s7, v5
	s_cbranch_execz .LBB204_17
.LBB204_43:
	v_dual_mov_b32 v13, 0 :: v_dual_add_nc_u32 v12, s12, v5
	s_delay_alu instid0(VALU_DEP_1) | instskip(NEXT) | instid1(VALU_DEP_1)
	v_lshlrev_b64 v[12:13], 1, v[12:13]
	v_add_co_u32 v12, s0, s10, v12
	s_delay_alu instid0(VALU_DEP_1)
	v_add_co_ci_u32_e64 v13, s0, s11, v13, s0
	global_load_u16 v2, v[12:13], off
	s_or_b32 exec_lo, exec_lo, s1
                                        ; implicit-def: $vgpr5
	s_and_saveexec_b32 s1, vcc_lo
	s_cbranch_execz .LBB204_19
	s_branch .LBB204_18
.LBB204_44:
	s_or_b32 exec_lo, exec_lo, s1
	s_and_saveexec_b32 s0, vcc_lo
	s_delay_alu instid0(SALU_CYCLE_1)
	s_xor_b32 s0, exec_lo, s0
	s_cbranch_execz .LBB204_33
.LBB204_45:
	v_mov_b32_e32 v2, 0
	s_delay_alu instid0(VALU_DEP_1) | instskip(NEXT) | instid1(VALU_DEP_1)
	v_lshlrev_b64 v[0:1], 1, v[1:2]
	v_add_co_u32 v12, vcc_lo, s8, v0
	s_delay_alu instid0(VALU_DEP_2) | instskip(SKIP_3) | instid1(SALU_CYCLE_1)
	v_add_co_ci_u32_e32 v13, vcc_lo, s9, v1, vcc_lo
	v_mov_b32_e32 v0, v3
	global_store_b16 v[12:13], v5, off
	s_or_b32 exec_lo, exec_lo, s0
	s_mov_b32 s0, exec_lo
	v_cmpx_gt_i32_e64 s7, v0
	s_cbranch_execnz .LBB204_34
.LBB204_46:
	s_or_b32 exec_lo, exec_lo, s0
	s_delay_alu instid0(SALU_CYCLE_1)
	s_mov_b32 s0, exec_lo
	v_cmpx_gt_i32_e64 s7, v0
	s_cbranch_execz .LBB204_35
.LBB204_47:
	v_dual_mov_b32 v2, 0 :: v_dual_add_nc_u32 v1, s12, v0
	v_add_nc_u32_e32 v0, 0x100, v0
	s_delay_alu instid0(VALU_DEP_2) | instskip(NEXT) | instid1(VALU_DEP_1)
	v_lshlrev_b64 v[1:2], 1, v[1:2]
	v_add_co_u32 v1, vcc_lo, s8, v1
	s_delay_alu instid0(VALU_DEP_2) | instskip(SKIP_2) | instid1(SALU_CYCLE_1)
	v_add_co_ci_u32_e32 v2, vcc_lo, s9, v2, vcc_lo
	global_store_b16 v[1:2], v7, off
	s_or_b32 exec_lo, exec_lo, s0
	s_mov_b32 s0, exec_lo
	v_cmpx_gt_i32_e64 s7, v0
	s_cbranch_execnz .LBB204_36
.LBB204_48:
	s_or_b32 exec_lo, exec_lo, s0
	s_delay_alu instid0(SALU_CYCLE_1)
	s_mov_b32 s0, exec_lo
	v_cmpx_gt_i32_e64 s7, v0
	s_cbranch_execz .LBB204_37
.LBB204_49:
	v_dual_mov_b32 v2, 0 :: v_dual_add_nc_u32 v1, s12, v0
	v_add_nc_u32_e32 v0, 0x100, v0
	s_delay_alu instid0(VALU_DEP_2) | instskip(NEXT) | instid1(VALU_DEP_1)
	v_lshlrev_b64 v[1:2], 1, v[1:2]
	v_add_co_u32 v1, vcc_lo, s8, v1
	s_delay_alu instid0(VALU_DEP_2) | instskip(SKIP_2) | instid1(SALU_CYCLE_1)
	v_add_co_ci_u32_e32 v2, vcc_lo, s9, v2, vcc_lo
	global_store_b16 v[1:2], v6, off
	s_or_b32 exec_lo, exec_lo, s0
	s_mov_b32 s0, exec_lo
	v_cmpx_gt_i32_e64 s7, v0
	s_cbranch_execnz .LBB204_38
.LBB204_50:
	s_or_b32 exec_lo, exec_lo, s0
	s_delay_alu instid0(SALU_CYCLE_1)
	s_mov_b32 s0, exec_lo
	v_cmpx_gt_i32_e64 s7, v0
	s_cbranch_execz .LBB204_39
.LBB204_51:
	v_dual_mov_b32 v2, 0 :: v_dual_add_nc_u32 v1, s12, v0
	v_add_nc_u32_e32 v0, 0x100, v0
	s_delay_alu instid0(VALU_DEP_2) | instskip(NEXT) | instid1(VALU_DEP_1)
	v_lshlrev_b64 v[1:2], 1, v[1:2]
	v_add_co_u32 v1, vcc_lo, s8, v1
	s_delay_alu instid0(VALU_DEP_2) | instskip(SKIP_2) | instid1(SALU_CYCLE_1)
	v_add_co_ci_u32_e32 v2, vcc_lo, s9, v2, vcc_lo
	global_store_b16 v[1:2], v4, off
	s_or_b32 exec_lo, exec_lo, s0
	s_mov_b32 s0, exec_lo
	v_cmpx_gt_i32_e64 s7, v0
	s_cbranch_execnz .LBB204_40
	s_branch .LBB204_41
	.section	.rodata,"a",@progbits
	.p2align	6, 0x0
	.amdhsa_kernel _ZN2at6native29vectorized_elementwise_kernelILi4EZZZNS0_17rsqrt_kernel_cudaERNS_18TensorIteratorBaseEENKUlvE0_clEvENKUlvE1_clEvEUlN3c108BFloat16EE_St5arrayIPcLm2EEEEviT0_T1_
		.amdhsa_group_segment_fixed_size 0
		.amdhsa_private_segment_fixed_size 0
		.amdhsa_kernarg_size 24
		.amdhsa_user_sgpr_count 15
		.amdhsa_user_sgpr_dispatch_ptr 0
		.amdhsa_user_sgpr_queue_ptr 0
		.amdhsa_user_sgpr_kernarg_segment_ptr 1
		.amdhsa_user_sgpr_dispatch_id 0
		.amdhsa_user_sgpr_private_segment_size 0
		.amdhsa_wavefront_size32 1
		.amdhsa_uses_dynamic_stack 0
		.amdhsa_enable_private_segment 0
		.amdhsa_system_sgpr_workgroup_id_x 1
		.amdhsa_system_sgpr_workgroup_id_y 0
		.amdhsa_system_sgpr_workgroup_id_z 0
		.amdhsa_system_sgpr_workgroup_info 0
		.amdhsa_system_vgpr_workitem_id 0
		.amdhsa_next_free_vgpr 50
		.amdhsa_next_free_sgpr 16
		.amdhsa_reserve_vcc 1
		.amdhsa_float_round_mode_32 0
		.amdhsa_float_round_mode_16_64 0
		.amdhsa_float_denorm_mode_32 3
		.amdhsa_float_denorm_mode_16_64 3
		.amdhsa_dx10_clamp 1
		.amdhsa_ieee_mode 1
		.amdhsa_fp16_overflow 0
		.amdhsa_workgroup_processor_mode 1
		.amdhsa_memory_ordered 1
		.amdhsa_forward_progress 0
		.amdhsa_shared_vgpr_count 0
		.amdhsa_exception_fp_ieee_invalid_op 0
		.amdhsa_exception_fp_denorm_src 0
		.amdhsa_exception_fp_ieee_div_zero 0
		.amdhsa_exception_fp_ieee_overflow 0
		.amdhsa_exception_fp_ieee_underflow 0
		.amdhsa_exception_fp_ieee_inexact 0
		.amdhsa_exception_int_div_zero 0
	.end_amdhsa_kernel
	.section	.text._ZN2at6native29vectorized_elementwise_kernelILi4EZZZNS0_17rsqrt_kernel_cudaERNS_18TensorIteratorBaseEENKUlvE0_clEvENKUlvE1_clEvEUlN3c108BFloat16EE_St5arrayIPcLm2EEEEviT0_T1_,"axG",@progbits,_ZN2at6native29vectorized_elementwise_kernelILi4EZZZNS0_17rsqrt_kernel_cudaERNS_18TensorIteratorBaseEENKUlvE0_clEvENKUlvE1_clEvEUlN3c108BFloat16EE_St5arrayIPcLm2EEEEviT0_T1_,comdat
.Lfunc_end204:
	.size	_ZN2at6native29vectorized_elementwise_kernelILi4EZZZNS0_17rsqrt_kernel_cudaERNS_18TensorIteratorBaseEENKUlvE0_clEvENKUlvE1_clEvEUlN3c108BFloat16EE_St5arrayIPcLm2EEEEviT0_T1_, .Lfunc_end204-_ZN2at6native29vectorized_elementwise_kernelILi4EZZZNS0_17rsqrt_kernel_cudaERNS_18TensorIteratorBaseEENKUlvE0_clEvENKUlvE1_clEvEUlN3c108BFloat16EE_St5arrayIPcLm2EEEEviT0_T1_
                                        ; -- End function
	.section	.AMDGPU.csdata,"",@progbits
; Kernel info:
; codeLenInByte = 4272
; NumSgprs: 18
; NumVgprs: 50
; ScratchSize: 0
; MemoryBound: 0
; FloatMode: 240
; IeeeMode: 1
; LDSByteSize: 0 bytes/workgroup (compile time only)
; SGPRBlocks: 2
; VGPRBlocks: 6
; NumSGPRsForWavesPerEU: 18
; NumVGPRsForWavesPerEU: 50
; Occupancy: 16
; WaveLimiterHint : 1
; COMPUTE_PGM_RSRC2:SCRATCH_EN: 0
; COMPUTE_PGM_RSRC2:USER_SGPR: 15
; COMPUTE_PGM_RSRC2:TRAP_HANDLER: 0
; COMPUTE_PGM_RSRC2:TGID_X_EN: 1
; COMPUTE_PGM_RSRC2:TGID_Y_EN: 0
; COMPUTE_PGM_RSRC2:TGID_Z_EN: 0
; COMPUTE_PGM_RSRC2:TIDIG_COMP_CNT: 0
	.section	.text._ZN2at6native29vectorized_elementwise_kernelILi2EZZZNS0_17rsqrt_kernel_cudaERNS_18TensorIteratorBaseEENKUlvE0_clEvENKUlvE1_clEvEUlN3c108BFloat16EE_St5arrayIPcLm2EEEEviT0_T1_,"axG",@progbits,_ZN2at6native29vectorized_elementwise_kernelILi2EZZZNS0_17rsqrt_kernel_cudaERNS_18TensorIteratorBaseEENKUlvE0_clEvENKUlvE1_clEvEUlN3c108BFloat16EE_St5arrayIPcLm2EEEEviT0_T1_,comdat
	.globl	_ZN2at6native29vectorized_elementwise_kernelILi2EZZZNS0_17rsqrt_kernel_cudaERNS_18TensorIteratorBaseEENKUlvE0_clEvENKUlvE1_clEvEUlN3c108BFloat16EE_St5arrayIPcLm2EEEEviT0_T1_ ; -- Begin function _ZN2at6native29vectorized_elementwise_kernelILi2EZZZNS0_17rsqrt_kernel_cudaERNS_18TensorIteratorBaseEENKUlvE0_clEvENKUlvE1_clEvEUlN3c108BFloat16EE_St5arrayIPcLm2EEEEviT0_T1_
	.p2align	8
	.type	_ZN2at6native29vectorized_elementwise_kernelILi2EZZZNS0_17rsqrt_kernel_cudaERNS_18TensorIteratorBaseEENKUlvE0_clEvENKUlvE1_clEvEUlN3c108BFloat16EE_St5arrayIPcLm2EEEEviT0_T1_,@function
_ZN2at6native29vectorized_elementwise_kernelILi2EZZZNS0_17rsqrt_kernel_cudaERNS_18TensorIteratorBaseEENKUlvE0_clEvENKUlvE1_clEvEUlN3c108BFloat16EE_St5arrayIPcLm2EEEEviT0_T1_: ; @_ZN2at6native29vectorized_elementwise_kernelILi2EZZZNS0_17rsqrt_kernel_cudaERNS_18TensorIteratorBaseEENKUlvE0_clEvENKUlvE1_clEvEUlN3c108BFloat16EE_St5arrayIPcLm2EEEEviT0_T1_
; %bb.0:
	s_clause 0x1
	s_load_b32 s2, s[0:1], 0x0
	s_load_b128 s[8:11], s[0:1], 0x8
	s_lshl_b32 s12, s15, 11
	s_mov_b32 s0, -1
	s_waitcnt lgkmcnt(0)
	s_sub_i32 s7, s2, s12
	s_delay_alu instid0(SALU_CYCLE_1)
	s_cmpk_gt_i32 s7, 0x7ff
	s_cbranch_scc0 .LBB205_2
; %bb.1:
	s_ashr_i32 s13, s12, 31
	v_lshlrev_b32_e32 v49, 2, v0
	s_lshl_b64 s[14:15], s[12:13], 1
	s_delay_alu instid0(SALU_CYCLE_1)
	s_add_u32 s0, s10, s14
	s_addc_u32 s1, s11, s15
	s_clause 0x3
	global_load_b32 v1, v49, s[0:1]
	global_load_b32 v3, v49, s[0:1] offset:1024
	global_load_b32 v7, v49, s[0:1] offset:2048
	;; [unrolled: 1-line block ×3, first 2 shown]
	s_waitcnt vmcnt(3)
	v_lshlrev_b32_e32 v2, 16, v1
	v_and_b32_e32 v4, 0xffff0000, v1
	s_waitcnt vmcnt(2)
	v_lshlrev_b32_e32 v5, 16, v3
	s_waitcnt vmcnt(1)
	v_lshlrev_b32_e32 v9, 16, v7
	v_and_b32_e32 v12, 0xffff0000, v7
	v_cvt_f64_f32_e32 v[1:2], v2
	s_waitcnt vmcnt(0)
	v_lshlrev_b32_e32 v13, 16, v11
	v_cvt_f64_f32_e32 v[5:6], v5
	v_and_b32_e32 v15, 0xffff0000, v11
	v_cvt_f64_f32_e32 v[11:12], v12
	v_cvt_f64_f32_e32 v[9:10], v9
	;; [unrolled: 1-line block ×3, first 2 shown]
	s_delay_alu instid0(VALU_DEP_4) | instskip(SKIP_2) | instid1(VALU_DEP_4)
	v_cvt_f64_f32_e32 v[15:16], v15
	v_rsq_f64_e32 v[17:18], v[1:2]
	v_rsq_f64_e32 v[21:22], v[5:6]
	;; [unrolled: 1-line block ×3, first 2 shown]
	s_delay_alu instid0(VALU_DEP_3) | instskip(NEXT) | instid1(VALU_DEP_2)
	v_rsq_f64_e32 v[25:26], v[9:10]
	v_rsq_f64_e32 v[29:30], v[13:14]
	s_delay_alu instid0(VALU_DEP_1)
	v_rsq_f64_e32 v[31:32], v[15:16]
	v_mul_f64 v[1:2], v[17:18], -v[1:2]
	v_cmp_class_f64_e64 vcc_lo, v[17:18], 0x180
	v_mul_f64 v[5:6], v[21:22], -v[5:6]
	v_cmp_class_f64_e64 s1, v[21:22], 0x180
	v_mul_f64 v[11:12], v[27:28], -v[11:12]
	s_delay_alu instid0(TRANS32_DEP_3) | instskip(NEXT) | instid1(TRANS32_DEP_2)
	v_mul_f64 v[9:10], v[25:26], -v[9:10]
	v_mul_f64 v[13:14], v[29:30], -v[13:14]
	v_cmp_class_f64_e64 s4, v[27:28], 0x180
	s_delay_alu instid0(TRANS32_DEP_1)
	v_mul_f64 v[15:16], v[31:32], -v[15:16]
	v_cmp_class_f64_e64 s3, v[25:26], 0x180
	v_cmp_class_f64_e64 s6, v[31:32], 0x180
	;; [unrolled: 1-line block ×3, first 2 shown]
	v_fma_f64 v[1:2], v[1:2], v[17:18], 1.0
	v_fma_f64 v[5:6], v[5:6], v[21:22], 1.0
	;; [unrolled: 1-line block ×6, first 2 shown]
	v_mul_f64 v[33:34], v[17:18], v[1:2]
	v_fma_f64 v[1:2], 0x3fd80000, v[1:2], 0.5
	v_mul_f64 v[37:38], v[21:22], v[5:6]
	v_fma_f64 v[5:6], 0x3fd80000, v[5:6], 0.5
	;; [unrolled: 2-line block ×6, first 2 shown]
	v_fma_f64 v[1:2], v[33:34], v[1:2], v[17:18]
	v_and_b32_e32 v8, 0xffff0000, v3
	v_cvt_f64_f32_e32 v[3:4], v4
	v_fma_f64 v[5:6], v[37:38], v[5:6], v[21:22]
	v_fma_f64 v[11:12], v[43:44], v[11:12], v[27:28]
	;; [unrolled: 1-line block ×5, first 2 shown]
	v_cndmask_b32_e32 v1, v17, v1, vcc_lo
	v_cvt_f64_f32_e32 v[7:8], v8
	v_rsq_f64_e32 v[19:20], v[3:4]
	v_cndmask_b32_e32 v2, v18, v2, vcc_lo
	v_cndmask_b32_e64 v6, v22, v6, s1
	v_cndmask_b32_e64 v5, v21, v5, s1
	;; [unrolled: 1-line block ×4, first 2 shown]
	v_cvt_f32_f64_e32 v1, v[1:2]
	v_cndmask_b32_e64 v10, v26, v10, s3
	v_cndmask_b32_e64 v9, v25, v9, s3
	;; [unrolled: 1-line block ×6, first 2 shown]
	v_rsq_f64_e32 v[23:24], v[7:8]
	s_delay_alu instid0(TRANS32_DEP_2)
	v_mul_f64 v[3:4], v[19:20], -v[3:4]
	v_cmp_class_f64_e64 s0, v[19:20], 0x180
	s_waitcnt_depctr 0xfff
	v_mul_f64 v[7:8], v[23:24], -v[7:8]
	v_fma_f64 v[3:4], v[3:4], v[19:20], 1.0
	v_cmp_class_f64_e64 s2, v[23:24], 0x180
	s_delay_alu instid0(VALU_DEP_3) | instskip(NEXT) | instid1(VALU_DEP_3)
	v_fma_f64 v[7:8], v[7:8], v[23:24], 1.0
	v_mul_f64 v[35:36], v[19:20], v[3:4]
	v_fma_f64 v[3:4], 0x3fd80000, v[3:4], 0.5
	s_delay_alu instid0(VALU_DEP_3) | instskip(SKIP_1) | instid1(VALU_DEP_3)
	v_mul_f64 v[39:40], v[23:24], v[7:8]
	v_fma_f64 v[7:8], 0x3fd80000, v[7:8], 0.5
	v_fma_f64 v[3:4], v[35:36], v[3:4], v[19:20]
	s_delay_alu instid0(VALU_DEP_2) | instskip(NEXT) | instid1(VALU_DEP_2)
	v_fma_f64 v[7:8], v[39:40], v[7:8], v[23:24]
	v_cndmask_b32_e64 v4, v20, v4, s0
	s_delay_alu instid0(VALU_DEP_3) | instskip(SKIP_1) | instid1(VALU_DEP_1)
	v_cndmask_b32_e64 v3, v19, v3, s0
	s_mov_b32 s0, 0
	v_cvt_f32_f64_e32 v2, v[3:4]
	v_cvt_f32_f64_e32 v3, v[5:6]
	;; [unrolled: 1-line block ×4, first 2 shown]
	v_bfe_u32 v9, v1, 16, 1
	s_delay_alu instid0(VALU_DEP_1) | instskip(NEXT) | instid1(VALU_DEP_1)
	v_add3_u32 v9, v1, v9, 0x7fff
	v_lshrrev_b32_e32 v9, 16, v9
	v_cndmask_b32_e64 v8, v24, v8, s2
	v_cndmask_b32_e64 v7, v23, v7, s2
	s_add_u32 s2, s8, s14
	s_addc_u32 s3, s9, s15
	s_delay_alu instid0(VALU_DEP_1)
	v_cvt_f32_f64_e32 v4, v[7:8]
	v_cvt_f32_f64_e32 v8, v[15:16]
	;; [unrolled: 1-line block ×3, first 2 shown]
	v_bfe_u32 v10, v2, 16, 1
	v_cmp_o_f32_e32 vcc_lo, v2, v2
	v_bfe_u32 v11, v3, 16, 1
	v_bfe_u32 v14, v6, 16, 1
	;; [unrolled: 1-line block ×3, first 2 shown]
	v_add3_u32 v10, v2, v10, 0x7fff
	s_delay_alu instid0(VALU_DEP_4) | instskip(NEXT) | instid1(VALU_DEP_4)
	v_add3_u32 v11, v3, v11, 0x7fff
	v_add3_u32 v14, v6, v14, 0x7fff
	s_delay_alu instid0(VALU_DEP_4) | instskip(NEXT) | instid1(VALU_DEP_4)
	v_add3_u32 v13, v5, v13, 0x7fff
	v_and_b32_e32 v10, 0xffff0000, v10
	s_delay_alu instid0(VALU_DEP_4) | instskip(NEXT) | instid1(VALU_DEP_4)
	v_lshrrev_b32_e32 v11, 16, v11
	v_and_b32_e32 v14, 0xffff0000, v14
	s_delay_alu instid0(VALU_DEP_4) | instskip(NEXT) | instid1(VALU_DEP_4)
	v_lshrrev_b32_e32 v13, 16, v13
	v_cndmask_b32_e32 v2, 0x7fc00000, v10, vcc_lo
	v_cmp_o_f32_e32 vcc_lo, v1, v1
	v_cndmask_b32_e32 v1, 0x7fc0, v9, vcc_lo
	s_delay_alu instid0(VALU_DEP_1) | instskip(SKIP_4) | instid1(VALU_DEP_4)
	v_or_b32_e32 v1, v2, v1
	v_bfe_u32 v12, v4, 16, 1
	v_cmp_o_f32_e32 vcc_lo, v4, v4
	v_bfe_u32 v16, v8, 16, 1
	v_bfe_u32 v15, v7, 16, 1
	v_add3_u32 v12, v4, v12, 0x7fff
	s_delay_alu instid0(VALU_DEP_3) | instskip(NEXT) | instid1(VALU_DEP_3)
	v_add3_u32 v16, v8, v16, 0x7fff
	v_add3_u32 v15, v7, v15, 0x7fff
	s_delay_alu instid0(VALU_DEP_3) | instskip(NEXT) | instid1(VALU_DEP_3)
	v_and_b32_e32 v12, 0xffff0000, v12
	v_and_b32_e32 v16, 0xffff0000, v16
	s_delay_alu instid0(VALU_DEP_3) | instskip(NEXT) | instid1(VALU_DEP_3)
	v_lshrrev_b32_e32 v15, 16, v15
	v_cndmask_b32_e32 v4, 0x7fc00000, v12, vcc_lo
	v_cmp_o_f32_e32 vcc_lo, v3, v3
	v_cndmask_b32_e32 v3, 0x7fc0, v11, vcc_lo
	v_cmp_o_f32_e32 vcc_lo, v6, v6
	s_delay_alu instid0(VALU_DEP_2) | instskip(SKIP_4) | instid1(VALU_DEP_2)
	v_or_b32_e32 v2, v4, v3
	v_cndmask_b32_e32 v6, 0x7fc00000, v14, vcc_lo
	v_cmp_o_f32_e32 vcc_lo, v5, v5
	v_cndmask_b32_e32 v5, 0x7fc0, v13, vcc_lo
	v_cmp_o_f32_e32 vcc_lo, v8, v8
	v_or_b32_e32 v3, v6, v5
	v_cndmask_b32_e32 v8, 0x7fc00000, v16, vcc_lo
	v_cmp_o_f32_e32 vcc_lo, v7, v7
	v_cndmask_b32_e32 v7, 0x7fc0, v15, vcc_lo
	s_delay_alu instid0(VALU_DEP_1)
	v_or_b32_e32 v4, v8, v7
	s_clause 0x3
	global_store_b32 v49, v1, s[2:3]
	global_store_b32 v49, v2, s[2:3] offset:1024
	global_store_b32 v49, v3, s[2:3] offset:2048
	;; [unrolled: 1-line block ×3, first 2 shown]
.LBB205_2:
	s_and_not1_b32 vcc_lo, exec_lo, s0
	s_cbranch_vccnz .LBB205_41
; %bb.3:
	v_cmp_gt_i32_e32 vcc_lo, s7, v0
	v_dual_mov_b32 v7, 0 :: v_dual_mov_b32 v8, 0
	v_or_b32_e32 v1, s12, v0
	v_or_b32_e32 v3, 0x100, v0
	v_mov_b32_e32 v5, v0
	s_and_saveexec_b32 s1, vcc_lo
	s_cbranch_execz .LBB205_5
; %bb.4:
	v_mov_b32_e32 v2, 0
	s_delay_alu instid0(VALU_DEP_1) | instskip(NEXT) | instid1(VALU_DEP_1)
	v_lshlrev_b64 v[4:5], 1, v[1:2]
	v_add_co_u32 v4, s0, s10, v4
	s_delay_alu instid0(VALU_DEP_1)
	v_add_co_ci_u32_e64 v5, s0, s11, v5, s0
	global_load_u16 v8, v[4:5], off
	v_or_b32_e32 v5, 0x100, v0
.LBB205_5:
	s_or_b32 exec_lo, exec_lo, s1
	s_delay_alu instid0(SALU_CYCLE_1) | instskip(NEXT) | instid1(VALU_DEP_1)
	s_mov_b32 s1, exec_lo
	v_cmpx_gt_i32_e64 s7, v5
	s_cbranch_execz .LBB205_7
; %bb.6:
	v_dual_mov_b32 v7, 0 :: v_dual_add_nc_u32 v6, s12, v5
	v_add_nc_u32_e32 v5, 0x100, v5
	s_delay_alu instid0(VALU_DEP_2) | instskip(NEXT) | instid1(VALU_DEP_1)
	v_lshlrev_b64 v[6:7], 1, v[6:7]
	v_add_co_u32 v6, s0, s10, v6
	s_delay_alu instid0(VALU_DEP_1)
	v_add_co_ci_u32_e64 v7, s0, s11, v7, s0
	global_load_u16 v7, v[6:7], off
.LBB205_7:
	s_or_b32 exec_lo, exec_lo, s1
	v_dual_mov_b32 v6, 0 :: v_dual_mov_b32 v11, 0
	s_mov_b32 s1, exec_lo
	v_cmpx_gt_i32_e64 s7, v5
	s_cbranch_execz .LBB205_9
; %bb.8:
	v_dual_mov_b32 v10, 0 :: v_dual_add_nc_u32 v9, s12, v5
	v_add_nc_u32_e32 v5, 0x100, v5
	s_delay_alu instid0(VALU_DEP_2) | instskip(NEXT) | instid1(VALU_DEP_1)
	v_lshlrev_b64 v[9:10], 1, v[9:10]
	v_add_co_u32 v9, s0, s10, v9
	s_delay_alu instid0(VALU_DEP_1)
	v_add_co_ci_u32_e64 v10, s0, s11, v10, s0
	global_load_u16 v11, v[9:10], off
.LBB205_9:
	s_or_b32 exec_lo, exec_lo, s1
	s_delay_alu instid0(SALU_CYCLE_1)
	s_mov_b32 s1, exec_lo
	v_cmpx_gt_i32_e64 s7, v5
	s_cbranch_execz .LBB205_11
; %bb.10:
	v_dual_mov_b32 v10, 0 :: v_dual_add_nc_u32 v9, s12, v5
	v_add_nc_u32_e32 v5, 0x100, v5
	s_delay_alu instid0(VALU_DEP_2) | instskip(NEXT) | instid1(VALU_DEP_1)
	v_lshlrev_b64 v[9:10], 1, v[9:10]
	v_add_co_u32 v9, s0, s10, v9
	s_delay_alu instid0(VALU_DEP_1)
	v_add_co_ci_u32_e64 v10, s0, s11, v10, s0
	global_load_u16 v6, v[9:10], off
.LBB205_11:
	s_or_b32 exec_lo, exec_lo, s1
	v_mov_b32_e32 v4, 0
	v_mov_b32_e32 v10, 0
	s_mov_b32 s1, exec_lo
	v_cmpx_gt_i32_e64 s7, v5
	s_cbranch_execz .LBB205_13
; %bb.12:
	v_dual_mov_b32 v10, 0 :: v_dual_add_nc_u32 v9, s12, v5
	v_add_nc_u32_e32 v5, 0x100, v5
	s_delay_alu instid0(VALU_DEP_2) | instskip(NEXT) | instid1(VALU_DEP_1)
	v_lshlrev_b64 v[9:10], 1, v[9:10]
	v_add_co_u32 v9, s0, s10, v9
	s_delay_alu instid0(VALU_DEP_1)
	v_add_co_ci_u32_e64 v10, s0, s11, v10, s0
	global_load_u16 v10, v[9:10], off
.LBB205_13:
	s_or_b32 exec_lo, exec_lo, s1
	s_delay_alu instid0(SALU_CYCLE_1)
	s_mov_b32 s1, exec_lo
	v_cmpx_gt_i32_e64 s7, v5
	s_cbranch_execz .LBB205_15
; %bb.14:
	v_dual_mov_b32 v13, 0 :: v_dual_add_nc_u32 v12, s12, v5
	v_add_nc_u32_e32 v5, 0x100, v5
	s_delay_alu instid0(VALU_DEP_2) | instskip(NEXT) | instid1(VALU_DEP_1)
	v_lshlrev_b64 v[12:13], 1, v[12:13]
	v_add_co_u32 v12, s0, s10, v12
	s_delay_alu instid0(VALU_DEP_1)
	v_add_co_ci_u32_e64 v13, s0, s11, v13, s0
	global_load_u16 v4, v[12:13], off
.LBB205_15:
	s_or_b32 exec_lo, exec_lo, s1
	v_dual_mov_b32 v2, 0 :: v_dual_mov_b32 v9, 0
	s_mov_b32 s1, exec_lo
	v_cmpx_gt_i32_e64 s7, v5
	s_cbranch_execz .LBB205_42
; %bb.16:
	v_dual_mov_b32 v13, 0 :: v_dual_add_nc_u32 v12, s12, v5
	v_add_nc_u32_e32 v5, 0x100, v5
	s_delay_alu instid0(VALU_DEP_2) | instskip(NEXT) | instid1(VALU_DEP_1)
	v_lshlrev_b64 v[12:13], 1, v[12:13]
	v_add_co_u32 v12, s0, s10, v12
	s_delay_alu instid0(VALU_DEP_1) | instskip(SKIP_2) | instid1(SALU_CYCLE_1)
	v_add_co_ci_u32_e64 v13, s0, s11, v13, s0
	global_load_u16 v9, v[12:13], off
	s_or_b32 exec_lo, exec_lo, s1
	s_mov_b32 s1, exec_lo
	v_cmpx_gt_i32_e64 s7, v5
	s_cbranch_execnz .LBB205_43
.LBB205_17:
	s_or_b32 exec_lo, exec_lo, s1
                                        ; implicit-def: $vgpr5
	s_and_saveexec_b32 s1, vcc_lo
	s_cbranch_execz .LBB205_19
.LBB205_18:
	s_waitcnt vmcnt(0)
	v_lshlrev_b32_e32 v5, 16, v8
	s_delay_alu instid0(VALU_DEP_1) | instskip(NEXT) | instid1(VALU_DEP_1)
	v_cvt_f64_f32_e32 v[12:13], v5
	v_rsq_f64_e32 v[14:15], v[12:13]
	s_waitcnt_depctr 0xfff
	v_mul_f64 v[12:13], v[14:15], -v[12:13]
	v_cmp_class_f64_e64 s0, v[14:15], 0x180
	s_delay_alu instid0(VALU_DEP_2) | instskip(NEXT) | instid1(VALU_DEP_1)
	v_fma_f64 v[12:13], v[12:13], v[14:15], 1.0
	v_mul_f64 v[16:17], v[14:15], v[12:13]
	v_fma_f64 v[12:13], 0x3fd80000, v[12:13], 0.5
	s_delay_alu instid0(VALU_DEP_1) | instskip(NEXT) | instid1(VALU_DEP_1)
	v_fma_f64 v[12:13], v[16:17], v[12:13], v[14:15]
	v_cndmask_b32_e64 v13, v15, v13, s0
	s_delay_alu instid0(VALU_DEP_2) | instskip(NEXT) | instid1(VALU_DEP_1)
	v_cndmask_b32_e64 v12, v14, v12, s0
	v_cvt_f32_f64_e32 v5, v[12:13]
	s_delay_alu instid0(VALU_DEP_1) | instskip(SKIP_1) | instid1(VALU_DEP_2)
	v_bfe_u32 v8, v5, 16, 1
	v_cmp_o_f32_e64 s0, v5, v5
	v_add3_u32 v8, v5, v8, 0x7fff
	s_delay_alu instid0(VALU_DEP_1) | instskip(NEXT) | instid1(VALU_DEP_1)
	v_lshrrev_b32_e32 v8, 16, v8
	v_cndmask_b32_e64 v5, 0x7fc0, v8, s0
.LBB205_19:
	s_or_b32 exec_lo, exec_lo, s1
	s_delay_alu instid0(SALU_CYCLE_1)
	s_mov_b32 s1, exec_lo
                                        ; implicit-def: $vgpr8
	v_cmpx_gt_i32_e64 s7, v3
	s_cbranch_execz .LBB205_21
; %bb.20:
	s_waitcnt vmcnt(0)
	v_lshlrev_b32_e32 v7, 16, v7
	s_delay_alu instid0(VALU_DEP_1) | instskip(NEXT) | instid1(VALU_DEP_1)
	v_cvt_f64_f32_e32 v[7:8], v7
	v_rsq_f64_e32 v[12:13], v[7:8]
	s_waitcnt_depctr 0xfff
	v_mul_f64 v[7:8], v[12:13], -v[7:8]
	v_cmp_class_f64_e64 s0, v[12:13], 0x180
	s_delay_alu instid0(VALU_DEP_2) | instskip(NEXT) | instid1(VALU_DEP_1)
	v_fma_f64 v[7:8], v[7:8], v[12:13], 1.0
	v_mul_f64 v[14:15], v[12:13], v[7:8]
	v_fma_f64 v[7:8], 0x3fd80000, v[7:8], 0.5
	s_delay_alu instid0(VALU_DEP_1) | instskip(NEXT) | instid1(VALU_DEP_1)
	v_fma_f64 v[7:8], v[14:15], v[7:8], v[12:13]
	v_cndmask_b32_e64 v8, v13, v8, s0
	s_delay_alu instid0(VALU_DEP_2) | instskip(NEXT) | instid1(VALU_DEP_1)
	v_cndmask_b32_e64 v7, v12, v7, s0
	v_cvt_f32_f64_e32 v7, v[7:8]
	s_delay_alu instid0(VALU_DEP_1) | instskip(SKIP_1) | instid1(VALU_DEP_2)
	v_bfe_u32 v8, v7, 16, 1
	v_cmp_o_f32_e64 s0, v7, v7
	v_add3_u32 v8, v7, v8, 0x7fff
	s_delay_alu instid0(VALU_DEP_1) | instskip(NEXT) | instid1(VALU_DEP_1)
	v_lshrrev_b32_e32 v8, 16, v8
	v_cndmask_b32_e64 v8, 0x7fc0, v8, s0
.LBB205_21:
	s_or_b32 exec_lo, exec_lo, s1
	s_waitcnt vmcnt(0)
	v_or_b32_e32 v7, 0x200, v0
	s_delay_alu instid0(VALU_DEP_1) | instskip(NEXT) | instid1(VALU_DEP_1)
	v_cmp_gt_i32_e64 s0, s7, v7
                                        ; implicit-def: $vgpr7
	s_and_saveexec_b32 s1, s0
	s_cbranch_execz .LBB205_23
; %bb.22:
	v_lshlrev_b32_e32 v7, 16, v11
	s_delay_alu instid0(VALU_DEP_1) | instskip(NEXT) | instid1(VALU_DEP_1)
	v_cvt_f64_f32_e32 v[11:12], v7
	v_rsq_f64_e32 v[13:14], v[11:12]
	s_waitcnt_depctr 0xfff
	v_mul_f64 v[11:12], v[13:14], -v[11:12]
	v_cmp_class_f64_e64 s0, v[13:14], 0x180
	s_delay_alu instid0(VALU_DEP_2) | instskip(NEXT) | instid1(VALU_DEP_1)
	v_fma_f64 v[11:12], v[11:12], v[13:14], 1.0
	v_mul_f64 v[15:16], v[13:14], v[11:12]
	v_fma_f64 v[11:12], 0x3fd80000, v[11:12], 0.5
	s_delay_alu instid0(VALU_DEP_1) | instskip(NEXT) | instid1(VALU_DEP_1)
	v_fma_f64 v[11:12], v[15:16], v[11:12], v[13:14]
	v_cndmask_b32_e64 v12, v14, v12, s0
	s_delay_alu instid0(VALU_DEP_2) | instskip(NEXT) | instid1(VALU_DEP_1)
	v_cndmask_b32_e64 v11, v13, v11, s0
	v_cvt_f32_f64_e32 v7, v[11:12]
	s_delay_alu instid0(VALU_DEP_1) | instskip(SKIP_1) | instid1(VALU_DEP_2)
	v_bfe_u32 v11, v7, 16, 1
	v_cmp_o_f32_e64 s0, v7, v7
	v_add3_u32 v11, v7, v11, 0x7fff
	s_delay_alu instid0(VALU_DEP_1) | instskip(NEXT) | instid1(VALU_DEP_1)
	v_lshrrev_b32_e32 v11, 16, v11
	v_cndmask_b32_e64 v7, 0x7fc0, v11, s0
.LBB205_23:
	s_or_b32 exec_lo, exec_lo, s1
	v_or_b32_e32 v11, 0x300, v0
	s_delay_alu instid0(VALU_DEP_1) | instskip(NEXT) | instid1(VALU_DEP_1)
	v_cmp_gt_i32_e64 s0, s7, v11
                                        ; implicit-def: $vgpr11
	s_and_saveexec_b32 s1, s0
	s_cbranch_execz .LBB205_25
; %bb.24:
	v_lshlrev_b32_e32 v6, 16, v6
	s_delay_alu instid0(VALU_DEP_1) | instskip(NEXT) | instid1(VALU_DEP_1)
	v_cvt_f64_f32_e32 v[11:12], v6
	v_rsq_f64_e32 v[13:14], v[11:12]
	s_waitcnt_depctr 0xfff
	v_mul_f64 v[11:12], v[13:14], -v[11:12]
	v_cmp_class_f64_e64 s0, v[13:14], 0x180
	s_delay_alu instid0(VALU_DEP_2) | instskip(NEXT) | instid1(VALU_DEP_1)
	v_fma_f64 v[11:12], v[11:12], v[13:14], 1.0
	v_mul_f64 v[15:16], v[13:14], v[11:12]
	v_fma_f64 v[11:12], 0x3fd80000, v[11:12], 0.5
	s_delay_alu instid0(VALU_DEP_1) | instskip(NEXT) | instid1(VALU_DEP_1)
	v_fma_f64 v[11:12], v[15:16], v[11:12], v[13:14]
	v_cndmask_b32_e64 v12, v14, v12, s0
	s_delay_alu instid0(VALU_DEP_2) | instskip(NEXT) | instid1(VALU_DEP_1)
	v_cndmask_b32_e64 v11, v13, v11, s0
	v_cvt_f32_f64_e32 v6, v[11:12]
	s_delay_alu instid0(VALU_DEP_1) | instskip(SKIP_1) | instid1(VALU_DEP_2)
	v_bfe_u32 v11, v6, 16, 1
	v_cmp_o_f32_e64 s0, v6, v6
	v_add3_u32 v11, v6, v11, 0x7fff
	s_delay_alu instid0(VALU_DEP_1) | instskip(NEXT) | instid1(VALU_DEP_1)
	v_lshrrev_b32_e32 v11, 16, v11
	v_cndmask_b32_e64 v11, 0x7fc0, v11, s0
.LBB205_25:
	s_or_b32 exec_lo, exec_lo, s1
	v_or_b32_e32 v6, 0x400, v0
	s_delay_alu instid0(VALU_DEP_1) | instskip(NEXT) | instid1(VALU_DEP_1)
	v_cmp_gt_i32_e64 s0, s7, v6
                                        ; implicit-def: $vgpr6
	s_and_saveexec_b32 s1, s0
	s_cbranch_execz .LBB205_27
; %bb.26:
	v_lshlrev_b32_e32 v6, 16, v10
	s_delay_alu instid0(VALU_DEP_1) | instskip(NEXT) | instid1(VALU_DEP_1)
	v_cvt_f64_f32_e32 v[12:13], v6
	v_rsq_f64_e32 v[14:15], v[12:13]
	s_waitcnt_depctr 0xfff
	v_mul_f64 v[12:13], v[14:15], -v[12:13]
	v_cmp_class_f64_e64 s0, v[14:15], 0x180
	s_delay_alu instid0(VALU_DEP_2) | instskip(NEXT) | instid1(VALU_DEP_1)
	v_fma_f64 v[12:13], v[12:13], v[14:15], 1.0
	v_mul_f64 v[16:17], v[14:15], v[12:13]
	v_fma_f64 v[12:13], 0x3fd80000, v[12:13], 0.5
	s_delay_alu instid0(VALU_DEP_1) | instskip(NEXT) | instid1(VALU_DEP_1)
	v_fma_f64 v[12:13], v[16:17], v[12:13], v[14:15]
	v_cndmask_b32_e64 v13, v15, v13, s0
	s_delay_alu instid0(VALU_DEP_2) | instskip(NEXT) | instid1(VALU_DEP_1)
	v_cndmask_b32_e64 v12, v14, v12, s0
	v_cvt_f32_f64_e32 v6, v[12:13]
	s_delay_alu instid0(VALU_DEP_1) | instskip(SKIP_1) | instid1(VALU_DEP_2)
	v_bfe_u32 v10, v6, 16, 1
	v_cmp_o_f32_e64 s0, v6, v6
	v_add3_u32 v10, v6, v10, 0x7fff
	s_delay_alu instid0(VALU_DEP_1) | instskip(NEXT) | instid1(VALU_DEP_1)
	v_lshrrev_b32_e32 v10, 16, v10
	v_cndmask_b32_e64 v6, 0x7fc0, v10, s0
.LBB205_27:
	s_or_b32 exec_lo, exec_lo, s1
	v_or_b32_e32 v10, 0x500, v0
	s_delay_alu instid0(VALU_DEP_1) | instskip(NEXT) | instid1(VALU_DEP_1)
	v_cmp_gt_i32_e64 s0, s7, v10
                                        ; implicit-def: $vgpr10
	s_and_saveexec_b32 s1, s0
	s_cbranch_execz .LBB205_29
; %bb.28:
	v_lshlrev_b32_e32 v4, 16, v4
	s_delay_alu instid0(VALU_DEP_1) | instskip(NEXT) | instid1(VALU_DEP_1)
	v_cvt_f64_f32_e32 v[12:13], v4
	v_rsq_f64_e32 v[14:15], v[12:13]
	s_waitcnt_depctr 0xfff
	v_mul_f64 v[12:13], v[14:15], -v[12:13]
	v_cmp_class_f64_e64 s0, v[14:15], 0x180
	s_delay_alu instid0(VALU_DEP_2) | instskip(NEXT) | instid1(VALU_DEP_1)
	v_fma_f64 v[12:13], v[12:13], v[14:15], 1.0
	v_mul_f64 v[16:17], v[14:15], v[12:13]
	v_fma_f64 v[12:13], 0x3fd80000, v[12:13], 0.5
	s_delay_alu instid0(VALU_DEP_1) | instskip(NEXT) | instid1(VALU_DEP_1)
	v_fma_f64 v[12:13], v[16:17], v[12:13], v[14:15]
	v_cndmask_b32_e64 v13, v15, v13, s0
	s_delay_alu instid0(VALU_DEP_2) | instskip(NEXT) | instid1(VALU_DEP_1)
	v_cndmask_b32_e64 v12, v14, v12, s0
	v_cvt_f32_f64_e32 v4, v[12:13]
	s_delay_alu instid0(VALU_DEP_1) | instskip(SKIP_1) | instid1(VALU_DEP_2)
	v_bfe_u32 v10, v4, 16, 1
	v_cmp_o_f32_e64 s0, v4, v4
	v_add3_u32 v10, v4, v10, 0x7fff
	s_delay_alu instid0(VALU_DEP_1) | instskip(NEXT) | instid1(VALU_DEP_1)
	v_lshrrev_b32_e32 v10, 16, v10
	v_cndmask_b32_e64 v10, 0x7fc0, v10, s0
.LBB205_29:
	s_or_b32 exec_lo, exec_lo, s1
	v_or_b32_e32 v4, 0x600, v0
	s_delay_alu instid0(VALU_DEP_1) | instskip(NEXT) | instid1(VALU_DEP_1)
	v_cmp_gt_i32_e64 s0, s7, v4
                                        ; implicit-def: $vgpr4
	s_and_saveexec_b32 s1, s0
	s_cbranch_execz .LBB205_31
; %bb.30:
	v_lshlrev_b32_e32 v4, 16, v9
	s_delay_alu instid0(VALU_DEP_1) | instskip(NEXT) | instid1(VALU_DEP_1)
	v_cvt_f64_f32_e32 v[12:13], v4
	v_rsq_f64_e32 v[14:15], v[12:13]
	s_waitcnt_depctr 0xfff
	v_mul_f64 v[12:13], v[14:15], -v[12:13]
	v_cmp_class_f64_e64 s0, v[14:15], 0x180
	s_delay_alu instid0(VALU_DEP_2) | instskip(NEXT) | instid1(VALU_DEP_1)
	v_fma_f64 v[12:13], v[12:13], v[14:15], 1.0
	v_mul_f64 v[16:17], v[14:15], v[12:13]
	v_fma_f64 v[12:13], 0x3fd80000, v[12:13], 0.5
	s_delay_alu instid0(VALU_DEP_1) | instskip(NEXT) | instid1(VALU_DEP_1)
	v_fma_f64 v[12:13], v[16:17], v[12:13], v[14:15]
	v_cndmask_b32_e64 v13, v15, v13, s0
	s_delay_alu instid0(VALU_DEP_2) | instskip(NEXT) | instid1(VALU_DEP_1)
	v_cndmask_b32_e64 v12, v14, v12, s0
	v_cvt_f32_f64_e32 v4, v[12:13]
	s_delay_alu instid0(VALU_DEP_1) | instskip(SKIP_1) | instid1(VALU_DEP_2)
	v_bfe_u32 v9, v4, 16, 1
	v_cmp_o_f32_e64 s0, v4, v4
	v_add3_u32 v9, v4, v9, 0x7fff
	s_delay_alu instid0(VALU_DEP_1) | instskip(NEXT) | instid1(VALU_DEP_1)
	v_lshrrev_b32_e32 v9, 16, v9
	v_cndmask_b32_e64 v4, 0x7fc0, v9, s0
.LBB205_31:
	s_or_b32 exec_lo, exec_lo, s1
	v_or_b32_e32 v9, 0x700, v0
	s_delay_alu instid0(VALU_DEP_1) | instskip(NEXT) | instid1(VALU_DEP_1)
	v_cmp_gt_i32_e64 s0, s7, v9
                                        ; implicit-def: $vgpr9
	s_and_saveexec_b32 s1, s0
	s_cbranch_execz .LBB205_44
; %bb.32:
	v_lshlrev_b32_e32 v2, 16, v2
	s_delay_alu instid0(VALU_DEP_1) | instskip(NEXT) | instid1(VALU_DEP_1)
	v_cvt_f64_f32_e32 v[12:13], v2
	v_rsq_f64_e32 v[14:15], v[12:13]
	s_waitcnt_depctr 0xfff
	v_mul_f64 v[12:13], v[14:15], -v[12:13]
	v_cmp_class_f64_e64 s0, v[14:15], 0x180
	s_delay_alu instid0(VALU_DEP_2) | instskip(NEXT) | instid1(VALU_DEP_1)
	v_fma_f64 v[12:13], v[12:13], v[14:15], 1.0
	v_mul_f64 v[16:17], v[14:15], v[12:13]
	v_fma_f64 v[12:13], 0x3fd80000, v[12:13], 0.5
	s_delay_alu instid0(VALU_DEP_1) | instskip(NEXT) | instid1(VALU_DEP_1)
	v_fma_f64 v[12:13], v[16:17], v[12:13], v[14:15]
	v_cndmask_b32_e64 v13, v15, v13, s0
	s_delay_alu instid0(VALU_DEP_2) | instskip(NEXT) | instid1(VALU_DEP_1)
	v_cndmask_b32_e64 v12, v14, v12, s0
	v_cvt_f32_f64_e32 v2, v[12:13]
	s_delay_alu instid0(VALU_DEP_1) | instskip(SKIP_1) | instid1(VALU_DEP_2)
	v_bfe_u32 v9, v2, 16, 1
	v_cmp_o_f32_e64 s0, v2, v2
	v_add3_u32 v9, v2, v9, 0x7fff
	s_delay_alu instid0(VALU_DEP_1) | instskip(NEXT) | instid1(VALU_DEP_1)
	v_lshrrev_b32_e32 v9, 16, v9
	v_cndmask_b32_e64 v9, 0x7fc0, v9, s0
	s_or_b32 exec_lo, exec_lo, s1
	s_and_saveexec_b32 s0, vcc_lo
	s_delay_alu instid0(SALU_CYCLE_1)
	s_xor_b32 s0, exec_lo, s0
	s_cbranch_execnz .LBB205_45
.LBB205_33:
	s_or_b32 exec_lo, exec_lo, s0
	s_delay_alu instid0(SALU_CYCLE_1)
	s_mov_b32 s0, exec_lo
	v_cmpx_gt_i32_e64 s7, v0
	s_cbranch_execz .LBB205_46
.LBB205_34:
	v_dual_mov_b32 v2, 0 :: v_dual_add_nc_u32 v1, s12, v0
	v_add_nc_u32_e32 v0, 0x100, v0
	s_delay_alu instid0(VALU_DEP_2) | instskip(NEXT) | instid1(VALU_DEP_1)
	v_lshlrev_b64 v[1:2], 1, v[1:2]
	v_add_co_u32 v1, vcc_lo, s8, v1
	s_delay_alu instid0(VALU_DEP_2) | instskip(SKIP_2) | instid1(SALU_CYCLE_1)
	v_add_co_ci_u32_e32 v2, vcc_lo, s9, v2, vcc_lo
	global_store_b16 v[1:2], v8, off
	s_or_b32 exec_lo, exec_lo, s0
	s_mov_b32 s0, exec_lo
	v_cmpx_gt_i32_e64 s7, v0
	s_cbranch_execnz .LBB205_47
.LBB205_35:
	s_or_b32 exec_lo, exec_lo, s0
	s_delay_alu instid0(SALU_CYCLE_1)
	s_mov_b32 s0, exec_lo
	v_cmpx_gt_i32_e64 s7, v0
	s_cbranch_execz .LBB205_48
.LBB205_36:
	v_dual_mov_b32 v2, 0 :: v_dual_add_nc_u32 v1, s12, v0
	v_add_nc_u32_e32 v0, 0x100, v0
	s_delay_alu instid0(VALU_DEP_2) | instskip(NEXT) | instid1(VALU_DEP_1)
	v_lshlrev_b64 v[1:2], 1, v[1:2]
	v_add_co_u32 v1, vcc_lo, s8, v1
	s_delay_alu instid0(VALU_DEP_2) | instskip(SKIP_2) | instid1(SALU_CYCLE_1)
	v_add_co_ci_u32_e32 v2, vcc_lo, s9, v2, vcc_lo
	global_store_b16 v[1:2], v11, off
	s_or_b32 exec_lo, exec_lo, s0
	s_mov_b32 s0, exec_lo
	v_cmpx_gt_i32_e64 s7, v0
	s_cbranch_execnz .LBB205_49
.LBB205_37:
	s_or_b32 exec_lo, exec_lo, s0
	s_delay_alu instid0(SALU_CYCLE_1)
	s_mov_b32 s0, exec_lo
	v_cmpx_gt_i32_e64 s7, v0
	s_cbranch_execz .LBB205_50
.LBB205_38:
	v_dual_mov_b32 v2, 0 :: v_dual_add_nc_u32 v1, s12, v0
	v_add_nc_u32_e32 v0, 0x100, v0
	s_delay_alu instid0(VALU_DEP_2) | instskip(NEXT) | instid1(VALU_DEP_1)
	v_lshlrev_b64 v[1:2], 1, v[1:2]
	v_add_co_u32 v1, vcc_lo, s8, v1
	s_delay_alu instid0(VALU_DEP_2) | instskip(SKIP_2) | instid1(SALU_CYCLE_1)
	v_add_co_ci_u32_e32 v2, vcc_lo, s9, v2, vcc_lo
	global_store_b16 v[1:2], v10, off
	s_or_b32 exec_lo, exec_lo, s0
	s_mov_b32 s0, exec_lo
	v_cmpx_gt_i32_e64 s7, v0
	s_cbranch_execnz .LBB205_51
.LBB205_39:
	s_or_b32 exec_lo, exec_lo, s0
	s_delay_alu instid0(SALU_CYCLE_1)
	s_mov_b32 s0, exec_lo
	v_cmpx_gt_i32_e64 s7, v0
	s_cbranch_execz .LBB205_41
.LBB205_40:
	v_dual_mov_b32 v1, 0 :: v_dual_add_nc_u32 v0, s12, v0
	s_delay_alu instid0(VALU_DEP_1) | instskip(NEXT) | instid1(VALU_DEP_1)
	v_lshlrev_b64 v[0:1], 1, v[0:1]
	v_add_co_u32 v0, vcc_lo, s8, v0
	s_delay_alu instid0(VALU_DEP_2)
	v_add_co_ci_u32_e32 v1, vcc_lo, s9, v1, vcc_lo
	global_store_b16 v[0:1], v9, off
.LBB205_41:
	s_nop 0
	s_sendmsg sendmsg(MSG_DEALLOC_VGPRS)
	s_endpgm
.LBB205_42:
	s_or_b32 exec_lo, exec_lo, s1
	s_delay_alu instid0(SALU_CYCLE_1)
	s_mov_b32 s1, exec_lo
	v_cmpx_gt_i32_e64 s7, v5
	s_cbranch_execz .LBB205_17
.LBB205_43:
	v_dual_mov_b32 v13, 0 :: v_dual_add_nc_u32 v12, s12, v5
	s_delay_alu instid0(VALU_DEP_1) | instskip(NEXT) | instid1(VALU_DEP_1)
	v_lshlrev_b64 v[12:13], 1, v[12:13]
	v_add_co_u32 v12, s0, s10, v12
	s_delay_alu instid0(VALU_DEP_1)
	v_add_co_ci_u32_e64 v13, s0, s11, v13, s0
	global_load_u16 v2, v[12:13], off
	s_or_b32 exec_lo, exec_lo, s1
                                        ; implicit-def: $vgpr5
	s_and_saveexec_b32 s1, vcc_lo
	s_cbranch_execz .LBB205_19
	s_branch .LBB205_18
.LBB205_44:
	s_or_b32 exec_lo, exec_lo, s1
	s_and_saveexec_b32 s0, vcc_lo
	s_delay_alu instid0(SALU_CYCLE_1)
	s_xor_b32 s0, exec_lo, s0
	s_cbranch_execz .LBB205_33
.LBB205_45:
	v_mov_b32_e32 v2, 0
	s_delay_alu instid0(VALU_DEP_1) | instskip(NEXT) | instid1(VALU_DEP_1)
	v_lshlrev_b64 v[0:1], 1, v[1:2]
	v_add_co_u32 v12, vcc_lo, s8, v0
	s_delay_alu instid0(VALU_DEP_2) | instskip(SKIP_3) | instid1(SALU_CYCLE_1)
	v_add_co_ci_u32_e32 v13, vcc_lo, s9, v1, vcc_lo
	v_mov_b32_e32 v0, v3
	global_store_b16 v[12:13], v5, off
	s_or_b32 exec_lo, exec_lo, s0
	s_mov_b32 s0, exec_lo
	v_cmpx_gt_i32_e64 s7, v0
	s_cbranch_execnz .LBB205_34
.LBB205_46:
	s_or_b32 exec_lo, exec_lo, s0
	s_delay_alu instid0(SALU_CYCLE_1)
	s_mov_b32 s0, exec_lo
	v_cmpx_gt_i32_e64 s7, v0
	s_cbranch_execz .LBB205_35
.LBB205_47:
	v_dual_mov_b32 v2, 0 :: v_dual_add_nc_u32 v1, s12, v0
	v_add_nc_u32_e32 v0, 0x100, v0
	s_delay_alu instid0(VALU_DEP_2) | instskip(NEXT) | instid1(VALU_DEP_1)
	v_lshlrev_b64 v[1:2], 1, v[1:2]
	v_add_co_u32 v1, vcc_lo, s8, v1
	s_delay_alu instid0(VALU_DEP_2) | instskip(SKIP_2) | instid1(SALU_CYCLE_1)
	v_add_co_ci_u32_e32 v2, vcc_lo, s9, v2, vcc_lo
	global_store_b16 v[1:2], v7, off
	s_or_b32 exec_lo, exec_lo, s0
	s_mov_b32 s0, exec_lo
	v_cmpx_gt_i32_e64 s7, v0
	s_cbranch_execnz .LBB205_36
.LBB205_48:
	s_or_b32 exec_lo, exec_lo, s0
	s_delay_alu instid0(SALU_CYCLE_1)
	s_mov_b32 s0, exec_lo
	v_cmpx_gt_i32_e64 s7, v0
	s_cbranch_execz .LBB205_37
.LBB205_49:
	v_dual_mov_b32 v2, 0 :: v_dual_add_nc_u32 v1, s12, v0
	v_add_nc_u32_e32 v0, 0x100, v0
	s_delay_alu instid0(VALU_DEP_2) | instskip(NEXT) | instid1(VALU_DEP_1)
	v_lshlrev_b64 v[1:2], 1, v[1:2]
	v_add_co_u32 v1, vcc_lo, s8, v1
	s_delay_alu instid0(VALU_DEP_2) | instskip(SKIP_2) | instid1(SALU_CYCLE_1)
	v_add_co_ci_u32_e32 v2, vcc_lo, s9, v2, vcc_lo
	global_store_b16 v[1:2], v6, off
	s_or_b32 exec_lo, exec_lo, s0
	s_mov_b32 s0, exec_lo
	v_cmpx_gt_i32_e64 s7, v0
	s_cbranch_execnz .LBB205_38
.LBB205_50:
	s_or_b32 exec_lo, exec_lo, s0
	s_delay_alu instid0(SALU_CYCLE_1)
	s_mov_b32 s0, exec_lo
	v_cmpx_gt_i32_e64 s7, v0
	s_cbranch_execz .LBB205_39
.LBB205_51:
	v_dual_mov_b32 v2, 0 :: v_dual_add_nc_u32 v1, s12, v0
	v_add_nc_u32_e32 v0, 0x100, v0
	s_delay_alu instid0(VALU_DEP_2) | instskip(NEXT) | instid1(VALU_DEP_1)
	v_lshlrev_b64 v[1:2], 1, v[1:2]
	v_add_co_u32 v1, vcc_lo, s8, v1
	s_delay_alu instid0(VALU_DEP_2) | instskip(SKIP_2) | instid1(SALU_CYCLE_1)
	v_add_co_ci_u32_e32 v2, vcc_lo, s9, v2, vcc_lo
	global_store_b16 v[1:2], v4, off
	s_or_b32 exec_lo, exec_lo, s0
	s_mov_b32 s0, exec_lo
	v_cmpx_gt_i32_e64 s7, v0
	s_cbranch_execnz .LBB205_40
	s_branch .LBB205_41
	.section	.rodata,"a",@progbits
	.p2align	6, 0x0
	.amdhsa_kernel _ZN2at6native29vectorized_elementwise_kernelILi2EZZZNS0_17rsqrt_kernel_cudaERNS_18TensorIteratorBaseEENKUlvE0_clEvENKUlvE1_clEvEUlN3c108BFloat16EE_St5arrayIPcLm2EEEEviT0_T1_
		.amdhsa_group_segment_fixed_size 0
		.amdhsa_private_segment_fixed_size 0
		.amdhsa_kernarg_size 24
		.amdhsa_user_sgpr_count 15
		.amdhsa_user_sgpr_dispatch_ptr 0
		.amdhsa_user_sgpr_queue_ptr 0
		.amdhsa_user_sgpr_kernarg_segment_ptr 1
		.amdhsa_user_sgpr_dispatch_id 0
		.amdhsa_user_sgpr_private_segment_size 0
		.amdhsa_wavefront_size32 1
		.amdhsa_uses_dynamic_stack 0
		.amdhsa_enable_private_segment 0
		.amdhsa_system_sgpr_workgroup_id_x 1
		.amdhsa_system_sgpr_workgroup_id_y 0
		.amdhsa_system_sgpr_workgroup_id_z 0
		.amdhsa_system_sgpr_workgroup_info 0
		.amdhsa_system_vgpr_workitem_id 0
		.amdhsa_next_free_vgpr 50
		.amdhsa_next_free_sgpr 16
		.amdhsa_reserve_vcc 1
		.amdhsa_float_round_mode_32 0
		.amdhsa_float_round_mode_16_64 0
		.amdhsa_float_denorm_mode_32 3
		.amdhsa_float_denorm_mode_16_64 3
		.amdhsa_dx10_clamp 1
		.amdhsa_ieee_mode 1
		.amdhsa_fp16_overflow 0
		.amdhsa_workgroup_processor_mode 1
		.amdhsa_memory_ordered 1
		.amdhsa_forward_progress 0
		.amdhsa_shared_vgpr_count 0
		.amdhsa_exception_fp_ieee_invalid_op 0
		.amdhsa_exception_fp_denorm_src 0
		.amdhsa_exception_fp_ieee_div_zero 0
		.amdhsa_exception_fp_ieee_overflow 0
		.amdhsa_exception_fp_ieee_underflow 0
		.amdhsa_exception_fp_ieee_inexact 0
		.amdhsa_exception_int_div_zero 0
	.end_amdhsa_kernel
	.section	.text._ZN2at6native29vectorized_elementwise_kernelILi2EZZZNS0_17rsqrt_kernel_cudaERNS_18TensorIteratorBaseEENKUlvE0_clEvENKUlvE1_clEvEUlN3c108BFloat16EE_St5arrayIPcLm2EEEEviT0_T1_,"axG",@progbits,_ZN2at6native29vectorized_elementwise_kernelILi2EZZZNS0_17rsqrt_kernel_cudaERNS_18TensorIteratorBaseEENKUlvE0_clEvENKUlvE1_clEvEUlN3c108BFloat16EE_St5arrayIPcLm2EEEEviT0_T1_,comdat
.Lfunc_end205:
	.size	_ZN2at6native29vectorized_elementwise_kernelILi2EZZZNS0_17rsqrt_kernel_cudaERNS_18TensorIteratorBaseEENKUlvE0_clEvENKUlvE1_clEvEUlN3c108BFloat16EE_St5arrayIPcLm2EEEEviT0_T1_, .Lfunc_end205-_ZN2at6native29vectorized_elementwise_kernelILi2EZZZNS0_17rsqrt_kernel_cudaERNS_18TensorIteratorBaseEENKUlvE0_clEvENKUlvE1_clEvEUlN3c108BFloat16EE_St5arrayIPcLm2EEEEviT0_T1_
                                        ; -- End function
	.section	.AMDGPU.csdata,"",@progbits
; Kernel info:
; codeLenInByte = 4276
; NumSgprs: 18
; NumVgprs: 50
; ScratchSize: 0
; MemoryBound: 0
; FloatMode: 240
; IeeeMode: 1
; LDSByteSize: 0 bytes/workgroup (compile time only)
; SGPRBlocks: 2
; VGPRBlocks: 6
; NumSGPRsForWavesPerEU: 18
; NumVGPRsForWavesPerEU: 50
; Occupancy: 16
; WaveLimiterHint : 1
; COMPUTE_PGM_RSRC2:SCRATCH_EN: 0
; COMPUTE_PGM_RSRC2:USER_SGPR: 15
; COMPUTE_PGM_RSRC2:TRAP_HANDLER: 0
; COMPUTE_PGM_RSRC2:TGID_X_EN: 1
; COMPUTE_PGM_RSRC2:TGID_Y_EN: 0
; COMPUTE_PGM_RSRC2:TGID_Z_EN: 0
; COMPUTE_PGM_RSRC2:TIDIG_COMP_CNT: 0
	.section	.text._ZN2at6native27unrolled_elementwise_kernelIZZZNS0_17rsqrt_kernel_cudaERNS_18TensorIteratorBaseEENKUlvE0_clEvENKUlvE1_clEvEUlN3c108BFloat16EE_St5arrayIPcLm2EELi4E23TrivialOffsetCalculatorILi1EjESD_NS0_6memory15LoadWithoutCastENSE_16StoreWithoutCastEEEviT_T0_T2_T3_T4_T5_,"axG",@progbits,_ZN2at6native27unrolled_elementwise_kernelIZZZNS0_17rsqrt_kernel_cudaERNS_18TensorIteratorBaseEENKUlvE0_clEvENKUlvE1_clEvEUlN3c108BFloat16EE_St5arrayIPcLm2EELi4E23TrivialOffsetCalculatorILi1EjESD_NS0_6memory15LoadWithoutCastENSE_16StoreWithoutCastEEEviT_T0_T2_T3_T4_T5_,comdat
	.globl	_ZN2at6native27unrolled_elementwise_kernelIZZZNS0_17rsqrt_kernel_cudaERNS_18TensorIteratorBaseEENKUlvE0_clEvENKUlvE1_clEvEUlN3c108BFloat16EE_St5arrayIPcLm2EELi4E23TrivialOffsetCalculatorILi1EjESD_NS0_6memory15LoadWithoutCastENSE_16StoreWithoutCastEEEviT_T0_T2_T3_T4_T5_ ; -- Begin function _ZN2at6native27unrolled_elementwise_kernelIZZZNS0_17rsqrt_kernel_cudaERNS_18TensorIteratorBaseEENKUlvE0_clEvENKUlvE1_clEvEUlN3c108BFloat16EE_St5arrayIPcLm2EELi4E23TrivialOffsetCalculatorILi1EjESD_NS0_6memory15LoadWithoutCastENSE_16StoreWithoutCastEEEviT_T0_T2_T3_T4_T5_
	.p2align	8
	.type	_ZN2at6native27unrolled_elementwise_kernelIZZZNS0_17rsqrt_kernel_cudaERNS_18TensorIteratorBaseEENKUlvE0_clEvENKUlvE1_clEvEUlN3c108BFloat16EE_St5arrayIPcLm2EELi4E23TrivialOffsetCalculatorILi1EjESD_NS0_6memory15LoadWithoutCastENSE_16StoreWithoutCastEEEviT_T0_T2_T3_T4_T5_,@function
_ZN2at6native27unrolled_elementwise_kernelIZZZNS0_17rsqrt_kernel_cudaERNS_18TensorIteratorBaseEENKUlvE0_clEvENKUlvE1_clEvEUlN3c108BFloat16EE_St5arrayIPcLm2EELi4E23TrivialOffsetCalculatorILi1EjESD_NS0_6memory15LoadWithoutCastENSE_16StoreWithoutCastEEEviT_T0_T2_T3_T4_T5_: ; @_ZN2at6native27unrolled_elementwise_kernelIZZZNS0_17rsqrt_kernel_cudaERNS_18TensorIteratorBaseEENKUlvE0_clEvENKUlvE1_clEvEUlN3c108BFloat16EE_St5arrayIPcLm2EELi4E23TrivialOffsetCalculatorILi1EjESD_NS0_6memory15LoadWithoutCastENSE_16StoreWithoutCastEEEviT_T0_T2_T3_T4_T5_
; %bb.0:
	s_clause 0x1
	s_load_b32 s2, s[0:1], 0x0
	s_load_b128 s[4:7], s[0:1], 0x8
	v_dual_mov_b32 v3, 0 :: v_dual_mov_b32 v2, v0
	v_mov_b32_e32 v4, 0
	s_lshl_b32 s1, s15, 10
	v_or_b32_e32 v11, 0x100, v0
	v_or_b32_e32 v1, s1, v0
	s_delay_alu instid0(VALU_DEP_3) | instskip(SKIP_2) | instid1(SALU_CYCLE_1)
	v_dual_mov_b32 v8, v4 :: v_dual_mov_b32 v7, v3
	s_waitcnt lgkmcnt(0)
	s_sub_i32 s2, s2, s1
	v_cmp_gt_i32_e32 vcc_lo, s2, v0
	s_and_saveexec_b32 s3, vcc_lo
	s_cbranch_execz .LBB206_2
; %bb.1:
	v_mov_b32_e32 v2, 0
	s_delay_alu instid0(VALU_DEP_1) | instskip(NEXT) | instid1(VALU_DEP_1)
	v_lshlrev_b64 v[5:6], 1, v[1:2]
	v_add_co_u32 v5, s0, s6, v5
	s_delay_alu instid0(VALU_DEP_1) | instskip(SKIP_3) | instid1(VALU_DEP_1)
	v_add_co_ci_u32_e64 v6, s0, s7, v6, s0
	global_load_u16 v2, v[5:6], off
	s_waitcnt vmcnt(0)
	v_lshlrev_b32_e32 v2, 16, v2
	v_cvt_f64_f32_e32 v[7:8], v2
	v_or_b32_e32 v2, 0x100, v0
.LBB206_2:
	s_or_b32 exec_lo, exec_lo, s3
	s_delay_alu instid0(SALU_CYCLE_1) | instskip(NEXT) | instid1(VALU_DEP_1)
	s_mov_b32 s3, exec_lo
	v_cmpx_gt_i32_e64 s2, v2
	s_cbranch_execz .LBB206_4
; %bb.3:
	v_dual_mov_b32 v4, 0 :: v_dual_add_nc_u32 v3, s1, v2
	v_add_nc_u32_e32 v2, 0x100, v2
	s_delay_alu instid0(VALU_DEP_2) | instskip(NEXT) | instid1(VALU_DEP_1)
	v_lshlrev_b64 v[3:4], 1, v[3:4]
	v_add_co_u32 v3, s0, s6, v3
	s_delay_alu instid0(VALU_DEP_1) | instskip(SKIP_3) | instid1(VALU_DEP_1)
	v_add_co_ci_u32_e64 v4, s0, s7, v4, s0
	global_load_u16 v3, v[3:4], off
	s_waitcnt vmcnt(0)
	v_lshlrev_b32_e32 v3, 16, v3
	v_cvt_f64_f32_e32 v[3:4], v3
.LBB206_4:
	s_or_b32 exec_lo, exec_lo, s3
	v_mov_b32_e32 v5, 0
	v_mov_b32_e32 v6, 0
	s_mov_b32 s3, exec_lo
	s_delay_alu instid0(VALU_DEP_1)
	v_dual_mov_b32 v10, v6 :: v_dual_mov_b32 v9, v5
	v_cmpx_gt_i32_e64 s2, v2
	s_cbranch_execz .LBB206_18
; %bb.5:
	v_dual_mov_b32 v10, 0 :: v_dual_add_nc_u32 v9, s1, v2
	v_add_nc_u32_e32 v2, 0x100, v2
	s_delay_alu instid0(VALU_DEP_2) | instskip(NEXT) | instid1(VALU_DEP_1)
	v_lshlrev_b64 v[9:10], 1, v[9:10]
	v_add_co_u32 v9, s0, s6, v9
	s_delay_alu instid0(VALU_DEP_1) | instskip(SKIP_3) | instid1(VALU_DEP_1)
	v_add_co_ci_u32_e64 v10, s0, s7, v10, s0
	global_load_u16 v9, v[9:10], off
	s_waitcnt vmcnt(0)
	v_lshlrev_b32_e32 v9, 16, v9
	v_cvt_f64_f32_e32 v[9:10], v9
	s_or_b32 exec_lo, exec_lo, s3
	s_delay_alu instid0(SALU_CYCLE_1)
	s_mov_b32 s3, exec_lo
	v_cmpx_gt_i32_e64 s2, v2
	s_cbranch_execnz .LBB206_19
.LBB206_6:
	s_or_b32 exec_lo, exec_lo, s3
                                        ; implicit-def: $vgpr12
	s_and_saveexec_b32 s3, vcc_lo
	s_cbranch_execz .LBB206_8
.LBB206_7:
	v_rsq_f64_e32 v[12:13], v[7:8]
	s_waitcnt_depctr 0xfff
	v_mul_f64 v[7:8], v[12:13], -v[7:8]
	v_cmp_class_f64_e64 s0, v[12:13], 0x180
	s_delay_alu instid0(VALU_DEP_2) | instskip(NEXT) | instid1(VALU_DEP_1)
	v_fma_f64 v[7:8], v[7:8], v[12:13], 1.0
	v_mul_f64 v[14:15], v[12:13], v[7:8]
	v_fma_f64 v[7:8], 0x3fd80000, v[7:8], 0.5
	s_delay_alu instid0(VALU_DEP_1) | instskip(NEXT) | instid1(VALU_DEP_1)
	v_fma_f64 v[7:8], v[14:15], v[7:8], v[12:13]
	v_cndmask_b32_e64 v8, v13, v8, s0
	s_delay_alu instid0(VALU_DEP_2) | instskip(NEXT) | instid1(VALU_DEP_1)
	v_cndmask_b32_e64 v7, v12, v7, s0
	v_cvt_f32_f64_e32 v2, v[7:8]
	s_delay_alu instid0(VALU_DEP_1) | instskip(SKIP_1) | instid1(VALU_DEP_2)
	v_bfe_u32 v7, v2, 16, 1
	v_cmp_o_f32_e64 s0, v2, v2
	v_add3_u32 v7, v2, v7, 0x7fff
	s_delay_alu instid0(VALU_DEP_1) | instskip(NEXT) | instid1(VALU_DEP_1)
	v_lshrrev_b32_e32 v7, 16, v7
	v_cndmask_b32_e64 v12, 0x7fc0, v7, s0
.LBB206_8:
	s_or_b32 exec_lo, exec_lo, s3
	s_delay_alu instid0(SALU_CYCLE_1)
	s_mov_b32 s3, exec_lo
                                        ; implicit-def: $vgpr7
	v_cmpx_gt_i32_e64 s2, v11
	s_cbranch_execz .LBB206_10
; %bb.9:
	v_rsq_f64_e32 v[7:8], v[3:4]
	s_waitcnt_depctr 0xfff
	v_mul_f64 v[2:3], v[7:8], -v[3:4]
	v_cmp_class_f64_e64 s0, v[7:8], 0x180
	s_delay_alu instid0(VALU_DEP_2) | instskip(NEXT) | instid1(VALU_DEP_1)
	v_fma_f64 v[2:3], v[2:3], v[7:8], 1.0
	v_mul_f64 v[13:14], v[7:8], v[2:3]
	v_fma_f64 v[2:3], 0x3fd80000, v[2:3], 0.5
	s_delay_alu instid0(VALU_DEP_1) | instskip(NEXT) | instid1(VALU_DEP_1)
	v_fma_f64 v[2:3], v[13:14], v[2:3], v[7:8]
	v_cndmask_b32_e64 v3, v8, v3, s0
	s_delay_alu instid0(VALU_DEP_2) | instskip(NEXT) | instid1(VALU_DEP_1)
	v_cndmask_b32_e64 v2, v7, v2, s0
	v_cvt_f32_f64_e32 v2, v[2:3]
	s_delay_alu instid0(VALU_DEP_1) | instskip(SKIP_1) | instid1(VALU_DEP_2)
	v_bfe_u32 v3, v2, 16, 1
	v_cmp_o_f32_e64 s0, v2, v2
	v_add3_u32 v3, v2, v3, 0x7fff
	s_delay_alu instid0(VALU_DEP_1) | instskip(NEXT) | instid1(VALU_DEP_1)
	v_lshrrev_b32_e32 v3, 16, v3
	v_cndmask_b32_e64 v7, 0x7fc0, v3, s0
.LBB206_10:
	s_or_b32 exec_lo, exec_lo, s3
	v_or_b32_e32 v2, 0x200, v0
	s_mov_b32 s3, exec_lo
                                        ; implicit-def: $vgpr3
	s_delay_alu instid0(VALU_DEP_1)
	v_cmpx_gt_i32_e64 s2, v2
	s_cbranch_execz .LBB206_12
; %bb.11:
	v_rsq_f64_e32 v[2:3], v[9:10]
	s_waitcnt_depctr 0xfff
	v_mul_f64 v[8:9], v[2:3], -v[9:10]
	v_cmp_class_f64_e64 s0, v[2:3], 0x180
	s_delay_alu instid0(VALU_DEP_2) | instskip(NEXT) | instid1(VALU_DEP_1)
	v_fma_f64 v[8:9], v[8:9], v[2:3], 1.0
	v_mul_f64 v[13:14], v[2:3], v[8:9]
	v_fma_f64 v[8:9], 0x3fd80000, v[8:9], 0.5
	s_delay_alu instid0(VALU_DEP_1) | instskip(NEXT) | instid1(VALU_DEP_1)
	v_fma_f64 v[8:9], v[13:14], v[8:9], v[2:3]
	v_cndmask_b32_e64 v3, v3, v9, s0
	s_delay_alu instid0(VALU_DEP_2) | instskip(NEXT) | instid1(VALU_DEP_1)
	v_cndmask_b32_e64 v2, v2, v8, s0
	v_cvt_f32_f64_e32 v2, v[2:3]
	s_delay_alu instid0(VALU_DEP_1) | instskip(SKIP_1) | instid1(VALU_DEP_2)
	v_bfe_u32 v3, v2, 16, 1
	v_cmp_o_f32_e64 s0, v2, v2
	v_add3_u32 v3, v2, v3, 0x7fff
	s_delay_alu instid0(VALU_DEP_1) | instskip(NEXT) | instid1(VALU_DEP_1)
	v_lshrrev_b32_e32 v3, 16, v3
	v_cndmask_b32_e64 v3, 0x7fc0, v3, s0
.LBB206_12:
	s_or_b32 exec_lo, exec_lo, s3
	v_or_b32_e32 v2, 0x300, v0
	s_mov_b32 s3, exec_lo
                                        ; implicit-def: $vgpr4
	s_delay_alu instid0(VALU_DEP_1)
	v_cmpx_gt_i32_e64 s2, v2
	s_cbranch_execz .LBB206_20
; %bb.13:
	v_rsq_f64_e32 v[8:9], v[5:6]
	s_waitcnt_depctr 0xfff
	v_mul_f64 v[4:5], v[8:9], -v[5:6]
	v_cmp_class_f64_e64 s0, v[8:9], 0x180
	s_delay_alu instid0(VALU_DEP_2) | instskip(NEXT) | instid1(VALU_DEP_1)
	v_fma_f64 v[4:5], v[4:5], v[8:9], 1.0
	v_mul_f64 v[13:14], v[8:9], v[4:5]
	v_fma_f64 v[4:5], 0x3fd80000, v[4:5], 0.5
	s_delay_alu instid0(VALU_DEP_1) | instskip(NEXT) | instid1(VALU_DEP_1)
	v_fma_f64 v[4:5], v[13:14], v[4:5], v[8:9]
	v_cndmask_b32_e64 v5, v9, v5, s0
	s_delay_alu instid0(VALU_DEP_2) | instskip(NEXT) | instid1(VALU_DEP_1)
	v_cndmask_b32_e64 v4, v8, v4, s0
	v_cvt_f32_f64_e32 v2, v[4:5]
	s_delay_alu instid0(VALU_DEP_1) | instskip(SKIP_1) | instid1(VALU_DEP_2)
	v_bfe_u32 v4, v2, 16, 1
	v_cmp_o_f32_e64 s0, v2, v2
	v_add3_u32 v4, v2, v4, 0x7fff
	s_delay_alu instid0(VALU_DEP_1) | instskip(NEXT) | instid1(VALU_DEP_1)
	v_lshrrev_b32_e32 v4, 16, v4
	v_cndmask_b32_e64 v4, 0x7fc0, v4, s0
	s_or_b32 exec_lo, exec_lo, s3
	s_and_saveexec_b32 s0, vcc_lo
	s_delay_alu instid0(SALU_CYCLE_1)
	s_xor_b32 s0, exec_lo, s0
	s_cbranch_execnz .LBB206_21
.LBB206_14:
	s_or_b32 exec_lo, exec_lo, s0
	s_delay_alu instid0(SALU_CYCLE_1)
	s_mov_b32 s0, exec_lo
	v_cmpx_gt_i32_e64 s2, v0
	s_cbranch_execz .LBB206_22
.LBB206_15:
	v_dual_mov_b32 v2, 0 :: v_dual_add_nc_u32 v1, s1, v0
	v_add_nc_u32_e32 v0, 0x100, v0
	s_delay_alu instid0(VALU_DEP_2) | instskip(NEXT) | instid1(VALU_DEP_1)
	v_lshlrev_b64 v[1:2], 1, v[1:2]
	v_add_co_u32 v1, vcc_lo, s4, v1
	s_delay_alu instid0(VALU_DEP_2) | instskip(SKIP_2) | instid1(SALU_CYCLE_1)
	v_add_co_ci_u32_e32 v2, vcc_lo, s5, v2, vcc_lo
	global_store_b16 v[1:2], v7, off
	s_or_b32 exec_lo, exec_lo, s0
	s_mov_b32 s0, exec_lo
	v_cmpx_gt_i32_e64 s2, v0
	s_cbranch_execnz .LBB206_23
.LBB206_16:
	s_or_b32 exec_lo, exec_lo, s0
	s_delay_alu instid0(SALU_CYCLE_1)
	s_mov_b32 s0, exec_lo
	v_cmpx_gt_i32_e64 s2, v0
	s_cbranch_execz .LBB206_24
.LBB206_17:
	v_dual_mov_b32 v1, 0 :: v_dual_add_nc_u32 v0, s1, v0
	s_delay_alu instid0(VALU_DEP_1) | instskip(NEXT) | instid1(VALU_DEP_1)
	v_lshlrev_b64 v[0:1], 1, v[0:1]
	v_add_co_u32 v0, vcc_lo, s4, v0
	s_delay_alu instid0(VALU_DEP_2)
	v_add_co_ci_u32_e32 v1, vcc_lo, s5, v1, vcc_lo
	global_store_b16 v[0:1], v4, off
	s_nop 0
	s_sendmsg sendmsg(MSG_DEALLOC_VGPRS)
	s_endpgm
.LBB206_18:
	s_or_b32 exec_lo, exec_lo, s3
	s_delay_alu instid0(SALU_CYCLE_1)
	s_mov_b32 s3, exec_lo
	v_cmpx_gt_i32_e64 s2, v2
	s_cbranch_execz .LBB206_6
.LBB206_19:
	v_dual_mov_b32 v6, 0 :: v_dual_add_nc_u32 v5, s1, v2
	s_delay_alu instid0(VALU_DEP_1) | instskip(NEXT) | instid1(VALU_DEP_1)
	v_lshlrev_b64 v[5:6], 1, v[5:6]
	v_add_co_u32 v5, s0, s6, v5
	s_delay_alu instid0(VALU_DEP_1) | instskip(SKIP_3) | instid1(VALU_DEP_1)
	v_add_co_ci_u32_e64 v6, s0, s7, v6, s0
	global_load_u16 v2, v[5:6], off
	s_waitcnt vmcnt(0)
	v_lshlrev_b32_e32 v2, 16, v2
	v_cvt_f64_f32_e32 v[5:6], v2
	s_or_b32 exec_lo, exec_lo, s3
                                        ; implicit-def: $vgpr12
	s_and_saveexec_b32 s3, vcc_lo
	s_cbranch_execz .LBB206_8
	s_branch .LBB206_7
.LBB206_20:
	s_or_b32 exec_lo, exec_lo, s3
	s_and_saveexec_b32 s0, vcc_lo
	s_delay_alu instid0(SALU_CYCLE_1)
	s_xor_b32 s0, exec_lo, s0
	s_cbranch_execz .LBB206_14
.LBB206_21:
	v_mov_b32_e32 v2, 0
	s_delay_alu instid0(VALU_DEP_1) | instskip(NEXT) | instid1(VALU_DEP_1)
	v_lshlrev_b64 v[0:1], 1, v[1:2]
	v_add_co_u32 v5, vcc_lo, s4, v0
	s_delay_alu instid0(VALU_DEP_2) | instskip(SKIP_3) | instid1(SALU_CYCLE_1)
	v_add_co_ci_u32_e32 v6, vcc_lo, s5, v1, vcc_lo
	v_mov_b32_e32 v0, v11
	global_store_b16 v[5:6], v12, off
	s_or_b32 exec_lo, exec_lo, s0
	s_mov_b32 s0, exec_lo
	v_cmpx_gt_i32_e64 s2, v0
	s_cbranch_execnz .LBB206_15
.LBB206_22:
	s_or_b32 exec_lo, exec_lo, s0
	s_delay_alu instid0(SALU_CYCLE_1)
	s_mov_b32 s0, exec_lo
	v_cmpx_gt_i32_e64 s2, v0
	s_cbranch_execz .LBB206_16
.LBB206_23:
	v_dual_mov_b32 v2, 0 :: v_dual_add_nc_u32 v1, s1, v0
	v_add_nc_u32_e32 v0, 0x100, v0
	s_delay_alu instid0(VALU_DEP_2) | instskip(NEXT) | instid1(VALU_DEP_1)
	v_lshlrev_b64 v[1:2], 1, v[1:2]
	v_add_co_u32 v1, vcc_lo, s4, v1
	s_delay_alu instid0(VALU_DEP_2) | instskip(SKIP_2) | instid1(SALU_CYCLE_1)
	v_add_co_ci_u32_e32 v2, vcc_lo, s5, v2, vcc_lo
	global_store_b16 v[1:2], v3, off
	s_or_b32 exec_lo, exec_lo, s0
	s_mov_b32 s0, exec_lo
	v_cmpx_gt_i32_e64 s2, v0
	s_cbranch_execnz .LBB206_17
.LBB206_24:
	s_nop 0
	s_sendmsg sendmsg(MSG_DEALLOC_VGPRS)
	s_endpgm
	.section	.rodata,"a",@progbits
	.p2align	6, 0x0
	.amdhsa_kernel _ZN2at6native27unrolled_elementwise_kernelIZZZNS0_17rsqrt_kernel_cudaERNS_18TensorIteratorBaseEENKUlvE0_clEvENKUlvE1_clEvEUlN3c108BFloat16EE_St5arrayIPcLm2EELi4E23TrivialOffsetCalculatorILi1EjESD_NS0_6memory15LoadWithoutCastENSE_16StoreWithoutCastEEEviT_T0_T2_T3_T4_T5_
		.amdhsa_group_segment_fixed_size 0
		.amdhsa_private_segment_fixed_size 0
		.amdhsa_kernarg_size 28
		.amdhsa_user_sgpr_count 15
		.amdhsa_user_sgpr_dispatch_ptr 0
		.amdhsa_user_sgpr_queue_ptr 0
		.amdhsa_user_sgpr_kernarg_segment_ptr 1
		.amdhsa_user_sgpr_dispatch_id 0
		.amdhsa_user_sgpr_private_segment_size 0
		.amdhsa_wavefront_size32 1
		.amdhsa_uses_dynamic_stack 0
		.amdhsa_enable_private_segment 0
		.amdhsa_system_sgpr_workgroup_id_x 1
		.amdhsa_system_sgpr_workgroup_id_y 0
		.amdhsa_system_sgpr_workgroup_id_z 0
		.amdhsa_system_sgpr_workgroup_info 0
		.amdhsa_system_vgpr_workitem_id 0
		.amdhsa_next_free_vgpr 16
		.amdhsa_next_free_sgpr 16
		.amdhsa_reserve_vcc 1
		.amdhsa_float_round_mode_32 0
		.amdhsa_float_round_mode_16_64 0
		.amdhsa_float_denorm_mode_32 3
		.amdhsa_float_denorm_mode_16_64 3
		.amdhsa_dx10_clamp 1
		.amdhsa_ieee_mode 1
		.amdhsa_fp16_overflow 0
		.amdhsa_workgroup_processor_mode 1
		.amdhsa_memory_ordered 1
		.amdhsa_forward_progress 0
		.amdhsa_shared_vgpr_count 0
		.amdhsa_exception_fp_ieee_invalid_op 0
		.amdhsa_exception_fp_denorm_src 0
		.amdhsa_exception_fp_ieee_div_zero 0
		.amdhsa_exception_fp_ieee_overflow 0
		.amdhsa_exception_fp_ieee_underflow 0
		.amdhsa_exception_fp_ieee_inexact 0
		.amdhsa_exception_int_div_zero 0
	.end_amdhsa_kernel
	.section	.text._ZN2at6native27unrolled_elementwise_kernelIZZZNS0_17rsqrt_kernel_cudaERNS_18TensorIteratorBaseEENKUlvE0_clEvENKUlvE1_clEvEUlN3c108BFloat16EE_St5arrayIPcLm2EELi4E23TrivialOffsetCalculatorILi1EjESD_NS0_6memory15LoadWithoutCastENSE_16StoreWithoutCastEEEviT_T0_T2_T3_T4_T5_,"axG",@progbits,_ZN2at6native27unrolled_elementwise_kernelIZZZNS0_17rsqrt_kernel_cudaERNS_18TensorIteratorBaseEENKUlvE0_clEvENKUlvE1_clEvEUlN3c108BFloat16EE_St5arrayIPcLm2EELi4E23TrivialOffsetCalculatorILi1EjESD_NS0_6memory15LoadWithoutCastENSE_16StoreWithoutCastEEEviT_T0_T2_T3_T4_T5_,comdat
.Lfunc_end206:
	.size	_ZN2at6native27unrolled_elementwise_kernelIZZZNS0_17rsqrt_kernel_cudaERNS_18TensorIteratorBaseEENKUlvE0_clEvENKUlvE1_clEvEUlN3c108BFloat16EE_St5arrayIPcLm2EELi4E23TrivialOffsetCalculatorILi1EjESD_NS0_6memory15LoadWithoutCastENSE_16StoreWithoutCastEEEviT_T0_T2_T3_T4_T5_, .Lfunc_end206-_ZN2at6native27unrolled_elementwise_kernelIZZZNS0_17rsqrt_kernel_cudaERNS_18TensorIteratorBaseEENKUlvE0_clEvENKUlvE1_clEvEUlN3c108BFloat16EE_St5arrayIPcLm2EELi4E23TrivialOffsetCalculatorILi1EjESD_NS0_6memory15LoadWithoutCastENSE_16StoreWithoutCastEEEviT_T0_T2_T3_T4_T5_
                                        ; -- End function
	.section	.AMDGPU.csdata,"",@progbits
; Kernel info:
; codeLenInByte = 1548
; NumSgprs: 18
; NumVgprs: 16
; ScratchSize: 0
; MemoryBound: 0
; FloatMode: 240
; IeeeMode: 1
; LDSByteSize: 0 bytes/workgroup (compile time only)
; SGPRBlocks: 2
; VGPRBlocks: 1
; NumSGPRsForWavesPerEU: 18
; NumVGPRsForWavesPerEU: 16
; Occupancy: 16
; WaveLimiterHint : 0
; COMPUTE_PGM_RSRC2:SCRATCH_EN: 0
; COMPUTE_PGM_RSRC2:USER_SGPR: 15
; COMPUTE_PGM_RSRC2:TRAP_HANDLER: 0
; COMPUTE_PGM_RSRC2:TGID_X_EN: 1
; COMPUTE_PGM_RSRC2:TGID_Y_EN: 0
; COMPUTE_PGM_RSRC2:TGID_Z_EN: 0
; COMPUTE_PGM_RSRC2:TIDIG_COMP_CNT: 0
	.section	.text._ZN2at6native32elementwise_kernel_manual_unrollILi128ELi8EZNS0_22gpu_kernel_impl_nocastIZZZNS0_17rsqrt_kernel_cudaERNS_18TensorIteratorBaseEENKUlvE0_clEvENKUlvE1_clEvEUlN3c108BFloat16EE_EEvS4_RKT_EUlibE_EEviT1_,"axG",@progbits,_ZN2at6native32elementwise_kernel_manual_unrollILi128ELi8EZNS0_22gpu_kernel_impl_nocastIZZZNS0_17rsqrt_kernel_cudaERNS_18TensorIteratorBaseEENKUlvE0_clEvENKUlvE1_clEvEUlN3c108BFloat16EE_EEvS4_RKT_EUlibE_EEviT1_,comdat
	.globl	_ZN2at6native32elementwise_kernel_manual_unrollILi128ELi8EZNS0_22gpu_kernel_impl_nocastIZZZNS0_17rsqrt_kernel_cudaERNS_18TensorIteratorBaseEENKUlvE0_clEvENKUlvE1_clEvEUlN3c108BFloat16EE_EEvS4_RKT_EUlibE_EEviT1_ ; -- Begin function _ZN2at6native32elementwise_kernel_manual_unrollILi128ELi8EZNS0_22gpu_kernel_impl_nocastIZZZNS0_17rsqrt_kernel_cudaERNS_18TensorIteratorBaseEENKUlvE0_clEvENKUlvE1_clEvEUlN3c108BFloat16EE_EEvS4_RKT_EUlibE_EEviT1_
	.p2align	8
	.type	_ZN2at6native32elementwise_kernel_manual_unrollILi128ELi8EZNS0_22gpu_kernel_impl_nocastIZZZNS0_17rsqrt_kernel_cudaERNS_18TensorIteratorBaseEENKUlvE0_clEvENKUlvE1_clEvEUlN3c108BFloat16EE_EEvS4_RKT_EUlibE_EEviT1_,@function
_ZN2at6native32elementwise_kernel_manual_unrollILi128ELi8EZNS0_22gpu_kernel_impl_nocastIZZZNS0_17rsqrt_kernel_cudaERNS_18TensorIteratorBaseEENKUlvE0_clEvENKUlvE1_clEvEUlN3c108BFloat16EE_EEvS4_RKT_EUlibE_EEviT1_: ; @_ZN2at6native32elementwise_kernel_manual_unrollILi128ELi8EZNS0_22gpu_kernel_impl_nocastIZZZNS0_17rsqrt_kernel_cudaERNS_18TensorIteratorBaseEENKUlvE0_clEvENKUlvE1_clEvEUlN3c108BFloat16EE_EEvS4_RKT_EUlibE_EEviT1_
; %bb.0:
	s_clause 0x1
	s_load_b32 s22, s[0:1], 0x8
	s_load_b32 s27, s[0:1], 0x0
	v_lshl_or_b32 v12, s15, 10, v0
	s_or_b32 s0, s0, 8
	s_mov_b32 s2, exec_lo
	s_delay_alu instid0(VALU_DEP_1) | instskip(SKIP_2) | instid1(SALU_CYCLE_1)
	v_or_b32_e32 v16, 0x380, v12
	s_waitcnt lgkmcnt(0)
	s_add_i32 s23, s22, -1
	s_cmp_gt_u32 s23, 1
	s_cselect_b32 s24, -1, 0
	v_cmpx_le_i32_e64 s27, v16
	s_xor_b32 s25, exec_lo, s2
	s_cbranch_execz .LBB207_7
; %bb.1:
	s_clause 0x3
	s_load_b128 s[12:15], s[0:1], 0x4
	s_load_b64 s[2:3], s[0:1], 0x14
	s_load_b128 s[8:11], s[0:1], 0xc4
	s_load_b128 s[4:7], s[0:1], 0x148
	s_cmp_lg_u32 s22, 0
	s_mov_b32 s30, exec_lo
	s_cselect_b32 s29, -1, 0
	s_add_u32 s16, s0, 0xc4
	s_addc_u32 s17, s1, 0
	s_min_u32 s28, s23, 15
	s_cmp_gt_u32 s22, 1
	s_cselect_b32 s26, -1, 0
	v_cmpx_gt_i32_e64 s27, v12
	s_cbranch_execz .LBB207_14
; %bb.2:
	s_and_not1_b32 vcc_lo, exec_lo, s24
	s_cbranch_vccnz .LBB207_21
; %bb.3:
	v_dual_mov_b32 v0, 0 :: v_dual_mov_b32 v1, 0
	s_and_not1_b32 vcc_lo, exec_lo, s29
	s_mov_b32 s31, 0
	s_cbranch_vccnz .LBB207_125
; %bb.4:
	v_mov_b32_e32 v0, 0
	s_add_i32 s34, s28, 1
	s_cmp_eq_u32 s23, 2
	s_mov_b32 s33, 0
	s_cbranch_scc1 .LBB207_121
; %bb.5:
	v_dual_mov_b32 v1, 0 :: v_dual_mov_b32 v0, 0
	v_mov_b32_e32 v2, v12
	s_and_b32 s33, s34, 28
	s_mov_b32 s35, 0
	s_mov_b64 s[18:19], s[16:17]
	s_mov_b64 s[20:21], s[0:1]
.LBB207_6:                              ; =>This Inner Loop Header: Depth=1
	s_clause 0x1
	s_load_b256 s[36:43], s[20:21], 0x4
	s_load_b128 s[52:55], s[20:21], 0x24
	s_load_b256 s[44:51], s[18:19], 0x0
	s_add_u32 s20, s20, 48
	s_addc_u32 s21, s21, 0
	s_add_i32 s35, s35, 4
	s_add_u32 s18, s18, 32
	s_addc_u32 s19, s19, 0
	s_cmp_lg_u32 s33, s35
	s_waitcnt lgkmcnt(0)
	v_mul_hi_u32 v3, s37, v2
	s_delay_alu instid0(VALU_DEP_1) | instskip(NEXT) | instid1(VALU_DEP_1)
	v_add_nc_u32_e32 v3, v2, v3
	v_lshrrev_b32_e32 v3, s38, v3
	s_delay_alu instid0(VALU_DEP_1) | instskip(SKIP_1) | instid1(VALU_DEP_2)
	v_mul_hi_u32 v4, s40, v3
	v_mul_lo_u32 v6, v3, s36
	v_add_nc_u32_e32 v4, v3, v4
	s_delay_alu instid0(VALU_DEP_2) | instskip(NEXT) | instid1(VALU_DEP_2)
	v_sub_nc_u32_e32 v2, v2, v6
	v_lshrrev_b32_e32 v4, s41, v4
	s_delay_alu instid0(VALU_DEP_2) | instskip(SKIP_1) | instid1(VALU_DEP_3)
	v_mul_lo_u32 v6, v2, s44
	v_mul_lo_u32 v8, v2, s45
	v_mul_hi_u32 v5, s43, v4
	s_delay_alu instid0(VALU_DEP_1) | instskip(NEXT) | instid1(VALU_DEP_1)
	v_add_nc_u32_e32 v5, v4, v5
	v_lshrrev_b32_e32 v5, s52, v5
	s_delay_alu instid0(VALU_DEP_1) | instskip(SKIP_1) | instid1(VALU_DEP_2)
	v_mul_hi_u32 v7, s54, v5
	v_mul_lo_u32 v9, v5, s42
	v_add_nc_u32_e32 v2, v5, v7
	v_mul_lo_u32 v7, v4, s39
	s_delay_alu instid0(VALU_DEP_3) | instskip(NEXT) | instid1(VALU_DEP_3)
	v_sub_nc_u32_e32 v4, v4, v9
	v_lshrrev_b32_e32 v2, s55, v2
	s_delay_alu instid0(VALU_DEP_2) | instskip(SKIP_2) | instid1(VALU_DEP_4)
	v_mul_lo_u32 v9, v4, s48
	v_mul_lo_u32 v4, v4, s49
	v_sub_nc_u32_e32 v3, v3, v7
	v_mul_lo_u32 v10, v2, s53
	s_delay_alu instid0(VALU_DEP_2) | instskip(SKIP_1) | instid1(VALU_DEP_3)
	v_mul_lo_u32 v7, v3, s46
	v_mul_lo_u32 v3, v3, s47
	v_sub_nc_u32_e32 v5, v5, v10
	s_delay_alu instid0(VALU_DEP_3) | instskip(NEXT) | instid1(VALU_DEP_2)
	v_add3_u32 v0, v6, v0, v7
	v_mul_lo_u32 v10, v5, s50
	v_mul_lo_u32 v5, v5, s51
	v_add3_u32 v1, v8, v1, v3
	s_delay_alu instid0(VALU_DEP_3) | instskip(NEXT) | instid1(VALU_DEP_2)
	v_add3_u32 v0, v9, v0, v10
	v_add3_u32 v1, v4, v1, v5
	s_cbranch_scc1 .LBB207_6
	s_branch .LBB207_122
.LBB207_7:
	s_and_not1_saveexec_b32 s2, s25
	s_cbranch_execz .LBB207_206
.LBB207_8:
	v_cndmask_b32_e64 v14, 0, 1, s24
	s_and_not1_b32 vcc_lo, exec_lo, s24
	s_cbranch_vccnz .LBB207_20
; %bb.9:
	v_dual_mov_b32 v0, 0 :: v_dual_mov_b32 v1, 0
	s_cmp_lg_u32 s22, 0
	s_mov_b32 s6, 0
	s_cbranch_scc0 .LBB207_26
; %bb.10:
	s_min_u32 s7, s23, 15
	v_mov_b32_e32 v0, 0
	s_add_i32 s7, s7, 1
	s_cmp_eq_u32 s23, 2
	s_mov_b32 s8, 0
	s_cbranch_scc1 .LBB207_23
; %bb.11:
	v_dual_mov_b32 v1, 0 :: v_dual_mov_b32 v0, 0
	v_mov_b32_e32 v2, v12
	s_add_u32 s2, s0, 0xc4
	s_addc_u32 s3, s1, 0
	s_and_b32 s8, s7, 28
	s_mov_b32 s9, 0
	s_mov_b64 s[4:5], s[0:1]
.LBB207_12:                             ; =>This Inner Loop Header: Depth=1
	s_clause 0x1
	s_load_b256 s[12:19], s[4:5], 0x4
	s_load_b128 s[36:39], s[4:5], 0x24
	s_load_b256 s[24:31], s[2:3], 0x0
	s_add_u32 s4, s4, 48
	s_addc_u32 s5, s5, 0
	s_add_i32 s9, s9, 4
	s_add_u32 s2, s2, 32
	s_addc_u32 s3, s3, 0
	s_cmp_lg_u32 s8, s9
	s_waitcnt lgkmcnt(0)
	v_mul_hi_u32 v3, s13, v2
	s_delay_alu instid0(VALU_DEP_1) | instskip(NEXT) | instid1(VALU_DEP_1)
	v_add_nc_u32_e32 v3, v2, v3
	v_lshrrev_b32_e32 v3, s14, v3
	s_delay_alu instid0(VALU_DEP_1) | instskip(SKIP_1) | instid1(VALU_DEP_2)
	v_mul_hi_u32 v4, s16, v3
	v_mul_lo_u32 v6, v3, s12
	v_add_nc_u32_e32 v4, v3, v4
	s_delay_alu instid0(VALU_DEP_2) | instskip(NEXT) | instid1(VALU_DEP_2)
	v_sub_nc_u32_e32 v2, v2, v6
	v_lshrrev_b32_e32 v4, s17, v4
	s_delay_alu instid0(VALU_DEP_2) | instskip(SKIP_1) | instid1(VALU_DEP_3)
	v_mul_lo_u32 v6, v2, s24
	v_mul_lo_u32 v8, v2, s25
	v_mul_hi_u32 v5, s19, v4
	s_delay_alu instid0(VALU_DEP_1) | instskip(NEXT) | instid1(VALU_DEP_1)
	v_add_nc_u32_e32 v5, v4, v5
	v_lshrrev_b32_e32 v5, s36, v5
	s_delay_alu instid0(VALU_DEP_1) | instskip(SKIP_1) | instid1(VALU_DEP_2)
	v_mul_hi_u32 v7, s38, v5
	v_mul_lo_u32 v9, v5, s18
	v_add_nc_u32_e32 v2, v5, v7
	v_mul_lo_u32 v7, v4, s15
	s_delay_alu instid0(VALU_DEP_3) | instskip(NEXT) | instid1(VALU_DEP_3)
	v_sub_nc_u32_e32 v4, v4, v9
	v_lshrrev_b32_e32 v2, s39, v2
	s_delay_alu instid0(VALU_DEP_2) | instskip(SKIP_2) | instid1(VALU_DEP_4)
	v_mul_lo_u32 v9, v4, s28
	v_mul_lo_u32 v4, v4, s29
	v_sub_nc_u32_e32 v3, v3, v7
	v_mul_lo_u32 v10, v2, s37
	s_delay_alu instid0(VALU_DEP_2) | instskip(SKIP_1) | instid1(VALU_DEP_3)
	v_mul_lo_u32 v7, v3, s26
	v_mul_lo_u32 v3, v3, s27
	v_sub_nc_u32_e32 v5, v5, v10
	s_delay_alu instid0(VALU_DEP_3) | instskip(NEXT) | instid1(VALU_DEP_2)
	v_add3_u32 v0, v6, v0, v7
	v_mul_lo_u32 v10, v5, s30
	v_mul_lo_u32 v5, v5, s31
	v_add3_u32 v1, v8, v1, v3
	s_delay_alu instid0(VALU_DEP_3) | instskip(NEXT) | instid1(VALU_DEP_2)
	v_add3_u32 v0, v9, v0, v10
	v_add3_u32 v1, v4, v1, v5
	s_cbranch_scc1 .LBB207_12
; %bb.13:
	s_and_b32 s7, s7, 3
	s_delay_alu instid0(SALU_CYCLE_1)
	s_cmp_eq_u32 s7, 0
	s_cbranch_scc0 .LBB207_24
	s_branch .LBB207_26
.LBB207_14:
	s_or_b32 exec_lo, exec_lo, s30
	s_delay_alu instid0(SALU_CYCLE_1)
	s_mov_b32 s30, exec_lo
	v_cmpx_gt_i32_e64 s27, v12
	s_cbranch_execz .LBB207_129
.LBB207_15:
	s_and_not1_b32 vcc_lo, exec_lo, s24
	s_cbranch_vccnz .LBB207_22
; %bb.16:
	v_dual_mov_b32 v0, 0 :: v_dual_mov_b32 v1, 0
	s_and_not1_b32 vcc_lo, exec_lo, s29
	s_mov_b32 s31, 0
	s_cbranch_vccnz .LBB207_140
; %bb.17:
	v_mov_b32_e32 v0, 0
	s_add_i32 s34, s28, 1
	s_cmp_eq_u32 s23, 2
	s_mov_b32 s33, 0
	s_cbranch_scc1 .LBB207_136
; %bb.18:
	v_dual_mov_b32 v1, 0 :: v_dual_mov_b32 v0, 0
	v_mov_b32_e32 v2, v12
	s_and_b32 s33, s34, 28
	s_mov_b32 s35, 0
	s_mov_b64 s[18:19], s[16:17]
	s_mov_b64 s[20:21], s[0:1]
.LBB207_19:                             ; =>This Inner Loop Header: Depth=1
	s_clause 0x1
	s_load_b256 s[36:43], s[20:21], 0x4
	s_load_b128 s[52:55], s[20:21], 0x24
	s_load_b256 s[44:51], s[18:19], 0x0
	s_add_u32 s20, s20, 48
	s_addc_u32 s21, s21, 0
	s_add_i32 s35, s35, 4
	s_add_u32 s18, s18, 32
	s_addc_u32 s19, s19, 0
	s_cmp_eq_u32 s33, s35
	s_waitcnt lgkmcnt(0)
	v_mul_hi_u32 v3, s37, v2
	s_delay_alu instid0(VALU_DEP_1) | instskip(NEXT) | instid1(VALU_DEP_1)
	v_add_nc_u32_e32 v3, v2, v3
	v_lshrrev_b32_e32 v3, s38, v3
	s_delay_alu instid0(VALU_DEP_1) | instskip(SKIP_1) | instid1(VALU_DEP_2)
	v_mul_hi_u32 v4, s40, v3
	v_mul_lo_u32 v6, v3, s36
	v_add_nc_u32_e32 v4, v3, v4
	s_delay_alu instid0(VALU_DEP_2) | instskip(NEXT) | instid1(VALU_DEP_2)
	v_sub_nc_u32_e32 v2, v2, v6
	v_lshrrev_b32_e32 v4, s41, v4
	s_delay_alu instid0(VALU_DEP_2) | instskip(SKIP_1) | instid1(VALU_DEP_3)
	v_mul_lo_u32 v6, v2, s44
	v_mul_lo_u32 v8, v2, s45
	v_mul_hi_u32 v5, s43, v4
	s_delay_alu instid0(VALU_DEP_1) | instskip(NEXT) | instid1(VALU_DEP_1)
	v_add_nc_u32_e32 v5, v4, v5
	v_lshrrev_b32_e32 v5, s52, v5
	s_delay_alu instid0(VALU_DEP_1) | instskip(SKIP_1) | instid1(VALU_DEP_2)
	v_mul_hi_u32 v7, s54, v5
	v_mul_lo_u32 v9, v5, s42
	v_add_nc_u32_e32 v2, v5, v7
	v_mul_lo_u32 v7, v4, s39
	s_delay_alu instid0(VALU_DEP_3) | instskip(NEXT) | instid1(VALU_DEP_3)
	v_sub_nc_u32_e32 v4, v4, v9
	v_lshrrev_b32_e32 v2, s55, v2
	s_delay_alu instid0(VALU_DEP_2) | instskip(SKIP_2) | instid1(VALU_DEP_4)
	v_mul_lo_u32 v9, v4, s48
	v_mul_lo_u32 v4, v4, s49
	v_sub_nc_u32_e32 v3, v3, v7
	v_mul_lo_u32 v10, v2, s53
	s_delay_alu instid0(VALU_DEP_2) | instskip(SKIP_1) | instid1(VALU_DEP_3)
	v_mul_lo_u32 v7, v3, s46
	v_mul_lo_u32 v3, v3, s47
	v_sub_nc_u32_e32 v5, v5, v10
	s_delay_alu instid0(VALU_DEP_3) | instskip(NEXT) | instid1(VALU_DEP_2)
	v_add3_u32 v0, v6, v0, v7
	v_mul_lo_u32 v10, v5, s50
	v_mul_lo_u32 v5, v5, s51
	v_add3_u32 v1, v8, v1, v3
	s_delay_alu instid0(VALU_DEP_3) | instskip(NEXT) | instid1(VALU_DEP_2)
	v_add3_u32 v0, v9, v0, v10
	v_add3_u32 v1, v4, v1, v5
	s_cbranch_scc0 .LBB207_19
	s_branch .LBB207_137
.LBB207_20:
	s_mov_b32 s6, -1
                                        ; implicit-def: $vgpr0
                                        ; implicit-def: $vgpr1
	s_branch .LBB207_26
.LBB207_21:
	s_mov_b32 s31, -1
                                        ; implicit-def: $vgpr0
                                        ; implicit-def: $vgpr1
	s_branch .LBB207_125
.LBB207_22:
	s_mov_b32 s31, -1
                                        ; implicit-def: $vgpr0
                                        ; implicit-def: $vgpr1
	s_branch .LBB207_140
.LBB207_23:
	v_dual_mov_b32 v2, v12 :: v_dual_mov_b32 v1, 0
	s_and_b32 s7, s7, 3
	s_delay_alu instid0(SALU_CYCLE_1)
	s_cmp_eq_u32 s7, 0
	s_cbranch_scc1 .LBB207_26
.LBB207_24:
	s_lshl_b32 s2, s8, 3
	s_mul_i32 s4, s8, 12
	s_add_u32 s2, s2, s0
	s_addc_u32 s3, 0, s1
	s_add_u32 s2, s2, 0xc4
	s_addc_u32 s3, s3, 0
	;; [unrolled: 2-line block ×3, first 2 shown]
	.p2align	6
.LBB207_25:                             ; =>This Inner Loop Header: Depth=1
	s_clause 0x1
	s_load_b64 s[8:9], s[4:5], 0x4
	s_load_b32 s12, s[4:5], 0xc
	s_load_b64 s[10:11], s[2:3], 0x0
	s_add_u32 s4, s4, 12
	s_addc_u32 s5, s5, 0
	s_add_u32 s2, s2, 8
	s_addc_u32 s3, s3, 0
	s_add_i32 s7, s7, -1
	s_delay_alu instid0(SALU_CYCLE_1) | instskip(SKIP_2) | instid1(VALU_DEP_1)
	s_cmp_lg_u32 s7, 0
	s_waitcnt lgkmcnt(0)
	v_mul_hi_u32 v3, s9, v2
	v_add_nc_u32_e32 v3, v2, v3
	s_delay_alu instid0(VALU_DEP_1) | instskip(NEXT) | instid1(VALU_DEP_1)
	v_lshrrev_b32_e32 v6, s12, v3
	v_mul_lo_u32 v3, v6, s8
	s_delay_alu instid0(VALU_DEP_1) | instskip(NEXT) | instid1(VALU_DEP_1)
	v_sub_nc_u32_e32 v2, v2, v3
	v_mad_u64_u32 v[3:4], null, v2, s10, v[0:1]
	v_mad_u64_u32 v[4:5], null, v2, s11, v[1:2]
	v_mov_b32_e32 v2, v6
	s_delay_alu instid0(VALU_DEP_2)
	v_dual_mov_b32 v0, v3 :: v_dual_mov_b32 v1, v4
	s_cbranch_scc1 .LBB207_25
.LBB207_26:
	s_and_not1_b32 vcc_lo, exec_lo, s6
	s_cbranch_vccnz .LBB207_29
; %bb.27:
	s_clause 0x1
	s_load_b128 s[4:7], s[0:1], 0x4
	s_load_b64 s[2:3], s[0:1], 0xc4
	s_cmp_lt_u32 s22, 2
	s_waitcnt lgkmcnt(0)
	v_mul_hi_u32 v0, s5, v12
	s_delay_alu instid0(VALU_DEP_1) | instskip(NEXT) | instid1(VALU_DEP_1)
	v_add_nc_u32_e32 v0, v12, v0
	v_lshrrev_b32_e32 v2, s6, v0
	s_delay_alu instid0(VALU_DEP_1) | instskip(NEXT) | instid1(VALU_DEP_1)
	v_mul_lo_u32 v0, v2, s4
	v_sub_nc_u32_e32 v1, v12, v0
	s_delay_alu instid0(VALU_DEP_1)
	v_mul_lo_u32 v0, v1, s2
	v_mul_lo_u32 v1, v1, s3
	s_cbranch_scc1 .LBB207_29
; %bb.28:
	s_clause 0x1
	s_load_b128 s[4:7], s[0:1], 0x10
	s_load_b64 s[2:3], s[0:1], 0xcc
	s_waitcnt lgkmcnt(0)
	v_mul_hi_u32 v3, s5, v2
	s_delay_alu instid0(VALU_DEP_1) | instskip(NEXT) | instid1(VALU_DEP_1)
	v_add_nc_u32_e32 v3, v2, v3
	v_lshrrev_b32_e32 v3, s6, v3
	s_delay_alu instid0(VALU_DEP_1) | instskip(NEXT) | instid1(VALU_DEP_1)
	v_mul_lo_u32 v3, v3, s4
	v_sub_nc_u32_e32 v5, v2, v3
	s_delay_alu instid0(VALU_DEP_1) | instskip(NEXT) | instid1(VALU_DEP_1)
	v_mad_u64_u32 v[2:3], null, v5, s2, v[0:1]
	v_mad_u64_u32 v[3:4], null, v5, s3, v[1:2]
	s_delay_alu instid0(VALU_DEP_1)
	v_dual_mov_b32 v0, v2 :: v_dual_mov_b32 v1, v3
.LBB207_29:
	v_cmp_ne_u32_e32 vcc_lo, 1, v14
	v_add_nc_u32_e32 v4, 0x80, v12
	s_cbranch_vccnz .LBB207_35
; %bb.30:
	v_dual_mov_b32 v2, 0 :: v_dual_mov_b32 v3, 0
	s_cmp_lg_u32 s22, 0
	s_mov_b32 s6, 0
	s_cbranch_scc0 .LBB207_39
; %bb.31:
	s_min_u32 s7, s23, 15
	v_mov_b32_e32 v2, 0
	s_add_i32 s7, s7, 1
	s_cmp_eq_u32 s23, 2
	s_mov_b32 s8, 0
	s_cbranch_scc1 .LBB207_36
; %bb.32:
	v_dual_mov_b32 v3, 0 :: v_dual_mov_b32 v2, 0
	v_mov_b32_e32 v5, v4
	s_add_u32 s2, s0, 0xc4
	s_addc_u32 s3, s1, 0
	s_and_b32 s8, s7, 28
	s_mov_b32 s9, 0
	s_mov_b64 s[4:5], s[0:1]
.LBB207_33:                             ; =>This Inner Loop Header: Depth=1
	s_clause 0x1
	s_load_b256 s[12:19], s[4:5], 0x4
	s_load_b128 s[36:39], s[4:5], 0x24
	s_load_b256 s[24:31], s[2:3], 0x0
	s_add_u32 s4, s4, 48
	s_addc_u32 s5, s5, 0
	s_add_i32 s9, s9, 4
	s_add_u32 s2, s2, 32
	s_addc_u32 s3, s3, 0
	s_cmp_lg_u32 s8, s9
	s_waitcnt lgkmcnt(0)
	v_mul_hi_u32 v6, s13, v5
	s_delay_alu instid0(VALU_DEP_1) | instskip(NEXT) | instid1(VALU_DEP_1)
	v_add_nc_u32_e32 v6, v5, v6
	v_lshrrev_b32_e32 v6, s14, v6
	s_delay_alu instid0(VALU_DEP_1) | instskip(SKIP_1) | instid1(VALU_DEP_2)
	v_mul_hi_u32 v7, s16, v6
	v_mul_lo_u32 v9, v6, s12
	v_add_nc_u32_e32 v7, v6, v7
	s_delay_alu instid0(VALU_DEP_2) | instskip(NEXT) | instid1(VALU_DEP_2)
	v_sub_nc_u32_e32 v5, v5, v9
	v_lshrrev_b32_e32 v7, s17, v7
	s_delay_alu instid0(VALU_DEP_2) | instskip(SKIP_1) | instid1(VALU_DEP_3)
	v_mul_lo_u32 v9, v5, s24
	v_mul_lo_u32 v11, v5, s25
	v_mul_hi_u32 v8, s19, v7
	s_delay_alu instid0(VALU_DEP_1) | instskip(NEXT) | instid1(VALU_DEP_1)
	v_add_nc_u32_e32 v8, v7, v8
	v_lshrrev_b32_e32 v8, s36, v8
	s_delay_alu instid0(VALU_DEP_1) | instskip(SKIP_1) | instid1(VALU_DEP_2)
	v_mul_hi_u32 v10, s38, v8
	v_mul_lo_u32 v13, v8, s18
	v_add_nc_u32_e32 v5, v8, v10
	v_mul_lo_u32 v10, v7, s15
	s_delay_alu instid0(VALU_DEP_3) | instskip(NEXT) | instid1(VALU_DEP_3)
	v_sub_nc_u32_e32 v7, v7, v13
	v_lshrrev_b32_e32 v5, s39, v5
	s_delay_alu instid0(VALU_DEP_2) | instskip(SKIP_2) | instid1(VALU_DEP_4)
	v_mul_lo_u32 v13, v7, s28
	v_mul_lo_u32 v7, v7, s29
	v_sub_nc_u32_e32 v6, v6, v10
	v_mul_lo_u32 v15, v5, s37
	s_delay_alu instid0(VALU_DEP_2) | instskip(SKIP_1) | instid1(VALU_DEP_3)
	v_mul_lo_u32 v10, v6, s26
	v_mul_lo_u32 v6, v6, s27
	v_sub_nc_u32_e32 v8, v8, v15
	s_delay_alu instid0(VALU_DEP_3) | instskip(NEXT) | instid1(VALU_DEP_2)
	v_add3_u32 v2, v9, v2, v10
	v_mul_lo_u32 v15, v8, s30
	v_mul_lo_u32 v8, v8, s31
	v_add3_u32 v3, v11, v3, v6
	s_delay_alu instid0(VALU_DEP_3) | instskip(NEXT) | instid1(VALU_DEP_2)
	v_add3_u32 v2, v13, v2, v15
	v_add3_u32 v3, v7, v3, v8
	s_cbranch_scc1 .LBB207_33
; %bb.34:
	s_and_b32 s7, s7, 3
	s_delay_alu instid0(SALU_CYCLE_1)
	s_cmp_eq_u32 s7, 0
	s_cbranch_scc0 .LBB207_37
	s_branch .LBB207_39
.LBB207_35:
	s_mov_b32 s6, -1
                                        ; implicit-def: $vgpr2
                                        ; implicit-def: $vgpr3
	s_branch .LBB207_39
.LBB207_36:
	v_mov_b32_e32 v5, v4
	v_mov_b32_e32 v3, 0
	s_and_b32 s7, s7, 3
	s_delay_alu instid0(SALU_CYCLE_1)
	s_cmp_eq_u32 s7, 0
	s_cbranch_scc1 .LBB207_39
.LBB207_37:
	s_lshl_b32 s2, s8, 3
	s_mul_i32 s4, s8, 12
	s_add_u32 s2, s2, s0
	s_addc_u32 s3, 0, s1
	s_add_u32 s2, s2, 0xc4
	s_addc_u32 s3, s3, 0
	s_add_u32 s4, s0, s4
	s_addc_u32 s5, 0, s1
	.p2align	6
.LBB207_38:                             ; =>This Inner Loop Header: Depth=1
	s_clause 0x1
	s_load_b64 s[8:9], s[4:5], 0x4
	s_load_b32 s12, s[4:5], 0xc
	s_load_b64 s[10:11], s[2:3], 0x0
	s_add_u32 s4, s4, 12
	s_addc_u32 s5, s5, 0
	s_add_u32 s2, s2, 8
	s_addc_u32 s3, s3, 0
	s_add_i32 s7, s7, -1
	s_delay_alu instid0(SALU_CYCLE_1) | instskip(SKIP_2) | instid1(VALU_DEP_1)
	s_cmp_lg_u32 s7, 0
	s_waitcnt lgkmcnt(0)
	v_mul_hi_u32 v6, s9, v5
	v_add_nc_u32_e32 v6, v5, v6
	s_delay_alu instid0(VALU_DEP_1) | instskip(NEXT) | instid1(VALU_DEP_1)
	v_lshrrev_b32_e32 v9, s12, v6
	v_mul_lo_u32 v6, v9, s8
	s_delay_alu instid0(VALU_DEP_1) | instskip(NEXT) | instid1(VALU_DEP_1)
	v_sub_nc_u32_e32 v5, v5, v6
	v_mad_u64_u32 v[6:7], null, v5, s10, v[2:3]
	v_mad_u64_u32 v[7:8], null, v5, s11, v[3:4]
	s_delay_alu instid0(VALU_DEP_2) | instskip(NEXT) | instid1(VALU_DEP_2)
	v_dual_mov_b32 v5, v9 :: v_dual_mov_b32 v2, v6
	v_mov_b32_e32 v3, v7
	s_cbranch_scc1 .LBB207_38
.LBB207_39:
	s_and_not1_b32 vcc_lo, exec_lo, s6
	s_cbranch_vccnz .LBB207_42
; %bb.40:
	s_clause 0x1
	s_load_b128 s[4:7], s[0:1], 0x4
	s_load_b64 s[2:3], s[0:1], 0xc4
	s_cmp_lt_u32 s22, 2
	s_waitcnt lgkmcnt(0)
	v_mul_hi_u32 v2, s5, v4
	s_delay_alu instid0(VALU_DEP_1) | instskip(NEXT) | instid1(VALU_DEP_1)
	v_add_nc_u32_e32 v2, v4, v2
	v_lshrrev_b32_e32 v5, s6, v2
	s_delay_alu instid0(VALU_DEP_1) | instskip(NEXT) | instid1(VALU_DEP_1)
	v_mul_lo_u32 v2, v5, s4
	v_sub_nc_u32_e32 v3, v4, v2
	s_delay_alu instid0(VALU_DEP_1)
	v_mul_lo_u32 v2, v3, s2
	v_mul_lo_u32 v3, v3, s3
	s_cbranch_scc1 .LBB207_42
; %bb.41:
	s_clause 0x1
	s_load_b128 s[4:7], s[0:1], 0x10
	s_load_b64 s[2:3], s[0:1], 0xcc
	s_waitcnt lgkmcnt(0)
	v_mul_hi_u32 v4, s5, v5
	s_delay_alu instid0(VALU_DEP_1) | instskip(NEXT) | instid1(VALU_DEP_1)
	v_add_nc_u32_e32 v4, v5, v4
	v_lshrrev_b32_e32 v4, s6, v4
	s_delay_alu instid0(VALU_DEP_1) | instskip(NEXT) | instid1(VALU_DEP_1)
	v_mul_lo_u32 v4, v4, s4
	v_sub_nc_u32_e32 v7, v5, v4
	s_delay_alu instid0(VALU_DEP_1) | instskip(NEXT) | instid1(VALU_DEP_1)
	v_mad_u64_u32 v[4:5], null, v7, s2, v[2:3]
	v_mad_u64_u32 v[5:6], null, v7, s3, v[3:4]
	s_delay_alu instid0(VALU_DEP_1)
	v_dual_mov_b32 v2, v4 :: v_dual_mov_b32 v3, v5
.LBB207_42:
	v_cmp_ne_u32_e32 vcc_lo, 1, v14
	v_add_nc_u32_e32 v6, 0x100, v12
	s_cbranch_vccnz .LBB207_48
; %bb.43:
	v_dual_mov_b32 v4, 0 :: v_dual_mov_b32 v5, 0
	s_cmp_lg_u32 s22, 0
	s_mov_b32 s6, 0
	s_cbranch_scc0 .LBB207_52
; %bb.44:
	s_min_u32 s7, s23, 15
	v_mov_b32_e32 v4, 0
	s_add_i32 s7, s7, 1
	s_cmp_eq_u32 s23, 2
	s_mov_b32 s8, 0
	s_cbranch_scc1 .LBB207_49
; %bb.45:
	v_dual_mov_b32 v5, 0 :: v_dual_mov_b32 v4, 0
	v_mov_b32_e32 v7, v6
	s_add_u32 s2, s0, 0xc4
	s_addc_u32 s3, s1, 0
	s_and_b32 s8, s7, 28
	s_mov_b32 s9, 0
	s_mov_b64 s[4:5], s[0:1]
.LBB207_46:                             ; =>This Inner Loop Header: Depth=1
	s_clause 0x1
	s_load_b256 s[12:19], s[4:5], 0x4
	s_load_b128 s[36:39], s[4:5], 0x24
	s_load_b256 s[24:31], s[2:3], 0x0
	s_add_u32 s4, s4, 48
	s_addc_u32 s5, s5, 0
	s_add_i32 s9, s9, 4
	s_add_u32 s2, s2, 32
	s_addc_u32 s3, s3, 0
	s_cmp_lg_u32 s8, s9
	s_waitcnt lgkmcnt(0)
	v_mul_hi_u32 v8, s13, v7
	s_delay_alu instid0(VALU_DEP_1) | instskip(NEXT) | instid1(VALU_DEP_1)
	v_add_nc_u32_e32 v8, v7, v8
	v_lshrrev_b32_e32 v8, s14, v8
	s_delay_alu instid0(VALU_DEP_1) | instskip(SKIP_1) | instid1(VALU_DEP_2)
	v_mul_hi_u32 v9, s16, v8
	v_mul_lo_u32 v11, v8, s12
	v_add_nc_u32_e32 v9, v8, v9
	s_delay_alu instid0(VALU_DEP_2) | instskip(NEXT) | instid1(VALU_DEP_2)
	v_sub_nc_u32_e32 v7, v7, v11
	v_lshrrev_b32_e32 v9, s17, v9
	s_delay_alu instid0(VALU_DEP_2) | instskip(SKIP_1) | instid1(VALU_DEP_3)
	v_mul_lo_u32 v11, v7, s24
	v_mul_lo_u32 v15, v7, s25
	v_mul_hi_u32 v10, s19, v9
	s_delay_alu instid0(VALU_DEP_1) | instskip(NEXT) | instid1(VALU_DEP_1)
	v_add_nc_u32_e32 v10, v9, v10
	v_lshrrev_b32_e32 v10, s36, v10
	s_delay_alu instid0(VALU_DEP_1) | instskip(SKIP_1) | instid1(VALU_DEP_2)
	v_mul_hi_u32 v13, s38, v10
	v_mul_lo_u32 v17, v10, s18
	v_add_nc_u32_e32 v7, v10, v13
	v_mul_lo_u32 v13, v9, s15
	s_delay_alu instid0(VALU_DEP_3) | instskip(NEXT) | instid1(VALU_DEP_3)
	v_sub_nc_u32_e32 v9, v9, v17
	v_lshrrev_b32_e32 v7, s39, v7
	s_delay_alu instid0(VALU_DEP_2) | instskip(SKIP_2) | instid1(VALU_DEP_4)
	v_mul_lo_u32 v17, v9, s28
	v_mul_lo_u32 v9, v9, s29
	v_sub_nc_u32_e32 v8, v8, v13
	v_mul_lo_u32 v18, v7, s37
	s_delay_alu instid0(VALU_DEP_2) | instskip(SKIP_1) | instid1(VALU_DEP_3)
	v_mul_lo_u32 v13, v8, s26
	v_mul_lo_u32 v8, v8, s27
	v_sub_nc_u32_e32 v10, v10, v18
	s_delay_alu instid0(VALU_DEP_3) | instskip(NEXT) | instid1(VALU_DEP_2)
	v_add3_u32 v4, v11, v4, v13
	v_mul_lo_u32 v18, v10, s30
	v_mul_lo_u32 v10, v10, s31
	v_add3_u32 v5, v15, v5, v8
	s_delay_alu instid0(VALU_DEP_3) | instskip(NEXT) | instid1(VALU_DEP_2)
	v_add3_u32 v4, v17, v4, v18
	v_add3_u32 v5, v9, v5, v10
	s_cbranch_scc1 .LBB207_46
; %bb.47:
	s_and_b32 s7, s7, 3
	s_delay_alu instid0(SALU_CYCLE_1)
	s_cmp_eq_u32 s7, 0
	s_cbranch_scc0 .LBB207_50
	s_branch .LBB207_52
.LBB207_48:
	s_mov_b32 s6, -1
                                        ; implicit-def: $vgpr4
                                        ; implicit-def: $vgpr5
	s_branch .LBB207_52
.LBB207_49:
	v_mov_b32_e32 v7, v6
	v_mov_b32_e32 v5, 0
	s_and_b32 s7, s7, 3
	s_delay_alu instid0(SALU_CYCLE_1)
	s_cmp_eq_u32 s7, 0
	s_cbranch_scc1 .LBB207_52
.LBB207_50:
	s_lshl_b32 s2, s8, 3
	s_mul_i32 s4, s8, 12
	s_add_u32 s2, s2, s0
	s_addc_u32 s3, 0, s1
	s_add_u32 s2, s2, 0xc4
	s_addc_u32 s3, s3, 0
	;; [unrolled: 2-line block ×3, first 2 shown]
	.p2align	6
.LBB207_51:                             ; =>This Inner Loop Header: Depth=1
	s_clause 0x1
	s_load_b64 s[8:9], s[4:5], 0x4
	s_load_b32 s12, s[4:5], 0xc
	s_load_b64 s[10:11], s[2:3], 0x0
	s_add_u32 s4, s4, 12
	s_addc_u32 s5, s5, 0
	s_add_u32 s2, s2, 8
	s_addc_u32 s3, s3, 0
	s_add_i32 s7, s7, -1
	s_delay_alu instid0(SALU_CYCLE_1) | instskip(SKIP_2) | instid1(VALU_DEP_1)
	s_cmp_lg_u32 s7, 0
	s_waitcnt lgkmcnt(0)
	v_mul_hi_u32 v8, s9, v7
	v_add_nc_u32_e32 v8, v7, v8
	s_delay_alu instid0(VALU_DEP_1) | instskip(NEXT) | instid1(VALU_DEP_1)
	v_lshrrev_b32_e32 v11, s12, v8
	v_mul_lo_u32 v8, v11, s8
	s_delay_alu instid0(VALU_DEP_1) | instskip(NEXT) | instid1(VALU_DEP_1)
	v_sub_nc_u32_e32 v7, v7, v8
	v_mad_u64_u32 v[8:9], null, v7, s10, v[4:5]
	v_mad_u64_u32 v[9:10], null, v7, s11, v[5:6]
	s_delay_alu instid0(VALU_DEP_2) | instskip(NEXT) | instid1(VALU_DEP_2)
	v_dual_mov_b32 v7, v11 :: v_dual_mov_b32 v4, v8
	v_mov_b32_e32 v5, v9
	s_cbranch_scc1 .LBB207_51
.LBB207_52:
	s_and_not1_b32 vcc_lo, exec_lo, s6
	s_cbranch_vccnz .LBB207_55
; %bb.53:
	s_clause 0x1
	s_load_b128 s[4:7], s[0:1], 0x4
	s_load_b64 s[2:3], s[0:1], 0xc4
	s_cmp_lt_u32 s22, 2
	s_waitcnt lgkmcnt(0)
	v_mul_hi_u32 v4, s5, v6
	s_delay_alu instid0(VALU_DEP_1) | instskip(NEXT) | instid1(VALU_DEP_1)
	v_add_nc_u32_e32 v4, v6, v4
	v_lshrrev_b32_e32 v7, s6, v4
	s_delay_alu instid0(VALU_DEP_1) | instskip(NEXT) | instid1(VALU_DEP_1)
	v_mul_lo_u32 v4, v7, s4
	v_sub_nc_u32_e32 v5, v6, v4
	s_delay_alu instid0(VALU_DEP_1)
	v_mul_lo_u32 v4, v5, s2
	v_mul_lo_u32 v5, v5, s3
	s_cbranch_scc1 .LBB207_55
; %bb.54:
	s_clause 0x1
	s_load_b128 s[4:7], s[0:1], 0x10
	s_load_b64 s[2:3], s[0:1], 0xcc
	s_waitcnt lgkmcnt(0)
	v_mul_hi_u32 v6, s5, v7
	s_delay_alu instid0(VALU_DEP_1) | instskip(NEXT) | instid1(VALU_DEP_1)
	v_add_nc_u32_e32 v6, v7, v6
	v_lshrrev_b32_e32 v6, s6, v6
	s_delay_alu instid0(VALU_DEP_1) | instskip(NEXT) | instid1(VALU_DEP_1)
	v_mul_lo_u32 v6, v6, s4
	v_sub_nc_u32_e32 v9, v7, v6
	s_delay_alu instid0(VALU_DEP_1) | instskip(NEXT) | instid1(VALU_DEP_1)
	v_mad_u64_u32 v[6:7], null, v9, s2, v[4:5]
	v_mad_u64_u32 v[7:8], null, v9, s3, v[5:6]
	s_delay_alu instid0(VALU_DEP_1)
	v_dual_mov_b32 v4, v6 :: v_dual_mov_b32 v5, v7
.LBB207_55:
	v_cmp_ne_u32_e32 vcc_lo, 1, v14
	v_add_nc_u32_e32 v8, 0x180, v12
	s_cbranch_vccnz .LBB207_61
; %bb.56:
	v_dual_mov_b32 v6, 0 :: v_dual_mov_b32 v7, 0
	s_cmp_lg_u32 s22, 0
	s_mov_b32 s6, 0
	s_cbranch_scc0 .LBB207_65
; %bb.57:
	s_min_u32 s7, s23, 15
	v_mov_b32_e32 v6, 0
	s_add_i32 s7, s7, 1
	s_cmp_eq_u32 s23, 2
	s_mov_b32 s8, 0
	s_cbranch_scc1 .LBB207_62
; %bb.58:
	v_dual_mov_b32 v7, 0 :: v_dual_mov_b32 v6, 0
	v_mov_b32_e32 v9, v8
	s_add_u32 s2, s0, 0xc4
	s_addc_u32 s3, s1, 0
	s_and_b32 s8, s7, 28
	s_mov_b32 s9, 0
	s_mov_b64 s[4:5], s[0:1]
.LBB207_59:                             ; =>This Inner Loop Header: Depth=1
	s_clause 0x1
	s_load_b256 s[12:19], s[4:5], 0x4
	s_load_b128 s[36:39], s[4:5], 0x24
	s_load_b256 s[24:31], s[2:3], 0x0
	s_add_u32 s4, s4, 48
	s_addc_u32 s5, s5, 0
	s_add_i32 s9, s9, 4
	s_add_u32 s2, s2, 32
	s_addc_u32 s3, s3, 0
	s_cmp_lg_u32 s8, s9
	s_waitcnt lgkmcnt(0)
	v_mul_hi_u32 v10, s13, v9
	s_delay_alu instid0(VALU_DEP_1) | instskip(NEXT) | instid1(VALU_DEP_1)
	v_add_nc_u32_e32 v10, v9, v10
	v_lshrrev_b32_e32 v10, s14, v10
	s_delay_alu instid0(VALU_DEP_1) | instskip(SKIP_1) | instid1(VALU_DEP_2)
	v_mul_hi_u32 v11, s16, v10
	v_mul_lo_u32 v15, v10, s12
	v_add_nc_u32_e32 v11, v10, v11
	s_delay_alu instid0(VALU_DEP_2) | instskip(NEXT) | instid1(VALU_DEP_2)
	v_sub_nc_u32_e32 v9, v9, v15
	v_lshrrev_b32_e32 v11, s17, v11
	s_delay_alu instid0(VALU_DEP_2) | instskip(SKIP_1) | instid1(VALU_DEP_3)
	v_mul_lo_u32 v15, v9, s24
	v_mul_lo_u32 v18, v9, s25
	v_mul_hi_u32 v13, s19, v11
	s_delay_alu instid0(VALU_DEP_1) | instskip(NEXT) | instid1(VALU_DEP_1)
	v_add_nc_u32_e32 v13, v11, v13
	v_lshrrev_b32_e32 v13, s36, v13
	s_delay_alu instid0(VALU_DEP_1) | instskip(SKIP_1) | instid1(VALU_DEP_2)
	v_mul_hi_u32 v17, s38, v13
	v_mul_lo_u32 v19, v13, s18
	v_add_nc_u32_e32 v9, v13, v17
	v_mul_lo_u32 v17, v11, s15
	s_delay_alu instid0(VALU_DEP_3) | instskip(NEXT) | instid1(VALU_DEP_3)
	v_sub_nc_u32_e32 v11, v11, v19
	v_lshrrev_b32_e32 v9, s39, v9
	s_delay_alu instid0(VALU_DEP_2) | instskip(SKIP_2) | instid1(VALU_DEP_4)
	v_mul_lo_u32 v19, v11, s28
	v_mul_lo_u32 v11, v11, s29
	v_sub_nc_u32_e32 v10, v10, v17
	v_mul_lo_u32 v20, v9, s37
	s_delay_alu instid0(VALU_DEP_2) | instskip(SKIP_1) | instid1(VALU_DEP_3)
	v_mul_lo_u32 v17, v10, s26
	v_mul_lo_u32 v10, v10, s27
	v_sub_nc_u32_e32 v13, v13, v20
	s_delay_alu instid0(VALU_DEP_3) | instskip(NEXT) | instid1(VALU_DEP_2)
	v_add3_u32 v6, v15, v6, v17
	v_mul_lo_u32 v20, v13, s30
	v_mul_lo_u32 v13, v13, s31
	v_add3_u32 v7, v18, v7, v10
	s_delay_alu instid0(VALU_DEP_3) | instskip(NEXT) | instid1(VALU_DEP_2)
	v_add3_u32 v6, v19, v6, v20
	v_add3_u32 v7, v11, v7, v13
	s_cbranch_scc1 .LBB207_59
; %bb.60:
	s_and_b32 s7, s7, 3
	s_delay_alu instid0(SALU_CYCLE_1)
	s_cmp_eq_u32 s7, 0
	s_cbranch_scc0 .LBB207_63
	s_branch .LBB207_65
.LBB207_61:
	s_mov_b32 s6, -1
                                        ; implicit-def: $vgpr6
                                        ; implicit-def: $vgpr7
	s_branch .LBB207_65
.LBB207_62:
	v_mov_b32_e32 v9, v8
	v_mov_b32_e32 v7, 0
	s_and_b32 s7, s7, 3
	s_delay_alu instid0(SALU_CYCLE_1)
	s_cmp_eq_u32 s7, 0
	s_cbranch_scc1 .LBB207_65
.LBB207_63:
	s_lshl_b32 s2, s8, 3
	s_mul_i32 s4, s8, 12
	s_add_u32 s2, s2, s0
	s_addc_u32 s3, 0, s1
	s_add_u32 s2, s2, 0xc4
	s_addc_u32 s3, s3, 0
	;; [unrolled: 2-line block ×3, first 2 shown]
	.p2align	6
.LBB207_64:                             ; =>This Inner Loop Header: Depth=1
	s_clause 0x1
	s_load_b64 s[8:9], s[4:5], 0x4
	s_load_b32 s12, s[4:5], 0xc
	s_load_b64 s[10:11], s[2:3], 0x0
	s_add_u32 s4, s4, 12
	s_addc_u32 s5, s5, 0
	s_add_u32 s2, s2, 8
	s_addc_u32 s3, s3, 0
	s_add_i32 s7, s7, -1
	s_delay_alu instid0(SALU_CYCLE_1) | instskip(SKIP_2) | instid1(VALU_DEP_1)
	s_cmp_lg_u32 s7, 0
	s_waitcnt lgkmcnt(0)
	v_mul_hi_u32 v10, s9, v9
	v_add_nc_u32_e32 v10, v9, v10
	s_delay_alu instid0(VALU_DEP_1) | instskip(NEXT) | instid1(VALU_DEP_1)
	v_lshrrev_b32_e32 v13, s12, v10
	v_mul_lo_u32 v10, v13, s8
	s_delay_alu instid0(VALU_DEP_1) | instskip(NEXT) | instid1(VALU_DEP_1)
	v_sub_nc_u32_e32 v9, v9, v10
	v_mad_u64_u32 v[10:11], null, v9, s10, v[6:7]
	v_mad_u64_u32 v[17:18], null, v9, s11, v[7:8]
	s_delay_alu instid0(VALU_DEP_2) | instskip(NEXT) | instid1(VALU_DEP_2)
	v_dual_mov_b32 v9, v13 :: v_dual_mov_b32 v6, v10
	v_mov_b32_e32 v7, v17
	s_cbranch_scc1 .LBB207_64
.LBB207_65:
	s_and_not1_b32 vcc_lo, exec_lo, s6
	s_cbranch_vccnz .LBB207_68
; %bb.66:
	s_clause 0x1
	s_load_b128 s[4:7], s[0:1], 0x4
	s_load_b64 s[2:3], s[0:1], 0xc4
	s_cmp_lt_u32 s22, 2
	s_waitcnt lgkmcnt(0)
	v_mul_hi_u32 v6, s5, v8
	s_delay_alu instid0(VALU_DEP_1) | instskip(NEXT) | instid1(VALU_DEP_1)
	v_add_nc_u32_e32 v6, v8, v6
	v_lshrrev_b32_e32 v9, s6, v6
	s_delay_alu instid0(VALU_DEP_1) | instskip(NEXT) | instid1(VALU_DEP_1)
	v_mul_lo_u32 v6, v9, s4
	v_sub_nc_u32_e32 v7, v8, v6
	s_delay_alu instid0(VALU_DEP_1)
	v_mul_lo_u32 v6, v7, s2
	v_mul_lo_u32 v7, v7, s3
	s_cbranch_scc1 .LBB207_68
; %bb.67:
	s_clause 0x1
	s_load_b128 s[4:7], s[0:1], 0x10
	s_load_b64 s[2:3], s[0:1], 0xcc
	s_waitcnt lgkmcnt(0)
	v_mul_hi_u32 v8, s5, v9
	s_delay_alu instid0(VALU_DEP_1) | instskip(NEXT) | instid1(VALU_DEP_1)
	v_add_nc_u32_e32 v8, v9, v8
	v_lshrrev_b32_e32 v8, s6, v8
	s_delay_alu instid0(VALU_DEP_1) | instskip(NEXT) | instid1(VALU_DEP_1)
	v_mul_lo_u32 v8, v8, s4
	v_sub_nc_u32_e32 v11, v9, v8
	s_delay_alu instid0(VALU_DEP_1) | instskip(NEXT) | instid1(VALU_DEP_1)
	v_mad_u64_u32 v[8:9], null, v11, s2, v[6:7]
	v_mad_u64_u32 v[9:10], null, v11, s3, v[7:8]
	s_delay_alu instid0(VALU_DEP_1)
	v_dual_mov_b32 v6, v8 :: v_dual_mov_b32 v7, v9
.LBB207_68:
	v_cmp_ne_u32_e32 vcc_lo, 1, v14
	v_add_nc_u32_e32 v10, 0x200, v12
	s_cbranch_vccnz .LBB207_74
; %bb.69:
	v_dual_mov_b32 v8, 0 :: v_dual_mov_b32 v9, 0
	s_cmp_lg_u32 s22, 0
	s_mov_b32 s6, 0
	s_cbranch_scc0 .LBB207_78
; %bb.70:
	s_min_u32 s7, s23, 15
	v_mov_b32_e32 v8, 0
	s_add_i32 s7, s7, 1
	s_cmp_eq_u32 s23, 2
	s_mov_b32 s8, 0
	s_cbranch_scc1 .LBB207_75
; %bb.71:
	v_dual_mov_b32 v9, 0 :: v_dual_mov_b32 v8, 0
	v_mov_b32_e32 v11, v10
	s_add_u32 s2, s0, 0xc4
	s_addc_u32 s3, s1, 0
	s_and_b32 s8, s7, 28
	s_mov_b32 s9, 0
	s_mov_b64 s[4:5], s[0:1]
.LBB207_72:                             ; =>This Inner Loop Header: Depth=1
	s_clause 0x1
	s_load_b256 s[12:19], s[4:5], 0x4
	s_load_b128 s[36:39], s[4:5], 0x24
	s_load_b256 s[24:31], s[2:3], 0x0
	s_add_u32 s4, s4, 48
	s_addc_u32 s5, s5, 0
	s_add_i32 s9, s9, 4
	s_add_u32 s2, s2, 32
	s_addc_u32 s3, s3, 0
	s_cmp_lg_u32 s8, s9
	s_waitcnt lgkmcnt(0)
	v_mul_hi_u32 v13, s13, v11
	s_delay_alu instid0(VALU_DEP_1) | instskip(NEXT) | instid1(VALU_DEP_1)
	v_add_nc_u32_e32 v13, v11, v13
	v_lshrrev_b32_e32 v13, s14, v13
	s_delay_alu instid0(VALU_DEP_1) | instskip(SKIP_1) | instid1(VALU_DEP_2)
	v_mul_hi_u32 v15, s16, v13
	v_mul_lo_u32 v18, v13, s12
	v_add_nc_u32_e32 v15, v13, v15
	s_delay_alu instid0(VALU_DEP_2) | instskip(NEXT) | instid1(VALU_DEP_2)
	v_sub_nc_u32_e32 v11, v11, v18
	v_lshrrev_b32_e32 v15, s17, v15
	s_delay_alu instid0(VALU_DEP_2) | instskip(SKIP_1) | instid1(VALU_DEP_3)
	v_mul_lo_u32 v18, v11, s24
	v_mul_lo_u32 v20, v11, s25
	v_mul_hi_u32 v17, s19, v15
	s_delay_alu instid0(VALU_DEP_1) | instskip(NEXT) | instid1(VALU_DEP_1)
	v_add_nc_u32_e32 v17, v15, v17
	v_lshrrev_b32_e32 v17, s36, v17
	s_delay_alu instid0(VALU_DEP_1) | instskip(SKIP_1) | instid1(VALU_DEP_2)
	v_mul_hi_u32 v19, s38, v17
	v_mul_lo_u32 v21, v17, s18
	v_add_nc_u32_e32 v11, v17, v19
	v_mul_lo_u32 v19, v15, s15
	s_delay_alu instid0(VALU_DEP_3) | instskip(NEXT) | instid1(VALU_DEP_3)
	v_sub_nc_u32_e32 v15, v15, v21
	v_lshrrev_b32_e32 v11, s39, v11
	s_delay_alu instid0(VALU_DEP_2) | instskip(SKIP_2) | instid1(VALU_DEP_4)
	v_mul_lo_u32 v21, v15, s28
	v_mul_lo_u32 v15, v15, s29
	v_sub_nc_u32_e32 v13, v13, v19
	v_mul_lo_u32 v22, v11, s37
	s_delay_alu instid0(VALU_DEP_2) | instskip(SKIP_1) | instid1(VALU_DEP_3)
	v_mul_lo_u32 v19, v13, s26
	v_mul_lo_u32 v13, v13, s27
	v_sub_nc_u32_e32 v17, v17, v22
	s_delay_alu instid0(VALU_DEP_3) | instskip(NEXT) | instid1(VALU_DEP_2)
	v_add3_u32 v8, v18, v8, v19
	v_mul_lo_u32 v22, v17, s30
	v_mul_lo_u32 v17, v17, s31
	v_add3_u32 v9, v20, v9, v13
	s_delay_alu instid0(VALU_DEP_3) | instskip(NEXT) | instid1(VALU_DEP_2)
	v_add3_u32 v8, v21, v8, v22
	v_add3_u32 v9, v15, v9, v17
	s_cbranch_scc1 .LBB207_72
; %bb.73:
	s_and_b32 s7, s7, 3
	s_delay_alu instid0(SALU_CYCLE_1)
	s_cmp_eq_u32 s7, 0
	s_cbranch_scc0 .LBB207_76
	s_branch .LBB207_78
.LBB207_74:
	s_mov_b32 s6, -1
                                        ; implicit-def: $vgpr8
                                        ; implicit-def: $vgpr9
	s_branch .LBB207_78
.LBB207_75:
	v_mov_b32_e32 v11, v10
	v_mov_b32_e32 v9, 0
	s_and_b32 s7, s7, 3
	s_delay_alu instid0(SALU_CYCLE_1)
	s_cmp_eq_u32 s7, 0
	s_cbranch_scc1 .LBB207_78
.LBB207_76:
	s_lshl_b32 s2, s8, 3
	s_mul_i32 s4, s8, 12
	s_add_u32 s2, s2, s0
	s_addc_u32 s3, 0, s1
	s_add_u32 s2, s2, 0xc4
	s_addc_u32 s3, s3, 0
	;; [unrolled: 2-line block ×3, first 2 shown]
	.p2align	6
.LBB207_77:                             ; =>This Inner Loop Header: Depth=1
	s_clause 0x1
	s_load_b64 s[8:9], s[4:5], 0x4
	s_load_b32 s12, s[4:5], 0xc
	s_load_b64 s[10:11], s[2:3], 0x0
	s_add_u32 s4, s4, 12
	s_addc_u32 s5, s5, 0
	s_add_u32 s2, s2, 8
	s_addc_u32 s3, s3, 0
	s_add_i32 s7, s7, -1
	s_delay_alu instid0(SALU_CYCLE_1) | instskip(SKIP_2) | instid1(VALU_DEP_1)
	s_cmp_lg_u32 s7, 0
	s_waitcnt lgkmcnt(0)
	v_mul_hi_u32 v13, s9, v11
	v_add_nc_u32_e32 v13, v11, v13
	s_delay_alu instid0(VALU_DEP_1) | instskip(NEXT) | instid1(VALU_DEP_1)
	v_lshrrev_b32_e32 v13, s12, v13
	v_mul_lo_u32 v15, v13, s8
	s_delay_alu instid0(VALU_DEP_1) | instskip(NEXT) | instid1(VALU_DEP_1)
	v_sub_nc_u32_e32 v11, v11, v15
	v_mad_u64_u32 v[17:18], null, v11, s10, v[8:9]
	v_mad_u64_u32 v[18:19], null, v11, s11, v[9:10]
	v_mov_b32_e32 v11, v13
	s_delay_alu instid0(VALU_DEP_2)
	v_dual_mov_b32 v8, v17 :: v_dual_mov_b32 v9, v18
	s_cbranch_scc1 .LBB207_77
.LBB207_78:
	s_and_not1_b32 vcc_lo, exec_lo, s6
	s_cbranch_vccnz .LBB207_81
; %bb.79:
	s_clause 0x1
	s_load_b128 s[4:7], s[0:1], 0x4
	s_load_b64 s[2:3], s[0:1], 0xc4
	s_cmp_lt_u32 s22, 2
	s_waitcnt lgkmcnt(0)
	v_mul_hi_u32 v8, s5, v10
	s_delay_alu instid0(VALU_DEP_1) | instskip(NEXT) | instid1(VALU_DEP_1)
	v_add_nc_u32_e32 v8, v10, v8
	v_lshrrev_b32_e32 v11, s6, v8
	s_delay_alu instid0(VALU_DEP_1) | instskip(NEXT) | instid1(VALU_DEP_1)
	v_mul_lo_u32 v8, v11, s4
	v_sub_nc_u32_e32 v9, v10, v8
	s_delay_alu instid0(VALU_DEP_1)
	v_mul_lo_u32 v8, v9, s2
	v_mul_lo_u32 v9, v9, s3
	s_cbranch_scc1 .LBB207_81
; %bb.80:
	s_clause 0x1
	s_load_b128 s[4:7], s[0:1], 0x10
	s_load_b64 s[2:3], s[0:1], 0xcc
	s_waitcnt lgkmcnt(0)
	v_mul_hi_u32 v10, s5, v11
	s_delay_alu instid0(VALU_DEP_1) | instskip(NEXT) | instid1(VALU_DEP_1)
	v_add_nc_u32_e32 v10, v11, v10
	v_lshrrev_b32_e32 v10, s6, v10
	s_delay_alu instid0(VALU_DEP_1) | instskip(NEXT) | instid1(VALU_DEP_1)
	v_mul_lo_u32 v10, v10, s4
	v_sub_nc_u32_e32 v13, v11, v10
	s_delay_alu instid0(VALU_DEP_1) | instskip(NEXT) | instid1(VALU_DEP_1)
	v_mad_u64_u32 v[10:11], null, v13, s2, v[8:9]
	v_mad_u64_u32 v[17:18], null, v13, s3, v[9:10]
	s_delay_alu instid0(VALU_DEP_1)
	v_dual_mov_b32 v8, v10 :: v_dual_mov_b32 v9, v17
.LBB207_81:
	v_cmp_ne_u32_e32 vcc_lo, 1, v14
	v_add_nc_u32_e32 v13, 0x280, v12
	s_cbranch_vccnz .LBB207_87
; %bb.82:
	v_dual_mov_b32 v10, 0 :: v_dual_mov_b32 v11, 0
	s_cmp_lg_u32 s22, 0
	s_mov_b32 s6, 0
	s_cbranch_scc0 .LBB207_91
; %bb.83:
	s_min_u32 s7, s23, 15
	v_mov_b32_e32 v10, 0
	s_add_i32 s7, s7, 1
	s_cmp_eq_u32 s23, 2
	s_mov_b32 s8, 0
	s_cbranch_scc1 .LBB207_88
; %bb.84:
	v_dual_mov_b32 v11, 0 :: v_dual_mov_b32 v10, 0
	v_mov_b32_e32 v15, v13
	s_add_u32 s2, s0, 0xc4
	s_addc_u32 s3, s1, 0
	s_and_b32 s8, s7, 28
	s_mov_b32 s9, 0
	s_mov_b64 s[4:5], s[0:1]
.LBB207_85:                             ; =>This Inner Loop Header: Depth=1
	s_clause 0x1
	s_load_b256 s[12:19], s[4:5], 0x4
	s_load_b128 s[36:39], s[4:5], 0x24
	s_load_b256 s[24:31], s[2:3], 0x0
	s_add_u32 s4, s4, 48
	s_addc_u32 s5, s5, 0
	s_add_i32 s9, s9, 4
	s_add_u32 s2, s2, 32
	s_addc_u32 s3, s3, 0
	s_cmp_lg_u32 s8, s9
	s_waitcnt lgkmcnt(0)
	v_mul_hi_u32 v17, s13, v15
	s_delay_alu instid0(VALU_DEP_1) | instskip(NEXT) | instid1(VALU_DEP_1)
	v_add_nc_u32_e32 v17, v15, v17
	v_lshrrev_b32_e32 v17, s14, v17
	s_delay_alu instid0(VALU_DEP_1) | instskip(SKIP_1) | instid1(VALU_DEP_2)
	v_mul_hi_u32 v18, s16, v17
	v_mul_lo_u32 v20, v17, s12
	v_add_nc_u32_e32 v18, v17, v18
	s_delay_alu instid0(VALU_DEP_2) | instskip(NEXT) | instid1(VALU_DEP_2)
	v_sub_nc_u32_e32 v15, v15, v20
	v_lshrrev_b32_e32 v18, s17, v18
	s_delay_alu instid0(VALU_DEP_2) | instskip(SKIP_1) | instid1(VALU_DEP_3)
	v_mul_lo_u32 v20, v15, s24
	v_mul_lo_u32 v22, v15, s25
	v_mul_hi_u32 v19, s19, v18
	s_delay_alu instid0(VALU_DEP_1) | instskip(NEXT) | instid1(VALU_DEP_1)
	v_add_nc_u32_e32 v19, v18, v19
	v_lshrrev_b32_e32 v19, s36, v19
	s_delay_alu instid0(VALU_DEP_1) | instskip(SKIP_1) | instid1(VALU_DEP_2)
	v_mul_hi_u32 v21, s38, v19
	v_mul_lo_u32 v23, v19, s18
	v_add_nc_u32_e32 v15, v19, v21
	v_mul_lo_u32 v21, v18, s15
	s_delay_alu instid0(VALU_DEP_3) | instskip(NEXT) | instid1(VALU_DEP_3)
	v_sub_nc_u32_e32 v18, v18, v23
	v_lshrrev_b32_e32 v15, s39, v15
	s_delay_alu instid0(VALU_DEP_2) | instskip(SKIP_2) | instid1(VALU_DEP_4)
	v_mul_lo_u32 v23, v18, s28
	v_mul_lo_u32 v18, v18, s29
	v_sub_nc_u32_e32 v17, v17, v21
	v_mul_lo_u32 v24, v15, s37
	s_delay_alu instid0(VALU_DEP_2) | instskip(SKIP_1) | instid1(VALU_DEP_3)
	v_mul_lo_u32 v21, v17, s26
	v_mul_lo_u32 v17, v17, s27
	v_sub_nc_u32_e32 v19, v19, v24
	s_delay_alu instid0(VALU_DEP_3) | instskip(NEXT) | instid1(VALU_DEP_2)
	v_add3_u32 v10, v20, v10, v21
	v_mul_lo_u32 v24, v19, s30
	v_mul_lo_u32 v19, v19, s31
	v_add3_u32 v11, v22, v11, v17
	s_delay_alu instid0(VALU_DEP_3) | instskip(NEXT) | instid1(VALU_DEP_2)
	v_add3_u32 v10, v23, v10, v24
	v_add3_u32 v11, v18, v11, v19
	s_cbranch_scc1 .LBB207_85
; %bb.86:
	s_and_b32 s7, s7, 3
	s_delay_alu instid0(SALU_CYCLE_1)
	s_cmp_eq_u32 s7, 0
	s_cbranch_scc0 .LBB207_89
	s_branch .LBB207_91
.LBB207_87:
	s_mov_b32 s6, -1
                                        ; implicit-def: $vgpr10
                                        ; implicit-def: $vgpr11
	s_branch .LBB207_91
.LBB207_88:
	v_mov_b32_e32 v15, v13
	v_mov_b32_e32 v11, 0
	s_and_b32 s7, s7, 3
	s_delay_alu instid0(SALU_CYCLE_1)
	s_cmp_eq_u32 s7, 0
	s_cbranch_scc1 .LBB207_91
.LBB207_89:
	s_lshl_b32 s2, s8, 3
	s_mul_i32 s4, s8, 12
	s_add_u32 s2, s2, s0
	s_addc_u32 s3, 0, s1
	s_add_u32 s2, s2, 0xc4
	s_addc_u32 s3, s3, 0
	;; [unrolled: 2-line block ×3, first 2 shown]
	.p2align	6
.LBB207_90:                             ; =>This Inner Loop Header: Depth=1
	s_clause 0x1
	s_load_b64 s[8:9], s[4:5], 0x4
	s_load_b32 s12, s[4:5], 0xc
	s_load_b64 s[10:11], s[2:3], 0x0
	s_add_u32 s4, s4, 12
	s_addc_u32 s5, s5, 0
	s_add_u32 s2, s2, 8
	s_addc_u32 s3, s3, 0
	s_add_i32 s7, s7, -1
	s_delay_alu instid0(SALU_CYCLE_1) | instskip(SKIP_2) | instid1(VALU_DEP_1)
	s_cmp_lg_u32 s7, 0
	s_waitcnt lgkmcnt(0)
	v_mul_hi_u32 v17, s9, v15
	v_add_nc_u32_e32 v17, v15, v17
	s_delay_alu instid0(VALU_DEP_1) | instskip(NEXT) | instid1(VALU_DEP_1)
	v_lshrrev_b32_e32 v20, s12, v17
	v_mul_lo_u32 v17, v20, s8
	s_delay_alu instid0(VALU_DEP_1) | instskip(NEXT) | instid1(VALU_DEP_1)
	v_sub_nc_u32_e32 v15, v15, v17
	v_mad_u64_u32 v[17:18], null, v15, s10, v[10:11]
	v_mad_u64_u32 v[18:19], null, v15, s11, v[11:12]
	s_delay_alu instid0(VALU_DEP_2) | instskip(NEXT) | instid1(VALU_DEP_2)
	v_dual_mov_b32 v15, v20 :: v_dual_mov_b32 v10, v17
	v_mov_b32_e32 v11, v18
	s_cbranch_scc1 .LBB207_90
.LBB207_91:
	s_and_not1_b32 vcc_lo, exec_lo, s6
	s_cbranch_vccnz .LBB207_94
; %bb.92:
	s_clause 0x1
	s_load_b128 s[4:7], s[0:1], 0x4
	s_load_b64 s[2:3], s[0:1], 0xc4
	s_cmp_lt_u32 s22, 2
	s_waitcnt lgkmcnt(0)
	v_mul_hi_u32 v10, s5, v13
	s_delay_alu instid0(VALU_DEP_1) | instskip(NEXT) | instid1(VALU_DEP_1)
	v_add_nc_u32_e32 v10, v13, v10
	v_lshrrev_b32_e32 v15, s6, v10
	s_delay_alu instid0(VALU_DEP_1) | instskip(NEXT) | instid1(VALU_DEP_1)
	v_mul_lo_u32 v10, v15, s4
	v_sub_nc_u32_e32 v11, v13, v10
	s_delay_alu instid0(VALU_DEP_1)
	v_mul_lo_u32 v10, v11, s2
	v_mul_lo_u32 v11, v11, s3
	s_cbranch_scc1 .LBB207_94
; %bb.93:
	s_clause 0x1
	s_load_b128 s[4:7], s[0:1], 0x10
	s_load_b64 s[2:3], s[0:1], 0xcc
	s_waitcnt lgkmcnt(0)
	v_mul_hi_u32 v13, s5, v15
	s_delay_alu instid0(VALU_DEP_1) | instskip(NEXT) | instid1(VALU_DEP_1)
	v_add_nc_u32_e32 v13, v15, v13
	v_lshrrev_b32_e32 v13, s6, v13
	s_delay_alu instid0(VALU_DEP_1) | instskip(NEXT) | instid1(VALU_DEP_1)
	v_mul_lo_u32 v13, v13, s4
	v_sub_nc_u32_e32 v13, v15, v13
	s_delay_alu instid0(VALU_DEP_1) | instskip(SKIP_1) | instid1(VALU_DEP_1)
	v_mad_u64_u32 v[17:18], null, v13, s2, v[10:11]
	v_mad_u64_u32 v[18:19], null, v13, s3, v[11:12]
	v_dual_mov_b32 v10, v17 :: v_dual_mov_b32 v11, v18
.LBB207_94:
	v_cmp_ne_u32_e32 vcc_lo, 1, v14
	v_add_nc_u32_e32 v15, 0x300, v12
	s_cbranch_vccnz .LBB207_100
; %bb.95:
	v_dual_mov_b32 v12, 0 :: v_dual_mov_b32 v13, 0
	s_cmp_lg_u32 s22, 0
	s_mov_b32 s6, 0
	s_cbranch_scc0 .LBB207_104
; %bb.96:
	s_min_u32 s7, s23, 15
	v_mov_b32_e32 v12, 0
	s_add_i32 s7, s7, 1
	s_cmp_eq_u32 s23, 2
	s_mov_b32 s8, 0
	s_cbranch_scc1 .LBB207_101
; %bb.97:
	v_dual_mov_b32 v13, 0 :: v_dual_mov_b32 v12, 0
	v_mov_b32_e32 v17, v15
	s_add_u32 s2, s0, 0xc4
	s_addc_u32 s3, s1, 0
	s_and_b32 s8, s7, 28
	s_mov_b32 s9, 0
	s_mov_b64 s[4:5], s[0:1]
.LBB207_98:                             ; =>This Inner Loop Header: Depth=1
	s_clause 0x1
	s_load_b256 s[12:19], s[4:5], 0x4
	s_load_b128 s[36:39], s[4:5], 0x24
	s_load_b256 s[24:31], s[2:3], 0x0
	s_add_u32 s4, s4, 48
	s_addc_u32 s5, s5, 0
	s_add_i32 s9, s9, 4
	s_add_u32 s2, s2, 32
	s_addc_u32 s3, s3, 0
	s_cmp_lg_u32 s8, s9
	s_waitcnt lgkmcnt(0)
	v_mul_hi_u32 v18, s13, v17
	s_delay_alu instid0(VALU_DEP_1) | instskip(NEXT) | instid1(VALU_DEP_1)
	v_add_nc_u32_e32 v18, v17, v18
	v_lshrrev_b32_e32 v18, s14, v18
	s_delay_alu instid0(VALU_DEP_1) | instskip(SKIP_1) | instid1(VALU_DEP_2)
	v_mul_hi_u32 v19, s16, v18
	v_mul_lo_u32 v21, v18, s12
	v_add_nc_u32_e32 v19, v18, v19
	s_delay_alu instid0(VALU_DEP_2) | instskip(NEXT) | instid1(VALU_DEP_2)
	v_sub_nc_u32_e32 v17, v17, v21
	v_lshrrev_b32_e32 v19, s17, v19
	s_delay_alu instid0(VALU_DEP_2) | instskip(SKIP_1) | instid1(VALU_DEP_3)
	v_mul_lo_u32 v21, v17, s24
	v_mul_lo_u32 v23, v17, s25
	v_mul_hi_u32 v20, s19, v19
	s_delay_alu instid0(VALU_DEP_1) | instskip(NEXT) | instid1(VALU_DEP_1)
	v_add_nc_u32_e32 v20, v19, v20
	v_lshrrev_b32_e32 v20, s36, v20
	s_delay_alu instid0(VALU_DEP_1) | instskip(SKIP_1) | instid1(VALU_DEP_2)
	v_mul_hi_u32 v22, s38, v20
	v_mul_lo_u32 v24, v20, s18
	v_add_nc_u32_e32 v17, v20, v22
	v_mul_lo_u32 v22, v19, s15
	s_delay_alu instid0(VALU_DEP_3) | instskip(NEXT) | instid1(VALU_DEP_3)
	v_sub_nc_u32_e32 v19, v19, v24
	v_lshrrev_b32_e32 v17, s39, v17
	s_delay_alu instid0(VALU_DEP_2) | instskip(SKIP_2) | instid1(VALU_DEP_4)
	v_mul_lo_u32 v24, v19, s28
	v_mul_lo_u32 v19, v19, s29
	v_sub_nc_u32_e32 v18, v18, v22
	v_mul_lo_u32 v25, v17, s37
	s_delay_alu instid0(VALU_DEP_2) | instskip(SKIP_1) | instid1(VALU_DEP_3)
	v_mul_lo_u32 v22, v18, s26
	v_mul_lo_u32 v18, v18, s27
	v_sub_nc_u32_e32 v20, v20, v25
	s_delay_alu instid0(VALU_DEP_3) | instskip(NEXT) | instid1(VALU_DEP_2)
	v_add3_u32 v12, v21, v12, v22
	v_mul_lo_u32 v25, v20, s30
	v_mul_lo_u32 v20, v20, s31
	v_add3_u32 v13, v23, v13, v18
	s_delay_alu instid0(VALU_DEP_3) | instskip(NEXT) | instid1(VALU_DEP_2)
	v_add3_u32 v12, v24, v12, v25
	v_add3_u32 v13, v19, v13, v20
	s_cbranch_scc1 .LBB207_98
; %bb.99:
	s_and_b32 s7, s7, 3
	s_delay_alu instid0(SALU_CYCLE_1)
	s_cmp_eq_u32 s7, 0
	s_cbranch_scc0 .LBB207_102
	s_branch .LBB207_104
.LBB207_100:
	s_mov_b32 s6, -1
                                        ; implicit-def: $vgpr12
                                        ; implicit-def: $vgpr13
	s_branch .LBB207_104
.LBB207_101:
	v_mov_b32_e32 v17, v15
	v_mov_b32_e32 v13, 0
	s_and_b32 s7, s7, 3
	s_delay_alu instid0(SALU_CYCLE_1)
	s_cmp_eq_u32 s7, 0
	s_cbranch_scc1 .LBB207_104
.LBB207_102:
	s_lshl_b32 s2, s8, 3
	s_mul_i32 s4, s8, 12
	s_add_u32 s2, s2, s0
	s_addc_u32 s3, 0, s1
	s_add_u32 s2, s2, 0xc4
	s_addc_u32 s3, s3, 0
	;; [unrolled: 2-line block ×3, first 2 shown]
	.p2align	6
.LBB207_103:                            ; =>This Inner Loop Header: Depth=1
	s_clause 0x1
	s_load_b64 s[8:9], s[4:5], 0x4
	s_load_b32 s12, s[4:5], 0xc
	s_load_b64 s[10:11], s[2:3], 0x0
	s_add_u32 s4, s4, 12
	s_addc_u32 s5, s5, 0
	s_add_u32 s2, s2, 8
	s_addc_u32 s3, s3, 0
	s_add_i32 s7, s7, -1
	s_delay_alu instid0(SALU_CYCLE_1) | instskip(SKIP_2) | instid1(VALU_DEP_1)
	s_cmp_lg_u32 s7, 0
	s_waitcnt lgkmcnt(0)
	v_mul_hi_u32 v18, s9, v17
	v_add_nc_u32_e32 v18, v17, v18
	s_delay_alu instid0(VALU_DEP_1) | instskip(NEXT) | instid1(VALU_DEP_1)
	v_lshrrev_b32_e32 v21, s12, v18
	v_mul_lo_u32 v18, v21, s8
	s_delay_alu instid0(VALU_DEP_1) | instskip(NEXT) | instid1(VALU_DEP_1)
	v_sub_nc_u32_e32 v17, v17, v18
	v_mad_u64_u32 v[18:19], null, v17, s10, v[12:13]
	v_mad_u64_u32 v[19:20], null, v17, s11, v[13:14]
	s_delay_alu instid0(VALU_DEP_2) | instskip(NEXT) | instid1(VALU_DEP_2)
	v_dual_mov_b32 v17, v21 :: v_dual_mov_b32 v12, v18
	v_mov_b32_e32 v13, v19
	s_cbranch_scc1 .LBB207_103
.LBB207_104:
	s_and_not1_b32 vcc_lo, exec_lo, s6
	s_cbranch_vccnz .LBB207_107
; %bb.105:
	s_clause 0x1
	s_load_b128 s[4:7], s[0:1], 0x4
	s_load_b64 s[2:3], s[0:1], 0xc4
	s_cmp_lt_u32 s22, 2
	s_waitcnt lgkmcnt(0)
	v_mul_hi_u32 v12, s5, v15
	s_delay_alu instid0(VALU_DEP_1) | instskip(NEXT) | instid1(VALU_DEP_1)
	v_add_nc_u32_e32 v12, v15, v12
	v_lshrrev_b32_e32 v17, s6, v12
	s_delay_alu instid0(VALU_DEP_1) | instskip(NEXT) | instid1(VALU_DEP_1)
	v_mul_lo_u32 v12, v17, s4
	v_sub_nc_u32_e32 v13, v15, v12
	s_delay_alu instid0(VALU_DEP_1)
	v_mul_lo_u32 v12, v13, s2
	v_mul_lo_u32 v13, v13, s3
	s_cbranch_scc1 .LBB207_107
; %bb.106:
	s_clause 0x1
	s_load_b128 s[4:7], s[0:1], 0x10
	s_load_b64 s[2:3], s[0:1], 0xcc
	s_waitcnt lgkmcnt(0)
	v_mul_hi_u32 v15, s5, v17
	s_delay_alu instid0(VALU_DEP_1) | instskip(NEXT) | instid1(VALU_DEP_1)
	v_add_nc_u32_e32 v15, v17, v15
	v_lshrrev_b32_e32 v15, s6, v15
	s_delay_alu instid0(VALU_DEP_1) | instskip(NEXT) | instid1(VALU_DEP_1)
	v_mul_lo_u32 v15, v15, s4
	v_sub_nc_u32_e32 v15, v17, v15
	s_delay_alu instid0(VALU_DEP_1) | instskip(SKIP_1) | instid1(VALU_DEP_1)
	v_mad_u64_u32 v[17:18], null, v15, s2, v[12:13]
	v_mad_u64_u32 v[18:19], null, v15, s3, v[13:14]
	v_dual_mov_b32 v12, v17 :: v_dual_mov_b32 v13, v18
.LBB207_107:
	v_cmp_ne_u32_e32 vcc_lo, 1, v14
	s_cbranch_vccnz .LBB207_113
; %bb.108:
	v_dual_mov_b32 v14, 0 :: v_dual_mov_b32 v15, 0
	s_cmp_lg_u32 s22, 0
	s_mov_b32 s6, 0
	s_cbranch_scc0 .LBB207_117
; %bb.109:
	s_min_u32 s7, s23, 15
	v_mov_b32_e32 v14, 0
	s_add_i32 s7, s7, 1
	s_cmp_eq_u32 s23, 2
	s_mov_b32 s8, 0
	s_cbranch_scc1 .LBB207_114
; %bb.110:
	v_dual_mov_b32 v15, 0 :: v_dual_mov_b32 v14, 0
	v_mov_b32_e32 v17, v16
	s_add_u32 s2, s0, 0xc4
	s_addc_u32 s3, s1, 0
	s_and_b32 s8, s7, 28
	s_mov_b32 s9, 0
	s_mov_b64 s[4:5], s[0:1]
.LBB207_111:                            ; =>This Inner Loop Header: Depth=1
	s_clause 0x1
	s_load_b256 s[12:19], s[4:5], 0x4
	s_load_b128 s[36:39], s[4:5], 0x24
	s_load_b256 s[24:31], s[2:3], 0x0
	s_add_u32 s4, s4, 48
	s_addc_u32 s5, s5, 0
	s_add_i32 s9, s9, 4
	s_add_u32 s2, s2, 32
	s_addc_u32 s3, s3, 0
	s_cmp_lg_u32 s8, s9
	s_waitcnt lgkmcnt(0)
	v_mul_hi_u32 v18, s13, v17
	s_delay_alu instid0(VALU_DEP_1) | instskip(NEXT) | instid1(VALU_DEP_1)
	v_add_nc_u32_e32 v18, v17, v18
	v_lshrrev_b32_e32 v18, s14, v18
	s_delay_alu instid0(VALU_DEP_1) | instskip(SKIP_1) | instid1(VALU_DEP_2)
	v_mul_hi_u32 v19, s16, v18
	v_mul_lo_u32 v21, v18, s12
	v_add_nc_u32_e32 v19, v18, v19
	s_delay_alu instid0(VALU_DEP_2) | instskip(NEXT) | instid1(VALU_DEP_2)
	v_sub_nc_u32_e32 v17, v17, v21
	v_lshrrev_b32_e32 v19, s17, v19
	s_delay_alu instid0(VALU_DEP_2) | instskip(SKIP_1) | instid1(VALU_DEP_3)
	v_mul_lo_u32 v21, v17, s24
	v_mul_lo_u32 v23, v17, s25
	v_mul_hi_u32 v20, s19, v19
	s_delay_alu instid0(VALU_DEP_1) | instskip(NEXT) | instid1(VALU_DEP_1)
	v_add_nc_u32_e32 v20, v19, v20
	v_lshrrev_b32_e32 v20, s36, v20
	s_delay_alu instid0(VALU_DEP_1) | instskip(SKIP_1) | instid1(VALU_DEP_2)
	v_mul_hi_u32 v22, s38, v20
	v_mul_lo_u32 v24, v20, s18
	v_add_nc_u32_e32 v17, v20, v22
	v_mul_lo_u32 v22, v19, s15
	s_delay_alu instid0(VALU_DEP_3) | instskip(NEXT) | instid1(VALU_DEP_3)
	v_sub_nc_u32_e32 v19, v19, v24
	v_lshrrev_b32_e32 v17, s39, v17
	s_delay_alu instid0(VALU_DEP_2) | instskip(SKIP_2) | instid1(VALU_DEP_4)
	v_mul_lo_u32 v24, v19, s28
	v_mul_lo_u32 v19, v19, s29
	v_sub_nc_u32_e32 v18, v18, v22
	v_mul_lo_u32 v25, v17, s37
	s_delay_alu instid0(VALU_DEP_2) | instskip(SKIP_1) | instid1(VALU_DEP_3)
	v_mul_lo_u32 v22, v18, s26
	v_mul_lo_u32 v18, v18, s27
	v_sub_nc_u32_e32 v20, v20, v25
	s_delay_alu instid0(VALU_DEP_3) | instskip(NEXT) | instid1(VALU_DEP_2)
	v_add3_u32 v14, v21, v14, v22
	v_mul_lo_u32 v25, v20, s30
	v_mul_lo_u32 v20, v20, s31
	v_add3_u32 v15, v23, v15, v18
	s_delay_alu instid0(VALU_DEP_3) | instskip(NEXT) | instid1(VALU_DEP_2)
	v_add3_u32 v14, v24, v14, v25
	v_add3_u32 v15, v19, v15, v20
	s_cbranch_scc1 .LBB207_111
; %bb.112:
	s_and_b32 s7, s7, 3
	s_delay_alu instid0(SALU_CYCLE_1)
	s_cmp_eq_u32 s7, 0
	s_cbranch_scc0 .LBB207_115
	s_branch .LBB207_117
.LBB207_113:
	s_mov_b32 s6, -1
                                        ; implicit-def: $vgpr14
                                        ; implicit-def: $vgpr15
	s_branch .LBB207_117
.LBB207_114:
	v_mov_b32_e32 v17, v16
	v_mov_b32_e32 v15, 0
	s_and_b32 s7, s7, 3
	s_delay_alu instid0(SALU_CYCLE_1)
	s_cmp_eq_u32 s7, 0
	s_cbranch_scc1 .LBB207_117
.LBB207_115:
	s_lshl_b32 s2, s8, 3
	s_mul_i32 s4, s8, 12
	s_add_u32 s2, s2, s0
	s_addc_u32 s3, 0, s1
	s_add_u32 s2, s2, 0xc4
	s_addc_u32 s3, s3, 0
	;; [unrolled: 2-line block ×3, first 2 shown]
	.p2align	6
.LBB207_116:                            ; =>This Inner Loop Header: Depth=1
	s_clause 0x1
	s_load_b64 s[8:9], s[4:5], 0x4
	s_load_b32 s12, s[4:5], 0xc
	s_load_b64 s[10:11], s[2:3], 0x0
	s_add_u32 s4, s4, 12
	s_addc_u32 s5, s5, 0
	s_add_u32 s2, s2, 8
	s_addc_u32 s3, s3, 0
	s_add_i32 s7, s7, -1
	s_delay_alu instid0(SALU_CYCLE_1) | instskip(SKIP_2) | instid1(VALU_DEP_1)
	s_cmp_lg_u32 s7, 0
	s_waitcnt lgkmcnt(0)
	v_mul_hi_u32 v18, s9, v17
	v_add_nc_u32_e32 v18, v17, v18
	s_delay_alu instid0(VALU_DEP_1) | instskip(NEXT) | instid1(VALU_DEP_1)
	v_lshrrev_b32_e32 v21, s12, v18
	v_mul_lo_u32 v18, v21, s8
	s_delay_alu instid0(VALU_DEP_1) | instskip(NEXT) | instid1(VALU_DEP_1)
	v_sub_nc_u32_e32 v17, v17, v18
	v_mad_u64_u32 v[18:19], null, v17, s10, v[14:15]
	v_mad_u64_u32 v[19:20], null, v17, s11, v[15:16]
	s_delay_alu instid0(VALU_DEP_2) | instskip(NEXT) | instid1(VALU_DEP_2)
	v_dual_mov_b32 v17, v21 :: v_dual_mov_b32 v14, v18
	v_mov_b32_e32 v15, v19
	s_cbranch_scc1 .LBB207_116
.LBB207_117:
	s_and_not1_b32 vcc_lo, exec_lo, s6
	s_cbranch_vccnz .LBB207_120
; %bb.118:
	s_clause 0x1
	s_load_b128 s[4:7], s[0:1], 0x4
	s_load_b64 s[2:3], s[0:1], 0xc4
	s_cmp_lt_u32 s22, 2
	s_waitcnt lgkmcnt(0)
	v_mul_hi_u32 v14, s5, v16
	s_delay_alu instid0(VALU_DEP_1) | instskip(NEXT) | instid1(VALU_DEP_1)
	v_add_nc_u32_e32 v14, v16, v14
	v_lshrrev_b32_e32 v17, s6, v14
	s_delay_alu instid0(VALU_DEP_1) | instskip(NEXT) | instid1(VALU_DEP_1)
	v_mul_lo_u32 v14, v17, s4
	v_sub_nc_u32_e32 v15, v16, v14
	s_delay_alu instid0(VALU_DEP_1)
	v_mul_lo_u32 v14, v15, s2
	v_mul_lo_u32 v15, v15, s3
	s_cbranch_scc1 .LBB207_120
; %bb.119:
	s_clause 0x1
	s_load_b128 s[4:7], s[0:1], 0x10
	s_load_b64 s[2:3], s[0:1], 0xcc
	s_waitcnt lgkmcnt(0)
	v_mul_hi_u32 v16, s5, v17
	s_delay_alu instid0(VALU_DEP_1) | instskip(NEXT) | instid1(VALU_DEP_1)
	v_add_nc_u32_e32 v16, v17, v16
	v_lshrrev_b32_e32 v16, s6, v16
	s_delay_alu instid0(VALU_DEP_1) | instskip(NEXT) | instid1(VALU_DEP_1)
	v_mul_lo_u32 v16, v16, s4
	v_sub_nc_u32_e32 v19, v17, v16
	s_delay_alu instid0(VALU_DEP_1) | instskip(NEXT) | instid1(VALU_DEP_1)
	v_mad_u64_u32 v[16:17], null, v19, s2, v[14:15]
	v_mad_u64_u32 v[17:18], null, v19, s3, v[15:16]
	s_delay_alu instid0(VALU_DEP_1)
	v_dual_mov_b32 v14, v16 :: v_dual_mov_b32 v15, v17
.LBB207_120:
	s_load_b128 s[8:11], s[0:1], 0x148
	s_waitcnt lgkmcnt(0)
	s_clause 0x7
	global_load_u16 v1, v1, s[10:11]
	global_load_u16 v3, v3, s[10:11]
	;; [unrolled: 1-line block ×8, first 2 shown]
	s_waitcnt vmcnt(7)
	v_lshlrev_b32_e32 v1, 16, v1
	s_waitcnt vmcnt(6)
	v_lshlrev_b32_e32 v3, 16, v3
	;; [unrolled: 2-line block ×3, first 2 shown]
	v_cvt_f64_f32_e32 v[15:16], v1
	s_delay_alu instid0(VALU_DEP_3)
	v_cvt_f64_f32_e32 v[17:18], v3
	s_waitcnt vmcnt(4)
	v_lshlrev_b32_e32 v1, 16, v7
	v_cvt_f64_f32_e32 v[19:20], v5
	s_waitcnt vmcnt(3)
	v_lshlrev_b32_e32 v3, 16, v9
	s_waitcnt vmcnt(2)
	v_lshlrev_b32_e32 v5, 16, v11
	v_cvt_f64_f32_e32 v[21:22], v1
	s_waitcnt vmcnt(1)
	v_lshlrev_b32_e32 v1, 16, v13
	v_cvt_f64_f32_e32 v[23:24], v3
	;; [unrolled: 3-line block ×3, first 2 shown]
	v_cvt_f64_f32_e32 v[27:28], v1
	s_delay_alu instid0(VALU_DEP_3)
	v_cvt_f64_f32_e32 v[29:30], v3
	v_rsq_f64_e32 v[31:32], v[15:16]
	v_rsq_f64_e32 v[33:34], v[17:18]
	;; [unrolled: 1-line block ×5, first 2 shown]
	s_delay_alu instid0(VALU_DEP_3) | instskip(NEXT) | instid1(VALU_DEP_2)
	v_rsq_f64_e32 v[41:42], v[25:26]
	v_rsq_f64_e32 v[43:44], v[27:28]
	s_delay_alu instid0(VALU_DEP_1)
	v_rsq_f64_e32 v[45:46], v[29:30]
	v_mul_f64 v[15:16], v[31:32], -v[15:16]
	v_mul_f64 v[17:18], v[33:34], -v[17:18]
	v_cmp_class_f64_e64 vcc_lo, v[31:32], 0x180
	v_mul_f64 v[19:20], v[35:36], -v[19:20]
	v_cmp_class_f64_e64 s0, v[33:34], 0x180
	v_cmp_class_f64_e64 s1, v[35:36], 0x180
	v_mul_f64 v[21:22], v[37:38], -v[21:22]
	v_cmp_class_f64_e64 s2, v[37:38], 0x180
	v_mul_f64 v[23:24], v[39:40], -v[23:24]
	v_cmp_class_f64_e64 s3, v[39:40], 0x180
	s_delay_alu instid0(TRANS32_DEP_3) | instskip(SKIP_1) | instid1(TRANS32_DEP_2)
	v_mul_f64 v[25:26], v[41:42], -v[25:26]
	v_cmp_class_f64_e64 s4, v[41:42], 0x180
	v_mul_f64 v[27:28], v[43:44], -v[27:28]
	v_cmp_class_f64_e64 s5, v[43:44], 0x180
	s_delay_alu instid0(TRANS32_DEP_1)
	v_mul_f64 v[29:30], v[45:46], -v[29:30]
	v_cmp_class_f64_e64 s6, v[45:46], 0x180
	v_fma_f64 v[15:16], v[15:16], v[31:32], 1.0
	v_fma_f64 v[17:18], v[17:18], v[33:34], 1.0
	v_fma_f64 v[19:20], v[19:20], v[35:36], 1.0
	v_fma_f64 v[21:22], v[21:22], v[37:38], 1.0
	v_fma_f64 v[23:24], v[23:24], v[39:40], 1.0
	v_fma_f64 v[25:26], v[25:26], v[41:42], 1.0
	v_fma_f64 v[27:28], v[27:28], v[43:44], 1.0
	v_fma_f64 v[29:30], v[29:30], v[45:46], 1.0
	v_mul_f64 v[47:48], v[31:32], v[15:16]
	v_fma_f64 v[15:16], 0x3fd80000, v[15:16], 0.5
	v_mul_f64 v[49:50], v[33:34], v[17:18]
	v_fma_f64 v[17:18], 0x3fd80000, v[17:18], 0.5
	;; [unrolled: 2-line block ×8, first 2 shown]
	v_fma_f64 v[15:16], v[47:48], v[15:16], v[31:32]
	v_fma_f64 v[17:18], v[49:50], v[17:18], v[33:34]
	;; [unrolled: 1-line block ×8, first 2 shown]
	v_dual_cndmask_b32 v16, v32, v16 :: v_dual_cndmask_b32 v15, v31, v15
	v_cndmask_b32_e64 v18, v34, v18, s0
	v_cndmask_b32_e64 v17, v33, v17, s0
	;; [unrolled: 1-line block ×4, first 2 shown]
	v_cvt_f32_f64_e32 v1, v[15:16]
	v_cndmask_b32_e64 v22, v38, v22, s2
	v_cvt_f32_f64_e32 v3, v[17:18]
	v_cndmask_b32_e64 v21, v37, v21, s2
	;; [unrolled: 2-line block ×3, first 2 shown]
	v_cndmask_b32_e64 v23, v39, v23, s3
	v_cndmask_b32_e64 v26, v42, v26, s4
	v_cvt_f32_f64_e32 v7, v[21:22]
	v_cndmask_b32_e64 v25, v41, v25, s4
	v_cndmask_b32_e64 v28, v44, v28, s5
	v_cvt_f32_f64_e32 v9, v[23:24]
	;; [unrolled: 3-line block ×3, first 2 shown]
	v_cndmask_b32_e64 v29, v45, v29, s6
	s_delay_alu instid0(VALU_DEP_4) | instskip(NEXT) | instid1(VALU_DEP_2)
	v_cvt_f32_f64_e32 v13, v[27:28]
	v_cvt_f32_f64_e32 v15, v[29:30]
	v_bfe_u32 v16, v1, 16, 1
	v_cmp_o_f32_e32 vcc_lo, v1, v1
	v_bfe_u32 v17, v3, 16, 1
	v_bfe_u32 v18, v5, 16, 1
	s_delay_alu instid0(VALU_DEP_4) | instskip(NEXT) | instid1(VALU_DEP_3)
	v_add3_u32 v16, v1, v16, 0x7fff
	v_add3_u32 v17, v3, v17, 0x7fff
	v_bfe_u32 v19, v7, 16, 1
	s_delay_alu instid0(VALU_DEP_4) | instskip(NEXT) | instid1(VALU_DEP_4)
	v_add3_u32 v18, v5, v18, 0x7fff
	v_lshrrev_b32_e32 v16, 16, v16
	v_bfe_u32 v20, v9, 16, 1
	v_lshrrev_b32_e32 v17, 16, v17
	v_add3_u32 v19, v7, v19, 0x7fff
	v_lshrrev_b32_e32 v18, 16, v18
	v_cndmask_b32_e32 v1, 0x7fc0, v16, vcc_lo
	v_cmp_o_f32_e32 vcc_lo, v3, v3
	v_bfe_u32 v21, v11, 16, 1
	v_add3_u32 v20, v9, v20, 0x7fff
	v_lshrrev_b32_e32 v19, 16, v19
	v_bfe_u32 v22, v13, 16, 1
	v_cndmask_b32_e32 v3, 0x7fc0, v17, vcc_lo
	v_cmp_o_f32_e32 vcc_lo, v5, v5
	v_add3_u32 v21, v11, v21, 0x7fff
	v_lshrrev_b32_e32 v20, 16, v20
	v_bfe_u32 v23, v15, 16, 1
	v_add3_u32 v22, v13, v22, 0x7fff
	v_cndmask_b32_e32 v5, 0x7fc0, v18, vcc_lo
	v_cmp_o_f32_e32 vcc_lo, v7, v7
	v_lshrrev_b32_e32 v21, 16, v21
	v_add3_u32 v23, v15, v23, 0x7fff
	v_lshrrev_b32_e32 v22, 16, v22
	v_cndmask_b32_e32 v7, 0x7fc0, v19, vcc_lo
	v_cmp_o_f32_e32 vcc_lo, v9, v9
	s_delay_alu instid0(VALU_DEP_4)
	v_lshrrev_b32_e32 v23, 16, v23
	v_cndmask_b32_e32 v9, 0x7fc0, v20, vcc_lo
	v_cmp_o_f32_e32 vcc_lo, v11, v11
	v_cndmask_b32_e32 v11, 0x7fc0, v21, vcc_lo
	v_cmp_o_f32_e32 vcc_lo, v13, v13
	;; [unrolled: 2-line block ×3, first 2 shown]
	v_cndmask_b32_e32 v15, 0x7fc0, v23, vcc_lo
	s_clause 0x7
	global_store_b16 v0, v1, s[8:9]
	global_store_b16 v2, v3, s[8:9]
	global_store_b16 v4, v5, s[8:9]
	global_store_b16 v6, v7, s[8:9]
	global_store_b16 v8, v9, s[8:9]
	global_store_b16 v10, v11, s[8:9]
	global_store_b16 v12, v13, s[8:9]
	global_store_b16 v14, v15, s[8:9]
	s_nop 0
	s_sendmsg sendmsg(MSG_DEALLOC_VGPRS)
	s_endpgm
.LBB207_121:
	v_dual_mov_b32 v2, v12 :: v_dual_mov_b32 v1, 0
.LBB207_122:
	s_and_b32 s34, s34, 3
	s_delay_alu instid0(SALU_CYCLE_1)
	s_cmp_eq_u32 s34, 0
	s_cbranch_scc1 .LBB207_125
; %bb.123:
	s_lshl_b32 s18, s33, 3
	s_mul_i32 s20, s33, 12
	s_add_u32 s18, s18, s0
	s_addc_u32 s19, s1, 0
	s_add_u32 s18, s18, 0xc4
	s_addc_u32 s19, s19, 0
	;; [unrolled: 2-line block ×3, first 2 shown]
	.p2align	6
.LBB207_124:                            ; =>This Inner Loop Header: Depth=1
	s_clause 0x1
	s_load_b64 s[36:37], s[20:21], 0x4
	s_load_b32 s33, s[20:21], 0xc
	s_load_b64 s[38:39], s[18:19], 0x0
	s_add_u32 s20, s20, 12
	s_addc_u32 s21, s21, 0
	s_add_u32 s18, s18, 8
	s_addc_u32 s19, s19, 0
	s_add_i32 s34, s34, -1
	s_delay_alu instid0(SALU_CYCLE_1) | instskip(SKIP_2) | instid1(VALU_DEP_1)
	s_cmp_lg_u32 s34, 0
	s_waitcnt lgkmcnt(0)
	v_mul_hi_u32 v3, s37, v2
	v_add_nc_u32_e32 v3, v2, v3
	s_delay_alu instid0(VALU_DEP_1) | instskip(NEXT) | instid1(VALU_DEP_1)
	v_lshrrev_b32_e32 v6, s33, v3
	v_mul_lo_u32 v3, v6, s36
	s_delay_alu instid0(VALU_DEP_1) | instskip(NEXT) | instid1(VALU_DEP_1)
	v_sub_nc_u32_e32 v2, v2, v3
	v_mad_u64_u32 v[3:4], null, v2, s38, v[0:1]
	v_mad_u64_u32 v[4:5], null, v2, s39, v[1:2]
	v_mov_b32_e32 v2, v6
	s_delay_alu instid0(VALU_DEP_2)
	v_dual_mov_b32 v0, v3 :: v_dual_mov_b32 v1, v4
	s_cbranch_scc1 .LBB207_124
.LBB207_125:
	s_and_not1_b32 vcc_lo, exec_lo, s31
	s_cbranch_vccnz .LBB207_128
; %bb.126:
	s_waitcnt lgkmcnt(0)
	v_mul_hi_u32 v0, s13, v12
	s_and_not1_b32 vcc_lo, exec_lo, s26
	s_delay_alu instid0(VALU_DEP_1) | instskip(NEXT) | instid1(VALU_DEP_1)
	v_add_nc_u32_e32 v0, v12, v0
	v_lshrrev_b32_e32 v2, s14, v0
	s_delay_alu instid0(VALU_DEP_1) | instskip(NEXT) | instid1(VALU_DEP_1)
	v_mul_lo_u32 v0, v2, s12
	v_sub_nc_u32_e32 v1, v12, v0
	s_delay_alu instid0(VALU_DEP_1)
	v_mul_lo_u32 v0, v1, s8
	v_mul_lo_u32 v1, v1, s9
	s_cbranch_vccnz .LBB207_128
; %bb.127:
	v_mul_hi_u32 v3, s2, v2
	s_delay_alu instid0(VALU_DEP_1) | instskip(NEXT) | instid1(VALU_DEP_1)
	v_add_nc_u32_e32 v3, v2, v3
	v_lshrrev_b32_e32 v3, s3, v3
	s_delay_alu instid0(VALU_DEP_1) | instskip(NEXT) | instid1(VALU_DEP_1)
	v_mul_lo_u32 v3, v3, s15
	v_sub_nc_u32_e32 v5, v2, v3
	s_delay_alu instid0(VALU_DEP_1) | instskip(NEXT) | instid1(VALU_DEP_1)
	v_mad_u64_u32 v[2:3], null, v5, s10, v[0:1]
	v_mad_u64_u32 v[3:4], null, v5, s11, v[1:2]
	s_delay_alu instid0(VALU_DEP_1)
	v_dual_mov_b32 v0, v2 :: v_dual_mov_b32 v1, v3
.LBB207_128:
	s_waitcnt lgkmcnt(0)
	global_load_u16 v1, v1, s[6:7]
	v_add_nc_u32_e32 v12, 0x80, v12
	s_waitcnt vmcnt(0)
	v_lshlrev_b32_e32 v1, 16, v1
	s_delay_alu instid0(VALU_DEP_1) | instskip(NEXT) | instid1(VALU_DEP_1)
	v_cvt_f64_f32_e32 v[1:2], v1
	v_rsq_f64_e32 v[3:4], v[1:2]
	s_waitcnt_depctr 0xfff
	v_mul_f64 v[1:2], v[3:4], -v[1:2]
	v_cmp_class_f64_e64 vcc_lo, v[3:4], 0x180
	s_delay_alu instid0(VALU_DEP_2) | instskip(NEXT) | instid1(VALU_DEP_1)
	v_fma_f64 v[1:2], v[1:2], v[3:4], 1.0
	v_mul_f64 v[5:6], v[3:4], v[1:2]
	v_fma_f64 v[1:2], 0x3fd80000, v[1:2], 0.5
	s_delay_alu instid0(VALU_DEP_1) | instskip(NEXT) | instid1(VALU_DEP_1)
	v_fma_f64 v[1:2], v[5:6], v[1:2], v[3:4]
	v_dual_cndmask_b32 v2, v4, v2 :: v_dual_cndmask_b32 v1, v3, v1
	s_delay_alu instid0(VALU_DEP_1) | instskip(NEXT) | instid1(VALU_DEP_1)
	v_cvt_f32_f64_e32 v1, v[1:2]
	v_bfe_u32 v2, v1, 16, 1
	v_cmp_o_f32_e32 vcc_lo, v1, v1
	s_delay_alu instid0(VALU_DEP_2) | instskip(NEXT) | instid1(VALU_DEP_1)
	v_add3_u32 v2, v1, v2, 0x7fff
	v_lshrrev_b32_e32 v2, 16, v2
	s_delay_alu instid0(VALU_DEP_1) | instskip(SKIP_2) | instid1(SALU_CYCLE_1)
	v_cndmask_b32_e32 v1, 0x7fc0, v2, vcc_lo
	global_store_b16 v0, v1, s[4:5]
	s_or_b32 exec_lo, exec_lo, s30
	s_mov_b32 s30, exec_lo
	v_cmpx_gt_i32_e64 s27, v12
	s_cbranch_execnz .LBB207_15
.LBB207_129:
	s_or_b32 exec_lo, exec_lo, s30
	s_delay_alu instid0(SALU_CYCLE_1)
	s_mov_b32 s30, exec_lo
	v_cmpx_gt_i32_e64 s27, v12
	s_cbranch_execz .LBB207_144
.LBB207_130:
	s_and_not1_b32 vcc_lo, exec_lo, s24
	s_cbranch_vccnz .LBB207_135
; %bb.131:
	v_dual_mov_b32 v0, 0 :: v_dual_mov_b32 v1, 0
	s_and_not1_b32 vcc_lo, exec_lo, s29
	s_mov_b32 s31, 0
	s_cbranch_vccnz .LBB207_155
; %bb.132:
	v_mov_b32_e32 v0, 0
	s_add_i32 s34, s28, 1
	s_cmp_eq_u32 s23, 2
	s_mov_b32 s33, 0
	s_cbranch_scc1 .LBB207_151
; %bb.133:
	v_dual_mov_b32 v1, 0 :: v_dual_mov_b32 v0, 0
	v_mov_b32_e32 v2, v12
	s_and_b32 s33, s34, 28
	s_mov_b32 s35, 0
	s_mov_b64 s[18:19], s[16:17]
	s_mov_b64 s[20:21], s[0:1]
.LBB207_134:                            ; =>This Inner Loop Header: Depth=1
	s_clause 0x1
	s_load_b256 s[36:43], s[20:21], 0x4
	s_load_b128 s[52:55], s[20:21], 0x24
	s_load_b256 s[44:51], s[18:19], 0x0
	s_add_u32 s20, s20, 48
	s_addc_u32 s21, s21, 0
	s_add_i32 s35, s35, 4
	s_add_u32 s18, s18, 32
	s_addc_u32 s19, s19, 0
	s_cmp_eq_u32 s33, s35
	s_waitcnt lgkmcnt(0)
	v_mul_hi_u32 v3, s37, v2
	s_delay_alu instid0(VALU_DEP_1) | instskip(NEXT) | instid1(VALU_DEP_1)
	v_add_nc_u32_e32 v3, v2, v3
	v_lshrrev_b32_e32 v3, s38, v3
	s_delay_alu instid0(VALU_DEP_1) | instskip(SKIP_1) | instid1(VALU_DEP_2)
	v_mul_hi_u32 v4, s40, v3
	v_mul_lo_u32 v6, v3, s36
	v_add_nc_u32_e32 v4, v3, v4
	s_delay_alu instid0(VALU_DEP_2) | instskip(NEXT) | instid1(VALU_DEP_2)
	v_sub_nc_u32_e32 v2, v2, v6
	v_lshrrev_b32_e32 v4, s41, v4
	s_delay_alu instid0(VALU_DEP_2) | instskip(SKIP_1) | instid1(VALU_DEP_3)
	v_mul_lo_u32 v6, v2, s44
	v_mul_lo_u32 v8, v2, s45
	v_mul_hi_u32 v5, s43, v4
	s_delay_alu instid0(VALU_DEP_1) | instskip(NEXT) | instid1(VALU_DEP_1)
	v_add_nc_u32_e32 v5, v4, v5
	v_lshrrev_b32_e32 v5, s52, v5
	s_delay_alu instid0(VALU_DEP_1) | instskip(SKIP_1) | instid1(VALU_DEP_2)
	v_mul_hi_u32 v7, s54, v5
	v_mul_lo_u32 v9, v5, s42
	v_add_nc_u32_e32 v2, v5, v7
	v_mul_lo_u32 v7, v4, s39
	s_delay_alu instid0(VALU_DEP_3) | instskip(NEXT) | instid1(VALU_DEP_3)
	v_sub_nc_u32_e32 v4, v4, v9
	v_lshrrev_b32_e32 v2, s55, v2
	s_delay_alu instid0(VALU_DEP_2) | instskip(SKIP_2) | instid1(VALU_DEP_4)
	v_mul_lo_u32 v9, v4, s48
	v_mul_lo_u32 v4, v4, s49
	v_sub_nc_u32_e32 v3, v3, v7
	v_mul_lo_u32 v10, v2, s53
	s_delay_alu instid0(VALU_DEP_2) | instskip(SKIP_1) | instid1(VALU_DEP_3)
	v_mul_lo_u32 v7, v3, s46
	v_mul_lo_u32 v3, v3, s47
	v_sub_nc_u32_e32 v5, v5, v10
	s_delay_alu instid0(VALU_DEP_3) | instskip(NEXT) | instid1(VALU_DEP_2)
	v_add3_u32 v0, v6, v0, v7
	v_mul_lo_u32 v10, v5, s50
	v_mul_lo_u32 v5, v5, s51
	v_add3_u32 v1, v8, v1, v3
	s_delay_alu instid0(VALU_DEP_3) | instskip(NEXT) | instid1(VALU_DEP_2)
	v_add3_u32 v0, v9, v0, v10
	v_add3_u32 v1, v4, v1, v5
	s_cbranch_scc0 .LBB207_134
	s_branch .LBB207_152
.LBB207_135:
	s_mov_b32 s31, -1
                                        ; implicit-def: $vgpr0
                                        ; implicit-def: $vgpr1
	s_branch .LBB207_155
.LBB207_136:
	v_dual_mov_b32 v2, v12 :: v_dual_mov_b32 v1, 0
.LBB207_137:
	s_and_b32 s34, s34, 3
	s_delay_alu instid0(SALU_CYCLE_1)
	s_cmp_eq_u32 s34, 0
	s_cbranch_scc1 .LBB207_140
; %bb.138:
	s_lshl_b32 s18, s33, 3
	s_mul_i32 s20, s33, 12
	s_add_u32 s18, s18, s0
	s_addc_u32 s19, s1, 0
	s_add_u32 s18, s18, 0xc4
	s_addc_u32 s19, s19, 0
	;; [unrolled: 2-line block ×3, first 2 shown]
	.p2align	6
.LBB207_139:                            ; =>This Inner Loop Header: Depth=1
	s_clause 0x1
	s_load_b64 s[36:37], s[20:21], 0x4
	s_load_b32 s33, s[20:21], 0xc
	s_load_b64 s[38:39], s[18:19], 0x0
	s_add_u32 s20, s20, 12
	s_addc_u32 s21, s21, 0
	s_add_u32 s18, s18, 8
	s_addc_u32 s19, s19, 0
	s_add_i32 s34, s34, -1
	s_delay_alu instid0(SALU_CYCLE_1) | instskip(SKIP_2) | instid1(VALU_DEP_1)
	s_cmp_lg_u32 s34, 0
	s_waitcnt lgkmcnt(0)
	v_mul_hi_u32 v3, s37, v2
	v_add_nc_u32_e32 v3, v2, v3
	s_delay_alu instid0(VALU_DEP_1) | instskip(NEXT) | instid1(VALU_DEP_1)
	v_lshrrev_b32_e32 v6, s33, v3
	v_mul_lo_u32 v3, v6, s36
	s_delay_alu instid0(VALU_DEP_1) | instskip(NEXT) | instid1(VALU_DEP_1)
	v_sub_nc_u32_e32 v2, v2, v3
	v_mad_u64_u32 v[3:4], null, v2, s38, v[0:1]
	v_mad_u64_u32 v[4:5], null, v2, s39, v[1:2]
	v_mov_b32_e32 v2, v6
	s_delay_alu instid0(VALU_DEP_2)
	v_dual_mov_b32 v0, v3 :: v_dual_mov_b32 v1, v4
	s_cbranch_scc1 .LBB207_139
.LBB207_140:
	s_and_not1_b32 vcc_lo, exec_lo, s31
	s_cbranch_vccnz .LBB207_143
; %bb.141:
	s_waitcnt lgkmcnt(0)
	v_mul_hi_u32 v0, s13, v12
	s_and_not1_b32 vcc_lo, exec_lo, s26
	s_delay_alu instid0(VALU_DEP_1) | instskip(NEXT) | instid1(VALU_DEP_1)
	v_add_nc_u32_e32 v0, v12, v0
	v_lshrrev_b32_e32 v2, s14, v0
	s_delay_alu instid0(VALU_DEP_1) | instskip(NEXT) | instid1(VALU_DEP_1)
	v_mul_lo_u32 v0, v2, s12
	v_sub_nc_u32_e32 v1, v12, v0
	s_delay_alu instid0(VALU_DEP_1)
	v_mul_lo_u32 v0, v1, s8
	v_mul_lo_u32 v1, v1, s9
	s_cbranch_vccnz .LBB207_143
; %bb.142:
	v_mul_hi_u32 v3, s2, v2
	s_delay_alu instid0(VALU_DEP_1) | instskip(NEXT) | instid1(VALU_DEP_1)
	v_add_nc_u32_e32 v3, v2, v3
	v_lshrrev_b32_e32 v3, s3, v3
	s_delay_alu instid0(VALU_DEP_1) | instskip(NEXT) | instid1(VALU_DEP_1)
	v_mul_lo_u32 v3, v3, s15
	v_sub_nc_u32_e32 v5, v2, v3
	s_delay_alu instid0(VALU_DEP_1) | instskip(NEXT) | instid1(VALU_DEP_1)
	v_mad_u64_u32 v[2:3], null, v5, s10, v[0:1]
	v_mad_u64_u32 v[3:4], null, v5, s11, v[1:2]
	s_delay_alu instid0(VALU_DEP_1)
	v_dual_mov_b32 v0, v2 :: v_dual_mov_b32 v1, v3
.LBB207_143:
	s_waitcnt lgkmcnt(0)
	global_load_u16 v1, v1, s[6:7]
	v_add_nc_u32_e32 v12, 0x80, v12
	s_waitcnt vmcnt(0)
	v_lshlrev_b32_e32 v1, 16, v1
	s_delay_alu instid0(VALU_DEP_1) | instskip(NEXT) | instid1(VALU_DEP_1)
	v_cvt_f64_f32_e32 v[1:2], v1
	v_rsq_f64_e32 v[3:4], v[1:2]
	s_waitcnt_depctr 0xfff
	v_mul_f64 v[1:2], v[3:4], -v[1:2]
	v_cmp_class_f64_e64 vcc_lo, v[3:4], 0x180
	s_delay_alu instid0(VALU_DEP_2) | instskip(NEXT) | instid1(VALU_DEP_1)
	v_fma_f64 v[1:2], v[1:2], v[3:4], 1.0
	v_mul_f64 v[5:6], v[3:4], v[1:2]
	v_fma_f64 v[1:2], 0x3fd80000, v[1:2], 0.5
	s_delay_alu instid0(VALU_DEP_1) | instskip(NEXT) | instid1(VALU_DEP_1)
	v_fma_f64 v[1:2], v[5:6], v[1:2], v[3:4]
	v_dual_cndmask_b32 v2, v4, v2 :: v_dual_cndmask_b32 v1, v3, v1
	s_delay_alu instid0(VALU_DEP_1) | instskip(NEXT) | instid1(VALU_DEP_1)
	v_cvt_f32_f64_e32 v1, v[1:2]
	v_bfe_u32 v2, v1, 16, 1
	v_cmp_o_f32_e32 vcc_lo, v1, v1
	s_delay_alu instid0(VALU_DEP_2) | instskip(NEXT) | instid1(VALU_DEP_1)
	v_add3_u32 v2, v1, v2, 0x7fff
	v_lshrrev_b32_e32 v2, 16, v2
	s_delay_alu instid0(VALU_DEP_1) | instskip(SKIP_2) | instid1(SALU_CYCLE_1)
	v_cndmask_b32_e32 v1, 0x7fc0, v2, vcc_lo
	global_store_b16 v0, v1, s[4:5]
	s_or_b32 exec_lo, exec_lo, s30
	s_mov_b32 s30, exec_lo
	v_cmpx_gt_i32_e64 s27, v12
	s_cbranch_execnz .LBB207_130
.LBB207_144:
	s_or_b32 exec_lo, exec_lo, s30
	s_delay_alu instid0(SALU_CYCLE_1)
	s_mov_b32 s30, exec_lo
	v_cmpx_gt_i32_e64 s27, v12
	s_cbranch_execz .LBB207_159
.LBB207_145:
	s_and_not1_b32 vcc_lo, exec_lo, s24
	s_cbranch_vccnz .LBB207_150
; %bb.146:
	v_dual_mov_b32 v0, 0 :: v_dual_mov_b32 v1, 0
	s_and_not1_b32 vcc_lo, exec_lo, s29
	s_mov_b32 s31, 0
	s_cbranch_vccnz .LBB207_170
; %bb.147:
	v_mov_b32_e32 v0, 0
	s_add_i32 s34, s28, 1
	s_cmp_eq_u32 s23, 2
	s_mov_b32 s33, 0
	s_cbranch_scc1 .LBB207_166
; %bb.148:
	v_dual_mov_b32 v1, 0 :: v_dual_mov_b32 v0, 0
	v_mov_b32_e32 v2, v12
	s_and_b32 s33, s34, 28
	s_mov_b32 s35, 0
	s_mov_b64 s[18:19], s[16:17]
	s_mov_b64 s[20:21], s[0:1]
.LBB207_149:                            ; =>This Inner Loop Header: Depth=1
	s_clause 0x1
	s_load_b256 s[36:43], s[20:21], 0x4
	s_load_b128 s[52:55], s[20:21], 0x24
	s_load_b256 s[44:51], s[18:19], 0x0
	s_add_u32 s20, s20, 48
	s_addc_u32 s21, s21, 0
	s_add_i32 s35, s35, 4
	s_add_u32 s18, s18, 32
	s_addc_u32 s19, s19, 0
	s_cmp_eq_u32 s33, s35
	s_waitcnt lgkmcnt(0)
	v_mul_hi_u32 v3, s37, v2
	s_delay_alu instid0(VALU_DEP_1) | instskip(NEXT) | instid1(VALU_DEP_1)
	v_add_nc_u32_e32 v3, v2, v3
	v_lshrrev_b32_e32 v3, s38, v3
	s_delay_alu instid0(VALU_DEP_1) | instskip(SKIP_1) | instid1(VALU_DEP_2)
	v_mul_hi_u32 v4, s40, v3
	v_mul_lo_u32 v6, v3, s36
	v_add_nc_u32_e32 v4, v3, v4
	s_delay_alu instid0(VALU_DEP_2) | instskip(NEXT) | instid1(VALU_DEP_2)
	v_sub_nc_u32_e32 v2, v2, v6
	v_lshrrev_b32_e32 v4, s41, v4
	s_delay_alu instid0(VALU_DEP_2) | instskip(SKIP_1) | instid1(VALU_DEP_3)
	v_mul_lo_u32 v6, v2, s44
	v_mul_lo_u32 v8, v2, s45
	v_mul_hi_u32 v5, s43, v4
	s_delay_alu instid0(VALU_DEP_1) | instskip(NEXT) | instid1(VALU_DEP_1)
	v_add_nc_u32_e32 v5, v4, v5
	v_lshrrev_b32_e32 v5, s52, v5
	s_delay_alu instid0(VALU_DEP_1) | instskip(SKIP_1) | instid1(VALU_DEP_2)
	v_mul_hi_u32 v7, s54, v5
	v_mul_lo_u32 v9, v5, s42
	v_add_nc_u32_e32 v2, v5, v7
	v_mul_lo_u32 v7, v4, s39
	s_delay_alu instid0(VALU_DEP_3) | instskip(NEXT) | instid1(VALU_DEP_3)
	v_sub_nc_u32_e32 v4, v4, v9
	v_lshrrev_b32_e32 v2, s55, v2
	s_delay_alu instid0(VALU_DEP_2) | instskip(SKIP_2) | instid1(VALU_DEP_4)
	v_mul_lo_u32 v9, v4, s48
	v_mul_lo_u32 v4, v4, s49
	v_sub_nc_u32_e32 v3, v3, v7
	v_mul_lo_u32 v10, v2, s53
	s_delay_alu instid0(VALU_DEP_2) | instskip(SKIP_1) | instid1(VALU_DEP_3)
	v_mul_lo_u32 v7, v3, s46
	v_mul_lo_u32 v3, v3, s47
	v_sub_nc_u32_e32 v5, v5, v10
	s_delay_alu instid0(VALU_DEP_3) | instskip(NEXT) | instid1(VALU_DEP_2)
	v_add3_u32 v0, v6, v0, v7
	v_mul_lo_u32 v10, v5, s50
	v_mul_lo_u32 v5, v5, s51
	v_add3_u32 v1, v8, v1, v3
	s_delay_alu instid0(VALU_DEP_3) | instskip(NEXT) | instid1(VALU_DEP_2)
	v_add3_u32 v0, v9, v0, v10
	v_add3_u32 v1, v4, v1, v5
	s_cbranch_scc0 .LBB207_149
	s_branch .LBB207_167
.LBB207_150:
	s_mov_b32 s31, -1
                                        ; implicit-def: $vgpr0
                                        ; implicit-def: $vgpr1
	s_branch .LBB207_170
.LBB207_151:
	v_dual_mov_b32 v2, v12 :: v_dual_mov_b32 v1, 0
.LBB207_152:
	s_and_b32 s34, s34, 3
	s_delay_alu instid0(SALU_CYCLE_1)
	s_cmp_eq_u32 s34, 0
	s_cbranch_scc1 .LBB207_155
; %bb.153:
	s_lshl_b32 s18, s33, 3
	s_mul_i32 s20, s33, 12
	s_add_u32 s18, s18, s0
	s_addc_u32 s19, s1, 0
	s_add_u32 s18, s18, 0xc4
	s_addc_u32 s19, s19, 0
	;; [unrolled: 2-line block ×3, first 2 shown]
	.p2align	6
.LBB207_154:                            ; =>This Inner Loop Header: Depth=1
	s_clause 0x1
	s_load_b64 s[36:37], s[20:21], 0x4
	s_load_b32 s33, s[20:21], 0xc
	s_load_b64 s[38:39], s[18:19], 0x0
	s_add_u32 s20, s20, 12
	s_addc_u32 s21, s21, 0
	s_add_u32 s18, s18, 8
	s_addc_u32 s19, s19, 0
	s_add_i32 s34, s34, -1
	s_delay_alu instid0(SALU_CYCLE_1) | instskip(SKIP_2) | instid1(VALU_DEP_1)
	s_cmp_lg_u32 s34, 0
	s_waitcnt lgkmcnt(0)
	v_mul_hi_u32 v3, s37, v2
	v_add_nc_u32_e32 v3, v2, v3
	s_delay_alu instid0(VALU_DEP_1) | instskip(NEXT) | instid1(VALU_DEP_1)
	v_lshrrev_b32_e32 v6, s33, v3
	v_mul_lo_u32 v3, v6, s36
	s_delay_alu instid0(VALU_DEP_1) | instskip(NEXT) | instid1(VALU_DEP_1)
	v_sub_nc_u32_e32 v2, v2, v3
	v_mad_u64_u32 v[3:4], null, v2, s38, v[0:1]
	v_mad_u64_u32 v[4:5], null, v2, s39, v[1:2]
	v_mov_b32_e32 v2, v6
	s_delay_alu instid0(VALU_DEP_2)
	v_dual_mov_b32 v0, v3 :: v_dual_mov_b32 v1, v4
	s_cbranch_scc1 .LBB207_154
.LBB207_155:
	s_and_not1_b32 vcc_lo, exec_lo, s31
	s_cbranch_vccnz .LBB207_158
; %bb.156:
	s_waitcnt lgkmcnt(0)
	v_mul_hi_u32 v0, s13, v12
	s_and_not1_b32 vcc_lo, exec_lo, s26
	s_delay_alu instid0(VALU_DEP_1) | instskip(NEXT) | instid1(VALU_DEP_1)
	v_add_nc_u32_e32 v0, v12, v0
	v_lshrrev_b32_e32 v2, s14, v0
	s_delay_alu instid0(VALU_DEP_1) | instskip(NEXT) | instid1(VALU_DEP_1)
	v_mul_lo_u32 v0, v2, s12
	v_sub_nc_u32_e32 v1, v12, v0
	s_delay_alu instid0(VALU_DEP_1)
	v_mul_lo_u32 v0, v1, s8
	v_mul_lo_u32 v1, v1, s9
	s_cbranch_vccnz .LBB207_158
; %bb.157:
	v_mul_hi_u32 v3, s2, v2
	s_delay_alu instid0(VALU_DEP_1) | instskip(NEXT) | instid1(VALU_DEP_1)
	v_add_nc_u32_e32 v3, v2, v3
	v_lshrrev_b32_e32 v3, s3, v3
	s_delay_alu instid0(VALU_DEP_1) | instskip(NEXT) | instid1(VALU_DEP_1)
	v_mul_lo_u32 v3, v3, s15
	v_sub_nc_u32_e32 v5, v2, v3
	s_delay_alu instid0(VALU_DEP_1) | instskip(NEXT) | instid1(VALU_DEP_1)
	v_mad_u64_u32 v[2:3], null, v5, s10, v[0:1]
	v_mad_u64_u32 v[3:4], null, v5, s11, v[1:2]
	s_delay_alu instid0(VALU_DEP_1)
	v_dual_mov_b32 v0, v2 :: v_dual_mov_b32 v1, v3
.LBB207_158:
	s_waitcnt lgkmcnt(0)
	global_load_u16 v1, v1, s[6:7]
	v_add_nc_u32_e32 v12, 0x80, v12
	s_waitcnt vmcnt(0)
	v_lshlrev_b32_e32 v1, 16, v1
	s_delay_alu instid0(VALU_DEP_1) | instskip(NEXT) | instid1(VALU_DEP_1)
	v_cvt_f64_f32_e32 v[1:2], v1
	v_rsq_f64_e32 v[3:4], v[1:2]
	s_waitcnt_depctr 0xfff
	v_mul_f64 v[1:2], v[3:4], -v[1:2]
	v_cmp_class_f64_e64 vcc_lo, v[3:4], 0x180
	s_delay_alu instid0(VALU_DEP_2) | instskip(NEXT) | instid1(VALU_DEP_1)
	v_fma_f64 v[1:2], v[1:2], v[3:4], 1.0
	v_mul_f64 v[5:6], v[3:4], v[1:2]
	v_fma_f64 v[1:2], 0x3fd80000, v[1:2], 0.5
	s_delay_alu instid0(VALU_DEP_1) | instskip(NEXT) | instid1(VALU_DEP_1)
	v_fma_f64 v[1:2], v[5:6], v[1:2], v[3:4]
	v_dual_cndmask_b32 v2, v4, v2 :: v_dual_cndmask_b32 v1, v3, v1
	s_delay_alu instid0(VALU_DEP_1) | instskip(NEXT) | instid1(VALU_DEP_1)
	v_cvt_f32_f64_e32 v1, v[1:2]
	v_bfe_u32 v2, v1, 16, 1
	v_cmp_o_f32_e32 vcc_lo, v1, v1
	s_delay_alu instid0(VALU_DEP_2) | instskip(NEXT) | instid1(VALU_DEP_1)
	v_add3_u32 v2, v1, v2, 0x7fff
	v_lshrrev_b32_e32 v2, 16, v2
	s_delay_alu instid0(VALU_DEP_1) | instskip(SKIP_2) | instid1(SALU_CYCLE_1)
	v_cndmask_b32_e32 v1, 0x7fc0, v2, vcc_lo
	global_store_b16 v0, v1, s[4:5]
	s_or_b32 exec_lo, exec_lo, s30
	s_mov_b32 s30, exec_lo
	v_cmpx_gt_i32_e64 s27, v12
	s_cbranch_execnz .LBB207_145
.LBB207_159:
	s_or_b32 exec_lo, exec_lo, s30
	s_delay_alu instid0(SALU_CYCLE_1)
	s_mov_b32 s30, exec_lo
	v_cmpx_gt_i32_e64 s27, v12
	s_cbranch_execz .LBB207_174
.LBB207_160:
	s_and_not1_b32 vcc_lo, exec_lo, s24
	s_cbranch_vccnz .LBB207_165
; %bb.161:
	v_dual_mov_b32 v0, 0 :: v_dual_mov_b32 v1, 0
	s_and_not1_b32 vcc_lo, exec_lo, s29
	s_mov_b32 s31, 0
	s_cbranch_vccnz .LBB207_185
; %bb.162:
	v_mov_b32_e32 v0, 0
	s_add_i32 s34, s28, 1
	s_cmp_eq_u32 s23, 2
	s_mov_b32 s33, 0
	s_cbranch_scc1 .LBB207_181
; %bb.163:
	v_dual_mov_b32 v1, 0 :: v_dual_mov_b32 v0, 0
	v_mov_b32_e32 v2, v12
	s_and_b32 s33, s34, 28
	s_mov_b32 s35, 0
	s_mov_b64 s[18:19], s[16:17]
	s_mov_b64 s[20:21], s[0:1]
.LBB207_164:                            ; =>This Inner Loop Header: Depth=1
	s_clause 0x1
	s_load_b256 s[36:43], s[20:21], 0x4
	s_load_b128 s[52:55], s[20:21], 0x24
	s_load_b256 s[44:51], s[18:19], 0x0
	s_add_u32 s20, s20, 48
	s_addc_u32 s21, s21, 0
	s_add_i32 s35, s35, 4
	s_add_u32 s18, s18, 32
	s_addc_u32 s19, s19, 0
	s_cmp_eq_u32 s33, s35
	s_waitcnt lgkmcnt(0)
	v_mul_hi_u32 v3, s37, v2
	s_delay_alu instid0(VALU_DEP_1) | instskip(NEXT) | instid1(VALU_DEP_1)
	v_add_nc_u32_e32 v3, v2, v3
	v_lshrrev_b32_e32 v3, s38, v3
	s_delay_alu instid0(VALU_DEP_1) | instskip(SKIP_1) | instid1(VALU_DEP_2)
	v_mul_hi_u32 v4, s40, v3
	v_mul_lo_u32 v6, v3, s36
	v_add_nc_u32_e32 v4, v3, v4
	s_delay_alu instid0(VALU_DEP_2) | instskip(NEXT) | instid1(VALU_DEP_2)
	v_sub_nc_u32_e32 v2, v2, v6
	v_lshrrev_b32_e32 v4, s41, v4
	s_delay_alu instid0(VALU_DEP_2) | instskip(SKIP_1) | instid1(VALU_DEP_3)
	v_mul_lo_u32 v6, v2, s44
	v_mul_lo_u32 v8, v2, s45
	v_mul_hi_u32 v5, s43, v4
	s_delay_alu instid0(VALU_DEP_1) | instskip(NEXT) | instid1(VALU_DEP_1)
	v_add_nc_u32_e32 v5, v4, v5
	v_lshrrev_b32_e32 v5, s52, v5
	s_delay_alu instid0(VALU_DEP_1) | instskip(SKIP_1) | instid1(VALU_DEP_2)
	v_mul_hi_u32 v7, s54, v5
	v_mul_lo_u32 v9, v5, s42
	v_add_nc_u32_e32 v2, v5, v7
	v_mul_lo_u32 v7, v4, s39
	s_delay_alu instid0(VALU_DEP_3) | instskip(NEXT) | instid1(VALU_DEP_3)
	v_sub_nc_u32_e32 v4, v4, v9
	v_lshrrev_b32_e32 v2, s55, v2
	s_delay_alu instid0(VALU_DEP_2) | instskip(SKIP_2) | instid1(VALU_DEP_4)
	v_mul_lo_u32 v9, v4, s48
	v_mul_lo_u32 v4, v4, s49
	v_sub_nc_u32_e32 v3, v3, v7
	v_mul_lo_u32 v10, v2, s53
	s_delay_alu instid0(VALU_DEP_2) | instskip(SKIP_1) | instid1(VALU_DEP_3)
	v_mul_lo_u32 v7, v3, s46
	v_mul_lo_u32 v3, v3, s47
	v_sub_nc_u32_e32 v5, v5, v10
	s_delay_alu instid0(VALU_DEP_3) | instskip(NEXT) | instid1(VALU_DEP_2)
	v_add3_u32 v0, v6, v0, v7
	v_mul_lo_u32 v10, v5, s50
	v_mul_lo_u32 v5, v5, s51
	v_add3_u32 v1, v8, v1, v3
	s_delay_alu instid0(VALU_DEP_3) | instskip(NEXT) | instid1(VALU_DEP_2)
	v_add3_u32 v0, v9, v0, v10
	v_add3_u32 v1, v4, v1, v5
	s_cbranch_scc0 .LBB207_164
	s_branch .LBB207_182
.LBB207_165:
	s_mov_b32 s31, -1
                                        ; implicit-def: $vgpr0
                                        ; implicit-def: $vgpr1
	s_branch .LBB207_185
.LBB207_166:
	v_dual_mov_b32 v2, v12 :: v_dual_mov_b32 v1, 0
.LBB207_167:
	s_and_b32 s34, s34, 3
	s_delay_alu instid0(SALU_CYCLE_1)
	s_cmp_eq_u32 s34, 0
	s_cbranch_scc1 .LBB207_170
; %bb.168:
	s_lshl_b32 s18, s33, 3
	s_mul_i32 s20, s33, 12
	s_add_u32 s18, s18, s0
	s_addc_u32 s19, s1, 0
	s_add_u32 s18, s18, 0xc4
	s_addc_u32 s19, s19, 0
	s_add_u32 s20, s0, s20
	s_addc_u32 s21, s1, 0
	.p2align	6
.LBB207_169:                            ; =>This Inner Loop Header: Depth=1
	s_clause 0x1
	s_load_b64 s[36:37], s[20:21], 0x4
	s_load_b32 s33, s[20:21], 0xc
	s_load_b64 s[38:39], s[18:19], 0x0
	s_add_u32 s20, s20, 12
	s_addc_u32 s21, s21, 0
	s_add_u32 s18, s18, 8
	s_addc_u32 s19, s19, 0
	s_add_i32 s34, s34, -1
	s_delay_alu instid0(SALU_CYCLE_1) | instskip(SKIP_2) | instid1(VALU_DEP_1)
	s_cmp_lg_u32 s34, 0
	s_waitcnt lgkmcnt(0)
	v_mul_hi_u32 v3, s37, v2
	v_add_nc_u32_e32 v3, v2, v3
	s_delay_alu instid0(VALU_DEP_1) | instskip(NEXT) | instid1(VALU_DEP_1)
	v_lshrrev_b32_e32 v6, s33, v3
	v_mul_lo_u32 v3, v6, s36
	s_delay_alu instid0(VALU_DEP_1) | instskip(NEXT) | instid1(VALU_DEP_1)
	v_sub_nc_u32_e32 v2, v2, v3
	v_mad_u64_u32 v[3:4], null, v2, s38, v[0:1]
	v_mad_u64_u32 v[4:5], null, v2, s39, v[1:2]
	v_mov_b32_e32 v2, v6
	s_delay_alu instid0(VALU_DEP_2)
	v_dual_mov_b32 v0, v3 :: v_dual_mov_b32 v1, v4
	s_cbranch_scc1 .LBB207_169
.LBB207_170:
	s_and_not1_b32 vcc_lo, exec_lo, s31
	s_cbranch_vccnz .LBB207_173
; %bb.171:
	s_waitcnt lgkmcnt(0)
	v_mul_hi_u32 v0, s13, v12
	s_and_not1_b32 vcc_lo, exec_lo, s26
	s_delay_alu instid0(VALU_DEP_1) | instskip(NEXT) | instid1(VALU_DEP_1)
	v_add_nc_u32_e32 v0, v12, v0
	v_lshrrev_b32_e32 v2, s14, v0
	s_delay_alu instid0(VALU_DEP_1) | instskip(NEXT) | instid1(VALU_DEP_1)
	v_mul_lo_u32 v0, v2, s12
	v_sub_nc_u32_e32 v1, v12, v0
	s_delay_alu instid0(VALU_DEP_1)
	v_mul_lo_u32 v0, v1, s8
	v_mul_lo_u32 v1, v1, s9
	s_cbranch_vccnz .LBB207_173
; %bb.172:
	v_mul_hi_u32 v3, s2, v2
	s_delay_alu instid0(VALU_DEP_1) | instskip(NEXT) | instid1(VALU_DEP_1)
	v_add_nc_u32_e32 v3, v2, v3
	v_lshrrev_b32_e32 v3, s3, v3
	s_delay_alu instid0(VALU_DEP_1) | instskip(NEXT) | instid1(VALU_DEP_1)
	v_mul_lo_u32 v3, v3, s15
	v_sub_nc_u32_e32 v5, v2, v3
	s_delay_alu instid0(VALU_DEP_1) | instskip(NEXT) | instid1(VALU_DEP_1)
	v_mad_u64_u32 v[2:3], null, v5, s10, v[0:1]
	v_mad_u64_u32 v[3:4], null, v5, s11, v[1:2]
	s_delay_alu instid0(VALU_DEP_1)
	v_dual_mov_b32 v0, v2 :: v_dual_mov_b32 v1, v3
.LBB207_173:
	s_waitcnt lgkmcnt(0)
	global_load_u16 v1, v1, s[6:7]
	v_add_nc_u32_e32 v12, 0x80, v12
	s_waitcnt vmcnt(0)
	v_lshlrev_b32_e32 v1, 16, v1
	s_delay_alu instid0(VALU_DEP_1) | instskip(NEXT) | instid1(VALU_DEP_1)
	v_cvt_f64_f32_e32 v[1:2], v1
	v_rsq_f64_e32 v[3:4], v[1:2]
	s_waitcnt_depctr 0xfff
	v_mul_f64 v[1:2], v[3:4], -v[1:2]
	v_cmp_class_f64_e64 vcc_lo, v[3:4], 0x180
	s_delay_alu instid0(VALU_DEP_2) | instskip(NEXT) | instid1(VALU_DEP_1)
	v_fma_f64 v[1:2], v[1:2], v[3:4], 1.0
	v_mul_f64 v[5:6], v[3:4], v[1:2]
	v_fma_f64 v[1:2], 0x3fd80000, v[1:2], 0.5
	s_delay_alu instid0(VALU_DEP_1) | instskip(NEXT) | instid1(VALU_DEP_1)
	v_fma_f64 v[1:2], v[5:6], v[1:2], v[3:4]
	v_dual_cndmask_b32 v2, v4, v2 :: v_dual_cndmask_b32 v1, v3, v1
	s_delay_alu instid0(VALU_DEP_1) | instskip(NEXT) | instid1(VALU_DEP_1)
	v_cvt_f32_f64_e32 v1, v[1:2]
	v_bfe_u32 v2, v1, 16, 1
	v_cmp_o_f32_e32 vcc_lo, v1, v1
	s_delay_alu instid0(VALU_DEP_2) | instskip(NEXT) | instid1(VALU_DEP_1)
	v_add3_u32 v2, v1, v2, 0x7fff
	v_lshrrev_b32_e32 v2, 16, v2
	s_delay_alu instid0(VALU_DEP_1) | instskip(SKIP_2) | instid1(SALU_CYCLE_1)
	v_cndmask_b32_e32 v1, 0x7fc0, v2, vcc_lo
	global_store_b16 v0, v1, s[4:5]
	s_or_b32 exec_lo, exec_lo, s30
	s_mov_b32 s30, exec_lo
	v_cmpx_gt_i32_e64 s27, v12
	s_cbranch_execnz .LBB207_160
.LBB207_174:
	s_or_b32 exec_lo, exec_lo, s30
	s_delay_alu instid0(SALU_CYCLE_1)
	s_mov_b32 s30, exec_lo
	v_cmpx_gt_i32_e64 s27, v12
	s_cbranch_execz .LBB207_189
.LBB207_175:
	s_and_not1_b32 vcc_lo, exec_lo, s24
	s_cbranch_vccnz .LBB207_180
; %bb.176:
	v_dual_mov_b32 v0, 0 :: v_dual_mov_b32 v1, 0
	s_and_not1_b32 vcc_lo, exec_lo, s29
	s_mov_b32 s31, 0
	s_cbranch_vccnz .LBB207_200
; %bb.177:
	v_mov_b32_e32 v0, 0
	s_add_i32 s34, s28, 1
	s_cmp_eq_u32 s23, 2
	s_mov_b32 s33, 0
	s_cbranch_scc1 .LBB207_196
; %bb.178:
	v_dual_mov_b32 v1, 0 :: v_dual_mov_b32 v0, 0
	v_mov_b32_e32 v2, v12
	s_and_b32 s33, s34, 28
	s_mov_b32 s35, 0
	s_mov_b64 s[18:19], s[16:17]
	s_mov_b64 s[20:21], s[0:1]
.LBB207_179:                            ; =>This Inner Loop Header: Depth=1
	s_clause 0x1
	s_load_b256 s[36:43], s[20:21], 0x4
	s_load_b128 s[52:55], s[20:21], 0x24
	s_load_b256 s[44:51], s[18:19], 0x0
	s_add_u32 s20, s20, 48
	s_addc_u32 s21, s21, 0
	s_add_i32 s35, s35, 4
	s_add_u32 s18, s18, 32
	s_addc_u32 s19, s19, 0
	s_cmp_eq_u32 s33, s35
	s_waitcnt lgkmcnt(0)
	v_mul_hi_u32 v3, s37, v2
	s_delay_alu instid0(VALU_DEP_1) | instskip(NEXT) | instid1(VALU_DEP_1)
	v_add_nc_u32_e32 v3, v2, v3
	v_lshrrev_b32_e32 v3, s38, v3
	s_delay_alu instid0(VALU_DEP_1) | instskip(SKIP_1) | instid1(VALU_DEP_2)
	v_mul_hi_u32 v4, s40, v3
	v_mul_lo_u32 v6, v3, s36
	v_add_nc_u32_e32 v4, v3, v4
	s_delay_alu instid0(VALU_DEP_2) | instskip(NEXT) | instid1(VALU_DEP_2)
	v_sub_nc_u32_e32 v2, v2, v6
	v_lshrrev_b32_e32 v4, s41, v4
	s_delay_alu instid0(VALU_DEP_2) | instskip(SKIP_1) | instid1(VALU_DEP_3)
	v_mul_lo_u32 v6, v2, s44
	v_mul_lo_u32 v8, v2, s45
	v_mul_hi_u32 v5, s43, v4
	s_delay_alu instid0(VALU_DEP_1) | instskip(NEXT) | instid1(VALU_DEP_1)
	v_add_nc_u32_e32 v5, v4, v5
	v_lshrrev_b32_e32 v5, s52, v5
	s_delay_alu instid0(VALU_DEP_1) | instskip(SKIP_1) | instid1(VALU_DEP_2)
	v_mul_hi_u32 v7, s54, v5
	v_mul_lo_u32 v9, v5, s42
	v_add_nc_u32_e32 v2, v5, v7
	v_mul_lo_u32 v7, v4, s39
	s_delay_alu instid0(VALU_DEP_3) | instskip(NEXT) | instid1(VALU_DEP_3)
	v_sub_nc_u32_e32 v4, v4, v9
	v_lshrrev_b32_e32 v2, s55, v2
	s_delay_alu instid0(VALU_DEP_2) | instskip(SKIP_2) | instid1(VALU_DEP_4)
	v_mul_lo_u32 v9, v4, s48
	v_mul_lo_u32 v4, v4, s49
	v_sub_nc_u32_e32 v3, v3, v7
	v_mul_lo_u32 v10, v2, s53
	s_delay_alu instid0(VALU_DEP_2) | instskip(SKIP_1) | instid1(VALU_DEP_3)
	v_mul_lo_u32 v7, v3, s46
	v_mul_lo_u32 v3, v3, s47
	v_sub_nc_u32_e32 v5, v5, v10
	s_delay_alu instid0(VALU_DEP_3) | instskip(NEXT) | instid1(VALU_DEP_2)
	v_add3_u32 v0, v6, v0, v7
	v_mul_lo_u32 v10, v5, s50
	v_mul_lo_u32 v5, v5, s51
	v_add3_u32 v1, v8, v1, v3
	s_delay_alu instid0(VALU_DEP_3) | instskip(NEXT) | instid1(VALU_DEP_2)
	v_add3_u32 v0, v9, v0, v10
	v_add3_u32 v1, v4, v1, v5
	s_cbranch_scc0 .LBB207_179
	s_branch .LBB207_197
.LBB207_180:
	s_mov_b32 s31, -1
                                        ; implicit-def: $vgpr0
                                        ; implicit-def: $vgpr1
	s_branch .LBB207_200
.LBB207_181:
	v_dual_mov_b32 v2, v12 :: v_dual_mov_b32 v1, 0
.LBB207_182:
	s_and_b32 s34, s34, 3
	s_delay_alu instid0(SALU_CYCLE_1)
	s_cmp_eq_u32 s34, 0
	s_cbranch_scc1 .LBB207_185
; %bb.183:
	s_lshl_b32 s18, s33, 3
	s_mul_i32 s20, s33, 12
	s_add_u32 s18, s18, s0
	s_addc_u32 s19, s1, 0
	s_add_u32 s18, s18, 0xc4
	s_addc_u32 s19, s19, 0
	;; [unrolled: 2-line block ×3, first 2 shown]
	.p2align	6
.LBB207_184:                            ; =>This Inner Loop Header: Depth=1
	s_clause 0x1
	s_load_b64 s[36:37], s[20:21], 0x4
	s_load_b32 s33, s[20:21], 0xc
	s_load_b64 s[38:39], s[18:19], 0x0
	s_add_u32 s20, s20, 12
	s_addc_u32 s21, s21, 0
	s_add_u32 s18, s18, 8
	s_addc_u32 s19, s19, 0
	s_add_i32 s34, s34, -1
	s_delay_alu instid0(SALU_CYCLE_1) | instskip(SKIP_2) | instid1(VALU_DEP_1)
	s_cmp_lg_u32 s34, 0
	s_waitcnt lgkmcnt(0)
	v_mul_hi_u32 v3, s37, v2
	v_add_nc_u32_e32 v3, v2, v3
	s_delay_alu instid0(VALU_DEP_1) | instskip(NEXT) | instid1(VALU_DEP_1)
	v_lshrrev_b32_e32 v6, s33, v3
	v_mul_lo_u32 v3, v6, s36
	s_delay_alu instid0(VALU_DEP_1) | instskip(NEXT) | instid1(VALU_DEP_1)
	v_sub_nc_u32_e32 v2, v2, v3
	v_mad_u64_u32 v[3:4], null, v2, s38, v[0:1]
	v_mad_u64_u32 v[4:5], null, v2, s39, v[1:2]
	v_mov_b32_e32 v2, v6
	s_delay_alu instid0(VALU_DEP_2)
	v_dual_mov_b32 v0, v3 :: v_dual_mov_b32 v1, v4
	s_cbranch_scc1 .LBB207_184
.LBB207_185:
	s_and_not1_b32 vcc_lo, exec_lo, s31
	s_cbranch_vccnz .LBB207_188
; %bb.186:
	s_waitcnt lgkmcnt(0)
	v_mul_hi_u32 v0, s13, v12
	s_and_not1_b32 vcc_lo, exec_lo, s26
	s_delay_alu instid0(VALU_DEP_1) | instskip(NEXT) | instid1(VALU_DEP_1)
	v_add_nc_u32_e32 v0, v12, v0
	v_lshrrev_b32_e32 v2, s14, v0
	s_delay_alu instid0(VALU_DEP_1) | instskip(NEXT) | instid1(VALU_DEP_1)
	v_mul_lo_u32 v0, v2, s12
	v_sub_nc_u32_e32 v1, v12, v0
	s_delay_alu instid0(VALU_DEP_1)
	v_mul_lo_u32 v0, v1, s8
	v_mul_lo_u32 v1, v1, s9
	s_cbranch_vccnz .LBB207_188
; %bb.187:
	v_mul_hi_u32 v3, s2, v2
	s_delay_alu instid0(VALU_DEP_1) | instskip(NEXT) | instid1(VALU_DEP_1)
	v_add_nc_u32_e32 v3, v2, v3
	v_lshrrev_b32_e32 v3, s3, v3
	s_delay_alu instid0(VALU_DEP_1) | instskip(NEXT) | instid1(VALU_DEP_1)
	v_mul_lo_u32 v3, v3, s15
	v_sub_nc_u32_e32 v5, v2, v3
	s_delay_alu instid0(VALU_DEP_1) | instskip(NEXT) | instid1(VALU_DEP_1)
	v_mad_u64_u32 v[2:3], null, v5, s10, v[0:1]
	v_mad_u64_u32 v[3:4], null, v5, s11, v[1:2]
	s_delay_alu instid0(VALU_DEP_1)
	v_dual_mov_b32 v0, v2 :: v_dual_mov_b32 v1, v3
.LBB207_188:
	s_waitcnt lgkmcnt(0)
	global_load_u16 v1, v1, s[6:7]
	v_add_nc_u32_e32 v12, 0x80, v12
	s_waitcnt vmcnt(0)
	v_lshlrev_b32_e32 v1, 16, v1
	s_delay_alu instid0(VALU_DEP_1) | instskip(NEXT) | instid1(VALU_DEP_1)
	v_cvt_f64_f32_e32 v[1:2], v1
	v_rsq_f64_e32 v[3:4], v[1:2]
	s_waitcnt_depctr 0xfff
	v_mul_f64 v[1:2], v[3:4], -v[1:2]
	v_cmp_class_f64_e64 vcc_lo, v[3:4], 0x180
	s_delay_alu instid0(VALU_DEP_2) | instskip(NEXT) | instid1(VALU_DEP_1)
	v_fma_f64 v[1:2], v[1:2], v[3:4], 1.0
	v_mul_f64 v[5:6], v[3:4], v[1:2]
	v_fma_f64 v[1:2], 0x3fd80000, v[1:2], 0.5
	s_delay_alu instid0(VALU_DEP_1) | instskip(NEXT) | instid1(VALU_DEP_1)
	v_fma_f64 v[1:2], v[5:6], v[1:2], v[3:4]
	v_dual_cndmask_b32 v2, v4, v2 :: v_dual_cndmask_b32 v1, v3, v1
	s_delay_alu instid0(VALU_DEP_1) | instskip(NEXT) | instid1(VALU_DEP_1)
	v_cvt_f32_f64_e32 v1, v[1:2]
	v_bfe_u32 v2, v1, 16, 1
	v_cmp_o_f32_e32 vcc_lo, v1, v1
	s_delay_alu instid0(VALU_DEP_2) | instskip(NEXT) | instid1(VALU_DEP_1)
	v_add3_u32 v2, v1, v2, 0x7fff
	v_lshrrev_b32_e32 v2, 16, v2
	s_delay_alu instid0(VALU_DEP_1) | instskip(SKIP_2) | instid1(SALU_CYCLE_1)
	v_cndmask_b32_e32 v1, 0x7fc0, v2, vcc_lo
	global_store_b16 v0, v1, s[4:5]
	s_or_b32 exec_lo, exec_lo, s30
	s_mov_b32 s30, exec_lo
	v_cmpx_gt_i32_e64 s27, v12
	s_cbranch_execnz .LBB207_175
.LBB207_189:
	s_or_b32 exec_lo, exec_lo, s30
	s_delay_alu instid0(SALU_CYCLE_1)
	s_mov_b32 s30, exec_lo
	v_cmpx_gt_i32_e64 s27, v12
	s_cbranch_execz .LBB207_204
.LBB207_190:
	s_and_not1_b32 vcc_lo, exec_lo, s24
	s_cbranch_vccnz .LBB207_195
; %bb.191:
	v_dual_mov_b32 v0, 0 :: v_dual_mov_b32 v1, 0
	s_and_not1_b32 vcc_lo, exec_lo, s29
	s_mov_b32 s31, 0
	s_cbranch_vccnz .LBB207_211
; %bb.192:
	v_mov_b32_e32 v0, 0
	s_add_i32 s34, s28, 1
	s_cmp_eq_u32 s23, 2
	s_mov_b32 s33, 0
	s_cbranch_scc1 .LBB207_207
; %bb.193:
	v_dual_mov_b32 v1, 0 :: v_dual_mov_b32 v0, 0
	v_mov_b32_e32 v2, v12
	s_and_b32 s33, s34, 28
	s_mov_b32 s35, 0
	s_mov_b64 s[18:19], s[16:17]
	s_mov_b64 s[20:21], s[0:1]
.LBB207_194:                            ; =>This Inner Loop Header: Depth=1
	s_clause 0x1
	s_load_b256 s[36:43], s[20:21], 0x4
	s_load_b128 s[52:55], s[20:21], 0x24
	s_load_b256 s[44:51], s[18:19], 0x0
	s_add_u32 s20, s20, 48
	s_addc_u32 s21, s21, 0
	s_add_i32 s35, s35, 4
	s_add_u32 s18, s18, 32
	s_addc_u32 s19, s19, 0
	s_cmp_eq_u32 s33, s35
	s_waitcnt lgkmcnt(0)
	v_mul_hi_u32 v3, s37, v2
	s_delay_alu instid0(VALU_DEP_1) | instskip(NEXT) | instid1(VALU_DEP_1)
	v_add_nc_u32_e32 v3, v2, v3
	v_lshrrev_b32_e32 v3, s38, v3
	s_delay_alu instid0(VALU_DEP_1) | instskip(SKIP_1) | instid1(VALU_DEP_2)
	v_mul_hi_u32 v4, s40, v3
	v_mul_lo_u32 v6, v3, s36
	v_add_nc_u32_e32 v4, v3, v4
	s_delay_alu instid0(VALU_DEP_2) | instskip(NEXT) | instid1(VALU_DEP_2)
	v_sub_nc_u32_e32 v2, v2, v6
	v_lshrrev_b32_e32 v4, s41, v4
	s_delay_alu instid0(VALU_DEP_2) | instskip(SKIP_1) | instid1(VALU_DEP_3)
	v_mul_lo_u32 v6, v2, s44
	v_mul_lo_u32 v8, v2, s45
	v_mul_hi_u32 v5, s43, v4
	s_delay_alu instid0(VALU_DEP_1) | instskip(NEXT) | instid1(VALU_DEP_1)
	v_add_nc_u32_e32 v5, v4, v5
	v_lshrrev_b32_e32 v5, s52, v5
	s_delay_alu instid0(VALU_DEP_1) | instskip(SKIP_1) | instid1(VALU_DEP_2)
	v_mul_hi_u32 v7, s54, v5
	v_mul_lo_u32 v9, v5, s42
	v_add_nc_u32_e32 v2, v5, v7
	v_mul_lo_u32 v7, v4, s39
	s_delay_alu instid0(VALU_DEP_3) | instskip(NEXT) | instid1(VALU_DEP_3)
	v_sub_nc_u32_e32 v4, v4, v9
	v_lshrrev_b32_e32 v2, s55, v2
	s_delay_alu instid0(VALU_DEP_2) | instskip(SKIP_2) | instid1(VALU_DEP_4)
	v_mul_lo_u32 v9, v4, s48
	v_mul_lo_u32 v4, v4, s49
	v_sub_nc_u32_e32 v3, v3, v7
	v_mul_lo_u32 v10, v2, s53
	s_delay_alu instid0(VALU_DEP_2) | instskip(SKIP_1) | instid1(VALU_DEP_3)
	v_mul_lo_u32 v7, v3, s46
	v_mul_lo_u32 v3, v3, s47
	v_sub_nc_u32_e32 v5, v5, v10
	s_delay_alu instid0(VALU_DEP_3) | instskip(NEXT) | instid1(VALU_DEP_2)
	v_add3_u32 v0, v6, v0, v7
	v_mul_lo_u32 v10, v5, s50
	v_mul_lo_u32 v5, v5, s51
	v_add3_u32 v1, v8, v1, v3
	s_delay_alu instid0(VALU_DEP_3) | instskip(NEXT) | instid1(VALU_DEP_2)
	v_add3_u32 v0, v9, v0, v10
	v_add3_u32 v1, v4, v1, v5
	s_cbranch_scc0 .LBB207_194
	s_branch .LBB207_208
.LBB207_195:
	s_mov_b32 s31, -1
                                        ; implicit-def: $vgpr0
                                        ; implicit-def: $vgpr1
	s_branch .LBB207_211
.LBB207_196:
	v_dual_mov_b32 v2, v12 :: v_dual_mov_b32 v1, 0
.LBB207_197:
	s_and_b32 s34, s34, 3
	s_delay_alu instid0(SALU_CYCLE_1)
	s_cmp_eq_u32 s34, 0
	s_cbranch_scc1 .LBB207_200
; %bb.198:
	s_lshl_b32 s18, s33, 3
	s_mul_i32 s20, s33, 12
	s_add_u32 s18, s18, s0
	s_addc_u32 s19, s1, 0
	s_add_u32 s18, s18, 0xc4
	s_addc_u32 s19, s19, 0
	;; [unrolled: 2-line block ×3, first 2 shown]
	.p2align	6
.LBB207_199:                            ; =>This Inner Loop Header: Depth=1
	s_clause 0x1
	s_load_b64 s[36:37], s[20:21], 0x4
	s_load_b32 s33, s[20:21], 0xc
	s_load_b64 s[38:39], s[18:19], 0x0
	s_add_u32 s20, s20, 12
	s_addc_u32 s21, s21, 0
	s_add_u32 s18, s18, 8
	s_addc_u32 s19, s19, 0
	s_add_i32 s34, s34, -1
	s_delay_alu instid0(SALU_CYCLE_1) | instskip(SKIP_2) | instid1(VALU_DEP_1)
	s_cmp_lg_u32 s34, 0
	s_waitcnt lgkmcnt(0)
	v_mul_hi_u32 v3, s37, v2
	v_add_nc_u32_e32 v3, v2, v3
	s_delay_alu instid0(VALU_DEP_1) | instskip(NEXT) | instid1(VALU_DEP_1)
	v_lshrrev_b32_e32 v6, s33, v3
	v_mul_lo_u32 v3, v6, s36
	s_delay_alu instid0(VALU_DEP_1) | instskip(NEXT) | instid1(VALU_DEP_1)
	v_sub_nc_u32_e32 v2, v2, v3
	v_mad_u64_u32 v[3:4], null, v2, s38, v[0:1]
	v_mad_u64_u32 v[4:5], null, v2, s39, v[1:2]
	v_mov_b32_e32 v2, v6
	s_delay_alu instid0(VALU_DEP_2)
	v_dual_mov_b32 v0, v3 :: v_dual_mov_b32 v1, v4
	s_cbranch_scc1 .LBB207_199
.LBB207_200:
	s_and_not1_b32 vcc_lo, exec_lo, s31
	s_cbranch_vccnz .LBB207_203
; %bb.201:
	s_waitcnt lgkmcnt(0)
	v_mul_hi_u32 v0, s13, v12
	s_and_not1_b32 vcc_lo, exec_lo, s26
	s_delay_alu instid0(VALU_DEP_1) | instskip(NEXT) | instid1(VALU_DEP_1)
	v_add_nc_u32_e32 v0, v12, v0
	v_lshrrev_b32_e32 v2, s14, v0
	s_delay_alu instid0(VALU_DEP_1) | instskip(NEXT) | instid1(VALU_DEP_1)
	v_mul_lo_u32 v0, v2, s12
	v_sub_nc_u32_e32 v1, v12, v0
	s_delay_alu instid0(VALU_DEP_1)
	v_mul_lo_u32 v0, v1, s8
	v_mul_lo_u32 v1, v1, s9
	s_cbranch_vccnz .LBB207_203
; %bb.202:
	v_mul_hi_u32 v3, s2, v2
	s_delay_alu instid0(VALU_DEP_1) | instskip(NEXT) | instid1(VALU_DEP_1)
	v_add_nc_u32_e32 v3, v2, v3
	v_lshrrev_b32_e32 v3, s3, v3
	s_delay_alu instid0(VALU_DEP_1) | instskip(NEXT) | instid1(VALU_DEP_1)
	v_mul_lo_u32 v3, v3, s15
	v_sub_nc_u32_e32 v5, v2, v3
	s_delay_alu instid0(VALU_DEP_1) | instskip(NEXT) | instid1(VALU_DEP_1)
	v_mad_u64_u32 v[2:3], null, v5, s10, v[0:1]
	v_mad_u64_u32 v[3:4], null, v5, s11, v[1:2]
	s_delay_alu instid0(VALU_DEP_1)
	v_dual_mov_b32 v0, v2 :: v_dual_mov_b32 v1, v3
.LBB207_203:
	s_waitcnt lgkmcnt(0)
	global_load_u16 v1, v1, s[6:7]
	v_add_nc_u32_e32 v12, 0x80, v12
	s_waitcnt vmcnt(0)
	v_lshlrev_b32_e32 v1, 16, v1
	s_delay_alu instid0(VALU_DEP_1) | instskip(NEXT) | instid1(VALU_DEP_1)
	v_cvt_f64_f32_e32 v[1:2], v1
	v_rsq_f64_e32 v[3:4], v[1:2]
	s_waitcnt_depctr 0xfff
	v_mul_f64 v[1:2], v[3:4], -v[1:2]
	v_cmp_class_f64_e64 vcc_lo, v[3:4], 0x180
	s_delay_alu instid0(VALU_DEP_2) | instskip(NEXT) | instid1(VALU_DEP_1)
	v_fma_f64 v[1:2], v[1:2], v[3:4], 1.0
	v_mul_f64 v[5:6], v[3:4], v[1:2]
	v_fma_f64 v[1:2], 0x3fd80000, v[1:2], 0.5
	s_delay_alu instid0(VALU_DEP_1) | instskip(NEXT) | instid1(VALU_DEP_1)
	v_fma_f64 v[1:2], v[5:6], v[1:2], v[3:4]
	v_dual_cndmask_b32 v2, v4, v2 :: v_dual_cndmask_b32 v1, v3, v1
	s_delay_alu instid0(VALU_DEP_1) | instskip(NEXT) | instid1(VALU_DEP_1)
	v_cvt_f32_f64_e32 v1, v[1:2]
	v_bfe_u32 v2, v1, 16, 1
	v_cmp_o_f32_e32 vcc_lo, v1, v1
	s_delay_alu instid0(VALU_DEP_2) | instskip(NEXT) | instid1(VALU_DEP_1)
	v_add3_u32 v2, v1, v2, 0x7fff
	v_lshrrev_b32_e32 v2, 16, v2
	s_delay_alu instid0(VALU_DEP_1) | instskip(SKIP_2) | instid1(SALU_CYCLE_1)
	v_cndmask_b32_e32 v1, 0x7fc0, v2, vcc_lo
	global_store_b16 v0, v1, s[4:5]
	s_or_b32 exec_lo, exec_lo, s30
	s_mov_b32 s30, exec_lo
	v_cmpx_gt_i32_e64 s27, v12
	s_cbranch_execnz .LBB207_190
.LBB207_204:
	s_or_b32 exec_lo, exec_lo, s30
	s_delay_alu instid0(SALU_CYCLE_1)
	s_mov_b32 s20, exec_lo
	v_cmpx_gt_i32_e64 s27, v12
	s_cbranch_execnz .LBB207_215
.LBB207_205:
	s_or_b32 exec_lo, exec_lo, s20
                                        ; implicit-def: $vgpr16
                                        ; implicit-def: $vgpr12
	s_waitcnt lgkmcnt(0)
	s_and_not1_saveexec_b32 s2, s25
	s_cbranch_execnz .LBB207_8
.LBB207_206:
	s_nop 0
	s_sendmsg sendmsg(MSG_DEALLOC_VGPRS)
	s_endpgm
.LBB207_207:
	v_dual_mov_b32 v2, v12 :: v_dual_mov_b32 v1, 0
.LBB207_208:
	s_and_b32 s34, s34, 3
	s_delay_alu instid0(SALU_CYCLE_1)
	s_cmp_eq_u32 s34, 0
	s_cbranch_scc1 .LBB207_211
; %bb.209:
	s_lshl_b32 s18, s33, 3
	s_mul_i32 s20, s33, 12
	s_add_u32 s18, s18, s0
	s_addc_u32 s19, s1, 0
	s_add_u32 s18, s18, 0xc4
	s_addc_u32 s19, s19, 0
	;; [unrolled: 2-line block ×3, first 2 shown]
	.p2align	6
.LBB207_210:                            ; =>This Inner Loop Header: Depth=1
	s_clause 0x1
	s_load_b64 s[36:37], s[20:21], 0x4
	s_load_b32 s33, s[20:21], 0xc
	s_load_b64 s[38:39], s[18:19], 0x0
	s_add_u32 s20, s20, 12
	s_addc_u32 s21, s21, 0
	s_add_u32 s18, s18, 8
	s_addc_u32 s19, s19, 0
	s_add_i32 s34, s34, -1
	s_delay_alu instid0(SALU_CYCLE_1) | instskip(SKIP_2) | instid1(VALU_DEP_1)
	s_cmp_lg_u32 s34, 0
	s_waitcnt lgkmcnt(0)
	v_mul_hi_u32 v3, s37, v2
	v_add_nc_u32_e32 v3, v2, v3
	s_delay_alu instid0(VALU_DEP_1) | instskip(NEXT) | instid1(VALU_DEP_1)
	v_lshrrev_b32_e32 v6, s33, v3
	v_mul_lo_u32 v3, v6, s36
	s_delay_alu instid0(VALU_DEP_1) | instskip(NEXT) | instid1(VALU_DEP_1)
	v_sub_nc_u32_e32 v2, v2, v3
	v_mad_u64_u32 v[3:4], null, v2, s38, v[0:1]
	v_mad_u64_u32 v[4:5], null, v2, s39, v[1:2]
	v_mov_b32_e32 v2, v6
	s_delay_alu instid0(VALU_DEP_2)
	v_dual_mov_b32 v0, v3 :: v_dual_mov_b32 v1, v4
	s_cbranch_scc1 .LBB207_210
.LBB207_211:
	s_and_not1_b32 vcc_lo, exec_lo, s31
	s_cbranch_vccnz .LBB207_214
; %bb.212:
	s_waitcnt lgkmcnt(0)
	v_mul_hi_u32 v0, s13, v12
	s_and_not1_b32 vcc_lo, exec_lo, s26
	s_delay_alu instid0(VALU_DEP_1) | instskip(NEXT) | instid1(VALU_DEP_1)
	v_add_nc_u32_e32 v0, v12, v0
	v_lshrrev_b32_e32 v2, s14, v0
	s_delay_alu instid0(VALU_DEP_1) | instskip(NEXT) | instid1(VALU_DEP_1)
	v_mul_lo_u32 v0, v2, s12
	v_sub_nc_u32_e32 v1, v12, v0
	s_delay_alu instid0(VALU_DEP_1)
	v_mul_lo_u32 v0, v1, s8
	v_mul_lo_u32 v1, v1, s9
	s_cbranch_vccnz .LBB207_214
; %bb.213:
	v_mul_hi_u32 v3, s2, v2
	s_delay_alu instid0(VALU_DEP_1) | instskip(NEXT) | instid1(VALU_DEP_1)
	v_add_nc_u32_e32 v3, v2, v3
	v_lshrrev_b32_e32 v3, s3, v3
	s_delay_alu instid0(VALU_DEP_1) | instskip(NEXT) | instid1(VALU_DEP_1)
	v_mul_lo_u32 v3, v3, s15
	v_sub_nc_u32_e32 v5, v2, v3
	s_delay_alu instid0(VALU_DEP_1) | instskip(NEXT) | instid1(VALU_DEP_1)
	v_mad_u64_u32 v[2:3], null, v5, s10, v[0:1]
	v_mad_u64_u32 v[3:4], null, v5, s11, v[1:2]
	s_delay_alu instid0(VALU_DEP_1)
	v_dual_mov_b32 v0, v2 :: v_dual_mov_b32 v1, v3
.LBB207_214:
	s_waitcnt lgkmcnt(0)
	global_load_u16 v1, v1, s[6:7]
	v_add_nc_u32_e32 v12, 0x80, v12
	s_waitcnt vmcnt(0)
	v_lshlrev_b32_e32 v1, 16, v1
	s_delay_alu instid0(VALU_DEP_1) | instskip(NEXT) | instid1(VALU_DEP_1)
	v_cvt_f64_f32_e32 v[1:2], v1
	v_rsq_f64_e32 v[3:4], v[1:2]
	s_waitcnt_depctr 0xfff
	v_mul_f64 v[1:2], v[3:4], -v[1:2]
	v_cmp_class_f64_e64 vcc_lo, v[3:4], 0x180
	s_delay_alu instid0(VALU_DEP_2) | instskip(NEXT) | instid1(VALU_DEP_1)
	v_fma_f64 v[1:2], v[1:2], v[3:4], 1.0
	v_mul_f64 v[5:6], v[3:4], v[1:2]
	v_fma_f64 v[1:2], 0x3fd80000, v[1:2], 0.5
	s_delay_alu instid0(VALU_DEP_1) | instskip(NEXT) | instid1(VALU_DEP_1)
	v_fma_f64 v[1:2], v[5:6], v[1:2], v[3:4]
	v_dual_cndmask_b32 v2, v4, v2 :: v_dual_cndmask_b32 v1, v3, v1
	s_delay_alu instid0(VALU_DEP_1) | instskip(NEXT) | instid1(VALU_DEP_1)
	v_cvt_f32_f64_e32 v1, v[1:2]
	v_bfe_u32 v2, v1, 16, 1
	v_cmp_o_f32_e32 vcc_lo, v1, v1
	s_delay_alu instid0(VALU_DEP_2) | instskip(NEXT) | instid1(VALU_DEP_1)
	v_add3_u32 v2, v1, v2, 0x7fff
	v_lshrrev_b32_e32 v2, 16, v2
	s_delay_alu instid0(VALU_DEP_1) | instskip(SKIP_2) | instid1(SALU_CYCLE_1)
	v_cndmask_b32_e32 v1, 0x7fc0, v2, vcc_lo
	global_store_b16 v0, v1, s[4:5]
	s_or_b32 exec_lo, exec_lo, s30
	s_mov_b32 s20, exec_lo
	v_cmpx_gt_i32_e64 s27, v12
	s_cbranch_execz .LBB207_205
.LBB207_215:
	s_and_not1_b32 vcc_lo, exec_lo, s24
	s_cbranch_vccnz .LBB207_220
; %bb.216:
	v_dual_mov_b32 v0, 0 :: v_dual_mov_b32 v1, 0
	s_and_not1_b32 vcc_lo, exec_lo, s29
	s_mov_b32 s21, 0
	s_cbranch_vccnz .LBB207_225
; %bb.217:
	v_mov_b32_e32 v0, 0
	s_add_i32 s28, s28, 1
	s_cmp_eq_u32 s23, 2
	s_mov_b32 s27, 0
	s_cbranch_scc1 .LBB207_221
; %bb.218:
	v_dual_mov_b32 v1, 0 :: v_dual_mov_b32 v0, 0
	v_mov_b32_e32 v2, v12
	s_and_b32 s27, s28, 28
	s_mov_b32 s29, 0
	s_mov_b64 s[18:19], s[0:1]
.LBB207_219:                            ; =>This Inner Loop Header: Depth=1
	s_clause 0x1
	s_load_b256 s[36:43], s[18:19], 0x4
	s_load_b128 s[52:55], s[18:19], 0x24
	s_load_b256 s[44:51], s[16:17], 0x0
	s_add_u32 s18, s18, 48
	s_addc_u32 s19, s19, 0
	s_add_i32 s29, s29, 4
	s_add_u32 s16, s16, 32
	s_addc_u32 s17, s17, 0
	s_cmp_eq_u32 s27, s29
	s_waitcnt lgkmcnt(0)
	v_mul_hi_u32 v3, s37, v2
	s_delay_alu instid0(VALU_DEP_1) | instskip(NEXT) | instid1(VALU_DEP_1)
	v_add_nc_u32_e32 v3, v2, v3
	v_lshrrev_b32_e32 v3, s38, v3
	s_delay_alu instid0(VALU_DEP_1) | instskip(SKIP_1) | instid1(VALU_DEP_2)
	v_mul_hi_u32 v4, s40, v3
	v_mul_lo_u32 v6, v3, s36
	v_add_nc_u32_e32 v4, v3, v4
	s_delay_alu instid0(VALU_DEP_2) | instskip(NEXT) | instid1(VALU_DEP_2)
	v_sub_nc_u32_e32 v2, v2, v6
	v_lshrrev_b32_e32 v4, s41, v4
	s_delay_alu instid0(VALU_DEP_2) | instskip(SKIP_1) | instid1(VALU_DEP_3)
	v_mul_lo_u32 v6, v2, s44
	v_mul_lo_u32 v8, v2, s45
	v_mul_hi_u32 v5, s43, v4
	s_delay_alu instid0(VALU_DEP_1) | instskip(NEXT) | instid1(VALU_DEP_1)
	v_add_nc_u32_e32 v5, v4, v5
	v_lshrrev_b32_e32 v5, s52, v5
	s_delay_alu instid0(VALU_DEP_1) | instskip(SKIP_1) | instid1(VALU_DEP_2)
	v_mul_hi_u32 v7, s54, v5
	v_mul_lo_u32 v9, v5, s42
	v_add_nc_u32_e32 v2, v5, v7
	v_mul_lo_u32 v7, v4, s39
	s_delay_alu instid0(VALU_DEP_3) | instskip(NEXT) | instid1(VALU_DEP_3)
	v_sub_nc_u32_e32 v4, v4, v9
	v_lshrrev_b32_e32 v2, s55, v2
	s_delay_alu instid0(VALU_DEP_2) | instskip(SKIP_2) | instid1(VALU_DEP_4)
	v_mul_lo_u32 v9, v4, s48
	v_mul_lo_u32 v4, v4, s49
	v_sub_nc_u32_e32 v3, v3, v7
	v_mul_lo_u32 v10, v2, s53
	s_delay_alu instid0(VALU_DEP_2) | instskip(SKIP_1) | instid1(VALU_DEP_3)
	v_mul_lo_u32 v7, v3, s46
	v_mul_lo_u32 v3, v3, s47
	v_sub_nc_u32_e32 v5, v5, v10
	s_delay_alu instid0(VALU_DEP_3) | instskip(NEXT) | instid1(VALU_DEP_2)
	v_add3_u32 v0, v6, v0, v7
	v_mul_lo_u32 v10, v5, s50
	v_mul_lo_u32 v5, v5, s51
	v_add3_u32 v1, v8, v1, v3
	s_delay_alu instid0(VALU_DEP_3) | instskip(NEXT) | instid1(VALU_DEP_2)
	v_add3_u32 v0, v9, v0, v10
	v_add3_u32 v1, v4, v1, v5
	s_cbranch_scc0 .LBB207_219
	s_branch .LBB207_222
.LBB207_220:
	s_mov_b32 s21, -1
                                        ; implicit-def: $vgpr0
                                        ; implicit-def: $vgpr1
	s_branch .LBB207_225
.LBB207_221:
	v_dual_mov_b32 v2, v12 :: v_dual_mov_b32 v1, 0
.LBB207_222:
	s_and_b32 s28, s28, 3
	s_delay_alu instid0(SALU_CYCLE_1)
	s_cmp_eq_u32 s28, 0
	s_cbranch_scc1 .LBB207_225
; %bb.223:
	s_lshl_b32 s16, s27, 3
	s_mul_i32 s18, s27, 12
	s_add_u32 s16, s16, s0
	s_addc_u32 s17, s1, 0
	s_add_u32 s16, s16, 0xc4
	s_addc_u32 s17, s17, 0
	;; [unrolled: 2-line block ×3, first 2 shown]
	.p2align	6
.LBB207_224:                            ; =>This Inner Loop Header: Depth=1
	s_clause 0x1
	s_load_b64 s[30:31], s[18:19], 0x4
	s_load_b32 s27, s[18:19], 0xc
	s_load_b64 s[34:35], s[16:17], 0x0
	s_add_u32 s18, s18, 12
	s_addc_u32 s19, s19, 0
	s_add_u32 s16, s16, 8
	s_addc_u32 s17, s17, 0
	s_add_i32 s28, s28, -1
	s_delay_alu instid0(SALU_CYCLE_1) | instskip(SKIP_2) | instid1(VALU_DEP_1)
	s_cmp_lg_u32 s28, 0
	s_waitcnt lgkmcnt(0)
	v_mul_hi_u32 v3, s31, v2
	v_add_nc_u32_e32 v3, v2, v3
	s_delay_alu instid0(VALU_DEP_1) | instskip(NEXT) | instid1(VALU_DEP_1)
	v_lshrrev_b32_e32 v6, s27, v3
	v_mul_lo_u32 v3, v6, s30
	s_delay_alu instid0(VALU_DEP_1) | instskip(NEXT) | instid1(VALU_DEP_1)
	v_sub_nc_u32_e32 v2, v2, v3
	v_mad_u64_u32 v[3:4], null, v2, s34, v[0:1]
	v_mad_u64_u32 v[4:5], null, v2, s35, v[1:2]
	v_mov_b32_e32 v2, v6
	s_delay_alu instid0(VALU_DEP_2)
	v_dual_mov_b32 v0, v3 :: v_dual_mov_b32 v1, v4
	s_cbranch_scc1 .LBB207_224
.LBB207_225:
	s_and_not1_b32 vcc_lo, exec_lo, s21
	s_cbranch_vccnz .LBB207_228
; %bb.226:
	s_waitcnt lgkmcnt(0)
	v_mul_hi_u32 v0, s13, v12
	s_and_not1_b32 vcc_lo, exec_lo, s26
	s_delay_alu instid0(VALU_DEP_1) | instskip(NEXT) | instid1(VALU_DEP_1)
	v_add_nc_u32_e32 v0, v12, v0
	v_lshrrev_b32_e32 v2, s14, v0
	s_delay_alu instid0(VALU_DEP_1) | instskip(NEXT) | instid1(VALU_DEP_1)
	v_mul_lo_u32 v0, v2, s12
	v_sub_nc_u32_e32 v1, v12, v0
	s_delay_alu instid0(VALU_DEP_1)
	v_mul_lo_u32 v0, v1, s8
	v_mul_lo_u32 v1, v1, s9
	s_cbranch_vccnz .LBB207_228
; %bb.227:
	v_mul_hi_u32 v3, s2, v2
	s_delay_alu instid0(VALU_DEP_1) | instskip(NEXT) | instid1(VALU_DEP_1)
	v_add_nc_u32_e32 v3, v2, v3
	v_lshrrev_b32_e32 v3, s3, v3
	s_delay_alu instid0(VALU_DEP_1) | instskip(NEXT) | instid1(VALU_DEP_1)
	v_mul_lo_u32 v3, v3, s15
	v_sub_nc_u32_e32 v5, v2, v3
	s_delay_alu instid0(VALU_DEP_1) | instskip(NEXT) | instid1(VALU_DEP_1)
	v_mad_u64_u32 v[2:3], null, v5, s10, v[0:1]
	v_mad_u64_u32 v[3:4], null, v5, s11, v[1:2]
	s_delay_alu instid0(VALU_DEP_1)
	v_dual_mov_b32 v0, v2 :: v_dual_mov_b32 v1, v3
.LBB207_228:
	s_waitcnt lgkmcnt(0)
	global_load_u16 v1, v1, s[6:7]
	s_waitcnt vmcnt(0)
	v_lshlrev_b32_e32 v1, 16, v1
	s_delay_alu instid0(VALU_DEP_1) | instskip(NEXT) | instid1(VALU_DEP_1)
	v_cvt_f64_f32_e32 v[1:2], v1
	v_rsq_f64_e32 v[3:4], v[1:2]
	s_waitcnt_depctr 0xfff
	v_mul_f64 v[1:2], v[3:4], -v[1:2]
	v_cmp_class_f64_e64 vcc_lo, v[3:4], 0x180
	s_delay_alu instid0(VALU_DEP_2) | instskip(NEXT) | instid1(VALU_DEP_1)
	v_fma_f64 v[1:2], v[1:2], v[3:4], 1.0
	v_mul_f64 v[5:6], v[3:4], v[1:2]
	v_fma_f64 v[1:2], 0x3fd80000, v[1:2], 0.5
	s_delay_alu instid0(VALU_DEP_1) | instskip(NEXT) | instid1(VALU_DEP_1)
	v_fma_f64 v[1:2], v[5:6], v[1:2], v[3:4]
	v_dual_cndmask_b32 v2, v4, v2 :: v_dual_cndmask_b32 v1, v3, v1
	s_delay_alu instid0(VALU_DEP_1) | instskip(NEXT) | instid1(VALU_DEP_1)
	v_cvt_f32_f64_e32 v1, v[1:2]
	v_bfe_u32 v2, v1, 16, 1
	v_cmp_o_f32_e32 vcc_lo, v1, v1
	s_delay_alu instid0(VALU_DEP_2) | instskip(NEXT) | instid1(VALU_DEP_1)
	v_add3_u32 v2, v1, v2, 0x7fff
	v_lshrrev_b32_e32 v2, 16, v2
	s_delay_alu instid0(VALU_DEP_1)
	v_cndmask_b32_e32 v1, 0x7fc0, v2, vcc_lo
	global_store_b16 v0, v1, s[4:5]
	s_or_b32 exec_lo, exec_lo, s20
                                        ; implicit-def: $vgpr16
                                        ; implicit-def: $vgpr12
	s_and_not1_saveexec_b32 s2, s25
	s_cbranch_execz .LBB207_206
	s_branch .LBB207_8
	.section	.rodata,"a",@progbits
	.p2align	6, 0x0
	.amdhsa_kernel _ZN2at6native32elementwise_kernel_manual_unrollILi128ELi8EZNS0_22gpu_kernel_impl_nocastIZZZNS0_17rsqrt_kernel_cudaERNS_18TensorIteratorBaseEENKUlvE0_clEvENKUlvE1_clEvEUlN3c108BFloat16EE_EEvS4_RKT_EUlibE_EEviT1_
		.amdhsa_group_segment_fixed_size 0
		.amdhsa_private_segment_fixed_size 0
		.amdhsa_kernarg_size 360
		.amdhsa_user_sgpr_count 15
		.amdhsa_user_sgpr_dispatch_ptr 0
		.amdhsa_user_sgpr_queue_ptr 0
		.amdhsa_user_sgpr_kernarg_segment_ptr 1
		.amdhsa_user_sgpr_dispatch_id 0
		.amdhsa_user_sgpr_private_segment_size 0
		.amdhsa_wavefront_size32 1
		.amdhsa_uses_dynamic_stack 0
		.amdhsa_enable_private_segment 0
		.amdhsa_system_sgpr_workgroup_id_x 1
		.amdhsa_system_sgpr_workgroup_id_y 0
		.amdhsa_system_sgpr_workgroup_id_z 0
		.amdhsa_system_sgpr_workgroup_info 0
		.amdhsa_system_vgpr_workitem_id 0
		.amdhsa_next_free_vgpr 63
		.amdhsa_next_free_sgpr 56
		.amdhsa_reserve_vcc 1
		.amdhsa_float_round_mode_32 0
		.amdhsa_float_round_mode_16_64 0
		.amdhsa_float_denorm_mode_32 3
		.amdhsa_float_denorm_mode_16_64 3
		.amdhsa_dx10_clamp 1
		.amdhsa_ieee_mode 1
		.amdhsa_fp16_overflow 0
		.amdhsa_workgroup_processor_mode 1
		.amdhsa_memory_ordered 1
		.amdhsa_forward_progress 0
		.amdhsa_shared_vgpr_count 0
		.amdhsa_exception_fp_ieee_invalid_op 0
		.amdhsa_exception_fp_denorm_src 0
		.amdhsa_exception_fp_ieee_div_zero 0
		.amdhsa_exception_fp_ieee_overflow 0
		.amdhsa_exception_fp_ieee_underflow 0
		.amdhsa_exception_fp_ieee_inexact 0
		.amdhsa_exception_int_div_zero 0
	.end_amdhsa_kernel
	.section	.text._ZN2at6native32elementwise_kernel_manual_unrollILi128ELi8EZNS0_22gpu_kernel_impl_nocastIZZZNS0_17rsqrt_kernel_cudaERNS_18TensorIteratorBaseEENKUlvE0_clEvENKUlvE1_clEvEUlN3c108BFloat16EE_EEvS4_RKT_EUlibE_EEviT1_,"axG",@progbits,_ZN2at6native32elementwise_kernel_manual_unrollILi128ELi8EZNS0_22gpu_kernel_impl_nocastIZZZNS0_17rsqrt_kernel_cudaERNS_18TensorIteratorBaseEENKUlvE0_clEvENKUlvE1_clEvEUlN3c108BFloat16EE_EEvS4_RKT_EUlibE_EEviT1_,comdat
.Lfunc_end207:
	.size	_ZN2at6native32elementwise_kernel_manual_unrollILi128ELi8EZNS0_22gpu_kernel_impl_nocastIZZZNS0_17rsqrt_kernel_cudaERNS_18TensorIteratorBaseEENKUlvE0_clEvENKUlvE1_clEvEUlN3c108BFloat16EE_EEvS4_RKT_EUlibE_EEviT1_, .Lfunc_end207-_ZN2at6native32elementwise_kernel_manual_unrollILi128ELi8EZNS0_22gpu_kernel_impl_nocastIZZZNS0_17rsqrt_kernel_cudaERNS_18TensorIteratorBaseEENKUlvE0_clEvENKUlvE1_clEvEUlN3c108BFloat16EE_EEvS4_RKT_EUlibE_EEviT1_
                                        ; -- End function
	.section	.AMDGPU.csdata,"",@progbits
; Kernel info:
; codeLenInByte = 15536
; NumSgprs: 58
; NumVgprs: 63
; ScratchSize: 0
; MemoryBound: 0
; FloatMode: 240
; IeeeMode: 1
; LDSByteSize: 0 bytes/workgroup (compile time only)
; SGPRBlocks: 7
; VGPRBlocks: 7
; NumSGPRsForWavesPerEU: 58
; NumVGPRsForWavesPerEU: 63
; Occupancy: 16
; WaveLimiterHint : 1
; COMPUTE_PGM_RSRC2:SCRATCH_EN: 0
; COMPUTE_PGM_RSRC2:USER_SGPR: 15
; COMPUTE_PGM_RSRC2:TRAP_HANDLER: 0
; COMPUTE_PGM_RSRC2:TGID_X_EN: 1
; COMPUTE_PGM_RSRC2:TGID_Y_EN: 0
; COMPUTE_PGM_RSRC2:TGID_Z_EN: 0
; COMPUTE_PGM_RSRC2:TIDIG_COMP_CNT: 0
	.section	.text._ZN2at6native32elementwise_kernel_manual_unrollILi128ELi4EZNS0_15gpu_kernel_implIZZZNS0_17rsqrt_kernel_cudaERNS_18TensorIteratorBaseEENKUlvE0_clEvENKUlvE1_clEvEUlN3c108BFloat16EE_EEvS4_RKT_EUlibE_EEviT1_,"axG",@progbits,_ZN2at6native32elementwise_kernel_manual_unrollILi128ELi4EZNS0_15gpu_kernel_implIZZZNS0_17rsqrt_kernel_cudaERNS_18TensorIteratorBaseEENKUlvE0_clEvENKUlvE1_clEvEUlN3c108BFloat16EE_EEvS4_RKT_EUlibE_EEviT1_,comdat
	.globl	_ZN2at6native32elementwise_kernel_manual_unrollILi128ELi4EZNS0_15gpu_kernel_implIZZZNS0_17rsqrt_kernel_cudaERNS_18TensorIteratorBaseEENKUlvE0_clEvENKUlvE1_clEvEUlN3c108BFloat16EE_EEvS4_RKT_EUlibE_EEviT1_ ; -- Begin function _ZN2at6native32elementwise_kernel_manual_unrollILi128ELi4EZNS0_15gpu_kernel_implIZZZNS0_17rsqrt_kernel_cudaERNS_18TensorIteratorBaseEENKUlvE0_clEvENKUlvE1_clEvEUlN3c108BFloat16EE_EEvS4_RKT_EUlibE_EEviT1_
	.p2align	8
	.type	_ZN2at6native32elementwise_kernel_manual_unrollILi128ELi4EZNS0_15gpu_kernel_implIZZZNS0_17rsqrt_kernel_cudaERNS_18TensorIteratorBaseEENKUlvE0_clEvENKUlvE1_clEvEUlN3c108BFloat16EE_EEvS4_RKT_EUlibE_EEviT1_,@function
_ZN2at6native32elementwise_kernel_manual_unrollILi128ELi4EZNS0_15gpu_kernel_implIZZZNS0_17rsqrt_kernel_cudaERNS_18TensorIteratorBaseEENKUlvE0_clEvENKUlvE1_clEvEUlN3c108BFloat16EE_EEvS4_RKT_EUlibE_EEviT1_: ; @_ZN2at6native32elementwise_kernel_manual_unrollILi128ELi4EZNS0_15gpu_kernel_implIZZZNS0_17rsqrt_kernel_cudaERNS_18TensorIteratorBaseEENKUlvE0_clEvENKUlvE1_clEvEUlN3c108BFloat16EE_EEvS4_RKT_EUlibE_EEviT1_
; %bb.0:
	v_mov_b32_e32 v1, 0
	s_clause 0x2
	s_load_b32 s10, s[0:1], 0x0
	s_load_b64 s[2:3], s[0:1], 0x18
	s_load_b128 s[4:7], s[0:1], 0x8
	v_lshl_or_b32 v3, s15, 9, v0
	s_mov_b32 s9, 0
	global_load_u16 v2, v1, s[0:1] offset:33
	s_mov_b32 s1, 0
	v_or_b32_e32 v0, 0x180, v3
	s_mov_b32 s0, exec_lo
	s_waitcnt vmcnt(0)
	v_lshrrev_b16 v4, 8, v2
	s_waitcnt lgkmcnt(0)
	v_cmpx_le_i32_e64 s10, v0
	s_xor_b32 s8, exec_lo, s0
	s_cbranch_execz .LBB208_1033
; %bb.1:
	s_mov_b32 s15, -1
	s_mov_b32 s13, 0
	s_mov_b32 s11, 0
	s_mov_b32 s12, exec_lo
	v_cmpx_gt_i32_e64 s10, v3
	s_cbranch_execz .LBB208_252
; %bb.2:
	v_mul_lo_u32 v0, v3, s3
	v_cmp_gt_i16_e32 vcc_lo, 11, v4
	s_delay_alu instid0(VALU_DEP_2) | instskip(SKIP_1) | instid1(VALU_DEP_1)
	v_ashrrev_i32_e32 v1, 31, v0
	v_add_co_u32 v0, s0, s6, v0
	v_add_co_ci_u32_e64 v1, s0, s7, v1, s0
	s_cbranch_vccnz .LBB208_9
; %bb.3:
	v_cmp_lt_i16_e32 vcc_lo, 25, v4
	s_cbranch_vccz .LBB208_18
; %bb.4:
	v_cmp_lt_i16_e32 vcc_lo, 28, v4
	s_cbranch_vccz .LBB208_21
; %bb.5:
	v_cmp_lt_i16_e32 vcc_lo, 43, v4
	s_cbranch_vccz .LBB208_23
; %bb.6:
	v_cmp_lt_i16_e32 vcc_lo, 45, v4
	s_cbranch_vccz .LBB208_25
; %bb.7:
	v_cmp_eq_u16_e32 vcc_lo, 46, v4
	s_cbranch_vccz .LBB208_27
; %bb.8:
	global_load_b32 v5, v[0:1], off
	s_mov_b32 s0, -1
	s_branch .LBB208_29
.LBB208_9:
	s_mov_b32 s0, 0
                                        ; implicit-def: $vgpr5
	s_cbranch_execnz .LBB208_202
.LBB208_10:
	s_and_not1_b32 vcc_lo, exec_lo, s0
	s_cbranch_vccnz .LBB208_249
.LBB208_11:
	s_waitcnt vmcnt(0)
	s_delay_alu instid0(VALU_DEP_1) | instskip(NEXT) | instid1(VALU_DEP_1)
	v_lshlrev_b32_e32 v0, 16, v5
	v_cvt_f64_f32_e32 v[0:1], v0
	s_delay_alu instid0(VALU_DEP_1) | instskip(SKIP_3) | instid1(VALU_DEP_2)
	v_rsq_f64_e32 v[5:6], v[0:1]
	s_waitcnt_depctr 0xfff
	v_mul_f64 v[0:1], v[5:6], -v[0:1]
	v_cmp_class_f64_e64 vcc_lo, v[5:6], 0x180
	v_fma_f64 v[0:1], v[0:1], v[5:6], 1.0
	s_delay_alu instid0(VALU_DEP_1) | instskip(SKIP_1) | instid1(VALU_DEP_1)
	v_mul_f64 v[7:8], v[5:6], v[0:1]
	v_fma_f64 v[0:1], 0x3fd80000, v[0:1], 0.5
	v_fma_f64 v[0:1], v[7:8], v[0:1], v[5:6]
	s_delay_alu instid0(VALU_DEP_1) | instskip(SKIP_1) | instid1(VALU_DEP_2)
	v_dual_cndmask_b32 v1, v6, v1 :: v_dual_cndmask_b32 v0, v5, v0
	v_and_b32_e32 v5, 0xff, v2
	v_cvt_f32_f64_e32 v6, v[0:1]
	v_mul_lo_u32 v1, v3, s2
	s_delay_alu instid0(VALU_DEP_3) | instskip(SKIP_1) | instid1(VALU_DEP_2)
	v_cmp_gt_i16_e32 vcc_lo, 11, v5
	s_and_b32 vcc_lo, exec_lo, vcc_lo
	v_ashrrev_i32_e32 v7, 31, v1
	s_delay_alu instid0(VALU_DEP_4) | instskip(NEXT) | instid1(VALU_DEP_1)
	v_bfe_u32 v0, v6, 16, 1
	v_add3_u32 v0, v6, v0, 0x7fff
	s_delay_alu instid0(VALU_DEP_1) | instskip(SKIP_1) | instid1(VALU_DEP_1)
	v_lshrrev_b32_e32 v8, 16, v0
	v_add_co_u32 v0, s0, s4, v1
	v_add_co_ci_u32_e64 v1, s0, s5, v7, s0
	v_cmp_o_f32_e64 s0, v6, v6
	s_delay_alu instid0(VALU_DEP_1)
	v_cndmask_b32_e64 v6, 0x7fc0, v8, s0
	s_cbranch_vccnz .LBB208_19
; %bb.12:
	v_cmp_lt_i16_e32 vcc_lo, 25, v5
	s_cbranch_vccz .LBB208_22
; %bb.13:
	v_cmp_lt_i16_e32 vcc_lo, 28, v5
	s_cbranch_vccz .LBB208_24
	;; [unrolled: 3-line block ×4, first 2 shown]
; %bb.16:
	v_cmp_eq_u16_e32 vcc_lo, 46, v5
	s_mov_b32 s14, 0
	s_mov_b32 s0, -1
	s_mov_b32 s9, 0
	s_cbranch_vccz .LBB208_33
; %bb.17:
	v_and_b32_e32 v7, 0xffff, v6
	s_mov_b32 s9, -1
	s_mov_b32 s0, 0
	global_store_b32 v[0:1], v7, off
	s_branch .LBB208_33
.LBB208_18:
	s_mov_b32 s0, 0
                                        ; implicit-def: $vgpr5
	s_cbranch_execnz .LBB208_167
	s_branch .LBB208_201
.LBB208_19:
	s_mov_b32 s0, 0
	s_mov_b32 s9, 0
	s_cbranch_execnz .LBB208_102
.LBB208_20:
	s_and_not1_b32 vcc_lo, exec_lo, s9
	s_cbranch_vccnz .LBB208_250
	s_branch .LBB208_140
.LBB208_21:
	s_mov_b32 s9, -1
	s_mov_b32 s0, 0
                                        ; implicit-def: $vgpr5
	s_branch .LBB208_148
.LBB208_22:
	s_mov_b32 s14, -1
	s_mov_b32 s0, 0
	s_mov_b32 s9, 0
	s_branch .LBB208_60
.LBB208_23:
	s_mov_b32 s9, -1
	s_mov_b32 s0, 0
                                        ; implicit-def: $vgpr5
	s_branch .LBB208_143
.LBB208_24:
	s_mov_b32 s14, -1
	s_mov_b32 s0, 0
	s_mov_b32 s9, 0
	s_branch .LBB208_43
.LBB208_25:
	s_mov_b32 s9, -1
	s_branch .LBB208_28
.LBB208_26:
	s_mov_b32 s14, -1
	s_mov_b32 s0, 0
	s_mov_b32 s9, 0
	s_branch .LBB208_39
.LBB208_27:
	s_mov_b32 s11, -1
.LBB208_28:
	s_mov_b32 s0, 0
                                        ; implicit-def: $vgpr5
.LBB208_29:
	s_and_b32 vcc_lo, exec_lo, s9
	s_cbranch_vccz .LBB208_142
; %bb.30:
	v_cmp_eq_u16_e32 vcc_lo, 44, v4
	s_cbranch_vccz .LBB208_141
; %bb.31:
	global_load_u8 v5, v[0:1], off
	s_mov_b32 s11, 0
	s_mov_b32 s0, -1
	s_waitcnt vmcnt(0)
	v_lshlrev_b32_e32 v6, 23, v5
	v_cmp_ne_u32_e32 vcc_lo, 0xff, v5
	s_delay_alu instid0(VALU_DEP_2) | instskip(SKIP_1) | instid1(VALU_DEP_2)
	v_cndmask_b32_e32 v6, 0x7f800001, v6, vcc_lo
	v_cmp_ne_u32_e32 vcc_lo, 0, v5
	v_cndmask_b32_e32 v5, 0x400000, v6, vcc_lo
	s_delay_alu instid0(VALU_DEP_1) | instskip(SKIP_1) | instid1(VALU_DEP_2)
	v_add_nc_u32_e32 v6, 0x7fff, v5
	v_cmp_o_f32_e32 vcc_lo, v5, v5
	v_lshrrev_b32_e32 v6, 16, v6
	s_delay_alu instid0(VALU_DEP_1)
	v_cndmask_b32_e32 v5, 0x7fc0, v6, vcc_lo
	s_branch .LBB208_142
.LBB208_32:
	s_mov_b32 s14, -1
	s_mov_b32 s0, 0
	s_mov_b32 s9, 0
.LBB208_33:
	s_and_b32 vcc_lo, exec_lo, s14
	s_cbranch_vccz .LBB208_38
; %bb.34:
	v_cmp_eq_u16_e32 vcc_lo, 44, v5
	s_mov_b32 s0, -1
	s_cbranch_vccz .LBB208_38
; %bb.35:
	v_and_b32_e32 v7, 0xffff, v6
	v_mov_b32_e32 v8, 0xff
	s_mov_b32 s9, exec_lo
	s_delay_alu instid0(VALU_DEP_2) | instskip(NEXT) | instid1(VALU_DEP_1)
	v_bfe_u32 v9, v7, 7, 8
	v_cmpx_ne_u32_e32 0xff, v9
; %bb.36:
	v_lshlrev_b32_e32 v8, 16, v7
	v_and_b32_e32 v10, 64, v7
	v_lshrrev_b32_e32 v7, 7, v7
	s_delay_alu instid0(VALU_DEP_3) | instskip(NEXT) | instid1(VALU_DEP_3)
	v_and_or_b32 v8, 0x3f0000, v8, v9
	v_cmp_ne_u32_e32 vcc_lo, 0, v10
	s_delay_alu instid0(VALU_DEP_2) | instskip(NEXT) | instid1(VALU_DEP_1)
	v_cmp_ne_u32_e64 s0, 0, v8
	s_and_b32 s0, vcc_lo, s0
	s_delay_alu instid0(SALU_CYCLE_1) | instskip(NEXT) | instid1(VALU_DEP_1)
	v_cndmask_b32_e64 v8, 0, 1, s0
	v_add_nc_u32_e32 v8, v7, v8
; %bb.37:
	s_or_b32 exec_lo, exec_lo, s9
	s_mov_b32 s9, -1
	s_mov_b32 s0, 0
	global_store_b8 v[0:1], v8, off
.LBB208_38:
	s_mov_b32 s14, 0
.LBB208_39:
	s_delay_alu instid0(SALU_CYCLE_1)
	s_and_b32 vcc_lo, exec_lo, s14
	s_cbranch_vccz .LBB208_42
; %bb.40:
	v_cmp_eq_u16_e32 vcc_lo, 29, v5
	s_mov_b32 s0, -1
	s_cbranch_vccz .LBB208_42
; %bb.41:
	v_lshlrev_b32_e32 v7, 16, v6
	s_mov_b32 s9, -1
	s_mov_b32 s0, 0
	s_mov_b32 s14, 0
	s_delay_alu instid0(VALU_DEP_1) | instskip(NEXT) | instid1(VALU_DEP_1)
	v_trunc_f32_e32 v7, v7
	v_mul_f32_e32 v8, 0x2f800000, v7
	s_delay_alu instid0(VALU_DEP_1) | instskip(NEXT) | instid1(VALU_DEP_1)
	v_floor_f32_e32 v8, v8
	v_fmamk_f32 v7, v8, 0xcf800000, v7
	v_cvt_u32_f32_e32 v8, v8
	s_delay_alu instid0(VALU_DEP_2)
	v_cvt_u32_f32_e32 v7, v7
	global_store_b64 v[0:1], v[7:8], off
	s_branch .LBB208_43
.LBB208_42:
	s_mov_b32 s14, 0
.LBB208_43:
	s_delay_alu instid0(SALU_CYCLE_1)
	s_and_b32 vcc_lo, exec_lo, s14
	s_cbranch_vccz .LBB208_59
; %bb.44:
	v_cmp_gt_i16_e32 vcc_lo, 27, v5
	s_mov_b32 s9, -1
	s_cbranch_vccnz .LBB208_50
; %bb.45:
	v_cmp_lt_i16_e32 vcc_lo, 27, v5
	s_cbranch_vccz .LBB208_47
; %bb.46:
	v_lshlrev_b32_e32 v7, 16, v6
	s_mov_b32 s9, 0
	s_delay_alu instid0(VALU_DEP_1)
	v_cvt_u32_f32_e32 v7, v7
	global_store_b32 v[0:1], v7, off
.LBB208_47:
	s_and_not1_b32 vcc_lo, exec_lo, s9
	s_cbranch_vccnz .LBB208_49
; %bb.48:
	v_lshlrev_b32_e32 v7, 16, v6
	s_delay_alu instid0(VALU_DEP_1)
	v_cvt_u32_f32_e32 v7, v7
	global_store_b16 v[0:1], v7, off
.LBB208_49:
	s_mov_b32 s9, 0
.LBB208_50:
	s_delay_alu instid0(SALU_CYCLE_1)
	s_and_not1_b32 vcc_lo, exec_lo, s9
	s_cbranch_vccnz .LBB208_58
; %bb.51:
	v_dual_mov_b32 v10, 0x80 :: v_dual_lshlrev_b32 v9, 16, v6
	s_mov_b32 s9, exec_lo
	s_delay_alu instid0(VALU_DEP_1) | instskip(NEXT) | instid1(VALU_DEP_1)
	v_and_b32_e32 v8, 0x7fffffff, v9
	v_cmpx_gt_u32_e32 0x43800000, v8
	s_cbranch_execz .LBB208_57
; %bb.52:
	v_and_b32_e32 v7, 0xffff, v6
	v_cmp_lt_u32_e32 vcc_lo, 0x3bffffff, v8
	s_mov_b32 s14, 0
                                        ; implicit-def: $vgpr8
	s_and_saveexec_b32 s15, vcc_lo
	s_delay_alu instid0(SALU_CYCLE_1)
	s_xor_b32 s15, exec_lo, s15
	s_cbranch_execz .LBB208_276
; %bb.53:
	v_bfe_u32 v8, v7, 4, 1
	s_mov_b32 s14, exec_lo
	s_delay_alu instid0(VALU_DEP_1) | instskip(NEXT) | instid1(VALU_DEP_1)
	v_add3_u32 v8, v9, v8, 0x487ffff
                                        ; implicit-def: $vgpr9
	v_lshrrev_b32_e32 v8, 20, v8
	s_or_saveexec_b32 s15, s15
                                        ; implicit-def: $sgpr16
	s_delay_alu instid0(SALU_CYCLE_1)
	s_xor_b32 exec_lo, exec_lo, s15
	s_cbranch_execnz .LBB208_277
.LBB208_54:
	s_or_b32 exec_lo, exec_lo, s15
	v_mov_b32_e32 v10, s16
	s_and_saveexec_b32 s15, s14
.LBB208_55:
	v_lshrrev_b32_e32 v7, 8, v7
	s_delay_alu instid0(VALU_DEP_1)
	v_and_or_b32 v10, 0x80, v7, v8
.LBB208_56:
	s_or_b32 exec_lo, exec_lo, s15
.LBB208_57:
	s_delay_alu instid0(SALU_CYCLE_1)
	s_or_b32 exec_lo, exec_lo, s9
	global_store_b8 v[0:1], v10, off
.LBB208_58:
	s_mov_b32 s9, -1
.LBB208_59:
	s_mov_b32 s14, 0
.LBB208_60:
	s_delay_alu instid0(SALU_CYCLE_1)
	s_and_b32 vcc_lo, exec_lo, s14
	s_cbranch_vccz .LBB208_101
; %bb.61:
	v_cmp_lt_i16_e32 vcc_lo, 22, v5
	s_mov_b32 s14, -1
	s_cbranch_vccz .LBB208_93
; %bb.62:
	v_cmp_gt_i16_e32 vcc_lo, 24, v5
	s_mov_b32 s9, -1
	s_cbranch_vccnz .LBB208_82
; %bb.63:
	v_cmp_lt_i16_e32 vcc_lo, 24, v5
	s_cbranch_vccz .LBB208_71
; %bb.64:
	v_dual_mov_b32 v10, 0x80 :: v_dual_lshlrev_b32 v9, 16, v6
	s_mov_b32 s9, exec_lo
	s_delay_alu instid0(VALU_DEP_1) | instskip(NEXT) | instid1(VALU_DEP_1)
	v_and_b32_e32 v8, 0x7fffffff, v9
	v_cmpx_gt_u32_e32 0x47800000, v8
	s_cbranch_execz .LBB208_70
; %bb.65:
	v_and_b32_e32 v7, 0xffff, v6
	v_cmp_lt_u32_e32 vcc_lo, 0x37ffffff, v8
	s_mov_b32 s14, 0
                                        ; implicit-def: $vgpr8
	s_and_saveexec_b32 s15, vcc_lo
	s_delay_alu instid0(SALU_CYCLE_1)
	s_xor_b32 s15, exec_lo, s15
	s_cbranch_execz .LBB208_280
; %bb.66:
	v_bfe_u32 v8, v7, 5, 1
	s_mov_b32 s14, exec_lo
	s_delay_alu instid0(VALU_DEP_1) | instskip(NEXT) | instid1(VALU_DEP_1)
	v_add3_u32 v8, v9, v8, 0x88fffff
                                        ; implicit-def: $vgpr9
	v_lshrrev_b32_e32 v8, 21, v8
	s_or_saveexec_b32 s15, s15
                                        ; implicit-def: $sgpr16
	s_delay_alu instid0(SALU_CYCLE_1)
	s_xor_b32 exec_lo, exec_lo, s15
	s_cbranch_execnz .LBB208_281
.LBB208_67:
	s_or_b32 exec_lo, exec_lo, s15
	v_mov_b32_e32 v10, s16
	s_and_saveexec_b32 s15, s14
.LBB208_68:
	v_lshrrev_b32_e32 v7, 8, v7
	s_delay_alu instid0(VALU_DEP_1)
	v_and_or_b32 v10, 0x80, v7, v8
.LBB208_69:
	s_or_b32 exec_lo, exec_lo, s15
.LBB208_70:
	s_delay_alu instid0(SALU_CYCLE_1)
	s_or_b32 exec_lo, exec_lo, s9
	s_mov_b32 s9, 0
	global_store_b8 v[0:1], v10, off
.LBB208_71:
	s_and_b32 vcc_lo, exec_lo, s9
	s_cbranch_vccz .LBB208_81
; %bb.72:
	v_lshlrev_b32_e32 v9, 16, v6
	v_and_b32_e32 v7, 0xffff, v6
	s_mov_b32 s9, exec_lo
                                        ; implicit-def: $vgpr8
	s_delay_alu instid0(VALU_DEP_2) | instskip(NEXT) | instid1(VALU_DEP_1)
	v_and_b32_e32 v10, 0x7fffffff, v9
	v_cmpx_gt_u32_e32 0x43f00000, v10
	s_xor_b32 s9, exec_lo, s9
	s_cbranch_execz .LBB208_78
; %bb.73:
	s_mov_b32 s14, exec_lo
                                        ; implicit-def: $vgpr8
	v_cmpx_lt_u32_e32 0x3c7fffff, v10
	s_xor_b32 s14, exec_lo, s14
; %bb.74:
	v_bfe_u32 v8, v7, 4, 1
	s_delay_alu instid0(VALU_DEP_1) | instskip(NEXT) | instid1(VALU_DEP_1)
	v_add3_u32 v8, v9, v8, 0x407ffff
	v_and_b32_e32 v9, 0xff00000, v8
	v_lshrrev_b32_e32 v8, 20, v8
	s_delay_alu instid0(VALU_DEP_2) | instskip(NEXT) | instid1(VALU_DEP_2)
	v_cmp_ne_u32_e32 vcc_lo, 0x7f00000, v9
                                        ; implicit-def: $vgpr9
	v_cndmask_b32_e32 v8, 0x7e, v8, vcc_lo
; %bb.75:
	s_and_not1_saveexec_b32 s14, s14
; %bb.76:
	v_add_f32_e64 v8, 0x46800000, |v9|
; %bb.77:
	s_or_b32 exec_lo, exec_lo, s14
                                        ; implicit-def: $vgpr10
.LBB208_78:
	s_and_not1_saveexec_b32 s9, s9
; %bb.79:
	v_mov_b32_e32 v8, 0x7f
	v_cmp_lt_u32_e32 vcc_lo, 0x7f800000, v10
	s_delay_alu instid0(VALU_DEP_2)
	v_cndmask_b32_e32 v8, 0x7e, v8, vcc_lo
; %bb.80:
	s_or_b32 exec_lo, exec_lo, s9
	v_lshrrev_b32_e32 v7, 8, v7
	s_delay_alu instid0(VALU_DEP_1)
	v_and_or_b32 v7, 0x80, v7, v8
	global_store_b8 v[0:1], v7, off
.LBB208_81:
	s_mov_b32 s9, 0
.LBB208_82:
	s_delay_alu instid0(SALU_CYCLE_1)
	s_and_not1_b32 vcc_lo, exec_lo, s9
	s_cbranch_vccnz .LBB208_92
; %bb.83:
	v_lshlrev_b32_e32 v9, 16, v6
	v_and_b32_e32 v7, 0xffff, v6
	s_mov_b32 s9, exec_lo
                                        ; implicit-def: $vgpr8
	s_delay_alu instid0(VALU_DEP_2) | instskip(NEXT) | instid1(VALU_DEP_1)
	v_and_b32_e32 v10, 0x7fffffff, v9
	v_cmpx_gt_u32_e32 0x47800000, v10
	s_xor_b32 s9, exec_lo, s9
	s_cbranch_execz .LBB208_89
; %bb.84:
	s_mov_b32 s14, exec_lo
                                        ; implicit-def: $vgpr8
	v_cmpx_lt_u32_e32 0x387fffff, v10
	s_xor_b32 s14, exec_lo, s14
; %bb.85:
	v_bfe_u32 v8, v7, 5, 1
	s_delay_alu instid0(VALU_DEP_1) | instskip(NEXT) | instid1(VALU_DEP_1)
	v_add3_u32 v8, v9, v8, 0x80fffff
                                        ; implicit-def: $vgpr9
	v_lshrrev_b32_e32 v8, 21, v8
; %bb.86:
	s_and_not1_saveexec_b32 s14, s14
; %bb.87:
	v_add_f32_e64 v8, 0x43000000, |v9|
; %bb.88:
	s_or_b32 exec_lo, exec_lo, s14
                                        ; implicit-def: $vgpr10
.LBB208_89:
	s_and_not1_saveexec_b32 s9, s9
; %bb.90:
	v_mov_b32_e32 v8, 0x7f
	v_cmp_lt_u32_e32 vcc_lo, 0x7f800000, v10
	s_delay_alu instid0(VALU_DEP_2)
	v_cndmask_b32_e32 v8, 0x7c, v8, vcc_lo
; %bb.91:
	s_or_b32 exec_lo, exec_lo, s9
	v_lshrrev_b32_e32 v7, 8, v7
	s_delay_alu instid0(VALU_DEP_1)
	v_and_or_b32 v7, 0x80, v7, v8
	global_store_b8 v[0:1], v7, off
.LBB208_92:
	s_mov_b32 s14, 0
	s_mov_b32 s9, -1
.LBB208_93:
	s_and_not1_b32 vcc_lo, exec_lo, s14
	s_cbranch_vccnz .LBB208_101
; %bb.94:
	v_cmp_lt_i16_e32 vcc_lo, 14, v5
	s_mov_b32 s14, -1
	s_cbranch_vccz .LBB208_98
; %bb.95:
	v_cmp_eq_u16_e32 vcc_lo, 15, v5
	s_mov_b32 s0, -1
	s_cbranch_vccz .LBB208_97
; %bb.96:
	s_mov_b32 s9, -1
	s_mov_b32 s0, 0
	global_store_b16 v[0:1], v6, off
.LBB208_97:
	s_mov_b32 s14, 0
.LBB208_98:
	s_delay_alu instid0(SALU_CYCLE_1)
	s_and_b32 vcc_lo, exec_lo, s14
	s_cbranch_vccz .LBB208_101
; %bb.99:
	v_cmp_eq_u16_e32 vcc_lo, 11, v5
	s_mov_b32 s0, -1
	s_cbranch_vccz .LBB208_101
; %bb.100:
	v_and_b32_e32 v7, 0x7fff, v6
	s_mov_b32 s0, 0
	s_mov_b32 s9, -1
	s_delay_alu instid0(VALU_DEP_1)
	v_cmp_ne_u16_e32 vcc_lo, 0, v7
	v_cndmask_b32_e64 v7, 0, 1, vcc_lo
	global_store_b8 v[0:1], v7, off
.LBB208_101:
	s_branch .LBB208_20
.LBB208_102:
	v_cmp_gt_i16_e32 vcc_lo, 5, v5
	s_mov_b32 s9, -1
	s_cbranch_vccnz .LBB208_123
; %bb.103:
	v_cmp_gt_i16_e32 vcc_lo, 8, v5
	s_cbranch_vccnz .LBB208_113
; %bb.104:
	v_cmp_gt_i16_e32 vcc_lo, 9, v5
	s_cbranch_vccnz .LBB208_110
; %bb.105:
	v_cmp_lt_i16_e32 vcc_lo, 9, v5
	s_cbranch_vccz .LBB208_107
; %bb.106:
	v_mov_b32_e32 v9, 0
	v_lshlrev_b32_e32 v7, 16, v6
	s_mov_b32 s9, 0
	s_delay_alu instid0(VALU_DEP_2) | instskip(NEXT) | instid1(VALU_DEP_2)
	v_mov_b32_e32 v10, v9
	v_cvt_f64_f32_e32 v[7:8], v7
	global_store_b128 v[0:1], v[7:10], off
.LBB208_107:
	s_and_not1_b32 vcc_lo, exec_lo, s9
	s_cbranch_vccnz .LBB208_109
; %bb.108:
	v_dual_mov_b32 v8, 0 :: v_dual_lshlrev_b32 v7, 16, v6
	global_store_b64 v[0:1], v[7:8], off
.LBB208_109:
	s_mov_b32 s9, 0
.LBB208_110:
	s_delay_alu instid0(SALU_CYCLE_1)
	s_and_not1_b32 vcc_lo, exec_lo, s9
	s_cbranch_vccnz .LBB208_112
; %bb.111:
	v_lshlrev_b32_e32 v7, 16, v6
	s_delay_alu instid0(VALU_DEP_1) | instskip(NEXT) | instid1(VALU_DEP_1)
	v_cvt_f16_f32_e32 v7, v7
	v_and_b32_e32 v7, 0xffff, v7
	global_store_b32 v[0:1], v7, off
.LBB208_112:
	s_mov_b32 s9, 0
.LBB208_113:
	s_delay_alu instid0(SALU_CYCLE_1)
	s_and_not1_b32 vcc_lo, exec_lo, s9
	s_cbranch_vccnz .LBB208_122
; %bb.114:
	v_cmp_gt_i16_e32 vcc_lo, 6, v5
	s_mov_b32 s9, -1
	s_cbranch_vccnz .LBB208_120
; %bb.115:
	v_cmp_lt_i16_e32 vcc_lo, 6, v5
	s_cbranch_vccz .LBB208_117
; %bb.116:
	v_lshlrev_b32_e32 v7, 16, v6
	s_mov_b32 s9, 0
	s_delay_alu instid0(VALU_DEP_1)
	v_cvt_f64_f32_e32 v[7:8], v7
	global_store_b64 v[0:1], v[7:8], off
.LBB208_117:
	s_and_not1_b32 vcc_lo, exec_lo, s9
	s_cbranch_vccnz .LBB208_119
; %bb.118:
	v_lshlrev_b32_e32 v7, 16, v6
	global_store_b32 v[0:1], v7, off
.LBB208_119:
	s_mov_b32 s9, 0
.LBB208_120:
	s_delay_alu instid0(SALU_CYCLE_1)
	s_and_not1_b32 vcc_lo, exec_lo, s9
	s_cbranch_vccnz .LBB208_122
; %bb.121:
	v_lshlrev_b32_e32 v7, 16, v6
	s_delay_alu instid0(VALU_DEP_1)
	v_cvt_f16_f32_e32 v7, v7
	global_store_b16 v[0:1], v7, off
.LBB208_122:
	s_mov_b32 s9, 0
.LBB208_123:
	s_delay_alu instid0(SALU_CYCLE_1)
	s_and_not1_b32 vcc_lo, exec_lo, s9
	s_cbranch_vccnz .LBB208_139
; %bb.124:
	v_cmp_gt_i16_e32 vcc_lo, 2, v5
	s_mov_b32 s9, -1
	s_cbranch_vccnz .LBB208_134
; %bb.125:
	v_cmp_gt_i16_e32 vcc_lo, 3, v5
	s_cbranch_vccnz .LBB208_131
; %bb.126:
	v_cmp_lt_i16_e32 vcc_lo, 3, v5
	s_cbranch_vccz .LBB208_128
; %bb.127:
	v_lshlrev_b32_e32 v7, 16, v6
	s_mov_b32 s9, 0
	s_delay_alu instid0(VALU_DEP_1) | instskip(NEXT) | instid1(VALU_DEP_1)
	v_trunc_f32_e32 v7, v7
	v_mul_f32_e64 v8, 0x2f800000, |v7|
	v_ashrrev_i32_e32 v10, 31, v7
	s_delay_alu instid0(VALU_DEP_2) | instskip(NEXT) | instid1(VALU_DEP_1)
	v_floor_f32_e32 v8, v8
	v_fma_f32 v9, 0xcf800000, v8, |v7|
	v_cvt_u32_f32_e32 v8, v8
	s_delay_alu instid0(VALU_DEP_2) | instskip(NEXT) | instid1(VALU_DEP_2)
	v_cvt_u32_f32_e32 v7, v9
	v_xor_b32_e32 v8, v8, v10
	s_delay_alu instid0(VALU_DEP_2) | instskip(NEXT) | instid1(VALU_DEP_1)
	v_xor_b32_e32 v7, v7, v10
	v_sub_co_u32 v7, vcc_lo, v7, v10
	s_delay_alu instid0(VALU_DEP_3)
	v_sub_co_ci_u32_e32 v8, vcc_lo, v8, v10, vcc_lo
	global_store_b64 v[0:1], v[7:8], off
.LBB208_128:
	s_and_not1_b32 vcc_lo, exec_lo, s9
	s_cbranch_vccnz .LBB208_130
; %bb.129:
	v_lshlrev_b32_e32 v7, 16, v6
	s_delay_alu instid0(VALU_DEP_1)
	v_cvt_i32_f32_e32 v7, v7
	global_store_b32 v[0:1], v7, off
.LBB208_130:
	s_mov_b32 s9, 0
.LBB208_131:
	s_delay_alu instid0(SALU_CYCLE_1)
	s_and_not1_b32 vcc_lo, exec_lo, s9
	s_cbranch_vccnz .LBB208_133
; %bb.132:
	v_lshlrev_b32_e32 v7, 16, v6
	s_delay_alu instid0(VALU_DEP_1)
	v_cvt_i32_f32_e32 v7, v7
	global_store_b16 v[0:1], v7, off
.LBB208_133:
	s_mov_b32 s9, 0
.LBB208_134:
	s_delay_alu instid0(SALU_CYCLE_1)
	s_and_not1_b32 vcc_lo, exec_lo, s9
	s_cbranch_vccnz .LBB208_139
; %bb.135:
	v_cmp_lt_i16_e32 vcc_lo, 0, v5
	v_lshlrev_b32_e32 v5, 16, v6
	s_mov_b32 s9, -1
	s_cbranch_vccz .LBB208_137
; %bb.136:
	s_delay_alu instid0(VALU_DEP_1)
	v_cvt_i32_f32_e32 v6, v5
	s_mov_b32 s9, 0
	global_store_b8 v[0:1], v6, off
.LBB208_137:
	s_and_not1_b32 vcc_lo, exec_lo, s9
	s_cbranch_vccnz .LBB208_139
; %bb.138:
	v_trunc_f32_e32 v5, v5
	s_delay_alu instid0(VALU_DEP_1) | instskip(NEXT) | instid1(VALU_DEP_1)
	v_mul_f32_e64 v6, 0x2f800000, |v5|
	v_floor_f32_e32 v6, v6
	s_delay_alu instid0(VALU_DEP_1) | instskip(SKIP_1) | instid1(VALU_DEP_2)
	v_fma_f32 v6, 0xcf800000, v6, |v5|
	v_ashrrev_i32_e32 v5, 31, v5
	v_cvt_u32_f32_e32 v6, v6
	s_delay_alu instid0(VALU_DEP_1) | instskip(NEXT) | instid1(VALU_DEP_1)
	v_xor_b32_e32 v6, v6, v5
	v_sub_nc_u32_e32 v5, v6, v5
	global_store_b8 v[0:1], v5, off
.LBB208_139:
.LBB208_140:
	v_add_nc_u32_e32 v3, 0x80, v3
	s_mov_b32 s14, -1
	s_branch .LBB208_251
.LBB208_141:
	s_mov_b32 s11, -1
                                        ; implicit-def: $vgpr5
.LBB208_142:
	s_mov_b32 s9, 0
.LBB208_143:
	s_delay_alu instid0(SALU_CYCLE_1)
	s_and_b32 vcc_lo, exec_lo, s9
	s_cbranch_vccz .LBB208_147
; %bb.144:
	v_cmp_eq_u16_e32 vcc_lo, 29, v4
	s_cbranch_vccz .LBB208_146
; %bb.145:
	global_load_b64 v[5:6], v[0:1], off
	s_mov_b32 s0, -1
	s_mov_b32 s11, 0
	s_mov_b32 s9, 0
	s_waitcnt vmcnt(0)
	v_clz_i32_u32_e32 v7, v6
	s_delay_alu instid0(VALU_DEP_1) | instskip(NEXT) | instid1(VALU_DEP_1)
	v_min_u32_e32 v7, 32, v7
	v_lshlrev_b64 v[5:6], v7, v[5:6]
	s_delay_alu instid0(VALU_DEP_1) | instskip(NEXT) | instid1(VALU_DEP_1)
	v_min_u32_e32 v5, 1, v5
	v_or_b32_e32 v5, v6, v5
	v_sub_nc_u32_e32 v6, 32, v7
	s_delay_alu instid0(VALU_DEP_2) | instskip(NEXT) | instid1(VALU_DEP_1)
	v_cvt_f32_u32_e32 v5, v5
	v_ldexp_f32 v5, v5, v6
	s_delay_alu instid0(VALU_DEP_1) | instskip(NEXT) | instid1(VALU_DEP_1)
	v_bfe_u32 v6, v5, 16, 1
	v_add3_u32 v5, v5, v6, 0x7fff
	s_delay_alu instid0(VALU_DEP_1)
	v_lshrrev_b32_e32 v5, 16, v5
	s_branch .LBB208_148
.LBB208_146:
	s_mov_b32 s11, -1
                                        ; implicit-def: $vgpr5
.LBB208_147:
	s_mov_b32 s9, 0
.LBB208_148:
	s_delay_alu instid0(SALU_CYCLE_1)
	s_and_b32 vcc_lo, exec_lo, s9
	s_cbranch_vccz .LBB208_166
; %bb.149:
	v_cmp_gt_i16_e32 vcc_lo, 27, v4
	s_cbranch_vccnz .LBB208_152
; %bb.150:
	v_cmp_lt_i16_e32 vcc_lo, 27, v4
	s_cbranch_vccz .LBB208_153
; %bb.151:
	global_load_b32 v5, v[0:1], off
	s_mov_b32 s0, 0
	s_waitcnt vmcnt(0)
	v_cvt_f32_u32_e32 v5, v5
	s_delay_alu instid0(VALU_DEP_1) | instskip(NEXT) | instid1(VALU_DEP_1)
	v_bfe_u32 v6, v5, 16, 1
	v_add3_u32 v5, v5, v6, 0x7fff
	s_delay_alu instid0(VALU_DEP_1)
	v_lshrrev_b32_e32 v5, 16, v5
	s_branch .LBB208_154
.LBB208_152:
	s_mov_b32 s0, -1
                                        ; implicit-def: $vgpr5
	s_branch .LBB208_157
.LBB208_153:
	s_mov_b32 s0, -1
                                        ; implicit-def: $vgpr5
.LBB208_154:
	s_delay_alu instid0(SALU_CYCLE_1)
	s_and_not1_b32 vcc_lo, exec_lo, s0
	s_cbranch_vccnz .LBB208_156
; %bb.155:
	global_load_u16 v5, v[0:1], off
	s_waitcnt vmcnt(0)
	v_cvt_f32_u32_e32 v5, v5
	s_delay_alu instid0(VALU_DEP_1) | instskip(NEXT) | instid1(VALU_DEP_1)
	v_bfe_u32 v6, v5, 16, 1
	v_add3_u32 v5, v5, v6, 0x7fff
	s_delay_alu instid0(VALU_DEP_1)
	v_lshrrev_b32_e32 v5, 16, v5
.LBB208_156:
	s_mov_b32 s0, 0
.LBB208_157:
	s_delay_alu instid0(SALU_CYCLE_1)
	s_and_not1_b32 vcc_lo, exec_lo, s0
	s_cbranch_vccnz .LBB208_165
; %bb.158:
	global_load_u8 v5, v[0:1], off
	s_mov_b32 s0, 0
	s_mov_b32 s14, exec_lo
                                        ; implicit-def: $sgpr9
	s_waitcnt vmcnt(0)
	v_cmpx_lt_i16_e32 0x7f, v5
	s_xor_b32 s14, exec_lo, s14
	s_cbranch_execz .LBB208_178
; %bb.159:
	s_mov_b32 s0, -1
	s_mov_b32 s15, exec_lo
                                        ; implicit-def: $sgpr9
	v_cmpx_eq_u16_e32 0x80, v5
; %bb.160:
	s_mov_b32 s9, 0x7f800001
	s_xor_b32 s0, exec_lo, -1
; %bb.161:
	s_or_b32 exec_lo, exec_lo, s15
	s_delay_alu instid0(SALU_CYCLE_1)
	s_and_b32 s0, s0, exec_lo
	s_or_saveexec_b32 s14, s14
	v_mov_b32_e32 v6, s9
	s_xor_b32 exec_lo, exec_lo, s14
	s_cbranch_execnz .LBB208_179
.LBB208_162:
	s_or_b32 exec_lo, exec_lo, s14
	s_and_saveexec_b32 s9, s0
	s_cbranch_execz .LBB208_164
.LBB208_163:
	v_and_b32_e32 v6, 0xffff, v5
	v_lshlrev_b32_e32 v5, 24, v5
	s_delay_alu instid0(VALU_DEP_2) | instskip(NEXT) | instid1(VALU_DEP_2)
	v_and_b32_e32 v7, 7, v6
	v_and_b32_e32 v5, 0x80000000, v5
	s_delay_alu instid0(VALU_DEP_2) | instskip(NEXT) | instid1(VALU_DEP_1)
	v_clz_i32_u32_e32 v8, v7
	v_min_u32_e32 v8, 32, v8
	s_delay_alu instid0(VALU_DEP_1) | instskip(SKIP_1) | instid1(VALU_DEP_2)
	v_subrev_nc_u32_e32 v9, 28, v8
	v_sub_nc_u32_e32 v8, 29, v8
	v_lshlrev_b32_e32 v9, v9, v6
	v_bfe_u32 v6, v6, 3, 4
	s_delay_alu instid0(VALU_DEP_2) | instskip(NEXT) | instid1(VALU_DEP_2)
	v_and_b32_e32 v9, 7, v9
	v_cmp_eq_u32_e32 vcc_lo, 0, v6
	s_delay_alu instid0(VALU_DEP_2) | instskip(NEXT) | instid1(VALU_DEP_1)
	v_dual_cndmask_b32 v6, v6, v8 :: v_dual_cndmask_b32 v7, v7, v9
	v_lshl_add_u32 v6, v6, 23, 0x3b800000
	s_delay_alu instid0(VALU_DEP_2) | instskip(NEXT) | instid1(VALU_DEP_1)
	v_lshlrev_b32_e32 v7, 20, v7
	v_or3_b32 v6, v5, v6, v7
.LBB208_164:
	s_or_b32 exec_lo, exec_lo, s9
	s_delay_alu instid0(VALU_DEP_1) | instskip(SKIP_1) | instid1(VALU_DEP_2)
	v_bfe_u32 v5, v6, 16, 1
	v_cmp_o_f32_e32 vcc_lo, v6, v6
	v_add3_u32 v5, v6, v5, 0x7fff
	s_delay_alu instid0(VALU_DEP_1) | instskip(NEXT) | instid1(VALU_DEP_1)
	v_lshrrev_b32_e32 v5, 16, v5
	v_cndmask_b32_e32 v5, 0x7fc0, v5, vcc_lo
.LBB208_165:
	s_mov_b32 s0, -1
.LBB208_166:
	s_branch .LBB208_201
.LBB208_167:
	v_cmp_lt_i16_e32 vcc_lo, 22, v4
	s_cbranch_vccz .LBB208_177
; %bb.168:
	v_cmp_gt_i16_e32 vcc_lo, 24, v4
	s_cbranch_vccnz .LBB208_180
; %bb.169:
	v_cmp_lt_i16_e32 vcc_lo, 24, v4
	s_cbranch_vccz .LBB208_181
; %bb.170:
	global_load_u8 v5, v[0:1], off
	s_mov_b32 s0, 0
	s_mov_b32 s14, exec_lo
                                        ; implicit-def: $sgpr9
	s_waitcnt vmcnt(0)
	v_cmpx_lt_i16_e32 0x7f, v5
	s_xor_b32 s14, exec_lo, s14
	s_cbranch_execz .LBB208_193
; %bb.171:
	s_mov_b32 s0, -1
	s_mov_b32 s15, exec_lo
                                        ; implicit-def: $sgpr9
	v_cmpx_eq_u16_e32 0x80, v5
; %bb.172:
	s_mov_b32 s9, 0x7f800001
	s_xor_b32 s0, exec_lo, -1
; %bb.173:
	s_or_b32 exec_lo, exec_lo, s15
	s_delay_alu instid0(SALU_CYCLE_1)
	s_and_b32 s0, s0, exec_lo
	s_or_saveexec_b32 s14, s14
	v_mov_b32_e32 v6, s9
	s_xor_b32 exec_lo, exec_lo, s14
	s_cbranch_execnz .LBB208_194
.LBB208_174:
	s_or_b32 exec_lo, exec_lo, s14
	s_and_saveexec_b32 s9, s0
	s_cbranch_execz .LBB208_176
.LBB208_175:
	v_and_b32_e32 v6, 0xffff, v5
	v_lshlrev_b32_e32 v5, 24, v5
	s_delay_alu instid0(VALU_DEP_2) | instskip(NEXT) | instid1(VALU_DEP_2)
	v_and_b32_e32 v7, 3, v6
	v_and_b32_e32 v5, 0x80000000, v5
	s_delay_alu instid0(VALU_DEP_2) | instskip(NEXT) | instid1(VALU_DEP_1)
	v_clz_i32_u32_e32 v8, v7
	v_min_u32_e32 v8, 32, v8
	s_delay_alu instid0(VALU_DEP_1) | instskip(SKIP_1) | instid1(VALU_DEP_2)
	v_subrev_nc_u32_e32 v9, 29, v8
	v_sub_nc_u32_e32 v8, 30, v8
	v_lshlrev_b32_e32 v9, v9, v6
	v_bfe_u32 v6, v6, 2, 5
	s_delay_alu instid0(VALU_DEP_2) | instskip(NEXT) | instid1(VALU_DEP_2)
	v_and_b32_e32 v9, 3, v9
	v_cmp_eq_u32_e32 vcc_lo, 0, v6
	s_delay_alu instid0(VALU_DEP_2) | instskip(NEXT) | instid1(VALU_DEP_1)
	v_dual_cndmask_b32 v6, v6, v8 :: v_dual_cndmask_b32 v7, v7, v9
	v_lshl_add_u32 v6, v6, 23, 0x37800000
	s_delay_alu instid0(VALU_DEP_2) | instskip(NEXT) | instid1(VALU_DEP_1)
	v_lshlrev_b32_e32 v7, 21, v7
	v_or3_b32 v6, v5, v6, v7
.LBB208_176:
	s_or_b32 exec_lo, exec_lo, s9
	s_delay_alu instid0(VALU_DEP_1) | instskip(SKIP_2) | instid1(VALU_DEP_2)
	v_bfe_u32 v5, v6, 16, 1
	v_cmp_o_f32_e32 vcc_lo, v6, v6
	s_mov_b32 s0, 0
	v_add3_u32 v5, v6, v5, 0x7fff
	s_delay_alu instid0(VALU_DEP_1) | instskip(NEXT) | instid1(VALU_DEP_1)
	v_lshrrev_b32_e32 v5, 16, v5
	v_cndmask_b32_e32 v5, 0x7fc0, v5, vcc_lo
	s_branch .LBB208_182
.LBB208_177:
	s_mov_b32 s9, -1
                                        ; implicit-def: $vgpr5
	s_branch .LBB208_188
.LBB208_178:
	s_or_saveexec_b32 s14, s14
	v_mov_b32_e32 v6, s9
	s_xor_b32 exec_lo, exec_lo, s14
	s_cbranch_execz .LBB208_162
.LBB208_179:
	v_cmp_ne_u16_e32 vcc_lo, 0, v5
	v_mov_b32_e32 v6, 0
	s_and_not1_b32 s0, s0, exec_lo
	s_and_b32 s9, vcc_lo, exec_lo
	s_delay_alu instid0(SALU_CYCLE_1)
	s_or_b32 s0, s0, s9
	s_or_b32 exec_lo, exec_lo, s14
	s_and_saveexec_b32 s9, s0
	s_cbranch_execnz .LBB208_163
	s_branch .LBB208_164
.LBB208_180:
	s_mov_b32 s0, -1
                                        ; implicit-def: $vgpr5
	s_branch .LBB208_185
.LBB208_181:
	s_mov_b32 s0, -1
                                        ; implicit-def: $vgpr5
.LBB208_182:
	s_delay_alu instid0(SALU_CYCLE_1)
	s_and_b32 vcc_lo, exec_lo, s0
	s_cbranch_vccz .LBB208_184
; %bb.183:
	global_load_u8 v5, v[0:1], off
	s_waitcnt vmcnt(0)
	v_lshlrev_b32_e32 v5, 24, v5
	s_delay_alu instid0(VALU_DEP_1) | instskip(NEXT) | instid1(VALU_DEP_1)
	v_and_b32_e32 v6, 0x7f000000, v5
	v_clz_i32_u32_e32 v7, v6
	v_add_nc_u32_e32 v9, 0x1000000, v6
	v_cmp_ne_u32_e32 vcc_lo, 0, v6
	s_delay_alu instid0(VALU_DEP_3) | instskip(NEXT) | instid1(VALU_DEP_1)
	v_min_u32_e32 v7, 32, v7
	v_sub_nc_u32_e64 v7, v7, 4 clamp
	s_delay_alu instid0(VALU_DEP_1) | instskip(SKIP_1) | instid1(VALU_DEP_2)
	v_lshlrev_b32_e32 v8, v7, v6
	v_lshlrev_b32_e32 v7, 23, v7
	v_lshrrev_b32_e32 v8, 4, v8
	s_delay_alu instid0(VALU_DEP_1) | instskip(SKIP_1) | instid1(VALU_DEP_2)
	v_sub_nc_u32_e32 v7, v8, v7
	v_ashrrev_i32_e32 v8, 8, v9
	v_add_nc_u32_e32 v7, 0x3c000000, v7
	s_delay_alu instid0(VALU_DEP_1) | instskip(NEXT) | instid1(VALU_DEP_1)
	v_and_or_b32 v7, 0x7f800000, v8, v7
	v_cndmask_b32_e32 v6, 0, v7, vcc_lo
	s_delay_alu instid0(VALU_DEP_1) | instskip(SKIP_1) | instid1(VALU_DEP_2)
	v_and_or_b32 v5, 0x80000000, v5, v6
	v_bfe_u32 v6, v6, 16, 1
	v_cmp_o_f32_e32 vcc_lo, v5, v5
	s_delay_alu instid0(VALU_DEP_2) | instskip(NEXT) | instid1(VALU_DEP_1)
	v_add3_u32 v6, v5, v6, 0x7fff
	v_lshrrev_b32_e32 v6, 16, v6
	s_delay_alu instid0(VALU_DEP_1)
	v_cndmask_b32_e32 v5, 0x7fc0, v6, vcc_lo
.LBB208_184:
	s_mov_b32 s0, 0
.LBB208_185:
	s_delay_alu instid0(SALU_CYCLE_1)
	s_and_not1_b32 vcc_lo, exec_lo, s0
	s_cbranch_vccnz .LBB208_187
; %bb.186:
	global_load_u8 v5, v[0:1], off
	s_waitcnt vmcnt(0)
	v_lshlrev_b32_e32 v6, 25, v5
	v_lshlrev_b16 v5, 8, v5
	s_delay_alu instid0(VALU_DEP_2) | instskip(NEXT) | instid1(VALU_DEP_2)
	v_lshrrev_b32_e32 v7, 4, v6
	v_and_or_b32 v8, 0x7f00, v5, 0.5
	v_bfe_i32 v5, v5, 0, 16
	s_delay_alu instid0(VALU_DEP_3) | instskip(NEXT) | instid1(VALU_DEP_1)
	v_or_b32_e32 v7, 0x70000000, v7
	v_dual_add_f32 v8, -0.5, v8 :: v_dual_mul_f32 v7, 0x7800000, v7
	v_cmp_gt_u32_e32 vcc_lo, 0x8000000, v6
	s_delay_alu instid0(VALU_DEP_2) | instskip(NEXT) | instid1(VALU_DEP_1)
	v_cndmask_b32_e32 v6, v7, v8, vcc_lo
	v_and_or_b32 v5, 0x80000000, v5, v6
	v_bfe_u32 v6, v6, 16, 1
	s_delay_alu instid0(VALU_DEP_2) | instskip(NEXT) | instid1(VALU_DEP_2)
	v_cmp_o_f32_e32 vcc_lo, v5, v5
	v_add3_u32 v6, v5, v6, 0x7fff
	s_delay_alu instid0(VALU_DEP_1) | instskip(NEXT) | instid1(VALU_DEP_1)
	v_lshrrev_b32_e32 v6, 16, v6
	v_cndmask_b32_e32 v5, 0x7fc0, v6, vcc_lo
.LBB208_187:
	s_mov_b32 s9, 0
	s_mov_b32 s0, -1
.LBB208_188:
	s_and_not1_b32 vcc_lo, exec_lo, s9
	s_cbranch_vccnz .LBB208_201
; %bb.189:
	v_cmp_lt_i16_e32 vcc_lo, 14, v4
	s_cbranch_vccz .LBB208_192
; %bb.190:
	v_cmp_eq_u16_e32 vcc_lo, 15, v4
	s_cbranch_vccz .LBB208_195
; %bb.191:
	global_load_u16 v5, v[0:1], off
	s_mov_b32 s0, -1
	s_mov_b32 s11, 0
	s_branch .LBB208_196
.LBB208_192:
	s_mov_b32 s9, -1
                                        ; implicit-def: $vgpr5
	s_branch .LBB208_197
.LBB208_193:
	s_or_saveexec_b32 s14, s14
	v_mov_b32_e32 v6, s9
	s_xor_b32 exec_lo, exec_lo, s14
	s_cbranch_execz .LBB208_174
.LBB208_194:
	v_cmp_ne_u16_e32 vcc_lo, 0, v5
	v_mov_b32_e32 v6, 0
	s_and_not1_b32 s0, s0, exec_lo
	s_and_b32 s9, vcc_lo, exec_lo
	s_delay_alu instid0(SALU_CYCLE_1)
	s_or_b32 s0, s0, s9
	s_or_b32 exec_lo, exec_lo, s14
	s_and_saveexec_b32 s9, s0
	s_cbranch_execnz .LBB208_175
	s_branch .LBB208_176
.LBB208_195:
	s_mov_b32 s11, -1
                                        ; implicit-def: $vgpr5
.LBB208_196:
	s_mov_b32 s9, 0
.LBB208_197:
	s_delay_alu instid0(SALU_CYCLE_1)
	s_and_b32 vcc_lo, exec_lo, s9
	s_cbranch_vccz .LBB208_201
; %bb.198:
	v_cmp_eq_u16_e32 vcc_lo, 11, v4
	s_cbranch_vccz .LBB208_200
; %bb.199:
	global_load_u8 v5, v[0:1], off
	s_mov_b32 s11, 0
	s_mov_b32 s0, -1
	s_waitcnt vmcnt(0)
	v_cmp_ne_u16_e32 vcc_lo, 0, v5
	v_cndmask_b32_e64 v5, 0, 1.0, vcc_lo
	s_delay_alu instid0(VALU_DEP_1)
	v_lshrrev_b32_e32 v5, 16, v5
	s_branch .LBB208_201
.LBB208_200:
	s_mov_b32 s11, -1
                                        ; implicit-def: $vgpr5
.LBB208_201:
	s_branch .LBB208_10
.LBB208_202:
	v_cmp_gt_i16_e32 vcc_lo, 5, v4
	s_cbranch_vccnz .LBB208_207
; %bb.203:
	v_cmp_gt_i16_e32 vcc_lo, 8, v4
	s_cbranch_vccnz .LBB208_208
; %bb.204:
	;; [unrolled: 3-line block ×3, first 2 shown]
	v_cmp_lt_i16_e32 vcc_lo, 9, v4
	s_cbranch_vccz .LBB208_210
; %bb.206:
	global_load_b64 v[5:6], v[0:1], off
	s_mov_b32 s0, 0
	s_waitcnt vmcnt(0)
	v_cvt_f32_f64_e32 v5, v[5:6]
	s_delay_alu instid0(VALU_DEP_1) | instskip(SKIP_1) | instid1(VALU_DEP_2)
	v_bfe_u32 v6, v5, 16, 1
	v_cmp_o_f32_e32 vcc_lo, v5, v5
	v_add3_u32 v6, v5, v6, 0x7fff
	s_delay_alu instid0(VALU_DEP_1) | instskip(NEXT) | instid1(VALU_DEP_1)
	v_lshrrev_b32_e32 v6, 16, v6
	v_cndmask_b32_e32 v5, 0x7fc0, v6, vcc_lo
	s_branch .LBB208_211
.LBB208_207:
                                        ; implicit-def: $vgpr5
	s_branch .LBB208_229
.LBB208_208:
	s_mov_b32 s0, -1
                                        ; implicit-def: $vgpr5
	s_branch .LBB208_217
.LBB208_209:
	s_mov_b32 s0, -1
                                        ; implicit-def: $vgpr5
	s_branch .LBB208_214
.LBB208_210:
	s_mov_b32 s0, -1
                                        ; implicit-def: $vgpr5
.LBB208_211:
	s_delay_alu instid0(SALU_CYCLE_1)
	s_and_not1_b32 vcc_lo, exec_lo, s0
	s_cbranch_vccnz .LBB208_213
; %bb.212:
	global_load_b32 v5, v[0:1], off
	s_waitcnt vmcnt(0)
	v_bfe_u32 v6, v5, 16, 1
	v_cmp_o_f32_e32 vcc_lo, v5, v5
	s_delay_alu instid0(VALU_DEP_2) | instskip(NEXT) | instid1(VALU_DEP_1)
	v_add3_u32 v6, v5, v6, 0x7fff
	v_lshrrev_b32_e32 v6, 16, v6
	s_delay_alu instid0(VALU_DEP_1)
	v_cndmask_b32_e32 v5, 0x7fc0, v6, vcc_lo
.LBB208_213:
	s_mov_b32 s0, 0
.LBB208_214:
	s_delay_alu instid0(SALU_CYCLE_1)
	s_and_not1_b32 vcc_lo, exec_lo, s0
	s_cbranch_vccnz .LBB208_216
; %bb.215:
	global_load_b32 v5, v[0:1], off
	s_waitcnt vmcnt(0)
	v_cvt_f32_f16_e32 v6, v5
	v_cmp_o_f16_e32 vcc_lo, v5, v5
	s_delay_alu instid0(VALU_DEP_2) | instskip(NEXT) | instid1(VALU_DEP_1)
	v_bfe_u32 v7, v6, 16, 1
	v_add3_u32 v6, v6, v7, 0x7fff
	s_delay_alu instid0(VALU_DEP_1) | instskip(NEXT) | instid1(VALU_DEP_1)
	v_lshrrev_b32_e32 v6, 16, v6
	v_cndmask_b32_e32 v5, 0x7fc0, v6, vcc_lo
.LBB208_216:
	s_mov_b32 s0, 0
.LBB208_217:
	s_delay_alu instid0(SALU_CYCLE_1)
	s_and_not1_b32 vcc_lo, exec_lo, s0
	s_cbranch_vccnz .LBB208_228
; %bb.218:
	v_cmp_gt_i16_e32 vcc_lo, 6, v4
	s_cbranch_vccnz .LBB208_221
; %bb.219:
	v_cmp_lt_i16_e32 vcc_lo, 6, v4
	s_cbranch_vccz .LBB208_222
; %bb.220:
	global_load_b64 v[5:6], v[0:1], off
	s_mov_b32 s0, 0
	s_waitcnt vmcnt(0)
	v_cvt_f32_f64_e32 v5, v[5:6]
	s_delay_alu instid0(VALU_DEP_1) | instskip(SKIP_1) | instid1(VALU_DEP_2)
	v_bfe_u32 v6, v5, 16, 1
	v_cmp_o_f32_e32 vcc_lo, v5, v5
	v_add3_u32 v6, v5, v6, 0x7fff
	s_delay_alu instid0(VALU_DEP_1) | instskip(NEXT) | instid1(VALU_DEP_1)
	v_lshrrev_b32_e32 v6, 16, v6
	v_cndmask_b32_e32 v5, 0x7fc0, v6, vcc_lo
	s_branch .LBB208_223
.LBB208_221:
	s_mov_b32 s0, -1
                                        ; implicit-def: $vgpr5
	s_branch .LBB208_226
.LBB208_222:
	s_mov_b32 s0, -1
                                        ; implicit-def: $vgpr5
.LBB208_223:
	s_delay_alu instid0(SALU_CYCLE_1)
	s_and_not1_b32 vcc_lo, exec_lo, s0
	s_cbranch_vccnz .LBB208_225
; %bb.224:
	global_load_b32 v5, v[0:1], off
	s_waitcnt vmcnt(0)
	v_bfe_u32 v6, v5, 16, 1
	v_cmp_o_f32_e32 vcc_lo, v5, v5
	s_delay_alu instid0(VALU_DEP_2) | instskip(NEXT) | instid1(VALU_DEP_1)
	v_add3_u32 v6, v5, v6, 0x7fff
	v_lshrrev_b32_e32 v6, 16, v6
	s_delay_alu instid0(VALU_DEP_1)
	v_cndmask_b32_e32 v5, 0x7fc0, v6, vcc_lo
.LBB208_225:
	s_mov_b32 s0, 0
.LBB208_226:
	s_delay_alu instid0(SALU_CYCLE_1)
	s_and_not1_b32 vcc_lo, exec_lo, s0
	s_cbranch_vccnz .LBB208_228
; %bb.227:
	global_load_u16 v5, v[0:1], off
	s_waitcnt vmcnt(0)
	v_cvt_f32_f16_e32 v6, v5
	v_cmp_o_f16_e32 vcc_lo, v5, v5
	s_delay_alu instid0(VALU_DEP_2) | instskip(NEXT) | instid1(VALU_DEP_1)
	v_bfe_u32 v7, v6, 16, 1
	v_add3_u32 v6, v6, v7, 0x7fff
	s_delay_alu instid0(VALU_DEP_1) | instskip(NEXT) | instid1(VALU_DEP_1)
	v_lshrrev_b32_e32 v6, 16, v6
	v_cndmask_b32_e32 v5, 0x7fc0, v6, vcc_lo
.LBB208_228:
	s_cbranch_execnz .LBB208_248
.LBB208_229:
	v_cmp_gt_i16_e32 vcc_lo, 2, v4
	s_cbranch_vccnz .LBB208_233
; %bb.230:
	v_cmp_gt_i16_e32 vcc_lo, 3, v4
	s_cbranch_vccnz .LBB208_234
; %bb.231:
	v_cmp_lt_i16_e32 vcc_lo, 3, v4
	s_cbranch_vccz .LBB208_235
; %bb.232:
	global_load_b64 v[5:6], v[0:1], off
	s_mov_b32 s0, 0
	s_waitcnt vmcnt(0)
	v_xor_b32_e32 v7, v5, v6
	v_cls_i32_e32 v8, v6
	s_delay_alu instid0(VALU_DEP_2) | instskip(NEXT) | instid1(VALU_DEP_2)
	v_ashrrev_i32_e32 v7, 31, v7
	v_add_nc_u32_e32 v8, -1, v8
	s_delay_alu instid0(VALU_DEP_2) | instskip(NEXT) | instid1(VALU_DEP_1)
	v_add_nc_u32_e32 v7, 32, v7
	v_min_u32_e32 v7, v8, v7
	s_delay_alu instid0(VALU_DEP_1) | instskip(NEXT) | instid1(VALU_DEP_1)
	v_lshlrev_b64 v[5:6], v7, v[5:6]
	v_min_u32_e32 v5, 1, v5
	s_delay_alu instid0(VALU_DEP_1) | instskip(SKIP_1) | instid1(VALU_DEP_2)
	v_or_b32_e32 v5, v6, v5
	v_sub_nc_u32_e32 v6, 32, v7
	v_cvt_f32_i32_e32 v5, v5
	s_delay_alu instid0(VALU_DEP_1) | instskip(NEXT) | instid1(VALU_DEP_1)
	v_ldexp_f32 v5, v5, v6
	v_bfe_u32 v6, v5, 16, 1
	s_delay_alu instid0(VALU_DEP_1) | instskip(NEXT) | instid1(VALU_DEP_1)
	v_add3_u32 v5, v5, v6, 0x7fff
	v_lshrrev_b32_e32 v5, 16, v5
	s_branch .LBB208_236
.LBB208_233:
	s_mov_b32 s0, -1
                                        ; implicit-def: $vgpr5
	s_branch .LBB208_242
.LBB208_234:
	s_mov_b32 s0, -1
                                        ; implicit-def: $vgpr5
	s_branch .LBB208_239
.LBB208_235:
	s_mov_b32 s0, -1
                                        ; implicit-def: $vgpr5
.LBB208_236:
	s_delay_alu instid0(SALU_CYCLE_1)
	s_and_not1_b32 vcc_lo, exec_lo, s0
	s_cbranch_vccnz .LBB208_238
; %bb.237:
	global_load_b32 v5, v[0:1], off
	s_waitcnt vmcnt(0)
	v_cvt_f32_i32_e32 v5, v5
	s_delay_alu instid0(VALU_DEP_1) | instskip(NEXT) | instid1(VALU_DEP_1)
	v_bfe_u32 v6, v5, 16, 1
	v_add3_u32 v5, v5, v6, 0x7fff
	s_delay_alu instid0(VALU_DEP_1)
	v_lshrrev_b32_e32 v5, 16, v5
.LBB208_238:
	s_mov_b32 s0, 0
.LBB208_239:
	s_delay_alu instid0(SALU_CYCLE_1)
	s_and_not1_b32 vcc_lo, exec_lo, s0
	s_cbranch_vccnz .LBB208_241
; %bb.240:
	global_load_i16 v5, v[0:1], off
	s_waitcnt vmcnt(0)
	v_cvt_f32_i32_e32 v5, v5
	s_delay_alu instid0(VALU_DEP_1) | instskip(NEXT) | instid1(VALU_DEP_1)
	v_bfe_u32 v6, v5, 16, 1
	v_add3_u32 v5, v5, v6, 0x7fff
	s_delay_alu instid0(VALU_DEP_1)
	v_lshrrev_b32_e32 v5, 16, v5
.LBB208_241:
	s_mov_b32 s0, 0
.LBB208_242:
	s_delay_alu instid0(SALU_CYCLE_1)
	s_and_not1_b32 vcc_lo, exec_lo, s0
	s_cbranch_vccnz .LBB208_248
; %bb.243:
	v_cmp_lt_i16_e32 vcc_lo, 0, v4
	s_mov_b32 s0, 0
	s_cbranch_vccz .LBB208_245
; %bb.244:
	global_load_i8 v5, v[0:1], off
	s_waitcnt vmcnt(0)
	v_cvt_f32_i32_e32 v5, v5
	s_delay_alu instid0(VALU_DEP_1) | instskip(NEXT) | instid1(VALU_DEP_1)
	v_bfe_u32 v6, v5, 16, 1
	v_add3_u32 v5, v5, v6, 0x7fff
	s_delay_alu instid0(VALU_DEP_1)
	v_lshrrev_b32_e32 v5, 16, v5
	s_branch .LBB208_246
.LBB208_245:
	s_mov_b32 s0, -1
                                        ; implicit-def: $vgpr5
.LBB208_246:
	s_delay_alu instid0(SALU_CYCLE_1)
	s_and_not1_b32 vcc_lo, exec_lo, s0
	s_cbranch_vccnz .LBB208_248
; %bb.247:
	global_load_u8 v0, v[0:1], off
	s_waitcnt vmcnt(0)
	v_cvt_f32_ubyte0_e32 v0, v0
	s_delay_alu instid0(VALU_DEP_1) | instskip(NEXT) | instid1(VALU_DEP_1)
	v_bfe_u32 v1, v0, 16, 1
	v_add3_u32 v0, v0, v1, 0x7fff
	s_delay_alu instid0(VALU_DEP_1)
	v_lshrrev_b32_e32 v5, 16, v0
.LBB208_248:
	s_branch .LBB208_11
.LBB208_249:
	s_mov_b32 s0, 0
.LBB208_250:
	s_mov_b32 s14, 0
                                        ; implicit-def: $vgpr3
.LBB208_251:
	s_and_b32 s9, s0, exec_lo
	s_and_b32 s11, s11, exec_lo
	s_or_not1_b32 s15, s14, exec_lo
.LBB208_252:
	s_or_b32 exec_lo, exec_lo, s12
	s_mov_b32 s14, 0
	s_mov_b32 s0, 0
                                        ; implicit-def: $vgpr0_vgpr1
                                        ; implicit-def: $vgpr6
	s_and_saveexec_b32 s12, s15
	s_cbranch_execz .LBB208_860
; %bb.253:
	s_mov_b32 s17, -1
	s_mov_b32 s13, s11
	s_mov_b32 s14, s9
	s_mov_b32 s15, exec_lo
	v_cmpx_gt_i32_e64 s10, v3
	s_cbranch_execz .LBB208_512
; %bb.254:
	v_mul_lo_u32 v0, v3, s3
	v_cmp_gt_i16_e32 vcc_lo, 11, v4
	s_delay_alu instid0(VALU_DEP_2) | instskip(SKIP_1) | instid1(VALU_DEP_1)
	v_ashrrev_i32_e32 v1, 31, v0
	v_add_co_u32 v0, s0, s6, v0
	v_add_co_ci_u32_e64 v1, s0, s7, v1, s0
	s_cbranch_vccnz .LBB208_261
; %bb.255:
	v_cmp_lt_i16_e32 vcc_lo, 25, v4
	s_cbranch_vccz .LBB208_270
; %bb.256:
	v_cmp_lt_i16_e32 vcc_lo, 28, v4
	s_cbranch_vccz .LBB208_272
; %bb.257:
	v_cmp_lt_i16_e32 vcc_lo, 43, v4
	s_cbranch_vccz .LBB208_274
; %bb.258:
	v_cmp_lt_i16_e32 vcc_lo, 45, v4
	s_cbranch_vccz .LBB208_278
; %bb.259:
	v_cmp_eq_u16_e32 vcc_lo, 46, v4
	s_mov_b32 s14, 0
	s_cbranch_vccz .LBB208_282
; %bb.260:
	global_load_b32 v5, v[0:1], off
	s_mov_b32 s0, -1
	s_mov_b32 s13, 0
	s_branch .LBB208_284
.LBB208_261:
	s_mov_b32 s0, 0
	s_mov_b32 s13, s11
                                        ; implicit-def: $vgpr5
	s_cbranch_execnz .LBB208_461
.LBB208_262:
	s_and_not1_b32 vcc_lo, exec_lo, s0
	s_cbranch_vccnz .LBB208_509
.LBB208_263:
	s_waitcnt vmcnt(0)
	s_delay_alu instid0(VALU_DEP_1) | instskip(NEXT) | instid1(VALU_DEP_1)
	v_lshlrev_b32_e32 v0, 16, v5
	v_cvt_f64_f32_e32 v[0:1], v0
	s_delay_alu instid0(VALU_DEP_1) | instskip(SKIP_3) | instid1(VALU_DEP_2)
	v_rsq_f64_e32 v[5:6], v[0:1]
	s_waitcnt_depctr 0xfff
	v_mul_f64 v[0:1], v[5:6], -v[0:1]
	v_cmp_class_f64_e64 vcc_lo, v[5:6], 0x180
	v_fma_f64 v[0:1], v[0:1], v[5:6], 1.0
	s_delay_alu instid0(VALU_DEP_1) | instskip(SKIP_1) | instid1(VALU_DEP_1)
	v_mul_f64 v[7:8], v[5:6], v[0:1]
	v_fma_f64 v[0:1], 0x3fd80000, v[0:1], 0.5
	v_fma_f64 v[0:1], v[7:8], v[0:1], v[5:6]
	s_delay_alu instid0(VALU_DEP_1) | instskip(SKIP_1) | instid1(VALU_DEP_2)
	v_dual_cndmask_b32 v1, v6, v1 :: v_dual_cndmask_b32 v0, v5, v0
	v_and_b32_e32 v6, 0xff, v2
	v_cvt_f32_f64_e32 v5, v[0:1]
	v_mul_lo_u32 v1, v3, s2
	s_delay_alu instid0(VALU_DEP_3) | instskip(SKIP_1) | instid1(VALU_DEP_2)
	v_cmp_gt_i16_e32 vcc_lo, 11, v6
	s_and_b32 vcc_lo, exec_lo, vcc_lo
	v_ashrrev_i32_e32 v7, 31, v1
	s_delay_alu instid0(VALU_DEP_4) | instskip(NEXT) | instid1(VALU_DEP_1)
	v_bfe_u32 v0, v5, 16, 1
	v_add3_u32 v0, v5, v0, 0x7fff
	s_delay_alu instid0(VALU_DEP_1) | instskip(SKIP_1) | instid1(VALU_DEP_1)
	v_lshrrev_b32_e32 v8, 16, v0
	v_add_co_u32 v0, s0, s4, v1
	v_add_co_ci_u32_e64 v1, s0, s5, v7, s0
	v_cmp_o_f32_e64 s0, v5, v5
	s_delay_alu instid0(VALU_DEP_1)
	v_cndmask_b32_e64 v5, 0x7fc0, v8, s0
	s_cbranch_vccnz .LBB208_271
; %bb.264:
	v_cmp_lt_i16_e32 vcc_lo, 25, v6
	s_cbranch_vccz .LBB208_273
; %bb.265:
	v_cmp_lt_i16_e32 vcc_lo, 28, v6
	s_cbranch_vccz .LBB208_275
	;; [unrolled: 3-line block ×4, first 2 shown]
; %bb.268:
	v_cmp_eq_u16_e32 vcc_lo, 46, v6
	s_mov_b32 s16, 0
	s_mov_b32 s0, -1
	s_mov_b32 s14, 0
	s_cbranch_vccz .LBB208_288
; %bb.269:
	v_and_b32_e32 v7, 0xffff, v5
	s_mov_b32 s14, -1
	s_mov_b32 s0, 0
	global_store_b32 v[0:1], v7, off
	s_branch .LBB208_288
.LBB208_270:
	s_mov_b32 s14, -1
	s_mov_b32 s0, 0
	s_mov_b32 s13, s11
                                        ; implicit-def: $vgpr5
	s_branch .LBB208_425
.LBB208_271:
	s_mov_b32 s16, -1
	s_mov_b32 s14, 0
	s_mov_b32 s0, s9
	s_branch .LBB208_357
.LBB208_272:
	s_mov_b32 s14, -1
	s_mov_b32 s0, 0
	s_mov_b32 s13, s11
                                        ; implicit-def: $vgpr5
	s_branch .LBB208_406
.LBB208_273:
	s_mov_b32 s16, -1
	s_mov_b32 s14, 0
	s_mov_b32 s0, s9
	s_branch .LBB208_315
.LBB208_274:
	s_mov_b32 s14, -1
	s_mov_b32 s0, 0
	s_mov_b32 s13, s11
                                        ; implicit-def: $vgpr5
	s_branch .LBB208_401
.LBB208_275:
	s_mov_b32 s16, -1
	s_mov_b32 s14, 0
	s_mov_b32 s0, s9
	s_branch .LBB208_298
.LBB208_276:
	s_or_saveexec_b32 s15, s15
                                        ; implicit-def: $sgpr16
	s_delay_alu instid0(SALU_CYCLE_1)
	s_xor_b32 exec_lo, exec_lo, s15
	s_cbranch_execz .LBB208_54
.LBB208_277:
	v_add_f32_e64 v8, 0x46000000, |v9|
	s_and_not1_b32 s14, s14, exec_lo
	s_mov_b32 s16, 0
	s_delay_alu instid0(VALU_DEP_1) | instskip(NEXT) | instid1(VALU_DEP_1)
	v_and_b32_e32 v8, 0xff, v8
	v_cmp_ne_u32_e32 vcc_lo, 0, v8
	s_and_b32 s17, vcc_lo, exec_lo
	s_delay_alu instid0(SALU_CYCLE_1)
	s_or_b32 s14, s14, s17
	s_or_b32 exec_lo, exec_lo, s15
	v_mov_b32_e32 v10, s16
	s_and_saveexec_b32 s15, s14
	s_cbranch_execnz .LBB208_55
	s_branch .LBB208_56
.LBB208_278:
	s_mov_b32 s14, -1
	s_mov_b32 s0, 0
	s_mov_b32 s13, s11
	s_branch .LBB208_283
.LBB208_279:
	s_mov_b32 s16, -1
	s_mov_b32 s14, 0
	s_mov_b32 s0, s9
	s_branch .LBB208_294
.LBB208_280:
	s_or_saveexec_b32 s15, s15
                                        ; implicit-def: $sgpr16
	s_delay_alu instid0(SALU_CYCLE_1)
	s_xor_b32 exec_lo, exec_lo, s15
	s_cbranch_execz .LBB208_67
.LBB208_281:
	v_add_f32_e64 v8, 0x42800000, |v9|
	s_and_not1_b32 s14, s14, exec_lo
	s_mov_b32 s16, 0
	s_delay_alu instid0(VALU_DEP_1) | instskip(NEXT) | instid1(VALU_DEP_1)
	v_and_b32_e32 v8, 0xff, v8
	v_cmp_ne_u32_e32 vcc_lo, 0, v8
	s_and_b32 s17, vcc_lo, exec_lo
	s_delay_alu instid0(SALU_CYCLE_1)
	s_or_b32 s14, s14, s17
	s_or_b32 exec_lo, exec_lo, s15
	v_mov_b32_e32 v10, s16
	s_and_saveexec_b32 s15, s14
	s_cbranch_execnz .LBB208_68
	s_branch .LBB208_69
.LBB208_282:
	s_mov_b32 s13, -1
	s_mov_b32 s0, 0
.LBB208_283:
                                        ; implicit-def: $vgpr5
.LBB208_284:
	s_and_b32 vcc_lo, exec_lo, s14
	s_cbranch_vccz .LBB208_400
; %bb.285:
	v_cmp_eq_u16_e32 vcc_lo, 44, v4
	s_cbranch_vccz .LBB208_399
; %bb.286:
	global_load_u8 v5, v[0:1], off
	s_mov_b32 s13, 0
	s_mov_b32 s0, -1
	s_waitcnt vmcnt(0)
	v_lshlrev_b32_e32 v6, 23, v5
	v_cmp_ne_u32_e32 vcc_lo, 0xff, v5
	s_delay_alu instid0(VALU_DEP_2) | instskip(SKIP_1) | instid1(VALU_DEP_2)
	v_cndmask_b32_e32 v6, 0x7f800001, v6, vcc_lo
	v_cmp_ne_u32_e32 vcc_lo, 0, v5
	v_cndmask_b32_e32 v5, 0x400000, v6, vcc_lo
	s_delay_alu instid0(VALU_DEP_1) | instskip(SKIP_1) | instid1(VALU_DEP_2)
	v_add_nc_u32_e32 v6, 0x7fff, v5
	v_cmp_o_f32_e32 vcc_lo, v5, v5
	v_lshrrev_b32_e32 v6, 16, v6
	s_delay_alu instid0(VALU_DEP_1)
	v_cndmask_b32_e32 v5, 0x7fc0, v6, vcc_lo
	s_branch .LBB208_400
.LBB208_287:
	s_mov_b32 s16, -1
	s_mov_b32 s14, 0
	s_mov_b32 s0, s9
.LBB208_288:
	s_and_b32 vcc_lo, exec_lo, s16
	s_cbranch_vccz .LBB208_293
; %bb.289:
	v_cmp_eq_u16_e32 vcc_lo, 44, v6
	s_mov_b32 s0, -1
	s_cbranch_vccz .LBB208_293
; %bb.290:
	v_and_b32_e32 v7, 0xffff, v5
	v_mov_b32_e32 v8, 0xff
	s_mov_b32 s14, exec_lo
	s_delay_alu instid0(VALU_DEP_2) | instskip(NEXT) | instid1(VALU_DEP_1)
	v_bfe_u32 v9, v7, 7, 8
	v_cmpx_ne_u32_e32 0xff, v9
; %bb.291:
	v_lshlrev_b32_e32 v8, 16, v7
	v_and_b32_e32 v10, 64, v7
	v_lshrrev_b32_e32 v7, 7, v7
	s_delay_alu instid0(VALU_DEP_3) | instskip(NEXT) | instid1(VALU_DEP_3)
	v_and_or_b32 v8, 0x3f0000, v8, v9
	v_cmp_ne_u32_e32 vcc_lo, 0, v10
	s_delay_alu instid0(VALU_DEP_2) | instskip(NEXT) | instid1(VALU_DEP_1)
	v_cmp_ne_u32_e64 s0, 0, v8
	s_and_b32 s0, vcc_lo, s0
	s_delay_alu instid0(SALU_CYCLE_1) | instskip(NEXT) | instid1(VALU_DEP_1)
	v_cndmask_b32_e64 v8, 0, 1, s0
	v_add_nc_u32_e32 v8, v7, v8
; %bb.292:
	s_or_b32 exec_lo, exec_lo, s14
	s_mov_b32 s14, -1
	s_mov_b32 s0, 0
	global_store_b8 v[0:1], v8, off
.LBB208_293:
	s_mov_b32 s16, 0
.LBB208_294:
	s_delay_alu instid0(SALU_CYCLE_1)
	s_and_b32 vcc_lo, exec_lo, s16
	s_cbranch_vccz .LBB208_297
; %bb.295:
	v_cmp_eq_u16_e32 vcc_lo, 29, v6
	s_mov_b32 s0, -1
	s_cbranch_vccz .LBB208_297
; %bb.296:
	v_lshlrev_b32_e32 v7, 16, v5
	s_mov_b32 s14, -1
	s_mov_b32 s0, 0
	s_mov_b32 s16, 0
	s_delay_alu instid0(VALU_DEP_1) | instskip(NEXT) | instid1(VALU_DEP_1)
	v_trunc_f32_e32 v7, v7
	v_mul_f32_e32 v8, 0x2f800000, v7
	s_delay_alu instid0(VALU_DEP_1) | instskip(NEXT) | instid1(VALU_DEP_1)
	v_floor_f32_e32 v8, v8
	v_fmamk_f32 v7, v8, 0xcf800000, v7
	v_cvt_u32_f32_e32 v8, v8
	s_delay_alu instid0(VALU_DEP_2)
	v_cvt_u32_f32_e32 v7, v7
	global_store_b64 v[0:1], v[7:8], off
	s_branch .LBB208_298
.LBB208_297:
	s_mov_b32 s16, 0
.LBB208_298:
	s_delay_alu instid0(SALU_CYCLE_1)
	s_and_b32 vcc_lo, exec_lo, s16
	s_cbranch_vccz .LBB208_314
; %bb.299:
	v_cmp_gt_i16_e32 vcc_lo, 27, v6
	s_mov_b32 s14, -1
	s_cbranch_vccnz .LBB208_305
; %bb.300:
	v_cmp_lt_i16_e32 vcc_lo, 27, v6
	s_cbranch_vccz .LBB208_302
; %bb.301:
	v_lshlrev_b32_e32 v7, 16, v5
	s_mov_b32 s14, 0
	s_delay_alu instid0(VALU_DEP_1)
	v_cvt_u32_f32_e32 v7, v7
	global_store_b32 v[0:1], v7, off
.LBB208_302:
	s_and_not1_b32 vcc_lo, exec_lo, s14
	s_cbranch_vccnz .LBB208_304
; %bb.303:
	v_lshlrev_b32_e32 v7, 16, v5
	s_delay_alu instid0(VALU_DEP_1)
	v_cvt_u32_f32_e32 v7, v7
	global_store_b16 v[0:1], v7, off
.LBB208_304:
	s_mov_b32 s14, 0
.LBB208_305:
	s_delay_alu instid0(SALU_CYCLE_1)
	s_and_not1_b32 vcc_lo, exec_lo, s14
	s_cbranch_vccnz .LBB208_313
; %bb.306:
	v_dual_mov_b32 v10, 0x80 :: v_dual_lshlrev_b32 v9, 16, v5
	s_mov_b32 s14, exec_lo
	s_delay_alu instid0(VALU_DEP_1) | instskip(NEXT) | instid1(VALU_DEP_1)
	v_and_b32_e32 v8, 0x7fffffff, v9
	v_cmpx_gt_u32_e32 0x43800000, v8
	s_cbranch_execz .LBB208_312
; %bb.307:
	v_and_b32_e32 v7, 0xffff, v5
	v_cmp_lt_u32_e32 vcc_lo, 0x3bffffff, v8
	s_mov_b32 s16, 0
                                        ; implicit-def: $vgpr8
	s_and_saveexec_b32 s17, vcc_lo
	s_delay_alu instid0(SALU_CYCLE_1)
	s_xor_b32 s17, exec_lo, s17
	s_cbranch_execz .LBB208_525
; %bb.308:
	v_bfe_u32 v8, v7, 4, 1
	s_mov_b32 s16, exec_lo
	s_delay_alu instid0(VALU_DEP_1) | instskip(NEXT) | instid1(VALU_DEP_1)
	v_add3_u32 v8, v9, v8, 0x487ffff
                                        ; implicit-def: $vgpr9
	v_lshrrev_b32_e32 v8, 20, v8
	s_or_saveexec_b32 s17, s17
                                        ; implicit-def: $sgpr18
	s_delay_alu instid0(SALU_CYCLE_1)
	s_xor_b32 exec_lo, exec_lo, s17
	s_cbranch_execnz .LBB208_526
.LBB208_309:
	s_or_b32 exec_lo, exec_lo, s17
	v_mov_b32_e32 v10, s18
	s_and_saveexec_b32 s17, s16
.LBB208_310:
	v_lshrrev_b32_e32 v7, 8, v7
	s_delay_alu instid0(VALU_DEP_1)
	v_and_or_b32 v10, 0x80, v7, v8
.LBB208_311:
	s_or_b32 exec_lo, exec_lo, s17
.LBB208_312:
	s_delay_alu instid0(SALU_CYCLE_1)
	s_or_b32 exec_lo, exec_lo, s14
	global_store_b8 v[0:1], v10, off
.LBB208_313:
	s_mov_b32 s14, -1
.LBB208_314:
	s_mov_b32 s16, 0
.LBB208_315:
	s_delay_alu instid0(SALU_CYCLE_1)
	s_and_b32 vcc_lo, exec_lo, s16
	s_cbranch_vccz .LBB208_356
; %bb.316:
	v_cmp_lt_i16_e32 vcc_lo, 22, v6
	s_mov_b32 s16, -1
	s_cbranch_vccz .LBB208_348
; %bb.317:
	v_cmp_gt_i16_e32 vcc_lo, 24, v6
	s_mov_b32 s14, -1
	s_cbranch_vccnz .LBB208_337
; %bb.318:
	v_cmp_lt_i16_e32 vcc_lo, 24, v6
	s_cbranch_vccz .LBB208_326
; %bb.319:
	v_dual_mov_b32 v10, 0x80 :: v_dual_lshlrev_b32 v9, 16, v5
	s_mov_b32 s14, exec_lo
	s_delay_alu instid0(VALU_DEP_1) | instskip(NEXT) | instid1(VALU_DEP_1)
	v_and_b32_e32 v8, 0x7fffffff, v9
	v_cmpx_gt_u32_e32 0x47800000, v8
	s_cbranch_execz .LBB208_325
; %bb.320:
	v_and_b32_e32 v7, 0xffff, v5
	v_cmp_lt_u32_e32 vcc_lo, 0x37ffffff, v8
	s_mov_b32 s16, 0
                                        ; implicit-def: $vgpr8
	s_and_saveexec_b32 s17, vcc_lo
	s_delay_alu instid0(SALU_CYCLE_1)
	s_xor_b32 s17, exec_lo, s17
	s_cbranch_execz .LBB208_528
; %bb.321:
	v_bfe_u32 v8, v7, 5, 1
	s_mov_b32 s16, exec_lo
	s_delay_alu instid0(VALU_DEP_1) | instskip(NEXT) | instid1(VALU_DEP_1)
	v_add3_u32 v8, v9, v8, 0x88fffff
                                        ; implicit-def: $vgpr9
	v_lshrrev_b32_e32 v8, 21, v8
	s_or_saveexec_b32 s17, s17
                                        ; implicit-def: $sgpr18
	s_delay_alu instid0(SALU_CYCLE_1)
	s_xor_b32 exec_lo, exec_lo, s17
	s_cbranch_execnz .LBB208_529
.LBB208_322:
	s_or_b32 exec_lo, exec_lo, s17
	v_mov_b32_e32 v10, s18
	s_and_saveexec_b32 s17, s16
.LBB208_323:
	v_lshrrev_b32_e32 v7, 8, v7
	s_delay_alu instid0(VALU_DEP_1)
	v_and_or_b32 v10, 0x80, v7, v8
.LBB208_324:
	s_or_b32 exec_lo, exec_lo, s17
.LBB208_325:
	s_delay_alu instid0(SALU_CYCLE_1)
	s_or_b32 exec_lo, exec_lo, s14
	s_mov_b32 s14, 0
	global_store_b8 v[0:1], v10, off
.LBB208_326:
	s_and_b32 vcc_lo, exec_lo, s14
	s_cbranch_vccz .LBB208_336
; %bb.327:
	v_lshlrev_b32_e32 v9, 16, v5
	v_and_b32_e32 v7, 0xffff, v5
	s_mov_b32 s14, exec_lo
                                        ; implicit-def: $vgpr8
	s_delay_alu instid0(VALU_DEP_2) | instskip(NEXT) | instid1(VALU_DEP_1)
	v_and_b32_e32 v10, 0x7fffffff, v9
	v_cmpx_gt_u32_e32 0x43f00000, v10
	s_xor_b32 s14, exec_lo, s14
	s_cbranch_execz .LBB208_333
; %bb.328:
	s_mov_b32 s16, exec_lo
                                        ; implicit-def: $vgpr8
	v_cmpx_lt_u32_e32 0x3c7fffff, v10
	s_xor_b32 s16, exec_lo, s16
; %bb.329:
	v_bfe_u32 v8, v7, 4, 1
	s_delay_alu instid0(VALU_DEP_1) | instskip(NEXT) | instid1(VALU_DEP_1)
	v_add3_u32 v8, v9, v8, 0x407ffff
	v_and_b32_e32 v9, 0xff00000, v8
	v_lshrrev_b32_e32 v8, 20, v8
	s_delay_alu instid0(VALU_DEP_2) | instskip(NEXT) | instid1(VALU_DEP_2)
	v_cmp_ne_u32_e32 vcc_lo, 0x7f00000, v9
                                        ; implicit-def: $vgpr9
	v_cndmask_b32_e32 v8, 0x7e, v8, vcc_lo
; %bb.330:
	s_and_not1_saveexec_b32 s16, s16
; %bb.331:
	v_add_f32_e64 v8, 0x46800000, |v9|
; %bb.332:
	s_or_b32 exec_lo, exec_lo, s16
                                        ; implicit-def: $vgpr10
.LBB208_333:
	s_and_not1_saveexec_b32 s14, s14
; %bb.334:
	v_mov_b32_e32 v8, 0x7f
	v_cmp_lt_u32_e32 vcc_lo, 0x7f800000, v10
	s_delay_alu instid0(VALU_DEP_2)
	v_cndmask_b32_e32 v8, 0x7e, v8, vcc_lo
; %bb.335:
	s_or_b32 exec_lo, exec_lo, s14
	v_lshrrev_b32_e32 v7, 8, v7
	s_delay_alu instid0(VALU_DEP_1)
	v_and_or_b32 v7, 0x80, v7, v8
	global_store_b8 v[0:1], v7, off
.LBB208_336:
	s_mov_b32 s14, 0
.LBB208_337:
	s_delay_alu instid0(SALU_CYCLE_1)
	s_and_not1_b32 vcc_lo, exec_lo, s14
	s_cbranch_vccnz .LBB208_347
; %bb.338:
	v_lshlrev_b32_e32 v9, 16, v5
	v_and_b32_e32 v7, 0xffff, v5
	s_mov_b32 s14, exec_lo
                                        ; implicit-def: $vgpr8
	s_delay_alu instid0(VALU_DEP_2) | instskip(NEXT) | instid1(VALU_DEP_1)
	v_and_b32_e32 v10, 0x7fffffff, v9
	v_cmpx_gt_u32_e32 0x47800000, v10
	s_xor_b32 s14, exec_lo, s14
	s_cbranch_execz .LBB208_344
; %bb.339:
	s_mov_b32 s16, exec_lo
                                        ; implicit-def: $vgpr8
	v_cmpx_lt_u32_e32 0x387fffff, v10
	s_xor_b32 s16, exec_lo, s16
; %bb.340:
	v_bfe_u32 v8, v7, 5, 1
	s_delay_alu instid0(VALU_DEP_1) | instskip(NEXT) | instid1(VALU_DEP_1)
	v_add3_u32 v8, v9, v8, 0x80fffff
                                        ; implicit-def: $vgpr9
	v_lshrrev_b32_e32 v8, 21, v8
; %bb.341:
	s_and_not1_saveexec_b32 s16, s16
; %bb.342:
	v_add_f32_e64 v8, 0x43000000, |v9|
; %bb.343:
	s_or_b32 exec_lo, exec_lo, s16
                                        ; implicit-def: $vgpr10
.LBB208_344:
	s_and_not1_saveexec_b32 s14, s14
; %bb.345:
	v_mov_b32_e32 v8, 0x7f
	v_cmp_lt_u32_e32 vcc_lo, 0x7f800000, v10
	s_delay_alu instid0(VALU_DEP_2)
	v_cndmask_b32_e32 v8, 0x7c, v8, vcc_lo
; %bb.346:
	s_or_b32 exec_lo, exec_lo, s14
	v_lshrrev_b32_e32 v7, 8, v7
	s_delay_alu instid0(VALU_DEP_1)
	v_and_or_b32 v7, 0x80, v7, v8
	global_store_b8 v[0:1], v7, off
.LBB208_347:
	s_mov_b32 s16, 0
	s_mov_b32 s14, -1
.LBB208_348:
	s_and_not1_b32 vcc_lo, exec_lo, s16
	s_cbranch_vccnz .LBB208_356
; %bb.349:
	v_cmp_lt_i16_e32 vcc_lo, 14, v6
	s_mov_b32 s16, -1
	s_cbranch_vccz .LBB208_353
; %bb.350:
	v_cmp_eq_u16_e32 vcc_lo, 15, v6
	s_mov_b32 s0, -1
	s_cbranch_vccz .LBB208_352
; %bb.351:
	s_mov_b32 s14, -1
	s_mov_b32 s0, 0
	global_store_b16 v[0:1], v5, off
.LBB208_352:
	s_mov_b32 s16, 0
.LBB208_353:
	s_delay_alu instid0(SALU_CYCLE_1)
	s_and_b32 vcc_lo, exec_lo, s16
	s_cbranch_vccz .LBB208_356
; %bb.354:
	v_cmp_eq_u16_e32 vcc_lo, 11, v6
	s_mov_b32 s0, -1
	s_cbranch_vccz .LBB208_356
; %bb.355:
	v_and_b32_e32 v7, 0x7fff, v5
	s_mov_b32 s0, 0
	s_mov_b32 s14, -1
	s_delay_alu instid0(VALU_DEP_1)
	v_cmp_ne_u16_e32 vcc_lo, 0, v7
	v_cndmask_b32_e64 v7, 0, 1, vcc_lo
	global_store_b8 v[0:1], v7, off
.LBB208_356:
	s_mov_b32 s16, 0
.LBB208_357:
	s_delay_alu instid0(SALU_CYCLE_1)
	s_and_b32 vcc_lo, exec_lo, s16
	s_cbranch_vccz .LBB208_396
; %bb.358:
	v_cmp_gt_i16_e32 vcc_lo, 5, v6
	s_mov_b32 s14, -1
	s_cbranch_vccnz .LBB208_379
; %bb.359:
	v_cmp_gt_i16_e32 vcc_lo, 8, v6
	s_cbranch_vccnz .LBB208_369
; %bb.360:
	v_cmp_gt_i16_e32 vcc_lo, 9, v6
	s_cbranch_vccnz .LBB208_366
; %bb.361:
	v_cmp_lt_i16_e32 vcc_lo, 9, v6
	s_cbranch_vccz .LBB208_363
; %bb.362:
	v_mov_b32_e32 v9, 0
	v_lshlrev_b32_e32 v7, 16, v5
	s_mov_b32 s14, 0
	s_delay_alu instid0(VALU_DEP_2) | instskip(NEXT) | instid1(VALU_DEP_2)
	v_mov_b32_e32 v10, v9
	v_cvt_f64_f32_e32 v[7:8], v7
	global_store_b128 v[0:1], v[7:10], off
.LBB208_363:
	s_and_not1_b32 vcc_lo, exec_lo, s14
	s_cbranch_vccnz .LBB208_365
; %bb.364:
	v_dual_mov_b32 v8, 0 :: v_dual_lshlrev_b32 v7, 16, v5
	global_store_b64 v[0:1], v[7:8], off
.LBB208_365:
	s_mov_b32 s14, 0
.LBB208_366:
	s_delay_alu instid0(SALU_CYCLE_1)
	s_and_not1_b32 vcc_lo, exec_lo, s14
	s_cbranch_vccnz .LBB208_368
; %bb.367:
	v_lshlrev_b32_e32 v7, 16, v5
	s_delay_alu instid0(VALU_DEP_1) | instskip(NEXT) | instid1(VALU_DEP_1)
	v_cvt_f16_f32_e32 v7, v7
	v_and_b32_e32 v7, 0xffff, v7
	global_store_b32 v[0:1], v7, off
.LBB208_368:
	s_mov_b32 s14, 0
.LBB208_369:
	s_delay_alu instid0(SALU_CYCLE_1)
	s_and_not1_b32 vcc_lo, exec_lo, s14
	s_cbranch_vccnz .LBB208_378
; %bb.370:
	v_cmp_gt_i16_e32 vcc_lo, 6, v6
	s_mov_b32 s14, -1
	s_cbranch_vccnz .LBB208_376
; %bb.371:
	v_cmp_lt_i16_e32 vcc_lo, 6, v6
	s_cbranch_vccz .LBB208_373
; %bb.372:
	v_lshlrev_b32_e32 v7, 16, v5
	s_mov_b32 s14, 0
	s_delay_alu instid0(VALU_DEP_1)
	v_cvt_f64_f32_e32 v[7:8], v7
	global_store_b64 v[0:1], v[7:8], off
.LBB208_373:
	s_and_not1_b32 vcc_lo, exec_lo, s14
	s_cbranch_vccnz .LBB208_375
; %bb.374:
	v_lshlrev_b32_e32 v7, 16, v5
	global_store_b32 v[0:1], v7, off
.LBB208_375:
	s_mov_b32 s14, 0
.LBB208_376:
	s_delay_alu instid0(SALU_CYCLE_1)
	s_and_not1_b32 vcc_lo, exec_lo, s14
	s_cbranch_vccnz .LBB208_378
; %bb.377:
	v_lshlrev_b32_e32 v7, 16, v5
	s_delay_alu instid0(VALU_DEP_1)
	v_cvt_f16_f32_e32 v7, v7
	global_store_b16 v[0:1], v7, off
.LBB208_378:
	s_mov_b32 s14, 0
.LBB208_379:
	s_delay_alu instid0(SALU_CYCLE_1)
	s_and_not1_b32 vcc_lo, exec_lo, s14
	s_cbranch_vccnz .LBB208_395
; %bb.380:
	v_cmp_gt_i16_e32 vcc_lo, 2, v6
	s_mov_b32 s14, -1
	s_cbranch_vccnz .LBB208_390
; %bb.381:
	v_cmp_gt_i16_e32 vcc_lo, 3, v6
	s_cbranch_vccnz .LBB208_387
; %bb.382:
	v_cmp_lt_i16_e32 vcc_lo, 3, v6
	s_cbranch_vccz .LBB208_384
; %bb.383:
	v_lshlrev_b32_e32 v7, 16, v5
	s_mov_b32 s14, 0
	s_delay_alu instid0(VALU_DEP_1) | instskip(NEXT) | instid1(VALU_DEP_1)
	v_trunc_f32_e32 v7, v7
	v_mul_f32_e64 v8, 0x2f800000, |v7|
	v_ashrrev_i32_e32 v10, 31, v7
	s_delay_alu instid0(VALU_DEP_2) | instskip(NEXT) | instid1(VALU_DEP_1)
	v_floor_f32_e32 v8, v8
	v_fma_f32 v9, 0xcf800000, v8, |v7|
	v_cvt_u32_f32_e32 v8, v8
	s_delay_alu instid0(VALU_DEP_2) | instskip(NEXT) | instid1(VALU_DEP_2)
	v_cvt_u32_f32_e32 v7, v9
	v_xor_b32_e32 v8, v8, v10
	s_delay_alu instid0(VALU_DEP_2) | instskip(NEXT) | instid1(VALU_DEP_1)
	v_xor_b32_e32 v7, v7, v10
	v_sub_co_u32 v7, vcc_lo, v7, v10
	s_delay_alu instid0(VALU_DEP_3)
	v_sub_co_ci_u32_e32 v8, vcc_lo, v8, v10, vcc_lo
	global_store_b64 v[0:1], v[7:8], off
.LBB208_384:
	s_and_not1_b32 vcc_lo, exec_lo, s14
	s_cbranch_vccnz .LBB208_386
; %bb.385:
	v_lshlrev_b32_e32 v7, 16, v5
	s_delay_alu instid0(VALU_DEP_1)
	v_cvt_i32_f32_e32 v7, v7
	global_store_b32 v[0:1], v7, off
.LBB208_386:
	s_mov_b32 s14, 0
.LBB208_387:
	s_delay_alu instid0(SALU_CYCLE_1)
	s_and_not1_b32 vcc_lo, exec_lo, s14
	s_cbranch_vccnz .LBB208_389
; %bb.388:
	v_lshlrev_b32_e32 v7, 16, v5
	s_delay_alu instid0(VALU_DEP_1)
	v_cvt_i32_f32_e32 v7, v7
	global_store_b16 v[0:1], v7, off
.LBB208_389:
	s_mov_b32 s14, 0
.LBB208_390:
	s_delay_alu instid0(SALU_CYCLE_1)
	s_and_not1_b32 vcc_lo, exec_lo, s14
	s_cbranch_vccnz .LBB208_395
; %bb.391:
	v_cmp_lt_i16_e32 vcc_lo, 0, v6
	s_mov_b32 s14, -1
	s_cbranch_vccz .LBB208_393
; %bb.392:
	v_lshlrev_b32_e32 v6, 16, v5
	s_mov_b32 s14, 0
	s_delay_alu instid0(VALU_DEP_1)
	v_cvt_i32_f32_e32 v6, v6
	global_store_b8 v[0:1], v6, off
.LBB208_393:
	s_and_not1_b32 vcc_lo, exec_lo, s14
	s_cbranch_vccnz .LBB208_395
; %bb.394:
	v_lshlrev_b32_e32 v5, 16, v5
	s_delay_alu instid0(VALU_DEP_1) | instskip(NEXT) | instid1(VALU_DEP_1)
	v_trunc_f32_e32 v5, v5
	v_mul_f32_e64 v6, 0x2f800000, |v5|
	s_delay_alu instid0(VALU_DEP_1) | instskip(NEXT) | instid1(VALU_DEP_1)
	v_floor_f32_e32 v6, v6
	v_fma_f32 v6, 0xcf800000, v6, |v5|
	v_ashrrev_i32_e32 v5, 31, v5
	s_delay_alu instid0(VALU_DEP_2) | instskip(NEXT) | instid1(VALU_DEP_1)
	v_cvt_u32_f32_e32 v6, v6
	v_xor_b32_e32 v6, v6, v5
	s_delay_alu instid0(VALU_DEP_1)
	v_sub_nc_u32_e32 v5, v6, v5
	global_store_b8 v[0:1], v5, off
.LBB208_395:
	s_mov_b32 s14, -1
.LBB208_396:
	s_delay_alu instid0(SALU_CYCLE_1)
	s_and_not1_b32 vcc_lo, exec_lo, s14
	s_cbranch_vccnz .LBB208_398
; %bb.397:
	v_add_nc_u32_e32 v3, 0x80, v3
	s_mov_b32 s16, -1
	s_branch .LBB208_511
.LBB208_398:
	s_mov_b32 s16, 0
	s_branch .LBB208_510
.LBB208_399:
	s_mov_b32 s13, -1
                                        ; implicit-def: $vgpr5
.LBB208_400:
	s_mov_b32 s14, 0
.LBB208_401:
	s_delay_alu instid0(SALU_CYCLE_1)
	s_and_b32 vcc_lo, exec_lo, s14
	s_cbranch_vccz .LBB208_405
; %bb.402:
	v_cmp_eq_u16_e32 vcc_lo, 29, v4
	s_cbranch_vccz .LBB208_404
; %bb.403:
	global_load_b64 v[5:6], v[0:1], off
	s_mov_b32 s0, -1
	s_mov_b32 s13, 0
	s_mov_b32 s14, 0
	s_waitcnt vmcnt(0)
	v_clz_i32_u32_e32 v7, v6
	s_delay_alu instid0(VALU_DEP_1) | instskip(NEXT) | instid1(VALU_DEP_1)
	v_min_u32_e32 v7, 32, v7
	v_lshlrev_b64 v[5:6], v7, v[5:6]
	s_delay_alu instid0(VALU_DEP_1) | instskip(NEXT) | instid1(VALU_DEP_1)
	v_min_u32_e32 v5, 1, v5
	v_or_b32_e32 v5, v6, v5
	v_sub_nc_u32_e32 v6, 32, v7
	s_delay_alu instid0(VALU_DEP_2) | instskip(NEXT) | instid1(VALU_DEP_1)
	v_cvt_f32_u32_e32 v5, v5
	v_ldexp_f32 v5, v5, v6
	s_delay_alu instid0(VALU_DEP_1) | instskip(NEXT) | instid1(VALU_DEP_1)
	v_bfe_u32 v6, v5, 16, 1
	v_add3_u32 v5, v5, v6, 0x7fff
	s_delay_alu instid0(VALU_DEP_1)
	v_lshrrev_b32_e32 v5, 16, v5
	s_branch .LBB208_406
.LBB208_404:
	s_mov_b32 s13, -1
                                        ; implicit-def: $vgpr5
.LBB208_405:
	s_mov_b32 s14, 0
.LBB208_406:
	s_delay_alu instid0(SALU_CYCLE_1)
	s_and_b32 vcc_lo, exec_lo, s14
	s_cbranch_vccz .LBB208_424
; %bb.407:
	v_cmp_gt_i16_e32 vcc_lo, 27, v4
	s_cbranch_vccnz .LBB208_410
; %bb.408:
	v_cmp_lt_i16_e32 vcc_lo, 27, v4
	s_cbranch_vccz .LBB208_411
; %bb.409:
	global_load_b32 v5, v[0:1], off
	s_mov_b32 s0, 0
	s_waitcnt vmcnt(0)
	v_cvt_f32_u32_e32 v5, v5
	s_delay_alu instid0(VALU_DEP_1) | instskip(NEXT) | instid1(VALU_DEP_1)
	v_bfe_u32 v6, v5, 16, 1
	v_add3_u32 v5, v5, v6, 0x7fff
	s_delay_alu instid0(VALU_DEP_1)
	v_lshrrev_b32_e32 v5, 16, v5
	s_branch .LBB208_412
.LBB208_410:
	s_mov_b32 s0, -1
                                        ; implicit-def: $vgpr5
	s_branch .LBB208_415
.LBB208_411:
	s_mov_b32 s0, -1
                                        ; implicit-def: $vgpr5
.LBB208_412:
	s_delay_alu instid0(SALU_CYCLE_1)
	s_and_not1_b32 vcc_lo, exec_lo, s0
	s_cbranch_vccnz .LBB208_414
; %bb.413:
	global_load_u16 v5, v[0:1], off
	s_waitcnt vmcnt(0)
	v_cvt_f32_u32_e32 v5, v5
	s_delay_alu instid0(VALU_DEP_1) | instskip(NEXT) | instid1(VALU_DEP_1)
	v_bfe_u32 v6, v5, 16, 1
	v_add3_u32 v5, v5, v6, 0x7fff
	s_delay_alu instid0(VALU_DEP_1)
	v_lshrrev_b32_e32 v5, 16, v5
.LBB208_414:
	s_mov_b32 s0, 0
.LBB208_415:
	s_delay_alu instid0(SALU_CYCLE_1)
	s_and_not1_b32 vcc_lo, exec_lo, s0
	s_cbranch_vccnz .LBB208_423
; %bb.416:
	global_load_u8 v5, v[0:1], off
	s_mov_b32 s0, 0
	s_mov_b32 s16, exec_lo
                                        ; implicit-def: $sgpr14
	s_waitcnt vmcnt(0)
	v_cmpx_lt_i16_e32 0x7f, v5
	s_xor_b32 s16, exec_lo, s16
	s_cbranch_execz .LBB208_437
; %bb.417:
	s_mov_b32 s0, -1
	s_mov_b32 s17, exec_lo
                                        ; implicit-def: $sgpr14
	v_cmpx_eq_u16_e32 0x80, v5
; %bb.418:
	s_mov_b32 s14, 0x7f800001
	s_xor_b32 s0, exec_lo, -1
; %bb.419:
	s_or_b32 exec_lo, exec_lo, s17
	s_delay_alu instid0(SALU_CYCLE_1)
	s_and_b32 s0, s0, exec_lo
	s_or_saveexec_b32 s16, s16
	v_mov_b32_e32 v6, s14
	s_xor_b32 exec_lo, exec_lo, s16
	s_cbranch_execnz .LBB208_438
.LBB208_420:
	s_or_b32 exec_lo, exec_lo, s16
	s_and_saveexec_b32 s14, s0
	s_cbranch_execz .LBB208_422
.LBB208_421:
	v_and_b32_e32 v6, 0xffff, v5
	v_lshlrev_b32_e32 v5, 24, v5
	s_delay_alu instid0(VALU_DEP_2) | instskip(NEXT) | instid1(VALU_DEP_2)
	v_and_b32_e32 v7, 7, v6
	v_and_b32_e32 v5, 0x80000000, v5
	s_delay_alu instid0(VALU_DEP_2) | instskip(NEXT) | instid1(VALU_DEP_1)
	v_clz_i32_u32_e32 v8, v7
	v_min_u32_e32 v8, 32, v8
	s_delay_alu instid0(VALU_DEP_1) | instskip(SKIP_1) | instid1(VALU_DEP_2)
	v_subrev_nc_u32_e32 v9, 28, v8
	v_sub_nc_u32_e32 v8, 29, v8
	v_lshlrev_b32_e32 v9, v9, v6
	v_bfe_u32 v6, v6, 3, 4
	s_delay_alu instid0(VALU_DEP_2) | instskip(NEXT) | instid1(VALU_DEP_2)
	v_and_b32_e32 v9, 7, v9
	v_cmp_eq_u32_e32 vcc_lo, 0, v6
	s_delay_alu instid0(VALU_DEP_2) | instskip(NEXT) | instid1(VALU_DEP_1)
	v_dual_cndmask_b32 v6, v6, v8 :: v_dual_cndmask_b32 v7, v7, v9
	v_lshl_add_u32 v6, v6, 23, 0x3b800000
	s_delay_alu instid0(VALU_DEP_2) | instskip(NEXT) | instid1(VALU_DEP_1)
	v_lshlrev_b32_e32 v7, 20, v7
	v_or3_b32 v6, v5, v6, v7
.LBB208_422:
	s_or_b32 exec_lo, exec_lo, s14
	s_delay_alu instid0(VALU_DEP_1) | instskip(SKIP_1) | instid1(VALU_DEP_2)
	v_bfe_u32 v5, v6, 16, 1
	v_cmp_o_f32_e32 vcc_lo, v6, v6
	v_add3_u32 v5, v6, v5, 0x7fff
	s_delay_alu instid0(VALU_DEP_1) | instskip(NEXT) | instid1(VALU_DEP_1)
	v_lshrrev_b32_e32 v5, 16, v5
	v_cndmask_b32_e32 v5, 0x7fc0, v5, vcc_lo
.LBB208_423:
	s_mov_b32 s0, -1
.LBB208_424:
	s_mov_b32 s14, 0
.LBB208_425:
	s_delay_alu instid0(SALU_CYCLE_1)
	s_and_b32 vcc_lo, exec_lo, s14
	s_cbranch_vccz .LBB208_460
; %bb.426:
	v_cmp_lt_i16_e32 vcc_lo, 22, v4
	s_cbranch_vccz .LBB208_436
; %bb.427:
	v_cmp_gt_i16_e32 vcc_lo, 24, v4
	s_cbranch_vccnz .LBB208_439
; %bb.428:
	v_cmp_lt_i16_e32 vcc_lo, 24, v4
	s_cbranch_vccz .LBB208_440
; %bb.429:
	global_load_u8 v5, v[0:1], off
	s_mov_b32 s0, 0
	s_mov_b32 s16, exec_lo
                                        ; implicit-def: $sgpr14
	s_waitcnt vmcnt(0)
	v_cmpx_lt_i16_e32 0x7f, v5
	s_xor_b32 s16, exec_lo, s16
	s_cbranch_execz .LBB208_452
; %bb.430:
	s_mov_b32 s0, -1
	s_mov_b32 s17, exec_lo
                                        ; implicit-def: $sgpr14
	v_cmpx_eq_u16_e32 0x80, v5
; %bb.431:
	s_mov_b32 s14, 0x7f800001
	s_xor_b32 s0, exec_lo, -1
; %bb.432:
	s_or_b32 exec_lo, exec_lo, s17
	s_delay_alu instid0(SALU_CYCLE_1)
	s_and_b32 s0, s0, exec_lo
	s_or_saveexec_b32 s16, s16
	v_mov_b32_e32 v6, s14
	s_xor_b32 exec_lo, exec_lo, s16
	s_cbranch_execnz .LBB208_453
.LBB208_433:
	s_or_b32 exec_lo, exec_lo, s16
	s_and_saveexec_b32 s14, s0
	s_cbranch_execz .LBB208_435
.LBB208_434:
	v_and_b32_e32 v6, 0xffff, v5
	v_lshlrev_b32_e32 v5, 24, v5
	s_delay_alu instid0(VALU_DEP_2) | instskip(NEXT) | instid1(VALU_DEP_2)
	v_and_b32_e32 v7, 3, v6
	v_and_b32_e32 v5, 0x80000000, v5
	s_delay_alu instid0(VALU_DEP_2) | instskip(NEXT) | instid1(VALU_DEP_1)
	v_clz_i32_u32_e32 v8, v7
	v_min_u32_e32 v8, 32, v8
	s_delay_alu instid0(VALU_DEP_1) | instskip(SKIP_1) | instid1(VALU_DEP_2)
	v_subrev_nc_u32_e32 v9, 29, v8
	v_sub_nc_u32_e32 v8, 30, v8
	v_lshlrev_b32_e32 v9, v9, v6
	v_bfe_u32 v6, v6, 2, 5
	s_delay_alu instid0(VALU_DEP_2) | instskip(NEXT) | instid1(VALU_DEP_2)
	v_and_b32_e32 v9, 3, v9
	v_cmp_eq_u32_e32 vcc_lo, 0, v6
	s_delay_alu instid0(VALU_DEP_2) | instskip(NEXT) | instid1(VALU_DEP_1)
	v_dual_cndmask_b32 v6, v6, v8 :: v_dual_cndmask_b32 v7, v7, v9
	v_lshl_add_u32 v6, v6, 23, 0x37800000
	s_delay_alu instid0(VALU_DEP_2) | instskip(NEXT) | instid1(VALU_DEP_1)
	v_lshlrev_b32_e32 v7, 21, v7
	v_or3_b32 v6, v5, v6, v7
.LBB208_435:
	s_or_b32 exec_lo, exec_lo, s14
	s_delay_alu instid0(VALU_DEP_1) | instskip(SKIP_2) | instid1(VALU_DEP_2)
	v_bfe_u32 v5, v6, 16, 1
	v_cmp_o_f32_e32 vcc_lo, v6, v6
	s_mov_b32 s0, 0
	v_add3_u32 v5, v6, v5, 0x7fff
	s_delay_alu instid0(VALU_DEP_1) | instskip(NEXT) | instid1(VALU_DEP_1)
	v_lshrrev_b32_e32 v5, 16, v5
	v_cndmask_b32_e32 v5, 0x7fc0, v5, vcc_lo
	s_branch .LBB208_441
.LBB208_436:
	s_mov_b32 s14, -1
                                        ; implicit-def: $vgpr5
	s_branch .LBB208_447
.LBB208_437:
	s_or_saveexec_b32 s16, s16
	v_mov_b32_e32 v6, s14
	s_xor_b32 exec_lo, exec_lo, s16
	s_cbranch_execz .LBB208_420
.LBB208_438:
	v_cmp_ne_u16_e32 vcc_lo, 0, v5
	v_mov_b32_e32 v6, 0
	s_and_not1_b32 s0, s0, exec_lo
	s_and_b32 s14, vcc_lo, exec_lo
	s_delay_alu instid0(SALU_CYCLE_1)
	s_or_b32 s0, s0, s14
	s_or_b32 exec_lo, exec_lo, s16
	s_and_saveexec_b32 s14, s0
	s_cbranch_execnz .LBB208_421
	s_branch .LBB208_422
.LBB208_439:
	s_mov_b32 s0, -1
                                        ; implicit-def: $vgpr5
	s_branch .LBB208_444
.LBB208_440:
	s_mov_b32 s0, -1
                                        ; implicit-def: $vgpr5
.LBB208_441:
	s_delay_alu instid0(SALU_CYCLE_1)
	s_and_b32 vcc_lo, exec_lo, s0
	s_cbranch_vccz .LBB208_443
; %bb.442:
	global_load_u8 v5, v[0:1], off
	s_waitcnt vmcnt(0)
	v_lshlrev_b32_e32 v5, 24, v5
	s_delay_alu instid0(VALU_DEP_1) | instskip(NEXT) | instid1(VALU_DEP_1)
	v_and_b32_e32 v6, 0x7f000000, v5
	v_clz_i32_u32_e32 v7, v6
	v_add_nc_u32_e32 v9, 0x1000000, v6
	v_cmp_ne_u32_e32 vcc_lo, 0, v6
	s_delay_alu instid0(VALU_DEP_3) | instskip(NEXT) | instid1(VALU_DEP_1)
	v_min_u32_e32 v7, 32, v7
	v_sub_nc_u32_e64 v7, v7, 4 clamp
	s_delay_alu instid0(VALU_DEP_1) | instskip(SKIP_1) | instid1(VALU_DEP_2)
	v_lshlrev_b32_e32 v8, v7, v6
	v_lshlrev_b32_e32 v7, 23, v7
	v_lshrrev_b32_e32 v8, 4, v8
	s_delay_alu instid0(VALU_DEP_1) | instskip(SKIP_1) | instid1(VALU_DEP_2)
	v_sub_nc_u32_e32 v7, v8, v7
	v_ashrrev_i32_e32 v8, 8, v9
	v_add_nc_u32_e32 v7, 0x3c000000, v7
	s_delay_alu instid0(VALU_DEP_1) | instskip(NEXT) | instid1(VALU_DEP_1)
	v_and_or_b32 v7, 0x7f800000, v8, v7
	v_cndmask_b32_e32 v6, 0, v7, vcc_lo
	s_delay_alu instid0(VALU_DEP_1) | instskip(SKIP_1) | instid1(VALU_DEP_2)
	v_and_or_b32 v5, 0x80000000, v5, v6
	v_bfe_u32 v6, v6, 16, 1
	v_cmp_o_f32_e32 vcc_lo, v5, v5
	s_delay_alu instid0(VALU_DEP_2) | instskip(NEXT) | instid1(VALU_DEP_1)
	v_add3_u32 v6, v5, v6, 0x7fff
	v_lshrrev_b32_e32 v6, 16, v6
	s_delay_alu instid0(VALU_DEP_1)
	v_cndmask_b32_e32 v5, 0x7fc0, v6, vcc_lo
.LBB208_443:
	s_mov_b32 s0, 0
.LBB208_444:
	s_delay_alu instid0(SALU_CYCLE_1)
	s_and_not1_b32 vcc_lo, exec_lo, s0
	s_cbranch_vccnz .LBB208_446
; %bb.445:
	global_load_u8 v5, v[0:1], off
	s_waitcnt vmcnt(0)
	v_lshlrev_b32_e32 v6, 25, v5
	v_lshlrev_b16 v5, 8, v5
	s_delay_alu instid0(VALU_DEP_2) | instskip(NEXT) | instid1(VALU_DEP_2)
	v_lshrrev_b32_e32 v7, 4, v6
	v_and_or_b32 v8, 0x7f00, v5, 0.5
	v_bfe_i32 v5, v5, 0, 16
	s_delay_alu instid0(VALU_DEP_3) | instskip(NEXT) | instid1(VALU_DEP_1)
	v_or_b32_e32 v7, 0x70000000, v7
	v_dual_add_f32 v8, -0.5, v8 :: v_dual_mul_f32 v7, 0x7800000, v7
	v_cmp_gt_u32_e32 vcc_lo, 0x8000000, v6
	s_delay_alu instid0(VALU_DEP_2) | instskip(NEXT) | instid1(VALU_DEP_1)
	v_cndmask_b32_e32 v6, v7, v8, vcc_lo
	v_and_or_b32 v5, 0x80000000, v5, v6
	v_bfe_u32 v6, v6, 16, 1
	s_delay_alu instid0(VALU_DEP_2) | instskip(NEXT) | instid1(VALU_DEP_2)
	v_cmp_o_f32_e32 vcc_lo, v5, v5
	v_add3_u32 v6, v5, v6, 0x7fff
	s_delay_alu instid0(VALU_DEP_1) | instskip(NEXT) | instid1(VALU_DEP_1)
	v_lshrrev_b32_e32 v6, 16, v6
	v_cndmask_b32_e32 v5, 0x7fc0, v6, vcc_lo
.LBB208_446:
	s_mov_b32 s14, 0
	s_mov_b32 s0, -1
.LBB208_447:
	s_and_not1_b32 vcc_lo, exec_lo, s14
	s_cbranch_vccnz .LBB208_460
; %bb.448:
	v_cmp_lt_i16_e32 vcc_lo, 14, v4
	s_cbranch_vccz .LBB208_451
; %bb.449:
	v_cmp_eq_u16_e32 vcc_lo, 15, v4
	s_cbranch_vccz .LBB208_454
; %bb.450:
	global_load_u16 v5, v[0:1], off
	s_mov_b32 s0, -1
	s_mov_b32 s13, 0
	s_branch .LBB208_455
.LBB208_451:
	s_mov_b32 s14, -1
                                        ; implicit-def: $vgpr5
	s_branch .LBB208_456
.LBB208_452:
	s_or_saveexec_b32 s16, s16
	v_mov_b32_e32 v6, s14
	s_xor_b32 exec_lo, exec_lo, s16
	s_cbranch_execz .LBB208_433
.LBB208_453:
	v_cmp_ne_u16_e32 vcc_lo, 0, v5
	v_mov_b32_e32 v6, 0
	s_and_not1_b32 s0, s0, exec_lo
	s_and_b32 s14, vcc_lo, exec_lo
	s_delay_alu instid0(SALU_CYCLE_1)
	s_or_b32 s0, s0, s14
	s_or_b32 exec_lo, exec_lo, s16
	s_and_saveexec_b32 s14, s0
	s_cbranch_execnz .LBB208_434
	s_branch .LBB208_435
.LBB208_454:
	s_mov_b32 s13, -1
                                        ; implicit-def: $vgpr5
.LBB208_455:
	s_mov_b32 s14, 0
.LBB208_456:
	s_delay_alu instid0(SALU_CYCLE_1)
	s_and_b32 vcc_lo, exec_lo, s14
	s_cbranch_vccz .LBB208_460
; %bb.457:
	v_cmp_eq_u16_e32 vcc_lo, 11, v4
	s_cbranch_vccz .LBB208_459
; %bb.458:
	global_load_u8 v5, v[0:1], off
	s_mov_b32 s13, 0
	s_mov_b32 s0, -1
	s_waitcnt vmcnt(0)
	v_cmp_ne_u16_e32 vcc_lo, 0, v5
	v_cndmask_b32_e64 v5, 0, 1.0, vcc_lo
	s_delay_alu instid0(VALU_DEP_1)
	v_lshrrev_b32_e32 v5, 16, v5
	s_branch .LBB208_460
.LBB208_459:
	s_mov_b32 s13, -1
                                        ; implicit-def: $vgpr5
.LBB208_460:
	s_branch .LBB208_262
.LBB208_461:
	v_cmp_gt_i16_e32 vcc_lo, 5, v4
	s_cbranch_vccnz .LBB208_466
; %bb.462:
	v_cmp_gt_i16_e32 vcc_lo, 8, v4
	s_cbranch_vccnz .LBB208_467
; %bb.463:
	v_cmp_gt_i16_e32 vcc_lo, 9, v4
	s_cbranch_vccnz .LBB208_468
; %bb.464:
	v_cmp_lt_i16_e32 vcc_lo, 9, v4
	s_cbranch_vccz .LBB208_469
; %bb.465:
	global_load_b64 v[5:6], v[0:1], off
	s_mov_b32 s0, 0
	s_waitcnt vmcnt(0)
	v_cvt_f32_f64_e32 v5, v[5:6]
	s_delay_alu instid0(VALU_DEP_1) | instskip(SKIP_1) | instid1(VALU_DEP_2)
	v_bfe_u32 v6, v5, 16, 1
	v_cmp_o_f32_e32 vcc_lo, v5, v5
	v_add3_u32 v6, v5, v6, 0x7fff
	s_delay_alu instid0(VALU_DEP_1) | instskip(NEXT) | instid1(VALU_DEP_1)
	v_lshrrev_b32_e32 v6, 16, v6
	v_cndmask_b32_e32 v5, 0x7fc0, v6, vcc_lo
	s_branch .LBB208_470
.LBB208_466:
	s_mov_b32 s0, -1
                                        ; implicit-def: $vgpr5
	s_branch .LBB208_488
.LBB208_467:
	s_mov_b32 s0, -1
                                        ; implicit-def: $vgpr5
	s_branch .LBB208_476
.LBB208_468:
	s_mov_b32 s0, -1
                                        ; implicit-def: $vgpr5
	s_branch .LBB208_473
.LBB208_469:
	s_mov_b32 s0, -1
                                        ; implicit-def: $vgpr5
.LBB208_470:
	s_delay_alu instid0(SALU_CYCLE_1)
	s_and_not1_b32 vcc_lo, exec_lo, s0
	s_cbranch_vccnz .LBB208_472
; %bb.471:
	global_load_b32 v5, v[0:1], off
	s_waitcnt vmcnt(0)
	v_bfe_u32 v6, v5, 16, 1
	v_cmp_o_f32_e32 vcc_lo, v5, v5
	s_delay_alu instid0(VALU_DEP_2) | instskip(NEXT) | instid1(VALU_DEP_1)
	v_add3_u32 v6, v5, v6, 0x7fff
	v_lshrrev_b32_e32 v6, 16, v6
	s_delay_alu instid0(VALU_DEP_1)
	v_cndmask_b32_e32 v5, 0x7fc0, v6, vcc_lo
.LBB208_472:
	s_mov_b32 s0, 0
.LBB208_473:
	s_delay_alu instid0(SALU_CYCLE_1)
	s_and_not1_b32 vcc_lo, exec_lo, s0
	s_cbranch_vccnz .LBB208_475
; %bb.474:
	global_load_b32 v5, v[0:1], off
	s_waitcnt vmcnt(0)
	v_cvt_f32_f16_e32 v6, v5
	v_cmp_o_f16_e32 vcc_lo, v5, v5
	s_delay_alu instid0(VALU_DEP_2) | instskip(NEXT) | instid1(VALU_DEP_1)
	v_bfe_u32 v7, v6, 16, 1
	v_add3_u32 v6, v6, v7, 0x7fff
	s_delay_alu instid0(VALU_DEP_1) | instskip(NEXT) | instid1(VALU_DEP_1)
	v_lshrrev_b32_e32 v6, 16, v6
	v_cndmask_b32_e32 v5, 0x7fc0, v6, vcc_lo
.LBB208_475:
	s_mov_b32 s0, 0
.LBB208_476:
	s_delay_alu instid0(SALU_CYCLE_1)
	s_and_not1_b32 vcc_lo, exec_lo, s0
	s_cbranch_vccnz .LBB208_487
; %bb.477:
	v_cmp_gt_i16_e32 vcc_lo, 6, v4
	s_cbranch_vccnz .LBB208_480
; %bb.478:
	v_cmp_lt_i16_e32 vcc_lo, 6, v4
	s_cbranch_vccz .LBB208_481
; %bb.479:
	global_load_b64 v[5:6], v[0:1], off
	s_mov_b32 s0, 0
	s_waitcnt vmcnt(0)
	v_cvt_f32_f64_e32 v5, v[5:6]
	s_delay_alu instid0(VALU_DEP_1) | instskip(SKIP_1) | instid1(VALU_DEP_2)
	v_bfe_u32 v6, v5, 16, 1
	v_cmp_o_f32_e32 vcc_lo, v5, v5
	v_add3_u32 v6, v5, v6, 0x7fff
	s_delay_alu instid0(VALU_DEP_1) | instskip(NEXT) | instid1(VALU_DEP_1)
	v_lshrrev_b32_e32 v6, 16, v6
	v_cndmask_b32_e32 v5, 0x7fc0, v6, vcc_lo
	s_branch .LBB208_482
.LBB208_480:
	s_mov_b32 s0, -1
                                        ; implicit-def: $vgpr5
	s_branch .LBB208_485
.LBB208_481:
	s_mov_b32 s0, -1
                                        ; implicit-def: $vgpr5
.LBB208_482:
	s_delay_alu instid0(SALU_CYCLE_1)
	s_and_not1_b32 vcc_lo, exec_lo, s0
	s_cbranch_vccnz .LBB208_484
; %bb.483:
	global_load_b32 v5, v[0:1], off
	s_waitcnt vmcnt(0)
	v_bfe_u32 v6, v5, 16, 1
	v_cmp_o_f32_e32 vcc_lo, v5, v5
	s_delay_alu instid0(VALU_DEP_2) | instskip(NEXT) | instid1(VALU_DEP_1)
	v_add3_u32 v6, v5, v6, 0x7fff
	v_lshrrev_b32_e32 v6, 16, v6
	s_delay_alu instid0(VALU_DEP_1)
	v_cndmask_b32_e32 v5, 0x7fc0, v6, vcc_lo
.LBB208_484:
	s_mov_b32 s0, 0
.LBB208_485:
	s_delay_alu instid0(SALU_CYCLE_1)
	s_and_not1_b32 vcc_lo, exec_lo, s0
	s_cbranch_vccnz .LBB208_487
; %bb.486:
	global_load_u16 v5, v[0:1], off
	s_waitcnt vmcnt(0)
	v_cvt_f32_f16_e32 v6, v5
	v_cmp_o_f16_e32 vcc_lo, v5, v5
	s_delay_alu instid0(VALU_DEP_2) | instskip(NEXT) | instid1(VALU_DEP_1)
	v_bfe_u32 v7, v6, 16, 1
	v_add3_u32 v6, v6, v7, 0x7fff
	s_delay_alu instid0(VALU_DEP_1) | instskip(NEXT) | instid1(VALU_DEP_1)
	v_lshrrev_b32_e32 v6, 16, v6
	v_cndmask_b32_e32 v5, 0x7fc0, v6, vcc_lo
.LBB208_487:
	s_mov_b32 s0, 0
.LBB208_488:
	s_delay_alu instid0(SALU_CYCLE_1)
	s_and_not1_b32 vcc_lo, exec_lo, s0
	s_cbranch_vccnz .LBB208_508
; %bb.489:
	v_cmp_gt_i16_e32 vcc_lo, 2, v4
	s_cbranch_vccnz .LBB208_493
; %bb.490:
	v_cmp_gt_i16_e32 vcc_lo, 3, v4
	s_cbranch_vccnz .LBB208_494
; %bb.491:
	v_cmp_lt_i16_e32 vcc_lo, 3, v4
	s_cbranch_vccz .LBB208_495
; %bb.492:
	global_load_b64 v[5:6], v[0:1], off
	s_mov_b32 s0, 0
	s_waitcnt vmcnt(0)
	v_xor_b32_e32 v7, v5, v6
	v_cls_i32_e32 v8, v6
	s_delay_alu instid0(VALU_DEP_2) | instskip(NEXT) | instid1(VALU_DEP_2)
	v_ashrrev_i32_e32 v7, 31, v7
	v_add_nc_u32_e32 v8, -1, v8
	s_delay_alu instid0(VALU_DEP_2) | instskip(NEXT) | instid1(VALU_DEP_1)
	v_add_nc_u32_e32 v7, 32, v7
	v_min_u32_e32 v7, v8, v7
	s_delay_alu instid0(VALU_DEP_1) | instskip(NEXT) | instid1(VALU_DEP_1)
	v_lshlrev_b64 v[5:6], v7, v[5:6]
	v_min_u32_e32 v5, 1, v5
	s_delay_alu instid0(VALU_DEP_1) | instskip(SKIP_1) | instid1(VALU_DEP_2)
	v_or_b32_e32 v5, v6, v5
	v_sub_nc_u32_e32 v6, 32, v7
	v_cvt_f32_i32_e32 v5, v5
	s_delay_alu instid0(VALU_DEP_1) | instskip(NEXT) | instid1(VALU_DEP_1)
	v_ldexp_f32 v5, v5, v6
	v_bfe_u32 v6, v5, 16, 1
	s_delay_alu instid0(VALU_DEP_1) | instskip(NEXT) | instid1(VALU_DEP_1)
	v_add3_u32 v5, v5, v6, 0x7fff
	v_lshrrev_b32_e32 v5, 16, v5
	s_branch .LBB208_496
.LBB208_493:
	s_mov_b32 s0, -1
                                        ; implicit-def: $vgpr5
	s_branch .LBB208_502
.LBB208_494:
	s_mov_b32 s0, -1
                                        ; implicit-def: $vgpr5
	s_branch .LBB208_499
.LBB208_495:
	s_mov_b32 s0, -1
                                        ; implicit-def: $vgpr5
.LBB208_496:
	s_delay_alu instid0(SALU_CYCLE_1)
	s_and_not1_b32 vcc_lo, exec_lo, s0
	s_cbranch_vccnz .LBB208_498
; %bb.497:
	global_load_b32 v5, v[0:1], off
	s_waitcnt vmcnt(0)
	v_cvt_f32_i32_e32 v5, v5
	s_delay_alu instid0(VALU_DEP_1) | instskip(NEXT) | instid1(VALU_DEP_1)
	v_bfe_u32 v6, v5, 16, 1
	v_add3_u32 v5, v5, v6, 0x7fff
	s_delay_alu instid0(VALU_DEP_1)
	v_lshrrev_b32_e32 v5, 16, v5
.LBB208_498:
	s_mov_b32 s0, 0
.LBB208_499:
	s_delay_alu instid0(SALU_CYCLE_1)
	s_and_not1_b32 vcc_lo, exec_lo, s0
	s_cbranch_vccnz .LBB208_501
; %bb.500:
	global_load_i16 v5, v[0:1], off
	s_waitcnt vmcnt(0)
	v_cvt_f32_i32_e32 v5, v5
	s_delay_alu instid0(VALU_DEP_1) | instskip(NEXT) | instid1(VALU_DEP_1)
	v_bfe_u32 v6, v5, 16, 1
	v_add3_u32 v5, v5, v6, 0x7fff
	s_delay_alu instid0(VALU_DEP_1)
	v_lshrrev_b32_e32 v5, 16, v5
.LBB208_501:
	s_mov_b32 s0, 0
.LBB208_502:
	s_delay_alu instid0(SALU_CYCLE_1)
	s_and_not1_b32 vcc_lo, exec_lo, s0
	s_cbranch_vccnz .LBB208_508
; %bb.503:
	v_cmp_lt_i16_e32 vcc_lo, 0, v4
	s_mov_b32 s0, 0
	s_cbranch_vccz .LBB208_505
; %bb.504:
	global_load_i8 v5, v[0:1], off
	s_waitcnt vmcnt(0)
	v_cvt_f32_i32_e32 v5, v5
	s_delay_alu instid0(VALU_DEP_1) | instskip(NEXT) | instid1(VALU_DEP_1)
	v_bfe_u32 v6, v5, 16, 1
	v_add3_u32 v5, v5, v6, 0x7fff
	s_delay_alu instid0(VALU_DEP_1)
	v_lshrrev_b32_e32 v5, 16, v5
	s_branch .LBB208_506
.LBB208_505:
	s_mov_b32 s0, -1
                                        ; implicit-def: $vgpr5
.LBB208_506:
	s_delay_alu instid0(SALU_CYCLE_1)
	s_and_not1_b32 vcc_lo, exec_lo, s0
	s_cbranch_vccnz .LBB208_508
; %bb.507:
	global_load_u8 v0, v[0:1], off
	s_waitcnt vmcnt(0)
	v_cvt_f32_ubyte0_e32 v0, v0
	s_delay_alu instid0(VALU_DEP_1) | instskip(NEXT) | instid1(VALU_DEP_1)
	v_bfe_u32 v1, v0, 16, 1
	v_add3_u32 v0, v0, v1, 0x7fff
	s_delay_alu instid0(VALU_DEP_1)
	v_lshrrev_b32_e32 v5, 16, v0
.LBB208_508:
	s_branch .LBB208_263
.LBB208_509:
	s_mov_b32 s16, 0
	s_mov_b32 s0, s9
.LBB208_510:
                                        ; implicit-def: $vgpr3
.LBB208_511:
	s_and_not1_b32 s14, s9, exec_lo
	s_and_b32 s0, s0, exec_lo
	s_and_not1_b32 s17, s11, exec_lo
	s_and_b32 s13, s13, exec_lo
	s_or_b32 s14, s14, s0
	s_or_b32 s13, s17, s13
	s_or_not1_b32 s17, s16, exec_lo
.LBB208_512:
	s_or_b32 exec_lo, exec_lo, s15
	s_mov_b32 s16, 0
	s_mov_b32 s18, 0
	;; [unrolled: 1-line block ×3, first 2 shown]
                                        ; implicit-def: $vgpr0_vgpr1
                                        ; implicit-def: $vgpr6
	s_and_saveexec_b32 s15, s17
	s_cbranch_execz .LBB208_859
; %bb.513:
	s_mov_b32 s0, -1
	s_mov_b32 s17, s13
	s_mov_b32 s18, s14
	s_mov_b32 s16, exec_lo
	v_cmpx_gt_i32_e64 s10, v3
	s_cbranch_execz .LBB208_773
; %bb.514:
	v_mul_lo_u32 v0, v3, s3
	v_cmp_gt_i16_e32 vcc_lo, 11, v4
	s_delay_alu instid0(VALU_DEP_2) | instskip(SKIP_1) | instid1(VALU_DEP_1)
	v_ashrrev_i32_e32 v1, 31, v0
	v_add_co_u32 v0, s0, s6, v0
	v_add_co_ci_u32_e64 v1, s0, s7, v1, s0
	s_cbranch_vccnz .LBB208_521
; %bb.515:
	v_cmp_lt_i16_e32 vcc_lo, 25, v4
	s_cbranch_vccz .LBB208_522
; %bb.516:
	v_cmp_lt_i16_e32 vcc_lo, 28, v4
	s_cbranch_vccz .LBB208_523
; %bb.517:
	v_cmp_lt_i16_e32 vcc_lo, 43, v4
	s_cbranch_vccz .LBB208_524
; %bb.518:
	v_cmp_lt_i16_e32 vcc_lo, 45, v4
	s_cbranch_vccz .LBB208_527
; %bb.519:
	v_cmp_eq_u16_e32 vcc_lo, 46, v4
	s_mov_b32 s18, 0
	s_cbranch_vccz .LBB208_530
; %bb.520:
	global_load_b32 v5, v[0:1], off
	s_mov_b32 s0, -1
	s_mov_b32 s17, 0
	s_branch .LBB208_532
.LBB208_521:
	s_mov_b32 s18, -1
	s_mov_b32 s0, 0
	s_mov_b32 s17, s13
                                        ; implicit-def: $vgpr5
	s_branch .LBB208_597
.LBB208_522:
	s_mov_b32 s18, -1
	s_mov_b32 s0, 0
	s_mov_b32 s17, s13
                                        ; implicit-def: $vgpr5
	s_branch .LBB208_561
.LBB208_523:
	s_mov_b32 s18, -1
	s_mov_b32 s0, 0
	s_mov_b32 s17, s13
                                        ; implicit-def: $vgpr5
	s_branch .LBB208_542
.LBB208_524:
	s_mov_b32 s18, -1
	s_mov_b32 s0, 0
	s_mov_b32 s17, s13
                                        ; implicit-def: $vgpr5
	s_branch .LBB208_537
.LBB208_525:
	s_or_saveexec_b32 s17, s17
                                        ; implicit-def: $sgpr18
	s_delay_alu instid0(SALU_CYCLE_1)
	s_xor_b32 exec_lo, exec_lo, s17
	s_cbranch_execz .LBB208_309
.LBB208_526:
	v_add_f32_e64 v8, 0x46000000, |v9|
	s_and_not1_b32 s16, s16, exec_lo
	s_mov_b32 s18, 0
	s_delay_alu instid0(VALU_DEP_1) | instskip(NEXT) | instid1(VALU_DEP_1)
	v_and_b32_e32 v8, 0xff, v8
	v_cmp_ne_u32_e32 vcc_lo, 0, v8
	s_and_b32 s19, vcc_lo, exec_lo
	s_delay_alu instid0(SALU_CYCLE_1)
	s_or_b32 s16, s16, s19
	s_or_b32 exec_lo, exec_lo, s17
	v_mov_b32_e32 v10, s18
	s_and_saveexec_b32 s17, s16
	s_cbranch_execnz .LBB208_310
	s_branch .LBB208_311
.LBB208_527:
	s_mov_b32 s18, -1
	s_mov_b32 s0, 0
	s_mov_b32 s17, s13
	s_branch .LBB208_531
.LBB208_528:
	s_or_saveexec_b32 s17, s17
                                        ; implicit-def: $sgpr18
	s_delay_alu instid0(SALU_CYCLE_1)
	s_xor_b32 exec_lo, exec_lo, s17
	s_cbranch_execz .LBB208_322
.LBB208_529:
	v_add_f32_e64 v8, 0x42800000, |v9|
	s_and_not1_b32 s16, s16, exec_lo
	s_mov_b32 s18, 0
	s_delay_alu instid0(VALU_DEP_1) | instskip(NEXT) | instid1(VALU_DEP_1)
	v_and_b32_e32 v8, 0xff, v8
	v_cmp_ne_u32_e32 vcc_lo, 0, v8
	s_and_b32 s19, vcc_lo, exec_lo
	s_delay_alu instid0(SALU_CYCLE_1)
	s_or_b32 s16, s16, s19
	s_or_b32 exec_lo, exec_lo, s17
	v_mov_b32_e32 v10, s18
	s_and_saveexec_b32 s17, s16
	s_cbranch_execnz .LBB208_323
	s_branch .LBB208_324
.LBB208_530:
	s_mov_b32 s17, -1
	s_mov_b32 s0, 0
.LBB208_531:
                                        ; implicit-def: $vgpr5
.LBB208_532:
	s_and_b32 vcc_lo, exec_lo, s18
	s_cbranch_vccz .LBB208_536
; %bb.533:
	v_cmp_eq_u16_e32 vcc_lo, 44, v4
	s_cbranch_vccz .LBB208_535
; %bb.534:
	global_load_u8 v5, v[0:1], off
	s_mov_b32 s17, 0
	s_mov_b32 s0, -1
	s_waitcnt vmcnt(0)
	v_lshlrev_b32_e32 v6, 23, v5
	v_cmp_ne_u32_e32 vcc_lo, 0xff, v5
	s_delay_alu instid0(VALU_DEP_2) | instskip(SKIP_1) | instid1(VALU_DEP_2)
	v_cndmask_b32_e32 v6, 0x7f800001, v6, vcc_lo
	v_cmp_ne_u32_e32 vcc_lo, 0, v5
	v_cndmask_b32_e32 v5, 0x400000, v6, vcc_lo
	s_delay_alu instid0(VALU_DEP_1) | instskip(SKIP_1) | instid1(VALU_DEP_2)
	v_add_nc_u32_e32 v6, 0x7fff, v5
	v_cmp_o_f32_e32 vcc_lo, v5, v5
	v_lshrrev_b32_e32 v6, 16, v6
	s_delay_alu instid0(VALU_DEP_1)
	v_cndmask_b32_e32 v5, 0x7fc0, v6, vcc_lo
	s_branch .LBB208_536
.LBB208_535:
	s_mov_b32 s17, -1
                                        ; implicit-def: $vgpr5
.LBB208_536:
	s_mov_b32 s18, 0
.LBB208_537:
	s_delay_alu instid0(SALU_CYCLE_1)
	s_and_b32 vcc_lo, exec_lo, s18
	s_cbranch_vccz .LBB208_541
; %bb.538:
	v_cmp_eq_u16_e32 vcc_lo, 29, v4
	s_cbranch_vccz .LBB208_540
; %bb.539:
	global_load_b64 v[5:6], v[0:1], off
	s_mov_b32 s0, -1
	s_mov_b32 s17, 0
	s_mov_b32 s18, 0
	s_waitcnt vmcnt(0)
	v_clz_i32_u32_e32 v7, v6
	s_delay_alu instid0(VALU_DEP_1) | instskip(NEXT) | instid1(VALU_DEP_1)
	v_min_u32_e32 v7, 32, v7
	v_lshlrev_b64 v[5:6], v7, v[5:6]
	s_delay_alu instid0(VALU_DEP_1) | instskip(NEXT) | instid1(VALU_DEP_1)
	v_min_u32_e32 v5, 1, v5
	v_or_b32_e32 v5, v6, v5
	v_sub_nc_u32_e32 v6, 32, v7
	s_delay_alu instid0(VALU_DEP_2) | instskip(NEXT) | instid1(VALU_DEP_1)
	v_cvt_f32_u32_e32 v5, v5
	v_ldexp_f32 v5, v5, v6
	s_delay_alu instid0(VALU_DEP_1) | instskip(NEXT) | instid1(VALU_DEP_1)
	v_bfe_u32 v6, v5, 16, 1
	v_add3_u32 v5, v5, v6, 0x7fff
	s_delay_alu instid0(VALU_DEP_1)
	v_lshrrev_b32_e32 v5, 16, v5
	s_branch .LBB208_542
.LBB208_540:
	s_mov_b32 s17, -1
                                        ; implicit-def: $vgpr5
.LBB208_541:
	s_mov_b32 s18, 0
.LBB208_542:
	s_delay_alu instid0(SALU_CYCLE_1)
	s_and_b32 vcc_lo, exec_lo, s18
	s_cbranch_vccz .LBB208_560
; %bb.543:
	v_cmp_gt_i16_e32 vcc_lo, 27, v4
	s_cbranch_vccnz .LBB208_546
; %bb.544:
	v_cmp_lt_i16_e32 vcc_lo, 27, v4
	s_cbranch_vccz .LBB208_547
; %bb.545:
	global_load_b32 v5, v[0:1], off
	s_mov_b32 s0, 0
	s_waitcnt vmcnt(0)
	v_cvt_f32_u32_e32 v5, v5
	s_delay_alu instid0(VALU_DEP_1) | instskip(NEXT) | instid1(VALU_DEP_1)
	v_bfe_u32 v6, v5, 16, 1
	v_add3_u32 v5, v5, v6, 0x7fff
	s_delay_alu instid0(VALU_DEP_1)
	v_lshrrev_b32_e32 v5, 16, v5
	s_branch .LBB208_548
.LBB208_546:
	s_mov_b32 s0, -1
                                        ; implicit-def: $vgpr5
	s_branch .LBB208_551
.LBB208_547:
	s_mov_b32 s0, -1
                                        ; implicit-def: $vgpr5
.LBB208_548:
	s_delay_alu instid0(SALU_CYCLE_1)
	s_and_not1_b32 vcc_lo, exec_lo, s0
	s_cbranch_vccnz .LBB208_550
; %bb.549:
	global_load_u16 v5, v[0:1], off
	s_waitcnt vmcnt(0)
	v_cvt_f32_u32_e32 v5, v5
	s_delay_alu instid0(VALU_DEP_1) | instskip(NEXT) | instid1(VALU_DEP_1)
	v_bfe_u32 v6, v5, 16, 1
	v_add3_u32 v5, v5, v6, 0x7fff
	s_delay_alu instid0(VALU_DEP_1)
	v_lshrrev_b32_e32 v5, 16, v5
.LBB208_550:
	s_mov_b32 s0, 0
.LBB208_551:
	s_delay_alu instid0(SALU_CYCLE_1)
	s_and_not1_b32 vcc_lo, exec_lo, s0
	s_cbranch_vccnz .LBB208_559
; %bb.552:
	global_load_u8 v5, v[0:1], off
	s_mov_b32 s0, 0
	s_mov_b32 s19, exec_lo
                                        ; implicit-def: $sgpr18
	s_waitcnt vmcnt(0)
	v_cmpx_lt_i16_e32 0x7f, v5
	s_xor_b32 s19, exec_lo, s19
	s_cbranch_execz .LBB208_573
; %bb.553:
	s_mov_b32 s0, -1
	s_mov_b32 s20, exec_lo
                                        ; implicit-def: $sgpr18
	v_cmpx_eq_u16_e32 0x80, v5
; %bb.554:
	s_mov_b32 s18, 0x7f800001
	s_xor_b32 s0, exec_lo, -1
; %bb.555:
	s_or_b32 exec_lo, exec_lo, s20
	s_delay_alu instid0(SALU_CYCLE_1)
	s_and_b32 s0, s0, exec_lo
	s_or_saveexec_b32 s19, s19
	v_mov_b32_e32 v6, s18
	s_xor_b32 exec_lo, exec_lo, s19
	s_cbranch_execnz .LBB208_574
.LBB208_556:
	s_or_b32 exec_lo, exec_lo, s19
	s_and_saveexec_b32 s18, s0
	s_cbranch_execz .LBB208_558
.LBB208_557:
	v_and_b32_e32 v6, 0xffff, v5
	v_lshlrev_b32_e32 v5, 24, v5
	s_delay_alu instid0(VALU_DEP_2) | instskip(NEXT) | instid1(VALU_DEP_2)
	v_and_b32_e32 v7, 7, v6
	v_and_b32_e32 v5, 0x80000000, v5
	s_delay_alu instid0(VALU_DEP_2) | instskip(NEXT) | instid1(VALU_DEP_1)
	v_clz_i32_u32_e32 v8, v7
	v_min_u32_e32 v8, 32, v8
	s_delay_alu instid0(VALU_DEP_1) | instskip(SKIP_1) | instid1(VALU_DEP_2)
	v_subrev_nc_u32_e32 v9, 28, v8
	v_sub_nc_u32_e32 v8, 29, v8
	v_lshlrev_b32_e32 v9, v9, v6
	v_bfe_u32 v6, v6, 3, 4
	s_delay_alu instid0(VALU_DEP_2) | instskip(NEXT) | instid1(VALU_DEP_2)
	v_and_b32_e32 v9, 7, v9
	v_cmp_eq_u32_e32 vcc_lo, 0, v6
	s_delay_alu instid0(VALU_DEP_2) | instskip(NEXT) | instid1(VALU_DEP_1)
	v_dual_cndmask_b32 v6, v6, v8 :: v_dual_cndmask_b32 v7, v7, v9
	v_lshl_add_u32 v6, v6, 23, 0x3b800000
	s_delay_alu instid0(VALU_DEP_2) | instskip(NEXT) | instid1(VALU_DEP_1)
	v_lshlrev_b32_e32 v7, 20, v7
	v_or3_b32 v6, v5, v6, v7
.LBB208_558:
	s_or_b32 exec_lo, exec_lo, s18
	s_delay_alu instid0(VALU_DEP_1) | instskip(SKIP_1) | instid1(VALU_DEP_2)
	v_bfe_u32 v5, v6, 16, 1
	v_cmp_o_f32_e32 vcc_lo, v6, v6
	v_add3_u32 v5, v6, v5, 0x7fff
	s_delay_alu instid0(VALU_DEP_1) | instskip(NEXT) | instid1(VALU_DEP_1)
	v_lshrrev_b32_e32 v5, 16, v5
	v_cndmask_b32_e32 v5, 0x7fc0, v5, vcc_lo
.LBB208_559:
	s_mov_b32 s0, -1
.LBB208_560:
	s_mov_b32 s18, 0
.LBB208_561:
	s_delay_alu instid0(SALU_CYCLE_1)
	s_and_b32 vcc_lo, exec_lo, s18
	s_cbranch_vccz .LBB208_596
; %bb.562:
	v_cmp_lt_i16_e32 vcc_lo, 22, v4
	s_cbranch_vccz .LBB208_572
; %bb.563:
	v_cmp_gt_i16_e32 vcc_lo, 24, v4
	s_cbranch_vccnz .LBB208_575
; %bb.564:
	v_cmp_lt_i16_e32 vcc_lo, 24, v4
	s_cbranch_vccz .LBB208_576
; %bb.565:
	global_load_u8 v5, v[0:1], off
	s_mov_b32 s0, 0
	s_mov_b32 s19, exec_lo
                                        ; implicit-def: $sgpr18
	s_waitcnt vmcnt(0)
	v_cmpx_lt_i16_e32 0x7f, v5
	s_xor_b32 s19, exec_lo, s19
	s_cbranch_execz .LBB208_588
; %bb.566:
	s_mov_b32 s0, -1
	s_mov_b32 s20, exec_lo
                                        ; implicit-def: $sgpr18
	v_cmpx_eq_u16_e32 0x80, v5
; %bb.567:
	s_mov_b32 s18, 0x7f800001
	s_xor_b32 s0, exec_lo, -1
; %bb.568:
	s_or_b32 exec_lo, exec_lo, s20
	s_delay_alu instid0(SALU_CYCLE_1)
	s_and_b32 s0, s0, exec_lo
	s_or_saveexec_b32 s19, s19
	v_mov_b32_e32 v6, s18
	s_xor_b32 exec_lo, exec_lo, s19
	s_cbranch_execnz .LBB208_589
.LBB208_569:
	s_or_b32 exec_lo, exec_lo, s19
	s_and_saveexec_b32 s18, s0
	s_cbranch_execz .LBB208_571
.LBB208_570:
	v_and_b32_e32 v6, 0xffff, v5
	v_lshlrev_b32_e32 v5, 24, v5
	s_delay_alu instid0(VALU_DEP_2) | instskip(NEXT) | instid1(VALU_DEP_2)
	v_and_b32_e32 v7, 3, v6
	v_and_b32_e32 v5, 0x80000000, v5
	s_delay_alu instid0(VALU_DEP_2) | instskip(NEXT) | instid1(VALU_DEP_1)
	v_clz_i32_u32_e32 v8, v7
	v_min_u32_e32 v8, 32, v8
	s_delay_alu instid0(VALU_DEP_1) | instskip(SKIP_1) | instid1(VALU_DEP_2)
	v_subrev_nc_u32_e32 v9, 29, v8
	v_sub_nc_u32_e32 v8, 30, v8
	v_lshlrev_b32_e32 v9, v9, v6
	v_bfe_u32 v6, v6, 2, 5
	s_delay_alu instid0(VALU_DEP_2) | instskip(NEXT) | instid1(VALU_DEP_2)
	v_and_b32_e32 v9, 3, v9
	v_cmp_eq_u32_e32 vcc_lo, 0, v6
	s_delay_alu instid0(VALU_DEP_2) | instskip(NEXT) | instid1(VALU_DEP_1)
	v_dual_cndmask_b32 v6, v6, v8 :: v_dual_cndmask_b32 v7, v7, v9
	v_lshl_add_u32 v6, v6, 23, 0x37800000
	s_delay_alu instid0(VALU_DEP_2) | instskip(NEXT) | instid1(VALU_DEP_1)
	v_lshlrev_b32_e32 v7, 21, v7
	v_or3_b32 v6, v5, v6, v7
.LBB208_571:
	s_or_b32 exec_lo, exec_lo, s18
	s_delay_alu instid0(VALU_DEP_1) | instskip(SKIP_2) | instid1(VALU_DEP_2)
	v_bfe_u32 v5, v6, 16, 1
	v_cmp_o_f32_e32 vcc_lo, v6, v6
	s_mov_b32 s0, 0
	v_add3_u32 v5, v6, v5, 0x7fff
	s_delay_alu instid0(VALU_DEP_1) | instskip(NEXT) | instid1(VALU_DEP_1)
	v_lshrrev_b32_e32 v5, 16, v5
	v_cndmask_b32_e32 v5, 0x7fc0, v5, vcc_lo
	s_branch .LBB208_577
.LBB208_572:
	s_mov_b32 s18, -1
                                        ; implicit-def: $vgpr5
	s_branch .LBB208_583
.LBB208_573:
	s_or_saveexec_b32 s19, s19
	v_mov_b32_e32 v6, s18
	s_xor_b32 exec_lo, exec_lo, s19
	s_cbranch_execz .LBB208_556
.LBB208_574:
	v_cmp_ne_u16_e32 vcc_lo, 0, v5
	v_mov_b32_e32 v6, 0
	s_and_not1_b32 s0, s0, exec_lo
	s_and_b32 s18, vcc_lo, exec_lo
	s_delay_alu instid0(SALU_CYCLE_1)
	s_or_b32 s0, s0, s18
	s_or_b32 exec_lo, exec_lo, s19
	s_and_saveexec_b32 s18, s0
	s_cbranch_execnz .LBB208_557
	s_branch .LBB208_558
.LBB208_575:
	s_mov_b32 s0, -1
                                        ; implicit-def: $vgpr5
	s_branch .LBB208_580
.LBB208_576:
	s_mov_b32 s0, -1
                                        ; implicit-def: $vgpr5
.LBB208_577:
	s_delay_alu instid0(SALU_CYCLE_1)
	s_and_b32 vcc_lo, exec_lo, s0
	s_cbranch_vccz .LBB208_579
; %bb.578:
	global_load_u8 v5, v[0:1], off
	s_waitcnt vmcnt(0)
	v_lshlrev_b32_e32 v5, 24, v5
	s_delay_alu instid0(VALU_DEP_1) | instskip(NEXT) | instid1(VALU_DEP_1)
	v_and_b32_e32 v6, 0x7f000000, v5
	v_clz_i32_u32_e32 v7, v6
	v_add_nc_u32_e32 v9, 0x1000000, v6
	v_cmp_ne_u32_e32 vcc_lo, 0, v6
	s_delay_alu instid0(VALU_DEP_3) | instskip(NEXT) | instid1(VALU_DEP_1)
	v_min_u32_e32 v7, 32, v7
	v_sub_nc_u32_e64 v7, v7, 4 clamp
	s_delay_alu instid0(VALU_DEP_1) | instskip(SKIP_1) | instid1(VALU_DEP_2)
	v_lshlrev_b32_e32 v8, v7, v6
	v_lshlrev_b32_e32 v7, 23, v7
	v_lshrrev_b32_e32 v8, 4, v8
	s_delay_alu instid0(VALU_DEP_1) | instskip(SKIP_1) | instid1(VALU_DEP_2)
	v_sub_nc_u32_e32 v7, v8, v7
	v_ashrrev_i32_e32 v8, 8, v9
	v_add_nc_u32_e32 v7, 0x3c000000, v7
	s_delay_alu instid0(VALU_DEP_1) | instskip(NEXT) | instid1(VALU_DEP_1)
	v_and_or_b32 v7, 0x7f800000, v8, v7
	v_cndmask_b32_e32 v6, 0, v7, vcc_lo
	s_delay_alu instid0(VALU_DEP_1) | instskip(SKIP_1) | instid1(VALU_DEP_2)
	v_and_or_b32 v5, 0x80000000, v5, v6
	v_bfe_u32 v6, v6, 16, 1
	v_cmp_o_f32_e32 vcc_lo, v5, v5
	s_delay_alu instid0(VALU_DEP_2) | instskip(NEXT) | instid1(VALU_DEP_1)
	v_add3_u32 v6, v5, v6, 0x7fff
	v_lshrrev_b32_e32 v6, 16, v6
	s_delay_alu instid0(VALU_DEP_1)
	v_cndmask_b32_e32 v5, 0x7fc0, v6, vcc_lo
.LBB208_579:
	s_mov_b32 s0, 0
.LBB208_580:
	s_delay_alu instid0(SALU_CYCLE_1)
	s_and_not1_b32 vcc_lo, exec_lo, s0
	s_cbranch_vccnz .LBB208_582
; %bb.581:
	global_load_u8 v5, v[0:1], off
	s_waitcnt vmcnt(0)
	v_lshlrev_b32_e32 v6, 25, v5
	v_lshlrev_b16 v5, 8, v5
	s_delay_alu instid0(VALU_DEP_2) | instskip(NEXT) | instid1(VALU_DEP_2)
	v_lshrrev_b32_e32 v7, 4, v6
	v_and_or_b32 v8, 0x7f00, v5, 0.5
	v_bfe_i32 v5, v5, 0, 16
	s_delay_alu instid0(VALU_DEP_3) | instskip(NEXT) | instid1(VALU_DEP_1)
	v_or_b32_e32 v7, 0x70000000, v7
	v_dual_add_f32 v8, -0.5, v8 :: v_dual_mul_f32 v7, 0x7800000, v7
	v_cmp_gt_u32_e32 vcc_lo, 0x8000000, v6
	s_delay_alu instid0(VALU_DEP_2) | instskip(NEXT) | instid1(VALU_DEP_1)
	v_cndmask_b32_e32 v6, v7, v8, vcc_lo
	v_and_or_b32 v5, 0x80000000, v5, v6
	v_bfe_u32 v6, v6, 16, 1
	s_delay_alu instid0(VALU_DEP_2) | instskip(NEXT) | instid1(VALU_DEP_2)
	v_cmp_o_f32_e32 vcc_lo, v5, v5
	v_add3_u32 v6, v5, v6, 0x7fff
	s_delay_alu instid0(VALU_DEP_1) | instskip(NEXT) | instid1(VALU_DEP_1)
	v_lshrrev_b32_e32 v6, 16, v6
	v_cndmask_b32_e32 v5, 0x7fc0, v6, vcc_lo
.LBB208_582:
	s_mov_b32 s18, 0
	s_mov_b32 s0, -1
.LBB208_583:
	s_and_not1_b32 vcc_lo, exec_lo, s18
	s_cbranch_vccnz .LBB208_596
; %bb.584:
	v_cmp_lt_i16_e32 vcc_lo, 14, v4
	s_cbranch_vccz .LBB208_587
; %bb.585:
	v_cmp_eq_u16_e32 vcc_lo, 15, v4
	s_cbranch_vccz .LBB208_590
; %bb.586:
	global_load_u16 v5, v[0:1], off
	s_mov_b32 s0, -1
	s_mov_b32 s17, 0
	s_branch .LBB208_591
.LBB208_587:
	s_mov_b32 s18, -1
                                        ; implicit-def: $vgpr5
	s_branch .LBB208_592
.LBB208_588:
	s_or_saveexec_b32 s19, s19
	v_mov_b32_e32 v6, s18
	s_xor_b32 exec_lo, exec_lo, s19
	s_cbranch_execz .LBB208_569
.LBB208_589:
	v_cmp_ne_u16_e32 vcc_lo, 0, v5
	v_mov_b32_e32 v6, 0
	s_and_not1_b32 s0, s0, exec_lo
	s_and_b32 s18, vcc_lo, exec_lo
	s_delay_alu instid0(SALU_CYCLE_1)
	s_or_b32 s0, s0, s18
	s_or_b32 exec_lo, exec_lo, s19
	s_and_saveexec_b32 s18, s0
	s_cbranch_execnz .LBB208_570
	s_branch .LBB208_571
.LBB208_590:
	s_mov_b32 s17, -1
                                        ; implicit-def: $vgpr5
.LBB208_591:
	s_mov_b32 s18, 0
.LBB208_592:
	s_delay_alu instid0(SALU_CYCLE_1)
	s_and_b32 vcc_lo, exec_lo, s18
	s_cbranch_vccz .LBB208_596
; %bb.593:
	v_cmp_eq_u16_e32 vcc_lo, 11, v4
	s_cbranch_vccz .LBB208_595
; %bb.594:
	global_load_u8 v5, v[0:1], off
	s_mov_b32 s17, 0
	s_mov_b32 s0, -1
	s_waitcnt vmcnt(0)
	v_cmp_ne_u16_e32 vcc_lo, 0, v5
	v_cndmask_b32_e64 v5, 0, 1.0, vcc_lo
	s_delay_alu instid0(VALU_DEP_1)
	v_lshrrev_b32_e32 v5, 16, v5
	s_branch .LBB208_596
.LBB208_595:
	s_mov_b32 s17, -1
                                        ; implicit-def: $vgpr5
.LBB208_596:
	s_mov_b32 s18, 0
.LBB208_597:
	s_delay_alu instid0(SALU_CYCLE_1)
	s_and_b32 vcc_lo, exec_lo, s18
	s_cbranch_vccz .LBB208_646
; %bb.598:
	v_cmp_gt_i16_e32 vcc_lo, 5, v4
	s_cbranch_vccnz .LBB208_603
; %bb.599:
	v_cmp_gt_i16_e32 vcc_lo, 8, v4
	s_cbranch_vccnz .LBB208_604
	;; [unrolled: 3-line block ×3, first 2 shown]
; %bb.601:
	v_cmp_lt_i16_e32 vcc_lo, 9, v4
	s_cbranch_vccz .LBB208_606
; %bb.602:
	global_load_b64 v[5:6], v[0:1], off
	s_mov_b32 s0, 0
	s_waitcnt vmcnt(0)
	v_cvt_f32_f64_e32 v5, v[5:6]
	s_delay_alu instid0(VALU_DEP_1) | instskip(SKIP_1) | instid1(VALU_DEP_2)
	v_bfe_u32 v6, v5, 16, 1
	v_cmp_o_f32_e32 vcc_lo, v5, v5
	v_add3_u32 v6, v5, v6, 0x7fff
	s_delay_alu instid0(VALU_DEP_1) | instskip(NEXT) | instid1(VALU_DEP_1)
	v_lshrrev_b32_e32 v6, 16, v6
	v_cndmask_b32_e32 v5, 0x7fc0, v6, vcc_lo
	s_branch .LBB208_607
.LBB208_603:
	s_mov_b32 s0, -1
                                        ; implicit-def: $vgpr5
	s_branch .LBB208_625
.LBB208_604:
	s_mov_b32 s0, -1
                                        ; implicit-def: $vgpr5
	s_branch .LBB208_613
.LBB208_605:
	s_mov_b32 s0, -1
                                        ; implicit-def: $vgpr5
	s_branch .LBB208_610
.LBB208_606:
	s_mov_b32 s0, -1
                                        ; implicit-def: $vgpr5
.LBB208_607:
	s_delay_alu instid0(SALU_CYCLE_1)
	s_and_not1_b32 vcc_lo, exec_lo, s0
	s_cbranch_vccnz .LBB208_609
; %bb.608:
	global_load_b32 v5, v[0:1], off
	s_waitcnt vmcnt(0)
	v_bfe_u32 v6, v5, 16, 1
	v_cmp_o_f32_e32 vcc_lo, v5, v5
	s_delay_alu instid0(VALU_DEP_2) | instskip(NEXT) | instid1(VALU_DEP_1)
	v_add3_u32 v6, v5, v6, 0x7fff
	v_lshrrev_b32_e32 v6, 16, v6
	s_delay_alu instid0(VALU_DEP_1)
	v_cndmask_b32_e32 v5, 0x7fc0, v6, vcc_lo
.LBB208_609:
	s_mov_b32 s0, 0
.LBB208_610:
	s_delay_alu instid0(SALU_CYCLE_1)
	s_and_not1_b32 vcc_lo, exec_lo, s0
	s_cbranch_vccnz .LBB208_612
; %bb.611:
	global_load_b32 v5, v[0:1], off
	s_waitcnt vmcnt(0)
	v_cvt_f32_f16_e32 v6, v5
	v_cmp_o_f16_e32 vcc_lo, v5, v5
	s_delay_alu instid0(VALU_DEP_2) | instskip(NEXT) | instid1(VALU_DEP_1)
	v_bfe_u32 v7, v6, 16, 1
	v_add3_u32 v6, v6, v7, 0x7fff
	s_delay_alu instid0(VALU_DEP_1) | instskip(NEXT) | instid1(VALU_DEP_1)
	v_lshrrev_b32_e32 v6, 16, v6
	v_cndmask_b32_e32 v5, 0x7fc0, v6, vcc_lo
.LBB208_612:
	s_mov_b32 s0, 0
.LBB208_613:
	s_delay_alu instid0(SALU_CYCLE_1)
	s_and_not1_b32 vcc_lo, exec_lo, s0
	s_cbranch_vccnz .LBB208_624
; %bb.614:
	v_cmp_gt_i16_e32 vcc_lo, 6, v4
	s_cbranch_vccnz .LBB208_617
; %bb.615:
	v_cmp_lt_i16_e32 vcc_lo, 6, v4
	s_cbranch_vccz .LBB208_618
; %bb.616:
	global_load_b64 v[5:6], v[0:1], off
	s_mov_b32 s0, 0
	s_waitcnt vmcnt(0)
	v_cvt_f32_f64_e32 v5, v[5:6]
	s_delay_alu instid0(VALU_DEP_1) | instskip(SKIP_1) | instid1(VALU_DEP_2)
	v_bfe_u32 v6, v5, 16, 1
	v_cmp_o_f32_e32 vcc_lo, v5, v5
	v_add3_u32 v6, v5, v6, 0x7fff
	s_delay_alu instid0(VALU_DEP_1) | instskip(NEXT) | instid1(VALU_DEP_1)
	v_lshrrev_b32_e32 v6, 16, v6
	v_cndmask_b32_e32 v5, 0x7fc0, v6, vcc_lo
	s_branch .LBB208_619
.LBB208_617:
	s_mov_b32 s0, -1
                                        ; implicit-def: $vgpr5
	s_branch .LBB208_622
.LBB208_618:
	s_mov_b32 s0, -1
                                        ; implicit-def: $vgpr5
.LBB208_619:
	s_delay_alu instid0(SALU_CYCLE_1)
	s_and_not1_b32 vcc_lo, exec_lo, s0
	s_cbranch_vccnz .LBB208_621
; %bb.620:
	global_load_b32 v5, v[0:1], off
	s_waitcnt vmcnt(0)
	v_bfe_u32 v6, v5, 16, 1
	v_cmp_o_f32_e32 vcc_lo, v5, v5
	s_delay_alu instid0(VALU_DEP_2) | instskip(NEXT) | instid1(VALU_DEP_1)
	v_add3_u32 v6, v5, v6, 0x7fff
	v_lshrrev_b32_e32 v6, 16, v6
	s_delay_alu instid0(VALU_DEP_1)
	v_cndmask_b32_e32 v5, 0x7fc0, v6, vcc_lo
.LBB208_621:
	s_mov_b32 s0, 0
.LBB208_622:
	s_delay_alu instid0(SALU_CYCLE_1)
	s_and_not1_b32 vcc_lo, exec_lo, s0
	s_cbranch_vccnz .LBB208_624
; %bb.623:
	global_load_u16 v5, v[0:1], off
	s_waitcnt vmcnt(0)
	v_cvt_f32_f16_e32 v6, v5
	v_cmp_o_f16_e32 vcc_lo, v5, v5
	s_delay_alu instid0(VALU_DEP_2) | instskip(NEXT) | instid1(VALU_DEP_1)
	v_bfe_u32 v7, v6, 16, 1
	v_add3_u32 v6, v6, v7, 0x7fff
	s_delay_alu instid0(VALU_DEP_1) | instskip(NEXT) | instid1(VALU_DEP_1)
	v_lshrrev_b32_e32 v6, 16, v6
	v_cndmask_b32_e32 v5, 0x7fc0, v6, vcc_lo
.LBB208_624:
	s_mov_b32 s0, 0
.LBB208_625:
	s_delay_alu instid0(SALU_CYCLE_1)
	s_and_not1_b32 vcc_lo, exec_lo, s0
	s_cbranch_vccnz .LBB208_645
; %bb.626:
	v_cmp_gt_i16_e32 vcc_lo, 2, v4
	s_cbranch_vccnz .LBB208_630
; %bb.627:
	v_cmp_gt_i16_e32 vcc_lo, 3, v4
	s_cbranch_vccnz .LBB208_631
; %bb.628:
	v_cmp_lt_i16_e32 vcc_lo, 3, v4
	s_cbranch_vccz .LBB208_632
; %bb.629:
	global_load_b64 v[5:6], v[0:1], off
	s_mov_b32 s0, 0
	s_waitcnt vmcnt(0)
	v_xor_b32_e32 v7, v5, v6
	v_cls_i32_e32 v8, v6
	s_delay_alu instid0(VALU_DEP_2) | instskip(NEXT) | instid1(VALU_DEP_2)
	v_ashrrev_i32_e32 v7, 31, v7
	v_add_nc_u32_e32 v8, -1, v8
	s_delay_alu instid0(VALU_DEP_2) | instskip(NEXT) | instid1(VALU_DEP_1)
	v_add_nc_u32_e32 v7, 32, v7
	v_min_u32_e32 v7, v8, v7
	s_delay_alu instid0(VALU_DEP_1) | instskip(NEXT) | instid1(VALU_DEP_1)
	v_lshlrev_b64 v[5:6], v7, v[5:6]
	v_min_u32_e32 v5, 1, v5
	s_delay_alu instid0(VALU_DEP_1) | instskip(SKIP_1) | instid1(VALU_DEP_2)
	v_or_b32_e32 v5, v6, v5
	v_sub_nc_u32_e32 v6, 32, v7
	v_cvt_f32_i32_e32 v5, v5
	s_delay_alu instid0(VALU_DEP_1) | instskip(NEXT) | instid1(VALU_DEP_1)
	v_ldexp_f32 v5, v5, v6
	v_bfe_u32 v6, v5, 16, 1
	s_delay_alu instid0(VALU_DEP_1) | instskip(NEXT) | instid1(VALU_DEP_1)
	v_add3_u32 v5, v5, v6, 0x7fff
	v_lshrrev_b32_e32 v5, 16, v5
	s_branch .LBB208_633
.LBB208_630:
	s_mov_b32 s0, -1
                                        ; implicit-def: $vgpr5
	s_branch .LBB208_639
.LBB208_631:
	s_mov_b32 s0, -1
                                        ; implicit-def: $vgpr5
	s_branch .LBB208_636
.LBB208_632:
	s_mov_b32 s0, -1
                                        ; implicit-def: $vgpr5
.LBB208_633:
	s_delay_alu instid0(SALU_CYCLE_1)
	s_and_not1_b32 vcc_lo, exec_lo, s0
	s_cbranch_vccnz .LBB208_635
; %bb.634:
	global_load_b32 v5, v[0:1], off
	s_waitcnt vmcnt(0)
	v_cvt_f32_i32_e32 v5, v5
	s_delay_alu instid0(VALU_DEP_1) | instskip(NEXT) | instid1(VALU_DEP_1)
	v_bfe_u32 v6, v5, 16, 1
	v_add3_u32 v5, v5, v6, 0x7fff
	s_delay_alu instid0(VALU_DEP_1)
	v_lshrrev_b32_e32 v5, 16, v5
.LBB208_635:
	s_mov_b32 s0, 0
.LBB208_636:
	s_delay_alu instid0(SALU_CYCLE_1)
	s_and_not1_b32 vcc_lo, exec_lo, s0
	s_cbranch_vccnz .LBB208_638
; %bb.637:
	global_load_i16 v5, v[0:1], off
	s_waitcnt vmcnt(0)
	v_cvt_f32_i32_e32 v5, v5
	s_delay_alu instid0(VALU_DEP_1) | instskip(NEXT) | instid1(VALU_DEP_1)
	v_bfe_u32 v6, v5, 16, 1
	v_add3_u32 v5, v5, v6, 0x7fff
	s_delay_alu instid0(VALU_DEP_1)
	v_lshrrev_b32_e32 v5, 16, v5
.LBB208_638:
	s_mov_b32 s0, 0
.LBB208_639:
	s_delay_alu instid0(SALU_CYCLE_1)
	s_and_not1_b32 vcc_lo, exec_lo, s0
	s_cbranch_vccnz .LBB208_645
; %bb.640:
	v_cmp_lt_i16_e32 vcc_lo, 0, v4
	s_mov_b32 s0, 0
	s_cbranch_vccz .LBB208_642
; %bb.641:
	global_load_i8 v5, v[0:1], off
	s_waitcnt vmcnt(0)
	v_cvt_f32_i32_e32 v5, v5
	s_delay_alu instid0(VALU_DEP_1) | instskip(NEXT) | instid1(VALU_DEP_1)
	v_bfe_u32 v6, v5, 16, 1
	v_add3_u32 v5, v5, v6, 0x7fff
	s_delay_alu instid0(VALU_DEP_1)
	v_lshrrev_b32_e32 v5, 16, v5
	s_branch .LBB208_643
.LBB208_642:
	s_mov_b32 s0, -1
                                        ; implicit-def: $vgpr5
.LBB208_643:
	s_delay_alu instid0(SALU_CYCLE_1)
	s_and_not1_b32 vcc_lo, exec_lo, s0
	s_cbranch_vccnz .LBB208_645
; %bb.644:
	global_load_u8 v0, v[0:1], off
	s_waitcnt vmcnt(0)
	v_cvt_f32_ubyte0_e32 v0, v0
	s_delay_alu instid0(VALU_DEP_1) | instskip(NEXT) | instid1(VALU_DEP_1)
	v_bfe_u32 v1, v0, 16, 1
	v_add3_u32 v0, v0, v1, 0x7fff
	s_delay_alu instid0(VALU_DEP_1)
	v_lshrrev_b32_e32 v5, 16, v0
.LBB208_645:
	s_mov_b32 s0, -1
.LBB208_646:
	s_delay_alu instid0(SALU_CYCLE_1)
	s_and_not1_b32 vcc_lo, exec_lo, s0
	s_cbranch_vccnz .LBB208_654
; %bb.647:
	s_waitcnt vmcnt(0)
	v_lshlrev_b32_e32 v0, 16, v5
	s_delay_alu instid0(VALU_DEP_1) | instskip(NEXT) | instid1(VALU_DEP_1)
	v_cvt_f64_f32_e32 v[0:1], v0
	v_rsq_f64_e32 v[5:6], v[0:1]
	s_waitcnt_depctr 0xfff
	v_mul_f64 v[0:1], v[5:6], -v[0:1]
	v_cmp_class_f64_e64 vcc_lo, v[5:6], 0x180
	s_delay_alu instid0(VALU_DEP_2) | instskip(NEXT) | instid1(VALU_DEP_1)
	v_fma_f64 v[0:1], v[0:1], v[5:6], 1.0
	v_mul_f64 v[7:8], v[5:6], v[0:1]
	v_fma_f64 v[0:1], 0x3fd80000, v[0:1], 0.5
	s_delay_alu instid0(VALU_DEP_1) | instskip(NEXT) | instid1(VALU_DEP_1)
	v_fma_f64 v[0:1], v[7:8], v[0:1], v[5:6]
	v_dual_cndmask_b32 v1, v6, v1 :: v_dual_cndmask_b32 v0, v5, v0
	v_and_b32_e32 v6, 0xff, v2
	s_delay_alu instid0(VALU_DEP_2) | instskip(SKIP_1) | instid1(VALU_DEP_3)
	v_cvt_f32_f64_e32 v5, v[0:1]
	v_mul_lo_u32 v1, v3, s2
	v_cmp_gt_i16_e32 vcc_lo, 11, v6
	s_and_b32 vcc_lo, exec_lo, vcc_lo
	s_delay_alu instid0(VALU_DEP_2) | instskip(NEXT) | instid1(VALU_DEP_4)
	v_ashrrev_i32_e32 v7, 31, v1
	v_bfe_u32 v0, v5, 16, 1
	s_delay_alu instid0(VALU_DEP_1) | instskip(NEXT) | instid1(VALU_DEP_1)
	v_add3_u32 v0, v5, v0, 0x7fff
	v_lshrrev_b32_e32 v8, 16, v0
	v_add_co_u32 v0, s0, s4, v1
	s_delay_alu instid0(VALU_DEP_1) | instskip(SKIP_1) | instid1(VALU_DEP_1)
	v_add_co_ci_u32_e64 v1, s0, s5, v7, s0
	v_cmp_o_f32_e64 s0, v5, v5
	v_cndmask_b32_e64 v5, 0x7fc0, v8, s0
	s_cbranch_vccnz .LBB208_655
; %bb.648:
	v_cmp_lt_i16_e32 vcc_lo, 25, v6
	s_cbranch_vccz .LBB208_656
; %bb.649:
	v_cmp_lt_i16_e32 vcc_lo, 28, v6
	s_cbranch_vccz .LBB208_657
	;; [unrolled: 3-line block ×4, first 2 shown]
; %bb.652:
	v_cmp_eq_u16_e32 vcc_lo, 46, v6
	s_mov_b32 s19, 0
	s_mov_b32 s0, -1
	s_mov_b32 s18, 0
	s_cbranch_vccz .LBB208_660
; %bb.653:
	v_and_b32_e32 v7, 0xffff, v5
	s_mov_b32 s18, -1
	s_mov_b32 s0, 0
	global_store_b32 v[0:1], v7, off
	s_branch .LBB208_660
.LBB208_654:
	s_mov_b32 s19, 0
	s_mov_b32 s0, s14
	s_branch .LBB208_771
.LBB208_655:
	s_mov_b32 s19, -1
	s_mov_b32 s18, 0
	s_mov_b32 s0, s14
	s_branch .LBB208_729
.LBB208_656:
	s_mov_b32 s19, -1
	s_mov_b32 s18, 0
	s_mov_b32 s0, s14
	s_branch .LBB208_687
.LBB208_657:
	s_mov_b32 s19, -1
	s_mov_b32 s18, 0
	s_mov_b32 s0, s14
	s_branch .LBB208_670
.LBB208_658:
	s_mov_b32 s19, -1
	s_mov_b32 s18, 0
	s_mov_b32 s0, s14
	s_branch .LBB208_666
.LBB208_659:
	s_mov_b32 s19, -1
	s_mov_b32 s18, 0
	s_mov_b32 s0, s14
.LBB208_660:
	s_and_b32 vcc_lo, exec_lo, s19
	s_cbranch_vccz .LBB208_665
; %bb.661:
	v_cmp_eq_u16_e32 vcc_lo, 44, v6
	s_mov_b32 s0, -1
	s_cbranch_vccz .LBB208_665
; %bb.662:
	v_and_b32_e32 v7, 0xffff, v5
	v_mov_b32_e32 v8, 0xff
	s_mov_b32 s18, exec_lo
	s_delay_alu instid0(VALU_DEP_2) | instskip(NEXT) | instid1(VALU_DEP_1)
	v_bfe_u32 v9, v7, 7, 8
	v_cmpx_ne_u32_e32 0xff, v9
; %bb.663:
	v_lshlrev_b32_e32 v8, 16, v7
	v_and_b32_e32 v10, 64, v7
	v_lshrrev_b32_e32 v7, 7, v7
	s_delay_alu instid0(VALU_DEP_3) | instskip(NEXT) | instid1(VALU_DEP_3)
	v_and_or_b32 v8, 0x3f0000, v8, v9
	v_cmp_ne_u32_e32 vcc_lo, 0, v10
	s_delay_alu instid0(VALU_DEP_2) | instskip(NEXT) | instid1(VALU_DEP_1)
	v_cmp_ne_u32_e64 s0, 0, v8
	s_and_b32 s0, vcc_lo, s0
	s_delay_alu instid0(SALU_CYCLE_1) | instskip(NEXT) | instid1(VALU_DEP_1)
	v_cndmask_b32_e64 v8, 0, 1, s0
	v_add_nc_u32_e32 v8, v7, v8
; %bb.664:
	s_or_b32 exec_lo, exec_lo, s18
	s_mov_b32 s18, -1
	s_mov_b32 s0, 0
	global_store_b8 v[0:1], v8, off
.LBB208_665:
	s_mov_b32 s19, 0
.LBB208_666:
	s_delay_alu instid0(SALU_CYCLE_1)
	s_and_b32 vcc_lo, exec_lo, s19
	s_cbranch_vccz .LBB208_669
; %bb.667:
	v_cmp_eq_u16_e32 vcc_lo, 29, v6
	s_mov_b32 s0, -1
	s_cbranch_vccz .LBB208_669
; %bb.668:
	v_lshlrev_b32_e32 v7, 16, v5
	s_mov_b32 s18, -1
	s_mov_b32 s0, 0
	s_mov_b32 s19, 0
	s_delay_alu instid0(VALU_DEP_1) | instskip(NEXT) | instid1(VALU_DEP_1)
	v_trunc_f32_e32 v7, v7
	v_mul_f32_e32 v8, 0x2f800000, v7
	s_delay_alu instid0(VALU_DEP_1) | instskip(NEXT) | instid1(VALU_DEP_1)
	v_floor_f32_e32 v8, v8
	v_fmamk_f32 v7, v8, 0xcf800000, v7
	v_cvt_u32_f32_e32 v8, v8
	s_delay_alu instid0(VALU_DEP_2)
	v_cvt_u32_f32_e32 v7, v7
	global_store_b64 v[0:1], v[7:8], off
	s_branch .LBB208_670
.LBB208_669:
	s_mov_b32 s19, 0
.LBB208_670:
	s_delay_alu instid0(SALU_CYCLE_1)
	s_and_b32 vcc_lo, exec_lo, s19
	s_cbranch_vccz .LBB208_686
; %bb.671:
	v_cmp_gt_i16_e32 vcc_lo, 27, v6
	s_mov_b32 s18, -1
	s_cbranch_vccnz .LBB208_677
; %bb.672:
	v_cmp_lt_i16_e32 vcc_lo, 27, v6
	s_cbranch_vccz .LBB208_674
; %bb.673:
	v_lshlrev_b32_e32 v7, 16, v5
	s_mov_b32 s18, 0
	s_delay_alu instid0(VALU_DEP_1)
	v_cvt_u32_f32_e32 v7, v7
	global_store_b32 v[0:1], v7, off
.LBB208_674:
	s_and_not1_b32 vcc_lo, exec_lo, s18
	s_cbranch_vccnz .LBB208_676
; %bb.675:
	v_lshlrev_b32_e32 v7, 16, v5
	s_delay_alu instid0(VALU_DEP_1)
	v_cvt_u32_f32_e32 v7, v7
	global_store_b16 v[0:1], v7, off
.LBB208_676:
	s_mov_b32 s18, 0
.LBB208_677:
	s_delay_alu instid0(SALU_CYCLE_1)
	s_and_not1_b32 vcc_lo, exec_lo, s18
	s_cbranch_vccnz .LBB208_685
; %bb.678:
	v_dual_mov_b32 v10, 0x80 :: v_dual_lshlrev_b32 v9, 16, v5
	s_mov_b32 s18, exec_lo
	s_delay_alu instid0(VALU_DEP_1) | instskip(NEXT) | instid1(VALU_DEP_1)
	v_and_b32_e32 v8, 0x7fffffff, v9
	v_cmpx_gt_u32_e32 0x43800000, v8
	s_cbranch_execz .LBB208_684
; %bb.679:
	v_and_b32_e32 v7, 0xffff, v5
	v_cmp_lt_u32_e32 vcc_lo, 0x3bffffff, v8
	s_mov_b32 s19, 0
                                        ; implicit-def: $vgpr8
	s_and_saveexec_b32 s20, vcc_lo
	s_delay_alu instid0(SALU_CYCLE_1)
	s_xor_b32 s20, exec_lo, s20
	s_cbranch_execz .LBB208_786
; %bb.680:
	v_bfe_u32 v8, v7, 4, 1
	s_mov_b32 s19, exec_lo
	s_delay_alu instid0(VALU_DEP_1) | instskip(NEXT) | instid1(VALU_DEP_1)
	v_add3_u32 v8, v9, v8, 0x487ffff
                                        ; implicit-def: $vgpr9
	v_lshrrev_b32_e32 v8, 20, v8
	s_or_saveexec_b32 s20, s20
                                        ; implicit-def: $sgpr21
	s_delay_alu instid0(SALU_CYCLE_1)
	s_xor_b32 exec_lo, exec_lo, s20
	s_cbranch_execnz .LBB208_787
.LBB208_681:
	s_or_b32 exec_lo, exec_lo, s20
	v_mov_b32_e32 v10, s21
	s_and_saveexec_b32 s20, s19
.LBB208_682:
	v_lshrrev_b32_e32 v7, 8, v7
	s_delay_alu instid0(VALU_DEP_1)
	v_and_or_b32 v10, 0x80, v7, v8
.LBB208_683:
	s_or_b32 exec_lo, exec_lo, s20
.LBB208_684:
	s_delay_alu instid0(SALU_CYCLE_1)
	s_or_b32 exec_lo, exec_lo, s18
	global_store_b8 v[0:1], v10, off
.LBB208_685:
	s_mov_b32 s18, -1
.LBB208_686:
	s_mov_b32 s19, 0
.LBB208_687:
	s_delay_alu instid0(SALU_CYCLE_1)
	s_and_b32 vcc_lo, exec_lo, s19
	s_cbranch_vccz .LBB208_728
; %bb.688:
	v_cmp_lt_i16_e32 vcc_lo, 22, v6
	s_mov_b32 s19, -1
	s_cbranch_vccz .LBB208_720
; %bb.689:
	v_cmp_gt_i16_e32 vcc_lo, 24, v6
	s_mov_b32 s18, -1
	s_cbranch_vccnz .LBB208_709
; %bb.690:
	v_cmp_lt_i16_e32 vcc_lo, 24, v6
	s_cbranch_vccz .LBB208_698
; %bb.691:
	v_dual_mov_b32 v10, 0x80 :: v_dual_lshlrev_b32 v9, 16, v5
	s_mov_b32 s18, exec_lo
	s_delay_alu instid0(VALU_DEP_1) | instskip(NEXT) | instid1(VALU_DEP_1)
	v_and_b32_e32 v8, 0x7fffffff, v9
	v_cmpx_gt_u32_e32 0x47800000, v8
	s_cbranch_execz .LBB208_697
; %bb.692:
	v_and_b32_e32 v7, 0xffff, v5
	v_cmp_lt_u32_e32 vcc_lo, 0x37ffffff, v8
	s_mov_b32 s19, 0
                                        ; implicit-def: $vgpr8
	s_and_saveexec_b32 s20, vcc_lo
	s_delay_alu instid0(SALU_CYCLE_1)
	s_xor_b32 s20, exec_lo, s20
	s_cbranch_execz .LBB208_789
; %bb.693:
	v_bfe_u32 v8, v7, 5, 1
	s_mov_b32 s19, exec_lo
	s_delay_alu instid0(VALU_DEP_1) | instskip(NEXT) | instid1(VALU_DEP_1)
	v_add3_u32 v8, v9, v8, 0x88fffff
                                        ; implicit-def: $vgpr9
	v_lshrrev_b32_e32 v8, 21, v8
	s_or_saveexec_b32 s20, s20
                                        ; implicit-def: $sgpr21
	s_delay_alu instid0(SALU_CYCLE_1)
	s_xor_b32 exec_lo, exec_lo, s20
	s_cbranch_execnz .LBB208_790
.LBB208_694:
	s_or_b32 exec_lo, exec_lo, s20
	v_mov_b32_e32 v10, s21
	s_and_saveexec_b32 s20, s19
.LBB208_695:
	v_lshrrev_b32_e32 v7, 8, v7
	s_delay_alu instid0(VALU_DEP_1)
	v_and_or_b32 v10, 0x80, v7, v8
.LBB208_696:
	s_or_b32 exec_lo, exec_lo, s20
.LBB208_697:
	s_delay_alu instid0(SALU_CYCLE_1)
	s_or_b32 exec_lo, exec_lo, s18
	s_mov_b32 s18, 0
	global_store_b8 v[0:1], v10, off
.LBB208_698:
	s_and_b32 vcc_lo, exec_lo, s18
	s_cbranch_vccz .LBB208_708
; %bb.699:
	v_lshlrev_b32_e32 v9, 16, v5
	v_and_b32_e32 v7, 0xffff, v5
	s_mov_b32 s18, exec_lo
                                        ; implicit-def: $vgpr8
	s_delay_alu instid0(VALU_DEP_2) | instskip(NEXT) | instid1(VALU_DEP_1)
	v_and_b32_e32 v10, 0x7fffffff, v9
	v_cmpx_gt_u32_e32 0x43f00000, v10
	s_xor_b32 s18, exec_lo, s18
	s_cbranch_execz .LBB208_705
; %bb.700:
	s_mov_b32 s19, exec_lo
                                        ; implicit-def: $vgpr8
	v_cmpx_lt_u32_e32 0x3c7fffff, v10
	s_xor_b32 s19, exec_lo, s19
; %bb.701:
	v_bfe_u32 v8, v7, 4, 1
	s_delay_alu instid0(VALU_DEP_1) | instskip(NEXT) | instid1(VALU_DEP_1)
	v_add3_u32 v8, v9, v8, 0x407ffff
	v_and_b32_e32 v9, 0xff00000, v8
	v_lshrrev_b32_e32 v8, 20, v8
	s_delay_alu instid0(VALU_DEP_2) | instskip(NEXT) | instid1(VALU_DEP_2)
	v_cmp_ne_u32_e32 vcc_lo, 0x7f00000, v9
                                        ; implicit-def: $vgpr9
	v_cndmask_b32_e32 v8, 0x7e, v8, vcc_lo
; %bb.702:
	s_and_not1_saveexec_b32 s19, s19
; %bb.703:
	v_add_f32_e64 v8, 0x46800000, |v9|
; %bb.704:
	s_or_b32 exec_lo, exec_lo, s19
                                        ; implicit-def: $vgpr10
.LBB208_705:
	s_and_not1_saveexec_b32 s18, s18
; %bb.706:
	v_mov_b32_e32 v8, 0x7f
	v_cmp_lt_u32_e32 vcc_lo, 0x7f800000, v10
	s_delay_alu instid0(VALU_DEP_2)
	v_cndmask_b32_e32 v8, 0x7e, v8, vcc_lo
; %bb.707:
	s_or_b32 exec_lo, exec_lo, s18
	v_lshrrev_b32_e32 v7, 8, v7
	s_delay_alu instid0(VALU_DEP_1)
	v_and_or_b32 v7, 0x80, v7, v8
	global_store_b8 v[0:1], v7, off
.LBB208_708:
	s_mov_b32 s18, 0
.LBB208_709:
	s_delay_alu instid0(SALU_CYCLE_1)
	s_and_not1_b32 vcc_lo, exec_lo, s18
	s_cbranch_vccnz .LBB208_719
; %bb.710:
	v_lshlrev_b32_e32 v9, 16, v5
	v_and_b32_e32 v7, 0xffff, v5
	s_mov_b32 s18, exec_lo
                                        ; implicit-def: $vgpr8
	s_delay_alu instid0(VALU_DEP_2) | instskip(NEXT) | instid1(VALU_DEP_1)
	v_and_b32_e32 v10, 0x7fffffff, v9
	v_cmpx_gt_u32_e32 0x47800000, v10
	s_xor_b32 s18, exec_lo, s18
	s_cbranch_execz .LBB208_716
; %bb.711:
	s_mov_b32 s19, exec_lo
                                        ; implicit-def: $vgpr8
	v_cmpx_lt_u32_e32 0x387fffff, v10
	s_xor_b32 s19, exec_lo, s19
; %bb.712:
	v_bfe_u32 v8, v7, 5, 1
	s_delay_alu instid0(VALU_DEP_1) | instskip(NEXT) | instid1(VALU_DEP_1)
	v_add3_u32 v8, v9, v8, 0x80fffff
                                        ; implicit-def: $vgpr9
	v_lshrrev_b32_e32 v8, 21, v8
; %bb.713:
	s_and_not1_saveexec_b32 s19, s19
; %bb.714:
	v_add_f32_e64 v8, 0x43000000, |v9|
; %bb.715:
	s_or_b32 exec_lo, exec_lo, s19
                                        ; implicit-def: $vgpr10
.LBB208_716:
	s_and_not1_saveexec_b32 s18, s18
; %bb.717:
	v_mov_b32_e32 v8, 0x7f
	v_cmp_lt_u32_e32 vcc_lo, 0x7f800000, v10
	s_delay_alu instid0(VALU_DEP_2)
	v_cndmask_b32_e32 v8, 0x7c, v8, vcc_lo
; %bb.718:
	s_or_b32 exec_lo, exec_lo, s18
	v_lshrrev_b32_e32 v7, 8, v7
	s_delay_alu instid0(VALU_DEP_1)
	v_and_or_b32 v7, 0x80, v7, v8
	global_store_b8 v[0:1], v7, off
.LBB208_719:
	s_mov_b32 s19, 0
	s_mov_b32 s18, -1
.LBB208_720:
	s_and_not1_b32 vcc_lo, exec_lo, s19
	s_cbranch_vccnz .LBB208_728
; %bb.721:
	v_cmp_lt_i16_e32 vcc_lo, 14, v6
	s_mov_b32 s19, -1
	s_cbranch_vccz .LBB208_725
; %bb.722:
	v_cmp_eq_u16_e32 vcc_lo, 15, v6
	s_mov_b32 s0, -1
	s_cbranch_vccz .LBB208_724
; %bb.723:
	s_mov_b32 s18, -1
	s_mov_b32 s0, 0
	global_store_b16 v[0:1], v5, off
.LBB208_724:
	s_mov_b32 s19, 0
.LBB208_725:
	s_delay_alu instid0(SALU_CYCLE_1)
	s_and_b32 vcc_lo, exec_lo, s19
	s_cbranch_vccz .LBB208_728
; %bb.726:
	v_cmp_eq_u16_e32 vcc_lo, 11, v6
	s_mov_b32 s0, -1
	s_cbranch_vccz .LBB208_728
; %bb.727:
	v_and_b32_e32 v7, 0x7fff, v5
	s_mov_b32 s0, 0
	s_mov_b32 s18, -1
	s_delay_alu instid0(VALU_DEP_1)
	v_cmp_ne_u16_e32 vcc_lo, 0, v7
	v_cndmask_b32_e64 v7, 0, 1, vcc_lo
	global_store_b8 v[0:1], v7, off
.LBB208_728:
	s_mov_b32 s19, 0
.LBB208_729:
	s_delay_alu instid0(SALU_CYCLE_1)
	s_and_b32 vcc_lo, exec_lo, s19
	s_cbranch_vccz .LBB208_768
; %bb.730:
	v_cmp_gt_i16_e32 vcc_lo, 5, v6
	s_mov_b32 s18, -1
	s_cbranch_vccnz .LBB208_751
; %bb.731:
	v_cmp_gt_i16_e32 vcc_lo, 8, v6
	s_cbranch_vccnz .LBB208_741
; %bb.732:
	v_cmp_gt_i16_e32 vcc_lo, 9, v6
	s_cbranch_vccnz .LBB208_738
; %bb.733:
	v_cmp_lt_i16_e32 vcc_lo, 9, v6
	s_cbranch_vccz .LBB208_735
; %bb.734:
	v_mov_b32_e32 v9, 0
	v_lshlrev_b32_e32 v7, 16, v5
	s_mov_b32 s18, 0
	s_delay_alu instid0(VALU_DEP_2) | instskip(NEXT) | instid1(VALU_DEP_2)
	v_mov_b32_e32 v10, v9
	v_cvt_f64_f32_e32 v[7:8], v7
	global_store_b128 v[0:1], v[7:10], off
.LBB208_735:
	s_and_not1_b32 vcc_lo, exec_lo, s18
	s_cbranch_vccnz .LBB208_737
; %bb.736:
	v_dual_mov_b32 v8, 0 :: v_dual_lshlrev_b32 v7, 16, v5
	global_store_b64 v[0:1], v[7:8], off
.LBB208_737:
	s_mov_b32 s18, 0
.LBB208_738:
	s_delay_alu instid0(SALU_CYCLE_1)
	s_and_not1_b32 vcc_lo, exec_lo, s18
	s_cbranch_vccnz .LBB208_740
; %bb.739:
	v_lshlrev_b32_e32 v7, 16, v5
	s_delay_alu instid0(VALU_DEP_1) | instskip(NEXT) | instid1(VALU_DEP_1)
	v_cvt_f16_f32_e32 v7, v7
	v_and_b32_e32 v7, 0xffff, v7
	global_store_b32 v[0:1], v7, off
.LBB208_740:
	s_mov_b32 s18, 0
.LBB208_741:
	s_delay_alu instid0(SALU_CYCLE_1)
	s_and_not1_b32 vcc_lo, exec_lo, s18
	s_cbranch_vccnz .LBB208_750
; %bb.742:
	v_cmp_gt_i16_e32 vcc_lo, 6, v6
	s_mov_b32 s18, -1
	s_cbranch_vccnz .LBB208_748
; %bb.743:
	v_cmp_lt_i16_e32 vcc_lo, 6, v6
	s_cbranch_vccz .LBB208_745
; %bb.744:
	v_lshlrev_b32_e32 v7, 16, v5
	s_mov_b32 s18, 0
	s_delay_alu instid0(VALU_DEP_1)
	v_cvt_f64_f32_e32 v[7:8], v7
	global_store_b64 v[0:1], v[7:8], off
.LBB208_745:
	s_and_not1_b32 vcc_lo, exec_lo, s18
	s_cbranch_vccnz .LBB208_747
; %bb.746:
	v_lshlrev_b32_e32 v7, 16, v5
	global_store_b32 v[0:1], v7, off
.LBB208_747:
	s_mov_b32 s18, 0
.LBB208_748:
	s_delay_alu instid0(SALU_CYCLE_1)
	s_and_not1_b32 vcc_lo, exec_lo, s18
	s_cbranch_vccnz .LBB208_750
; %bb.749:
	v_lshlrev_b32_e32 v7, 16, v5
	s_delay_alu instid0(VALU_DEP_1)
	v_cvt_f16_f32_e32 v7, v7
	global_store_b16 v[0:1], v7, off
.LBB208_750:
	s_mov_b32 s18, 0
.LBB208_751:
	s_delay_alu instid0(SALU_CYCLE_1)
	s_and_not1_b32 vcc_lo, exec_lo, s18
	s_cbranch_vccnz .LBB208_767
; %bb.752:
	v_cmp_gt_i16_e32 vcc_lo, 2, v6
	s_mov_b32 s18, -1
	s_cbranch_vccnz .LBB208_762
; %bb.753:
	v_cmp_gt_i16_e32 vcc_lo, 3, v6
	s_cbranch_vccnz .LBB208_759
; %bb.754:
	v_cmp_lt_i16_e32 vcc_lo, 3, v6
	s_cbranch_vccz .LBB208_756
; %bb.755:
	v_lshlrev_b32_e32 v7, 16, v5
	s_mov_b32 s18, 0
	s_delay_alu instid0(VALU_DEP_1) | instskip(NEXT) | instid1(VALU_DEP_1)
	v_trunc_f32_e32 v7, v7
	v_mul_f32_e64 v8, 0x2f800000, |v7|
	v_ashrrev_i32_e32 v10, 31, v7
	s_delay_alu instid0(VALU_DEP_2) | instskip(NEXT) | instid1(VALU_DEP_1)
	v_floor_f32_e32 v8, v8
	v_fma_f32 v9, 0xcf800000, v8, |v7|
	v_cvt_u32_f32_e32 v8, v8
	s_delay_alu instid0(VALU_DEP_2) | instskip(NEXT) | instid1(VALU_DEP_2)
	v_cvt_u32_f32_e32 v7, v9
	v_xor_b32_e32 v8, v8, v10
	s_delay_alu instid0(VALU_DEP_2) | instskip(NEXT) | instid1(VALU_DEP_1)
	v_xor_b32_e32 v7, v7, v10
	v_sub_co_u32 v7, vcc_lo, v7, v10
	s_delay_alu instid0(VALU_DEP_3)
	v_sub_co_ci_u32_e32 v8, vcc_lo, v8, v10, vcc_lo
	global_store_b64 v[0:1], v[7:8], off
.LBB208_756:
	s_and_not1_b32 vcc_lo, exec_lo, s18
	s_cbranch_vccnz .LBB208_758
; %bb.757:
	v_lshlrev_b32_e32 v7, 16, v5
	s_delay_alu instid0(VALU_DEP_1)
	v_cvt_i32_f32_e32 v7, v7
	global_store_b32 v[0:1], v7, off
.LBB208_758:
	s_mov_b32 s18, 0
.LBB208_759:
	s_delay_alu instid0(SALU_CYCLE_1)
	s_and_not1_b32 vcc_lo, exec_lo, s18
	s_cbranch_vccnz .LBB208_761
; %bb.760:
	v_lshlrev_b32_e32 v7, 16, v5
	s_delay_alu instid0(VALU_DEP_1)
	v_cvt_i32_f32_e32 v7, v7
	global_store_b16 v[0:1], v7, off
.LBB208_761:
	s_mov_b32 s18, 0
.LBB208_762:
	s_delay_alu instid0(SALU_CYCLE_1)
	s_and_not1_b32 vcc_lo, exec_lo, s18
	s_cbranch_vccnz .LBB208_767
; %bb.763:
	v_cmp_lt_i16_e32 vcc_lo, 0, v6
	s_mov_b32 s18, -1
	s_cbranch_vccz .LBB208_765
; %bb.764:
	v_lshlrev_b32_e32 v6, 16, v5
	s_mov_b32 s18, 0
	s_delay_alu instid0(VALU_DEP_1)
	v_cvt_i32_f32_e32 v6, v6
	global_store_b8 v[0:1], v6, off
.LBB208_765:
	s_and_not1_b32 vcc_lo, exec_lo, s18
	s_cbranch_vccnz .LBB208_767
; %bb.766:
	v_lshlrev_b32_e32 v5, 16, v5
	s_delay_alu instid0(VALU_DEP_1) | instskip(NEXT) | instid1(VALU_DEP_1)
	v_trunc_f32_e32 v5, v5
	v_mul_f32_e64 v6, 0x2f800000, |v5|
	s_delay_alu instid0(VALU_DEP_1) | instskip(NEXT) | instid1(VALU_DEP_1)
	v_floor_f32_e32 v6, v6
	v_fma_f32 v6, 0xcf800000, v6, |v5|
	v_ashrrev_i32_e32 v5, 31, v5
	s_delay_alu instid0(VALU_DEP_2) | instskip(NEXT) | instid1(VALU_DEP_1)
	v_cvt_u32_f32_e32 v6, v6
	v_xor_b32_e32 v6, v6, v5
	s_delay_alu instid0(VALU_DEP_1)
	v_sub_nc_u32_e32 v5, v6, v5
	global_store_b8 v[0:1], v5, off
.LBB208_767:
	s_mov_b32 s18, -1
.LBB208_768:
	s_delay_alu instid0(SALU_CYCLE_1)
	s_and_not1_b32 vcc_lo, exec_lo, s18
	s_cbranch_vccnz .LBB208_770
; %bb.769:
	v_add_nc_u32_e32 v3, 0x80, v3
	s_mov_b32 s19, -1
	s_branch .LBB208_772
.LBB208_770:
	s_mov_b32 s19, 0
.LBB208_771:
                                        ; implicit-def: $vgpr3
.LBB208_772:
	s_and_not1_b32 s18, s14, exec_lo
	s_and_b32 s0, s0, exec_lo
	s_and_not1_b32 s20, s13, exec_lo
	s_and_b32 s17, s17, exec_lo
	s_or_b32 s18, s18, s0
	s_or_b32 s17, s20, s17
	s_or_not1_b32 s0, s19, exec_lo
.LBB208_773:
	s_or_b32 exec_lo, exec_lo, s16
	s_mov_b32 s19, 0
	s_mov_b32 s20, 0
	;; [unrolled: 1-line block ×3, first 2 shown]
                                        ; implicit-def: $vgpr0_vgpr1
                                        ; implicit-def: $vgpr6
	s_and_saveexec_b32 s16, s0
	s_cbranch_execz .LBB208_858
; %bb.774:
	v_cmp_gt_i32_e32 vcc_lo, s10, v3
	s_mov_b32 s0, 0
	s_mov_b32 s19, s17
                                        ; implicit-def: $vgpr0_vgpr1
                                        ; implicit-def: $vgpr6
	s_and_saveexec_b32 s10, vcc_lo
	s_cbranch_execz .LBB208_857
; %bb.775:
	v_mul_lo_u32 v0, v3, s3
	v_cmp_gt_i16_e32 vcc_lo, 11, v4
	s_delay_alu instid0(VALU_DEP_2) | instskip(SKIP_1) | instid1(VALU_DEP_1)
	v_ashrrev_i32_e32 v1, 31, v0
	v_add_co_u32 v0, s0, s6, v0
	v_add_co_ci_u32_e64 v1, s0, s7, v1, s0
	s_cbranch_vccnz .LBB208_782
; %bb.776:
	v_cmp_lt_i16_e32 vcc_lo, 25, v4
	s_mov_b32 s19, 0
	s_cbranch_vccz .LBB208_783
; %bb.777:
	v_cmp_lt_i16_e32 vcc_lo, 28, v4
	s_cbranch_vccz .LBB208_784
; %bb.778:
	v_cmp_lt_i16_e32 vcc_lo, 43, v4
	;; [unrolled: 3-line block ×3, first 2 shown]
	s_cbranch_vccz .LBB208_788
; %bb.780:
	v_cmp_eq_u16_e32 vcc_lo, 46, v4
	s_cbranch_vccz .LBB208_791
; %bb.781:
	global_load_b32 v6, v[0:1], off
	s_mov_b32 s0, 0
	s_mov_b32 s20, -1
	s_branch .LBB208_793
.LBB208_782:
	s_mov_b32 s22, -1
	s_mov_b32 s19, 0
	s_mov_b32 s0, s17
                                        ; implicit-def: $vgpr6
	s_branch .LBB208_856
.LBB208_783:
	s_mov_b32 s21, -1
	s_mov_b32 s0, s17
                                        ; implicit-def: $vgpr6
	s_branch .LBB208_822
.LBB208_784:
	s_mov_b32 s21, -1
	s_mov_b32 s0, s17
                                        ; implicit-def: $vgpr6
	s_branch .LBB208_803
.LBB208_785:
	s_mov_b32 s21, -1
	s_mov_b32 s0, s17
                                        ; implicit-def: $vgpr6
	s_branch .LBB208_798
.LBB208_786:
	s_or_saveexec_b32 s20, s20
                                        ; implicit-def: $sgpr21
	s_delay_alu instid0(SALU_CYCLE_1)
	s_xor_b32 exec_lo, exec_lo, s20
	s_cbranch_execz .LBB208_681
.LBB208_787:
	v_add_f32_e64 v8, 0x46000000, |v9|
	s_and_not1_b32 s19, s19, exec_lo
	s_mov_b32 s21, 0
	s_delay_alu instid0(VALU_DEP_1) | instskip(NEXT) | instid1(VALU_DEP_1)
	v_and_b32_e32 v8, 0xff, v8
	v_cmp_ne_u32_e32 vcc_lo, 0, v8
	s_and_b32 s22, vcc_lo, exec_lo
	s_delay_alu instid0(SALU_CYCLE_1)
	s_or_b32 s19, s19, s22
	s_or_b32 exec_lo, exec_lo, s20
	v_mov_b32_e32 v10, s21
	s_and_saveexec_b32 s20, s19
	s_cbranch_execnz .LBB208_682
	s_branch .LBB208_683
.LBB208_788:
	s_mov_b32 s21, -1
	s_mov_b32 s0, s17
	s_branch .LBB208_792
.LBB208_789:
	s_or_saveexec_b32 s20, s20
                                        ; implicit-def: $sgpr21
	s_delay_alu instid0(SALU_CYCLE_1)
	s_xor_b32 exec_lo, exec_lo, s20
	s_cbranch_execz .LBB208_694
.LBB208_790:
	v_add_f32_e64 v8, 0x42800000, |v9|
	s_and_not1_b32 s19, s19, exec_lo
	s_mov_b32 s21, 0
	s_delay_alu instid0(VALU_DEP_1) | instskip(NEXT) | instid1(VALU_DEP_1)
	v_and_b32_e32 v8, 0xff, v8
	v_cmp_ne_u32_e32 vcc_lo, 0, v8
	s_and_b32 s22, vcc_lo, exec_lo
	s_delay_alu instid0(SALU_CYCLE_1)
	s_or_b32 s19, s19, s22
	s_or_b32 exec_lo, exec_lo, s20
	v_mov_b32_e32 v10, s21
	s_and_saveexec_b32 s20, s19
	s_cbranch_execnz .LBB208_695
	s_branch .LBB208_696
.LBB208_791:
	s_mov_b32 s0, -1
.LBB208_792:
                                        ; implicit-def: $vgpr6
.LBB208_793:
	s_and_b32 vcc_lo, exec_lo, s21
	s_cbranch_vccz .LBB208_797
; %bb.794:
	v_cmp_eq_u16_e32 vcc_lo, 44, v4
	s_cbranch_vccz .LBB208_796
; %bb.795:
	global_load_u8 v5, v[0:1], off
	s_mov_b32 s0, 0
	s_mov_b32 s20, -1
	s_waitcnt vmcnt(0)
	v_lshlrev_b32_e32 v6, 23, v5
	v_cmp_ne_u32_e32 vcc_lo, 0xff, v5
	s_delay_alu instid0(VALU_DEP_2) | instskip(SKIP_1) | instid1(VALU_DEP_2)
	v_cndmask_b32_e32 v6, 0x7f800001, v6, vcc_lo
	v_cmp_ne_u32_e32 vcc_lo, 0, v5
	v_cndmask_b32_e32 v5, 0x400000, v6, vcc_lo
	s_delay_alu instid0(VALU_DEP_1) | instskip(SKIP_1) | instid1(VALU_DEP_2)
	v_add_nc_u32_e32 v6, 0x7fff, v5
	v_cmp_o_f32_e32 vcc_lo, v5, v5
	v_lshrrev_b32_e32 v6, 16, v6
	s_delay_alu instid0(VALU_DEP_1)
	v_cndmask_b32_e32 v6, 0x7fc0, v6, vcc_lo
	s_branch .LBB208_797
.LBB208_796:
	s_mov_b32 s0, -1
                                        ; implicit-def: $vgpr6
.LBB208_797:
	s_mov_b32 s21, 0
.LBB208_798:
	s_delay_alu instid0(SALU_CYCLE_1)
	s_and_b32 vcc_lo, exec_lo, s21
	s_cbranch_vccz .LBB208_802
; %bb.799:
	v_cmp_eq_u16_e32 vcc_lo, 29, v4
	s_cbranch_vccz .LBB208_801
; %bb.800:
	global_load_b64 v[5:6], v[0:1], off
	s_mov_b32 s0, 0
	s_mov_b32 s20, -1
	s_mov_b32 s21, 0
	s_waitcnt vmcnt(0)
	v_clz_i32_u32_e32 v7, v6
	s_delay_alu instid0(VALU_DEP_1) | instskip(NEXT) | instid1(VALU_DEP_1)
	v_min_u32_e32 v7, 32, v7
	v_lshlrev_b64 v[5:6], v7, v[5:6]
	s_delay_alu instid0(VALU_DEP_1) | instskip(NEXT) | instid1(VALU_DEP_1)
	v_min_u32_e32 v5, 1, v5
	v_or_b32_e32 v5, v6, v5
	v_sub_nc_u32_e32 v6, 32, v7
	s_delay_alu instid0(VALU_DEP_2) | instskip(NEXT) | instid1(VALU_DEP_1)
	v_cvt_f32_u32_e32 v5, v5
	v_ldexp_f32 v5, v5, v6
	s_delay_alu instid0(VALU_DEP_1) | instskip(NEXT) | instid1(VALU_DEP_1)
	v_bfe_u32 v6, v5, 16, 1
	v_add3_u32 v5, v5, v6, 0x7fff
	s_delay_alu instid0(VALU_DEP_1)
	v_lshrrev_b32_e32 v6, 16, v5
	s_branch .LBB208_803
.LBB208_801:
	s_mov_b32 s0, -1
                                        ; implicit-def: $vgpr6
.LBB208_802:
	s_mov_b32 s21, 0
.LBB208_803:
	s_delay_alu instid0(SALU_CYCLE_1)
	s_and_b32 vcc_lo, exec_lo, s21
	s_cbranch_vccz .LBB208_821
; %bb.804:
	v_cmp_gt_i16_e32 vcc_lo, 27, v4
	s_cbranch_vccnz .LBB208_807
; %bb.805:
	v_cmp_lt_i16_e32 vcc_lo, 27, v4
	s_cbranch_vccz .LBB208_808
; %bb.806:
	global_load_b32 v5, v[0:1], off
	s_mov_b32 s20, 0
	s_waitcnt vmcnt(0)
	v_cvt_f32_u32_e32 v5, v5
	s_delay_alu instid0(VALU_DEP_1) | instskip(NEXT) | instid1(VALU_DEP_1)
	v_bfe_u32 v6, v5, 16, 1
	v_add3_u32 v5, v5, v6, 0x7fff
	s_delay_alu instid0(VALU_DEP_1)
	v_lshrrev_b32_e32 v6, 16, v5
	s_branch .LBB208_809
.LBB208_807:
	s_mov_b32 s20, -1
                                        ; implicit-def: $vgpr6
	s_branch .LBB208_812
.LBB208_808:
	s_mov_b32 s20, -1
                                        ; implicit-def: $vgpr6
.LBB208_809:
	s_delay_alu instid0(SALU_CYCLE_1)
	s_and_not1_b32 vcc_lo, exec_lo, s20
	s_cbranch_vccnz .LBB208_811
; %bb.810:
	global_load_u16 v5, v[0:1], off
	s_waitcnt vmcnt(0)
	v_cvt_f32_u32_e32 v5, v5
	s_delay_alu instid0(VALU_DEP_1) | instskip(NEXT) | instid1(VALU_DEP_1)
	v_bfe_u32 v6, v5, 16, 1
	v_add3_u32 v5, v5, v6, 0x7fff
	s_delay_alu instid0(VALU_DEP_1)
	v_lshrrev_b32_e32 v6, 16, v5
.LBB208_811:
	s_mov_b32 s20, 0
.LBB208_812:
	s_delay_alu instid0(SALU_CYCLE_1)
	s_and_not1_b32 vcc_lo, exec_lo, s20
	s_cbranch_vccnz .LBB208_820
; %bb.813:
	global_load_u8 v5, v[0:1], off
	s_mov_b32 s20, 0
	s_mov_b32 s22, exec_lo
                                        ; implicit-def: $sgpr21
	s_waitcnt vmcnt(0)
	v_cmpx_lt_i16_e32 0x7f, v5
	s_xor_b32 s22, exec_lo, s22
	s_cbranch_execz .LBB208_834
; %bb.814:
	s_mov_b32 s20, -1
	s_mov_b32 s23, exec_lo
                                        ; implicit-def: $sgpr21
	v_cmpx_eq_u16_e32 0x80, v5
; %bb.815:
	s_mov_b32 s21, 0x7f800001
	s_xor_b32 s20, exec_lo, -1
; %bb.816:
	s_or_b32 exec_lo, exec_lo, s23
	s_delay_alu instid0(SALU_CYCLE_1)
	s_and_b32 s20, s20, exec_lo
	s_or_saveexec_b32 s22, s22
	v_mov_b32_e32 v6, s21
	s_xor_b32 exec_lo, exec_lo, s22
	s_cbranch_execnz .LBB208_835
.LBB208_817:
	s_or_b32 exec_lo, exec_lo, s22
	s_and_saveexec_b32 s21, s20
	s_cbranch_execz .LBB208_819
.LBB208_818:
	v_and_b32_e32 v6, 0xffff, v5
	v_lshlrev_b32_e32 v5, 24, v5
	s_delay_alu instid0(VALU_DEP_2) | instskip(NEXT) | instid1(VALU_DEP_2)
	v_and_b32_e32 v7, 7, v6
	v_and_b32_e32 v5, 0x80000000, v5
	s_delay_alu instid0(VALU_DEP_2) | instskip(NEXT) | instid1(VALU_DEP_1)
	v_clz_i32_u32_e32 v8, v7
	v_min_u32_e32 v8, 32, v8
	s_delay_alu instid0(VALU_DEP_1) | instskip(SKIP_1) | instid1(VALU_DEP_2)
	v_subrev_nc_u32_e32 v9, 28, v8
	v_sub_nc_u32_e32 v8, 29, v8
	v_lshlrev_b32_e32 v9, v9, v6
	v_bfe_u32 v6, v6, 3, 4
	s_delay_alu instid0(VALU_DEP_2) | instskip(NEXT) | instid1(VALU_DEP_2)
	v_and_b32_e32 v9, 7, v9
	v_cmp_eq_u32_e32 vcc_lo, 0, v6
	s_delay_alu instid0(VALU_DEP_2) | instskip(NEXT) | instid1(VALU_DEP_1)
	v_dual_cndmask_b32 v6, v6, v8 :: v_dual_cndmask_b32 v7, v7, v9
	v_lshl_add_u32 v6, v6, 23, 0x3b800000
	s_delay_alu instid0(VALU_DEP_2) | instskip(NEXT) | instid1(VALU_DEP_1)
	v_lshlrev_b32_e32 v7, 20, v7
	v_or3_b32 v6, v5, v6, v7
.LBB208_819:
	s_or_b32 exec_lo, exec_lo, s21
	s_delay_alu instid0(VALU_DEP_1) | instskip(SKIP_1) | instid1(VALU_DEP_2)
	v_bfe_u32 v5, v6, 16, 1
	v_cmp_o_f32_e32 vcc_lo, v6, v6
	v_add3_u32 v5, v6, v5, 0x7fff
	s_delay_alu instid0(VALU_DEP_1) | instskip(NEXT) | instid1(VALU_DEP_1)
	v_lshrrev_b32_e32 v5, 16, v5
	v_cndmask_b32_e32 v6, 0x7fc0, v5, vcc_lo
.LBB208_820:
	s_mov_b32 s20, -1
.LBB208_821:
	s_mov_b32 s21, 0
.LBB208_822:
	s_delay_alu instid0(SALU_CYCLE_1)
	s_and_b32 vcc_lo, exec_lo, s21
	s_cbranch_vccz .LBB208_855
; %bb.823:
	v_cmp_lt_i16_e32 vcc_lo, 22, v4
	s_cbranch_vccz .LBB208_833
; %bb.824:
	v_cmp_gt_i16_e32 vcc_lo, 24, v4
	s_cbranch_vccnz .LBB208_836
; %bb.825:
	v_cmp_lt_i16_e32 vcc_lo, 24, v4
	s_cbranch_vccz .LBB208_837
; %bb.826:
	global_load_u8 v5, v[0:1], off
	s_mov_b32 s21, exec_lo
                                        ; implicit-def: $sgpr20
	s_waitcnt vmcnt(0)
	v_cmpx_lt_i16_e32 0x7f, v5
	s_xor_b32 s21, exec_lo, s21
	s_cbranch_execz .LBB208_849
; %bb.827:
	s_mov_b32 s19, -1
	s_mov_b32 s22, exec_lo
                                        ; implicit-def: $sgpr20
	v_cmpx_eq_u16_e32 0x80, v5
; %bb.828:
	s_mov_b32 s20, 0x7f800001
	s_xor_b32 s19, exec_lo, -1
; %bb.829:
	s_or_b32 exec_lo, exec_lo, s22
	s_delay_alu instid0(SALU_CYCLE_1)
	s_and_b32 s19, s19, exec_lo
	s_or_saveexec_b32 s21, s21
	v_mov_b32_e32 v6, s20
	s_xor_b32 exec_lo, exec_lo, s21
	s_cbranch_execnz .LBB208_850
.LBB208_830:
	s_or_b32 exec_lo, exec_lo, s21
	s_and_saveexec_b32 s20, s19
	s_cbranch_execz .LBB208_832
.LBB208_831:
	v_and_b32_e32 v6, 0xffff, v5
	v_lshlrev_b32_e32 v5, 24, v5
	s_delay_alu instid0(VALU_DEP_2) | instskip(NEXT) | instid1(VALU_DEP_2)
	v_and_b32_e32 v7, 3, v6
	v_and_b32_e32 v5, 0x80000000, v5
	s_delay_alu instid0(VALU_DEP_2) | instskip(NEXT) | instid1(VALU_DEP_1)
	v_clz_i32_u32_e32 v8, v7
	v_min_u32_e32 v8, 32, v8
	s_delay_alu instid0(VALU_DEP_1) | instskip(SKIP_1) | instid1(VALU_DEP_2)
	v_subrev_nc_u32_e32 v9, 29, v8
	v_sub_nc_u32_e32 v8, 30, v8
	v_lshlrev_b32_e32 v9, v9, v6
	v_bfe_u32 v6, v6, 2, 5
	s_delay_alu instid0(VALU_DEP_2) | instskip(NEXT) | instid1(VALU_DEP_2)
	v_and_b32_e32 v9, 3, v9
	v_cmp_eq_u32_e32 vcc_lo, 0, v6
	s_delay_alu instid0(VALU_DEP_2) | instskip(NEXT) | instid1(VALU_DEP_1)
	v_dual_cndmask_b32 v6, v6, v8 :: v_dual_cndmask_b32 v7, v7, v9
	v_lshl_add_u32 v6, v6, 23, 0x37800000
	s_delay_alu instid0(VALU_DEP_2) | instskip(NEXT) | instid1(VALU_DEP_1)
	v_lshlrev_b32_e32 v7, 21, v7
	v_or3_b32 v6, v5, v6, v7
.LBB208_832:
	s_or_b32 exec_lo, exec_lo, s20
	s_delay_alu instid0(VALU_DEP_1) | instskip(SKIP_2) | instid1(VALU_DEP_2)
	v_bfe_u32 v5, v6, 16, 1
	v_cmp_o_f32_e32 vcc_lo, v6, v6
	s_mov_b32 s19, 0
	v_add3_u32 v5, v6, v5, 0x7fff
	s_delay_alu instid0(VALU_DEP_1) | instskip(NEXT) | instid1(VALU_DEP_1)
	v_lshrrev_b32_e32 v5, 16, v5
	v_cndmask_b32_e32 v6, 0x7fc0, v5, vcc_lo
	s_branch .LBB208_838
.LBB208_833:
	s_mov_b32 s19, -1
                                        ; implicit-def: $vgpr6
	s_branch .LBB208_844
.LBB208_834:
	s_or_saveexec_b32 s22, s22
	v_mov_b32_e32 v6, s21
	s_xor_b32 exec_lo, exec_lo, s22
	s_cbranch_execz .LBB208_817
.LBB208_835:
	v_cmp_ne_u16_e32 vcc_lo, 0, v5
	v_mov_b32_e32 v6, 0
	s_and_not1_b32 s20, s20, exec_lo
	s_and_b32 s21, vcc_lo, exec_lo
	s_delay_alu instid0(SALU_CYCLE_1)
	s_or_b32 s20, s20, s21
	s_or_b32 exec_lo, exec_lo, s22
	s_and_saveexec_b32 s21, s20
	s_cbranch_execnz .LBB208_818
	s_branch .LBB208_819
.LBB208_836:
	s_mov_b32 s19, -1
                                        ; implicit-def: $vgpr6
	s_branch .LBB208_841
.LBB208_837:
	s_mov_b32 s19, -1
                                        ; implicit-def: $vgpr6
.LBB208_838:
	s_delay_alu instid0(SALU_CYCLE_1)
	s_and_b32 vcc_lo, exec_lo, s19
	s_cbranch_vccz .LBB208_840
; %bb.839:
	global_load_u8 v5, v[0:1], off
	s_waitcnt vmcnt(0)
	v_lshlrev_b32_e32 v5, 24, v5
	s_delay_alu instid0(VALU_DEP_1) | instskip(NEXT) | instid1(VALU_DEP_1)
	v_and_b32_e32 v6, 0x7f000000, v5
	v_clz_i32_u32_e32 v7, v6
	v_add_nc_u32_e32 v9, 0x1000000, v6
	v_cmp_ne_u32_e32 vcc_lo, 0, v6
	s_delay_alu instid0(VALU_DEP_3) | instskip(NEXT) | instid1(VALU_DEP_1)
	v_min_u32_e32 v7, 32, v7
	v_sub_nc_u32_e64 v7, v7, 4 clamp
	s_delay_alu instid0(VALU_DEP_1) | instskip(SKIP_1) | instid1(VALU_DEP_2)
	v_lshlrev_b32_e32 v8, v7, v6
	v_lshlrev_b32_e32 v7, 23, v7
	v_lshrrev_b32_e32 v8, 4, v8
	s_delay_alu instid0(VALU_DEP_1) | instskip(SKIP_1) | instid1(VALU_DEP_2)
	v_sub_nc_u32_e32 v7, v8, v7
	v_ashrrev_i32_e32 v8, 8, v9
	v_add_nc_u32_e32 v7, 0x3c000000, v7
	s_delay_alu instid0(VALU_DEP_1) | instskip(NEXT) | instid1(VALU_DEP_1)
	v_and_or_b32 v7, 0x7f800000, v8, v7
	v_cndmask_b32_e32 v6, 0, v7, vcc_lo
	s_delay_alu instid0(VALU_DEP_1) | instskip(SKIP_1) | instid1(VALU_DEP_2)
	v_and_or_b32 v5, 0x80000000, v5, v6
	v_bfe_u32 v6, v6, 16, 1
	v_cmp_o_f32_e32 vcc_lo, v5, v5
	s_delay_alu instid0(VALU_DEP_2) | instskip(NEXT) | instid1(VALU_DEP_1)
	v_add3_u32 v6, v5, v6, 0x7fff
	v_lshrrev_b32_e32 v6, 16, v6
	s_delay_alu instid0(VALU_DEP_1)
	v_cndmask_b32_e32 v6, 0x7fc0, v6, vcc_lo
.LBB208_840:
	s_mov_b32 s19, 0
.LBB208_841:
	s_delay_alu instid0(SALU_CYCLE_1)
	s_and_not1_b32 vcc_lo, exec_lo, s19
	s_cbranch_vccnz .LBB208_843
; %bb.842:
	global_load_u8 v5, v[0:1], off
	s_waitcnt vmcnt(0)
	v_lshlrev_b32_e32 v6, 25, v5
	v_lshlrev_b16 v5, 8, v5
	s_delay_alu instid0(VALU_DEP_2) | instskip(NEXT) | instid1(VALU_DEP_2)
	v_lshrrev_b32_e32 v7, 4, v6
	v_and_or_b32 v8, 0x7f00, v5, 0.5
	v_bfe_i32 v5, v5, 0, 16
	s_delay_alu instid0(VALU_DEP_3) | instskip(NEXT) | instid1(VALU_DEP_1)
	v_or_b32_e32 v7, 0x70000000, v7
	v_dual_add_f32 v8, -0.5, v8 :: v_dual_mul_f32 v7, 0x7800000, v7
	v_cmp_gt_u32_e32 vcc_lo, 0x8000000, v6
	s_delay_alu instid0(VALU_DEP_2) | instskip(NEXT) | instid1(VALU_DEP_1)
	v_cndmask_b32_e32 v6, v7, v8, vcc_lo
	v_and_or_b32 v5, 0x80000000, v5, v6
	v_bfe_u32 v6, v6, 16, 1
	s_delay_alu instid0(VALU_DEP_2) | instskip(NEXT) | instid1(VALU_DEP_2)
	v_cmp_o_f32_e32 vcc_lo, v5, v5
	v_add3_u32 v6, v5, v6, 0x7fff
	s_delay_alu instid0(VALU_DEP_1) | instskip(NEXT) | instid1(VALU_DEP_1)
	v_lshrrev_b32_e32 v6, 16, v6
	v_cndmask_b32_e32 v6, 0x7fc0, v6, vcc_lo
.LBB208_843:
	s_mov_b32 s19, 0
	s_mov_b32 s20, -1
.LBB208_844:
	s_and_not1_b32 vcc_lo, exec_lo, s19
	s_mov_b32 s19, 0
	s_cbranch_vccnz .LBB208_855
; %bb.845:
	v_cmp_lt_i16_e32 vcc_lo, 14, v4
	s_cbranch_vccz .LBB208_848
; %bb.846:
	v_cmp_eq_u16_e32 vcc_lo, 15, v4
	s_cbranch_vccz .LBB208_851
; %bb.847:
	global_load_u16 v6, v[0:1], off
	s_mov_b32 s0, 0
	s_mov_b32 s20, -1
	s_branch .LBB208_853
.LBB208_848:
	s_mov_b32 s19, -1
	s_branch .LBB208_852
.LBB208_849:
	s_or_saveexec_b32 s21, s21
	v_mov_b32_e32 v6, s20
	s_xor_b32 exec_lo, exec_lo, s21
	s_cbranch_execz .LBB208_830
.LBB208_850:
	v_cmp_ne_u16_e32 vcc_lo, 0, v5
	v_mov_b32_e32 v6, 0
	s_and_not1_b32 s19, s19, exec_lo
	s_and_b32 s20, vcc_lo, exec_lo
	s_delay_alu instid0(SALU_CYCLE_1)
	s_or_b32 s19, s19, s20
	s_or_b32 exec_lo, exec_lo, s21
	s_and_saveexec_b32 s20, s19
	s_cbranch_execnz .LBB208_831
	s_branch .LBB208_832
.LBB208_851:
	s_mov_b32 s0, -1
.LBB208_852:
                                        ; implicit-def: $vgpr6
.LBB208_853:
	s_and_b32 vcc_lo, exec_lo, s19
	s_mov_b32 s19, 0
	s_cbranch_vccz .LBB208_855
; %bb.854:
	v_cmp_ne_u16_e32 vcc_lo, 11, v4
	s_and_not1_b32 s0, s0, exec_lo
	s_mov_b32 s19, -1
                                        ; implicit-def: $vgpr6
	s_and_b32 s21, vcc_lo, exec_lo
	s_delay_alu instid0(SALU_CYCLE_1)
	s_or_b32 s0, s0, s21
.LBB208_855:
	s_mov_b32 s22, 0
.LBB208_856:
	s_and_b32 s21, s20, exec_lo
	s_and_b32 s20, s22, exec_lo
	s_and_not1_b32 s22, s17, exec_lo
	s_and_b32 s23, s0, exec_lo
	s_and_b32 s0, s19, exec_lo
	s_or_b32 s19, s22, s23
.LBB208_857:
	s_or_b32 exec_lo, exec_lo, s10
	s_delay_alu instid0(SALU_CYCLE_1)
	s_and_not1_b32 s10, s17, exec_lo
	s_and_b32 s17, s19, exec_lo
	s_and_b32 s21, s21, exec_lo
	s_and_b32 s20, s20, exec_lo
	s_and_b32 s19, s0, exec_lo
	s_or_b32 s17, s10, s17
.LBB208_858:
	s_or_b32 exec_lo, exec_lo, s16
	s_delay_alu instid0(SALU_CYCLE_1)
	s_and_not1_b32 s0, s14, exec_lo
	s_and_b32 s10, s18, exec_lo
	s_and_b32 s18, s20, exec_lo
	s_or_b32 s14, s0, s10
	s_and_not1_b32 s10, s13, exec_lo
	s_and_b32 s13, s17, exec_lo
	s_and_b32 s0, s21, exec_lo
	s_and_b32 s16, s19, exec_lo
	s_or_b32 s13, s10, s13
.LBB208_859:
	s_or_b32 exec_lo, exec_lo, s15
	s_delay_alu instid0(SALU_CYCLE_1)
	s_and_not1_b32 s9, s9, exec_lo
	s_and_b32 s10, s14, exec_lo
	s_and_b32 s0, s0, exec_lo
	s_or_b32 s9, s9, s10
	s_and_not1_b32 s10, s11, exec_lo
	s_and_b32 s11, s13, exec_lo
	s_and_b32 s14, s18, exec_lo
	;; [unrolled: 1-line block ×3, first 2 shown]
	s_or_b32 s11, s10, s11
.LBB208_860:
	s_or_b32 exec_lo, exec_lo, s12
	s_mov_b32 s10, 0
	s_and_saveexec_b32 s12, s11
	s_cbranch_execnz .LBB208_872
; %bb.861:
	s_or_b32 exec_lo, exec_lo, s12
	s_and_saveexec_b32 s11, s13
	s_delay_alu instid0(SALU_CYCLE_1)
	s_xor_b32 s11, exec_lo, s11
	s_cbranch_execz .LBB208_863
.LBB208_862:
	global_load_u8 v5, v[0:1], off
	s_or_b32 s0, s0, exec_lo
	s_waitcnt vmcnt(0)
	v_cmp_ne_u16_e32 vcc_lo, 0, v5
	v_cndmask_b32_e64 v5, 0, 1.0, vcc_lo
	s_delay_alu instid0(VALU_DEP_1)
	v_lshrrev_b32_e32 v6, 16, v5
.LBB208_863:
	s_or_b32 exec_lo, exec_lo, s11
	s_and_saveexec_b32 s11, s14
	s_cbranch_execz .LBB208_911
; %bb.864:
	v_cmp_gt_i16_e32 vcc_lo, 5, v4
	s_cbranch_vccnz .LBB208_869
; %bb.865:
	v_cmp_gt_i16_e32 vcc_lo, 8, v4
	s_cbranch_vccnz .LBB208_870
	;; [unrolled: 3-line block ×3, first 2 shown]
; %bb.867:
	v_cmp_lt_i16_e32 vcc_lo, 9, v4
	s_cbranch_vccz .LBB208_874
; %bb.868:
	global_load_b64 v[5:6], v[0:1], off
	s_mov_b32 s12, 0
	s_waitcnt vmcnt(0)
	v_cvt_f32_f64_e32 v5, v[5:6]
	s_delay_alu instid0(VALU_DEP_1) | instskip(SKIP_1) | instid1(VALU_DEP_2)
	v_bfe_u32 v6, v5, 16, 1
	v_cmp_o_f32_e32 vcc_lo, v5, v5
	v_add3_u32 v6, v5, v6, 0x7fff
	s_delay_alu instid0(VALU_DEP_1) | instskip(NEXT) | instid1(VALU_DEP_1)
	v_lshrrev_b32_e32 v6, 16, v6
	v_cndmask_b32_e32 v6, 0x7fc0, v6, vcc_lo
	s_branch .LBB208_875
.LBB208_869:
                                        ; implicit-def: $vgpr6
	s_branch .LBB208_892
.LBB208_870:
                                        ; implicit-def: $vgpr6
	s_branch .LBB208_881
.LBB208_871:
	s_mov_b32 s12, -1
                                        ; implicit-def: $vgpr6
	s_branch .LBB208_878
.LBB208_872:
	s_cbranch_execnz .LBB208_920
; %bb.873:
	s_mov_b32 s10, exec_lo
	s_and_not1_b32 s13, s13, exec_lo
                                        ; implicit-def: $vgpr6
	s_or_b32 exec_lo, exec_lo, s12
	s_and_saveexec_b32 s11, s13
	s_delay_alu instid0(SALU_CYCLE_1)
	s_xor_b32 s11, exec_lo, s11
	s_cbranch_execnz .LBB208_862
	s_branch .LBB208_863
.LBB208_874:
	s_mov_b32 s12, -1
                                        ; implicit-def: $vgpr6
.LBB208_875:
	s_delay_alu instid0(SALU_CYCLE_1)
	s_and_not1_b32 vcc_lo, exec_lo, s12
	s_cbranch_vccnz .LBB208_877
; %bb.876:
	global_load_b32 v5, v[0:1], off
	s_waitcnt vmcnt(0)
	v_bfe_u32 v6, v5, 16, 1
	v_cmp_o_f32_e32 vcc_lo, v5, v5
	s_delay_alu instid0(VALU_DEP_2) | instskip(NEXT) | instid1(VALU_DEP_1)
	v_add3_u32 v6, v5, v6, 0x7fff
	v_lshrrev_b32_e32 v6, 16, v6
	s_delay_alu instid0(VALU_DEP_1)
	v_cndmask_b32_e32 v6, 0x7fc0, v6, vcc_lo
.LBB208_877:
	s_mov_b32 s12, 0
.LBB208_878:
	s_delay_alu instid0(SALU_CYCLE_1)
	s_and_not1_b32 vcc_lo, exec_lo, s12
	s_cbranch_vccnz .LBB208_880
; %bb.879:
	global_load_b32 v5, v[0:1], off
	s_waitcnt vmcnt(0)
	v_cvt_f32_f16_e32 v6, v5
	v_cmp_o_f16_e32 vcc_lo, v5, v5
	s_delay_alu instid0(VALU_DEP_2) | instskip(NEXT) | instid1(VALU_DEP_1)
	v_bfe_u32 v7, v6, 16, 1
	v_add3_u32 v6, v6, v7, 0x7fff
	s_delay_alu instid0(VALU_DEP_1) | instskip(NEXT) | instid1(VALU_DEP_1)
	v_lshrrev_b32_e32 v6, 16, v6
	v_cndmask_b32_e32 v6, 0x7fc0, v6, vcc_lo
.LBB208_880:
	s_cbranch_execnz .LBB208_891
.LBB208_881:
	v_cmp_gt_i16_e32 vcc_lo, 6, v4
	s_cbranch_vccnz .LBB208_884
; %bb.882:
	v_cmp_lt_i16_e32 vcc_lo, 6, v4
	s_cbranch_vccz .LBB208_885
; %bb.883:
	global_load_b64 v[5:6], v[0:1], off
	s_mov_b32 s12, 0
	s_waitcnt vmcnt(0)
	v_cvt_f32_f64_e32 v5, v[5:6]
	s_delay_alu instid0(VALU_DEP_1) | instskip(SKIP_1) | instid1(VALU_DEP_2)
	v_bfe_u32 v6, v5, 16, 1
	v_cmp_o_f32_e32 vcc_lo, v5, v5
	v_add3_u32 v6, v5, v6, 0x7fff
	s_delay_alu instid0(VALU_DEP_1) | instskip(NEXT) | instid1(VALU_DEP_1)
	v_lshrrev_b32_e32 v6, 16, v6
	v_cndmask_b32_e32 v6, 0x7fc0, v6, vcc_lo
	s_branch .LBB208_886
.LBB208_884:
	s_mov_b32 s12, -1
                                        ; implicit-def: $vgpr6
	s_branch .LBB208_889
.LBB208_885:
	s_mov_b32 s12, -1
                                        ; implicit-def: $vgpr6
.LBB208_886:
	s_delay_alu instid0(SALU_CYCLE_1)
	s_and_not1_b32 vcc_lo, exec_lo, s12
	s_cbranch_vccnz .LBB208_888
; %bb.887:
	global_load_b32 v5, v[0:1], off
	s_waitcnt vmcnt(0)
	v_bfe_u32 v6, v5, 16, 1
	v_cmp_o_f32_e32 vcc_lo, v5, v5
	s_delay_alu instid0(VALU_DEP_2) | instskip(NEXT) | instid1(VALU_DEP_1)
	v_add3_u32 v6, v5, v6, 0x7fff
	v_lshrrev_b32_e32 v6, 16, v6
	s_delay_alu instid0(VALU_DEP_1)
	v_cndmask_b32_e32 v6, 0x7fc0, v6, vcc_lo
.LBB208_888:
	s_mov_b32 s12, 0
.LBB208_889:
	s_delay_alu instid0(SALU_CYCLE_1)
	s_and_not1_b32 vcc_lo, exec_lo, s12
	s_cbranch_vccnz .LBB208_891
; %bb.890:
	global_load_u16 v5, v[0:1], off
	s_waitcnt vmcnt(0)
	v_cvt_f32_f16_e32 v6, v5
	v_cmp_o_f16_e32 vcc_lo, v5, v5
	s_delay_alu instid0(VALU_DEP_2) | instskip(NEXT) | instid1(VALU_DEP_1)
	v_bfe_u32 v7, v6, 16, 1
	v_add3_u32 v6, v6, v7, 0x7fff
	s_delay_alu instid0(VALU_DEP_1) | instskip(NEXT) | instid1(VALU_DEP_1)
	v_lshrrev_b32_e32 v6, 16, v6
	v_cndmask_b32_e32 v6, 0x7fc0, v6, vcc_lo
.LBB208_891:
	s_cbranch_execnz .LBB208_910
.LBB208_892:
	v_cmp_gt_i16_e32 vcc_lo, 2, v4
	s_cbranch_vccnz .LBB208_896
; %bb.893:
	v_cmp_gt_i16_e32 vcc_lo, 3, v4
	s_cbranch_vccnz .LBB208_897
; %bb.894:
	v_cmp_lt_i16_e32 vcc_lo, 3, v4
	s_cbranch_vccz .LBB208_898
; %bb.895:
	global_load_b64 v[5:6], v[0:1], off
	s_mov_b32 s12, 0
	s_waitcnt vmcnt(0)
	v_xor_b32_e32 v7, v5, v6
	v_cls_i32_e32 v8, v6
	s_delay_alu instid0(VALU_DEP_2) | instskip(NEXT) | instid1(VALU_DEP_2)
	v_ashrrev_i32_e32 v7, 31, v7
	v_add_nc_u32_e32 v8, -1, v8
	s_delay_alu instid0(VALU_DEP_2) | instskip(NEXT) | instid1(VALU_DEP_1)
	v_add_nc_u32_e32 v7, 32, v7
	v_min_u32_e32 v7, v8, v7
	s_delay_alu instid0(VALU_DEP_1) | instskip(NEXT) | instid1(VALU_DEP_1)
	v_lshlrev_b64 v[5:6], v7, v[5:6]
	v_min_u32_e32 v5, 1, v5
	s_delay_alu instid0(VALU_DEP_1) | instskip(SKIP_1) | instid1(VALU_DEP_2)
	v_or_b32_e32 v5, v6, v5
	v_sub_nc_u32_e32 v6, 32, v7
	v_cvt_f32_i32_e32 v5, v5
	s_delay_alu instid0(VALU_DEP_1) | instskip(NEXT) | instid1(VALU_DEP_1)
	v_ldexp_f32 v5, v5, v6
	v_bfe_u32 v6, v5, 16, 1
	s_delay_alu instid0(VALU_DEP_1) | instskip(NEXT) | instid1(VALU_DEP_1)
	v_add3_u32 v5, v5, v6, 0x7fff
	v_lshrrev_b32_e32 v6, 16, v5
	s_branch .LBB208_899
.LBB208_896:
                                        ; implicit-def: $vgpr6
	s_branch .LBB208_905
.LBB208_897:
	s_mov_b32 s12, -1
                                        ; implicit-def: $vgpr6
	s_branch .LBB208_902
.LBB208_898:
	s_mov_b32 s12, -1
                                        ; implicit-def: $vgpr6
.LBB208_899:
	s_delay_alu instid0(SALU_CYCLE_1)
	s_and_not1_b32 vcc_lo, exec_lo, s12
	s_cbranch_vccnz .LBB208_901
; %bb.900:
	global_load_b32 v5, v[0:1], off
	s_waitcnt vmcnt(0)
	v_cvt_f32_i32_e32 v5, v5
	s_delay_alu instid0(VALU_DEP_1) | instskip(NEXT) | instid1(VALU_DEP_1)
	v_bfe_u32 v6, v5, 16, 1
	v_add3_u32 v5, v5, v6, 0x7fff
	s_delay_alu instid0(VALU_DEP_1)
	v_lshrrev_b32_e32 v6, 16, v5
.LBB208_901:
	s_mov_b32 s12, 0
.LBB208_902:
	s_delay_alu instid0(SALU_CYCLE_1)
	s_and_not1_b32 vcc_lo, exec_lo, s12
	s_cbranch_vccnz .LBB208_904
; %bb.903:
	global_load_i16 v5, v[0:1], off
	s_waitcnt vmcnt(0)
	v_cvt_f32_i32_e32 v5, v5
	s_delay_alu instid0(VALU_DEP_1) | instskip(NEXT) | instid1(VALU_DEP_1)
	v_bfe_u32 v6, v5, 16, 1
	v_add3_u32 v5, v5, v6, 0x7fff
	s_delay_alu instid0(VALU_DEP_1)
	v_lshrrev_b32_e32 v6, 16, v5
.LBB208_904:
	s_cbranch_execnz .LBB208_910
.LBB208_905:
	v_cmp_lt_i16_e32 vcc_lo, 0, v4
	s_mov_b32 s12, 0
	s_cbranch_vccz .LBB208_907
; %bb.906:
	global_load_i8 v4, v[0:1], off
	s_waitcnt vmcnt(0)
	v_cvt_f32_i32_e32 v4, v4
	s_delay_alu instid0(VALU_DEP_1) | instskip(NEXT) | instid1(VALU_DEP_1)
	v_bfe_u32 v5, v4, 16, 1
	v_add3_u32 v4, v4, v5, 0x7fff
	s_delay_alu instid0(VALU_DEP_1)
	v_lshrrev_b32_e32 v6, 16, v4
	s_branch .LBB208_908
.LBB208_907:
	s_mov_b32 s12, -1
                                        ; implicit-def: $vgpr6
.LBB208_908:
	s_delay_alu instid0(SALU_CYCLE_1)
	s_and_not1_b32 vcc_lo, exec_lo, s12
	s_cbranch_vccnz .LBB208_910
; %bb.909:
	global_load_u8 v0, v[0:1], off
	s_waitcnt vmcnt(0)
	v_cvt_f32_ubyte0_e32 v0, v0
	s_delay_alu instid0(VALU_DEP_1) | instskip(NEXT) | instid1(VALU_DEP_1)
	v_bfe_u32 v1, v0, 16, 1
	v_add3_u32 v0, v0, v1, 0x7fff
	s_delay_alu instid0(VALU_DEP_1)
	v_lshrrev_b32_e32 v6, 16, v0
.LBB208_910:
	s_or_b32 s0, s0, exec_lo
.LBB208_911:
	s_or_b32 exec_lo, exec_lo, s11
	s_mov_b32 s13, 0
	s_mov_b32 s12, 0
                                        ; implicit-def: $vgpr5
                                        ; implicit-def: $vgpr0_vgpr1
                                        ; implicit-def: $vgpr4
	s_and_saveexec_b32 s11, s0
	s_cbranch_execz .LBB208_991
; %bb.912:
	s_waitcnt vmcnt(0)
	v_lshlrev_b32_e32 v0, 16, v6
	s_delay_alu instid0(VALU_DEP_1) | instskip(NEXT) | instid1(VALU_DEP_1)
	v_cvt_f64_f32_e32 v[0:1], v0
	v_rsq_f64_e32 v[4:5], v[0:1]
	s_waitcnt_depctr 0xfff
	v_mul_f64 v[0:1], v[4:5], -v[0:1]
	v_cmp_class_f64_e64 vcc_lo, v[4:5], 0x180
	s_delay_alu instid0(VALU_DEP_2) | instskip(NEXT) | instid1(VALU_DEP_1)
	v_fma_f64 v[0:1], v[0:1], v[4:5], 1.0
	v_mul_f64 v[6:7], v[4:5], v[0:1]
	v_fma_f64 v[0:1], 0x3fd80000, v[0:1], 0.5
	s_delay_alu instid0(VALU_DEP_1) | instskip(NEXT) | instid1(VALU_DEP_1)
	v_fma_f64 v[0:1], v[6:7], v[0:1], v[4:5]
	v_dual_cndmask_b32 v1, v5, v1 :: v_dual_cndmask_b32 v0, v4, v0
	v_and_b32_e32 v5, 0xff, v2
	s_delay_alu instid0(VALU_DEP_2) | instskip(SKIP_1) | instid1(VALU_DEP_3)
	v_cvt_f32_f64_e32 v4, v[0:1]
	v_mul_lo_u32 v1, v3, s2
	v_cmp_gt_i16_e32 vcc_lo, 11, v5
	s_and_b32 vcc_lo, exec_lo, vcc_lo
	s_delay_alu instid0(VALU_DEP_2) | instskip(NEXT) | instid1(VALU_DEP_4)
	v_ashrrev_i32_e32 v2, 31, v1
	v_bfe_u32 v0, v4, 16, 1
	s_delay_alu instid0(VALU_DEP_1) | instskip(NEXT) | instid1(VALU_DEP_1)
	v_add3_u32 v0, v4, v0, 0x7fff
	v_lshrrev_b32_e32 v3, 16, v0
	v_add_co_u32 v0, s0, s4, v1
	s_delay_alu instid0(VALU_DEP_1) | instskip(SKIP_1) | instid1(VALU_DEP_1)
	v_add_co_ci_u32_e64 v1, s0, s5, v2, s0
	v_cmp_o_f32_e64 s0, v4, v4
	v_cndmask_b32_e64 v4, 0x7fc0, v3, s0
	s_cbranch_vccnz .LBB208_919
; %bb.913:
	v_cmp_lt_i16_e32 vcc_lo, 25, v5
	s_mov_b32 s12, -1
	s_mov_b32 s0, s9
	s_cbranch_vccz .LBB208_949
; %bb.914:
	v_cmp_lt_i16_e32 vcc_lo, 28, v5
	s_mov_b32 s0, s9
	s_cbranch_vccz .LBB208_933
; %bb.915:
	v_cmp_lt_i16_e32 vcc_lo, 43, v5
	;; [unrolled: 4-line block ×3, first 2 shown]
	s_mov_b32 s0, s9
	s_cbranch_vccz .LBB208_923
; %bb.917:
	v_cmp_eq_u16_e32 vcc_lo, 46, v5
	s_mov_b32 s0, -1
	s_cbranch_vccz .LBB208_922
; %bb.918:
	v_and_b32_e32 v2, 0xffff, v4
	s_mov_b32 s0, 0
	s_mov_b32 s12, 0
	global_store_b32 v[0:1], v2, off
	s_branch .LBB208_923
.LBB208_919:
	s_mov_b32 s12, -1
	s_mov_b32 s0, s9
	s_branch .LBB208_990
.LBB208_920:
	s_trap 2
	s_sendmsg_rtn_b32 s0, sendmsg(MSG_RTN_GET_DOORBELL)
	s_mov_b32 ttmp2, m0
	s_waitcnt lgkmcnt(0)
	s_and_b32 s0, s0, 0x3ff
	s_delay_alu instid0(SALU_CYCLE_1) | instskip(NEXT) | instid1(SALU_CYCLE_1)
	s_bitset1_b32 s0, 10
	s_mov_b32 m0, s0
	s_sendmsg sendmsg(MSG_INTERRUPT)
	s_mov_b32 m0, ttmp2
.LBB208_921:                            ; =>This Inner Loop Header: Depth=1
	s_sethalt 5
	s_branch .LBB208_921
.LBB208_922:
	s_mov_b32 s12, 0
.LBB208_923:
	s_delay_alu instid0(SALU_CYCLE_1)
	s_and_b32 vcc_lo, exec_lo, s12
	s_cbranch_vccz .LBB208_928
; %bb.924:
	v_cmp_eq_u16_e32 vcc_lo, 44, v5
	s_mov_b32 s0, -1
	s_cbranch_vccz .LBB208_928
; %bb.925:
	v_and_b32_e32 v2, 0xffff, v4
	v_mov_b32_e32 v3, 0xff
	s_mov_b32 s12, exec_lo
	s_delay_alu instid0(VALU_DEP_2) | instskip(NEXT) | instid1(VALU_DEP_1)
	v_bfe_u32 v6, v2, 7, 8
	v_cmpx_ne_u32_e32 0xff, v6
; %bb.926:
	v_lshlrev_b32_e32 v3, 16, v2
	v_and_b32_e32 v7, 64, v2
	v_lshrrev_b32_e32 v2, 7, v2
	s_delay_alu instid0(VALU_DEP_3) | instskip(NEXT) | instid1(VALU_DEP_3)
	v_and_or_b32 v3, 0x3f0000, v3, v6
	v_cmp_ne_u32_e32 vcc_lo, 0, v7
	s_delay_alu instid0(VALU_DEP_2) | instskip(NEXT) | instid1(VALU_DEP_1)
	v_cmp_ne_u32_e64 s0, 0, v3
	s_and_b32 s0, vcc_lo, s0
	s_delay_alu instid0(SALU_CYCLE_1) | instskip(NEXT) | instid1(VALU_DEP_1)
	v_cndmask_b32_e64 v3, 0, 1, s0
	v_add_nc_u32_e32 v3, v2, v3
; %bb.927:
	s_or_b32 exec_lo, exec_lo, s12
	s_mov_b32 s0, 0
	global_store_b8 v[0:1], v3, off
.LBB208_928:
	s_mov_b32 s12, 0
.LBB208_929:
	s_delay_alu instid0(SALU_CYCLE_1)
	s_and_b32 vcc_lo, exec_lo, s12
	s_cbranch_vccz .LBB208_932
; %bb.930:
	v_cmp_eq_u16_e32 vcc_lo, 29, v5
	s_mov_b32 s0, -1
	s_cbranch_vccz .LBB208_932
; %bb.931:
	v_lshlrev_b32_e32 v2, 16, v4
	s_mov_b32 s0, 0
	s_mov_b32 s12, 0
	s_delay_alu instid0(VALU_DEP_1) | instskip(NEXT) | instid1(VALU_DEP_1)
	v_trunc_f32_e32 v2, v2
	v_mul_f32_e32 v3, 0x2f800000, v2
	s_delay_alu instid0(VALU_DEP_1) | instskip(NEXT) | instid1(VALU_DEP_1)
	v_floor_f32_e32 v3, v3
	v_fmamk_f32 v2, v3, 0xcf800000, v2
	v_cvt_u32_f32_e32 v3, v3
	s_delay_alu instid0(VALU_DEP_2)
	v_cvt_u32_f32_e32 v2, v2
	global_store_b64 v[0:1], v[2:3], off
	s_branch .LBB208_933
.LBB208_932:
	s_mov_b32 s12, 0
.LBB208_933:
	s_delay_alu instid0(SALU_CYCLE_1)
	s_and_b32 vcc_lo, exec_lo, s12
	s_cbranch_vccz .LBB208_948
; %bb.934:
	v_cmp_gt_i16_e32 vcc_lo, 27, v5
	s_mov_b32 s12, -1
	s_cbranch_vccnz .LBB208_940
; %bb.935:
	v_cmp_lt_i16_e32 vcc_lo, 27, v5
	s_cbranch_vccz .LBB208_937
; %bb.936:
	v_lshlrev_b32_e32 v2, 16, v4
	s_mov_b32 s12, 0
	s_delay_alu instid0(VALU_DEP_1)
	v_cvt_u32_f32_e32 v2, v2
	global_store_b32 v[0:1], v2, off
.LBB208_937:
	s_and_not1_b32 vcc_lo, exec_lo, s12
	s_cbranch_vccnz .LBB208_939
; %bb.938:
	v_lshlrev_b32_e32 v2, 16, v4
	s_delay_alu instid0(VALU_DEP_1)
	v_cvt_u32_f32_e32 v2, v2
	global_store_b16 v[0:1], v2, off
.LBB208_939:
	s_mov_b32 s12, 0
.LBB208_940:
	s_delay_alu instid0(SALU_CYCLE_1)
	s_and_not1_b32 vcc_lo, exec_lo, s12
	s_cbranch_vccnz .LBB208_948
; %bb.941:
	v_dual_mov_b32 v7, 0x80 :: v_dual_lshlrev_b32 v6, 16, v4
	s_mov_b32 s12, exec_lo
	s_delay_alu instid0(VALU_DEP_1) | instskip(NEXT) | instid1(VALU_DEP_1)
	v_and_b32_e32 v3, 0x7fffffff, v6
	v_cmpx_gt_u32_e32 0x43800000, v3
	s_cbranch_execz .LBB208_947
; %bb.942:
	v_and_b32_e32 v2, 0xffff, v4
	v_cmp_lt_u32_e32 vcc_lo, 0x3bffffff, v3
                                        ; implicit-def: $vgpr3
	s_and_saveexec_b32 s14, vcc_lo
	s_delay_alu instid0(SALU_CYCLE_1)
	s_xor_b32 s14, exec_lo, s14
	s_cbranch_execz .LBB208_1182
; %bb.943:
	v_bfe_u32 v3, v2, 4, 1
	s_mov_b32 s13, exec_lo
	s_delay_alu instid0(VALU_DEP_1) | instskip(NEXT) | instid1(VALU_DEP_1)
	v_add3_u32 v3, v6, v3, 0x487ffff
                                        ; implicit-def: $vgpr6
	v_lshrrev_b32_e32 v3, 20, v3
	s_or_saveexec_b32 s14, s14
                                        ; implicit-def: $sgpr15
	s_delay_alu instid0(SALU_CYCLE_1)
	s_xor_b32 exec_lo, exec_lo, s14
	s_cbranch_execnz .LBB208_1183
.LBB208_944:
	s_or_b32 exec_lo, exec_lo, s14
	v_mov_b32_e32 v7, s15
	s_and_saveexec_b32 s14, s13
.LBB208_945:
	v_lshrrev_b32_e32 v2, 8, v2
	s_delay_alu instid0(VALU_DEP_1)
	v_and_or_b32 v7, 0x80, v2, v3
.LBB208_946:
	s_or_b32 exec_lo, exec_lo, s14
.LBB208_947:
	s_delay_alu instid0(SALU_CYCLE_1)
	s_or_b32 exec_lo, exec_lo, s12
	global_store_b8 v[0:1], v7, off
.LBB208_948:
	s_mov_b32 s12, 0
.LBB208_949:
	s_delay_alu instid0(SALU_CYCLE_1)
	s_and_b32 vcc_lo, exec_lo, s12
	s_mov_b32 s12, 0
	s_cbranch_vccz .LBB208_989
; %bb.950:
	v_cmp_lt_i16_e32 vcc_lo, 22, v5
	s_mov_b32 s13, -1
	s_cbranch_vccz .LBB208_982
; %bb.951:
	v_cmp_gt_i16_e32 vcc_lo, 24, v5
	s_cbranch_vccnz .LBB208_971
; %bb.952:
	v_cmp_lt_i16_e32 vcc_lo, 24, v5
	s_cbranch_vccz .LBB208_960
; %bb.953:
	v_dual_mov_b32 v7, 0x80 :: v_dual_lshlrev_b32 v6, 16, v4
	s_mov_b32 s13, exec_lo
	s_delay_alu instid0(VALU_DEP_1) | instskip(NEXT) | instid1(VALU_DEP_1)
	v_and_b32_e32 v3, 0x7fffffff, v6
	v_cmpx_gt_u32_e32 0x47800000, v3
	s_cbranch_execz .LBB208_959
; %bb.954:
	v_and_b32_e32 v2, 0xffff, v4
	v_cmp_lt_u32_e32 vcc_lo, 0x37ffffff, v3
	s_mov_b32 s14, 0
                                        ; implicit-def: $vgpr3
	s_and_saveexec_b32 s15, vcc_lo
	s_delay_alu instid0(SALU_CYCLE_1)
	s_xor_b32 s15, exec_lo, s15
	s_cbranch_execz .LBB208_1226
; %bb.955:
	v_bfe_u32 v3, v2, 5, 1
	s_mov_b32 s14, exec_lo
	s_delay_alu instid0(VALU_DEP_1) | instskip(NEXT) | instid1(VALU_DEP_1)
	v_add3_u32 v3, v6, v3, 0x88fffff
                                        ; implicit-def: $vgpr6
	v_lshrrev_b32_e32 v3, 21, v3
	s_or_saveexec_b32 s15, s15
                                        ; implicit-def: $sgpr16
	s_delay_alu instid0(SALU_CYCLE_1)
	s_xor_b32 exec_lo, exec_lo, s15
	s_cbranch_execnz .LBB208_1227
.LBB208_956:
	s_or_b32 exec_lo, exec_lo, s15
	v_mov_b32_e32 v7, s16
	s_and_saveexec_b32 s15, s14
.LBB208_957:
	v_lshrrev_b32_e32 v2, 8, v2
	s_delay_alu instid0(VALU_DEP_1)
	v_and_or_b32 v7, 0x80, v2, v3
.LBB208_958:
	s_or_b32 exec_lo, exec_lo, s15
.LBB208_959:
	s_delay_alu instid0(SALU_CYCLE_1)
	s_or_b32 exec_lo, exec_lo, s13
	s_mov_b32 s13, 0
	global_store_b8 v[0:1], v7, off
.LBB208_960:
	s_and_b32 vcc_lo, exec_lo, s13
	s_cbranch_vccz .LBB208_970
; %bb.961:
	v_lshlrev_b32_e32 v6, 16, v4
	v_and_b32_e32 v2, 0xffff, v4
	s_mov_b32 s13, exec_lo
                                        ; implicit-def: $vgpr3
	s_delay_alu instid0(VALU_DEP_2) | instskip(NEXT) | instid1(VALU_DEP_1)
	v_and_b32_e32 v7, 0x7fffffff, v6
	v_cmpx_gt_u32_e32 0x43f00000, v7
	s_xor_b32 s13, exec_lo, s13
	s_cbranch_execz .LBB208_967
; %bb.962:
	s_mov_b32 s14, exec_lo
                                        ; implicit-def: $vgpr3
	v_cmpx_lt_u32_e32 0x3c7fffff, v7
	s_xor_b32 s14, exec_lo, s14
; %bb.963:
	v_bfe_u32 v3, v2, 4, 1
	s_delay_alu instid0(VALU_DEP_1) | instskip(NEXT) | instid1(VALU_DEP_1)
	v_add3_u32 v3, v6, v3, 0x407ffff
	v_and_b32_e32 v6, 0xff00000, v3
	v_lshrrev_b32_e32 v3, 20, v3
	s_delay_alu instid0(VALU_DEP_2) | instskip(NEXT) | instid1(VALU_DEP_2)
	v_cmp_ne_u32_e32 vcc_lo, 0x7f00000, v6
                                        ; implicit-def: $vgpr6
	v_cndmask_b32_e32 v3, 0x7e, v3, vcc_lo
; %bb.964:
	s_and_not1_saveexec_b32 s14, s14
; %bb.965:
	v_add_f32_e64 v3, 0x46800000, |v6|
; %bb.966:
	s_or_b32 exec_lo, exec_lo, s14
                                        ; implicit-def: $vgpr7
.LBB208_967:
	s_and_not1_saveexec_b32 s13, s13
; %bb.968:
	v_mov_b32_e32 v3, 0x7f
	v_cmp_lt_u32_e32 vcc_lo, 0x7f800000, v7
	s_delay_alu instid0(VALU_DEP_2)
	v_cndmask_b32_e32 v3, 0x7e, v3, vcc_lo
; %bb.969:
	s_or_b32 exec_lo, exec_lo, s13
	v_lshrrev_b32_e32 v2, 8, v2
	s_delay_alu instid0(VALU_DEP_1)
	v_and_or_b32 v2, 0x80, v2, v3
	global_store_b8 v[0:1], v2, off
.LBB208_970:
	s_mov_b32 s13, 0
.LBB208_971:
	s_delay_alu instid0(SALU_CYCLE_1)
	s_and_not1_b32 vcc_lo, exec_lo, s13
	s_cbranch_vccnz .LBB208_981
; %bb.972:
	v_lshlrev_b32_e32 v6, 16, v4
	v_and_b32_e32 v2, 0xffff, v4
	s_mov_b32 s13, exec_lo
                                        ; implicit-def: $vgpr3
	s_delay_alu instid0(VALU_DEP_2) | instskip(NEXT) | instid1(VALU_DEP_1)
	v_and_b32_e32 v7, 0x7fffffff, v6
	v_cmpx_gt_u32_e32 0x47800000, v7
	s_xor_b32 s13, exec_lo, s13
	s_cbranch_execz .LBB208_978
; %bb.973:
	s_mov_b32 s14, exec_lo
                                        ; implicit-def: $vgpr3
	v_cmpx_lt_u32_e32 0x387fffff, v7
	s_xor_b32 s14, exec_lo, s14
; %bb.974:
	v_bfe_u32 v3, v2, 5, 1
	s_delay_alu instid0(VALU_DEP_1) | instskip(NEXT) | instid1(VALU_DEP_1)
	v_add3_u32 v3, v6, v3, 0x80fffff
                                        ; implicit-def: $vgpr6
	v_lshrrev_b32_e32 v3, 21, v3
; %bb.975:
	s_and_not1_saveexec_b32 s14, s14
; %bb.976:
	v_add_f32_e64 v3, 0x43000000, |v6|
; %bb.977:
	s_or_b32 exec_lo, exec_lo, s14
                                        ; implicit-def: $vgpr7
.LBB208_978:
	s_and_not1_saveexec_b32 s13, s13
; %bb.979:
	v_mov_b32_e32 v3, 0x7f
	v_cmp_lt_u32_e32 vcc_lo, 0x7f800000, v7
	s_delay_alu instid0(VALU_DEP_2)
	v_cndmask_b32_e32 v3, 0x7c, v3, vcc_lo
; %bb.980:
	s_or_b32 exec_lo, exec_lo, s13
	v_lshrrev_b32_e32 v2, 8, v2
	s_delay_alu instid0(VALU_DEP_1)
	v_and_or_b32 v2, 0x80, v2, v3
	global_store_b8 v[0:1], v2, off
.LBB208_981:
	s_mov_b32 s13, 0
.LBB208_982:
	s_delay_alu instid0(SALU_CYCLE_1)
	s_and_not1_b32 vcc_lo, exec_lo, s13
	s_mov_b32 s13, 0
	s_cbranch_vccnz .LBB208_990
; %bb.983:
	v_cmp_lt_i16_e32 vcc_lo, 14, v5
	s_mov_b32 s13, -1
	s_cbranch_vccz .LBB208_987
; %bb.984:
	v_cmp_eq_u16_e32 vcc_lo, 15, v5
	s_mov_b32 s0, -1
	s_cbranch_vccz .LBB208_986
; %bb.985:
	s_mov_b32 s0, 0
	global_store_b16 v[0:1], v4, off
.LBB208_986:
	s_mov_b32 s13, 0
.LBB208_987:
	s_delay_alu instid0(SALU_CYCLE_1)
	s_and_b32 vcc_lo, exec_lo, s13
	s_mov_b32 s13, 0
	s_cbranch_vccz .LBB208_990
; %bb.988:
	v_cmp_ne_u16_e32 vcc_lo, 11, v5
	s_and_not1_b32 s0, s0, exec_lo
	s_mov_b32 s13, -1
	s_and_b32 s14, vcc_lo, exec_lo
	s_delay_alu instid0(SALU_CYCLE_1)
	s_or_b32 s0, s0, s14
	s_branch .LBB208_990
.LBB208_989:
	s_mov_b32 s13, 0
.LBB208_990:
	s_and_not1_b32 s9, s9, exec_lo
	s_and_b32 s0, s0, exec_lo
	s_and_b32 s12, s12, exec_lo
	;; [unrolled: 1-line block ×3, first 2 shown]
	s_or_b32 s9, s9, s0
.LBB208_991:
	s_or_b32 exec_lo, exec_lo, s11
	s_and_saveexec_b32 s0, s9
	s_cbranch_execnz .LBB208_1053
; %bb.992:
	s_or_b32 exec_lo, exec_lo, s0
	s_and_saveexec_b32 s0, s13
	s_delay_alu instid0(SALU_CYCLE_1)
	s_xor_b32 s0, exec_lo, s0
	s_cbranch_execz .LBB208_994
.LBB208_993:
	v_and_b32_e32 v2, 0x7fff, v4
	s_delay_alu instid0(VALU_DEP_1)
	v_cmp_ne_u16_e32 vcc_lo, 0, v2
	v_cndmask_b32_e64 v2, 0, 1, vcc_lo
	global_store_b8 v[0:1], v2, off
.LBB208_994:
	s_or_b32 exec_lo, exec_lo, s0
	s_and_saveexec_b32 s0, s12
	s_delay_alu instid0(SALU_CYCLE_1)
	s_xor_b32 s0, exec_lo, s0
	s_cbranch_execz .LBB208_1032
; %bb.995:
	s_waitcnt vmcnt(0)
	v_cmp_gt_i16_e32 vcc_lo, 5, v5
	s_mov_b32 s9, -1
	s_cbranch_vccnz .LBB208_1016
; %bb.996:
	v_cmp_gt_i16_e32 vcc_lo, 8, v5
	s_cbranch_vccnz .LBB208_1006
; %bb.997:
	v_cmp_gt_i16_e32 vcc_lo, 9, v5
	s_cbranch_vccnz .LBB208_1003
; %bb.998:
	v_cmp_lt_i16_e32 vcc_lo, 9, v5
	s_cbranch_vccz .LBB208_1000
; %bb.999:
	v_mov_b32_e32 v8, 0
	v_lshlrev_b32_e32 v2, 16, v4
	s_mov_b32 s9, 0
	s_delay_alu instid0(VALU_DEP_2) | instskip(NEXT) | instid1(VALU_DEP_2)
	v_mov_b32_e32 v9, v8
	v_cvt_f64_f32_e32 v[6:7], v2
	global_store_b128 v[0:1], v[6:9], off
.LBB208_1000:
	s_and_not1_b32 vcc_lo, exec_lo, s9
	s_cbranch_vccnz .LBB208_1002
; %bb.1001:
	v_dual_mov_b32 v3, 0 :: v_dual_lshlrev_b32 v2, 16, v4
	global_store_b64 v[0:1], v[2:3], off
.LBB208_1002:
	s_mov_b32 s9, 0
.LBB208_1003:
	s_delay_alu instid0(SALU_CYCLE_1)
	s_and_not1_b32 vcc_lo, exec_lo, s9
	s_cbranch_vccnz .LBB208_1005
; %bb.1004:
	v_lshlrev_b32_e32 v2, 16, v4
	s_delay_alu instid0(VALU_DEP_1) | instskip(NEXT) | instid1(VALU_DEP_1)
	v_cvt_f16_f32_e32 v2, v2
	v_and_b32_e32 v2, 0xffff, v2
	global_store_b32 v[0:1], v2, off
.LBB208_1005:
	s_mov_b32 s9, 0
.LBB208_1006:
	s_delay_alu instid0(SALU_CYCLE_1)
	s_and_not1_b32 vcc_lo, exec_lo, s9
	s_cbranch_vccnz .LBB208_1015
; %bb.1007:
	v_cmp_gt_i16_e32 vcc_lo, 6, v5
	s_mov_b32 s9, -1
	s_cbranch_vccnz .LBB208_1013
; %bb.1008:
	v_cmp_lt_i16_e32 vcc_lo, 6, v5
	s_cbranch_vccz .LBB208_1010
; %bb.1009:
	v_lshlrev_b32_e32 v2, 16, v4
	s_mov_b32 s9, 0
	s_delay_alu instid0(VALU_DEP_1)
	v_cvt_f64_f32_e32 v[2:3], v2
	global_store_b64 v[0:1], v[2:3], off
.LBB208_1010:
	s_and_not1_b32 vcc_lo, exec_lo, s9
	s_cbranch_vccnz .LBB208_1012
; %bb.1011:
	v_lshlrev_b32_e32 v2, 16, v4
	global_store_b32 v[0:1], v2, off
.LBB208_1012:
	s_mov_b32 s9, 0
.LBB208_1013:
	s_delay_alu instid0(SALU_CYCLE_1)
	s_and_not1_b32 vcc_lo, exec_lo, s9
	s_cbranch_vccnz .LBB208_1015
; %bb.1014:
	v_lshlrev_b32_e32 v2, 16, v4
	s_delay_alu instid0(VALU_DEP_1)
	v_cvt_f16_f32_e32 v2, v2
	global_store_b16 v[0:1], v2, off
.LBB208_1015:
	s_mov_b32 s9, 0
.LBB208_1016:
	s_delay_alu instid0(SALU_CYCLE_1)
	s_and_not1_b32 vcc_lo, exec_lo, s9
	s_cbranch_vccnz .LBB208_1032
; %bb.1017:
	v_cmp_gt_i16_e32 vcc_lo, 2, v5
	s_mov_b32 s9, -1
	s_cbranch_vccnz .LBB208_1027
; %bb.1018:
	v_cmp_gt_i16_e32 vcc_lo, 3, v5
	s_cbranch_vccnz .LBB208_1024
; %bb.1019:
	v_cmp_lt_i16_e32 vcc_lo, 3, v5
	s_cbranch_vccz .LBB208_1021
; %bb.1020:
	v_lshlrev_b32_e32 v2, 16, v4
	s_mov_b32 s9, 0
	s_delay_alu instid0(VALU_DEP_1) | instskip(NEXT) | instid1(VALU_DEP_1)
	v_trunc_f32_e32 v2, v2
	v_mul_f32_e64 v3, 0x2f800000, |v2|
	v_ashrrev_i32_e32 v7, 31, v2
	s_delay_alu instid0(VALU_DEP_2) | instskip(NEXT) | instid1(VALU_DEP_1)
	v_floor_f32_e32 v3, v3
	v_fma_f32 v6, 0xcf800000, v3, |v2|
	v_cvt_u32_f32_e32 v3, v3
	s_delay_alu instid0(VALU_DEP_2) | instskip(NEXT) | instid1(VALU_DEP_2)
	v_cvt_u32_f32_e32 v2, v6
	v_xor_b32_e32 v3, v3, v7
	s_delay_alu instid0(VALU_DEP_2) | instskip(NEXT) | instid1(VALU_DEP_1)
	v_xor_b32_e32 v2, v2, v7
	v_sub_co_u32 v2, vcc_lo, v2, v7
	s_delay_alu instid0(VALU_DEP_3)
	v_sub_co_ci_u32_e32 v3, vcc_lo, v3, v7, vcc_lo
	global_store_b64 v[0:1], v[2:3], off
.LBB208_1021:
	s_and_not1_b32 vcc_lo, exec_lo, s9
	s_cbranch_vccnz .LBB208_1023
; %bb.1022:
	v_lshlrev_b32_e32 v2, 16, v4
	s_delay_alu instid0(VALU_DEP_1)
	v_cvt_i32_f32_e32 v2, v2
	global_store_b32 v[0:1], v2, off
.LBB208_1023:
	s_mov_b32 s9, 0
.LBB208_1024:
	s_delay_alu instid0(SALU_CYCLE_1)
	s_and_not1_b32 vcc_lo, exec_lo, s9
	s_cbranch_vccnz .LBB208_1026
; %bb.1025:
	v_lshlrev_b32_e32 v2, 16, v4
	s_delay_alu instid0(VALU_DEP_1)
	v_cvt_i32_f32_e32 v2, v2
	global_store_b16 v[0:1], v2, off
.LBB208_1026:
	s_mov_b32 s9, 0
.LBB208_1027:
	s_delay_alu instid0(SALU_CYCLE_1)
	s_and_not1_b32 vcc_lo, exec_lo, s9
	s_cbranch_vccnz .LBB208_1032
; %bb.1028:
	v_cmp_lt_i16_e32 vcc_lo, 0, v5
	s_mov_b32 s9, -1
	s_cbranch_vccz .LBB208_1030
; %bb.1029:
	v_lshlrev_b32_e32 v2, 16, v4
	s_mov_b32 s9, 0
	s_delay_alu instid0(VALU_DEP_1)
	v_cvt_i32_f32_e32 v2, v2
	global_store_b8 v[0:1], v2, off
.LBB208_1030:
	s_and_not1_b32 vcc_lo, exec_lo, s9
	s_cbranch_vccnz .LBB208_1032
; %bb.1031:
	v_lshlrev_b32_e32 v2, 16, v4
	s_delay_alu instid0(VALU_DEP_1) | instskip(NEXT) | instid1(VALU_DEP_1)
	v_trunc_f32_e32 v2, v2
	v_mul_f32_e64 v3, 0x2f800000, |v2|
	s_delay_alu instid0(VALU_DEP_1) | instskip(NEXT) | instid1(VALU_DEP_1)
	v_floor_f32_e32 v3, v3
	v_fma_f32 v3, 0xcf800000, v3, |v2|
	v_ashrrev_i32_e32 v2, 31, v2
	s_delay_alu instid0(VALU_DEP_2) | instskip(NEXT) | instid1(VALU_DEP_1)
	v_cvt_u32_f32_e32 v3, v3
	v_xor_b32_e32 v3, v3, v2
	s_delay_alu instid0(VALU_DEP_1)
	v_sub_nc_u32_e32 v2, v3, v2
	global_store_b8 v[0:1], v2, off
.LBB208_1032:
	s_or_b32 exec_lo, exec_lo, s0
	s_delay_alu instid0(SALU_CYCLE_1)
	s_and_b32 s9, s10, exec_lo
                                        ; implicit-def: $vgpr3
                                        ; implicit-def: $vgpr4
                                        ; implicit-def: $vgpr2
.LBB208_1033:
	s_or_saveexec_b32 s8, s8
	s_mov_b32 s0, 0
                                        ; implicit-def: $vgpr5
                                        ; implicit-def: $vgpr0_vgpr1
                                        ; implicit-def: $vgpr6
	s_xor_b32 exec_lo, exec_lo, s8
	s_cbranch_execz .LBB208_1998
; %bb.1034:
	s_waitcnt vmcnt(0)
	v_mul_lo_u32 v6, s3, v3
	v_cmp_gt_i16_e32 vcc_lo, 11, v4
	s_delay_alu instid0(VALU_DEP_2) | instskip(SKIP_1) | instid1(VALU_DEP_1)
	v_ashrrev_i32_e32 v1, 31, v6
	v_add_co_u32 v0, s0, s6, v6
	v_add_co_ci_u32_e64 v1, s0, s7, v1, s0
	s_cbranch_vccnz .LBB208_1041
; %bb.1035:
	v_cmp_lt_i16_e32 vcc_lo, 25, v4
	s_mov_b32 s10, 0
	s_cbranch_vccz .LBB208_1047
; %bb.1036:
	v_cmp_lt_i16_e32 vcc_lo, 28, v4
	s_cbranch_vccz .LBB208_1049
; %bb.1037:
	v_cmp_lt_i16_e32 vcc_lo, 43, v4
	;; [unrolled: 3-line block ×3, first 2 shown]
	s_cbranch_vccz .LBB208_1055
; %bb.1039:
	v_cmp_eq_u16_e32 vcc_lo, 46, v4
	s_cbranch_vccz .LBB208_1095
; %bb.1040:
	global_load_b32 v5, v[0:1], off
	s_mov_b32 s0, 0
	s_mov_b32 s11, -1
	s_branch .LBB208_1097
.LBB208_1041:
	s_mov_b32 s11, 0
	s_mov_b32 s1, s9
                                        ; implicit-def: $vgpr5
	s_cbranch_execz .LBB208_1160
; %bb.1042:
	v_cmp_gt_i16_e32 vcc_lo, 5, v4
	s_cbranch_vccnz .LBB208_1048
; %bb.1043:
	v_cmp_gt_i16_e32 vcc_lo, 8, v4
	s_cbranch_vccnz .LBB208_1050
	;; [unrolled: 3-line block ×3, first 2 shown]
; %bb.1045:
	v_cmp_lt_i16_e32 vcc_lo, 9, v4
	s_cbranch_vccz .LBB208_1056
; %bb.1046:
	global_load_b64 v[7:8], v[0:1], off
	s_mov_b32 s0, 0
	s_waitcnt vmcnt(0)
	v_cvt_f32_f64_e32 v5, v[7:8]
	s_delay_alu instid0(VALU_DEP_1) | instskip(SKIP_1) | instid1(VALU_DEP_2)
	v_bfe_u32 v7, v5, 16, 1
	v_cmp_o_f32_e32 vcc_lo, v5, v5
	v_add3_u32 v7, v5, v7, 0x7fff
	s_delay_alu instid0(VALU_DEP_1) | instskip(NEXT) | instid1(VALU_DEP_1)
	v_lshrrev_b32_e32 v7, 16, v7
	v_cndmask_b32_e32 v5, 0x7fc0, v7, vcc_lo
	s_branch .LBB208_1057
.LBB208_1047:
	s_mov_b32 s11, 0
	s_mov_b32 s0, 0
                                        ; implicit-def: $vgpr5
	s_cbranch_execnz .LBB208_1125
	s_branch .LBB208_1156
.LBB208_1048:
                                        ; implicit-def: $vgpr5
	s_branch .LBB208_1074
.LBB208_1049:
	s_mov_b32 s1, -1
	s_mov_b32 s11, 0
	s_mov_b32 s0, 0
                                        ; implicit-def: $vgpr5
	s_branch .LBB208_1106
.LBB208_1050:
                                        ; implicit-def: $vgpr5
	s_branch .LBB208_1063
.LBB208_1051:
	s_mov_b32 s11, 0
	s_mov_b32 s0, 0
                                        ; implicit-def: $vgpr5
	s_cbranch_execnz .LBB208_1102
	s_branch .LBB208_1105
.LBB208_1052:
	s_mov_b32 s0, -1
                                        ; implicit-def: $vgpr5
	s_branch .LBB208_1060
.LBB208_1053:
	s_cbranch_execnz .LBB208_1093
; %bb.1054:
	s_or_b32 s10, s10, exec_lo
	s_and_not1_b32 s13, s13, exec_lo
	s_or_b32 exec_lo, exec_lo, s0
	s_and_saveexec_b32 s0, s13
	s_delay_alu instid0(SALU_CYCLE_1)
	s_xor_b32 s0, exec_lo, s0
	s_cbranch_execnz .LBB208_993
	s_branch .LBB208_994
.LBB208_1055:
	s_mov_b32 s1, -1
	s_mov_b32 s11, 0
	s_mov_b32 s0, 0
	s_branch .LBB208_1096
.LBB208_1056:
	s_mov_b32 s0, -1
                                        ; implicit-def: $vgpr5
.LBB208_1057:
	s_delay_alu instid0(SALU_CYCLE_1)
	s_and_not1_b32 vcc_lo, exec_lo, s0
	s_cbranch_vccnz .LBB208_1059
; %bb.1058:
	global_load_b32 v5, v[0:1], off
	s_waitcnt vmcnt(0)
	v_bfe_u32 v7, v5, 16, 1
	v_cmp_o_f32_e32 vcc_lo, v5, v5
	s_delay_alu instid0(VALU_DEP_2) | instskip(NEXT) | instid1(VALU_DEP_1)
	v_add3_u32 v7, v5, v7, 0x7fff
	v_lshrrev_b32_e32 v7, 16, v7
	s_delay_alu instid0(VALU_DEP_1)
	v_cndmask_b32_e32 v5, 0x7fc0, v7, vcc_lo
.LBB208_1059:
	s_mov_b32 s0, 0
.LBB208_1060:
	s_delay_alu instid0(SALU_CYCLE_1)
	s_and_not1_b32 vcc_lo, exec_lo, s0
	s_cbranch_vccnz .LBB208_1062
; %bb.1061:
	global_load_b32 v5, v[0:1], off
	s_waitcnt vmcnt(0)
	v_cvt_f32_f16_e32 v7, v5
	v_cmp_o_f16_e32 vcc_lo, v5, v5
	s_delay_alu instid0(VALU_DEP_2) | instskip(NEXT) | instid1(VALU_DEP_1)
	v_bfe_u32 v8, v7, 16, 1
	v_add3_u32 v7, v7, v8, 0x7fff
	s_delay_alu instid0(VALU_DEP_1) | instskip(NEXT) | instid1(VALU_DEP_1)
	v_lshrrev_b32_e32 v7, 16, v7
	v_cndmask_b32_e32 v5, 0x7fc0, v7, vcc_lo
.LBB208_1062:
	s_cbranch_execnz .LBB208_1073
.LBB208_1063:
	v_cmp_gt_i16_e32 vcc_lo, 6, v4
	s_cbranch_vccnz .LBB208_1066
; %bb.1064:
	v_cmp_lt_i16_e32 vcc_lo, 6, v4
	s_cbranch_vccz .LBB208_1067
; %bb.1065:
	global_load_b64 v[7:8], v[0:1], off
	s_mov_b32 s0, 0
	s_waitcnt vmcnt(0)
	v_cvt_f32_f64_e32 v5, v[7:8]
	s_delay_alu instid0(VALU_DEP_1) | instskip(SKIP_1) | instid1(VALU_DEP_2)
	v_bfe_u32 v7, v5, 16, 1
	v_cmp_o_f32_e32 vcc_lo, v5, v5
	v_add3_u32 v7, v5, v7, 0x7fff
	s_delay_alu instid0(VALU_DEP_1) | instskip(NEXT) | instid1(VALU_DEP_1)
	v_lshrrev_b32_e32 v7, 16, v7
	v_cndmask_b32_e32 v5, 0x7fc0, v7, vcc_lo
	s_branch .LBB208_1068
.LBB208_1066:
	s_mov_b32 s0, -1
                                        ; implicit-def: $vgpr5
	s_branch .LBB208_1071
.LBB208_1067:
	s_mov_b32 s0, -1
                                        ; implicit-def: $vgpr5
.LBB208_1068:
	s_delay_alu instid0(SALU_CYCLE_1)
	s_and_not1_b32 vcc_lo, exec_lo, s0
	s_cbranch_vccnz .LBB208_1070
; %bb.1069:
	global_load_b32 v5, v[0:1], off
	s_waitcnt vmcnt(0)
	v_bfe_u32 v7, v5, 16, 1
	v_cmp_o_f32_e32 vcc_lo, v5, v5
	s_delay_alu instid0(VALU_DEP_2) | instskip(NEXT) | instid1(VALU_DEP_1)
	v_add3_u32 v7, v5, v7, 0x7fff
	v_lshrrev_b32_e32 v7, 16, v7
	s_delay_alu instid0(VALU_DEP_1)
	v_cndmask_b32_e32 v5, 0x7fc0, v7, vcc_lo
.LBB208_1070:
	s_mov_b32 s0, 0
.LBB208_1071:
	s_delay_alu instid0(SALU_CYCLE_1)
	s_and_not1_b32 vcc_lo, exec_lo, s0
	s_cbranch_vccnz .LBB208_1073
; %bb.1072:
	global_load_u16 v5, v[0:1], off
	s_waitcnt vmcnt(0)
	v_cvt_f32_f16_e32 v7, v5
	v_cmp_o_f16_e32 vcc_lo, v5, v5
	s_delay_alu instid0(VALU_DEP_2) | instskip(NEXT) | instid1(VALU_DEP_1)
	v_bfe_u32 v8, v7, 16, 1
	v_add3_u32 v7, v7, v8, 0x7fff
	s_delay_alu instid0(VALU_DEP_1) | instskip(NEXT) | instid1(VALU_DEP_1)
	v_lshrrev_b32_e32 v7, 16, v7
	v_cndmask_b32_e32 v5, 0x7fc0, v7, vcc_lo
.LBB208_1073:
	s_cbranch_execnz .LBB208_1092
.LBB208_1074:
	v_cmp_gt_i16_e32 vcc_lo, 2, v4
	s_cbranch_vccnz .LBB208_1078
; %bb.1075:
	v_cmp_gt_i16_e32 vcc_lo, 3, v4
	s_cbranch_vccnz .LBB208_1079
; %bb.1076:
	v_cmp_lt_i16_e32 vcc_lo, 3, v4
	s_cbranch_vccz .LBB208_1080
; %bb.1077:
	global_load_b64 v[7:8], v[0:1], off
	s_mov_b32 s0, 0
	s_waitcnt vmcnt(0)
	v_xor_b32_e32 v5, v7, v8
	v_cls_i32_e32 v9, v8
	s_delay_alu instid0(VALU_DEP_2) | instskip(NEXT) | instid1(VALU_DEP_2)
	v_ashrrev_i32_e32 v5, 31, v5
	v_add_nc_u32_e32 v9, -1, v9
	s_delay_alu instid0(VALU_DEP_2) | instskip(NEXT) | instid1(VALU_DEP_1)
	v_add_nc_u32_e32 v5, 32, v5
	v_min_u32_e32 v5, v9, v5
	s_delay_alu instid0(VALU_DEP_1) | instskip(SKIP_1) | instid1(VALU_DEP_2)
	v_lshlrev_b64 v[7:8], v5, v[7:8]
	v_sub_nc_u32_e32 v5, 32, v5
	v_min_u32_e32 v7, 1, v7
	s_delay_alu instid0(VALU_DEP_1) | instskip(NEXT) | instid1(VALU_DEP_1)
	v_or_b32_e32 v7, v8, v7
	v_cvt_f32_i32_e32 v7, v7
	s_delay_alu instid0(VALU_DEP_1) | instskip(NEXT) | instid1(VALU_DEP_1)
	v_ldexp_f32 v5, v7, v5
	v_bfe_u32 v7, v5, 16, 1
	s_delay_alu instid0(VALU_DEP_1) | instskip(NEXT) | instid1(VALU_DEP_1)
	v_add3_u32 v5, v5, v7, 0x7fff
	v_lshrrev_b32_e32 v5, 16, v5
	s_branch .LBB208_1081
.LBB208_1078:
                                        ; implicit-def: $vgpr5
	s_branch .LBB208_1087
.LBB208_1079:
	s_mov_b32 s0, -1
                                        ; implicit-def: $vgpr5
	s_branch .LBB208_1084
.LBB208_1080:
	s_mov_b32 s0, -1
                                        ; implicit-def: $vgpr5
.LBB208_1081:
	s_delay_alu instid0(SALU_CYCLE_1)
	s_and_not1_b32 vcc_lo, exec_lo, s0
	s_cbranch_vccnz .LBB208_1083
; %bb.1082:
	global_load_b32 v5, v[0:1], off
	s_waitcnt vmcnt(0)
	v_cvt_f32_i32_e32 v5, v5
	s_delay_alu instid0(VALU_DEP_1) | instskip(NEXT) | instid1(VALU_DEP_1)
	v_bfe_u32 v7, v5, 16, 1
	v_add3_u32 v5, v5, v7, 0x7fff
	s_delay_alu instid0(VALU_DEP_1)
	v_lshrrev_b32_e32 v5, 16, v5
.LBB208_1083:
	s_mov_b32 s0, 0
.LBB208_1084:
	s_delay_alu instid0(SALU_CYCLE_1)
	s_and_not1_b32 vcc_lo, exec_lo, s0
	s_cbranch_vccnz .LBB208_1086
; %bb.1085:
	global_load_i16 v5, v[0:1], off
	s_waitcnt vmcnt(0)
	v_cvt_f32_i32_e32 v5, v5
	s_delay_alu instid0(VALU_DEP_1) | instskip(NEXT) | instid1(VALU_DEP_1)
	v_bfe_u32 v7, v5, 16, 1
	v_add3_u32 v5, v5, v7, 0x7fff
	s_delay_alu instid0(VALU_DEP_1)
	v_lshrrev_b32_e32 v5, 16, v5
.LBB208_1086:
	s_cbranch_execnz .LBB208_1092
.LBB208_1087:
	v_cmp_lt_i16_e32 vcc_lo, 0, v4
	s_mov_b32 s0, 0
	s_cbranch_vccz .LBB208_1089
; %bb.1088:
	global_load_i8 v5, v[0:1], off
	s_waitcnt vmcnt(0)
	v_cvt_f32_i32_e32 v5, v5
	s_delay_alu instid0(VALU_DEP_1) | instskip(NEXT) | instid1(VALU_DEP_1)
	v_bfe_u32 v7, v5, 16, 1
	v_add3_u32 v5, v5, v7, 0x7fff
	s_delay_alu instid0(VALU_DEP_1)
	v_lshrrev_b32_e32 v5, 16, v5
	s_branch .LBB208_1090
.LBB208_1089:
	s_mov_b32 s0, -1
                                        ; implicit-def: $vgpr5
.LBB208_1090:
	s_delay_alu instid0(SALU_CYCLE_1)
	s_and_not1_b32 vcc_lo, exec_lo, s0
	s_cbranch_vccnz .LBB208_1092
; %bb.1091:
	global_load_u8 v0, v[0:1], off
	s_waitcnt vmcnt(0)
	v_cvt_f32_ubyte0_e32 v0, v0
	s_delay_alu instid0(VALU_DEP_1) | instskip(NEXT) | instid1(VALU_DEP_1)
	v_bfe_u32 v1, v0, 16, 1
	v_add3_u32 v0, v0, v1, 0x7fff
	s_delay_alu instid0(VALU_DEP_1)
	v_lshrrev_b32_e32 v5, 16, v0
.LBB208_1092:
	s_branch .LBB208_1161
.LBB208_1093:
	s_trap 2
	s_sendmsg_rtn_b32 s0, sendmsg(MSG_RTN_GET_DOORBELL)
	s_mov_b32 ttmp2, m0
	s_waitcnt lgkmcnt(0)
	s_and_b32 s0, s0, 0x3ff
	s_delay_alu instid0(SALU_CYCLE_1) | instskip(NEXT) | instid1(SALU_CYCLE_1)
	s_bitset1_b32 s0, 10
	s_mov_b32 m0, s0
	s_sendmsg sendmsg(MSG_INTERRUPT)
	s_mov_b32 m0, ttmp2
.LBB208_1094:                           ; =>This Inner Loop Header: Depth=1
	s_sethalt 5
	s_branch .LBB208_1094
.LBB208_1095:
	s_mov_b32 s0, -1
	s_mov_b32 s11, 0
.LBB208_1096:
                                        ; implicit-def: $vgpr5
.LBB208_1097:
	s_and_b32 vcc_lo, exec_lo, s1
	s_cbranch_vccz .LBB208_1100
; %bb.1098:
	v_cmp_eq_u16_e32 vcc_lo, 44, v4
	s_cbranch_vccz .LBB208_1101
; %bb.1099:
	global_load_u8 v5, v[0:1], off
	s_mov_b32 s0, 0
	s_mov_b32 s11, -1
	s_waitcnt vmcnt(0)
	v_lshlrev_b32_e32 v7, 23, v5
	v_cmp_ne_u32_e32 vcc_lo, 0xff, v5
	s_delay_alu instid0(VALU_DEP_2) | instskip(SKIP_1) | instid1(VALU_DEP_2)
	v_cndmask_b32_e32 v7, 0x7f800001, v7, vcc_lo
	v_cmp_ne_u32_e32 vcc_lo, 0, v5
	v_cndmask_b32_e32 v5, 0x400000, v7, vcc_lo
	s_delay_alu instid0(VALU_DEP_1) | instskip(SKIP_1) | instid1(VALU_DEP_2)
	v_add_nc_u32_e32 v7, 0x7fff, v5
	v_cmp_o_f32_e32 vcc_lo, v5, v5
	v_lshrrev_b32_e32 v7, 16, v7
	s_delay_alu instid0(VALU_DEP_1)
	v_cndmask_b32_e32 v5, 0x7fc0, v7, vcc_lo
.LBB208_1100:
	s_branch .LBB208_1105
.LBB208_1101:
	s_mov_b32 s0, -1
                                        ; implicit-def: $vgpr5
	s_branch .LBB208_1105
.LBB208_1102:
	v_cmp_eq_u16_e32 vcc_lo, 29, v4
	s_cbranch_vccz .LBB208_1104
; %bb.1103:
	global_load_b64 v[7:8], v[0:1], off
	s_mov_b32 s0, 0
	s_mov_b32 s11, -1
	s_mov_b32 s1, 0
	s_waitcnt vmcnt(0)
	v_clz_i32_u32_e32 v5, v8
	s_delay_alu instid0(VALU_DEP_1) | instskip(NEXT) | instid1(VALU_DEP_1)
	v_min_u32_e32 v5, 32, v5
	v_lshlrev_b64 v[7:8], v5, v[7:8]
	v_sub_nc_u32_e32 v5, 32, v5
	s_delay_alu instid0(VALU_DEP_2) | instskip(NEXT) | instid1(VALU_DEP_1)
	v_min_u32_e32 v7, 1, v7
	v_or_b32_e32 v7, v8, v7
	s_delay_alu instid0(VALU_DEP_1) | instskip(NEXT) | instid1(VALU_DEP_1)
	v_cvt_f32_u32_e32 v7, v7
	v_ldexp_f32 v5, v7, v5
	s_delay_alu instid0(VALU_DEP_1) | instskip(NEXT) | instid1(VALU_DEP_1)
	v_bfe_u32 v7, v5, 16, 1
	v_add3_u32 v5, v5, v7, 0x7fff
	s_delay_alu instid0(VALU_DEP_1)
	v_lshrrev_b32_e32 v5, 16, v5
	s_branch .LBB208_1106
.LBB208_1104:
	s_mov_b32 s0, -1
                                        ; implicit-def: $vgpr5
.LBB208_1105:
	s_mov_b32 s1, 0
.LBB208_1106:
	s_delay_alu instid0(SALU_CYCLE_1)
	s_and_b32 vcc_lo, exec_lo, s1
	s_cbranch_vccz .LBB208_1124
; %bb.1107:
	v_cmp_gt_i16_e32 vcc_lo, 27, v4
	s_cbranch_vccnz .LBB208_1110
; %bb.1108:
	v_cmp_lt_i16_e32 vcc_lo, 27, v4
	s_cbranch_vccz .LBB208_1111
; %bb.1109:
	global_load_b32 v5, v[0:1], off
	s_mov_b32 s1, 0
	s_waitcnt vmcnt(0)
	v_cvt_f32_u32_e32 v5, v5
	s_delay_alu instid0(VALU_DEP_1) | instskip(NEXT) | instid1(VALU_DEP_1)
	v_bfe_u32 v7, v5, 16, 1
	v_add3_u32 v5, v5, v7, 0x7fff
	s_delay_alu instid0(VALU_DEP_1)
	v_lshrrev_b32_e32 v5, 16, v5
	s_branch .LBB208_1112
.LBB208_1110:
	s_mov_b32 s1, -1
                                        ; implicit-def: $vgpr5
	s_branch .LBB208_1115
.LBB208_1111:
	s_mov_b32 s1, -1
                                        ; implicit-def: $vgpr5
.LBB208_1112:
	s_delay_alu instid0(SALU_CYCLE_1)
	s_and_not1_b32 vcc_lo, exec_lo, s1
	s_cbranch_vccnz .LBB208_1114
; %bb.1113:
	global_load_u16 v5, v[0:1], off
	s_waitcnt vmcnt(0)
	v_cvt_f32_u32_e32 v5, v5
	s_delay_alu instid0(VALU_DEP_1) | instskip(NEXT) | instid1(VALU_DEP_1)
	v_bfe_u32 v7, v5, 16, 1
	v_add3_u32 v5, v5, v7, 0x7fff
	s_delay_alu instid0(VALU_DEP_1)
	v_lshrrev_b32_e32 v5, 16, v5
.LBB208_1114:
	s_mov_b32 s1, 0
.LBB208_1115:
	s_delay_alu instid0(SALU_CYCLE_1)
	s_and_not1_b32 vcc_lo, exec_lo, s1
	s_cbranch_vccnz .LBB208_1123
; %bb.1116:
	global_load_u8 v5, v[0:1], off
	s_mov_b32 s1, 0
	s_mov_b32 s12, exec_lo
                                        ; implicit-def: $sgpr11
	s_waitcnt vmcnt(0)
	v_cmpx_lt_i16_e32 0x7f, v5
	s_xor_b32 s12, exec_lo, s12
	s_cbranch_execz .LBB208_1136
; %bb.1117:
	s_mov_b32 s1, -1
	s_mov_b32 s13, exec_lo
                                        ; implicit-def: $sgpr11
	v_cmpx_eq_u16_e32 0x80, v5
; %bb.1118:
	s_mov_b32 s11, 0x7f800001
	s_xor_b32 s1, exec_lo, -1
; %bb.1119:
	s_or_b32 exec_lo, exec_lo, s13
	s_delay_alu instid0(SALU_CYCLE_1)
	s_and_b32 s1, s1, exec_lo
	s_or_saveexec_b32 s12, s12
	v_mov_b32_e32 v7, s11
	s_xor_b32 exec_lo, exec_lo, s12
	s_cbranch_execnz .LBB208_1137
.LBB208_1120:
	s_or_b32 exec_lo, exec_lo, s12
	s_and_saveexec_b32 s11, s1
	s_cbranch_execz .LBB208_1122
.LBB208_1121:
	v_and_b32_e32 v7, 0xffff, v5
	v_lshlrev_b32_e32 v5, 24, v5
	s_delay_alu instid0(VALU_DEP_2) | instskip(NEXT) | instid1(VALU_DEP_2)
	v_and_b32_e32 v8, 7, v7
	v_and_b32_e32 v5, 0x80000000, v5
	s_delay_alu instid0(VALU_DEP_2) | instskip(NEXT) | instid1(VALU_DEP_1)
	v_clz_i32_u32_e32 v9, v8
	v_min_u32_e32 v9, 32, v9
	s_delay_alu instid0(VALU_DEP_1) | instskip(SKIP_1) | instid1(VALU_DEP_2)
	v_subrev_nc_u32_e32 v10, 28, v9
	v_sub_nc_u32_e32 v9, 29, v9
	v_lshlrev_b32_e32 v10, v10, v7
	v_bfe_u32 v7, v7, 3, 4
	s_delay_alu instid0(VALU_DEP_2) | instskip(NEXT) | instid1(VALU_DEP_2)
	v_and_b32_e32 v10, 7, v10
	v_cmp_eq_u32_e32 vcc_lo, 0, v7
	s_delay_alu instid0(VALU_DEP_2) | instskip(NEXT) | instid1(VALU_DEP_1)
	v_dual_cndmask_b32 v7, v7, v9 :: v_dual_cndmask_b32 v8, v8, v10
	v_lshl_add_u32 v7, v7, 23, 0x3b800000
	s_delay_alu instid0(VALU_DEP_2) | instskip(NEXT) | instid1(VALU_DEP_1)
	v_lshlrev_b32_e32 v8, 20, v8
	v_or3_b32 v7, v5, v7, v8
.LBB208_1122:
	s_or_b32 exec_lo, exec_lo, s11
	s_delay_alu instid0(VALU_DEP_1) | instskip(SKIP_1) | instid1(VALU_DEP_2)
	v_bfe_u32 v5, v7, 16, 1
	v_cmp_o_f32_e32 vcc_lo, v7, v7
	v_add3_u32 v5, v7, v5, 0x7fff
	s_delay_alu instid0(VALU_DEP_1) | instskip(NEXT) | instid1(VALU_DEP_1)
	v_lshrrev_b32_e32 v5, 16, v5
	v_cndmask_b32_e32 v5, 0x7fc0, v5, vcc_lo
.LBB208_1123:
	s_mov_b32 s11, -1
.LBB208_1124:
	s_branch .LBB208_1156
.LBB208_1125:
	v_cmp_lt_i16_e32 vcc_lo, 22, v4
	s_cbranch_vccz .LBB208_1135
; %bb.1126:
	v_cmp_gt_i16_e32 vcc_lo, 24, v4
	s_cbranch_vccnz .LBB208_1138
; %bb.1127:
	v_cmp_lt_i16_e32 vcc_lo, 24, v4
	s_cbranch_vccz .LBB208_1139
; %bb.1128:
	global_load_u8 v5, v[0:1], off
	s_mov_b32 s1, 0
	s_mov_b32 s11, exec_lo
                                        ; implicit-def: $sgpr10
	s_waitcnt vmcnt(0)
	v_cmpx_lt_i16_e32 0x7f, v5
	s_xor_b32 s11, exec_lo, s11
	s_cbranch_execz .LBB208_1150
; %bb.1129:
	s_mov_b32 s1, -1
	s_mov_b32 s12, exec_lo
                                        ; implicit-def: $sgpr10
	v_cmpx_eq_u16_e32 0x80, v5
; %bb.1130:
	s_mov_b32 s10, 0x7f800001
	s_xor_b32 s1, exec_lo, -1
; %bb.1131:
	s_or_b32 exec_lo, exec_lo, s12
	s_delay_alu instid0(SALU_CYCLE_1)
	s_and_b32 s1, s1, exec_lo
	s_or_saveexec_b32 s11, s11
	v_mov_b32_e32 v7, s10
	s_xor_b32 exec_lo, exec_lo, s11
	s_cbranch_execnz .LBB208_1151
.LBB208_1132:
	s_or_b32 exec_lo, exec_lo, s11
	s_and_saveexec_b32 s10, s1
	s_cbranch_execz .LBB208_1134
.LBB208_1133:
	v_and_b32_e32 v7, 0xffff, v5
	v_lshlrev_b32_e32 v5, 24, v5
	s_delay_alu instid0(VALU_DEP_2) | instskip(NEXT) | instid1(VALU_DEP_2)
	v_and_b32_e32 v8, 3, v7
	v_and_b32_e32 v5, 0x80000000, v5
	s_delay_alu instid0(VALU_DEP_2) | instskip(NEXT) | instid1(VALU_DEP_1)
	v_clz_i32_u32_e32 v9, v8
	v_min_u32_e32 v9, 32, v9
	s_delay_alu instid0(VALU_DEP_1) | instskip(SKIP_1) | instid1(VALU_DEP_2)
	v_subrev_nc_u32_e32 v10, 29, v9
	v_sub_nc_u32_e32 v9, 30, v9
	v_lshlrev_b32_e32 v10, v10, v7
	v_bfe_u32 v7, v7, 2, 5
	s_delay_alu instid0(VALU_DEP_2) | instskip(NEXT) | instid1(VALU_DEP_2)
	v_and_b32_e32 v10, 3, v10
	v_cmp_eq_u32_e32 vcc_lo, 0, v7
	s_delay_alu instid0(VALU_DEP_2) | instskip(NEXT) | instid1(VALU_DEP_1)
	v_dual_cndmask_b32 v7, v7, v9 :: v_dual_cndmask_b32 v8, v8, v10
	v_lshl_add_u32 v7, v7, 23, 0x37800000
	s_delay_alu instid0(VALU_DEP_2) | instskip(NEXT) | instid1(VALU_DEP_1)
	v_lshlrev_b32_e32 v8, 21, v8
	v_or3_b32 v7, v5, v7, v8
.LBB208_1134:
	s_or_b32 exec_lo, exec_lo, s10
	s_delay_alu instid0(VALU_DEP_1) | instskip(SKIP_2) | instid1(VALU_DEP_2)
	v_bfe_u32 v5, v7, 16, 1
	v_cmp_o_f32_e32 vcc_lo, v7, v7
	s_mov_b32 s1, 0
	v_add3_u32 v5, v7, v5, 0x7fff
	s_delay_alu instid0(VALU_DEP_1) | instskip(NEXT) | instid1(VALU_DEP_1)
	v_lshrrev_b32_e32 v5, 16, v5
	v_cndmask_b32_e32 v5, 0x7fc0, v5, vcc_lo
	s_branch .LBB208_1140
.LBB208_1135:
                                        ; implicit-def: $vgpr5
	s_mov_b32 s10, 0
	s_branch .LBB208_1146
.LBB208_1136:
	s_or_saveexec_b32 s12, s12
	v_mov_b32_e32 v7, s11
	s_xor_b32 exec_lo, exec_lo, s12
	s_cbranch_execz .LBB208_1120
.LBB208_1137:
	v_cmp_ne_u16_e32 vcc_lo, 0, v5
	v_mov_b32_e32 v7, 0
	s_and_not1_b32 s1, s1, exec_lo
	s_and_b32 s11, vcc_lo, exec_lo
	s_delay_alu instid0(SALU_CYCLE_1)
	s_or_b32 s1, s1, s11
	s_or_b32 exec_lo, exec_lo, s12
	s_and_saveexec_b32 s11, s1
	s_cbranch_execnz .LBB208_1121
	s_branch .LBB208_1122
.LBB208_1138:
	s_mov_b32 s1, -1
                                        ; implicit-def: $vgpr5
	s_branch .LBB208_1143
.LBB208_1139:
	s_mov_b32 s1, -1
                                        ; implicit-def: $vgpr5
.LBB208_1140:
	s_delay_alu instid0(SALU_CYCLE_1)
	s_and_b32 vcc_lo, exec_lo, s1
	s_cbranch_vccz .LBB208_1142
; %bb.1141:
	global_load_u8 v5, v[0:1], off
	s_waitcnt vmcnt(0)
	v_lshlrev_b32_e32 v5, 24, v5
	s_delay_alu instid0(VALU_DEP_1) | instskip(NEXT) | instid1(VALU_DEP_1)
	v_and_b32_e32 v7, 0x7f000000, v5
	v_clz_i32_u32_e32 v8, v7
	v_cmp_ne_u32_e32 vcc_lo, 0, v7
	v_add_nc_u32_e32 v10, 0x1000000, v7
	s_delay_alu instid0(VALU_DEP_3) | instskip(NEXT) | instid1(VALU_DEP_1)
	v_min_u32_e32 v8, 32, v8
	v_sub_nc_u32_e64 v8, v8, 4 clamp
	s_delay_alu instid0(VALU_DEP_1) | instskip(SKIP_1) | instid1(VALU_DEP_2)
	v_lshlrev_b32_e32 v9, v8, v7
	v_lshlrev_b32_e32 v8, 23, v8
	v_lshrrev_b32_e32 v9, 4, v9
	s_delay_alu instid0(VALU_DEP_1) | instskip(SKIP_1) | instid1(VALU_DEP_2)
	v_sub_nc_u32_e32 v8, v9, v8
	v_ashrrev_i32_e32 v9, 8, v10
	v_add_nc_u32_e32 v8, 0x3c000000, v8
	s_delay_alu instid0(VALU_DEP_1) | instskip(NEXT) | instid1(VALU_DEP_1)
	v_and_or_b32 v8, 0x7f800000, v9, v8
	v_cndmask_b32_e32 v7, 0, v8, vcc_lo
	s_delay_alu instid0(VALU_DEP_1) | instskip(SKIP_1) | instid1(VALU_DEP_2)
	v_and_or_b32 v5, 0x80000000, v5, v7
	v_bfe_u32 v7, v7, 16, 1
	v_cmp_o_f32_e32 vcc_lo, v5, v5
	s_delay_alu instid0(VALU_DEP_2) | instskip(NEXT) | instid1(VALU_DEP_1)
	v_add3_u32 v7, v5, v7, 0x7fff
	v_lshrrev_b32_e32 v7, 16, v7
	s_delay_alu instid0(VALU_DEP_1)
	v_cndmask_b32_e32 v5, 0x7fc0, v7, vcc_lo
.LBB208_1142:
	s_mov_b32 s1, 0
.LBB208_1143:
	s_delay_alu instid0(SALU_CYCLE_1)
	s_and_not1_b32 vcc_lo, exec_lo, s1
	s_cbranch_vccnz .LBB208_1145
; %bb.1144:
	global_load_u8 v5, v[0:1], off
	s_waitcnt vmcnt(0)
	v_lshlrev_b32_e32 v7, 25, v5
	v_lshlrev_b16 v5, 8, v5
	s_delay_alu instid0(VALU_DEP_2) | instskip(NEXT) | instid1(VALU_DEP_2)
	v_lshrrev_b32_e32 v8, 4, v7
	v_and_or_b32 v9, 0x7f00, v5, 0.5
	v_bfe_i32 v5, v5, 0, 16
	s_delay_alu instid0(VALU_DEP_3) | instskip(NEXT) | instid1(VALU_DEP_1)
	v_or_b32_e32 v8, 0x70000000, v8
	v_dual_add_f32 v9, -0.5, v9 :: v_dual_mul_f32 v8, 0x7800000, v8
	v_cmp_gt_u32_e32 vcc_lo, 0x8000000, v7
	s_delay_alu instid0(VALU_DEP_2) | instskip(NEXT) | instid1(VALU_DEP_1)
	v_cndmask_b32_e32 v7, v8, v9, vcc_lo
	v_and_or_b32 v5, 0x80000000, v5, v7
	v_bfe_u32 v7, v7, 16, 1
	s_delay_alu instid0(VALU_DEP_2) | instskip(NEXT) | instid1(VALU_DEP_2)
	v_cmp_o_f32_e32 vcc_lo, v5, v5
	v_add3_u32 v7, v5, v7, 0x7fff
	s_delay_alu instid0(VALU_DEP_1) | instskip(NEXT) | instid1(VALU_DEP_1)
	v_lshrrev_b32_e32 v7, 16, v7
	v_cndmask_b32_e32 v5, 0x7fc0, v7, vcc_lo
.LBB208_1145:
	s_mov_b32 s11, -1
	s_mov_b32 s10, 0
	s_cbranch_execnz .LBB208_1156
.LBB208_1146:
	v_cmp_lt_i16_e32 vcc_lo, 14, v4
	s_cbranch_vccz .LBB208_1149
; %bb.1147:
	v_cmp_eq_u16_e32 vcc_lo, 15, v4
	s_cbranch_vccz .LBB208_1152
; %bb.1148:
	global_load_u16 v5, v[0:1], off
	s_mov_b32 s0, 0
	s_mov_b32 s11, -1
	s_branch .LBB208_1153
.LBB208_1149:
	s_mov_b32 s1, -1
                                        ; implicit-def: $vgpr5
	s_branch .LBB208_1154
.LBB208_1150:
	s_or_saveexec_b32 s11, s11
	v_mov_b32_e32 v7, s10
	s_xor_b32 exec_lo, exec_lo, s11
	s_cbranch_execz .LBB208_1132
.LBB208_1151:
	v_cmp_ne_u16_e32 vcc_lo, 0, v5
	v_mov_b32_e32 v7, 0
	s_and_not1_b32 s1, s1, exec_lo
	s_and_b32 s10, vcc_lo, exec_lo
	s_delay_alu instid0(SALU_CYCLE_1)
	s_or_b32 s1, s1, s10
	s_or_b32 exec_lo, exec_lo, s11
	s_and_saveexec_b32 s10, s1
	s_cbranch_execnz .LBB208_1133
	s_branch .LBB208_1134
.LBB208_1152:
	s_mov_b32 s0, -1
                                        ; implicit-def: $vgpr5
.LBB208_1153:
	s_mov_b32 s1, 0
.LBB208_1154:
	s_delay_alu instid0(SALU_CYCLE_1)
	s_and_b32 vcc_lo, exec_lo, s1
	s_cbranch_vccz .LBB208_1156
; %bb.1155:
	v_cmp_ne_u16_e64 s0, 11, v4
	s_mov_b32 s10, -1
                                        ; implicit-def: $vgpr5
.LBB208_1156:
	s_delay_alu instid0(VALU_DEP_1)
	s_and_b32 vcc_lo, exec_lo, s0
	s_mov_b32 s1, s9
	s_cbranch_vccnz .LBB208_1180
; %bb.1157:
	s_and_not1_b32 vcc_lo, exec_lo, s10
	s_cbranch_vccnz .LBB208_1159
.LBB208_1158:
	global_load_u8 v5, v[0:1], off
	s_mov_b32 s11, -1
	s_waitcnt vmcnt(0)
	v_cmp_ne_u16_e32 vcc_lo, 0, v5
	v_cndmask_b32_e64 v5, 0, 1.0, vcc_lo
	s_delay_alu instid0(VALU_DEP_1)
	v_lshrrev_b32_e32 v5, 16, v5
.LBB208_1159:
.LBB208_1160:
	s_and_not1_b32 vcc_lo, exec_lo, s11
	s_cbranch_vccnz .LBB208_1996
.LBB208_1161:
	s_lshl_b32 s3, s3, 7
	v_cmp_gt_i16_e32 vcc_lo, 11, v4
	v_add_nc_u32_e32 v7, s3, v6
	s_delay_alu instid0(VALU_DEP_1) | instskip(SKIP_1) | instid1(VALU_DEP_1)
	v_ashrrev_i32_e32 v1, 31, v7
	v_add_co_u32 v0, s0, s6, v7
	v_add_co_ci_u32_e64 v1, s0, s7, v1, s0
	s_cbranch_vccnz .LBB208_1168
; %bb.1162:
	v_cmp_lt_i16_e32 vcc_lo, 25, v4
	s_mov_b32 s10, 0
	s_cbranch_vccz .LBB208_1174
; %bb.1163:
	v_cmp_lt_i16_e32 vcc_lo, 28, v4
	s_cbranch_vccz .LBB208_1176
; %bb.1164:
	v_cmp_lt_i16_e32 vcc_lo, 43, v4
	;; [unrolled: 3-line block ×3, first 2 shown]
	s_cbranch_vccz .LBB208_1184
; %bb.1166:
	v_cmp_eq_u16_e32 vcc_lo, 46, v4
	s_mov_b32 s12, 0
	s_cbranch_vccz .LBB208_1228
; %bb.1167:
	global_load_b32 v6, v[0:1], off
	s_mov_b32 s0, 0
	s_mov_b32 s11, -1
	s_branch .LBB208_1230
.LBB208_1168:
	s_mov_b32 s11, 0
                                        ; implicit-def: $vgpr6
	s_cbranch_execz .LBB208_1295
; %bb.1169:
	v_cmp_gt_i16_e32 vcc_lo, 5, v4
	s_cbranch_vccnz .LBB208_1175
; %bb.1170:
	v_cmp_gt_i16_e32 vcc_lo, 8, v4
	s_cbranch_vccnz .LBB208_1177
	;; [unrolled: 3-line block ×3, first 2 shown]
; %bb.1172:
	v_cmp_lt_i16_e32 vcc_lo, 9, v4
	s_cbranch_vccz .LBB208_1185
; %bb.1173:
	global_load_b64 v[8:9], v[0:1], off
	s_mov_b32 s0, 0
	s_waitcnt vmcnt(0)
	v_cvt_f32_f64_e32 v6, v[8:9]
	s_delay_alu instid0(VALU_DEP_1) | instskip(SKIP_1) | instid1(VALU_DEP_2)
	v_bfe_u32 v8, v6, 16, 1
	v_cmp_o_f32_e32 vcc_lo, v6, v6
	v_add3_u32 v8, v6, v8, 0x7fff
	s_delay_alu instid0(VALU_DEP_1) | instskip(NEXT) | instid1(VALU_DEP_1)
	v_lshrrev_b32_e32 v8, 16, v8
	v_cndmask_b32_e32 v6, 0x7fc0, v8, vcc_lo
	s_branch .LBB208_1186
.LBB208_1174:
	s_mov_b32 s11, 0
	s_mov_b32 s0, 0
                                        ; implicit-def: $vgpr6
	s_cbranch_execnz .LBB208_1259
	s_branch .LBB208_1291
.LBB208_1175:
                                        ; implicit-def: $vgpr6
	s_branch .LBB208_1204
.LBB208_1176:
	s_mov_b32 s12, -1
	s_mov_b32 s11, 0
	s_mov_b32 s0, 0
                                        ; implicit-def: $vgpr6
	s_branch .LBB208_1240
.LBB208_1177:
	s_mov_b32 s0, -1
                                        ; implicit-def: $vgpr6
	s_branch .LBB208_1192
.LBB208_1178:
	s_mov_b32 s12, -1
	s_mov_b32 s11, 0
	s_mov_b32 s0, 0
                                        ; implicit-def: $vgpr6
	s_branch .LBB208_1235
.LBB208_1179:
	s_mov_b32 s0, -1
                                        ; implicit-def: $vgpr6
	s_branch .LBB208_1189
.LBB208_1180:
	s_cbranch_execnz .LBB208_1224
; %bb.1181:
	s_or_b32 s1, s9, exec_lo
                                        ; implicit-def: $vgpr5
	s_cbranch_execz .LBB208_1158
	s_branch .LBB208_1159
.LBB208_1182:
	s_or_saveexec_b32 s14, s14
                                        ; implicit-def: $sgpr15
	s_delay_alu instid0(SALU_CYCLE_1)
	s_xor_b32 exec_lo, exec_lo, s14
	s_cbranch_execz .LBB208_944
.LBB208_1183:
	v_add_f32_e64 v3, 0x46000000, |v6|
	s_and_not1_b32 s13, s13, exec_lo
	s_mov_b32 s15, 0
	s_delay_alu instid0(VALU_DEP_1) | instskip(NEXT) | instid1(VALU_DEP_1)
	v_and_b32_e32 v3, 0xff, v3
	v_cmp_ne_u32_e32 vcc_lo, 0, v3
	s_and_b32 s16, vcc_lo, exec_lo
	s_delay_alu instid0(SALU_CYCLE_1)
	s_or_b32 s13, s13, s16
	s_or_b32 exec_lo, exec_lo, s14
	v_mov_b32_e32 v7, s15
	s_and_saveexec_b32 s14, s13
	s_cbranch_execnz .LBB208_945
	s_branch .LBB208_946
.LBB208_1184:
	s_mov_b32 s12, -1
	s_mov_b32 s11, 0
	s_mov_b32 s0, 0
	s_branch .LBB208_1229
.LBB208_1185:
	s_mov_b32 s0, -1
                                        ; implicit-def: $vgpr6
.LBB208_1186:
	s_delay_alu instid0(SALU_CYCLE_1)
	s_and_not1_b32 vcc_lo, exec_lo, s0
	s_cbranch_vccnz .LBB208_1188
; %bb.1187:
	global_load_b32 v6, v[0:1], off
	s_waitcnt vmcnt(0)
	v_bfe_u32 v8, v6, 16, 1
	v_cmp_o_f32_e32 vcc_lo, v6, v6
	s_delay_alu instid0(VALU_DEP_2) | instskip(NEXT) | instid1(VALU_DEP_1)
	v_add3_u32 v8, v6, v8, 0x7fff
	v_lshrrev_b32_e32 v8, 16, v8
	s_delay_alu instid0(VALU_DEP_1)
	v_cndmask_b32_e32 v6, 0x7fc0, v8, vcc_lo
.LBB208_1188:
	s_mov_b32 s0, 0
.LBB208_1189:
	s_delay_alu instid0(SALU_CYCLE_1)
	s_and_not1_b32 vcc_lo, exec_lo, s0
	s_cbranch_vccnz .LBB208_1191
; %bb.1190:
	global_load_b32 v6, v[0:1], off
	s_waitcnt vmcnt(0)
	v_cvt_f32_f16_e32 v8, v6
	v_cmp_o_f16_e32 vcc_lo, v6, v6
	s_delay_alu instid0(VALU_DEP_2) | instskip(NEXT) | instid1(VALU_DEP_1)
	v_bfe_u32 v9, v8, 16, 1
	v_add3_u32 v8, v8, v9, 0x7fff
	s_delay_alu instid0(VALU_DEP_1) | instskip(NEXT) | instid1(VALU_DEP_1)
	v_lshrrev_b32_e32 v8, 16, v8
	v_cndmask_b32_e32 v6, 0x7fc0, v8, vcc_lo
.LBB208_1191:
	s_mov_b32 s0, 0
.LBB208_1192:
	s_delay_alu instid0(SALU_CYCLE_1)
	s_and_not1_b32 vcc_lo, exec_lo, s0
	s_cbranch_vccnz .LBB208_1203
; %bb.1193:
	v_cmp_gt_i16_e32 vcc_lo, 6, v4
	s_cbranch_vccnz .LBB208_1196
; %bb.1194:
	v_cmp_lt_i16_e32 vcc_lo, 6, v4
	s_cbranch_vccz .LBB208_1197
; %bb.1195:
	global_load_b64 v[8:9], v[0:1], off
	s_mov_b32 s0, 0
	s_waitcnt vmcnt(0)
	v_cvt_f32_f64_e32 v6, v[8:9]
	s_delay_alu instid0(VALU_DEP_1) | instskip(SKIP_1) | instid1(VALU_DEP_2)
	v_bfe_u32 v8, v6, 16, 1
	v_cmp_o_f32_e32 vcc_lo, v6, v6
	v_add3_u32 v8, v6, v8, 0x7fff
	s_delay_alu instid0(VALU_DEP_1) | instskip(NEXT) | instid1(VALU_DEP_1)
	v_lshrrev_b32_e32 v8, 16, v8
	v_cndmask_b32_e32 v6, 0x7fc0, v8, vcc_lo
	s_branch .LBB208_1198
.LBB208_1196:
	s_mov_b32 s0, -1
                                        ; implicit-def: $vgpr6
	s_branch .LBB208_1201
.LBB208_1197:
	s_mov_b32 s0, -1
                                        ; implicit-def: $vgpr6
.LBB208_1198:
	s_delay_alu instid0(SALU_CYCLE_1)
	s_and_not1_b32 vcc_lo, exec_lo, s0
	s_cbranch_vccnz .LBB208_1200
; %bb.1199:
	global_load_b32 v6, v[0:1], off
	s_waitcnt vmcnt(0)
	v_bfe_u32 v8, v6, 16, 1
	v_cmp_o_f32_e32 vcc_lo, v6, v6
	s_delay_alu instid0(VALU_DEP_2) | instskip(NEXT) | instid1(VALU_DEP_1)
	v_add3_u32 v8, v6, v8, 0x7fff
	v_lshrrev_b32_e32 v8, 16, v8
	s_delay_alu instid0(VALU_DEP_1)
	v_cndmask_b32_e32 v6, 0x7fc0, v8, vcc_lo
.LBB208_1200:
	s_mov_b32 s0, 0
.LBB208_1201:
	s_delay_alu instid0(SALU_CYCLE_1)
	s_and_not1_b32 vcc_lo, exec_lo, s0
	s_cbranch_vccnz .LBB208_1203
; %bb.1202:
	global_load_u16 v6, v[0:1], off
	s_waitcnt vmcnt(0)
	v_cvt_f32_f16_e32 v8, v6
	v_cmp_o_f16_e32 vcc_lo, v6, v6
	s_delay_alu instid0(VALU_DEP_2) | instskip(NEXT) | instid1(VALU_DEP_1)
	v_bfe_u32 v9, v8, 16, 1
	v_add3_u32 v8, v8, v9, 0x7fff
	s_delay_alu instid0(VALU_DEP_1) | instskip(NEXT) | instid1(VALU_DEP_1)
	v_lshrrev_b32_e32 v8, 16, v8
	v_cndmask_b32_e32 v6, 0x7fc0, v8, vcc_lo
.LBB208_1203:
	s_cbranch_execnz .LBB208_1223
.LBB208_1204:
	v_cmp_gt_i16_e32 vcc_lo, 2, v4
	s_cbranch_vccnz .LBB208_1208
; %bb.1205:
	v_cmp_gt_i16_e32 vcc_lo, 3, v4
	s_cbranch_vccnz .LBB208_1209
; %bb.1206:
	v_cmp_lt_i16_e32 vcc_lo, 3, v4
	s_cbranch_vccz .LBB208_1210
; %bb.1207:
	global_load_b64 v[8:9], v[0:1], off
	s_mov_b32 s0, 0
	s_waitcnt vmcnt(0)
	v_xor_b32_e32 v6, v8, v9
	v_cls_i32_e32 v10, v9
	s_delay_alu instid0(VALU_DEP_2) | instskip(NEXT) | instid1(VALU_DEP_2)
	v_ashrrev_i32_e32 v6, 31, v6
	v_add_nc_u32_e32 v10, -1, v10
	s_delay_alu instid0(VALU_DEP_2) | instskip(NEXT) | instid1(VALU_DEP_1)
	v_add_nc_u32_e32 v6, 32, v6
	v_min_u32_e32 v6, v10, v6
	s_delay_alu instid0(VALU_DEP_1) | instskip(SKIP_1) | instid1(VALU_DEP_2)
	v_lshlrev_b64 v[8:9], v6, v[8:9]
	v_sub_nc_u32_e32 v6, 32, v6
	v_min_u32_e32 v8, 1, v8
	s_delay_alu instid0(VALU_DEP_1) | instskip(NEXT) | instid1(VALU_DEP_1)
	v_or_b32_e32 v8, v9, v8
	v_cvt_f32_i32_e32 v8, v8
	s_delay_alu instid0(VALU_DEP_1) | instskip(NEXT) | instid1(VALU_DEP_1)
	v_ldexp_f32 v6, v8, v6
	v_bfe_u32 v8, v6, 16, 1
	s_delay_alu instid0(VALU_DEP_1) | instskip(NEXT) | instid1(VALU_DEP_1)
	v_add3_u32 v6, v6, v8, 0x7fff
	v_lshrrev_b32_e32 v6, 16, v6
	s_branch .LBB208_1211
.LBB208_1208:
	s_mov_b32 s0, -1
                                        ; implicit-def: $vgpr6
	s_branch .LBB208_1217
.LBB208_1209:
	s_mov_b32 s0, -1
                                        ; implicit-def: $vgpr6
	s_branch .LBB208_1214
.LBB208_1210:
	s_mov_b32 s0, -1
                                        ; implicit-def: $vgpr6
.LBB208_1211:
	s_delay_alu instid0(SALU_CYCLE_1)
	s_and_not1_b32 vcc_lo, exec_lo, s0
	s_cbranch_vccnz .LBB208_1213
; %bb.1212:
	global_load_b32 v6, v[0:1], off
	s_waitcnt vmcnt(0)
	v_cvt_f32_i32_e32 v6, v6
	s_delay_alu instid0(VALU_DEP_1) | instskip(NEXT) | instid1(VALU_DEP_1)
	v_bfe_u32 v8, v6, 16, 1
	v_add3_u32 v6, v6, v8, 0x7fff
	s_delay_alu instid0(VALU_DEP_1)
	v_lshrrev_b32_e32 v6, 16, v6
.LBB208_1213:
	s_mov_b32 s0, 0
.LBB208_1214:
	s_delay_alu instid0(SALU_CYCLE_1)
	s_and_not1_b32 vcc_lo, exec_lo, s0
	s_cbranch_vccnz .LBB208_1216
; %bb.1215:
	global_load_i16 v6, v[0:1], off
	s_waitcnt vmcnt(0)
	v_cvt_f32_i32_e32 v6, v6
	s_delay_alu instid0(VALU_DEP_1) | instskip(NEXT) | instid1(VALU_DEP_1)
	v_bfe_u32 v8, v6, 16, 1
	v_add3_u32 v6, v6, v8, 0x7fff
	s_delay_alu instid0(VALU_DEP_1)
	v_lshrrev_b32_e32 v6, 16, v6
.LBB208_1216:
	s_mov_b32 s0, 0
.LBB208_1217:
	s_delay_alu instid0(SALU_CYCLE_1)
	s_and_not1_b32 vcc_lo, exec_lo, s0
	s_cbranch_vccnz .LBB208_1223
; %bb.1218:
	v_cmp_lt_i16_e32 vcc_lo, 0, v4
	s_mov_b32 s0, 0
	s_cbranch_vccz .LBB208_1220
; %bb.1219:
	global_load_i8 v6, v[0:1], off
	s_waitcnt vmcnt(0)
	v_cvt_f32_i32_e32 v6, v6
	s_delay_alu instid0(VALU_DEP_1) | instskip(NEXT) | instid1(VALU_DEP_1)
	v_bfe_u32 v8, v6, 16, 1
	v_add3_u32 v6, v6, v8, 0x7fff
	s_delay_alu instid0(VALU_DEP_1)
	v_lshrrev_b32_e32 v6, 16, v6
	s_branch .LBB208_1221
.LBB208_1220:
	s_mov_b32 s0, -1
                                        ; implicit-def: $vgpr6
.LBB208_1221:
	s_delay_alu instid0(SALU_CYCLE_1)
	s_and_not1_b32 vcc_lo, exec_lo, s0
	s_cbranch_vccnz .LBB208_1223
; %bb.1222:
	global_load_u8 v0, v[0:1], off
	s_waitcnt vmcnt(0)
	v_cvt_f32_ubyte0_e32 v0, v0
	s_delay_alu instid0(VALU_DEP_1) | instskip(NEXT) | instid1(VALU_DEP_1)
	v_bfe_u32 v1, v0, 16, 1
	v_add3_u32 v0, v0, v1, 0x7fff
	s_delay_alu instid0(VALU_DEP_1)
	v_lshrrev_b32_e32 v6, 16, v0
.LBB208_1223:
	s_branch .LBB208_1296
.LBB208_1224:
	s_trap 2
	s_sendmsg_rtn_b32 s0, sendmsg(MSG_RTN_GET_DOORBELL)
	s_mov_b32 ttmp2, m0
	s_waitcnt lgkmcnt(0)
	s_and_b32 s0, s0, 0x3ff
	s_delay_alu instid0(SALU_CYCLE_1) | instskip(NEXT) | instid1(SALU_CYCLE_1)
	s_bitset1_b32 s0, 10
	s_mov_b32 m0, s0
	s_sendmsg sendmsg(MSG_INTERRUPT)
	s_mov_b32 m0, ttmp2
.LBB208_1225:                           ; =>This Inner Loop Header: Depth=1
	s_sethalt 5
	s_branch .LBB208_1225
.LBB208_1226:
	s_or_saveexec_b32 s15, s15
                                        ; implicit-def: $sgpr16
	s_delay_alu instid0(SALU_CYCLE_1)
	s_xor_b32 exec_lo, exec_lo, s15
	s_cbranch_execz .LBB208_956
.LBB208_1227:
	v_add_f32_e64 v3, 0x42800000, |v6|
	s_and_not1_b32 s14, s14, exec_lo
	s_mov_b32 s16, 0
	s_delay_alu instid0(VALU_DEP_1) | instskip(NEXT) | instid1(VALU_DEP_1)
	v_and_b32_e32 v3, 0xff, v3
	v_cmp_ne_u32_e32 vcc_lo, 0, v3
	s_and_b32 s17, vcc_lo, exec_lo
	s_delay_alu instid0(SALU_CYCLE_1)
	s_or_b32 s14, s14, s17
	s_or_b32 exec_lo, exec_lo, s15
	v_mov_b32_e32 v7, s16
	s_and_saveexec_b32 s15, s14
	s_cbranch_execnz .LBB208_957
	s_branch .LBB208_958
.LBB208_1228:
	s_mov_b32 s0, -1
	s_mov_b32 s11, 0
.LBB208_1229:
                                        ; implicit-def: $vgpr6
.LBB208_1230:
	s_and_b32 vcc_lo, exec_lo, s12
	s_cbranch_vccz .LBB208_1234
; %bb.1231:
	v_cmp_eq_u16_e32 vcc_lo, 44, v4
	s_cbranch_vccz .LBB208_1233
; %bb.1232:
	global_load_u8 v6, v[0:1], off
	s_mov_b32 s0, 0
	s_mov_b32 s11, -1
	s_waitcnt vmcnt(0)
	v_lshlrev_b32_e32 v8, 23, v6
	v_cmp_ne_u32_e32 vcc_lo, 0xff, v6
	s_delay_alu instid0(VALU_DEP_2) | instskip(SKIP_1) | instid1(VALU_DEP_2)
	v_cndmask_b32_e32 v8, 0x7f800001, v8, vcc_lo
	v_cmp_ne_u32_e32 vcc_lo, 0, v6
	v_cndmask_b32_e32 v6, 0x400000, v8, vcc_lo
	s_delay_alu instid0(VALU_DEP_1) | instskip(SKIP_1) | instid1(VALU_DEP_2)
	v_add_nc_u32_e32 v8, 0x7fff, v6
	v_cmp_o_f32_e32 vcc_lo, v6, v6
	v_lshrrev_b32_e32 v8, 16, v8
	s_delay_alu instid0(VALU_DEP_1)
	v_cndmask_b32_e32 v6, 0x7fc0, v8, vcc_lo
	s_branch .LBB208_1234
.LBB208_1233:
	s_mov_b32 s0, -1
                                        ; implicit-def: $vgpr6
.LBB208_1234:
	s_mov_b32 s12, 0
.LBB208_1235:
	s_delay_alu instid0(SALU_CYCLE_1)
	s_and_b32 vcc_lo, exec_lo, s12
	s_cbranch_vccz .LBB208_1239
; %bb.1236:
	v_cmp_eq_u16_e32 vcc_lo, 29, v4
	s_cbranch_vccz .LBB208_1238
; %bb.1237:
	global_load_b64 v[8:9], v[0:1], off
	s_mov_b32 s0, 0
	s_mov_b32 s11, -1
	s_mov_b32 s12, 0
	s_waitcnt vmcnt(0)
	v_clz_i32_u32_e32 v6, v9
	s_delay_alu instid0(VALU_DEP_1) | instskip(NEXT) | instid1(VALU_DEP_1)
	v_min_u32_e32 v6, 32, v6
	v_lshlrev_b64 v[8:9], v6, v[8:9]
	v_sub_nc_u32_e32 v6, 32, v6
	s_delay_alu instid0(VALU_DEP_2) | instskip(NEXT) | instid1(VALU_DEP_1)
	v_min_u32_e32 v8, 1, v8
	v_or_b32_e32 v8, v9, v8
	s_delay_alu instid0(VALU_DEP_1) | instskip(NEXT) | instid1(VALU_DEP_1)
	v_cvt_f32_u32_e32 v8, v8
	v_ldexp_f32 v6, v8, v6
	s_delay_alu instid0(VALU_DEP_1) | instskip(NEXT) | instid1(VALU_DEP_1)
	v_bfe_u32 v8, v6, 16, 1
	v_add3_u32 v6, v6, v8, 0x7fff
	s_delay_alu instid0(VALU_DEP_1)
	v_lshrrev_b32_e32 v6, 16, v6
	s_branch .LBB208_1240
.LBB208_1238:
	s_mov_b32 s0, -1
                                        ; implicit-def: $vgpr6
.LBB208_1239:
	s_mov_b32 s12, 0
.LBB208_1240:
	s_delay_alu instid0(SALU_CYCLE_1)
	s_and_b32 vcc_lo, exec_lo, s12
	s_cbranch_vccz .LBB208_1258
; %bb.1241:
	v_cmp_gt_i16_e32 vcc_lo, 27, v4
	s_cbranch_vccnz .LBB208_1244
; %bb.1242:
	v_cmp_lt_i16_e32 vcc_lo, 27, v4
	s_cbranch_vccz .LBB208_1245
; %bb.1243:
	global_load_b32 v6, v[0:1], off
	s_mov_b32 s11, 0
	s_waitcnt vmcnt(0)
	v_cvt_f32_u32_e32 v6, v6
	s_delay_alu instid0(VALU_DEP_1) | instskip(NEXT) | instid1(VALU_DEP_1)
	v_bfe_u32 v8, v6, 16, 1
	v_add3_u32 v6, v6, v8, 0x7fff
	s_delay_alu instid0(VALU_DEP_1)
	v_lshrrev_b32_e32 v6, 16, v6
	s_branch .LBB208_1246
.LBB208_1244:
	s_mov_b32 s11, -1
                                        ; implicit-def: $vgpr6
	s_branch .LBB208_1249
.LBB208_1245:
	s_mov_b32 s11, -1
                                        ; implicit-def: $vgpr6
.LBB208_1246:
	s_delay_alu instid0(SALU_CYCLE_1)
	s_and_not1_b32 vcc_lo, exec_lo, s11
	s_cbranch_vccnz .LBB208_1248
; %bb.1247:
	global_load_u16 v6, v[0:1], off
	s_waitcnt vmcnt(0)
	v_cvt_f32_u32_e32 v6, v6
	s_delay_alu instid0(VALU_DEP_1) | instskip(NEXT) | instid1(VALU_DEP_1)
	v_bfe_u32 v8, v6, 16, 1
	v_add3_u32 v6, v6, v8, 0x7fff
	s_delay_alu instid0(VALU_DEP_1)
	v_lshrrev_b32_e32 v6, 16, v6
.LBB208_1248:
	s_mov_b32 s11, 0
.LBB208_1249:
	s_delay_alu instid0(SALU_CYCLE_1)
	s_and_not1_b32 vcc_lo, exec_lo, s11
	s_cbranch_vccnz .LBB208_1257
; %bb.1250:
	global_load_u8 v6, v[0:1], off
	s_mov_b32 s11, 0
	s_mov_b32 s13, exec_lo
                                        ; implicit-def: $sgpr12
	s_waitcnt vmcnt(0)
	v_cmpx_lt_i16_e32 0x7f, v6
	s_xor_b32 s13, exec_lo, s13
	s_cbranch_execz .LBB208_1270
; %bb.1251:
	s_mov_b32 s11, -1
	s_mov_b32 s14, exec_lo
                                        ; implicit-def: $sgpr12
	v_cmpx_eq_u16_e32 0x80, v6
; %bb.1252:
	s_mov_b32 s12, 0x7f800001
	s_xor_b32 s11, exec_lo, -1
; %bb.1253:
	s_or_b32 exec_lo, exec_lo, s14
	s_delay_alu instid0(SALU_CYCLE_1)
	s_and_b32 s11, s11, exec_lo
	s_or_saveexec_b32 s13, s13
	v_mov_b32_e32 v8, s12
	s_xor_b32 exec_lo, exec_lo, s13
	s_cbranch_execnz .LBB208_1271
.LBB208_1254:
	s_or_b32 exec_lo, exec_lo, s13
	s_and_saveexec_b32 s12, s11
	s_cbranch_execz .LBB208_1256
.LBB208_1255:
	v_and_b32_e32 v8, 0xffff, v6
	v_lshlrev_b32_e32 v6, 24, v6
	s_delay_alu instid0(VALU_DEP_2) | instskip(NEXT) | instid1(VALU_DEP_2)
	v_and_b32_e32 v9, 7, v8
	v_and_b32_e32 v6, 0x80000000, v6
	s_delay_alu instid0(VALU_DEP_2) | instskip(NEXT) | instid1(VALU_DEP_1)
	v_clz_i32_u32_e32 v10, v9
	v_min_u32_e32 v10, 32, v10
	s_delay_alu instid0(VALU_DEP_1) | instskip(SKIP_1) | instid1(VALU_DEP_2)
	v_subrev_nc_u32_e32 v11, 28, v10
	v_sub_nc_u32_e32 v10, 29, v10
	v_lshlrev_b32_e32 v11, v11, v8
	v_bfe_u32 v8, v8, 3, 4
	s_delay_alu instid0(VALU_DEP_2) | instskip(NEXT) | instid1(VALU_DEP_2)
	v_and_b32_e32 v11, 7, v11
	v_cmp_eq_u32_e32 vcc_lo, 0, v8
	s_delay_alu instid0(VALU_DEP_2) | instskip(NEXT) | instid1(VALU_DEP_1)
	v_dual_cndmask_b32 v8, v8, v10 :: v_dual_cndmask_b32 v9, v9, v11
	v_lshl_add_u32 v8, v8, 23, 0x3b800000
	s_delay_alu instid0(VALU_DEP_2) | instskip(NEXT) | instid1(VALU_DEP_1)
	v_lshlrev_b32_e32 v9, 20, v9
	v_or3_b32 v8, v6, v8, v9
.LBB208_1256:
	s_or_b32 exec_lo, exec_lo, s12
	s_delay_alu instid0(VALU_DEP_1) | instskip(SKIP_1) | instid1(VALU_DEP_2)
	v_bfe_u32 v6, v8, 16, 1
	v_cmp_o_f32_e32 vcc_lo, v8, v8
	v_add3_u32 v6, v8, v6, 0x7fff
	s_delay_alu instid0(VALU_DEP_1) | instskip(NEXT) | instid1(VALU_DEP_1)
	v_lshrrev_b32_e32 v6, 16, v6
	v_cndmask_b32_e32 v6, 0x7fc0, v6, vcc_lo
.LBB208_1257:
	s_mov_b32 s11, -1
.LBB208_1258:
	s_branch .LBB208_1291
.LBB208_1259:
	v_cmp_lt_i16_e32 vcc_lo, 22, v4
	s_cbranch_vccz .LBB208_1269
; %bb.1260:
	v_cmp_gt_i16_e32 vcc_lo, 24, v4
	s_cbranch_vccnz .LBB208_1272
; %bb.1261:
	v_cmp_lt_i16_e32 vcc_lo, 24, v4
	s_cbranch_vccz .LBB208_1273
; %bb.1262:
	global_load_u8 v6, v[0:1], off
	s_mov_b32 s12, exec_lo
                                        ; implicit-def: $sgpr11
	s_waitcnt vmcnt(0)
	v_cmpx_lt_i16_e32 0x7f, v6
	s_xor_b32 s12, exec_lo, s12
	s_cbranch_execz .LBB208_1285
; %bb.1263:
	s_mov_b32 s10, -1
	s_mov_b32 s13, exec_lo
                                        ; implicit-def: $sgpr11
	v_cmpx_eq_u16_e32 0x80, v6
; %bb.1264:
	s_mov_b32 s11, 0x7f800001
	s_xor_b32 s10, exec_lo, -1
; %bb.1265:
	s_or_b32 exec_lo, exec_lo, s13
	s_delay_alu instid0(SALU_CYCLE_1)
	s_and_b32 s10, s10, exec_lo
	s_or_saveexec_b32 s12, s12
	v_mov_b32_e32 v8, s11
	s_xor_b32 exec_lo, exec_lo, s12
	s_cbranch_execnz .LBB208_1286
.LBB208_1266:
	s_or_b32 exec_lo, exec_lo, s12
	s_and_saveexec_b32 s11, s10
	s_cbranch_execz .LBB208_1268
.LBB208_1267:
	v_and_b32_e32 v8, 0xffff, v6
	v_lshlrev_b32_e32 v6, 24, v6
	s_delay_alu instid0(VALU_DEP_2) | instskip(NEXT) | instid1(VALU_DEP_2)
	v_and_b32_e32 v9, 3, v8
	v_and_b32_e32 v6, 0x80000000, v6
	s_delay_alu instid0(VALU_DEP_2) | instskip(NEXT) | instid1(VALU_DEP_1)
	v_clz_i32_u32_e32 v10, v9
	v_min_u32_e32 v10, 32, v10
	s_delay_alu instid0(VALU_DEP_1) | instskip(SKIP_1) | instid1(VALU_DEP_2)
	v_subrev_nc_u32_e32 v11, 29, v10
	v_sub_nc_u32_e32 v10, 30, v10
	v_lshlrev_b32_e32 v11, v11, v8
	v_bfe_u32 v8, v8, 2, 5
	s_delay_alu instid0(VALU_DEP_2) | instskip(NEXT) | instid1(VALU_DEP_2)
	v_and_b32_e32 v11, 3, v11
	v_cmp_eq_u32_e32 vcc_lo, 0, v8
	s_delay_alu instid0(VALU_DEP_2) | instskip(NEXT) | instid1(VALU_DEP_1)
	v_dual_cndmask_b32 v8, v8, v10 :: v_dual_cndmask_b32 v9, v9, v11
	v_lshl_add_u32 v8, v8, 23, 0x37800000
	s_delay_alu instid0(VALU_DEP_2) | instskip(NEXT) | instid1(VALU_DEP_1)
	v_lshlrev_b32_e32 v9, 21, v9
	v_or3_b32 v8, v6, v8, v9
.LBB208_1268:
	s_or_b32 exec_lo, exec_lo, s11
	s_delay_alu instid0(VALU_DEP_1) | instskip(SKIP_2) | instid1(VALU_DEP_2)
	v_bfe_u32 v6, v8, 16, 1
	v_cmp_o_f32_e32 vcc_lo, v8, v8
	s_mov_b32 s10, 0
	v_add3_u32 v6, v8, v6, 0x7fff
	s_delay_alu instid0(VALU_DEP_1) | instskip(NEXT) | instid1(VALU_DEP_1)
	v_lshrrev_b32_e32 v6, 16, v6
	v_cndmask_b32_e32 v6, 0x7fc0, v6, vcc_lo
	s_branch .LBB208_1274
.LBB208_1269:
	s_mov_b32 s10, -1
                                        ; implicit-def: $vgpr6
	s_branch .LBB208_1280
.LBB208_1270:
	s_or_saveexec_b32 s13, s13
	v_mov_b32_e32 v8, s12
	s_xor_b32 exec_lo, exec_lo, s13
	s_cbranch_execz .LBB208_1254
.LBB208_1271:
	v_cmp_ne_u16_e32 vcc_lo, 0, v6
	v_mov_b32_e32 v8, 0
	s_and_not1_b32 s11, s11, exec_lo
	s_and_b32 s12, vcc_lo, exec_lo
	s_delay_alu instid0(SALU_CYCLE_1)
	s_or_b32 s11, s11, s12
	s_or_b32 exec_lo, exec_lo, s13
	s_and_saveexec_b32 s12, s11
	s_cbranch_execnz .LBB208_1255
	s_branch .LBB208_1256
.LBB208_1272:
	s_mov_b32 s10, -1
                                        ; implicit-def: $vgpr6
	s_branch .LBB208_1277
.LBB208_1273:
	s_mov_b32 s10, -1
                                        ; implicit-def: $vgpr6
.LBB208_1274:
	s_delay_alu instid0(SALU_CYCLE_1)
	s_and_b32 vcc_lo, exec_lo, s10
	s_cbranch_vccz .LBB208_1276
; %bb.1275:
	global_load_u8 v6, v[0:1], off
	s_waitcnt vmcnt(0)
	v_lshlrev_b32_e32 v6, 24, v6
	s_delay_alu instid0(VALU_DEP_1) | instskip(NEXT) | instid1(VALU_DEP_1)
	v_and_b32_e32 v8, 0x7f000000, v6
	v_clz_i32_u32_e32 v9, v8
	v_cmp_ne_u32_e32 vcc_lo, 0, v8
	v_add_nc_u32_e32 v11, 0x1000000, v8
	s_delay_alu instid0(VALU_DEP_3) | instskip(NEXT) | instid1(VALU_DEP_1)
	v_min_u32_e32 v9, 32, v9
	v_sub_nc_u32_e64 v9, v9, 4 clamp
	s_delay_alu instid0(VALU_DEP_1) | instskip(SKIP_1) | instid1(VALU_DEP_2)
	v_lshlrev_b32_e32 v10, v9, v8
	v_lshlrev_b32_e32 v9, 23, v9
	v_lshrrev_b32_e32 v10, 4, v10
	s_delay_alu instid0(VALU_DEP_1) | instskip(SKIP_1) | instid1(VALU_DEP_2)
	v_sub_nc_u32_e32 v9, v10, v9
	v_ashrrev_i32_e32 v10, 8, v11
	v_add_nc_u32_e32 v9, 0x3c000000, v9
	s_delay_alu instid0(VALU_DEP_1) | instskip(NEXT) | instid1(VALU_DEP_1)
	v_and_or_b32 v9, 0x7f800000, v10, v9
	v_cndmask_b32_e32 v8, 0, v9, vcc_lo
	s_delay_alu instid0(VALU_DEP_1) | instskip(SKIP_1) | instid1(VALU_DEP_2)
	v_and_or_b32 v6, 0x80000000, v6, v8
	v_bfe_u32 v8, v8, 16, 1
	v_cmp_o_f32_e32 vcc_lo, v6, v6
	s_delay_alu instid0(VALU_DEP_2) | instskip(NEXT) | instid1(VALU_DEP_1)
	v_add3_u32 v8, v6, v8, 0x7fff
	v_lshrrev_b32_e32 v8, 16, v8
	s_delay_alu instid0(VALU_DEP_1)
	v_cndmask_b32_e32 v6, 0x7fc0, v8, vcc_lo
.LBB208_1276:
	s_mov_b32 s10, 0
.LBB208_1277:
	s_delay_alu instid0(SALU_CYCLE_1)
	s_and_not1_b32 vcc_lo, exec_lo, s10
	s_cbranch_vccnz .LBB208_1279
; %bb.1278:
	global_load_u8 v6, v[0:1], off
	s_waitcnt vmcnt(0)
	v_lshlrev_b32_e32 v8, 25, v6
	v_lshlrev_b16 v6, 8, v6
	s_delay_alu instid0(VALU_DEP_2) | instskip(NEXT) | instid1(VALU_DEP_2)
	v_lshrrev_b32_e32 v9, 4, v8
	v_and_or_b32 v10, 0x7f00, v6, 0.5
	v_bfe_i32 v6, v6, 0, 16
	s_delay_alu instid0(VALU_DEP_3) | instskip(NEXT) | instid1(VALU_DEP_1)
	v_or_b32_e32 v9, 0x70000000, v9
	v_dual_add_f32 v10, -0.5, v10 :: v_dual_mul_f32 v9, 0x7800000, v9
	v_cmp_gt_u32_e32 vcc_lo, 0x8000000, v8
	s_delay_alu instid0(VALU_DEP_2) | instskip(NEXT) | instid1(VALU_DEP_1)
	v_cndmask_b32_e32 v8, v9, v10, vcc_lo
	v_and_or_b32 v6, 0x80000000, v6, v8
	v_bfe_u32 v8, v8, 16, 1
	s_delay_alu instid0(VALU_DEP_2) | instskip(NEXT) | instid1(VALU_DEP_2)
	v_cmp_o_f32_e32 vcc_lo, v6, v6
	v_add3_u32 v8, v6, v8, 0x7fff
	s_delay_alu instid0(VALU_DEP_1) | instskip(NEXT) | instid1(VALU_DEP_1)
	v_lshrrev_b32_e32 v8, 16, v8
	v_cndmask_b32_e32 v6, 0x7fc0, v8, vcc_lo
.LBB208_1279:
	s_mov_b32 s10, 0
	s_mov_b32 s11, -1
.LBB208_1280:
	s_and_not1_b32 vcc_lo, exec_lo, s10
	s_mov_b32 s10, 0
	s_cbranch_vccnz .LBB208_1291
; %bb.1281:
	v_cmp_lt_i16_e32 vcc_lo, 14, v4
	s_cbranch_vccz .LBB208_1284
; %bb.1282:
	v_cmp_eq_u16_e32 vcc_lo, 15, v4
	s_cbranch_vccz .LBB208_1287
; %bb.1283:
	global_load_u16 v6, v[0:1], off
	s_mov_b32 s0, 0
	s_mov_b32 s11, -1
	s_branch .LBB208_1289
.LBB208_1284:
	s_mov_b32 s10, -1
	s_branch .LBB208_1288
.LBB208_1285:
	s_or_saveexec_b32 s12, s12
	v_mov_b32_e32 v8, s11
	s_xor_b32 exec_lo, exec_lo, s12
	s_cbranch_execz .LBB208_1266
.LBB208_1286:
	v_cmp_ne_u16_e32 vcc_lo, 0, v6
	v_mov_b32_e32 v8, 0
	s_and_not1_b32 s10, s10, exec_lo
	s_and_b32 s11, vcc_lo, exec_lo
	s_delay_alu instid0(SALU_CYCLE_1)
	s_or_b32 s10, s10, s11
	s_or_b32 exec_lo, exec_lo, s12
	s_and_saveexec_b32 s11, s10
	s_cbranch_execnz .LBB208_1267
	s_branch .LBB208_1268
.LBB208_1287:
	s_mov_b32 s0, -1
.LBB208_1288:
                                        ; implicit-def: $vgpr6
.LBB208_1289:
	s_and_b32 vcc_lo, exec_lo, s10
	s_mov_b32 s10, 0
	s_cbranch_vccz .LBB208_1291
; %bb.1290:
	v_cmp_ne_u16_e64 s0, 11, v4
	s_mov_b32 s10, -1
                                        ; implicit-def: $vgpr6
.LBB208_1291:
	s_delay_alu instid0(VALU_DEP_1)
	s_and_b32 vcc_lo, exec_lo, s0
	s_cbranch_vccnz .LBB208_1315
; %bb.1292:
	s_and_not1_b32 vcc_lo, exec_lo, s10
	s_cbranch_vccnz .LBB208_1294
.LBB208_1293:
	global_load_u8 v6, v[0:1], off
	s_mov_b32 s11, -1
	s_waitcnt vmcnt(0)
	v_cmp_ne_u16_e32 vcc_lo, 0, v6
	v_cndmask_b32_e64 v6, 0, 1.0, vcc_lo
	s_delay_alu instid0(VALU_DEP_1)
	v_lshrrev_b32_e32 v6, 16, v6
.LBB208_1294:
.LBB208_1295:
	s_and_not1_b32 vcc_lo, exec_lo, s11
	s_cbranch_vccnz .LBB208_1996
.LBB208_1296:
	v_add_nc_u32_e32 v8, s3, v7
	v_cmp_gt_i16_e32 vcc_lo, 11, v4
	s_delay_alu instid0(VALU_DEP_2) | instskip(SKIP_1) | instid1(VALU_DEP_1)
	v_ashrrev_i32_e32 v1, 31, v8
	v_add_co_u32 v0, s0, s6, v8
	v_add_co_ci_u32_e64 v1, s0, s7, v1, s0
	s_cbranch_vccnz .LBB208_1303
; %bb.1297:
	v_cmp_lt_i16_e32 vcc_lo, 25, v4
	s_mov_b32 s10, 0
	s_cbranch_vccz .LBB208_1309
; %bb.1298:
	v_cmp_lt_i16_e32 vcc_lo, 28, v4
	s_cbranch_vccz .LBB208_1311
; %bb.1299:
	v_cmp_lt_i16_e32 vcc_lo, 43, v4
	;; [unrolled: 3-line block ×3, first 2 shown]
	s_cbranch_vccz .LBB208_1317
; %bb.1301:
	v_cmp_eq_u16_e32 vcc_lo, 46, v4
	s_mov_b32 s12, 0
	s_cbranch_vccz .LBB208_1360
; %bb.1302:
	global_load_b32 v7, v[0:1], off
	s_mov_b32 s0, 0
	s_mov_b32 s11, -1
	s_branch .LBB208_1362
.LBB208_1303:
	s_mov_b32 s11, 0
                                        ; implicit-def: $vgpr7
	s_cbranch_execz .LBB208_1428
; %bb.1304:
	v_cmp_gt_i16_e32 vcc_lo, 5, v4
	s_cbranch_vccnz .LBB208_1310
; %bb.1305:
	v_cmp_gt_i16_e32 vcc_lo, 8, v4
	s_cbranch_vccnz .LBB208_1312
	;; [unrolled: 3-line block ×3, first 2 shown]
; %bb.1307:
	v_cmp_lt_i16_e32 vcc_lo, 9, v4
	s_cbranch_vccz .LBB208_1318
; %bb.1308:
	global_load_b64 v[9:10], v[0:1], off
	s_mov_b32 s0, 0
	s_waitcnt vmcnt(0)
	v_cvt_f32_f64_e32 v7, v[9:10]
	s_delay_alu instid0(VALU_DEP_1) | instskip(SKIP_1) | instid1(VALU_DEP_2)
	v_bfe_u32 v9, v7, 16, 1
	v_cmp_o_f32_e32 vcc_lo, v7, v7
	v_add3_u32 v9, v7, v9, 0x7fff
	s_delay_alu instid0(VALU_DEP_1) | instskip(NEXT) | instid1(VALU_DEP_1)
	v_lshrrev_b32_e32 v9, 16, v9
	v_cndmask_b32_e32 v7, 0x7fc0, v9, vcc_lo
	s_branch .LBB208_1319
.LBB208_1309:
	s_mov_b32 s12, -1
	s_mov_b32 s11, 0
	s_mov_b32 s0, 0
                                        ; implicit-def: $vgpr7
	s_branch .LBB208_1391
.LBB208_1310:
	s_mov_b32 s0, -1
                                        ; implicit-def: $vgpr7
	s_branch .LBB208_1337
.LBB208_1311:
	s_mov_b32 s12, -1
	s_mov_b32 s11, 0
	s_mov_b32 s0, 0
                                        ; implicit-def: $vgpr7
	s_branch .LBB208_1372
.LBB208_1312:
	s_mov_b32 s0, -1
                                        ; implicit-def: $vgpr7
	s_branch .LBB208_1325
.LBB208_1313:
	s_mov_b32 s12, -1
	s_mov_b32 s11, 0
	s_mov_b32 s0, 0
                                        ; implicit-def: $vgpr7
	s_branch .LBB208_1367
.LBB208_1314:
	s_mov_b32 s0, -1
                                        ; implicit-def: $vgpr7
	s_branch .LBB208_1322
.LBB208_1315:
	s_cbranch_execnz .LBB208_1358
; %bb.1316:
	s_or_b32 s1, s1, exec_lo
                                        ; implicit-def: $vgpr6
	s_cbranch_execz .LBB208_1293
	s_branch .LBB208_1294
.LBB208_1317:
	s_mov_b32 s12, -1
	s_mov_b32 s11, 0
	s_mov_b32 s0, 0
	s_branch .LBB208_1361
.LBB208_1318:
	s_mov_b32 s0, -1
                                        ; implicit-def: $vgpr7
.LBB208_1319:
	s_delay_alu instid0(SALU_CYCLE_1)
	s_and_not1_b32 vcc_lo, exec_lo, s0
	s_cbranch_vccnz .LBB208_1321
; %bb.1320:
	global_load_b32 v7, v[0:1], off
	s_waitcnt vmcnt(0)
	v_bfe_u32 v9, v7, 16, 1
	v_cmp_o_f32_e32 vcc_lo, v7, v7
	s_delay_alu instid0(VALU_DEP_2) | instskip(NEXT) | instid1(VALU_DEP_1)
	v_add3_u32 v9, v7, v9, 0x7fff
	v_lshrrev_b32_e32 v9, 16, v9
	s_delay_alu instid0(VALU_DEP_1)
	v_cndmask_b32_e32 v7, 0x7fc0, v9, vcc_lo
.LBB208_1321:
	s_mov_b32 s0, 0
.LBB208_1322:
	s_delay_alu instid0(SALU_CYCLE_1)
	s_and_not1_b32 vcc_lo, exec_lo, s0
	s_cbranch_vccnz .LBB208_1324
; %bb.1323:
	global_load_b32 v7, v[0:1], off
	s_waitcnt vmcnt(0)
	v_cvt_f32_f16_e32 v9, v7
	v_cmp_o_f16_e32 vcc_lo, v7, v7
	s_delay_alu instid0(VALU_DEP_2) | instskip(NEXT) | instid1(VALU_DEP_1)
	v_bfe_u32 v10, v9, 16, 1
	v_add3_u32 v9, v9, v10, 0x7fff
	s_delay_alu instid0(VALU_DEP_1) | instskip(NEXT) | instid1(VALU_DEP_1)
	v_lshrrev_b32_e32 v9, 16, v9
	v_cndmask_b32_e32 v7, 0x7fc0, v9, vcc_lo
.LBB208_1324:
	s_mov_b32 s0, 0
.LBB208_1325:
	s_delay_alu instid0(SALU_CYCLE_1)
	s_and_not1_b32 vcc_lo, exec_lo, s0
	s_cbranch_vccnz .LBB208_1336
; %bb.1326:
	v_cmp_gt_i16_e32 vcc_lo, 6, v4
	s_cbranch_vccnz .LBB208_1329
; %bb.1327:
	v_cmp_lt_i16_e32 vcc_lo, 6, v4
	s_cbranch_vccz .LBB208_1330
; %bb.1328:
	global_load_b64 v[9:10], v[0:1], off
	s_mov_b32 s0, 0
	s_waitcnt vmcnt(0)
	v_cvt_f32_f64_e32 v7, v[9:10]
	s_delay_alu instid0(VALU_DEP_1) | instskip(SKIP_1) | instid1(VALU_DEP_2)
	v_bfe_u32 v9, v7, 16, 1
	v_cmp_o_f32_e32 vcc_lo, v7, v7
	v_add3_u32 v9, v7, v9, 0x7fff
	s_delay_alu instid0(VALU_DEP_1) | instskip(NEXT) | instid1(VALU_DEP_1)
	v_lshrrev_b32_e32 v9, 16, v9
	v_cndmask_b32_e32 v7, 0x7fc0, v9, vcc_lo
	s_branch .LBB208_1331
.LBB208_1329:
	s_mov_b32 s0, -1
                                        ; implicit-def: $vgpr7
	s_branch .LBB208_1334
.LBB208_1330:
	s_mov_b32 s0, -1
                                        ; implicit-def: $vgpr7
.LBB208_1331:
	s_delay_alu instid0(SALU_CYCLE_1)
	s_and_not1_b32 vcc_lo, exec_lo, s0
	s_cbranch_vccnz .LBB208_1333
; %bb.1332:
	global_load_b32 v7, v[0:1], off
	s_waitcnt vmcnt(0)
	v_bfe_u32 v9, v7, 16, 1
	v_cmp_o_f32_e32 vcc_lo, v7, v7
	s_delay_alu instid0(VALU_DEP_2) | instskip(NEXT) | instid1(VALU_DEP_1)
	v_add3_u32 v9, v7, v9, 0x7fff
	v_lshrrev_b32_e32 v9, 16, v9
	s_delay_alu instid0(VALU_DEP_1)
	v_cndmask_b32_e32 v7, 0x7fc0, v9, vcc_lo
.LBB208_1333:
	s_mov_b32 s0, 0
.LBB208_1334:
	s_delay_alu instid0(SALU_CYCLE_1)
	s_and_not1_b32 vcc_lo, exec_lo, s0
	s_cbranch_vccnz .LBB208_1336
; %bb.1335:
	global_load_u16 v7, v[0:1], off
	s_waitcnt vmcnt(0)
	v_cvt_f32_f16_e32 v9, v7
	v_cmp_o_f16_e32 vcc_lo, v7, v7
	s_delay_alu instid0(VALU_DEP_2) | instskip(NEXT) | instid1(VALU_DEP_1)
	v_bfe_u32 v10, v9, 16, 1
	v_add3_u32 v9, v9, v10, 0x7fff
	s_delay_alu instid0(VALU_DEP_1) | instskip(NEXT) | instid1(VALU_DEP_1)
	v_lshrrev_b32_e32 v9, 16, v9
	v_cndmask_b32_e32 v7, 0x7fc0, v9, vcc_lo
.LBB208_1336:
	s_mov_b32 s0, 0
.LBB208_1337:
	s_delay_alu instid0(SALU_CYCLE_1)
	s_and_not1_b32 vcc_lo, exec_lo, s0
	s_cbranch_vccnz .LBB208_1357
; %bb.1338:
	v_cmp_gt_i16_e32 vcc_lo, 2, v4
	s_cbranch_vccnz .LBB208_1342
; %bb.1339:
	v_cmp_gt_i16_e32 vcc_lo, 3, v4
	s_cbranch_vccnz .LBB208_1343
; %bb.1340:
	v_cmp_lt_i16_e32 vcc_lo, 3, v4
	s_cbranch_vccz .LBB208_1344
; %bb.1341:
	global_load_b64 v[9:10], v[0:1], off
	s_mov_b32 s0, 0
	s_waitcnt vmcnt(0)
	v_xor_b32_e32 v7, v9, v10
	v_cls_i32_e32 v11, v10
	s_delay_alu instid0(VALU_DEP_2) | instskip(NEXT) | instid1(VALU_DEP_2)
	v_ashrrev_i32_e32 v7, 31, v7
	v_add_nc_u32_e32 v11, -1, v11
	s_delay_alu instid0(VALU_DEP_2) | instskip(NEXT) | instid1(VALU_DEP_1)
	v_add_nc_u32_e32 v7, 32, v7
	v_min_u32_e32 v7, v11, v7
	s_delay_alu instid0(VALU_DEP_1) | instskip(SKIP_1) | instid1(VALU_DEP_2)
	v_lshlrev_b64 v[9:10], v7, v[9:10]
	v_sub_nc_u32_e32 v7, 32, v7
	v_min_u32_e32 v9, 1, v9
	s_delay_alu instid0(VALU_DEP_1) | instskip(NEXT) | instid1(VALU_DEP_1)
	v_or_b32_e32 v9, v10, v9
	v_cvt_f32_i32_e32 v9, v9
	s_delay_alu instid0(VALU_DEP_1) | instskip(NEXT) | instid1(VALU_DEP_1)
	v_ldexp_f32 v7, v9, v7
	v_bfe_u32 v9, v7, 16, 1
	s_delay_alu instid0(VALU_DEP_1) | instskip(NEXT) | instid1(VALU_DEP_1)
	v_add3_u32 v7, v7, v9, 0x7fff
	v_lshrrev_b32_e32 v7, 16, v7
	s_branch .LBB208_1345
.LBB208_1342:
	s_mov_b32 s0, -1
                                        ; implicit-def: $vgpr7
	s_branch .LBB208_1351
.LBB208_1343:
	s_mov_b32 s0, -1
                                        ; implicit-def: $vgpr7
	s_branch .LBB208_1348
.LBB208_1344:
	s_mov_b32 s0, -1
                                        ; implicit-def: $vgpr7
.LBB208_1345:
	s_delay_alu instid0(SALU_CYCLE_1)
	s_and_not1_b32 vcc_lo, exec_lo, s0
	s_cbranch_vccnz .LBB208_1347
; %bb.1346:
	global_load_b32 v7, v[0:1], off
	s_waitcnt vmcnt(0)
	v_cvt_f32_i32_e32 v7, v7
	s_delay_alu instid0(VALU_DEP_1) | instskip(NEXT) | instid1(VALU_DEP_1)
	v_bfe_u32 v9, v7, 16, 1
	v_add3_u32 v7, v7, v9, 0x7fff
	s_delay_alu instid0(VALU_DEP_1)
	v_lshrrev_b32_e32 v7, 16, v7
.LBB208_1347:
	s_mov_b32 s0, 0
.LBB208_1348:
	s_delay_alu instid0(SALU_CYCLE_1)
	s_and_not1_b32 vcc_lo, exec_lo, s0
	s_cbranch_vccnz .LBB208_1350
; %bb.1349:
	global_load_i16 v7, v[0:1], off
	s_waitcnt vmcnt(0)
	v_cvt_f32_i32_e32 v7, v7
	s_delay_alu instid0(VALU_DEP_1) | instskip(NEXT) | instid1(VALU_DEP_1)
	v_bfe_u32 v9, v7, 16, 1
	v_add3_u32 v7, v7, v9, 0x7fff
	s_delay_alu instid0(VALU_DEP_1)
	v_lshrrev_b32_e32 v7, 16, v7
.LBB208_1350:
	s_mov_b32 s0, 0
.LBB208_1351:
	s_delay_alu instid0(SALU_CYCLE_1)
	s_and_not1_b32 vcc_lo, exec_lo, s0
	s_cbranch_vccnz .LBB208_1357
; %bb.1352:
	v_cmp_lt_i16_e32 vcc_lo, 0, v4
	s_mov_b32 s0, 0
	s_cbranch_vccz .LBB208_1354
; %bb.1353:
	global_load_i8 v7, v[0:1], off
	s_waitcnt vmcnt(0)
	v_cvt_f32_i32_e32 v7, v7
	s_delay_alu instid0(VALU_DEP_1) | instskip(NEXT) | instid1(VALU_DEP_1)
	v_bfe_u32 v9, v7, 16, 1
	v_add3_u32 v7, v7, v9, 0x7fff
	s_delay_alu instid0(VALU_DEP_1)
	v_lshrrev_b32_e32 v7, 16, v7
	s_branch .LBB208_1355
.LBB208_1354:
	s_mov_b32 s0, -1
                                        ; implicit-def: $vgpr7
.LBB208_1355:
	s_delay_alu instid0(SALU_CYCLE_1)
	s_and_not1_b32 vcc_lo, exec_lo, s0
	s_cbranch_vccnz .LBB208_1357
; %bb.1356:
	global_load_u8 v0, v[0:1], off
	s_waitcnt vmcnt(0)
	v_cvt_f32_ubyte0_e32 v0, v0
	s_delay_alu instid0(VALU_DEP_1) | instskip(NEXT) | instid1(VALU_DEP_1)
	v_bfe_u32 v1, v0, 16, 1
	v_add3_u32 v0, v0, v1, 0x7fff
	s_delay_alu instid0(VALU_DEP_1)
	v_lshrrev_b32_e32 v7, 16, v0
.LBB208_1357:
	s_branch .LBB208_1429
.LBB208_1358:
	s_trap 2
	s_sendmsg_rtn_b32 s0, sendmsg(MSG_RTN_GET_DOORBELL)
	s_mov_b32 ttmp2, m0
	s_waitcnt lgkmcnt(0)
	s_and_b32 s0, s0, 0x3ff
	s_delay_alu instid0(SALU_CYCLE_1) | instskip(NEXT) | instid1(SALU_CYCLE_1)
	s_bitset1_b32 s0, 10
	s_mov_b32 m0, s0
	s_sendmsg sendmsg(MSG_INTERRUPT)
	s_mov_b32 m0, ttmp2
.LBB208_1359:                           ; =>This Inner Loop Header: Depth=1
	s_sethalt 5
	s_branch .LBB208_1359
.LBB208_1360:
	s_mov_b32 s0, -1
	s_mov_b32 s11, 0
.LBB208_1361:
                                        ; implicit-def: $vgpr7
.LBB208_1362:
	s_and_b32 vcc_lo, exec_lo, s12
	s_cbranch_vccz .LBB208_1366
; %bb.1363:
	v_cmp_eq_u16_e32 vcc_lo, 44, v4
	s_cbranch_vccz .LBB208_1365
; %bb.1364:
	global_load_u8 v7, v[0:1], off
	s_mov_b32 s0, 0
	s_mov_b32 s11, -1
	s_waitcnt vmcnt(0)
	v_lshlrev_b32_e32 v9, 23, v7
	v_cmp_ne_u32_e32 vcc_lo, 0xff, v7
	s_delay_alu instid0(VALU_DEP_2) | instskip(SKIP_1) | instid1(VALU_DEP_2)
	v_cndmask_b32_e32 v9, 0x7f800001, v9, vcc_lo
	v_cmp_ne_u32_e32 vcc_lo, 0, v7
	v_cndmask_b32_e32 v7, 0x400000, v9, vcc_lo
	s_delay_alu instid0(VALU_DEP_1) | instskip(SKIP_1) | instid1(VALU_DEP_2)
	v_add_nc_u32_e32 v9, 0x7fff, v7
	v_cmp_o_f32_e32 vcc_lo, v7, v7
	v_lshrrev_b32_e32 v9, 16, v9
	s_delay_alu instid0(VALU_DEP_1)
	v_cndmask_b32_e32 v7, 0x7fc0, v9, vcc_lo
	s_branch .LBB208_1366
.LBB208_1365:
	s_mov_b32 s0, -1
                                        ; implicit-def: $vgpr7
.LBB208_1366:
	s_mov_b32 s12, 0
.LBB208_1367:
	s_delay_alu instid0(SALU_CYCLE_1)
	s_and_b32 vcc_lo, exec_lo, s12
	s_cbranch_vccz .LBB208_1371
; %bb.1368:
	v_cmp_eq_u16_e32 vcc_lo, 29, v4
	s_cbranch_vccz .LBB208_1370
; %bb.1369:
	global_load_b64 v[9:10], v[0:1], off
	s_mov_b32 s0, 0
	s_mov_b32 s11, -1
	s_mov_b32 s12, 0
	s_waitcnt vmcnt(0)
	v_clz_i32_u32_e32 v7, v10
	s_delay_alu instid0(VALU_DEP_1) | instskip(NEXT) | instid1(VALU_DEP_1)
	v_min_u32_e32 v7, 32, v7
	v_lshlrev_b64 v[9:10], v7, v[9:10]
	v_sub_nc_u32_e32 v7, 32, v7
	s_delay_alu instid0(VALU_DEP_2) | instskip(NEXT) | instid1(VALU_DEP_1)
	v_min_u32_e32 v9, 1, v9
	v_or_b32_e32 v9, v10, v9
	s_delay_alu instid0(VALU_DEP_1) | instskip(NEXT) | instid1(VALU_DEP_1)
	v_cvt_f32_u32_e32 v9, v9
	v_ldexp_f32 v7, v9, v7
	s_delay_alu instid0(VALU_DEP_1) | instskip(NEXT) | instid1(VALU_DEP_1)
	v_bfe_u32 v9, v7, 16, 1
	v_add3_u32 v7, v7, v9, 0x7fff
	s_delay_alu instid0(VALU_DEP_1)
	v_lshrrev_b32_e32 v7, 16, v7
	s_branch .LBB208_1372
.LBB208_1370:
	s_mov_b32 s0, -1
                                        ; implicit-def: $vgpr7
.LBB208_1371:
	s_mov_b32 s12, 0
.LBB208_1372:
	s_delay_alu instid0(SALU_CYCLE_1)
	s_and_b32 vcc_lo, exec_lo, s12
	s_cbranch_vccz .LBB208_1390
; %bb.1373:
	v_cmp_gt_i16_e32 vcc_lo, 27, v4
	s_cbranch_vccnz .LBB208_1376
; %bb.1374:
	v_cmp_lt_i16_e32 vcc_lo, 27, v4
	s_cbranch_vccz .LBB208_1377
; %bb.1375:
	global_load_b32 v7, v[0:1], off
	s_mov_b32 s11, 0
	s_waitcnt vmcnt(0)
	v_cvt_f32_u32_e32 v7, v7
	s_delay_alu instid0(VALU_DEP_1) | instskip(NEXT) | instid1(VALU_DEP_1)
	v_bfe_u32 v9, v7, 16, 1
	v_add3_u32 v7, v7, v9, 0x7fff
	s_delay_alu instid0(VALU_DEP_1)
	v_lshrrev_b32_e32 v7, 16, v7
	s_branch .LBB208_1378
.LBB208_1376:
	s_mov_b32 s11, -1
                                        ; implicit-def: $vgpr7
	s_branch .LBB208_1381
.LBB208_1377:
	s_mov_b32 s11, -1
                                        ; implicit-def: $vgpr7
.LBB208_1378:
	s_delay_alu instid0(SALU_CYCLE_1)
	s_and_not1_b32 vcc_lo, exec_lo, s11
	s_cbranch_vccnz .LBB208_1380
; %bb.1379:
	global_load_u16 v7, v[0:1], off
	s_waitcnt vmcnt(0)
	v_cvt_f32_u32_e32 v7, v7
	s_delay_alu instid0(VALU_DEP_1) | instskip(NEXT) | instid1(VALU_DEP_1)
	v_bfe_u32 v9, v7, 16, 1
	v_add3_u32 v7, v7, v9, 0x7fff
	s_delay_alu instid0(VALU_DEP_1)
	v_lshrrev_b32_e32 v7, 16, v7
.LBB208_1380:
	s_mov_b32 s11, 0
.LBB208_1381:
	s_delay_alu instid0(SALU_CYCLE_1)
	s_and_not1_b32 vcc_lo, exec_lo, s11
	s_cbranch_vccnz .LBB208_1389
; %bb.1382:
	global_load_u8 v7, v[0:1], off
	s_mov_b32 s11, 0
	s_mov_b32 s13, exec_lo
                                        ; implicit-def: $sgpr12
	s_waitcnt vmcnt(0)
	v_cmpx_lt_i16_e32 0x7f, v7
	s_xor_b32 s13, exec_lo, s13
	s_cbranch_execz .LBB208_1403
; %bb.1383:
	s_mov_b32 s11, -1
	s_mov_b32 s14, exec_lo
                                        ; implicit-def: $sgpr12
	v_cmpx_eq_u16_e32 0x80, v7
; %bb.1384:
	s_mov_b32 s12, 0x7f800001
	s_xor_b32 s11, exec_lo, -1
; %bb.1385:
	s_or_b32 exec_lo, exec_lo, s14
	s_delay_alu instid0(SALU_CYCLE_1)
	s_and_b32 s11, s11, exec_lo
	s_or_saveexec_b32 s13, s13
	v_mov_b32_e32 v9, s12
	s_xor_b32 exec_lo, exec_lo, s13
	s_cbranch_execnz .LBB208_1404
.LBB208_1386:
	s_or_b32 exec_lo, exec_lo, s13
	s_and_saveexec_b32 s12, s11
	s_cbranch_execz .LBB208_1388
.LBB208_1387:
	v_and_b32_e32 v9, 0xffff, v7
	v_lshlrev_b32_e32 v7, 24, v7
	s_delay_alu instid0(VALU_DEP_2) | instskip(NEXT) | instid1(VALU_DEP_2)
	v_and_b32_e32 v10, 7, v9
	v_and_b32_e32 v7, 0x80000000, v7
	s_delay_alu instid0(VALU_DEP_2) | instskip(NEXT) | instid1(VALU_DEP_1)
	v_clz_i32_u32_e32 v11, v10
	v_min_u32_e32 v11, 32, v11
	s_delay_alu instid0(VALU_DEP_1) | instskip(SKIP_1) | instid1(VALU_DEP_2)
	v_subrev_nc_u32_e32 v12, 28, v11
	v_sub_nc_u32_e32 v11, 29, v11
	v_lshlrev_b32_e32 v12, v12, v9
	v_bfe_u32 v9, v9, 3, 4
	s_delay_alu instid0(VALU_DEP_2) | instskip(NEXT) | instid1(VALU_DEP_2)
	v_and_b32_e32 v12, 7, v12
	v_cmp_eq_u32_e32 vcc_lo, 0, v9
	s_delay_alu instid0(VALU_DEP_2) | instskip(NEXT) | instid1(VALU_DEP_1)
	v_dual_cndmask_b32 v9, v9, v11 :: v_dual_cndmask_b32 v10, v10, v12
	v_lshl_add_u32 v9, v9, 23, 0x3b800000
	s_delay_alu instid0(VALU_DEP_2) | instskip(NEXT) | instid1(VALU_DEP_1)
	v_lshlrev_b32_e32 v10, 20, v10
	v_or3_b32 v9, v7, v9, v10
.LBB208_1388:
	s_or_b32 exec_lo, exec_lo, s12
	s_delay_alu instid0(VALU_DEP_1) | instskip(SKIP_1) | instid1(VALU_DEP_2)
	v_bfe_u32 v7, v9, 16, 1
	v_cmp_o_f32_e32 vcc_lo, v9, v9
	v_add3_u32 v7, v9, v7, 0x7fff
	s_delay_alu instid0(VALU_DEP_1) | instskip(NEXT) | instid1(VALU_DEP_1)
	v_lshrrev_b32_e32 v7, 16, v7
	v_cndmask_b32_e32 v7, 0x7fc0, v7, vcc_lo
.LBB208_1389:
	s_mov_b32 s11, -1
.LBB208_1390:
	s_mov_b32 s12, 0
.LBB208_1391:
	s_delay_alu instid0(SALU_CYCLE_1)
	s_and_b32 vcc_lo, exec_lo, s12
	s_cbranch_vccz .LBB208_1424
; %bb.1392:
	v_cmp_lt_i16_e32 vcc_lo, 22, v4
	s_cbranch_vccz .LBB208_1402
; %bb.1393:
	v_cmp_gt_i16_e32 vcc_lo, 24, v4
	s_cbranch_vccnz .LBB208_1405
; %bb.1394:
	v_cmp_lt_i16_e32 vcc_lo, 24, v4
	s_cbranch_vccz .LBB208_1406
; %bb.1395:
	global_load_u8 v7, v[0:1], off
	s_mov_b32 s12, exec_lo
                                        ; implicit-def: $sgpr11
	s_waitcnt vmcnt(0)
	v_cmpx_lt_i16_e32 0x7f, v7
	s_xor_b32 s12, exec_lo, s12
	s_cbranch_execz .LBB208_1418
; %bb.1396:
	s_mov_b32 s10, -1
	s_mov_b32 s13, exec_lo
                                        ; implicit-def: $sgpr11
	v_cmpx_eq_u16_e32 0x80, v7
; %bb.1397:
	s_mov_b32 s11, 0x7f800001
	s_xor_b32 s10, exec_lo, -1
; %bb.1398:
	s_or_b32 exec_lo, exec_lo, s13
	s_delay_alu instid0(SALU_CYCLE_1)
	s_and_b32 s10, s10, exec_lo
	s_or_saveexec_b32 s12, s12
	v_mov_b32_e32 v9, s11
	s_xor_b32 exec_lo, exec_lo, s12
	s_cbranch_execnz .LBB208_1419
.LBB208_1399:
	s_or_b32 exec_lo, exec_lo, s12
	s_and_saveexec_b32 s11, s10
	s_cbranch_execz .LBB208_1401
.LBB208_1400:
	v_and_b32_e32 v9, 0xffff, v7
	v_lshlrev_b32_e32 v7, 24, v7
	s_delay_alu instid0(VALU_DEP_2) | instskip(NEXT) | instid1(VALU_DEP_2)
	v_and_b32_e32 v10, 3, v9
	v_and_b32_e32 v7, 0x80000000, v7
	s_delay_alu instid0(VALU_DEP_2) | instskip(NEXT) | instid1(VALU_DEP_1)
	v_clz_i32_u32_e32 v11, v10
	v_min_u32_e32 v11, 32, v11
	s_delay_alu instid0(VALU_DEP_1) | instskip(SKIP_1) | instid1(VALU_DEP_2)
	v_subrev_nc_u32_e32 v12, 29, v11
	v_sub_nc_u32_e32 v11, 30, v11
	v_lshlrev_b32_e32 v12, v12, v9
	v_bfe_u32 v9, v9, 2, 5
	s_delay_alu instid0(VALU_DEP_2) | instskip(NEXT) | instid1(VALU_DEP_2)
	v_and_b32_e32 v12, 3, v12
	v_cmp_eq_u32_e32 vcc_lo, 0, v9
	s_delay_alu instid0(VALU_DEP_2) | instskip(NEXT) | instid1(VALU_DEP_1)
	v_dual_cndmask_b32 v9, v9, v11 :: v_dual_cndmask_b32 v10, v10, v12
	v_lshl_add_u32 v9, v9, 23, 0x37800000
	s_delay_alu instid0(VALU_DEP_2) | instskip(NEXT) | instid1(VALU_DEP_1)
	v_lshlrev_b32_e32 v10, 21, v10
	v_or3_b32 v9, v7, v9, v10
.LBB208_1401:
	s_or_b32 exec_lo, exec_lo, s11
	s_delay_alu instid0(VALU_DEP_1) | instskip(SKIP_2) | instid1(VALU_DEP_2)
	v_bfe_u32 v7, v9, 16, 1
	v_cmp_o_f32_e32 vcc_lo, v9, v9
	s_mov_b32 s10, 0
	v_add3_u32 v7, v9, v7, 0x7fff
	s_delay_alu instid0(VALU_DEP_1) | instskip(NEXT) | instid1(VALU_DEP_1)
	v_lshrrev_b32_e32 v7, 16, v7
	v_cndmask_b32_e32 v7, 0x7fc0, v7, vcc_lo
	s_branch .LBB208_1407
.LBB208_1402:
	s_mov_b32 s10, -1
                                        ; implicit-def: $vgpr7
	s_branch .LBB208_1413
.LBB208_1403:
	s_or_saveexec_b32 s13, s13
	v_mov_b32_e32 v9, s12
	s_xor_b32 exec_lo, exec_lo, s13
	s_cbranch_execz .LBB208_1386
.LBB208_1404:
	v_cmp_ne_u16_e32 vcc_lo, 0, v7
	v_mov_b32_e32 v9, 0
	s_and_not1_b32 s11, s11, exec_lo
	s_and_b32 s12, vcc_lo, exec_lo
	s_delay_alu instid0(SALU_CYCLE_1)
	s_or_b32 s11, s11, s12
	s_or_b32 exec_lo, exec_lo, s13
	s_and_saveexec_b32 s12, s11
	s_cbranch_execnz .LBB208_1387
	s_branch .LBB208_1388
.LBB208_1405:
	s_mov_b32 s10, -1
                                        ; implicit-def: $vgpr7
	s_branch .LBB208_1410
.LBB208_1406:
	s_mov_b32 s10, -1
                                        ; implicit-def: $vgpr7
.LBB208_1407:
	s_delay_alu instid0(SALU_CYCLE_1)
	s_and_b32 vcc_lo, exec_lo, s10
	s_cbranch_vccz .LBB208_1409
; %bb.1408:
	global_load_u8 v7, v[0:1], off
	s_waitcnt vmcnt(0)
	v_lshlrev_b32_e32 v7, 24, v7
	s_delay_alu instid0(VALU_DEP_1) | instskip(NEXT) | instid1(VALU_DEP_1)
	v_and_b32_e32 v9, 0x7f000000, v7
	v_clz_i32_u32_e32 v10, v9
	v_cmp_ne_u32_e32 vcc_lo, 0, v9
	v_add_nc_u32_e32 v12, 0x1000000, v9
	s_delay_alu instid0(VALU_DEP_3) | instskip(NEXT) | instid1(VALU_DEP_1)
	v_min_u32_e32 v10, 32, v10
	v_sub_nc_u32_e64 v10, v10, 4 clamp
	s_delay_alu instid0(VALU_DEP_1) | instskip(SKIP_1) | instid1(VALU_DEP_2)
	v_lshlrev_b32_e32 v11, v10, v9
	v_lshlrev_b32_e32 v10, 23, v10
	v_lshrrev_b32_e32 v11, 4, v11
	s_delay_alu instid0(VALU_DEP_1) | instskip(SKIP_1) | instid1(VALU_DEP_2)
	v_sub_nc_u32_e32 v10, v11, v10
	v_ashrrev_i32_e32 v11, 8, v12
	v_add_nc_u32_e32 v10, 0x3c000000, v10
	s_delay_alu instid0(VALU_DEP_1) | instskip(NEXT) | instid1(VALU_DEP_1)
	v_and_or_b32 v10, 0x7f800000, v11, v10
	v_cndmask_b32_e32 v9, 0, v10, vcc_lo
	s_delay_alu instid0(VALU_DEP_1) | instskip(SKIP_1) | instid1(VALU_DEP_2)
	v_and_or_b32 v7, 0x80000000, v7, v9
	v_bfe_u32 v9, v9, 16, 1
	v_cmp_o_f32_e32 vcc_lo, v7, v7
	s_delay_alu instid0(VALU_DEP_2) | instskip(NEXT) | instid1(VALU_DEP_1)
	v_add3_u32 v9, v7, v9, 0x7fff
	v_lshrrev_b32_e32 v9, 16, v9
	s_delay_alu instid0(VALU_DEP_1)
	v_cndmask_b32_e32 v7, 0x7fc0, v9, vcc_lo
.LBB208_1409:
	s_mov_b32 s10, 0
.LBB208_1410:
	s_delay_alu instid0(SALU_CYCLE_1)
	s_and_not1_b32 vcc_lo, exec_lo, s10
	s_cbranch_vccnz .LBB208_1412
; %bb.1411:
	global_load_u8 v7, v[0:1], off
	s_waitcnt vmcnt(0)
	v_lshlrev_b32_e32 v9, 25, v7
	v_lshlrev_b16 v7, 8, v7
	s_delay_alu instid0(VALU_DEP_2) | instskip(NEXT) | instid1(VALU_DEP_2)
	v_lshrrev_b32_e32 v10, 4, v9
	v_and_or_b32 v11, 0x7f00, v7, 0.5
	v_bfe_i32 v7, v7, 0, 16
	s_delay_alu instid0(VALU_DEP_3) | instskip(NEXT) | instid1(VALU_DEP_1)
	v_or_b32_e32 v10, 0x70000000, v10
	v_dual_add_f32 v11, -0.5, v11 :: v_dual_mul_f32 v10, 0x7800000, v10
	v_cmp_gt_u32_e32 vcc_lo, 0x8000000, v9
	s_delay_alu instid0(VALU_DEP_2) | instskip(NEXT) | instid1(VALU_DEP_1)
	v_cndmask_b32_e32 v9, v10, v11, vcc_lo
	v_and_or_b32 v7, 0x80000000, v7, v9
	v_bfe_u32 v9, v9, 16, 1
	s_delay_alu instid0(VALU_DEP_2) | instskip(NEXT) | instid1(VALU_DEP_2)
	v_cmp_o_f32_e32 vcc_lo, v7, v7
	v_add3_u32 v9, v7, v9, 0x7fff
	s_delay_alu instid0(VALU_DEP_1) | instskip(NEXT) | instid1(VALU_DEP_1)
	v_lshrrev_b32_e32 v9, 16, v9
	v_cndmask_b32_e32 v7, 0x7fc0, v9, vcc_lo
.LBB208_1412:
	s_mov_b32 s10, 0
	s_mov_b32 s11, -1
.LBB208_1413:
	s_and_not1_b32 vcc_lo, exec_lo, s10
	s_mov_b32 s10, 0
	s_cbranch_vccnz .LBB208_1424
; %bb.1414:
	v_cmp_lt_i16_e32 vcc_lo, 14, v4
	s_cbranch_vccz .LBB208_1417
; %bb.1415:
	v_cmp_eq_u16_e32 vcc_lo, 15, v4
	s_cbranch_vccz .LBB208_1420
; %bb.1416:
	global_load_u16 v7, v[0:1], off
	s_mov_b32 s0, 0
	s_mov_b32 s11, -1
	s_branch .LBB208_1422
.LBB208_1417:
	s_mov_b32 s10, -1
	s_branch .LBB208_1421
.LBB208_1418:
	s_or_saveexec_b32 s12, s12
	v_mov_b32_e32 v9, s11
	s_xor_b32 exec_lo, exec_lo, s12
	s_cbranch_execz .LBB208_1399
.LBB208_1419:
	v_cmp_ne_u16_e32 vcc_lo, 0, v7
	v_mov_b32_e32 v9, 0
	s_and_not1_b32 s10, s10, exec_lo
	s_and_b32 s11, vcc_lo, exec_lo
	s_delay_alu instid0(SALU_CYCLE_1)
	s_or_b32 s10, s10, s11
	s_or_b32 exec_lo, exec_lo, s12
	s_and_saveexec_b32 s11, s10
	s_cbranch_execnz .LBB208_1400
	s_branch .LBB208_1401
.LBB208_1420:
	s_mov_b32 s0, -1
.LBB208_1421:
                                        ; implicit-def: $vgpr7
.LBB208_1422:
	s_and_b32 vcc_lo, exec_lo, s10
	s_mov_b32 s10, 0
	s_cbranch_vccz .LBB208_1424
; %bb.1423:
	v_cmp_ne_u16_e64 s0, 11, v4
	s_mov_b32 s10, -1
                                        ; implicit-def: $vgpr7
.LBB208_1424:
	s_delay_alu instid0(VALU_DEP_1)
	s_and_b32 vcc_lo, exec_lo, s0
	s_cbranch_vccnz .LBB208_1440
; %bb.1425:
	s_and_not1_b32 vcc_lo, exec_lo, s10
	s_cbranch_vccnz .LBB208_1427
.LBB208_1426:
	global_load_u8 v7, v[0:1], off
	s_mov_b32 s11, -1
	s_waitcnt vmcnt(0)
	v_cmp_ne_u16_e32 vcc_lo, 0, v7
	v_cndmask_b32_e64 v7, 0, 1.0, vcc_lo
	s_delay_alu instid0(VALU_DEP_1)
	v_lshrrev_b32_e32 v7, 16, v7
.LBB208_1427:
.LBB208_1428:
	s_and_not1_b32 vcc_lo, exec_lo, s11
	s_cbranch_vccnz .LBB208_1996
.LBB208_1429:
	v_add_nc_u32_e32 v0, s3, v8
	v_cmp_gt_i16_e32 vcc_lo, 11, v4
	s_delay_alu instid0(VALU_DEP_2) | instskip(SKIP_1) | instid1(VALU_DEP_1)
	v_ashrrev_i32_e32 v1, 31, v0
	v_add_co_u32 v0, s0, s6, v0
	v_add_co_ci_u32_e64 v1, s0, s7, v1, s0
	s_cbranch_vccnz .LBB208_1436
; %bb.1430:
	v_cmp_lt_i16_e32 vcc_lo, 25, v4
	s_mov_b32 s3, 0
	s_cbranch_vccz .LBB208_1437
; %bb.1431:
	v_cmp_lt_i16_e32 vcc_lo, 28, v4
	s_cbranch_vccz .LBB208_1438
; %bb.1432:
	v_cmp_lt_i16_e32 vcc_lo, 43, v4
	;; [unrolled: 3-line block ×3, first 2 shown]
	s_cbranch_vccz .LBB208_1442
; %bb.1434:
	v_cmp_eq_u16_e32 vcc_lo, 46, v4
	s_mov_b32 s7, 0
	s_cbranch_vccz .LBB208_1445
; %bb.1435:
	global_load_b32 v8, v[0:1], off
	s_mov_b32 s0, 0
	s_mov_b32 s6, -1
	s_branch .LBB208_1447
.LBB208_1436:
	s_mov_b32 s0, -1
	s_mov_b32 s6, 0
                                        ; implicit-def: $vgpr8
	s_branch .LBB208_1513
.LBB208_1437:
	s_mov_b32 s7, -1
	s_mov_b32 s6, 0
	s_mov_b32 s0, 0
                                        ; implicit-def: $vgpr8
	s_branch .LBB208_1476
.LBB208_1438:
	s_mov_b32 s7, -1
	s_mov_b32 s6, 0
	s_mov_b32 s0, 0
                                        ; implicit-def: $vgpr8
	s_branch .LBB208_1457
.LBB208_1439:
	s_mov_b32 s7, -1
	s_mov_b32 s6, 0
	s_mov_b32 s0, 0
                                        ; implicit-def: $vgpr8
	s_branch .LBB208_1452
.LBB208_1440:
	s_cbranch_execnz .LBB208_1443
; %bb.1441:
	s_or_b32 s1, s1, exec_lo
                                        ; implicit-def: $vgpr7
	s_cbranch_execz .LBB208_1426
	s_branch .LBB208_1427
.LBB208_1442:
	s_mov_b32 s7, -1
	s_mov_b32 s6, 0
	s_mov_b32 s0, 0
	s_branch .LBB208_1446
.LBB208_1443:
	s_trap 2
	s_sendmsg_rtn_b32 s0, sendmsg(MSG_RTN_GET_DOORBELL)
	s_mov_b32 ttmp2, m0
	s_waitcnt lgkmcnt(0)
	s_and_b32 s0, s0, 0x3ff
	s_delay_alu instid0(SALU_CYCLE_1) | instskip(NEXT) | instid1(SALU_CYCLE_1)
	s_bitset1_b32 s0, 10
	s_mov_b32 m0, s0
	s_sendmsg sendmsg(MSG_INTERRUPT)
	s_mov_b32 m0, ttmp2
.LBB208_1444:                           ; =>This Inner Loop Header: Depth=1
	s_sethalt 5
	s_branch .LBB208_1444
.LBB208_1445:
	s_mov_b32 s0, -1
	s_mov_b32 s6, 0
.LBB208_1446:
                                        ; implicit-def: $vgpr8
.LBB208_1447:
	s_and_b32 vcc_lo, exec_lo, s7
	s_cbranch_vccz .LBB208_1451
; %bb.1448:
	v_cmp_eq_u16_e32 vcc_lo, 44, v4
	s_cbranch_vccz .LBB208_1450
; %bb.1449:
	global_load_u8 v8, v[0:1], off
	s_mov_b32 s0, 0
	s_mov_b32 s6, -1
	s_waitcnt vmcnt(0)
	v_lshlrev_b32_e32 v9, 23, v8
	v_cmp_ne_u32_e32 vcc_lo, 0xff, v8
	s_delay_alu instid0(VALU_DEP_2) | instskip(SKIP_1) | instid1(VALU_DEP_2)
	v_cndmask_b32_e32 v9, 0x7f800001, v9, vcc_lo
	v_cmp_ne_u32_e32 vcc_lo, 0, v8
	v_cndmask_b32_e32 v8, 0x400000, v9, vcc_lo
	s_delay_alu instid0(VALU_DEP_1) | instskip(SKIP_1) | instid1(VALU_DEP_2)
	v_add_nc_u32_e32 v9, 0x7fff, v8
	v_cmp_o_f32_e32 vcc_lo, v8, v8
	v_lshrrev_b32_e32 v9, 16, v9
	s_delay_alu instid0(VALU_DEP_1)
	v_cndmask_b32_e32 v8, 0x7fc0, v9, vcc_lo
	s_branch .LBB208_1451
.LBB208_1450:
	s_mov_b32 s0, -1
                                        ; implicit-def: $vgpr8
.LBB208_1451:
	s_mov_b32 s7, 0
.LBB208_1452:
	s_delay_alu instid0(SALU_CYCLE_1)
	s_and_b32 vcc_lo, exec_lo, s7
	s_cbranch_vccz .LBB208_1456
; %bb.1453:
	v_cmp_eq_u16_e32 vcc_lo, 29, v4
	s_cbranch_vccz .LBB208_1455
; %bb.1454:
	global_load_b64 v[8:9], v[0:1], off
	s_mov_b32 s0, 0
	s_mov_b32 s6, -1
	s_mov_b32 s7, 0
	s_waitcnt vmcnt(0)
	v_clz_i32_u32_e32 v10, v9
	s_delay_alu instid0(VALU_DEP_1) | instskip(NEXT) | instid1(VALU_DEP_1)
	v_min_u32_e32 v10, 32, v10
	v_lshlrev_b64 v[8:9], v10, v[8:9]
	s_delay_alu instid0(VALU_DEP_1) | instskip(NEXT) | instid1(VALU_DEP_1)
	v_min_u32_e32 v8, 1, v8
	v_or_b32_e32 v8, v9, v8
	v_sub_nc_u32_e32 v9, 32, v10
	s_delay_alu instid0(VALU_DEP_2) | instskip(NEXT) | instid1(VALU_DEP_1)
	v_cvt_f32_u32_e32 v8, v8
	v_ldexp_f32 v8, v8, v9
	s_delay_alu instid0(VALU_DEP_1) | instskip(NEXT) | instid1(VALU_DEP_1)
	v_bfe_u32 v9, v8, 16, 1
	v_add3_u32 v8, v8, v9, 0x7fff
	s_delay_alu instid0(VALU_DEP_1)
	v_lshrrev_b32_e32 v8, 16, v8
	s_branch .LBB208_1457
.LBB208_1455:
	s_mov_b32 s0, -1
                                        ; implicit-def: $vgpr8
.LBB208_1456:
	s_mov_b32 s7, 0
.LBB208_1457:
	s_delay_alu instid0(SALU_CYCLE_1)
	s_and_b32 vcc_lo, exec_lo, s7
	s_cbranch_vccz .LBB208_1475
; %bb.1458:
	v_cmp_gt_i16_e32 vcc_lo, 27, v4
	s_cbranch_vccnz .LBB208_1461
; %bb.1459:
	v_cmp_lt_i16_e32 vcc_lo, 27, v4
	s_cbranch_vccz .LBB208_1462
; %bb.1460:
	global_load_b32 v8, v[0:1], off
	s_mov_b32 s6, 0
	s_waitcnt vmcnt(0)
	v_cvt_f32_u32_e32 v8, v8
	s_delay_alu instid0(VALU_DEP_1) | instskip(NEXT) | instid1(VALU_DEP_1)
	v_bfe_u32 v9, v8, 16, 1
	v_add3_u32 v8, v8, v9, 0x7fff
	s_delay_alu instid0(VALU_DEP_1)
	v_lshrrev_b32_e32 v8, 16, v8
	s_branch .LBB208_1463
.LBB208_1461:
	s_mov_b32 s6, -1
                                        ; implicit-def: $vgpr8
	s_branch .LBB208_1466
.LBB208_1462:
	s_mov_b32 s6, -1
                                        ; implicit-def: $vgpr8
.LBB208_1463:
	s_delay_alu instid0(SALU_CYCLE_1)
	s_and_not1_b32 vcc_lo, exec_lo, s6
	s_cbranch_vccnz .LBB208_1465
; %bb.1464:
	global_load_u16 v8, v[0:1], off
	s_waitcnt vmcnt(0)
	v_cvt_f32_u32_e32 v8, v8
	s_delay_alu instid0(VALU_DEP_1) | instskip(NEXT) | instid1(VALU_DEP_1)
	v_bfe_u32 v9, v8, 16, 1
	v_add3_u32 v8, v8, v9, 0x7fff
	s_delay_alu instid0(VALU_DEP_1)
	v_lshrrev_b32_e32 v8, 16, v8
.LBB208_1465:
	s_mov_b32 s6, 0
.LBB208_1466:
	s_delay_alu instid0(SALU_CYCLE_1)
	s_and_not1_b32 vcc_lo, exec_lo, s6
	s_cbranch_vccnz .LBB208_1474
; %bb.1467:
	global_load_u8 v8, v[0:1], off
	s_mov_b32 s6, 0
	s_mov_b32 s10, exec_lo
                                        ; implicit-def: $sgpr7
	s_waitcnt vmcnt(0)
	v_cmpx_lt_i16_e32 0x7f, v8
	s_xor_b32 s10, exec_lo, s10
	s_cbranch_execz .LBB208_1488
; %bb.1468:
	s_mov_b32 s6, -1
	s_mov_b32 s11, exec_lo
                                        ; implicit-def: $sgpr7
	v_cmpx_eq_u16_e32 0x80, v8
; %bb.1469:
	s_mov_b32 s7, 0x7f800001
	s_xor_b32 s6, exec_lo, -1
; %bb.1470:
	s_or_b32 exec_lo, exec_lo, s11
	s_delay_alu instid0(SALU_CYCLE_1)
	s_and_b32 s6, s6, exec_lo
	s_or_saveexec_b32 s10, s10
	v_mov_b32_e32 v9, s7
	s_xor_b32 exec_lo, exec_lo, s10
	s_cbranch_execnz .LBB208_1489
.LBB208_1471:
	s_or_b32 exec_lo, exec_lo, s10
	s_and_saveexec_b32 s7, s6
	s_cbranch_execz .LBB208_1473
.LBB208_1472:
	v_and_b32_e32 v9, 0xffff, v8
	v_lshlrev_b32_e32 v8, 24, v8
	s_delay_alu instid0(VALU_DEP_2) | instskip(NEXT) | instid1(VALU_DEP_2)
	v_and_b32_e32 v10, 7, v9
	v_and_b32_e32 v8, 0x80000000, v8
	s_delay_alu instid0(VALU_DEP_2) | instskip(NEXT) | instid1(VALU_DEP_1)
	v_clz_i32_u32_e32 v11, v10
	v_min_u32_e32 v11, 32, v11
	s_delay_alu instid0(VALU_DEP_1) | instskip(SKIP_1) | instid1(VALU_DEP_2)
	v_subrev_nc_u32_e32 v12, 28, v11
	v_sub_nc_u32_e32 v11, 29, v11
	v_lshlrev_b32_e32 v12, v12, v9
	v_bfe_u32 v9, v9, 3, 4
	s_delay_alu instid0(VALU_DEP_2) | instskip(NEXT) | instid1(VALU_DEP_2)
	v_and_b32_e32 v12, 7, v12
	v_cmp_eq_u32_e32 vcc_lo, 0, v9
	s_delay_alu instid0(VALU_DEP_2) | instskip(NEXT) | instid1(VALU_DEP_1)
	v_dual_cndmask_b32 v9, v9, v11 :: v_dual_cndmask_b32 v10, v10, v12
	v_lshl_add_u32 v9, v9, 23, 0x3b800000
	s_delay_alu instid0(VALU_DEP_2) | instskip(NEXT) | instid1(VALU_DEP_1)
	v_lshlrev_b32_e32 v10, 20, v10
	v_or3_b32 v9, v8, v9, v10
.LBB208_1473:
	s_or_b32 exec_lo, exec_lo, s7
	s_delay_alu instid0(VALU_DEP_1) | instskip(SKIP_1) | instid1(VALU_DEP_2)
	v_bfe_u32 v8, v9, 16, 1
	v_cmp_o_f32_e32 vcc_lo, v9, v9
	v_add3_u32 v8, v9, v8, 0x7fff
	s_delay_alu instid0(VALU_DEP_1) | instskip(NEXT) | instid1(VALU_DEP_1)
	v_lshrrev_b32_e32 v8, 16, v8
	v_cndmask_b32_e32 v8, 0x7fc0, v8, vcc_lo
.LBB208_1474:
	s_mov_b32 s6, -1
.LBB208_1475:
	s_mov_b32 s7, 0
.LBB208_1476:
	s_delay_alu instid0(SALU_CYCLE_1)
	s_and_b32 vcc_lo, exec_lo, s7
	s_cbranch_vccz .LBB208_1509
; %bb.1477:
	v_cmp_lt_i16_e32 vcc_lo, 22, v4
	s_cbranch_vccz .LBB208_1487
; %bb.1478:
	v_cmp_gt_i16_e32 vcc_lo, 24, v4
	s_cbranch_vccnz .LBB208_1490
; %bb.1479:
	v_cmp_lt_i16_e32 vcc_lo, 24, v4
	s_cbranch_vccz .LBB208_1491
; %bb.1480:
	global_load_u8 v8, v[0:1], off
	s_mov_b32 s7, exec_lo
                                        ; implicit-def: $sgpr6
	s_waitcnt vmcnt(0)
	v_cmpx_lt_i16_e32 0x7f, v8
	s_xor_b32 s7, exec_lo, s7
	s_cbranch_execz .LBB208_1503
; %bb.1481:
	s_mov_b32 s3, -1
	s_mov_b32 s10, exec_lo
                                        ; implicit-def: $sgpr6
	v_cmpx_eq_u16_e32 0x80, v8
; %bb.1482:
	s_mov_b32 s6, 0x7f800001
	s_xor_b32 s3, exec_lo, -1
; %bb.1483:
	s_or_b32 exec_lo, exec_lo, s10
	s_delay_alu instid0(SALU_CYCLE_1)
	s_and_b32 s3, s3, exec_lo
	s_or_saveexec_b32 s7, s7
	v_mov_b32_e32 v9, s6
	s_xor_b32 exec_lo, exec_lo, s7
	s_cbranch_execnz .LBB208_1504
.LBB208_1484:
	s_or_b32 exec_lo, exec_lo, s7
	s_and_saveexec_b32 s6, s3
	s_cbranch_execz .LBB208_1486
.LBB208_1485:
	v_and_b32_e32 v9, 0xffff, v8
	v_lshlrev_b32_e32 v8, 24, v8
	s_delay_alu instid0(VALU_DEP_2) | instskip(NEXT) | instid1(VALU_DEP_2)
	v_and_b32_e32 v10, 3, v9
	v_and_b32_e32 v8, 0x80000000, v8
	s_delay_alu instid0(VALU_DEP_2) | instskip(NEXT) | instid1(VALU_DEP_1)
	v_clz_i32_u32_e32 v11, v10
	v_min_u32_e32 v11, 32, v11
	s_delay_alu instid0(VALU_DEP_1) | instskip(SKIP_1) | instid1(VALU_DEP_2)
	v_subrev_nc_u32_e32 v12, 29, v11
	v_sub_nc_u32_e32 v11, 30, v11
	v_lshlrev_b32_e32 v12, v12, v9
	v_bfe_u32 v9, v9, 2, 5
	s_delay_alu instid0(VALU_DEP_2) | instskip(NEXT) | instid1(VALU_DEP_2)
	v_and_b32_e32 v12, 3, v12
	v_cmp_eq_u32_e32 vcc_lo, 0, v9
	s_delay_alu instid0(VALU_DEP_2) | instskip(NEXT) | instid1(VALU_DEP_1)
	v_dual_cndmask_b32 v9, v9, v11 :: v_dual_cndmask_b32 v10, v10, v12
	v_lshl_add_u32 v9, v9, 23, 0x37800000
	s_delay_alu instid0(VALU_DEP_2) | instskip(NEXT) | instid1(VALU_DEP_1)
	v_lshlrev_b32_e32 v10, 21, v10
	v_or3_b32 v9, v8, v9, v10
.LBB208_1486:
	s_or_b32 exec_lo, exec_lo, s6
	s_delay_alu instid0(VALU_DEP_1) | instskip(SKIP_2) | instid1(VALU_DEP_2)
	v_bfe_u32 v8, v9, 16, 1
	v_cmp_o_f32_e32 vcc_lo, v9, v9
	s_mov_b32 s3, 0
	v_add3_u32 v8, v9, v8, 0x7fff
	s_delay_alu instid0(VALU_DEP_1) | instskip(NEXT) | instid1(VALU_DEP_1)
	v_lshrrev_b32_e32 v8, 16, v8
	v_cndmask_b32_e32 v8, 0x7fc0, v8, vcc_lo
	s_branch .LBB208_1492
.LBB208_1487:
	s_mov_b32 s3, -1
                                        ; implicit-def: $vgpr8
	s_branch .LBB208_1498
.LBB208_1488:
	s_or_saveexec_b32 s10, s10
	v_mov_b32_e32 v9, s7
	s_xor_b32 exec_lo, exec_lo, s10
	s_cbranch_execz .LBB208_1471
.LBB208_1489:
	v_cmp_ne_u16_e32 vcc_lo, 0, v8
	v_mov_b32_e32 v9, 0
	s_and_not1_b32 s6, s6, exec_lo
	s_and_b32 s7, vcc_lo, exec_lo
	s_delay_alu instid0(SALU_CYCLE_1)
	s_or_b32 s6, s6, s7
	s_or_b32 exec_lo, exec_lo, s10
	s_and_saveexec_b32 s7, s6
	s_cbranch_execnz .LBB208_1472
	s_branch .LBB208_1473
.LBB208_1490:
	s_mov_b32 s3, -1
                                        ; implicit-def: $vgpr8
	s_branch .LBB208_1495
.LBB208_1491:
	s_mov_b32 s3, -1
                                        ; implicit-def: $vgpr8
.LBB208_1492:
	s_delay_alu instid0(SALU_CYCLE_1)
	s_and_b32 vcc_lo, exec_lo, s3
	s_cbranch_vccz .LBB208_1494
; %bb.1493:
	global_load_u8 v8, v[0:1], off
	s_waitcnt vmcnt(0)
	v_lshlrev_b32_e32 v8, 24, v8
	s_delay_alu instid0(VALU_DEP_1) | instskip(NEXT) | instid1(VALU_DEP_1)
	v_and_b32_e32 v9, 0x7f000000, v8
	v_clz_i32_u32_e32 v10, v9
	v_add_nc_u32_e32 v12, 0x1000000, v9
	v_cmp_ne_u32_e32 vcc_lo, 0, v9
	s_delay_alu instid0(VALU_DEP_3) | instskip(NEXT) | instid1(VALU_DEP_1)
	v_min_u32_e32 v10, 32, v10
	v_sub_nc_u32_e64 v10, v10, 4 clamp
	s_delay_alu instid0(VALU_DEP_1) | instskip(SKIP_1) | instid1(VALU_DEP_2)
	v_lshlrev_b32_e32 v11, v10, v9
	v_lshlrev_b32_e32 v10, 23, v10
	v_lshrrev_b32_e32 v11, 4, v11
	s_delay_alu instid0(VALU_DEP_1) | instskip(SKIP_1) | instid1(VALU_DEP_2)
	v_sub_nc_u32_e32 v10, v11, v10
	v_ashrrev_i32_e32 v11, 8, v12
	v_add_nc_u32_e32 v10, 0x3c000000, v10
	s_delay_alu instid0(VALU_DEP_1) | instskip(NEXT) | instid1(VALU_DEP_1)
	v_and_or_b32 v10, 0x7f800000, v11, v10
	v_cndmask_b32_e32 v9, 0, v10, vcc_lo
	s_delay_alu instid0(VALU_DEP_1) | instskip(SKIP_1) | instid1(VALU_DEP_2)
	v_and_or_b32 v8, 0x80000000, v8, v9
	v_bfe_u32 v9, v9, 16, 1
	v_cmp_o_f32_e32 vcc_lo, v8, v8
	s_delay_alu instid0(VALU_DEP_2) | instskip(NEXT) | instid1(VALU_DEP_1)
	v_add3_u32 v9, v8, v9, 0x7fff
	v_lshrrev_b32_e32 v9, 16, v9
	s_delay_alu instid0(VALU_DEP_1)
	v_cndmask_b32_e32 v8, 0x7fc0, v9, vcc_lo
.LBB208_1494:
	s_mov_b32 s3, 0
.LBB208_1495:
	s_delay_alu instid0(SALU_CYCLE_1)
	s_and_not1_b32 vcc_lo, exec_lo, s3
	s_cbranch_vccnz .LBB208_1497
; %bb.1496:
	global_load_u8 v8, v[0:1], off
	s_waitcnt vmcnt(0)
	v_lshlrev_b32_e32 v9, 25, v8
	v_lshlrev_b16 v8, 8, v8
	s_delay_alu instid0(VALU_DEP_2) | instskip(NEXT) | instid1(VALU_DEP_2)
	v_lshrrev_b32_e32 v10, 4, v9
	v_and_or_b32 v11, 0x7f00, v8, 0.5
	v_bfe_i32 v8, v8, 0, 16
	s_delay_alu instid0(VALU_DEP_3) | instskip(NEXT) | instid1(VALU_DEP_1)
	v_or_b32_e32 v10, 0x70000000, v10
	v_dual_add_f32 v11, -0.5, v11 :: v_dual_mul_f32 v10, 0x7800000, v10
	v_cmp_gt_u32_e32 vcc_lo, 0x8000000, v9
	s_delay_alu instid0(VALU_DEP_2) | instskip(NEXT) | instid1(VALU_DEP_1)
	v_cndmask_b32_e32 v9, v10, v11, vcc_lo
	v_and_or_b32 v8, 0x80000000, v8, v9
	v_bfe_u32 v9, v9, 16, 1
	s_delay_alu instid0(VALU_DEP_2) | instskip(NEXT) | instid1(VALU_DEP_2)
	v_cmp_o_f32_e32 vcc_lo, v8, v8
	v_add3_u32 v9, v8, v9, 0x7fff
	s_delay_alu instid0(VALU_DEP_1) | instskip(NEXT) | instid1(VALU_DEP_1)
	v_lshrrev_b32_e32 v9, 16, v9
	v_cndmask_b32_e32 v8, 0x7fc0, v9, vcc_lo
.LBB208_1497:
	s_mov_b32 s3, 0
	s_mov_b32 s6, -1
.LBB208_1498:
	s_and_not1_b32 vcc_lo, exec_lo, s3
	s_mov_b32 s3, 0
	s_cbranch_vccnz .LBB208_1509
; %bb.1499:
	v_cmp_lt_i16_e32 vcc_lo, 14, v4
	s_cbranch_vccz .LBB208_1502
; %bb.1500:
	v_cmp_eq_u16_e32 vcc_lo, 15, v4
	s_cbranch_vccz .LBB208_1505
; %bb.1501:
	global_load_u16 v8, v[0:1], off
	s_mov_b32 s0, 0
	s_mov_b32 s6, -1
	s_branch .LBB208_1507
.LBB208_1502:
	s_mov_b32 s3, -1
	s_branch .LBB208_1506
.LBB208_1503:
	s_or_saveexec_b32 s7, s7
	v_mov_b32_e32 v9, s6
	s_xor_b32 exec_lo, exec_lo, s7
	s_cbranch_execz .LBB208_1484
.LBB208_1504:
	v_cmp_ne_u16_e32 vcc_lo, 0, v8
	v_mov_b32_e32 v9, 0
	s_and_not1_b32 s3, s3, exec_lo
	s_and_b32 s6, vcc_lo, exec_lo
	s_delay_alu instid0(SALU_CYCLE_1)
	s_or_b32 s3, s3, s6
	s_or_b32 exec_lo, exec_lo, s7
	s_and_saveexec_b32 s6, s3
	s_cbranch_execnz .LBB208_1485
	s_branch .LBB208_1486
.LBB208_1505:
	s_mov_b32 s0, -1
.LBB208_1506:
                                        ; implicit-def: $vgpr8
.LBB208_1507:
	s_and_b32 vcc_lo, exec_lo, s3
	s_mov_b32 s3, 0
	s_cbranch_vccz .LBB208_1509
; %bb.1508:
	v_cmp_ne_u16_e64 s0, 11, v4
	s_mov_b32 s3, -1
                                        ; implicit-def: $vgpr8
.LBB208_1509:
	s_delay_alu instid0(VALU_DEP_1)
	s_and_b32 vcc_lo, exec_lo, s0
	s_cbranch_vccnz .LBB208_2042
; %bb.1510:
	s_and_not1_b32 vcc_lo, exec_lo, s3
	s_cbranch_vccnz .LBB208_1512
.LBB208_1511:
	global_load_u8 v8, v[0:1], off
	s_mov_b32 s6, -1
	s_waitcnt vmcnt(0)
	v_cmp_ne_u16_e32 vcc_lo, 0, v8
	v_cndmask_b32_e64 v8, 0, 1.0, vcc_lo
	s_delay_alu instid0(VALU_DEP_1)
	v_lshrrev_b32_e32 v8, 16, v8
.LBB208_1512:
	s_mov_b32 s0, 0
.LBB208_1513:
	s_delay_alu instid0(SALU_CYCLE_1)
	s_and_b32 vcc_lo, exec_lo, s0
	s_cbranch_vccz .LBB208_1562
; %bb.1514:
	v_cmp_gt_i16_e32 vcc_lo, 5, v4
	s_cbranch_vccnz .LBB208_1519
; %bb.1515:
	v_cmp_gt_i16_e32 vcc_lo, 8, v4
	s_cbranch_vccnz .LBB208_1520
	;; [unrolled: 3-line block ×3, first 2 shown]
; %bb.1517:
	v_cmp_lt_i16_e32 vcc_lo, 9, v4
	s_cbranch_vccz .LBB208_1522
; %bb.1518:
	global_load_b64 v[8:9], v[0:1], off
	s_mov_b32 s0, 0
	s_waitcnt vmcnt(0)
	v_cvt_f32_f64_e32 v8, v[8:9]
	s_delay_alu instid0(VALU_DEP_1) | instskip(SKIP_1) | instid1(VALU_DEP_2)
	v_bfe_u32 v9, v8, 16, 1
	v_cmp_o_f32_e32 vcc_lo, v8, v8
	v_add3_u32 v9, v8, v9, 0x7fff
	s_delay_alu instid0(VALU_DEP_1) | instskip(NEXT) | instid1(VALU_DEP_1)
	v_lshrrev_b32_e32 v9, 16, v9
	v_cndmask_b32_e32 v8, 0x7fc0, v9, vcc_lo
	s_branch .LBB208_1523
.LBB208_1519:
	s_mov_b32 s0, -1
                                        ; implicit-def: $vgpr8
	s_branch .LBB208_1541
.LBB208_1520:
	s_mov_b32 s0, -1
                                        ; implicit-def: $vgpr8
	s_branch .LBB208_1529
.LBB208_1521:
	s_mov_b32 s0, -1
                                        ; implicit-def: $vgpr8
	s_branch .LBB208_1526
.LBB208_1522:
	s_mov_b32 s0, -1
                                        ; implicit-def: $vgpr8
.LBB208_1523:
	s_delay_alu instid0(SALU_CYCLE_1)
	s_and_not1_b32 vcc_lo, exec_lo, s0
	s_cbranch_vccnz .LBB208_1525
; %bb.1524:
	global_load_b32 v8, v[0:1], off
	s_waitcnt vmcnt(0)
	v_bfe_u32 v9, v8, 16, 1
	v_cmp_o_f32_e32 vcc_lo, v8, v8
	s_delay_alu instid0(VALU_DEP_2) | instskip(NEXT) | instid1(VALU_DEP_1)
	v_add3_u32 v9, v8, v9, 0x7fff
	v_lshrrev_b32_e32 v9, 16, v9
	s_delay_alu instid0(VALU_DEP_1)
	v_cndmask_b32_e32 v8, 0x7fc0, v9, vcc_lo
.LBB208_1525:
	s_mov_b32 s0, 0
.LBB208_1526:
	s_delay_alu instid0(SALU_CYCLE_1)
	s_and_not1_b32 vcc_lo, exec_lo, s0
	s_cbranch_vccnz .LBB208_1528
; %bb.1527:
	global_load_b32 v8, v[0:1], off
	s_waitcnt vmcnt(0)
	v_cvt_f32_f16_e32 v9, v8
	v_cmp_o_f16_e32 vcc_lo, v8, v8
	s_delay_alu instid0(VALU_DEP_2) | instskip(NEXT) | instid1(VALU_DEP_1)
	v_bfe_u32 v10, v9, 16, 1
	v_add3_u32 v9, v9, v10, 0x7fff
	s_delay_alu instid0(VALU_DEP_1) | instskip(NEXT) | instid1(VALU_DEP_1)
	v_lshrrev_b32_e32 v9, 16, v9
	v_cndmask_b32_e32 v8, 0x7fc0, v9, vcc_lo
.LBB208_1528:
	s_mov_b32 s0, 0
.LBB208_1529:
	s_delay_alu instid0(SALU_CYCLE_1)
	s_and_not1_b32 vcc_lo, exec_lo, s0
	s_cbranch_vccnz .LBB208_1540
; %bb.1530:
	v_cmp_gt_i16_e32 vcc_lo, 6, v4
	s_cbranch_vccnz .LBB208_1533
; %bb.1531:
	v_cmp_lt_i16_e32 vcc_lo, 6, v4
	s_cbranch_vccz .LBB208_1534
; %bb.1532:
	global_load_b64 v[8:9], v[0:1], off
	s_mov_b32 s0, 0
	s_waitcnt vmcnt(0)
	v_cvt_f32_f64_e32 v8, v[8:9]
	s_delay_alu instid0(VALU_DEP_1) | instskip(SKIP_1) | instid1(VALU_DEP_2)
	v_bfe_u32 v9, v8, 16, 1
	v_cmp_o_f32_e32 vcc_lo, v8, v8
	v_add3_u32 v9, v8, v9, 0x7fff
	s_delay_alu instid0(VALU_DEP_1) | instskip(NEXT) | instid1(VALU_DEP_1)
	v_lshrrev_b32_e32 v9, 16, v9
	v_cndmask_b32_e32 v8, 0x7fc0, v9, vcc_lo
	s_branch .LBB208_1535
.LBB208_1533:
	s_mov_b32 s0, -1
                                        ; implicit-def: $vgpr8
	s_branch .LBB208_1538
.LBB208_1534:
	s_mov_b32 s0, -1
                                        ; implicit-def: $vgpr8
.LBB208_1535:
	s_delay_alu instid0(SALU_CYCLE_1)
	s_and_not1_b32 vcc_lo, exec_lo, s0
	s_cbranch_vccnz .LBB208_1537
; %bb.1536:
	global_load_b32 v8, v[0:1], off
	s_waitcnt vmcnt(0)
	v_bfe_u32 v9, v8, 16, 1
	v_cmp_o_f32_e32 vcc_lo, v8, v8
	s_delay_alu instid0(VALU_DEP_2) | instskip(NEXT) | instid1(VALU_DEP_1)
	v_add3_u32 v9, v8, v9, 0x7fff
	v_lshrrev_b32_e32 v9, 16, v9
	s_delay_alu instid0(VALU_DEP_1)
	v_cndmask_b32_e32 v8, 0x7fc0, v9, vcc_lo
.LBB208_1537:
	s_mov_b32 s0, 0
.LBB208_1538:
	s_delay_alu instid0(SALU_CYCLE_1)
	s_and_not1_b32 vcc_lo, exec_lo, s0
	s_cbranch_vccnz .LBB208_1540
; %bb.1539:
	global_load_u16 v8, v[0:1], off
	s_waitcnt vmcnt(0)
	v_cvt_f32_f16_e32 v9, v8
	v_cmp_o_f16_e32 vcc_lo, v8, v8
	s_delay_alu instid0(VALU_DEP_2) | instskip(NEXT) | instid1(VALU_DEP_1)
	v_bfe_u32 v10, v9, 16, 1
	v_add3_u32 v9, v9, v10, 0x7fff
	s_delay_alu instid0(VALU_DEP_1) | instskip(NEXT) | instid1(VALU_DEP_1)
	v_lshrrev_b32_e32 v9, 16, v9
	v_cndmask_b32_e32 v8, 0x7fc0, v9, vcc_lo
.LBB208_1540:
	s_mov_b32 s0, 0
.LBB208_1541:
	s_delay_alu instid0(SALU_CYCLE_1)
	s_and_not1_b32 vcc_lo, exec_lo, s0
	s_cbranch_vccnz .LBB208_1561
; %bb.1542:
	v_cmp_gt_i16_e32 vcc_lo, 2, v4
	s_cbranch_vccnz .LBB208_1546
; %bb.1543:
	v_cmp_gt_i16_e32 vcc_lo, 3, v4
	s_cbranch_vccnz .LBB208_1547
; %bb.1544:
	v_cmp_lt_i16_e32 vcc_lo, 3, v4
	s_cbranch_vccz .LBB208_1548
; %bb.1545:
	global_load_b64 v[8:9], v[0:1], off
	s_mov_b32 s0, 0
	s_waitcnt vmcnt(0)
	v_xor_b32_e32 v10, v8, v9
	v_cls_i32_e32 v11, v9
	s_delay_alu instid0(VALU_DEP_2) | instskip(NEXT) | instid1(VALU_DEP_2)
	v_ashrrev_i32_e32 v10, 31, v10
	v_add_nc_u32_e32 v11, -1, v11
	s_delay_alu instid0(VALU_DEP_2) | instskip(NEXT) | instid1(VALU_DEP_1)
	v_add_nc_u32_e32 v10, 32, v10
	v_min_u32_e32 v10, v11, v10
	s_delay_alu instid0(VALU_DEP_1) | instskip(NEXT) | instid1(VALU_DEP_1)
	v_lshlrev_b64 v[8:9], v10, v[8:9]
	v_min_u32_e32 v8, 1, v8
	s_delay_alu instid0(VALU_DEP_1) | instskip(SKIP_1) | instid1(VALU_DEP_2)
	v_or_b32_e32 v8, v9, v8
	v_sub_nc_u32_e32 v9, 32, v10
	v_cvt_f32_i32_e32 v8, v8
	s_delay_alu instid0(VALU_DEP_1) | instskip(NEXT) | instid1(VALU_DEP_1)
	v_ldexp_f32 v8, v8, v9
	v_bfe_u32 v9, v8, 16, 1
	s_delay_alu instid0(VALU_DEP_1) | instskip(NEXT) | instid1(VALU_DEP_1)
	v_add3_u32 v8, v8, v9, 0x7fff
	v_lshrrev_b32_e32 v8, 16, v8
	s_branch .LBB208_1549
.LBB208_1546:
	s_mov_b32 s0, -1
                                        ; implicit-def: $vgpr8
	s_branch .LBB208_1555
.LBB208_1547:
	s_mov_b32 s0, -1
                                        ; implicit-def: $vgpr8
	s_branch .LBB208_1552
.LBB208_1548:
	s_mov_b32 s0, -1
                                        ; implicit-def: $vgpr8
.LBB208_1549:
	s_delay_alu instid0(SALU_CYCLE_1)
	s_and_not1_b32 vcc_lo, exec_lo, s0
	s_cbranch_vccnz .LBB208_1551
; %bb.1550:
	global_load_b32 v8, v[0:1], off
	s_waitcnt vmcnt(0)
	v_cvt_f32_i32_e32 v8, v8
	s_delay_alu instid0(VALU_DEP_1) | instskip(NEXT) | instid1(VALU_DEP_1)
	v_bfe_u32 v9, v8, 16, 1
	v_add3_u32 v8, v8, v9, 0x7fff
	s_delay_alu instid0(VALU_DEP_1)
	v_lshrrev_b32_e32 v8, 16, v8
.LBB208_1551:
	s_mov_b32 s0, 0
.LBB208_1552:
	s_delay_alu instid0(SALU_CYCLE_1)
	s_and_not1_b32 vcc_lo, exec_lo, s0
	s_cbranch_vccnz .LBB208_1554
; %bb.1553:
	global_load_i16 v8, v[0:1], off
	s_waitcnt vmcnt(0)
	v_cvt_f32_i32_e32 v8, v8
	s_delay_alu instid0(VALU_DEP_1) | instskip(NEXT) | instid1(VALU_DEP_1)
	v_bfe_u32 v9, v8, 16, 1
	v_add3_u32 v8, v8, v9, 0x7fff
	s_delay_alu instid0(VALU_DEP_1)
	v_lshrrev_b32_e32 v8, 16, v8
.LBB208_1554:
	s_mov_b32 s0, 0
.LBB208_1555:
	s_delay_alu instid0(SALU_CYCLE_1)
	s_and_not1_b32 vcc_lo, exec_lo, s0
	s_cbranch_vccnz .LBB208_1561
; %bb.1556:
	v_cmp_lt_i16_e32 vcc_lo, 0, v4
	s_mov_b32 s0, 0
	s_cbranch_vccz .LBB208_1558
; %bb.1557:
	global_load_i8 v4, v[0:1], off
	s_waitcnt vmcnt(0)
	v_cvt_f32_i32_e32 v4, v4
	s_delay_alu instid0(VALU_DEP_1) | instskip(NEXT) | instid1(VALU_DEP_1)
	v_bfe_u32 v8, v4, 16, 1
	v_add3_u32 v4, v4, v8, 0x7fff
	s_delay_alu instid0(VALU_DEP_1)
	v_lshrrev_b32_e32 v8, 16, v4
	s_branch .LBB208_1559
.LBB208_1558:
	s_mov_b32 s0, -1
                                        ; implicit-def: $vgpr8
.LBB208_1559:
	s_delay_alu instid0(SALU_CYCLE_1)
	s_and_not1_b32 vcc_lo, exec_lo, s0
	s_cbranch_vccnz .LBB208_1561
; %bb.1560:
	global_load_u8 v0, v[0:1], off
	s_waitcnt vmcnt(0)
	v_cvt_f32_ubyte0_e32 v0, v0
	s_delay_alu instid0(VALU_DEP_1) | instskip(NEXT) | instid1(VALU_DEP_1)
	v_bfe_u32 v1, v0, 16, 1
	v_add3_u32 v0, v0, v1, 0x7fff
	s_delay_alu instid0(VALU_DEP_1)
	v_lshrrev_b32_e32 v8, 16, v0
.LBB208_1561:
	s_mov_b32 s6, -1
.LBB208_1562:
	s_delay_alu instid0(SALU_CYCLE_1)
	s_and_not1_b32 vcc_lo, exec_lo, s6
	s_cbranch_vccnz .LBB208_1996
; %bb.1563:
	s_waitcnt vmcnt(0)
	v_lshlrev_b32_e32 v0, 16, v5
	v_mul_lo_u32 v3, s2, v3
	s_delay_alu instid0(VALU_DEP_2) | instskip(NEXT) | instid1(VALU_DEP_1)
	v_cvt_f64_f32_e32 v[0:1], v0
	v_rsq_f64_e32 v[4:5], v[0:1]
	s_waitcnt_depctr 0xfff
	v_mul_f64 v[0:1], v[4:5], -v[0:1]
	v_cmp_class_f64_e64 vcc_lo, v[4:5], 0x180
	s_delay_alu instid0(VALU_DEP_2) | instskip(NEXT) | instid1(VALU_DEP_1)
	v_fma_f64 v[0:1], v[0:1], v[4:5], 1.0
	v_mul_f64 v[9:10], v[4:5], v[0:1]
	v_fma_f64 v[0:1], 0x3fd80000, v[0:1], 0.5
	s_delay_alu instid0(VALU_DEP_1) | instskip(NEXT) | instid1(VALU_DEP_1)
	v_fma_f64 v[0:1], v[9:10], v[0:1], v[4:5]
	v_dual_cndmask_b32 v1, v5, v1 :: v_dual_cndmask_b32 v0, v4, v0
	v_and_b32_e32 v5, 0xff, v2
	s_delay_alu instid0(VALU_DEP_2) | instskip(SKIP_1) | instid1(VALU_DEP_3)
	v_cvt_f32_f64_e32 v4, v[0:1]
	v_ashrrev_i32_e32 v1, 31, v3
	v_cmp_gt_i16_e32 vcc_lo, 11, v5
	s_and_b32 vcc_lo, exec_lo, vcc_lo
	s_delay_alu instid0(VALU_DEP_3) | instskip(NEXT) | instid1(VALU_DEP_1)
	v_bfe_u32 v0, v4, 16, 1
	v_add3_u32 v0, v4, v0, 0x7fff
	s_delay_alu instid0(VALU_DEP_1) | instskip(SKIP_1) | instid1(VALU_DEP_1)
	v_lshrrev_b32_e32 v2, 16, v0
	v_add_co_u32 v0, s0, s4, v3
	v_add_co_ci_u32_e64 v1, s0, s5, v1, s0
	v_cmp_o_f32_e64 s0, v4, v4
	s_delay_alu instid0(VALU_DEP_1)
	v_cndmask_b32_e64 v2, 0x7fc0, v2, s0
	s_cbranch_vccnz .LBB208_1641
; %bb.1564:
	v_cmp_lt_i16_e32 vcc_lo, 25, v5
	s_mov_b32 s7, -1
	s_mov_b32 s3, 0
	s_mov_b32 s6, 0
	;; [unrolled: 1-line block ×3, first 2 shown]
	s_cbranch_vccz .LBB208_1597
; %bb.1565:
	v_cmp_lt_i16_e32 vcc_lo, 28, v5
	s_cbranch_vccz .LBB208_1580
; %bb.1566:
	v_cmp_lt_i16_e32 vcc_lo, 43, v5
	;; [unrolled: 3-line block ×3, first 2 shown]
	s_cbranch_vccz .LBB208_1570
; %bb.1568:
	v_cmp_eq_u16_e32 vcc_lo, 46, v5
	s_mov_b32 s0, -1
	s_mov_b32 s7, 0
	s_cbranch_vccz .LBB208_1570
; %bb.1569:
	v_and_b32_e32 v4, 0xffff, v2
	s_mov_b32 s0, 0
	s_mov_b32 s6, -1
	global_store_b32 v[0:1], v4, off
.LBB208_1570:
	s_and_b32 vcc_lo, exec_lo, s7
	s_cbranch_vccz .LBB208_1575
; %bb.1571:
	v_cmp_eq_u16_e32 vcc_lo, 44, v5
	s_mov_b32 s0, -1
	s_cbranch_vccz .LBB208_1575
; %bb.1572:
	v_and_b32_e32 v4, 0xffff, v2
	v_mov_b32_e32 v9, 0xff
	s_mov_b32 s6, exec_lo
	s_delay_alu instid0(VALU_DEP_2) | instskip(NEXT) | instid1(VALU_DEP_1)
	v_bfe_u32 v10, v4, 7, 8
	v_cmpx_ne_u32_e32 0xff, v10
; %bb.1573:
	v_lshlrev_b32_e32 v9, 16, v4
	v_and_b32_e32 v11, 64, v4
	v_lshrrev_b32_e32 v4, 7, v4
	s_delay_alu instid0(VALU_DEP_3) | instskip(NEXT) | instid1(VALU_DEP_3)
	v_and_or_b32 v9, 0x3f0000, v9, v10
	v_cmp_ne_u32_e32 vcc_lo, 0, v11
	s_delay_alu instid0(VALU_DEP_2) | instskip(NEXT) | instid1(VALU_DEP_1)
	v_cmp_ne_u32_e64 s0, 0, v9
	s_and_b32 s0, vcc_lo, s0
	s_delay_alu instid0(SALU_CYCLE_1) | instskip(NEXT) | instid1(VALU_DEP_1)
	v_cndmask_b32_e64 v9, 0, 1, s0
	v_add_nc_u32_e32 v9, v4, v9
; %bb.1574:
	s_or_b32 exec_lo, exec_lo, s6
	s_mov_b32 s0, 0
	s_mov_b32 s6, -1
	global_store_b8 v[0:1], v9, off
.LBB208_1575:
	s_mov_b32 s7, 0
.LBB208_1576:
	s_delay_alu instid0(SALU_CYCLE_1)
	s_and_b32 vcc_lo, exec_lo, s7
	s_cbranch_vccz .LBB208_1579
; %bb.1577:
	v_cmp_eq_u16_e32 vcc_lo, 29, v5
	s_mov_b32 s0, -1
	s_cbranch_vccz .LBB208_1579
; %bb.1578:
	v_lshlrev_b32_e32 v4, 16, v2
	s_mov_b32 s0, 0
	s_mov_b32 s6, -1
	s_delay_alu instid0(VALU_DEP_1) | instskip(NEXT) | instid1(VALU_DEP_1)
	v_trunc_f32_e32 v4, v4
	v_mul_f32_e32 v9, 0x2f800000, v4
	s_delay_alu instid0(VALU_DEP_1) | instskip(NEXT) | instid1(VALU_DEP_1)
	v_floor_f32_e32 v9, v9
	v_fmamk_f32 v4, v9, 0xcf800000, v4
	v_cvt_u32_f32_e32 v10, v9
	s_delay_alu instid0(VALU_DEP_2)
	v_cvt_u32_f32_e32 v9, v4
	global_store_b64 v[0:1], v[9:10], off
.LBB208_1579:
	s_mov_b32 s7, 0
.LBB208_1580:
	s_delay_alu instid0(SALU_CYCLE_1)
	s_and_b32 vcc_lo, exec_lo, s7
	s_cbranch_vccz .LBB208_1596
; %bb.1581:
	v_cmp_gt_i16_e32 vcc_lo, 27, v5
	s_mov_b32 s6, -1
	s_cbranch_vccnz .LBB208_1587
; %bb.1582:
	v_cmp_lt_i16_e32 vcc_lo, 27, v5
	s_cbranch_vccz .LBB208_1584
; %bb.1583:
	v_lshlrev_b32_e32 v4, 16, v2
	s_mov_b32 s6, 0
	s_delay_alu instid0(VALU_DEP_1)
	v_cvt_u32_f32_e32 v4, v4
	global_store_b32 v[0:1], v4, off
.LBB208_1584:
	s_and_not1_b32 vcc_lo, exec_lo, s6
	s_cbranch_vccnz .LBB208_1586
; %bb.1585:
	v_lshlrev_b32_e32 v4, 16, v2
	s_delay_alu instid0(VALU_DEP_1)
	v_cvt_u32_f32_e32 v4, v4
	global_store_b16 v[0:1], v4, off
.LBB208_1586:
	s_mov_b32 s6, 0
.LBB208_1587:
	s_delay_alu instid0(SALU_CYCLE_1)
	s_and_not1_b32 vcc_lo, exec_lo, s6
	s_cbranch_vccnz .LBB208_1595
; %bb.1588:
	v_dual_mov_b32 v11, 0x80 :: v_dual_lshlrev_b32 v10, 16, v2
	s_mov_b32 s6, exec_lo
	s_delay_alu instid0(VALU_DEP_1) | instskip(NEXT) | instid1(VALU_DEP_1)
	v_and_b32_e32 v9, 0x7fffffff, v10
	v_cmpx_gt_u32_e32 0x43800000, v9
	s_cbranch_execz .LBB208_1594
; %bb.1589:
	v_and_b32_e32 v4, 0xffff, v2
	v_cmp_lt_u32_e32 vcc_lo, 0x3bffffff, v9
	s_mov_b32 s7, 0
                                        ; implicit-def: $vgpr9
	s_and_saveexec_b32 s10, vcc_lo
	s_delay_alu instid0(SALU_CYCLE_1)
	s_xor_b32 s10, exec_lo, s10
	s_cbranch_execz .LBB208_2044
; %bb.1590:
	v_bfe_u32 v9, v4, 4, 1
	s_mov_b32 s7, exec_lo
	s_delay_alu instid0(VALU_DEP_1) | instskip(NEXT) | instid1(VALU_DEP_1)
	v_add3_u32 v9, v10, v9, 0x487ffff
                                        ; implicit-def: $vgpr10
	v_lshrrev_b32_e32 v9, 20, v9
	s_or_saveexec_b32 s10, s10
                                        ; implicit-def: $sgpr11
	s_delay_alu instid0(SALU_CYCLE_1)
	s_xor_b32 exec_lo, exec_lo, s10
	s_cbranch_execnz .LBB208_2045
.LBB208_1591:
	s_or_b32 exec_lo, exec_lo, s10
	v_mov_b32_e32 v11, s11
	s_and_saveexec_b32 s10, s7
.LBB208_1592:
	v_lshrrev_b32_e32 v4, 8, v4
	s_delay_alu instid0(VALU_DEP_1)
	v_and_or_b32 v11, 0x80, v4, v9
.LBB208_1593:
	s_or_b32 exec_lo, exec_lo, s10
.LBB208_1594:
	s_delay_alu instid0(SALU_CYCLE_1)
	s_or_b32 exec_lo, exec_lo, s6
	global_store_b8 v[0:1], v11, off
.LBB208_1595:
	s_mov_b32 s6, -1
.LBB208_1596:
	s_mov_b32 s7, 0
.LBB208_1597:
	s_delay_alu instid0(SALU_CYCLE_1)
	s_and_b32 vcc_lo, exec_lo, s7
	s_cbranch_vccz .LBB208_1637
; %bb.1598:
	v_cmp_lt_i16_e32 vcc_lo, 22, v5
	s_mov_b32 s3, -1
	s_cbranch_vccz .LBB208_1630
; %bb.1599:
	v_cmp_gt_i16_e32 vcc_lo, 24, v5
	s_cbranch_vccnz .LBB208_1619
; %bb.1600:
	v_cmp_lt_i16_e32 vcc_lo, 24, v5
	s_cbranch_vccz .LBB208_1608
; %bb.1601:
	v_dual_mov_b32 v11, 0x80 :: v_dual_lshlrev_b32 v10, 16, v2
	s_mov_b32 s3, exec_lo
	s_delay_alu instid0(VALU_DEP_1) | instskip(NEXT) | instid1(VALU_DEP_1)
	v_and_b32_e32 v9, 0x7fffffff, v10
	v_cmpx_gt_u32_e32 0x47800000, v9
	s_cbranch_execz .LBB208_1607
; %bb.1602:
	v_and_b32_e32 v4, 0xffff, v2
	v_cmp_lt_u32_e32 vcc_lo, 0x37ffffff, v9
	s_mov_b32 s6, 0
                                        ; implicit-def: $vgpr9
	s_and_saveexec_b32 s7, vcc_lo
	s_delay_alu instid0(SALU_CYCLE_1)
	s_xor_b32 s7, exec_lo, s7
	s_cbranch_execz .LBB208_2050
; %bb.1603:
	v_bfe_u32 v9, v4, 5, 1
	s_mov_b32 s6, exec_lo
	s_delay_alu instid0(VALU_DEP_1) | instskip(NEXT) | instid1(VALU_DEP_1)
	v_add3_u32 v9, v10, v9, 0x88fffff
                                        ; implicit-def: $vgpr10
	v_lshrrev_b32_e32 v9, 21, v9
	s_or_saveexec_b32 s7, s7
                                        ; implicit-def: $sgpr10
	s_delay_alu instid0(SALU_CYCLE_1)
	s_xor_b32 exec_lo, exec_lo, s7
	s_cbranch_execnz .LBB208_2051
.LBB208_1604:
	s_or_b32 exec_lo, exec_lo, s7
	v_mov_b32_e32 v11, s10
	s_and_saveexec_b32 s7, s6
.LBB208_1605:
	v_lshrrev_b32_e32 v4, 8, v4
	s_delay_alu instid0(VALU_DEP_1)
	v_and_or_b32 v11, 0x80, v4, v9
.LBB208_1606:
	s_or_b32 exec_lo, exec_lo, s7
.LBB208_1607:
	s_delay_alu instid0(SALU_CYCLE_1)
	s_or_b32 exec_lo, exec_lo, s3
	s_mov_b32 s3, 0
	global_store_b8 v[0:1], v11, off
.LBB208_1608:
	s_and_b32 vcc_lo, exec_lo, s3
	s_cbranch_vccz .LBB208_1618
; %bb.1609:
	v_lshlrev_b32_e32 v10, 16, v2
	v_and_b32_e32 v4, 0xffff, v2
	s_mov_b32 s3, exec_lo
                                        ; implicit-def: $vgpr9
	s_delay_alu instid0(VALU_DEP_2) | instskip(NEXT) | instid1(VALU_DEP_1)
	v_and_b32_e32 v11, 0x7fffffff, v10
	v_cmpx_gt_u32_e32 0x43f00000, v11
	s_xor_b32 s3, exec_lo, s3
	s_cbranch_execz .LBB208_1615
; %bb.1610:
	s_mov_b32 s6, exec_lo
                                        ; implicit-def: $vgpr9
	v_cmpx_lt_u32_e32 0x3c7fffff, v11
	s_xor_b32 s6, exec_lo, s6
; %bb.1611:
	v_bfe_u32 v9, v4, 4, 1
	s_delay_alu instid0(VALU_DEP_1) | instskip(NEXT) | instid1(VALU_DEP_1)
	v_add3_u32 v9, v10, v9, 0x407ffff
	v_and_b32_e32 v10, 0xff00000, v9
	v_lshrrev_b32_e32 v9, 20, v9
	s_delay_alu instid0(VALU_DEP_2) | instskip(NEXT) | instid1(VALU_DEP_2)
	v_cmp_ne_u32_e32 vcc_lo, 0x7f00000, v10
                                        ; implicit-def: $vgpr10
	v_cndmask_b32_e32 v9, 0x7e, v9, vcc_lo
; %bb.1612:
	s_and_not1_saveexec_b32 s6, s6
; %bb.1613:
	v_add_f32_e64 v9, 0x46800000, |v10|
; %bb.1614:
	s_or_b32 exec_lo, exec_lo, s6
                                        ; implicit-def: $vgpr11
.LBB208_1615:
	s_and_not1_saveexec_b32 s3, s3
; %bb.1616:
	v_mov_b32_e32 v9, 0x7f
	v_cmp_lt_u32_e32 vcc_lo, 0x7f800000, v11
	s_delay_alu instid0(VALU_DEP_2)
	v_cndmask_b32_e32 v9, 0x7e, v9, vcc_lo
; %bb.1617:
	s_or_b32 exec_lo, exec_lo, s3
	v_lshrrev_b32_e32 v4, 8, v4
	s_delay_alu instid0(VALU_DEP_1)
	v_and_or_b32 v4, 0x80, v4, v9
	global_store_b8 v[0:1], v4, off
.LBB208_1618:
	s_mov_b32 s3, 0
.LBB208_1619:
	s_delay_alu instid0(SALU_CYCLE_1)
	s_and_not1_b32 vcc_lo, exec_lo, s3
	s_cbranch_vccnz .LBB208_1629
; %bb.1620:
	v_lshlrev_b32_e32 v10, 16, v2
	v_and_b32_e32 v4, 0xffff, v2
	s_mov_b32 s3, exec_lo
                                        ; implicit-def: $vgpr9
	s_delay_alu instid0(VALU_DEP_2) | instskip(NEXT) | instid1(VALU_DEP_1)
	v_and_b32_e32 v11, 0x7fffffff, v10
	v_cmpx_gt_u32_e32 0x47800000, v11
	s_xor_b32 s3, exec_lo, s3
	s_cbranch_execz .LBB208_1626
; %bb.1621:
	s_mov_b32 s6, exec_lo
                                        ; implicit-def: $vgpr9
	v_cmpx_lt_u32_e32 0x387fffff, v11
	s_xor_b32 s6, exec_lo, s6
; %bb.1622:
	v_bfe_u32 v9, v4, 5, 1
	s_delay_alu instid0(VALU_DEP_1) | instskip(NEXT) | instid1(VALU_DEP_1)
	v_add3_u32 v9, v10, v9, 0x80fffff
                                        ; implicit-def: $vgpr10
	v_lshrrev_b32_e32 v9, 21, v9
; %bb.1623:
	s_and_not1_saveexec_b32 s6, s6
; %bb.1624:
	v_add_f32_e64 v9, 0x43000000, |v10|
; %bb.1625:
	s_or_b32 exec_lo, exec_lo, s6
                                        ; implicit-def: $vgpr11
.LBB208_1626:
	s_and_not1_saveexec_b32 s3, s3
; %bb.1627:
	v_mov_b32_e32 v9, 0x7f
	v_cmp_lt_u32_e32 vcc_lo, 0x7f800000, v11
	s_delay_alu instid0(VALU_DEP_2)
	v_cndmask_b32_e32 v9, 0x7c, v9, vcc_lo
; %bb.1628:
	s_or_b32 exec_lo, exec_lo, s3
	v_lshrrev_b32_e32 v4, 8, v4
	s_delay_alu instid0(VALU_DEP_1)
	v_and_or_b32 v4, 0x80, v4, v9
	global_store_b8 v[0:1], v4, off
.LBB208_1629:
	s_mov_b32 s3, 0
	s_mov_b32 s6, -1
.LBB208_1630:
	s_and_not1_b32 vcc_lo, exec_lo, s3
	s_mov_b32 s3, 0
	s_cbranch_vccnz .LBB208_1637
; %bb.1631:
	v_cmp_lt_i16_e32 vcc_lo, 14, v5
	s_mov_b32 s3, -1
	s_cbranch_vccz .LBB208_1635
; %bb.1632:
	v_cmp_eq_u16_e32 vcc_lo, 15, v5
	s_mov_b32 s0, -1
	s_cbranch_vccz .LBB208_1634
; %bb.1633:
	s_mov_b32 s0, 0
	s_mov_b32 s6, -1
	global_store_b16 v[0:1], v2, off
.LBB208_1634:
	s_mov_b32 s3, 0
.LBB208_1635:
	s_delay_alu instid0(SALU_CYCLE_1)
	s_and_b32 vcc_lo, exec_lo, s3
	s_mov_b32 s3, 0
	s_cbranch_vccz .LBB208_1637
; %bb.1636:
	v_cmp_ne_u16_e64 s0, 11, v5
	s_mov_b32 s3, -1
.LBB208_1637:
	s_delay_alu instid0(VALU_DEP_1)
	s_and_b32 vcc_lo, exec_lo, s0
	s_cbranch_vccnz .LBB208_2048
; %bb.1638:
	s_and_not1_b32 vcc_lo, exec_lo, s3
	s_cbranch_vccnz .LBB208_1640
.LBB208_1639:
	v_and_b32_e32 v4, 0x7fff, v2
	s_mov_b32 s6, -1
	s_delay_alu instid0(VALU_DEP_1)
	v_cmp_ne_u16_e32 vcc_lo, 0, v4
	v_cndmask_b32_e64 v4, 0, 1, vcc_lo
	global_store_b8 v[0:1], v4, off
.LBB208_1640:
	s_mov_b32 s0, 0
	s_branch .LBB208_1642
.LBB208_1641:
	s_mov_b32 s0, -1
	s_mov_b32 s6, 0
.LBB208_1642:
	s_and_b32 vcc_lo, exec_lo, s0
	s_cbranch_vccz .LBB208_1681
; %bb.1643:
	v_cmp_gt_i16_e32 vcc_lo, 5, v5
	s_mov_b32 s0, -1
	s_cbranch_vccnz .LBB208_1664
; %bb.1644:
	v_cmp_gt_i16_e32 vcc_lo, 8, v5
	s_cbranch_vccnz .LBB208_1654
; %bb.1645:
	v_cmp_gt_i16_e32 vcc_lo, 9, v5
	s_cbranch_vccnz .LBB208_1651
; %bb.1646:
	v_cmp_lt_i16_e32 vcc_lo, 9, v5
	s_cbranch_vccz .LBB208_1648
; %bb.1647:
	v_dual_mov_b32 v11, 0 :: v_dual_lshlrev_b32 v4, 16, v2
	s_mov_b32 s0, 0
	s_delay_alu instid0(VALU_DEP_1) | instskip(NEXT) | instid1(VALU_DEP_2)
	v_cvt_f64_f32_e32 v[9:10], v4
	v_mov_b32_e32 v12, v11
	global_store_b128 v[0:1], v[9:12], off
.LBB208_1648:
	s_and_not1_b32 vcc_lo, exec_lo, s0
	s_cbranch_vccnz .LBB208_1650
; %bb.1649:
	v_dual_mov_b32 v10, 0 :: v_dual_lshlrev_b32 v9, 16, v2
	global_store_b64 v[0:1], v[9:10], off
.LBB208_1650:
	s_mov_b32 s0, 0
.LBB208_1651:
	s_delay_alu instid0(SALU_CYCLE_1)
	s_and_not1_b32 vcc_lo, exec_lo, s0
	s_cbranch_vccnz .LBB208_1653
; %bb.1652:
	v_lshlrev_b32_e32 v4, 16, v2
	s_delay_alu instid0(VALU_DEP_1) | instskip(NEXT) | instid1(VALU_DEP_1)
	v_cvt_f16_f32_e32 v4, v4
	v_and_b32_e32 v4, 0xffff, v4
	global_store_b32 v[0:1], v4, off
.LBB208_1653:
	s_mov_b32 s0, 0
.LBB208_1654:
	s_delay_alu instid0(SALU_CYCLE_1)
	s_and_not1_b32 vcc_lo, exec_lo, s0
	s_cbranch_vccnz .LBB208_1663
; %bb.1655:
	v_cmp_gt_i16_e32 vcc_lo, 6, v5
	s_mov_b32 s0, -1
	s_cbranch_vccnz .LBB208_1661
; %bb.1656:
	v_cmp_lt_i16_e32 vcc_lo, 6, v5
	s_cbranch_vccz .LBB208_1658
; %bb.1657:
	v_lshlrev_b32_e32 v4, 16, v2
	s_mov_b32 s0, 0
	s_delay_alu instid0(VALU_DEP_1)
	v_cvt_f64_f32_e32 v[9:10], v4
	global_store_b64 v[0:1], v[9:10], off
.LBB208_1658:
	s_and_not1_b32 vcc_lo, exec_lo, s0
	s_cbranch_vccnz .LBB208_1660
; %bb.1659:
	v_lshlrev_b32_e32 v4, 16, v2
	global_store_b32 v[0:1], v4, off
.LBB208_1660:
	s_mov_b32 s0, 0
.LBB208_1661:
	s_delay_alu instid0(SALU_CYCLE_1)
	s_and_not1_b32 vcc_lo, exec_lo, s0
	s_cbranch_vccnz .LBB208_1663
; %bb.1662:
	v_lshlrev_b32_e32 v4, 16, v2
	s_delay_alu instid0(VALU_DEP_1)
	v_cvt_f16_f32_e32 v4, v4
	global_store_b16 v[0:1], v4, off
.LBB208_1663:
	s_mov_b32 s0, 0
.LBB208_1664:
	s_delay_alu instid0(SALU_CYCLE_1)
	s_and_not1_b32 vcc_lo, exec_lo, s0
	s_cbranch_vccnz .LBB208_1680
; %bb.1665:
	v_cmp_gt_i16_e32 vcc_lo, 2, v5
	s_mov_b32 s0, -1
	s_cbranch_vccnz .LBB208_1675
; %bb.1666:
	v_cmp_gt_i16_e32 vcc_lo, 3, v5
	s_cbranch_vccnz .LBB208_1672
; %bb.1667:
	v_cmp_lt_i16_e32 vcc_lo, 3, v5
	s_cbranch_vccz .LBB208_1669
; %bb.1668:
	v_lshlrev_b32_e32 v4, 16, v2
	s_mov_b32 s0, 0
	s_delay_alu instid0(VALU_DEP_1) | instskip(NEXT) | instid1(VALU_DEP_1)
	v_trunc_f32_e32 v4, v4
	v_mul_f32_e64 v9, 0x2f800000, |v4|
	s_delay_alu instid0(VALU_DEP_1) | instskip(NEXT) | instid1(VALU_DEP_1)
	v_floor_f32_e32 v9, v9
	v_fma_f32 v10, 0xcf800000, v9, |v4|
	v_ashrrev_i32_e32 v4, 31, v4
	v_cvt_u32_f32_e32 v9, v9
	s_delay_alu instid0(VALU_DEP_3) | instskip(NEXT) | instid1(VALU_DEP_2)
	v_cvt_u32_f32_e32 v10, v10
	v_xor_b32_e32 v11, v9, v4
	s_delay_alu instid0(VALU_DEP_2) | instskip(NEXT) | instid1(VALU_DEP_1)
	v_xor_b32_e32 v10, v10, v4
	v_sub_co_u32 v9, vcc_lo, v10, v4
	s_delay_alu instid0(VALU_DEP_3)
	v_sub_co_ci_u32_e32 v10, vcc_lo, v11, v4, vcc_lo
	global_store_b64 v[0:1], v[9:10], off
.LBB208_1669:
	s_and_not1_b32 vcc_lo, exec_lo, s0
	s_cbranch_vccnz .LBB208_1671
; %bb.1670:
	v_lshlrev_b32_e32 v4, 16, v2
	s_delay_alu instid0(VALU_DEP_1)
	v_cvt_i32_f32_e32 v4, v4
	global_store_b32 v[0:1], v4, off
.LBB208_1671:
	s_mov_b32 s0, 0
.LBB208_1672:
	s_delay_alu instid0(SALU_CYCLE_1)
	s_and_not1_b32 vcc_lo, exec_lo, s0
	s_cbranch_vccnz .LBB208_1674
; %bb.1673:
	v_lshlrev_b32_e32 v4, 16, v2
	s_delay_alu instid0(VALU_DEP_1)
	v_cvt_i32_f32_e32 v4, v4
	global_store_b16 v[0:1], v4, off
.LBB208_1674:
	s_mov_b32 s0, 0
.LBB208_1675:
	s_delay_alu instid0(SALU_CYCLE_1)
	s_and_not1_b32 vcc_lo, exec_lo, s0
	s_cbranch_vccnz .LBB208_1680
; %bb.1676:
	v_cmp_lt_i16_e32 vcc_lo, 0, v5
	s_mov_b32 s0, -1
	s_cbranch_vccz .LBB208_1678
; %bb.1677:
	v_lshlrev_b32_e32 v4, 16, v2
	s_mov_b32 s0, 0
	s_delay_alu instid0(VALU_DEP_1)
	v_cvt_i32_f32_e32 v4, v4
	global_store_b8 v[0:1], v4, off
.LBB208_1678:
	s_and_not1_b32 vcc_lo, exec_lo, s0
	s_cbranch_vccnz .LBB208_1680
; %bb.1679:
	v_lshlrev_b32_e32 v2, 16, v2
	s_delay_alu instid0(VALU_DEP_1) | instskip(NEXT) | instid1(VALU_DEP_1)
	v_trunc_f32_e32 v2, v2
	v_mul_f32_e64 v4, 0x2f800000, |v2|
	s_delay_alu instid0(VALU_DEP_1) | instskip(NEXT) | instid1(VALU_DEP_1)
	v_floor_f32_e32 v4, v4
	v_fma_f32 v4, 0xcf800000, v4, |v2|
	v_ashrrev_i32_e32 v2, 31, v2
	s_delay_alu instid0(VALU_DEP_2) | instskip(NEXT) | instid1(VALU_DEP_1)
	v_cvt_u32_f32_e32 v4, v4
	v_xor_b32_e32 v4, v4, v2
	s_delay_alu instid0(VALU_DEP_1)
	v_sub_nc_u32_e32 v2, v4, v2
	global_store_b8 v[0:1], v2, off
.LBB208_1680:
	s_mov_b32 s6, -1
.LBB208_1681:
	s_delay_alu instid0(SALU_CYCLE_1)
	s_and_not1_b32 vcc_lo, exec_lo, s6
	s_cbranch_vccnz .LBB208_1996
; %bb.1682:
	v_lshlrev_b32_e32 v0, 16, v6
	s_lshl_b32 s2, s2, 7
	s_delay_alu instid0(SALU_CYCLE_1) | instskip(NEXT) | instid1(VALU_DEP_2)
	v_add_nc_u32_e32 v2, s2, v3
	v_cvt_f64_f32_e32 v[0:1], v0
	s_delay_alu instid0(VALU_DEP_1) | instskip(SKIP_3) | instid1(VALU_DEP_2)
	v_rsq_f64_e32 v[9:10], v[0:1]
	s_waitcnt_depctr 0xfff
	v_mul_f64 v[0:1], v[9:10], -v[0:1]
	v_cmp_class_f64_e64 vcc_lo, v[9:10], 0x180
	v_fma_f64 v[0:1], v[0:1], v[9:10], 1.0
	s_delay_alu instid0(VALU_DEP_1) | instskip(SKIP_1) | instid1(VALU_DEP_1)
	v_mul_f64 v[11:12], v[9:10], v[0:1]
	v_fma_f64 v[0:1], 0x3fd80000, v[0:1], 0.5
	v_fma_f64 v[0:1], v[11:12], v[0:1], v[9:10]
	s_delay_alu instid0(VALU_DEP_1) | instskip(SKIP_1) | instid1(VALU_DEP_2)
	v_dual_cndmask_b32 v1, v10, v1 :: v_dual_cndmask_b32 v0, v9, v0
	v_cmp_gt_i16_e32 vcc_lo, 11, v5
	v_cvt_f32_f64_e32 v4, v[0:1]
	v_ashrrev_i32_e32 v1, 31, v2
	s_and_b32 vcc_lo, exec_lo, vcc_lo
	s_delay_alu instid0(VALU_DEP_2) | instskip(NEXT) | instid1(VALU_DEP_1)
	v_bfe_u32 v0, v4, 16, 1
	v_add3_u32 v0, v4, v0, 0x7fff
	s_delay_alu instid0(VALU_DEP_1) | instskip(SKIP_1) | instid1(VALU_DEP_1)
	v_lshrrev_b32_e32 v3, 16, v0
	v_add_co_u32 v0, s0, s4, v2
	v_add_co_ci_u32_e64 v1, s0, s5, v1, s0
	v_cmp_o_f32_e64 s0, v4, v4
	s_delay_alu instid0(VALU_DEP_1)
	v_cndmask_b32_e64 v3, 0x7fc0, v3, s0
	s_cbranch_vccnz .LBB208_1760
; %bb.1683:
	v_cmp_lt_i16_e32 vcc_lo, 25, v5
	s_mov_b32 s7, -1
	s_mov_b32 s3, 0
	s_mov_b32 s6, 0
	;; [unrolled: 1-line block ×3, first 2 shown]
	s_cbranch_vccz .LBB208_1716
; %bb.1684:
	v_cmp_lt_i16_e32 vcc_lo, 28, v5
	s_cbranch_vccz .LBB208_1699
; %bb.1685:
	v_cmp_lt_i16_e32 vcc_lo, 43, v5
	;; [unrolled: 3-line block ×3, first 2 shown]
	s_cbranch_vccz .LBB208_1689
; %bb.1687:
	v_cmp_eq_u16_e32 vcc_lo, 46, v5
	s_mov_b32 s0, -1
	s_mov_b32 s7, 0
	s_cbranch_vccz .LBB208_1689
; %bb.1688:
	v_and_b32_e32 v4, 0xffff, v3
	s_mov_b32 s0, 0
	s_mov_b32 s6, -1
	global_store_b32 v[0:1], v4, off
.LBB208_1689:
	s_and_b32 vcc_lo, exec_lo, s7
	s_cbranch_vccz .LBB208_1694
; %bb.1690:
	v_cmp_eq_u16_e32 vcc_lo, 44, v5
	s_mov_b32 s0, -1
	s_cbranch_vccz .LBB208_1694
; %bb.1691:
	v_and_b32_e32 v4, 0xffff, v3
	v_mov_b32_e32 v6, 0xff
	s_mov_b32 s6, exec_lo
	s_delay_alu instid0(VALU_DEP_2) | instskip(NEXT) | instid1(VALU_DEP_1)
	v_bfe_u32 v9, v4, 7, 8
	v_cmpx_ne_u32_e32 0xff, v9
; %bb.1692:
	v_lshlrev_b32_e32 v6, 16, v4
	v_and_b32_e32 v10, 64, v4
	v_lshrrev_b32_e32 v4, 7, v4
	s_delay_alu instid0(VALU_DEP_3) | instskip(NEXT) | instid1(VALU_DEP_3)
	v_and_or_b32 v6, 0x3f0000, v6, v9
	v_cmp_ne_u32_e32 vcc_lo, 0, v10
	s_delay_alu instid0(VALU_DEP_2) | instskip(NEXT) | instid1(VALU_DEP_1)
	v_cmp_ne_u32_e64 s0, 0, v6
	s_and_b32 s0, vcc_lo, s0
	s_delay_alu instid0(SALU_CYCLE_1) | instskip(NEXT) | instid1(VALU_DEP_1)
	v_cndmask_b32_e64 v6, 0, 1, s0
	v_add_nc_u32_e32 v6, v4, v6
; %bb.1693:
	s_or_b32 exec_lo, exec_lo, s6
	s_mov_b32 s0, 0
	s_mov_b32 s6, -1
	global_store_b8 v[0:1], v6, off
.LBB208_1694:
	s_mov_b32 s7, 0
.LBB208_1695:
	s_delay_alu instid0(SALU_CYCLE_1)
	s_and_b32 vcc_lo, exec_lo, s7
	s_cbranch_vccz .LBB208_1698
; %bb.1696:
	v_cmp_eq_u16_e32 vcc_lo, 29, v5
	s_mov_b32 s0, -1
	s_cbranch_vccz .LBB208_1698
; %bb.1697:
	v_lshlrev_b32_e32 v4, 16, v3
	s_mov_b32 s0, 0
	s_mov_b32 s6, -1
	s_delay_alu instid0(VALU_DEP_1) | instskip(NEXT) | instid1(VALU_DEP_1)
	v_trunc_f32_e32 v4, v4
	v_mul_f32_e32 v6, 0x2f800000, v4
	s_delay_alu instid0(VALU_DEP_1) | instskip(NEXT) | instid1(VALU_DEP_1)
	v_floor_f32_e32 v6, v6
	v_fmamk_f32 v4, v6, 0xcf800000, v4
	v_cvt_u32_f32_e32 v10, v6
	s_delay_alu instid0(VALU_DEP_2)
	v_cvt_u32_f32_e32 v9, v4
	global_store_b64 v[0:1], v[9:10], off
.LBB208_1698:
	s_mov_b32 s7, 0
.LBB208_1699:
	s_delay_alu instid0(SALU_CYCLE_1)
	s_and_b32 vcc_lo, exec_lo, s7
	s_cbranch_vccz .LBB208_1715
; %bb.1700:
	v_cmp_gt_i16_e32 vcc_lo, 27, v5
	s_mov_b32 s6, -1
	s_cbranch_vccnz .LBB208_1706
; %bb.1701:
	v_cmp_lt_i16_e32 vcc_lo, 27, v5
	s_cbranch_vccz .LBB208_1703
; %bb.1702:
	v_lshlrev_b32_e32 v4, 16, v3
	s_mov_b32 s6, 0
	s_delay_alu instid0(VALU_DEP_1)
	v_cvt_u32_f32_e32 v4, v4
	global_store_b32 v[0:1], v4, off
.LBB208_1703:
	s_and_not1_b32 vcc_lo, exec_lo, s6
	s_cbranch_vccnz .LBB208_1705
; %bb.1704:
	v_lshlrev_b32_e32 v4, 16, v3
	s_delay_alu instid0(VALU_DEP_1)
	v_cvt_u32_f32_e32 v4, v4
	global_store_b16 v[0:1], v4, off
.LBB208_1705:
	s_mov_b32 s6, 0
.LBB208_1706:
	s_delay_alu instid0(SALU_CYCLE_1)
	s_and_not1_b32 vcc_lo, exec_lo, s6
	s_cbranch_vccnz .LBB208_1714
; %bb.1707:
	v_dual_mov_b32 v10, 0x80 :: v_dual_lshlrev_b32 v9, 16, v3
	s_mov_b32 s6, exec_lo
	s_delay_alu instid0(VALU_DEP_1) | instskip(NEXT) | instid1(VALU_DEP_1)
	v_and_b32_e32 v6, 0x7fffffff, v9
	v_cmpx_gt_u32_e32 0x43800000, v6
	s_cbranch_execz .LBB208_1713
; %bb.1708:
	v_and_b32_e32 v4, 0xffff, v3
	v_cmp_lt_u32_e32 vcc_lo, 0x3bffffff, v6
	s_mov_b32 s7, 0
                                        ; implicit-def: $vgpr6
	s_and_saveexec_b32 s10, vcc_lo
	s_delay_alu instid0(SALU_CYCLE_1)
	s_xor_b32 s10, exec_lo, s10
	s_cbranch_execz .LBB208_2052
; %bb.1709:
	v_bfe_u32 v6, v4, 4, 1
	s_mov_b32 s7, exec_lo
	s_delay_alu instid0(VALU_DEP_1) | instskip(NEXT) | instid1(VALU_DEP_1)
	v_add3_u32 v6, v9, v6, 0x487ffff
                                        ; implicit-def: $vgpr9
	v_lshrrev_b32_e32 v6, 20, v6
	s_or_saveexec_b32 s10, s10
                                        ; implicit-def: $sgpr11
	s_delay_alu instid0(SALU_CYCLE_1)
	s_xor_b32 exec_lo, exec_lo, s10
	s_cbranch_execnz .LBB208_2053
.LBB208_1710:
	s_or_b32 exec_lo, exec_lo, s10
	v_mov_b32_e32 v10, s11
	s_and_saveexec_b32 s10, s7
.LBB208_1711:
	v_lshrrev_b32_e32 v4, 8, v4
	s_delay_alu instid0(VALU_DEP_1)
	v_and_or_b32 v10, 0x80, v4, v6
.LBB208_1712:
	s_or_b32 exec_lo, exec_lo, s10
.LBB208_1713:
	s_delay_alu instid0(SALU_CYCLE_1)
	s_or_b32 exec_lo, exec_lo, s6
	global_store_b8 v[0:1], v10, off
.LBB208_1714:
	s_mov_b32 s6, -1
.LBB208_1715:
	s_mov_b32 s7, 0
.LBB208_1716:
	s_delay_alu instid0(SALU_CYCLE_1)
	s_and_b32 vcc_lo, exec_lo, s7
	s_cbranch_vccz .LBB208_1756
; %bb.1717:
	v_cmp_lt_i16_e32 vcc_lo, 22, v5
	s_mov_b32 s3, -1
	s_cbranch_vccz .LBB208_1749
; %bb.1718:
	v_cmp_gt_i16_e32 vcc_lo, 24, v5
	s_cbranch_vccnz .LBB208_1738
; %bb.1719:
	v_cmp_lt_i16_e32 vcc_lo, 24, v5
	s_cbranch_vccz .LBB208_1727
; %bb.1720:
	v_dual_mov_b32 v10, 0x80 :: v_dual_lshlrev_b32 v9, 16, v3
	s_mov_b32 s3, exec_lo
	s_delay_alu instid0(VALU_DEP_1) | instskip(NEXT) | instid1(VALU_DEP_1)
	v_and_b32_e32 v6, 0x7fffffff, v9
	v_cmpx_gt_u32_e32 0x47800000, v6
	s_cbranch_execz .LBB208_1726
; %bb.1721:
	v_and_b32_e32 v4, 0xffff, v3
	v_cmp_lt_u32_e32 vcc_lo, 0x37ffffff, v6
	s_mov_b32 s6, 0
                                        ; implicit-def: $vgpr6
	s_and_saveexec_b32 s7, vcc_lo
	s_delay_alu instid0(SALU_CYCLE_1)
	s_xor_b32 s7, exec_lo, s7
	s_cbranch_execz .LBB208_2058
; %bb.1722:
	v_bfe_u32 v6, v4, 5, 1
	s_mov_b32 s6, exec_lo
	s_delay_alu instid0(VALU_DEP_1) | instskip(NEXT) | instid1(VALU_DEP_1)
	v_add3_u32 v6, v9, v6, 0x88fffff
                                        ; implicit-def: $vgpr9
	v_lshrrev_b32_e32 v6, 21, v6
	s_or_saveexec_b32 s7, s7
                                        ; implicit-def: $sgpr10
	s_delay_alu instid0(SALU_CYCLE_1)
	s_xor_b32 exec_lo, exec_lo, s7
	s_cbranch_execnz .LBB208_2059
.LBB208_1723:
	s_or_b32 exec_lo, exec_lo, s7
	v_mov_b32_e32 v10, s10
	s_and_saveexec_b32 s7, s6
.LBB208_1724:
	v_lshrrev_b32_e32 v4, 8, v4
	s_delay_alu instid0(VALU_DEP_1)
	v_and_or_b32 v10, 0x80, v4, v6
.LBB208_1725:
	s_or_b32 exec_lo, exec_lo, s7
.LBB208_1726:
	s_delay_alu instid0(SALU_CYCLE_1)
	s_or_b32 exec_lo, exec_lo, s3
	s_mov_b32 s3, 0
	global_store_b8 v[0:1], v10, off
.LBB208_1727:
	s_and_b32 vcc_lo, exec_lo, s3
	s_cbranch_vccz .LBB208_1737
; %bb.1728:
	v_lshlrev_b32_e32 v9, 16, v3
	v_and_b32_e32 v4, 0xffff, v3
	s_mov_b32 s3, exec_lo
                                        ; implicit-def: $vgpr6
	s_delay_alu instid0(VALU_DEP_2) | instskip(NEXT) | instid1(VALU_DEP_1)
	v_and_b32_e32 v10, 0x7fffffff, v9
	v_cmpx_gt_u32_e32 0x43f00000, v10
	s_xor_b32 s3, exec_lo, s3
	s_cbranch_execz .LBB208_1734
; %bb.1729:
	s_mov_b32 s6, exec_lo
                                        ; implicit-def: $vgpr6
	v_cmpx_lt_u32_e32 0x3c7fffff, v10
	s_xor_b32 s6, exec_lo, s6
; %bb.1730:
	v_bfe_u32 v6, v4, 4, 1
	s_delay_alu instid0(VALU_DEP_1) | instskip(NEXT) | instid1(VALU_DEP_1)
	v_add3_u32 v6, v9, v6, 0x407ffff
	v_and_b32_e32 v9, 0xff00000, v6
	v_lshrrev_b32_e32 v6, 20, v6
	s_delay_alu instid0(VALU_DEP_2) | instskip(NEXT) | instid1(VALU_DEP_2)
	v_cmp_ne_u32_e32 vcc_lo, 0x7f00000, v9
                                        ; implicit-def: $vgpr9
	v_cndmask_b32_e32 v6, 0x7e, v6, vcc_lo
; %bb.1731:
	s_and_not1_saveexec_b32 s6, s6
; %bb.1732:
	v_add_f32_e64 v6, 0x46800000, |v9|
; %bb.1733:
	s_or_b32 exec_lo, exec_lo, s6
                                        ; implicit-def: $vgpr10
.LBB208_1734:
	s_and_not1_saveexec_b32 s3, s3
; %bb.1735:
	v_mov_b32_e32 v6, 0x7f
	v_cmp_lt_u32_e32 vcc_lo, 0x7f800000, v10
	s_delay_alu instid0(VALU_DEP_2)
	v_cndmask_b32_e32 v6, 0x7e, v6, vcc_lo
; %bb.1736:
	s_or_b32 exec_lo, exec_lo, s3
	v_lshrrev_b32_e32 v4, 8, v4
	s_delay_alu instid0(VALU_DEP_1)
	v_and_or_b32 v4, 0x80, v4, v6
	global_store_b8 v[0:1], v4, off
.LBB208_1737:
	s_mov_b32 s3, 0
.LBB208_1738:
	s_delay_alu instid0(SALU_CYCLE_1)
	s_and_not1_b32 vcc_lo, exec_lo, s3
	s_cbranch_vccnz .LBB208_1748
; %bb.1739:
	v_lshlrev_b32_e32 v9, 16, v3
	v_and_b32_e32 v4, 0xffff, v3
	s_mov_b32 s3, exec_lo
                                        ; implicit-def: $vgpr6
	s_delay_alu instid0(VALU_DEP_2) | instskip(NEXT) | instid1(VALU_DEP_1)
	v_and_b32_e32 v10, 0x7fffffff, v9
	v_cmpx_gt_u32_e32 0x47800000, v10
	s_xor_b32 s3, exec_lo, s3
	s_cbranch_execz .LBB208_1745
; %bb.1740:
	s_mov_b32 s6, exec_lo
                                        ; implicit-def: $vgpr6
	v_cmpx_lt_u32_e32 0x387fffff, v10
	s_xor_b32 s6, exec_lo, s6
; %bb.1741:
	v_bfe_u32 v6, v4, 5, 1
	s_delay_alu instid0(VALU_DEP_1) | instskip(NEXT) | instid1(VALU_DEP_1)
	v_add3_u32 v6, v9, v6, 0x80fffff
                                        ; implicit-def: $vgpr9
	v_lshrrev_b32_e32 v6, 21, v6
; %bb.1742:
	s_and_not1_saveexec_b32 s6, s6
; %bb.1743:
	v_add_f32_e64 v6, 0x43000000, |v9|
; %bb.1744:
	s_or_b32 exec_lo, exec_lo, s6
                                        ; implicit-def: $vgpr10
.LBB208_1745:
	s_and_not1_saveexec_b32 s3, s3
; %bb.1746:
	v_mov_b32_e32 v6, 0x7f
	v_cmp_lt_u32_e32 vcc_lo, 0x7f800000, v10
	s_delay_alu instid0(VALU_DEP_2)
	v_cndmask_b32_e32 v6, 0x7c, v6, vcc_lo
; %bb.1747:
	s_or_b32 exec_lo, exec_lo, s3
	v_lshrrev_b32_e32 v4, 8, v4
	s_delay_alu instid0(VALU_DEP_1)
	v_and_or_b32 v4, 0x80, v4, v6
	global_store_b8 v[0:1], v4, off
.LBB208_1748:
	s_mov_b32 s3, 0
	s_mov_b32 s6, -1
.LBB208_1749:
	s_and_not1_b32 vcc_lo, exec_lo, s3
	s_mov_b32 s3, 0
	s_cbranch_vccnz .LBB208_1756
; %bb.1750:
	v_cmp_lt_i16_e32 vcc_lo, 14, v5
	s_mov_b32 s3, -1
	s_cbranch_vccz .LBB208_1754
; %bb.1751:
	v_cmp_eq_u16_e32 vcc_lo, 15, v5
	s_mov_b32 s0, -1
	s_cbranch_vccz .LBB208_1753
; %bb.1752:
	s_mov_b32 s0, 0
	s_mov_b32 s6, -1
	global_store_b16 v[0:1], v3, off
.LBB208_1753:
	s_mov_b32 s3, 0
.LBB208_1754:
	s_delay_alu instid0(SALU_CYCLE_1)
	s_and_b32 vcc_lo, exec_lo, s3
	s_mov_b32 s3, 0
	s_cbranch_vccz .LBB208_1756
; %bb.1755:
	v_cmp_ne_u16_e64 s0, 11, v5
	s_mov_b32 s3, -1
.LBB208_1756:
	s_delay_alu instid0(VALU_DEP_1)
	s_and_b32 vcc_lo, exec_lo, s0
	s_cbranch_vccnz .LBB208_2056
; %bb.1757:
	s_and_not1_b32 vcc_lo, exec_lo, s3
	s_cbranch_vccnz .LBB208_1759
.LBB208_1758:
	v_and_b32_e32 v4, 0x7fff, v3
	s_mov_b32 s6, -1
	s_delay_alu instid0(VALU_DEP_1)
	v_cmp_ne_u16_e32 vcc_lo, 0, v4
	v_cndmask_b32_e64 v4, 0, 1, vcc_lo
	global_store_b8 v[0:1], v4, off
.LBB208_1759:
	s_mov_b32 s0, 0
	s_branch .LBB208_1761
.LBB208_1760:
	s_mov_b32 s0, -1
	s_mov_b32 s6, 0
.LBB208_1761:
	s_and_b32 vcc_lo, exec_lo, s0
	s_cbranch_vccz .LBB208_1800
; %bb.1762:
	v_cmp_gt_i16_e32 vcc_lo, 5, v5
	s_mov_b32 s0, -1
	s_cbranch_vccnz .LBB208_1783
; %bb.1763:
	v_cmp_gt_i16_e32 vcc_lo, 8, v5
	s_cbranch_vccnz .LBB208_1773
; %bb.1764:
	v_cmp_gt_i16_e32 vcc_lo, 9, v5
	s_cbranch_vccnz .LBB208_1770
; %bb.1765:
	v_cmp_lt_i16_e32 vcc_lo, 9, v5
	s_cbranch_vccz .LBB208_1767
; %bb.1766:
	v_dual_mov_b32 v11, 0 :: v_dual_lshlrev_b32 v4, 16, v3
	s_mov_b32 s0, 0
	s_delay_alu instid0(VALU_DEP_1) | instskip(NEXT) | instid1(VALU_DEP_2)
	v_cvt_f64_f32_e32 v[9:10], v4
	v_mov_b32_e32 v12, v11
	global_store_b128 v[0:1], v[9:12], off
.LBB208_1767:
	s_and_not1_b32 vcc_lo, exec_lo, s0
	s_cbranch_vccnz .LBB208_1769
; %bb.1768:
	v_dual_mov_b32 v10, 0 :: v_dual_lshlrev_b32 v9, 16, v3
	global_store_b64 v[0:1], v[9:10], off
.LBB208_1769:
	s_mov_b32 s0, 0
.LBB208_1770:
	s_delay_alu instid0(SALU_CYCLE_1)
	s_and_not1_b32 vcc_lo, exec_lo, s0
	s_cbranch_vccnz .LBB208_1772
; %bb.1771:
	v_lshlrev_b32_e32 v4, 16, v3
	s_delay_alu instid0(VALU_DEP_1) | instskip(NEXT) | instid1(VALU_DEP_1)
	v_cvt_f16_f32_e32 v4, v4
	v_and_b32_e32 v4, 0xffff, v4
	global_store_b32 v[0:1], v4, off
.LBB208_1772:
	s_mov_b32 s0, 0
.LBB208_1773:
	s_delay_alu instid0(SALU_CYCLE_1)
	s_and_not1_b32 vcc_lo, exec_lo, s0
	s_cbranch_vccnz .LBB208_1782
; %bb.1774:
	v_cmp_gt_i16_e32 vcc_lo, 6, v5
	s_mov_b32 s0, -1
	s_cbranch_vccnz .LBB208_1780
; %bb.1775:
	v_cmp_lt_i16_e32 vcc_lo, 6, v5
	s_cbranch_vccz .LBB208_1777
; %bb.1776:
	v_lshlrev_b32_e32 v4, 16, v3
	s_mov_b32 s0, 0
	s_delay_alu instid0(VALU_DEP_1)
	v_cvt_f64_f32_e32 v[9:10], v4
	global_store_b64 v[0:1], v[9:10], off
.LBB208_1777:
	s_and_not1_b32 vcc_lo, exec_lo, s0
	s_cbranch_vccnz .LBB208_1779
; %bb.1778:
	v_lshlrev_b32_e32 v4, 16, v3
	global_store_b32 v[0:1], v4, off
.LBB208_1779:
	s_mov_b32 s0, 0
.LBB208_1780:
	s_delay_alu instid0(SALU_CYCLE_1)
	s_and_not1_b32 vcc_lo, exec_lo, s0
	s_cbranch_vccnz .LBB208_1782
; %bb.1781:
	v_lshlrev_b32_e32 v4, 16, v3
	s_delay_alu instid0(VALU_DEP_1)
	v_cvt_f16_f32_e32 v4, v4
	global_store_b16 v[0:1], v4, off
.LBB208_1782:
	s_mov_b32 s0, 0
.LBB208_1783:
	s_delay_alu instid0(SALU_CYCLE_1)
	s_and_not1_b32 vcc_lo, exec_lo, s0
	s_cbranch_vccnz .LBB208_1799
; %bb.1784:
	v_cmp_gt_i16_e32 vcc_lo, 2, v5
	s_mov_b32 s0, -1
	s_cbranch_vccnz .LBB208_1794
; %bb.1785:
	v_cmp_gt_i16_e32 vcc_lo, 3, v5
	s_cbranch_vccnz .LBB208_1791
; %bb.1786:
	v_cmp_lt_i16_e32 vcc_lo, 3, v5
	s_cbranch_vccz .LBB208_1788
; %bb.1787:
	v_lshlrev_b32_e32 v4, 16, v3
	s_mov_b32 s0, 0
	s_delay_alu instid0(VALU_DEP_1) | instskip(NEXT) | instid1(VALU_DEP_1)
	v_trunc_f32_e32 v4, v4
	v_mul_f32_e64 v6, 0x2f800000, |v4|
	s_delay_alu instid0(VALU_DEP_1) | instskip(NEXT) | instid1(VALU_DEP_1)
	v_floor_f32_e32 v6, v6
	v_fma_f32 v9, 0xcf800000, v6, |v4|
	v_ashrrev_i32_e32 v4, 31, v4
	v_cvt_u32_f32_e32 v6, v6
	s_delay_alu instid0(VALU_DEP_3) | instskip(NEXT) | instid1(VALU_DEP_2)
	v_cvt_u32_f32_e32 v9, v9
	v_xor_b32_e32 v6, v6, v4
	s_delay_alu instid0(VALU_DEP_2) | instskip(NEXT) | instid1(VALU_DEP_1)
	v_xor_b32_e32 v9, v9, v4
	v_sub_co_u32 v9, vcc_lo, v9, v4
	s_delay_alu instid0(VALU_DEP_3)
	v_sub_co_ci_u32_e32 v10, vcc_lo, v6, v4, vcc_lo
	global_store_b64 v[0:1], v[9:10], off
.LBB208_1788:
	s_and_not1_b32 vcc_lo, exec_lo, s0
	s_cbranch_vccnz .LBB208_1790
; %bb.1789:
	v_lshlrev_b32_e32 v4, 16, v3
	s_delay_alu instid0(VALU_DEP_1)
	v_cvt_i32_f32_e32 v4, v4
	global_store_b32 v[0:1], v4, off
.LBB208_1790:
	s_mov_b32 s0, 0
.LBB208_1791:
	s_delay_alu instid0(SALU_CYCLE_1)
	s_and_not1_b32 vcc_lo, exec_lo, s0
	s_cbranch_vccnz .LBB208_1793
; %bb.1792:
	v_lshlrev_b32_e32 v4, 16, v3
	s_delay_alu instid0(VALU_DEP_1)
	v_cvt_i32_f32_e32 v4, v4
	global_store_b16 v[0:1], v4, off
.LBB208_1793:
	s_mov_b32 s0, 0
.LBB208_1794:
	s_delay_alu instid0(SALU_CYCLE_1)
	s_and_not1_b32 vcc_lo, exec_lo, s0
	s_cbranch_vccnz .LBB208_1799
; %bb.1795:
	v_cmp_lt_i16_e32 vcc_lo, 0, v5
	v_lshlrev_b32_e32 v3, 16, v3
	s_mov_b32 s0, -1
	s_cbranch_vccz .LBB208_1797
; %bb.1796:
	s_delay_alu instid0(VALU_DEP_1)
	v_cvt_i32_f32_e32 v4, v3
	s_mov_b32 s0, 0
	global_store_b8 v[0:1], v4, off
.LBB208_1797:
	s_and_not1_b32 vcc_lo, exec_lo, s0
	s_cbranch_vccnz .LBB208_1799
; %bb.1798:
	v_trunc_f32_e32 v3, v3
	s_delay_alu instid0(VALU_DEP_1) | instskip(NEXT) | instid1(VALU_DEP_1)
	v_mul_f32_e64 v4, 0x2f800000, |v3|
	v_floor_f32_e32 v4, v4
	s_delay_alu instid0(VALU_DEP_1) | instskip(SKIP_1) | instid1(VALU_DEP_2)
	v_fma_f32 v4, 0xcf800000, v4, |v3|
	v_ashrrev_i32_e32 v3, 31, v3
	v_cvt_u32_f32_e32 v4, v4
	s_delay_alu instid0(VALU_DEP_1) | instskip(NEXT) | instid1(VALU_DEP_1)
	v_xor_b32_e32 v4, v4, v3
	v_sub_nc_u32_e32 v3, v4, v3
	global_store_b8 v[0:1], v3, off
.LBB208_1799:
	s_mov_b32 s6, -1
.LBB208_1800:
	s_delay_alu instid0(SALU_CYCLE_1)
	s_and_not1_b32 vcc_lo, exec_lo, s6
	s_cbranch_vccnz .LBB208_1996
; %bb.1801:
	v_lshlrev_b32_e32 v0, 16, v7
	v_add_nc_u32_e32 v2, s2, v2
	s_delay_alu instid0(VALU_DEP_2) | instskip(NEXT) | instid1(VALU_DEP_1)
	v_cvt_f64_f32_e32 v[0:1], v0
	v_rsq_f64_e32 v[3:4], v[0:1]
	s_waitcnt_depctr 0xfff
	v_mul_f64 v[0:1], v[3:4], -v[0:1]
	v_cmp_class_f64_e64 vcc_lo, v[3:4], 0x180
	s_delay_alu instid0(VALU_DEP_2) | instskip(NEXT) | instid1(VALU_DEP_1)
	v_fma_f64 v[0:1], v[0:1], v[3:4], 1.0
	v_mul_f64 v[6:7], v[3:4], v[0:1]
	v_fma_f64 v[0:1], 0x3fd80000, v[0:1], 0.5
	s_delay_alu instid0(VALU_DEP_1) | instskip(NEXT) | instid1(VALU_DEP_1)
	v_fma_f64 v[0:1], v[6:7], v[0:1], v[3:4]
	v_dual_cndmask_b32 v1, v4, v1 :: v_dual_cndmask_b32 v0, v3, v0
	v_cmp_gt_i16_e32 vcc_lo, 11, v5
	s_delay_alu instid0(VALU_DEP_2) | instskip(SKIP_2) | instid1(VALU_DEP_2)
	v_cvt_f32_f64_e32 v3, v[0:1]
	v_ashrrev_i32_e32 v1, 31, v2
	s_and_b32 vcc_lo, exec_lo, vcc_lo
	v_bfe_u32 v0, v3, 16, 1
	s_delay_alu instid0(VALU_DEP_1) | instskip(NEXT) | instid1(VALU_DEP_1)
	v_add3_u32 v0, v3, v0, 0x7fff
	v_lshrrev_b32_e32 v4, 16, v0
	v_add_co_u32 v0, s0, s4, v2
	s_delay_alu instid0(VALU_DEP_1) | instskip(SKIP_1) | instid1(VALU_DEP_1)
	v_add_co_ci_u32_e64 v1, s0, s5, v1, s0
	v_cmp_o_f32_e64 s0, v3, v3
	v_cndmask_b32_e64 v3, 0x7fc0, v4, s0
	s_cbranch_vccnz .LBB208_1879
; %bb.1802:
	v_cmp_lt_i16_e32 vcc_lo, 25, v5
	s_mov_b32 s7, -1
	s_mov_b32 s3, 0
	s_mov_b32 s6, 0
	;; [unrolled: 1-line block ×3, first 2 shown]
	s_cbranch_vccz .LBB208_1835
; %bb.1803:
	v_cmp_lt_i16_e32 vcc_lo, 28, v5
	s_cbranch_vccz .LBB208_1818
; %bb.1804:
	v_cmp_lt_i16_e32 vcc_lo, 43, v5
	;; [unrolled: 3-line block ×3, first 2 shown]
	s_cbranch_vccz .LBB208_1808
; %bb.1806:
	v_cmp_eq_u16_e32 vcc_lo, 46, v5
	s_mov_b32 s0, -1
	s_mov_b32 s7, 0
	s_cbranch_vccz .LBB208_1808
; %bb.1807:
	v_and_b32_e32 v4, 0xffff, v3
	s_mov_b32 s0, 0
	s_mov_b32 s6, -1
	global_store_b32 v[0:1], v4, off
.LBB208_1808:
	s_and_b32 vcc_lo, exec_lo, s7
	s_cbranch_vccz .LBB208_1813
; %bb.1809:
	v_cmp_eq_u16_e32 vcc_lo, 44, v5
	s_mov_b32 s0, -1
	s_cbranch_vccz .LBB208_1813
; %bb.1810:
	v_and_b32_e32 v4, 0xffff, v3
	v_mov_b32_e32 v6, 0xff
	s_mov_b32 s6, exec_lo
	s_delay_alu instid0(VALU_DEP_2) | instskip(NEXT) | instid1(VALU_DEP_1)
	v_bfe_u32 v7, v4, 7, 8
	v_cmpx_ne_u32_e32 0xff, v7
; %bb.1811:
	v_lshlrev_b32_e32 v6, 16, v4
	v_and_b32_e32 v9, 64, v4
	v_lshrrev_b32_e32 v4, 7, v4
	s_delay_alu instid0(VALU_DEP_3) | instskip(NEXT) | instid1(VALU_DEP_3)
	v_and_or_b32 v6, 0x3f0000, v6, v7
	v_cmp_ne_u32_e32 vcc_lo, 0, v9
	s_delay_alu instid0(VALU_DEP_2) | instskip(NEXT) | instid1(VALU_DEP_1)
	v_cmp_ne_u32_e64 s0, 0, v6
	s_and_b32 s0, vcc_lo, s0
	s_delay_alu instid0(SALU_CYCLE_1) | instskip(NEXT) | instid1(VALU_DEP_1)
	v_cndmask_b32_e64 v6, 0, 1, s0
	v_add_nc_u32_e32 v6, v4, v6
; %bb.1812:
	s_or_b32 exec_lo, exec_lo, s6
	s_mov_b32 s0, 0
	s_mov_b32 s6, -1
	global_store_b8 v[0:1], v6, off
.LBB208_1813:
	s_mov_b32 s7, 0
.LBB208_1814:
	s_delay_alu instid0(SALU_CYCLE_1)
	s_and_b32 vcc_lo, exec_lo, s7
	s_cbranch_vccz .LBB208_1817
; %bb.1815:
	v_cmp_eq_u16_e32 vcc_lo, 29, v5
	s_mov_b32 s0, -1
	s_cbranch_vccz .LBB208_1817
; %bb.1816:
	v_lshlrev_b32_e32 v4, 16, v3
	s_mov_b32 s0, 0
	s_mov_b32 s6, -1
	s_delay_alu instid0(VALU_DEP_1) | instskip(NEXT) | instid1(VALU_DEP_1)
	v_trunc_f32_e32 v4, v4
	v_mul_f32_e32 v6, 0x2f800000, v4
	s_delay_alu instid0(VALU_DEP_1) | instskip(NEXT) | instid1(VALU_DEP_1)
	v_floor_f32_e32 v6, v6
	v_fmamk_f32 v4, v6, 0xcf800000, v4
	v_cvt_u32_f32_e32 v7, v6
	s_delay_alu instid0(VALU_DEP_2)
	v_cvt_u32_f32_e32 v6, v4
	global_store_b64 v[0:1], v[6:7], off
.LBB208_1817:
	s_mov_b32 s7, 0
.LBB208_1818:
	s_delay_alu instid0(SALU_CYCLE_1)
	s_and_b32 vcc_lo, exec_lo, s7
	s_cbranch_vccz .LBB208_1834
; %bb.1819:
	v_cmp_gt_i16_e32 vcc_lo, 27, v5
	s_mov_b32 s6, -1
	s_cbranch_vccnz .LBB208_1825
; %bb.1820:
	v_cmp_lt_i16_e32 vcc_lo, 27, v5
	s_cbranch_vccz .LBB208_1822
; %bb.1821:
	v_lshlrev_b32_e32 v4, 16, v3
	s_mov_b32 s6, 0
	s_delay_alu instid0(VALU_DEP_1)
	v_cvt_u32_f32_e32 v4, v4
	global_store_b32 v[0:1], v4, off
.LBB208_1822:
	s_and_not1_b32 vcc_lo, exec_lo, s6
	s_cbranch_vccnz .LBB208_1824
; %bb.1823:
	v_lshlrev_b32_e32 v4, 16, v3
	s_delay_alu instid0(VALU_DEP_1)
	v_cvt_u32_f32_e32 v4, v4
	global_store_b16 v[0:1], v4, off
.LBB208_1824:
	s_mov_b32 s6, 0
.LBB208_1825:
	s_delay_alu instid0(SALU_CYCLE_1)
	s_and_not1_b32 vcc_lo, exec_lo, s6
	s_cbranch_vccnz .LBB208_1833
; %bb.1826:
	v_lshlrev_b32_e32 v7, 16, v3
	v_mov_b32_e32 v9, 0x80
	s_mov_b32 s6, exec_lo
	s_delay_alu instid0(VALU_DEP_2) | instskip(NEXT) | instid1(VALU_DEP_1)
	v_and_b32_e32 v6, 0x7fffffff, v7
	v_cmpx_gt_u32_e32 0x43800000, v6
	s_cbranch_execz .LBB208_1832
; %bb.1827:
	v_and_b32_e32 v4, 0xffff, v3
	v_cmp_lt_u32_e32 vcc_lo, 0x3bffffff, v6
	s_mov_b32 s7, 0
                                        ; implicit-def: $vgpr6
	s_and_saveexec_b32 s10, vcc_lo
	s_delay_alu instid0(SALU_CYCLE_1)
	s_xor_b32 s10, exec_lo, s10
	s_cbranch_execz .LBB208_2060
; %bb.1828:
	v_bfe_u32 v6, v4, 4, 1
	s_mov_b32 s7, exec_lo
	s_delay_alu instid0(VALU_DEP_1) | instskip(NEXT) | instid1(VALU_DEP_1)
	v_add3_u32 v6, v7, v6, 0x487ffff
                                        ; implicit-def: $vgpr7
	v_lshrrev_b32_e32 v6, 20, v6
	s_or_saveexec_b32 s10, s10
                                        ; implicit-def: $sgpr11
	s_delay_alu instid0(SALU_CYCLE_1)
	s_xor_b32 exec_lo, exec_lo, s10
	s_cbranch_execnz .LBB208_2061
.LBB208_1829:
	s_or_b32 exec_lo, exec_lo, s10
	v_mov_b32_e32 v9, s11
	s_and_saveexec_b32 s10, s7
.LBB208_1830:
	v_lshrrev_b32_e32 v4, 8, v4
	s_delay_alu instid0(VALU_DEP_1)
	v_and_or_b32 v9, 0x80, v4, v6
.LBB208_1831:
	s_or_b32 exec_lo, exec_lo, s10
.LBB208_1832:
	s_delay_alu instid0(SALU_CYCLE_1)
	s_or_b32 exec_lo, exec_lo, s6
	global_store_b8 v[0:1], v9, off
.LBB208_1833:
	s_mov_b32 s6, -1
.LBB208_1834:
	s_mov_b32 s7, 0
.LBB208_1835:
	s_delay_alu instid0(SALU_CYCLE_1)
	s_and_b32 vcc_lo, exec_lo, s7
	s_cbranch_vccz .LBB208_1875
; %bb.1836:
	v_cmp_lt_i16_e32 vcc_lo, 22, v5
	s_mov_b32 s3, -1
	s_cbranch_vccz .LBB208_1868
; %bb.1837:
	v_cmp_gt_i16_e32 vcc_lo, 24, v5
	s_cbranch_vccnz .LBB208_1857
; %bb.1838:
	v_cmp_lt_i16_e32 vcc_lo, 24, v5
	s_cbranch_vccz .LBB208_1846
; %bb.1839:
	v_lshlrev_b32_e32 v7, 16, v3
	v_mov_b32_e32 v9, 0x80
	s_mov_b32 s3, exec_lo
	s_delay_alu instid0(VALU_DEP_2) | instskip(NEXT) | instid1(VALU_DEP_1)
	v_and_b32_e32 v6, 0x7fffffff, v7
	v_cmpx_gt_u32_e32 0x47800000, v6
	s_cbranch_execz .LBB208_1845
; %bb.1840:
	v_and_b32_e32 v4, 0xffff, v3
	v_cmp_lt_u32_e32 vcc_lo, 0x37ffffff, v6
	s_mov_b32 s6, 0
                                        ; implicit-def: $vgpr6
	s_and_saveexec_b32 s7, vcc_lo
	s_delay_alu instid0(SALU_CYCLE_1)
	s_xor_b32 s7, exec_lo, s7
	s_cbranch_execz .LBB208_2066
; %bb.1841:
	v_bfe_u32 v6, v4, 5, 1
	s_mov_b32 s6, exec_lo
	s_delay_alu instid0(VALU_DEP_1) | instskip(NEXT) | instid1(VALU_DEP_1)
	v_add3_u32 v6, v7, v6, 0x88fffff
                                        ; implicit-def: $vgpr7
	v_lshrrev_b32_e32 v6, 21, v6
	s_or_saveexec_b32 s7, s7
                                        ; implicit-def: $sgpr10
	s_delay_alu instid0(SALU_CYCLE_1)
	s_xor_b32 exec_lo, exec_lo, s7
	s_cbranch_execnz .LBB208_2067
.LBB208_1842:
	s_or_b32 exec_lo, exec_lo, s7
	v_mov_b32_e32 v9, s10
	s_and_saveexec_b32 s7, s6
.LBB208_1843:
	v_lshrrev_b32_e32 v4, 8, v4
	s_delay_alu instid0(VALU_DEP_1)
	v_and_or_b32 v9, 0x80, v4, v6
.LBB208_1844:
	s_or_b32 exec_lo, exec_lo, s7
.LBB208_1845:
	s_delay_alu instid0(SALU_CYCLE_1)
	s_or_b32 exec_lo, exec_lo, s3
	s_mov_b32 s3, 0
	global_store_b8 v[0:1], v9, off
.LBB208_1846:
	s_and_b32 vcc_lo, exec_lo, s3
	s_cbranch_vccz .LBB208_1856
; %bb.1847:
	v_lshlrev_b32_e32 v7, 16, v3
	v_and_b32_e32 v4, 0xffff, v3
	s_mov_b32 s3, exec_lo
                                        ; implicit-def: $vgpr6
	s_delay_alu instid0(VALU_DEP_2) | instskip(NEXT) | instid1(VALU_DEP_1)
	v_and_b32_e32 v9, 0x7fffffff, v7
	v_cmpx_gt_u32_e32 0x43f00000, v9
	s_xor_b32 s3, exec_lo, s3
	s_cbranch_execz .LBB208_1853
; %bb.1848:
	s_mov_b32 s6, exec_lo
                                        ; implicit-def: $vgpr6
	v_cmpx_lt_u32_e32 0x3c7fffff, v9
	s_xor_b32 s6, exec_lo, s6
; %bb.1849:
	v_bfe_u32 v6, v4, 4, 1
	s_delay_alu instid0(VALU_DEP_1) | instskip(NEXT) | instid1(VALU_DEP_1)
	v_add3_u32 v6, v7, v6, 0x407ffff
	v_and_b32_e32 v7, 0xff00000, v6
	v_lshrrev_b32_e32 v6, 20, v6
	s_delay_alu instid0(VALU_DEP_2) | instskip(NEXT) | instid1(VALU_DEP_2)
	v_cmp_ne_u32_e32 vcc_lo, 0x7f00000, v7
                                        ; implicit-def: $vgpr7
	v_cndmask_b32_e32 v6, 0x7e, v6, vcc_lo
; %bb.1850:
	s_and_not1_saveexec_b32 s6, s6
; %bb.1851:
	v_add_f32_e64 v6, 0x46800000, |v7|
; %bb.1852:
	s_or_b32 exec_lo, exec_lo, s6
                                        ; implicit-def: $vgpr9
.LBB208_1853:
	s_and_not1_saveexec_b32 s3, s3
; %bb.1854:
	v_mov_b32_e32 v6, 0x7f
	v_cmp_lt_u32_e32 vcc_lo, 0x7f800000, v9
	s_delay_alu instid0(VALU_DEP_2)
	v_cndmask_b32_e32 v6, 0x7e, v6, vcc_lo
; %bb.1855:
	s_or_b32 exec_lo, exec_lo, s3
	v_lshrrev_b32_e32 v4, 8, v4
	s_delay_alu instid0(VALU_DEP_1)
	v_and_or_b32 v4, 0x80, v4, v6
	global_store_b8 v[0:1], v4, off
.LBB208_1856:
	s_mov_b32 s3, 0
.LBB208_1857:
	s_delay_alu instid0(SALU_CYCLE_1)
	s_and_not1_b32 vcc_lo, exec_lo, s3
	s_cbranch_vccnz .LBB208_1867
; %bb.1858:
	v_lshlrev_b32_e32 v7, 16, v3
	v_and_b32_e32 v4, 0xffff, v3
	s_mov_b32 s3, exec_lo
                                        ; implicit-def: $vgpr6
	s_delay_alu instid0(VALU_DEP_2) | instskip(NEXT) | instid1(VALU_DEP_1)
	v_and_b32_e32 v9, 0x7fffffff, v7
	v_cmpx_gt_u32_e32 0x47800000, v9
	s_xor_b32 s3, exec_lo, s3
	s_cbranch_execz .LBB208_1864
; %bb.1859:
	s_mov_b32 s6, exec_lo
                                        ; implicit-def: $vgpr6
	v_cmpx_lt_u32_e32 0x387fffff, v9
	s_xor_b32 s6, exec_lo, s6
; %bb.1860:
	v_bfe_u32 v6, v4, 5, 1
	s_delay_alu instid0(VALU_DEP_1) | instskip(NEXT) | instid1(VALU_DEP_1)
	v_add3_u32 v6, v7, v6, 0x80fffff
                                        ; implicit-def: $vgpr7
	v_lshrrev_b32_e32 v6, 21, v6
; %bb.1861:
	s_and_not1_saveexec_b32 s6, s6
; %bb.1862:
	v_add_f32_e64 v6, 0x43000000, |v7|
; %bb.1863:
	s_or_b32 exec_lo, exec_lo, s6
                                        ; implicit-def: $vgpr9
.LBB208_1864:
	s_and_not1_saveexec_b32 s3, s3
; %bb.1865:
	v_mov_b32_e32 v6, 0x7f
	v_cmp_lt_u32_e32 vcc_lo, 0x7f800000, v9
	s_delay_alu instid0(VALU_DEP_2)
	v_cndmask_b32_e32 v6, 0x7c, v6, vcc_lo
; %bb.1866:
	s_or_b32 exec_lo, exec_lo, s3
	v_lshrrev_b32_e32 v4, 8, v4
	s_delay_alu instid0(VALU_DEP_1)
	v_and_or_b32 v4, 0x80, v4, v6
	global_store_b8 v[0:1], v4, off
.LBB208_1867:
	s_mov_b32 s3, 0
	s_mov_b32 s6, -1
.LBB208_1868:
	s_and_not1_b32 vcc_lo, exec_lo, s3
	s_mov_b32 s3, 0
	s_cbranch_vccnz .LBB208_1875
; %bb.1869:
	v_cmp_lt_i16_e32 vcc_lo, 14, v5
	s_mov_b32 s3, -1
	s_cbranch_vccz .LBB208_1873
; %bb.1870:
	v_cmp_eq_u16_e32 vcc_lo, 15, v5
	s_mov_b32 s0, -1
	s_cbranch_vccz .LBB208_1872
; %bb.1871:
	s_mov_b32 s0, 0
	s_mov_b32 s6, -1
	global_store_b16 v[0:1], v3, off
.LBB208_1872:
	s_mov_b32 s3, 0
.LBB208_1873:
	s_delay_alu instid0(SALU_CYCLE_1)
	s_and_b32 vcc_lo, exec_lo, s3
	s_mov_b32 s3, 0
	s_cbranch_vccz .LBB208_1875
; %bb.1874:
	v_cmp_ne_u16_e64 s0, 11, v5
	s_mov_b32 s3, -1
.LBB208_1875:
	s_delay_alu instid0(VALU_DEP_1)
	s_and_b32 vcc_lo, exec_lo, s0
	s_cbranch_vccnz .LBB208_2064
; %bb.1876:
	s_and_not1_b32 vcc_lo, exec_lo, s3
	s_cbranch_vccnz .LBB208_1878
.LBB208_1877:
	v_and_b32_e32 v4, 0x7fff, v3
	s_mov_b32 s6, -1
	s_delay_alu instid0(VALU_DEP_1)
	v_cmp_ne_u16_e32 vcc_lo, 0, v4
	v_cndmask_b32_e64 v4, 0, 1, vcc_lo
	global_store_b8 v[0:1], v4, off
.LBB208_1878:
	s_mov_b32 s0, 0
	s_branch .LBB208_1880
.LBB208_1879:
	s_mov_b32 s0, -1
	s_mov_b32 s6, 0
.LBB208_1880:
	s_and_b32 vcc_lo, exec_lo, s0
	s_cbranch_vccz .LBB208_1919
; %bb.1881:
	v_cmp_gt_i16_e32 vcc_lo, 5, v5
	s_mov_b32 s0, -1
	s_cbranch_vccnz .LBB208_1902
; %bb.1882:
	v_cmp_gt_i16_e32 vcc_lo, 8, v5
	s_cbranch_vccnz .LBB208_1892
; %bb.1883:
	v_cmp_gt_i16_e32 vcc_lo, 9, v5
	s_cbranch_vccnz .LBB208_1889
; %bb.1884:
	v_cmp_lt_i16_e32 vcc_lo, 9, v5
	s_cbranch_vccz .LBB208_1886
; %bb.1885:
	v_dual_mov_b32 v11, 0 :: v_dual_lshlrev_b32 v4, 16, v3
	s_mov_b32 s0, 0
	s_delay_alu instid0(VALU_DEP_1) | instskip(NEXT) | instid1(VALU_DEP_2)
	v_cvt_f64_f32_e32 v[9:10], v4
	v_mov_b32_e32 v12, v11
	global_store_b128 v[0:1], v[9:12], off
.LBB208_1886:
	s_and_not1_b32 vcc_lo, exec_lo, s0
	s_cbranch_vccnz .LBB208_1888
; %bb.1887:
	v_dual_mov_b32 v7, 0 :: v_dual_lshlrev_b32 v6, 16, v3
	global_store_b64 v[0:1], v[6:7], off
.LBB208_1888:
	s_mov_b32 s0, 0
.LBB208_1889:
	s_delay_alu instid0(SALU_CYCLE_1)
	s_and_not1_b32 vcc_lo, exec_lo, s0
	s_cbranch_vccnz .LBB208_1891
; %bb.1890:
	v_lshlrev_b32_e32 v4, 16, v3
	s_delay_alu instid0(VALU_DEP_1) | instskip(NEXT) | instid1(VALU_DEP_1)
	v_cvt_f16_f32_e32 v4, v4
	v_and_b32_e32 v4, 0xffff, v4
	global_store_b32 v[0:1], v4, off
.LBB208_1891:
	s_mov_b32 s0, 0
.LBB208_1892:
	s_delay_alu instid0(SALU_CYCLE_1)
	s_and_not1_b32 vcc_lo, exec_lo, s0
	s_cbranch_vccnz .LBB208_1901
; %bb.1893:
	v_cmp_gt_i16_e32 vcc_lo, 6, v5
	s_mov_b32 s0, -1
	s_cbranch_vccnz .LBB208_1899
; %bb.1894:
	v_cmp_lt_i16_e32 vcc_lo, 6, v5
	s_cbranch_vccz .LBB208_1896
; %bb.1895:
	v_lshlrev_b32_e32 v4, 16, v3
	s_mov_b32 s0, 0
	s_delay_alu instid0(VALU_DEP_1)
	v_cvt_f64_f32_e32 v[6:7], v4
	global_store_b64 v[0:1], v[6:7], off
.LBB208_1896:
	s_and_not1_b32 vcc_lo, exec_lo, s0
	s_cbranch_vccnz .LBB208_1898
; %bb.1897:
	v_lshlrev_b32_e32 v4, 16, v3
	global_store_b32 v[0:1], v4, off
.LBB208_1898:
	s_mov_b32 s0, 0
.LBB208_1899:
	s_delay_alu instid0(SALU_CYCLE_1)
	s_and_not1_b32 vcc_lo, exec_lo, s0
	s_cbranch_vccnz .LBB208_1901
; %bb.1900:
	v_lshlrev_b32_e32 v4, 16, v3
	s_delay_alu instid0(VALU_DEP_1)
	v_cvt_f16_f32_e32 v4, v4
	global_store_b16 v[0:1], v4, off
.LBB208_1901:
	s_mov_b32 s0, 0
.LBB208_1902:
	s_delay_alu instid0(SALU_CYCLE_1)
	s_and_not1_b32 vcc_lo, exec_lo, s0
	s_cbranch_vccnz .LBB208_1918
; %bb.1903:
	v_cmp_gt_i16_e32 vcc_lo, 2, v5
	s_mov_b32 s0, -1
	s_cbranch_vccnz .LBB208_1913
; %bb.1904:
	v_cmp_gt_i16_e32 vcc_lo, 3, v5
	s_cbranch_vccnz .LBB208_1910
; %bb.1905:
	v_cmp_lt_i16_e32 vcc_lo, 3, v5
	s_cbranch_vccz .LBB208_1907
; %bb.1906:
	v_lshlrev_b32_e32 v4, 16, v3
	s_mov_b32 s0, 0
	s_delay_alu instid0(VALU_DEP_1) | instskip(NEXT) | instid1(VALU_DEP_1)
	v_trunc_f32_e32 v4, v4
	v_mul_f32_e64 v6, 0x2f800000, |v4|
	s_delay_alu instid0(VALU_DEP_1) | instskip(NEXT) | instid1(VALU_DEP_1)
	v_floor_f32_e32 v6, v6
	v_fma_f32 v7, 0xcf800000, v6, |v4|
	v_ashrrev_i32_e32 v4, 31, v4
	v_cvt_u32_f32_e32 v6, v6
	s_delay_alu instid0(VALU_DEP_3) | instskip(NEXT) | instid1(VALU_DEP_2)
	v_cvt_u32_f32_e32 v7, v7
	v_xor_b32_e32 v9, v6, v4
	s_delay_alu instid0(VALU_DEP_2) | instskip(NEXT) | instid1(VALU_DEP_1)
	v_xor_b32_e32 v7, v7, v4
	v_sub_co_u32 v6, vcc_lo, v7, v4
	s_delay_alu instid0(VALU_DEP_3)
	v_sub_co_ci_u32_e32 v7, vcc_lo, v9, v4, vcc_lo
	global_store_b64 v[0:1], v[6:7], off
.LBB208_1907:
	s_and_not1_b32 vcc_lo, exec_lo, s0
	s_cbranch_vccnz .LBB208_1909
; %bb.1908:
	v_lshlrev_b32_e32 v4, 16, v3
	s_delay_alu instid0(VALU_DEP_1)
	v_cvt_i32_f32_e32 v4, v4
	global_store_b32 v[0:1], v4, off
.LBB208_1909:
	s_mov_b32 s0, 0
.LBB208_1910:
	s_delay_alu instid0(SALU_CYCLE_1)
	s_and_not1_b32 vcc_lo, exec_lo, s0
	s_cbranch_vccnz .LBB208_1912
; %bb.1911:
	v_lshlrev_b32_e32 v4, 16, v3
	s_delay_alu instid0(VALU_DEP_1)
	v_cvt_i32_f32_e32 v4, v4
	global_store_b16 v[0:1], v4, off
.LBB208_1912:
	s_mov_b32 s0, 0
.LBB208_1913:
	s_delay_alu instid0(SALU_CYCLE_1)
	s_and_not1_b32 vcc_lo, exec_lo, s0
	s_cbranch_vccnz .LBB208_1918
; %bb.1914:
	v_cmp_lt_i16_e32 vcc_lo, 0, v5
	v_lshlrev_b32_e32 v3, 16, v3
	s_mov_b32 s0, -1
	s_cbranch_vccz .LBB208_1916
; %bb.1915:
	s_delay_alu instid0(VALU_DEP_1)
	v_cvt_i32_f32_e32 v4, v3
	s_mov_b32 s0, 0
	global_store_b8 v[0:1], v4, off
.LBB208_1916:
	s_and_not1_b32 vcc_lo, exec_lo, s0
	s_cbranch_vccnz .LBB208_1918
; %bb.1917:
	v_trunc_f32_e32 v3, v3
	s_delay_alu instid0(VALU_DEP_1) | instskip(NEXT) | instid1(VALU_DEP_1)
	v_mul_f32_e64 v4, 0x2f800000, |v3|
	v_floor_f32_e32 v4, v4
	s_delay_alu instid0(VALU_DEP_1) | instskip(SKIP_1) | instid1(VALU_DEP_2)
	v_fma_f32 v4, 0xcf800000, v4, |v3|
	v_ashrrev_i32_e32 v3, 31, v3
	v_cvt_u32_f32_e32 v4, v4
	s_delay_alu instid0(VALU_DEP_1) | instskip(NEXT) | instid1(VALU_DEP_1)
	v_xor_b32_e32 v4, v4, v3
	v_sub_nc_u32_e32 v3, v4, v3
	global_store_b8 v[0:1], v3, off
.LBB208_1918:
	s_mov_b32 s6, -1
.LBB208_1919:
	s_delay_alu instid0(SALU_CYCLE_1)
	s_and_not1_b32 vcc_lo, exec_lo, s6
	s_cbranch_vccnz .LBB208_1996
; %bb.1920:
	v_lshlrev_b32_e32 v0, 16, v8
	s_delay_alu instid0(VALU_DEP_1) | instskip(NEXT) | instid1(VALU_DEP_1)
	v_cvt_f64_f32_e32 v[0:1], v0
	v_rsq_f64_e32 v[3:4], v[0:1]
	s_waitcnt_depctr 0xfff
	v_mul_f64 v[0:1], v[3:4], -v[0:1]
	v_cmp_class_f64_e64 vcc_lo, v[3:4], 0x180
	s_delay_alu instid0(VALU_DEP_2) | instskip(NEXT) | instid1(VALU_DEP_1)
	v_fma_f64 v[0:1], v[0:1], v[3:4], 1.0
	v_mul_f64 v[6:7], v[3:4], v[0:1]
	v_fma_f64 v[0:1], 0x3fd80000, v[0:1], 0.5
	s_delay_alu instid0(VALU_DEP_1) | instskip(NEXT) | instid1(VALU_DEP_1)
	v_fma_f64 v[0:1], v[6:7], v[0:1], v[3:4]
	v_dual_cndmask_b32 v1, v4, v1 :: v_dual_cndmask_b32 v0, v3, v0
	v_cmp_gt_i16_e32 vcc_lo, 11, v5
	s_delay_alu instid0(VALU_DEP_2) | instskip(SKIP_2) | instid1(VALU_DEP_1)
	v_cvt_f32_f64_e32 v3, v[0:1]
	v_add_nc_u32_e32 v1, s2, v2
	s_and_b32 vcc_lo, exec_lo, vcc_lo
	v_ashrrev_i32_e32 v2, 31, v1
	s_delay_alu instid0(VALU_DEP_3) | instskip(NEXT) | instid1(VALU_DEP_1)
	v_bfe_u32 v0, v3, 16, 1
	v_add3_u32 v0, v3, v0, 0x7fff
	s_delay_alu instid0(VALU_DEP_1) | instskip(SKIP_1) | instid1(VALU_DEP_1)
	v_lshrrev_b32_e32 v4, 16, v0
	v_add_co_u32 v0, s0, s4, v1
	v_add_co_ci_u32_e64 v1, s0, s5, v2, s0
	v_cmp_o_f32_e64 s0, v3, v3
	s_delay_alu instid0(VALU_DEP_1)
	v_cndmask_b32_e64 v6, 0x7fc0, v4, s0
	s_cbranch_vccnz .LBB208_2041
; %bb.1921:
	v_cmp_lt_i16_e32 vcc_lo, 25, v5
	s_mov_b32 s3, -1
	s_mov_b32 s2, 0
	s_mov_b32 s0, 0
	s_cbranch_vccz .LBB208_1954
; %bb.1922:
	v_cmp_lt_i16_e32 vcc_lo, 28, v5
	s_cbranch_vccz .LBB208_1938
; %bb.1923:
	v_cmp_lt_i16_e32 vcc_lo, 43, v5
	s_cbranch_vccz .LBB208_1934
; %bb.1924:
	v_cmp_lt_i16_e32 vcc_lo, 45, v5
	s_cbranch_vccz .LBB208_1928
; %bb.1925:
	v_cmp_eq_u16_e32 vcc_lo, 46, v5
	s_mov_b32 s0, -1
	s_cbranch_vccz .LBB208_1927
; %bb.1926:
	v_and_b32_e32 v2, 0xffff, v6
	s_mov_b32 s0, 0
	global_store_b32 v[0:1], v2, off
.LBB208_1927:
	s_mov_b32 s3, 0
.LBB208_1928:
	s_delay_alu instid0(SALU_CYCLE_1)
	s_and_b32 vcc_lo, exec_lo, s3
	s_cbranch_vccz .LBB208_1933
; %bb.1929:
	v_cmp_eq_u16_e32 vcc_lo, 44, v5
	s_mov_b32 s0, -1
	s_cbranch_vccz .LBB208_1933
; %bb.1930:
	v_and_b32_e32 v2, 0xffff, v6
	v_mov_b32_e32 v3, 0xff
	s_mov_b32 s3, exec_lo
	s_delay_alu instid0(VALU_DEP_2) | instskip(NEXT) | instid1(VALU_DEP_1)
	v_bfe_u32 v4, v2, 7, 8
	v_cmpx_ne_u32_e32 0xff, v4
; %bb.1931:
	v_lshlrev_b32_e32 v3, 16, v2
	v_and_b32_e32 v7, 64, v2
	v_lshrrev_b32_e32 v2, 7, v2
	s_delay_alu instid0(VALU_DEP_3) | instskip(NEXT) | instid1(VALU_DEP_3)
	v_and_or_b32 v3, 0x3f0000, v3, v4
	v_cmp_ne_u32_e32 vcc_lo, 0, v7
	s_delay_alu instid0(VALU_DEP_2) | instskip(NEXT) | instid1(VALU_DEP_1)
	v_cmp_ne_u32_e64 s0, 0, v3
	s_and_b32 s0, vcc_lo, s0
	s_delay_alu instid0(SALU_CYCLE_1) | instskip(NEXT) | instid1(VALU_DEP_1)
	v_cndmask_b32_e64 v3, 0, 1, s0
	v_add_nc_u32_e32 v3, v2, v3
; %bb.1932:
	s_or_b32 exec_lo, exec_lo, s3
	s_mov_b32 s0, 0
	global_store_b8 v[0:1], v3, off
.LBB208_1933:
	s_mov_b32 s3, 0
.LBB208_1934:
	s_delay_alu instid0(SALU_CYCLE_1)
	s_and_b32 vcc_lo, exec_lo, s3
	s_cbranch_vccz .LBB208_1937
; %bb.1935:
	v_cmp_eq_u16_e32 vcc_lo, 29, v5
	s_mov_b32 s0, -1
	s_cbranch_vccz .LBB208_1937
; %bb.1936:
	v_lshlrev_b32_e32 v2, 16, v6
	s_mov_b32 s0, 0
	s_delay_alu instid0(VALU_DEP_1) | instskip(NEXT) | instid1(VALU_DEP_1)
	v_trunc_f32_e32 v2, v2
	v_mul_f32_e32 v3, 0x2f800000, v2
	s_delay_alu instid0(VALU_DEP_1) | instskip(NEXT) | instid1(VALU_DEP_1)
	v_floor_f32_e32 v3, v3
	v_fmamk_f32 v2, v3, 0xcf800000, v2
	v_cvt_u32_f32_e32 v3, v3
	s_delay_alu instid0(VALU_DEP_2)
	v_cvt_u32_f32_e32 v2, v2
	global_store_b64 v[0:1], v[2:3], off
.LBB208_1937:
	s_mov_b32 s3, 0
.LBB208_1938:
	s_delay_alu instid0(SALU_CYCLE_1)
	s_and_b32 vcc_lo, exec_lo, s3
	s_cbranch_vccz .LBB208_1953
; %bb.1939:
	v_cmp_gt_i16_e32 vcc_lo, 27, v5
	s_mov_b32 s3, -1
	s_cbranch_vccnz .LBB208_1945
; %bb.1940:
	v_cmp_lt_i16_e32 vcc_lo, 27, v5
	s_cbranch_vccz .LBB208_1942
; %bb.1941:
	v_lshlrev_b32_e32 v2, 16, v6
	s_mov_b32 s3, 0
	s_delay_alu instid0(VALU_DEP_1)
	v_cvt_u32_f32_e32 v2, v2
	global_store_b32 v[0:1], v2, off
.LBB208_1942:
	s_and_not1_b32 vcc_lo, exec_lo, s3
	s_cbranch_vccnz .LBB208_1944
; %bb.1943:
	v_lshlrev_b32_e32 v2, 16, v6
	s_delay_alu instid0(VALU_DEP_1)
	v_cvt_u32_f32_e32 v2, v2
	global_store_b16 v[0:1], v2, off
.LBB208_1944:
	s_mov_b32 s3, 0
.LBB208_1945:
	s_delay_alu instid0(SALU_CYCLE_1)
	s_and_not1_b32 vcc_lo, exec_lo, s3
	s_cbranch_vccnz .LBB208_1953
; %bb.1946:
	v_dual_mov_b32 v7, 0x80 :: v_dual_lshlrev_b32 v4, 16, v6
	s_mov_b32 s3, exec_lo
	s_delay_alu instid0(VALU_DEP_1) | instskip(NEXT) | instid1(VALU_DEP_1)
	v_and_b32_e32 v3, 0x7fffffff, v4
	v_cmpx_gt_u32_e32 0x43800000, v3
	s_cbranch_execz .LBB208_1952
; %bb.1947:
	v_and_b32_e32 v2, 0xffff, v6
	v_cmp_lt_u32_e32 vcc_lo, 0x3bffffff, v3
	s_mov_b32 s4, 0
                                        ; implicit-def: $vgpr3
	s_and_saveexec_b32 s5, vcc_lo
	s_delay_alu instid0(SALU_CYCLE_1)
	s_xor_b32 s5, exec_lo, s5
	s_cbranch_execz .LBB208_2068
; %bb.1948:
	v_bfe_u32 v3, v2, 4, 1
	s_mov_b32 s4, exec_lo
	s_delay_alu instid0(VALU_DEP_1) | instskip(NEXT) | instid1(VALU_DEP_1)
	v_add3_u32 v3, v4, v3, 0x487ffff
                                        ; implicit-def: $vgpr4
	v_lshrrev_b32_e32 v3, 20, v3
	s_or_saveexec_b32 s5, s5
                                        ; implicit-def: $sgpr6
	s_delay_alu instid0(SALU_CYCLE_1)
	s_xor_b32 exec_lo, exec_lo, s5
	s_cbranch_execnz .LBB208_2069
.LBB208_1949:
	s_or_b32 exec_lo, exec_lo, s5
	v_mov_b32_e32 v7, s6
	s_and_saveexec_b32 s5, s4
.LBB208_1950:
	v_lshrrev_b32_e32 v2, 8, v2
	s_delay_alu instid0(VALU_DEP_1)
	v_and_or_b32 v7, 0x80, v2, v3
.LBB208_1951:
	s_or_b32 exec_lo, exec_lo, s5
.LBB208_1952:
	s_delay_alu instid0(SALU_CYCLE_1)
	s_or_b32 exec_lo, exec_lo, s3
	global_store_b8 v[0:1], v7, off
.LBB208_1953:
	s_mov_b32 s3, 0
.LBB208_1954:
	s_delay_alu instid0(SALU_CYCLE_1)
	s_and_b32 vcc_lo, exec_lo, s3
	s_cbranch_vccz .LBB208_1994
; %bb.1955:
	v_cmp_lt_i16_e32 vcc_lo, 22, v5
	s_mov_b32 s2, -1
	s_cbranch_vccz .LBB208_1987
; %bb.1956:
	v_cmp_gt_i16_e32 vcc_lo, 24, v5
	s_cbranch_vccnz .LBB208_1976
; %bb.1957:
	v_cmp_lt_i16_e32 vcc_lo, 24, v5
	s_cbranch_vccz .LBB208_1965
; %bb.1958:
	v_dual_mov_b32 v7, 0x80 :: v_dual_lshlrev_b32 v4, 16, v6
	s_mov_b32 s2, exec_lo
	s_delay_alu instid0(VALU_DEP_1) | instskip(NEXT) | instid1(VALU_DEP_1)
	v_and_b32_e32 v3, 0x7fffffff, v4
	v_cmpx_gt_u32_e32 0x47800000, v3
	s_cbranch_execz .LBB208_1964
; %bb.1959:
	v_and_b32_e32 v2, 0xffff, v6
	v_cmp_lt_u32_e32 vcc_lo, 0x37ffffff, v3
	s_mov_b32 s3, 0
                                        ; implicit-def: $vgpr3
	s_and_saveexec_b32 s4, vcc_lo
	s_delay_alu instid0(SALU_CYCLE_1)
	s_xor_b32 s4, exec_lo, s4
	s_cbranch_execz .LBB208_2074
; %bb.1960:
	v_bfe_u32 v3, v2, 5, 1
	s_mov_b32 s3, exec_lo
	s_delay_alu instid0(VALU_DEP_1) | instskip(NEXT) | instid1(VALU_DEP_1)
	v_add3_u32 v3, v4, v3, 0x88fffff
                                        ; implicit-def: $vgpr4
	v_lshrrev_b32_e32 v3, 21, v3
	s_or_saveexec_b32 s4, s4
                                        ; implicit-def: $sgpr5
	s_delay_alu instid0(SALU_CYCLE_1)
	s_xor_b32 exec_lo, exec_lo, s4
	s_cbranch_execnz .LBB208_2075
.LBB208_1961:
	s_or_b32 exec_lo, exec_lo, s4
	v_mov_b32_e32 v7, s5
	s_and_saveexec_b32 s4, s3
.LBB208_1962:
	v_lshrrev_b32_e32 v2, 8, v2
	s_delay_alu instid0(VALU_DEP_1)
	v_and_or_b32 v7, 0x80, v2, v3
.LBB208_1963:
	s_or_b32 exec_lo, exec_lo, s4
.LBB208_1964:
	s_delay_alu instid0(SALU_CYCLE_1)
	s_or_b32 exec_lo, exec_lo, s2
	s_mov_b32 s2, 0
	global_store_b8 v[0:1], v7, off
.LBB208_1965:
	s_and_b32 vcc_lo, exec_lo, s2
	s_cbranch_vccz .LBB208_1975
; %bb.1966:
	v_lshlrev_b32_e32 v4, 16, v6
	v_and_b32_e32 v2, 0xffff, v6
	s_mov_b32 s2, exec_lo
                                        ; implicit-def: $vgpr3
	s_delay_alu instid0(VALU_DEP_2) | instskip(NEXT) | instid1(VALU_DEP_1)
	v_and_b32_e32 v7, 0x7fffffff, v4
	v_cmpx_gt_u32_e32 0x43f00000, v7
	s_xor_b32 s2, exec_lo, s2
	s_cbranch_execz .LBB208_1972
; %bb.1967:
	s_mov_b32 s3, exec_lo
                                        ; implicit-def: $vgpr3
	v_cmpx_lt_u32_e32 0x3c7fffff, v7
	s_xor_b32 s3, exec_lo, s3
; %bb.1968:
	v_bfe_u32 v3, v2, 4, 1
	s_delay_alu instid0(VALU_DEP_1) | instskip(NEXT) | instid1(VALU_DEP_1)
	v_add3_u32 v3, v4, v3, 0x407ffff
	v_and_b32_e32 v4, 0xff00000, v3
	v_lshrrev_b32_e32 v3, 20, v3
	s_delay_alu instid0(VALU_DEP_2) | instskip(NEXT) | instid1(VALU_DEP_2)
	v_cmp_ne_u32_e32 vcc_lo, 0x7f00000, v4
                                        ; implicit-def: $vgpr4
	v_cndmask_b32_e32 v3, 0x7e, v3, vcc_lo
; %bb.1969:
	s_and_not1_saveexec_b32 s3, s3
; %bb.1970:
	v_add_f32_e64 v3, 0x46800000, |v4|
; %bb.1971:
	s_or_b32 exec_lo, exec_lo, s3
                                        ; implicit-def: $vgpr7
.LBB208_1972:
	s_and_not1_saveexec_b32 s2, s2
; %bb.1973:
	v_mov_b32_e32 v3, 0x7f
	v_cmp_lt_u32_e32 vcc_lo, 0x7f800000, v7
	s_delay_alu instid0(VALU_DEP_2)
	v_cndmask_b32_e32 v3, 0x7e, v3, vcc_lo
; %bb.1974:
	s_or_b32 exec_lo, exec_lo, s2
	v_lshrrev_b32_e32 v2, 8, v2
	s_delay_alu instid0(VALU_DEP_1)
	v_and_or_b32 v2, 0x80, v2, v3
	global_store_b8 v[0:1], v2, off
.LBB208_1975:
	s_mov_b32 s2, 0
.LBB208_1976:
	s_delay_alu instid0(SALU_CYCLE_1)
	s_and_not1_b32 vcc_lo, exec_lo, s2
	s_cbranch_vccnz .LBB208_1986
; %bb.1977:
	v_lshlrev_b32_e32 v4, 16, v6
	v_and_b32_e32 v2, 0xffff, v6
	s_mov_b32 s2, exec_lo
                                        ; implicit-def: $vgpr3
	s_delay_alu instid0(VALU_DEP_2) | instskip(NEXT) | instid1(VALU_DEP_1)
	v_and_b32_e32 v7, 0x7fffffff, v4
	v_cmpx_gt_u32_e32 0x47800000, v7
	s_xor_b32 s2, exec_lo, s2
	s_cbranch_execz .LBB208_1983
; %bb.1978:
	s_mov_b32 s3, exec_lo
                                        ; implicit-def: $vgpr3
	v_cmpx_lt_u32_e32 0x387fffff, v7
	s_xor_b32 s3, exec_lo, s3
; %bb.1979:
	v_bfe_u32 v3, v2, 5, 1
	s_delay_alu instid0(VALU_DEP_1) | instskip(NEXT) | instid1(VALU_DEP_1)
	v_add3_u32 v3, v4, v3, 0x80fffff
                                        ; implicit-def: $vgpr4
	v_lshrrev_b32_e32 v3, 21, v3
; %bb.1980:
	s_and_not1_saveexec_b32 s3, s3
; %bb.1981:
	v_add_f32_e64 v3, 0x43000000, |v4|
; %bb.1982:
	s_or_b32 exec_lo, exec_lo, s3
                                        ; implicit-def: $vgpr7
.LBB208_1983:
	s_and_not1_saveexec_b32 s2, s2
; %bb.1984:
	v_mov_b32_e32 v3, 0x7f
	v_cmp_lt_u32_e32 vcc_lo, 0x7f800000, v7
	s_delay_alu instid0(VALU_DEP_2)
	v_cndmask_b32_e32 v3, 0x7c, v3, vcc_lo
; %bb.1985:
	s_or_b32 exec_lo, exec_lo, s2
	v_lshrrev_b32_e32 v2, 8, v2
	s_delay_alu instid0(VALU_DEP_1)
	v_and_or_b32 v2, 0x80, v2, v3
	global_store_b8 v[0:1], v2, off
.LBB208_1986:
	s_mov_b32 s2, 0
.LBB208_1987:
	s_delay_alu instid0(SALU_CYCLE_1)
	s_and_not1_b32 vcc_lo, exec_lo, s2
	s_mov_b32 s2, 0
	s_cbranch_vccnz .LBB208_1994
; %bb.1988:
	v_cmp_lt_i16_e32 vcc_lo, 14, v5
	s_mov_b32 s2, -1
	s_cbranch_vccz .LBB208_1992
; %bb.1989:
	v_cmp_eq_u16_e32 vcc_lo, 15, v5
	s_mov_b32 s0, -1
	s_cbranch_vccz .LBB208_1991
; %bb.1990:
	s_mov_b32 s0, 0
	global_store_b16 v[0:1], v6, off
.LBB208_1991:
	s_mov_b32 s2, 0
.LBB208_1992:
	s_delay_alu instid0(SALU_CYCLE_1)
	s_and_b32 vcc_lo, exec_lo, s2
	s_mov_b32 s2, 0
	s_cbranch_vccz .LBB208_1994
; %bb.1993:
	v_cmp_ne_u16_e64 s0, 11, v5
	s_mov_b32 s2, -1
.LBB208_1994:
	s_delay_alu instid0(VALU_DEP_1)
	s_and_b32 vcc_lo, exec_lo, s0
	s_cbranch_vccnz .LBB208_2072
.LBB208_1995:
	s_mov_b32 s0, 0
	s_branch .LBB208_1997
.LBB208_1996:
	s_mov_b32 s0, 0
	s_mov_b32 s2, 0
                                        ; implicit-def: $vgpr5
                                        ; implicit-def: $vgpr0_vgpr1
                                        ; implicit-def: $vgpr6
.LBB208_1997:
	s_and_not1_b32 s3, s9, exec_lo
	s_and_b32 s4, s1, exec_lo
	s_and_b32 s0, s0, exec_lo
	;; [unrolled: 1-line block ×3, first 2 shown]
	s_or_b32 s9, s3, s4
.LBB208_1998:
	s_or_b32 exec_lo, exec_lo, s8
	s_and_saveexec_b32 s2, s9
	s_cbranch_execz .LBB208_2001
; %bb.1999:
	; divergent unreachable
	s_or_b32 exec_lo, exec_lo, s2
	s_and_saveexec_b32 s2, s1
	s_delay_alu instid0(SALU_CYCLE_1)
	s_xor_b32 s1, exec_lo, s2
	s_cbranch_execnz .LBB208_2002
.LBB208_2000:
	s_or_b32 exec_lo, exec_lo, s1
	s_and_saveexec_b32 s1, s0
	s_cbranch_execnz .LBB208_2003
	s_branch .LBB208_2040
.LBB208_2001:
	s_or_b32 exec_lo, exec_lo, s2
	s_and_saveexec_b32 s2, s1
	s_delay_alu instid0(SALU_CYCLE_1)
	s_xor_b32 s1, exec_lo, s2
	s_cbranch_execz .LBB208_2000
.LBB208_2002:
	s_waitcnt vmcnt(0)
	v_and_b32_e32 v2, 0x7fff, v6
	s_delay_alu instid0(VALU_DEP_1)
	v_cmp_ne_u16_e32 vcc_lo, 0, v2
	v_cndmask_b32_e64 v2, 0, 1, vcc_lo
	global_store_b8 v[0:1], v2, off
	s_or_b32 exec_lo, exec_lo, s1
	s_and_saveexec_b32 s1, s0
	s_cbranch_execz .LBB208_2040
.LBB208_2003:
	s_waitcnt vmcnt(0)
	v_cmp_gt_i16_e32 vcc_lo, 5, v5
	s_mov_b32 s0, -1
	s_cbranch_vccnz .LBB208_2024
; %bb.2004:
	v_cmp_gt_i16_e32 vcc_lo, 8, v5
	s_cbranch_vccnz .LBB208_2014
; %bb.2005:
	v_cmp_gt_i16_e32 vcc_lo, 9, v5
	s_cbranch_vccnz .LBB208_2011
; %bb.2006:
	v_cmp_lt_i16_e32 vcc_lo, 9, v5
	s_cbranch_vccz .LBB208_2008
; %bb.2007:
	v_dual_mov_b32 v9, 0 :: v_dual_lshlrev_b32 v2, 16, v6
	s_mov_b32 s0, 0
	s_delay_alu instid0(VALU_DEP_1) | instskip(NEXT) | instid1(VALU_DEP_2)
	v_cvt_f64_f32_e32 v[7:8], v2
	v_mov_b32_e32 v10, v9
	global_store_b128 v[0:1], v[7:10], off
.LBB208_2008:
	s_and_not1_b32 vcc_lo, exec_lo, s0
	s_cbranch_vccnz .LBB208_2010
; %bb.2009:
	v_dual_mov_b32 v3, 0 :: v_dual_lshlrev_b32 v2, 16, v6
	global_store_b64 v[0:1], v[2:3], off
.LBB208_2010:
	s_mov_b32 s0, 0
.LBB208_2011:
	s_delay_alu instid0(SALU_CYCLE_1)
	s_and_not1_b32 vcc_lo, exec_lo, s0
	s_cbranch_vccnz .LBB208_2013
; %bb.2012:
	v_lshlrev_b32_e32 v2, 16, v6
	s_delay_alu instid0(VALU_DEP_1) | instskip(NEXT) | instid1(VALU_DEP_1)
	v_cvt_f16_f32_e32 v2, v2
	v_and_b32_e32 v2, 0xffff, v2
	global_store_b32 v[0:1], v2, off
.LBB208_2013:
	s_mov_b32 s0, 0
.LBB208_2014:
	s_delay_alu instid0(SALU_CYCLE_1)
	s_and_not1_b32 vcc_lo, exec_lo, s0
	s_cbranch_vccnz .LBB208_2023
; %bb.2015:
	v_cmp_gt_i16_e32 vcc_lo, 6, v5
	s_mov_b32 s0, -1
	s_cbranch_vccnz .LBB208_2021
; %bb.2016:
	v_cmp_lt_i16_e32 vcc_lo, 6, v5
	s_cbranch_vccz .LBB208_2018
; %bb.2017:
	v_lshlrev_b32_e32 v2, 16, v6
	s_mov_b32 s0, 0
	s_delay_alu instid0(VALU_DEP_1)
	v_cvt_f64_f32_e32 v[2:3], v2
	global_store_b64 v[0:1], v[2:3], off
.LBB208_2018:
	s_and_not1_b32 vcc_lo, exec_lo, s0
	s_cbranch_vccnz .LBB208_2020
; %bb.2019:
	v_lshlrev_b32_e32 v2, 16, v6
	global_store_b32 v[0:1], v2, off
.LBB208_2020:
	s_mov_b32 s0, 0
.LBB208_2021:
	s_delay_alu instid0(SALU_CYCLE_1)
	s_and_not1_b32 vcc_lo, exec_lo, s0
	s_cbranch_vccnz .LBB208_2023
; %bb.2022:
	v_lshlrev_b32_e32 v2, 16, v6
	s_delay_alu instid0(VALU_DEP_1)
	v_cvt_f16_f32_e32 v2, v2
	global_store_b16 v[0:1], v2, off
.LBB208_2023:
	s_mov_b32 s0, 0
.LBB208_2024:
	s_delay_alu instid0(SALU_CYCLE_1)
	s_and_not1_b32 vcc_lo, exec_lo, s0
	s_cbranch_vccnz .LBB208_2040
; %bb.2025:
	v_cmp_gt_i16_e32 vcc_lo, 2, v5
	s_mov_b32 s0, -1
	s_cbranch_vccnz .LBB208_2035
; %bb.2026:
	v_cmp_gt_i16_e32 vcc_lo, 3, v5
	s_cbranch_vccnz .LBB208_2032
; %bb.2027:
	v_cmp_lt_i16_e32 vcc_lo, 3, v5
	s_cbranch_vccz .LBB208_2029
; %bb.2028:
	v_lshlrev_b32_e32 v2, 16, v6
	s_mov_b32 s0, 0
	s_delay_alu instid0(VALU_DEP_1) | instskip(NEXT) | instid1(VALU_DEP_1)
	v_trunc_f32_e32 v2, v2
	v_mul_f32_e64 v3, 0x2f800000, |v2|
	v_ashrrev_i32_e32 v7, 31, v2
	s_delay_alu instid0(VALU_DEP_2) | instskip(NEXT) | instid1(VALU_DEP_1)
	v_floor_f32_e32 v3, v3
	v_fma_f32 v4, 0xcf800000, v3, |v2|
	v_cvt_u32_f32_e32 v3, v3
	s_delay_alu instid0(VALU_DEP_2) | instskip(NEXT) | instid1(VALU_DEP_2)
	v_cvt_u32_f32_e32 v2, v4
	v_xor_b32_e32 v3, v3, v7
	s_delay_alu instid0(VALU_DEP_2) | instskip(NEXT) | instid1(VALU_DEP_1)
	v_xor_b32_e32 v2, v2, v7
	v_sub_co_u32 v2, vcc_lo, v2, v7
	s_delay_alu instid0(VALU_DEP_3)
	v_sub_co_ci_u32_e32 v3, vcc_lo, v3, v7, vcc_lo
	global_store_b64 v[0:1], v[2:3], off
.LBB208_2029:
	s_and_not1_b32 vcc_lo, exec_lo, s0
	s_cbranch_vccnz .LBB208_2031
; %bb.2030:
	v_lshlrev_b32_e32 v2, 16, v6
	s_delay_alu instid0(VALU_DEP_1)
	v_cvt_i32_f32_e32 v2, v2
	global_store_b32 v[0:1], v2, off
.LBB208_2031:
	s_mov_b32 s0, 0
.LBB208_2032:
	s_delay_alu instid0(SALU_CYCLE_1)
	s_and_not1_b32 vcc_lo, exec_lo, s0
	s_cbranch_vccnz .LBB208_2034
; %bb.2033:
	v_lshlrev_b32_e32 v2, 16, v6
	s_delay_alu instid0(VALU_DEP_1)
	v_cvt_i32_f32_e32 v2, v2
	global_store_b16 v[0:1], v2, off
.LBB208_2034:
	s_mov_b32 s0, 0
.LBB208_2035:
	s_delay_alu instid0(SALU_CYCLE_1)
	s_and_not1_b32 vcc_lo, exec_lo, s0
	s_cbranch_vccnz .LBB208_2040
; %bb.2036:
	v_cmp_lt_i16_e32 vcc_lo, 0, v5
	v_lshlrev_b32_e32 v2, 16, v6
	s_mov_b32 s0, -1
	s_cbranch_vccz .LBB208_2038
; %bb.2037:
	s_delay_alu instid0(VALU_DEP_1)
	v_cvt_i32_f32_e32 v3, v2
	s_mov_b32 s0, 0
	global_store_b8 v[0:1], v3, off
.LBB208_2038:
	s_and_not1_b32 vcc_lo, exec_lo, s0
	s_cbranch_vccnz .LBB208_2040
; %bb.2039:
	v_trunc_f32_e32 v2, v2
	s_delay_alu instid0(VALU_DEP_1) | instskip(NEXT) | instid1(VALU_DEP_1)
	v_mul_f32_e64 v3, 0x2f800000, |v2|
	v_floor_f32_e32 v3, v3
	s_delay_alu instid0(VALU_DEP_1) | instskip(SKIP_1) | instid1(VALU_DEP_2)
	v_fma_f32 v3, 0xcf800000, v3, |v2|
	v_ashrrev_i32_e32 v2, 31, v2
	v_cvt_u32_f32_e32 v3, v3
	s_delay_alu instid0(VALU_DEP_1) | instskip(NEXT) | instid1(VALU_DEP_1)
	v_xor_b32_e32 v3, v3, v2
	v_sub_nc_u32_e32 v2, v3, v2
	global_store_b8 v[0:1], v2, off
	s_nop 0
	s_sendmsg sendmsg(MSG_DEALLOC_VGPRS)
	s_endpgm
.LBB208_2040:
	s_nop 0
	s_sendmsg sendmsg(MSG_DEALLOC_VGPRS)
	s_endpgm
.LBB208_2041:
	s_mov_b32 s2, 0
	s_mov_b32 s0, -1
	s_branch .LBB208_1997
.LBB208_2042:
	s_cbranch_execnz .LBB208_2046
; %bb.2043:
	s_or_b32 s1, s1, exec_lo
                                        ; implicit-def: $vgpr8
	s_cbranch_execz .LBB208_1511
	s_branch .LBB208_1512
.LBB208_2044:
	s_or_saveexec_b32 s10, s10
                                        ; implicit-def: $sgpr11
	s_delay_alu instid0(SALU_CYCLE_1)
	s_xor_b32 exec_lo, exec_lo, s10
	s_cbranch_execz .LBB208_1591
.LBB208_2045:
	v_add_f32_e64 v9, 0x46000000, |v10|
	s_and_not1_b32 s7, s7, exec_lo
	s_mov_b32 s11, 0
	s_delay_alu instid0(VALU_DEP_1) | instskip(NEXT) | instid1(VALU_DEP_1)
	v_and_b32_e32 v9, 0xff, v9
	v_cmp_ne_u32_e32 vcc_lo, 0, v9
	s_and_b32 s12, vcc_lo, exec_lo
	s_delay_alu instid0(SALU_CYCLE_1)
	s_or_b32 s7, s7, s12
	s_or_b32 exec_lo, exec_lo, s10
	v_mov_b32_e32 v11, s11
	s_and_saveexec_b32 s10, s7
	s_cbranch_execnz .LBB208_1592
	s_branch .LBB208_1593
.LBB208_2046:
	s_trap 2
	s_sendmsg_rtn_b32 s0, sendmsg(MSG_RTN_GET_DOORBELL)
	s_mov_b32 ttmp2, m0
	s_waitcnt lgkmcnt(0)
	s_and_b32 s0, s0, 0x3ff
	s_delay_alu instid0(SALU_CYCLE_1) | instskip(NEXT) | instid1(SALU_CYCLE_1)
	s_bitset1_b32 s0, 10
	s_mov_b32 m0, s0
	s_sendmsg sendmsg(MSG_INTERRUPT)
	s_mov_b32 m0, ttmp2
.LBB208_2047:                           ; =>This Inner Loop Header: Depth=1
	s_sethalt 5
	s_branch .LBB208_2047
.LBB208_2048:
	s_cbranch_execnz .LBB208_2054
; %bb.2049:
	s_or_b32 s1, s1, exec_lo
	s_cbranch_execz .LBB208_1639
	s_branch .LBB208_1640
.LBB208_2050:
	s_or_saveexec_b32 s7, s7
                                        ; implicit-def: $sgpr10
	s_delay_alu instid0(SALU_CYCLE_1)
	s_xor_b32 exec_lo, exec_lo, s7
	s_cbranch_execz .LBB208_1604
.LBB208_2051:
	v_add_f32_e64 v9, 0x42800000, |v10|
	s_and_not1_b32 s6, s6, exec_lo
	s_mov_b32 s10, 0
	s_delay_alu instid0(VALU_DEP_1) | instskip(NEXT) | instid1(VALU_DEP_1)
	v_and_b32_e32 v9, 0xff, v9
	v_cmp_ne_u32_e32 vcc_lo, 0, v9
	s_and_b32 s11, vcc_lo, exec_lo
	s_delay_alu instid0(SALU_CYCLE_1)
	s_or_b32 s6, s6, s11
	s_or_b32 exec_lo, exec_lo, s7
	v_mov_b32_e32 v11, s10
	s_and_saveexec_b32 s7, s6
	s_cbranch_execnz .LBB208_1605
	s_branch .LBB208_1606
.LBB208_2052:
	s_or_saveexec_b32 s10, s10
                                        ; implicit-def: $sgpr11
	s_delay_alu instid0(SALU_CYCLE_1)
	s_xor_b32 exec_lo, exec_lo, s10
	s_cbranch_execz .LBB208_1710
.LBB208_2053:
	v_add_f32_e64 v6, 0x46000000, |v9|
	s_and_not1_b32 s7, s7, exec_lo
	s_mov_b32 s11, 0
	s_delay_alu instid0(VALU_DEP_1) | instskip(NEXT) | instid1(VALU_DEP_1)
	v_and_b32_e32 v6, 0xff, v6
	v_cmp_ne_u32_e32 vcc_lo, 0, v6
	s_and_b32 s12, vcc_lo, exec_lo
	s_delay_alu instid0(SALU_CYCLE_1)
	s_or_b32 s7, s7, s12
	s_or_b32 exec_lo, exec_lo, s10
	v_mov_b32_e32 v10, s11
	s_and_saveexec_b32 s10, s7
	s_cbranch_execnz .LBB208_1711
	s_branch .LBB208_1712
.LBB208_2054:
	s_trap 2
	s_sendmsg_rtn_b32 s0, sendmsg(MSG_RTN_GET_DOORBELL)
	s_mov_b32 ttmp2, m0
	s_waitcnt lgkmcnt(0)
	s_and_b32 s0, s0, 0x3ff
	s_delay_alu instid0(SALU_CYCLE_1) | instskip(NEXT) | instid1(SALU_CYCLE_1)
	s_bitset1_b32 s0, 10
	s_mov_b32 m0, s0
	s_sendmsg sendmsg(MSG_INTERRUPT)
	s_mov_b32 m0, ttmp2
.LBB208_2055:                           ; =>This Inner Loop Header: Depth=1
	s_sethalt 5
	s_branch .LBB208_2055
.LBB208_2056:
	s_cbranch_execnz .LBB208_2062
; %bb.2057:
	s_or_b32 s1, s1, exec_lo
	s_cbranch_execz .LBB208_1758
	s_branch .LBB208_1759
.LBB208_2058:
	s_or_saveexec_b32 s7, s7
                                        ; implicit-def: $sgpr10
	s_delay_alu instid0(SALU_CYCLE_1)
	s_xor_b32 exec_lo, exec_lo, s7
	s_cbranch_execz .LBB208_1723
.LBB208_2059:
	v_add_f32_e64 v6, 0x42800000, |v9|
	s_and_not1_b32 s6, s6, exec_lo
	s_mov_b32 s10, 0
	s_delay_alu instid0(VALU_DEP_1) | instskip(NEXT) | instid1(VALU_DEP_1)
	v_and_b32_e32 v6, 0xff, v6
	v_cmp_ne_u32_e32 vcc_lo, 0, v6
	s_and_b32 s11, vcc_lo, exec_lo
	s_delay_alu instid0(SALU_CYCLE_1)
	s_or_b32 s6, s6, s11
	s_or_b32 exec_lo, exec_lo, s7
	v_mov_b32_e32 v10, s10
	s_and_saveexec_b32 s7, s6
	s_cbranch_execnz .LBB208_1724
	s_branch .LBB208_1725
.LBB208_2060:
	s_or_saveexec_b32 s10, s10
                                        ; implicit-def: $sgpr11
	s_delay_alu instid0(SALU_CYCLE_1)
	s_xor_b32 exec_lo, exec_lo, s10
	s_cbranch_execz .LBB208_1829
.LBB208_2061:
	v_add_f32_e64 v6, 0x46000000, |v7|
	s_and_not1_b32 s7, s7, exec_lo
	s_mov_b32 s11, 0
	s_delay_alu instid0(VALU_DEP_1) | instskip(NEXT) | instid1(VALU_DEP_1)
	v_and_b32_e32 v6, 0xff, v6
	v_cmp_ne_u32_e32 vcc_lo, 0, v6
	s_and_b32 s12, vcc_lo, exec_lo
	s_delay_alu instid0(SALU_CYCLE_1)
	s_or_b32 s7, s7, s12
	s_or_b32 exec_lo, exec_lo, s10
	v_mov_b32_e32 v9, s11
	s_and_saveexec_b32 s10, s7
	s_cbranch_execnz .LBB208_1830
	s_branch .LBB208_1831
.LBB208_2062:
	s_trap 2
	s_sendmsg_rtn_b32 s0, sendmsg(MSG_RTN_GET_DOORBELL)
	s_mov_b32 ttmp2, m0
	s_waitcnt lgkmcnt(0)
	s_and_b32 s0, s0, 0x3ff
	s_delay_alu instid0(SALU_CYCLE_1) | instskip(NEXT) | instid1(SALU_CYCLE_1)
	s_bitset1_b32 s0, 10
	s_mov_b32 m0, s0
	s_sendmsg sendmsg(MSG_INTERRUPT)
	s_mov_b32 m0, ttmp2
.LBB208_2063:                           ; =>This Inner Loop Header: Depth=1
	s_sethalt 5
	s_branch .LBB208_2063
.LBB208_2064:
	s_cbranch_execnz .LBB208_2070
; %bb.2065:
	s_or_b32 s1, s1, exec_lo
	s_cbranch_execz .LBB208_1877
	s_branch .LBB208_1878
.LBB208_2066:
	s_or_saveexec_b32 s7, s7
                                        ; implicit-def: $sgpr10
	s_delay_alu instid0(SALU_CYCLE_1)
	s_xor_b32 exec_lo, exec_lo, s7
	s_cbranch_execz .LBB208_1842
.LBB208_2067:
	v_add_f32_e64 v6, 0x42800000, |v7|
	s_and_not1_b32 s6, s6, exec_lo
	s_mov_b32 s10, 0
	s_delay_alu instid0(VALU_DEP_1) | instskip(NEXT) | instid1(VALU_DEP_1)
	v_and_b32_e32 v6, 0xff, v6
	v_cmp_ne_u32_e32 vcc_lo, 0, v6
	s_and_b32 s11, vcc_lo, exec_lo
	s_delay_alu instid0(SALU_CYCLE_1)
	s_or_b32 s6, s6, s11
	s_or_b32 exec_lo, exec_lo, s7
	v_mov_b32_e32 v9, s10
	s_and_saveexec_b32 s7, s6
	s_cbranch_execnz .LBB208_1843
	s_branch .LBB208_1844
.LBB208_2068:
	s_or_saveexec_b32 s5, s5
                                        ; implicit-def: $sgpr6
	s_delay_alu instid0(SALU_CYCLE_1)
	s_xor_b32 exec_lo, exec_lo, s5
	s_cbranch_execz .LBB208_1949
.LBB208_2069:
	v_add_f32_e64 v3, 0x46000000, |v4|
	s_and_not1_b32 s4, s4, exec_lo
	s_mov_b32 s6, 0
	s_delay_alu instid0(VALU_DEP_1) | instskip(NEXT) | instid1(VALU_DEP_1)
	v_and_b32_e32 v3, 0xff, v3
	v_cmp_ne_u32_e32 vcc_lo, 0, v3
	s_and_b32 s7, vcc_lo, exec_lo
	s_delay_alu instid0(SALU_CYCLE_1)
	s_or_b32 s4, s4, s7
	s_or_b32 exec_lo, exec_lo, s5
	v_mov_b32_e32 v7, s6
	s_and_saveexec_b32 s5, s4
	s_cbranch_execnz .LBB208_1950
	s_branch .LBB208_1951
.LBB208_2070:
	s_trap 2
	s_sendmsg_rtn_b32 s0, sendmsg(MSG_RTN_GET_DOORBELL)
	s_mov_b32 ttmp2, m0
	s_waitcnt lgkmcnt(0)
	s_and_b32 s0, s0, 0x3ff
	s_delay_alu instid0(SALU_CYCLE_1) | instskip(NEXT) | instid1(SALU_CYCLE_1)
	s_bitset1_b32 s0, 10
	s_mov_b32 m0, s0
	s_sendmsg sendmsg(MSG_INTERRUPT)
	s_mov_b32 m0, ttmp2
.LBB208_2071:                           ; =>This Inner Loop Header: Depth=1
	s_sethalt 5
	s_branch .LBB208_2071
.LBB208_2072:
	s_cbranch_execnz .LBB208_2076
; %bb.2073:
	s_mov_b32 s2, 0
	s_or_b32 s1, s1, exec_lo
	s_branch .LBB208_1995
.LBB208_2074:
	s_or_saveexec_b32 s4, s4
                                        ; implicit-def: $sgpr5
	s_delay_alu instid0(SALU_CYCLE_1)
	s_xor_b32 exec_lo, exec_lo, s4
	s_cbranch_execz .LBB208_1961
.LBB208_2075:
	v_add_f32_e64 v3, 0x42800000, |v4|
	s_and_not1_b32 s3, s3, exec_lo
	s_mov_b32 s5, 0
	s_delay_alu instid0(VALU_DEP_1) | instskip(NEXT) | instid1(VALU_DEP_1)
	v_and_b32_e32 v3, 0xff, v3
	v_cmp_ne_u32_e32 vcc_lo, 0, v3
	s_and_b32 s6, vcc_lo, exec_lo
	s_delay_alu instid0(SALU_CYCLE_1)
	s_or_b32 s3, s3, s6
	s_or_b32 exec_lo, exec_lo, s4
	v_mov_b32_e32 v7, s5
	s_and_saveexec_b32 s4, s3
	s_cbranch_execnz .LBB208_1962
	s_branch .LBB208_1963
.LBB208_2076:
	s_trap 2
	s_sendmsg_rtn_b32 s0, sendmsg(MSG_RTN_GET_DOORBELL)
	s_mov_b32 ttmp2, m0
	s_waitcnt lgkmcnt(0)
	s_and_b32 s0, s0, 0x3ff
	s_delay_alu instid0(SALU_CYCLE_1) | instskip(NEXT) | instid1(SALU_CYCLE_1)
	s_bitset1_b32 s0, 10
	s_mov_b32 m0, s0
	s_sendmsg sendmsg(MSG_INTERRUPT)
	s_mov_b32 m0, ttmp2
.LBB208_2077:                           ; =>This Inner Loop Header: Depth=1
	s_sethalt 5
	s_branch .LBB208_2077
	.section	.rodata,"a",@progbits
	.p2align	6, 0x0
	.amdhsa_kernel _ZN2at6native32elementwise_kernel_manual_unrollILi128ELi4EZNS0_15gpu_kernel_implIZZZNS0_17rsqrt_kernel_cudaERNS_18TensorIteratorBaseEENKUlvE0_clEvENKUlvE1_clEvEUlN3c108BFloat16EE_EEvS4_RKT_EUlibE_EEviT1_
		.amdhsa_group_segment_fixed_size 0
		.amdhsa_private_segment_fixed_size 0
		.amdhsa_kernarg_size 40
		.amdhsa_user_sgpr_count 15
		.amdhsa_user_sgpr_dispatch_ptr 0
		.amdhsa_user_sgpr_queue_ptr 0
		.amdhsa_user_sgpr_kernarg_segment_ptr 1
		.amdhsa_user_sgpr_dispatch_id 0
		.amdhsa_user_sgpr_private_segment_size 0
		.amdhsa_wavefront_size32 1
		.amdhsa_uses_dynamic_stack 0
		.amdhsa_enable_private_segment 0
		.amdhsa_system_sgpr_workgroup_id_x 1
		.amdhsa_system_sgpr_workgroup_id_y 0
		.amdhsa_system_sgpr_workgroup_id_z 0
		.amdhsa_system_sgpr_workgroup_info 0
		.amdhsa_system_vgpr_workitem_id 0
		.amdhsa_next_free_vgpr 13
		.amdhsa_next_free_sgpr 24
		.amdhsa_reserve_vcc 1
		.amdhsa_float_round_mode_32 0
		.amdhsa_float_round_mode_16_64 0
		.amdhsa_float_denorm_mode_32 3
		.amdhsa_float_denorm_mode_16_64 3
		.amdhsa_dx10_clamp 1
		.amdhsa_ieee_mode 1
		.amdhsa_fp16_overflow 0
		.amdhsa_workgroup_processor_mode 1
		.amdhsa_memory_ordered 1
		.amdhsa_forward_progress 0
		.amdhsa_shared_vgpr_count 0
		.amdhsa_exception_fp_ieee_invalid_op 0
		.amdhsa_exception_fp_denorm_src 0
		.amdhsa_exception_fp_ieee_div_zero 0
		.amdhsa_exception_fp_ieee_overflow 0
		.amdhsa_exception_fp_ieee_underflow 0
		.amdhsa_exception_fp_ieee_inexact 0
		.amdhsa_exception_int_div_zero 0
	.end_amdhsa_kernel
	.section	.text._ZN2at6native32elementwise_kernel_manual_unrollILi128ELi4EZNS0_15gpu_kernel_implIZZZNS0_17rsqrt_kernel_cudaERNS_18TensorIteratorBaseEENKUlvE0_clEvENKUlvE1_clEvEUlN3c108BFloat16EE_EEvS4_RKT_EUlibE_EEviT1_,"axG",@progbits,_ZN2at6native32elementwise_kernel_manual_unrollILi128ELi4EZNS0_15gpu_kernel_implIZZZNS0_17rsqrt_kernel_cudaERNS_18TensorIteratorBaseEENKUlvE0_clEvENKUlvE1_clEvEUlN3c108BFloat16EE_EEvS4_RKT_EUlibE_EEviT1_,comdat
.Lfunc_end208:
	.size	_ZN2at6native32elementwise_kernel_manual_unrollILi128ELi4EZNS0_15gpu_kernel_implIZZZNS0_17rsqrt_kernel_cudaERNS_18TensorIteratorBaseEENKUlvE0_clEvENKUlvE1_clEvEUlN3c108BFloat16EE_EEvS4_RKT_EUlibE_EEviT1_, .Lfunc_end208-_ZN2at6native32elementwise_kernel_manual_unrollILi128ELi4EZNS0_15gpu_kernel_implIZZZNS0_17rsqrt_kernel_cudaERNS_18TensorIteratorBaseEENKUlvE0_clEvENKUlvE1_clEvEUlN3c108BFloat16EE_EEvS4_RKT_EUlibE_EEviT1_
                                        ; -- End function
	.section	.AMDGPU.csdata,"",@progbits
; Kernel info:
; codeLenInByte = 43068
; NumSgprs: 26
; NumVgprs: 13
; ScratchSize: 0
; MemoryBound: 0
; FloatMode: 240
; IeeeMode: 1
; LDSByteSize: 0 bytes/workgroup (compile time only)
; SGPRBlocks: 3
; VGPRBlocks: 1
; NumSGPRsForWavesPerEU: 26
; NumVGPRsForWavesPerEU: 13
; Occupancy: 16
; WaveLimiterHint : 0
; COMPUTE_PGM_RSRC2:SCRATCH_EN: 0
; COMPUTE_PGM_RSRC2:USER_SGPR: 15
; COMPUTE_PGM_RSRC2:TRAP_HANDLER: 0
; COMPUTE_PGM_RSRC2:TGID_X_EN: 1
; COMPUTE_PGM_RSRC2:TGID_Y_EN: 0
; COMPUTE_PGM_RSRC2:TGID_Z_EN: 0
; COMPUTE_PGM_RSRC2:TIDIG_COMP_CNT: 0
	.section	.text._ZN2at6native32elementwise_kernel_manual_unrollILi128ELi4EZNS0_15gpu_kernel_implIZZZNS0_17rsqrt_kernel_cudaERNS_18TensorIteratorBaseEENKUlvE0_clEvENKUlvE1_clEvEUlN3c108BFloat16EE_EEvS4_RKT_EUlibE0_EEviT1_,"axG",@progbits,_ZN2at6native32elementwise_kernel_manual_unrollILi128ELi4EZNS0_15gpu_kernel_implIZZZNS0_17rsqrt_kernel_cudaERNS_18TensorIteratorBaseEENKUlvE0_clEvENKUlvE1_clEvEUlN3c108BFloat16EE_EEvS4_RKT_EUlibE0_EEviT1_,comdat
	.globl	_ZN2at6native32elementwise_kernel_manual_unrollILi128ELi4EZNS0_15gpu_kernel_implIZZZNS0_17rsqrt_kernel_cudaERNS_18TensorIteratorBaseEENKUlvE0_clEvENKUlvE1_clEvEUlN3c108BFloat16EE_EEvS4_RKT_EUlibE0_EEviT1_ ; -- Begin function _ZN2at6native32elementwise_kernel_manual_unrollILi128ELi4EZNS0_15gpu_kernel_implIZZZNS0_17rsqrt_kernel_cudaERNS_18TensorIteratorBaseEENKUlvE0_clEvENKUlvE1_clEvEUlN3c108BFloat16EE_EEvS4_RKT_EUlibE0_EEviT1_
	.p2align	8
	.type	_ZN2at6native32elementwise_kernel_manual_unrollILi128ELi4EZNS0_15gpu_kernel_implIZZZNS0_17rsqrt_kernel_cudaERNS_18TensorIteratorBaseEENKUlvE0_clEvENKUlvE1_clEvEUlN3c108BFloat16EE_EEvS4_RKT_EUlibE0_EEviT1_,@function
_ZN2at6native32elementwise_kernel_manual_unrollILi128ELi4EZNS0_15gpu_kernel_implIZZZNS0_17rsqrt_kernel_cudaERNS_18TensorIteratorBaseEENKUlvE0_clEvENKUlvE1_clEvEUlN3c108BFloat16EE_EEvS4_RKT_EUlibE0_EEviT1_: ; @_ZN2at6native32elementwise_kernel_manual_unrollILi128ELi4EZNS0_15gpu_kernel_implIZZZNS0_17rsqrt_kernel_cudaERNS_18TensorIteratorBaseEENKUlvE0_clEvENKUlvE1_clEvEUlN3c108BFloat16EE_EEvS4_RKT_EUlibE0_EEviT1_
; %bb.0:
	s_clause 0x1
	s_load_b32 s24, s[0:1], 0x8
	s_load_b32 s30, s[0:1], 0x0
	v_lshl_or_b32 v5, s15, 9, v0
	s_or_b32 s16, s0, 8
	s_mov_b32 s3, -1
	s_mov_b32 s26, 0
	s_mov_b32 s17, s1
	v_or_b32_e32 v8, 0x180, v5
	s_mov_b32 s8, 0
	s_mov_b32 s2, exec_lo
	s_waitcnt lgkmcnt(0)
	s_add_i32 s25, s24, -1
	s_delay_alu instid0(SALU_CYCLE_1)
	s_cmp_gt_u32 s25, 1
	s_cselect_b32 s27, -1, 0
	v_cmpx_le_i32_e64 s30, v8
	s_xor_b32 s28, exec_lo, s2
	s_cbranch_execz .LBB209_1076
; %bb.1:
	v_mov_b32_e32 v0, 0
	s_clause 0x3
	s_load_b128 s[12:15], s[16:17], 0x4
	s_load_b64 s[18:19], s[16:17], 0x14
	s_load_b128 s[8:11], s[16:17], 0xc4
	s_load_b128 s[4:7], s[16:17], 0x148
	s_cmp_lg_u32 s24, 0
	s_mov_b32 s37, 0
	s_cselect_b32 s33, -1, 0
	global_load_u16 v3, v0, s[16:17] offset:345
	s_add_u32 s20, s16, 0xc4
	s_addc_u32 s21, s17, 0
	s_min_u32 s31, s25, 15
	s_cmp_gt_u32 s24, 1
	s_mov_b32 s35, 0
	s_cselect_b32 s29, -1, 0
	s_mov_b32 s34, 0
	s_mov_b32 s36, exec_lo
	s_waitcnt vmcnt(0)
	v_lshrrev_b16 v4, 8, v3
	v_cmpx_gt_i32_e64 s30, v5
	s_cbranch_execz .LBB209_263
; %bb.2:
	s_and_not1_b32 vcc_lo, exec_lo, s27
	s_cbranch_vccnz .LBB209_7
; %bb.3:
	v_dual_mov_b32 v0, 0 :: v_dual_mov_b32 v1, 0
	s_and_not1_b32 vcc_lo, exec_lo, s33
	s_cbranch_vccnz .LBB209_12
; %bb.4:
	v_mov_b32_e32 v0, 0
	s_add_i32 s38, s31, 1
	s_cmp_eq_u32 s25, 2
	s_cbranch_scc1 .LBB209_8
; %bb.5:
	v_dual_mov_b32 v1, 0 :: v_dual_mov_b32 v0, 0
	v_mov_b32_e32 v2, v5
	s_and_b32 s35, s38, 28
	s_mov_b32 s39, 0
	s_mov_b64 s[2:3], s[20:21]
	s_mov_b64 s[22:23], s[16:17]
.LBB209_6:                              ; =>This Inner Loop Header: Depth=1
	s_clause 0x1
	s_load_b256 s[40:47], s[22:23], 0x4
	s_load_b128 s[56:59], s[22:23], 0x24
	s_load_b256 s[48:55], s[2:3], 0x0
	s_add_u32 s22, s22, 48
	s_addc_u32 s23, s23, 0
	s_add_i32 s39, s39, 4
	s_add_u32 s2, s2, 32
	s_addc_u32 s3, s3, 0
	s_cmp_lg_u32 s35, s39
	s_waitcnt lgkmcnt(0)
	v_mul_hi_u32 v6, s41, v2
	s_delay_alu instid0(VALU_DEP_1) | instskip(NEXT) | instid1(VALU_DEP_1)
	v_add_nc_u32_e32 v6, v2, v6
	v_lshrrev_b32_e32 v6, s42, v6
	s_delay_alu instid0(VALU_DEP_1) | instskip(SKIP_1) | instid1(VALU_DEP_2)
	v_mul_hi_u32 v7, s44, v6
	v_mul_lo_u32 v9, v6, s40
	v_add_nc_u32_e32 v7, v6, v7
	s_delay_alu instid0(VALU_DEP_2) | instskip(NEXT) | instid1(VALU_DEP_2)
	v_sub_nc_u32_e32 v2, v2, v9
	v_lshrrev_b32_e32 v7, s45, v7
	s_delay_alu instid0(VALU_DEP_2) | instskip(SKIP_1) | instid1(VALU_DEP_3)
	v_mul_lo_u32 v9, v2, s48
	v_mul_lo_u32 v11, v2, s49
	v_mul_hi_u32 v8, s47, v7
	s_delay_alu instid0(VALU_DEP_1) | instskip(NEXT) | instid1(VALU_DEP_1)
	v_add_nc_u32_e32 v8, v7, v8
	v_lshrrev_b32_e32 v8, s56, v8
	s_delay_alu instid0(VALU_DEP_1) | instskip(SKIP_1) | instid1(VALU_DEP_2)
	v_mul_hi_u32 v10, s58, v8
	v_mul_lo_u32 v12, v8, s46
	v_add_nc_u32_e32 v2, v8, v10
	v_mul_lo_u32 v10, v7, s43
	s_delay_alu instid0(VALU_DEP_3) | instskip(NEXT) | instid1(VALU_DEP_3)
	v_sub_nc_u32_e32 v7, v7, v12
	v_lshrrev_b32_e32 v2, s59, v2
	s_delay_alu instid0(VALU_DEP_2) | instskip(SKIP_2) | instid1(VALU_DEP_4)
	v_mul_lo_u32 v12, v7, s52
	v_mul_lo_u32 v7, v7, s53
	v_sub_nc_u32_e32 v6, v6, v10
	v_mul_lo_u32 v13, v2, s57
	s_delay_alu instid0(VALU_DEP_2) | instskip(SKIP_1) | instid1(VALU_DEP_3)
	v_mul_lo_u32 v10, v6, s50
	v_mul_lo_u32 v6, v6, s51
	v_sub_nc_u32_e32 v8, v8, v13
	s_delay_alu instid0(VALU_DEP_3) | instskip(NEXT) | instid1(VALU_DEP_2)
	v_add3_u32 v0, v9, v0, v10
	v_mul_lo_u32 v13, v8, s54
	v_mul_lo_u32 v8, v8, s55
	v_add3_u32 v1, v11, v1, v6
	s_delay_alu instid0(VALU_DEP_3) | instskip(NEXT) | instid1(VALU_DEP_2)
	v_add3_u32 v0, v12, v0, v13
	v_add3_u32 v1, v7, v1, v8
	s_cbranch_scc1 .LBB209_6
	s_branch .LBB209_9
.LBB209_7:
	s_mov_b32 s34, -1
                                        ; implicit-def: $vgpr0
                                        ; implicit-def: $vgpr1
	s_branch .LBB209_12
.LBB209_8:
	v_dual_mov_b32 v2, v5 :: v_dual_mov_b32 v1, 0
.LBB209_9:
	s_and_b32 s38, s38, 3
	s_delay_alu instid0(SALU_CYCLE_1)
	s_cmp_eq_u32 s38, 0
	s_cbranch_scc1 .LBB209_12
; %bb.10:
	s_lshl_b32 s2, s35, 3
	s_mul_i32 s22, s35, 12
	s_add_u32 s2, s2, s16
	s_addc_u32 s3, s17, 0
	s_add_u32 s2, s2, 0xc4
	s_addc_u32 s3, s3, 0
	;; [unrolled: 2-line block ×3, first 2 shown]
	.p2align	6
.LBB209_11:                             ; =>This Inner Loop Header: Depth=1
	s_clause 0x1
	s_load_b64 s[40:41], s[22:23], 0x4
	s_load_b32 s35, s[22:23], 0xc
	s_load_b64 s[42:43], s[2:3], 0x0
	s_add_u32 s22, s22, 12
	s_addc_u32 s23, s23, 0
	s_add_u32 s2, s2, 8
	s_addc_u32 s3, s3, 0
	s_add_i32 s38, s38, -1
	s_delay_alu instid0(SALU_CYCLE_1) | instskip(SKIP_2) | instid1(VALU_DEP_1)
	s_cmp_lg_u32 s38, 0
	s_waitcnt lgkmcnt(0)
	v_mul_hi_u32 v6, s41, v2
	v_add_nc_u32_e32 v6, v2, v6
	s_delay_alu instid0(VALU_DEP_1) | instskip(NEXT) | instid1(VALU_DEP_1)
	v_lshrrev_b32_e32 v9, s35, v6
	v_mul_lo_u32 v6, v9, s40
	s_delay_alu instid0(VALU_DEP_1) | instskip(NEXT) | instid1(VALU_DEP_1)
	v_sub_nc_u32_e32 v2, v2, v6
	v_mad_u64_u32 v[6:7], null, v2, s42, v[0:1]
	v_mad_u64_u32 v[7:8], null, v2, s43, v[1:2]
	v_mov_b32_e32 v2, v9
	s_delay_alu instid0(VALU_DEP_2)
	v_dual_mov_b32 v0, v6 :: v_dual_mov_b32 v1, v7
	s_cbranch_scc1 .LBB209_11
.LBB209_12:
	s_and_not1_b32 vcc_lo, exec_lo, s34
	s_cbranch_vccnz .LBB209_15
; %bb.13:
	s_waitcnt lgkmcnt(0)
	v_mul_hi_u32 v0, s13, v5
	s_and_not1_b32 vcc_lo, exec_lo, s29
	s_delay_alu instid0(VALU_DEP_1) | instskip(NEXT) | instid1(VALU_DEP_1)
	v_add_nc_u32_e32 v0, v5, v0
	v_lshrrev_b32_e32 v2, s14, v0
	s_delay_alu instid0(VALU_DEP_1) | instskip(NEXT) | instid1(VALU_DEP_1)
	v_mul_lo_u32 v0, v2, s12
	v_sub_nc_u32_e32 v1, v5, v0
	s_delay_alu instid0(VALU_DEP_1)
	v_mul_lo_u32 v0, v1, s8
	v_mul_lo_u32 v1, v1, s9
	s_cbranch_vccnz .LBB209_15
; %bb.14:
	v_mul_hi_u32 v6, s18, v2
	s_delay_alu instid0(VALU_DEP_1) | instskip(NEXT) | instid1(VALU_DEP_1)
	v_add_nc_u32_e32 v6, v2, v6
	v_lshrrev_b32_e32 v6, s19, v6
	s_delay_alu instid0(VALU_DEP_1) | instskip(NEXT) | instid1(VALU_DEP_1)
	v_mul_lo_u32 v6, v6, s15
	v_sub_nc_u32_e32 v2, v2, v6
	s_delay_alu instid0(VALU_DEP_1) | instskip(SKIP_1) | instid1(VALU_DEP_1)
	v_mad_u64_u32 v[6:7], null, v2, s10, v[0:1]
	v_mad_u64_u32 v[7:8], null, v2, s11, v[1:2]
	v_dual_mov_b32 v0, v6 :: v_dual_mov_b32 v1, v7
.LBB209_15:
	v_cmp_gt_i16_e32 vcc_lo, 11, v4
	s_waitcnt lgkmcnt(0)
	s_delay_alu instid0(VALU_DEP_2) | instskip(NEXT) | instid1(VALU_DEP_1)
	v_add_co_u32 v1, s2, s6, v1
	v_add_co_ci_u32_e64 v2, null, s7, 0, s2
	s_mov_b32 s3, 0
	s_cbranch_vccnz .LBB209_22
; %bb.16:
	v_cmp_lt_i16_e32 vcc_lo, 25, v4
	s_cbranch_vccz .LBB209_141
; %bb.17:
	v_cmp_lt_i16_e32 vcc_lo, 28, v4
	s_cbranch_vccz .LBB209_142
	;; [unrolled: 3-line block ×4, first 2 shown]
; %bb.20:
	v_cmp_eq_u16_e32 vcc_lo, 46, v4
	s_mov_b32 s22, 0
	s_cbranch_vccz .LBB209_145
; %bb.21:
	global_load_b32 v6, v[1:2], off
	s_mov_b32 s2, -1
	s_branch .LBB209_147
.LBB209_22:
	s_mov_b32 s2, 0
                                        ; implicit-def: $vgpr6
	s_cbranch_execnz .LBB209_213
.LBB209_23:
	s_and_not1_b32 vcc_lo, exec_lo, s2
	s_cbranch_vccnz .LBB209_260
.LBB209_24:
	s_waitcnt vmcnt(0)
	s_delay_alu instid0(VALU_DEP_1) | instskip(SKIP_3) | instid1(VALU_DEP_2)
	v_lshlrev_b32_e32 v1, 16, v6
	v_add_co_u32 v0, s2, s4, v0
	s_mov_b32 s22, 0
	s_mov_b32 s23, -1
	v_cvt_f64_f32_e32 v[1:2], v1
	s_delay_alu instid0(VALU_DEP_1) | instskip(SKIP_3) | instid1(VALU_DEP_2)
	v_rsq_f64_e32 v[6:7], v[1:2]
	s_waitcnt_depctr 0xfff
	v_mul_f64 v[1:2], v[6:7], -v[1:2]
	v_cmp_class_f64_e64 vcc_lo, v[6:7], 0x180
	v_fma_f64 v[1:2], v[1:2], v[6:7], 1.0
	s_delay_alu instid0(VALU_DEP_1) | instskip(SKIP_1) | instid1(VALU_DEP_1)
	v_mul_f64 v[8:9], v[6:7], v[1:2]
	v_fma_f64 v[1:2], 0x3fd80000, v[1:2], 0.5
	v_fma_f64 v[1:2], v[8:9], v[1:2], v[6:7]
	s_delay_alu instid0(VALU_DEP_1) | instskip(NEXT) | instid1(VALU_DEP_1)
	v_dual_cndmask_b32 v2, v7, v2 :: v_dual_cndmask_b32 v1, v6, v1
	v_cvt_f32_f64_e32 v6, v[1:2]
	v_and_b32_e32 v2, 0xff, v3
	s_delay_alu instid0(VALU_DEP_1) | instskip(SKIP_1) | instid1(VALU_DEP_3)
	v_cmp_gt_i16_e32 vcc_lo, 11, v2
	s_and_b32 vcc_lo, exec_lo, vcc_lo
	v_bfe_u32 v1, v6, 16, 1
	s_delay_alu instid0(VALU_DEP_1) | instskip(NEXT) | instid1(VALU_DEP_1)
	v_add3_u32 v1, v6, v1, 0x7fff
	v_lshrrev_b32_e32 v7, 16, v1
	v_add_co_ci_u32_e64 v1, null, s5, 0, s2
	v_cmp_o_f32_e64 s2, v6, v6
	s_delay_alu instid0(VALU_DEP_1)
	v_cndmask_b32_e64 v6, 0x7fc0, v7, s2
	s_mov_b32 s2, 0
	s_cbranch_vccnz .LBB209_101
; %bb.25:
	v_cmp_lt_i16_e32 vcc_lo, 25, v2
	s_cbranch_vccz .LBB209_58
; %bb.26:
	v_cmp_lt_i16_e32 vcc_lo, 28, v2
	s_cbranch_vccz .LBB209_41
	;; [unrolled: 3-line block ×4, first 2 shown]
; %bb.29:
	v_cmp_eq_u16_e32 vcc_lo, 46, v2
	s_mov_b32 s23, 0
	s_mov_b32 s22, -1
	s_cbranch_vccz .LBB209_31
; %bb.30:
	v_and_b32_e32 v7, 0xffff, v6
	s_mov_b32 s2, -1
	s_mov_b32 s22, 0
	global_store_b32 v[0:1], v7, off
.LBB209_31:
	s_and_b32 vcc_lo, exec_lo, s23
	s_cbranch_vccz .LBB209_36
; %bb.32:
	v_cmp_eq_u16_e32 vcc_lo, 44, v2
	s_mov_b32 s22, -1
	s_cbranch_vccz .LBB209_36
; %bb.33:
	v_and_b32_e32 v7, 0xffff, v6
	v_mov_b32_e32 v8, 0xff
	s_mov_b32 s22, exec_lo
	s_delay_alu instid0(VALU_DEP_2) | instskip(NEXT) | instid1(VALU_DEP_1)
	v_bfe_u32 v9, v7, 7, 8
	v_cmpx_ne_u32_e32 0xff, v9
; %bb.34:
	v_lshlrev_b32_e32 v8, 16, v7
	v_and_b32_e32 v10, 64, v7
	v_lshrrev_b32_e32 v7, 7, v7
	s_delay_alu instid0(VALU_DEP_3) | instskip(NEXT) | instid1(VALU_DEP_3)
	v_and_or_b32 v8, 0x3f0000, v8, v9
	v_cmp_ne_u32_e32 vcc_lo, 0, v10
	s_delay_alu instid0(VALU_DEP_2) | instskip(NEXT) | instid1(VALU_DEP_1)
	v_cmp_ne_u32_e64 s2, 0, v8
	s_and_b32 s2, vcc_lo, s2
	s_delay_alu instid0(SALU_CYCLE_1) | instskip(NEXT) | instid1(VALU_DEP_1)
	v_cndmask_b32_e64 v8, 0, 1, s2
	v_add_nc_u32_e32 v8, v7, v8
; %bb.35:
	s_or_b32 exec_lo, exec_lo, s22
	s_mov_b32 s2, -1
	s_mov_b32 s22, 0
	global_store_b8 v[0:1], v8, off
.LBB209_36:
	s_mov_b32 s23, 0
.LBB209_37:
	s_delay_alu instid0(SALU_CYCLE_1)
	s_and_b32 vcc_lo, exec_lo, s23
	s_cbranch_vccz .LBB209_40
; %bb.38:
	v_cmp_eq_u16_e32 vcc_lo, 29, v2
	s_mov_b32 s22, -1
	s_cbranch_vccz .LBB209_40
; %bb.39:
	v_lshlrev_b32_e32 v7, 16, v6
	s_mov_b32 s2, -1
	s_mov_b32 s22, 0
	s_delay_alu instid0(VALU_DEP_1) | instskip(NEXT) | instid1(VALU_DEP_1)
	v_trunc_f32_e32 v7, v7
	v_mul_f32_e32 v8, 0x2f800000, v7
	s_delay_alu instid0(VALU_DEP_1) | instskip(NEXT) | instid1(VALU_DEP_1)
	v_floor_f32_e32 v8, v8
	v_fmamk_f32 v7, v8, 0xcf800000, v7
	v_cvt_u32_f32_e32 v8, v8
	s_delay_alu instid0(VALU_DEP_2)
	v_cvt_u32_f32_e32 v7, v7
	global_store_b64 v[0:1], v[7:8], off
.LBB209_40:
	s_mov_b32 s23, 0
.LBB209_41:
	s_delay_alu instid0(SALU_CYCLE_1)
	s_and_b32 vcc_lo, exec_lo, s23
	s_cbranch_vccz .LBB209_57
; %bb.42:
	v_cmp_gt_i16_e32 vcc_lo, 27, v2
	s_mov_b32 s2, -1
	s_cbranch_vccnz .LBB209_48
; %bb.43:
	v_cmp_lt_i16_e32 vcc_lo, 27, v2
	s_cbranch_vccz .LBB209_45
; %bb.44:
	v_lshlrev_b32_e32 v7, 16, v6
	s_mov_b32 s2, 0
	s_delay_alu instid0(VALU_DEP_1)
	v_cvt_u32_f32_e32 v7, v7
	global_store_b32 v[0:1], v7, off
.LBB209_45:
	s_and_not1_b32 vcc_lo, exec_lo, s2
	s_cbranch_vccnz .LBB209_47
; %bb.46:
	v_lshlrev_b32_e32 v7, 16, v6
	s_delay_alu instid0(VALU_DEP_1)
	v_cvt_u32_f32_e32 v7, v7
	global_store_b16 v[0:1], v7, off
.LBB209_47:
	s_mov_b32 s2, 0
.LBB209_48:
	s_delay_alu instid0(SALU_CYCLE_1)
	s_and_not1_b32 vcc_lo, exec_lo, s2
	s_cbranch_vccnz .LBB209_56
; %bb.49:
	v_dual_mov_b32 v10, 0x80 :: v_dual_lshlrev_b32 v9, 16, v6
	s_mov_b32 s2, exec_lo
	s_delay_alu instid0(VALU_DEP_1) | instskip(NEXT) | instid1(VALU_DEP_1)
	v_and_b32_e32 v8, 0x7fffffff, v9
	v_cmpx_gt_u32_e32 0x43800000, v8
	s_cbranch_execz .LBB209_55
; %bb.50:
	v_and_b32_e32 v7, 0xffff, v6
	v_cmp_lt_u32_e32 vcc_lo, 0x3bffffff, v8
	s_mov_b32 s23, 0
                                        ; implicit-def: $vgpr8
	s_and_saveexec_b32 s34, vcc_lo
	s_delay_alu instid0(SALU_CYCLE_1)
	s_xor_b32 s34, exec_lo, s34
	s_cbranch_execz .LBB209_150
; %bb.51:
	v_bfe_u32 v8, v7, 4, 1
	s_mov_b32 s23, exec_lo
	s_delay_alu instid0(VALU_DEP_1) | instskip(NEXT) | instid1(VALU_DEP_1)
	v_add3_u32 v8, v9, v8, 0x487ffff
                                        ; implicit-def: $vgpr9
	v_lshrrev_b32_e32 v8, 20, v8
	s_or_saveexec_b32 s34, s34
                                        ; implicit-def: $sgpr35
	s_delay_alu instid0(SALU_CYCLE_1)
	s_xor_b32 exec_lo, exec_lo, s34
	s_cbranch_execnz .LBB209_151
.LBB209_52:
	s_or_b32 exec_lo, exec_lo, s34
	v_mov_b32_e32 v10, s35
	s_and_saveexec_b32 s34, s23
.LBB209_53:
	v_lshrrev_b32_e32 v7, 8, v7
	s_delay_alu instid0(VALU_DEP_1)
	v_and_or_b32 v10, 0x80, v7, v8
.LBB209_54:
	s_or_b32 exec_lo, exec_lo, s34
.LBB209_55:
	s_delay_alu instid0(SALU_CYCLE_1)
	s_or_b32 exec_lo, exec_lo, s2
	global_store_b8 v[0:1], v10, off
.LBB209_56:
	s_mov_b32 s2, -1
.LBB209_57:
	s_mov_b32 s23, 0
.LBB209_58:
	s_delay_alu instid0(SALU_CYCLE_1)
	s_and_b32 vcc_lo, exec_lo, s23
	s_cbranch_vccz .LBB209_99
; %bb.59:
	v_cmp_lt_i16_e32 vcc_lo, 22, v2
	s_mov_b32 s23, -1
	s_cbranch_vccz .LBB209_91
; %bb.60:
	v_cmp_gt_i16_e32 vcc_lo, 24, v2
	s_mov_b32 s2, -1
	s_cbranch_vccnz .LBB209_80
; %bb.61:
	v_cmp_lt_i16_e32 vcc_lo, 24, v2
	s_cbranch_vccz .LBB209_69
; %bb.62:
	v_dual_mov_b32 v10, 0x80 :: v_dual_lshlrev_b32 v9, 16, v6
	s_mov_b32 s2, exec_lo
	s_delay_alu instid0(VALU_DEP_1) | instskip(NEXT) | instid1(VALU_DEP_1)
	v_and_b32_e32 v8, 0x7fffffff, v9
	v_cmpx_gt_u32_e32 0x47800000, v8
	s_cbranch_execz .LBB209_68
; %bb.63:
	v_and_b32_e32 v7, 0xffff, v6
	v_cmp_lt_u32_e32 vcc_lo, 0x37ffffff, v8
	s_mov_b32 s23, 0
                                        ; implicit-def: $vgpr8
	s_and_saveexec_b32 s34, vcc_lo
	s_delay_alu instid0(SALU_CYCLE_1)
	s_xor_b32 s34, exec_lo, s34
	s_cbranch_execz .LBB209_341
; %bb.64:
	v_bfe_u32 v8, v7, 5, 1
	s_mov_b32 s23, exec_lo
	s_delay_alu instid0(VALU_DEP_1) | instskip(NEXT) | instid1(VALU_DEP_1)
	v_add3_u32 v8, v9, v8, 0x88fffff
                                        ; implicit-def: $vgpr9
	v_lshrrev_b32_e32 v8, 21, v8
	s_or_saveexec_b32 s34, s34
                                        ; implicit-def: $sgpr35
	s_delay_alu instid0(SALU_CYCLE_1)
	s_xor_b32 exec_lo, exec_lo, s34
	s_cbranch_execnz .LBB209_342
.LBB209_65:
	s_or_b32 exec_lo, exec_lo, s34
	v_mov_b32_e32 v10, s35
	s_and_saveexec_b32 s34, s23
.LBB209_66:
	v_lshrrev_b32_e32 v7, 8, v7
	s_delay_alu instid0(VALU_DEP_1)
	v_and_or_b32 v10, 0x80, v7, v8
.LBB209_67:
	s_or_b32 exec_lo, exec_lo, s34
.LBB209_68:
	s_delay_alu instid0(SALU_CYCLE_1)
	s_or_b32 exec_lo, exec_lo, s2
	s_mov_b32 s2, 0
	global_store_b8 v[0:1], v10, off
.LBB209_69:
	s_and_b32 vcc_lo, exec_lo, s2
	s_cbranch_vccz .LBB209_79
; %bb.70:
	v_lshlrev_b32_e32 v9, 16, v6
	v_and_b32_e32 v7, 0xffff, v6
	s_mov_b32 s2, exec_lo
                                        ; implicit-def: $vgpr8
	s_delay_alu instid0(VALU_DEP_2) | instskip(NEXT) | instid1(VALU_DEP_1)
	v_and_b32_e32 v10, 0x7fffffff, v9
	v_cmpx_gt_u32_e32 0x43f00000, v10
	s_xor_b32 s2, exec_lo, s2
	s_cbranch_execz .LBB209_76
; %bb.71:
	s_mov_b32 s23, exec_lo
                                        ; implicit-def: $vgpr8
	v_cmpx_lt_u32_e32 0x3c7fffff, v10
	s_xor_b32 s23, exec_lo, s23
; %bb.72:
	v_bfe_u32 v8, v7, 4, 1
	s_delay_alu instid0(VALU_DEP_1) | instskip(NEXT) | instid1(VALU_DEP_1)
	v_add3_u32 v8, v9, v8, 0x407ffff
	v_and_b32_e32 v9, 0xff00000, v8
	v_lshrrev_b32_e32 v8, 20, v8
	s_delay_alu instid0(VALU_DEP_2) | instskip(NEXT) | instid1(VALU_DEP_2)
	v_cmp_ne_u32_e32 vcc_lo, 0x7f00000, v9
                                        ; implicit-def: $vgpr9
	v_cndmask_b32_e32 v8, 0x7e, v8, vcc_lo
; %bb.73:
	s_and_not1_saveexec_b32 s23, s23
; %bb.74:
	v_add_f32_e64 v8, 0x46800000, |v9|
; %bb.75:
	s_or_b32 exec_lo, exec_lo, s23
                                        ; implicit-def: $vgpr10
.LBB209_76:
	s_and_not1_saveexec_b32 s2, s2
; %bb.77:
	v_mov_b32_e32 v8, 0x7f
	v_cmp_lt_u32_e32 vcc_lo, 0x7f800000, v10
	s_delay_alu instid0(VALU_DEP_2)
	v_cndmask_b32_e32 v8, 0x7e, v8, vcc_lo
; %bb.78:
	s_or_b32 exec_lo, exec_lo, s2
	v_lshrrev_b32_e32 v7, 8, v7
	s_delay_alu instid0(VALU_DEP_1)
	v_and_or_b32 v7, 0x80, v7, v8
	global_store_b8 v[0:1], v7, off
.LBB209_79:
	s_mov_b32 s2, 0
.LBB209_80:
	s_delay_alu instid0(SALU_CYCLE_1)
	s_and_not1_b32 vcc_lo, exec_lo, s2
	s_cbranch_vccnz .LBB209_90
; %bb.81:
	v_lshlrev_b32_e32 v9, 16, v6
	v_and_b32_e32 v7, 0xffff, v6
	s_mov_b32 s2, exec_lo
                                        ; implicit-def: $vgpr8
	s_delay_alu instid0(VALU_DEP_2) | instskip(NEXT) | instid1(VALU_DEP_1)
	v_and_b32_e32 v10, 0x7fffffff, v9
	v_cmpx_gt_u32_e32 0x47800000, v10
	s_xor_b32 s2, exec_lo, s2
	s_cbranch_execz .LBB209_87
; %bb.82:
	s_mov_b32 s23, exec_lo
                                        ; implicit-def: $vgpr8
	v_cmpx_lt_u32_e32 0x387fffff, v10
	s_xor_b32 s23, exec_lo, s23
; %bb.83:
	v_bfe_u32 v8, v7, 5, 1
	s_delay_alu instid0(VALU_DEP_1) | instskip(NEXT) | instid1(VALU_DEP_1)
	v_add3_u32 v8, v9, v8, 0x80fffff
                                        ; implicit-def: $vgpr9
	v_lshrrev_b32_e32 v8, 21, v8
; %bb.84:
	s_and_not1_saveexec_b32 s23, s23
; %bb.85:
	v_add_f32_e64 v8, 0x43000000, |v9|
; %bb.86:
	s_or_b32 exec_lo, exec_lo, s23
                                        ; implicit-def: $vgpr10
.LBB209_87:
	s_and_not1_saveexec_b32 s2, s2
; %bb.88:
	v_mov_b32_e32 v8, 0x7f
	v_cmp_lt_u32_e32 vcc_lo, 0x7f800000, v10
	s_delay_alu instid0(VALU_DEP_2)
	v_cndmask_b32_e32 v8, 0x7c, v8, vcc_lo
; %bb.89:
	s_or_b32 exec_lo, exec_lo, s2
	v_lshrrev_b32_e32 v7, 8, v7
	s_delay_alu instid0(VALU_DEP_1)
	v_and_or_b32 v7, 0x80, v7, v8
	global_store_b8 v[0:1], v7, off
.LBB209_90:
	s_mov_b32 s23, 0
	s_mov_b32 s2, -1
.LBB209_91:
	s_and_not1_b32 vcc_lo, exec_lo, s23
	s_cbranch_vccnz .LBB209_99
; %bb.92:
	v_cmp_lt_i16_e32 vcc_lo, 14, v2
	s_mov_b32 s23, -1
	s_cbranch_vccz .LBB209_96
; %bb.93:
	v_cmp_eq_u16_e32 vcc_lo, 15, v2
	s_mov_b32 s22, -1
	s_cbranch_vccz .LBB209_95
; %bb.94:
	s_mov_b32 s2, -1
	s_mov_b32 s22, 0
	global_store_b16 v[0:1], v6, off
.LBB209_95:
	s_mov_b32 s23, 0
.LBB209_96:
	s_delay_alu instid0(SALU_CYCLE_1)
	s_and_b32 vcc_lo, exec_lo, s23
	s_cbranch_vccz .LBB209_99
; %bb.97:
	v_cmp_eq_u16_e32 vcc_lo, 11, v2
	s_mov_b32 s22, -1
	s_cbranch_vccz .LBB209_99
; %bb.98:
	v_and_b32_e32 v7, 0x7fff, v6
	s_mov_b32 s22, 0
	s_mov_b32 s2, -1
	s_delay_alu instid0(VALU_DEP_1)
	v_cmp_ne_u16_e32 vcc_lo, 0, v7
	v_cndmask_b32_e64 v7, 0, 1, vcc_lo
	global_store_b8 v[0:1], v7, off
.LBB209_99:
.LBB209_100:
	s_and_not1_b32 vcc_lo, exec_lo, s2
	s_cbranch_vccz .LBB209_140
	s_branch .LBB209_261
.LBB209_101:
	s_and_b32 vcc_lo, exec_lo, s23
	s_cbranch_vccz .LBB209_100
; %bb.102:
	v_cmp_gt_i16_e32 vcc_lo, 5, v2
	s_mov_b32 s2, -1
	s_cbranch_vccnz .LBB209_123
; %bb.103:
	v_cmp_gt_i16_e32 vcc_lo, 8, v2
	s_cbranch_vccnz .LBB209_113
; %bb.104:
	v_cmp_gt_i16_e32 vcc_lo, 9, v2
	s_cbranch_vccnz .LBB209_110
; %bb.105:
	v_cmp_lt_i16_e32 vcc_lo, 9, v2
	s_cbranch_vccz .LBB209_107
; %bb.106:
	v_mov_b32_e32 v9, 0
	v_lshlrev_b32_e32 v7, 16, v6
	s_mov_b32 s2, 0
	s_delay_alu instid0(VALU_DEP_2) | instskip(NEXT) | instid1(VALU_DEP_2)
	v_mov_b32_e32 v10, v9
	v_cvt_f64_f32_e32 v[7:8], v7
	global_store_b128 v[0:1], v[7:10], off
.LBB209_107:
	s_and_not1_b32 vcc_lo, exec_lo, s2
	s_cbranch_vccnz .LBB209_109
; %bb.108:
	v_dual_mov_b32 v8, 0 :: v_dual_lshlrev_b32 v7, 16, v6
	global_store_b64 v[0:1], v[7:8], off
.LBB209_109:
	s_mov_b32 s2, 0
.LBB209_110:
	s_delay_alu instid0(SALU_CYCLE_1)
	s_and_not1_b32 vcc_lo, exec_lo, s2
	s_cbranch_vccnz .LBB209_112
; %bb.111:
	v_lshlrev_b32_e32 v7, 16, v6
	s_delay_alu instid0(VALU_DEP_1) | instskip(NEXT) | instid1(VALU_DEP_1)
	v_cvt_f16_f32_e32 v7, v7
	v_and_b32_e32 v7, 0xffff, v7
	global_store_b32 v[0:1], v7, off
.LBB209_112:
	s_mov_b32 s2, 0
.LBB209_113:
	s_delay_alu instid0(SALU_CYCLE_1)
	s_and_not1_b32 vcc_lo, exec_lo, s2
	s_cbranch_vccnz .LBB209_122
; %bb.114:
	v_cmp_gt_i16_e32 vcc_lo, 6, v2
	s_mov_b32 s2, -1
	s_cbranch_vccnz .LBB209_120
; %bb.115:
	v_cmp_lt_i16_e32 vcc_lo, 6, v2
	s_cbranch_vccz .LBB209_117
; %bb.116:
	v_lshlrev_b32_e32 v7, 16, v6
	s_mov_b32 s2, 0
	s_delay_alu instid0(VALU_DEP_1)
	v_cvt_f64_f32_e32 v[7:8], v7
	global_store_b64 v[0:1], v[7:8], off
.LBB209_117:
	s_and_not1_b32 vcc_lo, exec_lo, s2
	s_cbranch_vccnz .LBB209_119
; %bb.118:
	v_lshlrev_b32_e32 v7, 16, v6
	global_store_b32 v[0:1], v7, off
.LBB209_119:
	s_mov_b32 s2, 0
.LBB209_120:
	s_delay_alu instid0(SALU_CYCLE_1)
	s_and_not1_b32 vcc_lo, exec_lo, s2
	s_cbranch_vccnz .LBB209_122
; %bb.121:
	v_lshlrev_b32_e32 v7, 16, v6
	s_delay_alu instid0(VALU_DEP_1)
	v_cvt_f16_f32_e32 v7, v7
	global_store_b16 v[0:1], v7, off
.LBB209_122:
	s_mov_b32 s2, 0
.LBB209_123:
	s_delay_alu instid0(SALU_CYCLE_1)
	s_and_not1_b32 vcc_lo, exec_lo, s2
	s_cbranch_vccnz .LBB209_139
; %bb.124:
	v_cmp_gt_i16_e32 vcc_lo, 2, v2
	s_mov_b32 s2, -1
	s_cbranch_vccnz .LBB209_134
; %bb.125:
	v_cmp_gt_i16_e32 vcc_lo, 3, v2
	s_cbranch_vccnz .LBB209_131
; %bb.126:
	v_cmp_lt_i16_e32 vcc_lo, 3, v2
	s_cbranch_vccz .LBB209_128
; %bb.127:
	v_lshlrev_b32_e32 v7, 16, v6
	s_mov_b32 s2, 0
	s_delay_alu instid0(VALU_DEP_1) | instskip(NEXT) | instid1(VALU_DEP_1)
	v_trunc_f32_e32 v7, v7
	v_mul_f32_e64 v8, 0x2f800000, |v7|
	v_ashrrev_i32_e32 v10, 31, v7
	s_delay_alu instid0(VALU_DEP_2) | instskip(NEXT) | instid1(VALU_DEP_1)
	v_floor_f32_e32 v8, v8
	v_fma_f32 v9, 0xcf800000, v8, |v7|
	v_cvt_u32_f32_e32 v8, v8
	s_delay_alu instid0(VALU_DEP_2) | instskip(NEXT) | instid1(VALU_DEP_2)
	v_cvt_u32_f32_e32 v7, v9
	v_xor_b32_e32 v8, v8, v10
	s_delay_alu instid0(VALU_DEP_2) | instskip(NEXT) | instid1(VALU_DEP_1)
	v_xor_b32_e32 v7, v7, v10
	v_sub_co_u32 v7, vcc_lo, v7, v10
	s_delay_alu instid0(VALU_DEP_3)
	v_sub_co_ci_u32_e32 v8, vcc_lo, v8, v10, vcc_lo
	global_store_b64 v[0:1], v[7:8], off
.LBB209_128:
	s_and_not1_b32 vcc_lo, exec_lo, s2
	s_cbranch_vccnz .LBB209_130
; %bb.129:
	v_lshlrev_b32_e32 v7, 16, v6
	s_delay_alu instid0(VALU_DEP_1)
	v_cvt_i32_f32_e32 v7, v7
	global_store_b32 v[0:1], v7, off
.LBB209_130:
	s_mov_b32 s2, 0
.LBB209_131:
	s_delay_alu instid0(SALU_CYCLE_1)
	s_and_not1_b32 vcc_lo, exec_lo, s2
	s_cbranch_vccnz .LBB209_133
; %bb.132:
	v_lshlrev_b32_e32 v7, 16, v6
	s_delay_alu instid0(VALU_DEP_1)
	v_cvt_i32_f32_e32 v7, v7
	global_store_b16 v[0:1], v7, off
.LBB209_133:
	s_mov_b32 s2, 0
.LBB209_134:
	s_delay_alu instid0(SALU_CYCLE_1)
	s_and_not1_b32 vcc_lo, exec_lo, s2
	s_cbranch_vccnz .LBB209_139
; %bb.135:
	v_cmp_lt_i16_e32 vcc_lo, 0, v2
	v_lshlrev_b32_e32 v2, 16, v6
	s_mov_b32 s2, -1
	s_cbranch_vccz .LBB209_137
; %bb.136:
	s_delay_alu instid0(VALU_DEP_1)
	v_cvt_i32_f32_e32 v6, v2
	s_mov_b32 s2, 0
	global_store_b8 v[0:1], v6, off
.LBB209_137:
	s_and_not1_b32 vcc_lo, exec_lo, s2
	s_cbranch_vccnz .LBB209_139
; %bb.138:
	v_trunc_f32_e32 v2, v2
	s_delay_alu instid0(VALU_DEP_1) | instskip(NEXT) | instid1(VALU_DEP_1)
	v_mul_f32_e64 v6, 0x2f800000, |v2|
	v_floor_f32_e32 v6, v6
	s_delay_alu instid0(VALU_DEP_1) | instskip(SKIP_1) | instid1(VALU_DEP_2)
	v_fma_f32 v6, 0xcf800000, v6, |v2|
	v_ashrrev_i32_e32 v2, 31, v2
	v_cvt_u32_f32_e32 v6, v6
	s_delay_alu instid0(VALU_DEP_1) | instskip(NEXT) | instid1(VALU_DEP_1)
	v_xor_b32_e32 v6, v6, v2
	v_sub_nc_u32_e32 v2, v6, v2
	global_store_b8 v[0:1], v2, off
.LBB209_139:
.LBB209_140:
	v_add_nc_u32_e32 v5, 0x80, v5
	s_mov_b32 s2, -1
	s_branch .LBB209_262
.LBB209_141:
	s_mov_b32 s2, 0
                                        ; implicit-def: $vgpr6
	s_cbranch_execnz .LBB209_178
	s_branch .LBB209_212
.LBB209_142:
	s_mov_b32 s22, -1
	s_mov_b32 s2, 0
                                        ; implicit-def: $vgpr6
	s_branch .LBB209_159
.LBB209_143:
	s_mov_b32 s22, -1
	s_mov_b32 s2, 0
                                        ; implicit-def: $vgpr6
	s_branch .LBB209_154
.LBB209_144:
	s_mov_b32 s22, -1
	s_branch .LBB209_146
.LBB209_145:
	s_mov_b32 s3, -1
.LBB209_146:
	s_mov_b32 s2, 0
                                        ; implicit-def: $vgpr6
.LBB209_147:
	s_and_b32 vcc_lo, exec_lo, s22
	s_cbranch_vccz .LBB209_153
; %bb.148:
	v_cmp_eq_u16_e32 vcc_lo, 44, v4
	s_cbranch_vccz .LBB209_152
; %bb.149:
	global_load_u8 v6, v[1:2], off
	s_mov_b32 s3, 0
	s_mov_b32 s2, -1
	s_waitcnt vmcnt(0)
	v_lshlrev_b32_e32 v7, 23, v6
	v_cmp_ne_u32_e32 vcc_lo, 0xff, v6
	s_delay_alu instid0(VALU_DEP_2) | instskip(SKIP_1) | instid1(VALU_DEP_2)
	v_cndmask_b32_e32 v7, 0x7f800001, v7, vcc_lo
	v_cmp_ne_u32_e32 vcc_lo, 0, v6
	v_cndmask_b32_e32 v6, 0x400000, v7, vcc_lo
	s_delay_alu instid0(VALU_DEP_1) | instskip(SKIP_1) | instid1(VALU_DEP_2)
	v_add_nc_u32_e32 v7, 0x7fff, v6
	v_cmp_o_f32_e32 vcc_lo, v6, v6
	v_lshrrev_b32_e32 v7, 16, v7
	s_delay_alu instid0(VALU_DEP_1)
	v_cndmask_b32_e32 v6, 0x7fc0, v7, vcc_lo
	s_branch .LBB209_153
.LBB209_150:
	s_or_saveexec_b32 s34, s34
                                        ; implicit-def: $sgpr35
	s_delay_alu instid0(SALU_CYCLE_1)
	s_xor_b32 exec_lo, exec_lo, s34
	s_cbranch_execz .LBB209_52
.LBB209_151:
	v_add_f32_e64 v8, 0x46000000, |v9|
	s_and_not1_b32 s23, s23, exec_lo
	s_mov_b32 s35, 0
	s_delay_alu instid0(VALU_DEP_1) | instskip(NEXT) | instid1(VALU_DEP_1)
	v_and_b32_e32 v8, 0xff, v8
	v_cmp_ne_u32_e32 vcc_lo, 0, v8
	s_and_b32 s38, vcc_lo, exec_lo
	s_delay_alu instid0(SALU_CYCLE_1)
	s_or_b32 s23, s23, s38
	s_or_b32 exec_lo, exec_lo, s34
	v_mov_b32_e32 v10, s35
	s_and_saveexec_b32 s34, s23
	s_cbranch_execnz .LBB209_53
	s_branch .LBB209_54
.LBB209_152:
	s_mov_b32 s3, -1
                                        ; implicit-def: $vgpr6
.LBB209_153:
	s_mov_b32 s22, 0
.LBB209_154:
	s_delay_alu instid0(SALU_CYCLE_1)
	s_and_b32 vcc_lo, exec_lo, s22
	s_cbranch_vccz .LBB209_158
; %bb.155:
	v_cmp_eq_u16_e32 vcc_lo, 29, v4
	s_cbranch_vccz .LBB209_157
; %bb.156:
	global_load_b64 v[6:7], v[1:2], off
	s_mov_b32 s2, -1
	s_mov_b32 s3, 0
	s_mov_b32 s22, 0
	s_waitcnt vmcnt(0)
	v_clz_i32_u32_e32 v8, v7
	s_delay_alu instid0(VALU_DEP_1) | instskip(NEXT) | instid1(VALU_DEP_1)
	v_min_u32_e32 v8, 32, v8
	v_lshlrev_b64 v[6:7], v8, v[6:7]
	s_delay_alu instid0(VALU_DEP_1) | instskip(NEXT) | instid1(VALU_DEP_1)
	v_min_u32_e32 v6, 1, v6
	v_or_b32_e32 v6, v7, v6
	v_sub_nc_u32_e32 v7, 32, v8
	s_delay_alu instid0(VALU_DEP_2) | instskip(NEXT) | instid1(VALU_DEP_1)
	v_cvt_f32_u32_e32 v6, v6
	v_ldexp_f32 v6, v6, v7
	s_delay_alu instid0(VALU_DEP_1) | instskip(NEXT) | instid1(VALU_DEP_1)
	v_bfe_u32 v7, v6, 16, 1
	v_add3_u32 v6, v6, v7, 0x7fff
	s_delay_alu instid0(VALU_DEP_1)
	v_lshrrev_b32_e32 v6, 16, v6
	s_branch .LBB209_159
.LBB209_157:
	s_mov_b32 s3, -1
                                        ; implicit-def: $vgpr6
.LBB209_158:
	s_mov_b32 s22, 0
.LBB209_159:
	s_delay_alu instid0(SALU_CYCLE_1)
	s_and_b32 vcc_lo, exec_lo, s22
	s_cbranch_vccz .LBB209_177
; %bb.160:
	v_cmp_gt_i16_e32 vcc_lo, 27, v4
	s_cbranch_vccnz .LBB209_163
; %bb.161:
	v_cmp_lt_i16_e32 vcc_lo, 27, v4
	s_cbranch_vccz .LBB209_164
; %bb.162:
	global_load_b32 v6, v[1:2], off
	s_mov_b32 s2, 0
	s_waitcnt vmcnt(0)
	v_cvt_f32_u32_e32 v6, v6
	s_delay_alu instid0(VALU_DEP_1) | instskip(NEXT) | instid1(VALU_DEP_1)
	v_bfe_u32 v7, v6, 16, 1
	v_add3_u32 v6, v6, v7, 0x7fff
	s_delay_alu instid0(VALU_DEP_1)
	v_lshrrev_b32_e32 v6, 16, v6
	s_branch .LBB209_165
.LBB209_163:
	s_mov_b32 s2, -1
                                        ; implicit-def: $vgpr6
	s_branch .LBB209_168
.LBB209_164:
	s_mov_b32 s2, -1
                                        ; implicit-def: $vgpr6
.LBB209_165:
	s_delay_alu instid0(SALU_CYCLE_1)
	s_and_not1_b32 vcc_lo, exec_lo, s2
	s_cbranch_vccnz .LBB209_167
; %bb.166:
	global_load_u16 v6, v[1:2], off
	s_waitcnt vmcnt(0)
	v_cvt_f32_u32_e32 v6, v6
	s_delay_alu instid0(VALU_DEP_1) | instskip(NEXT) | instid1(VALU_DEP_1)
	v_bfe_u32 v7, v6, 16, 1
	v_add3_u32 v6, v6, v7, 0x7fff
	s_delay_alu instid0(VALU_DEP_1)
	v_lshrrev_b32_e32 v6, 16, v6
.LBB209_167:
	s_mov_b32 s2, 0
.LBB209_168:
	s_delay_alu instid0(SALU_CYCLE_1)
	s_and_not1_b32 vcc_lo, exec_lo, s2
	s_cbranch_vccnz .LBB209_176
; %bb.169:
	global_load_u8 v6, v[1:2], off
	s_mov_b32 s2, 0
	s_mov_b32 s23, exec_lo
                                        ; implicit-def: $sgpr22
	s_waitcnt vmcnt(0)
	v_cmpx_lt_i16_e32 0x7f, v6
	s_xor_b32 s23, exec_lo, s23
	s_cbranch_execz .LBB209_189
; %bb.170:
	s_mov_b32 s2, -1
	s_mov_b32 s34, exec_lo
                                        ; implicit-def: $sgpr22
	v_cmpx_eq_u16_e32 0x80, v6
; %bb.171:
	s_mov_b32 s22, 0x7f800001
	s_xor_b32 s2, exec_lo, -1
; %bb.172:
	s_or_b32 exec_lo, exec_lo, s34
	s_delay_alu instid0(SALU_CYCLE_1)
	s_and_b32 s2, s2, exec_lo
	s_or_saveexec_b32 s23, s23
	v_mov_b32_e32 v7, s22
	s_xor_b32 exec_lo, exec_lo, s23
	s_cbranch_execnz .LBB209_190
.LBB209_173:
	s_or_b32 exec_lo, exec_lo, s23
	s_and_saveexec_b32 s22, s2
	s_cbranch_execz .LBB209_175
.LBB209_174:
	v_and_b32_e32 v7, 0xffff, v6
	v_lshlrev_b32_e32 v6, 24, v6
	s_delay_alu instid0(VALU_DEP_2) | instskip(NEXT) | instid1(VALU_DEP_2)
	v_and_b32_e32 v8, 7, v7
	v_and_b32_e32 v6, 0x80000000, v6
	s_delay_alu instid0(VALU_DEP_2) | instskip(NEXT) | instid1(VALU_DEP_1)
	v_clz_i32_u32_e32 v9, v8
	v_min_u32_e32 v9, 32, v9
	s_delay_alu instid0(VALU_DEP_1) | instskip(SKIP_1) | instid1(VALU_DEP_2)
	v_subrev_nc_u32_e32 v10, 28, v9
	v_sub_nc_u32_e32 v9, 29, v9
	v_lshlrev_b32_e32 v10, v10, v7
	v_bfe_u32 v7, v7, 3, 4
	s_delay_alu instid0(VALU_DEP_2) | instskip(NEXT) | instid1(VALU_DEP_2)
	v_and_b32_e32 v10, 7, v10
	v_cmp_eq_u32_e32 vcc_lo, 0, v7
	s_delay_alu instid0(VALU_DEP_2) | instskip(NEXT) | instid1(VALU_DEP_1)
	v_dual_cndmask_b32 v7, v7, v9 :: v_dual_cndmask_b32 v8, v8, v10
	v_lshl_add_u32 v7, v7, 23, 0x3b800000
	s_delay_alu instid0(VALU_DEP_2) | instskip(NEXT) | instid1(VALU_DEP_1)
	v_lshlrev_b32_e32 v8, 20, v8
	v_or3_b32 v7, v6, v7, v8
.LBB209_175:
	s_or_b32 exec_lo, exec_lo, s22
	s_delay_alu instid0(VALU_DEP_1) | instskip(SKIP_1) | instid1(VALU_DEP_2)
	v_bfe_u32 v6, v7, 16, 1
	v_cmp_o_f32_e32 vcc_lo, v7, v7
	v_add3_u32 v6, v7, v6, 0x7fff
	s_delay_alu instid0(VALU_DEP_1) | instskip(NEXT) | instid1(VALU_DEP_1)
	v_lshrrev_b32_e32 v6, 16, v6
	v_cndmask_b32_e32 v6, 0x7fc0, v6, vcc_lo
.LBB209_176:
	s_mov_b32 s2, -1
.LBB209_177:
	s_branch .LBB209_212
.LBB209_178:
	v_cmp_lt_i16_e32 vcc_lo, 22, v4
	s_cbranch_vccz .LBB209_188
; %bb.179:
	v_cmp_gt_i16_e32 vcc_lo, 24, v4
	s_cbranch_vccnz .LBB209_191
; %bb.180:
	v_cmp_lt_i16_e32 vcc_lo, 24, v4
	s_cbranch_vccz .LBB209_192
; %bb.181:
	global_load_u8 v6, v[1:2], off
	s_mov_b32 s2, 0
	s_mov_b32 s23, exec_lo
                                        ; implicit-def: $sgpr22
	s_waitcnt vmcnt(0)
	v_cmpx_lt_i16_e32 0x7f, v6
	s_xor_b32 s23, exec_lo, s23
	s_cbranch_execz .LBB209_204
; %bb.182:
	s_mov_b32 s2, -1
	s_mov_b32 s34, exec_lo
                                        ; implicit-def: $sgpr22
	v_cmpx_eq_u16_e32 0x80, v6
; %bb.183:
	s_mov_b32 s22, 0x7f800001
	s_xor_b32 s2, exec_lo, -1
; %bb.184:
	s_or_b32 exec_lo, exec_lo, s34
	s_delay_alu instid0(SALU_CYCLE_1)
	s_and_b32 s2, s2, exec_lo
	s_or_saveexec_b32 s23, s23
	v_mov_b32_e32 v7, s22
	s_xor_b32 exec_lo, exec_lo, s23
	s_cbranch_execnz .LBB209_205
.LBB209_185:
	s_or_b32 exec_lo, exec_lo, s23
	s_and_saveexec_b32 s22, s2
	s_cbranch_execz .LBB209_187
.LBB209_186:
	v_and_b32_e32 v7, 0xffff, v6
	v_lshlrev_b32_e32 v6, 24, v6
	s_delay_alu instid0(VALU_DEP_2) | instskip(NEXT) | instid1(VALU_DEP_2)
	v_and_b32_e32 v8, 3, v7
	v_and_b32_e32 v6, 0x80000000, v6
	s_delay_alu instid0(VALU_DEP_2) | instskip(NEXT) | instid1(VALU_DEP_1)
	v_clz_i32_u32_e32 v9, v8
	v_min_u32_e32 v9, 32, v9
	s_delay_alu instid0(VALU_DEP_1) | instskip(SKIP_1) | instid1(VALU_DEP_2)
	v_subrev_nc_u32_e32 v10, 29, v9
	v_sub_nc_u32_e32 v9, 30, v9
	v_lshlrev_b32_e32 v10, v10, v7
	v_bfe_u32 v7, v7, 2, 5
	s_delay_alu instid0(VALU_DEP_2) | instskip(NEXT) | instid1(VALU_DEP_2)
	v_and_b32_e32 v10, 3, v10
	v_cmp_eq_u32_e32 vcc_lo, 0, v7
	s_delay_alu instid0(VALU_DEP_2) | instskip(NEXT) | instid1(VALU_DEP_1)
	v_dual_cndmask_b32 v7, v7, v9 :: v_dual_cndmask_b32 v8, v8, v10
	v_lshl_add_u32 v7, v7, 23, 0x37800000
	s_delay_alu instid0(VALU_DEP_2) | instskip(NEXT) | instid1(VALU_DEP_1)
	v_lshlrev_b32_e32 v8, 21, v8
	v_or3_b32 v7, v6, v7, v8
.LBB209_187:
	s_or_b32 exec_lo, exec_lo, s22
	s_delay_alu instid0(VALU_DEP_1) | instskip(SKIP_2) | instid1(VALU_DEP_2)
	v_bfe_u32 v6, v7, 16, 1
	v_cmp_o_f32_e32 vcc_lo, v7, v7
	s_mov_b32 s2, 0
	v_add3_u32 v6, v7, v6, 0x7fff
	s_delay_alu instid0(VALU_DEP_1) | instskip(NEXT) | instid1(VALU_DEP_1)
	v_lshrrev_b32_e32 v6, 16, v6
	v_cndmask_b32_e32 v6, 0x7fc0, v6, vcc_lo
	s_branch .LBB209_193
.LBB209_188:
	s_mov_b32 s22, -1
                                        ; implicit-def: $vgpr6
	s_branch .LBB209_199
.LBB209_189:
	s_or_saveexec_b32 s23, s23
	v_mov_b32_e32 v7, s22
	s_xor_b32 exec_lo, exec_lo, s23
	s_cbranch_execz .LBB209_173
.LBB209_190:
	v_cmp_ne_u16_e32 vcc_lo, 0, v6
	v_mov_b32_e32 v7, 0
	s_and_not1_b32 s2, s2, exec_lo
	s_and_b32 s22, vcc_lo, exec_lo
	s_delay_alu instid0(SALU_CYCLE_1)
	s_or_b32 s2, s2, s22
	s_or_b32 exec_lo, exec_lo, s23
	s_and_saveexec_b32 s22, s2
	s_cbranch_execnz .LBB209_174
	s_branch .LBB209_175
.LBB209_191:
	s_mov_b32 s2, -1
                                        ; implicit-def: $vgpr6
	s_branch .LBB209_196
.LBB209_192:
	s_mov_b32 s2, -1
                                        ; implicit-def: $vgpr6
.LBB209_193:
	s_delay_alu instid0(SALU_CYCLE_1)
	s_and_b32 vcc_lo, exec_lo, s2
	s_cbranch_vccz .LBB209_195
; %bb.194:
	global_load_u8 v6, v[1:2], off
	s_waitcnt vmcnt(0)
	v_lshlrev_b32_e32 v6, 24, v6
	s_delay_alu instid0(VALU_DEP_1) | instskip(NEXT) | instid1(VALU_DEP_1)
	v_and_b32_e32 v7, 0x7f000000, v6
	v_clz_i32_u32_e32 v8, v7
	v_add_nc_u32_e32 v10, 0x1000000, v7
	v_cmp_ne_u32_e32 vcc_lo, 0, v7
	s_delay_alu instid0(VALU_DEP_3) | instskip(NEXT) | instid1(VALU_DEP_1)
	v_min_u32_e32 v8, 32, v8
	v_sub_nc_u32_e64 v8, v8, 4 clamp
	s_delay_alu instid0(VALU_DEP_1) | instskip(SKIP_1) | instid1(VALU_DEP_2)
	v_lshlrev_b32_e32 v9, v8, v7
	v_lshlrev_b32_e32 v8, 23, v8
	v_lshrrev_b32_e32 v9, 4, v9
	s_delay_alu instid0(VALU_DEP_1) | instskip(SKIP_1) | instid1(VALU_DEP_2)
	v_sub_nc_u32_e32 v8, v9, v8
	v_ashrrev_i32_e32 v9, 8, v10
	v_add_nc_u32_e32 v8, 0x3c000000, v8
	s_delay_alu instid0(VALU_DEP_1) | instskip(NEXT) | instid1(VALU_DEP_1)
	v_and_or_b32 v8, 0x7f800000, v9, v8
	v_cndmask_b32_e32 v7, 0, v8, vcc_lo
	s_delay_alu instid0(VALU_DEP_1) | instskip(SKIP_1) | instid1(VALU_DEP_2)
	v_and_or_b32 v6, 0x80000000, v6, v7
	v_bfe_u32 v7, v7, 16, 1
	v_cmp_o_f32_e32 vcc_lo, v6, v6
	s_delay_alu instid0(VALU_DEP_2) | instskip(NEXT) | instid1(VALU_DEP_1)
	v_add3_u32 v7, v6, v7, 0x7fff
	v_lshrrev_b32_e32 v7, 16, v7
	s_delay_alu instid0(VALU_DEP_1)
	v_cndmask_b32_e32 v6, 0x7fc0, v7, vcc_lo
.LBB209_195:
	s_mov_b32 s2, 0
.LBB209_196:
	s_delay_alu instid0(SALU_CYCLE_1)
	s_and_not1_b32 vcc_lo, exec_lo, s2
	s_cbranch_vccnz .LBB209_198
; %bb.197:
	global_load_u8 v6, v[1:2], off
	s_waitcnt vmcnt(0)
	v_lshlrev_b32_e32 v7, 25, v6
	v_lshlrev_b16 v6, 8, v6
	s_delay_alu instid0(VALU_DEP_2) | instskip(NEXT) | instid1(VALU_DEP_2)
	v_lshrrev_b32_e32 v8, 4, v7
	v_and_or_b32 v9, 0x7f00, v6, 0.5
	v_bfe_i32 v6, v6, 0, 16
	s_delay_alu instid0(VALU_DEP_3) | instskip(NEXT) | instid1(VALU_DEP_1)
	v_or_b32_e32 v8, 0x70000000, v8
	v_dual_add_f32 v9, -0.5, v9 :: v_dual_mul_f32 v8, 0x7800000, v8
	v_cmp_gt_u32_e32 vcc_lo, 0x8000000, v7
	s_delay_alu instid0(VALU_DEP_2) | instskip(NEXT) | instid1(VALU_DEP_1)
	v_cndmask_b32_e32 v7, v8, v9, vcc_lo
	v_and_or_b32 v6, 0x80000000, v6, v7
	v_bfe_u32 v7, v7, 16, 1
	s_delay_alu instid0(VALU_DEP_2) | instskip(NEXT) | instid1(VALU_DEP_2)
	v_cmp_o_f32_e32 vcc_lo, v6, v6
	v_add3_u32 v7, v6, v7, 0x7fff
	s_delay_alu instid0(VALU_DEP_1) | instskip(NEXT) | instid1(VALU_DEP_1)
	v_lshrrev_b32_e32 v7, 16, v7
	v_cndmask_b32_e32 v6, 0x7fc0, v7, vcc_lo
.LBB209_198:
	s_mov_b32 s22, 0
	s_mov_b32 s2, -1
.LBB209_199:
	s_and_not1_b32 vcc_lo, exec_lo, s22
	s_cbranch_vccnz .LBB209_212
; %bb.200:
	v_cmp_lt_i16_e32 vcc_lo, 14, v4
	s_cbranch_vccz .LBB209_203
; %bb.201:
	v_cmp_eq_u16_e32 vcc_lo, 15, v4
	s_cbranch_vccz .LBB209_206
; %bb.202:
	global_load_u16 v6, v[1:2], off
	s_mov_b32 s2, -1
	s_mov_b32 s3, 0
	s_branch .LBB209_207
.LBB209_203:
	s_mov_b32 s22, -1
                                        ; implicit-def: $vgpr6
	s_branch .LBB209_208
.LBB209_204:
	s_or_saveexec_b32 s23, s23
	v_mov_b32_e32 v7, s22
	s_xor_b32 exec_lo, exec_lo, s23
	s_cbranch_execz .LBB209_185
.LBB209_205:
	v_cmp_ne_u16_e32 vcc_lo, 0, v6
	v_mov_b32_e32 v7, 0
	s_and_not1_b32 s2, s2, exec_lo
	s_and_b32 s22, vcc_lo, exec_lo
	s_delay_alu instid0(SALU_CYCLE_1)
	s_or_b32 s2, s2, s22
	s_or_b32 exec_lo, exec_lo, s23
	s_and_saveexec_b32 s22, s2
	s_cbranch_execnz .LBB209_186
	s_branch .LBB209_187
.LBB209_206:
	s_mov_b32 s3, -1
                                        ; implicit-def: $vgpr6
.LBB209_207:
	s_mov_b32 s22, 0
.LBB209_208:
	s_delay_alu instid0(SALU_CYCLE_1)
	s_and_b32 vcc_lo, exec_lo, s22
	s_cbranch_vccz .LBB209_212
; %bb.209:
	v_cmp_eq_u16_e32 vcc_lo, 11, v4
	s_cbranch_vccz .LBB209_211
; %bb.210:
	global_load_u8 v6, v[1:2], off
	s_mov_b32 s3, 0
	s_mov_b32 s2, -1
	s_waitcnt vmcnt(0)
	v_cmp_ne_u16_e32 vcc_lo, 0, v6
	v_cndmask_b32_e64 v6, 0, 1.0, vcc_lo
	s_delay_alu instid0(VALU_DEP_1)
	v_lshrrev_b32_e32 v6, 16, v6
	s_branch .LBB209_212
.LBB209_211:
	s_mov_b32 s3, -1
                                        ; implicit-def: $vgpr6
.LBB209_212:
	s_branch .LBB209_23
.LBB209_213:
	v_cmp_gt_i16_e32 vcc_lo, 5, v4
	s_cbranch_vccnz .LBB209_218
; %bb.214:
	v_cmp_gt_i16_e32 vcc_lo, 8, v4
	s_cbranch_vccnz .LBB209_219
; %bb.215:
	;; [unrolled: 3-line block ×3, first 2 shown]
	v_cmp_lt_i16_e32 vcc_lo, 9, v4
	s_cbranch_vccz .LBB209_221
; %bb.217:
	global_load_b64 v[6:7], v[1:2], off
	s_mov_b32 s2, 0
	s_waitcnt vmcnt(0)
	v_cvt_f32_f64_e32 v6, v[6:7]
	s_delay_alu instid0(VALU_DEP_1) | instskip(SKIP_1) | instid1(VALU_DEP_2)
	v_bfe_u32 v7, v6, 16, 1
	v_cmp_o_f32_e32 vcc_lo, v6, v6
	v_add3_u32 v7, v6, v7, 0x7fff
	s_delay_alu instid0(VALU_DEP_1) | instskip(NEXT) | instid1(VALU_DEP_1)
	v_lshrrev_b32_e32 v7, 16, v7
	v_cndmask_b32_e32 v6, 0x7fc0, v7, vcc_lo
	s_branch .LBB209_222
.LBB209_218:
                                        ; implicit-def: $vgpr6
	s_branch .LBB209_240
.LBB209_219:
	s_mov_b32 s2, -1
                                        ; implicit-def: $vgpr6
	s_branch .LBB209_228
.LBB209_220:
	s_mov_b32 s2, -1
                                        ; implicit-def: $vgpr6
	s_branch .LBB209_225
.LBB209_221:
	s_mov_b32 s2, -1
                                        ; implicit-def: $vgpr6
.LBB209_222:
	s_delay_alu instid0(SALU_CYCLE_1)
	s_and_not1_b32 vcc_lo, exec_lo, s2
	s_cbranch_vccnz .LBB209_224
; %bb.223:
	global_load_b32 v6, v[1:2], off
	s_waitcnt vmcnt(0)
	v_bfe_u32 v7, v6, 16, 1
	v_cmp_o_f32_e32 vcc_lo, v6, v6
	s_delay_alu instid0(VALU_DEP_2) | instskip(NEXT) | instid1(VALU_DEP_1)
	v_add3_u32 v7, v6, v7, 0x7fff
	v_lshrrev_b32_e32 v7, 16, v7
	s_delay_alu instid0(VALU_DEP_1)
	v_cndmask_b32_e32 v6, 0x7fc0, v7, vcc_lo
.LBB209_224:
	s_mov_b32 s2, 0
.LBB209_225:
	s_delay_alu instid0(SALU_CYCLE_1)
	s_and_not1_b32 vcc_lo, exec_lo, s2
	s_cbranch_vccnz .LBB209_227
; %bb.226:
	global_load_b32 v6, v[1:2], off
	s_waitcnt vmcnt(0)
	v_cvt_f32_f16_e32 v7, v6
	v_cmp_o_f16_e32 vcc_lo, v6, v6
	s_delay_alu instid0(VALU_DEP_2) | instskip(NEXT) | instid1(VALU_DEP_1)
	v_bfe_u32 v8, v7, 16, 1
	v_add3_u32 v7, v7, v8, 0x7fff
	s_delay_alu instid0(VALU_DEP_1) | instskip(NEXT) | instid1(VALU_DEP_1)
	v_lshrrev_b32_e32 v7, 16, v7
	v_cndmask_b32_e32 v6, 0x7fc0, v7, vcc_lo
.LBB209_227:
	s_mov_b32 s2, 0
.LBB209_228:
	s_delay_alu instid0(SALU_CYCLE_1)
	s_and_not1_b32 vcc_lo, exec_lo, s2
	s_cbranch_vccnz .LBB209_239
; %bb.229:
	v_cmp_gt_i16_e32 vcc_lo, 6, v4
	s_cbranch_vccnz .LBB209_232
; %bb.230:
	v_cmp_lt_i16_e32 vcc_lo, 6, v4
	s_cbranch_vccz .LBB209_233
; %bb.231:
	global_load_b64 v[6:7], v[1:2], off
	s_mov_b32 s2, 0
	s_waitcnt vmcnt(0)
	v_cvt_f32_f64_e32 v6, v[6:7]
	s_delay_alu instid0(VALU_DEP_1) | instskip(SKIP_1) | instid1(VALU_DEP_2)
	v_bfe_u32 v7, v6, 16, 1
	v_cmp_o_f32_e32 vcc_lo, v6, v6
	v_add3_u32 v7, v6, v7, 0x7fff
	s_delay_alu instid0(VALU_DEP_1) | instskip(NEXT) | instid1(VALU_DEP_1)
	v_lshrrev_b32_e32 v7, 16, v7
	v_cndmask_b32_e32 v6, 0x7fc0, v7, vcc_lo
	s_branch .LBB209_234
.LBB209_232:
	s_mov_b32 s2, -1
                                        ; implicit-def: $vgpr6
	s_branch .LBB209_237
.LBB209_233:
	s_mov_b32 s2, -1
                                        ; implicit-def: $vgpr6
.LBB209_234:
	s_delay_alu instid0(SALU_CYCLE_1)
	s_and_not1_b32 vcc_lo, exec_lo, s2
	s_cbranch_vccnz .LBB209_236
; %bb.235:
	global_load_b32 v6, v[1:2], off
	s_waitcnt vmcnt(0)
	v_bfe_u32 v7, v6, 16, 1
	v_cmp_o_f32_e32 vcc_lo, v6, v6
	s_delay_alu instid0(VALU_DEP_2) | instskip(NEXT) | instid1(VALU_DEP_1)
	v_add3_u32 v7, v6, v7, 0x7fff
	v_lshrrev_b32_e32 v7, 16, v7
	s_delay_alu instid0(VALU_DEP_1)
	v_cndmask_b32_e32 v6, 0x7fc0, v7, vcc_lo
.LBB209_236:
	s_mov_b32 s2, 0
.LBB209_237:
	s_delay_alu instid0(SALU_CYCLE_1)
	s_and_not1_b32 vcc_lo, exec_lo, s2
	s_cbranch_vccnz .LBB209_239
; %bb.238:
	global_load_u16 v6, v[1:2], off
	s_waitcnt vmcnt(0)
	v_cvt_f32_f16_e32 v7, v6
	v_cmp_o_f16_e32 vcc_lo, v6, v6
	s_delay_alu instid0(VALU_DEP_2) | instskip(NEXT) | instid1(VALU_DEP_1)
	v_bfe_u32 v8, v7, 16, 1
	v_add3_u32 v7, v7, v8, 0x7fff
	s_delay_alu instid0(VALU_DEP_1) | instskip(NEXT) | instid1(VALU_DEP_1)
	v_lshrrev_b32_e32 v7, 16, v7
	v_cndmask_b32_e32 v6, 0x7fc0, v7, vcc_lo
.LBB209_239:
	s_cbranch_execnz .LBB209_259
.LBB209_240:
	v_cmp_gt_i16_e32 vcc_lo, 2, v4
	s_cbranch_vccnz .LBB209_244
; %bb.241:
	v_cmp_gt_i16_e32 vcc_lo, 3, v4
	s_cbranch_vccnz .LBB209_245
; %bb.242:
	v_cmp_lt_i16_e32 vcc_lo, 3, v4
	s_cbranch_vccz .LBB209_246
; %bb.243:
	global_load_b64 v[6:7], v[1:2], off
	s_mov_b32 s2, 0
	s_waitcnt vmcnt(0)
	v_xor_b32_e32 v8, v6, v7
	v_cls_i32_e32 v9, v7
	s_delay_alu instid0(VALU_DEP_2) | instskip(NEXT) | instid1(VALU_DEP_2)
	v_ashrrev_i32_e32 v8, 31, v8
	v_add_nc_u32_e32 v9, -1, v9
	s_delay_alu instid0(VALU_DEP_2) | instskip(NEXT) | instid1(VALU_DEP_1)
	v_add_nc_u32_e32 v8, 32, v8
	v_min_u32_e32 v8, v9, v8
	s_delay_alu instid0(VALU_DEP_1) | instskip(NEXT) | instid1(VALU_DEP_1)
	v_lshlrev_b64 v[6:7], v8, v[6:7]
	v_min_u32_e32 v6, 1, v6
	s_delay_alu instid0(VALU_DEP_1) | instskip(SKIP_1) | instid1(VALU_DEP_2)
	v_or_b32_e32 v6, v7, v6
	v_sub_nc_u32_e32 v7, 32, v8
	v_cvt_f32_i32_e32 v6, v6
	s_delay_alu instid0(VALU_DEP_1) | instskip(NEXT) | instid1(VALU_DEP_1)
	v_ldexp_f32 v6, v6, v7
	v_bfe_u32 v7, v6, 16, 1
	s_delay_alu instid0(VALU_DEP_1) | instskip(NEXT) | instid1(VALU_DEP_1)
	v_add3_u32 v6, v6, v7, 0x7fff
	v_lshrrev_b32_e32 v6, 16, v6
	s_branch .LBB209_247
.LBB209_244:
	s_mov_b32 s2, -1
                                        ; implicit-def: $vgpr6
	s_branch .LBB209_253
.LBB209_245:
	s_mov_b32 s2, -1
                                        ; implicit-def: $vgpr6
	s_branch .LBB209_250
.LBB209_246:
	s_mov_b32 s2, -1
                                        ; implicit-def: $vgpr6
.LBB209_247:
	s_delay_alu instid0(SALU_CYCLE_1)
	s_and_not1_b32 vcc_lo, exec_lo, s2
	s_cbranch_vccnz .LBB209_249
; %bb.248:
	global_load_b32 v6, v[1:2], off
	s_waitcnt vmcnt(0)
	v_cvt_f32_i32_e32 v6, v6
	s_delay_alu instid0(VALU_DEP_1) | instskip(NEXT) | instid1(VALU_DEP_1)
	v_bfe_u32 v7, v6, 16, 1
	v_add3_u32 v6, v6, v7, 0x7fff
	s_delay_alu instid0(VALU_DEP_1)
	v_lshrrev_b32_e32 v6, 16, v6
.LBB209_249:
	s_mov_b32 s2, 0
.LBB209_250:
	s_delay_alu instid0(SALU_CYCLE_1)
	s_and_not1_b32 vcc_lo, exec_lo, s2
	s_cbranch_vccnz .LBB209_252
; %bb.251:
	global_load_i16 v6, v[1:2], off
	s_waitcnt vmcnt(0)
	v_cvt_f32_i32_e32 v6, v6
	s_delay_alu instid0(VALU_DEP_1) | instskip(NEXT) | instid1(VALU_DEP_1)
	v_bfe_u32 v7, v6, 16, 1
	v_add3_u32 v6, v6, v7, 0x7fff
	s_delay_alu instid0(VALU_DEP_1)
	v_lshrrev_b32_e32 v6, 16, v6
.LBB209_252:
	s_mov_b32 s2, 0
.LBB209_253:
	s_delay_alu instid0(SALU_CYCLE_1)
	s_and_not1_b32 vcc_lo, exec_lo, s2
	s_cbranch_vccnz .LBB209_259
; %bb.254:
	v_cmp_lt_i16_e32 vcc_lo, 0, v4
	s_mov_b32 s2, 0
	s_cbranch_vccz .LBB209_256
; %bb.255:
	global_load_i8 v6, v[1:2], off
	s_waitcnt vmcnt(0)
	v_cvt_f32_i32_e32 v6, v6
	s_delay_alu instid0(VALU_DEP_1) | instskip(NEXT) | instid1(VALU_DEP_1)
	v_bfe_u32 v7, v6, 16, 1
	v_add3_u32 v6, v6, v7, 0x7fff
	s_delay_alu instid0(VALU_DEP_1)
	v_lshrrev_b32_e32 v6, 16, v6
	s_branch .LBB209_257
.LBB209_256:
	s_mov_b32 s2, -1
                                        ; implicit-def: $vgpr6
.LBB209_257:
	s_delay_alu instid0(SALU_CYCLE_1)
	s_and_not1_b32 vcc_lo, exec_lo, s2
	s_cbranch_vccnz .LBB209_259
; %bb.258:
	global_load_u8 v1, v[1:2], off
	s_waitcnt vmcnt(0)
	v_cvt_f32_ubyte0_e32 v1, v1
	s_delay_alu instid0(VALU_DEP_1) | instskip(NEXT) | instid1(VALU_DEP_1)
	v_bfe_u32 v2, v1, 16, 1
	v_add3_u32 v1, v1, v2, 0x7fff
	s_delay_alu instid0(VALU_DEP_1)
	v_lshrrev_b32_e32 v6, 16, v1
.LBB209_259:
	s_branch .LBB209_24
.LBB209_260:
	s_mov_b32 s22, 0
.LBB209_261:
	s_mov_b32 s2, 0
                                        ; implicit-def: $vgpr5
.LBB209_262:
	s_and_b32 s34, s22, exec_lo
	s_and_b32 s35, s3, exec_lo
	s_or_not1_b32 s3, s2, exec_lo
.LBB209_263:
	s_or_b32 exec_lo, exec_lo, s36
	s_mov_b32 s22, 0
	s_mov_b32 s2, 0
                                        ; implicit-def: $vgpr1_vgpr2
                                        ; implicit-def: $vgpr0
                                        ; implicit-def: $vgpr6
	s_and_saveexec_b32 s36, s3
	s_cbranch_execz .LBB209_906
; %bb.264:
	s_mov_b32 s2, -1
	s_mov_b32 s37, s35
	s_mov_b32 s38, s34
	s_mov_b32 s39, exec_lo
	v_cmpx_gt_i32_e64 s30, v5
	s_cbranch_execz .LBB209_533
; %bb.265:
	s_and_not1_b32 vcc_lo, exec_lo, s27
	s_cbranch_vccnz .LBB209_270
; %bb.266:
	v_dual_mov_b32 v0, 0 :: v_dual_mov_b32 v1, 0
	s_and_not1_b32 vcc_lo, exec_lo, s33
	s_mov_b32 s37, 0
	s_cbranch_vccnz .LBB209_275
; %bb.267:
	v_mov_b32_e32 v0, 0
	s_add_i32 s40, s31, 1
	s_cmp_eq_u32 s25, 2
	s_mov_b32 s38, 0
	s_cbranch_scc1 .LBB209_271
; %bb.268:
	v_dual_mov_b32 v1, 0 :: v_dual_mov_b32 v0, 0
	v_mov_b32_e32 v2, v5
	s_and_b32 s38, s40, 28
	s_mov_b32 s41, 0
	s_mov_b64 s[2:3], s[20:21]
	s_mov_b64 s[22:23], s[16:17]
.LBB209_269:                            ; =>This Inner Loop Header: Depth=1
	s_clause 0x1
	s_load_b256 s[44:51], s[22:23], 0x4
	s_load_b128 s[60:63], s[22:23], 0x24
	s_load_b256 s[52:59], s[2:3], 0x0
	s_add_u32 s22, s22, 48
	s_addc_u32 s23, s23, 0
	s_add_i32 s41, s41, 4
	s_add_u32 s2, s2, 32
	s_addc_u32 s3, s3, 0
	s_cmp_eq_u32 s38, s41
	s_waitcnt vmcnt(0) lgkmcnt(0)
	v_mul_hi_u32 v6, s45, v2
	s_delay_alu instid0(VALU_DEP_1) | instskip(NEXT) | instid1(VALU_DEP_1)
	v_add_nc_u32_e32 v6, v2, v6
	v_lshrrev_b32_e32 v6, s46, v6
	s_delay_alu instid0(VALU_DEP_1) | instskip(SKIP_1) | instid1(VALU_DEP_2)
	v_mul_hi_u32 v7, s48, v6
	v_mul_lo_u32 v9, v6, s44
	v_add_nc_u32_e32 v7, v6, v7
	s_delay_alu instid0(VALU_DEP_2) | instskip(NEXT) | instid1(VALU_DEP_2)
	v_sub_nc_u32_e32 v2, v2, v9
	v_lshrrev_b32_e32 v7, s49, v7
	s_delay_alu instid0(VALU_DEP_2) | instskip(SKIP_1) | instid1(VALU_DEP_3)
	v_mul_lo_u32 v9, v2, s52
	v_mul_lo_u32 v11, v2, s53
	v_mul_hi_u32 v8, s51, v7
	s_delay_alu instid0(VALU_DEP_1) | instskip(NEXT) | instid1(VALU_DEP_1)
	v_add_nc_u32_e32 v8, v7, v8
	v_lshrrev_b32_e32 v8, s60, v8
	s_delay_alu instid0(VALU_DEP_1) | instskip(SKIP_1) | instid1(VALU_DEP_2)
	v_mul_hi_u32 v10, s62, v8
	v_mul_lo_u32 v12, v8, s50
	v_add_nc_u32_e32 v2, v8, v10
	v_mul_lo_u32 v10, v7, s47
	s_delay_alu instid0(VALU_DEP_3) | instskip(NEXT) | instid1(VALU_DEP_3)
	v_sub_nc_u32_e32 v7, v7, v12
	v_lshrrev_b32_e32 v2, s63, v2
	s_delay_alu instid0(VALU_DEP_2) | instskip(SKIP_2) | instid1(VALU_DEP_4)
	v_mul_lo_u32 v12, v7, s56
	v_mul_lo_u32 v7, v7, s57
	v_sub_nc_u32_e32 v6, v6, v10
	v_mul_lo_u32 v13, v2, s61
	s_delay_alu instid0(VALU_DEP_2) | instskip(SKIP_1) | instid1(VALU_DEP_3)
	v_mul_lo_u32 v10, v6, s54
	v_mul_lo_u32 v6, v6, s55
	v_sub_nc_u32_e32 v8, v8, v13
	s_delay_alu instid0(VALU_DEP_3) | instskip(NEXT) | instid1(VALU_DEP_2)
	v_add3_u32 v0, v9, v0, v10
	v_mul_lo_u32 v13, v8, s58
	v_mul_lo_u32 v8, v8, s59
	v_add3_u32 v1, v11, v1, v6
	s_delay_alu instid0(VALU_DEP_3) | instskip(NEXT) | instid1(VALU_DEP_2)
	v_add3_u32 v0, v12, v0, v13
	v_add3_u32 v1, v7, v1, v8
	s_cbranch_scc0 .LBB209_269
	s_branch .LBB209_272
.LBB209_270:
	s_mov_b32 s37, -1
                                        ; implicit-def: $vgpr0
                                        ; implicit-def: $vgpr1
	s_branch .LBB209_275
.LBB209_271:
	v_dual_mov_b32 v2, v5 :: v_dual_mov_b32 v1, 0
.LBB209_272:
	s_and_b32 s40, s40, 3
	s_delay_alu instid0(SALU_CYCLE_1)
	s_cmp_eq_u32 s40, 0
	s_cbranch_scc1 .LBB209_275
; %bb.273:
	s_lshl_b32 s2, s38, 3
	s_mul_i32 s22, s38, 12
	s_add_u32 s2, s2, s16
	s_addc_u32 s3, s17, 0
	s_add_u32 s2, s2, 0xc4
	s_addc_u32 s3, s3, 0
	;; [unrolled: 2-line block ×3, first 2 shown]
	.p2align	6
.LBB209_274:                            ; =>This Inner Loop Header: Depth=1
	s_clause 0x1
	s_load_b64 s[42:43], s[22:23], 0x4
	s_load_b32 s38, s[22:23], 0xc
	s_load_b64 s[44:45], s[2:3], 0x0
	s_add_u32 s22, s22, 12
	s_addc_u32 s23, s23, 0
	s_add_u32 s2, s2, 8
	s_addc_u32 s3, s3, 0
	s_add_i32 s40, s40, -1
	s_delay_alu instid0(SALU_CYCLE_1) | instskip(SKIP_2) | instid1(VALU_DEP_1)
	s_cmp_lg_u32 s40, 0
	s_waitcnt vmcnt(0) lgkmcnt(0)
	v_mul_hi_u32 v6, s43, v2
	v_add_nc_u32_e32 v6, v2, v6
	s_delay_alu instid0(VALU_DEP_1) | instskip(NEXT) | instid1(VALU_DEP_1)
	v_lshrrev_b32_e32 v9, s38, v6
	v_mul_lo_u32 v6, v9, s42
	s_delay_alu instid0(VALU_DEP_1) | instskip(NEXT) | instid1(VALU_DEP_1)
	v_sub_nc_u32_e32 v2, v2, v6
	v_mad_u64_u32 v[6:7], null, v2, s44, v[0:1]
	v_mad_u64_u32 v[7:8], null, v2, s45, v[1:2]
	v_mov_b32_e32 v2, v9
	s_delay_alu instid0(VALU_DEP_2)
	v_dual_mov_b32 v0, v6 :: v_dual_mov_b32 v1, v7
	s_cbranch_scc1 .LBB209_274
.LBB209_275:
	s_and_not1_b32 vcc_lo, exec_lo, s37
	s_cbranch_vccnz .LBB209_278
; %bb.276:
	s_waitcnt lgkmcnt(0)
	v_mul_hi_u32 v0, s13, v5
	s_and_not1_b32 vcc_lo, exec_lo, s29
	s_delay_alu instid0(VALU_DEP_1) | instskip(NEXT) | instid1(VALU_DEP_1)
	v_add_nc_u32_e32 v0, v5, v0
	v_lshrrev_b32_e32 v2, s14, v0
	s_delay_alu instid0(VALU_DEP_1) | instskip(NEXT) | instid1(VALU_DEP_1)
	v_mul_lo_u32 v0, v2, s12
	v_sub_nc_u32_e32 v1, v5, v0
	s_delay_alu instid0(VALU_DEP_1)
	v_mul_lo_u32 v0, v1, s8
	v_mul_lo_u32 v1, v1, s9
	s_cbranch_vccnz .LBB209_278
; %bb.277:
	s_waitcnt vmcnt(0)
	v_mul_hi_u32 v6, s18, v2
	s_delay_alu instid0(VALU_DEP_1) | instskip(NEXT) | instid1(VALU_DEP_1)
	v_add_nc_u32_e32 v6, v2, v6
	v_lshrrev_b32_e32 v6, s19, v6
	s_delay_alu instid0(VALU_DEP_1) | instskip(NEXT) | instid1(VALU_DEP_1)
	v_mul_lo_u32 v6, v6, s15
	v_sub_nc_u32_e32 v2, v2, v6
	s_delay_alu instid0(VALU_DEP_1) | instskip(SKIP_1) | instid1(VALU_DEP_1)
	v_mad_u64_u32 v[6:7], null, v2, s10, v[0:1]
	v_mad_u64_u32 v[7:8], null, v2, s11, v[1:2]
	v_dual_mov_b32 v0, v6 :: v_dual_mov_b32 v1, v7
.LBB209_278:
	v_cmp_gt_i16_e32 vcc_lo, 11, v4
	s_waitcnt lgkmcnt(0)
	s_delay_alu instid0(VALU_DEP_2) | instskip(NEXT) | instid1(VALU_DEP_1)
	v_add_co_u32 v1, s2, s6, v1
	v_add_co_ci_u32_e64 v2, null, s7, 0, s2
	s_mov_b32 s2, 0
	s_cbranch_vccnz .LBB209_285
; %bb.279:
	v_cmp_lt_i16_e32 vcc_lo, 25, v4
	s_cbranch_vccz .LBB209_334
; %bb.280:
	v_cmp_lt_i16_e32 vcc_lo, 28, v4
	s_cbranch_vccz .LBB209_335
	;; [unrolled: 3-line block ×4, first 2 shown]
; %bb.283:
	v_cmp_eq_u16_e32 vcc_lo, 46, v4
	s_mov_b32 s22, 0
	s_cbranch_vccz .LBB209_343
; %bb.284:
	global_load_b32 v6, v[1:2], off
	s_mov_b32 s2, -1
	s_mov_b32 s3, 0
	s_branch .LBB209_345
.LBB209_285:
	s_mov_b32 s3, s35
                                        ; implicit-def: $vgpr6
	s_cbranch_execnz .LBB209_482
.LBB209_286:
	s_and_not1_b32 vcc_lo, exec_lo, s2
	s_cbranch_vccnz .LBB209_530
.LBB209_287:
	s_waitcnt vmcnt(0)
	s_delay_alu instid0(VALU_DEP_1) | instskip(SKIP_3) | instid1(VALU_DEP_2)
	v_lshlrev_b32_e32 v1, 16, v6
	v_add_co_u32 v0, s2, s4, v0
	s_mov_b32 s22, 0
	s_mov_b32 s23, -1
	v_cvt_f64_f32_e32 v[1:2], v1
	s_delay_alu instid0(VALU_DEP_1) | instskip(SKIP_3) | instid1(VALU_DEP_2)
	v_rsq_f64_e32 v[6:7], v[1:2]
	s_waitcnt_depctr 0xfff
	v_mul_f64 v[1:2], v[6:7], -v[1:2]
	v_cmp_class_f64_e64 vcc_lo, v[6:7], 0x180
	v_fma_f64 v[1:2], v[1:2], v[6:7], 1.0
	s_delay_alu instid0(VALU_DEP_1) | instskip(SKIP_1) | instid1(VALU_DEP_1)
	v_mul_f64 v[8:9], v[6:7], v[1:2]
	v_fma_f64 v[1:2], 0x3fd80000, v[1:2], 0.5
	v_fma_f64 v[1:2], v[8:9], v[1:2], v[6:7]
	s_delay_alu instid0(VALU_DEP_1) | instskip(SKIP_1) | instid1(VALU_DEP_2)
	v_dual_cndmask_b32 v2, v7, v2 :: v_dual_cndmask_b32 v1, v6, v1
	v_and_b32_e32 v6, 0xff, v3
	v_cvt_f32_f64_e32 v2, v[1:2]
	s_delay_alu instid0(VALU_DEP_2) | instskip(SKIP_1) | instid1(VALU_DEP_2)
	v_cmp_gt_i16_e32 vcc_lo, 11, v6
	s_and_b32 vcc_lo, exec_lo, vcc_lo
	v_bfe_u32 v1, v2, 16, 1
	s_delay_alu instid0(VALU_DEP_1) | instskip(NEXT) | instid1(VALU_DEP_1)
	v_add3_u32 v1, v2, v1, 0x7fff
	v_lshrrev_b32_e32 v7, 16, v1
	v_add_co_ci_u32_e64 v1, null, s5, 0, s2
	v_cmp_o_f32_e64 s2, v2, v2
	s_delay_alu instid0(VALU_DEP_1)
	v_cndmask_b32_e64 v2, 0x7fc0, v7, s2
	s_mov_b32 s2, s34
	s_cbranch_vccnz .LBB209_294
; %bb.288:
	v_cmp_lt_i16_e32 vcc_lo, 25, v6
	s_cbranch_vccz .LBB209_336
; %bb.289:
	v_cmp_lt_i16_e32 vcc_lo, 28, v6
	s_cbranch_vccz .LBB209_338
	;; [unrolled: 3-line block ×4, first 2 shown]
; %bb.292:
	v_cmp_eq_u16_e32 vcc_lo, 46, v6
	s_mov_b32 s23, 0
	s_mov_b32 s2, -1
	s_cbranch_vccz .LBB209_349
; %bb.293:
	v_and_b32_e32 v7, 0xffff, v2
	s_mov_b32 s22, -1
	s_mov_b32 s2, 0
	global_store_b32 v[0:1], v7, off
	s_branch .LBB209_349
.LBB209_294:
	s_and_b32 vcc_lo, exec_lo, s23
	s_cbranch_vccz .LBB209_418
; %bb.295:
	v_cmp_gt_i16_e32 vcc_lo, 5, v6
	s_mov_b32 s22, -1
	s_cbranch_vccnz .LBB209_316
; %bb.296:
	v_cmp_gt_i16_e32 vcc_lo, 8, v6
	s_cbranch_vccnz .LBB209_306
; %bb.297:
	v_cmp_gt_i16_e32 vcc_lo, 9, v6
	s_cbranch_vccnz .LBB209_303
; %bb.298:
	v_cmp_lt_i16_e32 vcc_lo, 9, v6
	s_cbranch_vccz .LBB209_300
; %bb.299:
	v_mov_b32_e32 v9, 0
	v_lshlrev_b32_e32 v7, 16, v2
	s_mov_b32 s22, 0
	s_delay_alu instid0(VALU_DEP_2) | instskip(NEXT) | instid1(VALU_DEP_2)
	v_mov_b32_e32 v10, v9
	v_cvt_f64_f32_e32 v[7:8], v7
	global_store_b128 v[0:1], v[7:10], off
.LBB209_300:
	s_and_not1_b32 vcc_lo, exec_lo, s22
	s_cbranch_vccnz .LBB209_302
; %bb.301:
	v_dual_mov_b32 v8, 0 :: v_dual_lshlrev_b32 v7, 16, v2
	global_store_b64 v[0:1], v[7:8], off
.LBB209_302:
	s_mov_b32 s22, 0
.LBB209_303:
	s_delay_alu instid0(SALU_CYCLE_1)
	s_and_not1_b32 vcc_lo, exec_lo, s22
	s_cbranch_vccnz .LBB209_305
; %bb.304:
	v_lshlrev_b32_e32 v7, 16, v2
	s_delay_alu instid0(VALU_DEP_1) | instskip(NEXT) | instid1(VALU_DEP_1)
	v_cvt_f16_f32_e32 v7, v7
	v_and_b32_e32 v7, 0xffff, v7
	global_store_b32 v[0:1], v7, off
.LBB209_305:
	s_mov_b32 s22, 0
.LBB209_306:
	s_delay_alu instid0(SALU_CYCLE_1)
	s_and_not1_b32 vcc_lo, exec_lo, s22
	s_cbranch_vccnz .LBB209_315
; %bb.307:
	v_cmp_gt_i16_e32 vcc_lo, 6, v6
	s_mov_b32 s22, -1
	s_cbranch_vccnz .LBB209_313
; %bb.308:
	v_cmp_lt_i16_e32 vcc_lo, 6, v6
	s_cbranch_vccz .LBB209_310
; %bb.309:
	v_lshlrev_b32_e32 v7, 16, v2
	s_mov_b32 s22, 0
	s_delay_alu instid0(VALU_DEP_1)
	v_cvt_f64_f32_e32 v[7:8], v7
	global_store_b64 v[0:1], v[7:8], off
.LBB209_310:
	s_and_not1_b32 vcc_lo, exec_lo, s22
	s_cbranch_vccnz .LBB209_312
; %bb.311:
	v_lshlrev_b32_e32 v7, 16, v2
	global_store_b32 v[0:1], v7, off
.LBB209_312:
	s_mov_b32 s22, 0
.LBB209_313:
	s_delay_alu instid0(SALU_CYCLE_1)
	s_and_not1_b32 vcc_lo, exec_lo, s22
	s_cbranch_vccnz .LBB209_315
; %bb.314:
	v_lshlrev_b32_e32 v7, 16, v2
	s_delay_alu instid0(VALU_DEP_1)
	v_cvt_f16_f32_e32 v7, v7
	global_store_b16 v[0:1], v7, off
.LBB209_315:
	s_mov_b32 s22, 0
.LBB209_316:
	s_delay_alu instid0(SALU_CYCLE_1)
	s_and_not1_b32 vcc_lo, exec_lo, s22
	s_cbranch_vccnz .LBB209_332
; %bb.317:
	v_cmp_gt_i16_e32 vcc_lo, 2, v6
	s_mov_b32 s22, -1
	s_cbranch_vccnz .LBB209_327
; %bb.318:
	v_cmp_gt_i16_e32 vcc_lo, 3, v6
	s_cbranch_vccnz .LBB209_324
; %bb.319:
	v_cmp_lt_i16_e32 vcc_lo, 3, v6
	s_cbranch_vccz .LBB209_321
; %bb.320:
	v_lshlrev_b32_e32 v7, 16, v2
	s_mov_b32 s22, 0
	s_delay_alu instid0(VALU_DEP_1) | instskip(NEXT) | instid1(VALU_DEP_1)
	v_trunc_f32_e32 v7, v7
	v_mul_f32_e64 v8, 0x2f800000, |v7|
	v_ashrrev_i32_e32 v10, 31, v7
	s_delay_alu instid0(VALU_DEP_2) | instskip(NEXT) | instid1(VALU_DEP_1)
	v_floor_f32_e32 v8, v8
	v_fma_f32 v9, 0xcf800000, v8, |v7|
	v_cvt_u32_f32_e32 v8, v8
	s_delay_alu instid0(VALU_DEP_2) | instskip(NEXT) | instid1(VALU_DEP_2)
	v_cvt_u32_f32_e32 v7, v9
	v_xor_b32_e32 v8, v8, v10
	s_delay_alu instid0(VALU_DEP_2) | instskip(NEXT) | instid1(VALU_DEP_1)
	v_xor_b32_e32 v7, v7, v10
	v_sub_co_u32 v7, vcc_lo, v7, v10
	s_delay_alu instid0(VALU_DEP_3)
	v_sub_co_ci_u32_e32 v8, vcc_lo, v8, v10, vcc_lo
	global_store_b64 v[0:1], v[7:8], off
.LBB209_321:
	s_and_not1_b32 vcc_lo, exec_lo, s22
	s_cbranch_vccnz .LBB209_323
; %bb.322:
	v_lshlrev_b32_e32 v7, 16, v2
	s_delay_alu instid0(VALU_DEP_1)
	v_cvt_i32_f32_e32 v7, v7
	global_store_b32 v[0:1], v7, off
.LBB209_323:
	s_mov_b32 s22, 0
.LBB209_324:
	s_delay_alu instid0(SALU_CYCLE_1)
	s_and_not1_b32 vcc_lo, exec_lo, s22
	s_cbranch_vccnz .LBB209_326
; %bb.325:
	v_lshlrev_b32_e32 v7, 16, v2
	s_delay_alu instid0(VALU_DEP_1)
	v_cvt_i32_f32_e32 v7, v7
	global_store_b16 v[0:1], v7, off
.LBB209_326:
	s_mov_b32 s22, 0
.LBB209_327:
	s_delay_alu instid0(SALU_CYCLE_1)
	s_and_not1_b32 vcc_lo, exec_lo, s22
	s_cbranch_vccnz .LBB209_332
; %bb.328:
	v_cmp_lt_i16_e32 vcc_lo, 0, v6
	s_mov_b32 s22, -1
	s_cbranch_vccz .LBB209_330
; %bb.329:
	v_lshlrev_b32_e32 v6, 16, v2
	s_mov_b32 s22, 0
	s_delay_alu instid0(VALU_DEP_1)
	v_cvt_i32_f32_e32 v6, v6
	global_store_b8 v[0:1], v6, off
.LBB209_330:
	s_and_not1_b32 vcc_lo, exec_lo, s22
	s_cbranch_vccnz .LBB209_332
; %bb.331:
	v_lshlrev_b32_e32 v2, 16, v2
	s_delay_alu instid0(VALU_DEP_1) | instskip(NEXT) | instid1(VALU_DEP_1)
	v_trunc_f32_e32 v2, v2
	v_mul_f32_e64 v6, 0x2f800000, |v2|
	s_delay_alu instid0(VALU_DEP_1) | instskip(NEXT) | instid1(VALU_DEP_1)
	v_floor_f32_e32 v6, v6
	v_fma_f32 v6, 0xcf800000, v6, |v2|
	v_ashrrev_i32_e32 v2, 31, v2
	s_delay_alu instid0(VALU_DEP_2) | instskip(NEXT) | instid1(VALU_DEP_1)
	v_cvt_u32_f32_e32 v6, v6
	v_xor_b32_e32 v6, v6, v2
	s_delay_alu instid0(VALU_DEP_1)
	v_sub_nc_u32_e32 v2, v6, v2
	global_store_b8 v[0:1], v2, off
.LBB209_332:
	s_branch .LBB209_419
.LBB209_333:
	s_mov_b32 s22, 0
	s_branch .LBB209_531
.LBB209_334:
	s_mov_b32 s22, -1
	s_mov_b32 s3, s35
                                        ; implicit-def: $vgpr6
	s_branch .LBB209_446
.LBB209_335:
	s_mov_b32 s22, -1
	s_mov_b32 s3, s35
                                        ; implicit-def: $vgpr6
	s_branch .LBB209_427
.LBB209_336:
	s_mov_b32 s2, s34
	s_branch .LBB209_376
.LBB209_337:
	s_mov_b32 s22, -1
	s_mov_b32 s3, s35
                                        ; implicit-def: $vgpr6
	s_branch .LBB209_422
.LBB209_338:
	s_mov_b32 s2, s34
	s_branch .LBB209_359
.LBB209_339:
	s_mov_b32 s22, -1
	s_mov_b32 s3, s35
	s_branch .LBB209_344
.LBB209_340:
	s_mov_b32 s2, s34
	s_branch .LBB209_355
.LBB209_341:
	s_or_saveexec_b32 s34, s34
                                        ; implicit-def: $sgpr35
	s_delay_alu instid0(SALU_CYCLE_1)
	s_xor_b32 exec_lo, exec_lo, s34
	s_cbranch_execz .LBB209_65
.LBB209_342:
	v_add_f32_e64 v8, 0x42800000, |v9|
	s_and_not1_b32 s23, s23, exec_lo
	s_mov_b32 s35, 0
	s_delay_alu instid0(VALU_DEP_1) | instskip(NEXT) | instid1(VALU_DEP_1)
	v_and_b32_e32 v8, 0xff, v8
	v_cmp_ne_u32_e32 vcc_lo, 0, v8
	s_and_b32 s38, vcc_lo, exec_lo
	s_delay_alu instid0(SALU_CYCLE_1)
	s_or_b32 s23, s23, s38
	s_or_b32 exec_lo, exec_lo, s34
	v_mov_b32_e32 v10, s35
	s_and_saveexec_b32 s34, s23
	s_cbranch_execnz .LBB209_66
	s_branch .LBB209_67
.LBB209_343:
	s_mov_b32 s3, -1
.LBB209_344:
                                        ; implicit-def: $vgpr6
.LBB209_345:
	s_and_b32 vcc_lo, exec_lo, s22
	s_cbranch_vccz .LBB209_421
; %bb.346:
	v_cmp_eq_u16_e32 vcc_lo, 44, v4
	s_cbranch_vccz .LBB209_420
; %bb.347:
	global_load_u8 v6, v[1:2], off
	s_mov_b32 s3, 0
	s_mov_b32 s2, -1
	s_waitcnt vmcnt(0)
	v_lshlrev_b32_e32 v7, 23, v6
	v_cmp_ne_u32_e32 vcc_lo, 0xff, v6
	s_delay_alu instid0(VALU_DEP_2) | instskip(SKIP_1) | instid1(VALU_DEP_2)
	v_cndmask_b32_e32 v7, 0x7f800001, v7, vcc_lo
	v_cmp_ne_u32_e32 vcc_lo, 0, v6
	v_cndmask_b32_e32 v6, 0x400000, v7, vcc_lo
	s_delay_alu instid0(VALU_DEP_1) | instskip(SKIP_1) | instid1(VALU_DEP_2)
	v_add_nc_u32_e32 v7, 0x7fff, v6
	v_cmp_o_f32_e32 vcc_lo, v6, v6
	v_lshrrev_b32_e32 v7, 16, v7
	s_delay_alu instid0(VALU_DEP_1)
	v_cndmask_b32_e32 v6, 0x7fc0, v7, vcc_lo
	s_branch .LBB209_421
.LBB209_348:
	s_mov_b32 s2, s34
.LBB209_349:
	s_and_b32 vcc_lo, exec_lo, s23
	s_cbranch_vccz .LBB209_354
; %bb.350:
	v_cmp_eq_u16_e32 vcc_lo, 44, v6
	s_mov_b32 s2, -1
	s_cbranch_vccz .LBB209_354
; %bb.351:
	v_and_b32_e32 v7, 0xffff, v2
	v_mov_b32_e32 v8, 0xff
	s_mov_b32 s22, exec_lo
	s_delay_alu instid0(VALU_DEP_2) | instskip(NEXT) | instid1(VALU_DEP_1)
	v_bfe_u32 v9, v7, 7, 8
	v_cmpx_ne_u32_e32 0xff, v9
; %bb.352:
	v_lshlrev_b32_e32 v8, 16, v7
	v_and_b32_e32 v10, 64, v7
	v_lshrrev_b32_e32 v7, 7, v7
	s_delay_alu instid0(VALU_DEP_3) | instskip(NEXT) | instid1(VALU_DEP_3)
	v_and_or_b32 v8, 0x3f0000, v8, v9
	v_cmp_ne_u32_e32 vcc_lo, 0, v10
	s_delay_alu instid0(VALU_DEP_2) | instskip(NEXT) | instid1(VALU_DEP_1)
	v_cmp_ne_u32_e64 s2, 0, v8
	s_and_b32 s2, vcc_lo, s2
	s_delay_alu instid0(SALU_CYCLE_1) | instskip(NEXT) | instid1(VALU_DEP_1)
	v_cndmask_b32_e64 v8, 0, 1, s2
	v_add_nc_u32_e32 v8, v7, v8
; %bb.353:
	s_or_b32 exec_lo, exec_lo, s22
	s_mov_b32 s22, -1
	s_mov_b32 s2, 0
	global_store_b8 v[0:1], v8, off
.LBB209_354:
	s_mov_b32 s23, 0
.LBB209_355:
	s_delay_alu instid0(SALU_CYCLE_1)
	s_and_b32 vcc_lo, exec_lo, s23
	s_cbranch_vccz .LBB209_358
; %bb.356:
	v_cmp_eq_u16_e32 vcc_lo, 29, v6
	s_mov_b32 s2, -1
	s_cbranch_vccz .LBB209_358
; %bb.357:
	v_lshlrev_b32_e32 v7, 16, v2
	s_mov_b32 s22, -1
	s_mov_b32 s2, 0
	s_mov_b32 s23, 0
	s_delay_alu instid0(VALU_DEP_1) | instskip(NEXT) | instid1(VALU_DEP_1)
	v_trunc_f32_e32 v7, v7
	v_mul_f32_e32 v8, 0x2f800000, v7
	s_delay_alu instid0(VALU_DEP_1) | instskip(NEXT) | instid1(VALU_DEP_1)
	v_floor_f32_e32 v8, v8
	v_fmamk_f32 v7, v8, 0xcf800000, v7
	v_cvt_u32_f32_e32 v8, v8
	s_delay_alu instid0(VALU_DEP_2)
	v_cvt_u32_f32_e32 v7, v7
	global_store_b64 v[0:1], v[7:8], off
	s_branch .LBB209_359
.LBB209_358:
	s_mov_b32 s23, 0
.LBB209_359:
	s_delay_alu instid0(SALU_CYCLE_1)
	s_and_b32 vcc_lo, exec_lo, s23
	s_cbranch_vccz .LBB209_375
; %bb.360:
	v_cmp_gt_i16_e32 vcc_lo, 27, v6
	s_mov_b32 s22, -1
	s_cbranch_vccnz .LBB209_366
; %bb.361:
	v_cmp_lt_i16_e32 vcc_lo, 27, v6
	s_cbranch_vccz .LBB209_363
; %bb.362:
	v_lshlrev_b32_e32 v7, 16, v2
	s_mov_b32 s22, 0
	s_delay_alu instid0(VALU_DEP_1)
	v_cvt_u32_f32_e32 v7, v7
	global_store_b32 v[0:1], v7, off
.LBB209_363:
	s_and_not1_b32 vcc_lo, exec_lo, s22
	s_cbranch_vccnz .LBB209_365
; %bb.364:
	v_lshlrev_b32_e32 v7, 16, v2
	s_delay_alu instid0(VALU_DEP_1)
	v_cvt_u32_f32_e32 v7, v7
	global_store_b16 v[0:1], v7, off
.LBB209_365:
	s_mov_b32 s22, 0
.LBB209_366:
	s_delay_alu instid0(SALU_CYCLE_1)
	s_and_not1_b32 vcc_lo, exec_lo, s22
	s_cbranch_vccnz .LBB209_374
; %bb.367:
	v_dual_mov_b32 v10, 0x80 :: v_dual_lshlrev_b32 v9, 16, v2
	s_mov_b32 s22, exec_lo
	s_delay_alu instid0(VALU_DEP_1) | instskip(NEXT) | instid1(VALU_DEP_1)
	v_and_b32_e32 v8, 0x7fffffff, v9
	v_cmpx_gt_u32_e32 0x43800000, v8
	s_cbranch_execz .LBB209_373
; %bb.368:
	v_and_b32_e32 v7, 0xffff, v2
	v_cmp_lt_u32_e32 vcc_lo, 0x3bffffff, v8
	s_mov_b32 s23, 0
                                        ; implicit-def: $vgpr8
	s_and_saveexec_b32 s37, vcc_lo
	s_delay_alu instid0(SALU_CYCLE_1)
	s_xor_b32 s37, exec_lo, s37
	s_cbranch_execz .LBB209_559
; %bb.369:
	v_bfe_u32 v8, v7, 4, 1
	s_mov_b32 s23, exec_lo
	s_delay_alu instid0(VALU_DEP_1) | instskip(NEXT) | instid1(VALU_DEP_1)
	v_add3_u32 v8, v9, v8, 0x487ffff
                                        ; implicit-def: $vgpr9
	v_lshrrev_b32_e32 v8, 20, v8
	s_or_saveexec_b32 s37, s37
                                        ; implicit-def: $sgpr38
	s_delay_alu instid0(SALU_CYCLE_1)
	s_xor_b32 exec_lo, exec_lo, s37
	s_cbranch_execnz .LBB209_560
.LBB209_370:
	s_or_b32 exec_lo, exec_lo, s37
	v_mov_b32_e32 v10, s38
	s_and_saveexec_b32 s37, s23
.LBB209_371:
	v_lshrrev_b32_e32 v7, 8, v7
	s_delay_alu instid0(VALU_DEP_1)
	v_and_or_b32 v10, 0x80, v7, v8
.LBB209_372:
	s_or_b32 exec_lo, exec_lo, s37
.LBB209_373:
	s_delay_alu instid0(SALU_CYCLE_1)
	s_or_b32 exec_lo, exec_lo, s22
	global_store_b8 v[0:1], v10, off
.LBB209_374:
	s_mov_b32 s22, -1
.LBB209_375:
	s_mov_b32 s23, 0
.LBB209_376:
	s_delay_alu instid0(SALU_CYCLE_1)
	s_and_b32 vcc_lo, exec_lo, s23
	s_cbranch_vccz .LBB209_417
; %bb.377:
	v_cmp_lt_i16_e32 vcc_lo, 22, v6
	s_mov_b32 s23, -1
	s_cbranch_vccz .LBB209_409
; %bb.378:
	v_cmp_gt_i16_e32 vcc_lo, 24, v6
	s_mov_b32 s22, -1
	s_cbranch_vccnz .LBB209_398
; %bb.379:
	v_cmp_lt_i16_e32 vcc_lo, 24, v6
	s_cbranch_vccz .LBB209_387
; %bb.380:
	v_dual_mov_b32 v10, 0x80 :: v_dual_lshlrev_b32 v9, 16, v2
	s_mov_b32 s22, exec_lo
	s_delay_alu instid0(VALU_DEP_1) | instskip(NEXT) | instid1(VALU_DEP_1)
	v_and_b32_e32 v8, 0x7fffffff, v9
	v_cmpx_gt_u32_e32 0x47800000, v8
	s_cbranch_execz .LBB209_386
; %bb.381:
	v_and_b32_e32 v7, 0xffff, v2
	v_cmp_lt_u32_e32 vcc_lo, 0x37ffffff, v8
	s_mov_b32 s23, 0
                                        ; implicit-def: $vgpr8
	s_and_saveexec_b32 s37, vcc_lo
	s_delay_alu instid0(SALU_CYCLE_1)
	s_xor_b32 s37, exec_lo, s37
	s_cbranch_execz .LBB209_562
; %bb.382:
	v_bfe_u32 v8, v7, 5, 1
	s_mov_b32 s23, exec_lo
	s_delay_alu instid0(VALU_DEP_1) | instskip(NEXT) | instid1(VALU_DEP_1)
	v_add3_u32 v8, v9, v8, 0x88fffff
                                        ; implicit-def: $vgpr9
	v_lshrrev_b32_e32 v8, 21, v8
	s_or_saveexec_b32 s37, s37
                                        ; implicit-def: $sgpr38
	s_delay_alu instid0(SALU_CYCLE_1)
	s_xor_b32 exec_lo, exec_lo, s37
	s_cbranch_execnz .LBB209_563
.LBB209_383:
	s_or_b32 exec_lo, exec_lo, s37
	v_mov_b32_e32 v10, s38
	s_and_saveexec_b32 s37, s23
.LBB209_384:
	v_lshrrev_b32_e32 v7, 8, v7
	s_delay_alu instid0(VALU_DEP_1)
	v_and_or_b32 v10, 0x80, v7, v8
.LBB209_385:
	s_or_b32 exec_lo, exec_lo, s37
.LBB209_386:
	s_delay_alu instid0(SALU_CYCLE_1)
	s_or_b32 exec_lo, exec_lo, s22
	s_mov_b32 s22, 0
	global_store_b8 v[0:1], v10, off
.LBB209_387:
	s_and_b32 vcc_lo, exec_lo, s22
	s_cbranch_vccz .LBB209_397
; %bb.388:
	v_lshlrev_b32_e32 v9, 16, v2
	v_and_b32_e32 v7, 0xffff, v2
	s_mov_b32 s22, exec_lo
                                        ; implicit-def: $vgpr8
	s_delay_alu instid0(VALU_DEP_2) | instskip(NEXT) | instid1(VALU_DEP_1)
	v_and_b32_e32 v10, 0x7fffffff, v9
	v_cmpx_gt_u32_e32 0x43f00000, v10
	s_xor_b32 s22, exec_lo, s22
	s_cbranch_execz .LBB209_394
; %bb.389:
	s_mov_b32 s23, exec_lo
                                        ; implicit-def: $vgpr8
	v_cmpx_lt_u32_e32 0x3c7fffff, v10
	s_xor_b32 s23, exec_lo, s23
; %bb.390:
	v_bfe_u32 v8, v7, 4, 1
	s_delay_alu instid0(VALU_DEP_1) | instskip(NEXT) | instid1(VALU_DEP_1)
	v_add3_u32 v8, v9, v8, 0x407ffff
	v_and_b32_e32 v9, 0xff00000, v8
	v_lshrrev_b32_e32 v8, 20, v8
	s_delay_alu instid0(VALU_DEP_2) | instskip(NEXT) | instid1(VALU_DEP_2)
	v_cmp_ne_u32_e32 vcc_lo, 0x7f00000, v9
                                        ; implicit-def: $vgpr9
	v_cndmask_b32_e32 v8, 0x7e, v8, vcc_lo
; %bb.391:
	s_and_not1_saveexec_b32 s23, s23
; %bb.392:
	v_add_f32_e64 v8, 0x46800000, |v9|
; %bb.393:
	s_or_b32 exec_lo, exec_lo, s23
                                        ; implicit-def: $vgpr10
.LBB209_394:
	s_and_not1_saveexec_b32 s22, s22
; %bb.395:
	v_mov_b32_e32 v8, 0x7f
	v_cmp_lt_u32_e32 vcc_lo, 0x7f800000, v10
	s_delay_alu instid0(VALU_DEP_2)
	v_cndmask_b32_e32 v8, 0x7e, v8, vcc_lo
; %bb.396:
	s_or_b32 exec_lo, exec_lo, s22
	v_lshrrev_b32_e32 v7, 8, v7
	s_delay_alu instid0(VALU_DEP_1)
	v_and_or_b32 v7, 0x80, v7, v8
	global_store_b8 v[0:1], v7, off
.LBB209_397:
	s_mov_b32 s22, 0
.LBB209_398:
	s_delay_alu instid0(SALU_CYCLE_1)
	s_and_not1_b32 vcc_lo, exec_lo, s22
	s_cbranch_vccnz .LBB209_408
; %bb.399:
	v_lshlrev_b32_e32 v9, 16, v2
	v_and_b32_e32 v7, 0xffff, v2
	s_mov_b32 s22, exec_lo
                                        ; implicit-def: $vgpr8
	s_delay_alu instid0(VALU_DEP_2) | instskip(NEXT) | instid1(VALU_DEP_1)
	v_and_b32_e32 v10, 0x7fffffff, v9
	v_cmpx_gt_u32_e32 0x47800000, v10
	s_xor_b32 s22, exec_lo, s22
	s_cbranch_execz .LBB209_405
; %bb.400:
	s_mov_b32 s23, exec_lo
                                        ; implicit-def: $vgpr8
	v_cmpx_lt_u32_e32 0x387fffff, v10
	s_xor_b32 s23, exec_lo, s23
; %bb.401:
	v_bfe_u32 v8, v7, 5, 1
	s_delay_alu instid0(VALU_DEP_1) | instskip(NEXT) | instid1(VALU_DEP_1)
	v_add3_u32 v8, v9, v8, 0x80fffff
                                        ; implicit-def: $vgpr9
	v_lshrrev_b32_e32 v8, 21, v8
; %bb.402:
	s_and_not1_saveexec_b32 s23, s23
; %bb.403:
	v_add_f32_e64 v8, 0x43000000, |v9|
; %bb.404:
	s_or_b32 exec_lo, exec_lo, s23
                                        ; implicit-def: $vgpr10
.LBB209_405:
	s_and_not1_saveexec_b32 s22, s22
; %bb.406:
	v_mov_b32_e32 v8, 0x7f
	v_cmp_lt_u32_e32 vcc_lo, 0x7f800000, v10
	s_delay_alu instid0(VALU_DEP_2)
	v_cndmask_b32_e32 v8, 0x7c, v8, vcc_lo
; %bb.407:
	s_or_b32 exec_lo, exec_lo, s22
	v_lshrrev_b32_e32 v7, 8, v7
	s_delay_alu instid0(VALU_DEP_1)
	v_and_or_b32 v7, 0x80, v7, v8
	global_store_b8 v[0:1], v7, off
.LBB209_408:
	s_mov_b32 s23, 0
	s_mov_b32 s22, -1
.LBB209_409:
	s_and_not1_b32 vcc_lo, exec_lo, s23
	s_cbranch_vccnz .LBB209_417
; %bb.410:
	v_cmp_lt_i16_e32 vcc_lo, 14, v6
	s_mov_b32 s23, -1
	s_cbranch_vccz .LBB209_414
; %bb.411:
	v_cmp_eq_u16_e32 vcc_lo, 15, v6
	s_mov_b32 s2, -1
	s_cbranch_vccz .LBB209_413
; %bb.412:
	s_mov_b32 s22, -1
	s_mov_b32 s2, 0
	global_store_b16 v[0:1], v2, off
.LBB209_413:
	s_mov_b32 s23, 0
.LBB209_414:
	s_delay_alu instid0(SALU_CYCLE_1)
	s_and_b32 vcc_lo, exec_lo, s23
	s_cbranch_vccz .LBB209_417
; %bb.415:
	v_cmp_eq_u16_e32 vcc_lo, 11, v6
	s_mov_b32 s2, -1
	s_cbranch_vccz .LBB209_417
; %bb.416:
	v_and_b32_e32 v7, 0x7fff, v2
	s_mov_b32 s2, 0
	s_mov_b32 s22, -1
	s_delay_alu instid0(VALU_DEP_1)
	v_cmp_ne_u16_e32 vcc_lo, 0, v7
	v_cndmask_b32_e64 v7, 0, 1, vcc_lo
	global_store_b8 v[0:1], v7, off
.LBB209_417:
.LBB209_418:
	s_and_not1_b32 vcc_lo, exec_lo, s22
	s_cbranch_vccnz .LBB209_333
.LBB209_419:
	v_add_nc_u32_e32 v5, 0x80, v5
	s_mov_b32 s22, -1
	s_branch .LBB209_532
.LBB209_420:
	s_mov_b32 s3, -1
                                        ; implicit-def: $vgpr6
.LBB209_421:
	s_mov_b32 s22, 0
.LBB209_422:
	s_delay_alu instid0(SALU_CYCLE_1)
	s_and_b32 vcc_lo, exec_lo, s22
	s_cbranch_vccz .LBB209_426
; %bb.423:
	v_cmp_eq_u16_e32 vcc_lo, 29, v4
	s_cbranch_vccz .LBB209_425
; %bb.424:
	global_load_b64 v[6:7], v[1:2], off
	s_mov_b32 s2, -1
	s_mov_b32 s3, 0
	s_mov_b32 s22, 0
	s_waitcnt vmcnt(0)
	v_clz_i32_u32_e32 v8, v7
	s_delay_alu instid0(VALU_DEP_1) | instskip(NEXT) | instid1(VALU_DEP_1)
	v_min_u32_e32 v8, 32, v8
	v_lshlrev_b64 v[6:7], v8, v[6:7]
	s_delay_alu instid0(VALU_DEP_1) | instskip(NEXT) | instid1(VALU_DEP_1)
	v_min_u32_e32 v6, 1, v6
	v_or_b32_e32 v6, v7, v6
	v_sub_nc_u32_e32 v7, 32, v8
	s_delay_alu instid0(VALU_DEP_2) | instskip(NEXT) | instid1(VALU_DEP_1)
	v_cvt_f32_u32_e32 v6, v6
	v_ldexp_f32 v6, v6, v7
	s_delay_alu instid0(VALU_DEP_1) | instskip(NEXT) | instid1(VALU_DEP_1)
	v_bfe_u32 v7, v6, 16, 1
	v_add3_u32 v6, v6, v7, 0x7fff
	s_delay_alu instid0(VALU_DEP_1)
	v_lshrrev_b32_e32 v6, 16, v6
	s_branch .LBB209_427
.LBB209_425:
	s_mov_b32 s3, -1
                                        ; implicit-def: $vgpr6
.LBB209_426:
	s_mov_b32 s22, 0
.LBB209_427:
	s_delay_alu instid0(SALU_CYCLE_1)
	s_and_b32 vcc_lo, exec_lo, s22
	s_cbranch_vccz .LBB209_445
; %bb.428:
	v_cmp_gt_i16_e32 vcc_lo, 27, v4
	s_cbranch_vccnz .LBB209_431
; %bb.429:
	v_cmp_lt_i16_e32 vcc_lo, 27, v4
	s_cbranch_vccz .LBB209_432
; %bb.430:
	global_load_b32 v6, v[1:2], off
	s_mov_b32 s2, 0
	s_waitcnt vmcnt(0)
	v_cvt_f32_u32_e32 v6, v6
	s_delay_alu instid0(VALU_DEP_1) | instskip(NEXT) | instid1(VALU_DEP_1)
	v_bfe_u32 v7, v6, 16, 1
	v_add3_u32 v6, v6, v7, 0x7fff
	s_delay_alu instid0(VALU_DEP_1)
	v_lshrrev_b32_e32 v6, 16, v6
	s_branch .LBB209_433
.LBB209_431:
	s_mov_b32 s2, -1
                                        ; implicit-def: $vgpr6
	s_branch .LBB209_436
.LBB209_432:
	s_mov_b32 s2, -1
                                        ; implicit-def: $vgpr6
.LBB209_433:
	s_delay_alu instid0(SALU_CYCLE_1)
	s_and_not1_b32 vcc_lo, exec_lo, s2
	s_cbranch_vccnz .LBB209_435
; %bb.434:
	global_load_u16 v6, v[1:2], off
	s_waitcnt vmcnt(0)
	v_cvt_f32_u32_e32 v6, v6
	s_delay_alu instid0(VALU_DEP_1) | instskip(NEXT) | instid1(VALU_DEP_1)
	v_bfe_u32 v7, v6, 16, 1
	v_add3_u32 v6, v6, v7, 0x7fff
	s_delay_alu instid0(VALU_DEP_1)
	v_lshrrev_b32_e32 v6, 16, v6
.LBB209_435:
	s_mov_b32 s2, 0
.LBB209_436:
	s_delay_alu instid0(SALU_CYCLE_1)
	s_and_not1_b32 vcc_lo, exec_lo, s2
	s_cbranch_vccnz .LBB209_444
; %bb.437:
	global_load_u8 v6, v[1:2], off
	s_mov_b32 s2, 0
	s_mov_b32 s23, exec_lo
                                        ; implicit-def: $sgpr22
	s_waitcnt vmcnt(0)
	v_cmpx_lt_i16_e32 0x7f, v6
	s_xor_b32 s23, exec_lo, s23
	s_cbranch_execz .LBB209_458
; %bb.438:
	s_mov_b32 s2, -1
	s_mov_b32 s37, exec_lo
                                        ; implicit-def: $sgpr22
	v_cmpx_eq_u16_e32 0x80, v6
; %bb.439:
	s_mov_b32 s22, 0x7f800001
	s_xor_b32 s2, exec_lo, -1
; %bb.440:
	s_or_b32 exec_lo, exec_lo, s37
	s_delay_alu instid0(SALU_CYCLE_1)
	s_and_b32 s2, s2, exec_lo
	s_or_saveexec_b32 s23, s23
	v_mov_b32_e32 v7, s22
	s_xor_b32 exec_lo, exec_lo, s23
	s_cbranch_execnz .LBB209_459
.LBB209_441:
	s_or_b32 exec_lo, exec_lo, s23
	s_and_saveexec_b32 s22, s2
	s_cbranch_execz .LBB209_443
.LBB209_442:
	v_and_b32_e32 v7, 0xffff, v6
	v_lshlrev_b32_e32 v6, 24, v6
	s_delay_alu instid0(VALU_DEP_2) | instskip(NEXT) | instid1(VALU_DEP_2)
	v_and_b32_e32 v8, 7, v7
	v_and_b32_e32 v6, 0x80000000, v6
	s_delay_alu instid0(VALU_DEP_2) | instskip(NEXT) | instid1(VALU_DEP_1)
	v_clz_i32_u32_e32 v9, v8
	v_min_u32_e32 v9, 32, v9
	s_delay_alu instid0(VALU_DEP_1) | instskip(SKIP_1) | instid1(VALU_DEP_2)
	v_subrev_nc_u32_e32 v10, 28, v9
	v_sub_nc_u32_e32 v9, 29, v9
	v_lshlrev_b32_e32 v10, v10, v7
	v_bfe_u32 v7, v7, 3, 4
	s_delay_alu instid0(VALU_DEP_2) | instskip(NEXT) | instid1(VALU_DEP_2)
	v_and_b32_e32 v10, 7, v10
	v_cmp_eq_u32_e32 vcc_lo, 0, v7
	s_delay_alu instid0(VALU_DEP_2) | instskip(NEXT) | instid1(VALU_DEP_1)
	v_dual_cndmask_b32 v7, v7, v9 :: v_dual_cndmask_b32 v8, v8, v10
	v_lshl_add_u32 v7, v7, 23, 0x3b800000
	s_delay_alu instid0(VALU_DEP_2) | instskip(NEXT) | instid1(VALU_DEP_1)
	v_lshlrev_b32_e32 v8, 20, v8
	v_or3_b32 v7, v6, v7, v8
.LBB209_443:
	s_or_b32 exec_lo, exec_lo, s22
	s_delay_alu instid0(VALU_DEP_1) | instskip(SKIP_1) | instid1(VALU_DEP_2)
	v_bfe_u32 v6, v7, 16, 1
	v_cmp_o_f32_e32 vcc_lo, v7, v7
	v_add3_u32 v6, v7, v6, 0x7fff
	s_delay_alu instid0(VALU_DEP_1) | instskip(NEXT) | instid1(VALU_DEP_1)
	v_lshrrev_b32_e32 v6, 16, v6
	v_cndmask_b32_e32 v6, 0x7fc0, v6, vcc_lo
.LBB209_444:
	s_mov_b32 s2, -1
.LBB209_445:
	s_mov_b32 s22, 0
.LBB209_446:
	s_delay_alu instid0(SALU_CYCLE_1)
	s_and_b32 vcc_lo, exec_lo, s22
	s_cbranch_vccz .LBB209_481
; %bb.447:
	v_cmp_lt_i16_e32 vcc_lo, 22, v4
	s_cbranch_vccz .LBB209_457
; %bb.448:
	v_cmp_gt_i16_e32 vcc_lo, 24, v4
	s_cbranch_vccnz .LBB209_460
; %bb.449:
	v_cmp_lt_i16_e32 vcc_lo, 24, v4
	s_cbranch_vccz .LBB209_461
; %bb.450:
	global_load_u8 v6, v[1:2], off
	s_mov_b32 s2, 0
	s_mov_b32 s23, exec_lo
                                        ; implicit-def: $sgpr22
	s_waitcnt vmcnt(0)
	v_cmpx_lt_i16_e32 0x7f, v6
	s_xor_b32 s23, exec_lo, s23
	s_cbranch_execz .LBB209_473
; %bb.451:
	s_mov_b32 s2, -1
	s_mov_b32 s37, exec_lo
                                        ; implicit-def: $sgpr22
	v_cmpx_eq_u16_e32 0x80, v6
; %bb.452:
	s_mov_b32 s22, 0x7f800001
	s_xor_b32 s2, exec_lo, -1
; %bb.453:
	s_or_b32 exec_lo, exec_lo, s37
	s_delay_alu instid0(SALU_CYCLE_1)
	s_and_b32 s2, s2, exec_lo
	s_or_saveexec_b32 s23, s23
	v_mov_b32_e32 v7, s22
	s_xor_b32 exec_lo, exec_lo, s23
	s_cbranch_execnz .LBB209_474
.LBB209_454:
	s_or_b32 exec_lo, exec_lo, s23
	s_and_saveexec_b32 s22, s2
	s_cbranch_execz .LBB209_456
.LBB209_455:
	v_and_b32_e32 v7, 0xffff, v6
	v_lshlrev_b32_e32 v6, 24, v6
	s_delay_alu instid0(VALU_DEP_2) | instskip(NEXT) | instid1(VALU_DEP_2)
	v_and_b32_e32 v8, 3, v7
	v_and_b32_e32 v6, 0x80000000, v6
	s_delay_alu instid0(VALU_DEP_2) | instskip(NEXT) | instid1(VALU_DEP_1)
	v_clz_i32_u32_e32 v9, v8
	v_min_u32_e32 v9, 32, v9
	s_delay_alu instid0(VALU_DEP_1) | instskip(SKIP_1) | instid1(VALU_DEP_2)
	v_subrev_nc_u32_e32 v10, 29, v9
	v_sub_nc_u32_e32 v9, 30, v9
	v_lshlrev_b32_e32 v10, v10, v7
	v_bfe_u32 v7, v7, 2, 5
	s_delay_alu instid0(VALU_DEP_2) | instskip(NEXT) | instid1(VALU_DEP_2)
	v_and_b32_e32 v10, 3, v10
	v_cmp_eq_u32_e32 vcc_lo, 0, v7
	s_delay_alu instid0(VALU_DEP_2) | instskip(NEXT) | instid1(VALU_DEP_1)
	v_dual_cndmask_b32 v7, v7, v9 :: v_dual_cndmask_b32 v8, v8, v10
	v_lshl_add_u32 v7, v7, 23, 0x37800000
	s_delay_alu instid0(VALU_DEP_2) | instskip(NEXT) | instid1(VALU_DEP_1)
	v_lshlrev_b32_e32 v8, 21, v8
	v_or3_b32 v7, v6, v7, v8
.LBB209_456:
	s_or_b32 exec_lo, exec_lo, s22
	s_delay_alu instid0(VALU_DEP_1) | instskip(SKIP_2) | instid1(VALU_DEP_2)
	v_bfe_u32 v6, v7, 16, 1
	v_cmp_o_f32_e32 vcc_lo, v7, v7
	s_mov_b32 s2, 0
	v_add3_u32 v6, v7, v6, 0x7fff
	s_delay_alu instid0(VALU_DEP_1) | instskip(NEXT) | instid1(VALU_DEP_1)
	v_lshrrev_b32_e32 v6, 16, v6
	v_cndmask_b32_e32 v6, 0x7fc0, v6, vcc_lo
	s_branch .LBB209_462
.LBB209_457:
	s_mov_b32 s22, -1
                                        ; implicit-def: $vgpr6
	s_branch .LBB209_468
.LBB209_458:
	s_or_saveexec_b32 s23, s23
	v_mov_b32_e32 v7, s22
	s_xor_b32 exec_lo, exec_lo, s23
	s_cbranch_execz .LBB209_441
.LBB209_459:
	v_cmp_ne_u16_e32 vcc_lo, 0, v6
	v_mov_b32_e32 v7, 0
	s_and_not1_b32 s2, s2, exec_lo
	s_and_b32 s22, vcc_lo, exec_lo
	s_delay_alu instid0(SALU_CYCLE_1)
	s_or_b32 s2, s2, s22
	s_or_b32 exec_lo, exec_lo, s23
	s_and_saveexec_b32 s22, s2
	s_cbranch_execnz .LBB209_442
	s_branch .LBB209_443
.LBB209_460:
	s_mov_b32 s2, -1
                                        ; implicit-def: $vgpr6
	s_branch .LBB209_465
.LBB209_461:
	s_mov_b32 s2, -1
                                        ; implicit-def: $vgpr6
.LBB209_462:
	s_delay_alu instid0(SALU_CYCLE_1)
	s_and_b32 vcc_lo, exec_lo, s2
	s_cbranch_vccz .LBB209_464
; %bb.463:
	global_load_u8 v6, v[1:2], off
	s_waitcnt vmcnt(0)
	v_lshlrev_b32_e32 v6, 24, v6
	s_delay_alu instid0(VALU_DEP_1) | instskip(NEXT) | instid1(VALU_DEP_1)
	v_and_b32_e32 v7, 0x7f000000, v6
	v_clz_i32_u32_e32 v8, v7
	v_add_nc_u32_e32 v10, 0x1000000, v7
	v_cmp_ne_u32_e32 vcc_lo, 0, v7
	s_delay_alu instid0(VALU_DEP_3) | instskip(NEXT) | instid1(VALU_DEP_1)
	v_min_u32_e32 v8, 32, v8
	v_sub_nc_u32_e64 v8, v8, 4 clamp
	s_delay_alu instid0(VALU_DEP_1) | instskip(SKIP_1) | instid1(VALU_DEP_2)
	v_lshlrev_b32_e32 v9, v8, v7
	v_lshlrev_b32_e32 v8, 23, v8
	v_lshrrev_b32_e32 v9, 4, v9
	s_delay_alu instid0(VALU_DEP_1) | instskip(SKIP_1) | instid1(VALU_DEP_2)
	v_sub_nc_u32_e32 v8, v9, v8
	v_ashrrev_i32_e32 v9, 8, v10
	v_add_nc_u32_e32 v8, 0x3c000000, v8
	s_delay_alu instid0(VALU_DEP_1) | instskip(NEXT) | instid1(VALU_DEP_1)
	v_and_or_b32 v8, 0x7f800000, v9, v8
	v_cndmask_b32_e32 v7, 0, v8, vcc_lo
	s_delay_alu instid0(VALU_DEP_1) | instskip(SKIP_1) | instid1(VALU_DEP_2)
	v_and_or_b32 v6, 0x80000000, v6, v7
	v_bfe_u32 v7, v7, 16, 1
	v_cmp_o_f32_e32 vcc_lo, v6, v6
	s_delay_alu instid0(VALU_DEP_2) | instskip(NEXT) | instid1(VALU_DEP_1)
	v_add3_u32 v7, v6, v7, 0x7fff
	v_lshrrev_b32_e32 v7, 16, v7
	s_delay_alu instid0(VALU_DEP_1)
	v_cndmask_b32_e32 v6, 0x7fc0, v7, vcc_lo
.LBB209_464:
	s_mov_b32 s2, 0
.LBB209_465:
	s_delay_alu instid0(SALU_CYCLE_1)
	s_and_not1_b32 vcc_lo, exec_lo, s2
	s_cbranch_vccnz .LBB209_467
; %bb.466:
	global_load_u8 v6, v[1:2], off
	s_waitcnt vmcnt(0)
	v_lshlrev_b32_e32 v7, 25, v6
	v_lshlrev_b16 v6, 8, v6
	s_delay_alu instid0(VALU_DEP_2) | instskip(NEXT) | instid1(VALU_DEP_2)
	v_lshrrev_b32_e32 v8, 4, v7
	v_and_or_b32 v9, 0x7f00, v6, 0.5
	v_bfe_i32 v6, v6, 0, 16
	s_delay_alu instid0(VALU_DEP_3) | instskip(NEXT) | instid1(VALU_DEP_1)
	v_or_b32_e32 v8, 0x70000000, v8
	v_dual_add_f32 v9, -0.5, v9 :: v_dual_mul_f32 v8, 0x7800000, v8
	v_cmp_gt_u32_e32 vcc_lo, 0x8000000, v7
	s_delay_alu instid0(VALU_DEP_2) | instskip(NEXT) | instid1(VALU_DEP_1)
	v_cndmask_b32_e32 v7, v8, v9, vcc_lo
	v_and_or_b32 v6, 0x80000000, v6, v7
	v_bfe_u32 v7, v7, 16, 1
	s_delay_alu instid0(VALU_DEP_2) | instskip(NEXT) | instid1(VALU_DEP_2)
	v_cmp_o_f32_e32 vcc_lo, v6, v6
	v_add3_u32 v7, v6, v7, 0x7fff
	s_delay_alu instid0(VALU_DEP_1) | instskip(NEXT) | instid1(VALU_DEP_1)
	v_lshrrev_b32_e32 v7, 16, v7
	v_cndmask_b32_e32 v6, 0x7fc0, v7, vcc_lo
.LBB209_467:
	s_mov_b32 s22, 0
	s_mov_b32 s2, -1
.LBB209_468:
	s_and_not1_b32 vcc_lo, exec_lo, s22
	s_cbranch_vccnz .LBB209_481
; %bb.469:
	v_cmp_lt_i16_e32 vcc_lo, 14, v4
	s_cbranch_vccz .LBB209_472
; %bb.470:
	v_cmp_eq_u16_e32 vcc_lo, 15, v4
	s_cbranch_vccz .LBB209_475
; %bb.471:
	global_load_u16 v6, v[1:2], off
	s_mov_b32 s2, -1
	s_mov_b32 s3, 0
	s_branch .LBB209_476
.LBB209_472:
	s_mov_b32 s22, -1
                                        ; implicit-def: $vgpr6
	s_branch .LBB209_477
.LBB209_473:
	s_or_saveexec_b32 s23, s23
	v_mov_b32_e32 v7, s22
	s_xor_b32 exec_lo, exec_lo, s23
	s_cbranch_execz .LBB209_454
.LBB209_474:
	v_cmp_ne_u16_e32 vcc_lo, 0, v6
	v_mov_b32_e32 v7, 0
	s_and_not1_b32 s2, s2, exec_lo
	s_and_b32 s22, vcc_lo, exec_lo
	s_delay_alu instid0(SALU_CYCLE_1)
	s_or_b32 s2, s2, s22
	s_or_b32 exec_lo, exec_lo, s23
	s_and_saveexec_b32 s22, s2
	s_cbranch_execnz .LBB209_455
	s_branch .LBB209_456
.LBB209_475:
	s_mov_b32 s3, -1
                                        ; implicit-def: $vgpr6
.LBB209_476:
	s_mov_b32 s22, 0
.LBB209_477:
	s_delay_alu instid0(SALU_CYCLE_1)
	s_and_b32 vcc_lo, exec_lo, s22
	s_cbranch_vccz .LBB209_481
; %bb.478:
	v_cmp_eq_u16_e32 vcc_lo, 11, v4
	s_cbranch_vccz .LBB209_480
; %bb.479:
	global_load_u8 v6, v[1:2], off
	s_mov_b32 s3, 0
	s_mov_b32 s2, -1
	s_waitcnt vmcnt(0)
	v_cmp_ne_u16_e32 vcc_lo, 0, v6
	v_cndmask_b32_e64 v6, 0, 1.0, vcc_lo
	s_delay_alu instid0(VALU_DEP_1)
	v_lshrrev_b32_e32 v6, 16, v6
	s_branch .LBB209_481
.LBB209_480:
	s_mov_b32 s3, -1
                                        ; implicit-def: $vgpr6
.LBB209_481:
	s_branch .LBB209_286
.LBB209_482:
	v_cmp_gt_i16_e32 vcc_lo, 5, v4
	s_cbranch_vccnz .LBB209_487
; %bb.483:
	v_cmp_gt_i16_e32 vcc_lo, 8, v4
	s_cbranch_vccnz .LBB209_488
; %bb.484:
	;; [unrolled: 3-line block ×3, first 2 shown]
	v_cmp_lt_i16_e32 vcc_lo, 9, v4
	s_cbranch_vccz .LBB209_490
; %bb.486:
	global_load_b64 v[6:7], v[1:2], off
	s_mov_b32 s2, 0
	s_waitcnt vmcnt(0)
	v_cvt_f32_f64_e32 v6, v[6:7]
	s_delay_alu instid0(VALU_DEP_1) | instskip(SKIP_1) | instid1(VALU_DEP_2)
	v_bfe_u32 v7, v6, 16, 1
	v_cmp_o_f32_e32 vcc_lo, v6, v6
	v_add3_u32 v7, v6, v7, 0x7fff
	s_delay_alu instid0(VALU_DEP_1) | instskip(NEXT) | instid1(VALU_DEP_1)
	v_lshrrev_b32_e32 v7, 16, v7
	v_cndmask_b32_e32 v6, 0x7fc0, v7, vcc_lo
	s_branch .LBB209_491
.LBB209_487:
	s_mov_b32 s2, -1
                                        ; implicit-def: $vgpr6
	s_branch .LBB209_509
.LBB209_488:
	s_mov_b32 s2, -1
                                        ; implicit-def: $vgpr6
	s_branch .LBB209_497
.LBB209_489:
	s_mov_b32 s2, -1
                                        ; implicit-def: $vgpr6
	s_branch .LBB209_494
.LBB209_490:
	s_mov_b32 s2, -1
                                        ; implicit-def: $vgpr6
.LBB209_491:
	s_delay_alu instid0(SALU_CYCLE_1)
	s_and_not1_b32 vcc_lo, exec_lo, s2
	s_cbranch_vccnz .LBB209_493
; %bb.492:
	global_load_b32 v6, v[1:2], off
	s_waitcnt vmcnt(0)
	v_bfe_u32 v7, v6, 16, 1
	v_cmp_o_f32_e32 vcc_lo, v6, v6
	s_delay_alu instid0(VALU_DEP_2) | instskip(NEXT) | instid1(VALU_DEP_1)
	v_add3_u32 v7, v6, v7, 0x7fff
	v_lshrrev_b32_e32 v7, 16, v7
	s_delay_alu instid0(VALU_DEP_1)
	v_cndmask_b32_e32 v6, 0x7fc0, v7, vcc_lo
.LBB209_493:
	s_mov_b32 s2, 0
.LBB209_494:
	s_delay_alu instid0(SALU_CYCLE_1)
	s_and_not1_b32 vcc_lo, exec_lo, s2
	s_cbranch_vccnz .LBB209_496
; %bb.495:
	global_load_b32 v6, v[1:2], off
	s_waitcnt vmcnt(0)
	v_cvt_f32_f16_e32 v7, v6
	v_cmp_o_f16_e32 vcc_lo, v6, v6
	s_delay_alu instid0(VALU_DEP_2) | instskip(NEXT) | instid1(VALU_DEP_1)
	v_bfe_u32 v8, v7, 16, 1
	v_add3_u32 v7, v7, v8, 0x7fff
	s_delay_alu instid0(VALU_DEP_1) | instskip(NEXT) | instid1(VALU_DEP_1)
	v_lshrrev_b32_e32 v7, 16, v7
	v_cndmask_b32_e32 v6, 0x7fc0, v7, vcc_lo
.LBB209_496:
	s_mov_b32 s2, 0
.LBB209_497:
	s_delay_alu instid0(SALU_CYCLE_1)
	s_and_not1_b32 vcc_lo, exec_lo, s2
	s_cbranch_vccnz .LBB209_508
; %bb.498:
	v_cmp_gt_i16_e32 vcc_lo, 6, v4
	s_cbranch_vccnz .LBB209_501
; %bb.499:
	v_cmp_lt_i16_e32 vcc_lo, 6, v4
	s_cbranch_vccz .LBB209_502
; %bb.500:
	global_load_b64 v[6:7], v[1:2], off
	s_mov_b32 s2, 0
	s_waitcnt vmcnt(0)
	v_cvt_f32_f64_e32 v6, v[6:7]
	s_delay_alu instid0(VALU_DEP_1) | instskip(SKIP_1) | instid1(VALU_DEP_2)
	v_bfe_u32 v7, v6, 16, 1
	v_cmp_o_f32_e32 vcc_lo, v6, v6
	v_add3_u32 v7, v6, v7, 0x7fff
	s_delay_alu instid0(VALU_DEP_1) | instskip(NEXT) | instid1(VALU_DEP_1)
	v_lshrrev_b32_e32 v7, 16, v7
	v_cndmask_b32_e32 v6, 0x7fc0, v7, vcc_lo
	s_branch .LBB209_503
.LBB209_501:
	s_mov_b32 s2, -1
                                        ; implicit-def: $vgpr6
	s_branch .LBB209_506
.LBB209_502:
	s_mov_b32 s2, -1
                                        ; implicit-def: $vgpr6
.LBB209_503:
	s_delay_alu instid0(SALU_CYCLE_1)
	s_and_not1_b32 vcc_lo, exec_lo, s2
	s_cbranch_vccnz .LBB209_505
; %bb.504:
	global_load_b32 v6, v[1:2], off
	s_waitcnt vmcnt(0)
	v_bfe_u32 v7, v6, 16, 1
	v_cmp_o_f32_e32 vcc_lo, v6, v6
	s_delay_alu instid0(VALU_DEP_2) | instskip(NEXT) | instid1(VALU_DEP_1)
	v_add3_u32 v7, v6, v7, 0x7fff
	v_lshrrev_b32_e32 v7, 16, v7
	s_delay_alu instid0(VALU_DEP_1)
	v_cndmask_b32_e32 v6, 0x7fc0, v7, vcc_lo
.LBB209_505:
	s_mov_b32 s2, 0
.LBB209_506:
	s_delay_alu instid0(SALU_CYCLE_1)
	s_and_not1_b32 vcc_lo, exec_lo, s2
	s_cbranch_vccnz .LBB209_508
; %bb.507:
	global_load_u16 v6, v[1:2], off
	s_waitcnt vmcnt(0)
	v_cvt_f32_f16_e32 v7, v6
	v_cmp_o_f16_e32 vcc_lo, v6, v6
	s_delay_alu instid0(VALU_DEP_2) | instskip(NEXT) | instid1(VALU_DEP_1)
	v_bfe_u32 v8, v7, 16, 1
	v_add3_u32 v7, v7, v8, 0x7fff
	s_delay_alu instid0(VALU_DEP_1) | instskip(NEXT) | instid1(VALU_DEP_1)
	v_lshrrev_b32_e32 v7, 16, v7
	v_cndmask_b32_e32 v6, 0x7fc0, v7, vcc_lo
.LBB209_508:
	s_mov_b32 s2, 0
.LBB209_509:
	s_delay_alu instid0(SALU_CYCLE_1)
	s_and_not1_b32 vcc_lo, exec_lo, s2
	s_cbranch_vccnz .LBB209_529
; %bb.510:
	v_cmp_gt_i16_e32 vcc_lo, 2, v4
	s_cbranch_vccnz .LBB209_514
; %bb.511:
	v_cmp_gt_i16_e32 vcc_lo, 3, v4
	s_cbranch_vccnz .LBB209_515
; %bb.512:
	v_cmp_lt_i16_e32 vcc_lo, 3, v4
	s_cbranch_vccz .LBB209_516
; %bb.513:
	global_load_b64 v[6:7], v[1:2], off
	s_mov_b32 s2, 0
	s_waitcnt vmcnt(0)
	v_xor_b32_e32 v8, v6, v7
	v_cls_i32_e32 v9, v7
	s_delay_alu instid0(VALU_DEP_2) | instskip(NEXT) | instid1(VALU_DEP_2)
	v_ashrrev_i32_e32 v8, 31, v8
	v_add_nc_u32_e32 v9, -1, v9
	s_delay_alu instid0(VALU_DEP_2) | instskip(NEXT) | instid1(VALU_DEP_1)
	v_add_nc_u32_e32 v8, 32, v8
	v_min_u32_e32 v8, v9, v8
	s_delay_alu instid0(VALU_DEP_1) | instskip(NEXT) | instid1(VALU_DEP_1)
	v_lshlrev_b64 v[6:7], v8, v[6:7]
	v_min_u32_e32 v6, 1, v6
	s_delay_alu instid0(VALU_DEP_1) | instskip(SKIP_1) | instid1(VALU_DEP_2)
	v_or_b32_e32 v6, v7, v6
	v_sub_nc_u32_e32 v7, 32, v8
	v_cvt_f32_i32_e32 v6, v6
	s_delay_alu instid0(VALU_DEP_1) | instskip(NEXT) | instid1(VALU_DEP_1)
	v_ldexp_f32 v6, v6, v7
	v_bfe_u32 v7, v6, 16, 1
	s_delay_alu instid0(VALU_DEP_1) | instskip(NEXT) | instid1(VALU_DEP_1)
	v_add3_u32 v6, v6, v7, 0x7fff
	v_lshrrev_b32_e32 v6, 16, v6
	s_branch .LBB209_517
.LBB209_514:
	s_mov_b32 s2, -1
                                        ; implicit-def: $vgpr6
	s_branch .LBB209_523
.LBB209_515:
	s_mov_b32 s2, -1
                                        ; implicit-def: $vgpr6
	s_branch .LBB209_520
.LBB209_516:
	s_mov_b32 s2, -1
                                        ; implicit-def: $vgpr6
.LBB209_517:
	s_delay_alu instid0(SALU_CYCLE_1)
	s_and_not1_b32 vcc_lo, exec_lo, s2
	s_cbranch_vccnz .LBB209_519
; %bb.518:
	global_load_b32 v6, v[1:2], off
	s_waitcnt vmcnt(0)
	v_cvt_f32_i32_e32 v6, v6
	s_delay_alu instid0(VALU_DEP_1) | instskip(NEXT) | instid1(VALU_DEP_1)
	v_bfe_u32 v7, v6, 16, 1
	v_add3_u32 v6, v6, v7, 0x7fff
	s_delay_alu instid0(VALU_DEP_1)
	v_lshrrev_b32_e32 v6, 16, v6
.LBB209_519:
	s_mov_b32 s2, 0
.LBB209_520:
	s_delay_alu instid0(SALU_CYCLE_1)
	s_and_not1_b32 vcc_lo, exec_lo, s2
	s_cbranch_vccnz .LBB209_522
; %bb.521:
	global_load_i16 v6, v[1:2], off
	s_waitcnt vmcnt(0)
	v_cvt_f32_i32_e32 v6, v6
	s_delay_alu instid0(VALU_DEP_1) | instskip(NEXT) | instid1(VALU_DEP_1)
	v_bfe_u32 v7, v6, 16, 1
	v_add3_u32 v6, v6, v7, 0x7fff
	s_delay_alu instid0(VALU_DEP_1)
	v_lshrrev_b32_e32 v6, 16, v6
.LBB209_522:
	s_mov_b32 s2, 0
.LBB209_523:
	s_delay_alu instid0(SALU_CYCLE_1)
	s_and_not1_b32 vcc_lo, exec_lo, s2
	s_cbranch_vccnz .LBB209_529
; %bb.524:
	v_cmp_lt_i16_e32 vcc_lo, 0, v4
	s_mov_b32 s2, 0
	s_cbranch_vccz .LBB209_526
; %bb.525:
	global_load_i8 v6, v[1:2], off
	s_waitcnt vmcnt(0)
	v_cvt_f32_i32_e32 v6, v6
	s_delay_alu instid0(VALU_DEP_1) | instskip(NEXT) | instid1(VALU_DEP_1)
	v_bfe_u32 v7, v6, 16, 1
	v_add3_u32 v6, v6, v7, 0x7fff
	s_delay_alu instid0(VALU_DEP_1)
	v_lshrrev_b32_e32 v6, 16, v6
	s_branch .LBB209_527
.LBB209_526:
	s_mov_b32 s2, -1
                                        ; implicit-def: $vgpr6
.LBB209_527:
	s_delay_alu instid0(SALU_CYCLE_1)
	s_and_not1_b32 vcc_lo, exec_lo, s2
	s_cbranch_vccnz .LBB209_529
; %bb.528:
	global_load_u8 v1, v[1:2], off
	s_waitcnt vmcnt(0)
	v_cvt_f32_ubyte0_e32 v1, v1
	s_delay_alu instid0(VALU_DEP_1) | instskip(NEXT) | instid1(VALU_DEP_1)
	v_bfe_u32 v2, v1, 16, 1
	v_add3_u32 v1, v1, v2, 0x7fff
	s_delay_alu instid0(VALU_DEP_1)
	v_lshrrev_b32_e32 v6, 16, v1
.LBB209_529:
	s_branch .LBB209_287
.LBB209_530:
	s_mov_b32 s22, 0
	s_mov_b32 s2, s34
.LBB209_531:
                                        ; implicit-def: $vgpr5
.LBB209_532:
	s_and_not1_b32 s23, s34, exec_lo
	s_and_b32 s2, s2, exec_lo
	s_and_not1_b32 s37, s35, exec_lo
	s_and_b32 s3, s3, exec_lo
	s_or_b32 s38, s23, s2
	s_or_b32 s37, s37, s3
	s_or_not1_b32 s2, s22, exec_lo
.LBB209_533:
	s_or_b32 exec_lo, exec_lo, s39
	s_mov_b32 s3, 0
	s_mov_b32 s23, 0
	;; [unrolled: 1-line block ×3, first 2 shown]
                                        ; implicit-def: $vgpr1_vgpr2
                                        ; implicit-def: $vgpr0
                                        ; implicit-def: $vgpr6
	s_and_saveexec_b32 s39, s2
	s_cbranch_execz .LBB209_905
; %bb.534:
	s_mov_b32 s42, -1
	s_mov_b32 s22, s37
	s_mov_b32 s23, s38
	s_mov_b32 s40, exec_lo
	v_cmpx_gt_i32_e64 s30, v5
	s_cbranch_execz .LBB209_806
; %bb.535:
	s_and_not1_b32 vcc_lo, exec_lo, s27
	s_cbranch_vccnz .LBB209_540
; %bb.536:
	v_dual_mov_b32 v0, 0 :: v_dual_mov_b32 v1, 0
	s_and_not1_b32 vcc_lo, exec_lo, s33
	s_mov_b32 s41, 0
	s_cbranch_vccnz .LBB209_545
; %bb.537:
	v_mov_b32_e32 v0, 0
	s_add_i32 s43, s31, 1
	s_cmp_eq_u32 s25, 2
	s_mov_b32 s42, 0
	s_cbranch_scc1 .LBB209_541
; %bb.538:
	v_dual_mov_b32 v1, 0 :: v_dual_mov_b32 v0, 0
	v_mov_b32_e32 v2, v5
	s_and_b32 s42, s43, 28
	s_mov_b32 s44, 0
	s_mov_b64 s[2:3], s[20:21]
	s_mov_b64 s[22:23], s[16:17]
.LBB209_539:                            ; =>This Inner Loop Header: Depth=1
	s_clause 0x1
	s_load_b256 s[48:55], s[22:23], 0x4
	s_load_b128 s[64:67], s[22:23], 0x24
	s_load_b256 s[56:63], s[2:3], 0x0
	s_add_u32 s22, s22, 48
	s_addc_u32 s23, s23, 0
	s_add_i32 s44, s44, 4
	s_add_u32 s2, s2, 32
	s_addc_u32 s3, s3, 0
	s_cmp_eq_u32 s42, s44
	s_waitcnt vmcnt(0) lgkmcnt(0)
	v_mul_hi_u32 v6, s49, v2
	s_delay_alu instid0(VALU_DEP_1) | instskip(NEXT) | instid1(VALU_DEP_1)
	v_add_nc_u32_e32 v6, v2, v6
	v_lshrrev_b32_e32 v6, s50, v6
	s_delay_alu instid0(VALU_DEP_1) | instskip(SKIP_1) | instid1(VALU_DEP_2)
	v_mul_hi_u32 v7, s52, v6
	v_mul_lo_u32 v9, v6, s48
	v_add_nc_u32_e32 v7, v6, v7
	s_delay_alu instid0(VALU_DEP_2) | instskip(NEXT) | instid1(VALU_DEP_2)
	v_sub_nc_u32_e32 v2, v2, v9
	v_lshrrev_b32_e32 v7, s53, v7
	s_delay_alu instid0(VALU_DEP_2) | instskip(SKIP_1) | instid1(VALU_DEP_3)
	v_mul_lo_u32 v9, v2, s56
	v_mul_lo_u32 v11, v2, s57
	v_mul_hi_u32 v8, s55, v7
	s_delay_alu instid0(VALU_DEP_1) | instskip(NEXT) | instid1(VALU_DEP_1)
	v_add_nc_u32_e32 v8, v7, v8
	v_lshrrev_b32_e32 v8, s64, v8
	s_delay_alu instid0(VALU_DEP_1) | instskip(SKIP_1) | instid1(VALU_DEP_2)
	v_mul_hi_u32 v10, s66, v8
	v_mul_lo_u32 v12, v8, s54
	v_add_nc_u32_e32 v2, v8, v10
	v_mul_lo_u32 v10, v7, s51
	s_delay_alu instid0(VALU_DEP_3) | instskip(NEXT) | instid1(VALU_DEP_3)
	v_sub_nc_u32_e32 v7, v7, v12
	v_lshrrev_b32_e32 v2, s67, v2
	s_delay_alu instid0(VALU_DEP_2) | instskip(SKIP_2) | instid1(VALU_DEP_4)
	v_mul_lo_u32 v12, v7, s60
	v_mul_lo_u32 v7, v7, s61
	v_sub_nc_u32_e32 v6, v6, v10
	v_mul_lo_u32 v13, v2, s65
	s_delay_alu instid0(VALU_DEP_2) | instskip(SKIP_1) | instid1(VALU_DEP_3)
	v_mul_lo_u32 v10, v6, s58
	v_mul_lo_u32 v6, v6, s59
	v_sub_nc_u32_e32 v8, v8, v13
	s_delay_alu instid0(VALU_DEP_3) | instskip(NEXT) | instid1(VALU_DEP_2)
	v_add3_u32 v0, v9, v0, v10
	v_mul_lo_u32 v13, v8, s62
	v_mul_lo_u32 v8, v8, s63
	v_add3_u32 v1, v11, v1, v6
	s_delay_alu instid0(VALU_DEP_3) | instskip(NEXT) | instid1(VALU_DEP_2)
	v_add3_u32 v0, v12, v0, v13
	v_add3_u32 v1, v7, v1, v8
	s_cbranch_scc0 .LBB209_539
	s_branch .LBB209_542
.LBB209_540:
	s_mov_b32 s41, -1
                                        ; implicit-def: $vgpr0
                                        ; implicit-def: $vgpr1
	s_branch .LBB209_545
.LBB209_541:
	v_dual_mov_b32 v2, v5 :: v_dual_mov_b32 v1, 0
.LBB209_542:
	s_and_b32 s43, s43, 3
	s_delay_alu instid0(SALU_CYCLE_1)
	s_cmp_eq_u32 s43, 0
	s_cbranch_scc1 .LBB209_545
; %bb.543:
	s_lshl_b32 s2, s42, 3
	s_mul_i32 s22, s42, 12
	s_add_u32 s2, s2, s16
	s_addc_u32 s3, s17, 0
	s_add_u32 s2, s2, 0xc4
	s_addc_u32 s3, s3, 0
	;; [unrolled: 2-line block ×3, first 2 shown]
	.p2align	6
.LBB209_544:                            ; =>This Inner Loop Header: Depth=1
	s_clause 0x1
	s_load_b64 s[44:45], s[22:23], 0x4
	s_load_b32 s42, s[22:23], 0xc
	s_load_b64 s[46:47], s[2:3], 0x0
	s_add_u32 s22, s22, 12
	s_addc_u32 s23, s23, 0
	s_add_u32 s2, s2, 8
	s_addc_u32 s3, s3, 0
	s_add_i32 s43, s43, -1
	s_delay_alu instid0(SALU_CYCLE_1) | instskip(SKIP_2) | instid1(VALU_DEP_1)
	s_cmp_lg_u32 s43, 0
	s_waitcnt vmcnt(0) lgkmcnt(0)
	v_mul_hi_u32 v6, s45, v2
	v_add_nc_u32_e32 v6, v2, v6
	s_delay_alu instid0(VALU_DEP_1) | instskip(NEXT) | instid1(VALU_DEP_1)
	v_lshrrev_b32_e32 v9, s42, v6
	v_mul_lo_u32 v6, v9, s44
	s_delay_alu instid0(VALU_DEP_1) | instskip(NEXT) | instid1(VALU_DEP_1)
	v_sub_nc_u32_e32 v2, v2, v6
	v_mad_u64_u32 v[6:7], null, v2, s46, v[0:1]
	v_mad_u64_u32 v[7:8], null, v2, s47, v[1:2]
	v_mov_b32_e32 v2, v9
	s_delay_alu instid0(VALU_DEP_2)
	v_dual_mov_b32 v0, v6 :: v_dual_mov_b32 v1, v7
	s_cbranch_scc1 .LBB209_544
.LBB209_545:
	s_and_not1_b32 vcc_lo, exec_lo, s41
	s_cbranch_vccnz .LBB209_548
; %bb.546:
	s_waitcnt lgkmcnt(0)
	v_mul_hi_u32 v0, s13, v5
	s_and_not1_b32 vcc_lo, exec_lo, s29
	s_delay_alu instid0(VALU_DEP_1) | instskip(NEXT) | instid1(VALU_DEP_1)
	v_add_nc_u32_e32 v0, v5, v0
	v_lshrrev_b32_e32 v2, s14, v0
	s_delay_alu instid0(VALU_DEP_1) | instskip(NEXT) | instid1(VALU_DEP_1)
	v_mul_lo_u32 v0, v2, s12
	v_sub_nc_u32_e32 v1, v5, v0
	s_delay_alu instid0(VALU_DEP_1)
	v_mul_lo_u32 v0, v1, s8
	v_mul_lo_u32 v1, v1, s9
	s_cbranch_vccnz .LBB209_548
; %bb.547:
	s_waitcnt vmcnt(0)
	v_mul_hi_u32 v6, s18, v2
	s_delay_alu instid0(VALU_DEP_1) | instskip(NEXT) | instid1(VALU_DEP_1)
	v_add_nc_u32_e32 v6, v2, v6
	v_lshrrev_b32_e32 v6, s19, v6
	s_delay_alu instid0(VALU_DEP_1) | instskip(NEXT) | instid1(VALU_DEP_1)
	v_mul_lo_u32 v6, v6, s15
	v_sub_nc_u32_e32 v2, v2, v6
	s_delay_alu instid0(VALU_DEP_1) | instskip(SKIP_1) | instid1(VALU_DEP_1)
	v_mad_u64_u32 v[6:7], null, v2, s10, v[0:1]
	v_mad_u64_u32 v[7:8], null, v2, s11, v[1:2]
	v_dual_mov_b32 v0, v6 :: v_dual_mov_b32 v1, v7
.LBB209_548:
	v_cmp_gt_i16_e32 vcc_lo, 11, v4
	s_waitcnt lgkmcnt(0)
	s_delay_alu instid0(VALU_DEP_2) | instskip(NEXT) | instid1(VALU_DEP_1)
	v_add_co_u32 v1, s2, s6, v1
	v_add_co_ci_u32_e64 v2, null, s7, 0, s2
	s_mov_b32 s2, 0
	s_cbranch_vccnz .LBB209_555
; %bb.549:
	v_cmp_lt_i16_e32 vcc_lo, 25, v4
	s_cbranch_vccz .LBB209_556
; %bb.550:
	v_cmp_lt_i16_e32 vcc_lo, 28, v4
	s_cbranch_vccz .LBB209_557
	;; [unrolled: 3-line block ×4, first 2 shown]
; %bb.553:
	v_cmp_eq_u16_e32 vcc_lo, 46, v4
	s_mov_b32 s22, 0
	s_cbranch_vccz .LBB209_564
; %bb.554:
	global_load_b32 v6, v[1:2], off
	s_mov_b32 s2, -1
	s_mov_b32 s3, 0
	s_branch .LBB209_566
.LBB209_555:
	s_mov_b32 s22, -1
	s_mov_b32 s3, s37
                                        ; implicit-def: $vgpr6
	s_branch .LBB209_631
.LBB209_556:
	s_mov_b32 s22, -1
	s_mov_b32 s3, s37
                                        ; implicit-def: $vgpr6
	s_branch .LBB209_595
.LBB209_557:
	s_mov_b32 s22, -1
	s_mov_b32 s3, s37
                                        ; implicit-def: $vgpr6
	s_branch .LBB209_576
.LBB209_558:
	s_mov_b32 s22, -1
	s_mov_b32 s3, s37
                                        ; implicit-def: $vgpr6
	s_branch .LBB209_571
.LBB209_559:
	s_or_saveexec_b32 s37, s37
                                        ; implicit-def: $sgpr38
	s_delay_alu instid0(SALU_CYCLE_1)
	s_xor_b32 exec_lo, exec_lo, s37
	s_cbranch_execz .LBB209_370
.LBB209_560:
	v_add_f32_e64 v8, 0x46000000, |v9|
	s_and_not1_b32 s23, s23, exec_lo
	s_mov_b32 s38, 0
	s_delay_alu instid0(VALU_DEP_1) | instskip(NEXT) | instid1(VALU_DEP_1)
	v_and_b32_e32 v8, 0xff, v8
	v_cmp_ne_u32_e32 vcc_lo, 0, v8
	s_and_b32 s40, vcc_lo, exec_lo
	s_delay_alu instid0(SALU_CYCLE_1)
	s_or_b32 s23, s23, s40
	s_or_b32 exec_lo, exec_lo, s37
	v_mov_b32_e32 v10, s38
	s_and_saveexec_b32 s37, s23
	s_cbranch_execnz .LBB209_371
	s_branch .LBB209_372
.LBB209_561:
	s_mov_b32 s22, -1
	s_mov_b32 s3, s37
	s_branch .LBB209_565
.LBB209_562:
	s_or_saveexec_b32 s37, s37
                                        ; implicit-def: $sgpr38
	s_delay_alu instid0(SALU_CYCLE_1)
	s_xor_b32 exec_lo, exec_lo, s37
	s_cbranch_execz .LBB209_383
.LBB209_563:
	v_add_f32_e64 v8, 0x42800000, |v9|
	s_and_not1_b32 s23, s23, exec_lo
	s_mov_b32 s38, 0
	s_delay_alu instid0(VALU_DEP_1) | instskip(NEXT) | instid1(VALU_DEP_1)
	v_and_b32_e32 v8, 0xff, v8
	v_cmp_ne_u32_e32 vcc_lo, 0, v8
	s_and_b32 s40, vcc_lo, exec_lo
	s_delay_alu instid0(SALU_CYCLE_1)
	s_or_b32 s23, s23, s40
	s_or_b32 exec_lo, exec_lo, s37
	v_mov_b32_e32 v10, s38
	s_and_saveexec_b32 s37, s23
	s_cbranch_execnz .LBB209_384
	s_branch .LBB209_385
.LBB209_564:
	s_mov_b32 s3, -1
.LBB209_565:
                                        ; implicit-def: $vgpr6
.LBB209_566:
	s_and_b32 vcc_lo, exec_lo, s22
	s_cbranch_vccz .LBB209_570
; %bb.567:
	v_cmp_eq_u16_e32 vcc_lo, 44, v4
	s_cbranch_vccz .LBB209_569
; %bb.568:
	global_load_u8 v6, v[1:2], off
	s_mov_b32 s3, 0
	s_mov_b32 s2, -1
	s_waitcnt vmcnt(0)
	v_lshlrev_b32_e32 v7, 23, v6
	v_cmp_ne_u32_e32 vcc_lo, 0xff, v6
	s_delay_alu instid0(VALU_DEP_2) | instskip(SKIP_1) | instid1(VALU_DEP_2)
	v_cndmask_b32_e32 v7, 0x7f800001, v7, vcc_lo
	v_cmp_ne_u32_e32 vcc_lo, 0, v6
	v_cndmask_b32_e32 v6, 0x400000, v7, vcc_lo
	s_delay_alu instid0(VALU_DEP_1) | instskip(SKIP_1) | instid1(VALU_DEP_2)
	v_add_nc_u32_e32 v7, 0x7fff, v6
	v_cmp_o_f32_e32 vcc_lo, v6, v6
	v_lshrrev_b32_e32 v7, 16, v7
	s_delay_alu instid0(VALU_DEP_1)
	v_cndmask_b32_e32 v6, 0x7fc0, v7, vcc_lo
	s_branch .LBB209_570
.LBB209_569:
	s_mov_b32 s3, -1
                                        ; implicit-def: $vgpr6
.LBB209_570:
	s_mov_b32 s22, 0
.LBB209_571:
	s_delay_alu instid0(SALU_CYCLE_1)
	s_and_b32 vcc_lo, exec_lo, s22
	s_cbranch_vccz .LBB209_575
; %bb.572:
	v_cmp_eq_u16_e32 vcc_lo, 29, v4
	s_cbranch_vccz .LBB209_574
; %bb.573:
	global_load_b64 v[6:7], v[1:2], off
	s_mov_b32 s2, -1
	s_mov_b32 s3, 0
	s_mov_b32 s22, 0
	s_waitcnt vmcnt(0)
	v_clz_i32_u32_e32 v8, v7
	s_delay_alu instid0(VALU_DEP_1) | instskip(NEXT) | instid1(VALU_DEP_1)
	v_min_u32_e32 v8, 32, v8
	v_lshlrev_b64 v[6:7], v8, v[6:7]
	s_delay_alu instid0(VALU_DEP_1) | instskip(NEXT) | instid1(VALU_DEP_1)
	v_min_u32_e32 v6, 1, v6
	v_or_b32_e32 v6, v7, v6
	v_sub_nc_u32_e32 v7, 32, v8
	s_delay_alu instid0(VALU_DEP_2) | instskip(NEXT) | instid1(VALU_DEP_1)
	v_cvt_f32_u32_e32 v6, v6
	v_ldexp_f32 v6, v6, v7
	s_delay_alu instid0(VALU_DEP_1) | instskip(NEXT) | instid1(VALU_DEP_1)
	v_bfe_u32 v7, v6, 16, 1
	v_add3_u32 v6, v6, v7, 0x7fff
	s_delay_alu instid0(VALU_DEP_1)
	v_lshrrev_b32_e32 v6, 16, v6
	s_branch .LBB209_576
.LBB209_574:
	s_mov_b32 s3, -1
                                        ; implicit-def: $vgpr6
.LBB209_575:
	s_mov_b32 s22, 0
.LBB209_576:
	s_delay_alu instid0(SALU_CYCLE_1)
	s_and_b32 vcc_lo, exec_lo, s22
	s_cbranch_vccz .LBB209_594
; %bb.577:
	v_cmp_gt_i16_e32 vcc_lo, 27, v4
	s_cbranch_vccnz .LBB209_580
; %bb.578:
	v_cmp_lt_i16_e32 vcc_lo, 27, v4
	s_cbranch_vccz .LBB209_581
; %bb.579:
	global_load_b32 v6, v[1:2], off
	s_mov_b32 s2, 0
	s_waitcnt vmcnt(0)
	v_cvt_f32_u32_e32 v6, v6
	s_delay_alu instid0(VALU_DEP_1) | instskip(NEXT) | instid1(VALU_DEP_1)
	v_bfe_u32 v7, v6, 16, 1
	v_add3_u32 v6, v6, v7, 0x7fff
	s_delay_alu instid0(VALU_DEP_1)
	v_lshrrev_b32_e32 v6, 16, v6
	s_branch .LBB209_582
.LBB209_580:
	s_mov_b32 s2, -1
                                        ; implicit-def: $vgpr6
	s_branch .LBB209_585
.LBB209_581:
	s_mov_b32 s2, -1
                                        ; implicit-def: $vgpr6
.LBB209_582:
	s_delay_alu instid0(SALU_CYCLE_1)
	s_and_not1_b32 vcc_lo, exec_lo, s2
	s_cbranch_vccnz .LBB209_584
; %bb.583:
	global_load_u16 v6, v[1:2], off
	s_waitcnt vmcnt(0)
	v_cvt_f32_u32_e32 v6, v6
	s_delay_alu instid0(VALU_DEP_1) | instskip(NEXT) | instid1(VALU_DEP_1)
	v_bfe_u32 v7, v6, 16, 1
	v_add3_u32 v6, v6, v7, 0x7fff
	s_delay_alu instid0(VALU_DEP_1)
	v_lshrrev_b32_e32 v6, 16, v6
.LBB209_584:
	s_mov_b32 s2, 0
.LBB209_585:
	s_delay_alu instid0(SALU_CYCLE_1)
	s_and_not1_b32 vcc_lo, exec_lo, s2
	s_cbranch_vccnz .LBB209_593
; %bb.586:
	global_load_u8 v6, v[1:2], off
	s_mov_b32 s2, 0
	s_mov_b32 s23, exec_lo
                                        ; implicit-def: $sgpr22
	s_waitcnt vmcnt(0)
	v_cmpx_lt_i16_e32 0x7f, v6
	s_xor_b32 s23, exec_lo, s23
	s_cbranch_execz .LBB209_607
; %bb.587:
	s_mov_b32 s2, -1
	s_mov_b32 s41, exec_lo
                                        ; implicit-def: $sgpr22
	v_cmpx_eq_u16_e32 0x80, v6
; %bb.588:
	s_mov_b32 s22, 0x7f800001
	s_xor_b32 s2, exec_lo, -1
; %bb.589:
	s_or_b32 exec_lo, exec_lo, s41
	s_delay_alu instid0(SALU_CYCLE_1)
	s_and_b32 s2, s2, exec_lo
	s_or_saveexec_b32 s23, s23
	v_mov_b32_e32 v7, s22
	s_xor_b32 exec_lo, exec_lo, s23
	s_cbranch_execnz .LBB209_608
.LBB209_590:
	s_or_b32 exec_lo, exec_lo, s23
	s_and_saveexec_b32 s22, s2
	s_cbranch_execz .LBB209_592
.LBB209_591:
	v_and_b32_e32 v7, 0xffff, v6
	v_lshlrev_b32_e32 v6, 24, v6
	s_delay_alu instid0(VALU_DEP_2) | instskip(NEXT) | instid1(VALU_DEP_2)
	v_and_b32_e32 v8, 7, v7
	v_and_b32_e32 v6, 0x80000000, v6
	s_delay_alu instid0(VALU_DEP_2) | instskip(NEXT) | instid1(VALU_DEP_1)
	v_clz_i32_u32_e32 v9, v8
	v_min_u32_e32 v9, 32, v9
	s_delay_alu instid0(VALU_DEP_1) | instskip(SKIP_1) | instid1(VALU_DEP_2)
	v_subrev_nc_u32_e32 v10, 28, v9
	v_sub_nc_u32_e32 v9, 29, v9
	v_lshlrev_b32_e32 v10, v10, v7
	v_bfe_u32 v7, v7, 3, 4
	s_delay_alu instid0(VALU_DEP_2) | instskip(NEXT) | instid1(VALU_DEP_2)
	v_and_b32_e32 v10, 7, v10
	v_cmp_eq_u32_e32 vcc_lo, 0, v7
	s_delay_alu instid0(VALU_DEP_2) | instskip(NEXT) | instid1(VALU_DEP_1)
	v_dual_cndmask_b32 v7, v7, v9 :: v_dual_cndmask_b32 v8, v8, v10
	v_lshl_add_u32 v7, v7, 23, 0x3b800000
	s_delay_alu instid0(VALU_DEP_2) | instskip(NEXT) | instid1(VALU_DEP_1)
	v_lshlrev_b32_e32 v8, 20, v8
	v_or3_b32 v7, v6, v7, v8
.LBB209_592:
	s_or_b32 exec_lo, exec_lo, s22
	s_delay_alu instid0(VALU_DEP_1) | instskip(SKIP_1) | instid1(VALU_DEP_2)
	v_bfe_u32 v6, v7, 16, 1
	v_cmp_o_f32_e32 vcc_lo, v7, v7
	v_add3_u32 v6, v7, v6, 0x7fff
	s_delay_alu instid0(VALU_DEP_1) | instskip(NEXT) | instid1(VALU_DEP_1)
	v_lshrrev_b32_e32 v6, 16, v6
	v_cndmask_b32_e32 v6, 0x7fc0, v6, vcc_lo
.LBB209_593:
	s_mov_b32 s2, -1
.LBB209_594:
	s_mov_b32 s22, 0
.LBB209_595:
	s_delay_alu instid0(SALU_CYCLE_1)
	s_and_b32 vcc_lo, exec_lo, s22
	s_cbranch_vccz .LBB209_630
; %bb.596:
	v_cmp_lt_i16_e32 vcc_lo, 22, v4
	s_cbranch_vccz .LBB209_606
; %bb.597:
	v_cmp_gt_i16_e32 vcc_lo, 24, v4
	s_cbranch_vccnz .LBB209_609
; %bb.598:
	v_cmp_lt_i16_e32 vcc_lo, 24, v4
	s_cbranch_vccz .LBB209_610
; %bb.599:
	global_load_u8 v6, v[1:2], off
	s_mov_b32 s2, 0
	s_mov_b32 s23, exec_lo
                                        ; implicit-def: $sgpr22
	s_waitcnt vmcnt(0)
	v_cmpx_lt_i16_e32 0x7f, v6
	s_xor_b32 s23, exec_lo, s23
	s_cbranch_execz .LBB209_622
; %bb.600:
	s_mov_b32 s2, -1
	s_mov_b32 s41, exec_lo
                                        ; implicit-def: $sgpr22
	v_cmpx_eq_u16_e32 0x80, v6
; %bb.601:
	s_mov_b32 s22, 0x7f800001
	s_xor_b32 s2, exec_lo, -1
; %bb.602:
	s_or_b32 exec_lo, exec_lo, s41
	s_delay_alu instid0(SALU_CYCLE_1)
	s_and_b32 s2, s2, exec_lo
	s_or_saveexec_b32 s23, s23
	v_mov_b32_e32 v7, s22
	s_xor_b32 exec_lo, exec_lo, s23
	s_cbranch_execnz .LBB209_623
.LBB209_603:
	s_or_b32 exec_lo, exec_lo, s23
	s_and_saveexec_b32 s22, s2
	s_cbranch_execz .LBB209_605
.LBB209_604:
	v_and_b32_e32 v7, 0xffff, v6
	v_lshlrev_b32_e32 v6, 24, v6
	s_delay_alu instid0(VALU_DEP_2) | instskip(NEXT) | instid1(VALU_DEP_2)
	v_and_b32_e32 v8, 3, v7
	v_and_b32_e32 v6, 0x80000000, v6
	s_delay_alu instid0(VALU_DEP_2) | instskip(NEXT) | instid1(VALU_DEP_1)
	v_clz_i32_u32_e32 v9, v8
	v_min_u32_e32 v9, 32, v9
	s_delay_alu instid0(VALU_DEP_1) | instskip(SKIP_1) | instid1(VALU_DEP_2)
	v_subrev_nc_u32_e32 v10, 29, v9
	v_sub_nc_u32_e32 v9, 30, v9
	v_lshlrev_b32_e32 v10, v10, v7
	v_bfe_u32 v7, v7, 2, 5
	s_delay_alu instid0(VALU_DEP_2) | instskip(NEXT) | instid1(VALU_DEP_2)
	v_and_b32_e32 v10, 3, v10
	v_cmp_eq_u32_e32 vcc_lo, 0, v7
	s_delay_alu instid0(VALU_DEP_2) | instskip(NEXT) | instid1(VALU_DEP_1)
	v_dual_cndmask_b32 v7, v7, v9 :: v_dual_cndmask_b32 v8, v8, v10
	v_lshl_add_u32 v7, v7, 23, 0x37800000
	s_delay_alu instid0(VALU_DEP_2) | instskip(NEXT) | instid1(VALU_DEP_1)
	v_lshlrev_b32_e32 v8, 21, v8
	v_or3_b32 v7, v6, v7, v8
.LBB209_605:
	s_or_b32 exec_lo, exec_lo, s22
	s_delay_alu instid0(VALU_DEP_1) | instskip(SKIP_2) | instid1(VALU_DEP_2)
	v_bfe_u32 v6, v7, 16, 1
	v_cmp_o_f32_e32 vcc_lo, v7, v7
	s_mov_b32 s2, 0
	v_add3_u32 v6, v7, v6, 0x7fff
	s_delay_alu instid0(VALU_DEP_1) | instskip(NEXT) | instid1(VALU_DEP_1)
	v_lshrrev_b32_e32 v6, 16, v6
	v_cndmask_b32_e32 v6, 0x7fc0, v6, vcc_lo
	s_branch .LBB209_611
.LBB209_606:
	s_mov_b32 s22, -1
                                        ; implicit-def: $vgpr6
	s_branch .LBB209_617
.LBB209_607:
	s_or_saveexec_b32 s23, s23
	v_mov_b32_e32 v7, s22
	s_xor_b32 exec_lo, exec_lo, s23
	s_cbranch_execz .LBB209_590
.LBB209_608:
	v_cmp_ne_u16_e32 vcc_lo, 0, v6
	v_mov_b32_e32 v7, 0
	s_and_not1_b32 s2, s2, exec_lo
	s_and_b32 s22, vcc_lo, exec_lo
	s_delay_alu instid0(SALU_CYCLE_1)
	s_or_b32 s2, s2, s22
	s_or_b32 exec_lo, exec_lo, s23
	s_and_saveexec_b32 s22, s2
	s_cbranch_execnz .LBB209_591
	s_branch .LBB209_592
.LBB209_609:
	s_mov_b32 s2, -1
                                        ; implicit-def: $vgpr6
	s_branch .LBB209_614
.LBB209_610:
	s_mov_b32 s2, -1
                                        ; implicit-def: $vgpr6
.LBB209_611:
	s_delay_alu instid0(SALU_CYCLE_1)
	s_and_b32 vcc_lo, exec_lo, s2
	s_cbranch_vccz .LBB209_613
; %bb.612:
	global_load_u8 v6, v[1:2], off
	s_waitcnt vmcnt(0)
	v_lshlrev_b32_e32 v6, 24, v6
	s_delay_alu instid0(VALU_DEP_1) | instskip(NEXT) | instid1(VALU_DEP_1)
	v_and_b32_e32 v7, 0x7f000000, v6
	v_clz_i32_u32_e32 v8, v7
	v_add_nc_u32_e32 v10, 0x1000000, v7
	v_cmp_ne_u32_e32 vcc_lo, 0, v7
	s_delay_alu instid0(VALU_DEP_3) | instskip(NEXT) | instid1(VALU_DEP_1)
	v_min_u32_e32 v8, 32, v8
	v_sub_nc_u32_e64 v8, v8, 4 clamp
	s_delay_alu instid0(VALU_DEP_1) | instskip(SKIP_1) | instid1(VALU_DEP_2)
	v_lshlrev_b32_e32 v9, v8, v7
	v_lshlrev_b32_e32 v8, 23, v8
	v_lshrrev_b32_e32 v9, 4, v9
	s_delay_alu instid0(VALU_DEP_1) | instskip(SKIP_1) | instid1(VALU_DEP_2)
	v_sub_nc_u32_e32 v8, v9, v8
	v_ashrrev_i32_e32 v9, 8, v10
	v_add_nc_u32_e32 v8, 0x3c000000, v8
	s_delay_alu instid0(VALU_DEP_1) | instskip(NEXT) | instid1(VALU_DEP_1)
	v_and_or_b32 v8, 0x7f800000, v9, v8
	v_cndmask_b32_e32 v7, 0, v8, vcc_lo
	s_delay_alu instid0(VALU_DEP_1) | instskip(SKIP_1) | instid1(VALU_DEP_2)
	v_and_or_b32 v6, 0x80000000, v6, v7
	v_bfe_u32 v7, v7, 16, 1
	v_cmp_o_f32_e32 vcc_lo, v6, v6
	s_delay_alu instid0(VALU_DEP_2) | instskip(NEXT) | instid1(VALU_DEP_1)
	v_add3_u32 v7, v6, v7, 0x7fff
	v_lshrrev_b32_e32 v7, 16, v7
	s_delay_alu instid0(VALU_DEP_1)
	v_cndmask_b32_e32 v6, 0x7fc0, v7, vcc_lo
.LBB209_613:
	s_mov_b32 s2, 0
.LBB209_614:
	s_delay_alu instid0(SALU_CYCLE_1)
	s_and_not1_b32 vcc_lo, exec_lo, s2
	s_cbranch_vccnz .LBB209_616
; %bb.615:
	global_load_u8 v6, v[1:2], off
	s_waitcnt vmcnt(0)
	v_lshlrev_b32_e32 v7, 25, v6
	v_lshlrev_b16 v6, 8, v6
	s_delay_alu instid0(VALU_DEP_2) | instskip(NEXT) | instid1(VALU_DEP_2)
	v_lshrrev_b32_e32 v8, 4, v7
	v_and_or_b32 v9, 0x7f00, v6, 0.5
	v_bfe_i32 v6, v6, 0, 16
	s_delay_alu instid0(VALU_DEP_3) | instskip(NEXT) | instid1(VALU_DEP_1)
	v_or_b32_e32 v8, 0x70000000, v8
	v_dual_add_f32 v9, -0.5, v9 :: v_dual_mul_f32 v8, 0x7800000, v8
	v_cmp_gt_u32_e32 vcc_lo, 0x8000000, v7
	s_delay_alu instid0(VALU_DEP_2) | instskip(NEXT) | instid1(VALU_DEP_1)
	v_cndmask_b32_e32 v7, v8, v9, vcc_lo
	v_and_or_b32 v6, 0x80000000, v6, v7
	v_bfe_u32 v7, v7, 16, 1
	s_delay_alu instid0(VALU_DEP_2) | instskip(NEXT) | instid1(VALU_DEP_2)
	v_cmp_o_f32_e32 vcc_lo, v6, v6
	v_add3_u32 v7, v6, v7, 0x7fff
	s_delay_alu instid0(VALU_DEP_1) | instskip(NEXT) | instid1(VALU_DEP_1)
	v_lshrrev_b32_e32 v7, 16, v7
	v_cndmask_b32_e32 v6, 0x7fc0, v7, vcc_lo
.LBB209_616:
	s_mov_b32 s22, 0
	s_mov_b32 s2, -1
.LBB209_617:
	s_and_not1_b32 vcc_lo, exec_lo, s22
	s_cbranch_vccnz .LBB209_630
; %bb.618:
	v_cmp_lt_i16_e32 vcc_lo, 14, v4
	s_cbranch_vccz .LBB209_621
; %bb.619:
	v_cmp_eq_u16_e32 vcc_lo, 15, v4
	s_cbranch_vccz .LBB209_624
; %bb.620:
	global_load_u16 v6, v[1:2], off
	s_mov_b32 s2, -1
	s_mov_b32 s3, 0
	s_branch .LBB209_625
.LBB209_621:
	s_mov_b32 s22, -1
                                        ; implicit-def: $vgpr6
	s_branch .LBB209_626
.LBB209_622:
	s_or_saveexec_b32 s23, s23
	v_mov_b32_e32 v7, s22
	s_xor_b32 exec_lo, exec_lo, s23
	s_cbranch_execz .LBB209_603
.LBB209_623:
	v_cmp_ne_u16_e32 vcc_lo, 0, v6
	v_mov_b32_e32 v7, 0
	s_and_not1_b32 s2, s2, exec_lo
	s_and_b32 s22, vcc_lo, exec_lo
	s_delay_alu instid0(SALU_CYCLE_1)
	s_or_b32 s2, s2, s22
	s_or_b32 exec_lo, exec_lo, s23
	s_and_saveexec_b32 s22, s2
	s_cbranch_execnz .LBB209_604
	s_branch .LBB209_605
.LBB209_624:
	s_mov_b32 s3, -1
                                        ; implicit-def: $vgpr6
.LBB209_625:
	s_mov_b32 s22, 0
.LBB209_626:
	s_delay_alu instid0(SALU_CYCLE_1)
	s_and_b32 vcc_lo, exec_lo, s22
	s_cbranch_vccz .LBB209_630
; %bb.627:
	v_cmp_eq_u16_e32 vcc_lo, 11, v4
	s_cbranch_vccz .LBB209_629
; %bb.628:
	global_load_u8 v6, v[1:2], off
	s_mov_b32 s3, 0
	s_mov_b32 s2, -1
	s_waitcnt vmcnt(0)
	v_cmp_ne_u16_e32 vcc_lo, 0, v6
	v_cndmask_b32_e64 v6, 0, 1.0, vcc_lo
	s_delay_alu instid0(VALU_DEP_1)
	v_lshrrev_b32_e32 v6, 16, v6
	s_branch .LBB209_630
.LBB209_629:
	s_mov_b32 s3, -1
                                        ; implicit-def: $vgpr6
.LBB209_630:
	s_mov_b32 s22, 0
.LBB209_631:
	s_delay_alu instid0(SALU_CYCLE_1)
	s_and_b32 vcc_lo, exec_lo, s22
	s_cbranch_vccz .LBB209_680
; %bb.632:
	v_cmp_gt_i16_e32 vcc_lo, 5, v4
	s_cbranch_vccnz .LBB209_637
; %bb.633:
	v_cmp_gt_i16_e32 vcc_lo, 8, v4
	s_cbranch_vccnz .LBB209_638
	;; [unrolled: 3-line block ×3, first 2 shown]
; %bb.635:
	v_cmp_lt_i16_e32 vcc_lo, 9, v4
	s_cbranch_vccz .LBB209_640
; %bb.636:
	global_load_b64 v[6:7], v[1:2], off
	s_mov_b32 s2, 0
	s_waitcnt vmcnt(0)
	v_cvt_f32_f64_e32 v6, v[6:7]
	s_delay_alu instid0(VALU_DEP_1) | instskip(SKIP_1) | instid1(VALU_DEP_2)
	v_bfe_u32 v7, v6, 16, 1
	v_cmp_o_f32_e32 vcc_lo, v6, v6
	v_add3_u32 v7, v6, v7, 0x7fff
	s_delay_alu instid0(VALU_DEP_1) | instskip(NEXT) | instid1(VALU_DEP_1)
	v_lshrrev_b32_e32 v7, 16, v7
	v_cndmask_b32_e32 v6, 0x7fc0, v7, vcc_lo
	s_branch .LBB209_641
.LBB209_637:
	s_mov_b32 s2, -1
                                        ; implicit-def: $vgpr6
	s_branch .LBB209_659
.LBB209_638:
	s_mov_b32 s2, -1
                                        ; implicit-def: $vgpr6
	s_branch .LBB209_647
.LBB209_639:
	s_mov_b32 s2, -1
                                        ; implicit-def: $vgpr6
	s_branch .LBB209_644
.LBB209_640:
	s_mov_b32 s2, -1
                                        ; implicit-def: $vgpr6
.LBB209_641:
	s_delay_alu instid0(SALU_CYCLE_1)
	s_and_not1_b32 vcc_lo, exec_lo, s2
	s_cbranch_vccnz .LBB209_643
; %bb.642:
	global_load_b32 v6, v[1:2], off
	s_waitcnt vmcnt(0)
	v_bfe_u32 v7, v6, 16, 1
	v_cmp_o_f32_e32 vcc_lo, v6, v6
	s_delay_alu instid0(VALU_DEP_2) | instskip(NEXT) | instid1(VALU_DEP_1)
	v_add3_u32 v7, v6, v7, 0x7fff
	v_lshrrev_b32_e32 v7, 16, v7
	s_delay_alu instid0(VALU_DEP_1)
	v_cndmask_b32_e32 v6, 0x7fc0, v7, vcc_lo
.LBB209_643:
	s_mov_b32 s2, 0
.LBB209_644:
	s_delay_alu instid0(SALU_CYCLE_1)
	s_and_not1_b32 vcc_lo, exec_lo, s2
	s_cbranch_vccnz .LBB209_646
; %bb.645:
	global_load_b32 v6, v[1:2], off
	s_waitcnt vmcnt(0)
	v_cvt_f32_f16_e32 v7, v6
	v_cmp_o_f16_e32 vcc_lo, v6, v6
	s_delay_alu instid0(VALU_DEP_2) | instskip(NEXT) | instid1(VALU_DEP_1)
	v_bfe_u32 v8, v7, 16, 1
	v_add3_u32 v7, v7, v8, 0x7fff
	s_delay_alu instid0(VALU_DEP_1) | instskip(NEXT) | instid1(VALU_DEP_1)
	v_lshrrev_b32_e32 v7, 16, v7
	v_cndmask_b32_e32 v6, 0x7fc0, v7, vcc_lo
.LBB209_646:
	s_mov_b32 s2, 0
.LBB209_647:
	s_delay_alu instid0(SALU_CYCLE_1)
	s_and_not1_b32 vcc_lo, exec_lo, s2
	s_cbranch_vccnz .LBB209_658
; %bb.648:
	v_cmp_gt_i16_e32 vcc_lo, 6, v4
	s_cbranch_vccnz .LBB209_651
; %bb.649:
	v_cmp_lt_i16_e32 vcc_lo, 6, v4
	s_cbranch_vccz .LBB209_652
; %bb.650:
	global_load_b64 v[6:7], v[1:2], off
	s_mov_b32 s2, 0
	s_waitcnt vmcnt(0)
	v_cvt_f32_f64_e32 v6, v[6:7]
	s_delay_alu instid0(VALU_DEP_1) | instskip(SKIP_1) | instid1(VALU_DEP_2)
	v_bfe_u32 v7, v6, 16, 1
	v_cmp_o_f32_e32 vcc_lo, v6, v6
	v_add3_u32 v7, v6, v7, 0x7fff
	s_delay_alu instid0(VALU_DEP_1) | instskip(NEXT) | instid1(VALU_DEP_1)
	v_lshrrev_b32_e32 v7, 16, v7
	v_cndmask_b32_e32 v6, 0x7fc0, v7, vcc_lo
	s_branch .LBB209_653
.LBB209_651:
	s_mov_b32 s2, -1
                                        ; implicit-def: $vgpr6
	s_branch .LBB209_656
.LBB209_652:
	s_mov_b32 s2, -1
                                        ; implicit-def: $vgpr6
.LBB209_653:
	s_delay_alu instid0(SALU_CYCLE_1)
	s_and_not1_b32 vcc_lo, exec_lo, s2
	s_cbranch_vccnz .LBB209_655
; %bb.654:
	global_load_b32 v6, v[1:2], off
	s_waitcnt vmcnt(0)
	v_bfe_u32 v7, v6, 16, 1
	v_cmp_o_f32_e32 vcc_lo, v6, v6
	s_delay_alu instid0(VALU_DEP_2) | instskip(NEXT) | instid1(VALU_DEP_1)
	v_add3_u32 v7, v6, v7, 0x7fff
	v_lshrrev_b32_e32 v7, 16, v7
	s_delay_alu instid0(VALU_DEP_1)
	v_cndmask_b32_e32 v6, 0x7fc0, v7, vcc_lo
.LBB209_655:
	s_mov_b32 s2, 0
.LBB209_656:
	s_delay_alu instid0(SALU_CYCLE_1)
	s_and_not1_b32 vcc_lo, exec_lo, s2
	s_cbranch_vccnz .LBB209_658
; %bb.657:
	global_load_u16 v6, v[1:2], off
	s_waitcnt vmcnt(0)
	v_cvt_f32_f16_e32 v7, v6
	v_cmp_o_f16_e32 vcc_lo, v6, v6
	s_delay_alu instid0(VALU_DEP_2) | instskip(NEXT) | instid1(VALU_DEP_1)
	v_bfe_u32 v8, v7, 16, 1
	v_add3_u32 v7, v7, v8, 0x7fff
	s_delay_alu instid0(VALU_DEP_1) | instskip(NEXT) | instid1(VALU_DEP_1)
	v_lshrrev_b32_e32 v7, 16, v7
	v_cndmask_b32_e32 v6, 0x7fc0, v7, vcc_lo
.LBB209_658:
	s_mov_b32 s2, 0
.LBB209_659:
	s_delay_alu instid0(SALU_CYCLE_1)
	s_and_not1_b32 vcc_lo, exec_lo, s2
	s_cbranch_vccnz .LBB209_679
; %bb.660:
	v_cmp_gt_i16_e32 vcc_lo, 2, v4
	s_cbranch_vccnz .LBB209_664
; %bb.661:
	v_cmp_gt_i16_e32 vcc_lo, 3, v4
	s_cbranch_vccnz .LBB209_665
; %bb.662:
	v_cmp_lt_i16_e32 vcc_lo, 3, v4
	s_cbranch_vccz .LBB209_666
; %bb.663:
	global_load_b64 v[6:7], v[1:2], off
	s_mov_b32 s2, 0
	s_waitcnt vmcnt(0)
	v_xor_b32_e32 v8, v6, v7
	v_cls_i32_e32 v9, v7
	s_delay_alu instid0(VALU_DEP_2) | instskip(NEXT) | instid1(VALU_DEP_2)
	v_ashrrev_i32_e32 v8, 31, v8
	v_add_nc_u32_e32 v9, -1, v9
	s_delay_alu instid0(VALU_DEP_2) | instskip(NEXT) | instid1(VALU_DEP_1)
	v_add_nc_u32_e32 v8, 32, v8
	v_min_u32_e32 v8, v9, v8
	s_delay_alu instid0(VALU_DEP_1) | instskip(NEXT) | instid1(VALU_DEP_1)
	v_lshlrev_b64 v[6:7], v8, v[6:7]
	v_min_u32_e32 v6, 1, v6
	s_delay_alu instid0(VALU_DEP_1) | instskip(SKIP_1) | instid1(VALU_DEP_2)
	v_or_b32_e32 v6, v7, v6
	v_sub_nc_u32_e32 v7, 32, v8
	v_cvt_f32_i32_e32 v6, v6
	s_delay_alu instid0(VALU_DEP_1) | instskip(NEXT) | instid1(VALU_DEP_1)
	v_ldexp_f32 v6, v6, v7
	v_bfe_u32 v7, v6, 16, 1
	s_delay_alu instid0(VALU_DEP_1) | instskip(NEXT) | instid1(VALU_DEP_1)
	v_add3_u32 v6, v6, v7, 0x7fff
	v_lshrrev_b32_e32 v6, 16, v6
	s_branch .LBB209_667
.LBB209_664:
	s_mov_b32 s2, -1
                                        ; implicit-def: $vgpr6
	s_branch .LBB209_673
.LBB209_665:
	s_mov_b32 s2, -1
                                        ; implicit-def: $vgpr6
	s_branch .LBB209_670
.LBB209_666:
	s_mov_b32 s2, -1
                                        ; implicit-def: $vgpr6
.LBB209_667:
	s_delay_alu instid0(SALU_CYCLE_1)
	s_and_not1_b32 vcc_lo, exec_lo, s2
	s_cbranch_vccnz .LBB209_669
; %bb.668:
	global_load_b32 v6, v[1:2], off
	s_waitcnt vmcnt(0)
	v_cvt_f32_i32_e32 v6, v6
	s_delay_alu instid0(VALU_DEP_1) | instskip(NEXT) | instid1(VALU_DEP_1)
	v_bfe_u32 v7, v6, 16, 1
	v_add3_u32 v6, v6, v7, 0x7fff
	s_delay_alu instid0(VALU_DEP_1)
	v_lshrrev_b32_e32 v6, 16, v6
.LBB209_669:
	s_mov_b32 s2, 0
.LBB209_670:
	s_delay_alu instid0(SALU_CYCLE_1)
	s_and_not1_b32 vcc_lo, exec_lo, s2
	s_cbranch_vccnz .LBB209_672
; %bb.671:
	global_load_i16 v6, v[1:2], off
	s_waitcnt vmcnt(0)
	v_cvt_f32_i32_e32 v6, v6
	s_delay_alu instid0(VALU_DEP_1) | instskip(NEXT) | instid1(VALU_DEP_1)
	v_bfe_u32 v7, v6, 16, 1
	v_add3_u32 v6, v6, v7, 0x7fff
	s_delay_alu instid0(VALU_DEP_1)
	v_lshrrev_b32_e32 v6, 16, v6
.LBB209_672:
	s_mov_b32 s2, 0
.LBB209_673:
	s_delay_alu instid0(SALU_CYCLE_1)
	s_and_not1_b32 vcc_lo, exec_lo, s2
	s_cbranch_vccnz .LBB209_679
; %bb.674:
	v_cmp_lt_i16_e32 vcc_lo, 0, v4
	s_mov_b32 s2, 0
	s_cbranch_vccz .LBB209_676
; %bb.675:
	global_load_i8 v6, v[1:2], off
	s_waitcnt vmcnt(0)
	v_cvt_f32_i32_e32 v6, v6
	s_delay_alu instid0(VALU_DEP_1) | instskip(NEXT) | instid1(VALU_DEP_1)
	v_bfe_u32 v7, v6, 16, 1
	v_add3_u32 v6, v6, v7, 0x7fff
	s_delay_alu instid0(VALU_DEP_1)
	v_lshrrev_b32_e32 v6, 16, v6
	s_branch .LBB209_677
.LBB209_676:
	s_mov_b32 s2, -1
                                        ; implicit-def: $vgpr6
.LBB209_677:
	s_delay_alu instid0(SALU_CYCLE_1)
	s_and_not1_b32 vcc_lo, exec_lo, s2
	s_cbranch_vccnz .LBB209_679
; %bb.678:
	global_load_u8 v1, v[1:2], off
	s_waitcnt vmcnt(0)
	v_cvt_f32_ubyte0_e32 v1, v1
	s_delay_alu instid0(VALU_DEP_1) | instskip(NEXT) | instid1(VALU_DEP_1)
	v_bfe_u32 v2, v1, 16, 1
	v_add3_u32 v1, v1, v2, 0x7fff
	s_delay_alu instid0(VALU_DEP_1)
	v_lshrrev_b32_e32 v6, 16, v1
.LBB209_679:
	s_mov_b32 s2, -1
.LBB209_680:
	s_delay_alu instid0(SALU_CYCLE_1)
	s_and_not1_b32 vcc_lo, exec_lo, s2
	s_cbranch_vccnz .LBB209_688
; %bb.681:
	s_waitcnt vmcnt(0)
	v_lshlrev_b32_e32 v1, 16, v6
	v_add_co_u32 v0, s2, s4, v0
	s_mov_b32 s22, 0
	s_mov_b32 s23, -1
	s_delay_alu instid0(VALU_DEP_2) | instskip(NEXT) | instid1(VALU_DEP_1)
	v_cvt_f64_f32_e32 v[1:2], v1
	v_rsq_f64_e32 v[6:7], v[1:2]
	s_waitcnt_depctr 0xfff
	v_mul_f64 v[1:2], v[6:7], -v[1:2]
	v_cmp_class_f64_e64 vcc_lo, v[6:7], 0x180
	s_delay_alu instid0(VALU_DEP_2) | instskip(NEXT) | instid1(VALU_DEP_1)
	v_fma_f64 v[1:2], v[1:2], v[6:7], 1.0
	v_mul_f64 v[8:9], v[6:7], v[1:2]
	v_fma_f64 v[1:2], 0x3fd80000, v[1:2], 0.5
	s_delay_alu instid0(VALU_DEP_1) | instskip(NEXT) | instid1(VALU_DEP_1)
	v_fma_f64 v[1:2], v[8:9], v[1:2], v[6:7]
	v_dual_cndmask_b32 v2, v7, v2 :: v_dual_cndmask_b32 v1, v6, v1
	v_and_b32_e32 v6, 0xff, v3
	s_delay_alu instid0(VALU_DEP_2) | instskip(NEXT) | instid1(VALU_DEP_2)
	v_cvt_f32_f64_e32 v2, v[1:2]
	v_cmp_gt_i16_e32 vcc_lo, 11, v6
	s_and_b32 vcc_lo, exec_lo, vcc_lo
	s_delay_alu instid0(VALU_DEP_2) | instskip(NEXT) | instid1(VALU_DEP_1)
	v_bfe_u32 v1, v2, 16, 1
	v_add3_u32 v1, v2, v1, 0x7fff
	s_delay_alu instid0(VALU_DEP_1) | instskip(SKIP_2) | instid1(VALU_DEP_1)
	v_lshrrev_b32_e32 v7, 16, v1
	v_add_co_ci_u32_e64 v1, null, s5, 0, s2
	v_cmp_o_f32_e64 s2, v2, v2
	v_cndmask_b32_e64 v2, 0x7fc0, v7, s2
	s_mov_b32 s2, s38
	s_cbranch_vccnz .LBB209_689
; %bb.682:
	v_cmp_lt_i16_e32 vcc_lo, 25, v6
	s_cbranch_vccz .LBB209_730
; %bb.683:
	v_cmp_lt_i16_e32 vcc_lo, 28, v6
	s_cbranch_vccz .LBB209_731
; %bb.684:
	v_cmp_lt_i16_e32 vcc_lo, 43, v6
	s_cbranch_vccz .LBB209_732
; %bb.685:
	v_cmp_lt_i16_e32 vcc_lo, 45, v6
	s_cbranch_vccz .LBB209_733
; %bb.686:
	v_cmp_eq_u16_e32 vcc_lo, 46, v6
	s_mov_b32 s23, 0
	s_mov_b32 s2, -1
	s_cbranch_vccz .LBB209_734
; %bb.687:
	v_and_b32_e32 v7, 0xffff, v2
	s_mov_b32 s22, -1
	s_mov_b32 s2, 0
	global_store_b32 v[0:1], v7, off
	s_branch .LBB209_734
.LBB209_688:
	s_mov_b32 s41, 0
	s_mov_b32 s2, s38
	s_branch .LBB209_729
.LBB209_689:
	s_and_b32 vcc_lo, exec_lo, s23
	s_cbranch_vccz .LBB209_803
; %bb.690:
	v_cmp_gt_i16_e32 vcc_lo, 5, v6
	s_mov_b32 s22, -1
	s_cbranch_vccnz .LBB209_711
; %bb.691:
	v_cmp_gt_i16_e32 vcc_lo, 8, v6
	s_cbranch_vccnz .LBB209_701
; %bb.692:
	v_cmp_gt_i16_e32 vcc_lo, 9, v6
	s_cbranch_vccnz .LBB209_698
; %bb.693:
	v_cmp_lt_i16_e32 vcc_lo, 9, v6
	s_cbranch_vccz .LBB209_695
; %bb.694:
	v_mov_b32_e32 v9, 0
	v_lshlrev_b32_e32 v7, 16, v2
	s_mov_b32 s22, 0
	s_delay_alu instid0(VALU_DEP_2) | instskip(NEXT) | instid1(VALU_DEP_2)
	v_mov_b32_e32 v10, v9
	v_cvt_f64_f32_e32 v[7:8], v7
	global_store_b128 v[0:1], v[7:10], off
.LBB209_695:
	s_and_not1_b32 vcc_lo, exec_lo, s22
	s_cbranch_vccnz .LBB209_697
; %bb.696:
	v_dual_mov_b32 v8, 0 :: v_dual_lshlrev_b32 v7, 16, v2
	global_store_b64 v[0:1], v[7:8], off
.LBB209_697:
	s_mov_b32 s22, 0
.LBB209_698:
	s_delay_alu instid0(SALU_CYCLE_1)
	s_and_not1_b32 vcc_lo, exec_lo, s22
	s_cbranch_vccnz .LBB209_700
; %bb.699:
	v_lshlrev_b32_e32 v7, 16, v2
	s_delay_alu instid0(VALU_DEP_1) | instskip(NEXT) | instid1(VALU_DEP_1)
	v_cvt_f16_f32_e32 v7, v7
	v_and_b32_e32 v7, 0xffff, v7
	global_store_b32 v[0:1], v7, off
.LBB209_700:
	s_mov_b32 s22, 0
.LBB209_701:
	s_delay_alu instid0(SALU_CYCLE_1)
	s_and_not1_b32 vcc_lo, exec_lo, s22
	s_cbranch_vccnz .LBB209_710
; %bb.702:
	v_cmp_gt_i16_e32 vcc_lo, 6, v6
	s_mov_b32 s22, -1
	s_cbranch_vccnz .LBB209_708
; %bb.703:
	v_cmp_lt_i16_e32 vcc_lo, 6, v6
	s_cbranch_vccz .LBB209_705
; %bb.704:
	v_lshlrev_b32_e32 v7, 16, v2
	s_mov_b32 s22, 0
	s_delay_alu instid0(VALU_DEP_1)
	v_cvt_f64_f32_e32 v[7:8], v7
	global_store_b64 v[0:1], v[7:8], off
.LBB209_705:
	s_and_not1_b32 vcc_lo, exec_lo, s22
	s_cbranch_vccnz .LBB209_707
; %bb.706:
	v_lshlrev_b32_e32 v7, 16, v2
	global_store_b32 v[0:1], v7, off
.LBB209_707:
	s_mov_b32 s22, 0
.LBB209_708:
	s_delay_alu instid0(SALU_CYCLE_1)
	s_and_not1_b32 vcc_lo, exec_lo, s22
	s_cbranch_vccnz .LBB209_710
; %bb.709:
	v_lshlrev_b32_e32 v7, 16, v2
	s_delay_alu instid0(VALU_DEP_1)
	v_cvt_f16_f32_e32 v7, v7
	global_store_b16 v[0:1], v7, off
.LBB209_710:
	s_mov_b32 s22, 0
.LBB209_711:
	s_delay_alu instid0(SALU_CYCLE_1)
	s_and_not1_b32 vcc_lo, exec_lo, s22
	s_cbranch_vccnz .LBB209_727
; %bb.712:
	v_cmp_gt_i16_e32 vcc_lo, 2, v6
	s_mov_b32 s22, -1
	s_cbranch_vccnz .LBB209_722
; %bb.713:
	v_cmp_gt_i16_e32 vcc_lo, 3, v6
	s_cbranch_vccnz .LBB209_719
; %bb.714:
	v_cmp_lt_i16_e32 vcc_lo, 3, v6
	s_cbranch_vccz .LBB209_716
; %bb.715:
	v_lshlrev_b32_e32 v7, 16, v2
	s_mov_b32 s22, 0
	s_delay_alu instid0(VALU_DEP_1) | instskip(NEXT) | instid1(VALU_DEP_1)
	v_trunc_f32_e32 v7, v7
	v_mul_f32_e64 v8, 0x2f800000, |v7|
	v_ashrrev_i32_e32 v10, 31, v7
	s_delay_alu instid0(VALU_DEP_2) | instskip(NEXT) | instid1(VALU_DEP_1)
	v_floor_f32_e32 v8, v8
	v_fma_f32 v9, 0xcf800000, v8, |v7|
	v_cvt_u32_f32_e32 v8, v8
	s_delay_alu instid0(VALU_DEP_2) | instskip(NEXT) | instid1(VALU_DEP_2)
	v_cvt_u32_f32_e32 v7, v9
	v_xor_b32_e32 v8, v8, v10
	s_delay_alu instid0(VALU_DEP_2) | instskip(NEXT) | instid1(VALU_DEP_1)
	v_xor_b32_e32 v7, v7, v10
	v_sub_co_u32 v7, vcc_lo, v7, v10
	s_delay_alu instid0(VALU_DEP_3)
	v_sub_co_ci_u32_e32 v8, vcc_lo, v8, v10, vcc_lo
	global_store_b64 v[0:1], v[7:8], off
.LBB209_716:
	s_and_not1_b32 vcc_lo, exec_lo, s22
	s_cbranch_vccnz .LBB209_718
; %bb.717:
	v_lshlrev_b32_e32 v7, 16, v2
	s_delay_alu instid0(VALU_DEP_1)
	v_cvt_i32_f32_e32 v7, v7
	global_store_b32 v[0:1], v7, off
.LBB209_718:
	s_mov_b32 s22, 0
.LBB209_719:
	s_delay_alu instid0(SALU_CYCLE_1)
	s_and_not1_b32 vcc_lo, exec_lo, s22
	s_cbranch_vccnz .LBB209_721
; %bb.720:
	v_lshlrev_b32_e32 v7, 16, v2
	s_delay_alu instid0(VALU_DEP_1)
	v_cvt_i32_f32_e32 v7, v7
	global_store_b16 v[0:1], v7, off
.LBB209_721:
	s_mov_b32 s22, 0
.LBB209_722:
	s_delay_alu instid0(SALU_CYCLE_1)
	s_and_not1_b32 vcc_lo, exec_lo, s22
	s_cbranch_vccnz .LBB209_727
; %bb.723:
	v_cmp_lt_i16_e32 vcc_lo, 0, v6
	s_mov_b32 s22, -1
	s_cbranch_vccz .LBB209_725
; %bb.724:
	v_lshlrev_b32_e32 v6, 16, v2
	s_mov_b32 s22, 0
	s_delay_alu instid0(VALU_DEP_1)
	v_cvt_i32_f32_e32 v6, v6
	global_store_b8 v[0:1], v6, off
.LBB209_725:
	s_and_not1_b32 vcc_lo, exec_lo, s22
	s_cbranch_vccnz .LBB209_727
; %bb.726:
	v_lshlrev_b32_e32 v2, 16, v2
	s_delay_alu instid0(VALU_DEP_1) | instskip(NEXT) | instid1(VALU_DEP_1)
	v_trunc_f32_e32 v2, v2
	v_mul_f32_e64 v6, 0x2f800000, |v2|
	s_delay_alu instid0(VALU_DEP_1) | instskip(NEXT) | instid1(VALU_DEP_1)
	v_floor_f32_e32 v6, v6
	v_fma_f32 v6, 0xcf800000, v6, |v2|
	v_ashrrev_i32_e32 v2, 31, v2
	s_delay_alu instid0(VALU_DEP_2) | instskip(NEXT) | instid1(VALU_DEP_1)
	v_cvt_u32_f32_e32 v6, v6
	v_xor_b32_e32 v6, v6, v2
	s_delay_alu instid0(VALU_DEP_1)
	v_sub_nc_u32_e32 v2, v6, v2
	global_store_b8 v[0:1], v2, off
.LBB209_727:
	s_branch .LBB209_804
.LBB209_728:
	s_mov_b32 s41, 0
.LBB209_729:
                                        ; implicit-def: $vgpr5
	s_branch .LBB209_805
.LBB209_730:
	s_mov_b32 s2, s38
	s_branch .LBB209_761
.LBB209_731:
	s_mov_b32 s2, s38
	s_branch .LBB209_744
.LBB209_732:
	s_mov_b32 s2, s38
	s_branch .LBB209_740
.LBB209_733:
	s_mov_b32 s2, s38
.LBB209_734:
	s_and_b32 vcc_lo, exec_lo, s23
	s_cbranch_vccz .LBB209_739
; %bb.735:
	v_cmp_eq_u16_e32 vcc_lo, 44, v6
	s_mov_b32 s2, -1
	s_cbranch_vccz .LBB209_739
; %bb.736:
	v_and_b32_e32 v7, 0xffff, v2
	v_mov_b32_e32 v8, 0xff
	s_mov_b32 s22, exec_lo
	s_delay_alu instid0(VALU_DEP_2) | instskip(NEXT) | instid1(VALU_DEP_1)
	v_bfe_u32 v9, v7, 7, 8
	v_cmpx_ne_u32_e32 0xff, v9
; %bb.737:
	v_lshlrev_b32_e32 v8, 16, v7
	v_and_b32_e32 v10, 64, v7
	v_lshrrev_b32_e32 v7, 7, v7
	s_delay_alu instid0(VALU_DEP_3) | instskip(NEXT) | instid1(VALU_DEP_3)
	v_and_or_b32 v8, 0x3f0000, v8, v9
	v_cmp_ne_u32_e32 vcc_lo, 0, v10
	s_delay_alu instid0(VALU_DEP_2) | instskip(NEXT) | instid1(VALU_DEP_1)
	v_cmp_ne_u32_e64 s2, 0, v8
	s_and_b32 s2, vcc_lo, s2
	s_delay_alu instid0(SALU_CYCLE_1) | instskip(NEXT) | instid1(VALU_DEP_1)
	v_cndmask_b32_e64 v8, 0, 1, s2
	v_add_nc_u32_e32 v8, v7, v8
; %bb.738:
	s_or_b32 exec_lo, exec_lo, s22
	s_mov_b32 s22, -1
	s_mov_b32 s2, 0
	global_store_b8 v[0:1], v8, off
.LBB209_739:
	s_mov_b32 s23, 0
.LBB209_740:
	s_delay_alu instid0(SALU_CYCLE_1)
	s_and_b32 vcc_lo, exec_lo, s23
	s_cbranch_vccz .LBB209_743
; %bb.741:
	v_cmp_eq_u16_e32 vcc_lo, 29, v6
	s_mov_b32 s2, -1
	s_cbranch_vccz .LBB209_743
; %bb.742:
	v_lshlrev_b32_e32 v7, 16, v2
	s_mov_b32 s22, -1
	s_mov_b32 s2, 0
	s_mov_b32 s23, 0
	s_delay_alu instid0(VALU_DEP_1) | instskip(NEXT) | instid1(VALU_DEP_1)
	v_trunc_f32_e32 v7, v7
	v_mul_f32_e32 v8, 0x2f800000, v7
	s_delay_alu instid0(VALU_DEP_1) | instskip(NEXT) | instid1(VALU_DEP_1)
	v_floor_f32_e32 v8, v8
	v_fmamk_f32 v7, v8, 0xcf800000, v7
	v_cvt_u32_f32_e32 v8, v8
	s_delay_alu instid0(VALU_DEP_2)
	v_cvt_u32_f32_e32 v7, v7
	global_store_b64 v[0:1], v[7:8], off
	s_branch .LBB209_744
.LBB209_743:
	s_mov_b32 s23, 0
.LBB209_744:
	s_delay_alu instid0(SALU_CYCLE_1)
	s_and_b32 vcc_lo, exec_lo, s23
	s_cbranch_vccz .LBB209_760
; %bb.745:
	v_cmp_gt_i16_e32 vcc_lo, 27, v6
	s_mov_b32 s22, -1
	s_cbranch_vccnz .LBB209_751
; %bb.746:
	v_cmp_lt_i16_e32 vcc_lo, 27, v6
	s_cbranch_vccz .LBB209_748
; %bb.747:
	v_lshlrev_b32_e32 v7, 16, v2
	s_mov_b32 s22, 0
	s_delay_alu instid0(VALU_DEP_1)
	v_cvt_u32_f32_e32 v7, v7
	global_store_b32 v[0:1], v7, off
.LBB209_748:
	s_and_not1_b32 vcc_lo, exec_lo, s22
	s_cbranch_vccnz .LBB209_750
; %bb.749:
	v_lshlrev_b32_e32 v7, 16, v2
	s_delay_alu instid0(VALU_DEP_1)
	v_cvt_u32_f32_e32 v7, v7
	global_store_b16 v[0:1], v7, off
.LBB209_750:
	s_mov_b32 s22, 0
.LBB209_751:
	s_delay_alu instid0(SALU_CYCLE_1)
	s_and_not1_b32 vcc_lo, exec_lo, s22
	s_cbranch_vccnz .LBB209_759
; %bb.752:
	v_dual_mov_b32 v10, 0x80 :: v_dual_lshlrev_b32 v9, 16, v2
	s_mov_b32 s22, exec_lo
	s_delay_alu instid0(VALU_DEP_1) | instskip(NEXT) | instid1(VALU_DEP_1)
	v_and_b32_e32 v8, 0x7fffffff, v9
	v_cmpx_gt_u32_e32 0x43800000, v8
	s_cbranch_execz .LBB209_758
; %bb.753:
	v_and_b32_e32 v7, 0xffff, v2
	v_cmp_lt_u32_e32 vcc_lo, 0x3bffffff, v8
	s_mov_b32 s23, 0
                                        ; implicit-def: $vgpr8
	s_and_saveexec_b32 s41, vcc_lo
	s_delay_alu instid0(SALU_CYCLE_1)
	s_xor_b32 s41, exec_lo, s41
	s_cbranch_execz .LBB209_832
; %bb.754:
	v_bfe_u32 v8, v7, 4, 1
	s_mov_b32 s23, exec_lo
	s_delay_alu instid0(VALU_DEP_1) | instskip(NEXT) | instid1(VALU_DEP_1)
	v_add3_u32 v8, v9, v8, 0x487ffff
                                        ; implicit-def: $vgpr9
	v_lshrrev_b32_e32 v8, 20, v8
	s_or_saveexec_b32 s41, s41
                                        ; implicit-def: $sgpr42
	s_delay_alu instid0(SALU_CYCLE_1)
	s_xor_b32 exec_lo, exec_lo, s41
	s_cbranch_execnz .LBB209_833
.LBB209_755:
	s_or_b32 exec_lo, exec_lo, s41
	v_mov_b32_e32 v10, s42
	s_and_saveexec_b32 s41, s23
.LBB209_756:
	v_lshrrev_b32_e32 v7, 8, v7
	s_delay_alu instid0(VALU_DEP_1)
	v_and_or_b32 v10, 0x80, v7, v8
.LBB209_757:
	s_or_b32 exec_lo, exec_lo, s41
.LBB209_758:
	s_delay_alu instid0(SALU_CYCLE_1)
	s_or_b32 exec_lo, exec_lo, s22
	global_store_b8 v[0:1], v10, off
.LBB209_759:
	s_mov_b32 s22, -1
.LBB209_760:
	s_mov_b32 s23, 0
.LBB209_761:
	s_delay_alu instid0(SALU_CYCLE_1)
	s_and_b32 vcc_lo, exec_lo, s23
	s_cbranch_vccz .LBB209_802
; %bb.762:
	v_cmp_lt_i16_e32 vcc_lo, 22, v6
	s_mov_b32 s23, -1
	s_cbranch_vccz .LBB209_794
; %bb.763:
	v_cmp_gt_i16_e32 vcc_lo, 24, v6
	s_mov_b32 s22, -1
	s_cbranch_vccnz .LBB209_783
; %bb.764:
	v_cmp_lt_i16_e32 vcc_lo, 24, v6
	s_cbranch_vccz .LBB209_772
; %bb.765:
	v_dual_mov_b32 v10, 0x80 :: v_dual_lshlrev_b32 v9, 16, v2
	s_mov_b32 s22, exec_lo
	s_delay_alu instid0(VALU_DEP_1) | instskip(NEXT) | instid1(VALU_DEP_1)
	v_and_b32_e32 v8, 0x7fffffff, v9
	v_cmpx_gt_u32_e32 0x47800000, v8
	s_cbranch_execz .LBB209_771
; %bb.766:
	v_and_b32_e32 v7, 0xffff, v2
	v_cmp_lt_u32_e32 vcc_lo, 0x37ffffff, v8
	s_mov_b32 s23, 0
                                        ; implicit-def: $vgpr8
	s_and_saveexec_b32 s41, vcc_lo
	s_delay_alu instid0(SALU_CYCLE_1)
	s_xor_b32 s41, exec_lo, s41
	s_cbranch_execz .LBB209_835
; %bb.767:
	v_bfe_u32 v8, v7, 5, 1
	s_mov_b32 s23, exec_lo
	s_delay_alu instid0(VALU_DEP_1) | instskip(NEXT) | instid1(VALU_DEP_1)
	v_add3_u32 v8, v9, v8, 0x88fffff
                                        ; implicit-def: $vgpr9
	v_lshrrev_b32_e32 v8, 21, v8
	s_or_saveexec_b32 s41, s41
                                        ; implicit-def: $sgpr42
	s_delay_alu instid0(SALU_CYCLE_1)
	s_xor_b32 exec_lo, exec_lo, s41
	s_cbranch_execnz .LBB209_836
.LBB209_768:
	s_or_b32 exec_lo, exec_lo, s41
	v_mov_b32_e32 v10, s42
	s_and_saveexec_b32 s41, s23
.LBB209_769:
	v_lshrrev_b32_e32 v7, 8, v7
	s_delay_alu instid0(VALU_DEP_1)
	v_and_or_b32 v10, 0x80, v7, v8
.LBB209_770:
	s_or_b32 exec_lo, exec_lo, s41
.LBB209_771:
	s_delay_alu instid0(SALU_CYCLE_1)
	s_or_b32 exec_lo, exec_lo, s22
	s_mov_b32 s22, 0
	global_store_b8 v[0:1], v10, off
.LBB209_772:
	s_and_b32 vcc_lo, exec_lo, s22
	s_cbranch_vccz .LBB209_782
; %bb.773:
	v_lshlrev_b32_e32 v9, 16, v2
	v_and_b32_e32 v7, 0xffff, v2
	s_mov_b32 s22, exec_lo
                                        ; implicit-def: $vgpr8
	s_delay_alu instid0(VALU_DEP_2) | instskip(NEXT) | instid1(VALU_DEP_1)
	v_and_b32_e32 v10, 0x7fffffff, v9
	v_cmpx_gt_u32_e32 0x43f00000, v10
	s_xor_b32 s22, exec_lo, s22
	s_cbranch_execz .LBB209_779
; %bb.774:
	s_mov_b32 s23, exec_lo
                                        ; implicit-def: $vgpr8
	v_cmpx_lt_u32_e32 0x3c7fffff, v10
	s_xor_b32 s23, exec_lo, s23
; %bb.775:
	v_bfe_u32 v8, v7, 4, 1
	s_delay_alu instid0(VALU_DEP_1) | instskip(NEXT) | instid1(VALU_DEP_1)
	v_add3_u32 v8, v9, v8, 0x407ffff
	v_and_b32_e32 v9, 0xff00000, v8
	v_lshrrev_b32_e32 v8, 20, v8
	s_delay_alu instid0(VALU_DEP_2) | instskip(NEXT) | instid1(VALU_DEP_2)
	v_cmp_ne_u32_e32 vcc_lo, 0x7f00000, v9
                                        ; implicit-def: $vgpr9
	v_cndmask_b32_e32 v8, 0x7e, v8, vcc_lo
; %bb.776:
	s_and_not1_saveexec_b32 s23, s23
; %bb.777:
	v_add_f32_e64 v8, 0x46800000, |v9|
; %bb.778:
	s_or_b32 exec_lo, exec_lo, s23
                                        ; implicit-def: $vgpr10
.LBB209_779:
	s_and_not1_saveexec_b32 s22, s22
; %bb.780:
	v_mov_b32_e32 v8, 0x7f
	v_cmp_lt_u32_e32 vcc_lo, 0x7f800000, v10
	s_delay_alu instid0(VALU_DEP_2)
	v_cndmask_b32_e32 v8, 0x7e, v8, vcc_lo
; %bb.781:
	s_or_b32 exec_lo, exec_lo, s22
	v_lshrrev_b32_e32 v7, 8, v7
	s_delay_alu instid0(VALU_DEP_1)
	v_and_or_b32 v7, 0x80, v7, v8
	global_store_b8 v[0:1], v7, off
.LBB209_782:
	s_mov_b32 s22, 0
.LBB209_783:
	s_delay_alu instid0(SALU_CYCLE_1)
	s_and_not1_b32 vcc_lo, exec_lo, s22
	s_cbranch_vccnz .LBB209_793
; %bb.784:
	v_lshlrev_b32_e32 v9, 16, v2
	v_and_b32_e32 v7, 0xffff, v2
	s_mov_b32 s22, exec_lo
                                        ; implicit-def: $vgpr8
	s_delay_alu instid0(VALU_DEP_2) | instskip(NEXT) | instid1(VALU_DEP_1)
	v_and_b32_e32 v10, 0x7fffffff, v9
	v_cmpx_gt_u32_e32 0x47800000, v10
	s_xor_b32 s22, exec_lo, s22
	s_cbranch_execz .LBB209_790
; %bb.785:
	s_mov_b32 s23, exec_lo
                                        ; implicit-def: $vgpr8
	v_cmpx_lt_u32_e32 0x387fffff, v10
	s_xor_b32 s23, exec_lo, s23
; %bb.786:
	v_bfe_u32 v8, v7, 5, 1
	s_delay_alu instid0(VALU_DEP_1) | instskip(NEXT) | instid1(VALU_DEP_1)
	v_add3_u32 v8, v9, v8, 0x80fffff
                                        ; implicit-def: $vgpr9
	v_lshrrev_b32_e32 v8, 21, v8
; %bb.787:
	s_and_not1_saveexec_b32 s23, s23
; %bb.788:
	v_add_f32_e64 v8, 0x43000000, |v9|
; %bb.789:
	s_or_b32 exec_lo, exec_lo, s23
                                        ; implicit-def: $vgpr10
.LBB209_790:
	s_and_not1_saveexec_b32 s22, s22
; %bb.791:
	v_mov_b32_e32 v8, 0x7f
	v_cmp_lt_u32_e32 vcc_lo, 0x7f800000, v10
	s_delay_alu instid0(VALU_DEP_2)
	v_cndmask_b32_e32 v8, 0x7c, v8, vcc_lo
; %bb.792:
	s_or_b32 exec_lo, exec_lo, s22
	v_lshrrev_b32_e32 v7, 8, v7
	s_delay_alu instid0(VALU_DEP_1)
	v_and_or_b32 v7, 0x80, v7, v8
	global_store_b8 v[0:1], v7, off
.LBB209_793:
	s_mov_b32 s23, 0
	s_mov_b32 s22, -1
.LBB209_794:
	s_and_not1_b32 vcc_lo, exec_lo, s23
	s_cbranch_vccnz .LBB209_802
; %bb.795:
	v_cmp_lt_i16_e32 vcc_lo, 14, v6
	s_mov_b32 s23, -1
	s_cbranch_vccz .LBB209_799
; %bb.796:
	v_cmp_eq_u16_e32 vcc_lo, 15, v6
	s_mov_b32 s2, -1
	s_cbranch_vccz .LBB209_798
; %bb.797:
	s_mov_b32 s22, -1
	s_mov_b32 s2, 0
	global_store_b16 v[0:1], v2, off
.LBB209_798:
	s_mov_b32 s23, 0
.LBB209_799:
	s_delay_alu instid0(SALU_CYCLE_1)
	s_and_b32 vcc_lo, exec_lo, s23
	s_cbranch_vccz .LBB209_802
; %bb.800:
	v_cmp_eq_u16_e32 vcc_lo, 11, v6
	s_mov_b32 s2, -1
	s_cbranch_vccz .LBB209_802
; %bb.801:
	v_and_b32_e32 v7, 0x7fff, v2
	s_mov_b32 s2, 0
	s_mov_b32 s22, -1
	s_delay_alu instid0(VALU_DEP_1)
	v_cmp_ne_u16_e32 vcc_lo, 0, v7
	v_cndmask_b32_e64 v7, 0, 1, vcc_lo
	global_store_b8 v[0:1], v7, off
.LBB209_802:
.LBB209_803:
	s_and_not1_b32 vcc_lo, exec_lo, s22
	s_cbranch_vccnz .LBB209_728
.LBB209_804:
	v_add_nc_u32_e32 v5, 0x80, v5
	s_mov_b32 s41, -1
.LBB209_805:
	s_and_not1_b32 s22, s38, exec_lo
	s_and_b32 s2, s2, exec_lo
	s_and_not1_b32 s42, s37, exec_lo
	s_and_b32 s3, s3, exec_lo
	s_or_b32 s23, s22, s2
	s_or_b32 s22, s42, s3
	s_or_not1_b32 s42, s41, exec_lo
.LBB209_806:
	s_or_b32 exec_lo, exec_lo, s40
	s_mov_b32 s2, 0
	s_mov_b32 s3, 0
	;; [unrolled: 1-line block ×3, first 2 shown]
                                        ; implicit-def: $vgpr1_vgpr2
                                        ; implicit-def: $vgpr0
                                        ; implicit-def: $vgpr6
	s_and_saveexec_b32 s40, s42
	s_cbranch_execz .LBB209_904
; %bb.807:
	v_cmp_gt_i32_e32 vcc_lo, s30, v5
	s_mov_b32 s43, s22
	s_mov_b32 s42, 0
                                        ; implicit-def: $vgpr1_vgpr2
                                        ; implicit-def: $vgpr0
                                        ; implicit-def: $vgpr6
	s_and_saveexec_b32 s30, vcc_lo
	s_cbranch_execz .LBB209_903
; %bb.808:
	s_and_not1_b32 vcc_lo, exec_lo, s27
	s_cbranch_vccnz .LBB209_813
; %bb.809:
	v_dual_mov_b32 v0, 0 :: v_dual_mov_b32 v1, 0
	s_and_not1_b32 vcc_lo, exec_lo, s33
	s_mov_b32 s33, 0
	s_cbranch_vccnz .LBB209_818
; %bb.810:
	v_mov_b32_e32 v0, 0
	s_add_i32 s41, s31, 1
	s_cmp_eq_u32 s25, 2
	s_mov_b32 s31, 0
	s_cbranch_scc1 .LBB209_814
; %bb.811:
	v_dual_mov_b32 v1, 0 :: v_dual_mov_b32 v0, 0
	v_mov_b32_e32 v2, v5
	s_and_b32 s31, s41, 28
	s_mov_b64 s[2:3], s[16:17]
.LBB209_812:                            ; =>This Inner Loop Header: Depth=1
	s_clause 0x1
	s_load_b256 s[44:51], s[2:3], 0x4
	s_load_b128 s[60:63], s[2:3], 0x24
	s_load_b256 s[52:59], s[20:21], 0x0
	s_add_u32 s2, s2, 48
	s_addc_u32 s3, s3, 0
	s_add_i32 s42, s42, 4
	s_add_u32 s20, s20, 32
	s_addc_u32 s21, s21, 0
	s_cmp_eq_u32 s31, s42
	s_waitcnt vmcnt(0) lgkmcnt(0)
	v_mul_hi_u32 v6, s45, v2
	s_delay_alu instid0(VALU_DEP_1) | instskip(NEXT) | instid1(VALU_DEP_1)
	v_add_nc_u32_e32 v6, v2, v6
	v_lshrrev_b32_e32 v6, s46, v6
	s_delay_alu instid0(VALU_DEP_1) | instskip(SKIP_1) | instid1(VALU_DEP_2)
	v_mul_hi_u32 v7, s48, v6
	v_mul_lo_u32 v9, v6, s44
	v_add_nc_u32_e32 v7, v6, v7
	s_delay_alu instid0(VALU_DEP_2) | instskip(NEXT) | instid1(VALU_DEP_2)
	v_sub_nc_u32_e32 v2, v2, v9
	v_lshrrev_b32_e32 v7, s49, v7
	s_delay_alu instid0(VALU_DEP_2) | instskip(SKIP_1) | instid1(VALU_DEP_3)
	v_mul_lo_u32 v9, v2, s52
	v_mul_lo_u32 v11, v2, s53
	v_mul_hi_u32 v8, s51, v7
	s_delay_alu instid0(VALU_DEP_1) | instskip(NEXT) | instid1(VALU_DEP_1)
	v_add_nc_u32_e32 v8, v7, v8
	v_lshrrev_b32_e32 v8, s60, v8
	s_delay_alu instid0(VALU_DEP_1) | instskip(SKIP_1) | instid1(VALU_DEP_2)
	v_mul_hi_u32 v10, s62, v8
	v_mul_lo_u32 v12, v8, s50
	v_add_nc_u32_e32 v2, v8, v10
	v_mul_lo_u32 v10, v7, s47
	s_delay_alu instid0(VALU_DEP_3) | instskip(NEXT) | instid1(VALU_DEP_3)
	v_sub_nc_u32_e32 v7, v7, v12
	v_lshrrev_b32_e32 v2, s63, v2
	s_delay_alu instid0(VALU_DEP_2) | instskip(SKIP_2) | instid1(VALU_DEP_4)
	v_mul_lo_u32 v12, v7, s56
	v_mul_lo_u32 v7, v7, s57
	v_sub_nc_u32_e32 v6, v6, v10
	v_mul_lo_u32 v13, v2, s61
	s_delay_alu instid0(VALU_DEP_2) | instskip(SKIP_1) | instid1(VALU_DEP_3)
	v_mul_lo_u32 v10, v6, s54
	v_mul_lo_u32 v6, v6, s55
	v_sub_nc_u32_e32 v8, v8, v13
	s_delay_alu instid0(VALU_DEP_3) | instskip(NEXT) | instid1(VALU_DEP_2)
	v_add3_u32 v0, v9, v0, v10
	v_mul_lo_u32 v13, v8, s58
	v_mul_lo_u32 v8, v8, s59
	v_add3_u32 v1, v11, v1, v6
	s_delay_alu instid0(VALU_DEP_3) | instskip(NEXT) | instid1(VALU_DEP_2)
	v_add3_u32 v0, v12, v0, v13
	v_add3_u32 v1, v7, v1, v8
	s_cbranch_scc0 .LBB209_812
	s_branch .LBB209_815
.LBB209_813:
	s_mov_b32 s33, -1
                                        ; implicit-def: $vgpr0
                                        ; implicit-def: $vgpr1
	s_branch .LBB209_818
.LBB209_814:
	v_dual_mov_b32 v2, v5 :: v_dual_mov_b32 v1, 0
.LBB209_815:
	s_and_b32 s41, s41, 3
	s_delay_alu instid0(SALU_CYCLE_1)
	s_cmp_eq_u32 s41, 0
	s_cbranch_scc1 .LBB209_818
; %bb.816:
	s_lshl_b32 s2, s31, 3
	s_mul_i32 s20, s31, 12
	s_add_u32 s2, s2, s16
	s_addc_u32 s3, s17, 0
	s_add_u32 s2, s2, 0xc4
	s_addc_u32 s3, s3, 0
	;; [unrolled: 2-line block ×3, first 2 shown]
.LBB209_817:                            ; =>This Inner Loop Header: Depth=1
	s_clause 0x1
	s_load_b64 s[42:43], s[20:21], 0x4
	s_load_b32 s31, s[20:21], 0xc
	s_load_b64 s[44:45], s[2:3], 0x0
	s_add_u32 s20, s20, 12
	s_addc_u32 s21, s21, 0
	s_add_u32 s2, s2, 8
	s_addc_u32 s3, s3, 0
	s_add_i32 s41, s41, -1
	s_delay_alu instid0(SALU_CYCLE_1) | instskip(SKIP_2) | instid1(VALU_DEP_1)
	s_cmp_lg_u32 s41, 0
	s_waitcnt vmcnt(0) lgkmcnt(0)
	v_mul_hi_u32 v6, s43, v2
	v_add_nc_u32_e32 v6, v2, v6
	s_delay_alu instid0(VALU_DEP_1) | instskip(NEXT) | instid1(VALU_DEP_1)
	v_lshrrev_b32_e32 v9, s31, v6
	v_mul_lo_u32 v6, v9, s42
	s_delay_alu instid0(VALU_DEP_1) | instskip(NEXT) | instid1(VALU_DEP_1)
	v_sub_nc_u32_e32 v2, v2, v6
	v_mad_u64_u32 v[6:7], null, v2, s44, v[0:1]
	v_mad_u64_u32 v[7:8], null, v2, s45, v[1:2]
	v_mov_b32_e32 v2, v9
	s_delay_alu instid0(VALU_DEP_2)
	v_dual_mov_b32 v0, v6 :: v_dual_mov_b32 v1, v7
	s_cbranch_scc1 .LBB209_817
.LBB209_818:
	s_and_not1_b32 vcc_lo, exec_lo, s33
	s_cbranch_vccnz .LBB209_821
; %bb.819:
	s_waitcnt lgkmcnt(0)
	v_mul_hi_u32 v0, s13, v5
	s_and_not1_b32 vcc_lo, exec_lo, s29
	s_delay_alu instid0(VALU_DEP_1) | instskip(NEXT) | instid1(VALU_DEP_1)
	v_add_nc_u32_e32 v0, v5, v0
	v_lshrrev_b32_e32 v2, s14, v0
	s_delay_alu instid0(VALU_DEP_1) | instskip(NEXT) | instid1(VALU_DEP_1)
	v_mul_lo_u32 v0, v2, s12
	v_sub_nc_u32_e32 v1, v5, v0
	s_delay_alu instid0(VALU_DEP_1)
	v_mul_lo_u32 v0, v1, s8
	v_mul_lo_u32 v1, v1, s9
	s_cbranch_vccnz .LBB209_821
; %bb.820:
	v_mul_hi_u32 v5, s18, v2
	s_delay_alu instid0(VALU_DEP_1) | instskip(NEXT) | instid1(VALU_DEP_1)
	v_add_nc_u32_e32 v5, v2, v5
	v_lshrrev_b32_e32 v5, s19, v5
	s_delay_alu instid0(VALU_DEP_1) | instskip(NEXT) | instid1(VALU_DEP_1)
	v_mul_lo_u32 v5, v5, s15
	v_sub_nc_u32_e32 v2, v2, v5
	s_waitcnt vmcnt(0)
	s_delay_alu instid0(VALU_DEP_1) | instskip(SKIP_1) | instid1(VALU_DEP_1)
	v_mad_u64_u32 v[5:6], null, v2, s10, v[0:1]
	v_mad_u64_u32 v[6:7], null, v2, s11, v[1:2]
	v_dual_mov_b32 v0, v5 :: v_dual_mov_b32 v1, v6
.LBB209_821:
	v_cmp_gt_i16_e32 vcc_lo, 11, v4
	s_waitcnt lgkmcnt(0)
	s_delay_alu instid0(VALU_DEP_2) | instskip(NEXT) | instid1(VALU_DEP_1)
	v_add_co_u32 v1, s2, s6, v1
	v_add_co_ci_u32_e64 v2, null, s7, 0, s2
	s_mov_b32 s6, 0
	s_cbranch_vccnz .LBB209_828
; %bb.822:
	v_cmp_lt_i16_e32 vcc_lo, 25, v4
	s_mov_b32 s3, 0
	s_cbranch_vccz .LBB209_829
; %bb.823:
	v_cmp_lt_i16_e32 vcc_lo, 28, v4
	s_cbranch_vccz .LBB209_830
; %bb.824:
	v_cmp_lt_i16_e32 vcc_lo, 43, v4
	;; [unrolled: 3-line block ×3, first 2 shown]
	s_cbranch_vccz .LBB209_834
; %bb.826:
	v_cmp_eq_u16_e32 vcc_lo, 46, v4
	s_mov_b32 s7, 0
	s_cbranch_vccz .LBB209_837
; %bb.827:
	global_load_b32 v6, v[1:2], off
	s_mov_b32 s2, 0
	s_mov_b32 s6, -1
	s_branch .LBB209_839
.LBB209_828:
	s_mov_b32 s7, -1
	s_mov_b32 s3, 0
	s_mov_b32 s2, s22
                                        ; implicit-def: $vgpr6
	s_branch .LBB209_902
.LBB209_829:
	s_mov_b32 s7, -1
	s_mov_b32 s2, s22
                                        ; implicit-def: $vgpr6
	s_branch .LBB209_868
.LBB209_830:
	s_mov_b32 s7, -1
	s_mov_b32 s2, s22
                                        ; implicit-def: $vgpr6
	s_branch .LBB209_849
.LBB209_831:
	s_mov_b32 s7, -1
	s_mov_b32 s2, s22
                                        ; implicit-def: $vgpr6
	s_branch .LBB209_844
.LBB209_832:
	s_or_saveexec_b32 s41, s41
                                        ; implicit-def: $sgpr42
	s_delay_alu instid0(SALU_CYCLE_1)
	s_xor_b32 exec_lo, exec_lo, s41
	s_cbranch_execz .LBB209_755
.LBB209_833:
	v_add_f32_e64 v8, 0x46000000, |v9|
	s_and_not1_b32 s23, s23, exec_lo
	s_mov_b32 s42, 0
	s_delay_alu instid0(VALU_DEP_1) | instskip(NEXT) | instid1(VALU_DEP_1)
	v_and_b32_e32 v8, 0xff, v8
	v_cmp_ne_u32_e32 vcc_lo, 0, v8
	s_and_b32 s43, vcc_lo, exec_lo
	s_delay_alu instid0(SALU_CYCLE_1)
	s_or_b32 s23, s23, s43
	s_or_b32 exec_lo, exec_lo, s41
	v_mov_b32_e32 v10, s42
	s_and_saveexec_b32 s41, s23
	s_cbranch_execnz .LBB209_756
	s_branch .LBB209_757
.LBB209_834:
	s_mov_b32 s7, -1
	s_mov_b32 s2, s22
	s_branch .LBB209_838
.LBB209_835:
	s_or_saveexec_b32 s41, s41
                                        ; implicit-def: $sgpr42
	s_delay_alu instid0(SALU_CYCLE_1)
	s_xor_b32 exec_lo, exec_lo, s41
	s_cbranch_execz .LBB209_768
.LBB209_836:
	v_add_f32_e64 v8, 0x42800000, |v9|
	s_and_not1_b32 s23, s23, exec_lo
	s_mov_b32 s42, 0
	s_delay_alu instid0(VALU_DEP_1) | instskip(NEXT) | instid1(VALU_DEP_1)
	v_and_b32_e32 v8, 0xff, v8
	v_cmp_ne_u32_e32 vcc_lo, 0, v8
	s_and_b32 s43, vcc_lo, exec_lo
	s_delay_alu instid0(SALU_CYCLE_1)
	s_or_b32 s23, s23, s43
	s_or_b32 exec_lo, exec_lo, s41
	v_mov_b32_e32 v10, s42
	s_and_saveexec_b32 s41, s23
	s_cbranch_execnz .LBB209_769
	s_branch .LBB209_770
.LBB209_837:
	s_mov_b32 s2, -1
.LBB209_838:
                                        ; implicit-def: $vgpr6
.LBB209_839:
	s_and_b32 vcc_lo, exec_lo, s7
	s_cbranch_vccz .LBB209_843
; %bb.840:
	v_cmp_eq_u16_e32 vcc_lo, 44, v4
	s_cbranch_vccz .LBB209_842
; %bb.841:
	global_load_u8 v5, v[1:2], off
	s_mov_b32 s2, 0
	s_mov_b32 s6, -1
	s_waitcnt vmcnt(0)
	v_lshlrev_b32_e32 v6, 23, v5
	v_cmp_ne_u32_e32 vcc_lo, 0xff, v5
	s_delay_alu instid0(VALU_DEP_2) | instskip(SKIP_1) | instid1(VALU_DEP_2)
	v_cndmask_b32_e32 v6, 0x7f800001, v6, vcc_lo
	v_cmp_ne_u32_e32 vcc_lo, 0, v5
	v_cndmask_b32_e32 v5, 0x400000, v6, vcc_lo
	s_delay_alu instid0(VALU_DEP_1) | instskip(SKIP_1) | instid1(VALU_DEP_2)
	v_add_nc_u32_e32 v6, 0x7fff, v5
	v_cmp_o_f32_e32 vcc_lo, v5, v5
	v_lshrrev_b32_e32 v6, 16, v6
	s_delay_alu instid0(VALU_DEP_1)
	v_cndmask_b32_e32 v6, 0x7fc0, v6, vcc_lo
	s_branch .LBB209_843
.LBB209_842:
	s_mov_b32 s2, -1
                                        ; implicit-def: $vgpr6
.LBB209_843:
	s_mov_b32 s7, 0
.LBB209_844:
	s_delay_alu instid0(SALU_CYCLE_1)
	s_and_b32 vcc_lo, exec_lo, s7
	s_cbranch_vccz .LBB209_848
; %bb.845:
	v_cmp_eq_u16_e32 vcc_lo, 29, v4
	s_cbranch_vccz .LBB209_847
; %bb.846:
	global_load_b64 v[5:6], v[1:2], off
	s_mov_b32 s2, 0
	s_mov_b32 s6, -1
	s_mov_b32 s7, 0
	s_waitcnt vmcnt(0)
	v_clz_i32_u32_e32 v7, v6
	s_delay_alu instid0(VALU_DEP_1) | instskip(NEXT) | instid1(VALU_DEP_1)
	v_min_u32_e32 v7, 32, v7
	v_lshlrev_b64 v[5:6], v7, v[5:6]
	s_delay_alu instid0(VALU_DEP_1) | instskip(NEXT) | instid1(VALU_DEP_1)
	v_min_u32_e32 v5, 1, v5
	v_or_b32_e32 v5, v6, v5
	v_sub_nc_u32_e32 v6, 32, v7
	s_delay_alu instid0(VALU_DEP_2) | instskip(NEXT) | instid1(VALU_DEP_1)
	v_cvt_f32_u32_e32 v5, v5
	v_ldexp_f32 v5, v5, v6
	s_delay_alu instid0(VALU_DEP_1) | instskip(NEXT) | instid1(VALU_DEP_1)
	v_bfe_u32 v6, v5, 16, 1
	v_add3_u32 v5, v5, v6, 0x7fff
	s_delay_alu instid0(VALU_DEP_1)
	v_lshrrev_b32_e32 v6, 16, v5
	s_branch .LBB209_849
.LBB209_847:
	s_mov_b32 s2, -1
                                        ; implicit-def: $vgpr6
.LBB209_848:
	s_mov_b32 s7, 0
.LBB209_849:
	s_delay_alu instid0(SALU_CYCLE_1)
	s_and_b32 vcc_lo, exec_lo, s7
	s_cbranch_vccz .LBB209_867
; %bb.850:
	v_cmp_gt_i16_e32 vcc_lo, 27, v4
	s_cbranch_vccnz .LBB209_853
; %bb.851:
	v_cmp_lt_i16_e32 vcc_lo, 27, v4
	s_cbranch_vccz .LBB209_854
; %bb.852:
	global_load_b32 v5, v[1:2], off
	s_mov_b32 s6, 0
	s_waitcnt vmcnt(0)
	v_cvt_f32_u32_e32 v5, v5
	s_delay_alu instid0(VALU_DEP_1) | instskip(NEXT) | instid1(VALU_DEP_1)
	v_bfe_u32 v6, v5, 16, 1
	v_add3_u32 v5, v5, v6, 0x7fff
	s_delay_alu instid0(VALU_DEP_1)
	v_lshrrev_b32_e32 v6, 16, v5
	s_branch .LBB209_855
.LBB209_853:
	s_mov_b32 s6, -1
                                        ; implicit-def: $vgpr6
	s_branch .LBB209_858
.LBB209_854:
	s_mov_b32 s6, -1
                                        ; implicit-def: $vgpr6
.LBB209_855:
	s_delay_alu instid0(SALU_CYCLE_1)
	s_and_not1_b32 vcc_lo, exec_lo, s6
	s_cbranch_vccnz .LBB209_857
; %bb.856:
	global_load_u16 v5, v[1:2], off
	s_waitcnt vmcnt(0)
	v_cvt_f32_u32_e32 v5, v5
	s_delay_alu instid0(VALU_DEP_1) | instskip(NEXT) | instid1(VALU_DEP_1)
	v_bfe_u32 v6, v5, 16, 1
	v_add3_u32 v5, v5, v6, 0x7fff
	s_delay_alu instid0(VALU_DEP_1)
	v_lshrrev_b32_e32 v6, 16, v5
.LBB209_857:
	s_mov_b32 s6, 0
.LBB209_858:
	s_delay_alu instid0(SALU_CYCLE_1)
	s_and_not1_b32 vcc_lo, exec_lo, s6
	s_cbranch_vccnz .LBB209_866
; %bb.859:
	global_load_u8 v5, v[1:2], off
	s_mov_b32 s6, 0
	s_mov_b32 s8, exec_lo
                                        ; implicit-def: $sgpr7
	s_waitcnt vmcnt(0)
	v_cmpx_lt_i16_e32 0x7f, v5
	s_xor_b32 s8, exec_lo, s8
	s_cbranch_execz .LBB209_880
; %bb.860:
	s_mov_b32 s6, -1
	s_mov_b32 s9, exec_lo
                                        ; implicit-def: $sgpr7
	v_cmpx_eq_u16_e32 0x80, v5
; %bb.861:
	s_mov_b32 s7, 0x7f800001
	s_xor_b32 s6, exec_lo, -1
; %bb.862:
	s_or_b32 exec_lo, exec_lo, s9
	s_delay_alu instid0(SALU_CYCLE_1)
	s_and_b32 s6, s6, exec_lo
	s_or_saveexec_b32 s8, s8
	v_mov_b32_e32 v6, s7
	s_xor_b32 exec_lo, exec_lo, s8
	s_cbranch_execnz .LBB209_881
.LBB209_863:
	s_or_b32 exec_lo, exec_lo, s8
	s_and_saveexec_b32 s7, s6
	s_cbranch_execz .LBB209_865
.LBB209_864:
	v_and_b32_e32 v6, 0xffff, v5
	v_lshlrev_b32_e32 v5, 24, v5
	s_delay_alu instid0(VALU_DEP_2) | instskip(NEXT) | instid1(VALU_DEP_2)
	v_and_b32_e32 v7, 7, v6
	v_and_b32_e32 v5, 0x80000000, v5
	s_delay_alu instid0(VALU_DEP_2) | instskip(NEXT) | instid1(VALU_DEP_1)
	v_clz_i32_u32_e32 v8, v7
	v_min_u32_e32 v8, 32, v8
	s_delay_alu instid0(VALU_DEP_1) | instskip(SKIP_1) | instid1(VALU_DEP_2)
	v_subrev_nc_u32_e32 v9, 28, v8
	v_sub_nc_u32_e32 v8, 29, v8
	v_lshlrev_b32_e32 v9, v9, v6
	v_bfe_u32 v6, v6, 3, 4
	s_delay_alu instid0(VALU_DEP_2) | instskip(NEXT) | instid1(VALU_DEP_2)
	v_and_b32_e32 v9, 7, v9
	v_cmp_eq_u32_e32 vcc_lo, 0, v6
	s_delay_alu instid0(VALU_DEP_2) | instskip(NEXT) | instid1(VALU_DEP_1)
	v_dual_cndmask_b32 v6, v6, v8 :: v_dual_cndmask_b32 v7, v7, v9
	v_lshl_add_u32 v6, v6, 23, 0x3b800000
	s_delay_alu instid0(VALU_DEP_2) | instskip(NEXT) | instid1(VALU_DEP_1)
	v_lshlrev_b32_e32 v7, 20, v7
	v_or3_b32 v6, v5, v6, v7
.LBB209_865:
	s_or_b32 exec_lo, exec_lo, s7
	s_delay_alu instid0(VALU_DEP_1) | instskip(SKIP_1) | instid1(VALU_DEP_2)
	v_bfe_u32 v5, v6, 16, 1
	v_cmp_o_f32_e32 vcc_lo, v6, v6
	v_add3_u32 v5, v6, v5, 0x7fff
	s_delay_alu instid0(VALU_DEP_1) | instskip(NEXT) | instid1(VALU_DEP_1)
	v_lshrrev_b32_e32 v5, 16, v5
	v_cndmask_b32_e32 v6, 0x7fc0, v5, vcc_lo
.LBB209_866:
	s_mov_b32 s6, -1
.LBB209_867:
	s_mov_b32 s7, 0
.LBB209_868:
	s_delay_alu instid0(SALU_CYCLE_1)
	s_and_b32 vcc_lo, exec_lo, s7
	s_cbranch_vccz .LBB209_901
; %bb.869:
	v_cmp_lt_i16_e32 vcc_lo, 22, v4
	s_cbranch_vccz .LBB209_879
; %bb.870:
	v_cmp_gt_i16_e32 vcc_lo, 24, v4
	s_cbranch_vccnz .LBB209_882
; %bb.871:
	v_cmp_lt_i16_e32 vcc_lo, 24, v4
	s_cbranch_vccz .LBB209_883
; %bb.872:
	global_load_u8 v5, v[1:2], off
	s_mov_b32 s7, exec_lo
                                        ; implicit-def: $sgpr6
	s_waitcnt vmcnt(0)
	v_cmpx_lt_i16_e32 0x7f, v5
	s_xor_b32 s7, exec_lo, s7
	s_cbranch_execz .LBB209_895
; %bb.873:
	s_mov_b32 s3, -1
	s_mov_b32 s8, exec_lo
                                        ; implicit-def: $sgpr6
	v_cmpx_eq_u16_e32 0x80, v5
; %bb.874:
	s_mov_b32 s6, 0x7f800001
	s_xor_b32 s3, exec_lo, -1
; %bb.875:
	s_or_b32 exec_lo, exec_lo, s8
	s_delay_alu instid0(SALU_CYCLE_1)
	s_and_b32 s3, s3, exec_lo
	s_or_saveexec_b32 s7, s7
	v_mov_b32_e32 v6, s6
	s_xor_b32 exec_lo, exec_lo, s7
	s_cbranch_execnz .LBB209_896
.LBB209_876:
	s_or_b32 exec_lo, exec_lo, s7
	s_and_saveexec_b32 s6, s3
	s_cbranch_execz .LBB209_878
.LBB209_877:
	v_and_b32_e32 v6, 0xffff, v5
	v_lshlrev_b32_e32 v5, 24, v5
	s_delay_alu instid0(VALU_DEP_2) | instskip(NEXT) | instid1(VALU_DEP_2)
	v_and_b32_e32 v7, 3, v6
	v_and_b32_e32 v5, 0x80000000, v5
	s_delay_alu instid0(VALU_DEP_2) | instskip(NEXT) | instid1(VALU_DEP_1)
	v_clz_i32_u32_e32 v8, v7
	v_min_u32_e32 v8, 32, v8
	s_delay_alu instid0(VALU_DEP_1) | instskip(SKIP_1) | instid1(VALU_DEP_2)
	v_subrev_nc_u32_e32 v9, 29, v8
	v_sub_nc_u32_e32 v8, 30, v8
	v_lshlrev_b32_e32 v9, v9, v6
	v_bfe_u32 v6, v6, 2, 5
	s_delay_alu instid0(VALU_DEP_2) | instskip(NEXT) | instid1(VALU_DEP_2)
	v_and_b32_e32 v9, 3, v9
	v_cmp_eq_u32_e32 vcc_lo, 0, v6
	s_delay_alu instid0(VALU_DEP_2) | instskip(NEXT) | instid1(VALU_DEP_1)
	v_dual_cndmask_b32 v6, v6, v8 :: v_dual_cndmask_b32 v7, v7, v9
	v_lshl_add_u32 v6, v6, 23, 0x37800000
	s_delay_alu instid0(VALU_DEP_2) | instskip(NEXT) | instid1(VALU_DEP_1)
	v_lshlrev_b32_e32 v7, 21, v7
	v_or3_b32 v6, v5, v6, v7
.LBB209_878:
	s_or_b32 exec_lo, exec_lo, s6
	s_delay_alu instid0(VALU_DEP_1) | instskip(SKIP_2) | instid1(VALU_DEP_2)
	v_bfe_u32 v5, v6, 16, 1
	v_cmp_o_f32_e32 vcc_lo, v6, v6
	s_mov_b32 s3, 0
	v_add3_u32 v5, v6, v5, 0x7fff
	s_delay_alu instid0(VALU_DEP_1) | instskip(NEXT) | instid1(VALU_DEP_1)
	v_lshrrev_b32_e32 v5, 16, v5
	v_cndmask_b32_e32 v6, 0x7fc0, v5, vcc_lo
	s_branch .LBB209_884
.LBB209_879:
	s_mov_b32 s3, -1
                                        ; implicit-def: $vgpr6
	s_branch .LBB209_890
.LBB209_880:
	s_or_saveexec_b32 s8, s8
	v_mov_b32_e32 v6, s7
	s_xor_b32 exec_lo, exec_lo, s8
	s_cbranch_execz .LBB209_863
.LBB209_881:
	v_cmp_ne_u16_e32 vcc_lo, 0, v5
	v_mov_b32_e32 v6, 0
	s_and_not1_b32 s6, s6, exec_lo
	s_and_b32 s7, vcc_lo, exec_lo
	s_delay_alu instid0(SALU_CYCLE_1)
	s_or_b32 s6, s6, s7
	s_or_b32 exec_lo, exec_lo, s8
	s_and_saveexec_b32 s7, s6
	s_cbranch_execnz .LBB209_864
	s_branch .LBB209_865
.LBB209_882:
	s_mov_b32 s3, -1
                                        ; implicit-def: $vgpr6
	s_branch .LBB209_887
.LBB209_883:
	s_mov_b32 s3, -1
                                        ; implicit-def: $vgpr6
.LBB209_884:
	s_delay_alu instid0(SALU_CYCLE_1)
	s_and_b32 vcc_lo, exec_lo, s3
	s_cbranch_vccz .LBB209_886
; %bb.885:
	global_load_u8 v5, v[1:2], off
	s_waitcnt vmcnt(0)
	v_lshlrev_b32_e32 v5, 24, v5
	s_delay_alu instid0(VALU_DEP_1) | instskip(NEXT) | instid1(VALU_DEP_1)
	v_and_b32_e32 v6, 0x7f000000, v5
	v_clz_i32_u32_e32 v7, v6
	v_add_nc_u32_e32 v9, 0x1000000, v6
	v_cmp_ne_u32_e32 vcc_lo, 0, v6
	s_delay_alu instid0(VALU_DEP_3) | instskip(NEXT) | instid1(VALU_DEP_1)
	v_min_u32_e32 v7, 32, v7
	v_sub_nc_u32_e64 v7, v7, 4 clamp
	s_delay_alu instid0(VALU_DEP_1) | instskip(SKIP_1) | instid1(VALU_DEP_2)
	v_lshlrev_b32_e32 v8, v7, v6
	v_lshlrev_b32_e32 v7, 23, v7
	v_lshrrev_b32_e32 v8, 4, v8
	s_delay_alu instid0(VALU_DEP_1) | instskip(SKIP_1) | instid1(VALU_DEP_2)
	v_sub_nc_u32_e32 v7, v8, v7
	v_ashrrev_i32_e32 v8, 8, v9
	v_add_nc_u32_e32 v7, 0x3c000000, v7
	s_delay_alu instid0(VALU_DEP_1) | instskip(NEXT) | instid1(VALU_DEP_1)
	v_and_or_b32 v7, 0x7f800000, v8, v7
	v_cndmask_b32_e32 v6, 0, v7, vcc_lo
	s_delay_alu instid0(VALU_DEP_1) | instskip(SKIP_1) | instid1(VALU_DEP_2)
	v_and_or_b32 v5, 0x80000000, v5, v6
	v_bfe_u32 v6, v6, 16, 1
	v_cmp_o_f32_e32 vcc_lo, v5, v5
	s_delay_alu instid0(VALU_DEP_2) | instskip(NEXT) | instid1(VALU_DEP_1)
	v_add3_u32 v6, v5, v6, 0x7fff
	v_lshrrev_b32_e32 v6, 16, v6
	s_delay_alu instid0(VALU_DEP_1)
	v_cndmask_b32_e32 v6, 0x7fc0, v6, vcc_lo
.LBB209_886:
	s_mov_b32 s3, 0
.LBB209_887:
	s_delay_alu instid0(SALU_CYCLE_1)
	s_and_not1_b32 vcc_lo, exec_lo, s3
	s_cbranch_vccnz .LBB209_889
; %bb.888:
	global_load_u8 v5, v[1:2], off
	s_waitcnt vmcnt(0)
	v_lshlrev_b32_e32 v6, 25, v5
	v_lshlrev_b16 v5, 8, v5
	s_delay_alu instid0(VALU_DEP_2) | instskip(NEXT) | instid1(VALU_DEP_2)
	v_lshrrev_b32_e32 v7, 4, v6
	v_and_or_b32 v8, 0x7f00, v5, 0.5
	v_bfe_i32 v5, v5, 0, 16
	s_delay_alu instid0(VALU_DEP_3) | instskip(NEXT) | instid1(VALU_DEP_1)
	v_or_b32_e32 v7, 0x70000000, v7
	v_dual_add_f32 v8, -0.5, v8 :: v_dual_mul_f32 v7, 0x7800000, v7
	v_cmp_gt_u32_e32 vcc_lo, 0x8000000, v6
	s_delay_alu instid0(VALU_DEP_2) | instskip(NEXT) | instid1(VALU_DEP_1)
	v_cndmask_b32_e32 v6, v7, v8, vcc_lo
	v_and_or_b32 v5, 0x80000000, v5, v6
	v_bfe_u32 v6, v6, 16, 1
	s_delay_alu instid0(VALU_DEP_2) | instskip(NEXT) | instid1(VALU_DEP_2)
	v_cmp_o_f32_e32 vcc_lo, v5, v5
	v_add3_u32 v6, v5, v6, 0x7fff
	s_delay_alu instid0(VALU_DEP_1) | instskip(NEXT) | instid1(VALU_DEP_1)
	v_lshrrev_b32_e32 v6, 16, v6
	v_cndmask_b32_e32 v6, 0x7fc0, v6, vcc_lo
.LBB209_889:
	s_mov_b32 s3, 0
	s_mov_b32 s6, -1
.LBB209_890:
	s_and_not1_b32 vcc_lo, exec_lo, s3
	s_mov_b32 s3, 0
	s_cbranch_vccnz .LBB209_901
; %bb.891:
	v_cmp_lt_i16_e32 vcc_lo, 14, v4
	s_cbranch_vccz .LBB209_894
; %bb.892:
	v_cmp_eq_u16_e32 vcc_lo, 15, v4
	s_cbranch_vccz .LBB209_897
; %bb.893:
	global_load_u16 v6, v[1:2], off
	s_mov_b32 s2, 0
	s_mov_b32 s6, -1
	s_branch .LBB209_899
.LBB209_894:
	s_mov_b32 s3, -1
	s_branch .LBB209_898
.LBB209_895:
	s_or_saveexec_b32 s7, s7
	v_mov_b32_e32 v6, s6
	s_xor_b32 exec_lo, exec_lo, s7
	s_cbranch_execz .LBB209_876
.LBB209_896:
	v_cmp_ne_u16_e32 vcc_lo, 0, v5
	v_mov_b32_e32 v6, 0
	s_and_not1_b32 s3, s3, exec_lo
	s_and_b32 s6, vcc_lo, exec_lo
	s_delay_alu instid0(SALU_CYCLE_1)
	s_or_b32 s3, s3, s6
	s_or_b32 exec_lo, exec_lo, s7
	s_and_saveexec_b32 s6, s3
	s_cbranch_execnz .LBB209_877
	s_branch .LBB209_878
.LBB209_897:
	s_mov_b32 s2, -1
.LBB209_898:
                                        ; implicit-def: $vgpr6
.LBB209_899:
	s_and_b32 vcc_lo, exec_lo, s3
	s_mov_b32 s3, 0
	s_cbranch_vccz .LBB209_901
; %bb.900:
	v_cmp_ne_u16_e32 vcc_lo, 11, v4
	s_and_not1_b32 s2, s2, exec_lo
	s_mov_b32 s3, -1
                                        ; implicit-def: $vgpr6
	s_and_b32 s7, vcc_lo, exec_lo
	s_delay_alu instid0(SALU_CYCLE_1)
	s_or_b32 s2, s2, s7
.LBB209_901:
	s_mov_b32 s7, 0
.LBB209_902:
	s_and_b32 s41, s6, exec_lo
	s_and_b32 s42, s7, exec_lo
	s_and_not1_b32 s6, s22, exec_lo
	s_and_b32 s7, s2, exec_lo
	s_and_b32 s2, s3, exec_lo
	s_or_b32 s43, s6, s7
.LBB209_903:
	s_or_b32 exec_lo, exec_lo, s30
	s_waitcnt lgkmcnt(0)
	s_and_not1_b32 s6, s22, exec_lo
	s_and_b32 s7, s43, exec_lo
	s_and_b32 s41, s41, exec_lo
	;; [unrolled: 1-line block ×4, first 2 shown]
	s_or_b32 s22, s6, s7
.LBB209_904:
	s_or_b32 exec_lo, exec_lo, s40
	s_waitcnt lgkmcnt(0)
	s_and_not1_b32 s6, s38, exec_lo
	s_and_b32 s7, s23, exec_lo
	s_and_b32 s40, s41, exec_lo
	s_or_b32 s38, s6, s7
	s_and_not1_b32 s6, s37, exec_lo
	s_and_b32 s7, s22, exec_lo
	s_and_b32 s23, s3, exec_lo
	;; [unrolled: 1-line block ×3, first 2 shown]
	s_or_b32 s37, s6, s7
.LBB209_905:
	s_or_b32 exec_lo, exec_lo, s39
	s_delay_alu instid0(SALU_CYCLE_1)
	s_and_not1_b32 s2, s34, exec_lo
	s_waitcnt lgkmcnt(0)
	s_and_b32 s6, s38, exec_lo
	s_and_b32 s7, s37, exec_lo
	s_or_b32 s34, s2, s6
	s_and_not1_b32 s6, s35, exec_lo
	s_and_b32 s2, s40, exec_lo
	s_and_b32 s22, s23, exec_lo
	;; [unrolled: 1-line block ×3, first 2 shown]
	s_or_b32 s35, s6, s7
.LBB209_906:
	s_or_b32 exec_lo, exec_lo, s36
	s_mov_b32 s3, 0
	s_waitcnt lgkmcnt(0)
	s_and_saveexec_b32 s6, s35
	s_cbranch_execnz .LBB209_918
; %bb.907:
	s_or_b32 exec_lo, exec_lo, s6
	s_and_saveexec_b32 s6, s37
	s_delay_alu instid0(SALU_CYCLE_1)
	s_xor_b32 s6, exec_lo, s6
	s_cbranch_execz .LBB209_909
.LBB209_908:
	global_load_u8 v5, v[1:2], off
	s_or_b32 s2, s2, exec_lo
	s_waitcnt vmcnt(0)
	v_cmp_ne_u16_e32 vcc_lo, 0, v5
	v_cndmask_b32_e64 v5, 0, 1.0, vcc_lo
	s_delay_alu instid0(VALU_DEP_1)
	v_lshrrev_b32_e32 v6, 16, v5
.LBB209_909:
	s_or_b32 exec_lo, exec_lo, s6
	s_and_saveexec_b32 s6, s22
	s_cbranch_execz .LBB209_957
; %bb.910:
	v_cmp_gt_i16_e32 vcc_lo, 5, v4
	s_cbranch_vccnz .LBB209_915
; %bb.911:
	v_cmp_gt_i16_e32 vcc_lo, 8, v4
	s_cbranch_vccnz .LBB209_916
	;; [unrolled: 3-line block ×3, first 2 shown]
; %bb.913:
	v_cmp_lt_i16_e32 vcc_lo, 9, v4
	s_cbranch_vccz .LBB209_920
; %bb.914:
	global_load_b64 v[5:6], v[1:2], off
	s_mov_b32 s7, 0
	s_waitcnt vmcnt(0)
	v_cvt_f32_f64_e32 v5, v[5:6]
	s_delay_alu instid0(VALU_DEP_1) | instskip(SKIP_1) | instid1(VALU_DEP_2)
	v_bfe_u32 v6, v5, 16, 1
	v_cmp_o_f32_e32 vcc_lo, v5, v5
	v_add3_u32 v6, v5, v6, 0x7fff
	s_delay_alu instid0(VALU_DEP_1) | instskip(NEXT) | instid1(VALU_DEP_1)
	v_lshrrev_b32_e32 v6, 16, v6
	v_cndmask_b32_e32 v6, 0x7fc0, v6, vcc_lo
	s_branch .LBB209_921
.LBB209_915:
                                        ; implicit-def: $vgpr6
	s_branch .LBB209_938
.LBB209_916:
                                        ; implicit-def: $vgpr6
	s_branch .LBB209_927
.LBB209_917:
	s_mov_b32 s7, -1
                                        ; implicit-def: $vgpr6
	s_branch .LBB209_924
.LBB209_918:
	s_cbranch_execnz .LBB209_1188
; %bb.919:
	s_mov_b32 s3, exec_lo
	s_and_not1_b32 s37, s37, exec_lo
                                        ; implicit-def: $vgpr6
	s_or_b32 exec_lo, exec_lo, s6
	s_and_saveexec_b32 s6, s37
	s_delay_alu instid0(SALU_CYCLE_1)
	s_xor_b32 s6, exec_lo, s6
	s_cbranch_execnz .LBB209_908
	s_branch .LBB209_909
.LBB209_920:
	s_mov_b32 s7, -1
                                        ; implicit-def: $vgpr6
.LBB209_921:
	s_delay_alu instid0(SALU_CYCLE_1)
	s_and_not1_b32 vcc_lo, exec_lo, s7
	s_cbranch_vccnz .LBB209_923
; %bb.922:
	global_load_b32 v5, v[1:2], off
	s_waitcnt vmcnt(0)
	v_bfe_u32 v6, v5, 16, 1
	v_cmp_o_f32_e32 vcc_lo, v5, v5
	s_delay_alu instid0(VALU_DEP_2) | instskip(NEXT) | instid1(VALU_DEP_1)
	v_add3_u32 v6, v5, v6, 0x7fff
	v_lshrrev_b32_e32 v6, 16, v6
	s_delay_alu instid0(VALU_DEP_1)
	v_cndmask_b32_e32 v6, 0x7fc0, v6, vcc_lo
.LBB209_923:
	s_mov_b32 s7, 0
.LBB209_924:
	s_delay_alu instid0(SALU_CYCLE_1)
	s_and_not1_b32 vcc_lo, exec_lo, s7
	s_cbranch_vccnz .LBB209_926
; %bb.925:
	global_load_b32 v5, v[1:2], off
	s_waitcnt vmcnt(0)
	v_cvt_f32_f16_e32 v6, v5
	v_cmp_o_f16_e32 vcc_lo, v5, v5
	s_delay_alu instid0(VALU_DEP_2) | instskip(NEXT) | instid1(VALU_DEP_1)
	v_bfe_u32 v7, v6, 16, 1
	v_add3_u32 v6, v6, v7, 0x7fff
	s_delay_alu instid0(VALU_DEP_1) | instskip(NEXT) | instid1(VALU_DEP_1)
	v_lshrrev_b32_e32 v6, 16, v6
	v_cndmask_b32_e32 v6, 0x7fc0, v6, vcc_lo
.LBB209_926:
	s_cbranch_execnz .LBB209_937
.LBB209_927:
	v_cmp_gt_i16_e32 vcc_lo, 6, v4
	s_cbranch_vccnz .LBB209_930
; %bb.928:
	v_cmp_lt_i16_e32 vcc_lo, 6, v4
	s_cbranch_vccz .LBB209_931
; %bb.929:
	global_load_b64 v[5:6], v[1:2], off
	s_mov_b32 s7, 0
	s_waitcnt vmcnt(0)
	v_cvt_f32_f64_e32 v5, v[5:6]
	s_delay_alu instid0(VALU_DEP_1) | instskip(SKIP_1) | instid1(VALU_DEP_2)
	v_bfe_u32 v6, v5, 16, 1
	v_cmp_o_f32_e32 vcc_lo, v5, v5
	v_add3_u32 v6, v5, v6, 0x7fff
	s_delay_alu instid0(VALU_DEP_1) | instskip(NEXT) | instid1(VALU_DEP_1)
	v_lshrrev_b32_e32 v6, 16, v6
	v_cndmask_b32_e32 v6, 0x7fc0, v6, vcc_lo
	s_branch .LBB209_932
.LBB209_930:
	s_mov_b32 s7, -1
                                        ; implicit-def: $vgpr6
	s_branch .LBB209_935
.LBB209_931:
	s_mov_b32 s7, -1
                                        ; implicit-def: $vgpr6
.LBB209_932:
	s_delay_alu instid0(SALU_CYCLE_1)
	s_and_not1_b32 vcc_lo, exec_lo, s7
	s_cbranch_vccnz .LBB209_934
; %bb.933:
	global_load_b32 v5, v[1:2], off
	s_waitcnt vmcnt(0)
	v_bfe_u32 v6, v5, 16, 1
	v_cmp_o_f32_e32 vcc_lo, v5, v5
	s_delay_alu instid0(VALU_DEP_2) | instskip(NEXT) | instid1(VALU_DEP_1)
	v_add3_u32 v6, v5, v6, 0x7fff
	v_lshrrev_b32_e32 v6, 16, v6
	s_delay_alu instid0(VALU_DEP_1)
	v_cndmask_b32_e32 v6, 0x7fc0, v6, vcc_lo
.LBB209_934:
	s_mov_b32 s7, 0
.LBB209_935:
	s_delay_alu instid0(SALU_CYCLE_1)
	s_and_not1_b32 vcc_lo, exec_lo, s7
	s_cbranch_vccnz .LBB209_937
; %bb.936:
	global_load_u16 v5, v[1:2], off
	s_waitcnt vmcnt(0)
	v_cvt_f32_f16_e32 v6, v5
	v_cmp_o_f16_e32 vcc_lo, v5, v5
	s_delay_alu instid0(VALU_DEP_2) | instskip(NEXT) | instid1(VALU_DEP_1)
	v_bfe_u32 v7, v6, 16, 1
	v_add3_u32 v6, v6, v7, 0x7fff
	s_delay_alu instid0(VALU_DEP_1) | instskip(NEXT) | instid1(VALU_DEP_1)
	v_lshrrev_b32_e32 v6, 16, v6
	v_cndmask_b32_e32 v6, 0x7fc0, v6, vcc_lo
.LBB209_937:
	s_cbranch_execnz .LBB209_956
.LBB209_938:
	v_cmp_gt_i16_e32 vcc_lo, 2, v4
	s_cbranch_vccnz .LBB209_942
; %bb.939:
	v_cmp_gt_i16_e32 vcc_lo, 3, v4
	s_cbranch_vccnz .LBB209_943
; %bb.940:
	v_cmp_lt_i16_e32 vcc_lo, 3, v4
	s_cbranch_vccz .LBB209_944
; %bb.941:
	global_load_b64 v[5:6], v[1:2], off
	s_mov_b32 s7, 0
	s_waitcnt vmcnt(0)
	v_xor_b32_e32 v7, v5, v6
	v_cls_i32_e32 v8, v6
	s_delay_alu instid0(VALU_DEP_2) | instskip(NEXT) | instid1(VALU_DEP_2)
	v_ashrrev_i32_e32 v7, 31, v7
	v_add_nc_u32_e32 v8, -1, v8
	s_delay_alu instid0(VALU_DEP_2) | instskip(NEXT) | instid1(VALU_DEP_1)
	v_add_nc_u32_e32 v7, 32, v7
	v_min_u32_e32 v7, v8, v7
	s_delay_alu instid0(VALU_DEP_1) | instskip(NEXT) | instid1(VALU_DEP_1)
	v_lshlrev_b64 v[5:6], v7, v[5:6]
	v_min_u32_e32 v5, 1, v5
	s_delay_alu instid0(VALU_DEP_1) | instskip(SKIP_1) | instid1(VALU_DEP_2)
	v_or_b32_e32 v5, v6, v5
	v_sub_nc_u32_e32 v6, 32, v7
	v_cvt_f32_i32_e32 v5, v5
	s_delay_alu instid0(VALU_DEP_1) | instskip(NEXT) | instid1(VALU_DEP_1)
	v_ldexp_f32 v5, v5, v6
	v_bfe_u32 v6, v5, 16, 1
	s_delay_alu instid0(VALU_DEP_1) | instskip(NEXT) | instid1(VALU_DEP_1)
	v_add3_u32 v5, v5, v6, 0x7fff
	v_lshrrev_b32_e32 v6, 16, v5
	s_branch .LBB209_945
.LBB209_942:
                                        ; implicit-def: $vgpr6
	s_branch .LBB209_951
.LBB209_943:
	s_mov_b32 s7, -1
                                        ; implicit-def: $vgpr6
	s_branch .LBB209_948
.LBB209_944:
	s_mov_b32 s7, -1
                                        ; implicit-def: $vgpr6
.LBB209_945:
	s_delay_alu instid0(SALU_CYCLE_1)
	s_and_not1_b32 vcc_lo, exec_lo, s7
	s_cbranch_vccnz .LBB209_947
; %bb.946:
	global_load_b32 v5, v[1:2], off
	s_waitcnt vmcnt(0)
	v_cvt_f32_i32_e32 v5, v5
	s_delay_alu instid0(VALU_DEP_1) | instskip(NEXT) | instid1(VALU_DEP_1)
	v_bfe_u32 v6, v5, 16, 1
	v_add3_u32 v5, v5, v6, 0x7fff
	s_delay_alu instid0(VALU_DEP_1)
	v_lshrrev_b32_e32 v6, 16, v5
.LBB209_947:
	s_mov_b32 s7, 0
.LBB209_948:
	s_delay_alu instid0(SALU_CYCLE_1)
	s_and_not1_b32 vcc_lo, exec_lo, s7
	s_cbranch_vccnz .LBB209_950
; %bb.949:
	global_load_i16 v5, v[1:2], off
	s_waitcnt vmcnt(0)
	v_cvt_f32_i32_e32 v5, v5
	s_delay_alu instid0(VALU_DEP_1) | instskip(NEXT) | instid1(VALU_DEP_1)
	v_bfe_u32 v6, v5, 16, 1
	v_add3_u32 v5, v5, v6, 0x7fff
	s_delay_alu instid0(VALU_DEP_1)
	v_lshrrev_b32_e32 v6, 16, v5
.LBB209_950:
	s_cbranch_execnz .LBB209_956
.LBB209_951:
	v_cmp_lt_i16_e32 vcc_lo, 0, v4
	s_mov_b32 s7, 0
	s_cbranch_vccz .LBB209_953
; %bb.952:
	global_load_i8 v4, v[1:2], off
	s_waitcnt vmcnt(0)
	v_cvt_f32_i32_e32 v4, v4
	s_delay_alu instid0(VALU_DEP_1) | instskip(NEXT) | instid1(VALU_DEP_1)
	v_bfe_u32 v5, v4, 16, 1
	v_add3_u32 v4, v4, v5, 0x7fff
	s_delay_alu instid0(VALU_DEP_1)
	v_lshrrev_b32_e32 v6, 16, v4
	s_branch .LBB209_954
.LBB209_953:
	s_mov_b32 s7, -1
                                        ; implicit-def: $vgpr6
.LBB209_954:
	s_delay_alu instid0(SALU_CYCLE_1)
	s_and_not1_b32 vcc_lo, exec_lo, s7
	s_cbranch_vccnz .LBB209_956
; %bb.955:
	global_load_u8 v1, v[1:2], off
	s_waitcnt vmcnt(0)
	v_cvt_f32_ubyte0_e32 v1, v1
	s_delay_alu instid0(VALU_DEP_1) | instskip(NEXT) | instid1(VALU_DEP_1)
	v_bfe_u32 v2, v1, 16, 1
	v_add3_u32 v1, v1, v2, 0x7fff
	s_delay_alu instid0(VALU_DEP_1)
	v_lshrrev_b32_e32 v6, 16, v1
.LBB209_956:
	s_or_b32 s2, s2, exec_lo
.LBB209_957:
	s_or_b32 exec_lo, exec_lo, s6
	s_mov_b32 s8, 0
	s_mov_b32 s7, 0
                                        ; implicit-def: $vgpr5
                                        ; implicit-def: $vgpr1_vgpr2
                                        ; implicit-def: $vgpr4
	s_and_saveexec_b32 s6, s2
	s_cbranch_execz .LBB209_1034
; %bb.958:
	s_waitcnt vmcnt(0)
	v_lshlrev_b32_e32 v1, 16, v6
	s_delay_alu instid0(VALU_DEP_1) | instskip(NEXT) | instid1(VALU_DEP_1)
	v_cvt_f64_f32_e32 v[1:2], v1
	v_rsq_f64_e32 v[4:5], v[1:2]
	s_waitcnt_depctr 0xfff
	v_mul_f64 v[1:2], v[4:5], -v[1:2]
	v_cmp_class_f64_e64 vcc_lo, v[4:5], 0x180
	s_delay_alu instid0(VALU_DEP_2) | instskip(NEXT) | instid1(VALU_DEP_1)
	v_fma_f64 v[1:2], v[1:2], v[4:5], 1.0
	v_mul_f64 v[6:7], v[4:5], v[1:2]
	v_fma_f64 v[1:2], 0x3fd80000, v[1:2], 0.5
	s_delay_alu instid0(VALU_DEP_1) | instskip(NEXT) | instid1(VALU_DEP_1)
	v_fma_f64 v[1:2], v[6:7], v[1:2], v[4:5]
	v_dual_cndmask_b32 v2, v5, v2 :: v_dual_cndmask_b32 v1, v4, v1
	v_and_b32_e32 v5, 0xff, v3
	s_delay_alu instid0(VALU_DEP_2) | instskip(NEXT) | instid1(VALU_DEP_2)
	v_cvt_f32_f64_e32 v4, v[1:2]
	v_cmp_gt_i16_e32 vcc_lo, 11, v5
	s_and_b32 vcc_lo, exec_lo, vcc_lo
	s_delay_alu instid0(VALU_DEP_2) | instskip(NEXT) | instid1(VALU_DEP_1)
	v_bfe_u32 v1, v4, 16, 1
	v_add3_u32 v1, v4, v1, 0x7fff
	s_delay_alu instid0(VALU_DEP_1) | instskip(SKIP_1) | instid1(VALU_DEP_1)
	v_lshrrev_b32_e32 v3, 16, v1
	v_add_co_u32 v1, s2, s4, v0
	v_add_co_ci_u32_e64 v2, null, s5, 0, s2
	v_cmp_o_f32_e64 s2, v4, v4
	s_mov_b32 s4, -1
	s_delay_alu instid0(VALU_DEP_1)
	v_cndmask_b32_e64 v4, 0x7fc0, v3, s2
	s_mov_b32 s2, s34
	s_cbranch_vccnz .LBB209_1033
; %bb.959:
	v_cmp_lt_i16_e32 vcc_lo, 25, v5
	s_mov_b32 s2, s34
	s_cbranch_vccz .LBB209_992
; %bb.960:
	v_cmp_lt_i16_e32 vcc_lo, 28, v5
	s_mov_b32 s2, s34
	s_cbranch_vccz .LBB209_976
	;; [unrolled: 4-line block ×4, first 2 shown]
; %bb.963:
	v_cmp_eq_u16_e32 vcc_lo, 46, v5
	s_mov_b32 s2, -1
	s_cbranch_vccz .LBB209_965
; %bb.964:
	v_and_b32_e32 v0, 0xffff, v4
	s_mov_b32 s2, 0
	global_store_b32 v[1:2], v0, off
.LBB209_965:
	s_mov_b32 s4, 0
.LBB209_966:
	s_delay_alu instid0(SALU_CYCLE_1)
	s_and_b32 vcc_lo, exec_lo, s4
	s_cbranch_vccz .LBB209_971
; %bb.967:
	v_cmp_eq_u16_e32 vcc_lo, 44, v5
	s_mov_b32 s2, -1
	s_cbranch_vccz .LBB209_971
; %bb.968:
	v_and_b32_e32 v0, 0xffff, v4
	v_mov_b32_e32 v3, 0xff
	s_mov_b32 s4, exec_lo
	s_delay_alu instid0(VALU_DEP_2) | instskip(NEXT) | instid1(VALU_DEP_1)
	v_bfe_u32 v6, v0, 7, 8
	v_cmpx_ne_u32_e32 0xff, v6
; %bb.969:
	v_lshlrev_b32_e32 v3, 16, v0
	v_and_b32_e32 v7, 64, v0
	v_lshrrev_b32_e32 v0, 7, v0
	s_delay_alu instid0(VALU_DEP_3) | instskip(NEXT) | instid1(VALU_DEP_3)
	v_and_or_b32 v3, 0x3f0000, v3, v6
	v_cmp_ne_u32_e32 vcc_lo, 0, v7
	s_delay_alu instid0(VALU_DEP_2) | instskip(NEXT) | instid1(VALU_DEP_1)
	v_cmp_ne_u32_e64 s2, 0, v3
	s_and_b32 s2, vcc_lo, s2
	s_delay_alu instid0(SALU_CYCLE_1) | instskip(NEXT) | instid1(VALU_DEP_1)
	v_cndmask_b32_e64 v3, 0, 1, s2
	v_add_nc_u32_e32 v3, v0, v3
; %bb.970:
	s_or_b32 exec_lo, exec_lo, s4
	s_mov_b32 s2, 0
	global_store_b8 v[1:2], v3, off
.LBB209_971:
	s_mov_b32 s4, 0
.LBB209_972:
	s_delay_alu instid0(SALU_CYCLE_1)
	s_and_b32 vcc_lo, exec_lo, s4
	s_cbranch_vccz .LBB209_975
; %bb.973:
	v_cmp_eq_u16_e32 vcc_lo, 29, v5
	s_mov_b32 s2, -1
	s_cbranch_vccz .LBB209_975
; %bb.974:
	v_lshlrev_b32_e32 v0, 16, v4
	s_mov_b32 s2, 0
	s_delay_alu instid0(VALU_DEP_1) | instskip(NEXT) | instid1(VALU_DEP_1)
	v_trunc_f32_e32 v0, v0
	v_mul_f32_e32 v3, 0x2f800000, v0
	s_delay_alu instid0(VALU_DEP_1) | instskip(NEXT) | instid1(VALU_DEP_1)
	v_floor_f32_e32 v3, v3
	v_fmamk_f32 v0, v3, 0xcf800000, v0
	v_cvt_u32_f32_e32 v7, v3
	s_delay_alu instid0(VALU_DEP_2)
	v_cvt_u32_f32_e32 v6, v0
	global_store_b64 v[1:2], v[6:7], off
.LBB209_975:
	s_mov_b32 s4, 0
.LBB209_976:
	s_delay_alu instid0(SALU_CYCLE_1)
	s_and_b32 vcc_lo, exec_lo, s4
	s_cbranch_vccz .LBB209_991
; %bb.977:
	v_cmp_gt_i16_e32 vcc_lo, 27, v5
	s_mov_b32 s4, -1
	s_cbranch_vccnz .LBB209_983
; %bb.978:
	v_cmp_lt_i16_e32 vcc_lo, 27, v5
	s_cbranch_vccz .LBB209_980
; %bb.979:
	v_lshlrev_b32_e32 v0, 16, v4
	s_mov_b32 s4, 0
	s_delay_alu instid0(VALU_DEP_1)
	v_cvt_u32_f32_e32 v0, v0
	global_store_b32 v[1:2], v0, off
.LBB209_980:
	s_and_not1_b32 vcc_lo, exec_lo, s4
	s_cbranch_vccnz .LBB209_982
; %bb.981:
	v_lshlrev_b32_e32 v0, 16, v4
	s_delay_alu instid0(VALU_DEP_1)
	v_cvt_u32_f32_e32 v0, v0
	global_store_b16 v[1:2], v0, off
.LBB209_982:
	s_mov_b32 s4, 0
.LBB209_983:
	s_delay_alu instid0(SALU_CYCLE_1)
	s_and_not1_b32 vcc_lo, exec_lo, s4
	s_cbranch_vccnz .LBB209_991
; %bb.984:
	v_dual_mov_b32 v7, 0x80 :: v_dual_lshlrev_b32 v6, 16, v4
	s_mov_b32 s4, exec_lo
	s_delay_alu instid0(VALU_DEP_1) | instskip(NEXT) | instid1(VALU_DEP_1)
	v_and_b32_e32 v3, 0x7fffffff, v6
	v_cmpx_gt_u32_e32 0x43800000, v3
	s_cbranch_execz .LBB209_990
; %bb.985:
	v_and_b32_e32 v0, 0xffff, v4
	v_cmp_lt_u32_e32 vcc_lo, 0x3bffffff, v3
	s_mov_b32 s5, 0
                                        ; implicit-def: $vgpr3
	s_and_saveexec_b32 s7, vcc_lo
	s_delay_alu instid0(SALU_CYCLE_1)
	s_xor_b32 s7, exec_lo, s7
	s_cbranch_execz .LBB209_1279
; %bb.986:
	v_bfe_u32 v3, v0, 4, 1
	s_mov_b32 s5, exec_lo
	s_delay_alu instid0(VALU_DEP_1) | instskip(NEXT) | instid1(VALU_DEP_1)
	v_add3_u32 v3, v6, v3, 0x487ffff
                                        ; implicit-def: $vgpr6
	v_lshrrev_b32_e32 v3, 20, v3
	s_or_saveexec_b32 s7, s7
                                        ; implicit-def: $sgpr8
	s_delay_alu instid0(SALU_CYCLE_1)
	s_xor_b32 exec_lo, exec_lo, s7
	s_cbranch_execnz .LBB209_1280
.LBB209_987:
	s_or_b32 exec_lo, exec_lo, s7
	v_mov_b32_e32 v7, s8
	s_and_saveexec_b32 s7, s5
.LBB209_988:
	v_lshrrev_b32_e32 v0, 8, v0
	s_delay_alu instid0(VALU_DEP_1)
	v_and_or_b32 v7, 0x80, v0, v3
.LBB209_989:
	s_or_b32 exec_lo, exec_lo, s7
.LBB209_990:
	s_delay_alu instid0(SALU_CYCLE_1)
	s_or_b32 exec_lo, exec_lo, s4
	global_store_b8 v[1:2], v7, off
.LBB209_991:
	s_mov_b32 s4, 0
.LBB209_992:
	s_delay_alu instid0(SALU_CYCLE_1)
	s_and_b32 vcc_lo, exec_lo, s4
	s_mov_b32 s4, 0
	s_cbranch_vccz .LBB209_1032
; %bb.993:
	v_cmp_lt_i16_e32 vcc_lo, 22, v5
	s_mov_b32 s5, -1
	s_cbranch_vccz .LBB209_1025
; %bb.994:
	v_cmp_gt_i16_e32 vcc_lo, 24, v5
	s_cbranch_vccnz .LBB209_1014
; %bb.995:
	v_cmp_lt_i16_e32 vcc_lo, 24, v5
	s_cbranch_vccz .LBB209_1003
; %bb.996:
	v_dual_mov_b32 v7, 0x80 :: v_dual_lshlrev_b32 v6, 16, v4
	s_mov_b32 s5, exec_lo
	s_delay_alu instid0(VALU_DEP_1) | instskip(NEXT) | instid1(VALU_DEP_1)
	v_and_b32_e32 v3, 0x7fffffff, v6
	v_cmpx_gt_u32_e32 0x47800000, v3
	s_cbranch_execz .LBB209_1002
; %bb.997:
	v_and_b32_e32 v0, 0xffff, v4
	v_cmp_lt_u32_e32 vcc_lo, 0x37ffffff, v3
	s_mov_b32 s7, 0
                                        ; implicit-def: $vgpr3
	s_and_saveexec_b32 s8, vcc_lo
	s_delay_alu instid0(SALU_CYCLE_1)
	s_xor_b32 s8, exec_lo, s8
	s_cbranch_execz .LBB209_1323
; %bb.998:
	v_bfe_u32 v3, v0, 5, 1
	s_mov_b32 s7, exec_lo
	s_delay_alu instid0(VALU_DEP_1) | instskip(NEXT) | instid1(VALU_DEP_1)
	v_add3_u32 v3, v6, v3, 0x88fffff
                                        ; implicit-def: $vgpr6
	v_lshrrev_b32_e32 v3, 21, v3
	s_or_saveexec_b32 s8, s8
                                        ; implicit-def: $sgpr9
	s_delay_alu instid0(SALU_CYCLE_1)
	s_xor_b32 exec_lo, exec_lo, s8
	s_cbranch_execnz .LBB209_1324
.LBB209_999:
	s_or_b32 exec_lo, exec_lo, s8
	v_mov_b32_e32 v7, s9
	s_and_saveexec_b32 s8, s7
.LBB209_1000:
	v_lshrrev_b32_e32 v0, 8, v0
	s_delay_alu instid0(VALU_DEP_1)
	v_and_or_b32 v7, 0x80, v0, v3
.LBB209_1001:
	s_or_b32 exec_lo, exec_lo, s8
.LBB209_1002:
	s_delay_alu instid0(SALU_CYCLE_1)
	s_or_b32 exec_lo, exec_lo, s5
	s_mov_b32 s5, 0
	global_store_b8 v[1:2], v7, off
.LBB209_1003:
	s_and_b32 vcc_lo, exec_lo, s5
	s_cbranch_vccz .LBB209_1013
; %bb.1004:
	v_lshlrev_b32_e32 v6, 16, v4
	v_and_b32_e32 v0, 0xffff, v4
	s_mov_b32 s5, exec_lo
                                        ; implicit-def: $vgpr3
	s_delay_alu instid0(VALU_DEP_2) | instskip(NEXT) | instid1(VALU_DEP_1)
	v_and_b32_e32 v7, 0x7fffffff, v6
	v_cmpx_gt_u32_e32 0x43f00000, v7
	s_xor_b32 s5, exec_lo, s5
	s_cbranch_execz .LBB209_1010
; %bb.1005:
	s_mov_b32 s7, exec_lo
                                        ; implicit-def: $vgpr3
	v_cmpx_lt_u32_e32 0x3c7fffff, v7
	s_xor_b32 s7, exec_lo, s7
; %bb.1006:
	v_bfe_u32 v3, v0, 4, 1
	s_delay_alu instid0(VALU_DEP_1) | instskip(NEXT) | instid1(VALU_DEP_1)
	v_add3_u32 v3, v6, v3, 0x407ffff
	v_and_b32_e32 v6, 0xff00000, v3
	v_lshrrev_b32_e32 v3, 20, v3
	s_delay_alu instid0(VALU_DEP_2) | instskip(NEXT) | instid1(VALU_DEP_2)
	v_cmp_ne_u32_e32 vcc_lo, 0x7f00000, v6
                                        ; implicit-def: $vgpr6
	v_cndmask_b32_e32 v3, 0x7e, v3, vcc_lo
; %bb.1007:
	s_and_not1_saveexec_b32 s7, s7
; %bb.1008:
	v_add_f32_e64 v3, 0x46800000, |v6|
; %bb.1009:
	s_or_b32 exec_lo, exec_lo, s7
                                        ; implicit-def: $vgpr7
.LBB209_1010:
	s_and_not1_saveexec_b32 s5, s5
; %bb.1011:
	v_mov_b32_e32 v3, 0x7f
	v_cmp_lt_u32_e32 vcc_lo, 0x7f800000, v7
	s_delay_alu instid0(VALU_DEP_2)
	v_cndmask_b32_e32 v3, 0x7e, v3, vcc_lo
; %bb.1012:
	s_or_b32 exec_lo, exec_lo, s5
	v_lshrrev_b32_e32 v0, 8, v0
	s_delay_alu instid0(VALU_DEP_1)
	v_and_or_b32 v0, 0x80, v0, v3
	global_store_b8 v[1:2], v0, off
.LBB209_1013:
	s_mov_b32 s5, 0
.LBB209_1014:
	s_delay_alu instid0(SALU_CYCLE_1)
	s_and_not1_b32 vcc_lo, exec_lo, s5
	s_cbranch_vccnz .LBB209_1024
; %bb.1015:
	v_lshlrev_b32_e32 v6, 16, v4
	v_and_b32_e32 v0, 0xffff, v4
	s_mov_b32 s5, exec_lo
                                        ; implicit-def: $vgpr3
	s_delay_alu instid0(VALU_DEP_2) | instskip(NEXT) | instid1(VALU_DEP_1)
	v_and_b32_e32 v7, 0x7fffffff, v6
	v_cmpx_gt_u32_e32 0x47800000, v7
	s_xor_b32 s5, exec_lo, s5
	s_cbranch_execz .LBB209_1021
; %bb.1016:
	s_mov_b32 s7, exec_lo
                                        ; implicit-def: $vgpr3
	v_cmpx_lt_u32_e32 0x387fffff, v7
	s_xor_b32 s7, exec_lo, s7
; %bb.1017:
	v_bfe_u32 v3, v0, 5, 1
	s_delay_alu instid0(VALU_DEP_1) | instskip(NEXT) | instid1(VALU_DEP_1)
	v_add3_u32 v3, v6, v3, 0x80fffff
                                        ; implicit-def: $vgpr6
	v_lshrrev_b32_e32 v3, 21, v3
; %bb.1018:
	s_and_not1_saveexec_b32 s7, s7
; %bb.1019:
	v_add_f32_e64 v3, 0x43000000, |v6|
; %bb.1020:
	s_or_b32 exec_lo, exec_lo, s7
                                        ; implicit-def: $vgpr7
.LBB209_1021:
	s_and_not1_saveexec_b32 s5, s5
; %bb.1022:
	v_mov_b32_e32 v3, 0x7f
	v_cmp_lt_u32_e32 vcc_lo, 0x7f800000, v7
	s_delay_alu instid0(VALU_DEP_2)
	v_cndmask_b32_e32 v3, 0x7c, v3, vcc_lo
; %bb.1023:
	s_or_b32 exec_lo, exec_lo, s5
	v_lshrrev_b32_e32 v0, 8, v0
	s_delay_alu instid0(VALU_DEP_1)
	v_and_or_b32 v0, 0x80, v0, v3
	global_store_b8 v[1:2], v0, off
.LBB209_1024:
	s_mov_b32 s5, 0
.LBB209_1025:
	s_delay_alu instid0(SALU_CYCLE_1)
	s_and_not1_b32 vcc_lo, exec_lo, s5
	s_mov_b32 s8, 0
	s_cbranch_vccnz .LBB209_1033
; %bb.1026:
	v_cmp_lt_i16_e32 vcc_lo, 14, v5
	s_mov_b32 s5, -1
	s_cbranch_vccz .LBB209_1030
; %bb.1027:
	v_cmp_eq_u16_e32 vcc_lo, 15, v5
	s_mov_b32 s2, -1
	s_cbranch_vccz .LBB209_1029
; %bb.1028:
	s_mov_b32 s2, 0
	global_store_b16 v[1:2], v4, off
.LBB209_1029:
	s_mov_b32 s5, 0
.LBB209_1030:
	s_delay_alu instid0(SALU_CYCLE_1)
	s_and_b32 vcc_lo, exec_lo, s5
	s_cbranch_vccz .LBB209_1033
; %bb.1031:
	v_cmp_ne_u16_e32 vcc_lo, 11, v5
	s_and_not1_b32 s2, s2, exec_lo
	s_mov_b32 s8, -1
	s_and_b32 s5, vcc_lo, exec_lo
	s_delay_alu instid0(SALU_CYCLE_1)
	s_or_b32 s2, s2, s5
	s_branch .LBB209_1033
.LBB209_1032:
	s_mov_b32 s8, 0
.LBB209_1033:
	s_and_b32 s7, s4, exec_lo
	s_and_not1_b32 s4, s34, exec_lo
	s_and_b32 s2, s2, exec_lo
	s_and_b32 s8, s8, exec_lo
	s_or_b32 s34, s4, s2
.LBB209_1034:
	s_or_b32 exec_lo, exec_lo, s6
	s_and_saveexec_b32 s2, s34
	s_cbranch_execnz .LBB209_1148
; %bb.1035:
	s_or_b32 exec_lo, exec_lo, s2
	s_and_saveexec_b32 s2, s8
	s_delay_alu instid0(SALU_CYCLE_1)
	s_xor_b32 s2, exec_lo, s2
	s_cbranch_execz .LBB209_1037
.LBB209_1036:
	v_and_b32_e32 v0, 0x7fff, v4
	s_delay_alu instid0(VALU_DEP_1)
	v_cmp_ne_u16_e32 vcc_lo, 0, v0
	v_cndmask_b32_e64 v0, 0, 1, vcc_lo
	global_store_b8 v[1:2], v0, off
.LBB209_1037:
	s_or_b32 exec_lo, exec_lo, s2
	s_and_saveexec_b32 s2, s7
	s_delay_alu instid0(SALU_CYCLE_1)
	s_xor_b32 s2, exec_lo, s2
	s_cbranch_execz .LBB209_1075
; %bb.1038:
	v_cmp_gt_i16_e32 vcc_lo, 5, v5
	s_mov_b32 s4, -1
	s_cbranch_vccnz .LBB209_1059
; %bb.1039:
	v_cmp_gt_i16_e32 vcc_lo, 8, v5
	s_cbranch_vccnz .LBB209_1049
; %bb.1040:
	v_cmp_gt_i16_e32 vcc_lo, 9, v5
	s_cbranch_vccnz .LBB209_1046
; %bb.1041:
	v_cmp_lt_i16_e32 vcc_lo, 9, v5
	s_cbranch_vccz .LBB209_1043
; %bb.1042:
	v_mov_b32_e32 v8, 0
	v_lshlrev_b32_e32 v0, 16, v4
	s_mov_b32 s4, 0
	s_delay_alu instid0(VALU_DEP_2) | instskip(SKIP_1) | instid1(VALU_DEP_2)
	v_mov_b32_e32 v9, v8
	s_waitcnt vmcnt(0)
	v_cvt_f64_f32_e32 v[6:7], v0
	global_store_b128 v[1:2], v[6:9], off
.LBB209_1043:
	s_and_not1_b32 vcc_lo, exec_lo, s4
	s_cbranch_vccnz .LBB209_1045
; %bb.1044:
	s_waitcnt vmcnt(0)
	v_dual_mov_b32 v7, 0 :: v_dual_lshlrev_b32 v6, 16, v4
	global_store_b64 v[1:2], v[6:7], off
.LBB209_1045:
	s_mov_b32 s4, 0
.LBB209_1046:
	s_delay_alu instid0(SALU_CYCLE_1)
	s_and_not1_b32 vcc_lo, exec_lo, s4
	s_cbranch_vccnz .LBB209_1048
; %bb.1047:
	v_lshlrev_b32_e32 v0, 16, v4
	s_delay_alu instid0(VALU_DEP_1) | instskip(NEXT) | instid1(VALU_DEP_1)
	v_cvt_f16_f32_e32 v0, v0
	v_and_b32_e32 v0, 0xffff, v0
	global_store_b32 v[1:2], v0, off
.LBB209_1048:
	s_mov_b32 s4, 0
.LBB209_1049:
	s_delay_alu instid0(SALU_CYCLE_1)
	s_and_not1_b32 vcc_lo, exec_lo, s4
	s_cbranch_vccnz .LBB209_1058
; %bb.1050:
	v_cmp_gt_i16_e32 vcc_lo, 6, v5
	s_mov_b32 s4, -1
	s_cbranch_vccnz .LBB209_1056
; %bb.1051:
	v_cmp_lt_i16_e32 vcc_lo, 6, v5
	s_cbranch_vccz .LBB209_1053
; %bb.1052:
	v_lshlrev_b32_e32 v0, 16, v4
	s_mov_b32 s4, 0
	s_waitcnt vmcnt(0)
	s_delay_alu instid0(VALU_DEP_1)
	v_cvt_f64_f32_e32 v[6:7], v0
	global_store_b64 v[1:2], v[6:7], off
.LBB209_1053:
	s_and_not1_b32 vcc_lo, exec_lo, s4
	s_cbranch_vccnz .LBB209_1055
; %bb.1054:
	v_lshlrev_b32_e32 v0, 16, v4
	global_store_b32 v[1:2], v0, off
.LBB209_1055:
	s_mov_b32 s4, 0
.LBB209_1056:
	s_delay_alu instid0(SALU_CYCLE_1)
	s_and_not1_b32 vcc_lo, exec_lo, s4
	s_cbranch_vccnz .LBB209_1058
; %bb.1057:
	v_lshlrev_b32_e32 v0, 16, v4
	s_delay_alu instid0(VALU_DEP_1)
	v_cvt_f16_f32_e32 v0, v0
	global_store_b16 v[1:2], v0, off
.LBB209_1058:
	s_mov_b32 s4, 0
.LBB209_1059:
	s_delay_alu instid0(SALU_CYCLE_1)
	s_and_not1_b32 vcc_lo, exec_lo, s4
	s_cbranch_vccnz .LBB209_1075
; %bb.1060:
	v_cmp_gt_i16_e32 vcc_lo, 2, v5
	s_mov_b32 s4, -1
	s_cbranch_vccnz .LBB209_1070
; %bb.1061:
	v_cmp_gt_i16_e32 vcc_lo, 3, v5
	s_cbranch_vccnz .LBB209_1067
; %bb.1062:
	v_cmp_lt_i16_e32 vcc_lo, 3, v5
	s_cbranch_vccz .LBB209_1064
; %bb.1063:
	v_lshlrev_b32_e32 v0, 16, v4
	s_mov_b32 s4, 0
	s_delay_alu instid0(VALU_DEP_1) | instskip(NEXT) | instid1(VALU_DEP_1)
	v_trunc_f32_e32 v0, v0
	v_mul_f32_e64 v3, 0x2f800000, |v0|
	s_delay_alu instid0(VALU_DEP_1) | instskip(SKIP_1) | instid1(VALU_DEP_1)
	v_floor_f32_e32 v3, v3
	s_waitcnt vmcnt(0)
	v_fma_f32 v6, 0xcf800000, v3, |v0|
	v_ashrrev_i32_e32 v0, 31, v0
	v_cvt_u32_f32_e32 v3, v3
	s_delay_alu instid0(VALU_DEP_3) | instskip(NEXT) | instid1(VALU_DEP_2)
	v_cvt_u32_f32_e32 v6, v6
	v_xor_b32_e32 v3, v3, v0
	s_delay_alu instid0(VALU_DEP_2) | instskip(NEXT) | instid1(VALU_DEP_1)
	v_xor_b32_e32 v6, v6, v0
	v_sub_co_u32 v6, vcc_lo, v6, v0
	s_delay_alu instid0(VALU_DEP_3)
	v_sub_co_ci_u32_e32 v7, vcc_lo, v3, v0, vcc_lo
	global_store_b64 v[1:2], v[6:7], off
.LBB209_1064:
	s_and_not1_b32 vcc_lo, exec_lo, s4
	s_cbranch_vccnz .LBB209_1066
; %bb.1065:
	v_lshlrev_b32_e32 v0, 16, v4
	s_delay_alu instid0(VALU_DEP_1)
	v_cvt_i32_f32_e32 v0, v0
	global_store_b32 v[1:2], v0, off
.LBB209_1066:
	s_mov_b32 s4, 0
.LBB209_1067:
	s_delay_alu instid0(SALU_CYCLE_1)
	s_and_not1_b32 vcc_lo, exec_lo, s4
	s_cbranch_vccnz .LBB209_1069
; %bb.1068:
	v_lshlrev_b32_e32 v0, 16, v4
	s_delay_alu instid0(VALU_DEP_1)
	v_cvt_i32_f32_e32 v0, v0
	global_store_b16 v[1:2], v0, off
.LBB209_1069:
	s_mov_b32 s4, 0
.LBB209_1070:
	s_delay_alu instid0(SALU_CYCLE_1)
	s_and_not1_b32 vcc_lo, exec_lo, s4
	s_cbranch_vccnz .LBB209_1075
; %bb.1071:
	v_cmp_lt_i16_e32 vcc_lo, 0, v5
	s_mov_b32 s4, -1
	s_cbranch_vccz .LBB209_1073
; %bb.1072:
	v_lshlrev_b32_e32 v0, 16, v4
	s_mov_b32 s4, 0
	s_delay_alu instid0(VALU_DEP_1)
	v_cvt_i32_f32_e32 v0, v0
	global_store_b8 v[1:2], v0, off
.LBB209_1073:
	s_and_not1_b32 vcc_lo, exec_lo, s4
	s_cbranch_vccnz .LBB209_1075
; %bb.1074:
	v_lshlrev_b32_e32 v0, 16, v4
	s_delay_alu instid0(VALU_DEP_1) | instskip(NEXT) | instid1(VALU_DEP_1)
	v_trunc_f32_e32 v0, v0
	v_mul_f32_e64 v3, 0x2f800000, |v0|
	s_delay_alu instid0(VALU_DEP_1) | instskip(NEXT) | instid1(VALU_DEP_1)
	v_floor_f32_e32 v3, v3
	v_fma_f32 v3, 0xcf800000, v3, |v0|
	v_ashrrev_i32_e32 v0, 31, v0
	s_delay_alu instid0(VALU_DEP_2) | instskip(NEXT) | instid1(VALU_DEP_1)
	v_cvt_u32_f32_e32 v3, v3
	v_xor_b32_e32 v3, v3, v0
	s_delay_alu instid0(VALU_DEP_1)
	v_sub_nc_u32_e32 v0, v3, v0
	global_store_b8 v[1:2], v0, off
.LBB209_1075:
	s_or_b32 exec_lo, exec_lo, s2
	s_delay_alu instid0(SALU_CYCLE_1)
	s_and_b32 s8, s3, exec_lo
                                        ; implicit-def: $vgpr8
                                        ; implicit-def: $vgpr5
.LBB209_1076:
	s_or_saveexec_b32 s9, s28
	s_mov_b32 s3, 0
                                        ; implicit-def: $vgpr0_vgpr1
                                        ; implicit-def: $vgpr6
                                        ; implicit-def: $vgpr2
	s_xor_b32 exec_lo, exec_lo, s9
	s_cbranch_execz .LBB209_2092
; %bb.1077:
	v_cndmask_b32_e64 v0, 0, 1, s27
	s_and_not1_b32 vcc_lo, exec_lo, s27
	s_cbranch_vccnz .LBB209_1083
; %bb.1078:
	v_mov_b32_e32 v3, 0
	v_mov_b32_e32 v7, 0
	s_cmp_lg_u32 s24, 0
	s_mov_b32 s6, 0
	s_cbranch_scc0 .LBB209_1087
; %bb.1079:
	s_min_u32 s7, s25, 15
	v_mov_b32_e32 v3, 0
	s_add_i32 s7, s7, 1
	s_cmp_eq_u32 s25, 2
	s_mov_b32 s10, 0
	s_cbranch_scc1 .LBB209_1084
; %bb.1080:
	v_mov_b32_e32 v7, 0
	v_mov_b32_e32 v3, 0
	;; [unrolled: 1-line block ×3, first 2 shown]
	s_add_u32 s2, s16, 0xc4
	s_addc_u32 s3, s17, 0
	s_and_b32 s10, s7, 28
	s_mov_b32 s11, 0
	s_mov_b64 s[4:5], s[16:17]
.LBB209_1081:                           ; =>This Inner Loop Header: Depth=1
	s_clause 0x1
	s_load_b256 s[36:43], s[4:5], 0x4
	s_load_b128 s[12:15], s[4:5], 0x24
	s_load_b256 s[44:51], s[2:3], 0x0
	s_add_u32 s4, s4, 48
	s_addc_u32 s5, s5, 0
	s_add_i32 s11, s11, 4
	s_add_u32 s2, s2, 32
	s_addc_u32 s3, s3, 0
	s_cmp_lg_u32 s10, s11
	s_waitcnt lgkmcnt(0)
	v_mul_hi_u32 v2, s37, v1
	s_delay_alu instid0(VALU_DEP_1) | instskip(NEXT) | instid1(VALU_DEP_1)
	v_add_nc_u32_e32 v2, v1, v2
	v_lshrrev_b32_e32 v2, s38, v2
	s_delay_alu instid0(VALU_DEP_1) | instskip(SKIP_1) | instid1(VALU_DEP_2)
	v_mul_hi_u32 v4, s40, v2
	v_mul_lo_u32 v9, v2, s36
	v_add_nc_u32_e32 v4, v2, v4
	s_delay_alu instid0(VALU_DEP_2) | instskip(NEXT) | instid1(VALU_DEP_2)
	v_sub_nc_u32_e32 v1, v1, v9
	v_lshrrev_b32_e32 v4, s41, v4
	s_delay_alu instid0(VALU_DEP_2) | instskip(SKIP_2) | instid1(VALU_DEP_3)
	v_mul_lo_u32 v9, v1, s44
	v_mul_lo_u32 v11, v1, s45
	s_waitcnt vmcnt(0)
	v_mul_hi_u32 v6, s43, v4
	s_delay_alu instid0(VALU_DEP_1) | instskip(NEXT) | instid1(VALU_DEP_1)
	v_add_nc_u32_e32 v6, v4, v6
	v_lshrrev_b32_e32 v6, s12, v6
	s_delay_alu instid0(VALU_DEP_1) | instskip(SKIP_1) | instid1(VALU_DEP_2)
	v_mul_hi_u32 v10, s14, v6
	v_mul_lo_u32 v12, v6, s42
	v_add_nc_u32_e32 v1, v6, v10
	v_mul_lo_u32 v10, v4, s39
	s_delay_alu instid0(VALU_DEP_3) | instskip(NEXT) | instid1(VALU_DEP_3)
	v_sub_nc_u32_e32 v4, v4, v12
	v_lshrrev_b32_e32 v1, s15, v1
	s_delay_alu instid0(VALU_DEP_2) | instskip(SKIP_2) | instid1(VALU_DEP_4)
	v_mul_lo_u32 v12, v4, s48
	v_mul_lo_u32 v4, v4, s49
	v_sub_nc_u32_e32 v2, v2, v10
	v_mul_lo_u32 v13, v1, s13
	s_delay_alu instid0(VALU_DEP_2) | instskip(SKIP_1) | instid1(VALU_DEP_3)
	v_mul_lo_u32 v10, v2, s46
	v_mul_lo_u32 v2, v2, s47
	v_sub_nc_u32_e32 v6, v6, v13
	s_delay_alu instid0(VALU_DEP_3) | instskip(NEXT) | instid1(VALU_DEP_2)
	v_add3_u32 v3, v9, v3, v10
	v_mul_lo_u32 v13, v6, s50
	v_mul_lo_u32 v6, v6, s51
	v_add3_u32 v2, v11, v7, v2
	s_delay_alu instid0(VALU_DEP_3) | instskip(NEXT) | instid1(VALU_DEP_2)
	v_add3_u32 v3, v12, v3, v13
	v_add3_u32 v7, v4, v2, v6
	s_cbranch_scc1 .LBB209_1081
; %bb.1082:
	s_and_b32 s7, s7, 3
	s_delay_alu instid0(SALU_CYCLE_1)
	s_cmp_eq_u32 s7, 0
	s_cbranch_scc0 .LBB209_1085
	s_branch .LBB209_1087
.LBB209_1083:
	s_mov_b32 s6, -1
                                        ; implicit-def: $vgpr3
                                        ; implicit-def: $vgpr7
	s_branch .LBB209_1087
.LBB209_1084:
	v_mov_b32_e32 v1, v5
	v_mov_b32_e32 v7, 0
	s_and_b32 s7, s7, 3
	s_delay_alu instid0(SALU_CYCLE_1)
	s_cmp_eq_u32 s7, 0
	s_cbranch_scc1 .LBB209_1087
.LBB209_1085:
	s_lshl_b32 s2, s10, 3
	s_mul_i32 s4, s10, 12
	s_add_u32 s2, s2, s16
	s_addc_u32 s3, 0, s17
	s_add_u32 s2, s2, 0xc4
	s_addc_u32 s3, s3, 0
	;; [unrolled: 2-line block ×3, first 2 shown]
	.p2align	6
.LBB209_1086:                           ; =>This Inner Loop Header: Depth=1
	s_clause 0x1
	s_load_b64 s[10:11], s[4:5], 0x4
	s_load_b32 s14, s[4:5], 0xc
	s_load_b64 s[12:13], s[2:3], 0x0
	s_add_u32 s4, s4, 12
	s_addc_u32 s5, s5, 0
	s_add_u32 s2, s2, 8
	s_addc_u32 s3, s3, 0
	s_add_i32 s7, s7, -1
	s_delay_alu instid0(SALU_CYCLE_1) | instskip(SKIP_2) | instid1(VALU_DEP_1)
	s_cmp_lg_u32 s7, 0
	s_waitcnt lgkmcnt(0)
	v_mul_hi_u32 v2, s11, v1
	v_add_nc_u32_e32 v2, v1, v2
	s_delay_alu instid0(VALU_DEP_1) | instskip(NEXT) | instid1(VALU_DEP_1)
	v_lshrrev_b32_e32 v4, s14, v2
	v_mul_lo_u32 v2, v4, s10
	s_delay_alu instid0(VALU_DEP_1) | instskip(NEXT) | instid1(VALU_DEP_1)
	v_sub_nc_u32_e32 v1, v1, v2
	v_mad_u64_u32 v[9:10], null, v1, s12, v[3:4]
	v_mad_u64_u32 v[2:3], null, v1, s13, v[7:8]
	v_mov_b32_e32 v1, v4
	s_delay_alu instid0(VALU_DEP_3) | instskip(NEXT) | instid1(VALU_DEP_3)
	v_mov_b32_e32 v3, v9
	v_mov_b32_e32 v7, v2
	s_cbranch_scc1 .LBB209_1086
.LBB209_1087:
	s_and_not1_b32 vcc_lo, exec_lo, s6
	s_cbranch_vccnz .LBB209_1090
; %bb.1088:
	s_clause 0x1
	s_load_b128 s[4:7], s[16:17], 0x4
	s_load_b64 s[2:3], s[16:17], 0xc4
	s_cmp_lt_u32 s24, 2
	s_waitcnt lgkmcnt(0)
	v_mul_hi_u32 v1, s5, v5
	s_delay_alu instid0(VALU_DEP_1) | instskip(NEXT) | instid1(VALU_DEP_1)
	v_add_nc_u32_e32 v1, v5, v1
	v_lshrrev_b32_e32 v1, s6, v1
	s_delay_alu instid0(VALU_DEP_1) | instskip(NEXT) | instid1(VALU_DEP_1)
	v_mul_lo_u32 v2, v1, s4
	v_sub_nc_u32_e32 v2, v5, v2
	s_delay_alu instid0(VALU_DEP_1)
	v_mul_lo_u32 v3, v2, s2
	v_mul_lo_u32 v7, v2, s3
	s_cbranch_scc1 .LBB209_1090
; %bb.1089:
	s_clause 0x1
	s_load_b128 s[4:7], s[16:17], 0x10
	s_load_b64 s[2:3], s[16:17], 0xcc
	s_waitcnt lgkmcnt(0)
	v_mul_hi_u32 v2, s5, v1
	s_delay_alu instid0(VALU_DEP_1) | instskip(NEXT) | instid1(VALU_DEP_1)
	v_add_nc_u32_e32 v2, v1, v2
	v_lshrrev_b32_e32 v2, s6, v2
	s_delay_alu instid0(VALU_DEP_1) | instskip(NEXT) | instid1(VALU_DEP_1)
	v_mul_lo_u32 v2, v2, s4
	v_sub_nc_u32_e32 v4, v1, v2
	s_delay_alu instid0(VALU_DEP_1) | instskip(SKIP_1) | instid1(VALU_DEP_2)
	v_mad_u64_u32 v[1:2], null, v4, s2, v[3:4]
	v_mad_u64_u32 v[2:3], null, v4, s3, v[7:8]
	v_mov_b32_e32 v3, v1
	s_delay_alu instid0(VALU_DEP_2)
	v_mov_b32_e32 v7, v2
.LBB209_1090:
	v_cmp_ne_u32_e32 vcc_lo, 1, v0
	v_add_nc_u32_e32 v1, 0x80, v5
	s_cbranch_vccnz .LBB209_1096
; %bb.1091:
	v_mov_b32_e32 v2, 0
	s_waitcnt vmcnt(0)
	v_mov_b32_e32 v6, 0
	s_cmp_lg_u32 s24, 0
	s_mov_b32 s6, 0
	s_cbranch_scc0 .LBB209_1100
; %bb.1092:
	s_min_u32 s7, s25, 15
	v_mov_b32_e32 v2, 0
	s_add_i32 s7, s7, 1
	s_cmp_eq_u32 s25, 2
	s_mov_b32 s10, 0
	s_cbranch_scc1 .LBB209_1097
; %bb.1093:
	v_mov_b32_e32 v6, 0
	v_mov_b32_e32 v2, 0
	;; [unrolled: 1-line block ×3, first 2 shown]
	s_add_u32 s2, s16, 0xc4
	s_addc_u32 s3, s17, 0
	s_and_b32 s10, s7, 28
	s_mov_b32 s11, 0
	s_mov_b64 s[4:5], s[16:17]
.LBB209_1094:                           ; =>This Inner Loop Header: Depth=1
	s_clause 0x1
	s_load_b256 s[36:43], s[4:5], 0x4
	s_load_b128 s[12:15], s[4:5], 0x24
	s_load_b256 s[44:51], s[2:3], 0x0
	s_add_u32 s4, s4, 48
	s_addc_u32 s5, s5, 0
	s_add_i32 s11, s11, 4
	s_add_u32 s2, s2, 32
	s_addc_u32 s3, s3, 0
	s_cmp_lg_u32 s10, s11
	s_waitcnt lgkmcnt(0)
	v_mul_hi_u32 v9, s37, v4
	s_delay_alu instid0(VALU_DEP_1) | instskip(NEXT) | instid1(VALU_DEP_1)
	v_add_nc_u32_e32 v9, v4, v9
	v_lshrrev_b32_e32 v9, s38, v9
	s_delay_alu instid0(VALU_DEP_1) | instskip(SKIP_1) | instid1(VALU_DEP_2)
	v_mul_hi_u32 v10, s40, v9
	v_mul_lo_u32 v12, v9, s36
	v_add_nc_u32_e32 v10, v9, v10
	s_delay_alu instid0(VALU_DEP_2) | instskip(NEXT) | instid1(VALU_DEP_2)
	v_sub_nc_u32_e32 v4, v4, v12
	v_lshrrev_b32_e32 v10, s41, v10
	s_delay_alu instid0(VALU_DEP_2) | instskip(SKIP_1) | instid1(VALU_DEP_3)
	v_mul_lo_u32 v12, v4, s44
	v_mul_lo_u32 v14, v4, s45
	v_mul_hi_u32 v11, s43, v10
	s_delay_alu instid0(VALU_DEP_1) | instskip(NEXT) | instid1(VALU_DEP_1)
	v_add_nc_u32_e32 v11, v10, v11
	v_lshrrev_b32_e32 v11, s12, v11
	s_delay_alu instid0(VALU_DEP_1) | instskip(SKIP_1) | instid1(VALU_DEP_2)
	v_mul_hi_u32 v13, s14, v11
	v_mul_lo_u32 v15, v11, s42
	v_add_nc_u32_e32 v4, v11, v13
	v_mul_lo_u32 v13, v10, s39
	s_delay_alu instid0(VALU_DEP_3) | instskip(NEXT) | instid1(VALU_DEP_3)
	v_sub_nc_u32_e32 v10, v10, v15
	v_lshrrev_b32_e32 v4, s15, v4
	s_delay_alu instid0(VALU_DEP_2) | instskip(SKIP_2) | instid1(VALU_DEP_4)
	v_mul_lo_u32 v15, v10, s48
	v_mul_lo_u32 v10, v10, s49
	v_sub_nc_u32_e32 v9, v9, v13
	v_mul_lo_u32 v16, v4, s13
	s_delay_alu instid0(VALU_DEP_2) | instskip(SKIP_1) | instid1(VALU_DEP_3)
	v_mul_lo_u32 v13, v9, s46
	v_mul_lo_u32 v9, v9, s47
	v_sub_nc_u32_e32 v11, v11, v16
	s_delay_alu instid0(VALU_DEP_3) | instskip(NEXT) | instid1(VALU_DEP_2)
	v_add3_u32 v2, v12, v2, v13
	v_mul_lo_u32 v16, v11, s50
	v_mul_lo_u32 v11, v11, s51
	v_add3_u32 v6, v14, v6, v9
	s_delay_alu instid0(VALU_DEP_3) | instskip(NEXT) | instid1(VALU_DEP_2)
	v_add3_u32 v2, v15, v2, v16
	v_add3_u32 v6, v10, v6, v11
	s_cbranch_scc1 .LBB209_1094
; %bb.1095:
	s_and_b32 s7, s7, 3
	s_delay_alu instid0(SALU_CYCLE_1)
	s_cmp_eq_u32 s7, 0
	s_cbranch_scc0 .LBB209_1098
	s_branch .LBB209_1100
.LBB209_1096:
	s_mov_b32 s6, -1
                                        ; implicit-def: $vgpr2
                                        ; implicit-def: $vgpr6
	s_branch .LBB209_1100
.LBB209_1097:
	v_mov_b32_e32 v4, v1
	v_mov_b32_e32 v6, 0
	s_and_b32 s7, s7, 3
	s_delay_alu instid0(SALU_CYCLE_1)
	s_cmp_eq_u32 s7, 0
	s_cbranch_scc1 .LBB209_1100
.LBB209_1098:
	s_lshl_b32 s2, s10, 3
	s_mul_i32 s4, s10, 12
	s_add_u32 s2, s2, s16
	s_addc_u32 s3, 0, s17
	s_add_u32 s2, s2, 0xc4
	s_addc_u32 s3, s3, 0
	;; [unrolled: 2-line block ×3, first 2 shown]
	.p2align	6
.LBB209_1099:                           ; =>This Inner Loop Header: Depth=1
	s_clause 0x1
	s_load_b64 s[10:11], s[4:5], 0x4
	s_load_b32 s14, s[4:5], 0xc
	s_load_b64 s[12:13], s[2:3], 0x0
	s_add_u32 s4, s4, 12
	s_addc_u32 s5, s5, 0
	s_add_u32 s2, s2, 8
	s_addc_u32 s3, s3, 0
	s_add_i32 s7, s7, -1
	s_delay_alu instid0(SALU_CYCLE_1) | instskip(SKIP_2) | instid1(VALU_DEP_1)
	s_cmp_lg_u32 s7, 0
	s_waitcnt lgkmcnt(0)
	v_mul_hi_u32 v9, s11, v4
	v_add_nc_u32_e32 v9, v4, v9
	s_delay_alu instid0(VALU_DEP_1) | instskip(NEXT) | instid1(VALU_DEP_1)
	v_lshrrev_b32_e32 v12, s14, v9
	v_mul_lo_u32 v9, v12, s10
	s_delay_alu instid0(VALU_DEP_1) | instskip(NEXT) | instid1(VALU_DEP_1)
	v_sub_nc_u32_e32 v4, v4, v9
	v_mad_u64_u32 v[9:10], null, v4, s12, v[2:3]
	v_mad_u64_u32 v[10:11], null, v4, s13, v[6:7]
	v_mov_b32_e32 v4, v12
	s_delay_alu instid0(VALU_DEP_3) | instskip(NEXT) | instid1(VALU_DEP_3)
	v_mov_b32_e32 v2, v9
	v_mov_b32_e32 v6, v10
	s_cbranch_scc1 .LBB209_1099
.LBB209_1100:
	s_and_not1_b32 vcc_lo, exec_lo, s6
	s_cbranch_vccnz .LBB209_1103
; %bb.1101:
	s_clause 0x1
	s_load_b128 s[4:7], s[16:17], 0x4
	s_load_b64 s[2:3], s[16:17], 0xc4
	s_cmp_lt_u32 s24, 2
	s_waitcnt lgkmcnt(0)
	v_mul_hi_u32 v2, s5, v1
	s_delay_alu instid0(VALU_DEP_1) | instskip(NEXT) | instid1(VALU_DEP_1)
	v_add_nc_u32_e32 v2, v1, v2
	v_lshrrev_b32_e32 v4, s6, v2
	s_delay_alu instid0(VALU_DEP_1) | instskip(NEXT) | instid1(VALU_DEP_1)
	v_mul_lo_u32 v2, v4, s4
	v_sub_nc_u32_e32 v1, v1, v2
	s_delay_alu instid0(VALU_DEP_1)
	v_mul_lo_u32 v2, v1, s2
	s_waitcnt vmcnt(0)
	v_mul_lo_u32 v6, v1, s3
	s_cbranch_scc1 .LBB209_1103
; %bb.1102:
	s_clause 0x1
	s_load_b128 s[4:7], s[16:17], 0x10
	s_load_b64 s[2:3], s[16:17], 0xcc
	s_waitcnt lgkmcnt(0)
	v_mul_hi_u32 v1, s5, v4
	s_delay_alu instid0(VALU_DEP_1) | instskip(NEXT) | instid1(VALU_DEP_1)
	v_add_nc_u32_e32 v1, v4, v1
	v_lshrrev_b32_e32 v1, s6, v1
	s_delay_alu instid0(VALU_DEP_1) | instskip(NEXT) | instid1(VALU_DEP_1)
	v_mul_lo_u32 v1, v1, s4
	v_sub_nc_u32_e32 v4, v4, v1
	s_delay_alu instid0(VALU_DEP_1) | instskip(SKIP_1) | instid1(VALU_DEP_2)
	v_mad_u64_u32 v[9:10], null, v4, s2, v[2:3]
	v_mad_u64_u32 v[1:2], null, v4, s3, v[6:7]
	v_mov_b32_e32 v2, v9
	s_delay_alu instid0(VALU_DEP_2)
	v_mov_b32_e32 v6, v1
.LBB209_1103:
	v_cmp_ne_u32_e32 vcc_lo, 1, v0
	v_add_nc_u32_e32 v4, 0x100, v5
	s_cbranch_vccnz .LBB209_1109
; %bb.1104:
	v_mov_b32_e32 v1, 0
	v_mov_b32_e32 v5, 0
	s_cmp_lg_u32 s24, 0
	s_mov_b32 s6, 0
	s_cbranch_scc0 .LBB209_1113
; %bb.1105:
	s_min_u32 s7, s25, 15
	v_mov_b32_e32 v1, 0
	s_add_i32 s7, s7, 1
	s_cmp_eq_u32 s25, 2
	s_mov_b32 s10, 0
	s_cbranch_scc1 .LBB209_1110
; %bb.1106:
	v_mov_b32_e32 v5, 0
	v_mov_b32_e32 v1, 0
	;; [unrolled: 1-line block ×3, first 2 shown]
	s_add_u32 s2, s16, 0xc4
	s_addc_u32 s3, s17, 0
	s_and_b32 s10, s7, 28
	s_mov_b32 s11, 0
	s_mov_b64 s[4:5], s[16:17]
.LBB209_1107:                           ; =>This Inner Loop Header: Depth=1
	s_clause 0x1
	s_load_b256 s[36:43], s[4:5], 0x4
	s_load_b128 s[12:15], s[4:5], 0x24
	s_load_b256 s[44:51], s[2:3], 0x0
	s_add_u32 s4, s4, 48
	s_addc_u32 s5, s5, 0
	s_add_i32 s11, s11, 4
	s_add_u32 s2, s2, 32
	s_addc_u32 s3, s3, 0
	s_cmp_lg_u32 s10, s11
	s_waitcnt lgkmcnt(0)
	v_mul_hi_u32 v10, s37, v9
	s_delay_alu instid0(VALU_DEP_1) | instskip(NEXT) | instid1(VALU_DEP_1)
	v_add_nc_u32_e32 v10, v9, v10
	v_lshrrev_b32_e32 v10, s38, v10
	s_delay_alu instid0(VALU_DEP_1) | instskip(SKIP_1) | instid1(VALU_DEP_2)
	v_mul_hi_u32 v11, s40, v10
	v_mul_lo_u32 v13, v10, s36
	v_add_nc_u32_e32 v11, v10, v11
	s_delay_alu instid0(VALU_DEP_2) | instskip(NEXT) | instid1(VALU_DEP_2)
	v_sub_nc_u32_e32 v9, v9, v13
	v_lshrrev_b32_e32 v11, s41, v11
	s_delay_alu instid0(VALU_DEP_2) | instskip(SKIP_1) | instid1(VALU_DEP_3)
	v_mul_lo_u32 v13, v9, s44
	v_mul_lo_u32 v15, v9, s45
	v_mul_hi_u32 v12, s43, v11
	s_delay_alu instid0(VALU_DEP_1) | instskip(NEXT) | instid1(VALU_DEP_1)
	v_add_nc_u32_e32 v12, v11, v12
	v_lshrrev_b32_e32 v12, s12, v12
	s_delay_alu instid0(VALU_DEP_1) | instskip(SKIP_1) | instid1(VALU_DEP_2)
	v_mul_hi_u32 v14, s14, v12
	v_mul_lo_u32 v16, v12, s42
	v_add_nc_u32_e32 v9, v12, v14
	v_mul_lo_u32 v14, v11, s39
	s_delay_alu instid0(VALU_DEP_3) | instskip(NEXT) | instid1(VALU_DEP_3)
	v_sub_nc_u32_e32 v11, v11, v16
	v_lshrrev_b32_e32 v9, s15, v9
	s_delay_alu instid0(VALU_DEP_2) | instskip(SKIP_2) | instid1(VALU_DEP_4)
	v_mul_lo_u32 v16, v11, s48
	v_mul_lo_u32 v11, v11, s49
	v_sub_nc_u32_e32 v10, v10, v14
	v_mul_lo_u32 v17, v9, s13
	s_delay_alu instid0(VALU_DEP_2) | instskip(SKIP_1) | instid1(VALU_DEP_3)
	v_mul_lo_u32 v14, v10, s46
	v_mul_lo_u32 v10, v10, s47
	v_sub_nc_u32_e32 v12, v12, v17
	s_delay_alu instid0(VALU_DEP_3) | instskip(NEXT) | instid1(VALU_DEP_2)
	v_add3_u32 v1, v13, v1, v14
	v_mul_lo_u32 v17, v12, s50
	v_mul_lo_u32 v12, v12, s51
	v_add3_u32 v5, v15, v5, v10
	s_delay_alu instid0(VALU_DEP_3) | instskip(NEXT) | instid1(VALU_DEP_2)
	v_add3_u32 v1, v16, v1, v17
	v_add3_u32 v5, v11, v5, v12
	s_cbranch_scc1 .LBB209_1107
; %bb.1108:
	s_and_b32 s7, s7, 3
	s_delay_alu instid0(SALU_CYCLE_1)
	s_cmp_eq_u32 s7, 0
	s_cbranch_scc0 .LBB209_1111
	s_branch .LBB209_1113
.LBB209_1109:
	s_mov_b32 s6, -1
                                        ; implicit-def: $vgpr1
                                        ; implicit-def: $vgpr5
	s_branch .LBB209_1113
.LBB209_1110:
	v_mov_b32_e32 v9, v4
	v_mov_b32_e32 v5, 0
	s_and_b32 s7, s7, 3
	s_delay_alu instid0(SALU_CYCLE_1)
	s_cmp_eq_u32 s7, 0
	s_cbranch_scc1 .LBB209_1113
.LBB209_1111:
	s_lshl_b32 s2, s10, 3
	s_mul_i32 s4, s10, 12
	s_add_u32 s2, s2, s16
	s_addc_u32 s3, 0, s17
	s_add_u32 s2, s2, 0xc4
	s_addc_u32 s3, s3, 0
	;; [unrolled: 2-line block ×3, first 2 shown]
	.p2align	6
.LBB209_1112:                           ; =>This Inner Loop Header: Depth=1
	s_clause 0x1
	s_load_b64 s[10:11], s[4:5], 0x4
	s_load_b32 s14, s[4:5], 0xc
	s_load_b64 s[12:13], s[2:3], 0x0
	s_add_u32 s4, s4, 12
	s_addc_u32 s5, s5, 0
	s_add_u32 s2, s2, 8
	s_addc_u32 s3, s3, 0
	s_add_i32 s7, s7, -1
	s_delay_alu instid0(SALU_CYCLE_1) | instskip(SKIP_2) | instid1(VALU_DEP_1)
	s_cmp_lg_u32 s7, 0
	s_waitcnt lgkmcnt(0)
	v_mul_hi_u32 v10, s11, v9
	v_add_nc_u32_e32 v10, v9, v10
	s_delay_alu instid0(VALU_DEP_1) | instskip(NEXT) | instid1(VALU_DEP_1)
	v_lshrrev_b32_e32 v13, s14, v10
	v_mul_lo_u32 v10, v13, s10
	s_delay_alu instid0(VALU_DEP_1) | instskip(NEXT) | instid1(VALU_DEP_1)
	v_sub_nc_u32_e32 v9, v9, v10
	v_mad_u64_u32 v[10:11], null, v9, s12, v[1:2]
	s_waitcnt vmcnt(0)
	v_mad_u64_u32 v[11:12], null, v9, s13, v[5:6]
	v_mov_b32_e32 v9, v13
	s_delay_alu instid0(VALU_DEP_3) | instskip(NEXT) | instid1(VALU_DEP_3)
	v_mov_b32_e32 v1, v10
	v_mov_b32_e32 v5, v11
	s_cbranch_scc1 .LBB209_1112
.LBB209_1113:
	s_and_not1_b32 vcc_lo, exec_lo, s6
	s_cbranch_vccnz .LBB209_1116
; %bb.1114:
	s_clause 0x1
	s_load_b128 s[4:7], s[16:17], 0x4
	s_load_b64 s[2:3], s[16:17], 0xc4
	s_cmp_lt_u32 s24, 2
	s_waitcnt lgkmcnt(0)
	v_mul_hi_u32 v1, s5, v4
	s_delay_alu instid0(VALU_DEP_1) | instskip(NEXT) | instid1(VALU_DEP_1)
	v_add_nc_u32_e32 v1, v4, v1
	v_lshrrev_b32_e32 v9, s6, v1
	s_delay_alu instid0(VALU_DEP_1) | instskip(NEXT) | instid1(VALU_DEP_1)
	v_mul_lo_u32 v1, v9, s4
	v_sub_nc_u32_e32 v4, v4, v1
	s_delay_alu instid0(VALU_DEP_1)
	v_mul_lo_u32 v1, v4, s2
	v_mul_lo_u32 v5, v4, s3
	s_cbranch_scc1 .LBB209_1116
; %bb.1115:
	s_clause 0x1
	s_load_b128 s[4:7], s[16:17], 0x10
	s_load_b64 s[2:3], s[16:17], 0xcc
	s_waitcnt lgkmcnt(0)
	v_mul_hi_u32 v4, s5, v9
	s_delay_alu instid0(VALU_DEP_1) | instskip(NEXT) | instid1(VALU_DEP_1)
	v_add_nc_u32_e32 v4, v9, v4
	v_lshrrev_b32_e32 v4, s6, v4
	s_delay_alu instid0(VALU_DEP_1) | instskip(NEXT) | instid1(VALU_DEP_1)
	v_mul_lo_u32 v4, v4, s4
	v_sub_nc_u32_e32 v4, v9, v4
	s_delay_alu instid0(VALU_DEP_1) | instskip(SKIP_2) | instid1(VALU_DEP_2)
	v_mad_u64_u32 v[9:10], null, v4, s2, v[1:2]
	s_waitcnt vmcnt(0)
	v_mad_u64_u32 v[10:11], null, v4, s3, v[5:6]
	v_mov_b32_e32 v1, v9
	s_delay_alu instid0(VALU_DEP_2)
	v_mov_b32_e32 v5, v10
.LBB209_1116:
	v_cmp_ne_u32_e32 vcc_lo, 1, v0
	s_cbranch_vccnz .LBB209_1122
; %bb.1117:
	v_mov_b32_e32 v0, 0
	v_mov_b32_e32 v4, 0
	s_cmp_lg_u32 s24, 0
	s_mov_b32 s6, 0
	s_cbranch_scc0 .LBB209_1126
; %bb.1118:
	s_min_u32 s7, s25, 15
	v_mov_b32_e32 v0, 0
	s_add_i32 s7, s7, 1
	s_cmp_eq_u32 s25, 2
	s_mov_b32 s10, 0
	s_cbranch_scc1 .LBB209_1123
; %bb.1119:
	v_dual_mov_b32 v4, 0 :: v_dual_mov_b32 v9, v8
	v_mov_b32_e32 v0, 0
	s_add_u32 s2, s16, 0xc4
	s_addc_u32 s3, s17, 0
	s_and_b32 s10, s7, 28
	s_mov_b32 s11, 0
	s_mov_b64 s[4:5], s[16:17]
.LBB209_1120:                           ; =>This Inner Loop Header: Depth=1
	s_clause 0x1
	s_load_b256 s[36:43], s[4:5], 0x4
	s_load_b128 s[12:15], s[4:5], 0x24
	s_load_b256 s[44:51], s[2:3], 0x0
	s_add_u32 s4, s4, 48
	s_addc_u32 s5, s5, 0
	s_add_i32 s11, s11, 4
	s_add_u32 s2, s2, 32
	s_addc_u32 s3, s3, 0
	s_cmp_lg_u32 s10, s11
	s_waitcnt lgkmcnt(0)
	v_mul_hi_u32 v10, s37, v9
	s_delay_alu instid0(VALU_DEP_1) | instskip(NEXT) | instid1(VALU_DEP_1)
	v_add_nc_u32_e32 v10, v9, v10
	v_lshrrev_b32_e32 v10, s38, v10
	s_delay_alu instid0(VALU_DEP_1) | instskip(SKIP_1) | instid1(VALU_DEP_2)
	v_mul_hi_u32 v11, s40, v10
	v_mul_lo_u32 v13, v10, s36
	v_add_nc_u32_e32 v11, v10, v11
	s_delay_alu instid0(VALU_DEP_2) | instskip(NEXT) | instid1(VALU_DEP_2)
	v_sub_nc_u32_e32 v9, v9, v13
	v_lshrrev_b32_e32 v11, s41, v11
	s_delay_alu instid0(VALU_DEP_2) | instskip(SKIP_1) | instid1(VALU_DEP_3)
	v_mul_lo_u32 v13, v9, s44
	v_mul_lo_u32 v15, v9, s45
	v_mul_hi_u32 v12, s43, v11
	s_delay_alu instid0(VALU_DEP_1) | instskip(NEXT) | instid1(VALU_DEP_1)
	v_add_nc_u32_e32 v12, v11, v12
	v_lshrrev_b32_e32 v12, s12, v12
	s_delay_alu instid0(VALU_DEP_1) | instskip(SKIP_1) | instid1(VALU_DEP_2)
	v_mul_hi_u32 v14, s14, v12
	v_mul_lo_u32 v16, v12, s42
	v_add_nc_u32_e32 v9, v12, v14
	v_mul_lo_u32 v14, v11, s39
	s_delay_alu instid0(VALU_DEP_3) | instskip(NEXT) | instid1(VALU_DEP_3)
	v_sub_nc_u32_e32 v11, v11, v16
	v_lshrrev_b32_e32 v9, s15, v9
	s_delay_alu instid0(VALU_DEP_2) | instskip(SKIP_2) | instid1(VALU_DEP_4)
	v_mul_lo_u32 v16, v11, s48
	v_mul_lo_u32 v11, v11, s49
	v_sub_nc_u32_e32 v10, v10, v14
	v_mul_lo_u32 v17, v9, s13
	s_delay_alu instid0(VALU_DEP_2) | instskip(SKIP_1) | instid1(VALU_DEP_3)
	v_mul_lo_u32 v14, v10, s46
	v_mul_lo_u32 v10, v10, s47
	v_sub_nc_u32_e32 v12, v12, v17
	s_delay_alu instid0(VALU_DEP_3) | instskip(NEXT) | instid1(VALU_DEP_2)
	v_add3_u32 v0, v13, v0, v14
	v_mul_lo_u32 v17, v12, s50
	v_mul_lo_u32 v12, v12, s51
	v_add3_u32 v4, v15, v4, v10
	s_delay_alu instid0(VALU_DEP_3) | instskip(NEXT) | instid1(VALU_DEP_2)
	v_add3_u32 v0, v16, v0, v17
	v_add3_u32 v4, v11, v4, v12
	s_cbranch_scc1 .LBB209_1120
; %bb.1121:
	s_and_b32 s7, s7, 3
	s_delay_alu instid0(SALU_CYCLE_1)
	s_cmp_eq_u32 s7, 0
	s_cbranch_scc0 .LBB209_1124
	s_branch .LBB209_1126
.LBB209_1122:
	s_mov_b32 s6, -1
                                        ; implicit-def: $vgpr0
                                        ; implicit-def: $vgpr4
	s_branch .LBB209_1126
.LBB209_1123:
	v_dual_mov_b32 v9, v8 :: v_dual_mov_b32 v4, 0
	s_and_b32 s7, s7, 3
	s_delay_alu instid0(SALU_CYCLE_1)
	s_cmp_eq_u32 s7, 0
	s_cbranch_scc1 .LBB209_1126
.LBB209_1124:
	s_lshl_b32 s2, s10, 3
	s_mul_i32 s4, s10, 12
	s_add_u32 s2, s2, s16
	s_addc_u32 s3, 0, s17
	s_add_u32 s2, s2, 0xc4
	s_addc_u32 s3, s3, 0
	;; [unrolled: 2-line block ×3, first 2 shown]
	.p2align	6
.LBB209_1125:                           ; =>This Inner Loop Header: Depth=1
	s_clause 0x1
	s_load_b64 s[10:11], s[4:5], 0x4
	s_load_b32 s14, s[4:5], 0xc
	s_load_b64 s[12:13], s[2:3], 0x0
	s_add_u32 s4, s4, 12
	s_addc_u32 s5, s5, 0
	s_add_u32 s2, s2, 8
	s_addc_u32 s3, s3, 0
	s_add_i32 s7, s7, -1
	s_delay_alu instid0(SALU_CYCLE_1) | instskip(SKIP_2) | instid1(VALU_DEP_1)
	s_cmp_lg_u32 s7, 0
	s_waitcnt lgkmcnt(0)
	v_mul_hi_u32 v10, s11, v9
	v_add_nc_u32_e32 v10, v9, v10
	s_delay_alu instid0(VALU_DEP_1) | instskip(NEXT) | instid1(VALU_DEP_1)
	v_lshrrev_b32_e32 v13, s14, v10
	v_mul_lo_u32 v10, v13, s10
	s_delay_alu instid0(VALU_DEP_1) | instskip(NEXT) | instid1(VALU_DEP_1)
	v_sub_nc_u32_e32 v9, v9, v10
	v_mad_u64_u32 v[10:11], null, v9, s12, v[0:1]
	v_mad_u64_u32 v[11:12], null, v9, s13, v[4:5]
	s_delay_alu instid0(VALU_DEP_2) | instskip(NEXT) | instid1(VALU_DEP_2)
	v_dual_mov_b32 v9, v13 :: v_dual_mov_b32 v0, v10
	v_mov_b32_e32 v4, v11
	s_cbranch_scc1 .LBB209_1125
.LBB209_1126:
	s_and_not1_b32 vcc_lo, exec_lo, s6
	s_cbranch_vccnz .LBB209_1129
; %bb.1127:
	s_clause 0x1
	s_load_b128 s[4:7], s[16:17], 0x4
	s_load_b64 s[2:3], s[16:17], 0xc4
	s_cmp_lt_u32 s24, 2
	s_waitcnt lgkmcnt(0)
	v_mul_hi_u32 v0, s5, v8
	s_delay_alu instid0(VALU_DEP_1) | instskip(NEXT) | instid1(VALU_DEP_1)
	v_add_nc_u32_e32 v0, v8, v0
	v_lshrrev_b32_e32 v9, s6, v0
	s_delay_alu instid0(VALU_DEP_1) | instskip(NEXT) | instid1(VALU_DEP_1)
	v_mul_lo_u32 v0, v9, s4
	v_sub_nc_u32_e32 v4, v8, v0
	s_delay_alu instid0(VALU_DEP_1)
	v_mul_lo_u32 v0, v4, s2
	v_mul_lo_u32 v4, v4, s3
	s_cbranch_scc1 .LBB209_1129
; %bb.1128:
	s_clause 0x1
	s_load_b128 s[4:7], s[16:17], 0x10
	s_load_b64 s[2:3], s[16:17], 0xcc
	s_waitcnt lgkmcnt(0)
	v_mul_hi_u32 v8, s5, v9
	s_delay_alu instid0(VALU_DEP_1) | instskip(NEXT) | instid1(VALU_DEP_1)
	v_add_nc_u32_e32 v8, v9, v8
	v_lshrrev_b32_e32 v8, s6, v8
	s_delay_alu instid0(VALU_DEP_1) | instskip(NEXT) | instid1(VALU_DEP_1)
	v_mul_lo_u32 v8, v8, s4
	v_sub_nc_u32_e32 v11, v9, v8
	s_delay_alu instid0(VALU_DEP_1) | instskip(SKIP_1) | instid1(VALU_DEP_2)
	v_mad_u64_u32 v[8:9], null, v11, s2, v[0:1]
	v_mad_u64_u32 v[9:10], null, v11, s3, v[4:5]
	v_mov_b32_e32 v0, v8
	s_delay_alu instid0(VALU_DEP_2)
	v_mov_b32_e32 v4, v9
.LBB209_1129:
	s_clause 0x1
	s_load_b32 s0, s[0:1], 0x160
	s_load_b128 s[4:7], s[16:17], 0x148
	s_mov_b32 s3, 0
	s_waitcnt lgkmcnt(0)
	s_lshr_b32 s1, s0, 16
	s_delay_alu instid0(SALU_CYCLE_1) | instskip(SKIP_1) | instid1(VALU_DEP_1)
	v_and_b32_e64 v9, 0xff, s1
	v_add_co_u32 v7, s1, s6, v7
	v_add_co_ci_u32_e64 v8, null, s7, 0, s1
	s_delay_alu instid0(VALU_DEP_3)
	v_cmp_gt_i16_e32 vcc_lo, 11, v9
	s_cbranch_vccnz .LBB209_1136
; %bb.1130:
	v_cmp_lt_i16_e32 vcc_lo, 25, v9
	s_mov_b32 s2, 0
	s_cbranch_vccz .LBB209_1142
; %bb.1131:
	v_cmp_lt_i16_e32 vcc_lo, 28, v9
	s_cbranch_vccz .LBB209_1144
; %bb.1132:
	v_cmp_lt_i16_e32 vcc_lo, 43, v9
	;; [unrolled: 3-line block ×3, first 2 shown]
	s_cbranch_vccz .LBB209_1150
; %bb.1134:
	v_cmp_eq_u16_e32 vcc_lo, 46, v9
	s_mov_b32 s10, 0
	s_cbranch_vccz .LBB209_1192
; %bb.1135:
	global_load_b32 v10, v[7:8], off
	s_mov_b32 s1, 0
	s_mov_b32 s3, -1
	s_branch .LBB209_1194
.LBB209_1136:
	s_mov_b32 s1, s8
                                        ; implicit-def: $vgpr10
	s_cbranch_execz .LBB209_1257
; %bb.1137:
	v_cmp_gt_i16_e32 vcc_lo, 5, v9
	s_cbranch_vccnz .LBB209_1143
; %bb.1138:
	v_cmp_gt_i16_e32 vcc_lo, 8, v9
	s_cbranch_vccnz .LBB209_1145
	;; [unrolled: 3-line block ×3, first 2 shown]
; %bb.1140:
	v_cmp_lt_i16_e32 vcc_lo, 9, v9
	s_cbranch_vccz .LBB209_1151
; %bb.1141:
	global_load_b64 v[10:11], v[7:8], off
	s_mov_b32 s2, 0
	s_waitcnt vmcnt(0)
	v_cvt_f32_f64_e32 v10, v[10:11]
	s_delay_alu instid0(VALU_DEP_1) | instskip(SKIP_1) | instid1(VALU_DEP_2)
	v_bfe_u32 v11, v10, 16, 1
	v_cmp_o_f32_e32 vcc_lo, v10, v10
	v_add3_u32 v11, v10, v11, 0x7fff
	s_delay_alu instid0(VALU_DEP_1) | instskip(NEXT) | instid1(VALU_DEP_1)
	v_lshrrev_b32_e32 v11, 16, v11
	v_cndmask_b32_e32 v10, 0x7fc0, v11, vcc_lo
	s_branch .LBB209_1152
.LBB209_1142:
	s_mov_b32 s1, 0
                                        ; implicit-def: $vgpr10
	s_cbranch_execnz .LBB209_1222
	s_branch .LBB209_1253
.LBB209_1143:
                                        ; implicit-def: $vgpr10
	s_branch .LBB209_1169
.LBB209_1144:
	s_mov_b32 s10, -1
	s_mov_b32 s1, 0
                                        ; implicit-def: $vgpr10
	s_branch .LBB209_1203
.LBB209_1145:
                                        ; implicit-def: $vgpr10
	s_branch .LBB209_1158
.LBB209_1146:
	s_mov_b32 s1, 0
                                        ; implicit-def: $vgpr10
	s_cbranch_execnz .LBB209_1199
	s_branch .LBB209_1202
.LBB209_1147:
	s_mov_b32 s2, -1
                                        ; implicit-def: $vgpr10
	s_branch .LBB209_1155
.LBB209_1148:
	s_cbranch_execnz .LBB209_1190
; %bb.1149:
	s_or_b32 s3, s3, exec_lo
	s_and_not1_b32 s8, s8, exec_lo
	s_or_b32 exec_lo, exec_lo, s2
	s_and_saveexec_b32 s2, s8
	s_delay_alu instid0(SALU_CYCLE_1)
	s_xor_b32 s2, exec_lo, s2
	s_cbranch_execnz .LBB209_1036
	s_branch .LBB209_1037
.LBB209_1150:
	s_mov_b32 s10, -1
	s_mov_b32 s1, 0
	s_branch .LBB209_1193
.LBB209_1151:
	s_mov_b32 s2, -1
                                        ; implicit-def: $vgpr10
.LBB209_1152:
	s_delay_alu instid0(SALU_CYCLE_1)
	s_and_not1_b32 vcc_lo, exec_lo, s2
	s_cbranch_vccnz .LBB209_1154
; %bb.1153:
	global_load_b32 v10, v[7:8], off
	s_waitcnt vmcnt(0)
	v_bfe_u32 v11, v10, 16, 1
	v_cmp_o_f32_e32 vcc_lo, v10, v10
	s_delay_alu instid0(VALU_DEP_2) | instskip(NEXT) | instid1(VALU_DEP_1)
	v_add3_u32 v11, v10, v11, 0x7fff
	v_lshrrev_b32_e32 v11, 16, v11
	s_delay_alu instid0(VALU_DEP_1)
	v_cndmask_b32_e32 v10, 0x7fc0, v11, vcc_lo
.LBB209_1154:
	s_mov_b32 s2, 0
.LBB209_1155:
	s_delay_alu instid0(SALU_CYCLE_1)
	s_and_not1_b32 vcc_lo, exec_lo, s2
	s_cbranch_vccnz .LBB209_1157
; %bb.1156:
	global_load_b32 v10, v[7:8], off
	s_waitcnt vmcnt(0)
	v_cvt_f32_f16_e32 v11, v10
	v_cmp_o_f16_e32 vcc_lo, v10, v10
	s_delay_alu instid0(VALU_DEP_2) | instskip(NEXT) | instid1(VALU_DEP_1)
	v_bfe_u32 v12, v11, 16, 1
	v_add3_u32 v11, v11, v12, 0x7fff
	s_delay_alu instid0(VALU_DEP_1) | instskip(NEXT) | instid1(VALU_DEP_1)
	v_lshrrev_b32_e32 v11, 16, v11
	v_cndmask_b32_e32 v10, 0x7fc0, v11, vcc_lo
.LBB209_1157:
	s_cbranch_execnz .LBB209_1168
.LBB209_1158:
	v_cmp_gt_i16_e32 vcc_lo, 6, v9
	s_cbranch_vccnz .LBB209_1161
; %bb.1159:
	v_cmp_lt_i16_e32 vcc_lo, 6, v9
	s_cbranch_vccz .LBB209_1162
; %bb.1160:
	global_load_b64 v[10:11], v[7:8], off
	s_mov_b32 s2, 0
	s_waitcnt vmcnt(0)
	v_cvt_f32_f64_e32 v10, v[10:11]
	s_delay_alu instid0(VALU_DEP_1) | instskip(SKIP_1) | instid1(VALU_DEP_2)
	v_bfe_u32 v11, v10, 16, 1
	v_cmp_o_f32_e32 vcc_lo, v10, v10
	v_add3_u32 v11, v10, v11, 0x7fff
	s_delay_alu instid0(VALU_DEP_1) | instskip(NEXT) | instid1(VALU_DEP_1)
	v_lshrrev_b32_e32 v11, 16, v11
	v_cndmask_b32_e32 v10, 0x7fc0, v11, vcc_lo
	s_branch .LBB209_1163
.LBB209_1161:
	s_mov_b32 s2, -1
                                        ; implicit-def: $vgpr10
	s_branch .LBB209_1166
.LBB209_1162:
	s_mov_b32 s2, -1
                                        ; implicit-def: $vgpr10
.LBB209_1163:
	s_delay_alu instid0(SALU_CYCLE_1)
	s_and_not1_b32 vcc_lo, exec_lo, s2
	s_cbranch_vccnz .LBB209_1165
; %bb.1164:
	global_load_b32 v10, v[7:8], off
	s_waitcnt vmcnt(0)
	v_bfe_u32 v11, v10, 16, 1
	v_cmp_o_f32_e32 vcc_lo, v10, v10
	s_delay_alu instid0(VALU_DEP_2) | instskip(NEXT) | instid1(VALU_DEP_1)
	v_add3_u32 v11, v10, v11, 0x7fff
	v_lshrrev_b32_e32 v11, 16, v11
	s_delay_alu instid0(VALU_DEP_1)
	v_cndmask_b32_e32 v10, 0x7fc0, v11, vcc_lo
.LBB209_1165:
	s_mov_b32 s2, 0
.LBB209_1166:
	s_delay_alu instid0(SALU_CYCLE_1)
	s_and_not1_b32 vcc_lo, exec_lo, s2
	s_cbranch_vccnz .LBB209_1168
; %bb.1167:
	global_load_u16 v10, v[7:8], off
	s_waitcnt vmcnt(0)
	v_cvt_f32_f16_e32 v11, v10
	v_cmp_o_f16_e32 vcc_lo, v10, v10
	s_delay_alu instid0(VALU_DEP_2) | instskip(NEXT) | instid1(VALU_DEP_1)
	v_bfe_u32 v12, v11, 16, 1
	v_add3_u32 v11, v11, v12, 0x7fff
	s_delay_alu instid0(VALU_DEP_1) | instskip(NEXT) | instid1(VALU_DEP_1)
	v_lshrrev_b32_e32 v11, 16, v11
	v_cndmask_b32_e32 v10, 0x7fc0, v11, vcc_lo
.LBB209_1168:
	s_cbranch_execnz .LBB209_1187
.LBB209_1169:
	v_cmp_gt_i16_e32 vcc_lo, 2, v9
	s_cbranch_vccnz .LBB209_1173
; %bb.1170:
	v_cmp_gt_i16_e32 vcc_lo, 3, v9
	s_cbranch_vccnz .LBB209_1174
; %bb.1171:
	v_cmp_lt_i16_e32 vcc_lo, 3, v9
	s_cbranch_vccz .LBB209_1175
; %bb.1172:
	global_load_b64 v[10:11], v[7:8], off
	s_mov_b32 s2, 0
	s_waitcnt vmcnt(0)
	v_xor_b32_e32 v12, v10, v11
	v_cls_i32_e32 v13, v11
	s_delay_alu instid0(VALU_DEP_2) | instskip(NEXT) | instid1(VALU_DEP_2)
	v_ashrrev_i32_e32 v12, 31, v12
	v_add_nc_u32_e32 v13, -1, v13
	s_delay_alu instid0(VALU_DEP_2) | instskip(NEXT) | instid1(VALU_DEP_1)
	v_add_nc_u32_e32 v12, 32, v12
	v_min_u32_e32 v12, v13, v12
	s_delay_alu instid0(VALU_DEP_1) | instskip(NEXT) | instid1(VALU_DEP_1)
	v_lshlrev_b64 v[10:11], v12, v[10:11]
	v_min_u32_e32 v10, 1, v10
	s_delay_alu instid0(VALU_DEP_1) | instskip(SKIP_1) | instid1(VALU_DEP_2)
	v_or_b32_e32 v10, v11, v10
	v_sub_nc_u32_e32 v11, 32, v12
	v_cvt_f32_i32_e32 v10, v10
	s_delay_alu instid0(VALU_DEP_1) | instskip(NEXT) | instid1(VALU_DEP_1)
	v_ldexp_f32 v10, v10, v11
	v_bfe_u32 v11, v10, 16, 1
	s_delay_alu instid0(VALU_DEP_1) | instskip(NEXT) | instid1(VALU_DEP_1)
	v_add3_u32 v10, v10, v11, 0x7fff
	v_lshrrev_b32_e32 v10, 16, v10
	s_branch .LBB209_1176
.LBB209_1173:
                                        ; implicit-def: $vgpr10
	s_branch .LBB209_1182
.LBB209_1174:
	s_mov_b32 s2, -1
                                        ; implicit-def: $vgpr10
	s_branch .LBB209_1179
.LBB209_1175:
	s_mov_b32 s2, -1
                                        ; implicit-def: $vgpr10
.LBB209_1176:
	s_delay_alu instid0(SALU_CYCLE_1)
	s_and_not1_b32 vcc_lo, exec_lo, s2
	s_cbranch_vccnz .LBB209_1178
; %bb.1177:
	global_load_b32 v10, v[7:8], off
	s_waitcnt vmcnt(0)
	v_cvt_f32_i32_e32 v10, v10
	s_delay_alu instid0(VALU_DEP_1) | instskip(NEXT) | instid1(VALU_DEP_1)
	v_bfe_u32 v11, v10, 16, 1
	v_add3_u32 v10, v10, v11, 0x7fff
	s_delay_alu instid0(VALU_DEP_1)
	v_lshrrev_b32_e32 v10, 16, v10
.LBB209_1178:
	s_mov_b32 s2, 0
.LBB209_1179:
	s_delay_alu instid0(SALU_CYCLE_1)
	s_and_not1_b32 vcc_lo, exec_lo, s2
	s_cbranch_vccnz .LBB209_1181
; %bb.1180:
	global_load_i16 v10, v[7:8], off
	s_waitcnt vmcnt(0)
	v_cvt_f32_i32_e32 v10, v10
	s_delay_alu instid0(VALU_DEP_1) | instskip(NEXT) | instid1(VALU_DEP_1)
	v_bfe_u32 v11, v10, 16, 1
	v_add3_u32 v10, v10, v11, 0x7fff
	s_delay_alu instid0(VALU_DEP_1)
	v_lshrrev_b32_e32 v10, 16, v10
.LBB209_1181:
	s_cbranch_execnz .LBB209_1187
.LBB209_1182:
	v_cmp_lt_i16_e32 vcc_lo, 0, v9
	s_mov_b32 s2, 0
	s_cbranch_vccz .LBB209_1184
; %bb.1183:
	global_load_i8 v10, v[7:8], off
	s_waitcnt vmcnt(0)
	v_cvt_f32_i32_e32 v10, v10
	s_delay_alu instid0(VALU_DEP_1) | instskip(NEXT) | instid1(VALU_DEP_1)
	v_bfe_u32 v11, v10, 16, 1
	v_add3_u32 v10, v10, v11, 0x7fff
	s_delay_alu instid0(VALU_DEP_1)
	v_lshrrev_b32_e32 v10, 16, v10
	s_branch .LBB209_1185
.LBB209_1184:
	s_mov_b32 s2, -1
                                        ; implicit-def: $vgpr10
.LBB209_1185:
	s_delay_alu instid0(SALU_CYCLE_1)
	s_and_not1_b32 vcc_lo, exec_lo, s2
	s_cbranch_vccnz .LBB209_1187
; %bb.1186:
	global_load_u8 v7, v[7:8], off
	s_waitcnt vmcnt(0)
	v_cvt_f32_ubyte0_e32 v7, v7
	s_delay_alu instid0(VALU_DEP_1) | instskip(NEXT) | instid1(VALU_DEP_1)
	v_bfe_u32 v8, v7, 16, 1
	v_add3_u32 v7, v7, v8, 0x7fff
	s_delay_alu instid0(VALU_DEP_1)
	v_lshrrev_b32_e32 v10, 16, v7
.LBB209_1187:
	s_branch .LBB209_1258
.LBB209_1188:
	s_trap 2
	s_sendmsg_rtn_b32 s0, sendmsg(MSG_RTN_GET_DOORBELL)
	s_mov_b32 ttmp2, m0
	s_waitcnt lgkmcnt(0)
	s_and_b32 s0, s0, 0x3ff
	s_delay_alu instid0(SALU_CYCLE_1) | instskip(NEXT) | instid1(SALU_CYCLE_1)
	s_bitset1_b32 s0, 10
	s_mov_b32 m0, s0
	s_sendmsg sendmsg(MSG_INTERRUPT)
	s_mov_b32 m0, ttmp2
.LBB209_1189:                           ; =>This Inner Loop Header: Depth=1
	s_sethalt 5
	s_branch .LBB209_1189
.LBB209_1190:
	s_trap 2
	s_sendmsg_rtn_b32 s0, sendmsg(MSG_RTN_GET_DOORBELL)
	s_mov_b32 ttmp2, m0
	s_waitcnt lgkmcnt(0)
	s_and_b32 s0, s0, 0x3ff
	s_delay_alu instid0(SALU_CYCLE_1) | instskip(NEXT) | instid1(SALU_CYCLE_1)
	s_bitset1_b32 s0, 10
	s_mov_b32 m0, s0
	s_sendmsg sendmsg(MSG_INTERRUPT)
	s_mov_b32 m0, ttmp2
.LBB209_1191:                           ; =>This Inner Loop Header: Depth=1
	s_sethalt 5
	s_branch .LBB209_1191
.LBB209_1192:
	s_mov_b32 s1, -1
.LBB209_1193:
                                        ; implicit-def: $vgpr10
.LBB209_1194:
	s_and_b32 vcc_lo, exec_lo, s10
	s_cbranch_vccz .LBB209_1197
; %bb.1195:
	v_cmp_eq_u16_e32 vcc_lo, 44, v9
	s_cbranch_vccz .LBB209_1198
; %bb.1196:
	global_load_u8 v10, v[7:8], off
	s_mov_b32 s1, 0
	s_mov_b32 s3, -1
	s_waitcnt vmcnt(0)
	v_lshlrev_b32_e32 v11, 23, v10
	v_cmp_ne_u32_e32 vcc_lo, 0xff, v10
	s_delay_alu instid0(VALU_DEP_2) | instskip(SKIP_1) | instid1(VALU_DEP_2)
	v_cndmask_b32_e32 v11, 0x7f800001, v11, vcc_lo
	v_cmp_ne_u32_e32 vcc_lo, 0, v10
	v_cndmask_b32_e32 v10, 0x400000, v11, vcc_lo
	s_delay_alu instid0(VALU_DEP_1) | instskip(SKIP_1) | instid1(VALU_DEP_2)
	v_add_nc_u32_e32 v11, 0x7fff, v10
	v_cmp_o_f32_e32 vcc_lo, v10, v10
	v_lshrrev_b32_e32 v11, 16, v11
	s_delay_alu instid0(VALU_DEP_1)
	v_cndmask_b32_e32 v10, 0x7fc0, v11, vcc_lo
.LBB209_1197:
	s_branch .LBB209_1202
.LBB209_1198:
	s_mov_b32 s1, -1
                                        ; implicit-def: $vgpr10
	s_branch .LBB209_1202
.LBB209_1199:
	v_cmp_eq_u16_e32 vcc_lo, 29, v9
	s_cbranch_vccz .LBB209_1201
; %bb.1200:
	global_load_b64 v[10:11], v[7:8], off
	s_mov_b32 s1, 0
	s_mov_b32 s3, -1
	s_mov_b32 s10, 0
	s_waitcnt vmcnt(0)
	v_clz_i32_u32_e32 v12, v11
	s_delay_alu instid0(VALU_DEP_1) | instskip(NEXT) | instid1(VALU_DEP_1)
	v_min_u32_e32 v12, 32, v12
	v_lshlrev_b64 v[10:11], v12, v[10:11]
	s_delay_alu instid0(VALU_DEP_1) | instskip(NEXT) | instid1(VALU_DEP_1)
	v_min_u32_e32 v10, 1, v10
	v_or_b32_e32 v10, v11, v10
	v_sub_nc_u32_e32 v11, 32, v12
	s_delay_alu instid0(VALU_DEP_2) | instskip(NEXT) | instid1(VALU_DEP_1)
	v_cvt_f32_u32_e32 v10, v10
	v_ldexp_f32 v10, v10, v11
	s_delay_alu instid0(VALU_DEP_1) | instskip(NEXT) | instid1(VALU_DEP_1)
	v_bfe_u32 v11, v10, 16, 1
	v_add3_u32 v10, v10, v11, 0x7fff
	s_delay_alu instid0(VALU_DEP_1)
	v_lshrrev_b32_e32 v10, 16, v10
	s_branch .LBB209_1203
.LBB209_1201:
	s_mov_b32 s1, -1
                                        ; implicit-def: $vgpr10
.LBB209_1202:
	s_mov_b32 s10, 0
.LBB209_1203:
	s_delay_alu instid0(SALU_CYCLE_1)
	s_and_b32 vcc_lo, exec_lo, s10
	s_cbranch_vccz .LBB209_1221
; %bb.1204:
	v_cmp_gt_i16_e32 vcc_lo, 27, v9
	s_cbranch_vccnz .LBB209_1207
; %bb.1205:
	v_cmp_lt_i16_e32 vcc_lo, 27, v9
	s_cbranch_vccz .LBB209_1208
; %bb.1206:
	global_load_b32 v10, v[7:8], off
	s_mov_b32 s3, 0
	s_waitcnt vmcnt(0)
	v_cvt_f32_u32_e32 v10, v10
	s_delay_alu instid0(VALU_DEP_1) | instskip(NEXT) | instid1(VALU_DEP_1)
	v_bfe_u32 v11, v10, 16, 1
	v_add3_u32 v10, v10, v11, 0x7fff
	s_delay_alu instid0(VALU_DEP_1)
	v_lshrrev_b32_e32 v10, 16, v10
	s_branch .LBB209_1209
.LBB209_1207:
	s_mov_b32 s3, -1
                                        ; implicit-def: $vgpr10
	s_branch .LBB209_1212
.LBB209_1208:
	s_mov_b32 s3, -1
                                        ; implicit-def: $vgpr10
.LBB209_1209:
	s_delay_alu instid0(SALU_CYCLE_1)
	s_and_not1_b32 vcc_lo, exec_lo, s3
	s_cbranch_vccnz .LBB209_1211
; %bb.1210:
	global_load_u16 v10, v[7:8], off
	s_waitcnt vmcnt(0)
	v_cvt_f32_u32_e32 v10, v10
	s_delay_alu instid0(VALU_DEP_1) | instskip(NEXT) | instid1(VALU_DEP_1)
	v_bfe_u32 v11, v10, 16, 1
	v_add3_u32 v10, v10, v11, 0x7fff
	s_delay_alu instid0(VALU_DEP_1)
	v_lshrrev_b32_e32 v10, 16, v10
.LBB209_1211:
	s_mov_b32 s3, 0
.LBB209_1212:
	s_delay_alu instid0(SALU_CYCLE_1)
	s_and_not1_b32 vcc_lo, exec_lo, s3
	s_cbranch_vccnz .LBB209_1220
; %bb.1213:
	global_load_u8 v10, v[7:8], off
	s_mov_b32 s3, 0
	s_mov_b32 s11, exec_lo
                                        ; implicit-def: $sgpr10
	s_waitcnt vmcnt(0)
	v_cmpx_lt_i16_e32 0x7f, v10
	s_xor_b32 s11, exec_lo, s11
	s_cbranch_execz .LBB209_1233
; %bb.1214:
	s_mov_b32 s3, -1
	s_mov_b32 s12, exec_lo
                                        ; implicit-def: $sgpr10
	v_cmpx_eq_u16_e32 0x80, v10
; %bb.1215:
	s_mov_b32 s10, 0x7f800001
	s_xor_b32 s3, exec_lo, -1
; %bb.1216:
	s_or_b32 exec_lo, exec_lo, s12
	s_delay_alu instid0(SALU_CYCLE_1)
	s_and_b32 s3, s3, exec_lo
	s_or_saveexec_b32 s11, s11
	v_mov_b32_e32 v11, s10
	s_xor_b32 exec_lo, exec_lo, s11
	s_cbranch_execnz .LBB209_1234
.LBB209_1217:
	s_or_b32 exec_lo, exec_lo, s11
	s_and_saveexec_b32 s10, s3
	s_cbranch_execz .LBB209_1219
.LBB209_1218:
	v_and_b32_e32 v11, 0xffff, v10
	v_lshlrev_b32_e32 v10, 24, v10
	s_delay_alu instid0(VALU_DEP_2) | instskip(NEXT) | instid1(VALU_DEP_2)
	v_and_b32_e32 v12, 7, v11
	v_and_b32_e32 v10, 0x80000000, v10
	s_delay_alu instid0(VALU_DEP_2) | instskip(NEXT) | instid1(VALU_DEP_1)
	v_clz_i32_u32_e32 v13, v12
	v_min_u32_e32 v13, 32, v13
	s_delay_alu instid0(VALU_DEP_1) | instskip(SKIP_1) | instid1(VALU_DEP_2)
	v_subrev_nc_u32_e32 v14, 28, v13
	v_sub_nc_u32_e32 v13, 29, v13
	v_lshlrev_b32_e32 v14, v14, v11
	v_bfe_u32 v11, v11, 3, 4
	s_delay_alu instid0(VALU_DEP_2) | instskip(NEXT) | instid1(VALU_DEP_2)
	v_and_b32_e32 v14, 7, v14
	v_cmp_eq_u32_e32 vcc_lo, 0, v11
	s_delay_alu instid0(VALU_DEP_2) | instskip(NEXT) | instid1(VALU_DEP_1)
	v_dual_cndmask_b32 v11, v11, v13 :: v_dual_cndmask_b32 v12, v12, v14
	v_lshl_add_u32 v11, v11, 23, 0x3b800000
	s_delay_alu instid0(VALU_DEP_2) | instskip(NEXT) | instid1(VALU_DEP_1)
	v_lshlrev_b32_e32 v12, 20, v12
	v_or3_b32 v11, v10, v11, v12
.LBB209_1219:
	s_or_b32 exec_lo, exec_lo, s10
	s_delay_alu instid0(VALU_DEP_1) | instskip(SKIP_1) | instid1(VALU_DEP_2)
	v_bfe_u32 v10, v11, 16, 1
	v_cmp_o_f32_e32 vcc_lo, v11, v11
	v_add3_u32 v10, v11, v10, 0x7fff
	s_delay_alu instid0(VALU_DEP_1) | instskip(NEXT) | instid1(VALU_DEP_1)
	v_lshrrev_b32_e32 v10, 16, v10
	v_cndmask_b32_e32 v10, 0x7fc0, v10, vcc_lo
.LBB209_1220:
	s_mov_b32 s3, -1
.LBB209_1221:
	s_branch .LBB209_1253
.LBB209_1222:
	v_cmp_lt_i16_e32 vcc_lo, 22, v9
	s_cbranch_vccz .LBB209_1232
; %bb.1223:
	v_cmp_gt_i16_e32 vcc_lo, 24, v9
	s_cbranch_vccnz .LBB209_1235
; %bb.1224:
	v_cmp_lt_i16_e32 vcc_lo, 24, v9
	s_cbranch_vccz .LBB209_1236
; %bb.1225:
	global_load_u8 v10, v[7:8], off
	s_mov_b32 s10, exec_lo
                                        ; implicit-def: $sgpr3
	s_waitcnt vmcnt(0)
	v_cmpx_lt_i16_e32 0x7f, v10
	s_xor_b32 s10, exec_lo, s10
	s_cbranch_execz .LBB209_1247
; %bb.1226:
	s_mov_b32 s2, -1
	s_mov_b32 s11, exec_lo
                                        ; implicit-def: $sgpr3
	v_cmpx_eq_u16_e32 0x80, v10
; %bb.1227:
	s_mov_b32 s3, 0x7f800001
	s_xor_b32 s2, exec_lo, -1
; %bb.1228:
	s_or_b32 exec_lo, exec_lo, s11
	s_delay_alu instid0(SALU_CYCLE_1)
	s_and_b32 s2, s2, exec_lo
	s_or_saveexec_b32 s10, s10
	v_mov_b32_e32 v11, s3
	s_xor_b32 exec_lo, exec_lo, s10
	s_cbranch_execnz .LBB209_1248
.LBB209_1229:
	s_or_b32 exec_lo, exec_lo, s10
	s_and_saveexec_b32 s3, s2
	s_cbranch_execz .LBB209_1231
.LBB209_1230:
	v_and_b32_e32 v11, 0xffff, v10
	v_lshlrev_b32_e32 v10, 24, v10
	s_delay_alu instid0(VALU_DEP_2) | instskip(NEXT) | instid1(VALU_DEP_2)
	v_and_b32_e32 v12, 3, v11
	v_and_b32_e32 v10, 0x80000000, v10
	s_delay_alu instid0(VALU_DEP_2) | instskip(NEXT) | instid1(VALU_DEP_1)
	v_clz_i32_u32_e32 v13, v12
	v_min_u32_e32 v13, 32, v13
	s_delay_alu instid0(VALU_DEP_1) | instskip(SKIP_1) | instid1(VALU_DEP_2)
	v_subrev_nc_u32_e32 v14, 29, v13
	v_sub_nc_u32_e32 v13, 30, v13
	v_lshlrev_b32_e32 v14, v14, v11
	v_bfe_u32 v11, v11, 2, 5
	s_delay_alu instid0(VALU_DEP_2) | instskip(NEXT) | instid1(VALU_DEP_2)
	v_and_b32_e32 v14, 3, v14
	v_cmp_eq_u32_e32 vcc_lo, 0, v11
	s_delay_alu instid0(VALU_DEP_2) | instskip(NEXT) | instid1(VALU_DEP_1)
	v_dual_cndmask_b32 v11, v11, v13 :: v_dual_cndmask_b32 v12, v12, v14
	v_lshl_add_u32 v11, v11, 23, 0x37800000
	s_delay_alu instid0(VALU_DEP_2) | instskip(NEXT) | instid1(VALU_DEP_1)
	v_lshlrev_b32_e32 v12, 21, v12
	v_or3_b32 v11, v10, v11, v12
.LBB209_1231:
	s_or_b32 exec_lo, exec_lo, s3
	s_delay_alu instid0(VALU_DEP_1) | instskip(SKIP_2) | instid1(VALU_DEP_2)
	v_bfe_u32 v10, v11, 16, 1
	v_cmp_o_f32_e32 vcc_lo, v11, v11
	s_mov_b32 s2, 0
	v_add3_u32 v10, v11, v10, 0x7fff
	s_delay_alu instid0(VALU_DEP_1) | instskip(NEXT) | instid1(VALU_DEP_1)
	v_lshrrev_b32_e32 v10, 16, v10
	v_cndmask_b32_e32 v10, 0x7fc0, v10, vcc_lo
	s_branch .LBB209_1237
.LBB209_1232:
                                        ; implicit-def: $vgpr10
	s_mov_b32 s2, 0
	s_branch .LBB209_1243
.LBB209_1233:
	s_or_saveexec_b32 s11, s11
	v_mov_b32_e32 v11, s10
	s_xor_b32 exec_lo, exec_lo, s11
	s_cbranch_execz .LBB209_1217
.LBB209_1234:
	v_cmp_ne_u16_e32 vcc_lo, 0, v10
	v_mov_b32_e32 v11, 0
	s_and_not1_b32 s3, s3, exec_lo
	s_and_b32 s10, vcc_lo, exec_lo
	s_delay_alu instid0(SALU_CYCLE_1)
	s_or_b32 s3, s3, s10
	s_or_b32 exec_lo, exec_lo, s11
	s_and_saveexec_b32 s10, s3
	s_cbranch_execnz .LBB209_1218
	s_branch .LBB209_1219
.LBB209_1235:
	s_mov_b32 s2, -1
                                        ; implicit-def: $vgpr10
	s_branch .LBB209_1240
.LBB209_1236:
	s_mov_b32 s2, -1
                                        ; implicit-def: $vgpr10
.LBB209_1237:
	s_delay_alu instid0(SALU_CYCLE_1)
	s_and_b32 vcc_lo, exec_lo, s2
	s_cbranch_vccz .LBB209_1239
; %bb.1238:
	global_load_u8 v10, v[7:8], off
	s_waitcnt vmcnt(0)
	v_lshlrev_b32_e32 v10, 24, v10
	s_delay_alu instid0(VALU_DEP_1) | instskip(NEXT) | instid1(VALU_DEP_1)
	v_and_b32_e32 v11, 0x7f000000, v10
	v_clz_i32_u32_e32 v12, v11
	v_add_nc_u32_e32 v14, 0x1000000, v11
	v_cmp_ne_u32_e32 vcc_lo, 0, v11
	s_delay_alu instid0(VALU_DEP_3) | instskip(NEXT) | instid1(VALU_DEP_1)
	v_min_u32_e32 v12, 32, v12
	v_sub_nc_u32_e64 v12, v12, 4 clamp
	s_delay_alu instid0(VALU_DEP_1) | instskip(SKIP_1) | instid1(VALU_DEP_2)
	v_lshlrev_b32_e32 v13, v12, v11
	v_lshlrev_b32_e32 v12, 23, v12
	v_lshrrev_b32_e32 v13, 4, v13
	s_delay_alu instid0(VALU_DEP_1) | instskip(SKIP_1) | instid1(VALU_DEP_2)
	v_sub_nc_u32_e32 v12, v13, v12
	v_ashrrev_i32_e32 v13, 8, v14
	v_add_nc_u32_e32 v12, 0x3c000000, v12
	s_delay_alu instid0(VALU_DEP_1) | instskip(NEXT) | instid1(VALU_DEP_1)
	v_and_or_b32 v12, 0x7f800000, v13, v12
	v_cndmask_b32_e32 v11, 0, v12, vcc_lo
	s_delay_alu instid0(VALU_DEP_1) | instskip(SKIP_1) | instid1(VALU_DEP_2)
	v_and_or_b32 v10, 0x80000000, v10, v11
	v_bfe_u32 v11, v11, 16, 1
	v_cmp_o_f32_e32 vcc_lo, v10, v10
	s_delay_alu instid0(VALU_DEP_2) | instskip(NEXT) | instid1(VALU_DEP_1)
	v_add3_u32 v11, v10, v11, 0x7fff
	v_lshrrev_b32_e32 v11, 16, v11
	s_delay_alu instid0(VALU_DEP_1)
	v_cndmask_b32_e32 v10, 0x7fc0, v11, vcc_lo
.LBB209_1239:
	s_mov_b32 s2, 0
.LBB209_1240:
	s_delay_alu instid0(SALU_CYCLE_1)
	s_and_not1_b32 vcc_lo, exec_lo, s2
	s_cbranch_vccnz .LBB209_1242
; %bb.1241:
	global_load_u8 v10, v[7:8], off
	s_waitcnt vmcnt(0)
	v_lshlrev_b32_e32 v11, 25, v10
	v_lshlrev_b16 v10, 8, v10
	s_delay_alu instid0(VALU_DEP_2) | instskip(NEXT) | instid1(VALU_DEP_2)
	v_lshrrev_b32_e32 v12, 4, v11
	v_and_or_b32 v13, 0x7f00, v10, 0.5
	v_bfe_i32 v10, v10, 0, 16
	s_delay_alu instid0(VALU_DEP_3) | instskip(NEXT) | instid1(VALU_DEP_1)
	v_or_b32_e32 v12, 0x70000000, v12
	v_dual_add_f32 v13, -0.5, v13 :: v_dual_mul_f32 v12, 0x7800000, v12
	v_cmp_gt_u32_e32 vcc_lo, 0x8000000, v11
	s_delay_alu instid0(VALU_DEP_2) | instskip(NEXT) | instid1(VALU_DEP_1)
	v_cndmask_b32_e32 v11, v12, v13, vcc_lo
	v_and_or_b32 v10, 0x80000000, v10, v11
	v_bfe_u32 v11, v11, 16, 1
	s_delay_alu instid0(VALU_DEP_2) | instskip(NEXT) | instid1(VALU_DEP_2)
	v_cmp_o_f32_e32 vcc_lo, v10, v10
	v_add3_u32 v11, v10, v11, 0x7fff
	s_delay_alu instid0(VALU_DEP_1) | instskip(NEXT) | instid1(VALU_DEP_1)
	v_lshrrev_b32_e32 v11, 16, v11
	v_cndmask_b32_e32 v10, 0x7fc0, v11, vcc_lo
.LBB209_1242:
	s_mov_b32 s3, -1
	s_mov_b32 s2, 0
	s_cbranch_execnz .LBB209_1253
.LBB209_1243:
	v_cmp_lt_i16_e32 vcc_lo, 14, v9
	s_cbranch_vccz .LBB209_1246
; %bb.1244:
	v_cmp_eq_u16_e32 vcc_lo, 15, v9
	s_cbranch_vccz .LBB209_1249
; %bb.1245:
	global_load_u16 v10, v[7:8], off
	s_mov_b32 s1, 0
	s_mov_b32 s3, -1
	s_branch .LBB209_1251
.LBB209_1246:
	s_mov_b32 s2, -1
	s_branch .LBB209_1250
.LBB209_1247:
	s_or_saveexec_b32 s10, s10
	v_mov_b32_e32 v11, s3
	s_xor_b32 exec_lo, exec_lo, s10
	s_cbranch_execz .LBB209_1229
.LBB209_1248:
	v_cmp_ne_u16_e32 vcc_lo, 0, v10
	v_mov_b32_e32 v11, 0
	s_and_not1_b32 s2, s2, exec_lo
	s_and_b32 s3, vcc_lo, exec_lo
	s_delay_alu instid0(SALU_CYCLE_1)
	s_or_b32 s2, s2, s3
	s_or_b32 exec_lo, exec_lo, s10
	s_and_saveexec_b32 s3, s2
	s_cbranch_execnz .LBB209_1230
	s_branch .LBB209_1231
.LBB209_1249:
	s_mov_b32 s1, -1
.LBB209_1250:
                                        ; implicit-def: $vgpr10
.LBB209_1251:
	s_and_b32 vcc_lo, exec_lo, s2
	s_mov_b32 s2, 0
	s_cbranch_vccz .LBB209_1253
; %bb.1252:
	v_cmp_ne_u16_e64 s1, 11, v9
	s_mov_b32 s2, -1
                                        ; implicit-def: $vgpr10
.LBB209_1253:
	s_delay_alu instid0(VALU_DEP_1)
	s_and_b32 vcc_lo, exec_lo, s1
	s_mov_b32 s1, s8
	s_cbranch_vccnz .LBB209_1277
; %bb.1254:
	s_and_not1_b32 vcc_lo, exec_lo, s2
	s_cbranch_vccnz .LBB209_1256
.LBB209_1255:
	global_load_u8 v10, v[7:8], off
	s_mov_b32 s3, -1
	s_waitcnt vmcnt(0)
	v_cmp_ne_u16_e32 vcc_lo, 0, v10
	v_cndmask_b32_e64 v10, 0, 1.0, vcc_lo
	s_delay_alu instid0(VALU_DEP_1)
	v_lshrrev_b32_e32 v10, 16, v10
.LBB209_1256:
.LBB209_1257:
	s_and_not1_b32 vcc_lo, exec_lo, s3
	s_cbranch_vccnz .LBB209_2090
.LBB209_1258:
	v_cmp_gt_i16_e32 vcc_lo, 11, v9
	s_waitcnt vmcnt(0)
	v_add_co_u32 v6, s2, s6, v6
	s_delay_alu instid0(VALU_DEP_1)
	v_add_co_ci_u32_e64 v7, null, s7, 0, s2
	s_mov_b32 s10, 0
	s_cbranch_vccnz .LBB209_1265
; %bb.1259:
	v_cmp_lt_i16_e32 vcc_lo, 25, v9
	s_mov_b32 s3, 0
	s_cbranch_vccz .LBB209_1271
; %bb.1260:
	v_cmp_lt_i16_e32 vcc_lo, 28, v9
	s_cbranch_vccz .LBB209_1273
; %bb.1261:
	v_cmp_lt_i16_e32 vcc_lo, 43, v9
	;; [unrolled: 3-line block ×3, first 2 shown]
	s_cbranch_vccz .LBB209_1281
; %bb.1263:
	v_cmp_eq_u16_e32 vcc_lo, 46, v9
	s_mov_b32 s11, 0
	s_cbranch_vccz .LBB209_1325
; %bb.1264:
	global_load_b32 v8, v[6:7], off
	s_mov_b32 s2, 0
	s_mov_b32 s10, -1
	s_branch .LBB209_1327
.LBB209_1265:
                                        ; implicit-def: $vgpr8
	s_cbranch_execz .LBB209_1392
; %bb.1266:
	v_cmp_gt_i16_e32 vcc_lo, 5, v9
	s_cbranch_vccnz .LBB209_1272
; %bb.1267:
	v_cmp_gt_i16_e32 vcc_lo, 8, v9
	s_cbranch_vccnz .LBB209_1274
	;; [unrolled: 3-line block ×3, first 2 shown]
; %bb.1269:
	v_cmp_lt_i16_e32 vcc_lo, 9, v9
	s_cbranch_vccz .LBB209_1282
; %bb.1270:
	global_load_b64 v[11:12], v[6:7], off
	s_mov_b32 s2, 0
	s_waitcnt vmcnt(0)
	v_cvt_f32_f64_e32 v8, v[11:12]
	s_delay_alu instid0(VALU_DEP_1) | instskip(SKIP_1) | instid1(VALU_DEP_2)
	v_bfe_u32 v11, v8, 16, 1
	v_cmp_o_f32_e32 vcc_lo, v8, v8
	v_add3_u32 v11, v8, v11, 0x7fff
	s_delay_alu instid0(VALU_DEP_1) | instskip(NEXT) | instid1(VALU_DEP_1)
	v_lshrrev_b32_e32 v11, 16, v11
	v_cndmask_b32_e32 v8, 0x7fc0, v11, vcc_lo
	s_branch .LBB209_1283
.LBB209_1271:
	s_mov_b32 s2, 0
                                        ; implicit-def: $vgpr8
	s_cbranch_execnz .LBB209_1356
	s_branch .LBB209_1388
.LBB209_1272:
                                        ; implicit-def: $vgpr8
	s_branch .LBB209_1301
.LBB209_1273:
	s_mov_b32 s11, -1
	s_mov_b32 s2, 0
                                        ; implicit-def: $vgpr8
	s_branch .LBB209_1337
.LBB209_1274:
	s_mov_b32 s2, -1
                                        ; implicit-def: $vgpr8
	s_branch .LBB209_1289
.LBB209_1275:
	s_mov_b32 s11, -1
	s_mov_b32 s2, 0
                                        ; implicit-def: $vgpr8
	s_branch .LBB209_1332
.LBB209_1276:
	s_mov_b32 s2, -1
                                        ; implicit-def: $vgpr8
	s_branch .LBB209_1286
.LBB209_1277:
	s_cbranch_execnz .LBB209_1321
; %bb.1278:
	s_or_b32 s1, s8, exec_lo
                                        ; implicit-def: $vgpr10
	s_cbranch_execz .LBB209_1255
	s_branch .LBB209_1256
.LBB209_1279:
	s_or_saveexec_b32 s7, s7
                                        ; implicit-def: $sgpr8
	s_delay_alu instid0(SALU_CYCLE_1)
	s_xor_b32 exec_lo, exec_lo, s7
	s_cbranch_execz .LBB209_987
.LBB209_1280:
	v_add_f32_e64 v3, 0x46000000, |v6|
	s_and_not1_b32 s5, s5, exec_lo
	s_mov_b32 s8, 0
	s_delay_alu instid0(VALU_DEP_1) | instskip(NEXT) | instid1(VALU_DEP_1)
	v_and_b32_e32 v3, 0xff, v3
	v_cmp_ne_u32_e32 vcc_lo, 0, v3
	s_and_b32 s9, vcc_lo, exec_lo
	s_delay_alu instid0(SALU_CYCLE_1)
	s_or_b32 s5, s5, s9
	s_or_b32 exec_lo, exec_lo, s7
	v_mov_b32_e32 v7, s8
	s_and_saveexec_b32 s7, s5
	s_cbranch_execnz .LBB209_988
	s_branch .LBB209_989
.LBB209_1281:
	s_mov_b32 s11, -1
	s_mov_b32 s2, 0
	s_branch .LBB209_1326
.LBB209_1282:
	s_mov_b32 s2, -1
                                        ; implicit-def: $vgpr8
.LBB209_1283:
	s_delay_alu instid0(SALU_CYCLE_1)
	s_and_not1_b32 vcc_lo, exec_lo, s2
	s_cbranch_vccnz .LBB209_1285
; %bb.1284:
	global_load_b32 v8, v[6:7], off
	s_waitcnt vmcnt(0)
	v_bfe_u32 v11, v8, 16, 1
	v_cmp_o_f32_e32 vcc_lo, v8, v8
	s_delay_alu instid0(VALU_DEP_2) | instskip(NEXT) | instid1(VALU_DEP_1)
	v_add3_u32 v11, v8, v11, 0x7fff
	v_lshrrev_b32_e32 v11, 16, v11
	s_delay_alu instid0(VALU_DEP_1)
	v_cndmask_b32_e32 v8, 0x7fc0, v11, vcc_lo
.LBB209_1285:
	s_mov_b32 s2, 0
.LBB209_1286:
	s_delay_alu instid0(SALU_CYCLE_1)
	s_and_not1_b32 vcc_lo, exec_lo, s2
	s_cbranch_vccnz .LBB209_1288
; %bb.1287:
	global_load_b32 v8, v[6:7], off
	s_waitcnt vmcnt(0)
	v_cvt_f32_f16_e32 v11, v8
	v_cmp_o_f16_e32 vcc_lo, v8, v8
	s_delay_alu instid0(VALU_DEP_2) | instskip(NEXT) | instid1(VALU_DEP_1)
	v_bfe_u32 v12, v11, 16, 1
	v_add3_u32 v11, v11, v12, 0x7fff
	s_delay_alu instid0(VALU_DEP_1) | instskip(NEXT) | instid1(VALU_DEP_1)
	v_lshrrev_b32_e32 v11, 16, v11
	v_cndmask_b32_e32 v8, 0x7fc0, v11, vcc_lo
.LBB209_1288:
	s_mov_b32 s2, 0
.LBB209_1289:
	s_delay_alu instid0(SALU_CYCLE_1)
	s_and_not1_b32 vcc_lo, exec_lo, s2
	s_cbranch_vccnz .LBB209_1300
; %bb.1290:
	v_cmp_gt_i16_e32 vcc_lo, 6, v9
	s_cbranch_vccnz .LBB209_1293
; %bb.1291:
	v_cmp_lt_i16_e32 vcc_lo, 6, v9
	s_cbranch_vccz .LBB209_1294
; %bb.1292:
	global_load_b64 v[11:12], v[6:7], off
	s_mov_b32 s2, 0
	s_waitcnt vmcnt(0)
	v_cvt_f32_f64_e32 v8, v[11:12]
	s_delay_alu instid0(VALU_DEP_1) | instskip(SKIP_1) | instid1(VALU_DEP_2)
	v_bfe_u32 v11, v8, 16, 1
	v_cmp_o_f32_e32 vcc_lo, v8, v8
	v_add3_u32 v11, v8, v11, 0x7fff
	s_delay_alu instid0(VALU_DEP_1) | instskip(NEXT) | instid1(VALU_DEP_1)
	v_lshrrev_b32_e32 v11, 16, v11
	v_cndmask_b32_e32 v8, 0x7fc0, v11, vcc_lo
	s_branch .LBB209_1295
.LBB209_1293:
	s_mov_b32 s2, -1
                                        ; implicit-def: $vgpr8
	s_branch .LBB209_1298
.LBB209_1294:
	s_mov_b32 s2, -1
                                        ; implicit-def: $vgpr8
.LBB209_1295:
	s_delay_alu instid0(SALU_CYCLE_1)
	s_and_not1_b32 vcc_lo, exec_lo, s2
	s_cbranch_vccnz .LBB209_1297
; %bb.1296:
	global_load_b32 v8, v[6:7], off
	s_waitcnt vmcnt(0)
	v_bfe_u32 v11, v8, 16, 1
	v_cmp_o_f32_e32 vcc_lo, v8, v8
	s_delay_alu instid0(VALU_DEP_2) | instskip(NEXT) | instid1(VALU_DEP_1)
	v_add3_u32 v11, v8, v11, 0x7fff
	v_lshrrev_b32_e32 v11, 16, v11
	s_delay_alu instid0(VALU_DEP_1)
	v_cndmask_b32_e32 v8, 0x7fc0, v11, vcc_lo
.LBB209_1297:
	s_mov_b32 s2, 0
.LBB209_1298:
	s_delay_alu instid0(SALU_CYCLE_1)
	s_and_not1_b32 vcc_lo, exec_lo, s2
	s_cbranch_vccnz .LBB209_1300
; %bb.1299:
	global_load_u16 v8, v[6:7], off
	s_waitcnt vmcnt(0)
	v_cvt_f32_f16_e32 v11, v8
	v_cmp_o_f16_e32 vcc_lo, v8, v8
	s_delay_alu instid0(VALU_DEP_2) | instskip(NEXT) | instid1(VALU_DEP_1)
	v_bfe_u32 v12, v11, 16, 1
	v_add3_u32 v11, v11, v12, 0x7fff
	s_delay_alu instid0(VALU_DEP_1) | instskip(NEXT) | instid1(VALU_DEP_1)
	v_lshrrev_b32_e32 v11, 16, v11
	v_cndmask_b32_e32 v8, 0x7fc0, v11, vcc_lo
.LBB209_1300:
	s_cbranch_execnz .LBB209_1320
.LBB209_1301:
	v_cmp_gt_i16_e32 vcc_lo, 2, v9
	s_cbranch_vccnz .LBB209_1305
; %bb.1302:
	v_cmp_gt_i16_e32 vcc_lo, 3, v9
	s_cbranch_vccnz .LBB209_1306
; %bb.1303:
	v_cmp_lt_i16_e32 vcc_lo, 3, v9
	s_cbranch_vccz .LBB209_1307
; %bb.1304:
	global_load_b64 v[11:12], v[6:7], off
	s_mov_b32 s2, 0
	s_waitcnt vmcnt(0)
	v_xor_b32_e32 v8, v11, v12
	v_cls_i32_e32 v13, v12
	s_delay_alu instid0(VALU_DEP_2) | instskip(NEXT) | instid1(VALU_DEP_2)
	v_ashrrev_i32_e32 v8, 31, v8
	v_add_nc_u32_e32 v13, -1, v13
	s_delay_alu instid0(VALU_DEP_2) | instskip(NEXT) | instid1(VALU_DEP_1)
	v_add_nc_u32_e32 v8, 32, v8
	v_min_u32_e32 v8, v13, v8
	s_delay_alu instid0(VALU_DEP_1) | instskip(SKIP_1) | instid1(VALU_DEP_2)
	v_lshlrev_b64 v[11:12], v8, v[11:12]
	v_sub_nc_u32_e32 v8, 32, v8
	v_min_u32_e32 v11, 1, v11
	s_delay_alu instid0(VALU_DEP_1) | instskip(NEXT) | instid1(VALU_DEP_1)
	v_or_b32_e32 v11, v12, v11
	v_cvt_f32_i32_e32 v11, v11
	s_delay_alu instid0(VALU_DEP_1) | instskip(NEXT) | instid1(VALU_DEP_1)
	v_ldexp_f32 v8, v11, v8
	v_bfe_u32 v11, v8, 16, 1
	s_delay_alu instid0(VALU_DEP_1) | instskip(NEXT) | instid1(VALU_DEP_1)
	v_add3_u32 v8, v8, v11, 0x7fff
	v_lshrrev_b32_e32 v8, 16, v8
	s_branch .LBB209_1308
.LBB209_1305:
	s_mov_b32 s2, -1
                                        ; implicit-def: $vgpr8
	s_branch .LBB209_1314
.LBB209_1306:
	s_mov_b32 s2, -1
                                        ; implicit-def: $vgpr8
	s_branch .LBB209_1311
.LBB209_1307:
	s_mov_b32 s2, -1
                                        ; implicit-def: $vgpr8
.LBB209_1308:
	s_delay_alu instid0(SALU_CYCLE_1)
	s_and_not1_b32 vcc_lo, exec_lo, s2
	s_cbranch_vccnz .LBB209_1310
; %bb.1309:
	global_load_b32 v8, v[6:7], off
	s_waitcnt vmcnt(0)
	v_cvt_f32_i32_e32 v8, v8
	s_delay_alu instid0(VALU_DEP_1) | instskip(NEXT) | instid1(VALU_DEP_1)
	v_bfe_u32 v11, v8, 16, 1
	v_add3_u32 v8, v8, v11, 0x7fff
	s_delay_alu instid0(VALU_DEP_1)
	v_lshrrev_b32_e32 v8, 16, v8
.LBB209_1310:
	s_mov_b32 s2, 0
.LBB209_1311:
	s_delay_alu instid0(SALU_CYCLE_1)
	s_and_not1_b32 vcc_lo, exec_lo, s2
	s_cbranch_vccnz .LBB209_1313
; %bb.1312:
	global_load_i16 v8, v[6:7], off
	s_waitcnt vmcnt(0)
	v_cvt_f32_i32_e32 v8, v8
	s_delay_alu instid0(VALU_DEP_1) | instskip(NEXT) | instid1(VALU_DEP_1)
	v_bfe_u32 v11, v8, 16, 1
	v_add3_u32 v8, v8, v11, 0x7fff
	s_delay_alu instid0(VALU_DEP_1)
	v_lshrrev_b32_e32 v8, 16, v8
.LBB209_1313:
	s_mov_b32 s2, 0
.LBB209_1314:
	s_delay_alu instid0(SALU_CYCLE_1)
	s_and_not1_b32 vcc_lo, exec_lo, s2
	s_cbranch_vccnz .LBB209_1320
; %bb.1315:
	v_cmp_lt_i16_e32 vcc_lo, 0, v9
	s_mov_b32 s2, 0
	s_cbranch_vccz .LBB209_1317
; %bb.1316:
	global_load_i8 v8, v[6:7], off
	s_waitcnt vmcnt(0)
	v_cvt_f32_i32_e32 v8, v8
	s_delay_alu instid0(VALU_DEP_1) | instskip(NEXT) | instid1(VALU_DEP_1)
	v_bfe_u32 v11, v8, 16, 1
	v_add3_u32 v8, v8, v11, 0x7fff
	s_delay_alu instid0(VALU_DEP_1)
	v_lshrrev_b32_e32 v8, 16, v8
	s_branch .LBB209_1318
.LBB209_1317:
	s_mov_b32 s2, -1
                                        ; implicit-def: $vgpr8
.LBB209_1318:
	s_delay_alu instid0(SALU_CYCLE_1)
	s_and_not1_b32 vcc_lo, exec_lo, s2
	s_cbranch_vccnz .LBB209_1320
; %bb.1319:
	global_load_u8 v6, v[6:7], off
	s_waitcnt vmcnt(0)
	v_cvt_f32_ubyte0_e32 v6, v6
	s_delay_alu instid0(VALU_DEP_1) | instskip(NEXT) | instid1(VALU_DEP_1)
	v_bfe_u32 v7, v6, 16, 1
	v_add3_u32 v6, v6, v7, 0x7fff
	s_delay_alu instid0(VALU_DEP_1)
	v_lshrrev_b32_e32 v8, 16, v6
.LBB209_1320:
	s_branch .LBB209_1393
.LBB209_1321:
	s_trap 2
	s_sendmsg_rtn_b32 s0, sendmsg(MSG_RTN_GET_DOORBELL)
	s_mov_b32 ttmp2, m0
	s_waitcnt lgkmcnt(0)
	s_and_b32 s0, s0, 0x3ff
	s_delay_alu instid0(SALU_CYCLE_1) | instskip(NEXT) | instid1(SALU_CYCLE_1)
	s_bitset1_b32 s0, 10
	s_mov_b32 m0, s0
	s_sendmsg sendmsg(MSG_INTERRUPT)
	s_mov_b32 m0, ttmp2
.LBB209_1322:                           ; =>This Inner Loop Header: Depth=1
	s_sethalt 5
	s_branch .LBB209_1322
.LBB209_1323:
	s_or_saveexec_b32 s8, s8
                                        ; implicit-def: $sgpr9
	s_delay_alu instid0(SALU_CYCLE_1)
	s_xor_b32 exec_lo, exec_lo, s8
	s_cbranch_execz .LBB209_999
.LBB209_1324:
	v_add_f32_e64 v3, 0x42800000, |v6|
	s_and_not1_b32 s7, s7, exec_lo
	s_mov_b32 s9, 0
	s_delay_alu instid0(VALU_DEP_1) | instskip(NEXT) | instid1(VALU_DEP_1)
	v_and_b32_e32 v3, 0xff, v3
	v_cmp_ne_u32_e32 vcc_lo, 0, v3
	s_and_b32 s10, vcc_lo, exec_lo
	s_delay_alu instid0(SALU_CYCLE_1)
	s_or_b32 s7, s7, s10
	s_or_b32 exec_lo, exec_lo, s8
	v_mov_b32_e32 v7, s9
	s_and_saveexec_b32 s8, s7
	s_cbranch_execnz .LBB209_1000
	s_branch .LBB209_1001
.LBB209_1325:
	s_mov_b32 s2, -1
.LBB209_1326:
                                        ; implicit-def: $vgpr8
.LBB209_1327:
	s_and_b32 vcc_lo, exec_lo, s11
	s_cbranch_vccz .LBB209_1331
; %bb.1328:
	v_cmp_eq_u16_e32 vcc_lo, 44, v9
	s_cbranch_vccz .LBB209_1330
; %bb.1329:
	global_load_u8 v8, v[6:7], off
	s_mov_b32 s2, 0
	s_mov_b32 s10, -1
	s_waitcnt vmcnt(0)
	v_lshlrev_b32_e32 v11, 23, v8
	v_cmp_ne_u32_e32 vcc_lo, 0xff, v8
	s_delay_alu instid0(VALU_DEP_2) | instskip(SKIP_1) | instid1(VALU_DEP_2)
	v_cndmask_b32_e32 v11, 0x7f800001, v11, vcc_lo
	v_cmp_ne_u32_e32 vcc_lo, 0, v8
	v_cndmask_b32_e32 v8, 0x400000, v11, vcc_lo
	s_delay_alu instid0(VALU_DEP_1) | instskip(SKIP_1) | instid1(VALU_DEP_2)
	v_add_nc_u32_e32 v11, 0x7fff, v8
	v_cmp_o_f32_e32 vcc_lo, v8, v8
	v_lshrrev_b32_e32 v11, 16, v11
	s_delay_alu instid0(VALU_DEP_1)
	v_cndmask_b32_e32 v8, 0x7fc0, v11, vcc_lo
	s_branch .LBB209_1331
.LBB209_1330:
	s_mov_b32 s2, -1
                                        ; implicit-def: $vgpr8
.LBB209_1331:
	s_mov_b32 s11, 0
.LBB209_1332:
	s_delay_alu instid0(SALU_CYCLE_1)
	s_and_b32 vcc_lo, exec_lo, s11
	s_cbranch_vccz .LBB209_1336
; %bb.1333:
	v_cmp_eq_u16_e32 vcc_lo, 29, v9
	s_cbranch_vccz .LBB209_1335
; %bb.1334:
	global_load_b64 v[11:12], v[6:7], off
	s_mov_b32 s2, 0
	s_mov_b32 s10, -1
	s_mov_b32 s11, 0
	s_waitcnt vmcnt(0)
	v_clz_i32_u32_e32 v8, v12
	s_delay_alu instid0(VALU_DEP_1) | instskip(NEXT) | instid1(VALU_DEP_1)
	v_min_u32_e32 v8, 32, v8
	v_lshlrev_b64 v[11:12], v8, v[11:12]
	v_sub_nc_u32_e32 v8, 32, v8
	s_delay_alu instid0(VALU_DEP_2) | instskip(NEXT) | instid1(VALU_DEP_1)
	v_min_u32_e32 v11, 1, v11
	v_or_b32_e32 v11, v12, v11
	s_delay_alu instid0(VALU_DEP_1) | instskip(NEXT) | instid1(VALU_DEP_1)
	v_cvt_f32_u32_e32 v11, v11
	v_ldexp_f32 v8, v11, v8
	s_delay_alu instid0(VALU_DEP_1) | instskip(NEXT) | instid1(VALU_DEP_1)
	v_bfe_u32 v11, v8, 16, 1
	v_add3_u32 v8, v8, v11, 0x7fff
	s_delay_alu instid0(VALU_DEP_1)
	v_lshrrev_b32_e32 v8, 16, v8
	s_branch .LBB209_1337
.LBB209_1335:
	s_mov_b32 s2, -1
                                        ; implicit-def: $vgpr8
.LBB209_1336:
	s_mov_b32 s11, 0
.LBB209_1337:
	s_delay_alu instid0(SALU_CYCLE_1)
	s_and_b32 vcc_lo, exec_lo, s11
	s_cbranch_vccz .LBB209_1355
; %bb.1338:
	v_cmp_gt_i16_e32 vcc_lo, 27, v9
	s_cbranch_vccnz .LBB209_1341
; %bb.1339:
	v_cmp_lt_i16_e32 vcc_lo, 27, v9
	s_cbranch_vccz .LBB209_1342
; %bb.1340:
	global_load_b32 v8, v[6:7], off
	s_mov_b32 s10, 0
	s_waitcnt vmcnt(0)
	v_cvt_f32_u32_e32 v8, v8
	s_delay_alu instid0(VALU_DEP_1) | instskip(NEXT) | instid1(VALU_DEP_1)
	v_bfe_u32 v11, v8, 16, 1
	v_add3_u32 v8, v8, v11, 0x7fff
	s_delay_alu instid0(VALU_DEP_1)
	v_lshrrev_b32_e32 v8, 16, v8
	s_branch .LBB209_1343
.LBB209_1341:
	s_mov_b32 s10, -1
                                        ; implicit-def: $vgpr8
	s_branch .LBB209_1346
.LBB209_1342:
	s_mov_b32 s10, -1
                                        ; implicit-def: $vgpr8
.LBB209_1343:
	s_delay_alu instid0(SALU_CYCLE_1)
	s_and_not1_b32 vcc_lo, exec_lo, s10
	s_cbranch_vccnz .LBB209_1345
; %bb.1344:
	global_load_u16 v8, v[6:7], off
	s_waitcnt vmcnt(0)
	v_cvt_f32_u32_e32 v8, v8
	s_delay_alu instid0(VALU_DEP_1) | instskip(NEXT) | instid1(VALU_DEP_1)
	v_bfe_u32 v11, v8, 16, 1
	v_add3_u32 v8, v8, v11, 0x7fff
	s_delay_alu instid0(VALU_DEP_1)
	v_lshrrev_b32_e32 v8, 16, v8
.LBB209_1345:
	s_mov_b32 s10, 0
.LBB209_1346:
	s_delay_alu instid0(SALU_CYCLE_1)
	s_and_not1_b32 vcc_lo, exec_lo, s10
	s_cbranch_vccnz .LBB209_1354
; %bb.1347:
	global_load_u8 v8, v[6:7], off
	s_mov_b32 s10, 0
	s_mov_b32 s12, exec_lo
                                        ; implicit-def: $sgpr11
	s_waitcnt vmcnt(0)
	v_cmpx_lt_i16_e32 0x7f, v8
	s_xor_b32 s12, exec_lo, s12
	s_cbranch_execz .LBB209_1367
; %bb.1348:
	s_mov_b32 s10, -1
	s_mov_b32 s13, exec_lo
                                        ; implicit-def: $sgpr11
	v_cmpx_eq_u16_e32 0x80, v8
; %bb.1349:
	s_mov_b32 s11, 0x7f800001
	s_xor_b32 s10, exec_lo, -1
; %bb.1350:
	s_or_b32 exec_lo, exec_lo, s13
	s_delay_alu instid0(SALU_CYCLE_1)
	s_and_b32 s10, s10, exec_lo
	s_or_saveexec_b32 s12, s12
	v_mov_b32_e32 v11, s11
	s_xor_b32 exec_lo, exec_lo, s12
	s_cbranch_execnz .LBB209_1368
.LBB209_1351:
	s_or_b32 exec_lo, exec_lo, s12
	s_and_saveexec_b32 s11, s10
	s_cbranch_execz .LBB209_1353
.LBB209_1352:
	v_and_b32_e32 v11, 0xffff, v8
	v_lshlrev_b32_e32 v8, 24, v8
	s_delay_alu instid0(VALU_DEP_2) | instskip(NEXT) | instid1(VALU_DEP_2)
	v_and_b32_e32 v12, 7, v11
	v_and_b32_e32 v8, 0x80000000, v8
	s_delay_alu instid0(VALU_DEP_2) | instskip(NEXT) | instid1(VALU_DEP_1)
	v_clz_i32_u32_e32 v13, v12
	v_min_u32_e32 v13, 32, v13
	s_delay_alu instid0(VALU_DEP_1) | instskip(SKIP_1) | instid1(VALU_DEP_2)
	v_subrev_nc_u32_e32 v14, 28, v13
	v_sub_nc_u32_e32 v13, 29, v13
	v_lshlrev_b32_e32 v14, v14, v11
	v_bfe_u32 v11, v11, 3, 4
	s_delay_alu instid0(VALU_DEP_2) | instskip(NEXT) | instid1(VALU_DEP_2)
	v_and_b32_e32 v14, 7, v14
	v_cmp_eq_u32_e32 vcc_lo, 0, v11
	s_delay_alu instid0(VALU_DEP_2) | instskip(NEXT) | instid1(VALU_DEP_1)
	v_dual_cndmask_b32 v11, v11, v13 :: v_dual_cndmask_b32 v12, v12, v14
	v_lshl_add_u32 v11, v11, 23, 0x3b800000
	s_delay_alu instid0(VALU_DEP_2) | instskip(NEXT) | instid1(VALU_DEP_1)
	v_lshlrev_b32_e32 v12, 20, v12
	v_or3_b32 v11, v8, v11, v12
.LBB209_1353:
	s_or_b32 exec_lo, exec_lo, s11
	s_delay_alu instid0(VALU_DEP_1) | instskip(SKIP_1) | instid1(VALU_DEP_2)
	v_bfe_u32 v8, v11, 16, 1
	v_cmp_o_f32_e32 vcc_lo, v11, v11
	v_add3_u32 v8, v11, v8, 0x7fff
	s_delay_alu instid0(VALU_DEP_1) | instskip(NEXT) | instid1(VALU_DEP_1)
	v_lshrrev_b32_e32 v8, 16, v8
	v_cndmask_b32_e32 v8, 0x7fc0, v8, vcc_lo
.LBB209_1354:
	s_mov_b32 s10, -1
.LBB209_1355:
	s_branch .LBB209_1388
.LBB209_1356:
	v_cmp_lt_i16_e32 vcc_lo, 22, v9
	s_cbranch_vccz .LBB209_1366
; %bb.1357:
	v_cmp_gt_i16_e32 vcc_lo, 24, v9
	s_cbranch_vccnz .LBB209_1369
; %bb.1358:
	v_cmp_lt_i16_e32 vcc_lo, 24, v9
	s_cbranch_vccz .LBB209_1370
; %bb.1359:
	global_load_u8 v8, v[6:7], off
	s_mov_b32 s11, exec_lo
                                        ; implicit-def: $sgpr10
	s_waitcnt vmcnt(0)
	v_cmpx_lt_i16_e32 0x7f, v8
	s_xor_b32 s11, exec_lo, s11
	s_cbranch_execz .LBB209_1382
; %bb.1360:
	s_mov_b32 s3, -1
	s_mov_b32 s12, exec_lo
                                        ; implicit-def: $sgpr10
	v_cmpx_eq_u16_e32 0x80, v8
; %bb.1361:
	s_mov_b32 s10, 0x7f800001
	s_xor_b32 s3, exec_lo, -1
; %bb.1362:
	s_or_b32 exec_lo, exec_lo, s12
	s_delay_alu instid0(SALU_CYCLE_1)
	s_and_b32 s3, s3, exec_lo
	s_or_saveexec_b32 s11, s11
	v_mov_b32_e32 v11, s10
	s_xor_b32 exec_lo, exec_lo, s11
	s_cbranch_execnz .LBB209_1383
.LBB209_1363:
	s_or_b32 exec_lo, exec_lo, s11
	s_and_saveexec_b32 s10, s3
	s_cbranch_execz .LBB209_1365
.LBB209_1364:
	v_and_b32_e32 v11, 0xffff, v8
	v_lshlrev_b32_e32 v8, 24, v8
	s_delay_alu instid0(VALU_DEP_2) | instskip(NEXT) | instid1(VALU_DEP_2)
	v_and_b32_e32 v12, 3, v11
	v_and_b32_e32 v8, 0x80000000, v8
	s_delay_alu instid0(VALU_DEP_2) | instskip(NEXT) | instid1(VALU_DEP_1)
	v_clz_i32_u32_e32 v13, v12
	v_min_u32_e32 v13, 32, v13
	s_delay_alu instid0(VALU_DEP_1) | instskip(SKIP_1) | instid1(VALU_DEP_2)
	v_subrev_nc_u32_e32 v14, 29, v13
	v_sub_nc_u32_e32 v13, 30, v13
	v_lshlrev_b32_e32 v14, v14, v11
	v_bfe_u32 v11, v11, 2, 5
	s_delay_alu instid0(VALU_DEP_2) | instskip(NEXT) | instid1(VALU_DEP_2)
	v_and_b32_e32 v14, 3, v14
	v_cmp_eq_u32_e32 vcc_lo, 0, v11
	s_delay_alu instid0(VALU_DEP_2) | instskip(NEXT) | instid1(VALU_DEP_1)
	v_dual_cndmask_b32 v11, v11, v13 :: v_dual_cndmask_b32 v12, v12, v14
	v_lshl_add_u32 v11, v11, 23, 0x37800000
	s_delay_alu instid0(VALU_DEP_2) | instskip(NEXT) | instid1(VALU_DEP_1)
	v_lshlrev_b32_e32 v12, 21, v12
	v_or3_b32 v11, v8, v11, v12
.LBB209_1365:
	s_or_b32 exec_lo, exec_lo, s10
	s_delay_alu instid0(VALU_DEP_1) | instskip(SKIP_2) | instid1(VALU_DEP_2)
	v_bfe_u32 v8, v11, 16, 1
	v_cmp_o_f32_e32 vcc_lo, v11, v11
	s_mov_b32 s3, 0
	v_add3_u32 v8, v11, v8, 0x7fff
	s_delay_alu instid0(VALU_DEP_1) | instskip(NEXT) | instid1(VALU_DEP_1)
	v_lshrrev_b32_e32 v8, 16, v8
	v_cndmask_b32_e32 v8, 0x7fc0, v8, vcc_lo
	s_branch .LBB209_1371
.LBB209_1366:
	s_mov_b32 s3, -1
                                        ; implicit-def: $vgpr8
	s_branch .LBB209_1377
.LBB209_1367:
	s_or_saveexec_b32 s12, s12
	v_mov_b32_e32 v11, s11
	s_xor_b32 exec_lo, exec_lo, s12
	s_cbranch_execz .LBB209_1351
.LBB209_1368:
	v_cmp_ne_u16_e32 vcc_lo, 0, v8
	v_mov_b32_e32 v11, 0
	s_and_not1_b32 s10, s10, exec_lo
	s_and_b32 s11, vcc_lo, exec_lo
	s_delay_alu instid0(SALU_CYCLE_1)
	s_or_b32 s10, s10, s11
	s_or_b32 exec_lo, exec_lo, s12
	s_and_saveexec_b32 s11, s10
	s_cbranch_execnz .LBB209_1352
	s_branch .LBB209_1353
.LBB209_1369:
	s_mov_b32 s3, -1
                                        ; implicit-def: $vgpr8
	s_branch .LBB209_1374
.LBB209_1370:
	s_mov_b32 s3, -1
                                        ; implicit-def: $vgpr8
.LBB209_1371:
	s_delay_alu instid0(SALU_CYCLE_1)
	s_and_b32 vcc_lo, exec_lo, s3
	s_cbranch_vccz .LBB209_1373
; %bb.1372:
	global_load_u8 v8, v[6:7], off
	s_waitcnt vmcnt(0)
	v_lshlrev_b32_e32 v8, 24, v8
	s_delay_alu instid0(VALU_DEP_1) | instskip(NEXT) | instid1(VALU_DEP_1)
	v_and_b32_e32 v11, 0x7f000000, v8
	v_clz_i32_u32_e32 v12, v11
	v_cmp_ne_u32_e32 vcc_lo, 0, v11
	v_add_nc_u32_e32 v14, 0x1000000, v11
	s_delay_alu instid0(VALU_DEP_3) | instskip(NEXT) | instid1(VALU_DEP_1)
	v_min_u32_e32 v12, 32, v12
	v_sub_nc_u32_e64 v12, v12, 4 clamp
	s_delay_alu instid0(VALU_DEP_1) | instskip(SKIP_1) | instid1(VALU_DEP_2)
	v_lshlrev_b32_e32 v13, v12, v11
	v_lshlrev_b32_e32 v12, 23, v12
	v_lshrrev_b32_e32 v13, 4, v13
	s_delay_alu instid0(VALU_DEP_1) | instskip(SKIP_1) | instid1(VALU_DEP_2)
	v_sub_nc_u32_e32 v12, v13, v12
	v_ashrrev_i32_e32 v13, 8, v14
	v_add_nc_u32_e32 v12, 0x3c000000, v12
	s_delay_alu instid0(VALU_DEP_1) | instskip(NEXT) | instid1(VALU_DEP_1)
	v_and_or_b32 v12, 0x7f800000, v13, v12
	v_cndmask_b32_e32 v11, 0, v12, vcc_lo
	s_delay_alu instid0(VALU_DEP_1) | instskip(SKIP_1) | instid1(VALU_DEP_2)
	v_and_or_b32 v8, 0x80000000, v8, v11
	v_bfe_u32 v11, v11, 16, 1
	v_cmp_o_f32_e32 vcc_lo, v8, v8
	s_delay_alu instid0(VALU_DEP_2) | instskip(NEXT) | instid1(VALU_DEP_1)
	v_add3_u32 v11, v8, v11, 0x7fff
	v_lshrrev_b32_e32 v11, 16, v11
	s_delay_alu instid0(VALU_DEP_1)
	v_cndmask_b32_e32 v8, 0x7fc0, v11, vcc_lo
.LBB209_1373:
	s_mov_b32 s3, 0
.LBB209_1374:
	s_delay_alu instid0(SALU_CYCLE_1)
	s_and_not1_b32 vcc_lo, exec_lo, s3
	s_cbranch_vccnz .LBB209_1376
; %bb.1375:
	global_load_u8 v8, v[6:7], off
	s_waitcnt vmcnt(0)
	v_lshlrev_b32_e32 v11, 25, v8
	v_lshlrev_b16 v8, 8, v8
	s_delay_alu instid0(VALU_DEP_2) | instskip(NEXT) | instid1(VALU_DEP_2)
	v_lshrrev_b32_e32 v12, 4, v11
	v_and_or_b32 v13, 0x7f00, v8, 0.5
	v_cmp_gt_u32_e32 vcc_lo, 0x8000000, v11
	v_bfe_i32 v8, v8, 0, 16
	s_delay_alu instid0(VALU_DEP_4) | instskip(NEXT) | instid1(VALU_DEP_1)
	v_or_b32_e32 v12, 0x70000000, v12
	v_dual_add_f32 v13, -0.5, v13 :: v_dual_mul_f32 v12, 0x7800000, v12
	s_delay_alu instid0(VALU_DEP_1) | instskip(NEXT) | instid1(VALU_DEP_1)
	v_cndmask_b32_e32 v11, v12, v13, vcc_lo
	v_and_or_b32 v8, 0x80000000, v8, v11
	v_bfe_u32 v11, v11, 16, 1
	s_delay_alu instid0(VALU_DEP_2) | instskip(NEXT) | instid1(VALU_DEP_2)
	v_cmp_o_f32_e32 vcc_lo, v8, v8
	v_add3_u32 v11, v8, v11, 0x7fff
	s_delay_alu instid0(VALU_DEP_1) | instskip(NEXT) | instid1(VALU_DEP_1)
	v_lshrrev_b32_e32 v11, 16, v11
	v_cndmask_b32_e32 v8, 0x7fc0, v11, vcc_lo
.LBB209_1376:
	s_mov_b32 s3, 0
	s_mov_b32 s10, -1
.LBB209_1377:
	s_and_not1_b32 vcc_lo, exec_lo, s3
	s_mov_b32 s3, 0
	s_cbranch_vccnz .LBB209_1388
; %bb.1378:
	v_cmp_lt_i16_e32 vcc_lo, 14, v9
	s_cbranch_vccz .LBB209_1381
; %bb.1379:
	v_cmp_eq_u16_e32 vcc_lo, 15, v9
	s_cbranch_vccz .LBB209_1384
; %bb.1380:
	global_load_u16 v8, v[6:7], off
	s_mov_b32 s2, 0
	s_mov_b32 s10, -1
	s_branch .LBB209_1386
.LBB209_1381:
	s_mov_b32 s3, -1
	s_branch .LBB209_1385
.LBB209_1382:
	s_or_saveexec_b32 s11, s11
	v_mov_b32_e32 v11, s10
	s_xor_b32 exec_lo, exec_lo, s11
	s_cbranch_execz .LBB209_1363
.LBB209_1383:
	v_cmp_ne_u16_e32 vcc_lo, 0, v8
	v_mov_b32_e32 v11, 0
	s_and_not1_b32 s3, s3, exec_lo
	s_and_b32 s10, vcc_lo, exec_lo
	s_delay_alu instid0(SALU_CYCLE_1)
	s_or_b32 s3, s3, s10
	s_or_b32 exec_lo, exec_lo, s11
	s_and_saveexec_b32 s10, s3
	s_cbranch_execnz .LBB209_1364
	s_branch .LBB209_1365
.LBB209_1384:
	s_mov_b32 s2, -1
.LBB209_1385:
                                        ; implicit-def: $vgpr8
.LBB209_1386:
	s_and_b32 vcc_lo, exec_lo, s3
	s_mov_b32 s3, 0
	s_cbranch_vccz .LBB209_1388
; %bb.1387:
	v_cmp_ne_u16_e64 s2, 11, v9
	s_mov_b32 s3, -1
                                        ; implicit-def: $vgpr8
.LBB209_1388:
	s_delay_alu instid0(VALU_DEP_1)
	s_and_b32 vcc_lo, exec_lo, s2
	s_cbranch_vccnz .LBB209_1412
; %bb.1389:
	s_and_not1_b32 vcc_lo, exec_lo, s3
	s_cbranch_vccnz .LBB209_1391
.LBB209_1390:
	global_load_u8 v8, v[6:7], off
	s_mov_b32 s10, -1
	s_waitcnt vmcnt(0)
	v_cmp_ne_u16_e32 vcc_lo, 0, v8
	v_cndmask_b32_e64 v8, 0, 1.0, vcc_lo
	s_delay_alu instid0(VALU_DEP_1)
	v_lshrrev_b32_e32 v8, 16, v8
.LBB209_1391:
.LBB209_1392:
	s_and_not1_b32 vcc_lo, exec_lo, s10
	s_cbranch_vccnz .LBB209_2090
.LBB209_1393:
	v_cmp_gt_i16_e32 vcc_lo, 11, v9
	v_add_co_u32 v5, s2, s6, v5
	s_delay_alu instid0(VALU_DEP_1)
	v_add_co_ci_u32_e64 v6, null, s7, 0, s2
	s_mov_b32 s10, 0
	s_cbranch_vccnz .LBB209_1400
; %bb.1394:
	v_cmp_lt_i16_e32 vcc_lo, 25, v9
	s_mov_b32 s3, 0
	s_cbranch_vccz .LBB209_1406
; %bb.1395:
	v_cmp_lt_i16_e32 vcc_lo, 28, v9
	s_cbranch_vccz .LBB209_1408
; %bb.1396:
	v_cmp_lt_i16_e32 vcc_lo, 43, v9
	;; [unrolled: 3-line block ×3, first 2 shown]
	s_cbranch_vccz .LBB209_1414
; %bb.1398:
	v_cmp_eq_u16_e32 vcc_lo, 46, v9
	s_mov_b32 s11, 0
	s_cbranch_vccz .LBB209_1457
; %bb.1399:
	global_load_b32 v7, v[5:6], off
	s_mov_b32 s2, 0
	s_mov_b32 s10, -1
	s_branch .LBB209_1459
.LBB209_1400:
                                        ; implicit-def: $vgpr7
	s_cbranch_execz .LBB209_1525
; %bb.1401:
	v_cmp_gt_i16_e32 vcc_lo, 5, v9
	s_cbranch_vccnz .LBB209_1407
; %bb.1402:
	v_cmp_gt_i16_e32 vcc_lo, 8, v9
	s_cbranch_vccnz .LBB209_1409
	;; [unrolled: 3-line block ×3, first 2 shown]
; %bb.1404:
	v_cmp_lt_i16_e32 vcc_lo, 9, v9
	s_cbranch_vccz .LBB209_1415
; %bb.1405:
	global_load_b64 v[11:12], v[5:6], off
	s_mov_b32 s2, 0
	s_waitcnt vmcnt(0)
	v_cvt_f32_f64_e32 v7, v[11:12]
	s_delay_alu instid0(VALU_DEP_1) | instskip(SKIP_1) | instid1(VALU_DEP_2)
	v_bfe_u32 v11, v7, 16, 1
	v_cmp_o_f32_e32 vcc_lo, v7, v7
	v_add3_u32 v11, v7, v11, 0x7fff
	s_delay_alu instid0(VALU_DEP_1) | instskip(NEXT) | instid1(VALU_DEP_1)
	v_lshrrev_b32_e32 v11, 16, v11
	v_cndmask_b32_e32 v7, 0x7fc0, v11, vcc_lo
	s_branch .LBB209_1416
.LBB209_1406:
	s_mov_b32 s11, -1
	s_mov_b32 s2, 0
                                        ; implicit-def: $vgpr7
	s_branch .LBB209_1488
.LBB209_1407:
	s_mov_b32 s2, -1
                                        ; implicit-def: $vgpr7
	s_branch .LBB209_1434
.LBB209_1408:
	s_mov_b32 s11, -1
	s_mov_b32 s2, 0
                                        ; implicit-def: $vgpr7
	s_branch .LBB209_1469
.LBB209_1409:
	s_mov_b32 s2, -1
                                        ; implicit-def: $vgpr7
	s_branch .LBB209_1422
.LBB209_1410:
	s_mov_b32 s11, -1
	s_mov_b32 s2, 0
                                        ; implicit-def: $vgpr7
	s_branch .LBB209_1464
.LBB209_1411:
	s_mov_b32 s2, -1
                                        ; implicit-def: $vgpr7
	s_branch .LBB209_1419
.LBB209_1412:
	s_cbranch_execnz .LBB209_1455
; %bb.1413:
	s_or_b32 s1, s1, exec_lo
                                        ; implicit-def: $vgpr8
	s_cbranch_execz .LBB209_1390
	s_branch .LBB209_1391
.LBB209_1414:
	s_mov_b32 s11, -1
	s_mov_b32 s2, 0
	s_branch .LBB209_1458
.LBB209_1415:
	s_mov_b32 s2, -1
                                        ; implicit-def: $vgpr7
.LBB209_1416:
	s_delay_alu instid0(SALU_CYCLE_1)
	s_and_not1_b32 vcc_lo, exec_lo, s2
	s_cbranch_vccnz .LBB209_1418
; %bb.1417:
	global_load_b32 v7, v[5:6], off
	s_waitcnt vmcnt(0)
	v_bfe_u32 v11, v7, 16, 1
	v_cmp_o_f32_e32 vcc_lo, v7, v7
	s_delay_alu instid0(VALU_DEP_2) | instskip(NEXT) | instid1(VALU_DEP_1)
	v_add3_u32 v11, v7, v11, 0x7fff
	v_lshrrev_b32_e32 v11, 16, v11
	s_delay_alu instid0(VALU_DEP_1)
	v_cndmask_b32_e32 v7, 0x7fc0, v11, vcc_lo
.LBB209_1418:
	s_mov_b32 s2, 0
.LBB209_1419:
	s_delay_alu instid0(SALU_CYCLE_1)
	s_and_not1_b32 vcc_lo, exec_lo, s2
	s_cbranch_vccnz .LBB209_1421
; %bb.1420:
	global_load_b32 v7, v[5:6], off
	s_waitcnt vmcnt(0)
	v_cvt_f32_f16_e32 v11, v7
	v_cmp_o_f16_e32 vcc_lo, v7, v7
	s_delay_alu instid0(VALU_DEP_2) | instskip(NEXT) | instid1(VALU_DEP_1)
	v_bfe_u32 v12, v11, 16, 1
	v_add3_u32 v11, v11, v12, 0x7fff
	s_delay_alu instid0(VALU_DEP_1) | instskip(NEXT) | instid1(VALU_DEP_1)
	v_lshrrev_b32_e32 v11, 16, v11
	v_cndmask_b32_e32 v7, 0x7fc0, v11, vcc_lo
.LBB209_1421:
	s_mov_b32 s2, 0
.LBB209_1422:
	s_delay_alu instid0(SALU_CYCLE_1)
	s_and_not1_b32 vcc_lo, exec_lo, s2
	s_cbranch_vccnz .LBB209_1433
; %bb.1423:
	v_cmp_gt_i16_e32 vcc_lo, 6, v9
	s_cbranch_vccnz .LBB209_1426
; %bb.1424:
	v_cmp_lt_i16_e32 vcc_lo, 6, v9
	s_cbranch_vccz .LBB209_1427
; %bb.1425:
	global_load_b64 v[11:12], v[5:6], off
	s_mov_b32 s2, 0
	s_waitcnt vmcnt(0)
	v_cvt_f32_f64_e32 v7, v[11:12]
	s_delay_alu instid0(VALU_DEP_1) | instskip(SKIP_1) | instid1(VALU_DEP_2)
	v_bfe_u32 v11, v7, 16, 1
	v_cmp_o_f32_e32 vcc_lo, v7, v7
	v_add3_u32 v11, v7, v11, 0x7fff
	s_delay_alu instid0(VALU_DEP_1) | instskip(NEXT) | instid1(VALU_DEP_1)
	v_lshrrev_b32_e32 v11, 16, v11
	v_cndmask_b32_e32 v7, 0x7fc0, v11, vcc_lo
	s_branch .LBB209_1428
.LBB209_1426:
	s_mov_b32 s2, -1
                                        ; implicit-def: $vgpr7
	s_branch .LBB209_1431
.LBB209_1427:
	s_mov_b32 s2, -1
                                        ; implicit-def: $vgpr7
.LBB209_1428:
	s_delay_alu instid0(SALU_CYCLE_1)
	s_and_not1_b32 vcc_lo, exec_lo, s2
	s_cbranch_vccnz .LBB209_1430
; %bb.1429:
	global_load_b32 v7, v[5:6], off
	s_waitcnt vmcnt(0)
	v_bfe_u32 v11, v7, 16, 1
	v_cmp_o_f32_e32 vcc_lo, v7, v7
	s_delay_alu instid0(VALU_DEP_2) | instskip(NEXT) | instid1(VALU_DEP_1)
	v_add3_u32 v11, v7, v11, 0x7fff
	v_lshrrev_b32_e32 v11, 16, v11
	s_delay_alu instid0(VALU_DEP_1)
	v_cndmask_b32_e32 v7, 0x7fc0, v11, vcc_lo
.LBB209_1430:
	s_mov_b32 s2, 0
.LBB209_1431:
	s_delay_alu instid0(SALU_CYCLE_1)
	s_and_not1_b32 vcc_lo, exec_lo, s2
	s_cbranch_vccnz .LBB209_1433
; %bb.1432:
	global_load_u16 v7, v[5:6], off
	s_waitcnt vmcnt(0)
	v_cvt_f32_f16_e32 v11, v7
	v_cmp_o_f16_e32 vcc_lo, v7, v7
	s_delay_alu instid0(VALU_DEP_2) | instskip(NEXT) | instid1(VALU_DEP_1)
	v_bfe_u32 v12, v11, 16, 1
	v_add3_u32 v11, v11, v12, 0x7fff
	s_delay_alu instid0(VALU_DEP_1) | instskip(NEXT) | instid1(VALU_DEP_1)
	v_lshrrev_b32_e32 v11, 16, v11
	v_cndmask_b32_e32 v7, 0x7fc0, v11, vcc_lo
.LBB209_1433:
	s_mov_b32 s2, 0
.LBB209_1434:
	s_delay_alu instid0(SALU_CYCLE_1)
	s_and_not1_b32 vcc_lo, exec_lo, s2
	s_cbranch_vccnz .LBB209_1454
; %bb.1435:
	v_cmp_gt_i16_e32 vcc_lo, 2, v9
	s_cbranch_vccnz .LBB209_1439
; %bb.1436:
	v_cmp_gt_i16_e32 vcc_lo, 3, v9
	s_cbranch_vccnz .LBB209_1440
; %bb.1437:
	v_cmp_lt_i16_e32 vcc_lo, 3, v9
	s_cbranch_vccz .LBB209_1441
; %bb.1438:
	global_load_b64 v[11:12], v[5:6], off
	s_mov_b32 s2, 0
	s_waitcnt vmcnt(0)
	v_xor_b32_e32 v7, v11, v12
	v_cls_i32_e32 v13, v12
	s_delay_alu instid0(VALU_DEP_2) | instskip(NEXT) | instid1(VALU_DEP_2)
	v_ashrrev_i32_e32 v7, 31, v7
	v_add_nc_u32_e32 v13, -1, v13
	s_delay_alu instid0(VALU_DEP_2) | instskip(NEXT) | instid1(VALU_DEP_1)
	v_add_nc_u32_e32 v7, 32, v7
	v_min_u32_e32 v7, v13, v7
	s_delay_alu instid0(VALU_DEP_1) | instskip(SKIP_1) | instid1(VALU_DEP_2)
	v_lshlrev_b64 v[11:12], v7, v[11:12]
	v_sub_nc_u32_e32 v7, 32, v7
	v_min_u32_e32 v11, 1, v11
	s_delay_alu instid0(VALU_DEP_1) | instskip(NEXT) | instid1(VALU_DEP_1)
	v_or_b32_e32 v11, v12, v11
	v_cvt_f32_i32_e32 v11, v11
	s_delay_alu instid0(VALU_DEP_1) | instskip(NEXT) | instid1(VALU_DEP_1)
	v_ldexp_f32 v7, v11, v7
	v_bfe_u32 v11, v7, 16, 1
	s_delay_alu instid0(VALU_DEP_1) | instskip(NEXT) | instid1(VALU_DEP_1)
	v_add3_u32 v7, v7, v11, 0x7fff
	v_lshrrev_b32_e32 v7, 16, v7
	s_branch .LBB209_1442
.LBB209_1439:
	s_mov_b32 s2, -1
                                        ; implicit-def: $vgpr7
	s_branch .LBB209_1448
.LBB209_1440:
	s_mov_b32 s2, -1
                                        ; implicit-def: $vgpr7
	s_branch .LBB209_1445
.LBB209_1441:
	s_mov_b32 s2, -1
                                        ; implicit-def: $vgpr7
.LBB209_1442:
	s_delay_alu instid0(SALU_CYCLE_1)
	s_and_not1_b32 vcc_lo, exec_lo, s2
	s_cbranch_vccnz .LBB209_1444
; %bb.1443:
	global_load_b32 v7, v[5:6], off
	s_waitcnt vmcnt(0)
	v_cvt_f32_i32_e32 v7, v7
	s_delay_alu instid0(VALU_DEP_1) | instskip(NEXT) | instid1(VALU_DEP_1)
	v_bfe_u32 v11, v7, 16, 1
	v_add3_u32 v7, v7, v11, 0x7fff
	s_delay_alu instid0(VALU_DEP_1)
	v_lshrrev_b32_e32 v7, 16, v7
.LBB209_1444:
	s_mov_b32 s2, 0
.LBB209_1445:
	s_delay_alu instid0(SALU_CYCLE_1)
	s_and_not1_b32 vcc_lo, exec_lo, s2
	s_cbranch_vccnz .LBB209_1447
; %bb.1446:
	global_load_i16 v7, v[5:6], off
	s_waitcnt vmcnt(0)
	v_cvt_f32_i32_e32 v7, v7
	s_delay_alu instid0(VALU_DEP_1) | instskip(NEXT) | instid1(VALU_DEP_1)
	v_bfe_u32 v11, v7, 16, 1
	v_add3_u32 v7, v7, v11, 0x7fff
	s_delay_alu instid0(VALU_DEP_1)
	v_lshrrev_b32_e32 v7, 16, v7
.LBB209_1447:
	s_mov_b32 s2, 0
.LBB209_1448:
	s_delay_alu instid0(SALU_CYCLE_1)
	s_and_not1_b32 vcc_lo, exec_lo, s2
	s_cbranch_vccnz .LBB209_1454
; %bb.1449:
	v_cmp_lt_i16_e32 vcc_lo, 0, v9
	s_mov_b32 s2, 0
	s_cbranch_vccz .LBB209_1451
; %bb.1450:
	global_load_i8 v7, v[5:6], off
	s_waitcnt vmcnt(0)
	v_cvt_f32_i32_e32 v7, v7
	s_delay_alu instid0(VALU_DEP_1) | instskip(NEXT) | instid1(VALU_DEP_1)
	v_bfe_u32 v11, v7, 16, 1
	v_add3_u32 v7, v7, v11, 0x7fff
	s_delay_alu instid0(VALU_DEP_1)
	v_lshrrev_b32_e32 v7, 16, v7
	s_branch .LBB209_1452
.LBB209_1451:
	s_mov_b32 s2, -1
                                        ; implicit-def: $vgpr7
.LBB209_1452:
	s_delay_alu instid0(SALU_CYCLE_1)
	s_and_not1_b32 vcc_lo, exec_lo, s2
	s_cbranch_vccnz .LBB209_1454
; %bb.1453:
	global_load_u8 v5, v[5:6], off
	s_waitcnt vmcnt(0)
	v_cvt_f32_ubyte0_e32 v5, v5
	s_delay_alu instid0(VALU_DEP_1) | instskip(NEXT) | instid1(VALU_DEP_1)
	v_bfe_u32 v6, v5, 16, 1
	v_add3_u32 v5, v5, v6, 0x7fff
	s_delay_alu instid0(VALU_DEP_1)
	v_lshrrev_b32_e32 v7, 16, v5
.LBB209_1454:
	s_branch .LBB209_1526
.LBB209_1455:
	s_trap 2
	s_sendmsg_rtn_b32 s0, sendmsg(MSG_RTN_GET_DOORBELL)
	s_mov_b32 ttmp2, m0
	s_waitcnt lgkmcnt(0)
	s_and_b32 s0, s0, 0x3ff
	s_delay_alu instid0(SALU_CYCLE_1) | instskip(NEXT) | instid1(SALU_CYCLE_1)
	s_bitset1_b32 s0, 10
	s_mov_b32 m0, s0
	s_sendmsg sendmsg(MSG_INTERRUPT)
	s_mov_b32 m0, ttmp2
.LBB209_1456:                           ; =>This Inner Loop Header: Depth=1
	s_sethalt 5
	s_branch .LBB209_1456
.LBB209_1457:
	s_mov_b32 s2, -1
.LBB209_1458:
                                        ; implicit-def: $vgpr7
.LBB209_1459:
	s_and_b32 vcc_lo, exec_lo, s11
	s_cbranch_vccz .LBB209_1463
; %bb.1460:
	v_cmp_eq_u16_e32 vcc_lo, 44, v9
	s_cbranch_vccz .LBB209_1462
; %bb.1461:
	global_load_u8 v7, v[5:6], off
	s_mov_b32 s2, 0
	s_mov_b32 s10, -1
	s_waitcnt vmcnt(0)
	v_lshlrev_b32_e32 v11, 23, v7
	v_cmp_ne_u32_e32 vcc_lo, 0xff, v7
	s_delay_alu instid0(VALU_DEP_2) | instskip(SKIP_1) | instid1(VALU_DEP_2)
	v_cndmask_b32_e32 v11, 0x7f800001, v11, vcc_lo
	v_cmp_ne_u32_e32 vcc_lo, 0, v7
	v_cndmask_b32_e32 v7, 0x400000, v11, vcc_lo
	s_delay_alu instid0(VALU_DEP_1) | instskip(SKIP_1) | instid1(VALU_DEP_2)
	v_add_nc_u32_e32 v11, 0x7fff, v7
	v_cmp_o_f32_e32 vcc_lo, v7, v7
	v_lshrrev_b32_e32 v11, 16, v11
	s_delay_alu instid0(VALU_DEP_1)
	v_cndmask_b32_e32 v7, 0x7fc0, v11, vcc_lo
	s_branch .LBB209_1463
.LBB209_1462:
	s_mov_b32 s2, -1
                                        ; implicit-def: $vgpr7
.LBB209_1463:
	s_mov_b32 s11, 0
.LBB209_1464:
	s_delay_alu instid0(SALU_CYCLE_1)
	s_and_b32 vcc_lo, exec_lo, s11
	s_cbranch_vccz .LBB209_1468
; %bb.1465:
	v_cmp_eq_u16_e32 vcc_lo, 29, v9
	s_cbranch_vccz .LBB209_1467
; %bb.1466:
	global_load_b64 v[11:12], v[5:6], off
	s_mov_b32 s2, 0
	s_mov_b32 s10, -1
	s_mov_b32 s11, 0
	s_waitcnt vmcnt(0)
	v_clz_i32_u32_e32 v7, v12
	s_delay_alu instid0(VALU_DEP_1) | instskip(NEXT) | instid1(VALU_DEP_1)
	v_min_u32_e32 v7, 32, v7
	v_lshlrev_b64 v[11:12], v7, v[11:12]
	v_sub_nc_u32_e32 v7, 32, v7
	s_delay_alu instid0(VALU_DEP_2) | instskip(NEXT) | instid1(VALU_DEP_1)
	v_min_u32_e32 v11, 1, v11
	v_or_b32_e32 v11, v12, v11
	s_delay_alu instid0(VALU_DEP_1) | instskip(NEXT) | instid1(VALU_DEP_1)
	v_cvt_f32_u32_e32 v11, v11
	v_ldexp_f32 v7, v11, v7
	s_delay_alu instid0(VALU_DEP_1) | instskip(NEXT) | instid1(VALU_DEP_1)
	v_bfe_u32 v11, v7, 16, 1
	v_add3_u32 v7, v7, v11, 0x7fff
	s_delay_alu instid0(VALU_DEP_1)
	v_lshrrev_b32_e32 v7, 16, v7
	s_branch .LBB209_1469
.LBB209_1467:
	s_mov_b32 s2, -1
                                        ; implicit-def: $vgpr7
.LBB209_1468:
	s_mov_b32 s11, 0
.LBB209_1469:
	s_delay_alu instid0(SALU_CYCLE_1)
	s_and_b32 vcc_lo, exec_lo, s11
	s_cbranch_vccz .LBB209_1487
; %bb.1470:
	v_cmp_gt_i16_e32 vcc_lo, 27, v9
	s_cbranch_vccnz .LBB209_1473
; %bb.1471:
	v_cmp_lt_i16_e32 vcc_lo, 27, v9
	s_cbranch_vccz .LBB209_1474
; %bb.1472:
	global_load_b32 v7, v[5:6], off
	s_mov_b32 s10, 0
	s_waitcnt vmcnt(0)
	v_cvt_f32_u32_e32 v7, v7
	s_delay_alu instid0(VALU_DEP_1) | instskip(NEXT) | instid1(VALU_DEP_1)
	v_bfe_u32 v11, v7, 16, 1
	v_add3_u32 v7, v7, v11, 0x7fff
	s_delay_alu instid0(VALU_DEP_1)
	v_lshrrev_b32_e32 v7, 16, v7
	s_branch .LBB209_1475
.LBB209_1473:
	s_mov_b32 s10, -1
                                        ; implicit-def: $vgpr7
	s_branch .LBB209_1478
.LBB209_1474:
	s_mov_b32 s10, -1
                                        ; implicit-def: $vgpr7
.LBB209_1475:
	s_delay_alu instid0(SALU_CYCLE_1)
	s_and_not1_b32 vcc_lo, exec_lo, s10
	s_cbranch_vccnz .LBB209_1477
; %bb.1476:
	global_load_u16 v7, v[5:6], off
	s_waitcnt vmcnt(0)
	v_cvt_f32_u32_e32 v7, v7
	s_delay_alu instid0(VALU_DEP_1) | instskip(NEXT) | instid1(VALU_DEP_1)
	v_bfe_u32 v11, v7, 16, 1
	v_add3_u32 v7, v7, v11, 0x7fff
	s_delay_alu instid0(VALU_DEP_1)
	v_lshrrev_b32_e32 v7, 16, v7
.LBB209_1477:
	s_mov_b32 s10, 0
.LBB209_1478:
	s_delay_alu instid0(SALU_CYCLE_1)
	s_and_not1_b32 vcc_lo, exec_lo, s10
	s_cbranch_vccnz .LBB209_1486
; %bb.1479:
	global_load_u8 v7, v[5:6], off
	s_mov_b32 s10, 0
	s_mov_b32 s12, exec_lo
                                        ; implicit-def: $sgpr11
	s_waitcnt vmcnt(0)
	v_cmpx_lt_i16_e32 0x7f, v7
	s_xor_b32 s12, exec_lo, s12
	s_cbranch_execz .LBB209_1500
; %bb.1480:
	s_mov_b32 s10, -1
	s_mov_b32 s13, exec_lo
                                        ; implicit-def: $sgpr11
	v_cmpx_eq_u16_e32 0x80, v7
; %bb.1481:
	s_mov_b32 s11, 0x7f800001
	s_xor_b32 s10, exec_lo, -1
; %bb.1482:
	s_or_b32 exec_lo, exec_lo, s13
	s_delay_alu instid0(SALU_CYCLE_1)
	s_and_b32 s10, s10, exec_lo
	s_or_saveexec_b32 s12, s12
	v_mov_b32_e32 v11, s11
	s_xor_b32 exec_lo, exec_lo, s12
	s_cbranch_execnz .LBB209_1501
.LBB209_1483:
	s_or_b32 exec_lo, exec_lo, s12
	s_and_saveexec_b32 s11, s10
	s_cbranch_execz .LBB209_1485
.LBB209_1484:
	v_and_b32_e32 v11, 0xffff, v7
	v_lshlrev_b32_e32 v7, 24, v7
	s_delay_alu instid0(VALU_DEP_2) | instskip(NEXT) | instid1(VALU_DEP_2)
	v_and_b32_e32 v12, 7, v11
	v_and_b32_e32 v7, 0x80000000, v7
	s_delay_alu instid0(VALU_DEP_2) | instskip(NEXT) | instid1(VALU_DEP_1)
	v_clz_i32_u32_e32 v13, v12
	v_min_u32_e32 v13, 32, v13
	s_delay_alu instid0(VALU_DEP_1) | instskip(SKIP_1) | instid1(VALU_DEP_2)
	v_subrev_nc_u32_e32 v14, 28, v13
	v_sub_nc_u32_e32 v13, 29, v13
	v_lshlrev_b32_e32 v14, v14, v11
	v_bfe_u32 v11, v11, 3, 4
	s_delay_alu instid0(VALU_DEP_2) | instskip(NEXT) | instid1(VALU_DEP_2)
	v_and_b32_e32 v14, 7, v14
	v_cmp_eq_u32_e32 vcc_lo, 0, v11
	s_delay_alu instid0(VALU_DEP_2) | instskip(NEXT) | instid1(VALU_DEP_1)
	v_dual_cndmask_b32 v11, v11, v13 :: v_dual_cndmask_b32 v12, v12, v14
	v_lshl_add_u32 v11, v11, 23, 0x3b800000
	s_delay_alu instid0(VALU_DEP_2) | instskip(NEXT) | instid1(VALU_DEP_1)
	v_lshlrev_b32_e32 v12, 20, v12
	v_or3_b32 v11, v7, v11, v12
.LBB209_1485:
	s_or_b32 exec_lo, exec_lo, s11
	s_delay_alu instid0(VALU_DEP_1) | instskip(SKIP_1) | instid1(VALU_DEP_2)
	v_bfe_u32 v7, v11, 16, 1
	v_cmp_o_f32_e32 vcc_lo, v11, v11
	v_add3_u32 v7, v11, v7, 0x7fff
	s_delay_alu instid0(VALU_DEP_1) | instskip(NEXT) | instid1(VALU_DEP_1)
	v_lshrrev_b32_e32 v7, 16, v7
	v_cndmask_b32_e32 v7, 0x7fc0, v7, vcc_lo
.LBB209_1486:
	s_mov_b32 s10, -1
.LBB209_1487:
	s_mov_b32 s11, 0
.LBB209_1488:
	s_delay_alu instid0(SALU_CYCLE_1)
	s_and_b32 vcc_lo, exec_lo, s11
	s_cbranch_vccz .LBB209_1521
; %bb.1489:
	v_cmp_lt_i16_e32 vcc_lo, 22, v9
	s_cbranch_vccz .LBB209_1499
; %bb.1490:
	v_cmp_gt_i16_e32 vcc_lo, 24, v9
	s_cbranch_vccnz .LBB209_1502
; %bb.1491:
	v_cmp_lt_i16_e32 vcc_lo, 24, v9
	s_cbranch_vccz .LBB209_1503
; %bb.1492:
	global_load_u8 v7, v[5:6], off
	s_mov_b32 s11, exec_lo
                                        ; implicit-def: $sgpr10
	s_waitcnt vmcnt(0)
	v_cmpx_lt_i16_e32 0x7f, v7
	s_xor_b32 s11, exec_lo, s11
	s_cbranch_execz .LBB209_1515
; %bb.1493:
	s_mov_b32 s3, -1
	s_mov_b32 s12, exec_lo
                                        ; implicit-def: $sgpr10
	v_cmpx_eq_u16_e32 0x80, v7
; %bb.1494:
	s_mov_b32 s10, 0x7f800001
	s_xor_b32 s3, exec_lo, -1
; %bb.1495:
	s_or_b32 exec_lo, exec_lo, s12
	s_delay_alu instid0(SALU_CYCLE_1)
	s_and_b32 s3, s3, exec_lo
	s_or_saveexec_b32 s11, s11
	v_mov_b32_e32 v11, s10
	s_xor_b32 exec_lo, exec_lo, s11
	s_cbranch_execnz .LBB209_1516
.LBB209_1496:
	s_or_b32 exec_lo, exec_lo, s11
	s_and_saveexec_b32 s10, s3
	s_cbranch_execz .LBB209_1498
.LBB209_1497:
	v_and_b32_e32 v11, 0xffff, v7
	v_lshlrev_b32_e32 v7, 24, v7
	s_delay_alu instid0(VALU_DEP_2) | instskip(NEXT) | instid1(VALU_DEP_2)
	v_and_b32_e32 v12, 3, v11
	v_and_b32_e32 v7, 0x80000000, v7
	s_delay_alu instid0(VALU_DEP_2) | instskip(NEXT) | instid1(VALU_DEP_1)
	v_clz_i32_u32_e32 v13, v12
	v_min_u32_e32 v13, 32, v13
	s_delay_alu instid0(VALU_DEP_1) | instskip(SKIP_1) | instid1(VALU_DEP_2)
	v_subrev_nc_u32_e32 v14, 29, v13
	v_sub_nc_u32_e32 v13, 30, v13
	v_lshlrev_b32_e32 v14, v14, v11
	v_bfe_u32 v11, v11, 2, 5
	s_delay_alu instid0(VALU_DEP_2) | instskip(NEXT) | instid1(VALU_DEP_2)
	v_and_b32_e32 v14, 3, v14
	v_cmp_eq_u32_e32 vcc_lo, 0, v11
	s_delay_alu instid0(VALU_DEP_2) | instskip(NEXT) | instid1(VALU_DEP_1)
	v_dual_cndmask_b32 v11, v11, v13 :: v_dual_cndmask_b32 v12, v12, v14
	v_lshl_add_u32 v11, v11, 23, 0x37800000
	s_delay_alu instid0(VALU_DEP_2) | instskip(NEXT) | instid1(VALU_DEP_1)
	v_lshlrev_b32_e32 v12, 21, v12
	v_or3_b32 v11, v7, v11, v12
.LBB209_1498:
	s_or_b32 exec_lo, exec_lo, s10
	s_delay_alu instid0(VALU_DEP_1) | instskip(SKIP_2) | instid1(VALU_DEP_2)
	v_bfe_u32 v7, v11, 16, 1
	v_cmp_o_f32_e32 vcc_lo, v11, v11
	s_mov_b32 s3, 0
	v_add3_u32 v7, v11, v7, 0x7fff
	s_delay_alu instid0(VALU_DEP_1) | instskip(NEXT) | instid1(VALU_DEP_1)
	v_lshrrev_b32_e32 v7, 16, v7
	v_cndmask_b32_e32 v7, 0x7fc0, v7, vcc_lo
	s_branch .LBB209_1504
.LBB209_1499:
	s_mov_b32 s3, -1
                                        ; implicit-def: $vgpr7
	s_branch .LBB209_1510
.LBB209_1500:
	s_or_saveexec_b32 s12, s12
	v_mov_b32_e32 v11, s11
	s_xor_b32 exec_lo, exec_lo, s12
	s_cbranch_execz .LBB209_1483
.LBB209_1501:
	v_cmp_ne_u16_e32 vcc_lo, 0, v7
	v_mov_b32_e32 v11, 0
	s_and_not1_b32 s10, s10, exec_lo
	s_and_b32 s11, vcc_lo, exec_lo
	s_delay_alu instid0(SALU_CYCLE_1)
	s_or_b32 s10, s10, s11
	s_or_b32 exec_lo, exec_lo, s12
	s_and_saveexec_b32 s11, s10
	s_cbranch_execnz .LBB209_1484
	s_branch .LBB209_1485
.LBB209_1502:
	s_mov_b32 s3, -1
                                        ; implicit-def: $vgpr7
	s_branch .LBB209_1507
.LBB209_1503:
	s_mov_b32 s3, -1
                                        ; implicit-def: $vgpr7
.LBB209_1504:
	s_delay_alu instid0(SALU_CYCLE_1)
	s_and_b32 vcc_lo, exec_lo, s3
	s_cbranch_vccz .LBB209_1506
; %bb.1505:
	global_load_u8 v7, v[5:6], off
	s_waitcnt vmcnt(0)
	v_lshlrev_b32_e32 v7, 24, v7
	s_delay_alu instid0(VALU_DEP_1) | instskip(NEXT) | instid1(VALU_DEP_1)
	v_and_b32_e32 v11, 0x7f000000, v7
	v_clz_i32_u32_e32 v12, v11
	v_cmp_ne_u32_e32 vcc_lo, 0, v11
	v_add_nc_u32_e32 v14, 0x1000000, v11
	s_delay_alu instid0(VALU_DEP_3) | instskip(NEXT) | instid1(VALU_DEP_1)
	v_min_u32_e32 v12, 32, v12
	v_sub_nc_u32_e64 v12, v12, 4 clamp
	s_delay_alu instid0(VALU_DEP_1) | instskip(SKIP_1) | instid1(VALU_DEP_2)
	v_lshlrev_b32_e32 v13, v12, v11
	v_lshlrev_b32_e32 v12, 23, v12
	v_lshrrev_b32_e32 v13, 4, v13
	s_delay_alu instid0(VALU_DEP_1) | instskip(SKIP_1) | instid1(VALU_DEP_2)
	v_sub_nc_u32_e32 v12, v13, v12
	v_ashrrev_i32_e32 v13, 8, v14
	v_add_nc_u32_e32 v12, 0x3c000000, v12
	s_delay_alu instid0(VALU_DEP_1) | instskip(NEXT) | instid1(VALU_DEP_1)
	v_and_or_b32 v12, 0x7f800000, v13, v12
	v_cndmask_b32_e32 v11, 0, v12, vcc_lo
	s_delay_alu instid0(VALU_DEP_1) | instskip(SKIP_1) | instid1(VALU_DEP_2)
	v_and_or_b32 v7, 0x80000000, v7, v11
	v_bfe_u32 v11, v11, 16, 1
	v_cmp_o_f32_e32 vcc_lo, v7, v7
	s_delay_alu instid0(VALU_DEP_2) | instskip(NEXT) | instid1(VALU_DEP_1)
	v_add3_u32 v11, v7, v11, 0x7fff
	v_lshrrev_b32_e32 v11, 16, v11
	s_delay_alu instid0(VALU_DEP_1)
	v_cndmask_b32_e32 v7, 0x7fc0, v11, vcc_lo
.LBB209_1506:
	s_mov_b32 s3, 0
.LBB209_1507:
	s_delay_alu instid0(SALU_CYCLE_1)
	s_and_not1_b32 vcc_lo, exec_lo, s3
	s_cbranch_vccnz .LBB209_1509
; %bb.1508:
	global_load_u8 v7, v[5:6], off
	s_waitcnt vmcnt(0)
	v_lshlrev_b32_e32 v11, 25, v7
	v_lshlrev_b16 v7, 8, v7
	s_delay_alu instid0(VALU_DEP_2) | instskip(NEXT) | instid1(VALU_DEP_2)
	v_lshrrev_b32_e32 v12, 4, v11
	v_and_or_b32 v13, 0x7f00, v7, 0.5
	v_bfe_i32 v7, v7, 0, 16
	s_delay_alu instid0(VALU_DEP_3) | instskip(NEXT) | instid1(VALU_DEP_1)
	v_or_b32_e32 v12, 0x70000000, v12
	v_dual_add_f32 v13, -0.5, v13 :: v_dual_mul_f32 v12, 0x7800000, v12
	v_cmp_gt_u32_e32 vcc_lo, 0x8000000, v11
	s_delay_alu instid0(VALU_DEP_2) | instskip(NEXT) | instid1(VALU_DEP_1)
	v_cndmask_b32_e32 v11, v12, v13, vcc_lo
	v_and_or_b32 v7, 0x80000000, v7, v11
	v_bfe_u32 v11, v11, 16, 1
	s_delay_alu instid0(VALU_DEP_2) | instskip(NEXT) | instid1(VALU_DEP_2)
	v_cmp_o_f32_e32 vcc_lo, v7, v7
	v_add3_u32 v11, v7, v11, 0x7fff
	s_delay_alu instid0(VALU_DEP_1) | instskip(NEXT) | instid1(VALU_DEP_1)
	v_lshrrev_b32_e32 v11, 16, v11
	v_cndmask_b32_e32 v7, 0x7fc0, v11, vcc_lo
.LBB209_1509:
	s_mov_b32 s3, 0
	s_mov_b32 s10, -1
.LBB209_1510:
	s_and_not1_b32 vcc_lo, exec_lo, s3
	s_mov_b32 s3, 0
	s_cbranch_vccnz .LBB209_1521
; %bb.1511:
	v_cmp_lt_i16_e32 vcc_lo, 14, v9
	s_cbranch_vccz .LBB209_1514
; %bb.1512:
	v_cmp_eq_u16_e32 vcc_lo, 15, v9
	s_cbranch_vccz .LBB209_1517
; %bb.1513:
	global_load_u16 v7, v[5:6], off
	s_mov_b32 s2, 0
	s_mov_b32 s10, -1
	s_branch .LBB209_1519
.LBB209_1514:
	s_mov_b32 s3, -1
	s_branch .LBB209_1518
.LBB209_1515:
	s_or_saveexec_b32 s11, s11
	v_mov_b32_e32 v11, s10
	s_xor_b32 exec_lo, exec_lo, s11
	s_cbranch_execz .LBB209_1496
.LBB209_1516:
	v_cmp_ne_u16_e32 vcc_lo, 0, v7
	v_mov_b32_e32 v11, 0
	s_and_not1_b32 s3, s3, exec_lo
	s_and_b32 s10, vcc_lo, exec_lo
	s_delay_alu instid0(SALU_CYCLE_1)
	s_or_b32 s3, s3, s10
	s_or_b32 exec_lo, exec_lo, s11
	s_and_saveexec_b32 s10, s3
	s_cbranch_execnz .LBB209_1497
	s_branch .LBB209_1498
.LBB209_1517:
	s_mov_b32 s2, -1
.LBB209_1518:
                                        ; implicit-def: $vgpr7
.LBB209_1519:
	s_and_b32 vcc_lo, exec_lo, s3
	s_mov_b32 s3, 0
	s_cbranch_vccz .LBB209_1521
; %bb.1520:
	v_cmp_ne_u16_e64 s2, 11, v9
	s_mov_b32 s3, -1
                                        ; implicit-def: $vgpr7
.LBB209_1521:
	s_delay_alu instid0(VALU_DEP_1)
	s_and_b32 vcc_lo, exec_lo, s2
	s_cbranch_vccnz .LBB209_1537
; %bb.1522:
	s_and_not1_b32 vcc_lo, exec_lo, s3
	s_cbranch_vccnz .LBB209_1524
.LBB209_1523:
	global_load_u8 v7, v[5:6], off
	s_mov_b32 s10, -1
	s_waitcnt vmcnt(0)
	v_cmp_ne_u16_e32 vcc_lo, 0, v7
	v_cndmask_b32_e64 v7, 0, 1.0, vcc_lo
	s_delay_alu instid0(VALU_DEP_1)
	v_lshrrev_b32_e32 v7, 16, v7
.LBB209_1524:
.LBB209_1525:
	s_and_not1_b32 vcc_lo, exec_lo, s10
	s_cbranch_vccnz .LBB209_2090
.LBB209_1526:
	v_cmp_gt_i16_e32 vcc_lo, 11, v9
	v_add_co_u32 v4, s2, s6, v4
	s_delay_alu instid0(VALU_DEP_1)
	v_add_co_ci_u32_e64 v5, null, s7, 0, s2
	s_mov_b32 s6, 0
	s_cbranch_vccnz .LBB209_1533
; %bb.1527:
	v_cmp_lt_i16_e32 vcc_lo, 25, v9
	s_mov_b32 s3, 0
	s_cbranch_vccz .LBB209_1534
; %bb.1528:
	v_cmp_lt_i16_e32 vcc_lo, 28, v9
	s_cbranch_vccz .LBB209_1535
; %bb.1529:
	v_cmp_lt_i16_e32 vcc_lo, 43, v9
	;; [unrolled: 3-line block ×3, first 2 shown]
	s_cbranch_vccz .LBB209_1539
; %bb.1531:
	v_cmp_eq_u16_e32 vcc_lo, 46, v9
	s_mov_b32 s7, 0
	s_cbranch_vccz .LBB209_1542
; %bb.1532:
	global_load_b32 v11, v[4:5], off
	s_mov_b32 s2, 0
	s_mov_b32 s6, -1
	s_branch .LBB209_1544
.LBB209_1533:
	s_mov_b32 s2, -1
                                        ; implicit-def: $vgpr11
	s_branch .LBB209_1610
.LBB209_1534:
	s_mov_b32 s7, -1
	s_mov_b32 s2, 0
                                        ; implicit-def: $vgpr11
	s_branch .LBB209_1573
.LBB209_1535:
	s_mov_b32 s7, -1
	s_mov_b32 s2, 0
                                        ; implicit-def: $vgpr11
	s_branch .LBB209_1554
.LBB209_1536:
	s_mov_b32 s7, -1
	s_mov_b32 s2, 0
                                        ; implicit-def: $vgpr11
	s_branch .LBB209_1549
.LBB209_1537:
	s_cbranch_execnz .LBB209_1540
; %bb.1538:
	s_or_b32 s1, s1, exec_lo
                                        ; implicit-def: $vgpr7
	s_cbranch_execz .LBB209_1523
	s_branch .LBB209_1524
.LBB209_1539:
	s_mov_b32 s7, -1
	s_mov_b32 s2, 0
	s_branch .LBB209_1543
.LBB209_1540:
	s_trap 2
	s_sendmsg_rtn_b32 s0, sendmsg(MSG_RTN_GET_DOORBELL)
	s_mov_b32 ttmp2, m0
	s_waitcnt lgkmcnt(0)
	s_and_b32 s0, s0, 0x3ff
	s_delay_alu instid0(SALU_CYCLE_1) | instskip(NEXT) | instid1(SALU_CYCLE_1)
	s_bitset1_b32 s0, 10
	s_mov_b32 m0, s0
	s_sendmsg sendmsg(MSG_INTERRUPT)
	s_mov_b32 m0, ttmp2
.LBB209_1541:                           ; =>This Inner Loop Header: Depth=1
	s_sethalt 5
	s_branch .LBB209_1541
.LBB209_1542:
	s_mov_b32 s2, -1
.LBB209_1543:
                                        ; implicit-def: $vgpr11
.LBB209_1544:
	s_and_b32 vcc_lo, exec_lo, s7
	s_cbranch_vccz .LBB209_1548
; %bb.1545:
	v_cmp_eq_u16_e32 vcc_lo, 44, v9
	s_cbranch_vccz .LBB209_1547
; %bb.1546:
	global_load_u8 v6, v[4:5], off
	s_mov_b32 s2, 0
	s_mov_b32 s6, -1
	s_waitcnt vmcnt(0)
	v_lshlrev_b32_e32 v11, 23, v6
	v_cmp_ne_u32_e32 vcc_lo, 0xff, v6
	s_delay_alu instid0(VALU_DEP_2) | instskip(SKIP_1) | instid1(VALU_DEP_2)
	v_cndmask_b32_e32 v11, 0x7f800001, v11, vcc_lo
	v_cmp_ne_u32_e32 vcc_lo, 0, v6
	v_cndmask_b32_e32 v6, 0x400000, v11, vcc_lo
	s_delay_alu instid0(VALU_DEP_1) | instskip(SKIP_1) | instid1(VALU_DEP_2)
	v_add_nc_u32_e32 v11, 0x7fff, v6
	v_cmp_o_f32_e32 vcc_lo, v6, v6
	v_lshrrev_b32_e32 v11, 16, v11
	s_delay_alu instid0(VALU_DEP_1)
	v_cndmask_b32_e32 v11, 0x7fc0, v11, vcc_lo
	s_branch .LBB209_1548
.LBB209_1547:
	s_mov_b32 s2, -1
                                        ; implicit-def: $vgpr11
.LBB209_1548:
	s_mov_b32 s7, 0
.LBB209_1549:
	s_delay_alu instid0(SALU_CYCLE_1)
	s_and_b32 vcc_lo, exec_lo, s7
	s_cbranch_vccz .LBB209_1553
; %bb.1550:
	v_cmp_eq_u16_e32 vcc_lo, 29, v9
	s_cbranch_vccz .LBB209_1552
; %bb.1551:
	global_load_b64 v[11:12], v[4:5], off
	s_mov_b32 s2, 0
	s_mov_b32 s6, -1
	s_mov_b32 s7, 0
	s_waitcnt vmcnt(0)
	v_clz_i32_u32_e32 v6, v12
	s_delay_alu instid0(VALU_DEP_1) | instskip(NEXT) | instid1(VALU_DEP_1)
	v_min_u32_e32 v6, 32, v6
	v_lshlrev_b64 v[11:12], v6, v[11:12]
	v_sub_nc_u32_e32 v6, 32, v6
	s_delay_alu instid0(VALU_DEP_2) | instskip(NEXT) | instid1(VALU_DEP_1)
	v_min_u32_e32 v11, 1, v11
	v_or_b32_e32 v11, v12, v11
	s_delay_alu instid0(VALU_DEP_1) | instskip(NEXT) | instid1(VALU_DEP_1)
	v_cvt_f32_u32_e32 v11, v11
	v_ldexp_f32 v6, v11, v6
	s_delay_alu instid0(VALU_DEP_1) | instskip(NEXT) | instid1(VALU_DEP_1)
	v_bfe_u32 v11, v6, 16, 1
	v_add3_u32 v6, v6, v11, 0x7fff
	s_delay_alu instid0(VALU_DEP_1)
	v_lshrrev_b32_e32 v11, 16, v6
	s_branch .LBB209_1554
.LBB209_1552:
	s_mov_b32 s2, -1
                                        ; implicit-def: $vgpr11
.LBB209_1553:
	s_mov_b32 s7, 0
.LBB209_1554:
	s_delay_alu instid0(SALU_CYCLE_1)
	s_and_b32 vcc_lo, exec_lo, s7
	s_cbranch_vccz .LBB209_1572
; %bb.1555:
	v_cmp_gt_i16_e32 vcc_lo, 27, v9
	s_cbranch_vccnz .LBB209_1558
; %bb.1556:
	v_cmp_lt_i16_e32 vcc_lo, 27, v9
	s_cbranch_vccz .LBB209_1559
; %bb.1557:
	global_load_b32 v6, v[4:5], off
	s_mov_b32 s6, 0
	s_waitcnt vmcnt(0)
	v_cvt_f32_u32_e32 v6, v6
	s_delay_alu instid0(VALU_DEP_1) | instskip(NEXT) | instid1(VALU_DEP_1)
	v_bfe_u32 v11, v6, 16, 1
	v_add3_u32 v6, v6, v11, 0x7fff
	s_delay_alu instid0(VALU_DEP_1)
	v_lshrrev_b32_e32 v11, 16, v6
	s_branch .LBB209_1560
.LBB209_1558:
	s_mov_b32 s6, -1
                                        ; implicit-def: $vgpr11
	s_branch .LBB209_1563
.LBB209_1559:
	s_mov_b32 s6, -1
                                        ; implicit-def: $vgpr11
.LBB209_1560:
	s_delay_alu instid0(SALU_CYCLE_1)
	s_and_not1_b32 vcc_lo, exec_lo, s6
	s_cbranch_vccnz .LBB209_1562
; %bb.1561:
	global_load_u16 v6, v[4:5], off
	s_waitcnt vmcnt(0)
	v_cvt_f32_u32_e32 v6, v6
	s_delay_alu instid0(VALU_DEP_1) | instskip(NEXT) | instid1(VALU_DEP_1)
	v_bfe_u32 v11, v6, 16, 1
	v_add3_u32 v6, v6, v11, 0x7fff
	s_delay_alu instid0(VALU_DEP_1)
	v_lshrrev_b32_e32 v11, 16, v6
.LBB209_1562:
	s_mov_b32 s6, 0
.LBB209_1563:
	s_delay_alu instid0(SALU_CYCLE_1)
	s_and_not1_b32 vcc_lo, exec_lo, s6
	s_cbranch_vccnz .LBB209_1571
; %bb.1564:
	global_load_u8 v6, v[4:5], off
	s_mov_b32 s6, 0
	s_mov_b32 s10, exec_lo
                                        ; implicit-def: $sgpr7
	s_waitcnt vmcnt(0)
	v_cmpx_lt_i16_e32 0x7f, v6
	s_xor_b32 s10, exec_lo, s10
	s_cbranch_execz .LBB209_1585
; %bb.1565:
	s_mov_b32 s6, -1
	s_mov_b32 s11, exec_lo
                                        ; implicit-def: $sgpr7
	v_cmpx_eq_u16_e32 0x80, v6
; %bb.1566:
	s_mov_b32 s7, 0x7f800001
	s_xor_b32 s6, exec_lo, -1
; %bb.1567:
	s_or_b32 exec_lo, exec_lo, s11
	s_delay_alu instid0(SALU_CYCLE_1)
	s_and_b32 s6, s6, exec_lo
	s_or_saveexec_b32 s10, s10
	v_mov_b32_e32 v11, s7
	s_xor_b32 exec_lo, exec_lo, s10
	s_cbranch_execnz .LBB209_1586
.LBB209_1568:
	s_or_b32 exec_lo, exec_lo, s10
	s_and_saveexec_b32 s7, s6
	s_cbranch_execz .LBB209_1570
.LBB209_1569:
	v_and_b32_e32 v11, 0xffff, v6
	v_lshlrev_b32_e32 v6, 24, v6
	s_delay_alu instid0(VALU_DEP_2) | instskip(NEXT) | instid1(VALU_DEP_2)
	v_and_b32_e32 v12, 7, v11
	v_and_b32_e32 v6, 0x80000000, v6
	s_delay_alu instid0(VALU_DEP_2) | instskip(NEXT) | instid1(VALU_DEP_1)
	v_clz_i32_u32_e32 v13, v12
	v_min_u32_e32 v13, 32, v13
	s_delay_alu instid0(VALU_DEP_1) | instskip(SKIP_1) | instid1(VALU_DEP_2)
	v_subrev_nc_u32_e32 v14, 28, v13
	v_sub_nc_u32_e32 v13, 29, v13
	v_lshlrev_b32_e32 v14, v14, v11
	v_bfe_u32 v11, v11, 3, 4
	s_delay_alu instid0(VALU_DEP_2) | instskip(NEXT) | instid1(VALU_DEP_2)
	v_and_b32_e32 v14, 7, v14
	v_cmp_eq_u32_e32 vcc_lo, 0, v11
	s_delay_alu instid0(VALU_DEP_2) | instskip(NEXT) | instid1(VALU_DEP_1)
	v_dual_cndmask_b32 v11, v11, v13 :: v_dual_cndmask_b32 v12, v12, v14
	v_lshl_add_u32 v11, v11, 23, 0x3b800000
	s_delay_alu instid0(VALU_DEP_2) | instskip(NEXT) | instid1(VALU_DEP_1)
	v_lshlrev_b32_e32 v12, 20, v12
	v_or3_b32 v11, v6, v11, v12
.LBB209_1570:
	s_or_b32 exec_lo, exec_lo, s7
	s_delay_alu instid0(VALU_DEP_1) | instskip(SKIP_1) | instid1(VALU_DEP_2)
	v_bfe_u32 v6, v11, 16, 1
	v_cmp_o_f32_e32 vcc_lo, v11, v11
	v_add3_u32 v6, v11, v6, 0x7fff
	s_delay_alu instid0(VALU_DEP_1) | instskip(NEXT) | instid1(VALU_DEP_1)
	v_lshrrev_b32_e32 v6, 16, v6
	v_cndmask_b32_e32 v11, 0x7fc0, v6, vcc_lo
.LBB209_1571:
	s_mov_b32 s6, -1
.LBB209_1572:
	s_mov_b32 s7, 0
.LBB209_1573:
	s_delay_alu instid0(SALU_CYCLE_1)
	s_and_b32 vcc_lo, exec_lo, s7
	s_cbranch_vccz .LBB209_1606
; %bb.1574:
	v_cmp_lt_i16_e32 vcc_lo, 22, v9
	s_cbranch_vccz .LBB209_1584
; %bb.1575:
	v_cmp_gt_i16_e32 vcc_lo, 24, v9
	s_cbranch_vccnz .LBB209_1587
; %bb.1576:
	v_cmp_lt_i16_e32 vcc_lo, 24, v9
	s_cbranch_vccz .LBB209_1588
; %bb.1577:
	global_load_u8 v6, v[4:5], off
	s_mov_b32 s7, exec_lo
                                        ; implicit-def: $sgpr6
	s_waitcnt vmcnt(0)
	v_cmpx_lt_i16_e32 0x7f, v6
	s_xor_b32 s7, exec_lo, s7
	s_cbranch_execz .LBB209_1600
; %bb.1578:
	s_mov_b32 s3, -1
	s_mov_b32 s10, exec_lo
                                        ; implicit-def: $sgpr6
	v_cmpx_eq_u16_e32 0x80, v6
; %bb.1579:
	s_mov_b32 s6, 0x7f800001
	s_xor_b32 s3, exec_lo, -1
; %bb.1580:
	s_or_b32 exec_lo, exec_lo, s10
	s_delay_alu instid0(SALU_CYCLE_1)
	s_and_b32 s3, s3, exec_lo
	s_or_saveexec_b32 s7, s7
	v_mov_b32_e32 v11, s6
	s_xor_b32 exec_lo, exec_lo, s7
	s_cbranch_execnz .LBB209_1601
.LBB209_1581:
	s_or_b32 exec_lo, exec_lo, s7
	s_and_saveexec_b32 s6, s3
	s_cbranch_execz .LBB209_1583
.LBB209_1582:
	v_and_b32_e32 v11, 0xffff, v6
	v_lshlrev_b32_e32 v6, 24, v6
	s_delay_alu instid0(VALU_DEP_2) | instskip(NEXT) | instid1(VALU_DEP_2)
	v_and_b32_e32 v12, 3, v11
	v_and_b32_e32 v6, 0x80000000, v6
	s_delay_alu instid0(VALU_DEP_2) | instskip(NEXT) | instid1(VALU_DEP_1)
	v_clz_i32_u32_e32 v13, v12
	v_min_u32_e32 v13, 32, v13
	s_delay_alu instid0(VALU_DEP_1) | instskip(SKIP_1) | instid1(VALU_DEP_2)
	v_subrev_nc_u32_e32 v14, 29, v13
	v_sub_nc_u32_e32 v13, 30, v13
	v_lshlrev_b32_e32 v14, v14, v11
	v_bfe_u32 v11, v11, 2, 5
	s_delay_alu instid0(VALU_DEP_2) | instskip(NEXT) | instid1(VALU_DEP_2)
	v_and_b32_e32 v14, 3, v14
	v_cmp_eq_u32_e32 vcc_lo, 0, v11
	s_delay_alu instid0(VALU_DEP_2) | instskip(NEXT) | instid1(VALU_DEP_1)
	v_dual_cndmask_b32 v11, v11, v13 :: v_dual_cndmask_b32 v12, v12, v14
	v_lshl_add_u32 v11, v11, 23, 0x37800000
	s_delay_alu instid0(VALU_DEP_2) | instskip(NEXT) | instid1(VALU_DEP_1)
	v_lshlrev_b32_e32 v12, 21, v12
	v_or3_b32 v11, v6, v11, v12
.LBB209_1583:
	s_or_b32 exec_lo, exec_lo, s6
	s_delay_alu instid0(VALU_DEP_1) | instskip(SKIP_2) | instid1(VALU_DEP_2)
	v_bfe_u32 v6, v11, 16, 1
	v_cmp_o_f32_e32 vcc_lo, v11, v11
	s_mov_b32 s3, 0
	v_add3_u32 v6, v11, v6, 0x7fff
	s_delay_alu instid0(VALU_DEP_1) | instskip(NEXT) | instid1(VALU_DEP_1)
	v_lshrrev_b32_e32 v6, 16, v6
	v_cndmask_b32_e32 v11, 0x7fc0, v6, vcc_lo
	s_branch .LBB209_1589
.LBB209_1584:
	s_mov_b32 s3, -1
                                        ; implicit-def: $vgpr11
	s_branch .LBB209_1595
.LBB209_1585:
	s_or_saveexec_b32 s10, s10
	v_mov_b32_e32 v11, s7
	s_xor_b32 exec_lo, exec_lo, s10
	s_cbranch_execz .LBB209_1568
.LBB209_1586:
	v_cmp_ne_u16_e32 vcc_lo, 0, v6
	v_mov_b32_e32 v11, 0
	s_and_not1_b32 s6, s6, exec_lo
	s_and_b32 s7, vcc_lo, exec_lo
	s_delay_alu instid0(SALU_CYCLE_1)
	s_or_b32 s6, s6, s7
	s_or_b32 exec_lo, exec_lo, s10
	s_and_saveexec_b32 s7, s6
	s_cbranch_execnz .LBB209_1569
	s_branch .LBB209_1570
.LBB209_1587:
	s_mov_b32 s3, -1
                                        ; implicit-def: $vgpr11
	s_branch .LBB209_1592
.LBB209_1588:
	s_mov_b32 s3, -1
                                        ; implicit-def: $vgpr11
.LBB209_1589:
	s_delay_alu instid0(SALU_CYCLE_1)
	s_and_b32 vcc_lo, exec_lo, s3
	s_cbranch_vccz .LBB209_1591
; %bb.1590:
	global_load_u8 v6, v[4:5], off
	s_waitcnt vmcnt(0)
	v_lshlrev_b32_e32 v6, 24, v6
	s_delay_alu instid0(VALU_DEP_1) | instskip(NEXT) | instid1(VALU_DEP_1)
	v_and_b32_e32 v11, 0x7f000000, v6
	v_clz_i32_u32_e32 v12, v11
	v_add_nc_u32_e32 v14, 0x1000000, v11
	v_cmp_ne_u32_e32 vcc_lo, 0, v11
	s_delay_alu instid0(VALU_DEP_3) | instskip(NEXT) | instid1(VALU_DEP_1)
	v_min_u32_e32 v12, 32, v12
	v_sub_nc_u32_e64 v12, v12, 4 clamp
	s_delay_alu instid0(VALU_DEP_1) | instskip(SKIP_1) | instid1(VALU_DEP_2)
	v_lshlrev_b32_e32 v13, v12, v11
	v_lshlrev_b32_e32 v12, 23, v12
	v_lshrrev_b32_e32 v13, 4, v13
	s_delay_alu instid0(VALU_DEP_1) | instskip(SKIP_1) | instid1(VALU_DEP_2)
	v_sub_nc_u32_e32 v12, v13, v12
	v_ashrrev_i32_e32 v13, 8, v14
	v_add_nc_u32_e32 v12, 0x3c000000, v12
	s_delay_alu instid0(VALU_DEP_1) | instskip(NEXT) | instid1(VALU_DEP_1)
	v_and_or_b32 v12, 0x7f800000, v13, v12
	v_cndmask_b32_e32 v11, 0, v12, vcc_lo
	s_delay_alu instid0(VALU_DEP_1) | instskip(SKIP_1) | instid1(VALU_DEP_2)
	v_and_or_b32 v6, 0x80000000, v6, v11
	v_bfe_u32 v11, v11, 16, 1
	v_cmp_o_f32_e32 vcc_lo, v6, v6
	s_delay_alu instid0(VALU_DEP_2) | instskip(NEXT) | instid1(VALU_DEP_1)
	v_add3_u32 v11, v6, v11, 0x7fff
	v_lshrrev_b32_e32 v11, 16, v11
	s_delay_alu instid0(VALU_DEP_1)
	v_cndmask_b32_e32 v11, 0x7fc0, v11, vcc_lo
.LBB209_1591:
	s_mov_b32 s3, 0
.LBB209_1592:
	s_delay_alu instid0(SALU_CYCLE_1)
	s_and_not1_b32 vcc_lo, exec_lo, s3
	s_cbranch_vccnz .LBB209_1594
; %bb.1593:
	global_load_u8 v6, v[4:5], off
	s_waitcnt vmcnt(0)
	v_lshlrev_b32_e32 v11, 25, v6
	v_lshlrev_b16 v6, 8, v6
	s_delay_alu instid0(VALU_DEP_2) | instskip(NEXT) | instid1(VALU_DEP_2)
	v_lshrrev_b32_e32 v12, 4, v11
	v_and_or_b32 v13, 0x7f00, v6, 0.5
	v_bfe_i32 v6, v6, 0, 16
	s_delay_alu instid0(VALU_DEP_3) | instskip(NEXT) | instid1(VALU_DEP_1)
	v_or_b32_e32 v12, 0x70000000, v12
	v_dual_add_f32 v13, -0.5, v13 :: v_dual_mul_f32 v12, 0x7800000, v12
	v_cmp_gt_u32_e32 vcc_lo, 0x8000000, v11
	s_delay_alu instid0(VALU_DEP_2) | instskip(NEXT) | instid1(VALU_DEP_1)
	v_cndmask_b32_e32 v11, v12, v13, vcc_lo
	v_and_or_b32 v6, 0x80000000, v6, v11
	v_bfe_u32 v11, v11, 16, 1
	s_delay_alu instid0(VALU_DEP_2) | instskip(NEXT) | instid1(VALU_DEP_2)
	v_cmp_o_f32_e32 vcc_lo, v6, v6
	v_add3_u32 v11, v6, v11, 0x7fff
	s_delay_alu instid0(VALU_DEP_1) | instskip(NEXT) | instid1(VALU_DEP_1)
	v_lshrrev_b32_e32 v11, 16, v11
	v_cndmask_b32_e32 v11, 0x7fc0, v11, vcc_lo
.LBB209_1594:
	s_mov_b32 s3, 0
	s_mov_b32 s6, -1
.LBB209_1595:
	s_and_not1_b32 vcc_lo, exec_lo, s3
	s_mov_b32 s3, 0
	s_cbranch_vccnz .LBB209_1606
; %bb.1596:
	v_cmp_lt_i16_e32 vcc_lo, 14, v9
	s_cbranch_vccz .LBB209_1599
; %bb.1597:
	v_cmp_eq_u16_e32 vcc_lo, 15, v9
	s_cbranch_vccz .LBB209_1602
; %bb.1598:
	global_load_u16 v11, v[4:5], off
	s_mov_b32 s2, 0
	s_mov_b32 s6, -1
	s_branch .LBB209_1604
.LBB209_1599:
	s_mov_b32 s3, -1
	s_branch .LBB209_1603
.LBB209_1600:
	s_or_saveexec_b32 s7, s7
	v_mov_b32_e32 v11, s6
	s_xor_b32 exec_lo, exec_lo, s7
	s_cbranch_execz .LBB209_1581
.LBB209_1601:
	v_cmp_ne_u16_e32 vcc_lo, 0, v6
	v_mov_b32_e32 v11, 0
	s_and_not1_b32 s3, s3, exec_lo
	s_and_b32 s6, vcc_lo, exec_lo
	s_delay_alu instid0(SALU_CYCLE_1)
	s_or_b32 s3, s3, s6
	s_or_b32 exec_lo, exec_lo, s7
	s_and_saveexec_b32 s6, s3
	s_cbranch_execnz .LBB209_1582
	s_branch .LBB209_1583
.LBB209_1602:
	s_mov_b32 s2, -1
.LBB209_1603:
                                        ; implicit-def: $vgpr11
.LBB209_1604:
	s_and_b32 vcc_lo, exec_lo, s3
	s_mov_b32 s3, 0
	s_cbranch_vccz .LBB209_1606
; %bb.1605:
	v_cmp_ne_u16_e64 s2, 11, v9
	s_mov_b32 s3, -1
                                        ; implicit-def: $vgpr11
.LBB209_1606:
	s_delay_alu instid0(VALU_DEP_1)
	s_and_b32 vcc_lo, exec_lo, s2
	s_cbranch_vccnz .LBB209_2135
; %bb.1607:
	s_and_not1_b32 vcc_lo, exec_lo, s3
	s_cbranch_vccnz .LBB209_1609
.LBB209_1608:
	global_load_u8 v6, v[4:5], off
	s_mov_b32 s6, -1
	s_waitcnt vmcnt(0)
	v_cmp_ne_u16_e32 vcc_lo, 0, v6
	v_cndmask_b32_e64 v6, 0, 1.0, vcc_lo
	s_delay_alu instid0(VALU_DEP_1)
	v_lshrrev_b32_e32 v11, 16, v6
.LBB209_1609:
	s_mov_b32 s2, 0
.LBB209_1610:
	s_delay_alu instid0(SALU_CYCLE_1)
	s_and_b32 vcc_lo, exec_lo, s2
	s_cbranch_vccz .LBB209_1659
; %bb.1611:
	v_cmp_gt_i16_e32 vcc_lo, 5, v9
	s_cbranch_vccnz .LBB209_1616
; %bb.1612:
	v_cmp_gt_i16_e32 vcc_lo, 8, v9
	s_cbranch_vccnz .LBB209_1617
	;; [unrolled: 3-line block ×3, first 2 shown]
; %bb.1614:
	v_cmp_lt_i16_e32 vcc_lo, 9, v9
	s_cbranch_vccz .LBB209_1619
; %bb.1615:
	global_load_b64 v[11:12], v[4:5], off
	s_mov_b32 s2, 0
	s_waitcnt vmcnt(0)
	v_cvt_f32_f64_e32 v6, v[11:12]
	s_delay_alu instid0(VALU_DEP_1) | instskip(SKIP_1) | instid1(VALU_DEP_2)
	v_bfe_u32 v11, v6, 16, 1
	v_cmp_o_f32_e32 vcc_lo, v6, v6
	v_add3_u32 v11, v6, v11, 0x7fff
	s_delay_alu instid0(VALU_DEP_1) | instskip(NEXT) | instid1(VALU_DEP_1)
	v_lshrrev_b32_e32 v11, 16, v11
	v_cndmask_b32_e32 v11, 0x7fc0, v11, vcc_lo
	s_branch .LBB209_1620
.LBB209_1616:
	s_mov_b32 s2, -1
                                        ; implicit-def: $vgpr11
	s_branch .LBB209_1638
.LBB209_1617:
	s_mov_b32 s2, -1
                                        ; implicit-def: $vgpr11
	s_branch .LBB209_1626
.LBB209_1618:
	s_mov_b32 s2, -1
                                        ; implicit-def: $vgpr11
	s_branch .LBB209_1623
.LBB209_1619:
	s_mov_b32 s2, -1
                                        ; implicit-def: $vgpr11
.LBB209_1620:
	s_delay_alu instid0(SALU_CYCLE_1)
	s_and_not1_b32 vcc_lo, exec_lo, s2
	s_cbranch_vccnz .LBB209_1622
; %bb.1621:
	global_load_b32 v6, v[4:5], off
	s_waitcnt vmcnt(0)
	v_bfe_u32 v11, v6, 16, 1
	v_cmp_o_f32_e32 vcc_lo, v6, v6
	s_delay_alu instid0(VALU_DEP_2) | instskip(NEXT) | instid1(VALU_DEP_1)
	v_add3_u32 v11, v6, v11, 0x7fff
	v_lshrrev_b32_e32 v11, 16, v11
	s_delay_alu instid0(VALU_DEP_1)
	v_cndmask_b32_e32 v11, 0x7fc0, v11, vcc_lo
.LBB209_1622:
	s_mov_b32 s2, 0
.LBB209_1623:
	s_delay_alu instid0(SALU_CYCLE_1)
	s_and_not1_b32 vcc_lo, exec_lo, s2
	s_cbranch_vccnz .LBB209_1625
; %bb.1624:
	global_load_b32 v6, v[4:5], off
	s_waitcnt vmcnt(0)
	v_cvt_f32_f16_e32 v11, v6
	v_cmp_o_f16_e32 vcc_lo, v6, v6
	s_delay_alu instid0(VALU_DEP_2) | instskip(NEXT) | instid1(VALU_DEP_1)
	v_bfe_u32 v12, v11, 16, 1
	v_add3_u32 v11, v11, v12, 0x7fff
	s_delay_alu instid0(VALU_DEP_1) | instskip(NEXT) | instid1(VALU_DEP_1)
	v_lshrrev_b32_e32 v11, 16, v11
	v_cndmask_b32_e32 v11, 0x7fc0, v11, vcc_lo
.LBB209_1625:
	s_mov_b32 s2, 0
.LBB209_1626:
	s_delay_alu instid0(SALU_CYCLE_1)
	s_and_not1_b32 vcc_lo, exec_lo, s2
	s_cbranch_vccnz .LBB209_1637
; %bb.1627:
	v_cmp_gt_i16_e32 vcc_lo, 6, v9
	s_cbranch_vccnz .LBB209_1630
; %bb.1628:
	v_cmp_lt_i16_e32 vcc_lo, 6, v9
	s_cbranch_vccz .LBB209_1631
; %bb.1629:
	global_load_b64 v[11:12], v[4:5], off
	s_mov_b32 s2, 0
	s_waitcnt vmcnt(0)
	v_cvt_f32_f64_e32 v6, v[11:12]
	s_delay_alu instid0(VALU_DEP_1) | instskip(SKIP_1) | instid1(VALU_DEP_2)
	v_bfe_u32 v11, v6, 16, 1
	v_cmp_o_f32_e32 vcc_lo, v6, v6
	v_add3_u32 v11, v6, v11, 0x7fff
	s_delay_alu instid0(VALU_DEP_1) | instskip(NEXT) | instid1(VALU_DEP_1)
	v_lshrrev_b32_e32 v11, 16, v11
	v_cndmask_b32_e32 v11, 0x7fc0, v11, vcc_lo
	s_branch .LBB209_1632
.LBB209_1630:
	s_mov_b32 s2, -1
                                        ; implicit-def: $vgpr11
	s_branch .LBB209_1635
.LBB209_1631:
	s_mov_b32 s2, -1
                                        ; implicit-def: $vgpr11
.LBB209_1632:
	s_delay_alu instid0(SALU_CYCLE_1)
	s_and_not1_b32 vcc_lo, exec_lo, s2
	s_cbranch_vccnz .LBB209_1634
; %bb.1633:
	global_load_b32 v6, v[4:5], off
	s_waitcnt vmcnt(0)
	v_bfe_u32 v11, v6, 16, 1
	v_cmp_o_f32_e32 vcc_lo, v6, v6
	s_delay_alu instid0(VALU_DEP_2) | instskip(NEXT) | instid1(VALU_DEP_1)
	v_add3_u32 v11, v6, v11, 0x7fff
	v_lshrrev_b32_e32 v11, 16, v11
	s_delay_alu instid0(VALU_DEP_1)
	v_cndmask_b32_e32 v11, 0x7fc0, v11, vcc_lo
.LBB209_1634:
	s_mov_b32 s2, 0
.LBB209_1635:
	s_delay_alu instid0(SALU_CYCLE_1)
	s_and_not1_b32 vcc_lo, exec_lo, s2
	s_cbranch_vccnz .LBB209_1637
; %bb.1636:
	global_load_u16 v6, v[4:5], off
	s_waitcnt vmcnt(0)
	v_cvt_f32_f16_e32 v11, v6
	v_cmp_o_f16_e32 vcc_lo, v6, v6
	s_delay_alu instid0(VALU_DEP_2) | instskip(NEXT) | instid1(VALU_DEP_1)
	v_bfe_u32 v12, v11, 16, 1
	v_add3_u32 v11, v11, v12, 0x7fff
	s_delay_alu instid0(VALU_DEP_1) | instskip(NEXT) | instid1(VALU_DEP_1)
	v_lshrrev_b32_e32 v11, 16, v11
	v_cndmask_b32_e32 v11, 0x7fc0, v11, vcc_lo
.LBB209_1637:
	s_mov_b32 s2, 0
.LBB209_1638:
	s_delay_alu instid0(SALU_CYCLE_1)
	s_and_not1_b32 vcc_lo, exec_lo, s2
	s_cbranch_vccnz .LBB209_1658
; %bb.1639:
	v_cmp_gt_i16_e32 vcc_lo, 2, v9
	s_cbranch_vccnz .LBB209_1643
; %bb.1640:
	v_cmp_gt_i16_e32 vcc_lo, 3, v9
	s_cbranch_vccnz .LBB209_1644
; %bb.1641:
	v_cmp_lt_i16_e32 vcc_lo, 3, v9
	s_cbranch_vccz .LBB209_1645
; %bb.1642:
	global_load_b64 v[11:12], v[4:5], off
	s_mov_b32 s2, 0
	s_waitcnt vmcnt(0)
	v_xor_b32_e32 v6, v11, v12
	v_cls_i32_e32 v13, v12
	s_delay_alu instid0(VALU_DEP_2) | instskip(NEXT) | instid1(VALU_DEP_2)
	v_ashrrev_i32_e32 v6, 31, v6
	v_add_nc_u32_e32 v13, -1, v13
	s_delay_alu instid0(VALU_DEP_2) | instskip(NEXT) | instid1(VALU_DEP_1)
	v_add_nc_u32_e32 v6, 32, v6
	v_min_u32_e32 v6, v13, v6
	s_delay_alu instid0(VALU_DEP_1) | instskip(SKIP_1) | instid1(VALU_DEP_2)
	v_lshlrev_b64 v[11:12], v6, v[11:12]
	v_sub_nc_u32_e32 v6, 32, v6
	v_min_u32_e32 v11, 1, v11
	s_delay_alu instid0(VALU_DEP_1) | instskip(NEXT) | instid1(VALU_DEP_1)
	v_or_b32_e32 v11, v12, v11
	v_cvt_f32_i32_e32 v11, v11
	s_delay_alu instid0(VALU_DEP_1) | instskip(NEXT) | instid1(VALU_DEP_1)
	v_ldexp_f32 v6, v11, v6
	v_bfe_u32 v11, v6, 16, 1
	s_delay_alu instid0(VALU_DEP_1) | instskip(NEXT) | instid1(VALU_DEP_1)
	v_add3_u32 v6, v6, v11, 0x7fff
	v_lshrrev_b32_e32 v11, 16, v6
	s_branch .LBB209_1646
.LBB209_1643:
	s_mov_b32 s2, -1
                                        ; implicit-def: $vgpr11
	s_branch .LBB209_1652
.LBB209_1644:
	s_mov_b32 s2, -1
                                        ; implicit-def: $vgpr11
	s_branch .LBB209_1649
.LBB209_1645:
	s_mov_b32 s2, -1
                                        ; implicit-def: $vgpr11
.LBB209_1646:
	s_delay_alu instid0(SALU_CYCLE_1)
	s_and_not1_b32 vcc_lo, exec_lo, s2
	s_cbranch_vccnz .LBB209_1648
; %bb.1647:
	global_load_b32 v6, v[4:5], off
	s_waitcnt vmcnt(0)
	v_cvt_f32_i32_e32 v6, v6
	s_delay_alu instid0(VALU_DEP_1) | instskip(NEXT) | instid1(VALU_DEP_1)
	v_bfe_u32 v11, v6, 16, 1
	v_add3_u32 v6, v6, v11, 0x7fff
	s_delay_alu instid0(VALU_DEP_1)
	v_lshrrev_b32_e32 v11, 16, v6
.LBB209_1648:
	s_mov_b32 s2, 0
.LBB209_1649:
	s_delay_alu instid0(SALU_CYCLE_1)
	s_and_not1_b32 vcc_lo, exec_lo, s2
	s_cbranch_vccnz .LBB209_1651
; %bb.1650:
	global_load_i16 v6, v[4:5], off
	s_waitcnt vmcnt(0)
	v_cvt_f32_i32_e32 v6, v6
	s_delay_alu instid0(VALU_DEP_1) | instskip(NEXT) | instid1(VALU_DEP_1)
	v_bfe_u32 v11, v6, 16, 1
	v_add3_u32 v6, v6, v11, 0x7fff
	s_delay_alu instid0(VALU_DEP_1)
	v_lshrrev_b32_e32 v11, 16, v6
.LBB209_1651:
	s_mov_b32 s2, 0
.LBB209_1652:
	s_delay_alu instid0(SALU_CYCLE_1)
	s_and_not1_b32 vcc_lo, exec_lo, s2
	s_cbranch_vccnz .LBB209_1658
; %bb.1653:
	v_cmp_lt_i16_e32 vcc_lo, 0, v9
	s_mov_b32 s2, 0
	s_cbranch_vccz .LBB209_1655
; %bb.1654:
	global_load_i8 v6, v[4:5], off
	s_waitcnt vmcnt(0)
	v_cvt_f32_i32_e32 v6, v6
	s_delay_alu instid0(VALU_DEP_1) | instskip(NEXT) | instid1(VALU_DEP_1)
	v_bfe_u32 v9, v6, 16, 1
	v_add3_u32 v6, v6, v9, 0x7fff
	s_delay_alu instid0(VALU_DEP_1)
	v_lshrrev_b32_e32 v11, 16, v6
	s_branch .LBB209_1656
.LBB209_1655:
	s_mov_b32 s2, -1
                                        ; implicit-def: $vgpr11
.LBB209_1656:
	s_delay_alu instid0(SALU_CYCLE_1)
	s_and_not1_b32 vcc_lo, exec_lo, s2
	s_cbranch_vccnz .LBB209_1658
; %bb.1657:
	global_load_u8 v4, v[4:5], off
	s_waitcnt vmcnt(0)
	v_cvt_f32_ubyte0_e32 v4, v4
	s_delay_alu instid0(VALU_DEP_1) | instskip(NEXT) | instid1(VALU_DEP_1)
	v_bfe_u32 v5, v4, 16, 1
	v_add3_u32 v4, v4, v5, 0x7fff
	s_delay_alu instid0(VALU_DEP_1)
	v_lshrrev_b32_e32 v11, 16, v4
.LBB209_1658:
	s_mov_b32 s6, -1
.LBB209_1659:
	s_delay_alu instid0(SALU_CYCLE_1)
	s_and_not1_b32 vcc_lo, exec_lo, s6
	s_cbranch_vccnz .LBB209_2090
; %bb.1660:
	v_lshlrev_b32_e32 v4, 16, v10
	s_lshr_b32 s0, s0, 8
	s_mov_b32 s3, 0
	v_and_b32_e64 v6, 0xff, s0
	v_add_co_u32 v3, s0, s4, v3
	v_cvt_f64_f32_e32 v[4:5], v4
	s_delay_alu instid0(VALU_DEP_1) | instskip(SKIP_3) | instid1(VALU_DEP_2)
	v_rsq_f64_e32 v[9:10], v[4:5]
	s_waitcnt_depctr 0xfff
	v_mul_f64 v[4:5], v[9:10], -v[4:5]
	v_cmp_class_f64_e64 vcc_lo, v[9:10], 0x180
	v_fma_f64 v[4:5], v[4:5], v[9:10], 1.0
	s_delay_alu instid0(VALU_DEP_1) | instskip(SKIP_1) | instid1(VALU_DEP_1)
	v_mul_f64 v[12:13], v[9:10], v[4:5]
	v_fma_f64 v[4:5], 0x3fd80000, v[4:5], 0.5
	v_fma_f64 v[4:5], v[12:13], v[4:5], v[9:10]
	s_delay_alu instid0(VALU_DEP_1) | instskip(SKIP_1) | instid1(VALU_DEP_2)
	v_dual_cndmask_b32 v5, v10, v5 :: v_dual_cndmask_b32 v4, v9, v4
	v_cmp_gt_i16_e32 vcc_lo, 11, v6
	v_cvt_f32_f64_e32 v5, v[4:5]
	s_and_b32 vcc_lo, exec_lo, vcc_lo
	s_delay_alu instid0(VALU_DEP_1) | instskip(NEXT) | instid1(VALU_DEP_1)
	v_bfe_u32 v4, v5, 16, 1
	v_add3_u32 v4, v5, v4, 0x7fff
	s_delay_alu instid0(VALU_DEP_1) | instskip(SKIP_2) | instid1(VALU_DEP_1)
	v_lshrrev_b32_e32 v9, 16, v4
	v_add_co_ci_u32_e64 v4, null, s5, 0, s0
	v_cmp_o_f32_e64 s0, v5, v5
	v_cndmask_b32_e64 v5, 0x7fc0, v9, s0
	s_mov_b32 s0, -1
	s_cbranch_vccnz .LBB209_1738
; %bb.1661:
	v_cmp_lt_i16_e32 vcc_lo, 25, v6
	s_mov_b32 s6, -1
	s_mov_b32 s2, 0
	s_mov_b32 s0, 0
	s_cbranch_vccz .LBB209_1694
; %bb.1662:
	v_cmp_lt_i16_e32 vcc_lo, 28, v6
	s_cbranch_vccz .LBB209_1677
; %bb.1663:
	v_cmp_lt_i16_e32 vcc_lo, 43, v6
	;; [unrolled: 3-line block ×3, first 2 shown]
	s_cbranch_vccz .LBB209_1667
; %bb.1665:
	v_cmp_eq_u16_e32 vcc_lo, 46, v6
	s_mov_b32 s0, -1
	s_mov_b32 s6, 0
	s_cbranch_vccz .LBB209_1667
; %bb.1666:
	v_and_b32_e32 v9, 0xffff, v5
	s_mov_b32 s0, 0
	s_mov_b32 s3, -1
	global_store_b32 v[3:4], v9, off
.LBB209_1667:
	s_and_b32 vcc_lo, exec_lo, s6
	s_cbranch_vccz .LBB209_1672
; %bb.1668:
	v_cmp_eq_u16_e32 vcc_lo, 44, v6
	s_mov_b32 s0, -1
	s_cbranch_vccz .LBB209_1672
; %bb.1669:
	v_and_b32_e32 v9, 0xffff, v5
	v_mov_b32_e32 v10, 0xff
	s_mov_b32 s3, exec_lo
	s_delay_alu instid0(VALU_DEP_2) | instskip(NEXT) | instid1(VALU_DEP_1)
	v_bfe_u32 v12, v9, 7, 8
	v_cmpx_ne_u32_e32 0xff, v12
; %bb.1670:
	v_lshlrev_b32_e32 v10, 16, v9
	v_and_b32_e32 v13, 64, v9
	v_lshrrev_b32_e32 v9, 7, v9
	s_delay_alu instid0(VALU_DEP_3) | instskip(NEXT) | instid1(VALU_DEP_3)
	v_and_or_b32 v10, 0x3f0000, v10, v12
	v_cmp_ne_u32_e32 vcc_lo, 0, v13
	s_delay_alu instid0(VALU_DEP_2) | instskip(NEXT) | instid1(VALU_DEP_1)
	v_cmp_ne_u32_e64 s0, 0, v10
	s_and_b32 s0, vcc_lo, s0
	s_delay_alu instid0(SALU_CYCLE_1) | instskip(NEXT) | instid1(VALU_DEP_1)
	v_cndmask_b32_e64 v10, 0, 1, s0
	v_add_nc_u32_e32 v10, v9, v10
; %bb.1671:
	s_or_b32 exec_lo, exec_lo, s3
	s_mov_b32 s0, 0
	s_mov_b32 s3, -1
	global_store_b8 v[3:4], v10, off
.LBB209_1672:
	s_mov_b32 s6, 0
.LBB209_1673:
	s_delay_alu instid0(SALU_CYCLE_1)
	s_and_b32 vcc_lo, exec_lo, s6
	s_cbranch_vccz .LBB209_1676
; %bb.1674:
	v_cmp_eq_u16_e32 vcc_lo, 29, v6
	s_mov_b32 s0, -1
	s_cbranch_vccz .LBB209_1676
; %bb.1675:
	v_lshlrev_b32_e32 v9, 16, v5
	s_mov_b32 s0, 0
	s_mov_b32 s3, -1
	s_delay_alu instid0(VALU_DEP_1) | instskip(NEXT) | instid1(VALU_DEP_1)
	v_trunc_f32_e32 v9, v9
	v_mul_f32_e32 v10, 0x2f800000, v9
	s_delay_alu instid0(VALU_DEP_1) | instskip(NEXT) | instid1(VALU_DEP_1)
	v_floor_f32_e32 v10, v10
	v_fmamk_f32 v9, v10, 0xcf800000, v9
	v_cvt_u32_f32_e32 v10, v10
	s_delay_alu instid0(VALU_DEP_2)
	v_cvt_u32_f32_e32 v9, v9
	global_store_b64 v[3:4], v[9:10], off
.LBB209_1676:
	s_mov_b32 s6, 0
.LBB209_1677:
	s_delay_alu instid0(SALU_CYCLE_1)
	s_and_b32 vcc_lo, exec_lo, s6
	s_cbranch_vccz .LBB209_1693
; %bb.1678:
	v_cmp_gt_i16_e32 vcc_lo, 27, v6
	s_mov_b32 s3, -1
	s_cbranch_vccnz .LBB209_1684
; %bb.1679:
	v_cmp_lt_i16_e32 vcc_lo, 27, v6
	s_cbranch_vccz .LBB209_1681
; %bb.1680:
	v_lshlrev_b32_e32 v9, 16, v5
	s_mov_b32 s3, 0
	s_delay_alu instid0(VALU_DEP_1)
	v_cvt_u32_f32_e32 v9, v9
	global_store_b32 v[3:4], v9, off
.LBB209_1681:
	s_and_not1_b32 vcc_lo, exec_lo, s3
	s_cbranch_vccnz .LBB209_1683
; %bb.1682:
	v_lshlrev_b32_e32 v9, 16, v5
	s_delay_alu instid0(VALU_DEP_1)
	v_cvt_u32_f32_e32 v9, v9
	global_store_b16 v[3:4], v9, off
.LBB209_1683:
	s_mov_b32 s3, 0
.LBB209_1684:
	s_delay_alu instid0(SALU_CYCLE_1)
	s_and_not1_b32 vcc_lo, exec_lo, s3
	s_cbranch_vccnz .LBB209_1692
; %bb.1685:
	v_dual_mov_b32 v13, 0x80 :: v_dual_lshlrev_b32 v12, 16, v5
	s_mov_b32 s3, exec_lo
	s_delay_alu instid0(VALU_DEP_1) | instskip(NEXT) | instid1(VALU_DEP_1)
	v_and_b32_e32 v10, 0x7fffffff, v12
	v_cmpx_gt_u32_e32 0x43800000, v10
	s_cbranch_execz .LBB209_1691
; %bb.1686:
	v_and_b32_e32 v9, 0xffff, v5
	v_cmp_lt_u32_e32 vcc_lo, 0x3bffffff, v10
	s_mov_b32 s6, 0
                                        ; implicit-def: $vgpr10
	s_and_saveexec_b32 s7, vcc_lo
	s_delay_alu instid0(SALU_CYCLE_1)
	s_xor_b32 s7, exec_lo, s7
	s_cbranch_execz .LBB209_2137
; %bb.1687:
	v_bfe_u32 v10, v9, 4, 1
	s_mov_b32 s6, exec_lo
	s_delay_alu instid0(VALU_DEP_1) | instskip(NEXT) | instid1(VALU_DEP_1)
	v_add3_u32 v10, v12, v10, 0x487ffff
                                        ; implicit-def: $vgpr12
	v_lshrrev_b32_e32 v10, 20, v10
	s_or_saveexec_b32 s7, s7
                                        ; implicit-def: $sgpr10
	s_delay_alu instid0(SALU_CYCLE_1)
	s_xor_b32 exec_lo, exec_lo, s7
	s_cbranch_execnz .LBB209_2138
.LBB209_1688:
	s_or_b32 exec_lo, exec_lo, s7
	v_mov_b32_e32 v13, s10
	s_and_saveexec_b32 s7, s6
.LBB209_1689:
	v_lshrrev_b32_e32 v9, 8, v9
	s_delay_alu instid0(VALU_DEP_1)
	v_and_or_b32 v13, 0x80, v9, v10
.LBB209_1690:
	s_or_b32 exec_lo, exec_lo, s7
.LBB209_1691:
	s_delay_alu instid0(SALU_CYCLE_1)
	s_or_b32 exec_lo, exec_lo, s3
	global_store_b8 v[3:4], v13, off
.LBB209_1692:
	s_mov_b32 s3, -1
.LBB209_1693:
	s_mov_b32 s6, 0
.LBB209_1694:
	s_delay_alu instid0(SALU_CYCLE_1)
	s_and_b32 vcc_lo, exec_lo, s6
	s_cbranch_vccz .LBB209_1734
; %bb.1695:
	v_cmp_lt_i16_e32 vcc_lo, 22, v6
	s_mov_b32 s2, -1
	s_cbranch_vccz .LBB209_1727
; %bb.1696:
	v_cmp_gt_i16_e32 vcc_lo, 24, v6
	s_cbranch_vccnz .LBB209_1716
; %bb.1697:
	v_cmp_lt_i16_e32 vcc_lo, 24, v6
	s_cbranch_vccz .LBB209_1705
; %bb.1698:
	v_dual_mov_b32 v13, 0x80 :: v_dual_lshlrev_b32 v12, 16, v5
	s_mov_b32 s2, exec_lo
	s_delay_alu instid0(VALU_DEP_1) | instskip(NEXT) | instid1(VALU_DEP_1)
	v_and_b32_e32 v10, 0x7fffffff, v12
	v_cmpx_gt_u32_e32 0x47800000, v10
	s_cbranch_execz .LBB209_1704
; %bb.1699:
	v_and_b32_e32 v9, 0xffff, v5
	v_cmp_lt_u32_e32 vcc_lo, 0x37ffffff, v10
	s_mov_b32 s3, 0
                                        ; implicit-def: $vgpr10
	s_and_saveexec_b32 s6, vcc_lo
	s_delay_alu instid0(SALU_CYCLE_1)
	s_xor_b32 s6, exec_lo, s6
	s_cbranch_execz .LBB209_2143
; %bb.1700:
	v_bfe_u32 v10, v9, 5, 1
	s_mov_b32 s3, exec_lo
	s_delay_alu instid0(VALU_DEP_1) | instskip(NEXT) | instid1(VALU_DEP_1)
	v_add3_u32 v10, v12, v10, 0x88fffff
                                        ; implicit-def: $vgpr12
	v_lshrrev_b32_e32 v10, 21, v10
	s_or_saveexec_b32 s6, s6
                                        ; implicit-def: $sgpr7
	s_delay_alu instid0(SALU_CYCLE_1)
	s_xor_b32 exec_lo, exec_lo, s6
	s_cbranch_execnz .LBB209_2144
.LBB209_1701:
	s_or_b32 exec_lo, exec_lo, s6
	v_mov_b32_e32 v13, s7
	s_and_saveexec_b32 s6, s3
.LBB209_1702:
	v_lshrrev_b32_e32 v9, 8, v9
	s_delay_alu instid0(VALU_DEP_1)
	v_and_or_b32 v13, 0x80, v9, v10
.LBB209_1703:
	s_or_b32 exec_lo, exec_lo, s6
.LBB209_1704:
	s_delay_alu instid0(SALU_CYCLE_1)
	s_or_b32 exec_lo, exec_lo, s2
	s_mov_b32 s2, 0
	global_store_b8 v[3:4], v13, off
.LBB209_1705:
	s_and_b32 vcc_lo, exec_lo, s2
	s_cbranch_vccz .LBB209_1715
; %bb.1706:
	v_lshlrev_b32_e32 v12, 16, v5
	v_and_b32_e32 v9, 0xffff, v5
	s_mov_b32 s2, exec_lo
                                        ; implicit-def: $vgpr10
	s_delay_alu instid0(VALU_DEP_2) | instskip(NEXT) | instid1(VALU_DEP_1)
	v_and_b32_e32 v13, 0x7fffffff, v12
	v_cmpx_gt_u32_e32 0x43f00000, v13
	s_xor_b32 s2, exec_lo, s2
	s_cbranch_execz .LBB209_1712
; %bb.1707:
	s_mov_b32 s3, exec_lo
                                        ; implicit-def: $vgpr10
	v_cmpx_lt_u32_e32 0x3c7fffff, v13
	s_xor_b32 s3, exec_lo, s3
; %bb.1708:
	v_bfe_u32 v10, v9, 4, 1
	s_delay_alu instid0(VALU_DEP_1) | instskip(NEXT) | instid1(VALU_DEP_1)
	v_add3_u32 v10, v12, v10, 0x407ffff
	v_and_b32_e32 v12, 0xff00000, v10
	v_lshrrev_b32_e32 v10, 20, v10
	s_delay_alu instid0(VALU_DEP_2) | instskip(NEXT) | instid1(VALU_DEP_2)
	v_cmp_ne_u32_e32 vcc_lo, 0x7f00000, v12
                                        ; implicit-def: $vgpr12
	v_cndmask_b32_e32 v10, 0x7e, v10, vcc_lo
; %bb.1709:
	s_and_not1_saveexec_b32 s3, s3
; %bb.1710:
	v_add_f32_e64 v10, 0x46800000, |v12|
; %bb.1711:
	s_or_b32 exec_lo, exec_lo, s3
                                        ; implicit-def: $vgpr13
.LBB209_1712:
	s_and_not1_saveexec_b32 s2, s2
; %bb.1713:
	v_mov_b32_e32 v10, 0x7f
	v_cmp_lt_u32_e32 vcc_lo, 0x7f800000, v13
	s_delay_alu instid0(VALU_DEP_2)
	v_cndmask_b32_e32 v10, 0x7e, v10, vcc_lo
; %bb.1714:
	s_or_b32 exec_lo, exec_lo, s2
	v_lshrrev_b32_e32 v9, 8, v9
	s_delay_alu instid0(VALU_DEP_1)
	v_and_or_b32 v9, 0x80, v9, v10
	global_store_b8 v[3:4], v9, off
.LBB209_1715:
	s_mov_b32 s2, 0
.LBB209_1716:
	s_delay_alu instid0(SALU_CYCLE_1)
	s_and_not1_b32 vcc_lo, exec_lo, s2
	s_cbranch_vccnz .LBB209_1726
; %bb.1717:
	v_lshlrev_b32_e32 v12, 16, v5
	v_and_b32_e32 v9, 0xffff, v5
	s_mov_b32 s2, exec_lo
                                        ; implicit-def: $vgpr10
	s_delay_alu instid0(VALU_DEP_2) | instskip(NEXT) | instid1(VALU_DEP_1)
	v_and_b32_e32 v13, 0x7fffffff, v12
	v_cmpx_gt_u32_e32 0x47800000, v13
	s_xor_b32 s2, exec_lo, s2
	s_cbranch_execz .LBB209_1723
; %bb.1718:
	s_mov_b32 s3, exec_lo
                                        ; implicit-def: $vgpr10
	v_cmpx_lt_u32_e32 0x387fffff, v13
	s_xor_b32 s3, exec_lo, s3
; %bb.1719:
	v_bfe_u32 v10, v9, 5, 1
	s_delay_alu instid0(VALU_DEP_1) | instskip(NEXT) | instid1(VALU_DEP_1)
	v_add3_u32 v10, v12, v10, 0x80fffff
                                        ; implicit-def: $vgpr12
	v_lshrrev_b32_e32 v10, 21, v10
; %bb.1720:
	s_and_not1_saveexec_b32 s3, s3
; %bb.1721:
	v_add_f32_e64 v10, 0x43000000, |v12|
; %bb.1722:
	s_or_b32 exec_lo, exec_lo, s3
                                        ; implicit-def: $vgpr13
.LBB209_1723:
	s_and_not1_saveexec_b32 s2, s2
; %bb.1724:
	v_mov_b32_e32 v10, 0x7f
	v_cmp_lt_u32_e32 vcc_lo, 0x7f800000, v13
	s_delay_alu instid0(VALU_DEP_2)
	v_cndmask_b32_e32 v10, 0x7c, v10, vcc_lo
; %bb.1725:
	s_or_b32 exec_lo, exec_lo, s2
	v_lshrrev_b32_e32 v9, 8, v9
	s_delay_alu instid0(VALU_DEP_1)
	v_and_or_b32 v9, 0x80, v9, v10
	global_store_b8 v[3:4], v9, off
.LBB209_1726:
	s_mov_b32 s2, 0
	s_mov_b32 s3, -1
.LBB209_1727:
	s_and_not1_b32 vcc_lo, exec_lo, s2
	s_mov_b32 s2, 0
	s_cbranch_vccnz .LBB209_1734
; %bb.1728:
	v_cmp_lt_i16_e32 vcc_lo, 14, v6
	s_mov_b32 s2, -1
	s_cbranch_vccz .LBB209_1732
; %bb.1729:
	v_cmp_eq_u16_e32 vcc_lo, 15, v6
	s_mov_b32 s0, -1
	s_cbranch_vccz .LBB209_1731
; %bb.1730:
	s_mov_b32 s0, 0
	s_mov_b32 s3, -1
	global_store_b16 v[3:4], v5, off
.LBB209_1731:
	s_mov_b32 s2, 0
.LBB209_1732:
	s_delay_alu instid0(SALU_CYCLE_1)
	s_and_b32 vcc_lo, exec_lo, s2
	s_mov_b32 s2, 0
	s_cbranch_vccz .LBB209_1734
; %bb.1733:
	v_cmp_ne_u16_e64 s0, 11, v6
	s_mov_b32 s2, -1
.LBB209_1734:
	s_delay_alu instid0(VALU_DEP_1)
	s_and_b32 vcc_lo, exec_lo, s0
	s_cbranch_vccnz .LBB209_2141
; %bb.1735:
	s_and_not1_b32 vcc_lo, exec_lo, s2
	s_cbranch_vccnz .LBB209_1737
.LBB209_1736:
	v_and_b32_e32 v9, 0x7fff, v5
	s_mov_b32 s3, -1
	s_delay_alu instid0(VALU_DEP_1)
	v_cmp_ne_u16_e32 vcc_lo, 0, v9
	v_cndmask_b32_e64 v9, 0, 1, vcc_lo
	global_store_b8 v[3:4], v9, off
.LBB209_1737:
	s_mov_b32 s0, 0
.LBB209_1738:
	s_delay_alu instid0(SALU_CYCLE_1)
	s_and_b32 vcc_lo, exec_lo, s0
	s_cbranch_vccz .LBB209_1777
; %bb.1739:
	v_cmp_gt_i16_e32 vcc_lo, 5, v6
	s_mov_b32 s0, -1
	s_cbranch_vccnz .LBB209_1760
; %bb.1740:
	v_cmp_gt_i16_e32 vcc_lo, 8, v6
	s_cbranch_vccnz .LBB209_1750
; %bb.1741:
	v_cmp_gt_i16_e32 vcc_lo, 9, v6
	s_cbranch_vccnz .LBB209_1747
; %bb.1742:
	v_cmp_lt_i16_e32 vcc_lo, 9, v6
	s_cbranch_vccz .LBB209_1744
; %bb.1743:
	v_dual_mov_b32 v14, 0 :: v_dual_lshlrev_b32 v9, 16, v5
	s_mov_b32 s0, 0
	s_delay_alu instid0(VALU_DEP_1) | instskip(NEXT) | instid1(VALU_DEP_2)
	v_cvt_f64_f32_e32 v[12:13], v9
	v_mov_b32_e32 v15, v14
	global_store_b128 v[3:4], v[12:15], off
.LBB209_1744:
	s_and_not1_b32 vcc_lo, exec_lo, s0
	s_cbranch_vccnz .LBB209_1746
; %bb.1745:
	v_dual_mov_b32 v10, 0 :: v_dual_lshlrev_b32 v9, 16, v5
	global_store_b64 v[3:4], v[9:10], off
.LBB209_1746:
	s_mov_b32 s0, 0
.LBB209_1747:
	s_delay_alu instid0(SALU_CYCLE_1)
	s_and_not1_b32 vcc_lo, exec_lo, s0
	s_cbranch_vccnz .LBB209_1749
; %bb.1748:
	v_lshlrev_b32_e32 v9, 16, v5
	s_delay_alu instid0(VALU_DEP_1) | instskip(NEXT) | instid1(VALU_DEP_1)
	v_cvt_f16_f32_e32 v9, v9
	v_and_b32_e32 v9, 0xffff, v9
	global_store_b32 v[3:4], v9, off
.LBB209_1749:
	s_mov_b32 s0, 0
.LBB209_1750:
	s_delay_alu instid0(SALU_CYCLE_1)
	s_and_not1_b32 vcc_lo, exec_lo, s0
	s_cbranch_vccnz .LBB209_1759
; %bb.1751:
	v_cmp_gt_i16_e32 vcc_lo, 6, v6
	s_mov_b32 s0, -1
	s_cbranch_vccnz .LBB209_1757
; %bb.1752:
	v_cmp_lt_i16_e32 vcc_lo, 6, v6
	s_cbranch_vccz .LBB209_1754
; %bb.1753:
	v_lshlrev_b32_e32 v9, 16, v5
	s_mov_b32 s0, 0
	s_delay_alu instid0(VALU_DEP_1)
	v_cvt_f64_f32_e32 v[9:10], v9
	global_store_b64 v[3:4], v[9:10], off
.LBB209_1754:
	s_and_not1_b32 vcc_lo, exec_lo, s0
	s_cbranch_vccnz .LBB209_1756
; %bb.1755:
	v_lshlrev_b32_e32 v9, 16, v5
	global_store_b32 v[3:4], v9, off
.LBB209_1756:
	s_mov_b32 s0, 0
.LBB209_1757:
	s_delay_alu instid0(SALU_CYCLE_1)
	s_and_not1_b32 vcc_lo, exec_lo, s0
	s_cbranch_vccnz .LBB209_1759
; %bb.1758:
	v_lshlrev_b32_e32 v9, 16, v5
	s_delay_alu instid0(VALU_DEP_1)
	v_cvt_f16_f32_e32 v9, v9
	global_store_b16 v[3:4], v9, off
.LBB209_1759:
	s_mov_b32 s0, 0
.LBB209_1760:
	s_delay_alu instid0(SALU_CYCLE_1)
	s_and_not1_b32 vcc_lo, exec_lo, s0
	s_cbranch_vccnz .LBB209_1776
; %bb.1761:
	v_cmp_gt_i16_e32 vcc_lo, 2, v6
	s_mov_b32 s0, -1
	s_cbranch_vccnz .LBB209_1771
; %bb.1762:
	v_cmp_gt_i16_e32 vcc_lo, 3, v6
	s_cbranch_vccnz .LBB209_1768
; %bb.1763:
	v_cmp_lt_i16_e32 vcc_lo, 3, v6
	s_cbranch_vccz .LBB209_1765
; %bb.1764:
	v_lshlrev_b32_e32 v9, 16, v5
	s_mov_b32 s0, 0
	s_delay_alu instid0(VALU_DEP_1) | instskip(NEXT) | instid1(VALU_DEP_1)
	v_trunc_f32_e32 v9, v9
	v_mul_f32_e64 v10, 0x2f800000, |v9|
	v_ashrrev_i32_e32 v13, 31, v9
	s_delay_alu instid0(VALU_DEP_2) | instskip(NEXT) | instid1(VALU_DEP_1)
	v_floor_f32_e32 v10, v10
	v_fma_f32 v12, 0xcf800000, v10, |v9|
	v_cvt_u32_f32_e32 v10, v10
	s_delay_alu instid0(VALU_DEP_2) | instskip(NEXT) | instid1(VALU_DEP_2)
	v_cvt_u32_f32_e32 v9, v12
	v_xor_b32_e32 v10, v10, v13
	s_delay_alu instid0(VALU_DEP_2) | instskip(NEXT) | instid1(VALU_DEP_1)
	v_xor_b32_e32 v9, v9, v13
	v_sub_co_u32 v9, vcc_lo, v9, v13
	s_delay_alu instid0(VALU_DEP_3)
	v_sub_co_ci_u32_e32 v10, vcc_lo, v10, v13, vcc_lo
	global_store_b64 v[3:4], v[9:10], off
.LBB209_1765:
	s_and_not1_b32 vcc_lo, exec_lo, s0
	s_cbranch_vccnz .LBB209_1767
; %bb.1766:
	v_lshlrev_b32_e32 v9, 16, v5
	s_delay_alu instid0(VALU_DEP_1)
	v_cvt_i32_f32_e32 v9, v9
	global_store_b32 v[3:4], v9, off
.LBB209_1767:
	s_mov_b32 s0, 0
.LBB209_1768:
	s_delay_alu instid0(SALU_CYCLE_1)
	s_and_not1_b32 vcc_lo, exec_lo, s0
	s_cbranch_vccnz .LBB209_1770
; %bb.1769:
	v_lshlrev_b32_e32 v9, 16, v5
	s_delay_alu instid0(VALU_DEP_1)
	v_cvt_i32_f32_e32 v9, v9
	global_store_b16 v[3:4], v9, off
.LBB209_1770:
	s_mov_b32 s0, 0
.LBB209_1771:
	s_delay_alu instid0(SALU_CYCLE_1)
	s_and_not1_b32 vcc_lo, exec_lo, s0
	s_cbranch_vccnz .LBB209_1776
; %bb.1772:
	v_cmp_lt_i16_e32 vcc_lo, 0, v6
	s_mov_b32 s0, -1
	s_cbranch_vccz .LBB209_1774
; %bb.1773:
	v_lshlrev_b32_e32 v9, 16, v5
	s_mov_b32 s0, 0
	s_delay_alu instid0(VALU_DEP_1)
	v_cvt_i32_f32_e32 v9, v9
	global_store_b8 v[3:4], v9, off
.LBB209_1774:
	s_and_not1_b32 vcc_lo, exec_lo, s0
	s_cbranch_vccnz .LBB209_1776
; %bb.1775:
	v_lshlrev_b32_e32 v5, 16, v5
	s_delay_alu instid0(VALU_DEP_1) | instskip(NEXT) | instid1(VALU_DEP_1)
	v_trunc_f32_e32 v5, v5
	v_mul_f32_e64 v9, 0x2f800000, |v5|
	s_delay_alu instid0(VALU_DEP_1) | instskip(NEXT) | instid1(VALU_DEP_1)
	v_floor_f32_e32 v9, v9
	v_fma_f32 v9, 0xcf800000, v9, |v5|
	v_ashrrev_i32_e32 v5, 31, v5
	s_delay_alu instid0(VALU_DEP_2) | instskip(NEXT) | instid1(VALU_DEP_1)
	v_cvt_u32_f32_e32 v9, v9
	v_xor_b32_e32 v9, v9, v5
	s_delay_alu instid0(VALU_DEP_1)
	v_sub_nc_u32_e32 v5, v9, v5
	global_store_b8 v[3:4], v5, off
.LBB209_1776:
	s_mov_b32 s3, -1
.LBB209_1777:
	s_delay_alu instid0(SALU_CYCLE_1)
	s_and_not1_b32 vcc_lo, exec_lo, s3
	s_cbranch_vccnz .LBB209_2090
; %bb.1778:
	s_waitcnt vmcnt(0)
	v_lshlrev_b32_e32 v3, 16, v8
	v_add_co_u32 v2, s0, s4, v2
	s_mov_b32 s3, 0
	s_delay_alu instid0(VALU_DEP_2) | instskip(NEXT) | instid1(VALU_DEP_1)
	v_cvt_f64_f32_e32 v[3:4], v3
	v_rsq_f64_e32 v[8:9], v[3:4]
	s_waitcnt_depctr 0xfff
	v_mul_f64 v[3:4], v[8:9], -v[3:4]
	v_cmp_class_f64_e64 vcc_lo, v[8:9], 0x180
	s_delay_alu instid0(VALU_DEP_2) | instskip(NEXT) | instid1(VALU_DEP_1)
	v_fma_f64 v[3:4], v[3:4], v[8:9], 1.0
	v_mul_f64 v[12:13], v[8:9], v[3:4]
	v_fma_f64 v[3:4], 0x3fd80000, v[3:4], 0.5
	s_delay_alu instid0(VALU_DEP_1) | instskip(NEXT) | instid1(VALU_DEP_1)
	v_fma_f64 v[3:4], v[12:13], v[3:4], v[8:9]
	v_dual_cndmask_b32 v4, v9, v4 :: v_dual_cndmask_b32 v3, v8, v3
	v_cmp_gt_i16_e32 vcc_lo, 11, v6
	s_delay_alu instid0(VALU_DEP_2) | instskip(SKIP_1) | instid1(VALU_DEP_1)
	v_cvt_f32_f64_e32 v4, v[3:4]
	s_and_b32 vcc_lo, exec_lo, vcc_lo
	v_bfe_u32 v3, v4, 16, 1
	s_delay_alu instid0(VALU_DEP_1) | instskip(NEXT) | instid1(VALU_DEP_1)
	v_add3_u32 v3, v4, v3, 0x7fff
	v_lshrrev_b32_e32 v5, 16, v3
	v_add_co_ci_u32_e64 v3, null, s5, 0, s0
	v_cmp_o_f32_e64 s0, v4, v4
	s_delay_alu instid0(VALU_DEP_1)
	v_cndmask_b32_e64 v4, 0x7fc0, v5, s0
	s_mov_b32 s0, -1
	s_cbranch_vccnz .LBB209_1856
; %bb.1779:
	v_cmp_lt_i16_e32 vcc_lo, 25, v6
	s_mov_b32 s6, -1
	s_mov_b32 s2, 0
	s_mov_b32 s0, 0
	s_cbranch_vccz .LBB209_1812
; %bb.1780:
	v_cmp_lt_i16_e32 vcc_lo, 28, v6
	s_cbranch_vccz .LBB209_1795
; %bb.1781:
	v_cmp_lt_i16_e32 vcc_lo, 43, v6
	s_cbranch_vccz .LBB209_1791
; %bb.1782:
	v_cmp_lt_i16_e32 vcc_lo, 45, v6
	s_cbranch_vccz .LBB209_1785
; %bb.1783:
	v_cmp_eq_u16_e32 vcc_lo, 46, v6
	s_mov_b32 s0, -1
	s_mov_b32 s6, 0
	s_cbranch_vccz .LBB209_1785
; %bb.1784:
	v_and_b32_e32 v5, 0xffff, v4
	s_mov_b32 s0, 0
	s_mov_b32 s3, -1
	global_store_b32 v[2:3], v5, off
.LBB209_1785:
	s_and_b32 vcc_lo, exec_lo, s6
	s_cbranch_vccz .LBB209_1790
; %bb.1786:
	v_cmp_eq_u16_e32 vcc_lo, 44, v6
	s_mov_b32 s0, -1
	s_cbranch_vccz .LBB209_1790
; %bb.1787:
	v_and_b32_e32 v5, 0xffff, v4
	v_mov_b32_e32 v8, 0xff
	s_mov_b32 s3, exec_lo
	s_delay_alu instid0(VALU_DEP_2) | instskip(NEXT) | instid1(VALU_DEP_1)
	v_bfe_u32 v9, v5, 7, 8
	v_cmpx_ne_u32_e32 0xff, v9
; %bb.1788:
	v_lshlrev_b32_e32 v8, 16, v5
	v_and_b32_e32 v10, 64, v5
	v_lshrrev_b32_e32 v5, 7, v5
	s_delay_alu instid0(VALU_DEP_3) | instskip(NEXT) | instid1(VALU_DEP_3)
	v_and_or_b32 v8, 0x3f0000, v8, v9
	v_cmp_ne_u32_e32 vcc_lo, 0, v10
	s_delay_alu instid0(VALU_DEP_2) | instskip(NEXT) | instid1(VALU_DEP_1)
	v_cmp_ne_u32_e64 s0, 0, v8
	s_and_b32 s0, vcc_lo, s0
	s_delay_alu instid0(SALU_CYCLE_1) | instskip(NEXT) | instid1(VALU_DEP_1)
	v_cndmask_b32_e64 v8, 0, 1, s0
	v_add_nc_u32_e32 v8, v5, v8
; %bb.1789:
	s_or_b32 exec_lo, exec_lo, s3
	s_mov_b32 s0, 0
	s_mov_b32 s3, -1
	global_store_b8 v[2:3], v8, off
.LBB209_1790:
	s_mov_b32 s6, 0
.LBB209_1791:
	s_delay_alu instid0(SALU_CYCLE_1)
	s_and_b32 vcc_lo, exec_lo, s6
	s_cbranch_vccz .LBB209_1794
; %bb.1792:
	v_cmp_eq_u16_e32 vcc_lo, 29, v6
	s_mov_b32 s0, -1
	s_cbranch_vccz .LBB209_1794
; %bb.1793:
	v_lshlrev_b32_e32 v5, 16, v4
	s_mov_b32 s0, 0
	s_mov_b32 s3, -1
	s_delay_alu instid0(VALU_DEP_1) | instskip(NEXT) | instid1(VALU_DEP_1)
	v_trunc_f32_e32 v5, v5
	v_mul_f32_e32 v8, 0x2f800000, v5
	s_delay_alu instid0(VALU_DEP_1) | instskip(NEXT) | instid1(VALU_DEP_1)
	v_floor_f32_e32 v8, v8
	v_fmamk_f32 v5, v8, 0xcf800000, v5
	v_cvt_u32_f32_e32 v9, v8
	s_delay_alu instid0(VALU_DEP_2)
	v_cvt_u32_f32_e32 v8, v5
	global_store_b64 v[2:3], v[8:9], off
.LBB209_1794:
	s_mov_b32 s6, 0
.LBB209_1795:
	s_delay_alu instid0(SALU_CYCLE_1)
	s_and_b32 vcc_lo, exec_lo, s6
	s_cbranch_vccz .LBB209_1811
; %bb.1796:
	v_cmp_gt_i16_e32 vcc_lo, 27, v6
	s_mov_b32 s3, -1
	s_cbranch_vccnz .LBB209_1802
; %bb.1797:
	v_cmp_lt_i16_e32 vcc_lo, 27, v6
	s_cbranch_vccz .LBB209_1799
; %bb.1798:
	v_lshlrev_b32_e32 v5, 16, v4
	s_mov_b32 s3, 0
	s_delay_alu instid0(VALU_DEP_1)
	v_cvt_u32_f32_e32 v5, v5
	global_store_b32 v[2:3], v5, off
.LBB209_1799:
	s_and_not1_b32 vcc_lo, exec_lo, s3
	s_cbranch_vccnz .LBB209_1801
; %bb.1800:
	v_lshlrev_b32_e32 v5, 16, v4
	s_delay_alu instid0(VALU_DEP_1)
	v_cvt_u32_f32_e32 v5, v5
	global_store_b16 v[2:3], v5, off
.LBB209_1801:
	s_mov_b32 s3, 0
.LBB209_1802:
	s_delay_alu instid0(SALU_CYCLE_1)
	s_and_not1_b32 vcc_lo, exec_lo, s3
	s_cbranch_vccnz .LBB209_1810
; %bb.1803:
	v_dual_mov_b32 v10, 0x80 :: v_dual_lshlrev_b32 v9, 16, v4
	s_mov_b32 s3, exec_lo
	s_delay_alu instid0(VALU_DEP_1) | instskip(NEXT) | instid1(VALU_DEP_1)
	v_and_b32_e32 v8, 0x7fffffff, v9
	v_cmpx_gt_u32_e32 0x43800000, v8
	s_cbranch_execz .LBB209_1809
; %bb.1804:
	v_and_b32_e32 v5, 0xffff, v4
	v_cmp_lt_u32_e32 vcc_lo, 0x3bffffff, v8
	s_mov_b32 s6, 0
                                        ; implicit-def: $vgpr8
	s_and_saveexec_b32 s7, vcc_lo
	s_delay_alu instid0(SALU_CYCLE_1)
	s_xor_b32 s7, exec_lo, s7
	s_cbranch_execz .LBB209_2145
; %bb.1805:
	v_bfe_u32 v8, v5, 4, 1
	s_mov_b32 s6, exec_lo
	s_delay_alu instid0(VALU_DEP_1) | instskip(NEXT) | instid1(VALU_DEP_1)
	v_add3_u32 v8, v9, v8, 0x487ffff
                                        ; implicit-def: $vgpr9
	v_lshrrev_b32_e32 v8, 20, v8
	s_or_saveexec_b32 s7, s7
                                        ; implicit-def: $sgpr10
	s_delay_alu instid0(SALU_CYCLE_1)
	s_xor_b32 exec_lo, exec_lo, s7
	s_cbranch_execnz .LBB209_2146
.LBB209_1806:
	s_or_b32 exec_lo, exec_lo, s7
	v_mov_b32_e32 v10, s10
	s_and_saveexec_b32 s7, s6
.LBB209_1807:
	v_lshrrev_b32_e32 v5, 8, v5
	s_delay_alu instid0(VALU_DEP_1)
	v_and_or_b32 v10, 0x80, v5, v8
.LBB209_1808:
	s_or_b32 exec_lo, exec_lo, s7
.LBB209_1809:
	s_delay_alu instid0(SALU_CYCLE_1)
	s_or_b32 exec_lo, exec_lo, s3
	global_store_b8 v[2:3], v10, off
.LBB209_1810:
	s_mov_b32 s3, -1
.LBB209_1811:
	s_mov_b32 s6, 0
.LBB209_1812:
	s_delay_alu instid0(SALU_CYCLE_1)
	s_and_b32 vcc_lo, exec_lo, s6
	s_cbranch_vccz .LBB209_1852
; %bb.1813:
	v_cmp_lt_i16_e32 vcc_lo, 22, v6
	s_mov_b32 s2, -1
	s_cbranch_vccz .LBB209_1845
; %bb.1814:
	v_cmp_gt_i16_e32 vcc_lo, 24, v6
	s_cbranch_vccnz .LBB209_1834
; %bb.1815:
	v_cmp_lt_i16_e32 vcc_lo, 24, v6
	s_cbranch_vccz .LBB209_1823
; %bb.1816:
	v_dual_mov_b32 v10, 0x80 :: v_dual_lshlrev_b32 v9, 16, v4
	s_mov_b32 s2, exec_lo
	s_delay_alu instid0(VALU_DEP_1) | instskip(NEXT) | instid1(VALU_DEP_1)
	v_and_b32_e32 v8, 0x7fffffff, v9
	v_cmpx_gt_u32_e32 0x47800000, v8
	s_cbranch_execz .LBB209_1822
; %bb.1817:
	v_and_b32_e32 v5, 0xffff, v4
	v_cmp_lt_u32_e32 vcc_lo, 0x37ffffff, v8
	s_mov_b32 s3, 0
                                        ; implicit-def: $vgpr8
	s_and_saveexec_b32 s6, vcc_lo
	s_delay_alu instid0(SALU_CYCLE_1)
	s_xor_b32 s6, exec_lo, s6
	s_cbranch_execz .LBB209_2151
; %bb.1818:
	v_bfe_u32 v8, v5, 5, 1
	s_mov_b32 s3, exec_lo
	s_delay_alu instid0(VALU_DEP_1) | instskip(NEXT) | instid1(VALU_DEP_1)
	v_add3_u32 v8, v9, v8, 0x88fffff
                                        ; implicit-def: $vgpr9
	v_lshrrev_b32_e32 v8, 21, v8
	s_or_saveexec_b32 s6, s6
                                        ; implicit-def: $sgpr7
	s_delay_alu instid0(SALU_CYCLE_1)
	s_xor_b32 exec_lo, exec_lo, s6
	s_cbranch_execnz .LBB209_2152
.LBB209_1819:
	s_or_b32 exec_lo, exec_lo, s6
	v_mov_b32_e32 v10, s7
	s_and_saveexec_b32 s6, s3
.LBB209_1820:
	v_lshrrev_b32_e32 v5, 8, v5
	s_delay_alu instid0(VALU_DEP_1)
	v_and_or_b32 v10, 0x80, v5, v8
.LBB209_1821:
	s_or_b32 exec_lo, exec_lo, s6
.LBB209_1822:
	s_delay_alu instid0(SALU_CYCLE_1)
	s_or_b32 exec_lo, exec_lo, s2
	s_mov_b32 s2, 0
	global_store_b8 v[2:3], v10, off
.LBB209_1823:
	s_and_b32 vcc_lo, exec_lo, s2
	s_cbranch_vccz .LBB209_1833
; %bb.1824:
	v_lshlrev_b32_e32 v9, 16, v4
	v_and_b32_e32 v5, 0xffff, v4
	s_mov_b32 s2, exec_lo
                                        ; implicit-def: $vgpr8
	s_delay_alu instid0(VALU_DEP_2) | instskip(NEXT) | instid1(VALU_DEP_1)
	v_and_b32_e32 v10, 0x7fffffff, v9
	v_cmpx_gt_u32_e32 0x43f00000, v10
	s_xor_b32 s2, exec_lo, s2
	s_cbranch_execz .LBB209_1830
; %bb.1825:
	s_mov_b32 s3, exec_lo
                                        ; implicit-def: $vgpr8
	v_cmpx_lt_u32_e32 0x3c7fffff, v10
	s_xor_b32 s3, exec_lo, s3
; %bb.1826:
	v_bfe_u32 v8, v5, 4, 1
	s_delay_alu instid0(VALU_DEP_1) | instskip(NEXT) | instid1(VALU_DEP_1)
	v_add3_u32 v8, v9, v8, 0x407ffff
	v_and_b32_e32 v9, 0xff00000, v8
	v_lshrrev_b32_e32 v8, 20, v8
	s_delay_alu instid0(VALU_DEP_2) | instskip(NEXT) | instid1(VALU_DEP_2)
	v_cmp_ne_u32_e32 vcc_lo, 0x7f00000, v9
                                        ; implicit-def: $vgpr9
	v_cndmask_b32_e32 v8, 0x7e, v8, vcc_lo
; %bb.1827:
	s_and_not1_saveexec_b32 s3, s3
; %bb.1828:
	v_add_f32_e64 v8, 0x46800000, |v9|
; %bb.1829:
	s_or_b32 exec_lo, exec_lo, s3
                                        ; implicit-def: $vgpr10
.LBB209_1830:
	s_and_not1_saveexec_b32 s2, s2
; %bb.1831:
	v_mov_b32_e32 v8, 0x7f
	v_cmp_lt_u32_e32 vcc_lo, 0x7f800000, v10
	s_delay_alu instid0(VALU_DEP_2)
	v_cndmask_b32_e32 v8, 0x7e, v8, vcc_lo
; %bb.1832:
	s_or_b32 exec_lo, exec_lo, s2
	v_lshrrev_b32_e32 v5, 8, v5
	s_delay_alu instid0(VALU_DEP_1)
	v_and_or_b32 v5, 0x80, v5, v8
	global_store_b8 v[2:3], v5, off
.LBB209_1833:
	s_mov_b32 s2, 0
.LBB209_1834:
	s_delay_alu instid0(SALU_CYCLE_1)
	s_and_not1_b32 vcc_lo, exec_lo, s2
	s_cbranch_vccnz .LBB209_1844
; %bb.1835:
	v_lshlrev_b32_e32 v9, 16, v4
	v_and_b32_e32 v5, 0xffff, v4
	s_mov_b32 s2, exec_lo
                                        ; implicit-def: $vgpr8
	s_delay_alu instid0(VALU_DEP_2) | instskip(NEXT) | instid1(VALU_DEP_1)
	v_and_b32_e32 v10, 0x7fffffff, v9
	v_cmpx_gt_u32_e32 0x47800000, v10
	s_xor_b32 s2, exec_lo, s2
	s_cbranch_execz .LBB209_1841
; %bb.1836:
	s_mov_b32 s3, exec_lo
                                        ; implicit-def: $vgpr8
	v_cmpx_lt_u32_e32 0x387fffff, v10
	s_xor_b32 s3, exec_lo, s3
; %bb.1837:
	v_bfe_u32 v8, v5, 5, 1
	s_delay_alu instid0(VALU_DEP_1) | instskip(NEXT) | instid1(VALU_DEP_1)
	v_add3_u32 v8, v9, v8, 0x80fffff
                                        ; implicit-def: $vgpr9
	v_lshrrev_b32_e32 v8, 21, v8
; %bb.1838:
	s_and_not1_saveexec_b32 s3, s3
; %bb.1839:
	v_add_f32_e64 v8, 0x43000000, |v9|
; %bb.1840:
	s_or_b32 exec_lo, exec_lo, s3
                                        ; implicit-def: $vgpr10
.LBB209_1841:
	s_and_not1_saveexec_b32 s2, s2
; %bb.1842:
	v_mov_b32_e32 v8, 0x7f
	v_cmp_lt_u32_e32 vcc_lo, 0x7f800000, v10
	s_delay_alu instid0(VALU_DEP_2)
	v_cndmask_b32_e32 v8, 0x7c, v8, vcc_lo
; %bb.1843:
	s_or_b32 exec_lo, exec_lo, s2
	v_lshrrev_b32_e32 v5, 8, v5
	s_delay_alu instid0(VALU_DEP_1)
	v_and_or_b32 v5, 0x80, v5, v8
	global_store_b8 v[2:3], v5, off
.LBB209_1844:
	s_mov_b32 s2, 0
	s_mov_b32 s3, -1
.LBB209_1845:
	s_and_not1_b32 vcc_lo, exec_lo, s2
	s_mov_b32 s2, 0
	s_cbranch_vccnz .LBB209_1852
; %bb.1846:
	v_cmp_lt_i16_e32 vcc_lo, 14, v6
	s_mov_b32 s2, -1
	s_cbranch_vccz .LBB209_1850
; %bb.1847:
	v_cmp_eq_u16_e32 vcc_lo, 15, v6
	s_mov_b32 s0, -1
	s_cbranch_vccz .LBB209_1849
; %bb.1848:
	s_mov_b32 s0, 0
	s_mov_b32 s3, -1
	global_store_b16 v[2:3], v4, off
.LBB209_1849:
	s_mov_b32 s2, 0
.LBB209_1850:
	s_delay_alu instid0(SALU_CYCLE_1)
	s_and_b32 vcc_lo, exec_lo, s2
	s_mov_b32 s2, 0
	s_cbranch_vccz .LBB209_1852
; %bb.1851:
	v_cmp_ne_u16_e64 s0, 11, v6
	s_mov_b32 s2, -1
.LBB209_1852:
	s_delay_alu instid0(VALU_DEP_1)
	s_and_b32 vcc_lo, exec_lo, s0
	s_cbranch_vccnz .LBB209_2149
; %bb.1853:
	s_and_not1_b32 vcc_lo, exec_lo, s2
	s_cbranch_vccnz .LBB209_1855
.LBB209_1854:
	v_and_b32_e32 v5, 0x7fff, v4
	s_mov_b32 s3, -1
	s_delay_alu instid0(VALU_DEP_1)
	v_cmp_ne_u16_e32 vcc_lo, 0, v5
	v_cndmask_b32_e64 v5, 0, 1, vcc_lo
	global_store_b8 v[2:3], v5, off
.LBB209_1855:
	s_mov_b32 s0, 0
.LBB209_1856:
	s_delay_alu instid0(SALU_CYCLE_1)
	s_and_b32 vcc_lo, exec_lo, s0
	s_cbranch_vccz .LBB209_1895
; %bb.1857:
	v_cmp_gt_i16_e32 vcc_lo, 5, v6
	s_mov_b32 s0, -1
	s_cbranch_vccnz .LBB209_1878
; %bb.1858:
	v_cmp_gt_i16_e32 vcc_lo, 8, v6
	s_cbranch_vccnz .LBB209_1868
; %bb.1859:
	v_cmp_gt_i16_e32 vcc_lo, 9, v6
	s_cbranch_vccnz .LBB209_1865
; %bb.1860:
	v_cmp_lt_i16_e32 vcc_lo, 9, v6
	s_cbranch_vccz .LBB209_1862
; %bb.1861:
	v_dual_mov_b32 v14, 0 :: v_dual_lshlrev_b32 v5, 16, v4
	s_mov_b32 s0, 0
	s_delay_alu instid0(VALU_DEP_1) | instskip(NEXT) | instid1(VALU_DEP_2)
	v_cvt_f64_f32_e32 v[12:13], v5
	v_mov_b32_e32 v15, v14
	global_store_b128 v[2:3], v[12:15], off
.LBB209_1862:
	s_and_not1_b32 vcc_lo, exec_lo, s0
	s_cbranch_vccnz .LBB209_1864
; %bb.1863:
	v_dual_mov_b32 v9, 0 :: v_dual_lshlrev_b32 v8, 16, v4
	global_store_b64 v[2:3], v[8:9], off
.LBB209_1864:
	s_mov_b32 s0, 0
.LBB209_1865:
	s_delay_alu instid0(SALU_CYCLE_1)
	s_and_not1_b32 vcc_lo, exec_lo, s0
	s_cbranch_vccnz .LBB209_1867
; %bb.1866:
	v_lshlrev_b32_e32 v5, 16, v4
	s_delay_alu instid0(VALU_DEP_1) | instskip(NEXT) | instid1(VALU_DEP_1)
	v_cvt_f16_f32_e32 v5, v5
	v_and_b32_e32 v5, 0xffff, v5
	global_store_b32 v[2:3], v5, off
.LBB209_1867:
	s_mov_b32 s0, 0
.LBB209_1868:
	s_delay_alu instid0(SALU_CYCLE_1)
	s_and_not1_b32 vcc_lo, exec_lo, s0
	s_cbranch_vccnz .LBB209_1877
; %bb.1869:
	v_cmp_gt_i16_e32 vcc_lo, 6, v6
	s_mov_b32 s0, -1
	s_cbranch_vccnz .LBB209_1875
; %bb.1870:
	v_cmp_lt_i16_e32 vcc_lo, 6, v6
	s_cbranch_vccz .LBB209_1872
; %bb.1871:
	v_lshlrev_b32_e32 v5, 16, v4
	s_mov_b32 s0, 0
	s_delay_alu instid0(VALU_DEP_1)
	v_cvt_f64_f32_e32 v[8:9], v5
	global_store_b64 v[2:3], v[8:9], off
.LBB209_1872:
	s_and_not1_b32 vcc_lo, exec_lo, s0
	s_cbranch_vccnz .LBB209_1874
; %bb.1873:
	v_lshlrev_b32_e32 v5, 16, v4
	global_store_b32 v[2:3], v5, off
.LBB209_1874:
	s_mov_b32 s0, 0
.LBB209_1875:
	s_delay_alu instid0(SALU_CYCLE_1)
	s_and_not1_b32 vcc_lo, exec_lo, s0
	s_cbranch_vccnz .LBB209_1877
; %bb.1876:
	v_lshlrev_b32_e32 v5, 16, v4
	s_delay_alu instid0(VALU_DEP_1)
	v_cvt_f16_f32_e32 v5, v5
	global_store_b16 v[2:3], v5, off
.LBB209_1877:
	s_mov_b32 s0, 0
.LBB209_1878:
	s_delay_alu instid0(SALU_CYCLE_1)
	s_and_not1_b32 vcc_lo, exec_lo, s0
	s_cbranch_vccnz .LBB209_1894
; %bb.1879:
	v_cmp_gt_i16_e32 vcc_lo, 2, v6
	s_mov_b32 s0, -1
	s_cbranch_vccnz .LBB209_1889
; %bb.1880:
	v_cmp_gt_i16_e32 vcc_lo, 3, v6
	s_cbranch_vccnz .LBB209_1886
; %bb.1881:
	v_cmp_lt_i16_e32 vcc_lo, 3, v6
	s_cbranch_vccz .LBB209_1883
; %bb.1882:
	v_lshlrev_b32_e32 v5, 16, v4
	s_mov_b32 s0, 0
	s_delay_alu instid0(VALU_DEP_1) | instskip(NEXT) | instid1(VALU_DEP_1)
	v_trunc_f32_e32 v5, v5
	v_mul_f32_e64 v8, 0x2f800000, |v5|
	s_delay_alu instid0(VALU_DEP_1) | instskip(NEXT) | instid1(VALU_DEP_1)
	v_floor_f32_e32 v8, v8
	v_fma_f32 v9, 0xcf800000, v8, |v5|
	v_ashrrev_i32_e32 v5, 31, v5
	v_cvt_u32_f32_e32 v8, v8
	s_delay_alu instid0(VALU_DEP_3) | instskip(NEXT) | instid1(VALU_DEP_2)
	v_cvt_u32_f32_e32 v9, v9
	v_xor_b32_e32 v10, v8, v5
	s_delay_alu instid0(VALU_DEP_2) | instskip(NEXT) | instid1(VALU_DEP_1)
	v_xor_b32_e32 v9, v9, v5
	v_sub_co_u32 v8, vcc_lo, v9, v5
	s_delay_alu instid0(VALU_DEP_3)
	v_sub_co_ci_u32_e32 v9, vcc_lo, v10, v5, vcc_lo
	global_store_b64 v[2:3], v[8:9], off
.LBB209_1883:
	s_and_not1_b32 vcc_lo, exec_lo, s0
	s_cbranch_vccnz .LBB209_1885
; %bb.1884:
	v_lshlrev_b32_e32 v5, 16, v4
	s_delay_alu instid0(VALU_DEP_1)
	v_cvt_i32_f32_e32 v5, v5
	global_store_b32 v[2:3], v5, off
.LBB209_1885:
	s_mov_b32 s0, 0
.LBB209_1886:
	s_delay_alu instid0(SALU_CYCLE_1)
	s_and_not1_b32 vcc_lo, exec_lo, s0
	s_cbranch_vccnz .LBB209_1888
; %bb.1887:
	v_lshlrev_b32_e32 v5, 16, v4
	s_delay_alu instid0(VALU_DEP_1)
	v_cvt_i32_f32_e32 v5, v5
	global_store_b16 v[2:3], v5, off
.LBB209_1888:
	s_mov_b32 s0, 0
.LBB209_1889:
	s_delay_alu instid0(SALU_CYCLE_1)
	s_and_not1_b32 vcc_lo, exec_lo, s0
	s_cbranch_vccnz .LBB209_1894
; %bb.1890:
	v_cmp_lt_i16_e32 vcc_lo, 0, v6
	v_lshlrev_b32_e32 v4, 16, v4
	s_mov_b32 s0, -1
	s_cbranch_vccz .LBB209_1892
; %bb.1891:
	s_delay_alu instid0(VALU_DEP_1)
	v_cvt_i32_f32_e32 v5, v4
	s_mov_b32 s0, 0
	global_store_b8 v[2:3], v5, off
.LBB209_1892:
	s_and_not1_b32 vcc_lo, exec_lo, s0
	s_cbranch_vccnz .LBB209_1894
; %bb.1893:
	v_trunc_f32_e32 v4, v4
	s_delay_alu instid0(VALU_DEP_1) | instskip(NEXT) | instid1(VALU_DEP_1)
	v_mul_f32_e64 v5, 0x2f800000, |v4|
	v_floor_f32_e32 v5, v5
	s_delay_alu instid0(VALU_DEP_1) | instskip(SKIP_1) | instid1(VALU_DEP_2)
	v_fma_f32 v5, 0xcf800000, v5, |v4|
	v_ashrrev_i32_e32 v4, 31, v4
	v_cvt_u32_f32_e32 v5, v5
	s_delay_alu instid0(VALU_DEP_1) | instskip(NEXT) | instid1(VALU_DEP_1)
	v_xor_b32_e32 v5, v5, v4
	v_sub_nc_u32_e32 v4, v5, v4
	global_store_b8 v[2:3], v4, off
.LBB209_1894:
	s_mov_b32 s3, -1
.LBB209_1895:
	s_delay_alu instid0(SALU_CYCLE_1)
	s_and_not1_b32 vcc_lo, exec_lo, s3
	s_cbranch_vccnz .LBB209_2090
; %bb.1896:
	v_lshlrev_b32_e32 v2, 16, v7
	v_add_co_u32 v1, s0, s4, v1
	s_mov_b32 s3, 0
	s_delay_alu instid0(VALU_DEP_2) | instskip(NEXT) | instid1(VALU_DEP_1)
	v_cvt_f64_f32_e32 v[2:3], v2
	v_rsq_f64_e32 v[4:5], v[2:3]
	s_waitcnt_depctr 0xfff
	v_mul_f64 v[2:3], v[4:5], -v[2:3]
	v_cmp_class_f64_e64 vcc_lo, v[4:5], 0x180
	s_delay_alu instid0(VALU_DEP_2) | instskip(NEXT) | instid1(VALU_DEP_1)
	v_fma_f64 v[2:3], v[2:3], v[4:5], 1.0
	v_mul_f64 v[7:8], v[4:5], v[2:3]
	v_fma_f64 v[2:3], 0x3fd80000, v[2:3], 0.5
	s_delay_alu instid0(VALU_DEP_1) | instskip(NEXT) | instid1(VALU_DEP_1)
	v_fma_f64 v[2:3], v[7:8], v[2:3], v[4:5]
	v_dual_cndmask_b32 v3, v5, v3 :: v_dual_cndmask_b32 v2, v4, v2
	v_cmp_gt_i16_e32 vcc_lo, 11, v6
	s_delay_alu instid0(VALU_DEP_2) | instskip(SKIP_1) | instid1(VALU_DEP_1)
	v_cvt_f32_f64_e32 v3, v[2:3]
	s_and_b32 vcc_lo, exec_lo, vcc_lo
	v_bfe_u32 v2, v3, 16, 1
	s_delay_alu instid0(VALU_DEP_1) | instskip(NEXT) | instid1(VALU_DEP_1)
	v_add3_u32 v2, v3, v2, 0x7fff
	v_lshrrev_b32_e32 v4, 16, v2
	v_add_co_ci_u32_e64 v2, null, s5, 0, s0
	v_cmp_o_f32_e64 s0, v3, v3
	s_delay_alu instid0(VALU_DEP_1)
	v_cndmask_b32_e64 v3, 0x7fc0, v4, s0
	s_mov_b32 s0, -1
	s_cbranch_vccnz .LBB209_1974
; %bb.1897:
	v_cmp_lt_i16_e32 vcc_lo, 25, v6
	s_mov_b32 s6, -1
	s_mov_b32 s2, 0
	s_mov_b32 s0, 0
	s_cbranch_vccz .LBB209_1930
; %bb.1898:
	v_cmp_lt_i16_e32 vcc_lo, 28, v6
	s_cbranch_vccz .LBB209_1913
; %bb.1899:
	v_cmp_lt_i16_e32 vcc_lo, 43, v6
	;; [unrolled: 3-line block ×3, first 2 shown]
	s_cbranch_vccz .LBB209_1903
; %bb.1901:
	v_cmp_eq_u16_e32 vcc_lo, 46, v6
	s_mov_b32 s0, -1
	s_mov_b32 s6, 0
	s_cbranch_vccz .LBB209_1903
; %bb.1902:
	v_and_b32_e32 v4, 0xffff, v3
	s_mov_b32 s0, 0
	s_mov_b32 s3, -1
	global_store_b32 v[1:2], v4, off
.LBB209_1903:
	s_and_b32 vcc_lo, exec_lo, s6
	s_cbranch_vccz .LBB209_1908
; %bb.1904:
	v_cmp_eq_u16_e32 vcc_lo, 44, v6
	s_mov_b32 s0, -1
	s_cbranch_vccz .LBB209_1908
; %bb.1905:
	v_and_b32_e32 v4, 0xffff, v3
	v_mov_b32_e32 v5, 0xff
	s_mov_b32 s3, exec_lo
	s_delay_alu instid0(VALU_DEP_2) | instskip(NEXT) | instid1(VALU_DEP_1)
	v_bfe_u32 v7, v4, 7, 8
	v_cmpx_ne_u32_e32 0xff, v7
; %bb.1906:
	v_lshlrev_b32_e32 v5, 16, v4
	v_and_b32_e32 v8, 64, v4
	v_lshrrev_b32_e32 v4, 7, v4
	s_delay_alu instid0(VALU_DEP_3) | instskip(NEXT) | instid1(VALU_DEP_3)
	v_and_or_b32 v5, 0x3f0000, v5, v7
	v_cmp_ne_u32_e32 vcc_lo, 0, v8
	s_delay_alu instid0(VALU_DEP_2) | instskip(NEXT) | instid1(VALU_DEP_1)
	v_cmp_ne_u32_e64 s0, 0, v5
	s_and_b32 s0, vcc_lo, s0
	s_delay_alu instid0(SALU_CYCLE_1) | instskip(NEXT) | instid1(VALU_DEP_1)
	v_cndmask_b32_e64 v5, 0, 1, s0
	v_add_nc_u32_e32 v5, v4, v5
; %bb.1907:
	s_or_b32 exec_lo, exec_lo, s3
	s_mov_b32 s0, 0
	s_mov_b32 s3, -1
	global_store_b8 v[1:2], v5, off
.LBB209_1908:
	s_mov_b32 s6, 0
.LBB209_1909:
	s_delay_alu instid0(SALU_CYCLE_1)
	s_and_b32 vcc_lo, exec_lo, s6
	s_cbranch_vccz .LBB209_1912
; %bb.1910:
	v_cmp_eq_u16_e32 vcc_lo, 29, v6
	s_mov_b32 s0, -1
	s_cbranch_vccz .LBB209_1912
; %bb.1911:
	v_lshlrev_b32_e32 v4, 16, v3
	s_mov_b32 s0, 0
	s_mov_b32 s3, -1
	s_delay_alu instid0(VALU_DEP_1) | instskip(NEXT) | instid1(VALU_DEP_1)
	v_trunc_f32_e32 v4, v4
	v_mul_f32_e32 v5, 0x2f800000, v4
	s_delay_alu instid0(VALU_DEP_1) | instskip(NEXT) | instid1(VALU_DEP_1)
	v_floor_f32_e32 v5, v5
	v_fmamk_f32 v4, v5, 0xcf800000, v4
	v_cvt_u32_f32_e32 v5, v5
	s_delay_alu instid0(VALU_DEP_2)
	v_cvt_u32_f32_e32 v4, v4
	global_store_b64 v[1:2], v[4:5], off
.LBB209_1912:
	s_mov_b32 s6, 0
.LBB209_1913:
	s_delay_alu instid0(SALU_CYCLE_1)
	s_and_b32 vcc_lo, exec_lo, s6
	s_cbranch_vccz .LBB209_1929
; %bb.1914:
	v_cmp_gt_i16_e32 vcc_lo, 27, v6
	s_mov_b32 s3, -1
	s_cbranch_vccnz .LBB209_1920
; %bb.1915:
	v_cmp_lt_i16_e32 vcc_lo, 27, v6
	s_cbranch_vccz .LBB209_1917
; %bb.1916:
	v_lshlrev_b32_e32 v4, 16, v3
	s_mov_b32 s3, 0
	s_delay_alu instid0(VALU_DEP_1)
	v_cvt_u32_f32_e32 v4, v4
	global_store_b32 v[1:2], v4, off
.LBB209_1917:
	s_and_not1_b32 vcc_lo, exec_lo, s3
	s_cbranch_vccnz .LBB209_1919
; %bb.1918:
	v_lshlrev_b32_e32 v4, 16, v3
	s_delay_alu instid0(VALU_DEP_1)
	v_cvt_u32_f32_e32 v4, v4
	global_store_b16 v[1:2], v4, off
.LBB209_1919:
	s_mov_b32 s3, 0
.LBB209_1920:
	s_delay_alu instid0(SALU_CYCLE_1)
	s_and_not1_b32 vcc_lo, exec_lo, s3
	s_cbranch_vccnz .LBB209_1928
; %bb.1921:
	v_dual_mov_b32 v8, 0x80 :: v_dual_lshlrev_b32 v7, 16, v3
	s_mov_b32 s3, exec_lo
	s_delay_alu instid0(VALU_DEP_1) | instskip(NEXT) | instid1(VALU_DEP_1)
	v_and_b32_e32 v5, 0x7fffffff, v7
	v_cmpx_gt_u32_e32 0x43800000, v5
	s_cbranch_execz .LBB209_1927
; %bb.1922:
	v_and_b32_e32 v4, 0xffff, v3
	v_cmp_lt_u32_e32 vcc_lo, 0x3bffffff, v5
	s_mov_b32 s6, 0
                                        ; implicit-def: $vgpr5
	s_and_saveexec_b32 s7, vcc_lo
	s_delay_alu instid0(SALU_CYCLE_1)
	s_xor_b32 s7, exec_lo, s7
	s_cbranch_execz .LBB209_2153
; %bb.1923:
	v_bfe_u32 v5, v4, 4, 1
	s_mov_b32 s6, exec_lo
	s_delay_alu instid0(VALU_DEP_1) | instskip(NEXT) | instid1(VALU_DEP_1)
	v_add3_u32 v5, v7, v5, 0x487ffff
                                        ; implicit-def: $vgpr7
	v_lshrrev_b32_e32 v5, 20, v5
	s_or_saveexec_b32 s7, s7
                                        ; implicit-def: $sgpr10
	s_delay_alu instid0(SALU_CYCLE_1)
	s_xor_b32 exec_lo, exec_lo, s7
	s_cbranch_execnz .LBB209_2154
.LBB209_1924:
	s_or_b32 exec_lo, exec_lo, s7
	v_mov_b32_e32 v8, s10
	s_and_saveexec_b32 s7, s6
.LBB209_1925:
	v_lshrrev_b32_e32 v4, 8, v4
	s_delay_alu instid0(VALU_DEP_1)
	v_and_or_b32 v8, 0x80, v4, v5
.LBB209_1926:
	s_or_b32 exec_lo, exec_lo, s7
.LBB209_1927:
	s_delay_alu instid0(SALU_CYCLE_1)
	s_or_b32 exec_lo, exec_lo, s3
	global_store_b8 v[1:2], v8, off
.LBB209_1928:
	s_mov_b32 s3, -1
.LBB209_1929:
	s_mov_b32 s6, 0
.LBB209_1930:
	s_delay_alu instid0(SALU_CYCLE_1)
	s_and_b32 vcc_lo, exec_lo, s6
	s_cbranch_vccz .LBB209_1970
; %bb.1931:
	v_cmp_lt_i16_e32 vcc_lo, 22, v6
	s_mov_b32 s2, -1
	s_cbranch_vccz .LBB209_1963
; %bb.1932:
	v_cmp_gt_i16_e32 vcc_lo, 24, v6
	s_cbranch_vccnz .LBB209_1952
; %bb.1933:
	v_cmp_lt_i16_e32 vcc_lo, 24, v6
	s_cbranch_vccz .LBB209_1941
; %bb.1934:
	v_dual_mov_b32 v8, 0x80 :: v_dual_lshlrev_b32 v7, 16, v3
	s_mov_b32 s2, exec_lo
	s_delay_alu instid0(VALU_DEP_1) | instskip(NEXT) | instid1(VALU_DEP_1)
	v_and_b32_e32 v5, 0x7fffffff, v7
	v_cmpx_gt_u32_e32 0x47800000, v5
	s_cbranch_execz .LBB209_1940
; %bb.1935:
	v_and_b32_e32 v4, 0xffff, v3
	v_cmp_lt_u32_e32 vcc_lo, 0x37ffffff, v5
	s_mov_b32 s3, 0
                                        ; implicit-def: $vgpr5
	s_and_saveexec_b32 s6, vcc_lo
	s_delay_alu instid0(SALU_CYCLE_1)
	s_xor_b32 s6, exec_lo, s6
	s_cbranch_execz .LBB209_2159
; %bb.1936:
	v_bfe_u32 v5, v4, 5, 1
	s_mov_b32 s3, exec_lo
	s_delay_alu instid0(VALU_DEP_1) | instskip(NEXT) | instid1(VALU_DEP_1)
	v_add3_u32 v5, v7, v5, 0x88fffff
                                        ; implicit-def: $vgpr7
	v_lshrrev_b32_e32 v5, 21, v5
	s_or_saveexec_b32 s6, s6
                                        ; implicit-def: $sgpr7
	s_delay_alu instid0(SALU_CYCLE_1)
	s_xor_b32 exec_lo, exec_lo, s6
	s_cbranch_execnz .LBB209_2160
.LBB209_1937:
	s_or_b32 exec_lo, exec_lo, s6
	v_mov_b32_e32 v8, s7
	s_and_saveexec_b32 s6, s3
.LBB209_1938:
	v_lshrrev_b32_e32 v4, 8, v4
	s_delay_alu instid0(VALU_DEP_1)
	v_and_or_b32 v8, 0x80, v4, v5
.LBB209_1939:
	s_or_b32 exec_lo, exec_lo, s6
.LBB209_1940:
	s_delay_alu instid0(SALU_CYCLE_1)
	s_or_b32 exec_lo, exec_lo, s2
	s_mov_b32 s2, 0
	global_store_b8 v[1:2], v8, off
.LBB209_1941:
	s_and_b32 vcc_lo, exec_lo, s2
	s_cbranch_vccz .LBB209_1951
; %bb.1942:
	v_lshlrev_b32_e32 v7, 16, v3
	v_and_b32_e32 v4, 0xffff, v3
	s_mov_b32 s2, exec_lo
                                        ; implicit-def: $vgpr5
	s_delay_alu instid0(VALU_DEP_2) | instskip(NEXT) | instid1(VALU_DEP_1)
	v_and_b32_e32 v8, 0x7fffffff, v7
	v_cmpx_gt_u32_e32 0x43f00000, v8
	s_xor_b32 s2, exec_lo, s2
	s_cbranch_execz .LBB209_1948
; %bb.1943:
	s_mov_b32 s3, exec_lo
                                        ; implicit-def: $vgpr5
	v_cmpx_lt_u32_e32 0x3c7fffff, v8
	s_xor_b32 s3, exec_lo, s3
; %bb.1944:
	v_bfe_u32 v5, v4, 4, 1
	s_delay_alu instid0(VALU_DEP_1) | instskip(NEXT) | instid1(VALU_DEP_1)
	v_add3_u32 v5, v7, v5, 0x407ffff
	v_and_b32_e32 v7, 0xff00000, v5
	v_lshrrev_b32_e32 v5, 20, v5
	s_delay_alu instid0(VALU_DEP_2) | instskip(NEXT) | instid1(VALU_DEP_2)
	v_cmp_ne_u32_e32 vcc_lo, 0x7f00000, v7
                                        ; implicit-def: $vgpr7
	v_cndmask_b32_e32 v5, 0x7e, v5, vcc_lo
; %bb.1945:
	s_and_not1_saveexec_b32 s3, s3
; %bb.1946:
	v_add_f32_e64 v5, 0x46800000, |v7|
; %bb.1947:
	s_or_b32 exec_lo, exec_lo, s3
                                        ; implicit-def: $vgpr8
.LBB209_1948:
	s_and_not1_saveexec_b32 s2, s2
; %bb.1949:
	v_mov_b32_e32 v5, 0x7f
	v_cmp_lt_u32_e32 vcc_lo, 0x7f800000, v8
	s_delay_alu instid0(VALU_DEP_2)
	v_cndmask_b32_e32 v5, 0x7e, v5, vcc_lo
; %bb.1950:
	s_or_b32 exec_lo, exec_lo, s2
	v_lshrrev_b32_e32 v4, 8, v4
	s_delay_alu instid0(VALU_DEP_1)
	v_and_or_b32 v4, 0x80, v4, v5
	global_store_b8 v[1:2], v4, off
.LBB209_1951:
	s_mov_b32 s2, 0
.LBB209_1952:
	s_delay_alu instid0(SALU_CYCLE_1)
	s_and_not1_b32 vcc_lo, exec_lo, s2
	s_cbranch_vccnz .LBB209_1962
; %bb.1953:
	v_lshlrev_b32_e32 v7, 16, v3
	v_and_b32_e32 v4, 0xffff, v3
	s_mov_b32 s2, exec_lo
                                        ; implicit-def: $vgpr5
	s_delay_alu instid0(VALU_DEP_2) | instskip(NEXT) | instid1(VALU_DEP_1)
	v_and_b32_e32 v8, 0x7fffffff, v7
	v_cmpx_gt_u32_e32 0x47800000, v8
	s_xor_b32 s2, exec_lo, s2
	s_cbranch_execz .LBB209_1959
; %bb.1954:
	s_mov_b32 s3, exec_lo
                                        ; implicit-def: $vgpr5
	v_cmpx_lt_u32_e32 0x387fffff, v8
	s_xor_b32 s3, exec_lo, s3
; %bb.1955:
	v_bfe_u32 v5, v4, 5, 1
	s_delay_alu instid0(VALU_DEP_1) | instskip(NEXT) | instid1(VALU_DEP_1)
	v_add3_u32 v5, v7, v5, 0x80fffff
                                        ; implicit-def: $vgpr7
	v_lshrrev_b32_e32 v5, 21, v5
; %bb.1956:
	s_and_not1_saveexec_b32 s3, s3
; %bb.1957:
	v_add_f32_e64 v5, 0x43000000, |v7|
; %bb.1958:
	s_or_b32 exec_lo, exec_lo, s3
                                        ; implicit-def: $vgpr8
.LBB209_1959:
	s_and_not1_saveexec_b32 s2, s2
; %bb.1960:
	v_mov_b32_e32 v5, 0x7f
	v_cmp_lt_u32_e32 vcc_lo, 0x7f800000, v8
	s_delay_alu instid0(VALU_DEP_2)
	v_cndmask_b32_e32 v5, 0x7c, v5, vcc_lo
; %bb.1961:
	s_or_b32 exec_lo, exec_lo, s2
	v_lshrrev_b32_e32 v4, 8, v4
	s_delay_alu instid0(VALU_DEP_1)
	v_and_or_b32 v4, 0x80, v4, v5
	global_store_b8 v[1:2], v4, off
.LBB209_1962:
	s_mov_b32 s2, 0
	s_mov_b32 s3, -1
.LBB209_1963:
	s_and_not1_b32 vcc_lo, exec_lo, s2
	s_mov_b32 s2, 0
	s_cbranch_vccnz .LBB209_1970
; %bb.1964:
	v_cmp_lt_i16_e32 vcc_lo, 14, v6
	s_mov_b32 s2, -1
	s_cbranch_vccz .LBB209_1968
; %bb.1965:
	v_cmp_eq_u16_e32 vcc_lo, 15, v6
	s_mov_b32 s0, -1
	s_cbranch_vccz .LBB209_1967
; %bb.1966:
	s_mov_b32 s0, 0
	s_mov_b32 s3, -1
	global_store_b16 v[1:2], v3, off
.LBB209_1967:
	s_mov_b32 s2, 0
.LBB209_1968:
	s_delay_alu instid0(SALU_CYCLE_1)
	s_and_b32 vcc_lo, exec_lo, s2
	s_mov_b32 s2, 0
	s_cbranch_vccz .LBB209_1970
; %bb.1969:
	v_cmp_ne_u16_e64 s0, 11, v6
	s_mov_b32 s2, -1
.LBB209_1970:
	s_delay_alu instid0(VALU_DEP_1)
	s_and_b32 vcc_lo, exec_lo, s0
	s_cbranch_vccnz .LBB209_2157
; %bb.1971:
	s_and_not1_b32 vcc_lo, exec_lo, s2
	s_cbranch_vccnz .LBB209_1973
.LBB209_1972:
	v_and_b32_e32 v4, 0x7fff, v3
	s_mov_b32 s3, -1
	s_delay_alu instid0(VALU_DEP_1)
	v_cmp_ne_u16_e32 vcc_lo, 0, v4
	v_cndmask_b32_e64 v4, 0, 1, vcc_lo
	global_store_b8 v[1:2], v4, off
.LBB209_1973:
	s_mov_b32 s0, 0
.LBB209_1974:
	s_delay_alu instid0(SALU_CYCLE_1)
	s_and_b32 vcc_lo, exec_lo, s0
	s_cbranch_vccz .LBB209_2013
; %bb.1975:
	v_cmp_gt_i16_e32 vcc_lo, 5, v6
	s_mov_b32 s0, -1
	s_cbranch_vccnz .LBB209_1996
; %bb.1976:
	v_cmp_gt_i16_e32 vcc_lo, 8, v6
	s_cbranch_vccnz .LBB209_1986
; %bb.1977:
	v_cmp_gt_i16_e32 vcc_lo, 9, v6
	s_cbranch_vccnz .LBB209_1983
; %bb.1978:
	v_cmp_lt_i16_e32 vcc_lo, 9, v6
	s_cbranch_vccz .LBB209_1980
; %bb.1979:
	v_dual_mov_b32 v9, 0 :: v_dual_lshlrev_b32 v4, 16, v3
	s_mov_b32 s0, 0
	s_delay_alu instid0(VALU_DEP_1) | instskip(NEXT) | instid1(VALU_DEP_2)
	v_cvt_f64_f32_e32 v[7:8], v4
	v_mov_b32_e32 v10, v9
	global_store_b128 v[1:2], v[7:10], off
.LBB209_1980:
	s_and_not1_b32 vcc_lo, exec_lo, s0
	s_cbranch_vccnz .LBB209_1982
; %bb.1981:
	v_dual_mov_b32 v5, 0 :: v_dual_lshlrev_b32 v4, 16, v3
	global_store_b64 v[1:2], v[4:5], off
.LBB209_1982:
	s_mov_b32 s0, 0
.LBB209_1983:
	s_delay_alu instid0(SALU_CYCLE_1)
	s_and_not1_b32 vcc_lo, exec_lo, s0
	s_cbranch_vccnz .LBB209_1985
; %bb.1984:
	v_lshlrev_b32_e32 v4, 16, v3
	s_delay_alu instid0(VALU_DEP_1) | instskip(NEXT) | instid1(VALU_DEP_1)
	v_cvt_f16_f32_e32 v4, v4
	v_and_b32_e32 v4, 0xffff, v4
	global_store_b32 v[1:2], v4, off
.LBB209_1985:
	s_mov_b32 s0, 0
.LBB209_1986:
	s_delay_alu instid0(SALU_CYCLE_1)
	s_and_not1_b32 vcc_lo, exec_lo, s0
	s_cbranch_vccnz .LBB209_1995
; %bb.1987:
	v_cmp_gt_i16_e32 vcc_lo, 6, v6
	s_mov_b32 s0, -1
	s_cbranch_vccnz .LBB209_1993
; %bb.1988:
	v_cmp_lt_i16_e32 vcc_lo, 6, v6
	s_cbranch_vccz .LBB209_1990
; %bb.1989:
	v_lshlrev_b32_e32 v4, 16, v3
	s_mov_b32 s0, 0
	s_delay_alu instid0(VALU_DEP_1)
	v_cvt_f64_f32_e32 v[4:5], v4
	global_store_b64 v[1:2], v[4:5], off
.LBB209_1990:
	s_and_not1_b32 vcc_lo, exec_lo, s0
	s_cbranch_vccnz .LBB209_1992
; %bb.1991:
	v_lshlrev_b32_e32 v4, 16, v3
	global_store_b32 v[1:2], v4, off
.LBB209_1992:
	s_mov_b32 s0, 0
.LBB209_1993:
	s_delay_alu instid0(SALU_CYCLE_1)
	s_and_not1_b32 vcc_lo, exec_lo, s0
	s_cbranch_vccnz .LBB209_1995
; %bb.1994:
	v_lshlrev_b32_e32 v4, 16, v3
	s_delay_alu instid0(VALU_DEP_1)
	v_cvt_f16_f32_e32 v4, v4
	global_store_b16 v[1:2], v4, off
.LBB209_1995:
	s_mov_b32 s0, 0
.LBB209_1996:
	s_delay_alu instid0(SALU_CYCLE_1)
	s_and_not1_b32 vcc_lo, exec_lo, s0
	s_cbranch_vccnz .LBB209_2012
; %bb.1997:
	v_cmp_gt_i16_e32 vcc_lo, 2, v6
	s_mov_b32 s0, -1
	s_cbranch_vccnz .LBB209_2007
; %bb.1998:
	v_cmp_gt_i16_e32 vcc_lo, 3, v6
	s_cbranch_vccnz .LBB209_2004
; %bb.1999:
	v_cmp_lt_i16_e32 vcc_lo, 3, v6
	s_cbranch_vccz .LBB209_2001
; %bb.2000:
	v_lshlrev_b32_e32 v4, 16, v3
	s_mov_b32 s0, 0
	s_delay_alu instid0(VALU_DEP_1) | instskip(NEXT) | instid1(VALU_DEP_1)
	v_trunc_f32_e32 v4, v4
	v_mul_f32_e64 v5, 0x2f800000, |v4|
	v_ashrrev_i32_e32 v8, 31, v4
	s_delay_alu instid0(VALU_DEP_2) | instskip(NEXT) | instid1(VALU_DEP_1)
	v_floor_f32_e32 v5, v5
	v_fma_f32 v7, 0xcf800000, v5, |v4|
	v_cvt_u32_f32_e32 v5, v5
	s_delay_alu instid0(VALU_DEP_2) | instskip(NEXT) | instid1(VALU_DEP_2)
	v_cvt_u32_f32_e32 v4, v7
	v_xor_b32_e32 v5, v5, v8
	s_delay_alu instid0(VALU_DEP_2) | instskip(NEXT) | instid1(VALU_DEP_1)
	v_xor_b32_e32 v4, v4, v8
	v_sub_co_u32 v4, vcc_lo, v4, v8
	s_delay_alu instid0(VALU_DEP_3)
	v_sub_co_ci_u32_e32 v5, vcc_lo, v5, v8, vcc_lo
	global_store_b64 v[1:2], v[4:5], off
.LBB209_2001:
	s_and_not1_b32 vcc_lo, exec_lo, s0
	s_cbranch_vccnz .LBB209_2003
; %bb.2002:
	v_lshlrev_b32_e32 v4, 16, v3
	s_delay_alu instid0(VALU_DEP_1)
	v_cvt_i32_f32_e32 v4, v4
	global_store_b32 v[1:2], v4, off
.LBB209_2003:
	s_mov_b32 s0, 0
.LBB209_2004:
	s_delay_alu instid0(SALU_CYCLE_1)
	s_and_not1_b32 vcc_lo, exec_lo, s0
	s_cbranch_vccnz .LBB209_2006
; %bb.2005:
	v_lshlrev_b32_e32 v4, 16, v3
	s_delay_alu instid0(VALU_DEP_1)
	v_cvt_i32_f32_e32 v4, v4
	global_store_b16 v[1:2], v4, off
.LBB209_2006:
	s_mov_b32 s0, 0
.LBB209_2007:
	s_delay_alu instid0(SALU_CYCLE_1)
	s_and_not1_b32 vcc_lo, exec_lo, s0
	s_cbranch_vccnz .LBB209_2012
; %bb.2008:
	v_cmp_lt_i16_e32 vcc_lo, 0, v6
	v_lshlrev_b32_e32 v3, 16, v3
	s_mov_b32 s0, -1
	s_cbranch_vccz .LBB209_2010
; %bb.2009:
	s_delay_alu instid0(VALU_DEP_1)
	v_cvt_i32_f32_e32 v4, v3
	s_mov_b32 s0, 0
	global_store_b8 v[1:2], v4, off
.LBB209_2010:
	s_and_not1_b32 vcc_lo, exec_lo, s0
	s_cbranch_vccnz .LBB209_2012
; %bb.2011:
	v_trunc_f32_e32 v3, v3
	s_delay_alu instid0(VALU_DEP_1) | instskip(NEXT) | instid1(VALU_DEP_1)
	v_mul_f32_e64 v4, 0x2f800000, |v3|
	v_floor_f32_e32 v4, v4
	s_delay_alu instid0(VALU_DEP_1) | instskip(SKIP_1) | instid1(VALU_DEP_2)
	v_fma_f32 v4, 0xcf800000, v4, |v3|
	v_ashrrev_i32_e32 v3, 31, v3
	v_cvt_u32_f32_e32 v4, v4
	s_delay_alu instid0(VALU_DEP_1) | instskip(NEXT) | instid1(VALU_DEP_1)
	v_xor_b32_e32 v4, v4, v3
	v_sub_nc_u32_e32 v3, v4, v3
	global_store_b8 v[1:2], v3, off
.LBB209_2012:
	s_mov_b32 s3, -1
.LBB209_2013:
	s_delay_alu instid0(SALU_CYCLE_1)
	s_and_not1_b32 vcc_lo, exec_lo, s3
	s_cbranch_vccnz .LBB209_2090
; %bb.2014:
	v_lshlrev_b32_e32 v1, 16, v11
	v_add_co_u32 v0, s0, s4, v0
	s_mov_b32 s2, 0
	s_delay_alu instid0(VALU_DEP_2) | instskip(NEXT) | instid1(VALU_DEP_1)
	v_cvt_f64_f32_e32 v[1:2], v1
	v_rsq_f64_e32 v[3:4], v[1:2]
	s_waitcnt_depctr 0xfff
	v_mul_f64 v[1:2], v[3:4], -v[1:2]
	v_cmp_class_f64_e64 vcc_lo, v[3:4], 0x180
	s_delay_alu instid0(VALU_DEP_2) | instskip(NEXT) | instid1(VALU_DEP_1)
	v_fma_f64 v[1:2], v[1:2], v[3:4], 1.0
	v_mul_f64 v[7:8], v[3:4], v[1:2]
	v_fma_f64 v[1:2], 0x3fd80000, v[1:2], 0.5
	s_delay_alu instid0(VALU_DEP_1) | instskip(NEXT) | instid1(VALU_DEP_1)
	v_fma_f64 v[1:2], v[7:8], v[1:2], v[3:4]
	v_dual_cndmask_b32 v2, v4, v2 :: v_dual_cndmask_b32 v1, v3, v1
	v_cmp_gt_i16_e32 vcc_lo, 11, v6
	s_delay_alu instid0(VALU_DEP_2) | instskip(SKIP_1) | instid1(VALU_DEP_1)
	v_cvt_f32_f64_e32 v2, v[1:2]
	s_and_b32 vcc_lo, exec_lo, vcc_lo
	v_bfe_u32 v1, v2, 16, 1
	s_delay_alu instid0(VALU_DEP_1) | instskip(NEXT) | instid1(VALU_DEP_1)
	v_add3_u32 v1, v2, v1, 0x7fff
	v_lshrrev_b32_e32 v3, 16, v1
	v_add_co_ci_u32_e64 v1, null, s5, 0, s0
	v_cmp_o_f32_e64 s0, v2, v2
	s_delay_alu instid0(VALU_DEP_1)
	v_cndmask_b32_e64 v2, 0x7fc0, v3, s0
	s_mov_b32 s0, -1
	s_cbranch_vccnz .LBB209_2091
; %bb.2015:
	v_cmp_lt_i16_e32 vcc_lo, 25, v6
	s_mov_b32 s3, -1
	s_mov_b32 s0, 0
	s_cbranch_vccz .LBB209_2048
; %bb.2016:
	v_cmp_lt_i16_e32 vcc_lo, 28, v6
	s_cbranch_vccz .LBB209_2032
; %bb.2017:
	v_cmp_lt_i16_e32 vcc_lo, 43, v6
	;; [unrolled: 3-line block ×3, first 2 shown]
	s_cbranch_vccz .LBB209_2022
; %bb.2019:
	v_cmp_eq_u16_e32 vcc_lo, 46, v6
	s_mov_b32 s0, -1
	s_cbranch_vccz .LBB209_2021
; %bb.2020:
	v_and_b32_e32 v3, 0xffff, v2
	s_mov_b32 s0, 0
	global_store_b32 v[0:1], v3, off
.LBB209_2021:
	s_mov_b32 s3, 0
.LBB209_2022:
	s_delay_alu instid0(SALU_CYCLE_1)
	s_and_b32 vcc_lo, exec_lo, s3
	s_cbranch_vccz .LBB209_2027
; %bb.2023:
	v_cmp_eq_u16_e32 vcc_lo, 44, v6
	s_mov_b32 s0, -1
	s_cbranch_vccz .LBB209_2027
; %bb.2024:
	v_and_b32_e32 v3, 0xffff, v2
	v_mov_b32_e32 v4, 0xff
	s_mov_b32 s3, exec_lo
	s_delay_alu instid0(VALU_DEP_2) | instskip(NEXT) | instid1(VALU_DEP_1)
	v_bfe_u32 v5, v3, 7, 8
	v_cmpx_ne_u32_e32 0xff, v5
; %bb.2025:
	v_lshlrev_b32_e32 v4, 16, v3
	v_and_b32_e32 v7, 64, v3
	v_lshrrev_b32_e32 v3, 7, v3
	s_delay_alu instid0(VALU_DEP_3) | instskip(NEXT) | instid1(VALU_DEP_3)
	v_and_or_b32 v4, 0x3f0000, v4, v5
	v_cmp_ne_u32_e32 vcc_lo, 0, v7
	s_delay_alu instid0(VALU_DEP_2) | instskip(NEXT) | instid1(VALU_DEP_1)
	v_cmp_ne_u32_e64 s0, 0, v4
	s_and_b32 s0, vcc_lo, s0
	s_delay_alu instid0(SALU_CYCLE_1) | instskip(NEXT) | instid1(VALU_DEP_1)
	v_cndmask_b32_e64 v4, 0, 1, s0
	v_add_nc_u32_e32 v4, v3, v4
; %bb.2026:
	s_or_b32 exec_lo, exec_lo, s3
	s_mov_b32 s0, 0
	global_store_b8 v[0:1], v4, off
.LBB209_2027:
	s_mov_b32 s3, 0
.LBB209_2028:
	s_delay_alu instid0(SALU_CYCLE_1)
	s_and_b32 vcc_lo, exec_lo, s3
	s_cbranch_vccz .LBB209_2031
; %bb.2029:
	v_cmp_eq_u16_e32 vcc_lo, 29, v6
	s_mov_b32 s0, -1
	s_cbranch_vccz .LBB209_2031
; %bb.2030:
	v_lshlrev_b32_e32 v3, 16, v2
	s_mov_b32 s0, 0
	s_delay_alu instid0(VALU_DEP_1) | instskip(NEXT) | instid1(VALU_DEP_1)
	v_trunc_f32_e32 v3, v3
	v_mul_f32_e32 v4, 0x2f800000, v3
	s_delay_alu instid0(VALU_DEP_1) | instskip(NEXT) | instid1(VALU_DEP_1)
	v_floor_f32_e32 v4, v4
	v_fmamk_f32 v3, v4, 0xcf800000, v3
	v_cvt_u32_f32_e32 v4, v4
	s_delay_alu instid0(VALU_DEP_2)
	v_cvt_u32_f32_e32 v3, v3
	global_store_b64 v[0:1], v[3:4], off
.LBB209_2031:
	s_mov_b32 s3, 0
.LBB209_2032:
	s_delay_alu instid0(SALU_CYCLE_1)
	s_and_b32 vcc_lo, exec_lo, s3
	s_cbranch_vccz .LBB209_2047
; %bb.2033:
	v_cmp_gt_i16_e32 vcc_lo, 27, v6
	s_mov_b32 s3, -1
	s_cbranch_vccnz .LBB209_2039
; %bb.2034:
	v_cmp_lt_i16_e32 vcc_lo, 27, v6
	s_cbranch_vccz .LBB209_2036
; %bb.2035:
	v_lshlrev_b32_e32 v3, 16, v2
	s_mov_b32 s3, 0
	s_delay_alu instid0(VALU_DEP_1)
	v_cvt_u32_f32_e32 v3, v3
	global_store_b32 v[0:1], v3, off
.LBB209_2036:
	s_and_not1_b32 vcc_lo, exec_lo, s3
	s_cbranch_vccnz .LBB209_2038
; %bb.2037:
	v_lshlrev_b32_e32 v3, 16, v2
	s_delay_alu instid0(VALU_DEP_1)
	v_cvt_u32_f32_e32 v3, v3
	global_store_b16 v[0:1], v3, off
.LBB209_2038:
	s_mov_b32 s3, 0
.LBB209_2039:
	s_delay_alu instid0(SALU_CYCLE_1)
	s_and_not1_b32 vcc_lo, exec_lo, s3
	s_cbranch_vccnz .LBB209_2047
; %bb.2040:
	v_lshlrev_b32_e32 v5, 16, v2
	v_mov_b32_e32 v7, 0x80
	s_mov_b32 s3, exec_lo
	s_delay_alu instid0(VALU_DEP_2) | instskip(NEXT) | instid1(VALU_DEP_1)
	v_and_b32_e32 v4, 0x7fffffff, v5
	v_cmpx_gt_u32_e32 0x43800000, v4
	s_cbranch_execz .LBB209_2046
; %bb.2041:
	v_and_b32_e32 v3, 0xffff, v2
	v_cmp_lt_u32_e32 vcc_lo, 0x3bffffff, v4
	s_mov_b32 s4, 0
                                        ; implicit-def: $vgpr4
	s_and_saveexec_b32 s5, vcc_lo
	s_delay_alu instid0(SALU_CYCLE_1)
	s_xor_b32 s5, exec_lo, s5
	s_cbranch_execz .LBB209_2161
; %bb.2042:
	v_bfe_u32 v4, v3, 4, 1
	s_mov_b32 s4, exec_lo
	s_delay_alu instid0(VALU_DEP_1) | instskip(NEXT) | instid1(VALU_DEP_1)
	v_add3_u32 v4, v5, v4, 0x487ffff
                                        ; implicit-def: $vgpr5
	v_lshrrev_b32_e32 v4, 20, v4
	s_or_saveexec_b32 s5, s5
                                        ; implicit-def: $sgpr6
	s_delay_alu instid0(SALU_CYCLE_1)
	s_xor_b32 exec_lo, exec_lo, s5
	s_cbranch_execnz .LBB209_2162
.LBB209_2043:
	s_or_b32 exec_lo, exec_lo, s5
	v_mov_b32_e32 v7, s6
	s_and_saveexec_b32 s5, s4
.LBB209_2044:
	v_lshrrev_b32_e32 v3, 8, v3
	s_delay_alu instid0(VALU_DEP_1)
	v_and_or_b32 v7, 0x80, v3, v4
.LBB209_2045:
	s_or_b32 exec_lo, exec_lo, s5
.LBB209_2046:
	s_delay_alu instid0(SALU_CYCLE_1)
	s_or_b32 exec_lo, exec_lo, s3
	global_store_b8 v[0:1], v7, off
.LBB209_2047:
	s_mov_b32 s3, 0
.LBB209_2048:
	s_delay_alu instid0(SALU_CYCLE_1)
	s_and_b32 vcc_lo, exec_lo, s3
	s_cbranch_vccz .LBB209_2088
; %bb.2049:
	v_cmp_lt_i16_e32 vcc_lo, 22, v6
	s_mov_b32 s2, -1
	s_cbranch_vccz .LBB209_2081
; %bb.2050:
	v_cmp_gt_i16_e32 vcc_lo, 24, v6
	s_cbranch_vccnz .LBB209_2070
; %bb.2051:
	v_cmp_lt_i16_e32 vcc_lo, 24, v6
	s_cbranch_vccz .LBB209_2059
; %bb.2052:
	v_lshlrev_b32_e32 v5, 16, v2
	v_mov_b32_e32 v7, 0x80
	s_mov_b32 s2, exec_lo
	s_delay_alu instid0(VALU_DEP_2) | instskip(NEXT) | instid1(VALU_DEP_1)
	v_and_b32_e32 v4, 0x7fffffff, v5
	v_cmpx_gt_u32_e32 0x47800000, v4
	s_cbranch_execz .LBB209_2058
; %bb.2053:
	v_and_b32_e32 v3, 0xffff, v2
	v_cmp_lt_u32_e32 vcc_lo, 0x37ffffff, v4
	s_mov_b32 s3, 0
                                        ; implicit-def: $vgpr4
	s_and_saveexec_b32 s4, vcc_lo
	s_delay_alu instid0(SALU_CYCLE_1)
	s_xor_b32 s4, exec_lo, s4
	s_cbranch_execz .LBB209_2167
; %bb.2054:
	v_bfe_u32 v4, v3, 5, 1
	s_mov_b32 s3, exec_lo
	s_delay_alu instid0(VALU_DEP_1) | instskip(NEXT) | instid1(VALU_DEP_1)
	v_add3_u32 v4, v5, v4, 0x88fffff
                                        ; implicit-def: $vgpr5
	v_lshrrev_b32_e32 v4, 21, v4
	s_or_saveexec_b32 s4, s4
                                        ; implicit-def: $sgpr5
	s_delay_alu instid0(SALU_CYCLE_1)
	s_xor_b32 exec_lo, exec_lo, s4
	s_cbranch_execnz .LBB209_2168
.LBB209_2055:
	s_or_b32 exec_lo, exec_lo, s4
	v_mov_b32_e32 v7, s5
	s_and_saveexec_b32 s4, s3
.LBB209_2056:
	v_lshrrev_b32_e32 v3, 8, v3
	s_delay_alu instid0(VALU_DEP_1)
	v_and_or_b32 v7, 0x80, v3, v4
.LBB209_2057:
	s_or_b32 exec_lo, exec_lo, s4
.LBB209_2058:
	s_delay_alu instid0(SALU_CYCLE_1)
	s_or_b32 exec_lo, exec_lo, s2
	s_mov_b32 s2, 0
	global_store_b8 v[0:1], v7, off
.LBB209_2059:
	s_and_b32 vcc_lo, exec_lo, s2
	s_cbranch_vccz .LBB209_2069
; %bb.2060:
	v_lshlrev_b32_e32 v5, 16, v2
	v_and_b32_e32 v3, 0xffff, v2
	s_mov_b32 s2, exec_lo
                                        ; implicit-def: $vgpr4
	s_delay_alu instid0(VALU_DEP_2) | instskip(NEXT) | instid1(VALU_DEP_1)
	v_and_b32_e32 v7, 0x7fffffff, v5
	v_cmpx_gt_u32_e32 0x43f00000, v7
	s_xor_b32 s2, exec_lo, s2
	s_cbranch_execz .LBB209_2066
; %bb.2061:
	s_mov_b32 s3, exec_lo
                                        ; implicit-def: $vgpr4
	v_cmpx_lt_u32_e32 0x3c7fffff, v7
	s_xor_b32 s3, exec_lo, s3
; %bb.2062:
	v_bfe_u32 v4, v3, 4, 1
	s_delay_alu instid0(VALU_DEP_1) | instskip(NEXT) | instid1(VALU_DEP_1)
	v_add3_u32 v4, v5, v4, 0x407ffff
	v_and_b32_e32 v5, 0xff00000, v4
	v_lshrrev_b32_e32 v4, 20, v4
	s_delay_alu instid0(VALU_DEP_2) | instskip(NEXT) | instid1(VALU_DEP_2)
	v_cmp_ne_u32_e32 vcc_lo, 0x7f00000, v5
                                        ; implicit-def: $vgpr5
	v_cndmask_b32_e32 v4, 0x7e, v4, vcc_lo
; %bb.2063:
	s_and_not1_saveexec_b32 s3, s3
; %bb.2064:
	v_add_f32_e64 v4, 0x46800000, |v5|
; %bb.2065:
	s_or_b32 exec_lo, exec_lo, s3
                                        ; implicit-def: $vgpr7
.LBB209_2066:
	s_and_not1_saveexec_b32 s2, s2
; %bb.2067:
	v_mov_b32_e32 v4, 0x7f
	v_cmp_lt_u32_e32 vcc_lo, 0x7f800000, v7
	s_delay_alu instid0(VALU_DEP_2)
	v_cndmask_b32_e32 v4, 0x7e, v4, vcc_lo
; %bb.2068:
	s_or_b32 exec_lo, exec_lo, s2
	v_lshrrev_b32_e32 v3, 8, v3
	s_delay_alu instid0(VALU_DEP_1)
	v_and_or_b32 v3, 0x80, v3, v4
	global_store_b8 v[0:1], v3, off
.LBB209_2069:
	s_mov_b32 s2, 0
.LBB209_2070:
	s_delay_alu instid0(SALU_CYCLE_1)
	s_and_not1_b32 vcc_lo, exec_lo, s2
	s_cbranch_vccnz .LBB209_2080
; %bb.2071:
	v_lshlrev_b32_e32 v5, 16, v2
	v_and_b32_e32 v3, 0xffff, v2
	s_mov_b32 s2, exec_lo
                                        ; implicit-def: $vgpr4
	s_delay_alu instid0(VALU_DEP_2) | instskip(NEXT) | instid1(VALU_DEP_1)
	v_and_b32_e32 v7, 0x7fffffff, v5
	v_cmpx_gt_u32_e32 0x47800000, v7
	s_xor_b32 s2, exec_lo, s2
	s_cbranch_execz .LBB209_2077
; %bb.2072:
	s_mov_b32 s3, exec_lo
                                        ; implicit-def: $vgpr4
	v_cmpx_lt_u32_e32 0x387fffff, v7
	s_xor_b32 s3, exec_lo, s3
; %bb.2073:
	v_bfe_u32 v4, v3, 5, 1
	s_delay_alu instid0(VALU_DEP_1) | instskip(NEXT) | instid1(VALU_DEP_1)
	v_add3_u32 v4, v5, v4, 0x80fffff
                                        ; implicit-def: $vgpr5
	v_lshrrev_b32_e32 v4, 21, v4
; %bb.2074:
	s_and_not1_saveexec_b32 s3, s3
; %bb.2075:
	v_add_f32_e64 v4, 0x43000000, |v5|
; %bb.2076:
	s_or_b32 exec_lo, exec_lo, s3
                                        ; implicit-def: $vgpr7
.LBB209_2077:
	s_and_not1_saveexec_b32 s2, s2
; %bb.2078:
	v_mov_b32_e32 v4, 0x7f
	v_cmp_lt_u32_e32 vcc_lo, 0x7f800000, v7
	s_delay_alu instid0(VALU_DEP_2)
	v_cndmask_b32_e32 v4, 0x7c, v4, vcc_lo
; %bb.2079:
	s_or_b32 exec_lo, exec_lo, s2
	v_lshrrev_b32_e32 v3, 8, v3
	s_delay_alu instid0(VALU_DEP_1)
	v_and_or_b32 v3, 0x80, v3, v4
	global_store_b8 v[0:1], v3, off
.LBB209_2080:
	s_mov_b32 s2, 0
.LBB209_2081:
	s_delay_alu instid0(SALU_CYCLE_1)
	s_and_not1_b32 vcc_lo, exec_lo, s2
	s_mov_b32 s2, 0
	s_cbranch_vccnz .LBB209_2088
; %bb.2082:
	v_cmp_lt_i16_e32 vcc_lo, 14, v6
	s_mov_b32 s2, -1
	s_cbranch_vccz .LBB209_2086
; %bb.2083:
	v_cmp_eq_u16_e32 vcc_lo, 15, v6
	s_mov_b32 s0, -1
	s_cbranch_vccz .LBB209_2085
; %bb.2084:
	s_mov_b32 s0, 0
	global_store_b16 v[0:1], v2, off
.LBB209_2085:
	s_mov_b32 s2, 0
.LBB209_2086:
	s_delay_alu instid0(SALU_CYCLE_1)
	s_and_b32 vcc_lo, exec_lo, s2
	s_mov_b32 s2, 0
	s_cbranch_vccz .LBB209_2088
; %bb.2087:
	v_cmp_ne_u16_e64 s0, 11, v6
	s_mov_b32 s2, -1
.LBB209_2088:
	s_delay_alu instid0(VALU_DEP_1)
	s_and_b32 vcc_lo, exec_lo, s0
	s_cbranch_vccnz .LBB209_2165
.LBB209_2089:
	s_mov_b32 s0, 0
	s_branch .LBB209_2091
.LBB209_2090:
	s_mov_b32 s0, 0
	s_mov_b32 s2, 0
                                        ; implicit-def: $vgpr0_vgpr1
                                        ; implicit-def: $vgpr6
                                        ; implicit-def: $vgpr2
.LBB209_2091:
	s_and_b32 s3, s0, exec_lo
	s_and_not1_b32 s0, s8, exec_lo
	s_and_b32 s1, s1, exec_lo
	s_and_b32 s26, s2, exec_lo
	s_or_b32 s8, s0, s1
.LBB209_2092:
	s_or_b32 exec_lo, exec_lo, s9
	s_and_saveexec_b32 s0, s8
	s_cbranch_execz .LBB209_2095
; %bb.2093:
	; divergent unreachable
	s_or_b32 exec_lo, exec_lo, s0
	s_and_saveexec_b32 s0, s26
	s_delay_alu instid0(SALU_CYCLE_1)
	s_xor_b32 s0, exec_lo, s0
	s_cbranch_execnz .LBB209_2096
.LBB209_2094:
	s_or_b32 exec_lo, exec_lo, s0
	s_and_saveexec_b32 s0, s3
	s_cbranch_execnz .LBB209_2097
	s_branch .LBB209_2134
.LBB209_2095:
	s_or_b32 exec_lo, exec_lo, s0
	s_and_saveexec_b32 s0, s26
	s_delay_alu instid0(SALU_CYCLE_1)
	s_xor_b32 s0, exec_lo, s0
	s_cbranch_execz .LBB209_2094
.LBB209_2096:
	v_and_b32_e32 v3, 0x7fff, v2
	s_delay_alu instid0(VALU_DEP_1)
	v_cmp_ne_u16_e32 vcc_lo, 0, v3
	v_cndmask_b32_e64 v3, 0, 1, vcc_lo
	global_store_b8 v[0:1], v3, off
	s_or_b32 exec_lo, exec_lo, s0
	s_and_saveexec_b32 s0, s3
	s_cbranch_execz .LBB209_2134
.LBB209_2097:
	s_waitcnt vmcnt(0)
	v_cmp_gt_i16_e32 vcc_lo, 5, v6
	s_mov_b32 s0, -1
	s_cbranch_vccnz .LBB209_2118
; %bb.2098:
	v_cmp_gt_i16_e32 vcc_lo, 8, v6
	s_cbranch_vccnz .LBB209_2108
; %bb.2099:
	v_cmp_gt_i16_e32 vcc_lo, 9, v6
	s_cbranch_vccnz .LBB209_2105
; %bb.2100:
	v_cmp_lt_i16_e32 vcc_lo, 9, v6
	s_cbranch_vccz .LBB209_2102
; %bb.2101:
	v_mov_b32_e32 v9, 0
	v_lshlrev_b32_e32 v3, 16, v2
	s_mov_b32 s0, 0
	s_delay_alu instid0(VALU_DEP_2) | instskip(NEXT) | instid1(VALU_DEP_2)
	v_mov_b32_e32 v10, v9
	v_cvt_f64_f32_e32 v[7:8], v3
	global_store_b128 v[0:1], v[7:10], off
.LBB209_2102:
	s_and_not1_b32 vcc_lo, exec_lo, s0
	s_cbranch_vccnz .LBB209_2104
; %bb.2103:
	v_dual_mov_b32 v4, 0 :: v_dual_lshlrev_b32 v3, 16, v2
	global_store_b64 v[0:1], v[3:4], off
.LBB209_2104:
	s_mov_b32 s0, 0
.LBB209_2105:
	s_delay_alu instid0(SALU_CYCLE_1)
	s_and_not1_b32 vcc_lo, exec_lo, s0
	s_cbranch_vccnz .LBB209_2107
; %bb.2106:
	v_lshlrev_b32_e32 v3, 16, v2
	s_delay_alu instid0(VALU_DEP_1) | instskip(NEXT) | instid1(VALU_DEP_1)
	v_cvt_f16_f32_e32 v3, v3
	v_and_b32_e32 v3, 0xffff, v3
	global_store_b32 v[0:1], v3, off
.LBB209_2107:
	s_mov_b32 s0, 0
.LBB209_2108:
	s_delay_alu instid0(SALU_CYCLE_1)
	s_and_not1_b32 vcc_lo, exec_lo, s0
	s_cbranch_vccnz .LBB209_2117
; %bb.2109:
	v_cmp_gt_i16_e32 vcc_lo, 6, v6
	s_mov_b32 s0, -1
	s_cbranch_vccnz .LBB209_2115
; %bb.2110:
	v_cmp_lt_i16_e32 vcc_lo, 6, v6
	s_cbranch_vccz .LBB209_2112
; %bb.2111:
	v_lshlrev_b32_e32 v3, 16, v2
	s_mov_b32 s0, 0
	s_delay_alu instid0(VALU_DEP_1)
	v_cvt_f64_f32_e32 v[3:4], v3
	global_store_b64 v[0:1], v[3:4], off
.LBB209_2112:
	s_and_not1_b32 vcc_lo, exec_lo, s0
	s_cbranch_vccnz .LBB209_2114
; %bb.2113:
	v_lshlrev_b32_e32 v3, 16, v2
	global_store_b32 v[0:1], v3, off
.LBB209_2114:
	s_mov_b32 s0, 0
.LBB209_2115:
	s_delay_alu instid0(SALU_CYCLE_1)
	s_and_not1_b32 vcc_lo, exec_lo, s0
	s_cbranch_vccnz .LBB209_2117
; %bb.2116:
	v_lshlrev_b32_e32 v3, 16, v2
	s_delay_alu instid0(VALU_DEP_1)
	v_cvt_f16_f32_e32 v3, v3
	global_store_b16 v[0:1], v3, off
.LBB209_2117:
	s_mov_b32 s0, 0
.LBB209_2118:
	s_delay_alu instid0(SALU_CYCLE_1)
	s_and_not1_b32 vcc_lo, exec_lo, s0
	s_cbranch_vccnz .LBB209_2134
; %bb.2119:
	v_cmp_gt_i16_e32 vcc_lo, 2, v6
	s_mov_b32 s0, -1
	s_cbranch_vccnz .LBB209_2129
; %bb.2120:
	v_cmp_gt_i16_e32 vcc_lo, 3, v6
	s_cbranch_vccnz .LBB209_2126
; %bb.2121:
	v_cmp_lt_i16_e32 vcc_lo, 3, v6
	s_cbranch_vccz .LBB209_2123
; %bb.2122:
	v_lshlrev_b32_e32 v3, 16, v2
	s_mov_b32 s0, 0
	s_delay_alu instid0(VALU_DEP_1) | instskip(NEXT) | instid1(VALU_DEP_1)
	v_trunc_f32_e32 v3, v3
	v_mul_f32_e64 v4, 0x2f800000, |v3|
	v_ashrrev_i32_e32 v7, 31, v3
	s_delay_alu instid0(VALU_DEP_2) | instskip(NEXT) | instid1(VALU_DEP_1)
	v_floor_f32_e32 v4, v4
	v_fma_f32 v5, 0xcf800000, v4, |v3|
	v_cvt_u32_f32_e32 v4, v4
	s_delay_alu instid0(VALU_DEP_2) | instskip(NEXT) | instid1(VALU_DEP_2)
	v_cvt_u32_f32_e32 v3, v5
	v_xor_b32_e32 v4, v4, v7
	s_delay_alu instid0(VALU_DEP_2) | instskip(NEXT) | instid1(VALU_DEP_1)
	v_xor_b32_e32 v3, v3, v7
	v_sub_co_u32 v3, vcc_lo, v3, v7
	s_delay_alu instid0(VALU_DEP_3)
	v_sub_co_ci_u32_e32 v4, vcc_lo, v4, v7, vcc_lo
	global_store_b64 v[0:1], v[3:4], off
.LBB209_2123:
	s_and_not1_b32 vcc_lo, exec_lo, s0
	s_cbranch_vccnz .LBB209_2125
; %bb.2124:
	v_lshlrev_b32_e32 v3, 16, v2
	s_delay_alu instid0(VALU_DEP_1)
	v_cvt_i32_f32_e32 v3, v3
	global_store_b32 v[0:1], v3, off
.LBB209_2125:
	s_mov_b32 s0, 0
.LBB209_2126:
	s_delay_alu instid0(SALU_CYCLE_1)
	s_and_not1_b32 vcc_lo, exec_lo, s0
	s_cbranch_vccnz .LBB209_2128
; %bb.2127:
	v_lshlrev_b32_e32 v3, 16, v2
	s_delay_alu instid0(VALU_DEP_1)
	v_cvt_i32_f32_e32 v3, v3
	global_store_b16 v[0:1], v3, off
.LBB209_2128:
	s_mov_b32 s0, 0
.LBB209_2129:
	s_delay_alu instid0(SALU_CYCLE_1)
	s_and_not1_b32 vcc_lo, exec_lo, s0
	s_cbranch_vccnz .LBB209_2134
; %bb.2130:
	v_cmp_lt_i16_e32 vcc_lo, 0, v6
	v_lshlrev_b32_e32 v2, 16, v2
	s_mov_b32 s0, -1
	s_cbranch_vccz .LBB209_2132
; %bb.2131:
	s_delay_alu instid0(VALU_DEP_1)
	v_cvt_i32_f32_e32 v3, v2
	s_mov_b32 s0, 0
	global_store_b8 v[0:1], v3, off
.LBB209_2132:
	s_and_not1_b32 vcc_lo, exec_lo, s0
	s_cbranch_vccnz .LBB209_2134
; %bb.2133:
	v_trunc_f32_e32 v2, v2
	s_delay_alu instid0(VALU_DEP_1) | instskip(NEXT) | instid1(VALU_DEP_1)
	v_mul_f32_e64 v3, 0x2f800000, |v2|
	v_floor_f32_e32 v3, v3
	s_delay_alu instid0(VALU_DEP_1) | instskip(SKIP_1) | instid1(VALU_DEP_2)
	v_fma_f32 v3, 0xcf800000, v3, |v2|
	v_ashrrev_i32_e32 v2, 31, v2
	v_cvt_u32_f32_e32 v3, v3
	s_delay_alu instid0(VALU_DEP_1) | instskip(NEXT) | instid1(VALU_DEP_1)
	v_xor_b32_e32 v3, v3, v2
	v_sub_nc_u32_e32 v2, v3, v2
	global_store_b8 v[0:1], v2, off
	s_nop 0
	s_sendmsg sendmsg(MSG_DEALLOC_VGPRS)
	s_endpgm
.LBB209_2134:
	s_nop 0
	s_sendmsg sendmsg(MSG_DEALLOC_VGPRS)
	s_endpgm
.LBB209_2135:
	s_cbranch_execnz .LBB209_2139
; %bb.2136:
	s_or_b32 s1, s1, exec_lo
                                        ; implicit-def: $vgpr11
	s_cbranch_execz .LBB209_1608
	s_branch .LBB209_1609
.LBB209_2137:
	s_or_saveexec_b32 s7, s7
                                        ; implicit-def: $sgpr10
	s_delay_alu instid0(SALU_CYCLE_1)
	s_xor_b32 exec_lo, exec_lo, s7
	s_cbranch_execz .LBB209_1688
.LBB209_2138:
	v_add_f32_e64 v10, 0x46000000, |v12|
	s_and_not1_b32 s6, s6, exec_lo
	s_mov_b32 s10, 0
	s_delay_alu instid0(VALU_DEP_1) | instskip(NEXT) | instid1(VALU_DEP_1)
	v_and_b32_e32 v10, 0xff, v10
	v_cmp_ne_u32_e32 vcc_lo, 0, v10
	s_and_b32 s11, vcc_lo, exec_lo
	s_delay_alu instid0(SALU_CYCLE_1)
	s_or_b32 s6, s6, s11
	s_or_b32 exec_lo, exec_lo, s7
	v_mov_b32_e32 v13, s10
	s_and_saveexec_b32 s7, s6
	s_cbranch_execnz .LBB209_1689
	s_branch .LBB209_1690
.LBB209_2139:
	s_trap 2
	s_sendmsg_rtn_b32 s0, sendmsg(MSG_RTN_GET_DOORBELL)
	s_mov_b32 ttmp2, m0
	s_waitcnt lgkmcnt(0)
	s_and_b32 s0, s0, 0x3ff
	s_delay_alu instid0(SALU_CYCLE_1) | instskip(NEXT) | instid1(SALU_CYCLE_1)
	s_bitset1_b32 s0, 10
	s_mov_b32 m0, s0
	s_sendmsg sendmsg(MSG_INTERRUPT)
	s_mov_b32 m0, ttmp2
.LBB209_2140:                           ; =>This Inner Loop Header: Depth=1
	s_sethalt 5
	s_branch .LBB209_2140
.LBB209_2141:
	s_cbranch_execnz .LBB209_2147
; %bb.2142:
	s_or_b32 s1, s1, exec_lo
	s_cbranch_execz .LBB209_1736
	s_branch .LBB209_1737
.LBB209_2143:
	s_or_saveexec_b32 s6, s6
                                        ; implicit-def: $sgpr7
	s_delay_alu instid0(SALU_CYCLE_1)
	s_xor_b32 exec_lo, exec_lo, s6
	s_cbranch_execz .LBB209_1701
.LBB209_2144:
	v_add_f32_e64 v10, 0x42800000, |v12|
	s_and_not1_b32 s3, s3, exec_lo
	s_mov_b32 s7, 0
	s_delay_alu instid0(VALU_DEP_1) | instskip(NEXT) | instid1(VALU_DEP_1)
	v_and_b32_e32 v10, 0xff, v10
	v_cmp_ne_u32_e32 vcc_lo, 0, v10
	s_and_b32 s10, vcc_lo, exec_lo
	s_delay_alu instid0(SALU_CYCLE_1)
	s_or_b32 s3, s3, s10
	s_or_b32 exec_lo, exec_lo, s6
	v_mov_b32_e32 v13, s7
	s_and_saveexec_b32 s6, s3
	s_cbranch_execnz .LBB209_1702
	s_branch .LBB209_1703
.LBB209_2145:
	s_or_saveexec_b32 s7, s7
                                        ; implicit-def: $sgpr10
	s_delay_alu instid0(SALU_CYCLE_1)
	s_xor_b32 exec_lo, exec_lo, s7
	s_cbranch_execz .LBB209_1806
.LBB209_2146:
	v_add_f32_e64 v8, 0x46000000, |v9|
	s_and_not1_b32 s6, s6, exec_lo
	s_mov_b32 s10, 0
	s_delay_alu instid0(VALU_DEP_1) | instskip(NEXT) | instid1(VALU_DEP_1)
	v_and_b32_e32 v8, 0xff, v8
	v_cmp_ne_u32_e32 vcc_lo, 0, v8
	s_and_b32 s11, vcc_lo, exec_lo
	s_delay_alu instid0(SALU_CYCLE_1)
	s_or_b32 s6, s6, s11
	s_or_b32 exec_lo, exec_lo, s7
	v_mov_b32_e32 v10, s10
	s_and_saveexec_b32 s7, s6
	s_cbranch_execnz .LBB209_1807
	s_branch .LBB209_1808
.LBB209_2147:
	s_trap 2
	s_sendmsg_rtn_b32 s0, sendmsg(MSG_RTN_GET_DOORBELL)
	s_mov_b32 ttmp2, m0
	s_waitcnt lgkmcnt(0)
	s_and_b32 s0, s0, 0x3ff
	s_delay_alu instid0(SALU_CYCLE_1) | instskip(NEXT) | instid1(SALU_CYCLE_1)
	s_bitset1_b32 s0, 10
	s_mov_b32 m0, s0
	s_sendmsg sendmsg(MSG_INTERRUPT)
	s_mov_b32 m0, ttmp2
.LBB209_2148:                           ; =>This Inner Loop Header: Depth=1
	s_sethalt 5
	s_branch .LBB209_2148
.LBB209_2149:
	s_cbranch_execnz .LBB209_2155
; %bb.2150:
	s_or_b32 s1, s1, exec_lo
	s_cbranch_execz .LBB209_1854
	s_branch .LBB209_1855
.LBB209_2151:
	s_or_saveexec_b32 s6, s6
                                        ; implicit-def: $sgpr7
	s_delay_alu instid0(SALU_CYCLE_1)
	s_xor_b32 exec_lo, exec_lo, s6
	s_cbranch_execz .LBB209_1819
.LBB209_2152:
	v_add_f32_e64 v8, 0x42800000, |v9|
	s_and_not1_b32 s3, s3, exec_lo
	s_mov_b32 s7, 0
	s_delay_alu instid0(VALU_DEP_1) | instskip(NEXT) | instid1(VALU_DEP_1)
	v_and_b32_e32 v8, 0xff, v8
	v_cmp_ne_u32_e32 vcc_lo, 0, v8
	s_and_b32 s10, vcc_lo, exec_lo
	s_delay_alu instid0(SALU_CYCLE_1)
	s_or_b32 s3, s3, s10
	s_or_b32 exec_lo, exec_lo, s6
	v_mov_b32_e32 v10, s7
	s_and_saveexec_b32 s6, s3
	s_cbranch_execnz .LBB209_1820
	s_branch .LBB209_1821
.LBB209_2153:
	s_or_saveexec_b32 s7, s7
                                        ; implicit-def: $sgpr10
	s_delay_alu instid0(SALU_CYCLE_1)
	s_xor_b32 exec_lo, exec_lo, s7
	s_cbranch_execz .LBB209_1924
.LBB209_2154:
	v_add_f32_e64 v5, 0x46000000, |v7|
	s_and_not1_b32 s6, s6, exec_lo
	s_mov_b32 s10, 0
	s_delay_alu instid0(VALU_DEP_1) | instskip(NEXT) | instid1(VALU_DEP_1)
	v_and_b32_e32 v5, 0xff, v5
	v_cmp_ne_u32_e32 vcc_lo, 0, v5
	s_and_b32 s11, vcc_lo, exec_lo
	s_delay_alu instid0(SALU_CYCLE_1)
	s_or_b32 s6, s6, s11
	s_or_b32 exec_lo, exec_lo, s7
	v_mov_b32_e32 v8, s10
	s_and_saveexec_b32 s7, s6
	s_cbranch_execnz .LBB209_1925
	s_branch .LBB209_1926
.LBB209_2155:
	s_trap 2
	s_sendmsg_rtn_b32 s0, sendmsg(MSG_RTN_GET_DOORBELL)
	s_mov_b32 ttmp2, m0
	s_waitcnt lgkmcnt(0)
	s_and_b32 s0, s0, 0x3ff
	s_delay_alu instid0(SALU_CYCLE_1) | instskip(NEXT) | instid1(SALU_CYCLE_1)
	s_bitset1_b32 s0, 10
	s_mov_b32 m0, s0
	s_sendmsg sendmsg(MSG_INTERRUPT)
	s_mov_b32 m0, ttmp2
.LBB209_2156:                           ; =>This Inner Loop Header: Depth=1
	s_sethalt 5
	s_branch .LBB209_2156
.LBB209_2157:
	s_cbranch_execnz .LBB209_2163
; %bb.2158:
	s_or_b32 s1, s1, exec_lo
	s_cbranch_execz .LBB209_1972
	s_branch .LBB209_1973
.LBB209_2159:
	s_or_saveexec_b32 s6, s6
                                        ; implicit-def: $sgpr7
	s_delay_alu instid0(SALU_CYCLE_1)
	s_xor_b32 exec_lo, exec_lo, s6
	s_cbranch_execz .LBB209_1937
.LBB209_2160:
	v_add_f32_e64 v5, 0x42800000, |v7|
	s_and_not1_b32 s3, s3, exec_lo
	s_mov_b32 s7, 0
	s_delay_alu instid0(VALU_DEP_1) | instskip(NEXT) | instid1(VALU_DEP_1)
	v_and_b32_e32 v5, 0xff, v5
	v_cmp_ne_u32_e32 vcc_lo, 0, v5
	s_and_b32 s10, vcc_lo, exec_lo
	s_delay_alu instid0(SALU_CYCLE_1)
	s_or_b32 s3, s3, s10
	s_or_b32 exec_lo, exec_lo, s6
	v_mov_b32_e32 v8, s7
	s_and_saveexec_b32 s6, s3
	s_cbranch_execnz .LBB209_1938
	s_branch .LBB209_1939
.LBB209_2161:
	s_or_saveexec_b32 s5, s5
                                        ; implicit-def: $sgpr6
	s_delay_alu instid0(SALU_CYCLE_1)
	s_xor_b32 exec_lo, exec_lo, s5
	s_cbranch_execz .LBB209_2043
.LBB209_2162:
	v_add_f32_e64 v4, 0x46000000, |v5|
	s_and_not1_b32 s4, s4, exec_lo
	s_mov_b32 s6, 0
	s_delay_alu instid0(VALU_DEP_1) | instskip(NEXT) | instid1(VALU_DEP_1)
	v_and_b32_e32 v4, 0xff, v4
	v_cmp_ne_u32_e32 vcc_lo, 0, v4
	s_and_b32 s7, vcc_lo, exec_lo
	s_delay_alu instid0(SALU_CYCLE_1)
	s_or_b32 s4, s4, s7
	s_or_b32 exec_lo, exec_lo, s5
	v_mov_b32_e32 v7, s6
	s_and_saveexec_b32 s5, s4
	s_cbranch_execnz .LBB209_2044
	s_branch .LBB209_2045
.LBB209_2163:
	s_trap 2
	s_sendmsg_rtn_b32 s0, sendmsg(MSG_RTN_GET_DOORBELL)
	s_mov_b32 ttmp2, m0
	s_waitcnt lgkmcnt(0)
	s_and_b32 s0, s0, 0x3ff
	s_delay_alu instid0(SALU_CYCLE_1) | instskip(NEXT) | instid1(SALU_CYCLE_1)
	s_bitset1_b32 s0, 10
	s_mov_b32 m0, s0
	s_sendmsg sendmsg(MSG_INTERRUPT)
	s_mov_b32 m0, ttmp2
.LBB209_2164:                           ; =>This Inner Loop Header: Depth=1
	s_sethalt 5
	s_branch .LBB209_2164
.LBB209_2165:
	s_cbranch_execnz .LBB209_2169
; %bb.2166:
	s_mov_b32 s2, 0
	s_or_b32 s1, s1, exec_lo
	s_branch .LBB209_2089
.LBB209_2167:
	s_or_saveexec_b32 s4, s4
                                        ; implicit-def: $sgpr5
	s_delay_alu instid0(SALU_CYCLE_1)
	s_xor_b32 exec_lo, exec_lo, s4
	s_cbranch_execz .LBB209_2055
.LBB209_2168:
	v_add_f32_e64 v4, 0x42800000, |v5|
	s_and_not1_b32 s3, s3, exec_lo
	s_mov_b32 s5, 0
	s_delay_alu instid0(VALU_DEP_1) | instskip(NEXT) | instid1(VALU_DEP_1)
	v_and_b32_e32 v4, 0xff, v4
	v_cmp_ne_u32_e32 vcc_lo, 0, v4
	s_and_b32 s6, vcc_lo, exec_lo
	s_delay_alu instid0(SALU_CYCLE_1)
	s_or_b32 s3, s3, s6
	s_or_b32 exec_lo, exec_lo, s4
	v_mov_b32_e32 v7, s5
	s_and_saveexec_b32 s4, s3
	s_cbranch_execnz .LBB209_2056
	s_branch .LBB209_2057
.LBB209_2169:
	s_trap 2
	s_sendmsg_rtn_b32 s0, sendmsg(MSG_RTN_GET_DOORBELL)
	s_mov_b32 ttmp2, m0
	s_waitcnt lgkmcnt(0)
	s_and_b32 s0, s0, 0x3ff
	s_delay_alu instid0(SALU_CYCLE_1) | instskip(NEXT) | instid1(SALU_CYCLE_1)
	s_bitset1_b32 s0, 10
	s_mov_b32 m0, s0
	s_sendmsg sendmsg(MSG_INTERRUPT)
	s_mov_b32 m0, ttmp2
.LBB209_2170:                           ; =>This Inner Loop Header: Depth=1
	s_sethalt 5
	s_branch .LBB209_2170
	.section	.rodata,"a",@progbits
	.p2align	6, 0x0
	.amdhsa_kernel _ZN2at6native32elementwise_kernel_manual_unrollILi128ELi4EZNS0_15gpu_kernel_implIZZZNS0_17rsqrt_kernel_cudaERNS_18TensorIteratorBaseEENKUlvE0_clEvENKUlvE1_clEvEUlN3c108BFloat16EE_EEvS4_RKT_EUlibE0_EEviT1_
		.amdhsa_group_segment_fixed_size 0
		.amdhsa_private_segment_fixed_size 0
		.amdhsa_kernarg_size 360
		.amdhsa_user_sgpr_count 15
		.amdhsa_user_sgpr_dispatch_ptr 0
		.amdhsa_user_sgpr_queue_ptr 0
		.amdhsa_user_sgpr_kernarg_segment_ptr 1
		.amdhsa_user_sgpr_dispatch_id 0
		.amdhsa_user_sgpr_private_segment_size 0
		.amdhsa_wavefront_size32 1
		.amdhsa_uses_dynamic_stack 0
		.amdhsa_enable_private_segment 0
		.amdhsa_system_sgpr_workgroup_id_x 1
		.amdhsa_system_sgpr_workgroup_id_y 0
		.amdhsa_system_sgpr_workgroup_id_z 0
		.amdhsa_system_sgpr_workgroup_info 0
		.amdhsa_system_vgpr_workitem_id 0
		.amdhsa_next_free_vgpr 18
		.amdhsa_next_free_sgpr 68
		.amdhsa_reserve_vcc 1
		.amdhsa_float_round_mode_32 0
		.amdhsa_float_round_mode_16_64 0
		.amdhsa_float_denorm_mode_32 3
		.amdhsa_float_denorm_mode_16_64 3
		.amdhsa_dx10_clamp 1
		.amdhsa_ieee_mode 1
		.amdhsa_fp16_overflow 0
		.amdhsa_workgroup_processor_mode 1
		.amdhsa_memory_ordered 1
		.amdhsa_forward_progress 0
		.amdhsa_shared_vgpr_count 0
		.amdhsa_exception_fp_ieee_invalid_op 0
		.amdhsa_exception_fp_denorm_src 0
		.amdhsa_exception_fp_ieee_div_zero 0
		.amdhsa_exception_fp_ieee_overflow 0
		.amdhsa_exception_fp_ieee_underflow 0
		.amdhsa_exception_fp_ieee_inexact 0
		.amdhsa_exception_int_div_zero 0
	.end_amdhsa_kernel
	.section	.text._ZN2at6native32elementwise_kernel_manual_unrollILi128ELi4EZNS0_15gpu_kernel_implIZZZNS0_17rsqrt_kernel_cudaERNS_18TensorIteratorBaseEENKUlvE0_clEvENKUlvE1_clEvEUlN3c108BFloat16EE_EEvS4_RKT_EUlibE0_EEviT1_,"axG",@progbits,_ZN2at6native32elementwise_kernel_manual_unrollILi128ELi4EZNS0_15gpu_kernel_implIZZZNS0_17rsqrt_kernel_cudaERNS_18TensorIteratorBaseEENKUlvE0_clEvENKUlvE1_clEvEUlN3c108BFloat16EE_EEvS4_RKT_EUlibE0_EEviT1_,comdat
.Lfunc_end209:
	.size	_ZN2at6native32elementwise_kernel_manual_unrollILi128ELi4EZNS0_15gpu_kernel_implIZZZNS0_17rsqrt_kernel_cudaERNS_18TensorIteratorBaseEENKUlvE0_clEvENKUlvE1_clEvEUlN3c108BFloat16EE_EEvS4_RKT_EUlibE0_EEviT1_, .Lfunc_end209-_ZN2at6native32elementwise_kernel_manual_unrollILi128ELi4EZNS0_15gpu_kernel_implIZZZNS0_17rsqrt_kernel_cudaERNS_18TensorIteratorBaseEENKUlvE0_clEvENKUlvE1_clEvEUlN3c108BFloat16EE_EEvS4_RKT_EUlibE0_EEviT1_
                                        ; -- End function
	.section	.AMDGPU.csdata,"",@progbits
; Kernel info:
; codeLenInByte = 48908
; NumSgprs: 70
; NumVgprs: 18
; ScratchSize: 0
; MemoryBound: 0
; FloatMode: 240
; IeeeMode: 1
; LDSByteSize: 0 bytes/workgroup (compile time only)
; SGPRBlocks: 8
; VGPRBlocks: 2
; NumSGPRsForWavesPerEU: 70
; NumVGPRsForWavesPerEU: 18
; Occupancy: 16
; WaveLimiterHint : 1
; COMPUTE_PGM_RSRC2:SCRATCH_EN: 0
; COMPUTE_PGM_RSRC2:USER_SGPR: 15
; COMPUTE_PGM_RSRC2:TRAP_HANDLER: 0
; COMPUTE_PGM_RSRC2:TGID_X_EN: 1
; COMPUTE_PGM_RSRC2:TGID_Y_EN: 0
; COMPUTE_PGM_RSRC2:TGID_Z_EN: 0
; COMPUTE_PGM_RSRC2:TIDIG_COMP_CNT: 0
	.section	.text._ZN2at6native29vectorized_elementwise_kernelILi16EZZZNS0_17rsqrt_kernel_cudaERNS_18TensorIteratorBaseEENKUlvE0_clEvENKUlvE2_clEvEUlN3c104HalfEE_St5arrayIPcLm2EEEEviT0_T1_,"axG",@progbits,_ZN2at6native29vectorized_elementwise_kernelILi16EZZZNS0_17rsqrt_kernel_cudaERNS_18TensorIteratorBaseEENKUlvE0_clEvENKUlvE2_clEvEUlN3c104HalfEE_St5arrayIPcLm2EEEEviT0_T1_,comdat
	.globl	_ZN2at6native29vectorized_elementwise_kernelILi16EZZZNS0_17rsqrt_kernel_cudaERNS_18TensorIteratorBaseEENKUlvE0_clEvENKUlvE2_clEvEUlN3c104HalfEE_St5arrayIPcLm2EEEEviT0_T1_ ; -- Begin function _ZN2at6native29vectorized_elementwise_kernelILi16EZZZNS0_17rsqrt_kernel_cudaERNS_18TensorIteratorBaseEENKUlvE0_clEvENKUlvE2_clEvEUlN3c104HalfEE_St5arrayIPcLm2EEEEviT0_T1_
	.p2align	8
	.type	_ZN2at6native29vectorized_elementwise_kernelILi16EZZZNS0_17rsqrt_kernel_cudaERNS_18TensorIteratorBaseEENKUlvE0_clEvENKUlvE2_clEvEUlN3c104HalfEE_St5arrayIPcLm2EEEEviT0_T1_,@function
_ZN2at6native29vectorized_elementwise_kernelILi16EZZZNS0_17rsqrt_kernel_cudaERNS_18TensorIteratorBaseEENKUlvE0_clEvENKUlvE2_clEvEUlN3c104HalfEE_St5arrayIPcLm2EEEEviT0_T1_: ; @_ZN2at6native29vectorized_elementwise_kernelILi16EZZZNS0_17rsqrt_kernel_cudaERNS_18TensorIteratorBaseEENKUlvE0_clEvENKUlvE2_clEvEUlN3c104HalfEE_St5arrayIPcLm2EEEEviT0_T1_
; %bb.0:
	s_clause 0x1
	s_load_b32 s2, s[0:1], 0x0
	s_load_b128 s[8:11], s[0:1], 0x8
	s_lshl_b32 s12, s15, 11
	s_mov_b32 s0, -1
	s_waitcnt lgkmcnt(0)
	s_sub_i32 s7, s2, s12
	s_delay_alu instid0(SALU_CYCLE_1)
	s_cmpk_gt_i32 s7, 0x7ff
	s_cbranch_scc0 .LBB210_2
; %bb.1:
	s_ashr_i32 s13, s12, 31
	v_lshlrev_b32_e32 v49, 4, v0
	s_lshl_b64 s[14:15], s[12:13], 1
	s_delay_alu instid0(SALU_CYCLE_1)
	s_add_u32 s0, s10, s14
	s_addc_u32 s1, s11, s15
	global_load_b128 v[1:4], v49, s[0:1]
	s_waitcnt vmcnt(0)
	v_lshrrev_b32_e32 v5, 16, v1
	v_lshrrev_b32_e32 v7, 16, v2
	v_cvt_f32_f16_e32 v1, v1
	v_lshrrev_b32_e32 v9, 16, v3
	v_cvt_f32_f16_e32 v6, v2
	;; [unrolled: 2-line block ×3, first 2 shown]
	v_cvt_f64_f32_e32 v[1:2], v1
	v_cvt_f32_f16_e32 v10, v4
	v_cvt_f64_f32_e32 v[3:4], v6
	v_cvt_f32_f16_e32 v12, v5
	v_cvt_f32_f16_e32 v13, v7
	;; [unrolled: 1-line block ×4, first 2 shown]
	v_cvt_f64_f32_e32 v[5:6], v8
	v_cvt_f64_f32_e32 v[7:8], v10
	;; [unrolled: 1-line block ×6, first 2 shown]
	v_rsq_f64_e32 v[17:18], v[1:2]
	v_rsq_f64_e32 v[19:20], v[3:4]
	;; [unrolled: 1-line block ×4, first 2 shown]
	s_delay_alu instid0(VALU_DEP_4) | instskip(NEXT) | instid1(VALU_DEP_3)
	v_rsq_f64_e32 v[25:26], v[9:10]
	v_rsq_f64_e32 v[27:28], v[11:12]
	s_delay_alu instid0(VALU_DEP_2) | instskip(NEXT) | instid1(VALU_DEP_1)
	v_rsq_f64_e32 v[29:30], v[13:14]
	v_rsq_f64_e32 v[31:32], v[15:16]
	v_mul_f64 v[1:2], v[17:18], -v[1:2]
	v_cmp_class_f64_e64 vcc_lo, v[17:18], 0x180
	v_mul_f64 v[3:4], v[19:20], -v[3:4]
	v_cmp_class_f64_e64 s0, v[19:20], 0x180
	v_mul_f64 v[5:6], v[21:22], -v[5:6]
	v_mul_f64 v[7:8], v[23:24], -v[7:8]
	;; [unrolled: 1-line block ×3, first 2 shown]
	s_delay_alu instid0(TRANS32_DEP_3) | instskip(NEXT) | instid1(TRANS32_DEP_2)
	v_mul_f64 v[11:12], v[27:28], -v[11:12]
	v_mul_f64 v[13:14], v[29:30], -v[13:14]
	s_delay_alu instid0(TRANS32_DEP_1)
	v_mul_f64 v[15:16], v[31:32], -v[15:16]
	v_cmp_class_f64_e64 s1, v[21:22], 0x180
	v_cmp_class_f64_e64 s2, v[23:24], 0x180
	;; [unrolled: 1-line block ×6, first 2 shown]
	v_fma_f64 v[1:2], v[1:2], v[17:18], 1.0
	v_fma_f64 v[3:4], v[3:4], v[19:20], 1.0
	;; [unrolled: 1-line block ×8, first 2 shown]
	v_mul_f64 v[33:34], v[17:18], v[1:2]
	v_fma_f64 v[1:2], 0x3fd80000, v[1:2], 0.5
	v_mul_f64 v[35:36], v[19:20], v[3:4]
	v_fma_f64 v[3:4], 0x3fd80000, v[3:4], 0.5
	;; [unrolled: 2-line block ×8, first 2 shown]
	v_fma_f64 v[1:2], v[33:34], v[1:2], v[17:18]
	v_fma_f64 v[3:4], v[35:36], v[3:4], v[19:20]
	;; [unrolled: 1-line block ×8, first 2 shown]
	v_dual_cndmask_b32 v2, v18, v2 :: v_dual_cndmask_b32 v1, v17, v1
	v_cndmask_b32_e64 v4, v20, v4, s0
	v_cndmask_b32_e64 v3, v19, v3, s0
	s_mov_b32 s0, 0
	s_delay_alu instid0(VALU_DEP_3)
	v_cvt_f32_f64_e32 v17, v[1:2]
	v_cndmask_b32_e64 v6, v22, v6, s1
	v_cndmask_b32_e64 v5, v21, v5, s1
	;; [unrolled: 1-line block ×6, first 2 shown]
	v_cvt_f32_f64_e32 v18, v[3:4]
	v_cndmask_b32_e64 v4, v28, v12, s6
	v_cndmask_b32_e64 v10, v30, v14, s5
	;; [unrolled: 1-line block ×6, first 2 shown]
	v_cvt_f32_f64_e32 v5, v[5:6]
	v_cvt_f32_f64_e32 v6, v[7:8]
	;; [unrolled: 1-line block ×6, first 2 shown]
	s_add_u32 s2, s8, s14
	s_addc_u32 s3, s9, s15
	v_cvt_f16_f32_e32 v9, v17
	v_cvt_f16_f32_e32 v2, v18
	;; [unrolled: 1-line block ×8, first 2 shown]
	s_delay_alu instid0(VALU_DEP_4) | instskip(NEXT) | instid1(VALU_DEP_4)
	v_pack_b32_f16 v4, v4, v6
	v_pack_b32_f16 v3, v5, v7
	s_delay_alu instid0(VALU_DEP_4) | instskip(NEXT) | instid1(VALU_DEP_4)
	v_pack_b32_f16 v2, v2, v8
	v_pack_b32_f16 v1, v9, v1
	global_store_b128 v49, v[1:4], s[2:3]
.LBB210_2:
	s_and_not1_b32 vcc_lo, exec_lo, s0
	s_cbranch_vccnz .LBB210_41
; %bb.3:
	v_cmp_gt_i32_e32 vcc_lo, s7, v0
	v_dual_mov_b32 v4, 0 :: v_dual_mov_b32 v7, v0
	v_or_b32_e32 v1, s12, v0
	v_or_b32_e32 v3, 0x100, v0
	v_mov_b32_e32 v8, 0
	s_and_saveexec_b32 s1, vcc_lo
	s_cbranch_execz .LBB210_5
; %bb.4:
	v_mov_b32_e32 v2, 0
	v_or_b32_e32 v7, 0x100, v0
	s_delay_alu instid0(VALU_DEP_2) | instskip(NEXT) | instid1(VALU_DEP_1)
	v_lshlrev_b64 v[5:6], 1, v[1:2]
	v_add_co_u32 v5, s0, s10, v5
	s_delay_alu instid0(VALU_DEP_1)
	v_add_co_ci_u32_e64 v6, s0, s11, v6, s0
	global_load_u16 v8, v[5:6], off
.LBB210_5:
	s_or_b32 exec_lo, exec_lo, s1
	s_delay_alu instid0(SALU_CYCLE_1)
	s_mov_b32 s1, exec_lo
	v_cmpx_gt_i32_e64 s7, v7
	s_cbranch_execz .LBB210_7
; %bb.6:
	v_dual_mov_b32 v5, 0 :: v_dual_add_nc_u32 v4, s12, v7
	v_add_nc_u32_e32 v7, 0x100, v7
	s_delay_alu instid0(VALU_DEP_2) | instskip(NEXT) | instid1(VALU_DEP_1)
	v_lshlrev_b64 v[4:5], 1, v[4:5]
	v_add_co_u32 v4, s0, s10, v4
	s_delay_alu instid0(VALU_DEP_1)
	v_add_co_ci_u32_e64 v5, s0, s11, v5, s0
	global_load_u16 v4, v[4:5], off
.LBB210_7:
	s_or_b32 exec_lo, exec_lo, s1
	v_dual_mov_b32 v6, 0 :: v_dual_mov_b32 v11, 0
	s_mov_b32 s1, exec_lo
	v_cmpx_gt_i32_e64 s7, v7
	s_cbranch_execz .LBB210_9
; %bb.8:
	v_dual_mov_b32 v10, 0 :: v_dual_add_nc_u32 v9, s12, v7
	v_add_nc_u32_e32 v7, 0x100, v7
	s_delay_alu instid0(VALU_DEP_2) | instskip(NEXT) | instid1(VALU_DEP_1)
	v_lshlrev_b64 v[9:10], 1, v[9:10]
	v_add_co_u32 v9, s0, s10, v9
	s_delay_alu instid0(VALU_DEP_1)
	v_add_co_ci_u32_e64 v10, s0, s11, v10, s0
	global_load_u16 v11, v[9:10], off
.LBB210_9:
	s_or_b32 exec_lo, exec_lo, s1
	s_delay_alu instid0(SALU_CYCLE_1)
	s_mov_b32 s1, exec_lo
	v_cmpx_gt_i32_e64 s7, v7
	s_cbranch_execz .LBB210_11
; %bb.10:
	v_dual_mov_b32 v6, 0 :: v_dual_add_nc_u32 v5, s12, v7
	v_add_nc_u32_e32 v7, 0x100, v7
	s_delay_alu instid0(VALU_DEP_2) | instskip(NEXT) | instid1(VALU_DEP_1)
	v_lshlrev_b64 v[5:6], 1, v[5:6]
	v_add_co_u32 v5, s0, s10, v5
	s_delay_alu instid0(VALU_DEP_1)
	v_add_co_ci_u32_e64 v6, s0, s11, v6, s0
	global_load_u16 v6, v[5:6], off
.LBB210_11:
	s_or_b32 exec_lo, exec_lo, s1
	v_dual_mov_b32 v5, 0 :: v_dual_mov_b32 v10, 0
	s_mov_b32 s1, exec_lo
	v_cmpx_gt_i32_e64 s7, v7
	s_cbranch_execz .LBB210_13
; %bb.12:
	v_dual_mov_b32 v10, 0 :: v_dual_add_nc_u32 v9, s12, v7
	v_add_nc_u32_e32 v7, 0x100, v7
	s_delay_alu instid0(VALU_DEP_2) | instskip(NEXT) | instid1(VALU_DEP_1)
	v_lshlrev_b64 v[9:10], 1, v[9:10]
	v_add_co_u32 v9, s0, s10, v9
	s_delay_alu instid0(VALU_DEP_1)
	v_add_co_ci_u32_e64 v10, s0, s11, v10, s0
	global_load_u16 v10, v[9:10], off
.LBB210_13:
	s_or_b32 exec_lo, exec_lo, s1
	s_delay_alu instid0(SALU_CYCLE_1)
	s_mov_b32 s1, exec_lo
	v_cmpx_gt_i32_e64 s7, v7
	s_cbranch_execz .LBB210_15
; %bb.14:
	v_dual_mov_b32 v13, 0 :: v_dual_add_nc_u32 v12, s12, v7
	v_add_nc_u32_e32 v7, 0x100, v7
	s_delay_alu instid0(VALU_DEP_2) | instskip(NEXT) | instid1(VALU_DEP_1)
	v_lshlrev_b64 v[12:13], 1, v[12:13]
	v_add_co_u32 v12, s0, s10, v12
	s_delay_alu instid0(VALU_DEP_1)
	v_add_co_ci_u32_e64 v13, s0, s11, v13, s0
	global_load_u16 v5, v[12:13], off
.LBB210_15:
	s_or_b32 exec_lo, exec_lo, s1
	v_dual_mov_b32 v2, 0 :: v_dual_mov_b32 v9, 0
	s_mov_b32 s1, exec_lo
	v_cmpx_gt_i32_e64 s7, v7
	s_cbranch_execz .LBB210_42
; %bb.16:
	v_dual_mov_b32 v13, 0 :: v_dual_add_nc_u32 v12, s12, v7
	v_add_nc_u32_e32 v7, 0x100, v7
	s_delay_alu instid0(VALU_DEP_2) | instskip(NEXT) | instid1(VALU_DEP_1)
	v_lshlrev_b64 v[12:13], 1, v[12:13]
	v_add_co_u32 v12, s0, s10, v12
	s_delay_alu instid0(VALU_DEP_1) | instskip(SKIP_2) | instid1(SALU_CYCLE_1)
	v_add_co_ci_u32_e64 v13, s0, s11, v13, s0
	global_load_u16 v9, v[12:13], off
	s_or_b32 exec_lo, exec_lo, s1
	s_mov_b32 s1, exec_lo
	v_cmpx_gt_i32_e64 s7, v7
	s_cbranch_execnz .LBB210_43
.LBB210_17:
	s_or_b32 exec_lo, exec_lo, s1
                                        ; implicit-def: $vgpr7
	s_and_saveexec_b32 s1, vcc_lo
	s_cbranch_execz .LBB210_19
.LBB210_18:
	s_waitcnt vmcnt(0)
	v_cvt_f32_f16_e32 v7, v8
	s_delay_alu instid0(VALU_DEP_1) | instskip(NEXT) | instid1(VALU_DEP_1)
	v_cvt_f64_f32_e32 v[7:8], v7
	v_rsq_f64_e32 v[12:13], v[7:8]
	s_waitcnt_depctr 0xfff
	v_mul_f64 v[7:8], v[12:13], -v[7:8]
	v_cmp_class_f64_e64 s0, v[12:13], 0x180
	s_delay_alu instid0(VALU_DEP_2) | instskip(NEXT) | instid1(VALU_DEP_1)
	v_fma_f64 v[7:8], v[7:8], v[12:13], 1.0
	v_mul_f64 v[14:15], v[12:13], v[7:8]
	v_fma_f64 v[7:8], 0x3fd80000, v[7:8], 0.5
	s_delay_alu instid0(VALU_DEP_1) | instskip(NEXT) | instid1(VALU_DEP_1)
	v_fma_f64 v[7:8], v[14:15], v[7:8], v[12:13]
	v_cndmask_b32_e64 v8, v13, v8, s0
	s_delay_alu instid0(VALU_DEP_2) | instskip(NEXT) | instid1(VALU_DEP_1)
	v_cndmask_b32_e64 v7, v12, v7, s0
	v_cvt_f32_f64_e32 v7, v[7:8]
	s_delay_alu instid0(VALU_DEP_1)
	v_cvt_f16_f32_e32 v7, v7
.LBB210_19:
	s_or_b32 exec_lo, exec_lo, s1
	s_delay_alu instid0(SALU_CYCLE_1)
	s_mov_b32 s1, exec_lo
                                        ; implicit-def: $vgpr8
	v_cmpx_gt_i32_e64 s7, v3
	s_cbranch_execz .LBB210_21
; %bb.20:
	s_waitcnt vmcnt(0)
	v_cvt_f32_f16_e32 v4, v4
	s_delay_alu instid0(VALU_DEP_1) | instskip(NEXT) | instid1(VALU_DEP_1)
	v_cvt_f64_f32_e32 v[12:13], v4
	v_rsq_f64_e32 v[14:15], v[12:13]
	s_waitcnt_depctr 0xfff
	v_mul_f64 v[12:13], v[14:15], -v[12:13]
	v_cmp_class_f64_e64 s0, v[14:15], 0x180
	s_delay_alu instid0(VALU_DEP_2) | instskip(NEXT) | instid1(VALU_DEP_1)
	v_fma_f64 v[12:13], v[12:13], v[14:15], 1.0
	v_mul_f64 v[16:17], v[14:15], v[12:13]
	v_fma_f64 v[12:13], 0x3fd80000, v[12:13], 0.5
	s_delay_alu instid0(VALU_DEP_1) | instskip(NEXT) | instid1(VALU_DEP_1)
	v_fma_f64 v[12:13], v[16:17], v[12:13], v[14:15]
	v_cndmask_b32_e64 v13, v15, v13, s0
	s_delay_alu instid0(VALU_DEP_2) | instskip(NEXT) | instid1(VALU_DEP_1)
	v_cndmask_b32_e64 v12, v14, v12, s0
	v_cvt_f32_f64_e32 v4, v[12:13]
	s_delay_alu instid0(VALU_DEP_1)
	v_cvt_f16_f32_e32 v8, v4
.LBB210_21:
	s_or_b32 exec_lo, exec_lo, s1
	s_waitcnt vmcnt(0)
	v_or_b32_e32 v4, 0x200, v0
	s_delay_alu instid0(VALU_DEP_1) | instskip(NEXT) | instid1(VALU_DEP_1)
	v_cmp_gt_i32_e64 s0, s7, v4
                                        ; implicit-def: $vgpr4
	s_and_saveexec_b32 s1, s0
	s_cbranch_execz .LBB210_23
; %bb.22:
	v_cvt_f32_f16_e32 v4, v11
	s_delay_alu instid0(VALU_DEP_1) | instskip(NEXT) | instid1(VALU_DEP_1)
	v_cvt_f64_f32_e32 v[11:12], v4
	v_rsq_f64_e32 v[13:14], v[11:12]
	s_waitcnt_depctr 0xfff
	v_mul_f64 v[11:12], v[13:14], -v[11:12]
	v_cmp_class_f64_e64 s0, v[13:14], 0x180
	s_delay_alu instid0(VALU_DEP_2) | instskip(NEXT) | instid1(VALU_DEP_1)
	v_fma_f64 v[11:12], v[11:12], v[13:14], 1.0
	v_mul_f64 v[15:16], v[13:14], v[11:12]
	v_fma_f64 v[11:12], 0x3fd80000, v[11:12], 0.5
	s_delay_alu instid0(VALU_DEP_1) | instskip(NEXT) | instid1(VALU_DEP_1)
	v_fma_f64 v[11:12], v[15:16], v[11:12], v[13:14]
	v_cndmask_b32_e64 v12, v14, v12, s0
	s_delay_alu instid0(VALU_DEP_2) | instskip(NEXT) | instid1(VALU_DEP_1)
	v_cndmask_b32_e64 v11, v13, v11, s0
	v_cvt_f32_f64_e32 v4, v[11:12]
	s_delay_alu instid0(VALU_DEP_1)
	v_cvt_f16_f32_e32 v4, v4
.LBB210_23:
	s_or_b32 exec_lo, exec_lo, s1
	v_or_b32_e32 v11, 0x300, v0
	s_delay_alu instid0(VALU_DEP_1) | instskip(NEXT) | instid1(VALU_DEP_1)
	v_cmp_gt_i32_e64 s0, s7, v11
                                        ; implicit-def: $vgpr11
	s_and_saveexec_b32 s1, s0
	s_cbranch_execz .LBB210_25
; %bb.24:
	v_cvt_f32_f16_e32 v6, v6
	s_delay_alu instid0(VALU_DEP_1) | instskip(NEXT) | instid1(VALU_DEP_1)
	v_cvt_f64_f32_e32 v[11:12], v6
	v_rsq_f64_e32 v[13:14], v[11:12]
	s_waitcnt_depctr 0xfff
	v_mul_f64 v[11:12], v[13:14], -v[11:12]
	v_cmp_class_f64_e64 s0, v[13:14], 0x180
	s_delay_alu instid0(VALU_DEP_2) | instskip(NEXT) | instid1(VALU_DEP_1)
	v_fma_f64 v[11:12], v[11:12], v[13:14], 1.0
	v_mul_f64 v[15:16], v[13:14], v[11:12]
	v_fma_f64 v[11:12], 0x3fd80000, v[11:12], 0.5
	s_delay_alu instid0(VALU_DEP_1) | instskip(NEXT) | instid1(VALU_DEP_1)
	v_fma_f64 v[11:12], v[15:16], v[11:12], v[13:14]
	v_cndmask_b32_e64 v12, v14, v12, s0
	s_delay_alu instid0(VALU_DEP_2) | instskip(NEXT) | instid1(VALU_DEP_1)
	v_cndmask_b32_e64 v11, v13, v11, s0
	v_cvt_f32_f64_e32 v6, v[11:12]
	s_delay_alu instid0(VALU_DEP_1)
	v_cvt_f16_f32_e32 v11, v6
.LBB210_25:
	s_or_b32 exec_lo, exec_lo, s1
	v_or_b32_e32 v6, 0x400, v0
	s_delay_alu instid0(VALU_DEP_1) | instskip(NEXT) | instid1(VALU_DEP_1)
	v_cmp_gt_i32_e64 s0, s7, v6
                                        ; implicit-def: $vgpr6
	s_and_saveexec_b32 s1, s0
	s_cbranch_execz .LBB210_27
; %bb.26:
	v_cvt_f32_f16_e32 v6, v10
	s_delay_alu instid0(VALU_DEP_1) | instskip(NEXT) | instid1(VALU_DEP_1)
	v_cvt_f64_f32_e32 v[12:13], v6
	v_rsq_f64_e32 v[14:15], v[12:13]
	s_waitcnt_depctr 0xfff
	v_mul_f64 v[12:13], v[14:15], -v[12:13]
	v_cmp_class_f64_e64 s0, v[14:15], 0x180
	s_delay_alu instid0(VALU_DEP_2) | instskip(NEXT) | instid1(VALU_DEP_1)
	v_fma_f64 v[12:13], v[12:13], v[14:15], 1.0
	v_mul_f64 v[16:17], v[14:15], v[12:13]
	v_fma_f64 v[12:13], 0x3fd80000, v[12:13], 0.5
	s_delay_alu instid0(VALU_DEP_1) | instskip(NEXT) | instid1(VALU_DEP_1)
	v_fma_f64 v[12:13], v[16:17], v[12:13], v[14:15]
	v_cndmask_b32_e64 v13, v15, v13, s0
	s_delay_alu instid0(VALU_DEP_2) | instskip(NEXT) | instid1(VALU_DEP_1)
	v_cndmask_b32_e64 v12, v14, v12, s0
	v_cvt_f32_f64_e32 v6, v[12:13]
	s_delay_alu instid0(VALU_DEP_1)
	v_cvt_f16_f32_e32 v6, v6
.LBB210_27:
	s_or_b32 exec_lo, exec_lo, s1
	v_or_b32_e32 v10, 0x500, v0
	s_delay_alu instid0(VALU_DEP_1) | instskip(NEXT) | instid1(VALU_DEP_1)
	v_cmp_gt_i32_e64 s0, s7, v10
                                        ; implicit-def: $vgpr10
	s_and_saveexec_b32 s1, s0
	s_cbranch_execz .LBB210_29
; %bb.28:
	v_cvt_f32_f16_e32 v5, v5
	s_delay_alu instid0(VALU_DEP_1) | instskip(NEXT) | instid1(VALU_DEP_1)
	v_cvt_f64_f32_e32 v[12:13], v5
	v_rsq_f64_e32 v[14:15], v[12:13]
	s_waitcnt_depctr 0xfff
	v_mul_f64 v[12:13], v[14:15], -v[12:13]
	v_cmp_class_f64_e64 s0, v[14:15], 0x180
	s_delay_alu instid0(VALU_DEP_2) | instskip(NEXT) | instid1(VALU_DEP_1)
	v_fma_f64 v[12:13], v[12:13], v[14:15], 1.0
	v_mul_f64 v[16:17], v[14:15], v[12:13]
	v_fma_f64 v[12:13], 0x3fd80000, v[12:13], 0.5
	s_delay_alu instid0(VALU_DEP_1) | instskip(NEXT) | instid1(VALU_DEP_1)
	v_fma_f64 v[12:13], v[16:17], v[12:13], v[14:15]
	v_cndmask_b32_e64 v13, v15, v13, s0
	s_delay_alu instid0(VALU_DEP_2) | instskip(NEXT) | instid1(VALU_DEP_1)
	v_cndmask_b32_e64 v12, v14, v12, s0
	v_cvt_f32_f64_e32 v5, v[12:13]
	s_delay_alu instid0(VALU_DEP_1)
	v_cvt_f16_f32_e32 v10, v5
.LBB210_29:
	s_or_b32 exec_lo, exec_lo, s1
	v_or_b32_e32 v5, 0x600, v0
	s_delay_alu instid0(VALU_DEP_1) | instskip(NEXT) | instid1(VALU_DEP_1)
	v_cmp_gt_i32_e64 s0, s7, v5
                                        ; implicit-def: $vgpr5
	s_and_saveexec_b32 s1, s0
	s_cbranch_execz .LBB210_31
; %bb.30:
	v_cvt_f32_f16_e32 v5, v9
	s_delay_alu instid0(VALU_DEP_1) | instskip(NEXT) | instid1(VALU_DEP_1)
	v_cvt_f64_f32_e32 v[12:13], v5
	v_rsq_f64_e32 v[14:15], v[12:13]
	s_waitcnt_depctr 0xfff
	v_mul_f64 v[12:13], v[14:15], -v[12:13]
	v_cmp_class_f64_e64 s0, v[14:15], 0x180
	s_delay_alu instid0(VALU_DEP_2) | instskip(NEXT) | instid1(VALU_DEP_1)
	v_fma_f64 v[12:13], v[12:13], v[14:15], 1.0
	v_mul_f64 v[16:17], v[14:15], v[12:13]
	v_fma_f64 v[12:13], 0x3fd80000, v[12:13], 0.5
	s_delay_alu instid0(VALU_DEP_1) | instskip(NEXT) | instid1(VALU_DEP_1)
	v_fma_f64 v[12:13], v[16:17], v[12:13], v[14:15]
	v_cndmask_b32_e64 v13, v15, v13, s0
	s_delay_alu instid0(VALU_DEP_2) | instskip(NEXT) | instid1(VALU_DEP_1)
	v_cndmask_b32_e64 v12, v14, v12, s0
	v_cvt_f32_f64_e32 v5, v[12:13]
	s_delay_alu instid0(VALU_DEP_1)
	v_cvt_f16_f32_e32 v5, v5
.LBB210_31:
	s_or_b32 exec_lo, exec_lo, s1
	v_or_b32_e32 v9, 0x700, v0
	s_delay_alu instid0(VALU_DEP_1) | instskip(NEXT) | instid1(VALU_DEP_1)
	v_cmp_gt_i32_e64 s0, s7, v9
                                        ; implicit-def: $vgpr9
	s_and_saveexec_b32 s1, s0
	s_cbranch_execz .LBB210_44
; %bb.32:
	v_cvt_f32_f16_e32 v2, v2
	s_delay_alu instid0(VALU_DEP_1) | instskip(NEXT) | instid1(VALU_DEP_1)
	v_cvt_f64_f32_e32 v[12:13], v2
	v_rsq_f64_e32 v[14:15], v[12:13]
	s_waitcnt_depctr 0xfff
	v_mul_f64 v[12:13], v[14:15], -v[12:13]
	v_cmp_class_f64_e64 s0, v[14:15], 0x180
	s_delay_alu instid0(VALU_DEP_2) | instskip(NEXT) | instid1(VALU_DEP_1)
	v_fma_f64 v[12:13], v[12:13], v[14:15], 1.0
	v_mul_f64 v[16:17], v[14:15], v[12:13]
	v_fma_f64 v[12:13], 0x3fd80000, v[12:13], 0.5
	s_delay_alu instid0(VALU_DEP_1) | instskip(NEXT) | instid1(VALU_DEP_1)
	v_fma_f64 v[12:13], v[16:17], v[12:13], v[14:15]
	v_cndmask_b32_e64 v13, v15, v13, s0
	s_delay_alu instid0(VALU_DEP_2) | instskip(NEXT) | instid1(VALU_DEP_1)
	v_cndmask_b32_e64 v12, v14, v12, s0
	v_cvt_f32_f64_e32 v2, v[12:13]
	s_delay_alu instid0(VALU_DEP_1) | instskip(SKIP_2) | instid1(SALU_CYCLE_1)
	v_cvt_f16_f32_e32 v9, v2
	s_or_b32 exec_lo, exec_lo, s1
	s_and_saveexec_b32 s0, vcc_lo
	s_xor_b32 s0, exec_lo, s0
	s_cbranch_execnz .LBB210_45
.LBB210_33:
	s_or_b32 exec_lo, exec_lo, s0
	s_delay_alu instid0(SALU_CYCLE_1)
	s_mov_b32 s0, exec_lo
	v_cmpx_gt_i32_e64 s7, v0
	s_cbranch_execz .LBB210_46
.LBB210_34:
	v_dual_mov_b32 v2, 0 :: v_dual_add_nc_u32 v1, s12, v0
	v_add_nc_u32_e32 v0, 0x100, v0
	s_delay_alu instid0(VALU_DEP_2) | instskip(NEXT) | instid1(VALU_DEP_1)
	v_lshlrev_b64 v[1:2], 1, v[1:2]
	v_add_co_u32 v1, vcc_lo, s8, v1
	s_delay_alu instid0(VALU_DEP_2) | instskip(SKIP_2) | instid1(SALU_CYCLE_1)
	v_add_co_ci_u32_e32 v2, vcc_lo, s9, v2, vcc_lo
	global_store_b16 v[1:2], v8, off
	s_or_b32 exec_lo, exec_lo, s0
	s_mov_b32 s0, exec_lo
	v_cmpx_gt_i32_e64 s7, v0
	s_cbranch_execnz .LBB210_47
.LBB210_35:
	s_or_b32 exec_lo, exec_lo, s0
	s_delay_alu instid0(SALU_CYCLE_1)
	s_mov_b32 s0, exec_lo
	v_cmpx_gt_i32_e64 s7, v0
	s_cbranch_execz .LBB210_48
.LBB210_36:
	v_dual_mov_b32 v2, 0 :: v_dual_add_nc_u32 v1, s12, v0
	v_add_nc_u32_e32 v0, 0x100, v0
	s_delay_alu instid0(VALU_DEP_2) | instskip(NEXT) | instid1(VALU_DEP_1)
	v_lshlrev_b64 v[1:2], 1, v[1:2]
	v_add_co_u32 v1, vcc_lo, s8, v1
	s_delay_alu instid0(VALU_DEP_2) | instskip(SKIP_2) | instid1(SALU_CYCLE_1)
	v_add_co_ci_u32_e32 v2, vcc_lo, s9, v2, vcc_lo
	global_store_b16 v[1:2], v11, off
	s_or_b32 exec_lo, exec_lo, s0
	s_mov_b32 s0, exec_lo
	v_cmpx_gt_i32_e64 s7, v0
	s_cbranch_execnz .LBB210_49
.LBB210_37:
	s_or_b32 exec_lo, exec_lo, s0
	s_delay_alu instid0(SALU_CYCLE_1)
	s_mov_b32 s0, exec_lo
	v_cmpx_gt_i32_e64 s7, v0
	s_cbranch_execz .LBB210_50
.LBB210_38:
	v_dual_mov_b32 v2, 0 :: v_dual_add_nc_u32 v1, s12, v0
	v_add_nc_u32_e32 v0, 0x100, v0
	s_delay_alu instid0(VALU_DEP_2) | instskip(NEXT) | instid1(VALU_DEP_1)
	v_lshlrev_b64 v[1:2], 1, v[1:2]
	v_add_co_u32 v1, vcc_lo, s8, v1
	s_delay_alu instid0(VALU_DEP_2) | instskip(SKIP_2) | instid1(SALU_CYCLE_1)
	v_add_co_ci_u32_e32 v2, vcc_lo, s9, v2, vcc_lo
	global_store_b16 v[1:2], v10, off
	s_or_b32 exec_lo, exec_lo, s0
	s_mov_b32 s0, exec_lo
	v_cmpx_gt_i32_e64 s7, v0
	s_cbranch_execnz .LBB210_51
.LBB210_39:
	s_or_b32 exec_lo, exec_lo, s0
	s_delay_alu instid0(SALU_CYCLE_1)
	s_mov_b32 s0, exec_lo
	v_cmpx_gt_i32_e64 s7, v0
	s_cbranch_execz .LBB210_41
.LBB210_40:
	v_dual_mov_b32 v1, 0 :: v_dual_add_nc_u32 v0, s12, v0
	s_delay_alu instid0(VALU_DEP_1) | instskip(NEXT) | instid1(VALU_DEP_1)
	v_lshlrev_b64 v[0:1], 1, v[0:1]
	v_add_co_u32 v0, vcc_lo, s8, v0
	s_delay_alu instid0(VALU_DEP_2)
	v_add_co_ci_u32_e32 v1, vcc_lo, s9, v1, vcc_lo
	global_store_b16 v[0:1], v9, off
.LBB210_41:
	s_nop 0
	s_sendmsg sendmsg(MSG_DEALLOC_VGPRS)
	s_endpgm
.LBB210_42:
	s_or_b32 exec_lo, exec_lo, s1
	s_delay_alu instid0(SALU_CYCLE_1)
	s_mov_b32 s1, exec_lo
	v_cmpx_gt_i32_e64 s7, v7
	s_cbranch_execz .LBB210_17
.LBB210_43:
	v_dual_mov_b32 v13, 0 :: v_dual_add_nc_u32 v12, s12, v7
	s_delay_alu instid0(VALU_DEP_1) | instskip(NEXT) | instid1(VALU_DEP_1)
	v_lshlrev_b64 v[12:13], 1, v[12:13]
	v_add_co_u32 v12, s0, s10, v12
	s_delay_alu instid0(VALU_DEP_1)
	v_add_co_ci_u32_e64 v13, s0, s11, v13, s0
	global_load_u16 v2, v[12:13], off
	s_or_b32 exec_lo, exec_lo, s1
                                        ; implicit-def: $vgpr7
	s_and_saveexec_b32 s1, vcc_lo
	s_cbranch_execz .LBB210_19
	s_branch .LBB210_18
.LBB210_44:
	s_or_b32 exec_lo, exec_lo, s1
	s_and_saveexec_b32 s0, vcc_lo
	s_delay_alu instid0(SALU_CYCLE_1)
	s_xor_b32 s0, exec_lo, s0
	s_cbranch_execz .LBB210_33
.LBB210_45:
	v_mov_b32_e32 v2, 0
	s_delay_alu instid0(VALU_DEP_1) | instskip(NEXT) | instid1(VALU_DEP_1)
	v_lshlrev_b64 v[0:1], 1, v[1:2]
	v_add_co_u32 v12, vcc_lo, s8, v0
	s_delay_alu instid0(VALU_DEP_2) | instskip(SKIP_3) | instid1(SALU_CYCLE_1)
	v_add_co_ci_u32_e32 v13, vcc_lo, s9, v1, vcc_lo
	v_mov_b32_e32 v0, v3
	global_store_b16 v[12:13], v7, off
	s_or_b32 exec_lo, exec_lo, s0
	s_mov_b32 s0, exec_lo
	v_cmpx_gt_i32_e64 s7, v0
	s_cbranch_execnz .LBB210_34
.LBB210_46:
	s_or_b32 exec_lo, exec_lo, s0
	s_delay_alu instid0(SALU_CYCLE_1)
	s_mov_b32 s0, exec_lo
	v_cmpx_gt_i32_e64 s7, v0
	s_cbranch_execz .LBB210_35
.LBB210_47:
	v_dual_mov_b32 v2, 0 :: v_dual_add_nc_u32 v1, s12, v0
	v_add_nc_u32_e32 v0, 0x100, v0
	s_delay_alu instid0(VALU_DEP_2) | instskip(NEXT) | instid1(VALU_DEP_1)
	v_lshlrev_b64 v[1:2], 1, v[1:2]
	v_add_co_u32 v1, vcc_lo, s8, v1
	s_delay_alu instid0(VALU_DEP_2) | instskip(SKIP_2) | instid1(SALU_CYCLE_1)
	v_add_co_ci_u32_e32 v2, vcc_lo, s9, v2, vcc_lo
	global_store_b16 v[1:2], v4, off
	s_or_b32 exec_lo, exec_lo, s0
	s_mov_b32 s0, exec_lo
	v_cmpx_gt_i32_e64 s7, v0
	s_cbranch_execnz .LBB210_36
.LBB210_48:
	s_or_b32 exec_lo, exec_lo, s0
	s_delay_alu instid0(SALU_CYCLE_1)
	s_mov_b32 s0, exec_lo
	v_cmpx_gt_i32_e64 s7, v0
	s_cbranch_execz .LBB210_37
.LBB210_49:
	v_dual_mov_b32 v2, 0 :: v_dual_add_nc_u32 v1, s12, v0
	v_add_nc_u32_e32 v0, 0x100, v0
	s_delay_alu instid0(VALU_DEP_2) | instskip(NEXT) | instid1(VALU_DEP_1)
	v_lshlrev_b64 v[1:2], 1, v[1:2]
	v_add_co_u32 v1, vcc_lo, s8, v1
	s_delay_alu instid0(VALU_DEP_2) | instskip(SKIP_2) | instid1(SALU_CYCLE_1)
	v_add_co_ci_u32_e32 v2, vcc_lo, s9, v2, vcc_lo
	global_store_b16 v[1:2], v6, off
	s_or_b32 exec_lo, exec_lo, s0
	s_mov_b32 s0, exec_lo
	v_cmpx_gt_i32_e64 s7, v0
	s_cbranch_execnz .LBB210_38
.LBB210_50:
	s_or_b32 exec_lo, exec_lo, s0
	s_delay_alu instid0(SALU_CYCLE_1)
	s_mov_b32 s0, exec_lo
	v_cmpx_gt_i32_e64 s7, v0
	s_cbranch_execz .LBB210_39
.LBB210_51:
	v_dual_mov_b32 v2, 0 :: v_dual_add_nc_u32 v1, s12, v0
	v_add_nc_u32_e32 v0, 0x100, v0
	s_delay_alu instid0(VALU_DEP_2) | instskip(NEXT) | instid1(VALU_DEP_1)
	v_lshlrev_b64 v[1:2], 1, v[1:2]
	v_add_co_u32 v1, vcc_lo, s8, v1
	s_delay_alu instid0(VALU_DEP_2) | instskip(SKIP_2) | instid1(SALU_CYCLE_1)
	v_add_co_ci_u32_e32 v2, vcc_lo, s9, v2, vcc_lo
	global_store_b16 v[1:2], v5, off
	s_or_b32 exec_lo, exec_lo, s0
	s_mov_b32 s0, exec_lo
	v_cmpx_gt_i32_e64 s7, v0
	s_cbranch_execnz .LBB210_40
	s_branch .LBB210_41
	.section	.rodata,"a",@progbits
	.p2align	6, 0x0
	.amdhsa_kernel _ZN2at6native29vectorized_elementwise_kernelILi16EZZZNS0_17rsqrt_kernel_cudaERNS_18TensorIteratorBaseEENKUlvE0_clEvENKUlvE2_clEvEUlN3c104HalfEE_St5arrayIPcLm2EEEEviT0_T1_
		.amdhsa_group_segment_fixed_size 0
		.amdhsa_private_segment_fixed_size 0
		.amdhsa_kernarg_size 24
		.amdhsa_user_sgpr_count 15
		.amdhsa_user_sgpr_dispatch_ptr 0
		.amdhsa_user_sgpr_queue_ptr 0
		.amdhsa_user_sgpr_kernarg_segment_ptr 1
		.amdhsa_user_sgpr_dispatch_id 0
		.amdhsa_user_sgpr_private_segment_size 0
		.amdhsa_wavefront_size32 1
		.amdhsa_uses_dynamic_stack 0
		.amdhsa_enable_private_segment 0
		.amdhsa_system_sgpr_workgroup_id_x 1
		.amdhsa_system_sgpr_workgroup_id_y 0
		.amdhsa_system_sgpr_workgroup_id_z 0
		.amdhsa_system_sgpr_workgroup_info 0
		.amdhsa_system_vgpr_workitem_id 0
		.amdhsa_next_free_vgpr 50
		.amdhsa_next_free_sgpr 16
		.amdhsa_reserve_vcc 1
		.amdhsa_float_round_mode_32 0
		.amdhsa_float_round_mode_16_64 0
		.amdhsa_float_denorm_mode_32 3
		.amdhsa_float_denorm_mode_16_64 3
		.amdhsa_dx10_clamp 1
		.amdhsa_ieee_mode 1
		.amdhsa_fp16_overflow 0
		.amdhsa_workgroup_processor_mode 1
		.amdhsa_memory_ordered 1
		.amdhsa_forward_progress 0
		.amdhsa_shared_vgpr_count 0
		.amdhsa_exception_fp_ieee_invalid_op 0
		.amdhsa_exception_fp_denorm_src 0
		.amdhsa_exception_fp_ieee_div_zero 0
		.amdhsa_exception_fp_ieee_overflow 0
		.amdhsa_exception_fp_ieee_underflow 0
		.amdhsa_exception_fp_ieee_inexact 0
		.amdhsa_exception_int_div_zero 0
	.end_amdhsa_kernel
	.section	.text._ZN2at6native29vectorized_elementwise_kernelILi16EZZZNS0_17rsqrt_kernel_cudaERNS_18TensorIteratorBaseEENKUlvE0_clEvENKUlvE2_clEvEUlN3c104HalfEE_St5arrayIPcLm2EEEEviT0_T1_,"axG",@progbits,_ZN2at6native29vectorized_elementwise_kernelILi16EZZZNS0_17rsqrt_kernel_cudaERNS_18TensorIteratorBaseEENKUlvE0_clEvENKUlvE2_clEvEUlN3c104HalfEE_St5arrayIPcLm2EEEEviT0_T1_,comdat
.Lfunc_end210:
	.size	_ZN2at6native29vectorized_elementwise_kernelILi16EZZZNS0_17rsqrt_kernel_cudaERNS_18TensorIteratorBaseEENKUlvE0_clEvENKUlvE2_clEvEUlN3c104HalfEE_St5arrayIPcLm2EEEEviT0_T1_, .Lfunc_end210-_ZN2at6native29vectorized_elementwise_kernelILi16EZZZNS0_17rsqrt_kernel_cudaERNS_18TensorIteratorBaseEENKUlvE0_clEvENKUlvE2_clEvEUlN3c104HalfEE_St5arrayIPcLm2EEEEviT0_T1_
                                        ; -- End function
	.section	.AMDGPU.csdata,"",@progbits
; Kernel info:
; codeLenInByte = 3532
; NumSgprs: 18
; NumVgprs: 50
; ScratchSize: 0
; MemoryBound: 0
; FloatMode: 240
; IeeeMode: 1
; LDSByteSize: 0 bytes/workgroup (compile time only)
; SGPRBlocks: 2
; VGPRBlocks: 6
; NumSGPRsForWavesPerEU: 18
; NumVGPRsForWavesPerEU: 50
; Occupancy: 16
; WaveLimiterHint : 0
; COMPUTE_PGM_RSRC2:SCRATCH_EN: 0
; COMPUTE_PGM_RSRC2:USER_SGPR: 15
; COMPUTE_PGM_RSRC2:TRAP_HANDLER: 0
; COMPUTE_PGM_RSRC2:TGID_X_EN: 1
; COMPUTE_PGM_RSRC2:TGID_Y_EN: 0
; COMPUTE_PGM_RSRC2:TGID_Z_EN: 0
; COMPUTE_PGM_RSRC2:TIDIG_COMP_CNT: 0
	.section	.text._ZN2at6native29vectorized_elementwise_kernelILi8EZZZNS0_17rsqrt_kernel_cudaERNS_18TensorIteratorBaseEENKUlvE0_clEvENKUlvE2_clEvEUlN3c104HalfEE_St5arrayIPcLm2EEEEviT0_T1_,"axG",@progbits,_ZN2at6native29vectorized_elementwise_kernelILi8EZZZNS0_17rsqrt_kernel_cudaERNS_18TensorIteratorBaseEENKUlvE0_clEvENKUlvE2_clEvEUlN3c104HalfEE_St5arrayIPcLm2EEEEviT0_T1_,comdat
	.globl	_ZN2at6native29vectorized_elementwise_kernelILi8EZZZNS0_17rsqrt_kernel_cudaERNS_18TensorIteratorBaseEENKUlvE0_clEvENKUlvE2_clEvEUlN3c104HalfEE_St5arrayIPcLm2EEEEviT0_T1_ ; -- Begin function _ZN2at6native29vectorized_elementwise_kernelILi8EZZZNS0_17rsqrt_kernel_cudaERNS_18TensorIteratorBaseEENKUlvE0_clEvENKUlvE2_clEvEUlN3c104HalfEE_St5arrayIPcLm2EEEEviT0_T1_
	.p2align	8
	.type	_ZN2at6native29vectorized_elementwise_kernelILi8EZZZNS0_17rsqrt_kernel_cudaERNS_18TensorIteratorBaseEENKUlvE0_clEvENKUlvE2_clEvEUlN3c104HalfEE_St5arrayIPcLm2EEEEviT0_T1_,@function
_ZN2at6native29vectorized_elementwise_kernelILi8EZZZNS0_17rsqrt_kernel_cudaERNS_18TensorIteratorBaseEENKUlvE0_clEvENKUlvE2_clEvEUlN3c104HalfEE_St5arrayIPcLm2EEEEviT0_T1_: ; @_ZN2at6native29vectorized_elementwise_kernelILi8EZZZNS0_17rsqrt_kernel_cudaERNS_18TensorIteratorBaseEENKUlvE0_clEvENKUlvE2_clEvEUlN3c104HalfEE_St5arrayIPcLm2EEEEviT0_T1_
; %bb.0:
	s_clause 0x1
	s_load_b32 s2, s[0:1], 0x0
	s_load_b128 s[8:11], s[0:1], 0x8
	s_lshl_b32 s12, s15, 11
	s_mov_b32 s0, -1
	s_waitcnt lgkmcnt(0)
	s_sub_i32 s7, s2, s12
	s_delay_alu instid0(SALU_CYCLE_1)
	s_cmpk_gt_i32 s7, 0x7ff
	s_cbranch_scc0 .LBB211_2
; %bb.1:
	s_ashr_i32 s13, s12, 31
	v_lshlrev_b32_e32 v49, 4, v0
	s_lshl_b64 s[14:15], s[12:13], 1
	s_delay_alu instid0(SALU_CYCLE_1)
	s_add_u32 s0, s10, s14
	s_addc_u32 s1, s11, s15
	global_load_b128 v[1:4], v49, s[0:1]
	s_waitcnt vmcnt(0)
	v_lshrrev_b32_e32 v5, 16, v1
	v_lshrrev_b32_e32 v7, 16, v2
	v_cvt_f32_f16_e32 v1, v1
	v_lshrrev_b32_e32 v9, 16, v3
	v_cvt_f32_f16_e32 v6, v2
	;; [unrolled: 2-line block ×3, first 2 shown]
	v_cvt_f64_f32_e32 v[1:2], v1
	v_cvt_f32_f16_e32 v10, v4
	v_cvt_f64_f32_e32 v[3:4], v6
	v_cvt_f32_f16_e32 v12, v5
	v_cvt_f32_f16_e32 v13, v7
	v_cvt_f32_f16_e32 v14, v9
	v_cvt_f32_f16_e32 v15, v11
	v_cvt_f64_f32_e32 v[5:6], v8
	v_cvt_f64_f32_e32 v[7:8], v10
	;; [unrolled: 1-line block ×6, first 2 shown]
	v_rsq_f64_e32 v[17:18], v[1:2]
	v_rsq_f64_e32 v[19:20], v[3:4]
	;; [unrolled: 1-line block ×4, first 2 shown]
	s_delay_alu instid0(VALU_DEP_4) | instskip(NEXT) | instid1(VALU_DEP_3)
	v_rsq_f64_e32 v[25:26], v[9:10]
	v_rsq_f64_e32 v[27:28], v[11:12]
	s_delay_alu instid0(VALU_DEP_2) | instskip(NEXT) | instid1(VALU_DEP_1)
	v_rsq_f64_e32 v[29:30], v[13:14]
	v_rsq_f64_e32 v[31:32], v[15:16]
	v_mul_f64 v[1:2], v[17:18], -v[1:2]
	v_cmp_class_f64_e64 vcc_lo, v[17:18], 0x180
	v_mul_f64 v[3:4], v[19:20], -v[3:4]
	v_cmp_class_f64_e64 s0, v[19:20], 0x180
	v_mul_f64 v[5:6], v[21:22], -v[5:6]
	v_mul_f64 v[7:8], v[23:24], -v[7:8]
	;; [unrolled: 1-line block ×3, first 2 shown]
	s_delay_alu instid0(TRANS32_DEP_3) | instskip(NEXT) | instid1(TRANS32_DEP_2)
	v_mul_f64 v[11:12], v[27:28], -v[11:12]
	v_mul_f64 v[13:14], v[29:30], -v[13:14]
	s_delay_alu instid0(TRANS32_DEP_1)
	v_mul_f64 v[15:16], v[31:32], -v[15:16]
	v_cmp_class_f64_e64 s1, v[21:22], 0x180
	v_cmp_class_f64_e64 s2, v[23:24], 0x180
	;; [unrolled: 1-line block ×6, first 2 shown]
	v_fma_f64 v[1:2], v[1:2], v[17:18], 1.0
	v_fma_f64 v[3:4], v[3:4], v[19:20], 1.0
	;; [unrolled: 1-line block ×8, first 2 shown]
	v_mul_f64 v[33:34], v[17:18], v[1:2]
	v_fma_f64 v[1:2], 0x3fd80000, v[1:2], 0.5
	v_mul_f64 v[35:36], v[19:20], v[3:4]
	v_fma_f64 v[3:4], 0x3fd80000, v[3:4], 0.5
	;; [unrolled: 2-line block ×8, first 2 shown]
	v_fma_f64 v[1:2], v[33:34], v[1:2], v[17:18]
	v_fma_f64 v[3:4], v[35:36], v[3:4], v[19:20]
	v_fma_f64 v[5:6], v[37:38], v[5:6], v[21:22]
	v_fma_f64 v[7:8], v[39:40], v[7:8], v[23:24]
	v_fma_f64 v[9:10], v[41:42], v[9:10], v[25:26]
	v_fma_f64 v[11:12], v[43:44], v[11:12], v[27:28]
	v_fma_f64 v[13:14], v[45:46], v[13:14], v[29:30]
	v_fma_f64 v[15:16], v[47:48], v[15:16], v[31:32]
	v_dual_cndmask_b32 v2, v18, v2 :: v_dual_cndmask_b32 v1, v17, v1
	v_cndmask_b32_e64 v4, v20, v4, s0
	v_cndmask_b32_e64 v3, v19, v3, s0
	s_mov_b32 s0, 0
	s_delay_alu instid0(VALU_DEP_3)
	v_cvt_f32_f64_e32 v17, v[1:2]
	v_cndmask_b32_e64 v6, v22, v6, s1
	v_cndmask_b32_e64 v5, v21, v5, s1
	;; [unrolled: 1-line block ×6, first 2 shown]
	v_cvt_f32_f64_e32 v18, v[3:4]
	v_cndmask_b32_e64 v4, v28, v12, s6
	v_cndmask_b32_e64 v10, v30, v14, s5
	;; [unrolled: 1-line block ×6, first 2 shown]
	v_cvt_f32_f64_e32 v5, v[5:6]
	v_cvt_f32_f64_e32 v6, v[7:8]
	;; [unrolled: 1-line block ×6, first 2 shown]
	s_add_u32 s2, s8, s14
	s_addc_u32 s3, s9, s15
	v_cvt_f16_f32_e32 v9, v17
	v_cvt_f16_f32_e32 v2, v18
	;; [unrolled: 1-line block ×8, first 2 shown]
	s_delay_alu instid0(VALU_DEP_4) | instskip(NEXT) | instid1(VALU_DEP_4)
	v_pack_b32_f16 v4, v4, v6
	v_pack_b32_f16 v3, v5, v7
	s_delay_alu instid0(VALU_DEP_4) | instskip(NEXT) | instid1(VALU_DEP_4)
	v_pack_b32_f16 v2, v2, v8
	v_pack_b32_f16 v1, v9, v1
	global_store_b128 v49, v[1:4], s[2:3]
.LBB211_2:
	s_and_not1_b32 vcc_lo, exec_lo, s0
	s_cbranch_vccnz .LBB211_41
; %bb.3:
	v_cmp_gt_i32_e32 vcc_lo, s7, v0
	v_dual_mov_b32 v4, 0 :: v_dual_mov_b32 v7, v0
	v_or_b32_e32 v1, s12, v0
	v_or_b32_e32 v3, 0x100, v0
	v_mov_b32_e32 v8, 0
	s_and_saveexec_b32 s1, vcc_lo
	s_cbranch_execz .LBB211_5
; %bb.4:
	v_mov_b32_e32 v2, 0
	v_or_b32_e32 v7, 0x100, v0
	s_delay_alu instid0(VALU_DEP_2) | instskip(NEXT) | instid1(VALU_DEP_1)
	v_lshlrev_b64 v[5:6], 1, v[1:2]
	v_add_co_u32 v5, s0, s10, v5
	s_delay_alu instid0(VALU_DEP_1)
	v_add_co_ci_u32_e64 v6, s0, s11, v6, s0
	global_load_u16 v8, v[5:6], off
.LBB211_5:
	s_or_b32 exec_lo, exec_lo, s1
	s_delay_alu instid0(SALU_CYCLE_1)
	s_mov_b32 s1, exec_lo
	v_cmpx_gt_i32_e64 s7, v7
	s_cbranch_execz .LBB211_7
; %bb.6:
	v_dual_mov_b32 v5, 0 :: v_dual_add_nc_u32 v4, s12, v7
	v_add_nc_u32_e32 v7, 0x100, v7
	s_delay_alu instid0(VALU_DEP_2) | instskip(NEXT) | instid1(VALU_DEP_1)
	v_lshlrev_b64 v[4:5], 1, v[4:5]
	v_add_co_u32 v4, s0, s10, v4
	s_delay_alu instid0(VALU_DEP_1)
	v_add_co_ci_u32_e64 v5, s0, s11, v5, s0
	global_load_u16 v4, v[4:5], off
.LBB211_7:
	s_or_b32 exec_lo, exec_lo, s1
	v_dual_mov_b32 v6, 0 :: v_dual_mov_b32 v11, 0
	s_mov_b32 s1, exec_lo
	v_cmpx_gt_i32_e64 s7, v7
	s_cbranch_execz .LBB211_9
; %bb.8:
	v_dual_mov_b32 v10, 0 :: v_dual_add_nc_u32 v9, s12, v7
	v_add_nc_u32_e32 v7, 0x100, v7
	s_delay_alu instid0(VALU_DEP_2) | instskip(NEXT) | instid1(VALU_DEP_1)
	v_lshlrev_b64 v[9:10], 1, v[9:10]
	v_add_co_u32 v9, s0, s10, v9
	s_delay_alu instid0(VALU_DEP_1)
	v_add_co_ci_u32_e64 v10, s0, s11, v10, s0
	global_load_u16 v11, v[9:10], off
.LBB211_9:
	s_or_b32 exec_lo, exec_lo, s1
	s_delay_alu instid0(SALU_CYCLE_1)
	s_mov_b32 s1, exec_lo
	v_cmpx_gt_i32_e64 s7, v7
	s_cbranch_execz .LBB211_11
; %bb.10:
	v_dual_mov_b32 v6, 0 :: v_dual_add_nc_u32 v5, s12, v7
	v_add_nc_u32_e32 v7, 0x100, v7
	s_delay_alu instid0(VALU_DEP_2) | instskip(NEXT) | instid1(VALU_DEP_1)
	v_lshlrev_b64 v[5:6], 1, v[5:6]
	v_add_co_u32 v5, s0, s10, v5
	s_delay_alu instid0(VALU_DEP_1)
	v_add_co_ci_u32_e64 v6, s0, s11, v6, s0
	global_load_u16 v6, v[5:6], off
.LBB211_11:
	s_or_b32 exec_lo, exec_lo, s1
	v_dual_mov_b32 v5, 0 :: v_dual_mov_b32 v10, 0
	s_mov_b32 s1, exec_lo
	v_cmpx_gt_i32_e64 s7, v7
	s_cbranch_execz .LBB211_13
; %bb.12:
	v_dual_mov_b32 v10, 0 :: v_dual_add_nc_u32 v9, s12, v7
	v_add_nc_u32_e32 v7, 0x100, v7
	s_delay_alu instid0(VALU_DEP_2) | instskip(NEXT) | instid1(VALU_DEP_1)
	v_lshlrev_b64 v[9:10], 1, v[9:10]
	v_add_co_u32 v9, s0, s10, v9
	s_delay_alu instid0(VALU_DEP_1)
	v_add_co_ci_u32_e64 v10, s0, s11, v10, s0
	global_load_u16 v10, v[9:10], off
.LBB211_13:
	s_or_b32 exec_lo, exec_lo, s1
	s_delay_alu instid0(SALU_CYCLE_1)
	s_mov_b32 s1, exec_lo
	v_cmpx_gt_i32_e64 s7, v7
	s_cbranch_execz .LBB211_15
; %bb.14:
	v_dual_mov_b32 v13, 0 :: v_dual_add_nc_u32 v12, s12, v7
	v_add_nc_u32_e32 v7, 0x100, v7
	s_delay_alu instid0(VALU_DEP_2) | instskip(NEXT) | instid1(VALU_DEP_1)
	v_lshlrev_b64 v[12:13], 1, v[12:13]
	v_add_co_u32 v12, s0, s10, v12
	s_delay_alu instid0(VALU_DEP_1)
	v_add_co_ci_u32_e64 v13, s0, s11, v13, s0
	global_load_u16 v5, v[12:13], off
.LBB211_15:
	s_or_b32 exec_lo, exec_lo, s1
	v_dual_mov_b32 v2, 0 :: v_dual_mov_b32 v9, 0
	s_mov_b32 s1, exec_lo
	v_cmpx_gt_i32_e64 s7, v7
	s_cbranch_execz .LBB211_42
; %bb.16:
	v_dual_mov_b32 v13, 0 :: v_dual_add_nc_u32 v12, s12, v7
	v_add_nc_u32_e32 v7, 0x100, v7
	s_delay_alu instid0(VALU_DEP_2) | instskip(NEXT) | instid1(VALU_DEP_1)
	v_lshlrev_b64 v[12:13], 1, v[12:13]
	v_add_co_u32 v12, s0, s10, v12
	s_delay_alu instid0(VALU_DEP_1) | instskip(SKIP_2) | instid1(SALU_CYCLE_1)
	v_add_co_ci_u32_e64 v13, s0, s11, v13, s0
	global_load_u16 v9, v[12:13], off
	s_or_b32 exec_lo, exec_lo, s1
	s_mov_b32 s1, exec_lo
	v_cmpx_gt_i32_e64 s7, v7
	s_cbranch_execnz .LBB211_43
.LBB211_17:
	s_or_b32 exec_lo, exec_lo, s1
                                        ; implicit-def: $vgpr7
	s_and_saveexec_b32 s1, vcc_lo
	s_cbranch_execz .LBB211_19
.LBB211_18:
	s_waitcnt vmcnt(0)
	v_cvt_f32_f16_e32 v7, v8
	s_delay_alu instid0(VALU_DEP_1) | instskip(NEXT) | instid1(VALU_DEP_1)
	v_cvt_f64_f32_e32 v[7:8], v7
	v_rsq_f64_e32 v[12:13], v[7:8]
	s_waitcnt_depctr 0xfff
	v_mul_f64 v[7:8], v[12:13], -v[7:8]
	v_cmp_class_f64_e64 s0, v[12:13], 0x180
	s_delay_alu instid0(VALU_DEP_2) | instskip(NEXT) | instid1(VALU_DEP_1)
	v_fma_f64 v[7:8], v[7:8], v[12:13], 1.0
	v_mul_f64 v[14:15], v[12:13], v[7:8]
	v_fma_f64 v[7:8], 0x3fd80000, v[7:8], 0.5
	s_delay_alu instid0(VALU_DEP_1) | instskip(NEXT) | instid1(VALU_DEP_1)
	v_fma_f64 v[7:8], v[14:15], v[7:8], v[12:13]
	v_cndmask_b32_e64 v8, v13, v8, s0
	s_delay_alu instid0(VALU_DEP_2) | instskip(NEXT) | instid1(VALU_DEP_1)
	v_cndmask_b32_e64 v7, v12, v7, s0
	v_cvt_f32_f64_e32 v7, v[7:8]
	s_delay_alu instid0(VALU_DEP_1)
	v_cvt_f16_f32_e32 v7, v7
.LBB211_19:
	s_or_b32 exec_lo, exec_lo, s1
	s_delay_alu instid0(SALU_CYCLE_1)
	s_mov_b32 s1, exec_lo
                                        ; implicit-def: $vgpr8
	v_cmpx_gt_i32_e64 s7, v3
	s_cbranch_execz .LBB211_21
; %bb.20:
	s_waitcnt vmcnt(0)
	v_cvt_f32_f16_e32 v4, v4
	s_delay_alu instid0(VALU_DEP_1) | instskip(NEXT) | instid1(VALU_DEP_1)
	v_cvt_f64_f32_e32 v[12:13], v4
	v_rsq_f64_e32 v[14:15], v[12:13]
	s_waitcnt_depctr 0xfff
	v_mul_f64 v[12:13], v[14:15], -v[12:13]
	v_cmp_class_f64_e64 s0, v[14:15], 0x180
	s_delay_alu instid0(VALU_DEP_2) | instskip(NEXT) | instid1(VALU_DEP_1)
	v_fma_f64 v[12:13], v[12:13], v[14:15], 1.0
	v_mul_f64 v[16:17], v[14:15], v[12:13]
	v_fma_f64 v[12:13], 0x3fd80000, v[12:13], 0.5
	s_delay_alu instid0(VALU_DEP_1) | instskip(NEXT) | instid1(VALU_DEP_1)
	v_fma_f64 v[12:13], v[16:17], v[12:13], v[14:15]
	v_cndmask_b32_e64 v13, v15, v13, s0
	s_delay_alu instid0(VALU_DEP_2) | instskip(NEXT) | instid1(VALU_DEP_1)
	v_cndmask_b32_e64 v12, v14, v12, s0
	v_cvt_f32_f64_e32 v4, v[12:13]
	s_delay_alu instid0(VALU_DEP_1)
	v_cvt_f16_f32_e32 v8, v4
.LBB211_21:
	s_or_b32 exec_lo, exec_lo, s1
	s_waitcnt vmcnt(0)
	v_or_b32_e32 v4, 0x200, v0
	s_delay_alu instid0(VALU_DEP_1) | instskip(NEXT) | instid1(VALU_DEP_1)
	v_cmp_gt_i32_e64 s0, s7, v4
                                        ; implicit-def: $vgpr4
	s_and_saveexec_b32 s1, s0
	s_cbranch_execz .LBB211_23
; %bb.22:
	v_cvt_f32_f16_e32 v4, v11
	s_delay_alu instid0(VALU_DEP_1) | instskip(NEXT) | instid1(VALU_DEP_1)
	v_cvt_f64_f32_e32 v[11:12], v4
	v_rsq_f64_e32 v[13:14], v[11:12]
	s_waitcnt_depctr 0xfff
	v_mul_f64 v[11:12], v[13:14], -v[11:12]
	v_cmp_class_f64_e64 s0, v[13:14], 0x180
	s_delay_alu instid0(VALU_DEP_2) | instskip(NEXT) | instid1(VALU_DEP_1)
	v_fma_f64 v[11:12], v[11:12], v[13:14], 1.0
	v_mul_f64 v[15:16], v[13:14], v[11:12]
	v_fma_f64 v[11:12], 0x3fd80000, v[11:12], 0.5
	s_delay_alu instid0(VALU_DEP_1) | instskip(NEXT) | instid1(VALU_DEP_1)
	v_fma_f64 v[11:12], v[15:16], v[11:12], v[13:14]
	v_cndmask_b32_e64 v12, v14, v12, s0
	s_delay_alu instid0(VALU_DEP_2) | instskip(NEXT) | instid1(VALU_DEP_1)
	v_cndmask_b32_e64 v11, v13, v11, s0
	v_cvt_f32_f64_e32 v4, v[11:12]
	s_delay_alu instid0(VALU_DEP_1)
	v_cvt_f16_f32_e32 v4, v4
.LBB211_23:
	s_or_b32 exec_lo, exec_lo, s1
	v_or_b32_e32 v11, 0x300, v0
	s_delay_alu instid0(VALU_DEP_1) | instskip(NEXT) | instid1(VALU_DEP_1)
	v_cmp_gt_i32_e64 s0, s7, v11
                                        ; implicit-def: $vgpr11
	s_and_saveexec_b32 s1, s0
	s_cbranch_execz .LBB211_25
; %bb.24:
	v_cvt_f32_f16_e32 v6, v6
	s_delay_alu instid0(VALU_DEP_1) | instskip(NEXT) | instid1(VALU_DEP_1)
	v_cvt_f64_f32_e32 v[11:12], v6
	v_rsq_f64_e32 v[13:14], v[11:12]
	s_waitcnt_depctr 0xfff
	v_mul_f64 v[11:12], v[13:14], -v[11:12]
	v_cmp_class_f64_e64 s0, v[13:14], 0x180
	s_delay_alu instid0(VALU_DEP_2) | instskip(NEXT) | instid1(VALU_DEP_1)
	v_fma_f64 v[11:12], v[11:12], v[13:14], 1.0
	v_mul_f64 v[15:16], v[13:14], v[11:12]
	v_fma_f64 v[11:12], 0x3fd80000, v[11:12], 0.5
	s_delay_alu instid0(VALU_DEP_1) | instskip(NEXT) | instid1(VALU_DEP_1)
	v_fma_f64 v[11:12], v[15:16], v[11:12], v[13:14]
	v_cndmask_b32_e64 v12, v14, v12, s0
	s_delay_alu instid0(VALU_DEP_2) | instskip(NEXT) | instid1(VALU_DEP_1)
	v_cndmask_b32_e64 v11, v13, v11, s0
	v_cvt_f32_f64_e32 v6, v[11:12]
	s_delay_alu instid0(VALU_DEP_1)
	v_cvt_f16_f32_e32 v11, v6
.LBB211_25:
	s_or_b32 exec_lo, exec_lo, s1
	v_or_b32_e32 v6, 0x400, v0
	s_delay_alu instid0(VALU_DEP_1) | instskip(NEXT) | instid1(VALU_DEP_1)
	v_cmp_gt_i32_e64 s0, s7, v6
                                        ; implicit-def: $vgpr6
	s_and_saveexec_b32 s1, s0
	s_cbranch_execz .LBB211_27
; %bb.26:
	v_cvt_f32_f16_e32 v6, v10
	s_delay_alu instid0(VALU_DEP_1) | instskip(NEXT) | instid1(VALU_DEP_1)
	v_cvt_f64_f32_e32 v[12:13], v6
	v_rsq_f64_e32 v[14:15], v[12:13]
	s_waitcnt_depctr 0xfff
	v_mul_f64 v[12:13], v[14:15], -v[12:13]
	v_cmp_class_f64_e64 s0, v[14:15], 0x180
	s_delay_alu instid0(VALU_DEP_2) | instskip(NEXT) | instid1(VALU_DEP_1)
	v_fma_f64 v[12:13], v[12:13], v[14:15], 1.0
	v_mul_f64 v[16:17], v[14:15], v[12:13]
	v_fma_f64 v[12:13], 0x3fd80000, v[12:13], 0.5
	s_delay_alu instid0(VALU_DEP_1) | instskip(NEXT) | instid1(VALU_DEP_1)
	v_fma_f64 v[12:13], v[16:17], v[12:13], v[14:15]
	v_cndmask_b32_e64 v13, v15, v13, s0
	s_delay_alu instid0(VALU_DEP_2) | instskip(NEXT) | instid1(VALU_DEP_1)
	v_cndmask_b32_e64 v12, v14, v12, s0
	v_cvt_f32_f64_e32 v6, v[12:13]
	s_delay_alu instid0(VALU_DEP_1)
	v_cvt_f16_f32_e32 v6, v6
.LBB211_27:
	s_or_b32 exec_lo, exec_lo, s1
	v_or_b32_e32 v10, 0x500, v0
	s_delay_alu instid0(VALU_DEP_1) | instskip(NEXT) | instid1(VALU_DEP_1)
	v_cmp_gt_i32_e64 s0, s7, v10
                                        ; implicit-def: $vgpr10
	s_and_saveexec_b32 s1, s0
	s_cbranch_execz .LBB211_29
; %bb.28:
	v_cvt_f32_f16_e32 v5, v5
	s_delay_alu instid0(VALU_DEP_1) | instskip(NEXT) | instid1(VALU_DEP_1)
	v_cvt_f64_f32_e32 v[12:13], v5
	v_rsq_f64_e32 v[14:15], v[12:13]
	s_waitcnt_depctr 0xfff
	v_mul_f64 v[12:13], v[14:15], -v[12:13]
	v_cmp_class_f64_e64 s0, v[14:15], 0x180
	s_delay_alu instid0(VALU_DEP_2) | instskip(NEXT) | instid1(VALU_DEP_1)
	v_fma_f64 v[12:13], v[12:13], v[14:15], 1.0
	v_mul_f64 v[16:17], v[14:15], v[12:13]
	v_fma_f64 v[12:13], 0x3fd80000, v[12:13], 0.5
	s_delay_alu instid0(VALU_DEP_1) | instskip(NEXT) | instid1(VALU_DEP_1)
	v_fma_f64 v[12:13], v[16:17], v[12:13], v[14:15]
	v_cndmask_b32_e64 v13, v15, v13, s0
	s_delay_alu instid0(VALU_DEP_2) | instskip(NEXT) | instid1(VALU_DEP_1)
	v_cndmask_b32_e64 v12, v14, v12, s0
	v_cvt_f32_f64_e32 v5, v[12:13]
	s_delay_alu instid0(VALU_DEP_1)
	v_cvt_f16_f32_e32 v10, v5
.LBB211_29:
	s_or_b32 exec_lo, exec_lo, s1
	v_or_b32_e32 v5, 0x600, v0
	s_delay_alu instid0(VALU_DEP_1) | instskip(NEXT) | instid1(VALU_DEP_1)
	v_cmp_gt_i32_e64 s0, s7, v5
                                        ; implicit-def: $vgpr5
	s_and_saveexec_b32 s1, s0
	s_cbranch_execz .LBB211_31
; %bb.30:
	v_cvt_f32_f16_e32 v5, v9
	s_delay_alu instid0(VALU_DEP_1) | instskip(NEXT) | instid1(VALU_DEP_1)
	v_cvt_f64_f32_e32 v[12:13], v5
	v_rsq_f64_e32 v[14:15], v[12:13]
	s_waitcnt_depctr 0xfff
	v_mul_f64 v[12:13], v[14:15], -v[12:13]
	v_cmp_class_f64_e64 s0, v[14:15], 0x180
	s_delay_alu instid0(VALU_DEP_2) | instskip(NEXT) | instid1(VALU_DEP_1)
	v_fma_f64 v[12:13], v[12:13], v[14:15], 1.0
	v_mul_f64 v[16:17], v[14:15], v[12:13]
	v_fma_f64 v[12:13], 0x3fd80000, v[12:13], 0.5
	s_delay_alu instid0(VALU_DEP_1) | instskip(NEXT) | instid1(VALU_DEP_1)
	v_fma_f64 v[12:13], v[16:17], v[12:13], v[14:15]
	v_cndmask_b32_e64 v13, v15, v13, s0
	s_delay_alu instid0(VALU_DEP_2) | instskip(NEXT) | instid1(VALU_DEP_1)
	v_cndmask_b32_e64 v12, v14, v12, s0
	v_cvt_f32_f64_e32 v5, v[12:13]
	s_delay_alu instid0(VALU_DEP_1)
	v_cvt_f16_f32_e32 v5, v5
.LBB211_31:
	s_or_b32 exec_lo, exec_lo, s1
	v_or_b32_e32 v9, 0x700, v0
	s_delay_alu instid0(VALU_DEP_1) | instskip(NEXT) | instid1(VALU_DEP_1)
	v_cmp_gt_i32_e64 s0, s7, v9
                                        ; implicit-def: $vgpr9
	s_and_saveexec_b32 s1, s0
	s_cbranch_execz .LBB211_44
; %bb.32:
	v_cvt_f32_f16_e32 v2, v2
	s_delay_alu instid0(VALU_DEP_1) | instskip(NEXT) | instid1(VALU_DEP_1)
	v_cvt_f64_f32_e32 v[12:13], v2
	v_rsq_f64_e32 v[14:15], v[12:13]
	s_waitcnt_depctr 0xfff
	v_mul_f64 v[12:13], v[14:15], -v[12:13]
	v_cmp_class_f64_e64 s0, v[14:15], 0x180
	s_delay_alu instid0(VALU_DEP_2) | instskip(NEXT) | instid1(VALU_DEP_1)
	v_fma_f64 v[12:13], v[12:13], v[14:15], 1.0
	v_mul_f64 v[16:17], v[14:15], v[12:13]
	v_fma_f64 v[12:13], 0x3fd80000, v[12:13], 0.5
	s_delay_alu instid0(VALU_DEP_1) | instskip(NEXT) | instid1(VALU_DEP_1)
	v_fma_f64 v[12:13], v[16:17], v[12:13], v[14:15]
	v_cndmask_b32_e64 v13, v15, v13, s0
	s_delay_alu instid0(VALU_DEP_2) | instskip(NEXT) | instid1(VALU_DEP_1)
	v_cndmask_b32_e64 v12, v14, v12, s0
	v_cvt_f32_f64_e32 v2, v[12:13]
	s_delay_alu instid0(VALU_DEP_1) | instskip(SKIP_2) | instid1(SALU_CYCLE_1)
	v_cvt_f16_f32_e32 v9, v2
	s_or_b32 exec_lo, exec_lo, s1
	s_and_saveexec_b32 s0, vcc_lo
	s_xor_b32 s0, exec_lo, s0
	s_cbranch_execnz .LBB211_45
.LBB211_33:
	s_or_b32 exec_lo, exec_lo, s0
	s_delay_alu instid0(SALU_CYCLE_1)
	s_mov_b32 s0, exec_lo
	v_cmpx_gt_i32_e64 s7, v0
	s_cbranch_execz .LBB211_46
.LBB211_34:
	v_dual_mov_b32 v2, 0 :: v_dual_add_nc_u32 v1, s12, v0
	v_add_nc_u32_e32 v0, 0x100, v0
	s_delay_alu instid0(VALU_DEP_2) | instskip(NEXT) | instid1(VALU_DEP_1)
	v_lshlrev_b64 v[1:2], 1, v[1:2]
	v_add_co_u32 v1, vcc_lo, s8, v1
	s_delay_alu instid0(VALU_DEP_2) | instskip(SKIP_2) | instid1(SALU_CYCLE_1)
	v_add_co_ci_u32_e32 v2, vcc_lo, s9, v2, vcc_lo
	global_store_b16 v[1:2], v8, off
	s_or_b32 exec_lo, exec_lo, s0
	s_mov_b32 s0, exec_lo
	v_cmpx_gt_i32_e64 s7, v0
	s_cbranch_execnz .LBB211_47
.LBB211_35:
	s_or_b32 exec_lo, exec_lo, s0
	s_delay_alu instid0(SALU_CYCLE_1)
	s_mov_b32 s0, exec_lo
	v_cmpx_gt_i32_e64 s7, v0
	s_cbranch_execz .LBB211_48
.LBB211_36:
	v_dual_mov_b32 v2, 0 :: v_dual_add_nc_u32 v1, s12, v0
	v_add_nc_u32_e32 v0, 0x100, v0
	s_delay_alu instid0(VALU_DEP_2) | instskip(NEXT) | instid1(VALU_DEP_1)
	v_lshlrev_b64 v[1:2], 1, v[1:2]
	v_add_co_u32 v1, vcc_lo, s8, v1
	s_delay_alu instid0(VALU_DEP_2) | instskip(SKIP_2) | instid1(SALU_CYCLE_1)
	v_add_co_ci_u32_e32 v2, vcc_lo, s9, v2, vcc_lo
	global_store_b16 v[1:2], v11, off
	s_or_b32 exec_lo, exec_lo, s0
	s_mov_b32 s0, exec_lo
	v_cmpx_gt_i32_e64 s7, v0
	s_cbranch_execnz .LBB211_49
.LBB211_37:
	s_or_b32 exec_lo, exec_lo, s0
	s_delay_alu instid0(SALU_CYCLE_1)
	s_mov_b32 s0, exec_lo
	v_cmpx_gt_i32_e64 s7, v0
	s_cbranch_execz .LBB211_50
.LBB211_38:
	v_dual_mov_b32 v2, 0 :: v_dual_add_nc_u32 v1, s12, v0
	v_add_nc_u32_e32 v0, 0x100, v0
	s_delay_alu instid0(VALU_DEP_2) | instskip(NEXT) | instid1(VALU_DEP_1)
	v_lshlrev_b64 v[1:2], 1, v[1:2]
	v_add_co_u32 v1, vcc_lo, s8, v1
	s_delay_alu instid0(VALU_DEP_2) | instskip(SKIP_2) | instid1(SALU_CYCLE_1)
	v_add_co_ci_u32_e32 v2, vcc_lo, s9, v2, vcc_lo
	global_store_b16 v[1:2], v10, off
	s_or_b32 exec_lo, exec_lo, s0
	s_mov_b32 s0, exec_lo
	v_cmpx_gt_i32_e64 s7, v0
	s_cbranch_execnz .LBB211_51
.LBB211_39:
	s_or_b32 exec_lo, exec_lo, s0
	s_delay_alu instid0(SALU_CYCLE_1)
	s_mov_b32 s0, exec_lo
	v_cmpx_gt_i32_e64 s7, v0
	s_cbranch_execz .LBB211_41
.LBB211_40:
	v_dual_mov_b32 v1, 0 :: v_dual_add_nc_u32 v0, s12, v0
	s_delay_alu instid0(VALU_DEP_1) | instskip(NEXT) | instid1(VALU_DEP_1)
	v_lshlrev_b64 v[0:1], 1, v[0:1]
	v_add_co_u32 v0, vcc_lo, s8, v0
	s_delay_alu instid0(VALU_DEP_2)
	v_add_co_ci_u32_e32 v1, vcc_lo, s9, v1, vcc_lo
	global_store_b16 v[0:1], v9, off
.LBB211_41:
	s_nop 0
	s_sendmsg sendmsg(MSG_DEALLOC_VGPRS)
	s_endpgm
.LBB211_42:
	s_or_b32 exec_lo, exec_lo, s1
	s_delay_alu instid0(SALU_CYCLE_1)
	s_mov_b32 s1, exec_lo
	v_cmpx_gt_i32_e64 s7, v7
	s_cbranch_execz .LBB211_17
.LBB211_43:
	v_dual_mov_b32 v13, 0 :: v_dual_add_nc_u32 v12, s12, v7
	s_delay_alu instid0(VALU_DEP_1) | instskip(NEXT) | instid1(VALU_DEP_1)
	v_lshlrev_b64 v[12:13], 1, v[12:13]
	v_add_co_u32 v12, s0, s10, v12
	s_delay_alu instid0(VALU_DEP_1)
	v_add_co_ci_u32_e64 v13, s0, s11, v13, s0
	global_load_u16 v2, v[12:13], off
	s_or_b32 exec_lo, exec_lo, s1
                                        ; implicit-def: $vgpr7
	s_and_saveexec_b32 s1, vcc_lo
	s_cbranch_execz .LBB211_19
	s_branch .LBB211_18
.LBB211_44:
	s_or_b32 exec_lo, exec_lo, s1
	s_and_saveexec_b32 s0, vcc_lo
	s_delay_alu instid0(SALU_CYCLE_1)
	s_xor_b32 s0, exec_lo, s0
	s_cbranch_execz .LBB211_33
.LBB211_45:
	v_mov_b32_e32 v2, 0
	s_delay_alu instid0(VALU_DEP_1) | instskip(NEXT) | instid1(VALU_DEP_1)
	v_lshlrev_b64 v[0:1], 1, v[1:2]
	v_add_co_u32 v12, vcc_lo, s8, v0
	s_delay_alu instid0(VALU_DEP_2) | instskip(SKIP_3) | instid1(SALU_CYCLE_1)
	v_add_co_ci_u32_e32 v13, vcc_lo, s9, v1, vcc_lo
	v_mov_b32_e32 v0, v3
	global_store_b16 v[12:13], v7, off
	s_or_b32 exec_lo, exec_lo, s0
	s_mov_b32 s0, exec_lo
	v_cmpx_gt_i32_e64 s7, v0
	s_cbranch_execnz .LBB211_34
.LBB211_46:
	s_or_b32 exec_lo, exec_lo, s0
	s_delay_alu instid0(SALU_CYCLE_1)
	s_mov_b32 s0, exec_lo
	v_cmpx_gt_i32_e64 s7, v0
	s_cbranch_execz .LBB211_35
.LBB211_47:
	v_dual_mov_b32 v2, 0 :: v_dual_add_nc_u32 v1, s12, v0
	v_add_nc_u32_e32 v0, 0x100, v0
	s_delay_alu instid0(VALU_DEP_2) | instskip(NEXT) | instid1(VALU_DEP_1)
	v_lshlrev_b64 v[1:2], 1, v[1:2]
	v_add_co_u32 v1, vcc_lo, s8, v1
	s_delay_alu instid0(VALU_DEP_2) | instskip(SKIP_2) | instid1(SALU_CYCLE_1)
	v_add_co_ci_u32_e32 v2, vcc_lo, s9, v2, vcc_lo
	global_store_b16 v[1:2], v4, off
	s_or_b32 exec_lo, exec_lo, s0
	s_mov_b32 s0, exec_lo
	v_cmpx_gt_i32_e64 s7, v0
	s_cbranch_execnz .LBB211_36
.LBB211_48:
	s_or_b32 exec_lo, exec_lo, s0
	s_delay_alu instid0(SALU_CYCLE_1)
	s_mov_b32 s0, exec_lo
	v_cmpx_gt_i32_e64 s7, v0
	s_cbranch_execz .LBB211_37
.LBB211_49:
	v_dual_mov_b32 v2, 0 :: v_dual_add_nc_u32 v1, s12, v0
	v_add_nc_u32_e32 v0, 0x100, v0
	s_delay_alu instid0(VALU_DEP_2) | instskip(NEXT) | instid1(VALU_DEP_1)
	v_lshlrev_b64 v[1:2], 1, v[1:2]
	v_add_co_u32 v1, vcc_lo, s8, v1
	s_delay_alu instid0(VALU_DEP_2) | instskip(SKIP_2) | instid1(SALU_CYCLE_1)
	v_add_co_ci_u32_e32 v2, vcc_lo, s9, v2, vcc_lo
	global_store_b16 v[1:2], v6, off
	s_or_b32 exec_lo, exec_lo, s0
	s_mov_b32 s0, exec_lo
	v_cmpx_gt_i32_e64 s7, v0
	s_cbranch_execnz .LBB211_38
.LBB211_50:
	s_or_b32 exec_lo, exec_lo, s0
	s_delay_alu instid0(SALU_CYCLE_1)
	s_mov_b32 s0, exec_lo
	v_cmpx_gt_i32_e64 s7, v0
	s_cbranch_execz .LBB211_39
.LBB211_51:
	v_dual_mov_b32 v2, 0 :: v_dual_add_nc_u32 v1, s12, v0
	v_add_nc_u32_e32 v0, 0x100, v0
	s_delay_alu instid0(VALU_DEP_2) | instskip(NEXT) | instid1(VALU_DEP_1)
	v_lshlrev_b64 v[1:2], 1, v[1:2]
	v_add_co_u32 v1, vcc_lo, s8, v1
	s_delay_alu instid0(VALU_DEP_2) | instskip(SKIP_2) | instid1(SALU_CYCLE_1)
	v_add_co_ci_u32_e32 v2, vcc_lo, s9, v2, vcc_lo
	global_store_b16 v[1:2], v5, off
	s_or_b32 exec_lo, exec_lo, s0
	s_mov_b32 s0, exec_lo
	v_cmpx_gt_i32_e64 s7, v0
	s_cbranch_execnz .LBB211_40
	s_branch .LBB211_41
	.section	.rodata,"a",@progbits
	.p2align	6, 0x0
	.amdhsa_kernel _ZN2at6native29vectorized_elementwise_kernelILi8EZZZNS0_17rsqrt_kernel_cudaERNS_18TensorIteratorBaseEENKUlvE0_clEvENKUlvE2_clEvEUlN3c104HalfEE_St5arrayIPcLm2EEEEviT0_T1_
		.amdhsa_group_segment_fixed_size 0
		.amdhsa_private_segment_fixed_size 0
		.amdhsa_kernarg_size 24
		.amdhsa_user_sgpr_count 15
		.amdhsa_user_sgpr_dispatch_ptr 0
		.amdhsa_user_sgpr_queue_ptr 0
		.amdhsa_user_sgpr_kernarg_segment_ptr 1
		.amdhsa_user_sgpr_dispatch_id 0
		.amdhsa_user_sgpr_private_segment_size 0
		.amdhsa_wavefront_size32 1
		.amdhsa_uses_dynamic_stack 0
		.amdhsa_enable_private_segment 0
		.amdhsa_system_sgpr_workgroup_id_x 1
		.amdhsa_system_sgpr_workgroup_id_y 0
		.amdhsa_system_sgpr_workgroup_id_z 0
		.amdhsa_system_sgpr_workgroup_info 0
		.amdhsa_system_vgpr_workitem_id 0
		.amdhsa_next_free_vgpr 50
		.amdhsa_next_free_sgpr 16
		.amdhsa_reserve_vcc 1
		.amdhsa_float_round_mode_32 0
		.amdhsa_float_round_mode_16_64 0
		.amdhsa_float_denorm_mode_32 3
		.amdhsa_float_denorm_mode_16_64 3
		.amdhsa_dx10_clamp 1
		.amdhsa_ieee_mode 1
		.amdhsa_fp16_overflow 0
		.amdhsa_workgroup_processor_mode 1
		.amdhsa_memory_ordered 1
		.amdhsa_forward_progress 0
		.amdhsa_shared_vgpr_count 0
		.amdhsa_exception_fp_ieee_invalid_op 0
		.amdhsa_exception_fp_denorm_src 0
		.amdhsa_exception_fp_ieee_div_zero 0
		.amdhsa_exception_fp_ieee_overflow 0
		.amdhsa_exception_fp_ieee_underflow 0
		.amdhsa_exception_fp_ieee_inexact 0
		.amdhsa_exception_int_div_zero 0
	.end_amdhsa_kernel
	.section	.text._ZN2at6native29vectorized_elementwise_kernelILi8EZZZNS0_17rsqrt_kernel_cudaERNS_18TensorIteratorBaseEENKUlvE0_clEvENKUlvE2_clEvEUlN3c104HalfEE_St5arrayIPcLm2EEEEviT0_T1_,"axG",@progbits,_ZN2at6native29vectorized_elementwise_kernelILi8EZZZNS0_17rsqrt_kernel_cudaERNS_18TensorIteratorBaseEENKUlvE0_clEvENKUlvE2_clEvEUlN3c104HalfEE_St5arrayIPcLm2EEEEviT0_T1_,comdat
.Lfunc_end211:
	.size	_ZN2at6native29vectorized_elementwise_kernelILi8EZZZNS0_17rsqrt_kernel_cudaERNS_18TensorIteratorBaseEENKUlvE0_clEvENKUlvE2_clEvEUlN3c104HalfEE_St5arrayIPcLm2EEEEviT0_T1_, .Lfunc_end211-_ZN2at6native29vectorized_elementwise_kernelILi8EZZZNS0_17rsqrt_kernel_cudaERNS_18TensorIteratorBaseEENKUlvE0_clEvENKUlvE2_clEvEUlN3c104HalfEE_St5arrayIPcLm2EEEEviT0_T1_
                                        ; -- End function
	.section	.AMDGPU.csdata,"",@progbits
; Kernel info:
; codeLenInByte = 3532
; NumSgprs: 18
; NumVgprs: 50
; ScratchSize: 0
; MemoryBound: 0
; FloatMode: 240
; IeeeMode: 1
; LDSByteSize: 0 bytes/workgroup (compile time only)
; SGPRBlocks: 2
; VGPRBlocks: 6
; NumSGPRsForWavesPerEU: 18
; NumVGPRsForWavesPerEU: 50
; Occupancy: 16
; WaveLimiterHint : 0
; COMPUTE_PGM_RSRC2:SCRATCH_EN: 0
; COMPUTE_PGM_RSRC2:USER_SGPR: 15
; COMPUTE_PGM_RSRC2:TRAP_HANDLER: 0
; COMPUTE_PGM_RSRC2:TGID_X_EN: 1
; COMPUTE_PGM_RSRC2:TGID_Y_EN: 0
; COMPUTE_PGM_RSRC2:TGID_Z_EN: 0
; COMPUTE_PGM_RSRC2:TIDIG_COMP_CNT: 0
	.section	.text._ZN2at6native29vectorized_elementwise_kernelILi4EZZZNS0_17rsqrt_kernel_cudaERNS_18TensorIteratorBaseEENKUlvE0_clEvENKUlvE2_clEvEUlN3c104HalfEE_St5arrayIPcLm2EEEEviT0_T1_,"axG",@progbits,_ZN2at6native29vectorized_elementwise_kernelILi4EZZZNS0_17rsqrt_kernel_cudaERNS_18TensorIteratorBaseEENKUlvE0_clEvENKUlvE2_clEvEUlN3c104HalfEE_St5arrayIPcLm2EEEEviT0_T1_,comdat
	.globl	_ZN2at6native29vectorized_elementwise_kernelILi4EZZZNS0_17rsqrt_kernel_cudaERNS_18TensorIteratorBaseEENKUlvE0_clEvENKUlvE2_clEvEUlN3c104HalfEE_St5arrayIPcLm2EEEEviT0_T1_ ; -- Begin function _ZN2at6native29vectorized_elementwise_kernelILi4EZZZNS0_17rsqrt_kernel_cudaERNS_18TensorIteratorBaseEENKUlvE0_clEvENKUlvE2_clEvEUlN3c104HalfEE_St5arrayIPcLm2EEEEviT0_T1_
	.p2align	8
	.type	_ZN2at6native29vectorized_elementwise_kernelILi4EZZZNS0_17rsqrt_kernel_cudaERNS_18TensorIteratorBaseEENKUlvE0_clEvENKUlvE2_clEvEUlN3c104HalfEE_St5arrayIPcLm2EEEEviT0_T1_,@function
_ZN2at6native29vectorized_elementwise_kernelILi4EZZZNS0_17rsqrt_kernel_cudaERNS_18TensorIteratorBaseEENKUlvE0_clEvENKUlvE2_clEvEUlN3c104HalfEE_St5arrayIPcLm2EEEEviT0_T1_: ; @_ZN2at6native29vectorized_elementwise_kernelILi4EZZZNS0_17rsqrt_kernel_cudaERNS_18TensorIteratorBaseEENKUlvE0_clEvENKUlvE2_clEvEUlN3c104HalfEE_St5arrayIPcLm2EEEEviT0_T1_
; %bb.0:
	s_clause 0x1
	s_load_b32 s2, s[0:1], 0x0
	s_load_b128 s[8:11], s[0:1], 0x8
	s_lshl_b32 s12, s15, 11
	s_mov_b32 s0, -1
	s_waitcnt lgkmcnt(0)
	s_sub_i32 s7, s2, s12
	s_delay_alu instid0(SALU_CYCLE_1)
	s_cmpk_gt_i32 s7, 0x7ff
	s_cbranch_scc0 .LBB212_2
; %bb.1:
	s_ashr_i32 s13, s12, 31
	v_lshlrev_b32_e32 v49, 3, v0
	s_lshl_b64 s[14:15], s[12:13], 1
	s_delay_alu instid0(SALU_CYCLE_1)
	s_add_u32 s0, s10, s14
	s_addc_u32 s1, s11, s15
	s_clause 0x1
	global_load_b64 v[1:2], v49, s[0:1]
	global_load_b64 v[3:4], v49, s[0:1] offset:2048
	s_waitcnt vmcnt(1)
	v_lshrrev_b32_e32 v7, 16, v1
	v_cvt_f32_f16_e32 v1, v1
	v_lshrrev_b32_e32 v9, 16, v2
	v_cvt_f32_f16_e32 v5, v2
	s_waitcnt vmcnt(0)
	v_lshrrev_b32_e32 v11, 16, v3
	v_cvt_f32_f16_e32 v3, v3
	v_cvt_f64_f32_e32 v[1:2], v1
	v_cvt_f32_f16_e32 v10, v4
	v_cvt_f32_f16_e32 v12, v7
	v_cvt_f64_f32_e32 v[5:6], v5
	v_cvt_f64_f32_e32 v[7:8], v3
	v_lshrrev_b32_e32 v13, 16, v4
	v_cvt_f32_f16_e32 v14, v9
	v_cvt_f32_f16_e32 v15, v11
	v_cvt_f64_f32_e32 v[3:4], v10
	v_cvt_f64_f32_e32 v[9:10], v12
	v_cvt_f32_f16_e32 v16, v13
	v_cvt_f64_f32_e32 v[11:12], v14
	v_cvt_f64_f32_e32 v[13:14], v15
	s_delay_alu instid0(VALU_DEP_3)
	v_cvt_f64_f32_e32 v[15:16], v16
	v_rsq_f64_e32 v[17:18], v[1:2]
	v_rsq_f64_e32 v[19:20], v[5:6]
	;; [unrolled: 1-line block ×5, first 2 shown]
	s_delay_alu instid0(VALU_DEP_3) | instskip(NEXT) | instid1(VALU_DEP_2)
	v_rsq_f64_e32 v[27:28], v[11:12]
	v_rsq_f64_e32 v[29:30], v[13:14]
	s_delay_alu instid0(VALU_DEP_1)
	v_rsq_f64_e32 v[31:32], v[15:16]
	v_mul_f64 v[1:2], v[17:18], -v[1:2]
	v_cmp_class_f64_e64 vcc_lo, v[17:18], 0x180
	v_mul_f64 v[5:6], v[19:20], -v[5:6]
	v_mul_f64 v[7:8], v[21:22], -v[7:8]
	v_cmp_class_f64_e64 s0, v[19:20], 0x180
	v_cmp_class_f64_e64 s1, v[21:22], 0x180
	v_mul_f64 v[3:4], v[23:24], -v[3:4]
	v_mul_f64 v[9:10], v[25:26], -v[9:10]
	v_cmp_class_f64_e64 s3, v[25:26], 0x180
	s_delay_alu instid0(TRANS32_DEP_3) | instskip(NEXT) | instid1(TRANS32_DEP_2)
	v_mul_f64 v[11:12], v[27:28], -v[11:12]
	v_mul_f64 v[13:14], v[29:30], -v[13:14]
	v_cmp_class_f64_e64 s2, v[23:24], 0x180
	v_cmp_class_f64_e64 s4, v[27:28], 0x180
	s_delay_alu instid0(TRANS32_DEP_1)
	v_mul_f64 v[15:16], v[31:32], -v[15:16]
	v_cmp_class_f64_e64 s5, v[29:30], 0x180
	v_cmp_class_f64_e64 s6, v[31:32], 0x180
	v_fma_f64 v[1:2], v[1:2], v[17:18], 1.0
	v_fma_f64 v[5:6], v[5:6], v[19:20], 1.0
	;; [unrolled: 1-line block ×8, first 2 shown]
	v_mul_f64 v[33:34], v[17:18], v[1:2]
	v_fma_f64 v[1:2], 0x3fd80000, v[1:2], 0.5
	v_mul_f64 v[35:36], v[19:20], v[5:6]
	v_fma_f64 v[5:6], 0x3fd80000, v[5:6], 0.5
	;; [unrolled: 2-line block ×3, first 2 shown]
	v_mul_f64 v[39:40], v[23:24], v[3:4]
	v_mul_f64 v[41:42], v[25:26], v[9:10]
	v_fma_f64 v[9:10], 0x3fd80000, v[9:10], 0.5
	v_fma_f64 v[3:4], 0x3fd80000, v[3:4], 0.5
	v_mul_f64 v[43:44], v[27:28], v[11:12]
	v_fma_f64 v[11:12], 0x3fd80000, v[11:12], 0.5
	v_mul_f64 v[45:46], v[29:30], v[13:14]
	;; [unrolled: 2-line block ×3, first 2 shown]
	v_fma_f64 v[15:16], 0x3fd80000, v[15:16], 0.5
	v_fma_f64 v[1:2], v[33:34], v[1:2], v[17:18]
	v_fma_f64 v[5:6], v[35:36], v[5:6], v[19:20]
	;; [unrolled: 1-line block ×8, first 2 shown]
	v_dual_cndmask_b32 v2, v18, v2 :: v_dual_cndmask_b32 v1, v17, v1
	v_cndmask_b32_e64 v6, v20, v6, s0
	v_cndmask_b32_e64 v5, v19, v5, s0
	v_cndmask_b32_e64 v8, v22, v8, s1
	v_cndmask_b32_e64 v7, v21, v7, s1
	v_cvt_f32_f64_e32 v17, v[1:2]
	s_mov_b32 s0, 0
	v_cndmask_b32_e64 v2, v26, v10, s3
	v_cndmask_b32_e64 v1, v25, v9, s3
	;; [unrolled: 1-line block ×4, first 2 shown]
	v_cvt_f32_f64_e32 v18, v[5:6]
	v_cndmask_b32_e64 v5, v27, v11, s4
	v_cvt_f32_f64_e32 v11, v[7:8]
	v_cndmask_b32_e64 v8, v30, v14, s5
	v_cndmask_b32_e64 v7, v29, v13, s5
	;; [unrolled: 1-line block ×3, first 2 shown]
	v_cvt_f32_f64_e32 v1, v[1:2]
	v_cndmask_b32_e64 v10, v32, v16, s6
	v_cndmask_b32_e64 v9, v31, v15, s6
	v_cvt_f32_f64_e32 v3, v[3:4]
	v_cvt_f32_f64_e32 v4, v[7:8]
	;; [unrolled: 1-line block ×3, first 2 shown]
	s_add_u32 s2, s8, s14
	v_cvt_f32_f64_e32 v5, v[9:10]
	s_addc_u32 s3, s9, s15
	v_cvt_f16_f32_e32 v6, v17
	s_delay_alu instid0(VALU_DEP_1) | instskip(SKIP_2) | instid1(VALU_DEP_2)
	v_and_b32_e32 v6, 0xffff, v6
	v_cvt_f16_f32_e32 v7, v18
	v_cvt_f16_f32_e32 v8, v11
	v_and_b32_e32 v7, 0xffff, v7
	v_cvt_f16_f32_e32 v1, v1
	s_delay_alu instid0(VALU_DEP_3)
	v_and_b32_e32 v8, 0xffff, v8
	v_cvt_f16_f32_e32 v3, v3
	v_cvt_f16_f32_e32 v4, v4
	;; [unrolled: 1-line block ×3, first 2 shown]
	v_lshlrev_b32_e32 v1, 16, v1
	v_cvt_f16_f32_e32 v5, v5
	v_and_b32_e32 v3, 0xffff, v3
	v_lshlrev_b32_e32 v4, 16, v4
	v_lshlrev_b32_e32 v2, 16, v2
	v_or_b32_e32 v1, v1, v6
	v_lshlrev_b32_e32 v5, 16, v5
	s_delay_alu instid0(VALU_DEP_4) | instskip(NEXT) | instid1(VALU_DEP_4)
	v_or_b32_e32 v6, v4, v8
	v_or3_b32 v2, 0, v7, v2
	s_delay_alu instid0(VALU_DEP_4) | instskip(NEXT) | instid1(VALU_DEP_4)
	v_or3_b32 v1, v1, 0, 0
	v_or3_b32 v4, 0, v3, v5
	s_delay_alu instid0(VALU_DEP_4)
	v_or3_b32 v3, v6, 0, 0
	s_clause 0x1
	global_store_b64 v49, v[1:2], s[2:3]
	global_store_b64 v49, v[3:4], s[2:3] offset:2048
.LBB212_2:
	s_and_not1_b32 vcc_lo, exec_lo, s0
	s_cbranch_vccnz .LBB212_41
; %bb.3:
	v_cmp_gt_i32_e32 vcc_lo, s7, v0
	v_dual_mov_b32 v4, 0 :: v_dual_mov_b32 v7, v0
	v_or_b32_e32 v1, s12, v0
	v_or_b32_e32 v3, 0x100, v0
	v_mov_b32_e32 v8, 0
	s_and_saveexec_b32 s1, vcc_lo
	s_cbranch_execz .LBB212_5
; %bb.4:
	v_mov_b32_e32 v2, 0
	v_or_b32_e32 v7, 0x100, v0
	s_delay_alu instid0(VALU_DEP_2) | instskip(NEXT) | instid1(VALU_DEP_1)
	v_lshlrev_b64 v[5:6], 1, v[1:2]
	v_add_co_u32 v5, s0, s10, v5
	s_delay_alu instid0(VALU_DEP_1)
	v_add_co_ci_u32_e64 v6, s0, s11, v6, s0
	global_load_u16 v8, v[5:6], off
.LBB212_5:
	s_or_b32 exec_lo, exec_lo, s1
	s_delay_alu instid0(SALU_CYCLE_1)
	s_mov_b32 s1, exec_lo
	v_cmpx_gt_i32_e64 s7, v7
	s_cbranch_execz .LBB212_7
; %bb.6:
	v_dual_mov_b32 v5, 0 :: v_dual_add_nc_u32 v4, s12, v7
	v_add_nc_u32_e32 v7, 0x100, v7
	s_delay_alu instid0(VALU_DEP_2) | instskip(NEXT) | instid1(VALU_DEP_1)
	v_lshlrev_b64 v[4:5], 1, v[4:5]
	v_add_co_u32 v4, s0, s10, v4
	s_delay_alu instid0(VALU_DEP_1)
	v_add_co_ci_u32_e64 v5, s0, s11, v5, s0
	global_load_u16 v4, v[4:5], off
.LBB212_7:
	s_or_b32 exec_lo, exec_lo, s1
	v_dual_mov_b32 v6, 0 :: v_dual_mov_b32 v11, 0
	s_mov_b32 s1, exec_lo
	v_cmpx_gt_i32_e64 s7, v7
	s_cbranch_execz .LBB212_9
; %bb.8:
	v_dual_mov_b32 v10, 0 :: v_dual_add_nc_u32 v9, s12, v7
	v_add_nc_u32_e32 v7, 0x100, v7
	s_delay_alu instid0(VALU_DEP_2) | instskip(NEXT) | instid1(VALU_DEP_1)
	v_lshlrev_b64 v[9:10], 1, v[9:10]
	v_add_co_u32 v9, s0, s10, v9
	s_delay_alu instid0(VALU_DEP_1)
	v_add_co_ci_u32_e64 v10, s0, s11, v10, s0
	global_load_u16 v11, v[9:10], off
.LBB212_9:
	s_or_b32 exec_lo, exec_lo, s1
	s_delay_alu instid0(SALU_CYCLE_1)
	s_mov_b32 s1, exec_lo
	v_cmpx_gt_i32_e64 s7, v7
	s_cbranch_execz .LBB212_11
; %bb.10:
	v_dual_mov_b32 v6, 0 :: v_dual_add_nc_u32 v5, s12, v7
	v_add_nc_u32_e32 v7, 0x100, v7
	s_delay_alu instid0(VALU_DEP_2) | instskip(NEXT) | instid1(VALU_DEP_1)
	v_lshlrev_b64 v[5:6], 1, v[5:6]
	v_add_co_u32 v5, s0, s10, v5
	s_delay_alu instid0(VALU_DEP_1)
	v_add_co_ci_u32_e64 v6, s0, s11, v6, s0
	global_load_u16 v6, v[5:6], off
.LBB212_11:
	s_or_b32 exec_lo, exec_lo, s1
	v_dual_mov_b32 v5, 0 :: v_dual_mov_b32 v10, 0
	s_mov_b32 s1, exec_lo
	v_cmpx_gt_i32_e64 s7, v7
	s_cbranch_execz .LBB212_13
; %bb.12:
	v_dual_mov_b32 v10, 0 :: v_dual_add_nc_u32 v9, s12, v7
	v_add_nc_u32_e32 v7, 0x100, v7
	s_delay_alu instid0(VALU_DEP_2) | instskip(NEXT) | instid1(VALU_DEP_1)
	v_lshlrev_b64 v[9:10], 1, v[9:10]
	v_add_co_u32 v9, s0, s10, v9
	s_delay_alu instid0(VALU_DEP_1)
	v_add_co_ci_u32_e64 v10, s0, s11, v10, s0
	global_load_u16 v10, v[9:10], off
.LBB212_13:
	s_or_b32 exec_lo, exec_lo, s1
	s_delay_alu instid0(SALU_CYCLE_1)
	s_mov_b32 s1, exec_lo
	v_cmpx_gt_i32_e64 s7, v7
	s_cbranch_execz .LBB212_15
; %bb.14:
	v_dual_mov_b32 v13, 0 :: v_dual_add_nc_u32 v12, s12, v7
	v_add_nc_u32_e32 v7, 0x100, v7
	s_delay_alu instid0(VALU_DEP_2) | instskip(NEXT) | instid1(VALU_DEP_1)
	v_lshlrev_b64 v[12:13], 1, v[12:13]
	v_add_co_u32 v12, s0, s10, v12
	s_delay_alu instid0(VALU_DEP_1)
	v_add_co_ci_u32_e64 v13, s0, s11, v13, s0
	global_load_u16 v5, v[12:13], off
.LBB212_15:
	s_or_b32 exec_lo, exec_lo, s1
	v_dual_mov_b32 v2, 0 :: v_dual_mov_b32 v9, 0
	s_mov_b32 s1, exec_lo
	v_cmpx_gt_i32_e64 s7, v7
	s_cbranch_execz .LBB212_42
; %bb.16:
	v_dual_mov_b32 v13, 0 :: v_dual_add_nc_u32 v12, s12, v7
	v_add_nc_u32_e32 v7, 0x100, v7
	s_delay_alu instid0(VALU_DEP_2) | instskip(NEXT) | instid1(VALU_DEP_1)
	v_lshlrev_b64 v[12:13], 1, v[12:13]
	v_add_co_u32 v12, s0, s10, v12
	s_delay_alu instid0(VALU_DEP_1) | instskip(SKIP_2) | instid1(SALU_CYCLE_1)
	v_add_co_ci_u32_e64 v13, s0, s11, v13, s0
	global_load_u16 v9, v[12:13], off
	s_or_b32 exec_lo, exec_lo, s1
	s_mov_b32 s1, exec_lo
	v_cmpx_gt_i32_e64 s7, v7
	s_cbranch_execnz .LBB212_43
.LBB212_17:
	s_or_b32 exec_lo, exec_lo, s1
                                        ; implicit-def: $vgpr7
	s_and_saveexec_b32 s1, vcc_lo
	s_cbranch_execz .LBB212_19
.LBB212_18:
	s_waitcnt vmcnt(0)
	v_cvt_f32_f16_e32 v7, v8
	s_delay_alu instid0(VALU_DEP_1) | instskip(NEXT) | instid1(VALU_DEP_1)
	v_cvt_f64_f32_e32 v[7:8], v7
	v_rsq_f64_e32 v[12:13], v[7:8]
	s_waitcnt_depctr 0xfff
	v_mul_f64 v[7:8], v[12:13], -v[7:8]
	v_cmp_class_f64_e64 s0, v[12:13], 0x180
	s_delay_alu instid0(VALU_DEP_2) | instskip(NEXT) | instid1(VALU_DEP_1)
	v_fma_f64 v[7:8], v[7:8], v[12:13], 1.0
	v_mul_f64 v[14:15], v[12:13], v[7:8]
	v_fma_f64 v[7:8], 0x3fd80000, v[7:8], 0.5
	s_delay_alu instid0(VALU_DEP_1) | instskip(NEXT) | instid1(VALU_DEP_1)
	v_fma_f64 v[7:8], v[14:15], v[7:8], v[12:13]
	v_cndmask_b32_e64 v8, v13, v8, s0
	s_delay_alu instid0(VALU_DEP_2) | instskip(NEXT) | instid1(VALU_DEP_1)
	v_cndmask_b32_e64 v7, v12, v7, s0
	v_cvt_f32_f64_e32 v7, v[7:8]
	s_delay_alu instid0(VALU_DEP_1)
	v_cvt_f16_f32_e32 v7, v7
.LBB212_19:
	s_or_b32 exec_lo, exec_lo, s1
	s_delay_alu instid0(SALU_CYCLE_1)
	s_mov_b32 s1, exec_lo
                                        ; implicit-def: $vgpr8
	v_cmpx_gt_i32_e64 s7, v3
	s_cbranch_execz .LBB212_21
; %bb.20:
	s_waitcnt vmcnt(0)
	v_cvt_f32_f16_e32 v4, v4
	s_delay_alu instid0(VALU_DEP_1) | instskip(NEXT) | instid1(VALU_DEP_1)
	v_cvt_f64_f32_e32 v[12:13], v4
	v_rsq_f64_e32 v[14:15], v[12:13]
	s_waitcnt_depctr 0xfff
	v_mul_f64 v[12:13], v[14:15], -v[12:13]
	v_cmp_class_f64_e64 s0, v[14:15], 0x180
	s_delay_alu instid0(VALU_DEP_2) | instskip(NEXT) | instid1(VALU_DEP_1)
	v_fma_f64 v[12:13], v[12:13], v[14:15], 1.0
	v_mul_f64 v[16:17], v[14:15], v[12:13]
	v_fma_f64 v[12:13], 0x3fd80000, v[12:13], 0.5
	s_delay_alu instid0(VALU_DEP_1) | instskip(NEXT) | instid1(VALU_DEP_1)
	v_fma_f64 v[12:13], v[16:17], v[12:13], v[14:15]
	v_cndmask_b32_e64 v13, v15, v13, s0
	s_delay_alu instid0(VALU_DEP_2) | instskip(NEXT) | instid1(VALU_DEP_1)
	v_cndmask_b32_e64 v12, v14, v12, s0
	v_cvt_f32_f64_e32 v4, v[12:13]
	s_delay_alu instid0(VALU_DEP_1)
	v_cvt_f16_f32_e32 v8, v4
.LBB212_21:
	s_or_b32 exec_lo, exec_lo, s1
	s_waitcnt vmcnt(0)
	v_or_b32_e32 v4, 0x200, v0
	s_delay_alu instid0(VALU_DEP_1) | instskip(NEXT) | instid1(VALU_DEP_1)
	v_cmp_gt_i32_e64 s0, s7, v4
                                        ; implicit-def: $vgpr4
	s_and_saveexec_b32 s1, s0
	s_cbranch_execz .LBB212_23
; %bb.22:
	v_cvt_f32_f16_e32 v4, v11
	s_delay_alu instid0(VALU_DEP_1) | instskip(NEXT) | instid1(VALU_DEP_1)
	v_cvt_f64_f32_e32 v[11:12], v4
	v_rsq_f64_e32 v[13:14], v[11:12]
	s_waitcnt_depctr 0xfff
	v_mul_f64 v[11:12], v[13:14], -v[11:12]
	v_cmp_class_f64_e64 s0, v[13:14], 0x180
	s_delay_alu instid0(VALU_DEP_2) | instskip(NEXT) | instid1(VALU_DEP_1)
	v_fma_f64 v[11:12], v[11:12], v[13:14], 1.0
	v_mul_f64 v[15:16], v[13:14], v[11:12]
	v_fma_f64 v[11:12], 0x3fd80000, v[11:12], 0.5
	s_delay_alu instid0(VALU_DEP_1) | instskip(NEXT) | instid1(VALU_DEP_1)
	v_fma_f64 v[11:12], v[15:16], v[11:12], v[13:14]
	v_cndmask_b32_e64 v12, v14, v12, s0
	s_delay_alu instid0(VALU_DEP_2) | instskip(NEXT) | instid1(VALU_DEP_1)
	v_cndmask_b32_e64 v11, v13, v11, s0
	v_cvt_f32_f64_e32 v4, v[11:12]
	s_delay_alu instid0(VALU_DEP_1)
	v_cvt_f16_f32_e32 v4, v4
.LBB212_23:
	s_or_b32 exec_lo, exec_lo, s1
	v_or_b32_e32 v11, 0x300, v0
	s_delay_alu instid0(VALU_DEP_1) | instskip(NEXT) | instid1(VALU_DEP_1)
	v_cmp_gt_i32_e64 s0, s7, v11
                                        ; implicit-def: $vgpr11
	s_and_saveexec_b32 s1, s0
	s_cbranch_execz .LBB212_25
; %bb.24:
	v_cvt_f32_f16_e32 v6, v6
	s_delay_alu instid0(VALU_DEP_1) | instskip(NEXT) | instid1(VALU_DEP_1)
	v_cvt_f64_f32_e32 v[11:12], v6
	v_rsq_f64_e32 v[13:14], v[11:12]
	s_waitcnt_depctr 0xfff
	v_mul_f64 v[11:12], v[13:14], -v[11:12]
	v_cmp_class_f64_e64 s0, v[13:14], 0x180
	s_delay_alu instid0(VALU_DEP_2) | instskip(NEXT) | instid1(VALU_DEP_1)
	v_fma_f64 v[11:12], v[11:12], v[13:14], 1.0
	v_mul_f64 v[15:16], v[13:14], v[11:12]
	v_fma_f64 v[11:12], 0x3fd80000, v[11:12], 0.5
	s_delay_alu instid0(VALU_DEP_1) | instskip(NEXT) | instid1(VALU_DEP_1)
	v_fma_f64 v[11:12], v[15:16], v[11:12], v[13:14]
	v_cndmask_b32_e64 v12, v14, v12, s0
	s_delay_alu instid0(VALU_DEP_2) | instskip(NEXT) | instid1(VALU_DEP_1)
	v_cndmask_b32_e64 v11, v13, v11, s0
	v_cvt_f32_f64_e32 v6, v[11:12]
	s_delay_alu instid0(VALU_DEP_1)
	v_cvt_f16_f32_e32 v11, v6
.LBB212_25:
	s_or_b32 exec_lo, exec_lo, s1
	v_or_b32_e32 v6, 0x400, v0
	s_delay_alu instid0(VALU_DEP_1) | instskip(NEXT) | instid1(VALU_DEP_1)
	v_cmp_gt_i32_e64 s0, s7, v6
                                        ; implicit-def: $vgpr6
	s_and_saveexec_b32 s1, s0
	s_cbranch_execz .LBB212_27
; %bb.26:
	v_cvt_f32_f16_e32 v6, v10
	s_delay_alu instid0(VALU_DEP_1) | instskip(NEXT) | instid1(VALU_DEP_1)
	v_cvt_f64_f32_e32 v[12:13], v6
	v_rsq_f64_e32 v[14:15], v[12:13]
	s_waitcnt_depctr 0xfff
	v_mul_f64 v[12:13], v[14:15], -v[12:13]
	v_cmp_class_f64_e64 s0, v[14:15], 0x180
	s_delay_alu instid0(VALU_DEP_2) | instskip(NEXT) | instid1(VALU_DEP_1)
	v_fma_f64 v[12:13], v[12:13], v[14:15], 1.0
	v_mul_f64 v[16:17], v[14:15], v[12:13]
	v_fma_f64 v[12:13], 0x3fd80000, v[12:13], 0.5
	s_delay_alu instid0(VALU_DEP_1) | instskip(NEXT) | instid1(VALU_DEP_1)
	v_fma_f64 v[12:13], v[16:17], v[12:13], v[14:15]
	v_cndmask_b32_e64 v13, v15, v13, s0
	s_delay_alu instid0(VALU_DEP_2) | instskip(NEXT) | instid1(VALU_DEP_1)
	v_cndmask_b32_e64 v12, v14, v12, s0
	v_cvt_f32_f64_e32 v6, v[12:13]
	s_delay_alu instid0(VALU_DEP_1)
	v_cvt_f16_f32_e32 v6, v6
.LBB212_27:
	s_or_b32 exec_lo, exec_lo, s1
	v_or_b32_e32 v10, 0x500, v0
	s_delay_alu instid0(VALU_DEP_1) | instskip(NEXT) | instid1(VALU_DEP_1)
	v_cmp_gt_i32_e64 s0, s7, v10
                                        ; implicit-def: $vgpr10
	s_and_saveexec_b32 s1, s0
	s_cbranch_execz .LBB212_29
; %bb.28:
	v_cvt_f32_f16_e32 v5, v5
	s_delay_alu instid0(VALU_DEP_1) | instskip(NEXT) | instid1(VALU_DEP_1)
	v_cvt_f64_f32_e32 v[12:13], v5
	v_rsq_f64_e32 v[14:15], v[12:13]
	s_waitcnt_depctr 0xfff
	v_mul_f64 v[12:13], v[14:15], -v[12:13]
	v_cmp_class_f64_e64 s0, v[14:15], 0x180
	s_delay_alu instid0(VALU_DEP_2) | instskip(NEXT) | instid1(VALU_DEP_1)
	v_fma_f64 v[12:13], v[12:13], v[14:15], 1.0
	v_mul_f64 v[16:17], v[14:15], v[12:13]
	v_fma_f64 v[12:13], 0x3fd80000, v[12:13], 0.5
	s_delay_alu instid0(VALU_DEP_1) | instskip(NEXT) | instid1(VALU_DEP_1)
	v_fma_f64 v[12:13], v[16:17], v[12:13], v[14:15]
	v_cndmask_b32_e64 v13, v15, v13, s0
	s_delay_alu instid0(VALU_DEP_2) | instskip(NEXT) | instid1(VALU_DEP_1)
	v_cndmask_b32_e64 v12, v14, v12, s0
	v_cvt_f32_f64_e32 v5, v[12:13]
	s_delay_alu instid0(VALU_DEP_1)
	v_cvt_f16_f32_e32 v10, v5
.LBB212_29:
	s_or_b32 exec_lo, exec_lo, s1
	v_or_b32_e32 v5, 0x600, v0
	s_delay_alu instid0(VALU_DEP_1) | instskip(NEXT) | instid1(VALU_DEP_1)
	v_cmp_gt_i32_e64 s0, s7, v5
                                        ; implicit-def: $vgpr5
	s_and_saveexec_b32 s1, s0
	s_cbranch_execz .LBB212_31
; %bb.30:
	v_cvt_f32_f16_e32 v5, v9
	s_delay_alu instid0(VALU_DEP_1) | instskip(NEXT) | instid1(VALU_DEP_1)
	v_cvt_f64_f32_e32 v[12:13], v5
	v_rsq_f64_e32 v[14:15], v[12:13]
	s_waitcnt_depctr 0xfff
	v_mul_f64 v[12:13], v[14:15], -v[12:13]
	v_cmp_class_f64_e64 s0, v[14:15], 0x180
	s_delay_alu instid0(VALU_DEP_2) | instskip(NEXT) | instid1(VALU_DEP_1)
	v_fma_f64 v[12:13], v[12:13], v[14:15], 1.0
	v_mul_f64 v[16:17], v[14:15], v[12:13]
	v_fma_f64 v[12:13], 0x3fd80000, v[12:13], 0.5
	s_delay_alu instid0(VALU_DEP_1) | instskip(NEXT) | instid1(VALU_DEP_1)
	v_fma_f64 v[12:13], v[16:17], v[12:13], v[14:15]
	v_cndmask_b32_e64 v13, v15, v13, s0
	s_delay_alu instid0(VALU_DEP_2) | instskip(NEXT) | instid1(VALU_DEP_1)
	v_cndmask_b32_e64 v12, v14, v12, s0
	v_cvt_f32_f64_e32 v5, v[12:13]
	s_delay_alu instid0(VALU_DEP_1)
	v_cvt_f16_f32_e32 v5, v5
.LBB212_31:
	s_or_b32 exec_lo, exec_lo, s1
	v_or_b32_e32 v9, 0x700, v0
	s_delay_alu instid0(VALU_DEP_1) | instskip(NEXT) | instid1(VALU_DEP_1)
	v_cmp_gt_i32_e64 s0, s7, v9
                                        ; implicit-def: $vgpr9
	s_and_saveexec_b32 s1, s0
	s_cbranch_execz .LBB212_44
; %bb.32:
	v_cvt_f32_f16_e32 v2, v2
	s_delay_alu instid0(VALU_DEP_1) | instskip(NEXT) | instid1(VALU_DEP_1)
	v_cvt_f64_f32_e32 v[12:13], v2
	v_rsq_f64_e32 v[14:15], v[12:13]
	s_waitcnt_depctr 0xfff
	v_mul_f64 v[12:13], v[14:15], -v[12:13]
	v_cmp_class_f64_e64 s0, v[14:15], 0x180
	s_delay_alu instid0(VALU_DEP_2) | instskip(NEXT) | instid1(VALU_DEP_1)
	v_fma_f64 v[12:13], v[12:13], v[14:15], 1.0
	v_mul_f64 v[16:17], v[14:15], v[12:13]
	v_fma_f64 v[12:13], 0x3fd80000, v[12:13], 0.5
	s_delay_alu instid0(VALU_DEP_1) | instskip(NEXT) | instid1(VALU_DEP_1)
	v_fma_f64 v[12:13], v[16:17], v[12:13], v[14:15]
	v_cndmask_b32_e64 v13, v15, v13, s0
	s_delay_alu instid0(VALU_DEP_2) | instskip(NEXT) | instid1(VALU_DEP_1)
	v_cndmask_b32_e64 v12, v14, v12, s0
	v_cvt_f32_f64_e32 v2, v[12:13]
	s_delay_alu instid0(VALU_DEP_1) | instskip(SKIP_2) | instid1(SALU_CYCLE_1)
	v_cvt_f16_f32_e32 v9, v2
	s_or_b32 exec_lo, exec_lo, s1
	s_and_saveexec_b32 s0, vcc_lo
	s_xor_b32 s0, exec_lo, s0
	s_cbranch_execnz .LBB212_45
.LBB212_33:
	s_or_b32 exec_lo, exec_lo, s0
	s_delay_alu instid0(SALU_CYCLE_1)
	s_mov_b32 s0, exec_lo
	v_cmpx_gt_i32_e64 s7, v0
	s_cbranch_execz .LBB212_46
.LBB212_34:
	v_dual_mov_b32 v2, 0 :: v_dual_add_nc_u32 v1, s12, v0
	v_add_nc_u32_e32 v0, 0x100, v0
	s_delay_alu instid0(VALU_DEP_2) | instskip(NEXT) | instid1(VALU_DEP_1)
	v_lshlrev_b64 v[1:2], 1, v[1:2]
	v_add_co_u32 v1, vcc_lo, s8, v1
	s_delay_alu instid0(VALU_DEP_2) | instskip(SKIP_2) | instid1(SALU_CYCLE_1)
	v_add_co_ci_u32_e32 v2, vcc_lo, s9, v2, vcc_lo
	global_store_b16 v[1:2], v8, off
	s_or_b32 exec_lo, exec_lo, s0
	s_mov_b32 s0, exec_lo
	v_cmpx_gt_i32_e64 s7, v0
	s_cbranch_execnz .LBB212_47
.LBB212_35:
	s_or_b32 exec_lo, exec_lo, s0
	s_delay_alu instid0(SALU_CYCLE_1)
	s_mov_b32 s0, exec_lo
	v_cmpx_gt_i32_e64 s7, v0
	s_cbranch_execz .LBB212_48
.LBB212_36:
	v_dual_mov_b32 v2, 0 :: v_dual_add_nc_u32 v1, s12, v0
	v_add_nc_u32_e32 v0, 0x100, v0
	s_delay_alu instid0(VALU_DEP_2) | instskip(NEXT) | instid1(VALU_DEP_1)
	v_lshlrev_b64 v[1:2], 1, v[1:2]
	v_add_co_u32 v1, vcc_lo, s8, v1
	s_delay_alu instid0(VALU_DEP_2) | instskip(SKIP_2) | instid1(SALU_CYCLE_1)
	v_add_co_ci_u32_e32 v2, vcc_lo, s9, v2, vcc_lo
	global_store_b16 v[1:2], v11, off
	s_or_b32 exec_lo, exec_lo, s0
	s_mov_b32 s0, exec_lo
	v_cmpx_gt_i32_e64 s7, v0
	s_cbranch_execnz .LBB212_49
.LBB212_37:
	s_or_b32 exec_lo, exec_lo, s0
	s_delay_alu instid0(SALU_CYCLE_1)
	s_mov_b32 s0, exec_lo
	v_cmpx_gt_i32_e64 s7, v0
	s_cbranch_execz .LBB212_50
.LBB212_38:
	v_dual_mov_b32 v2, 0 :: v_dual_add_nc_u32 v1, s12, v0
	v_add_nc_u32_e32 v0, 0x100, v0
	s_delay_alu instid0(VALU_DEP_2) | instskip(NEXT) | instid1(VALU_DEP_1)
	v_lshlrev_b64 v[1:2], 1, v[1:2]
	v_add_co_u32 v1, vcc_lo, s8, v1
	s_delay_alu instid0(VALU_DEP_2) | instskip(SKIP_2) | instid1(SALU_CYCLE_1)
	v_add_co_ci_u32_e32 v2, vcc_lo, s9, v2, vcc_lo
	global_store_b16 v[1:2], v10, off
	s_or_b32 exec_lo, exec_lo, s0
	s_mov_b32 s0, exec_lo
	v_cmpx_gt_i32_e64 s7, v0
	s_cbranch_execnz .LBB212_51
.LBB212_39:
	s_or_b32 exec_lo, exec_lo, s0
	s_delay_alu instid0(SALU_CYCLE_1)
	s_mov_b32 s0, exec_lo
	v_cmpx_gt_i32_e64 s7, v0
	s_cbranch_execz .LBB212_41
.LBB212_40:
	v_dual_mov_b32 v1, 0 :: v_dual_add_nc_u32 v0, s12, v0
	s_delay_alu instid0(VALU_DEP_1) | instskip(NEXT) | instid1(VALU_DEP_1)
	v_lshlrev_b64 v[0:1], 1, v[0:1]
	v_add_co_u32 v0, vcc_lo, s8, v0
	s_delay_alu instid0(VALU_DEP_2)
	v_add_co_ci_u32_e32 v1, vcc_lo, s9, v1, vcc_lo
	global_store_b16 v[0:1], v9, off
.LBB212_41:
	s_nop 0
	s_sendmsg sendmsg(MSG_DEALLOC_VGPRS)
	s_endpgm
.LBB212_42:
	s_or_b32 exec_lo, exec_lo, s1
	s_delay_alu instid0(SALU_CYCLE_1)
	s_mov_b32 s1, exec_lo
	v_cmpx_gt_i32_e64 s7, v7
	s_cbranch_execz .LBB212_17
.LBB212_43:
	v_dual_mov_b32 v13, 0 :: v_dual_add_nc_u32 v12, s12, v7
	s_delay_alu instid0(VALU_DEP_1) | instskip(NEXT) | instid1(VALU_DEP_1)
	v_lshlrev_b64 v[12:13], 1, v[12:13]
	v_add_co_u32 v12, s0, s10, v12
	s_delay_alu instid0(VALU_DEP_1)
	v_add_co_ci_u32_e64 v13, s0, s11, v13, s0
	global_load_u16 v2, v[12:13], off
	s_or_b32 exec_lo, exec_lo, s1
                                        ; implicit-def: $vgpr7
	s_and_saveexec_b32 s1, vcc_lo
	s_cbranch_execz .LBB212_19
	s_branch .LBB212_18
.LBB212_44:
	s_or_b32 exec_lo, exec_lo, s1
	s_and_saveexec_b32 s0, vcc_lo
	s_delay_alu instid0(SALU_CYCLE_1)
	s_xor_b32 s0, exec_lo, s0
	s_cbranch_execz .LBB212_33
.LBB212_45:
	v_mov_b32_e32 v2, 0
	s_delay_alu instid0(VALU_DEP_1) | instskip(NEXT) | instid1(VALU_DEP_1)
	v_lshlrev_b64 v[0:1], 1, v[1:2]
	v_add_co_u32 v12, vcc_lo, s8, v0
	s_delay_alu instid0(VALU_DEP_2) | instskip(SKIP_3) | instid1(SALU_CYCLE_1)
	v_add_co_ci_u32_e32 v13, vcc_lo, s9, v1, vcc_lo
	v_mov_b32_e32 v0, v3
	global_store_b16 v[12:13], v7, off
	s_or_b32 exec_lo, exec_lo, s0
	s_mov_b32 s0, exec_lo
	v_cmpx_gt_i32_e64 s7, v0
	s_cbranch_execnz .LBB212_34
.LBB212_46:
	s_or_b32 exec_lo, exec_lo, s0
	s_delay_alu instid0(SALU_CYCLE_1)
	s_mov_b32 s0, exec_lo
	v_cmpx_gt_i32_e64 s7, v0
	s_cbranch_execz .LBB212_35
.LBB212_47:
	v_dual_mov_b32 v2, 0 :: v_dual_add_nc_u32 v1, s12, v0
	v_add_nc_u32_e32 v0, 0x100, v0
	s_delay_alu instid0(VALU_DEP_2) | instskip(NEXT) | instid1(VALU_DEP_1)
	v_lshlrev_b64 v[1:2], 1, v[1:2]
	v_add_co_u32 v1, vcc_lo, s8, v1
	s_delay_alu instid0(VALU_DEP_2) | instskip(SKIP_2) | instid1(SALU_CYCLE_1)
	v_add_co_ci_u32_e32 v2, vcc_lo, s9, v2, vcc_lo
	global_store_b16 v[1:2], v4, off
	s_or_b32 exec_lo, exec_lo, s0
	s_mov_b32 s0, exec_lo
	v_cmpx_gt_i32_e64 s7, v0
	s_cbranch_execnz .LBB212_36
.LBB212_48:
	s_or_b32 exec_lo, exec_lo, s0
	s_delay_alu instid0(SALU_CYCLE_1)
	s_mov_b32 s0, exec_lo
	v_cmpx_gt_i32_e64 s7, v0
	s_cbranch_execz .LBB212_37
.LBB212_49:
	v_dual_mov_b32 v2, 0 :: v_dual_add_nc_u32 v1, s12, v0
	v_add_nc_u32_e32 v0, 0x100, v0
	s_delay_alu instid0(VALU_DEP_2) | instskip(NEXT) | instid1(VALU_DEP_1)
	v_lshlrev_b64 v[1:2], 1, v[1:2]
	v_add_co_u32 v1, vcc_lo, s8, v1
	s_delay_alu instid0(VALU_DEP_2) | instskip(SKIP_2) | instid1(SALU_CYCLE_1)
	v_add_co_ci_u32_e32 v2, vcc_lo, s9, v2, vcc_lo
	global_store_b16 v[1:2], v6, off
	s_or_b32 exec_lo, exec_lo, s0
	s_mov_b32 s0, exec_lo
	v_cmpx_gt_i32_e64 s7, v0
	s_cbranch_execnz .LBB212_38
.LBB212_50:
	s_or_b32 exec_lo, exec_lo, s0
	s_delay_alu instid0(SALU_CYCLE_1)
	s_mov_b32 s0, exec_lo
	v_cmpx_gt_i32_e64 s7, v0
	s_cbranch_execz .LBB212_39
.LBB212_51:
	v_dual_mov_b32 v2, 0 :: v_dual_add_nc_u32 v1, s12, v0
	v_add_nc_u32_e32 v0, 0x100, v0
	s_delay_alu instid0(VALU_DEP_2) | instskip(NEXT) | instid1(VALU_DEP_1)
	v_lshlrev_b64 v[1:2], 1, v[1:2]
	v_add_co_u32 v1, vcc_lo, s8, v1
	s_delay_alu instid0(VALU_DEP_2) | instskip(SKIP_2) | instid1(SALU_CYCLE_1)
	v_add_co_ci_u32_e32 v2, vcc_lo, s9, v2, vcc_lo
	global_store_b16 v[1:2], v5, off
	s_or_b32 exec_lo, exec_lo, s0
	s_mov_b32 s0, exec_lo
	v_cmpx_gt_i32_e64 s7, v0
	s_cbranch_execnz .LBB212_40
	s_branch .LBB212_41
	.section	.rodata,"a",@progbits
	.p2align	6, 0x0
	.amdhsa_kernel _ZN2at6native29vectorized_elementwise_kernelILi4EZZZNS0_17rsqrt_kernel_cudaERNS_18TensorIteratorBaseEENKUlvE0_clEvENKUlvE2_clEvEUlN3c104HalfEE_St5arrayIPcLm2EEEEviT0_T1_
		.amdhsa_group_segment_fixed_size 0
		.amdhsa_private_segment_fixed_size 0
		.amdhsa_kernarg_size 24
		.amdhsa_user_sgpr_count 15
		.amdhsa_user_sgpr_dispatch_ptr 0
		.amdhsa_user_sgpr_queue_ptr 0
		.amdhsa_user_sgpr_kernarg_segment_ptr 1
		.amdhsa_user_sgpr_dispatch_id 0
		.amdhsa_user_sgpr_private_segment_size 0
		.amdhsa_wavefront_size32 1
		.amdhsa_uses_dynamic_stack 0
		.amdhsa_enable_private_segment 0
		.amdhsa_system_sgpr_workgroup_id_x 1
		.amdhsa_system_sgpr_workgroup_id_y 0
		.amdhsa_system_sgpr_workgroup_id_z 0
		.amdhsa_system_sgpr_workgroup_info 0
		.amdhsa_system_vgpr_workitem_id 0
		.amdhsa_next_free_vgpr 50
		.amdhsa_next_free_sgpr 16
		.amdhsa_reserve_vcc 1
		.amdhsa_float_round_mode_32 0
		.amdhsa_float_round_mode_16_64 0
		.amdhsa_float_denorm_mode_32 3
		.amdhsa_float_denorm_mode_16_64 3
		.amdhsa_dx10_clamp 1
		.amdhsa_ieee_mode 1
		.amdhsa_fp16_overflow 0
		.amdhsa_workgroup_processor_mode 1
		.amdhsa_memory_ordered 1
		.amdhsa_forward_progress 0
		.amdhsa_shared_vgpr_count 0
		.amdhsa_exception_fp_ieee_invalid_op 0
		.amdhsa_exception_fp_denorm_src 0
		.amdhsa_exception_fp_ieee_div_zero 0
		.amdhsa_exception_fp_ieee_overflow 0
		.amdhsa_exception_fp_ieee_underflow 0
		.amdhsa_exception_fp_ieee_inexact 0
		.amdhsa_exception_int_div_zero 0
	.end_amdhsa_kernel
	.section	.text._ZN2at6native29vectorized_elementwise_kernelILi4EZZZNS0_17rsqrt_kernel_cudaERNS_18TensorIteratorBaseEENKUlvE0_clEvENKUlvE2_clEvEUlN3c104HalfEE_St5arrayIPcLm2EEEEviT0_T1_,"axG",@progbits,_ZN2at6native29vectorized_elementwise_kernelILi4EZZZNS0_17rsqrt_kernel_cudaERNS_18TensorIteratorBaseEENKUlvE0_clEvENKUlvE2_clEvEUlN3c104HalfEE_St5arrayIPcLm2EEEEviT0_T1_,comdat
.Lfunc_end212:
	.size	_ZN2at6native29vectorized_elementwise_kernelILi4EZZZNS0_17rsqrt_kernel_cudaERNS_18TensorIteratorBaseEENKUlvE0_clEvENKUlvE2_clEvEUlN3c104HalfEE_St5arrayIPcLm2EEEEviT0_T1_, .Lfunc_end212-_ZN2at6native29vectorized_elementwise_kernelILi4EZZZNS0_17rsqrt_kernel_cudaERNS_18TensorIteratorBaseEENKUlvE0_clEvENKUlvE2_clEvEUlN3c104HalfEE_St5arrayIPcLm2EEEEviT0_T1_
                                        ; -- End function
	.section	.AMDGPU.csdata,"",@progbits
; Kernel info:
; codeLenInByte = 3628
; NumSgprs: 18
; NumVgprs: 50
; ScratchSize: 0
; MemoryBound: 0
; FloatMode: 240
; IeeeMode: 1
; LDSByteSize: 0 bytes/workgroup (compile time only)
; SGPRBlocks: 2
; VGPRBlocks: 6
; NumSGPRsForWavesPerEU: 18
; NumVGPRsForWavesPerEU: 50
; Occupancy: 16
; WaveLimiterHint : 1
; COMPUTE_PGM_RSRC2:SCRATCH_EN: 0
; COMPUTE_PGM_RSRC2:USER_SGPR: 15
; COMPUTE_PGM_RSRC2:TRAP_HANDLER: 0
; COMPUTE_PGM_RSRC2:TGID_X_EN: 1
; COMPUTE_PGM_RSRC2:TGID_Y_EN: 0
; COMPUTE_PGM_RSRC2:TGID_Z_EN: 0
; COMPUTE_PGM_RSRC2:TIDIG_COMP_CNT: 0
	.section	.text._ZN2at6native29vectorized_elementwise_kernelILi2EZZZNS0_17rsqrt_kernel_cudaERNS_18TensorIteratorBaseEENKUlvE0_clEvENKUlvE2_clEvEUlN3c104HalfEE_St5arrayIPcLm2EEEEviT0_T1_,"axG",@progbits,_ZN2at6native29vectorized_elementwise_kernelILi2EZZZNS0_17rsqrt_kernel_cudaERNS_18TensorIteratorBaseEENKUlvE0_clEvENKUlvE2_clEvEUlN3c104HalfEE_St5arrayIPcLm2EEEEviT0_T1_,comdat
	.globl	_ZN2at6native29vectorized_elementwise_kernelILi2EZZZNS0_17rsqrt_kernel_cudaERNS_18TensorIteratorBaseEENKUlvE0_clEvENKUlvE2_clEvEUlN3c104HalfEE_St5arrayIPcLm2EEEEviT0_T1_ ; -- Begin function _ZN2at6native29vectorized_elementwise_kernelILi2EZZZNS0_17rsqrt_kernel_cudaERNS_18TensorIteratorBaseEENKUlvE0_clEvENKUlvE2_clEvEUlN3c104HalfEE_St5arrayIPcLm2EEEEviT0_T1_
	.p2align	8
	.type	_ZN2at6native29vectorized_elementwise_kernelILi2EZZZNS0_17rsqrt_kernel_cudaERNS_18TensorIteratorBaseEENKUlvE0_clEvENKUlvE2_clEvEUlN3c104HalfEE_St5arrayIPcLm2EEEEviT0_T1_,@function
_ZN2at6native29vectorized_elementwise_kernelILi2EZZZNS0_17rsqrt_kernel_cudaERNS_18TensorIteratorBaseEENKUlvE0_clEvENKUlvE2_clEvEUlN3c104HalfEE_St5arrayIPcLm2EEEEviT0_T1_: ; @_ZN2at6native29vectorized_elementwise_kernelILi2EZZZNS0_17rsqrt_kernel_cudaERNS_18TensorIteratorBaseEENKUlvE0_clEvENKUlvE2_clEvEUlN3c104HalfEE_St5arrayIPcLm2EEEEviT0_T1_
; %bb.0:
	s_clause 0x1
	s_load_b32 s2, s[0:1], 0x0
	s_load_b128 s[8:11], s[0:1], 0x8
	s_lshl_b32 s12, s15, 11
	s_mov_b32 s0, -1
	s_waitcnt lgkmcnt(0)
	s_sub_i32 s7, s2, s12
	s_delay_alu instid0(SALU_CYCLE_1)
	s_cmpk_gt_i32 s7, 0x7ff
	s_cbranch_scc0 .LBB213_2
; %bb.1:
	s_ashr_i32 s13, s12, 31
	v_lshlrev_b32_e32 v49, 2, v0
	s_lshl_b64 s[14:15], s[12:13], 1
	s_delay_alu instid0(SALU_CYCLE_1)
	s_add_u32 s0, s10, s14
	s_addc_u32 s1, s11, s15
	s_clause 0x3
	global_load_b32 v1, v49, s[0:1]
	global_load_b32 v2, v49, s[0:1] offset:1024
	global_load_b32 v3, v49, s[0:1] offset:2048
	;; [unrolled: 1-line block ×3, first 2 shown]
	s_waitcnt vmcnt(3)
	v_lshrrev_b32_e32 v5, 16, v1
	v_cvt_f32_f16_e32 v1, v1
	s_waitcnt vmcnt(2)
	v_lshrrev_b32_e32 v9, 16, v2
	v_cvt_f32_f16_e32 v4, v2
	s_waitcnt vmcnt(1)
	v_lshrrev_b32_e32 v11, 16, v3
	v_cvt_f32_f16_e32 v6, v3
	s_waitcnt vmcnt(0)
	v_lshrrev_b32_e32 v12, 16, v7
	v_cvt_f64_f32_e32 v[1:2], v1
	v_cvt_f32_f16_e32 v10, v5
	v_cvt_f64_f32_e32 v[3:4], v4
	v_cvt_f32_f16_e32 v13, v9
	;; [unrolled: 2-line block ×3, first 2 shown]
	v_cvt_f32_f16_e32 v8, v7
	v_cvt_f32_f16_e32 v15, v12
	v_cvt_f64_f32_e32 v[9:10], v10
	v_cvt_f64_f32_e32 v[11:12], v13
	;; [unrolled: 1-line block ×5, first 2 shown]
	v_rsq_f64_e32 v[17:18], v[1:2]
	v_rsq_f64_e32 v[19:20], v[3:4]
	;; [unrolled: 1-line block ×4, first 2 shown]
	s_delay_alu instid0(VALU_DEP_4) | instskip(NEXT) | instid1(VALU_DEP_3)
	v_rsq_f64_e32 v[27:28], v[11:12]
	v_rsq_f64_e32 v[29:30], v[13:14]
	s_delay_alu instid0(VALU_DEP_2) | instskip(NEXT) | instid1(VALU_DEP_1)
	v_rsq_f64_e32 v[23:24], v[7:8]
	v_rsq_f64_e32 v[31:32], v[15:16]
	v_mul_f64 v[1:2], v[17:18], -v[1:2]
	v_cmp_class_f64_e64 vcc_lo, v[17:18], 0x180
	v_mul_f64 v[3:4], v[19:20], -v[3:4]
	v_cmp_class_f64_e64 s0, v[19:20], 0x180
	v_mul_f64 v[5:6], v[21:22], -v[5:6]
	v_cmp_class_f64_e64 s1, v[21:22], 0x180
	v_mul_f64 v[9:10], v[25:26], -v[9:10]
	v_mul_f64 v[11:12], v[27:28], -v[11:12]
	s_delay_alu instid0(TRANS32_DEP_3) | instskip(NEXT) | instid1(TRANS32_DEP_2)
	v_mul_f64 v[13:14], v[29:30], -v[13:14]
	v_mul_f64 v[7:8], v[23:24], -v[7:8]
	s_delay_alu instid0(TRANS32_DEP_1)
	v_mul_f64 v[15:16], v[31:32], -v[15:16]
	v_cmp_class_f64_e64 s3, v[25:26], 0x180
	v_cmp_class_f64_e64 s4, v[27:28], 0x180
	;; [unrolled: 1-line block ×5, first 2 shown]
	v_fma_f64 v[1:2], v[1:2], v[17:18], 1.0
	v_fma_f64 v[3:4], v[3:4], v[19:20], 1.0
	;; [unrolled: 1-line block ×8, first 2 shown]
	v_mul_f64 v[33:34], v[17:18], v[1:2]
	v_fma_f64 v[1:2], 0x3fd80000, v[1:2], 0.5
	v_mul_f64 v[35:36], v[19:20], v[3:4]
	v_fma_f64 v[3:4], 0x3fd80000, v[3:4], 0.5
	;; [unrolled: 2-line block ×8, first 2 shown]
	v_fma_f64 v[1:2], v[33:34], v[1:2], v[17:18]
	v_fma_f64 v[3:4], v[35:36], v[3:4], v[19:20]
	v_fma_f64 v[5:6], v[37:38], v[5:6], v[21:22]
	v_fma_f64 v[9:10], v[41:42], v[9:10], v[25:26]
	v_fma_f64 v[11:12], v[43:44], v[11:12], v[27:28]
	v_fma_f64 v[13:14], v[45:46], v[13:14], v[29:30]
	v_fma_f64 v[7:8], v[39:40], v[7:8], v[23:24]
	v_fma_f64 v[15:16], v[47:48], v[15:16], v[31:32]
	v_dual_cndmask_b32 v2, v18, v2 :: v_dual_cndmask_b32 v1, v17, v1
	v_cndmask_b32_e64 v4, v20, v4, s0
	v_cndmask_b32_e64 v3, v19, v3, s0
	;; [unrolled: 1-line block ×4, first 2 shown]
	v_cvt_f32_f64_e32 v17, v[1:2]
	s_mov_b32 s0, 0
	v_cndmask_b32_e64 v2, v26, v10, s3
	v_cndmask_b32_e64 v1, v25, v9, s3
	v_cvt_f32_f64_e32 v18, v[3:4]
	v_cndmask_b32_e64 v4, v28, v12, s4
	v_cndmask_b32_e64 v3, v27, v11, s4
	v_cvt_f32_f64_e32 v11, v[5:6]
	v_cndmask_b32_e64 v6, v30, v14, s5
	v_cndmask_b32_e64 v5, v29, v13, s5
	;; [unrolled: 1-line block ×6, first 2 shown]
	v_cvt_f32_f64_e32 v1, v[1:2]
	v_cvt_f32_f64_e32 v2, v[3:4]
	v_cvt_f32_f64_e32 v3, v[5:6]
	v_cvt_f32_f64_e32 v7, v[7:8]
	v_cvt_f32_f64_e32 v4, v[9:10]
	s_add_u32 s2, s8, s14
	s_addc_u32 s3, s9, s15
	v_cvt_f16_f32_e32 v5, v17
	v_cvt_f16_f32_e32 v6, v18
	s_delay_alu instid0(VALU_DEP_2) | instskip(SKIP_1) | instid1(VALU_DEP_3)
	v_and_b32_e32 v5, 0xffff, v5
	v_cvt_f16_f32_e32 v8, v11
	v_and_b32_e32 v6, 0xffff, v6
	s_delay_alu instid0(VALU_DEP_2)
	v_and_b32_e32 v8, 0xffff, v8
	v_cvt_f16_f32_e32 v1, v1
	v_cvt_f16_f32_e32 v2, v2
	;; [unrolled: 1-line block ×5, first 2 shown]
	v_lshlrev_b32_e32 v1, 16, v1
	v_lshlrev_b32_e32 v2, 16, v2
	;; [unrolled: 1-line block ×3, first 2 shown]
	v_and_b32_e32 v7, 0xffff, v7
	v_lshlrev_b32_e32 v4, 16, v4
	v_or_b32_e32 v1, v1, v5
	v_or_b32_e32 v2, v2, v6
	;; [unrolled: 1-line block ×3, first 2 shown]
	s_delay_alu instid0(VALU_DEP_4)
	v_or_b32_e32 v4, v4, v7
	s_clause 0x3
	global_store_b32 v49, v1, s[2:3]
	global_store_b32 v49, v2, s[2:3] offset:1024
	global_store_b32 v49, v3, s[2:3] offset:2048
	;; [unrolled: 1-line block ×3, first 2 shown]
.LBB213_2:
	s_and_not1_b32 vcc_lo, exec_lo, s0
	s_cbranch_vccnz .LBB213_41
; %bb.3:
	v_cmp_gt_i32_e32 vcc_lo, s7, v0
	v_dual_mov_b32 v4, 0 :: v_dual_mov_b32 v7, v0
	v_or_b32_e32 v1, s12, v0
	v_or_b32_e32 v3, 0x100, v0
	v_mov_b32_e32 v8, 0
	s_and_saveexec_b32 s1, vcc_lo
	s_cbranch_execz .LBB213_5
; %bb.4:
	v_mov_b32_e32 v2, 0
	v_or_b32_e32 v7, 0x100, v0
	s_delay_alu instid0(VALU_DEP_2) | instskip(NEXT) | instid1(VALU_DEP_1)
	v_lshlrev_b64 v[5:6], 1, v[1:2]
	v_add_co_u32 v5, s0, s10, v5
	s_delay_alu instid0(VALU_DEP_1)
	v_add_co_ci_u32_e64 v6, s0, s11, v6, s0
	global_load_u16 v8, v[5:6], off
.LBB213_5:
	s_or_b32 exec_lo, exec_lo, s1
	s_delay_alu instid0(SALU_CYCLE_1)
	s_mov_b32 s1, exec_lo
	v_cmpx_gt_i32_e64 s7, v7
	s_cbranch_execz .LBB213_7
; %bb.6:
	v_dual_mov_b32 v5, 0 :: v_dual_add_nc_u32 v4, s12, v7
	v_add_nc_u32_e32 v7, 0x100, v7
	s_delay_alu instid0(VALU_DEP_2) | instskip(NEXT) | instid1(VALU_DEP_1)
	v_lshlrev_b64 v[4:5], 1, v[4:5]
	v_add_co_u32 v4, s0, s10, v4
	s_delay_alu instid0(VALU_DEP_1)
	v_add_co_ci_u32_e64 v5, s0, s11, v5, s0
	global_load_u16 v4, v[4:5], off
.LBB213_7:
	s_or_b32 exec_lo, exec_lo, s1
	v_dual_mov_b32 v6, 0 :: v_dual_mov_b32 v11, 0
	s_mov_b32 s1, exec_lo
	v_cmpx_gt_i32_e64 s7, v7
	s_cbranch_execz .LBB213_9
; %bb.8:
	v_dual_mov_b32 v10, 0 :: v_dual_add_nc_u32 v9, s12, v7
	v_add_nc_u32_e32 v7, 0x100, v7
	s_delay_alu instid0(VALU_DEP_2) | instskip(NEXT) | instid1(VALU_DEP_1)
	v_lshlrev_b64 v[9:10], 1, v[9:10]
	v_add_co_u32 v9, s0, s10, v9
	s_delay_alu instid0(VALU_DEP_1)
	v_add_co_ci_u32_e64 v10, s0, s11, v10, s0
	global_load_u16 v11, v[9:10], off
.LBB213_9:
	s_or_b32 exec_lo, exec_lo, s1
	s_delay_alu instid0(SALU_CYCLE_1)
	s_mov_b32 s1, exec_lo
	v_cmpx_gt_i32_e64 s7, v7
	s_cbranch_execz .LBB213_11
; %bb.10:
	v_dual_mov_b32 v6, 0 :: v_dual_add_nc_u32 v5, s12, v7
	v_add_nc_u32_e32 v7, 0x100, v7
	s_delay_alu instid0(VALU_DEP_2) | instskip(NEXT) | instid1(VALU_DEP_1)
	v_lshlrev_b64 v[5:6], 1, v[5:6]
	v_add_co_u32 v5, s0, s10, v5
	s_delay_alu instid0(VALU_DEP_1)
	v_add_co_ci_u32_e64 v6, s0, s11, v6, s0
	global_load_u16 v6, v[5:6], off
.LBB213_11:
	s_or_b32 exec_lo, exec_lo, s1
	v_dual_mov_b32 v5, 0 :: v_dual_mov_b32 v10, 0
	s_mov_b32 s1, exec_lo
	v_cmpx_gt_i32_e64 s7, v7
	s_cbranch_execz .LBB213_13
; %bb.12:
	v_dual_mov_b32 v10, 0 :: v_dual_add_nc_u32 v9, s12, v7
	v_add_nc_u32_e32 v7, 0x100, v7
	s_delay_alu instid0(VALU_DEP_2) | instskip(NEXT) | instid1(VALU_DEP_1)
	v_lshlrev_b64 v[9:10], 1, v[9:10]
	v_add_co_u32 v9, s0, s10, v9
	s_delay_alu instid0(VALU_DEP_1)
	v_add_co_ci_u32_e64 v10, s0, s11, v10, s0
	global_load_u16 v10, v[9:10], off
.LBB213_13:
	s_or_b32 exec_lo, exec_lo, s1
	s_delay_alu instid0(SALU_CYCLE_1)
	s_mov_b32 s1, exec_lo
	v_cmpx_gt_i32_e64 s7, v7
	s_cbranch_execz .LBB213_15
; %bb.14:
	v_dual_mov_b32 v13, 0 :: v_dual_add_nc_u32 v12, s12, v7
	v_add_nc_u32_e32 v7, 0x100, v7
	s_delay_alu instid0(VALU_DEP_2) | instskip(NEXT) | instid1(VALU_DEP_1)
	v_lshlrev_b64 v[12:13], 1, v[12:13]
	v_add_co_u32 v12, s0, s10, v12
	s_delay_alu instid0(VALU_DEP_1)
	v_add_co_ci_u32_e64 v13, s0, s11, v13, s0
	global_load_u16 v5, v[12:13], off
.LBB213_15:
	s_or_b32 exec_lo, exec_lo, s1
	v_dual_mov_b32 v2, 0 :: v_dual_mov_b32 v9, 0
	s_mov_b32 s1, exec_lo
	v_cmpx_gt_i32_e64 s7, v7
	s_cbranch_execz .LBB213_42
; %bb.16:
	v_dual_mov_b32 v13, 0 :: v_dual_add_nc_u32 v12, s12, v7
	v_add_nc_u32_e32 v7, 0x100, v7
	s_delay_alu instid0(VALU_DEP_2) | instskip(NEXT) | instid1(VALU_DEP_1)
	v_lshlrev_b64 v[12:13], 1, v[12:13]
	v_add_co_u32 v12, s0, s10, v12
	s_delay_alu instid0(VALU_DEP_1) | instskip(SKIP_2) | instid1(SALU_CYCLE_1)
	v_add_co_ci_u32_e64 v13, s0, s11, v13, s0
	global_load_u16 v9, v[12:13], off
	s_or_b32 exec_lo, exec_lo, s1
	s_mov_b32 s1, exec_lo
	v_cmpx_gt_i32_e64 s7, v7
	s_cbranch_execnz .LBB213_43
.LBB213_17:
	s_or_b32 exec_lo, exec_lo, s1
                                        ; implicit-def: $vgpr7
	s_and_saveexec_b32 s1, vcc_lo
	s_cbranch_execz .LBB213_19
.LBB213_18:
	s_waitcnt vmcnt(0)
	v_cvt_f32_f16_e32 v7, v8
	s_delay_alu instid0(VALU_DEP_1) | instskip(NEXT) | instid1(VALU_DEP_1)
	v_cvt_f64_f32_e32 v[7:8], v7
	v_rsq_f64_e32 v[12:13], v[7:8]
	s_waitcnt_depctr 0xfff
	v_mul_f64 v[7:8], v[12:13], -v[7:8]
	v_cmp_class_f64_e64 s0, v[12:13], 0x180
	s_delay_alu instid0(VALU_DEP_2) | instskip(NEXT) | instid1(VALU_DEP_1)
	v_fma_f64 v[7:8], v[7:8], v[12:13], 1.0
	v_mul_f64 v[14:15], v[12:13], v[7:8]
	v_fma_f64 v[7:8], 0x3fd80000, v[7:8], 0.5
	s_delay_alu instid0(VALU_DEP_1) | instskip(NEXT) | instid1(VALU_DEP_1)
	v_fma_f64 v[7:8], v[14:15], v[7:8], v[12:13]
	v_cndmask_b32_e64 v8, v13, v8, s0
	s_delay_alu instid0(VALU_DEP_2) | instskip(NEXT) | instid1(VALU_DEP_1)
	v_cndmask_b32_e64 v7, v12, v7, s0
	v_cvt_f32_f64_e32 v7, v[7:8]
	s_delay_alu instid0(VALU_DEP_1)
	v_cvt_f16_f32_e32 v7, v7
.LBB213_19:
	s_or_b32 exec_lo, exec_lo, s1
	s_delay_alu instid0(SALU_CYCLE_1)
	s_mov_b32 s1, exec_lo
                                        ; implicit-def: $vgpr8
	v_cmpx_gt_i32_e64 s7, v3
	s_cbranch_execz .LBB213_21
; %bb.20:
	s_waitcnt vmcnt(0)
	v_cvt_f32_f16_e32 v4, v4
	s_delay_alu instid0(VALU_DEP_1) | instskip(NEXT) | instid1(VALU_DEP_1)
	v_cvt_f64_f32_e32 v[12:13], v4
	v_rsq_f64_e32 v[14:15], v[12:13]
	s_waitcnt_depctr 0xfff
	v_mul_f64 v[12:13], v[14:15], -v[12:13]
	v_cmp_class_f64_e64 s0, v[14:15], 0x180
	s_delay_alu instid0(VALU_DEP_2) | instskip(NEXT) | instid1(VALU_DEP_1)
	v_fma_f64 v[12:13], v[12:13], v[14:15], 1.0
	v_mul_f64 v[16:17], v[14:15], v[12:13]
	v_fma_f64 v[12:13], 0x3fd80000, v[12:13], 0.5
	s_delay_alu instid0(VALU_DEP_1) | instskip(NEXT) | instid1(VALU_DEP_1)
	v_fma_f64 v[12:13], v[16:17], v[12:13], v[14:15]
	v_cndmask_b32_e64 v13, v15, v13, s0
	s_delay_alu instid0(VALU_DEP_2) | instskip(NEXT) | instid1(VALU_DEP_1)
	v_cndmask_b32_e64 v12, v14, v12, s0
	v_cvt_f32_f64_e32 v4, v[12:13]
	s_delay_alu instid0(VALU_DEP_1)
	v_cvt_f16_f32_e32 v8, v4
.LBB213_21:
	s_or_b32 exec_lo, exec_lo, s1
	s_waitcnt vmcnt(0)
	v_or_b32_e32 v4, 0x200, v0
	s_delay_alu instid0(VALU_DEP_1) | instskip(NEXT) | instid1(VALU_DEP_1)
	v_cmp_gt_i32_e64 s0, s7, v4
                                        ; implicit-def: $vgpr4
	s_and_saveexec_b32 s1, s0
	s_cbranch_execz .LBB213_23
; %bb.22:
	v_cvt_f32_f16_e32 v4, v11
	s_delay_alu instid0(VALU_DEP_1) | instskip(NEXT) | instid1(VALU_DEP_1)
	v_cvt_f64_f32_e32 v[11:12], v4
	v_rsq_f64_e32 v[13:14], v[11:12]
	s_waitcnt_depctr 0xfff
	v_mul_f64 v[11:12], v[13:14], -v[11:12]
	v_cmp_class_f64_e64 s0, v[13:14], 0x180
	s_delay_alu instid0(VALU_DEP_2) | instskip(NEXT) | instid1(VALU_DEP_1)
	v_fma_f64 v[11:12], v[11:12], v[13:14], 1.0
	v_mul_f64 v[15:16], v[13:14], v[11:12]
	v_fma_f64 v[11:12], 0x3fd80000, v[11:12], 0.5
	s_delay_alu instid0(VALU_DEP_1) | instskip(NEXT) | instid1(VALU_DEP_1)
	v_fma_f64 v[11:12], v[15:16], v[11:12], v[13:14]
	v_cndmask_b32_e64 v12, v14, v12, s0
	s_delay_alu instid0(VALU_DEP_2) | instskip(NEXT) | instid1(VALU_DEP_1)
	v_cndmask_b32_e64 v11, v13, v11, s0
	v_cvt_f32_f64_e32 v4, v[11:12]
	s_delay_alu instid0(VALU_DEP_1)
	v_cvt_f16_f32_e32 v4, v4
.LBB213_23:
	s_or_b32 exec_lo, exec_lo, s1
	v_or_b32_e32 v11, 0x300, v0
	s_delay_alu instid0(VALU_DEP_1) | instskip(NEXT) | instid1(VALU_DEP_1)
	v_cmp_gt_i32_e64 s0, s7, v11
                                        ; implicit-def: $vgpr11
	s_and_saveexec_b32 s1, s0
	s_cbranch_execz .LBB213_25
; %bb.24:
	v_cvt_f32_f16_e32 v6, v6
	s_delay_alu instid0(VALU_DEP_1) | instskip(NEXT) | instid1(VALU_DEP_1)
	v_cvt_f64_f32_e32 v[11:12], v6
	v_rsq_f64_e32 v[13:14], v[11:12]
	s_waitcnt_depctr 0xfff
	v_mul_f64 v[11:12], v[13:14], -v[11:12]
	v_cmp_class_f64_e64 s0, v[13:14], 0x180
	s_delay_alu instid0(VALU_DEP_2) | instskip(NEXT) | instid1(VALU_DEP_1)
	v_fma_f64 v[11:12], v[11:12], v[13:14], 1.0
	v_mul_f64 v[15:16], v[13:14], v[11:12]
	v_fma_f64 v[11:12], 0x3fd80000, v[11:12], 0.5
	s_delay_alu instid0(VALU_DEP_1) | instskip(NEXT) | instid1(VALU_DEP_1)
	v_fma_f64 v[11:12], v[15:16], v[11:12], v[13:14]
	v_cndmask_b32_e64 v12, v14, v12, s0
	s_delay_alu instid0(VALU_DEP_2) | instskip(NEXT) | instid1(VALU_DEP_1)
	v_cndmask_b32_e64 v11, v13, v11, s0
	v_cvt_f32_f64_e32 v6, v[11:12]
	s_delay_alu instid0(VALU_DEP_1)
	v_cvt_f16_f32_e32 v11, v6
.LBB213_25:
	s_or_b32 exec_lo, exec_lo, s1
	v_or_b32_e32 v6, 0x400, v0
	s_delay_alu instid0(VALU_DEP_1) | instskip(NEXT) | instid1(VALU_DEP_1)
	v_cmp_gt_i32_e64 s0, s7, v6
                                        ; implicit-def: $vgpr6
	s_and_saveexec_b32 s1, s0
	s_cbranch_execz .LBB213_27
; %bb.26:
	v_cvt_f32_f16_e32 v6, v10
	s_delay_alu instid0(VALU_DEP_1) | instskip(NEXT) | instid1(VALU_DEP_1)
	v_cvt_f64_f32_e32 v[12:13], v6
	v_rsq_f64_e32 v[14:15], v[12:13]
	s_waitcnt_depctr 0xfff
	v_mul_f64 v[12:13], v[14:15], -v[12:13]
	v_cmp_class_f64_e64 s0, v[14:15], 0x180
	s_delay_alu instid0(VALU_DEP_2) | instskip(NEXT) | instid1(VALU_DEP_1)
	v_fma_f64 v[12:13], v[12:13], v[14:15], 1.0
	v_mul_f64 v[16:17], v[14:15], v[12:13]
	v_fma_f64 v[12:13], 0x3fd80000, v[12:13], 0.5
	s_delay_alu instid0(VALU_DEP_1) | instskip(NEXT) | instid1(VALU_DEP_1)
	v_fma_f64 v[12:13], v[16:17], v[12:13], v[14:15]
	v_cndmask_b32_e64 v13, v15, v13, s0
	s_delay_alu instid0(VALU_DEP_2) | instskip(NEXT) | instid1(VALU_DEP_1)
	v_cndmask_b32_e64 v12, v14, v12, s0
	v_cvt_f32_f64_e32 v6, v[12:13]
	s_delay_alu instid0(VALU_DEP_1)
	v_cvt_f16_f32_e32 v6, v6
.LBB213_27:
	s_or_b32 exec_lo, exec_lo, s1
	v_or_b32_e32 v10, 0x500, v0
	s_delay_alu instid0(VALU_DEP_1) | instskip(NEXT) | instid1(VALU_DEP_1)
	v_cmp_gt_i32_e64 s0, s7, v10
                                        ; implicit-def: $vgpr10
	s_and_saveexec_b32 s1, s0
	s_cbranch_execz .LBB213_29
; %bb.28:
	v_cvt_f32_f16_e32 v5, v5
	s_delay_alu instid0(VALU_DEP_1) | instskip(NEXT) | instid1(VALU_DEP_1)
	v_cvt_f64_f32_e32 v[12:13], v5
	v_rsq_f64_e32 v[14:15], v[12:13]
	s_waitcnt_depctr 0xfff
	v_mul_f64 v[12:13], v[14:15], -v[12:13]
	v_cmp_class_f64_e64 s0, v[14:15], 0x180
	s_delay_alu instid0(VALU_DEP_2) | instskip(NEXT) | instid1(VALU_DEP_1)
	v_fma_f64 v[12:13], v[12:13], v[14:15], 1.0
	v_mul_f64 v[16:17], v[14:15], v[12:13]
	v_fma_f64 v[12:13], 0x3fd80000, v[12:13], 0.5
	s_delay_alu instid0(VALU_DEP_1) | instskip(NEXT) | instid1(VALU_DEP_1)
	v_fma_f64 v[12:13], v[16:17], v[12:13], v[14:15]
	v_cndmask_b32_e64 v13, v15, v13, s0
	s_delay_alu instid0(VALU_DEP_2) | instskip(NEXT) | instid1(VALU_DEP_1)
	v_cndmask_b32_e64 v12, v14, v12, s0
	v_cvt_f32_f64_e32 v5, v[12:13]
	s_delay_alu instid0(VALU_DEP_1)
	v_cvt_f16_f32_e32 v10, v5
.LBB213_29:
	s_or_b32 exec_lo, exec_lo, s1
	v_or_b32_e32 v5, 0x600, v0
	s_delay_alu instid0(VALU_DEP_1) | instskip(NEXT) | instid1(VALU_DEP_1)
	v_cmp_gt_i32_e64 s0, s7, v5
                                        ; implicit-def: $vgpr5
	s_and_saveexec_b32 s1, s0
	s_cbranch_execz .LBB213_31
; %bb.30:
	v_cvt_f32_f16_e32 v5, v9
	s_delay_alu instid0(VALU_DEP_1) | instskip(NEXT) | instid1(VALU_DEP_1)
	v_cvt_f64_f32_e32 v[12:13], v5
	v_rsq_f64_e32 v[14:15], v[12:13]
	s_waitcnt_depctr 0xfff
	v_mul_f64 v[12:13], v[14:15], -v[12:13]
	v_cmp_class_f64_e64 s0, v[14:15], 0x180
	s_delay_alu instid0(VALU_DEP_2) | instskip(NEXT) | instid1(VALU_DEP_1)
	v_fma_f64 v[12:13], v[12:13], v[14:15], 1.0
	v_mul_f64 v[16:17], v[14:15], v[12:13]
	v_fma_f64 v[12:13], 0x3fd80000, v[12:13], 0.5
	s_delay_alu instid0(VALU_DEP_1) | instskip(NEXT) | instid1(VALU_DEP_1)
	v_fma_f64 v[12:13], v[16:17], v[12:13], v[14:15]
	v_cndmask_b32_e64 v13, v15, v13, s0
	s_delay_alu instid0(VALU_DEP_2) | instskip(NEXT) | instid1(VALU_DEP_1)
	v_cndmask_b32_e64 v12, v14, v12, s0
	v_cvt_f32_f64_e32 v5, v[12:13]
	s_delay_alu instid0(VALU_DEP_1)
	v_cvt_f16_f32_e32 v5, v5
.LBB213_31:
	s_or_b32 exec_lo, exec_lo, s1
	v_or_b32_e32 v9, 0x700, v0
	s_delay_alu instid0(VALU_DEP_1) | instskip(NEXT) | instid1(VALU_DEP_1)
	v_cmp_gt_i32_e64 s0, s7, v9
                                        ; implicit-def: $vgpr9
	s_and_saveexec_b32 s1, s0
	s_cbranch_execz .LBB213_44
; %bb.32:
	v_cvt_f32_f16_e32 v2, v2
	s_delay_alu instid0(VALU_DEP_1) | instskip(NEXT) | instid1(VALU_DEP_1)
	v_cvt_f64_f32_e32 v[12:13], v2
	v_rsq_f64_e32 v[14:15], v[12:13]
	s_waitcnt_depctr 0xfff
	v_mul_f64 v[12:13], v[14:15], -v[12:13]
	v_cmp_class_f64_e64 s0, v[14:15], 0x180
	s_delay_alu instid0(VALU_DEP_2) | instskip(NEXT) | instid1(VALU_DEP_1)
	v_fma_f64 v[12:13], v[12:13], v[14:15], 1.0
	v_mul_f64 v[16:17], v[14:15], v[12:13]
	v_fma_f64 v[12:13], 0x3fd80000, v[12:13], 0.5
	s_delay_alu instid0(VALU_DEP_1) | instskip(NEXT) | instid1(VALU_DEP_1)
	v_fma_f64 v[12:13], v[16:17], v[12:13], v[14:15]
	v_cndmask_b32_e64 v13, v15, v13, s0
	s_delay_alu instid0(VALU_DEP_2) | instskip(NEXT) | instid1(VALU_DEP_1)
	v_cndmask_b32_e64 v12, v14, v12, s0
	v_cvt_f32_f64_e32 v2, v[12:13]
	s_delay_alu instid0(VALU_DEP_1) | instskip(SKIP_2) | instid1(SALU_CYCLE_1)
	v_cvt_f16_f32_e32 v9, v2
	s_or_b32 exec_lo, exec_lo, s1
	s_and_saveexec_b32 s0, vcc_lo
	s_xor_b32 s0, exec_lo, s0
	s_cbranch_execnz .LBB213_45
.LBB213_33:
	s_or_b32 exec_lo, exec_lo, s0
	s_delay_alu instid0(SALU_CYCLE_1)
	s_mov_b32 s0, exec_lo
	v_cmpx_gt_i32_e64 s7, v0
	s_cbranch_execz .LBB213_46
.LBB213_34:
	v_dual_mov_b32 v2, 0 :: v_dual_add_nc_u32 v1, s12, v0
	v_add_nc_u32_e32 v0, 0x100, v0
	s_delay_alu instid0(VALU_DEP_2) | instskip(NEXT) | instid1(VALU_DEP_1)
	v_lshlrev_b64 v[1:2], 1, v[1:2]
	v_add_co_u32 v1, vcc_lo, s8, v1
	s_delay_alu instid0(VALU_DEP_2) | instskip(SKIP_2) | instid1(SALU_CYCLE_1)
	v_add_co_ci_u32_e32 v2, vcc_lo, s9, v2, vcc_lo
	global_store_b16 v[1:2], v8, off
	s_or_b32 exec_lo, exec_lo, s0
	s_mov_b32 s0, exec_lo
	v_cmpx_gt_i32_e64 s7, v0
	s_cbranch_execnz .LBB213_47
.LBB213_35:
	s_or_b32 exec_lo, exec_lo, s0
	s_delay_alu instid0(SALU_CYCLE_1)
	s_mov_b32 s0, exec_lo
	v_cmpx_gt_i32_e64 s7, v0
	s_cbranch_execz .LBB213_48
.LBB213_36:
	v_dual_mov_b32 v2, 0 :: v_dual_add_nc_u32 v1, s12, v0
	v_add_nc_u32_e32 v0, 0x100, v0
	s_delay_alu instid0(VALU_DEP_2) | instskip(NEXT) | instid1(VALU_DEP_1)
	v_lshlrev_b64 v[1:2], 1, v[1:2]
	v_add_co_u32 v1, vcc_lo, s8, v1
	s_delay_alu instid0(VALU_DEP_2) | instskip(SKIP_2) | instid1(SALU_CYCLE_1)
	v_add_co_ci_u32_e32 v2, vcc_lo, s9, v2, vcc_lo
	global_store_b16 v[1:2], v11, off
	s_or_b32 exec_lo, exec_lo, s0
	s_mov_b32 s0, exec_lo
	v_cmpx_gt_i32_e64 s7, v0
	s_cbranch_execnz .LBB213_49
.LBB213_37:
	s_or_b32 exec_lo, exec_lo, s0
	s_delay_alu instid0(SALU_CYCLE_1)
	s_mov_b32 s0, exec_lo
	v_cmpx_gt_i32_e64 s7, v0
	s_cbranch_execz .LBB213_50
.LBB213_38:
	v_dual_mov_b32 v2, 0 :: v_dual_add_nc_u32 v1, s12, v0
	v_add_nc_u32_e32 v0, 0x100, v0
	s_delay_alu instid0(VALU_DEP_2) | instskip(NEXT) | instid1(VALU_DEP_1)
	v_lshlrev_b64 v[1:2], 1, v[1:2]
	v_add_co_u32 v1, vcc_lo, s8, v1
	s_delay_alu instid0(VALU_DEP_2) | instskip(SKIP_2) | instid1(SALU_CYCLE_1)
	v_add_co_ci_u32_e32 v2, vcc_lo, s9, v2, vcc_lo
	global_store_b16 v[1:2], v10, off
	s_or_b32 exec_lo, exec_lo, s0
	s_mov_b32 s0, exec_lo
	v_cmpx_gt_i32_e64 s7, v0
	s_cbranch_execnz .LBB213_51
.LBB213_39:
	s_or_b32 exec_lo, exec_lo, s0
	s_delay_alu instid0(SALU_CYCLE_1)
	s_mov_b32 s0, exec_lo
	v_cmpx_gt_i32_e64 s7, v0
	s_cbranch_execz .LBB213_41
.LBB213_40:
	v_dual_mov_b32 v1, 0 :: v_dual_add_nc_u32 v0, s12, v0
	s_delay_alu instid0(VALU_DEP_1) | instskip(NEXT) | instid1(VALU_DEP_1)
	v_lshlrev_b64 v[0:1], 1, v[0:1]
	v_add_co_u32 v0, vcc_lo, s8, v0
	s_delay_alu instid0(VALU_DEP_2)
	v_add_co_ci_u32_e32 v1, vcc_lo, s9, v1, vcc_lo
	global_store_b16 v[0:1], v9, off
.LBB213_41:
	s_nop 0
	s_sendmsg sendmsg(MSG_DEALLOC_VGPRS)
	s_endpgm
.LBB213_42:
	s_or_b32 exec_lo, exec_lo, s1
	s_delay_alu instid0(SALU_CYCLE_1)
	s_mov_b32 s1, exec_lo
	v_cmpx_gt_i32_e64 s7, v7
	s_cbranch_execz .LBB213_17
.LBB213_43:
	v_dual_mov_b32 v13, 0 :: v_dual_add_nc_u32 v12, s12, v7
	s_delay_alu instid0(VALU_DEP_1) | instskip(NEXT) | instid1(VALU_DEP_1)
	v_lshlrev_b64 v[12:13], 1, v[12:13]
	v_add_co_u32 v12, s0, s10, v12
	s_delay_alu instid0(VALU_DEP_1)
	v_add_co_ci_u32_e64 v13, s0, s11, v13, s0
	global_load_u16 v2, v[12:13], off
	s_or_b32 exec_lo, exec_lo, s1
                                        ; implicit-def: $vgpr7
	s_and_saveexec_b32 s1, vcc_lo
	s_cbranch_execz .LBB213_19
	s_branch .LBB213_18
.LBB213_44:
	s_or_b32 exec_lo, exec_lo, s1
	s_and_saveexec_b32 s0, vcc_lo
	s_delay_alu instid0(SALU_CYCLE_1)
	s_xor_b32 s0, exec_lo, s0
	s_cbranch_execz .LBB213_33
.LBB213_45:
	v_mov_b32_e32 v2, 0
	s_delay_alu instid0(VALU_DEP_1) | instskip(NEXT) | instid1(VALU_DEP_1)
	v_lshlrev_b64 v[0:1], 1, v[1:2]
	v_add_co_u32 v12, vcc_lo, s8, v0
	s_delay_alu instid0(VALU_DEP_2) | instskip(SKIP_3) | instid1(SALU_CYCLE_1)
	v_add_co_ci_u32_e32 v13, vcc_lo, s9, v1, vcc_lo
	v_mov_b32_e32 v0, v3
	global_store_b16 v[12:13], v7, off
	s_or_b32 exec_lo, exec_lo, s0
	s_mov_b32 s0, exec_lo
	v_cmpx_gt_i32_e64 s7, v0
	s_cbranch_execnz .LBB213_34
.LBB213_46:
	s_or_b32 exec_lo, exec_lo, s0
	s_delay_alu instid0(SALU_CYCLE_1)
	s_mov_b32 s0, exec_lo
	v_cmpx_gt_i32_e64 s7, v0
	s_cbranch_execz .LBB213_35
.LBB213_47:
	v_dual_mov_b32 v2, 0 :: v_dual_add_nc_u32 v1, s12, v0
	v_add_nc_u32_e32 v0, 0x100, v0
	s_delay_alu instid0(VALU_DEP_2) | instskip(NEXT) | instid1(VALU_DEP_1)
	v_lshlrev_b64 v[1:2], 1, v[1:2]
	v_add_co_u32 v1, vcc_lo, s8, v1
	s_delay_alu instid0(VALU_DEP_2) | instskip(SKIP_2) | instid1(SALU_CYCLE_1)
	v_add_co_ci_u32_e32 v2, vcc_lo, s9, v2, vcc_lo
	global_store_b16 v[1:2], v4, off
	s_or_b32 exec_lo, exec_lo, s0
	s_mov_b32 s0, exec_lo
	v_cmpx_gt_i32_e64 s7, v0
	s_cbranch_execnz .LBB213_36
.LBB213_48:
	s_or_b32 exec_lo, exec_lo, s0
	s_delay_alu instid0(SALU_CYCLE_1)
	s_mov_b32 s0, exec_lo
	v_cmpx_gt_i32_e64 s7, v0
	s_cbranch_execz .LBB213_37
.LBB213_49:
	v_dual_mov_b32 v2, 0 :: v_dual_add_nc_u32 v1, s12, v0
	v_add_nc_u32_e32 v0, 0x100, v0
	s_delay_alu instid0(VALU_DEP_2) | instskip(NEXT) | instid1(VALU_DEP_1)
	v_lshlrev_b64 v[1:2], 1, v[1:2]
	v_add_co_u32 v1, vcc_lo, s8, v1
	s_delay_alu instid0(VALU_DEP_2) | instskip(SKIP_2) | instid1(SALU_CYCLE_1)
	v_add_co_ci_u32_e32 v2, vcc_lo, s9, v2, vcc_lo
	global_store_b16 v[1:2], v6, off
	s_or_b32 exec_lo, exec_lo, s0
	s_mov_b32 s0, exec_lo
	v_cmpx_gt_i32_e64 s7, v0
	s_cbranch_execnz .LBB213_38
.LBB213_50:
	s_or_b32 exec_lo, exec_lo, s0
	s_delay_alu instid0(SALU_CYCLE_1)
	s_mov_b32 s0, exec_lo
	v_cmpx_gt_i32_e64 s7, v0
	s_cbranch_execz .LBB213_39
.LBB213_51:
	v_dual_mov_b32 v2, 0 :: v_dual_add_nc_u32 v1, s12, v0
	v_add_nc_u32_e32 v0, 0x100, v0
	s_delay_alu instid0(VALU_DEP_2) | instskip(NEXT) | instid1(VALU_DEP_1)
	v_lshlrev_b64 v[1:2], 1, v[1:2]
	v_add_co_u32 v1, vcc_lo, s8, v1
	s_delay_alu instid0(VALU_DEP_2) | instskip(SKIP_2) | instid1(SALU_CYCLE_1)
	v_add_co_ci_u32_e32 v2, vcc_lo, s9, v2, vcc_lo
	global_store_b16 v[1:2], v5, off
	s_or_b32 exec_lo, exec_lo, s0
	s_mov_b32 s0, exec_lo
	v_cmpx_gt_i32_e64 s7, v0
	s_cbranch_execnz .LBB213_40
	s_branch .LBB213_41
	.section	.rodata,"a",@progbits
	.p2align	6, 0x0
	.amdhsa_kernel _ZN2at6native29vectorized_elementwise_kernelILi2EZZZNS0_17rsqrt_kernel_cudaERNS_18TensorIteratorBaseEENKUlvE0_clEvENKUlvE2_clEvEUlN3c104HalfEE_St5arrayIPcLm2EEEEviT0_T1_
		.amdhsa_group_segment_fixed_size 0
		.amdhsa_private_segment_fixed_size 0
		.amdhsa_kernarg_size 24
		.amdhsa_user_sgpr_count 15
		.amdhsa_user_sgpr_dispatch_ptr 0
		.amdhsa_user_sgpr_queue_ptr 0
		.amdhsa_user_sgpr_kernarg_segment_ptr 1
		.amdhsa_user_sgpr_dispatch_id 0
		.amdhsa_user_sgpr_private_segment_size 0
		.amdhsa_wavefront_size32 1
		.amdhsa_uses_dynamic_stack 0
		.amdhsa_enable_private_segment 0
		.amdhsa_system_sgpr_workgroup_id_x 1
		.amdhsa_system_sgpr_workgroup_id_y 0
		.amdhsa_system_sgpr_workgroup_id_z 0
		.amdhsa_system_sgpr_workgroup_info 0
		.amdhsa_system_vgpr_workitem_id 0
		.amdhsa_next_free_vgpr 50
		.amdhsa_next_free_sgpr 16
		.amdhsa_reserve_vcc 1
		.amdhsa_float_round_mode_32 0
		.amdhsa_float_round_mode_16_64 0
		.amdhsa_float_denorm_mode_32 3
		.amdhsa_float_denorm_mode_16_64 3
		.amdhsa_dx10_clamp 1
		.amdhsa_ieee_mode 1
		.amdhsa_fp16_overflow 0
		.amdhsa_workgroup_processor_mode 1
		.amdhsa_memory_ordered 1
		.amdhsa_forward_progress 0
		.amdhsa_shared_vgpr_count 0
		.amdhsa_exception_fp_ieee_invalid_op 0
		.amdhsa_exception_fp_denorm_src 0
		.amdhsa_exception_fp_ieee_div_zero 0
		.amdhsa_exception_fp_ieee_overflow 0
		.amdhsa_exception_fp_ieee_underflow 0
		.amdhsa_exception_fp_ieee_inexact 0
		.amdhsa_exception_int_div_zero 0
	.end_amdhsa_kernel
	.section	.text._ZN2at6native29vectorized_elementwise_kernelILi2EZZZNS0_17rsqrt_kernel_cudaERNS_18TensorIteratorBaseEENKUlvE0_clEvENKUlvE2_clEvEUlN3c104HalfEE_St5arrayIPcLm2EEEEviT0_T1_,"axG",@progbits,_ZN2at6native29vectorized_elementwise_kernelILi2EZZZNS0_17rsqrt_kernel_cudaERNS_18TensorIteratorBaseEENKUlvE0_clEvENKUlvE2_clEvEUlN3c104HalfEE_St5arrayIPcLm2EEEEviT0_T1_,comdat
.Lfunc_end213:
	.size	_ZN2at6native29vectorized_elementwise_kernelILi2EZZZNS0_17rsqrt_kernel_cudaERNS_18TensorIteratorBaseEENKUlvE0_clEvENKUlvE2_clEvEUlN3c104HalfEE_St5arrayIPcLm2EEEEviT0_T1_, .Lfunc_end213-_ZN2at6native29vectorized_elementwise_kernelILi2EZZZNS0_17rsqrt_kernel_cudaERNS_18TensorIteratorBaseEENKUlvE0_clEvENKUlvE2_clEvEUlN3c104HalfEE_St5arrayIPcLm2EEEEviT0_T1_
                                        ; -- End function
	.section	.AMDGPU.csdata,"",@progbits
; Kernel info:
; codeLenInByte = 3632
; NumSgprs: 18
; NumVgprs: 50
; ScratchSize: 0
; MemoryBound: 0
; FloatMode: 240
; IeeeMode: 1
; LDSByteSize: 0 bytes/workgroup (compile time only)
; SGPRBlocks: 2
; VGPRBlocks: 6
; NumSGPRsForWavesPerEU: 18
; NumVGPRsForWavesPerEU: 50
; Occupancy: 16
; WaveLimiterHint : 1
; COMPUTE_PGM_RSRC2:SCRATCH_EN: 0
; COMPUTE_PGM_RSRC2:USER_SGPR: 15
; COMPUTE_PGM_RSRC2:TRAP_HANDLER: 0
; COMPUTE_PGM_RSRC2:TGID_X_EN: 1
; COMPUTE_PGM_RSRC2:TGID_Y_EN: 0
; COMPUTE_PGM_RSRC2:TGID_Z_EN: 0
; COMPUTE_PGM_RSRC2:TIDIG_COMP_CNT: 0
	.section	.text._ZN2at6native27unrolled_elementwise_kernelIZZZNS0_17rsqrt_kernel_cudaERNS_18TensorIteratorBaseEENKUlvE0_clEvENKUlvE2_clEvEUlN3c104HalfEE_St5arrayIPcLm2EELi4E23TrivialOffsetCalculatorILi1EjESD_NS0_6memory15LoadWithoutCastENSE_16StoreWithoutCastEEEviT_T0_T2_T3_T4_T5_,"axG",@progbits,_ZN2at6native27unrolled_elementwise_kernelIZZZNS0_17rsqrt_kernel_cudaERNS_18TensorIteratorBaseEENKUlvE0_clEvENKUlvE2_clEvEUlN3c104HalfEE_St5arrayIPcLm2EELi4E23TrivialOffsetCalculatorILi1EjESD_NS0_6memory15LoadWithoutCastENSE_16StoreWithoutCastEEEviT_T0_T2_T3_T4_T5_,comdat
	.globl	_ZN2at6native27unrolled_elementwise_kernelIZZZNS0_17rsqrt_kernel_cudaERNS_18TensorIteratorBaseEENKUlvE0_clEvENKUlvE2_clEvEUlN3c104HalfEE_St5arrayIPcLm2EELi4E23TrivialOffsetCalculatorILi1EjESD_NS0_6memory15LoadWithoutCastENSE_16StoreWithoutCastEEEviT_T0_T2_T3_T4_T5_ ; -- Begin function _ZN2at6native27unrolled_elementwise_kernelIZZZNS0_17rsqrt_kernel_cudaERNS_18TensorIteratorBaseEENKUlvE0_clEvENKUlvE2_clEvEUlN3c104HalfEE_St5arrayIPcLm2EELi4E23TrivialOffsetCalculatorILi1EjESD_NS0_6memory15LoadWithoutCastENSE_16StoreWithoutCastEEEviT_T0_T2_T3_T4_T5_
	.p2align	8
	.type	_ZN2at6native27unrolled_elementwise_kernelIZZZNS0_17rsqrt_kernel_cudaERNS_18TensorIteratorBaseEENKUlvE0_clEvENKUlvE2_clEvEUlN3c104HalfEE_St5arrayIPcLm2EELi4E23TrivialOffsetCalculatorILi1EjESD_NS0_6memory15LoadWithoutCastENSE_16StoreWithoutCastEEEviT_T0_T2_T3_T4_T5_,@function
_ZN2at6native27unrolled_elementwise_kernelIZZZNS0_17rsqrt_kernel_cudaERNS_18TensorIteratorBaseEENKUlvE0_clEvENKUlvE2_clEvEUlN3c104HalfEE_St5arrayIPcLm2EELi4E23TrivialOffsetCalculatorILi1EjESD_NS0_6memory15LoadWithoutCastENSE_16StoreWithoutCastEEEviT_T0_T2_T3_T4_T5_: ; @_ZN2at6native27unrolled_elementwise_kernelIZZZNS0_17rsqrt_kernel_cudaERNS_18TensorIteratorBaseEENKUlvE0_clEvENKUlvE2_clEvEUlN3c104HalfEE_St5arrayIPcLm2EELi4E23TrivialOffsetCalculatorILi1EjESD_NS0_6memory15LoadWithoutCastENSE_16StoreWithoutCastEEEviT_T0_T2_T3_T4_T5_
; %bb.0:
	s_clause 0x1
	s_load_b32 s2, s[0:1], 0x0
	s_load_b128 s[4:7], s[0:1], 0x8
	v_dual_mov_b32 v3, 0 :: v_dual_mov_b32 v2, v0
	v_mov_b32_e32 v4, 0
	s_lshl_b32 s1, s15, 10
	v_or_b32_e32 v11, 0x100, v0
	v_or_b32_e32 v1, s1, v0
	s_delay_alu instid0(VALU_DEP_3) | instskip(SKIP_2) | instid1(SALU_CYCLE_1)
	v_dual_mov_b32 v8, v4 :: v_dual_mov_b32 v7, v3
	s_waitcnt lgkmcnt(0)
	s_sub_i32 s2, s2, s1
	v_cmp_gt_i32_e32 vcc_lo, s2, v0
	s_and_saveexec_b32 s3, vcc_lo
	s_cbranch_execz .LBB214_2
; %bb.1:
	v_mov_b32_e32 v2, 0
	s_delay_alu instid0(VALU_DEP_1) | instskip(NEXT) | instid1(VALU_DEP_1)
	v_lshlrev_b64 v[5:6], 1, v[1:2]
	v_add_co_u32 v5, s0, s6, v5
	s_delay_alu instid0(VALU_DEP_1) | instskip(SKIP_3) | instid1(VALU_DEP_1)
	v_add_co_ci_u32_e64 v6, s0, s7, v6, s0
	global_load_u16 v2, v[5:6], off
	s_waitcnt vmcnt(0)
	v_cvt_f32_f16_e32 v2, v2
	v_cvt_f64_f32_e32 v[7:8], v2
	v_or_b32_e32 v2, 0x100, v0
.LBB214_2:
	s_or_b32 exec_lo, exec_lo, s3
	s_delay_alu instid0(SALU_CYCLE_1) | instskip(NEXT) | instid1(VALU_DEP_1)
	s_mov_b32 s3, exec_lo
	v_cmpx_gt_i32_e64 s2, v2
	s_cbranch_execz .LBB214_4
; %bb.3:
	v_dual_mov_b32 v4, 0 :: v_dual_add_nc_u32 v3, s1, v2
	v_add_nc_u32_e32 v2, 0x100, v2
	s_delay_alu instid0(VALU_DEP_2) | instskip(NEXT) | instid1(VALU_DEP_1)
	v_lshlrev_b64 v[3:4], 1, v[3:4]
	v_add_co_u32 v3, s0, s6, v3
	s_delay_alu instid0(VALU_DEP_1) | instskip(SKIP_3) | instid1(VALU_DEP_1)
	v_add_co_ci_u32_e64 v4, s0, s7, v4, s0
	global_load_u16 v3, v[3:4], off
	s_waitcnt vmcnt(0)
	v_cvt_f32_f16_e32 v3, v3
	v_cvt_f64_f32_e32 v[3:4], v3
.LBB214_4:
	s_or_b32 exec_lo, exec_lo, s3
	v_mov_b32_e32 v5, 0
	v_mov_b32_e32 v6, 0
	s_mov_b32 s3, exec_lo
	s_delay_alu instid0(VALU_DEP_1)
	v_dual_mov_b32 v10, v6 :: v_dual_mov_b32 v9, v5
	v_cmpx_gt_i32_e64 s2, v2
	s_cbranch_execz .LBB214_18
; %bb.5:
	v_dual_mov_b32 v10, 0 :: v_dual_add_nc_u32 v9, s1, v2
	v_add_nc_u32_e32 v2, 0x100, v2
	s_delay_alu instid0(VALU_DEP_2) | instskip(NEXT) | instid1(VALU_DEP_1)
	v_lshlrev_b64 v[9:10], 1, v[9:10]
	v_add_co_u32 v9, s0, s6, v9
	s_delay_alu instid0(VALU_DEP_1) | instskip(SKIP_3) | instid1(VALU_DEP_1)
	v_add_co_ci_u32_e64 v10, s0, s7, v10, s0
	global_load_u16 v9, v[9:10], off
	s_waitcnt vmcnt(0)
	v_cvt_f32_f16_e32 v9, v9
	v_cvt_f64_f32_e32 v[9:10], v9
	s_or_b32 exec_lo, exec_lo, s3
	s_delay_alu instid0(SALU_CYCLE_1)
	s_mov_b32 s3, exec_lo
	v_cmpx_gt_i32_e64 s2, v2
	s_cbranch_execnz .LBB214_19
.LBB214_6:
	s_or_b32 exec_lo, exec_lo, s3
                                        ; implicit-def: $vgpr12
	s_and_saveexec_b32 s3, vcc_lo
.LBB214_7:
	v_rsq_f64_e32 v[12:13], v[7:8]
	s_waitcnt_depctr 0xfff
	v_mul_f64 v[7:8], v[12:13], -v[7:8]
	v_cmp_class_f64_e64 s0, v[12:13], 0x180
	s_delay_alu instid0(VALU_DEP_2) | instskip(NEXT) | instid1(VALU_DEP_1)
	v_fma_f64 v[7:8], v[7:8], v[12:13], 1.0
	v_mul_f64 v[14:15], v[12:13], v[7:8]
	v_fma_f64 v[7:8], 0x3fd80000, v[7:8], 0.5
	s_delay_alu instid0(VALU_DEP_1) | instskip(NEXT) | instid1(VALU_DEP_1)
	v_fma_f64 v[7:8], v[14:15], v[7:8], v[12:13]
	v_cndmask_b32_e64 v8, v13, v8, s0
	s_delay_alu instid0(VALU_DEP_2) | instskip(NEXT) | instid1(VALU_DEP_1)
	v_cndmask_b32_e64 v7, v12, v7, s0
	v_cvt_f32_f64_e32 v2, v[7:8]
	s_delay_alu instid0(VALU_DEP_1)
	v_cvt_f16_f32_e32 v12, v2
.LBB214_8:
	s_or_b32 exec_lo, exec_lo, s3
	s_delay_alu instid0(SALU_CYCLE_1)
	s_mov_b32 s3, exec_lo
                                        ; implicit-def: $vgpr7
	v_cmpx_gt_i32_e64 s2, v11
; %bb.9:
	v_rsq_f64_e32 v[7:8], v[3:4]
	s_waitcnt_depctr 0xfff
	v_mul_f64 v[2:3], v[7:8], -v[3:4]
	v_cmp_class_f64_e64 s0, v[7:8], 0x180
	s_delay_alu instid0(VALU_DEP_2) | instskip(NEXT) | instid1(VALU_DEP_1)
	v_fma_f64 v[2:3], v[2:3], v[7:8], 1.0
	v_mul_f64 v[13:14], v[7:8], v[2:3]
	v_fma_f64 v[2:3], 0x3fd80000, v[2:3], 0.5
	s_delay_alu instid0(VALU_DEP_1) | instskip(NEXT) | instid1(VALU_DEP_1)
	v_fma_f64 v[2:3], v[13:14], v[2:3], v[7:8]
	v_cndmask_b32_e64 v3, v8, v3, s0
	s_delay_alu instid0(VALU_DEP_2) | instskip(NEXT) | instid1(VALU_DEP_1)
	v_cndmask_b32_e64 v2, v7, v2, s0
	v_cvt_f32_f64_e32 v2, v[2:3]
	s_delay_alu instid0(VALU_DEP_1)
	v_cvt_f16_f32_e32 v7, v2
; %bb.10:
	s_or_b32 exec_lo, exec_lo, s3
	v_or_b32_e32 v2, 0x200, v0
	s_mov_b32 s3, exec_lo
                                        ; implicit-def: $vgpr3
	s_delay_alu instid0(VALU_DEP_1)
	v_cmpx_gt_i32_e64 s2, v2
; %bb.11:
	v_rsq_f64_e32 v[2:3], v[9:10]
	s_waitcnt_depctr 0xfff
	v_mul_f64 v[8:9], v[2:3], -v[9:10]
	v_cmp_class_f64_e64 s0, v[2:3], 0x180
	s_delay_alu instid0(VALU_DEP_2) | instskip(NEXT) | instid1(VALU_DEP_1)
	v_fma_f64 v[8:9], v[8:9], v[2:3], 1.0
	v_mul_f64 v[13:14], v[2:3], v[8:9]
	v_fma_f64 v[8:9], 0x3fd80000, v[8:9], 0.5
	s_delay_alu instid0(VALU_DEP_1) | instskip(NEXT) | instid1(VALU_DEP_1)
	v_fma_f64 v[8:9], v[13:14], v[8:9], v[2:3]
	v_cndmask_b32_e64 v3, v3, v9, s0
	s_delay_alu instid0(VALU_DEP_2) | instskip(NEXT) | instid1(VALU_DEP_1)
	v_cndmask_b32_e64 v2, v2, v8, s0
	v_cvt_f32_f64_e32 v2, v[2:3]
	s_delay_alu instid0(VALU_DEP_1)
	v_cvt_f16_f32_e32 v3, v2
; %bb.12:
	s_or_b32 exec_lo, exec_lo, s3
	v_or_b32_e32 v2, 0x300, v0
	s_mov_b32 s3, exec_lo
                                        ; implicit-def: $vgpr4
	s_delay_alu instid0(VALU_DEP_1)
	v_cmpx_gt_i32_e64 s2, v2
	s_cbranch_execz .LBB214_20
; %bb.13:
	v_rsq_f64_e32 v[8:9], v[5:6]
	s_waitcnt_depctr 0xfff
	v_mul_f64 v[4:5], v[8:9], -v[5:6]
	v_cmp_class_f64_e64 s0, v[8:9], 0x180
	s_delay_alu instid0(VALU_DEP_2) | instskip(NEXT) | instid1(VALU_DEP_1)
	v_fma_f64 v[4:5], v[4:5], v[8:9], 1.0
	v_mul_f64 v[13:14], v[8:9], v[4:5]
	v_fma_f64 v[4:5], 0x3fd80000, v[4:5], 0.5
	s_delay_alu instid0(VALU_DEP_1) | instskip(NEXT) | instid1(VALU_DEP_1)
	v_fma_f64 v[4:5], v[13:14], v[4:5], v[8:9]
	v_cndmask_b32_e64 v5, v9, v5, s0
	s_delay_alu instid0(VALU_DEP_2) | instskip(NEXT) | instid1(VALU_DEP_1)
	v_cndmask_b32_e64 v4, v8, v4, s0
	v_cvt_f32_f64_e32 v2, v[4:5]
	s_delay_alu instid0(VALU_DEP_1) | instskip(SKIP_2) | instid1(SALU_CYCLE_1)
	v_cvt_f16_f32_e32 v4, v2
	s_or_b32 exec_lo, exec_lo, s3
	s_and_saveexec_b32 s0, vcc_lo
	s_xor_b32 s0, exec_lo, s0
	s_cbranch_execnz .LBB214_21
.LBB214_14:
	s_or_b32 exec_lo, exec_lo, s0
	s_delay_alu instid0(SALU_CYCLE_1)
	s_mov_b32 s0, exec_lo
	v_cmpx_gt_i32_e64 s2, v0
	s_cbranch_execz .LBB214_22
.LBB214_15:
	v_dual_mov_b32 v2, 0 :: v_dual_add_nc_u32 v1, s1, v0
	v_add_nc_u32_e32 v0, 0x100, v0
	s_delay_alu instid0(VALU_DEP_2) | instskip(NEXT) | instid1(VALU_DEP_1)
	v_lshlrev_b64 v[1:2], 1, v[1:2]
	v_add_co_u32 v1, vcc_lo, s4, v1
	s_delay_alu instid0(VALU_DEP_2) | instskip(SKIP_2) | instid1(SALU_CYCLE_1)
	v_add_co_ci_u32_e32 v2, vcc_lo, s5, v2, vcc_lo
	global_store_b16 v[1:2], v7, off
	s_or_b32 exec_lo, exec_lo, s0
	s_mov_b32 s0, exec_lo
	v_cmpx_gt_i32_e64 s2, v0
	s_cbranch_execnz .LBB214_23
.LBB214_16:
	s_or_b32 exec_lo, exec_lo, s0
	s_delay_alu instid0(SALU_CYCLE_1)
	s_mov_b32 s0, exec_lo
	v_cmpx_gt_i32_e64 s2, v0
	s_cbranch_execz .LBB214_24
.LBB214_17:
	v_dual_mov_b32 v1, 0 :: v_dual_add_nc_u32 v0, s1, v0
	s_delay_alu instid0(VALU_DEP_1) | instskip(NEXT) | instid1(VALU_DEP_1)
	v_lshlrev_b64 v[0:1], 1, v[0:1]
	v_add_co_u32 v0, vcc_lo, s4, v0
	s_delay_alu instid0(VALU_DEP_2)
	v_add_co_ci_u32_e32 v1, vcc_lo, s5, v1, vcc_lo
	global_store_b16 v[0:1], v4, off
	s_nop 0
	s_sendmsg sendmsg(MSG_DEALLOC_VGPRS)
	s_endpgm
.LBB214_18:
	s_or_b32 exec_lo, exec_lo, s3
	s_delay_alu instid0(SALU_CYCLE_1)
	s_mov_b32 s3, exec_lo
	v_cmpx_gt_i32_e64 s2, v2
	s_cbranch_execz .LBB214_6
.LBB214_19:
	v_dual_mov_b32 v6, 0 :: v_dual_add_nc_u32 v5, s1, v2
	s_delay_alu instid0(VALU_DEP_1) | instskip(NEXT) | instid1(VALU_DEP_1)
	v_lshlrev_b64 v[5:6], 1, v[5:6]
	v_add_co_u32 v5, s0, s6, v5
	s_delay_alu instid0(VALU_DEP_1) | instskip(SKIP_3) | instid1(VALU_DEP_1)
	v_add_co_ci_u32_e64 v6, s0, s7, v6, s0
	global_load_u16 v2, v[5:6], off
	s_waitcnt vmcnt(0)
	v_cvt_f32_f16_e32 v2, v2
	v_cvt_f64_f32_e32 v[5:6], v2
	s_or_b32 exec_lo, exec_lo, s3
                                        ; implicit-def: $vgpr12
	s_and_saveexec_b32 s3, vcc_lo
	s_cbranch_execz .LBB214_8
	s_branch .LBB214_7
.LBB214_20:
	s_or_b32 exec_lo, exec_lo, s3
	s_and_saveexec_b32 s0, vcc_lo
	s_delay_alu instid0(SALU_CYCLE_1)
	s_xor_b32 s0, exec_lo, s0
	s_cbranch_execz .LBB214_14
.LBB214_21:
	v_mov_b32_e32 v2, 0
	s_delay_alu instid0(VALU_DEP_1) | instskip(NEXT) | instid1(VALU_DEP_1)
	v_lshlrev_b64 v[0:1], 1, v[1:2]
	v_add_co_u32 v5, vcc_lo, s4, v0
	s_delay_alu instid0(VALU_DEP_2) | instskip(SKIP_3) | instid1(SALU_CYCLE_1)
	v_add_co_ci_u32_e32 v6, vcc_lo, s5, v1, vcc_lo
	v_mov_b32_e32 v0, v11
	global_store_b16 v[5:6], v12, off
	s_or_b32 exec_lo, exec_lo, s0
	s_mov_b32 s0, exec_lo
	v_cmpx_gt_i32_e64 s2, v0
	s_cbranch_execnz .LBB214_15
.LBB214_22:
	s_or_b32 exec_lo, exec_lo, s0
	s_delay_alu instid0(SALU_CYCLE_1)
	s_mov_b32 s0, exec_lo
	v_cmpx_gt_i32_e64 s2, v0
	s_cbranch_execz .LBB214_16
.LBB214_23:
	v_dual_mov_b32 v2, 0 :: v_dual_add_nc_u32 v1, s1, v0
	v_add_nc_u32_e32 v0, 0x100, v0
	s_delay_alu instid0(VALU_DEP_2) | instskip(NEXT) | instid1(VALU_DEP_1)
	v_lshlrev_b64 v[1:2], 1, v[1:2]
	v_add_co_u32 v1, vcc_lo, s4, v1
	s_delay_alu instid0(VALU_DEP_2) | instskip(SKIP_2) | instid1(SALU_CYCLE_1)
	v_add_co_ci_u32_e32 v2, vcc_lo, s5, v2, vcc_lo
	global_store_b16 v[1:2], v3, off
	s_or_b32 exec_lo, exec_lo, s0
	s_mov_b32 s0, exec_lo
	v_cmpx_gt_i32_e64 s2, v0
	s_cbranch_execnz .LBB214_17
.LBB214_24:
	s_nop 0
	s_sendmsg sendmsg(MSG_DEALLOC_VGPRS)
	s_endpgm
	.section	.rodata,"a",@progbits
	.p2align	6, 0x0
	.amdhsa_kernel _ZN2at6native27unrolled_elementwise_kernelIZZZNS0_17rsqrt_kernel_cudaERNS_18TensorIteratorBaseEENKUlvE0_clEvENKUlvE2_clEvEUlN3c104HalfEE_St5arrayIPcLm2EELi4E23TrivialOffsetCalculatorILi1EjESD_NS0_6memory15LoadWithoutCastENSE_16StoreWithoutCastEEEviT_T0_T2_T3_T4_T5_
		.amdhsa_group_segment_fixed_size 0
		.amdhsa_private_segment_fixed_size 0
		.amdhsa_kernarg_size 28
		.amdhsa_user_sgpr_count 15
		.amdhsa_user_sgpr_dispatch_ptr 0
		.amdhsa_user_sgpr_queue_ptr 0
		.amdhsa_user_sgpr_kernarg_segment_ptr 1
		.amdhsa_user_sgpr_dispatch_id 0
		.amdhsa_user_sgpr_private_segment_size 0
		.amdhsa_wavefront_size32 1
		.amdhsa_uses_dynamic_stack 0
		.amdhsa_enable_private_segment 0
		.amdhsa_system_sgpr_workgroup_id_x 1
		.amdhsa_system_sgpr_workgroup_id_y 0
		.amdhsa_system_sgpr_workgroup_id_z 0
		.amdhsa_system_sgpr_workgroup_info 0
		.amdhsa_system_vgpr_workitem_id 0
		.amdhsa_next_free_vgpr 16
		.amdhsa_next_free_sgpr 16
		.amdhsa_reserve_vcc 1
		.amdhsa_float_round_mode_32 0
		.amdhsa_float_round_mode_16_64 0
		.amdhsa_float_denorm_mode_32 3
		.amdhsa_float_denorm_mode_16_64 3
		.amdhsa_dx10_clamp 1
		.amdhsa_ieee_mode 1
		.amdhsa_fp16_overflow 0
		.amdhsa_workgroup_processor_mode 1
		.amdhsa_memory_ordered 1
		.amdhsa_forward_progress 0
		.amdhsa_shared_vgpr_count 0
		.amdhsa_exception_fp_ieee_invalid_op 0
		.amdhsa_exception_fp_denorm_src 0
		.amdhsa_exception_fp_ieee_div_zero 0
		.amdhsa_exception_fp_ieee_overflow 0
		.amdhsa_exception_fp_ieee_underflow 0
		.amdhsa_exception_fp_ieee_inexact 0
		.amdhsa_exception_int_div_zero 0
	.end_amdhsa_kernel
	.section	.text._ZN2at6native27unrolled_elementwise_kernelIZZZNS0_17rsqrt_kernel_cudaERNS_18TensorIteratorBaseEENKUlvE0_clEvENKUlvE2_clEvEUlN3c104HalfEE_St5arrayIPcLm2EELi4E23TrivialOffsetCalculatorILi1EjESD_NS0_6memory15LoadWithoutCastENSE_16StoreWithoutCastEEEviT_T0_T2_T3_T4_T5_,"axG",@progbits,_ZN2at6native27unrolled_elementwise_kernelIZZZNS0_17rsqrt_kernel_cudaERNS_18TensorIteratorBaseEENKUlvE0_clEvENKUlvE2_clEvEUlN3c104HalfEE_St5arrayIPcLm2EELi4E23TrivialOffsetCalculatorILi1EjESD_NS0_6memory15LoadWithoutCastENSE_16StoreWithoutCastEEEviT_T0_T2_T3_T4_T5_,comdat
.Lfunc_end214:
	.size	_ZN2at6native27unrolled_elementwise_kernelIZZZNS0_17rsqrt_kernel_cudaERNS_18TensorIteratorBaseEENKUlvE0_clEvENKUlvE2_clEvEUlN3c104HalfEE_St5arrayIPcLm2EELi4E23TrivialOffsetCalculatorILi1EjESD_NS0_6memory15LoadWithoutCastENSE_16StoreWithoutCastEEEviT_T0_T2_T3_T4_T5_, .Lfunc_end214-_ZN2at6native27unrolled_elementwise_kernelIZZZNS0_17rsqrt_kernel_cudaERNS_18TensorIteratorBaseEENKUlvE0_clEvENKUlvE2_clEvEUlN3c104HalfEE_St5arrayIPcLm2EELi4E23TrivialOffsetCalculatorILi1EjESD_NS0_6memory15LoadWithoutCastENSE_16StoreWithoutCastEEEviT_T0_T2_T3_T4_T5_
                                        ; -- End function
	.section	.AMDGPU.csdata,"",@progbits
; Kernel info:
; codeLenInByte = 1356
; NumSgprs: 18
; NumVgprs: 16
; ScratchSize: 0
; MemoryBound: 0
; FloatMode: 240
; IeeeMode: 1
; LDSByteSize: 0 bytes/workgroup (compile time only)
; SGPRBlocks: 2
; VGPRBlocks: 1
; NumSGPRsForWavesPerEU: 18
; NumVGPRsForWavesPerEU: 16
; Occupancy: 16
; WaveLimiterHint : 0
; COMPUTE_PGM_RSRC2:SCRATCH_EN: 0
; COMPUTE_PGM_RSRC2:USER_SGPR: 15
; COMPUTE_PGM_RSRC2:TRAP_HANDLER: 0
; COMPUTE_PGM_RSRC2:TGID_X_EN: 1
; COMPUTE_PGM_RSRC2:TGID_Y_EN: 0
; COMPUTE_PGM_RSRC2:TGID_Z_EN: 0
; COMPUTE_PGM_RSRC2:TIDIG_COMP_CNT: 0
	.section	.text._ZN2at6native32elementwise_kernel_manual_unrollILi128ELi8EZNS0_22gpu_kernel_impl_nocastIZZZNS0_17rsqrt_kernel_cudaERNS_18TensorIteratorBaseEENKUlvE0_clEvENKUlvE2_clEvEUlN3c104HalfEE_EEvS4_RKT_EUlibE_EEviT1_,"axG",@progbits,_ZN2at6native32elementwise_kernel_manual_unrollILi128ELi8EZNS0_22gpu_kernel_impl_nocastIZZZNS0_17rsqrt_kernel_cudaERNS_18TensorIteratorBaseEENKUlvE0_clEvENKUlvE2_clEvEUlN3c104HalfEE_EEvS4_RKT_EUlibE_EEviT1_,comdat
	.globl	_ZN2at6native32elementwise_kernel_manual_unrollILi128ELi8EZNS0_22gpu_kernel_impl_nocastIZZZNS0_17rsqrt_kernel_cudaERNS_18TensorIteratorBaseEENKUlvE0_clEvENKUlvE2_clEvEUlN3c104HalfEE_EEvS4_RKT_EUlibE_EEviT1_ ; -- Begin function _ZN2at6native32elementwise_kernel_manual_unrollILi128ELi8EZNS0_22gpu_kernel_impl_nocastIZZZNS0_17rsqrt_kernel_cudaERNS_18TensorIteratorBaseEENKUlvE0_clEvENKUlvE2_clEvEUlN3c104HalfEE_EEvS4_RKT_EUlibE_EEviT1_
	.p2align	8
	.type	_ZN2at6native32elementwise_kernel_manual_unrollILi128ELi8EZNS0_22gpu_kernel_impl_nocastIZZZNS0_17rsqrt_kernel_cudaERNS_18TensorIteratorBaseEENKUlvE0_clEvENKUlvE2_clEvEUlN3c104HalfEE_EEvS4_RKT_EUlibE_EEviT1_,@function
_ZN2at6native32elementwise_kernel_manual_unrollILi128ELi8EZNS0_22gpu_kernel_impl_nocastIZZZNS0_17rsqrt_kernel_cudaERNS_18TensorIteratorBaseEENKUlvE0_clEvENKUlvE2_clEvEUlN3c104HalfEE_EEvS4_RKT_EUlibE_EEviT1_: ; @_ZN2at6native32elementwise_kernel_manual_unrollILi128ELi8EZNS0_22gpu_kernel_impl_nocastIZZZNS0_17rsqrt_kernel_cudaERNS_18TensorIteratorBaseEENKUlvE0_clEvENKUlvE2_clEvEUlN3c104HalfEE_EEvS4_RKT_EUlibE_EEviT1_
; %bb.0:
	s_clause 0x1
	s_load_b32 s22, s[0:1], 0x8
	s_load_b32 s27, s[0:1], 0x0
	v_lshl_or_b32 v12, s15, 10, v0
	s_or_b32 s0, s0, 8
	s_mov_b32 s2, exec_lo
	s_delay_alu instid0(VALU_DEP_1) | instskip(SKIP_2) | instid1(SALU_CYCLE_1)
	v_or_b32_e32 v16, 0x380, v12
	s_waitcnt lgkmcnt(0)
	s_add_i32 s23, s22, -1
	s_cmp_gt_u32 s23, 1
	s_cselect_b32 s24, -1, 0
	v_cmpx_le_i32_e64 s27, v16
	s_xor_b32 s25, exec_lo, s2
	s_cbranch_execz .LBB215_7
; %bb.1:
	s_clause 0x3
	s_load_b128 s[12:15], s[0:1], 0x4
	s_load_b64 s[2:3], s[0:1], 0x14
	s_load_b128 s[8:11], s[0:1], 0xc4
	s_load_b128 s[4:7], s[0:1], 0x148
	s_cmp_lg_u32 s22, 0
	s_mov_b32 s30, exec_lo
	s_cselect_b32 s29, -1, 0
	s_add_u32 s16, s0, 0xc4
	s_addc_u32 s17, s1, 0
	s_min_u32 s28, s23, 15
	s_cmp_gt_u32 s22, 1
	s_cselect_b32 s26, -1, 0
	v_cmpx_gt_i32_e64 s27, v12
	s_cbranch_execz .LBB215_14
; %bb.2:
	s_and_not1_b32 vcc_lo, exec_lo, s24
	s_cbranch_vccnz .LBB215_21
; %bb.3:
	v_dual_mov_b32 v0, 0 :: v_dual_mov_b32 v1, 0
	s_and_not1_b32 vcc_lo, exec_lo, s29
	s_mov_b32 s31, 0
	s_cbranch_vccnz .LBB215_125
; %bb.4:
	v_mov_b32_e32 v0, 0
	s_add_i32 s34, s28, 1
	s_cmp_eq_u32 s23, 2
	s_mov_b32 s33, 0
	s_cbranch_scc1 .LBB215_121
; %bb.5:
	v_dual_mov_b32 v1, 0 :: v_dual_mov_b32 v0, 0
	v_mov_b32_e32 v2, v12
	s_and_b32 s33, s34, 28
	s_mov_b32 s35, 0
	s_mov_b64 s[18:19], s[16:17]
	s_mov_b64 s[20:21], s[0:1]
.LBB215_6:                              ; =>This Inner Loop Header: Depth=1
	s_clause 0x1
	s_load_b256 s[36:43], s[20:21], 0x4
	s_load_b128 s[52:55], s[20:21], 0x24
	s_load_b256 s[44:51], s[18:19], 0x0
	s_add_u32 s20, s20, 48
	s_addc_u32 s21, s21, 0
	s_add_i32 s35, s35, 4
	s_add_u32 s18, s18, 32
	s_addc_u32 s19, s19, 0
	s_cmp_lg_u32 s33, s35
	s_waitcnt lgkmcnt(0)
	v_mul_hi_u32 v3, s37, v2
	s_delay_alu instid0(VALU_DEP_1) | instskip(NEXT) | instid1(VALU_DEP_1)
	v_add_nc_u32_e32 v3, v2, v3
	v_lshrrev_b32_e32 v3, s38, v3
	s_delay_alu instid0(VALU_DEP_1) | instskip(SKIP_1) | instid1(VALU_DEP_2)
	v_mul_hi_u32 v4, s40, v3
	v_mul_lo_u32 v6, v3, s36
	v_add_nc_u32_e32 v4, v3, v4
	s_delay_alu instid0(VALU_DEP_2) | instskip(NEXT) | instid1(VALU_DEP_2)
	v_sub_nc_u32_e32 v2, v2, v6
	v_lshrrev_b32_e32 v4, s41, v4
	s_delay_alu instid0(VALU_DEP_2) | instskip(SKIP_1) | instid1(VALU_DEP_3)
	v_mul_lo_u32 v6, v2, s44
	v_mul_lo_u32 v8, v2, s45
	v_mul_hi_u32 v5, s43, v4
	s_delay_alu instid0(VALU_DEP_1) | instskip(NEXT) | instid1(VALU_DEP_1)
	v_add_nc_u32_e32 v5, v4, v5
	v_lshrrev_b32_e32 v5, s52, v5
	s_delay_alu instid0(VALU_DEP_1) | instskip(SKIP_1) | instid1(VALU_DEP_2)
	v_mul_hi_u32 v7, s54, v5
	v_mul_lo_u32 v9, v5, s42
	v_add_nc_u32_e32 v2, v5, v7
	v_mul_lo_u32 v7, v4, s39
	s_delay_alu instid0(VALU_DEP_3) | instskip(NEXT) | instid1(VALU_DEP_3)
	v_sub_nc_u32_e32 v4, v4, v9
	v_lshrrev_b32_e32 v2, s55, v2
	s_delay_alu instid0(VALU_DEP_2) | instskip(SKIP_2) | instid1(VALU_DEP_4)
	v_mul_lo_u32 v9, v4, s48
	v_mul_lo_u32 v4, v4, s49
	v_sub_nc_u32_e32 v3, v3, v7
	v_mul_lo_u32 v10, v2, s53
	s_delay_alu instid0(VALU_DEP_2) | instskip(SKIP_1) | instid1(VALU_DEP_3)
	v_mul_lo_u32 v7, v3, s46
	v_mul_lo_u32 v3, v3, s47
	v_sub_nc_u32_e32 v5, v5, v10
	s_delay_alu instid0(VALU_DEP_3) | instskip(NEXT) | instid1(VALU_DEP_2)
	v_add3_u32 v0, v6, v0, v7
	v_mul_lo_u32 v10, v5, s50
	v_mul_lo_u32 v5, v5, s51
	v_add3_u32 v1, v8, v1, v3
	s_delay_alu instid0(VALU_DEP_3) | instskip(NEXT) | instid1(VALU_DEP_2)
	v_add3_u32 v0, v9, v0, v10
	v_add3_u32 v1, v4, v1, v5
	s_cbranch_scc1 .LBB215_6
	s_branch .LBB215_122
.LBB215_7:
	s_and_not1_saveexec_b32 s2, s25
	s_cbranch_execz .LBB215_206
.LBB215_8:
	v_cndmask_b32_e64 v14, 0, 1, s24
	s_and_not1_b32 vcc_lo, exec_lo, s24
	s_cbranch_vccnz .LBB215_20
; %bb.9:
	v_dual_mov_b32 v0, 0 :: v_dual_mov_b32 v1, 0
	s_cmp_lg_u32 s22, 0
	s_mov_b32 s6, 0
	s_cbranch_scc0 .LBB215_26
; %bb.10:
	s_min_u32 s7, s23, 15
	v_mov_b32_e32 v0, 0
	s_add_i32 s7, s7, 1
	s_cmp_eq_u32 s23, 2
	s_mov_b32 s8, 0
	s_cbranch_scc1 .LBB215_23
; %bb.11:
	v_dual_mov_b32 v1, 0 :: v_dual_mov_b32 v0, 0
	v_mov_b32_e32 v2, v12
	s_add_u32 s2, s0, 0xc4
	s_addc_u32 s3, s1, 0
	s_and_b32 s8, s7, 28
	s_mov_b32 s9, 0
	s_mov_b64 s[4:5], s[0:1]
.LBB215_12:                             ; =>This Inner Loop Header: Depth=1
	s_clause 0x1
	s_load_b256 s[12:19], s[4:5], 0x4
	s_load_b128 s[36:39], s[4:5], 0x24
	s_load_b256 s[24:31], s[2:3], 0x0
	s_add_u32 s4, s4, 48
	s_addc_u32 s5, s5, 0
	s_add_i32 s9, s9, 4
	s_add_u32 s2, s2, 32
	s_addc_u32 s3, s3, 0
	s_cmp_lg_u32 s8, s9
	s_waitcnt lgkmcnt(0)
	v_mul_hi_u32 v3, s13, v2
	s_delay_alu instid0(VALU_DEP_1) | instskip(NEXT) | instid1(VALU_DEP_1)
	v_add_nc_u32_e32 v3, v2, v3
	v_lshrrev_b32_e32 v3, s14, v3
	s_delay_alu instid0(VALU_DEP_1) | instskip(SKIP_1) | instid1(VALU_DEP_2)
	v_mul_hi_u32 v4, s16, v3
	v_mul_lo_u32 v6, v3, s12
	v_add_nc_u32_e32 v4, v3, v4
	s_delay_alu instid0(VALU_DEP_2) | instskip(NEXT) | instid1(VALU_DEP_2)
	v_sub_nc_u32_e32 v2, v2, v6
	v_lshrrev_b32_e32 v4, s17, v4
	s_delay_alu instid0(VALU_DEP_2) | instskip(SKIP_1) | instid1(VALU_DEP_3)
	v_mul_lo_u32 v6, v2, s24
	v_mul_lo_u32 v8, v2, s25
	v_mul_hi_u32 v5, s19, v4
	s_delay_alu instid0(VALU_DEP_1) | instskip(NEXT) | instid1(VALU_DEP_1)
	v_add_nc_u32_e32 v5, v4, v5
	v_lshrrev_b32_e32 v5, s36, v5
	s_delay_alu instid0(VALU_DEP_1) | instskip(SKIP_1) | instid1(VALU_DEP_2)
	v_mul_hi_u32 v7, s38, v5
	v_mul_lo_u32 v9, v5, s18
	v_add_nc_u32_e32 v2, v5, v7
	v_mul_lo_u32 v7, v4, s15
	s_delay_alu instid0(VALU_DEP_3) | instskip(NEXT) | instid1(VALU_DEP_3)
	v_sub_nc_u32_e32 v4, v4, v9
	v_lshrrev_b32_e32 v2, s39, v2
	s_delay_alu instid0(VALU_DEP_2) | instskip(SKIP_2) | instid1(VALU_DEP_4)
	v_mul_lo_u32 v9, v4, s28
	v_mul_lo_u32 v4, v4, s29
	v_sub_nc_u32_e32 v3, v3, v7
	v_mul_lo_u32 v10, v2, s37
	s_delay_alu instid0(VALU_DEP_2) | instskip(SKIP_1) | instid1(VALU_DEP_3)
	v_mul_lo_u32 v7, v3, s26
	v_mul_lo_u32 v3, v3, s27
	v_sub_nc_u32_e32 v5, v5, v10
	s_delay_alu instid0(VALU_DEP_3) | instskip(NEXT) | instid1(VALU_DEP_2)
	v_add3_u32 v0, v6, v0, v7
	v_mul_lo_u32 v10, v5, s30
	v_mul_lo_u32 v5, v5, s31
	v_add3_u32 v1, v8, v1, v3
	s_delay_alu instid0(VALU_DEP_3) | instskip(NEXT) | instid1(VALU_DEP_2)
	v_add3_u32 v0, v9, v0, v10
	v_add3_u32 v1, v4, v1, v5
	s_cbranch_scc1 .LBB215_12
; %bb.13:
	s_and_b32 s7, s7, 3
	s_delay_alu instid0(SALU_CYCLE_1)
	s_cmp_eq_u32 s7, 0
	s_cbranch_scc0 .LBB215_24
	s_branch .LBB215_26
.LBB215_14:
	s_or_b32 exec_lo, exec_lo, s30
	s_delay_alu instid0(SALU_CYCLE_1)
	s_mov_b32 s30, exec_lo
	v_cmpx_gt_i32_e64 s27, v12
	s_cbranch_execz .LBB215_129
.LBB215_15:
	s_and_not1_b32 vcc_lo, exec_lo, s24
	s_cbranch_vccnz .LBB215_22
; %bb.16:
	v_dual_mov_b32 v0, 0 :: v_dual_mov_b32 v1, 0
	s_and_not1_b32 vcc_lo, exec_lo, s29
	s_mov_b32 s31, 0
	s_cbranch_vccnz .LBB215_140
; %bb.17:
	v_mov_b32_e32 v0, 0
	s_add_i32 s34, s28, 1
	s_cmp_eq_u32 s23, 2
	s_mov_b32 s33, 0
	s_cbranch_scc1 .LBB215_136
; %bb.18:
	v_dual_mov_b32 v1, 0 :: v_dual_mov_b32 v0, 0
	v_mov_b32_e32 v2, v12
	s_and_b32 s33, s34, 28
	s_mov_b32 s35, 0
	s_mov_b64 s[18:19], s[16:17]
	s_mov_b64 s[20:21], s[0:1]
.LBB215_19:                             ; =>This Inner Loop Header: Depth=1
	s_clause 0x1
	s_load_b256 s[36:43], s[20:21], 0x4
	s_load_b128 s[52:55], s[20:21], 0x24
	s_load_b256 s[44:51], s[18:19], 0x0
	s_add_u32 s20, s20, 48
	s_addc_u32 s21, s21, 0
	s_add_i32 s35, s35, 4
	s_add_u32 s18, s18, 32
	s_addc_u32 s19, s19, 0
	s_cmp_eq_u32 s33, s35
	s_waitcnt lgkmcnt(0)
	v_mul_hi_u32 v3, s37, v2
	s_delay_alu instid0(VALU_DEP_1) | instskip(NEXT) | instid1(VALU_DEP_1)
	v_add_nc_u32_e32 v3, v2, v3
	v_lshrrev_b32_e32 v3, s38, v3
	s_delay_alu instid0(VALU_DEP_1) | instskip(SKIP_1) | instid1(VALU_DEP_2)
	v_mul_hi_u32 v4, s40, v3
	v_mul_lo_u32 v6, v3, s36
	v_add_nc_u32_e32 v4, v3, v4
	s_delay_alu instid0(VALU_DEP_2) | instskip(NEXT) | instid1(VALU_DEP_2)
	v_sub_nc_u32_e32 v2, v2, v6
	v_lshrrev_b32_e32 v4, s41, v4
	s_delay_alu instid0(VALU_DEP_2) | instskip(SKIP_1) | instid1(VALU_DEP_3)
	v_mul_lo_u32 v6, v2, s44
	v_mul_lo_u32 v8, v2, s45
	v_mul_hi_u32 v5, s43, v4
	s_delay_alu instid0(VALU_DEP_1) | instskip(NEXT) | instid1(VALU_DEP_1)
	v_add_nc_u32_e32 v5, v4, v5
	v_lshrrev_b32_e32 v5, s52, v5
	s_delay_alu instid0(VALU_DEP_1) | instskip(SKIP_1) | instid1(VALU_DEP_2)
	v_mul_hi_u32 v7, s54, v5
	v_mul_lo_u32 v9, v5, s42
	v_add_nc_u32_e32 v2, v5, v7
	v_mul_lo_u32 v7, v4, s39
	s_delay_alu instid0(VALU_DEP_3) | instskip(NEXT) | instid1(VALU_DEP_3)
	v_sub_nc_u32_e32 v4, v4, v9
	v_lshrrev_b32_e32 v2, s55, v2
	s_delay_alu instid0(VALU_DEP_2) | instskip(SKIP_2) | instid1(VALU_DEP_4)
	v_mul_lo_u32 v9, v4, s48
	v_mul_lo_u32 v4, v4, s49
	v_sub_nc_u32_e32 v3, v3, v7
	v_mul_lo_u32 v10, v2, s53
	s_delay_alu instid0(VALU_DEP_2) | instskip(SKIP_1) | instid1(VALU_DEP_3)
	v_mul_lo_u32 v7, v3, s46
	v_mul_lo_u32 v3, v3, s47
	v_sub_nc_u32_e32 v5, v5, v10
	s_delay_alu instid0(VALU_DEP_3) | instskip(NEXT) | instid1(VALU_DEP_2)
	v_add3_u32 v0, v6, v0, v7
	v_mul_lo_u32 v10, v5, s50
	v_mul_lo_u32 v5, v5, s51
	v_add3_u32 v1, v8, v1, v3
	s_delay_alu instid0(VALU_DEP_3) | instskip(NEXT) | instid1(VALU_DEP_2)
	v_add3_u32 v0, v9, v0, v10
	v_add3_u32 v1, v4, v1, v5
	s_cbranch_scc0 .LBB215_19
	s_branch .LBB215_137
.LBB215_20:
	s_mov_b32 s6, -1
                                        ; implicit-def: $vgpr0
                                        ; implicit-def: $vgpr1
	s_branch .LBB215_26
.LBB215_21:
	s_mov_b32 s31, -1
                                        ; implicit-def: $vgpr0
                                        ; implicit-def: $vgpr1
	s_branch .LBB215_125
.LBB215_22:
	s_mov_b32 s31, -1
                                        ; implicit-def: $vgpr0
                                        ; implicit-def: $vgpr1
	s_branch .LBB215_140
.LBB215_23:
	v_dual_mov_b32 v2, v12 :: v_dual_mov_b32 v1, 0
	s_and_b32 s7, s7, 3
	s_delay_alu instid0(SALU_CYCLE_1)
	s_cmp_eq_u32 s7, 0
	s_cbranch_scc1 .LBB215_26
.LBB215_24:
	s_lshl_b32 s2, s8, 3
	s_mul_i32 s4, s8, 12
	s_add_u32 s2, s2, s0
	s_addc_u32 s3, 0, s1
	s_add_u32 s2, s2, 0xc4
	s_addc_u32 s3, s3, 0
	;; [unrolled: 2-line block ×3, first 2 shown]
	.p2align	6
.LBB215_25:                             ; =>This Inner Loop Header: Depth=1
	s_clause 0x1
	s_load_b64 s[8:9], s[4:5], 0x4
	s_load_b32 s12, s[4:5], 0xc
	s_load_b64 s[10:11], s[2:3], 0x0
	s_add_u32 s4, s4, 12
	s_addc_u32 s5, s5, 0
	s_add_u32 s2, s2, 8
	s_addc_u32 s3, s3, 0
	s_add_i32 s7, s7, -1
	s_delay_alu instid0(SALU_CYCLE_1) | instskip(SKIP_2) | instid1(VALU_DEP_1)
	s_cmp_lg_u32 s7, 0
	s_waitcnt lgkmcnt(0)
	v_mul_hi_u32 v3, s9, v2
	v_add_nc_u32_e32 v3, v2, v3
	s_delay_alu instid0(VALU_DEP_1) | instskip(NEXT) | instid1(VALU_DEP_1)
	v_lshrrev_b32_e32 v6, s12, v3
	v_mul_lo_u32 v3, v6, s8
	s_delay_alu instid0(VALU_DEP_1) | instskip(NEXT) | instid1(VALU_DEP_1)
	v_sub_nc_u32_e32 v2, v2, v3
	v_mad_u64_u32 v[3:4], null, v2, s10, v[0:1]
	v_mad_u64_u32 v[4:5], null, v2, s11, v[1:2]
	v_mov_b32_e32 v2, v6
	s_delay_alu instid0(VALU_DEP_2)
	v_dual_mov_b32 v0, v3 :: v_dual_mov_b32 v1, v4
	s_cbranch_scc1 .LBB215_25
.LBB215_26:
	s_and_not1_b32 vcc_lo, exec_lo, s6
	s_cbranch_vccnz .LBB215_29
; %bb.27:
	s_clause 0x1
	s_load_b128 s[4:7], s[0:1], 0x4
	s_load_b64 s[2:3], s[0:1], 0xc4
	s_cmp_lt_u32 s22, 2
	s_waitcnt lgkmcnt(0)
	v_mul_hi_u32 v0, s5, v12
	s_delay_alu instid0(VALU_DEP_1) | instskip(NEXT) | instid1(VALU_DEP_1)
	v_add_nc_u32_e32 v0, v12, v0
	v_lshrrev_b32_e32 v2, s6, v0
	s_delay_alu instid0(VALU_DEP_1) | instskip(NEXT) | instid1(VALU_DEP_1)
	v_mul_lo_u32 v0, v2, s4
	v_sub_nc_u32_e32 v1, v12, v0
	s_delay_alu instid0(VALU_DEP_1)
	v_mul_lo_u32 v0, v1, s2
	v_mul_lo_u32 v1, v1, s3
	s_cbranch_scc1 .LBB215_29
; %bb.28:
	s_clause 0x1
	s_load_b128 s[4:7], s[0:1], 0x10
	s_load_b64 s[2:3], s[0:1], 0xcc
	s_waitcnt lgkmcnt(0)
	v_mul_hi_u32 v3, s5, v2
	s_delay_alu instid0(VALU_DEP_1) | instskip(NEXT) | instid1(VALU_DEP_1)
	v_add_nc_u32_e32 v3, v2, v3
	v_lshrrev_b32_e32 v3, s6, v3
	s_delay_alu instid0(VALU_DEP_1) | instskip(NEXT) | instid1(VALU_DEP_1)
	v_mul_lo_u32 v3, v3, s4
	v_sub_nc_u32_e32 v5, v2, v3
	s_delay_alu instid0(VALU_DEP_1) | instskip(NEXT) | instid1(VALU_DEP_1)
	v_mad_u64_u32 v[2:3], null, v5, s2, v[0:1]
	v_mad_u64_u32 v[3:4], null, v5, s3, v[1:2]
	s_delay_alu instid0(VALU_DEP_1)
	v_dual_mov_b32 v0, v2 :: v_dual_mov_b32 v1, v3
.LBB215_29:
	v_cmp_ne_u32_e32 vcc_lo, 1, v14
	v_add_nc_u32_e32 v4, 0x80, v12
	s_cbranch_vccnz .LBB215_35
; %bb.30:
	v_dual_mov_b32 v2, 0 :: v_dual_mov_b32 v3, 0
	s_cmp_lg_u32 s22, 0
	s_mov_b32 s6, 0
	s_cbranch_scc0 .LBB215_39
; %bb.31:
	s_min_u32 s7, s23, 15
	v_mov_b32_e32 v2, 0
	s_add_i32 s7, s7, 1
	s_cmp_eq_u32 s23, 2
	s_mov_b32 s8, 0
	s_cbranch_scc1 .LBB215_36
; %bb.32:
	v_dual_mov_b32 v3, 0 :: v_dual_mov_b32 v2, 0
	v_mov_b32_e32 v5, v4
	s_add_u32 s2, s0, 0xc4
	s_addc_u32 s3, s1, 0
	s_and_b32 s8, s7, 28
	s_mov_b32 s9, 0
	s_mov_b64 s[4:5], s[0:1]
.LBB215_33:                             ; =>This Inner Loop Header: Depth=1
	s_clause 0x1
	s_load_b256 s[12:19], s[4:5], 0x4
	s_load_b128 s[36:39], s[4:5], 0x24
	s_load_b256 s[24:31], s[2:3], 0x0
	s_add_u32 s4, s4, 48
	s_addc_u32 s5, s5, 0
	s_add_i32 s9, s9, 4
	s_add_u32 s2, s2, 32
	s_addc_u32 s3, s3, 0
	s_cmp_lg_u32 s8, s9
	s_waitcnt lgkmcnt(0)
	v_mul_hi_u32 v6, s13, v5
	s_delay_alu instid0(VALU_DEP_1) | instskip(NEXT) | instid1(VALU_DEP_1)
	v_add_nc_u32_e32 v6, v5, v6
	v_lshrrev_b32_e32 v6, s14, v6
	s_delay_alu instid0(VALU_DEP_1) | instskip(SKIP_1) | instid1(VALU_DEP_2)
	v_mul_hi_u32 v7, s16, v6
	v_mul_lo_u32 v9, v6, s12
	v_add_nc_u32_e32 v7, v6, v7
	s_delay_alu instid0(VALU_DEP_2) | instskip(NEXT) | instid1(VALU_DEP_2)
	v_sub_nc_u32_e32 v5, v5, v9
	v_lshrrev_b32_e32 v7, s17, v7
	s_delay_alu instid0(VALU_DEP_2) | instskip(SKIP_1) | instid1(VALU_DEP_3)
	v_mul_lo_u32 v9, v5, s24
	v_mul_lo_u32 v11, v5, s25
	v_mul_hi_u32 v8, s19, v7
	s_delay_alu instid0(VALU_DEP_1) | instskip(NEXT) | instid1(VALU_DEP_1)
	v_add_nc_u32_e32 v8, v7, v8
	v_lshrrev_b32_e32 v8, s36, v8
	s_delay_alu instid0(VALU_DEP_1) | instskip(SKIP_1) | instid1(VALU_DEP_2)
	v_mul_hi_u32 v10, s38, v8
	v_mul_lo_u32 v13, v8, s18
	v_add_nc_u32_e32 v5, v8, v10
	v_mul_lo_u32 v10, v7, s15
	s_delay_alu instid0(VALU_DEP_3) | instskip(NEXT) | instid1(VALU_DEP_3)
	v_sub_nc_u32_e32 v7, v7, v13
	v_lshrrev_b32_e32 v5, s39, v5
	s_delay_alu instid0(VALU_DEP_2) | instskip(SKIP_2) | instid1(VALU_DEP_4)
	v_mul_lo_u32 v13, v7, s28
	v_mul_lo_u32 v7, v7, s29
	v_sub_nc_u32_e32 v6, v6, v10
	v_mul_lo_u32 v15, v5, s37
	s_delay_alu instid0(VALU_DEP_2) | instskip(SKIP_1) | instid1(VALU_DEP_3)
	v_mul_lo_u32 v10, v6, s26
	v_mul_lo_u32 v6, v6, s27
	v_sub_nc_u32_e32 v8, v8, v15
	s_delay_alu instid0(VALU_DEP_3) | instskip(NEXT) | instid1(VALU_DEP_2)
	v_add3_u32 v2, v9, v2, v10
	v_mul_lo_u32 v15, v8, s30
	v_mul_lo_u32 v8, v8, s31
	v_add3_u32 v3, v11, v3, v6
	s_delay_alu instid0(VALU_DEP_3) | instskip(NEXT) | instid1(VALU_DEP_2)
	v_add3_u32 v2, v13, v2, v15
	v_add3_u32 v3, v7, v3, v8
	s_cbranch_scc1 .LBB215_33
; %bb.34:
	s_and_b32 s7, s7, 3
	s_delay_alu instid0(SALU_CYCLE_1)
	s_cmp_eq_u32 s7, 0
	s_cbranch_scc0 .LBB215_37
	s_branch .LBB215_39
.LBB215_35:
	s_mov_b32 s6, -1
                                        ; implicit-def: $vgpr2
                                        ; implicit-def: $vgpr3
	s_branch .LBB215_39
.LBB215_36:
	v_mov_b32_e32 v5, v4
	v_mov_b32_e32 v3, 0
	s_and_b32 s7, s7, 3
	s_delay_alu instid0(SALU_CYCLE_1)
	s_cmp_eq_u32 s7, 0
	s_cbranch_scc1 .LBB215_39
.LBB215_37:
	s_lshl_b32 s2, s8, 3
	s_mul_i32 s4, s8, 12
	s_add_u32 s2, s2, s0
	s_addc_u32 s3, 0, s1
	s_add_u32 s2, s2, 0xc4
	s_addc_u32 s3, s3, 0
	;; [unrolled: 2-line block ×3, first 2 shown]
	.p2align	6
.LBB215_38:                             ; =>This Inner Loop Header: Depth=1
	s_clause 0x1
	s_load_b64 s[8:9], s[4:5], 0x4
	s_load_b32 s12, s[4:5], 0xc
	s_load_b64 s[10:11], s[2:3], 0x0
	s_add_u32 s4, s4, 12
	s_addc_u32 s5, s5, 0
	s_add_u32 s2, s2, 8
	s_addc_u32 s3, s3, 0
	s_add_i32 s7, s7, -1
	s_delay_alu instid0(SALU_CYCLE_1) | instskip(SKIP_2) | instid1(VALU_DEP_1)
	s_cmp_lg_u32 s7, 0
	s_waitcnt lgkmcnt(0)
	v_mul_hi_u32 v6, s9, v5
	v_add_nc_u32_e32 v6, v5, v6
	s_delay_alu instid0(VALU_DEP_1) | instskip(NEXT) | instid1(VALU_DEP_1)
	v_lshrrev_b32_e32 v9, s12, v6
	v_mul_lo_u32 v6, v9, s8
	s_delay_alu instid0(VALU_DEP_1) | instskip(NEXT) | instid1(VALU_DEP_1)
	v_sub_nc_u32_e32 v5, v5, v6
	v_mad_u64_u32 v[6:7], null, v5, s10, v[2:3]
	v_mad_u64_u32 v[7:8], null, v5, s11, v[3:4]
	s_delay_alu instid0(VALU_DEP_2) | instskip(NEXT) | instid1(VALU_DEP_2)
	v_dual_mov_b32 v5, v9 :: v_dual_mov_b32 v2, v6
	v_mov_b32_e32 v3, v7
	s_cbranch_scc1 .LBB215_38
.LBB215_39:
	s_and_not1_b32 vcc_lo, exec_lo, s6
	s_cbranch_vccnz .LBB215_42
; %bb.40:
	s_clause 0x1
	s_load_b128 s[4:7], s[0:1], 0x4
	s_load_b64 s[2:3], s[0:1], 0xc4
	s_cmp_lt_u32 s22, 2
	s_waitcnt lgkmcnt(0)
	v_mul_hi_u32 v2, s5, v4
	s_delay_alu instid0(VALU_DEP_1) | instskip(NEXT) | instid1(VALU_DEP_1)
	v_add_nc_u32_e32 v2, v4, v2
	v_lshrrev_b32_e32 v5, s6, v2
	s_delay_alu instid0(VALU_DEP_1) | instskip(NEXT) | instid1(VALU_DEP_1)
	v_mul_lo_u32 v2, v5, s4
	v_sub_nc_u32_e32 v3, v4, v2
	s_delay_alu instid0(VALU_DEP_1)
	v_mul_lo_u32 v2, v3, s2
	v_mul_lo_u32 v3, v3, s3
	s_cbranch_scc1 .LBB215_42
; %bb.41:
	s_clause 0x1
	s_load_b128 s[4:7], s[0:1], 0x10
	s_load_b64 s[2:3], s[0:1], 0xcc
	s_waitcnt lgkmcnt(0)
	v_mul_hi_u32 v4, s5, v5
	s_delay_alu instid0(VALU_DEP_1) | instskip(NEXT) | instid1(VALU_DEP_1)
	v_add_nc_u32_e32 v4, v5, v4
	v_lshrrev_b32_e32 v4, s6, v4
	s_delay_alu instid0(VALU_DEP_1) | instskip(NEXT) | instid1(VALU_DEP_1)
	v_mul_lo_u32 v4, v4, s4
	v_sub_nc_u32_e32 v7, v5, v4
	s_delay_alu instid0(VALU_DEP_1) | instskip(NEXT) | instid1(VALU_DEP_1)
	v_mad_u64_u32 v[4:5], null, v7, s2, v[2:3]
	v_mad_u64_u32 v[5:6], null, v7, s3, v[3:4]
	s_delay_alu instid0(VALU_DEP_1)
	v_dual_mov_b32 v2, v4 :: v_dual_mov_b32 v3, v5
.LBB215_42:
	v_cmp_ne_u32_e32 vcc_lo, 1, v14
	v_add_nc_u32_e32 v6, 0x100, v12
	s_cbranch_vccnz .LBB215_48
; %bb.43:
	v_dual_mov_b32 v4, 0 :: v_dual_mov_b32 v5, 0
	s_cmp_lg_u32 s22, 0
	s_mov_b32 s6, 0
	s_cbranch_scc0 .LBB215_52
; %bb.44:
	s_min_u32 s7, s23, 15
	v_mov_b32_e32 v4, 0
	s_add_i32 s7, s7, 1
	s_cmp_eq_u32 s23, 2
	s_mov_b32 s8, 0
	s_cbranch_scc1 .LBB215_49
; %bb.45:
	v_dual_mov_b32 v5, 0 :: v_dual_mov_b32 v4, 0
	v_mov_b32_e32 v7, v6
	s_add_u32 s2, s0, 0xc4
	s_addc_u32 s3, s1, 0
	s_and_b32 s8, s7, 28
	s_mov_b32 s9, 0
	s_mov_b64 s[4:5], s[0:1]
.LBB215_46:                             ; =>This Inner Loop Header: Depth=1
	s_clause 0x1
	s_load_b256 s[12:19], s[4:5], 0x4
	s_load_b128 s[36:39], s[4:5], 0x24
	s_load_b256 s[24:31], s[2:3], 0x0
	s_add_u32 s4, s4, 48
	s_addc_u32 s5, s5, 0
	s_add_i32 s9, s9, 4
	s_add_u32 s2, s2, 32
	s_addc_u32 s3, s3, 0
	s_cmp_lg_u32 s8, s9
	s_waitcnt lgkmcnt(0)
	v_mul_hi_u32 v8, s13, v7
	s_delay_alu instid0(VALU_DEP_1) | instskip(NEXT) | instid1(VALU_DEP_1)
	v_add_nc_u32_e32 v8, v7, v8
	v_lshrrev_b32_e32 v8, s14, v8
	s_delay_alu instid0(VALU_DEP_1) | instskip(SKIP_1) | instid1(VALU_DEP_2)
	v_mul_hi_u32 v9, s16, v8
	v_mul_lo_u32 v11, v8, s12
	v_add_nc_u32_e32 v9, v8, v9
	s_delay_alu instid0(VALU_DEP_2) | instskip(NEXT) | instid1(VALU_DEP_2)
	v_sub_nc_u32_e32 v7, v7, v11
	v_lshrrev_b32_e32 v9, s17, v9
	s_delay_alu instid0(VALU_DEP_2) | instskip(SKIP_1) | instid1(VALU_DEP_3)
	v_mul_lo_u32 v11, v7, s24
	v_mul_lo_u32 v15, v7, s25
	v_mul_hi_u32 v10, s19, v9
	s_delay_alu instid0(VALU_DEP_1) | instskip(NEXT) | instid1(VALU_DEP_1)
	v_add_nc_u32_e32 v10, v9, v10
	v_lshrrev_b32_e32 v10, s36, v10
	s_delay_alu instid0(VALU_DEP_1) | instskip(SKIP_1) | instid1(VALU_DEP_2)
	v_mul_hi_u32 v13, s38, v10
	v_mul_lo_u32 v17, v10, s18
	v_add_nc_u32_e32 v7, v10, v13
	v_mul_lo_u32 v13, v9, s15
	s_delay_alu instid0(VALU_DEP_3) | instskip(NEXT) | instid1(VALU_DEP_3)
	v_sub_nc_u32_e32 v9, v9, v17
	v_lshrrev_b32_e32 v7, s39, v7
	s_delay_alu instid0(VALU_DEP_2) | instskip(SKIP_2) | instid1(VALU_DEP_4)
	v_mul_lo_u32 v17, v9, s28
	v_mul_lo_u32 v9, v9, s29
	v_sub_nc_u32_e32 v8, v8, v13
	v_mul_lo_u32 v18, v7, s37
	s_delay_alu instid0(VALU_DEP_2) | instskip(SKIP_1) | instid1(VALU_DEP_3)
	v_mul_lo_u32 v13, v8, s26
	v_mul_lo_u32 v8, v8, s27
	v_sub_nc_u32_e32 v10, v10, v18
	s_delay_alu instid0(VALU_DEP_3) | instskip(NEXT) | instid1(VALU_DEP_2)
	v_add3_u32 v4, v11, v4, v13
	v_mul_lo_u32 v18, v10, s30
	v_mul_lo_u32 v10, v10, s31
	v_add3_u32 v5, v15, v5, v8
	s_delay_alu instid0(VALU_DEP_3) | instskip(NEXT) | instid1(VALU_DEP_2)
	v_add3_u32 v4, v17, v4, v18
	v_add3_u32 v5, v9, v5, v10
	s_cbranch_scc1 .LBB215_46
; %bb.47:
	s_and_b32 s7, s7, 3
	s_delay_alu instid0(SALU_CYCLE_1)
	s_cmp_eq_u32 s7, 0
	s_cbranch_scc0 .LBB215_50
	s_branch .LBB215_52
.LBB215_48:
	s_mov_b32 s6, -1
                                        ; implicit-def: $vgpr4
                                        ; implicit-def: $vgpr5
	s_branch .LBB215_52
.LBB215_49:
	v_mov_b32_e32 v7, v6
	v_mov_b32_e32 v5, 0
	s_and_b32 s7, s7, 3
	s_delay_alu instid0(SALU_CYCLE_1)
	s_cmp_eq_u32 s7, 0
	s_cbranch_scc1 .LBB215_52
.LBB215_50:
	s_lshl_b32 s2, s8, 3
	s_mul_i32 s4, s8, 12
	s_add_u32 s2, s2, s0
	s_addc_u32 s3, 0, s1
	s_add_u32 s2, s2, 0xc4
	s_addc_u32 s3, s3, 0
	s_add_u32 s4, s0, s4
	s_addc_u32 s5, 0, s1
	.p2align	6
.LBB215_51:                             ; =>This Inner Loop Header: Depth=1
	s_clause 0x1
	s_load_b64 s[8:9], s[4:5], 0x4
	s_load_b32 s12, s[4:5], 0xc
	s_load_b64 s[10:11], s[2:3], 0x0
	s_add_u32 s4, s4, 12
	s_addc_u32 s5, s5, 0
	s_add_u32 s2, s2, 8
	s_addc_u32 s3, s3, 0
	s_add_i32 s7, s7, -1
	s_delay_alu instid0(SALU_CYCLE_1) | instskip(SKIP_2) | instid1(VALU_DEP_1)
	s_cmp_lg_u32 s7, 0
	s_waitcnt lgkmcnt(0)
	v_mul_hi_u32 v8, s9, v7
	v_add_nc_u32_e32 v8, v7, v8
	s_delay_alu instid0(VALU_DEP_1) | instskip(NEXT) | instid1(VALU_DEP_1)
	v_lshrrev_b32_e32 v11, s12, v8
	v_mul_lo_u32 v8, v11, s8
	s_delay_alu instid0(VALU_DEP_1) | instskip(NEXT) | instid1(VALU_DEP_1)
	v_sub_nc_u32_e32 v7, v7, v8
	v_mad_u64_u32 v[8:9], null, v7, s10, v[4:5]
	v_mad_u64_u32 v[9:10], null, v7, s11, v[5:6]
	s_delay_alu instid0(VALU_DEP_2) | instskip(NEXT) | instid1(VALU_DEP_2)
	v_dual_mov_b32 v7, v11 :: v_dual_mov_b32 v4, v8
	v_mov_b32_e32 v5, v9
	s_cbranch_scc1 .LBB215_51
.LBB215_52:
	s_and_not1_b32 vcc_lo, exec_lo, s6
	s_cbranch_vccnz .LBB215_55
; %bb.53:
	s_clause 0x1
	s_load_b128 s[4:7], s[0:1], 0x4
	s_load_b64 s[2:3], s[0:1], 0xc4
	s_cmp_lt_u32 s22, 2
	s_waitcnt lgkmcnt(0)
	v_mul_hi_u32 v4, s5, v6
	s_delay_alu instid0(VALU_DEP_1) | instskip(NEXT) | instid1(VALU_DEP_1)
	v_add_nc_u32_e32 v4, v6, v4
	v_lshrrev_b32_e32 v7, s6, v4
	s_delay_alu instid0(VALU_DEP_1) | instskip(NEXT) | instid1(VALU_DEP_1)
	v_mul_lo_u32 v4, v7, s4
	v_sub_nc_u32_e32 v5, v6, v4
	s_delay_alu instid0(VALU_DEP_1)
	v_mul_lo_u32 v4, v5, s2
	v_mul_lo_u32 v5, v5, s3
	s_cbranch_scc1 .LBB215_55
; %bb.54:
	s_clause 0x1
	s_load_b128 s[4:7], s[0:1], 0x10
	s_load_b64 s[2:3], s[0:1], 0xcc
	s_waitcnt lgkmcnt(0)
	v_mul_hi_u32 v6, s5, v7
	s_delay_alu instid0(VALU_DEP_1) | instskip(NEXT) | instid1(VALU_DEP_1)
	v_add_nc_u32_e32 v6, v7, v6
	v_lshrrev_b32_e32 v6, s6, v6
	s_delay_alu instid0(VALU_DEP_1) | instskip(NEXT) | instid1(VALU_DEP_1)
	v_mul_lo_u32 v6, v6, s4
	v_sub_nc_u32_e32 v9, v7, v6
	s_delay_alu instid0(VALU_DEP_1) | instskip(NEXT) | instid1(VALU_DEP_1)
	v_mad_u64_u32 v[6:7], null, v9, s2, v[4:5]
	v_mad_u64_u32 v[7:8], null, v9, s3, v[5:6]
	s_delay_alu instid0(VALU_DEP_1)
	v_dual_mov_b32 v4, v6 :: v_dual_mov_b32 v5, v7
.LBB215_55:
	v_cmp_ne_u32_e32 vcc_lo, 1, v14
	v_add_nc_u32_e32 v8, 0x180, v12
	s_cbranch_vccnz .LBB215_61
; %bb.56:
	v_dual_mov_b32 v6, 0 :: v_dual_mov_b32 v7, 0
	s_cmp_lg_u32 s22, 0
	s_mov_b32 s6, 0
	s_cbranch_scc0 .LBB215_65
; %bb.57:
	s_min_u32 s7, s23, 15
	v_mov_b32_e32 v6, 0
	s_add_i32 s7, s7, 1
	s_cmp_eq_u32 s23, 2
	s_mov_b32 s8, 0
	s_cbranch_scc1 .LBB215_62
; %bb.58:
	v_dual_mov_b32 v7, 0 :: v_dual_mov_b32 v6, 0
	v_mov_b32_e32 v9, v8
	s_add_u32 s2, s0, 0xc4
	s_addc_u32 s3, s1, 0
	s_and_b32 s8, s7, 28
	s_mov_b32 s9, 0
	s_mov_b64 s[4:5], s[0:1]
.LBB215_59:                             ; =>This Inner Loop Header: Depth=1
	s_clause 0x1
	s_load_b256 s[12:19], s[4:5], 0x4
	s_load_b128 s[36:39], s[4:5], 0x24
	s_load_b256 s[24:31], s[2:3], 0x0
	s_add_u32 s4, s4, 48
	s_addc_u32 s5, s5, 0
	s_add_i32 s9, s9, 4
	s_add_u32 s2, s2, 32
	s_addc_u32 s3, s3, 0
	s_cmp_lg_u32 s8, s9
	s_waitcnt lgkmcnt(0)
	v_mul_hi_u32 v10, s13, v9
	s_delay_alu instid0(VALU_DEP_1) | instskip(NEXT) | instid1(VALU_DEP_1)
	v_add_nc_u32_e32 v10, v9, v10
	v_lshrrev_b32_e32 v10, s14, v10
	s_delay_alu instid0(VALU_DEP_1) | instskip(SKIP_1) | instid1(VALU_DEP_2)
	v_mul_hi_u32 v11, s16, v10
	v_mul_lo_u32 v15, v10, s12
	v_add_nc_u32_e32 v11, v10, v11
	s_delay_alu instid0(VALU_DEP_2) | instskip(NEXT) | instid1(VALU_DEP_2)
	v_sub_nc_u32_e32 v9, v9, v15
	v_lshrrev_b32_e32 v11, s17, v11
	s_delay_alu instid0(VALU_DEP_2) | instskip(SKIP_1) | instid1(VALU_DEP_3)
	v_mul_lo_u32 v15, v9, s24
	v_mul_lo_u32 v18, v9, s25
	v_mul_hi_u32 v13, s19, v11
	s_delay_alu instid0(VALU_DEP_1) | instskip(NEXT) | instid1(VALU_DEP_1)
	v_add_nc_u32_e32 v13, v11, v13
	v_lshrrev_b32_e32 v13, s36, v13
	s_delay_alu instid0(VALU_DEP_1) | instskip(SKIP_1) | instid1(VALU_DEP_2)
	v_mul_hi_u32 v17, s38, v13
	v_mul_lo_u32 v19, v13, s18
	v_add_nc_u32_e32 v9, v13, v17
	v_mul_lo_u32 v17, v11, s15
	s_delay_alu instid0(VALU_DEP_3) | instskip(NEXT) | instid1(VALU_DEP_3)
	v_sub_nc_u32_e32 v11, v11, v19
	v_lshrrev_b32_e32 v9, s39, v9
	s_delay_alu instid0(VALU_DEP_2) | instskip(SKIP_2) | instid1(VALU_DEP_4)
	v_mul_lo_u32 v19, v11, s28
	v_mul_lo_u32 v11, v11, s29
	v_sub_nc_u32_e32 v10, v10, v17
	v_mul_lo_u32 v20, v9, s37
	s_delay_alu instid0(VALU_DEP_2) | instskip(SKIP_1) | instid1(VALU_DEP_3)
	v_mul_lo_u32 v17, v10, s26
	v_mul_lo_u32 v10, v10, s27
	v_sub_nc_u32_e32 v13, v13, v20
	s_delay_alu instid0(VALU_DEP_3) | instskip(NEXT) | instid1(VALU_DEP_2)
	v_add3_u32 v6, v15, v6, v17
	v_mul_lo_u32 v20, v13, s30
	v_mul_lo_u32 v13, v13, s31
	v_add3_u32 v7, v18, v7, v10
	s_delay_alu instid0(VALU_DEP_3) | instskip(NEXT) | instid1(VALU_DEP_2)
	v_add3_u32 v6, v19, v6, v20
	v_add3_u32 v7, v11, v7, v13
	s_cbranch_scc1 .LBB215_59
; %bb.60:
	s_and_b32 s7, s7, 3
	s_delay_alu instid0(SALU_CYCLE_1)
	s_cmp_eq_u32 s7, 0
	s_cbranch_scc0 .LBB215_63
	s_branch .LBB215_65
.LBB215_61:
	s_mov_b32 s6, -1
                                        ; implicit-def: $vgpr6
                                        ; implicit-def: $vgpr7
	s_branch .LBB215_65
.LBB215_62:
	v_mov_b32_e32 v9, v8
	v_mov_b32_e32 v7, 0
	s_and_b32 s7, s7, 3
	s_delay_alu instid0(SALU_CYCLE_1)
	s_cmp_eq_u32 s7, 0
	s_cbranch_scc1 .LBB215_65
.LBB215_63:
	s_lshl_b32 s2, s8, 3
	s_mul_i32 s4, s8, 12
	s_add_u32 s2, s2, s0
	s_addc_u32 s3, 0, s1
	s_add_u32 s2, s2, 0xc4
	s_addc_u32 s3, s3, 0
	;; [unrolled: 2-line block ×3, first 2 shown]
	.p2align	6
.LBB215_64:                             ; =>This Inner Loop Header: Depth=1
	s_clause 0x1
	s_load_b64 s[8:9], s[4:5], 0x4
	s_load_b32 s12, s[4:5], 0xc
	s_load_b64 s[10:11], s[2:3], 0x0
	s_add_u32 s4, s4, 12
	s_addc_u32 s5, s5, 0
	s_add_u32 s2, s2, 8
	s_addc_u32 s3, s3, 0
	s_add_i32 s7, s7, -1
	s_delay_alu instid0(SALU_CYCLE_1) | instskip(SKIP_2) | instid1(VALU_DEP_1)
	s_cmp_lg_u32 s7, 0
	s_waitcnt lgkmcnt(0)
	v_mul_hi_u32 v10, s9, v9
	v_add_nc_u32_e32 v10, v9, v10
	s_delay_alu instid0(VALU_DEP_1) | instskip(NEXT) | instid1(VALU_DEP_1)
	v_lshrrev_b32_e32 v13, s12, v10
	v_mul_lo_u32 v10, v13, s8
	s_delay_alu instid0(VALU_DEP_1) | instskip(NEXT) | instid1(VALU_DEP_1)
	v_sub_nc_u32_e32 v9, v9, v10
	v_mad_u64_u32 v[10:11], null, v9, s10, v[6:7]
	v_mad_u64_u32 v[17:18], null, v9, s11, v[7:8]
	s_delay_alu instid0(VALU_DEP_2) | instskip(NEXT) | instid1(VALU_DEP_2)
	v_dual_mov_b32 v9, v13 :: v_dual_mov_b32 v6, v10
	v_mov_b32_e32 v7, v17
	s_cbranch_scc1 .LBB215_64
.LBB215_65:
	s_and_not1_b32 vcc_lo, exec_lo, s6
	s_cbranch_vccnz .LBB215_68
; %bb.66:
	s_clause 0x1
	s_load_b128 s[4:7], s[0:1], 0x4
	s_load_b64 s[2:3], s[0:1], 0xc4
	s_cmp_lt_u32 s22, 2
	s_waitcnt lgkmcnt(0)
	v_mul_hi_u32 v6, s5, v8
	s_delay_alu instid0(VALU_DEP_1) | instskip(NEXT) | instid1(VALU_DEP_1)
	v_add_nc_u32_e32 v6, v8, v6
	v_lshrrev_b32_e32 v9, s6, v6
	s_delay_alu instid0(VALU_DEP_1) | instskip(NEXT) | instid1(VALU_DEP_1)
	v_mul_lo_u32 v6, v9, s4
	v_sub_nc_u32_e32 v7, v8, v6
	s_delay_alu instid0(VALU_DEP_1)
	v_mul_lo_u32 v6, v7, s2
	v_mul_lo_u32 v7, v7, s3
	s_cbranch_scc1 .LBB215_68
; %bb.67:
	s_clause 0x1
	s_load_b128 s[4:7], s[0:1], 0x10
	s_load_b64 s[2:3], s[0:1], 0xcc
	s_waitcnt lgkmcnt(0)
	v_mul_hi_u32 v8, s5, v9
	s_delay_alu instid0(VALU_DEP_1) | instskip(NEXT) | instid1(VALU_DEP_1)
	v_add_nc_u32_e32 v8, v9, v8
	v_lshrrev_b32_e32 v8, s6, v8
	s_delay_alu instid0(VALU_DEP_1) | instskip(NEXT) | instid1(VALU_DEP_1)
	v_mul_lo_u32 v8, v8, s4
	v_sub_nc_u32_e32 v11, v9, v8
	s_delay_alu instid0(VALU_DEP_1) | instskip(NEXT) | instid1(VALU_DEP_1)
	v_mad_u64_u32 v[8:9], null, v11, s2, v[6:7]
	v_mad_u64_u32 v[9:10], null, v11, s3, v[7:8]
	s_delay_alu instid0(VALU_DEP_1)
	v_dual_mov_b32 v6, v8 :: v_dual_mov_b32 v7, v9
.LBB215_68:
	v_cmp_ne_u32_e32 vcc_lo, 1, v14
	v_add_nc_u32_e32 v10, 0x200, v12
	s_cbranch_vccnz .LBB215_74
; %bb.69:
	v_dual_mov_b32 v8, 0 :: v_dual_mov_b32 v9, 0
	s_cmp_lg_u32 s22, 0
	s_mov_b32 s6, 0
	s_cbranch_scc0 .LBB215_78
; %bb.70:
	s_min_u32 s7, s23, 15
	v_mov_b32_e32 v8, 0
	s_add_i32 s7, s7, 1
	s_cmp_eq_u32 s23, 2
	s_mov_b32 s8, 0
	s_cbranch_scc1 .LBB215_75
; %bb.71:
	v_dual_mov_b32 v9, 0 :: v_dual_mov_b32 v8, 0
	v_mov_b32_e32 v11, v10
	s_add_u32 s2, s0, 0xc4
	s_addc_u32 s3, s1, 0
	s_and_b32 s8, s7, 28
	s_mov_b32 s9, 0
	s_mov_b64 s[4:5], s[0:1]
.LBB215_72:                             ; =>This Inner Loop Header: Depth=1
	s_clause 0x1
	s_load_b256 s[12:19], s[4:5], 0x4
	s_load_b128 s[36:39], s[4:5], 0x24
	s_load_b256 s[24:31], s[2:3], 0x0
	s_add_u32 s4, s4, 48
	s_addc_u32 s5, s5, 0
	s_add_i32 s9, s9, 4
	s_add_u32 s2, s2, 32
	s_addc_u32 s3, s3, 0
	s_cmp_lg_u32 s8, s9
	s_waitcnt lgkmcnt(0)
	v_mul_hi_u32 v13, s13, v11
	s_delay_alu instid0(VALU_DEP_1) | instskip(NEXT) | instid1(VALU_DEP_1)
	v_add_nc_u32_e32 v13, v11, v13
	v_lshrrev_b32_e32 v13, s14, v13
	s_delay_alu instid0(VALU_DEP_1) | instskip(SKIP_1) | instid1(VALU_DEP_2)
	v_mul_hi_u32 v15, s16, v13
	v_mul_lo_u32 v18, v13, s12
	v_add_nc_u32_e32 v15, v13, v15
	s_delay_alu instid0(VALU_DEP_2) | instskip(NEXT) | instid1(VALU_DEP_2)
	v_sub_nc_u32_e32 v11, v11, v18
	v_lshrrev_b32_e32 v15, s17, v15
	s_delay_alu instid0(VALU_DEP_2) | instskip(SKIP_1) | instid1(VALU_DEP_3)
	v_mul_lo_u32 v18, v11, s24
	v_mul_lo_u32 v20, v11, s25
	v_mul_hi_u32 v17, s19, v15
	s_delay_alu instid0(VALU_DEP_1) | instskip(NEXT) | instid1(VALU_DEP_1)
	v_add_nc_u32_e32 v17, v15, v17
	v_lshrrev_b32_e32 v17, s36, v17
	s_delay_alu instid0(VALU_DEP_1) | instskip(SKIP_1) | instid1(VALU_DEP_2)
	v_mul_hi_u32 v19, s38, v17
	v_mul_lo_u32 v21, v17, s18
	v_add_nc_u32_e32 v11, v17, v19
	v_mul_lo_u32 v19, v15, s15
	s_delay_alu instid0(VALU_DEP_3) | instskip(NEXT) | instid1(VALU_DEP_3)
	v_sub_nc_u32_e32 v15, v15, v21
	v_lshrrev_b32_e32 v11, s39, v11
	s_delay_alu instid0(VALU_DEP_2) | instskip(SKIP_2) | instid1(VALU_DEP_4)
	v_mul_lo_u32 v21, v15, s28
	v_mul_lo_u32 v15, v15, s29
	v_sub_nc_u32_e32 v13, v13, v19
	v_mul_lo_u32 v22, v11, s37
	s_delay_alu instid0(VALU_DEP_2) | instskip(SKIP_1) | instid1(VALU_DEP_3)
	v_mul_lo_u32 v19, v13, s26
	v_mul_lo_u32 v13, v13, s27
	v_sub_nc_u32_e32 v17, v17, v22
	s_delay_alu instid0(VALU_DEP_3) | instskip(NEXT) | instid1(VALU_DEP_2)
	v_add3_u32 v8, v18, v8, v19
	v_mul_lo_u32 v22, v17, s30
	v_mul_lo_u32 v17, v17, s31
	v_add3_u32 v9, v20, v9, v13
	s_delay_alu instid0(VALU_DEP_3) | instskip(NEXT) | instid1(VALU_DEP_2)
	v_add3_u32 v8, v21, v8, v22
	v_add3_u32 v9, v15, v9, v17
	s_cbranch_scc1 .LBB215_72
; %bb.73:
	s_and_b32 s7, s7, 3
	s_delay_alu instid0(SALU_CYCLE_1)
	s_cmp_eq_u32 s7, 0
	s_cbranch_scc0 .LBB215_76
	s_branch .LBB215_78
.LBB215_74:
	s_mov_b32 s6, -1
                                        ; implicit-def: $vgpr8
                                        ; implicit-def: $vgpr9
	s_branch .LBB215_78
.LBB215_75:
	v_mov_b32_e32 v11, v10
	v_mov_b32_e32 v9, 0
	s_and_b32 s7, s7, 3
	s_delay_alu instid0(SALU_CYCLE_1)
	s_cmp_eq_u32 s7, 0
	s_cbranch_scc1 .LBB215_78
.LBB215_76:
	s_lshl_b32 s2, s8, 3
	s_mul_i32 s4, s8, 12
	s_add_u32 s2, s2, s0
	s_addc_u32 s3, 0, s1
	s_add_u32 s2, s2, 0xc4
	s_addc_u32 s3, s3, 0
	s_add_u32 s4, s0, s4
	s_addc_u32 s5, 0, s1
	.p2align	6
.LBB215_77:                             ; =>This Inner Loop Header: Depth=1
	s_clause 0x1
	s_load_b64 s[8:9], s[4:5], 0x4
	s_load_b32 s12, s[4:5], 0xc
	s_load_b64 s[10:11], s[2:3], 0x0
	s_add_u32 s4, s4, 12
	s_addc_u32 s5, s5, 0
	s_add_u32 s2, s2, 8
	s_addc_u32 s3, s3, 0
	s_add_i32 s7, s7, -1
	s_delay_alu instid0(SALU_CYCLE_1) | instskip(SKIP_2) | instid1(VALU_DEP_1)
	s_cmp_lg_u32 s7, 0
	s_waitcnt lgkmcnt(0)
	v_mul_hi_u32 v13, s9, v11
	v_add_nc_u32_e32 v13, v11, v13
	s_delay_alu instid0(VALU_DEP_1) | instskip(NEXT) | instid1(VALU_DEP_1)
	v_lshrrev_b32_e32 v13, s12, v13
	v_mul_lo_u32 v15, v13, s8
	s_delay_alu instid0(VALU_DEP_1) | instskip(NEXT) | instid1(VALU_DEP_1)
	v_sub_nc_u32_e32 v11, v11, v15
	v_mad_u64_u32 v[17:18], null, v11, s10, v[8:9]
	v_mad_u64_u32 v[18:19], null, v11, s11, v[9:10]
	v_mov_b32_e32 v11, v13
	s_delay_alu instid0(VALU_DEP_2)
	v_dual_mov_b32 v8, v17 :: v_dual_mov_b32 v9, v18
	s_cbranch_scc1 .LBB215_77
.LBB215_78:
	s_and_not1_b32 vcc_lo, exec_lo, s6
	s_cbranch_vccnz .LBB215_81
; %bb.79:
	s_clause 0x1
	s_load_b128 s[4:7], s[0:1], 0x4
	s_load_b64 s[2:3], s[0:1], 0xc4
	s_cmp_lt_u32 s22, 2
	s_waitcnt lgkmcnt(0)
	v_mul_hi_u32 v8, s5, v10
	s_delay_alu instid0(VALU_DEP_1) | instskip(NEXT) | instid1(VALU_DEP_1)
	v_add_nc_u32_e32 v8, v10, v8
	v_lshrrev_b32_e32 v11, s6, v8
	s_delay_alu instid0(VALU_DEP_1) | instskip(NEXT) | instid1(VALU_DEP_1)
	v_mul_lo_u32 v8, v11, s4
	v_sub_nc_u32_e32 v9, v10, v8
	s_delay_alu instid0(VALU_DEP_1)
	v_mul_lo_u32 v8, v9, s2
	v_mul_lo_u32 v9, v9, s3
	s_cbranch_scc1 .LBB215_81
; %bb.80:
	s_clause 0x1
	s_load_b128 s[4:7], s[0:1], 0x10
	s_load_b64 s[2:3], s[0:1], 0xcc
	s_waitcnt lgkmcnt(0)
	v_mul_hi_u32 v10, s5, v11
	s_delay_alu instid0(VALU_DEP_1) | instskip(NEXT) | instid1(VALU_DEP_1)
	v_add_nc_u32_e32 v10, v11, v10
	v_lshrrev_b32_e32 v10, s6, v10
	s_delay_alu instid0(VALU_DEP_1) | instskip(NEXT) | instid1(VALU_DEP_1)
	v_mul_lo_u32 v10, v10, s4
	v_sub_nc_u32_e32 v13, v11, v10
	s_delay_alu instid0(VALU_DEP_1) | instskip(NEXT) | instid1(VALU_DEP_1)
	v_mad_u64_u32 v[10:11], null, v13, s2, v[8:9]
	v_mad_u64_u32 v[17:18], null, v13, s3, v[9:10]
	s_delay_alu instid0(VALU_DEP_1)
	v_dual_mov_b32 v8, v10 :: v_dual_mov_b32 v9, v17
.LBB215_81:
	v_cmp_ne_u32_e32 vcc_lo, 1, v14
	v_add_nc_u32_e32 v13, 0x280, v12
	s_cbranch_vccnz .LBB215_87
; %bb.82:
	v_dual_mov_b32 v10, 0 :: v_dual_mov_b32 v11, 0
	s_cmp_lg_u32 s22, 0
	s_mov_b32 s6, 0
	s_cbranch_scc0 .LBB215_91
; %bb.83:
	s_min_u32 s7, s23, 15
	v_mov_b32_e32 v10, 0
	s_add_i32 s7, s7, 1
	s_cmp_eq_u32 s23, 2
	s_mov_b32 s8, 0
	s_cbranch_scc1 .LBB215_88
; %bb.84:
	v_dual_mov_b32 v11, 0 :: v_dual_mov_b32 v10, 0
	v_mov_b32_e32 v15, v13
	s_add_u32 s2, s0, 0xc4
	s_addc_u32 s3, s1, 0
	s_and_b32 s8, s7, 28
	s_mov_b32 s9, 0
	s_mov_b64 s[4:5], s[0:1]
.LBB215_85:                             ; =>This Inner Loop Header: Depth=1
	s_clause 0x1
	s_load_b256 s[12:19], s[4:5], 0x4
	s_load_b128 s[36:39], s[4:5], 0x24
	s_load_b256 s[24:31], s[2:3], 0x0
	s_add_u32 s4, s4, 48
	s_addc_u32 s5, s5, 0
	s_add_i32 s9, s9, 4
	s_add_u32 s2, s2, 32
	s_addc_u32 s3, s3, 0
	s_cmp_lg_u32 s8, s9
	s_waitcnt lgkmcnt(0)
	v_mul_hi_u32 v17, s13, v15
	s_delay_alu instid0(VALU_DEP_1) | instskip(NEXT) | instid1(VALU_DEP_1)
	v_add_nc_u32_e32 v17, v15, v17
	v_lshrrev_b32_e32 v17, s14, v17
	s_delay_alu instid0(VALU_DEP_1) | instskip(SKIP_1) | instid1(VALU_DEP_2)
	v_mul_hi_u32 v18, s16, v17
	v_mul_lo_u32 v20, v17, s12
	v_add_nc_u32_e32 v18, v17, v18
	s_delay_alu instid0(VALU_DEP_2) | instskip(NEXT) | instid1(VALU_DEP_2)
	v_sub_nc_u32_e32 v15, v15, v20
	v_lshrrev_b32_e32 v18, s17, v18
	s_delay_alu instid0(VALU_DEP_2) | instskip(SKIP_1) | instid1(VALU_DEP_3)
	v_mul_lo_u32 v20, v15, s24
	v_mul_lo_u32 v22, v15, s25
	v_mul_hi_u32 v19, s19, v18
	s_delay_alu instid0(VALU_DEP_1) | instskip(NEXT) | instid1(VALU_DEP_1)
	v_add_nc_u32_e32 v19, v18, v19
	v_lshrrev_b32_e32 v19, s36, v19
	s_delay_alu instid0(VALU_DEP_1) | instskip(SKIP_1) | instid1(VALU_DEP_2)
	v_mul_hi_u32 v21, s38, v19
	v_mul_lo_u32 v23, v19, s18
	v_add_nc_u32_e32 v15, v19, v21
	v_mul_lo_u32 v21, v18, s15
	s_delay_alu instid0(VALU_DEP_3) | instskip(NEXT) | instid1(VALU_DEP_3)
	v_sub_nc_u32_e32 v18, v18, v23
	v_lshrrev_b32_e32 v15, s39, v15
	s_delay_alu instid0(VALU_DEP_2) | instskip(SKIP_2) | instid1(VALU_DEP_4)
	v_mul_lo_u32 v23, v18, s28
	v_mul_lo_u32 v18, v18, s29
	v_sub_nc_u32_e32 v17, v17, v21
	v_mul_lo_u32 v24, v15, s37
	s_delay_alu instid0(VALU_DEP_2) | instskip(SKIP_1) | instid1(VALU_DEP_3)
	v_mul_lo_u32 v21, v17, s26
	v_mul_lo_u32 v17, v17, s27
	v_sub_nc_u32_e32 v19, v19, v24
	s_delay_alu instid0(VALU_DEP_3) | instskip(NEXT) | instid1(VALU_DEP_2)
	v_add3_u32 v10, v20, v10, v21
	v_mul_lo_u32 v24, v19, s30
	v_mul_lo_u32 v19, v19, s31
	v_add3_u32 v11, v22, v11, v17
	s_delay_alu instid0(VALU_DEP_3) | instskip(NEXT) | instid1(VALU_DEP_2)
	v_add3_u32 v10, v23, v10, v24
	v_add3_u32 v11, v18, v11, v19
	s_cbranch_scc1 .LBB215_85
; %bb.86:
	s_and_b32 s7, s7, 3
	s_delay_alu instid0(SALU_CYCLE_1)
	s_cmp_eq_u32 s7, 0
	s_cbranch_scc0 .LBB215_89
	s_branch .LBB215_91
.LBB215_87:
	s_mov_b32 s6, -1
                                        ; implicit-def: $vgpr10
                                        ; implicit-def: $vgpr11
	s_branch .LBB215_91
.LBB215_88:
	v_mov_b32_e32 v15, v13
	v_mov_b32_e32 v11, 0
	s_and_b32 s7, s7, 3
	s_delay_alu instid0(SALU_CYCLE_1)
	s_cmp_eq_u32 s7, 0
	s_cbranch_scc1 .LBB215_91
.LBB215_89:
	s_lshl_b32 s2, s8, 3
	s_mul_i32 s4, s8, 12
	s_add_u32 s2, s2, s0
	s_addc_u32 s3, 0, s1
	s_add_u32 s2, s2, 0xc4
	s_addc_u32 s3, s3, 0
	;; [unrolled: 2-line block ×3, first 2 shown]
	.p2align	6
.LBB215_90:                             ; =>This Inner Loop Header: Depth=1
	s_clause 0x1
	s_load_b64 s[8:9], s[4:5], 0x4
	s_load_b32 s12, s[4:5], 0xc
	s_load_b64 s[10:11], s[2:3], 0x0
	s_add_u32 s4, s4, 12
	s_addc_u32 s5, s5, 0
	s_add_u32 s2, s2, 8
	s_addc_u32 s3, s3, 0
	s_add_i32 s7, s7, -1
	s_delay_alu instid0(SALU_CYCLE_1) | instskip(SKIP_2) | instid1(VALU_DEP_1)
	s_cmp_lg_u32 s7, 0
	s_waitcnt lgkmcnt(0)
	v_mul_hi_u32 v17, s9, v15
	v_add_nc_u32_e32 v17, v15, v17
	s_delay_alu instid0(VALU_DEP_1) | instskip(NEXT) | instid1(VALU_DEP_1)
	v_lshrrev_b32_e32 v20, s12, v17
	v_mul_lo_u32 v17, v20, s8
	s_delay_alu instid0(VALU_DEP_1) | instskip(NEXT) | instid1(VALU_DEP_1)
	v_sub_nc_u32_e32 v15, v15, v17
	v_mad_u64_u32 v[17:18], null, v15, s10, v[10:11]
	v_mad_u64_u32 v[18:19], null, v15, s11, v[11:12]
	s_delay_alu instid0(VALU_DEP_2) | instskip(NEXT) | instid1(VALU_DEP_2)
	v_dual_mov_b32 v15, v20 :: v_dual_mov_b32 v10, v17
	v_mov_b32_e32 v11, v18
	s_cbranch_scc1 .LBB215_90
.LBB215_91:
	s_and_not1_b32 vcc_lo, exec_lo, s6
	s_cbranch_vccnz .LBB215_94
; %bb.92:
	s_clause 0x1
	s_load_b128 s[4:7], s[0:1], 0x4
	s_load_b64 s[2:3], s[0:1], 0xc4
	s_cmp_lt_u32 s22, 2
	s_waitcnt lgkmcnt(0)
	v_mul_hi_u32 v10, s5, v13
	s_delay_alu instid0(VALU_DEP_1) | instskip(NEXT) | instid1(VALU_DEP_1)
	v_add_nc_u32_e32 v10, v13, v10
	v_lshrrev_b32_e32 v15, s6, v10
	s_delay_alu instid0(VALU_DEP_1) | instskip(NEXT) | instid1(VALU_DEP_1)
	v_mul_lo_u32 v10, v15, s4
	v_sub_nc_u32_e32 v11, v13, v10
	s_delay_alu instid0(VALU_DEP_1)
	v_mul_lo_u32 v10, v11, s2
	v_mul_lo_u32 v11, v11, s3
	s_cbranch_scc1 .LBB215_94
; %bb.93:
	s_clause 0x1
	s_load_b128 s[4:7], s[0:1], 0x10
	s_load_b64 s[2:3], s[0:1], 0xcc
	s_waitcnt lgkmcnt(0)
	v_mul_hi_u32 v13, s5, v15
	s_delay_alu instid0(VALU_DEP_1) | instskip(NEXT) | instid1(VALU_DEP_1)
	v_add_nc_u32_e32 v13, v15, v13
	v_lshrrev_b32_e32 v13, s6, v13
	s_delay_alu instid0(VALU_DEP_1) | instskip(NEXT) | instid1(VALU_DEP_1)
	v_mul_lo_u32 v13, v13, s4
	v_sub_nc_u32_e32 v13, v15, v13
	s_delay_alu instid0(VALU_DEP_1) | instskip(SKIP_1) | instid1(VALU_DEP_1)
	v_mad_u64_u32 v[17:18], null, v13, s2, v[10:11]
	v_mad_u64_u32 v[18:19], null, v13, s3, v[11:12]
	v_dual_mov_b32 v10, v17 :: v_dual_mov_b32 v11, v18
.LBB215_94:
	v_cmp_ne_u32_e32 vcc_lo, 1, v14
	v_add_nc_u32_e32 v15, 0x300, v12
	s_cbranch_vccnz .LBB215_100
; %bb.95:
	v_dual_mov_b32 v12, 0 :: v_dual_mov_b32 v13, 0
	s_cmp_lg_u32 s22, 0
	s_mov_b32 s6, 0
	s_cbranch_scc0 .LBB215_104
; %bb.96:
	s_min_u32 s7, s23, 15
	v_mov_b32_e32 v12, 0
	s_add_i32 s7, s7, 1
	s_cmp_eq_u32 s23, 2
	s_mov_b32 s8, 0
	s_cbranch_scc1 .LBB215_101
; %bb.97:
	v_dual_mov_b32 v13, 0 :: v_dual_mov_b32 v12, 0
	v_mov_b32_e32 v17, v15
	s_add_u32 s2, s0, 0xc4
	s_addc_u32 s3, s1, 0
	s_and_b32 s8, s7, 28
	s_mov_b32 s9, 0
	s_mov_b64 s[4:5], s[0:1]
.LBB215_98:                             ; =>This Inner Loop Header: Depth=1
	s_clause 0x1
	s_load_b256 s[12:19], s[4:5], 0x4
	s_load_b128 s[36:39], s[4:5], 0x24
	s_load_b256 s[24:31], s[2:3], 0x0
	s_add_u32 s4, s4, 48
	s_addc_u32 s5, s5, 0
	s_add_i32 s9, s9, 4
	s_add_u32 s2, s2, 32
	s_addc_u32 s3, s3, 0
	s_cmp_lg_u32 s8, s9
	s_waitcnt lgkmcnt(0)
	v_mul_hi_u32 v18, s13, v17
	s_delay_alu instid0(VALU_DEP_1) | instskip(NEXT) | instid1(VALU_DEP_1)
	v_add_nc_u32_e32 v18, v17, v18
	v_lshrrev_b32_e32 v18, s14, v18
	s_delay_alu instid0(VALU_DEP_1) | instskip(SKIP_1) | instid1(VALU_DEP_2)
	v_mul_hi_u32 v19, s16, v18
	v_mul_lo_u32 v21, v18, s12
	v_add_nc_u32_e32 v19, v18, v19
	s_delay_alu instid0(VALU_DEP_2) | instskip(NEXT) | instid1(VALU_DEP_2)
	v_sub_nc_u32_e32 v17, v17, v21
	v_lshrrev_b32_e32 v19, s17, v19
	s_delay_alu instid0(VALU_DEP_2) | instskip(SKIP_1) | instid1(VALU_DEP_3)
	v_mul_lo_u32 v21, v17, s24
	v_mul_lo_u32 v23, v17, s25
	v_mul_hi_u32 v20, s19, v19
	s_delay_alu instid0(VALU_DEP_1) | instskip(NEXT) | instid1(VALU_DEP_1)
	v_add_nc_u32_e32 v20, v19, v20
	v_lshrrev_b32_e32 v20, s36, v20
	s_delay_alu instid0(VALU_DEP_1) | instskip(SKIP_1) | instid1(VALU_DEP_2)
	v_mul_hi_u32 v22, s38, v20
	v_mul_lo_u32 v24, v20, s18
	v_add_nc_u32_e32 v17, v20, v22
	v_mul_lo_u32 v22, v19, s15
	s_delay_alu instid0(VALU_DEP_3) | instskip(NEXT) | instid1(VALU_DEP_3)
	v_sub_nc_u32_e32 v19, v19, v24
	v_lshrrev_b32_e32 v17, s39, v17
	s_delay_alu instid0(VALU_DEP_2) | instskip(SKIP_2) | instid1(VALU_DEP_4)
	v_mul_lo_u32 v24, v19, s28
	v_mul_lo_u32 v19, v19, s29
	v_sub_nc_u32_e32 v18, v18, v22
	v_mul_lo_u32 v25, v17, s37
	s_delay_alu instid0(VALU_DEP_2) | instskip(SKIP_1) | instid1(VALU_DEP_3)
	v_mul_lo_u32 v22, v18, s26
	v_mul_lo_u32 v18, v18, s27
	v_sub_nc_u32_e32 v20, v20, v25
	s_delay_alu instid0(VALU_DEP_3) | instskip(NEXT) | instid1(VALU_DEP_2)
	v_add3_u32 v12, v21, v12, v22
	v_mul_lo_u32 v25, v20, s30
	v_mul_lo_u32 v20, v20, s31
	v_add3_u32 v13, v23, v13, v18
	s_delay_alu instid0(VALU_DEP_3) | instskip(NEXT) | instid1(VALU_DEP_2)
	v_add3_u32 v12, v24, v12, v25
	v_add3_u32 v13, v19, v13, v20
	s_cbranch_scc1 .LBB215_98
; %bb.99:
	s_and_b32 s7, s7, 3
	s_delay_alu instid0(SALU_CYCLE_1)
	s_cmp_eq_u32 s7, 0
	s_cbranch_scc0 .LBB215_102
	s_branch .LBB215_104
.LBB215_100:
	s_mov_b32 s6, -1
                                        ; implicit-def: $vgpr12
                                        ; implicit-def: $vgpr13
	s_branch .LBB215_104
.LBB215_101:
	v_mov_b32_e32 v17, v15
	v_mov_b32_e32 v13, 0
	s_and_b32 s7, s7, 3
	s_delay_alu instid0(SALU_CYCLE_1)
	s_cmp_eq_u32 s7, 0
	s_cbranch_scc1 .LBB215_104
.LBB215_102:
	s_lshl_b32 s2, s8, 3
	s_mul_i32 s4, s8, 12
	s_add_u32 s2, s2, s0
	s_addc_u32 s3, 0, s1
	s_add_u32 s2, s2, 0xc4
	s_addc_u32 s3, s3, 0
	;; [unrolled: 2-line block ×3, first 2 shown]
	.p2align	6
.LBB215_103:                            ; =>This Inner Loop Header: Depth=1
	s_clause 0x1
	s_load_b64 s[8:9], s[4:5], 0x4
	s_load_b32 s12, s[4:5], 0xc
	s_load_b64 s[10:11], s[2:3], 0x0
	s_add_u32 s4, s4, 12
	s_addc_u32 s5, s5, 0
	s_add_u32 s2, s2, 8
	s_addc_u32 s3, s3, 0
	s_add_i32 s7, s7, -1
	s_delay_alu instid0(SALU_CYCLE_1) | instskip(SKIP_2) | instid1(VALU_DEP_1)
	s_cmp_lg_u32 s7, 0
	s_waitcnt lgkmcnt(0)
	v_mul_hi_u32 v18, s9, v17
	v_add_nc_u32_e32 v18, v17, v18
	s_delay_alu instid0(VALU_DEP_1) | instskip(NEXT) | instid1(VALU_DEP_1)
	v_lshrrev_b32_e32 v21, s12, v18
	v_mul_lo_u32 v18, v21, s8
	s_delay_alu instid0(VALU_DEP_1) | instskip(NEXT) | instid1(VALU_DEP_1)
	v_sub_nc_u32_e32 v17, v17, v18
	v_mad_u64_u32 v[18:19], null, v17, s10, v[12:13]
	v_mad_u64_u32 v[19:20], null, v17, s11, v[13:14]
	s_delay_alu instid0(VALU_DEP_2) | instskip(NEXT) | instid1(VALU_DEP_2)
	v_dual_mov_b32 v17, v21 :: v_dual_mov_b32 v12, v18
	v_mov_b32_e32 v13, v19
	s_cbranch_scc1 .LBB215_103
.LBB215_104:
	s_and_not1_b32 vcc_lo, exec_lo, s6
	s_cbranch_vccnz .LBB215_107
; %bb.105:
	s_clause 0x1
	s_load_b128 s[4:7], s[0:1], 0x4
	s_load_b64 s[2:3], s[0:1], 0xc4
	s_cmp_lt_u32 s22, 2
	s_waitcnt lgkmcnt(0)
	v_mul_hi_u32 v12, s5, v15
	s_delay_alu instid0(VALU_DEP_1) | instskip(NEXT) | instid1(VALU_DEP_1)
	v_add_nc_u32_e32 v12, v15, v12
	v_lshrrev_b32_e32 v17, s6, v12
	s_delay_alu instid0(VALU_DEP_1) | instskip(NEXT) | instid1(VALU_DEP_1)
	v_mul_lo_u32 v12, v17, s4
	v_sub_nc_u32_e32 v13, v15, v12
	s_delay_alu instid0(VALU_DEP_1)
	v_mul_lo_u32 v12, v13, s2
	v_mul_lo_u32 v13, v13, s3
	s_cbranch_scc1 .LBB215_107
; %bb.106:
	s_clause 0x1
	s_load_b128 s[4:7], s[0:1], 0x10
	s_load_b64 s[2:3], s[0:1], 0xcc
	s_waitcnt lgkmcnt(0)
	v_mul_hi_u32 v15, s5, v17
	s_delay_alu instid0(VALU_DEP_1) | instskip(NEXT) | instid1(VALU_DEP_1)
	v_add_nc_u32_e32 v15, v17, v15
	v_lshrrev_b32_e32 v15, s6, v15
	s_delay_alu instid0(VALU_DEP_1) | instskip(NEXT) | instid1(VALU_DEP_1)
	v_mul_lo_u32 v15, v15, s4
	v_sub_nc_u32_e32 v15, v17, v15
	s_delay_alu instid0(VALU_DEP_1) | instskip(SKIP_1) | instid1(VALU_DEP_1)
	v_mad_u64_u32 v[17:18], null, v15, s2, v[12:13]
	v_mad_u64_u32 v[18:19], null, v15, s3, v[13:14]
	v_dual_mov_b32 v12, v17 :: v_dual_mov_b32 v13, v18
.LBB215_107:
	v_cmp_ne_u32_e32 vcc_lo, 1, v14
	s_cbranch_vccnz .LBB215_113
; %bb.108:
	v_dual_mov_b32 v14, 0 :: v_dual_mov_b32 v15, 0
	s_cmp_lg_u32 s22, 0
	s_mov_b32 s6, 0
	s_cbranch_scc0 .LBB215_117
; %bb.109:
	s_min_u32 s7, s23, 15
	v_mov_b32_e32 v14, 0
	s_add_i32 s7, s7, 1
	s_cmp_eq_u32 s23, 2
	s_mov_b32 s8, 0
	s_cbranch_scc1 .LBB215_114
; %bb.110:
	v_dual_mov_b32 v15, 0 :: v_dual_mov_b32 v14, 0
	v_mov_b32_e32 v17, v16
	s_add_u32 s2, s0, 0xc4
	s_addc_u32 s3, s1, 0
	s_and_b32 s8, s7, 28
	s_mov_b32 s9, 0
	s_mov_b64 s[4:5], s[0:1]
.LBB215_111:                            ; =>This Inner Loop Header: Depth=1
	s_clause 0x1
	s_load_b256 s[12:19], s[4:5], 0x4
	s_load_b128 s[36:39], s[4:5], 0x24
	s_load_b256 s[24:31], s[2:3], 0x0
	s_add_u32 s4, s4, 48
	s_addc_u32 s5, s5, 0
	s_add_i32 s9, s9, 4
	s_add_u32 s2, s2, 32
	s_addc_u32 s3, s3, 0
	s_cmp_lg_u32 s8, s9
	s_waitcnt lgkmcnt(0)
	v_mul_hi_u32 v18, s13, v17
	s_delay_alu instid0(VALU_DEP_1) | instskip(NEXT) | instid1(VALU_DEP_1)
	v_add_nc_u32_e32 v18, v17, v18
	v_lshrrev_b32_e32 v18, s14, v18
	s_delay_alu instid0(VALU_DEP_1) | instskip(SKIP_1) | instid1(VALU_DEP_2)
	v_mul_hi_u32 v19, s16, v18
	v_mul_lo_u32 v21, v18, s12
	v_add_nc_u32_e32 v19, v18, v19
	s_delay_alu instid0(VALU_DEP_2) | instskip(NEXT) | instid1(VALU_DEP_2)
	v_sub_nc_u32_e32 v17, v17, v21
	v_lshrrev_b32_e32 v19, s17, v19
	s_delay_alu instid0(VALU_DEP_2) | instskip(SKIP_1) | instid1(VALU_DEP_3)
	v_mul_lo_u32 v21, v17, s24
	v_mul_lo_u32 v23, v17, s25
	v_mul_hi_u32 v20, s19, v19
	s_delay_alu instid0(VALU_DEP_1) | instskip(NEXT) | instid1(VALU_DEP_1)
	v_add_nc_u32_e32 v20, v19, v20
	v_lshrrev_b32_e32 v20, s36, v20
	s_delay_alu instid0(VALU_DEP_1) | instskip(SKIP_1) | instid1(VALU_DEP_2)
	v_mul_hi_u32 v22, s38, v20
	v_mul_lo_u32 v24, v20, s18
	v_add_nc_u32_e32 v17, v20, v22
	v_mul_lo_u32 v22, v19, s15
	s_delay_alu instid0(VALU_DEP_3) | instskip(NEXT) | instid1(VALU_DEP_3)
	v_sub_nc_u32_e32 v19, v19, v24
	v_lshrrev_b32_e32 v17, s39, v17
	s_delay_alu instid0(VALU_DEP_2) | instskip(SKIP_2) | instid1(VALU_DEP_4)
	v_mul_lo_u32 v24, v19, s28
	v_mul_lo_u32 v19, v19, s29
	v_sub_nc_u32_e32 v18, v18, v22
	v_mul_lo_u32 v25, v17, s37
	s_delay_alu instid0(VALU_DEP_2) | instskip(SKIP_1) | instid1(VALU_DEP_3)
	v_mul_lo_u32 v22, v18, s26
	v_mul_lo_u32 v18, v18, s27
	v_sub_nc_u32_e32 v20, v20, v25
	s_delay_alu instid0(VALU_DEP_3) | instskip(NEXT) | instid1(VALU_DEP_2)
	v_add3_u32 v14, v21, v14, v22
	v_mul_lo_u32 v25, v20, s30
	v_mul_lo_u32 v20, v20, s31
	v_add3_u32 v15, v23, v15, v18
	s_delay_alu instid0(VALU_DEP_3) | instskip(NEXT) | instid1(VALU_DEP_2)
	v_add3_u32 v14, v24, v14, v25
	v_add3_u32 v15, v19, v15, v20
	s_cbranch_scc1 .LBB215_111
; %bb.112:
	s_and_b32 s7, s7, 3
	s_delay_alu instid0(SALU_CYCLE_1)
	s_cmp_eq_u32 s7, 0
	s_cbranch_scc0 .LBB215_115
	s_branch .LBB215_117
.LBB215_113:
	s_mov_b32 s6, -1
                                        ; implicit-def: $vgpr14
                                        ; implicit-def: $vgpr15
	s_branch .LBB215_117
.LBB215_114:
	v_mov_b32_e32 v17, v16
	v_mov_b32_e32 v15, 0
	s_and_b32 s7, s7, 3
	s_delay_alu instid0(SALU_CYCLE_1)
	s_cmp_eq_u32 s7, 0
	s_cbranch_scc1 .LBB215_117
.LBB215_115:
	s_lshl_b32 s2, s8, 3
	s_mul_i32 s4, s8, 12
	s_add_u32 s2, s2, s0
	s_addc_u32 s3, 0, s1
	s_add_u32 s2, s2, 0xc4
	s_addc_u32 s3, s3, 0
	;; [unrolled: 2-line block ×3, first 2 shown]
	.p2align	6
.LBB215_116:                            ; =>This Inner Loop Header: Depth=1
	s_clause 0x1
	s_load_b64 s[8:9], s[4:5], 0x4
	s_load_b32 s12, s[4:5], 0xc
	s_load_b64 s[10:11], s[2:3], 0x0
	s_add_u32 s4, s4, 12
	s_addc_u32 s5, s5, 0
	s_add_u32 s2, s2, 8
	s_addc_u32 s3, s3, 0
	s_add_i32 s7, s7, -1
	s_delay_alu instid0(SALU_CYCLE_1) | instskip(SKIP_2) | instid1(VALU_DEP_1)
	s_cmp_lg_u32 s7, 0
	s_waitcnt lgkmcnt(0)
	v_mul_hi_u32 v18, s9, v17
	v_add_nc_u32_e32 v18, v17, v18
	s_delay_alu instid0(VALU_DEP_1) | instskip(NEXT) | instid1(VALU_DEP_1)
	v_lshrrev_b32_e32 v21, s12, v18
	v_mul_lo_u32 v18, v21, s8
	s_delay_alu instid0(VALU_DEP_1) | instskip(NEXT) | instid1(VALU_DEP_1)
	v_sub_nc_u32_e32 v17, v17, v18
	v_mad_u64_u32 v[18:19], null, v17, s10, v[14:15]
	v_mad_u64_u32 v[19:20], null, v17, s11, v[15:16]
	s_delay_alu instid0(VALU_DEP_2) | instskip(NEXT) | instid1(VALU_DEP_2)
	v_dual_mov_b32 v17, v21 :: v_dual_mov_b32 v14, v18
	v_mov_b32_e32 v15, v19
	s_cbranch_scc1 .LBB215_116
.LBB215_117:
	s_and_not1_b32 vcc_lo, exec_lo, s6
	s_cbranch_vccnz .LBB215_120
; %bb.118:
	s_clause 0x1
	s_load_b128 s[4:7], s[0:1], 0x4
	s_load_b64 s[2:3], s[0:1], 0xc4
	s_cmp_lt_u32 s22, 2
	s_waitcnt lgkmcnt(0)
	v_mul_hi_u32 v14, s5, v16
	s_delay_alu instid0(VALU_DEP_1) | instskip(NEXT) | instid1(VALU_DEP_1)
	v_add_nc_u32_e32 v14, v16, v14
	v_lshrrev_b32_e32 v17, s6, v14
	s_delay_alu instid0(VALU_DEP_1) | instskip(NEXT) | instid1(VALU_DEP_1)
	v_mul_lo_u32 v14, v17, s4
	v_sub_nc_u32_e32 v15, v16, v14
	s_delay_alu instid0(VALU_DEP_1)
	v_mul_lo_u32 v14, v15, s2
	v_mul_lo_u32 v15, v15, s3
	s_cbranch_scc1 .LBB215_120
; %bb.119:
	s_clause 0x1
	s_load_b128 s[4:7], s[0:1], 0x10
	s_load_b64 s[2:3], s[0:1], 0xcc
	s_waitcnt lgkmcnt(0)
	v_mul_hi_u32 v16, s5, v17
	s_delay_alu instid0(VALU_DEP_1) | instskip(NEXT) | instid1(VALU_DEP_1)
	v_add_nc_u32_e32 v16, v17, v16
	v_lshrrev_b32_e32 v16, s6, v16
	s_delay_alu instid0(VALU_DEP_1) | instskip(NEXT) | instid1(VALU_DEP_1)
	v_mul_lo_u32 v16, v16, s4
	v_sub_nc_u32_e32 v19, v17, v16
	s_delay_alu instid0(VALU_DEP_1) | instskip(NEXT) | instid1(VALU_DEP_1)
	v_mad_u64_u32 v[16:17], null, v19, s2, v[14:15]
	v_mad_u64_u32 v[17:18], null, v19, s3, v[15:16]
	s_delay_alu instid0(VALU_DEP_1)
	v_dual_mov_b32 v14, v16 :: v_dual_mov_b32 v15, v17
.LBB215_120:
	s_load_b128 s[8:11], s[0:1], 0x148
	s_waitcnt lgkmcnt(0)
	s_clause 0x7
	global_load_u16 v1, v1, s[10:11]
	global_load_u16 v3, v3, s[10:11]
	;; [unrolled: 1-line block ×8, first 2 shown]
	s_waitcnt vmcnt(7)
	v_cvt_f32_f16_e32 v1, v1
	s_waitcnt vmcnt(6)
	v_cvt_f32_f16_e32 v3, v3
	;; [unrolled: 2-line block ×3, first 2 shown]
	v_cvt_f64_f32_e32 v[15:16], v1
	s_waitcnt vmcnt(4)
	v_cvt_f32_f16_e32 v1, v7
	v_cvt_f64_f32_e32 v[17:18], v3
	s_waitcnt vmcnt(3)
	v_cvt_f32_f16_e32 v3, v9
	;; [unrolled: 3-line block ×5, first 2 shown]
	v_cvt_f64_f32_e32 v[25:26], v5
	v_cvt_f64_f32_e32 v[27:28], v1
	s_delay_alu instid0(VALU_DEP_3)
	v_cvt_f64_f32_e32 v[29:30], v3
	v_rsq_f64_e32 v[31:32], v[15:16]
	v_rsq_f64_e32 v[33:34], v[17:18]
	;; [unrolled: 1-line block ×5, first 2 shown]
	s_delay_alu instid0(VALU_DEP_3) | instskip(NEXT) | instid1(VALU_DEP_2)
	v_rsq_f64_e32 v[41:42], v[25:26]
	v_rsq_f64_e32 v[43:44], v[27:28]
	s_delay_alu instid0(VALU_DEP_1)
	v_rsq_f64_e32 v[45:46], v[29:30]
	v_mul_f64 v[15:16], v[31:32], -v[15:16]
	v_cmp_class_f64_e64 vcc_lo, v[31:32], 0x180
	v_mul_f64 v[17:18], v[33:34], -v[17:18]
	v_cmp_class_f64_e64 s0, v[33:34], 0x180
	v_mul_f64 v[19:20], v[35:36], -v[19:20]
	v_cmp_class_f64_e64 s1, v[35:36], 0x180
	;; [unrolled: 2-line block ×4, first 2 shown]
	s_delay_alu instid0(TRANS32_DEP_3) | instskip(SKIP_1) | instid1(TRANS32_DEP_2)
	v_mul_f64 v[25:26], v[41:42], -v[25:26]
	v_cmp_class_f64_e64 s4, v[41:42], 0x180
	v_mul_f64 v[27:28], v[43:44], -v[27:28]
	v_cmp_class_f64_e64 s5, v[43:44], 0x180
	s_delay_alu instid0(TRANS32_DEP_1)
	v_mul_f64 v[29:30], v[45:46], -v[29:30]
	v_cmp_class_f64_e64 s6, v[45:46], 0x180
	v_fma_f64 v[15:16], v[15:16], v[31:32], 1.0
	v_fma_f64 v[17:18], v[17:18], v[33:34], 1.0
	;; [unrolled: 1-line block ×8, first 2 shown]
	v_mul_f64 v[47:48], v[31:32], v[15:16]
	v_fma_f64 v[15:16], 0x3fd80000, v[15:16], 0.5
	v_mul_f64 v[49:50], v[33:34], v[17:18]
	v_fma_f64 v[17:18], 0x3fd80000, v[17:18], 0.5
	;; [unrolled: 2-line block ×8, first 2 shown]
	v_fma_f64 v[15:16], v[47:48], v[15:16], v[31:32]
	v_fma_f64 v[17:18], v[49:50], v[17:18], v[33:34]
	;; [unrolled: 1-line block ×8, first 2 shown]
	v_dual_cndmask_b32 v16, v32, v16 :: v_dual_cndmask_b32 v15, v31, v15
	v_cndmask_b32_e64 v18, v34, v18, s0
	v_cndmask_b32_e64 v17, v33, v17, s0
	;; [unrolled: 1-line block ×14, first 2 shown]
	v_cvt_f32_f64_e32 v1, v[15:16]
	v_cvt_f32_f64_e32 v3, v[17:18]
	;; [unrolled: 1-line block ×8, first 2 shown]
	v_cvt_f16_f32_e32 v1, v1
	v_cvt_f16_f32_e32 v3, v3
	;; [unrolled: 1-line block ×8, first 2 shown]
	s_clause 0x7
	global_store_b16 v0, v1, s[8:9]
	global_store_b16 v2, v3, s[8:9]
	;; [unrolled: 1-line block ×8, first 2 shown]
	s_nop 0
	s_sendmsg sendmsg(MSG_DEALLOC_VGPRS)
	s_endpgm
.LBB215_121:
	v_dual_mov_b32 v2, v12 :: v_dual_mov_b32 v1, 0
.LBB215_122:
	s_and_b32 s34, s34, 3
	s_delay_alu instid0(SALU_CYCLE_1)
	s_cmp_eq_u32 s34, 0
	s_cbranch_scc1 .LBB215_125
; %bb.123:
	s_lshl_b32 s18, s33, 3
	s_mul_i32 s20, s33, 12
	s_add_u32 s18, s18, s0
	s_addc_u32 s19, s1, 0
	s_add_u32 s18, s18, 0xc4
	s_addc_u32 s19, s19, 0
	;; [unrolled: 2-line block ×3, first 2 shown]
	.p2align	6
.LBB215_124:                            ; =>This Inner Loop Header: Depth=1
	s_clause 0x1
	s_load_b64 s[36:37], s[20:21], 0x4
	s_load_b32 s33, s[20:21], 0xc
	s_load_b64 s[38:39], s[18:19], 0x0
	s_add_u32 s20, s20, 12
	s_addc_u32 s21, s21, 0
	s_add_u32 s18, s18, 8
	s_addc_u32 s19, s19, 0
	s_add_i32 s34, s34, -1
	s_delay_alu instid0(SALU_CYCLE_1) | instskip(SKIP_2) | instid1(VALU_DEP_1)
	s_cmp_lg_u32 s34, 0
	s_waitcnt lgkmcnt(0)
	v_mul_hi_u32 v3, s37, v2
	v_add_nc_u32_e32 v3, v2, v3
	s_delay_alu instid0(VALU_DEP_1) | instskip(NEXT) | instid1(VALU_DEP_1)
	v_lshrrev_b32_e32 v6, s33, v3
	v_mul_lo_u32 v3, v6, s36
	s_delay_alu instid0(VALU_DEP_1) | instskip(NEXT) | instid1(VALU_DEP_1)
	v_sub_nc_u32_e32 v2, v2, v3
	v_mad_u64_u32 v[3:4], null, v2, s38, v[0:1]
	v_mad_u64_u32 v[4:5], null, v2, s39, v[1:2]
	v_mov_b32_e32 v2, v6
	s_delay_alu instid0(VALU_DEP_2)
	v_dual_mov_b32 v0, v3 :: v_dual_mov_b32 v1, v4
	s_cbranch_scc1 .LBB215_124
.LBB215_125:
	s_and_not1_b32 vcc_lo, exec_lo, s31
	s_cbranch_vccnz .LBB215_128
; %bb.126:
	s_waitcnt lgkmcnt(0)
	v_mul_hi_u32 v0, s13, v12
	s_and_not1_b32 vcc_lo, exec_lo, s26
	s_delay_alu instid0(VALU_DEP_1) | instskip(NEXT) | instid1(VALU_DEP_1)
	v_add_nc_u32_e32 v0, v12, v0
	v_lshrrev_b32_e32 v2, s14, v0
	s_delay_alu instid0(VALU_DEP_1) | instskip(NEXT) | instid1(VALU_DEP_1)
	v_mul_lo_u32 v0, v2, s12
	v_sub_nc_u32_e32 v1, v12, v0
	s_delay_alu instid0(VALU_DEP_1)
	v_mul_lo_u32 v0, v1, s8
	v_mul_lo_u32 v1, v1, s9
	s_cbranch_vccnz .LBB215_128
; %bb.127:
	v_mul_hi_u32 v3, s2, v2
	s_delay_alu instid0(VALU_DEP_1) | instskip(NEXT) | instid1(VALU_DEP_1)
	v_add_nc_u32_e32 v3, v2, v3
	v_lshrrev_b32_e32 v3, s3, v3
	s_delay_alu instid0(VALU_DEP_1) | instskip(NEXT) | instid1(VALU_DEP_1)
	v_mul_lo_u32 v3, v3, s15
	v_sub_nc_u32_e32 v5, v2, v3
	s_delay_alu instid0(VALU_DEP_1) | instskip(NEXT) | instid1(VALU_DEP_1)
	v_mad_u64_u32 v[2:3], null, v5, s10, v[0:1]
	v_mad_u64_u32 v[3:4], null, v5, s11, v[1:2]
	s_delay_alu instid0(VALU_DEP_1)
	v_dual_mov_b32 v0, v2 :: v_dual_mov_b32 v1, v3
.LBB215_128:
	s_waitcnt lgkmcnt(0)
	global_load_u16 v1, v1, s[6:7]
	v_add_nc_u32_e32 v12, 0x80, v12
	s_waitcnt vmcnt(0)
	v_cvt_f32_f16_e32 v1, v1
	s_delay_alu instid0(VALU_DEP_1) | instskip(NEXT) | instid1(VALU_DEP_1)
	v_cvt_f64_f32_e32 v[1:2], v1
	v_rsq_f64_e32 v[3:4], v[1:2]
	s_waitcnt_depctr 0xfff
	v_mul_f64 v[1:2], v[3:4], -v[1:2]
	v_cmp_class_f64_e64 vcc_lo, v[3:4], 0x180
	s_delay_alu instid0(VALU_DEP_2) | instskip(NEXT) | instid1(VALU_DEP_1)
	v_fma_f64 v[1:2], v[1:2], v[3:4], 1.0
	v_mul_f64 v[5:6], v[3:4], v[1:2]
	v_fma_f64 v[1:2], 0x3fd80000, v[1:2], 0.5
	s_delay_alu instid0(VALU_DEP_1) | instskip(NEXT) | instid1(VALU_DEP_1)
	v_fma_f64 v[1:2], v[5:6], v[1:2], v[3:4]
	v_dual_cndmask_b32 v2, v4, v2 :: v_dual_cndmask_b32 v1, v3, v1
	s_delay_alu instid0(VALU_DEP_1) | instskip(NEXT) | instid1(VALU_DEP_1)
	v_cvt_f32_f64_e32 v1, v[1:2]
	v_cvt_f16_f32_e32 v1, v1
	global_store_b16 v0, v1, s[4:5]
	s_or_b32 exec_lo, exec_lo, s30
	s_delay_alu instid0(SALU_CYCLE_1)
	s_mov_b32 s30, exec_lo
	v_cmpx_gt_i32_e64 s27, v12
	s_cbranch_execnz .LBB215_15
.LBB215_129:
	s_or_b32 exec_lo, exec_lo, s30
	s_delay_alu instid0(SALU_CYCLE_1)
	s_mov_b32 s30, exec_lo
	v_cmpx_gt_i32_e64 s27, v12
	s_cbranch_execz .LBB215_144
.LBB215_130:
	s_and_not1_b32 vcc_lo, exec_lo, s24
	s_cbranch_vccnz .LBB215_135
; %bb.131:
	v_dual_mov_b32 v0, 0 :: v_dual_mov_b32 v1, 0
	s_and_not1_b32 vcc_lo, exec_lo, s29
	s_mov_b32 s31, 0
	s_cbranch_vccnz .LBB215_155
; %bb.132:
	v_mov_b32_e32 v0, 0
	s_add_i32 s34, s28, 1
	s_cmp_eq_u32 s23, 2
	s_mov_b32 s33, 0
	s_cbranch_scc1 .LBB215_151
; %bb.133:
	v_dual_mov_b32 v1, 0 :: v_dual_mov_b32 v0, 0
	v_mov_b32_e32 v2, v12
	s_and_b32 s33, s34, 28
	s_mov_b32 s35, 0
	s_mov_b64 s[18:19], s[16:17]
	s_mov_b64 s[20:21], s[0:1]
.LBB215_134:                            ; =>This Inner Loop Header: Depth=1
	s_clause 0x1
	s_load_b256 s[36:43], s[20:21], 0x4
	s_load_b128 s[52:55], s[20:21], 0x24
	s_load_b256 s[44:51], s[18:19], 0x0
	s_add_u32 s20, s20, 48
	s_addc_u32 s21, s21, 0
	s_add_i32 s35, s35, 4
	s_add_u32 s18, s18, 32
	s_addc_u32 s19, s19, 0
	s_cmp_eq_u32 s33, s35
	s_waitcnt lgkmcnt(0)
	v_mul_hi_u32 v3, s37, v2
	s_delay_alu instid0(VALU_DEP_1) | instskip(NEXT) | instid1(VALU_DEP_1)
	v_add_nc_u32_e32 v3, v2, v3
	v_lshrrev_b32_e32 v3, s38, v3
	s_delay_alu instid0(VALU_DEP_1) | instskip(SKIP_1) | instid1(VALU_DEP_2)
	v_mul_hi_u32 v4, s40, v3
	v_mul_lo_u32 v6, v3, s36
	v_add_nc_u32_e32 v4, v3, v4
	s_delay_alu instid0(VALU_DEP_2) | instskip(NEXT) | instid1(VALU_DEP_2)
	v_sub_nc_u32_e32 v2, v2, v6
	v_lshrrev_b32_e32 v4, s41, v4
	s_delay_alu instid0(VALU_DEP_2) | instskip(SKIP_1) | instid1(VALU_DEP_3)
	v_mul_lo_u32 v6, v2, s44
	v_mul_lo_u32 v8, v2, s45
	v_mul_hi_u32 v5, s43, v4
	s_delay_alu instid0(VALU_DEP_1) | instskip(NEXT) | instid1(VALU_DEP_1)
	v_add_nc_u32_e32 v5, v4, v5
	v_lshrrev_b32_e32 v5, s52, v5
	s_delay_alu instid0(VALU_DEP_1) | instskip(SKIP_1) | instid1(VALU_DEP_2)
	v_mul_hi_u32 v7, s54, v5
	v_mul_lo_u32 v9, v5, s42
	v_add_nc_u32_e32 v2, v5, v7
	v_mul_lo_u32 v7, v4, s39
	s_delay_alu instid0(VALU_DEP_3) | instskip(NEXT) | instid1(VALU_DEP_3)
	v_sub_nc_u32_e32 v4, v4, v9
	v_lshrrev_b32_e32 v2, s55, v2
	s_delay_alu instid0(VALU_DEP_2) | instskip(SKIP_2) | instid1(VALU_DEP_4)
	v_mul_lo_u32 v9, v4, s48
	v_mul_lo_u32 v4, v4, s49
	v_sub_nc_u32_e32 v3, v3, v7
	v_mul_lo_u32 v10, v2, s53
	s_delay_alu instid0(VALU_DEP_2) | instskip(SKIP_1) | instid1(VALU_DEP_3)
	v_mul_lo_u32 v7, v3, s46
	v_mul_lo_u32 v3, v3, s47
	v_sub_nc_u32_e32 v5, v5, v10
	s_delay_alu instid0(VALU_DEP_3) | instskip(NEXT) | instid1(VALU_DEP_2)
	v_add3_u32 v0, v6, v0, v7
	v_mul_lo_u32 v10, v5, s50
	v_mul_lo_u32 v5, v5, s51
	v_add3_u32 v1, v8, v1, v3
	s_delay_alu instid0(VALU_DEP_3) | instskip(NEXT) | instid1(VALU_DEP_2)
	v_add3_u32 v0, v9, v0, v10
	v_add3_u32 v1, v4, v1, v5
	s_cbranch_scc0 .LBB215_134
	s_branch .LBB215_152
.LBB215_135:
	s_mov_b32 s31, -1
                                        ; implicit-def: $vgpr0
                                        ; implicit-def: $vgpr1
	s_branch .LBB215_155
.LBB215_136:
	v_dual_mov_b32 v2, v12 :: v_dual_mov_b32 v1, 0
.LBB215_137:
	s_and_b32 s34, s34, 3
	s_delay_alu instid0(SALU_CYCLE_1)
	s_cmp_eq_u32 s34, 0
	s_cbranch_scc1 .LBB215_140
; %bb.138:
	s_lshl_b32 s18, s33, 3
	s_mul_i32 s20, s33, 12
	s_add_u32 s18, s18, s0
	s_addc_u32 s19, s1, 0
	s_add_u32 s18, s18, 0xc4
	s_addc_u32 s19, s19, 0
	;; [unrolled: 2-line block ×3, first 2 shown]
	.p2align	6
.LBB215_139:                            ; =>This Inner Loop Header: Depth=1
	s_clause 0x1
	s_load_b64 s[36:37], s[20:21], 0x4
	s_load_b32 s33, s[20:21], 0xc
	s_load_b64 s[38:39], s[18:19], 0x0
	s_add_u32 s20, s20, 12
	s_addc_u32 s21, s21, 0
	s_add_u32 s18, s18, 8
	s_addc_u32 s19, s19, 0
	s_add_i32 s34, s34, -1
	s_delay_alu instid0(SALU_CYCLE_1) | instskip(SKIP_2) | instid1(VALU_DEP_1)
	s_cmp_lg_u32 s34, 0
	s_waitcnt lgkmcnt(0)
	v_mul_hi_u32 v3, s37, v2
	v_add_nc_u32_e32 v3, v2, v3
	s_delay_alu instid0(VALU_DEP_1) | instskip(NEXT) | instid1(VALU_DEP_1)
	v_lshrrev_b32_e32 v6, s33, v3
	v_mul_lo_u32 v3, v6, s36
	s_delay_alu instid0(VALU_DEP_1) | instskip(NEXT) | instid1(VALU_DEP_1)
	v_sub_nc_u32_e32 v2, v2, v3
	v_mad_u64_u32 v[3:4], null, v2, s38, v[0:1]
	v_mad_u64_u32 v[4:5], null, v2, s39, v[1:2]
	v_mov_b32_e32 v2, v6
	s_delay_alu instid0(VALU_DEP_2)
	v_dual_mov_b32 v0, v3 :: v_dual_mov_b32 v1, v4
	s_cbranch_scc1 .LBB215_139
.LBB215_140:
	s_and_not1_b32 vcc_lo, exec_lo, s31
	s_cbranch_vccnz .LBB215_143
; %bb.141:
	s_waitcnt lgkmcnt(0)
	v_mul_hi_u32 v0, s13, v12
	s_and_not1_b32 vcc_lo, exec_lo, s26
	s_delay_alu instid0(VALU_DEP_1) | instskip(NEXT) | instid1(VALU_DEP_1)
	v_add_nc_u32_e32 v0, v12, v0
	v_lshrrev_b32_e32 v2, s14, v0
	s_delay_alu instid0(VALU_DEP_1) | instskip(NEXT) | instid1(VALU_DEP_1)
	v_mul_lo_u32 v0, v2, s12
	v_sub_nc_u32_e32 v1, v12, v0
	s_delay_alu instid0(VALU_DEP_1)
	v_mul_lo_u32 v0, v1, s8
	v_mul_lo_u32 v1, v1, s9
	s_cbranch_vccnz .LBB215_143
; %bb.142:
	v_mul_hi_u32 v3, s2, v2
	s_delay_alu instid0(VALU_DEP_1) | instskip(NEXT) | instid1(VALU_DEP_1)
	v_add_nc_u32_e32 v3, v2, v3
	v_lshrrev_b32_e32 v3, s3, v3
	s_delay_alu instid0(VALU_DEP_1) | instskip(NEXT) | instid1(VALU_DEP_1)
	v_mul_lo_u32 v3, v3, s15
	v_sub_nc_u32_e32 v5, v2, v3
	s_delay_alu instid0(VALU_DEP_1) | instskip(NEXT) | instid1(VALU_DEP_1)
	v_mad_u64_u32 v[2:3], null, v5, s10, v[0:1]
	v_mad_u64_u32 v[3:4], null, v5, s11, v[1:2]
	s_delay_alu instid0(VALU_DEP_1)
	v_dual_mov_b32 v0, v2 :: v_dual_mov_b32 v1, v3
.LBB215_143:
	s_waitcnt lgkmcnt(0)
	global_load_u16 v1, v1, s[6:7]
	v_add_nc_u32_e32 v12, 0x80, v12
	s_waitcnt vmcnt(0)
	v_cvt_f32_f16_e32 v1, v1
	s_delay_alu instid0(VALU_DEP_1) | instskip(NEXT) | instid1(VALU_DEP_1)
	v_cvt_f64_f32_e32 v[1:2], v1
	v_rsq_f64_e32 v[3:4], v[1:2]
	s_waitcnt_depctr 0xfff
	v_mul_f64 v[1:2], v[3:4], -v[1:2]
	v_cmp_class_f64_e64 vcc_lo, v[3:4], 0x180
	s_delay_alu instid0(VALU_DEP_2) | instskip(NEXT) | instid1(VALU_DEP_1)
	v_fma_f64 v[1:2], v[1:2], v[3:4], 1.0
	v_mul_f64 v[5:6], v[3:4], v[1:2]
	v_fma_f64 v[1:2], 0x3fd80000, v[1:2], 0.5
	s_delay_alu instid0(VALU_DEP_1) | instskip(NEXT) | instid1(VALU_DEP_1)
	v_fma_f64 v[1:2], v[5:6], v[1:2], v[3:4]
	v_dual_cndmask_b32 v2, v4, v2 :: v_dual_cndmask_b32 v1, v3, v1
	s_delay_alu instid0(VALU_DEP_1) | instskip(NEXT) | instid1(VALU_DEP_1)
	v_cvt_f32_f64_e32 v1, v[1:2]
	v_cvt_f16_f32_e32 v1, v1
	global_store_b16 v0, v1, s[4:5]
	s_or_b32 exec_lo, exec_lo, s30
	s_delay_alu instid0(SALU_CYCLE_1)
	s_mov_b32 s30, exec_lo
	v_cmpx_gt_i32_e64 s27, v12
	s_cbranch_execnz .LBB215_130
.LBB215_144:
	s_or_b32 exec_lo, exec_lo, s30
	s_delay_alu instid0(SALU_CYCLE_1)
	s_mov_b32 s30, exec_lo
	v_cmpx_gt_i32_e64 s27, v12
	s_cbranch_execz .LBB215_159
.LBB215_145:
	s_and_not1_b32 vcc_lo, exec_lo, s24
	s_cbranch_vccnz .LBB215_150
; %bb.146:
	v_dual_mov_b32 v0, 0 :: v_dual_mov_b32 v1, 0
	s_and_not1_b32 vcc_lo, exec_lo, s29
	s_mov_b32 s31, 0
	s_cbranch_vccnz .LBB215_170
; %bb.147:
	v_mov_b32_e32 v0, 0
	s_add_i32 s34, s28, 1
	s_cmp_eq_u32 s23, 2
	s_mov_b32 s33, 0
	s_cbranch_scc1 .LBB215_166
; %bb.148:
	v_dual_mov_b32 v1, 0 :: v_dual_mov_b32 v0, 0
	v_mov_b32_e32 v2, v12
	s_and_b32 s33, s34, 28
	s_mov_b32 s35, 0
	s_mov_b64 s[18:19], s[16:17]
	s_mov_b64 s[20:21], s[0:1]
.LBB215_149:                            ; =>This Inner Loop Header: Depth=1
	s_clause 0x1
	s_load_b256 s[36:43], s[20:21], 0x4
	s_load_b128 s[52:55], s[20:21], 0x24
	s_load_b256 s[44:51], s[18:19], 0x0
	s_add_u32 s20, s20, 48
	s_addc_u32 s21, s21, 0
	s_add_i32 s35, s35, 4
	s_add_u32 s18, s18, 32
	s_addc_u32 s19, s19, 0
	s_cmp_eq_u32 s33, s35
	s_waitcnt lgkmcnt(0)
	v_mul_hi_u32 v3, s37, v2
	s_delay_alu instid0(VALU_DEP_1) | instskip(NEXT) | instid1(VALU_DEP_1)
	v_add_nc_u32_e32 v3, v2, v3
	v_lshrrev_b32_e32 v3, s38, v3
	s_delay_alu instid0(VALU_DEP_1) | instskip(SKIP_1) | instid1(VALU_DEP_2)
	v_mul_hi_u32 v4, s40, v3
	v_mul_lo_u32 v6, v3, s36
	v_add_nc_u32_e32 v4, v3, v4
	s_delay_alu instid0(VALU_DEP_2) | instskip(NEXT) | instid1(VALU_DEP_2)
	v_sub_nc_u32_e32 v2, v2, v6
	v_lshrrev_b32_e32 v4, s41, v4
	s_delay_alu instid0(VALU_DEP_2) | instskip(SKIP_1) | instid1(VALU_DEP_3)
	v_mul_lo_u32 v6, v2, s44
	v_mul_lo_u32 v8, v2, s45
	v_mul_hi_u32 v5, s43, v4
	s_delay_alu instid0(VALU_DEP_1) | instskip(NEXT) | instid1(VALU_DEP_1)
	v_add_nc_u32_e32 v5, v4, v5
	v_lshrrev_b32_e32 v5, s52, v5
	s_delay_alu instid0(VALU_DEP_1) | instskip(SKIP_1) | instid1(VALU_DEP_2)
	v_mul_hi_u32 v7, s54, v5
	v_mul_lo_u32 v9, v5, s42
	v_add_nc_u32_e32 v2, v5, v7
	v_mul_lo_u32 v7, v4, s39
	s_delay_alu instid0(VALU_DEP_3) | instskip(NEXT) | instid1(VALU_DEP_3)
	v_sub_nc_u32_e32 v4, v4, v9
	v_lshrrev_b32_e32 v2, s55, v2
	s_delay_alu instid0(VALU_DEP_2) | instskip(SKIP_2) | instid1(VALU_DEP_4)
	v_mul_lo_u32 v9, v4, s48
	v_mul_lo_u32 v4, v4, s49
	v_sub_nc_u32_e32 v3, v3, v7
	v_mul_lo_u32 v10, v2, s53
	s_delay_alu instid0(VALU_DEP_2) | instskip(SKIP_1) | instid1(VALU_DEP_3)
	v_mul_lo_u32 v7, v3, s46
	v_mul_lo_u32 v3, v3, s47
	v_sub_nc_u32_e32 v5, v5, v10
	s_delay_alu instid0(VALU_DEP_3) | instskip(NEXT) | instid1(VALU_DEP_2)
	v_add3_u32 v0, v6, v0, v7
	v_mul_lo_u32 v10, v5, s50
	v_mul_lo_u32 v5, v5, s51
	v_add3_u32 v1, v8, v1, v3
	s_delay_alu instid0(VALU_DEP_3) | instskip(NEXT) | instid1(VALU_DEP_2)
	v_add3_u32 v0, v9, v0, v10
	v_add3_u32 v1, v4, v1, v5
	s_cbranch_scc0 .LBB215_149
	s_branch .LBB215_167
.LBB215_150:
	s_mov_b32 s31, -1
                                        ; implicit-def: $vgpr0
                                        ; implicit-def: $vgpr1
	s_branch .LBB215_170
.LBB215_151:
	v_dual_mov_b32 v2, v12 :: v_dual_mov_b32 v1, 0
.LBB215_152:
	s_and_b32 s34, s34, 3
	s_delay_alu instid0(SALU_CYCLE_1)
	s_cmp_eq_u32 s34, 0
	s_cbranch_scc1 .LBB215_155
; %bb.153:
	s_lshl_b32 s18, s33, 3
	s_mul_i32 s20, s33, 12
	s_add_u32 s18, s18, s0
	s_addc_u32 s19, s1, 0
	s_add_u32 s18, s18, 0xc4
	s_addc_u32 s19, s19, 0
	;; [unrolled: 2-line block ×3, first 2 shown]
	.p2align	6
.LBB215_154:                            ; =>This Inner Loop Header: Depth=1
	s_clause 0x1
	s_load_b64 s[36:37], s[20:21], 0x4
	s_load_b32 s33, s[20:21], 0xc
	s_load_b64 s[38:39], s[18:19], 0x0
	s_add_u32 s20, s20, 12
	s_addc_u32 s21, s21, 0
	s_add_u32 s18, s18, 8
	s_addc_u32 s19, s19, 0
	s_add_i32 s34, s34, -1
	s_delay_alu instid0(SALU_CYCLE_1) | instskip(SKIP_2) | instid1(VALU_DEP_1)
	s_cmp_lg_u32 s34, 0
	s_waitcnt lgkmcnt(0)
	v_mul_hi_u32 v3, s37, v2
	v_add_nc_u32_e32 v3, v2, v3
	s_delay_alu instid0(VALU_DEP_1) | instskip(NEXT) | instid1(VALU_DEP_1)
	v_lshrrev_b32_e32 v6, s33, v3
	v_mul_lo_u32 v3, v6, s36
	s_delay_alu instid0(VALU_DEP_1) | instskip(NEXT) | instid1(VALU_DEP_1)
	v_sub_nc_u32_e32 v2, v2, v3
	v_mad_u64_u32 v[3:4], null, v2, s38, v[0:1]
	v_mad_u64_u32 v[4:5], null, v2, s39, v[1:2]
	v_mov_b32_e32 v2, v6
	s_delay_alu instid0(VALU_DEP_2)
	v_dual_mov_b32 v0, v3 :: v_dual_mov_b32 v1, v4
	s_cbranch_scc1 .LBB215_154
.LBB215_155:
	s_and_not1_b32 vcc_lo, exec_lo, s31
	s_cbranch_vccnz .LBB215_158
; %bb.156:
	s_waitcnt lgkmcnt(0)
	v_mul_hi_u32 v0, s13, v12
	s_and_not1_b32 vcc_lo, exec_lo, s26
	s_delay_alu instid0(VALU_DEP_1) | instskip(NEXT) | instid1(VALU_DEP_1)
	v_add_nc_u32_e32 v0, v12, v0
	v_lshrrev_b32_e32 v2, s14, v0
	s_delay_alu instid0(VALU_DEP_1) | instskip(NEXT) | instid1(VALU_DEP_1)
	v_mul_lo_u32 v0, v2, s12
	v_sub_nc_u32_e32 v1, v12, v0
	s_delay_alu instid0(VALU_DEP_1)
	v_mul_lo_u32 v0, v1, s8
	v_mul_lo_u32 v1, v1, s9
	s_cbranch_vccnz .LBB215_158
; %bb.157:
	v_mul_hi_u32 v3, s2, v2
	s_delay_alu instid0(VALU_DEP_1) | instskip(NEXT) | instid1(VALU_DEP_1)
	v_add_nc_u32_e32 v3, v2, v3
	v_lshrrev_b32_e32 v3, s3, v3
	s_delay_alu instid0(VALU_DEP_1) | instskip(NEXT) | instid1(VALU_DEP_1)
	v_mul_lo_u32 v3, v3, s15
	v_sub_nc_u32_e32 v5, v2, v3
	s_delay_alu instid0(VALU_DEP_1) | instskip(NEXT) | instid1(VALU_DEP_1)
	v_mad_u64_u32 v[2:3], null, v5, s10, v[0:1]
	v_mad_u64_u32 v[3:4], null, v5, s11, v[1:2]
	s_delay_alu instid0(VALU_DEP_1)
	v_dual_mov_b32 v0, v2 :: v_dual_mov_b32 v1, v3
.LBB215_158:
	s_waitcnt lgkmcnt(0)
	global_load_u16 v1, v1, s[6:7]
	v_add_nc_u32_e32 v12, 0x80, v12
	s_waitcnt vmcnt(0)
	v_cvt_f32_f16_e32 v1, v1
	s_delay_alu instid0(VALU_DEP_1) | instskip(NEXT) | instid1(VALU_DEP_1)
	v_cvt_f64_f32_e32 v[1:2], v1
	v_rsq_f64_e32 v[3:4], v[1:2]
	s_waitcnt_depctr 0xfff
	v_mul_f64 v[1:2], v[3:4], -v[1:2]
	v_cmp_class_f64_e64 vcc_lo, v[3:4], 0x180
	s_delay_alu instid0(VALU_DEP_2) | instskip(NEXT) | instid1(VALU_DEP_1)
	v_fma_f64 v[1:2], v[1:2], v[3:4], 1.0
	v_mul_f64 v[5:6], v[3:4], v[1:2]
	v_fma_f64 v[1:2], 0x3fd80000, v[1:2], 0.5
	s_delay_alu instid0(VALU_DEP_1) | instskip(NEXT) | instid1(VALU_DEP_1)
	v_fma_f64 v[1:2], v[5:6], v[1:2], v[3:4]
	v_dual_cndmask_b32 v2, v4, v2 :: v_dual_cndmask_b32 v1, v3, v1
	s_delay_alu instid0(VALU_DEP_1) | instskip(NEXT) | instid1(VALU_DEP_1)
	v_cvt_f32_f64_e32 v1, v[1:2]
	v_cvt_f16_f32_e32 v1, v1
	global_store_b16 v0, v1, s[4:5]
	s_or_b32 exec_lo, exec_lo, s30
	s_delay_alu instid0(SALU_CYCLE_1)
	s_mov_b32 s30, exec_lo
	v_cmpx_gt_i32_e64 s27, v12
	s_cbranch_execnz .LBB215_145
.LBB215_159:
	s_or_b32 exec_lo, exec_lo, s30
	s_delay_alu instid0(SALU_CYCLE_1)
	s_mov_b32 s30, exec_lo
	v_cmpx_gt_i32_e64 s27, v12
	s_cbranch_execz .LBB215_174
.LBB215_160:
	s_and_not1_b32 vcc_lo, exec_lo, s24
	s_cbranch_vccnz .LBB215_165
; %bb.161:
	v_dual_mov_b32 v0, 0 :: v_dual_mov_b32 v1, 0
	s_and_not1_b32 vcc_lo, exec_lo, s29
	s_mov_b32 s31, 0
	s_cbranch_vccnz .LBB215_185
; %bb.162:
	v_mov_b32_e32 v0, 0
	s_add_i32 s34, s28, 1
	s_cmp_eq_u32 s23, 2
	s_mov_b32 s33, 0
	s_cbranch_scc1 .LBB215_181
; %bb.163:
	v_dual_mov_b32 v1, 0 :: v_dual_mov_b32 v0, 0
	v_mov_b32_e32 v2, v12
	s_and_b32 s33, s34, 28
	s_mov_b32 s35, 0
	s_mov_b64 s[18:19], s[16:17]
	s_mov_b64 s[20:21], s[0:1]
.LBB215_164:                            ; =>This Inner Loop Header: Depth=1
	s_clause 0x1
	s_load_b256 s[36:43], s[20:21], 0x4
	s_load_b128 s[52:55], s[20:21], 0x24
	s_load_b256 s[44:51], s[18:19], 0x0
	s_add_u32 s20, s20, 48
	s_addc_u32 s21, s21, 0
	s_add_i32 s35, s35, 4
	s_add_u32 s18, s18, 32
	s_addc_u32 s19, s19, 0
	s_cmp_eq_u32 s33, s35
	s_waitcnt lgkmcnt(0)
	v_mul_hi_u32 v3, s37, v2
	s_delay_alu instid0(VALU_DEP_1) | instskip(NEXT) | instid1(VALU_DEP_1)
	v_add_nc_u32_e32 v3, v2, v3
	v_lshrrev_b32_e32 v3, s38, v3
	s_delay_alu instid0(VALU_DEP_1) | instskip(SKIP_1) | instid1(VALU_DEP_2)
	v_mul_hi_u32 v4, s40, v3
	v_mul_lo_u32 v6, v3, s36
	v_add_nc_u32_e32 v4, v3, v4
	s_delay_alu instid0(VALU_DEP_2) | instskip(NEXT) | instid1(VALU_DEP_2)
	v_sub_nc_u32_e32 v2, v2, v6
	v_lshrrev_b32_e32 v4, s41, v4
	s_delay_alu instid0(VALU_DEP_2) | instskip(SKIP_1) | instid1(VALU_DEP_3)
	v_mul_lo_u32 v6, v2, s44
	v_mul_lo_u32 v8, v2, s45
	v_mul_hi_u32 v5, s43, v4
	s_delay_alu instid0(VALU_DEP_1) | instskip(NEXT) | instid1(VALU_DEP_1)
	v_add_nc_u32_e32 v5, v4, v5
	v_lshrrev_b32_e32 v5, s52, v5
	s_delay_alu instid0(VALU_DEP_1) | instskip(SKIP_1) | instid1(VALU_DEP_2)
	v_mul_hi_u32 v7, s54, v5
	v_mul_lo_u32 v9, v5, s42
	v_add_nc_u32_e32 v2, v5, v7
	v_mul_lo_u32 v7, v4, s39
	s_delay_alu instid0(VALU_DEP_3) | instskip(NEXT) | instid1(VALU_DEP_3)
	v_sub_nc_u32_e32 v4, v4, v9
	v_lshrrev_b32_e32 v2, s55, v2
	s_delay_alu instid0(VALU_DEP_2) | instskip(SKIP_2) | instid1(VALU_DEP_4)
	v_mul_lo_u32 v9, v4, s48
	v_mul_lo_u32 v4, v4, s49
	v_sub_nc_u32_e32 v3, v3, v7
	v_mul_lo_u32 v10, v2, s53
	s_delay_alu instid0(VALU_DEP_2) | instskip(SKIP_1) | instid1(VALU_DEP_3)
	v_mul_lo_u32 v7, v3, s46
	v_mul_lo_u32 v3, v3, s47
	v_sub_nc_u32_e32 v5, v5, v10
	s_delay_alu instid0(VALU_DEP_3) | instskip(NEXT) | instid1(VALU_DEP_2)
	v_add3_u32 v0, v6, v0, v7
	v_mul_lo_u32 v10, v5, s50
	v_mul_lo_u32 v5, v5, s51
	v_add3_u32 v1, v8, v1, v3
	s_delay_alu instid0(VALU_DEP_3) | instskip(NEXT) | instid1(VALU_DEP_2)
	v_add3_u32 v0, v9, v0, v10
	v_add3_u32 v1, v4, v1, v5
	s_cbranch_scc0 .LBB215_164
	s_branch .LBB215_182
.LBB215_165:
	s_mov_b32 s31, -1
                                        ; implicit-def: $vgpr0
                                        ; implicit-def: $vgpr1
	s_branch .LBB215_185
.LBB215_166:
	v_dual_mov_b32 v2, v12 :: v_dual_mov_b32 v1, 0
.LBB215_167:
	s_and_b32 s34, s34, 3
	s_delay_alu instid0(SALU_CYCLE_1)
	s_cmp_eq_u32 s34, 0
	s_cbranch_scc1 .LBB215_170
; %bb.168:
	s_lshl_b32 s18, s33, 3
	s_mul_i32 s20, s33, 12
	s_add_u32 s18, s18, s0
	s_addc_u32 s19, s1, 0
	s_add_u32 s18, s18, 0xc4
	s_addc_u32 s19, s19, 0
	;; [unrolled: 2-line block ×3, first 2 shown]
	.p2align	6
.LBB215_169:                            ; =>This Inner Loop Header: Depth=1
	s_clause 0x1
	s_load_b64 s[36:37], s[20:21], 0x4
	s_load_b32 s33, s[20:21], 0xc
	s_load_b64 s[38:39], s[18:19], 0x0
	s_add_u32 s20, s20, 12
	s_addc_u32 s21, s21, 0
	s_add_u32 s18, s18, 8
	s_addc_u32 s19, s19, 0
	s_add_i32 s34, s34, -1
	s_delay_alu instid0(SALU_CYCLE_1) | instskip(SKIP_2) | instid1(VALU_DEP_1)
	s_cmp_lg_u32 s34, 0
	s_waitcnt lgkmcnt(0)
	v_mul_hi_u32 v3, s37, v2
	v_add_nc_u32_e32 v3, v2, v3
	s_delay_alu instid0(VALU_DEP_1) | instskip(NEXT) | instid1(VALU_DEP_1)
	v_lshrrev_b32_e32 v6, s33, v3
	v_mul_lo_u32 v3, v6, s36
	s_delay_alu instid0(VALU_DEP_1) | instskip(NEXT) | instid1(VALU_DEP_1)
	v_sub_nc_u32_e32 v2, v2, v3
	v_mad_u64_u32 v[3:4], null, v2, s38, v[0:1]
	v_mad_u64_u32 v[4:5], null, v2, s39, v[1:2]
	v_mov_b32_e32 v2, v6
	s_delay_alu instid0(VALU_DEP_2)
	v_dual_mov_b32 v0, v3 :: v_dual_mov_b32 v1, v4
	s_cbranch_scc1 .LBB215_169
.LBB215_170:
	s_and_not1_b32 vcc_lo, exec_lo, s31
	s_cbranch_vccnz .LBB215_173
; %bb.171:
	s_waitcnt lgkmcnt(0)
	v_mul_hi_u32 v0, s13, v12
	s_and_not1_b32 vcc_lo, exec_lo, s26
	s_delay_alu instid0(VALU_DEP_1) | instskip(NEXT) | instid1(VALU_DEP_1)
	v_add_nc_u32_e32 v0, v12, v0
	v_lshrrev_b32_e32 v2, s14, v0
	s_delay_alu instid0(VALU_DEP_1) | instskip(NEXT) | instid1(VALU_DEP_1)
	v_mul_lo_u32 v0, v2, s12
	v_sub_nc_u32_e32 v1, v12, v0
	s_delay_alu instid0(VALU_DEP_1)
	v_mul_lo_u32 v0, v1, s8
	v_mul_lo_u32 v1, v1, s9
	s_cbranch_vccnz .LBB215_173
; %bb.172:
	v_mul_hi_u32 v3, s2, v2
	s_delay_alu instid0(VALU_DEP_1) | instskip(NEXT) | instid1(VALU_DEP_1)
	v_add_nc_u32_e32 v3, v2, v3
	v_lshrrev_b32_e32 v3, s3, v3
	s_delay_alu instid0(VALU_DEP_1) | instskip(NEXT) | instid1(VALU_DEP_1)
	v_mul_lo_u32 v3, v3, s15
	v_sub_nc_u32_e32 v5, v2, v3
	s_delay_alu instid0(VALU_DEP_1) | instskip(NEXT) | instid1(VALU_DEP_1)
	v_mad_u64_u32 v[2:3], null, v5, s10, v[0:1]
	v_mad_u64_u32 v[3:4], null, v5, s11, v[1:2]
	s_delay_alu instid0(VALU_DEP_1)
	v_dual_mov_b32 v0, v2 :: v_dual_mov_b32 v1, v3
.LBB215_173:
	s_waitcnt lgkmcnt(0)
	global_load_u16 v1, v1, s[6:7]
	v_add_nc_u32_e32 v12, 0x80, v12
	s_waitcnt vmcnt(0)
	v_cvt_f32_f16_e32 v1, v1
	s_delay_alu instid0(VALU_DEP_1) | instskip(NEXT) | instid1(VALU_DEP_1)
	v_cvt_f64_f32_e32 v[1:2], v1
	v_rsq_f64_e32 v[3:4], v[1:2]
	s_waitcnt_depctr 0xfff
	v_mul_f64 v[1:2], v[3:4], -v[1:2]
	v_cmp_class_f64_e64 vcc_lo, v[3:4], 0x180
	s_delay_alu instid0(VALU_DEP_2) | instskip(NEXT) | instid1(VALU_DEP_1)
	v_fma_f64 v[1:2], v[1:2], v[3:4], 1.0
	v_mul_f64 v[5:6], v[3:4], v[1:2]
	v_fma_f64 v[1:2], 0x3fd80000, v[1:2], 0.5
	s_delay_alu instid0(VALU_DEP_1) | instskip(NEXT) | instid1(VALU_DEP_1)
	v_fma_f64 v[1:2], v[5:6], v[1:2], v[3:4]
	v_dual_cndmask_b32 v2, v4, v2 :: v_dual_cndmask_b32 v1, v3, v1
	s_delay_alu instid0(VALU_DEP_1) | instskip(NEXT) | instid1(VALU_DEP_1)
	v_cvt_f32_f64_e32 v1, v[1:2]
	v_cvt_f16_f32_e32 v1, v1
	global_store_b16 v0, v1, s[4:5]
	s_or_b32 exec_lo, exec_lo, s30
	s_delay_alu instid0(SALU_CYCLE_1)
	s_mov_b32 s30, exec_lo
	v_cmpx_gt_i32_e64 s27, v12
	s_cbranch_execnz .LBB215_160
.LBB215_174:
	s_or_b32 exec_lo, exec_lo, s30
	s_delay_alu instid0(SALU_CYCLE_1)
	s_mov_b32 s30, exec_lo
	v_cmpx_gt_i32_e64 s27, v12
	s_cbranch_execz .LBB215_189
.LBB215_175:
	s_and_not1_b32 vcc_lo, exec_lo, s24
	s_cbranch_vccnz .LBB215_180
; %bb.176:
	v_dual_mov_b32 v0, 0 :: v_dual_mov_b32 v1, 0
	s_and_not1_b32 vcc_lo, exec_lo, s29
	s_mov_b32 s31, 0
	s_cbranch_vccnz .LBB215_200
; %bb.177:
	v_mov_b32_e32 v0, 0
	s_add_i32 s34, s28, 1
	s_cmp_eq_u32 s23, 2
	s_mov_b32 s33, 0
	s_cbranch_scc1 .LBB215_196
; %bb.178:
	v_dual_mov_b32 v1, 0 :: v_dual_mov_b32 v0, 0
	v_mov_b32_e32 v2, v12
	s_and_b32 s33, s34, 28
	s_mov_b32 s35, 0
	s_mov_b64 s[18:19], s[16:17]
	s_mov_b64 s[20:21], s[0:1]
.LBB215_179:                            ; =>This Inner Loop Header: Depth=1
	s_clause 0x1
	s_load_b256 s[36:43], s[20:21], 0x4
	s_load_b128 s[52:55], s[20:21], 0x24
	s_load_b256 s[44:51], s[18:19], 0x0
	s_add_u32 s20, s20, 48
	s_addc_u32 s21, s21, 0
	s_add_i32 s35, s35, 4
	s_add_u32 s18, s18, 32
	s_addc_u32 s19, s19, 0
	s_cmp_eq_u32 s33, s35
	s_waitcnt lgkmcnt(0)
	v_mul_hi_u32 v3, s37, v2
	s_delay_alu instid0(VALU_DEP_1) | instskip(NEXT) | instid1(VALU_DEP_1)
	v_add_nc_u32_e32 v3, v2, v3
	v_lshrrev_b32_e32 v3, s38, v3
	s_delay_alu instid0(VALU_DEP_1) | instskip(SKIP_1) | instid1(VALU_DEP_2)
	v_mul_hi_u32 v4, s40, v3
	v_mul_lo_u32 v6, v3, s36
	v_add_nc_u32_e32 v4, v3, v4
	s_delay_alu instid0(VALU_DEP_2) | instskip(NEXT) | instid1(VALU_DEP_2)
	v_sub_nc_u32_e32 v2, v2, v6
	v_lshrrev_b32_e32 v4, s41, v4
	s_delay_alu instid0(VALU_DEP_2) | instskip(SKIP_1) | instid1(VALU_DEP_3)
	v_mul_lo_u32 v6, v2, s44
	v_mul_lo_u32 v8, v2, s45
	v_mul_hi_u32 v5, s43, v4
	s_delay_alu instid0(VALU_DEP_1) | instskip(NEXT) | instid1(VALU_DEP_1)
	v_add_nc_u32_e32 v5, v4, v5
	v_lshrrev_b32_e32 v5, s52, v5
	s_delay_alu instid0(VALU_DEP_1) | instskip(SKIP_1) | instid1(VALU_DEP_2)
	v_mul_hi_u32 v7, s54, v5
	v_mul_lo_u32 v9, v5, s42
	v_add_nc_u32_e32 v2, v5, v7
	v_mul_lo_u32 v7, v4, s39
	s_delay_alu instid0(VALU_DEP_3) | instskip(NEXT) | instid1(VALU_DEP_3)
	v_sub_nc_u32_e32 v4, v4, v9
	v_lshrrev_b32_e32 v2, s55, v2
	s_delay_alu instid0(VALU_DEP_2) | instskip(SKIP_2) | instid1(VALU_DEP_4)
	v_mul_lo_u32 v9, v4, s48
	v_mul_lo_u32 v4, v4, s49
	v_sub_nc_u32_e32 v3, v3, v7
	v_mul_lo_u32 v10, v2, s53
	s_delay_alu instid0(VALU_DEP_2) | instskip(SKIP_1) | instid1(VALU_DEP_3)
	v_mul_lo_u32 v7, v3, s46
	v_mul_lo_u32 v3, v3, s47
	v_sub_nc_u32_e32 v5, v5, v10
	s_delay_alu instid0(VALU_DEP_3) | instskip(NEXT) | instid1(VALU_DEP_2)
	v_add3_u32 v0, v6, v0, v7
	v_mul_lo_u32 v10, v5, s50
	v_mul_lo_u32 v5, v5, s51
	v_add3_u32 v1, v8, v1, v3
	s_delay_alu instid0(VALU_DEP_3) | instskip(NEXT) | instid1(VALU_DEP_2)
	v_add3_u32 v0, v9, v0, v10
	v_add3_u32 v1, v4, v1, v5
	s_cbranch_scc0 .LBB215_179
	s_branch .LBB215_197
.LBB215_180:
	s_mov_b32 s31, -1
                                        ; implicit-def: $vgpr0
                                        ; implicit-def: $vgpr1
	s_branch .LBB215_200
.LBB215_181:
	v_dual_mov_b32 v2, v12 :: v_dual_mov_b32 v1, 0
.LBB215_182:
	s_and_b32 s34, s34, 3
	s_delay_alu instid0(SALU_CYCLE_1)
	s_cmp_eq_u32 s34, 0
	s_cbranch_scc1 .LBB215_185
; %bb.183:
	s_lshl_b32 s18, s33, 3
	s_mul_i32 s20, s33, 12
	s_add_u32 s18, s18, s0
	s_addc_u32 s19, s1, 0
	s_add_u32 s18, s18, 0xc4
	s_addc_u32 s19, s19, 0
	s_add_u32 s20, s0, s20
	s_addc_u32 s21, s1, 0
	.p2align	6
.LBB215_184:                            ; =>This Inner Loop Header: Depth=1
	s_clause 0x1
	s_load_b64 s[36:37], s[20:21], 0x4
	s_load_b32 s33, s[20:21], 0xc
	s_load_b64 s[38:39], s[18:19], 0x0
	s_add_u32 s20, s20, 12
	s_addc_u32 s21, s21, 0
	s_add_u32 s18, s18, 8
	s_addc_u32 s19, s19, 0
	s_add_i32 s34, s34, -1
	s_delay_alu instid0(SALU_CYCLE_1) | instskip(SKIP_2) | instid1(VALU_DEP_1)
	s_cmp_lg_u32 s34, 0
	s_waitcnt lgkmcnt(0)
	v_mul_hi_u32 v3, s37, v2
	v_add_nc_u32_e32 v3, v2, v3
	s_delay_alu instid0(VALU_DEP_1) | instskip(NEXT) | instid1(VALU_DEP_1)
	v_lshrrev_b32_e32 v6, s33, v3
	v_mul_lo_u32 v3, v6, s36
	s_delay_alu instid0(VALU_DEP_1) | instskip(NEXT) | instid1(VALU_DEP_1)
	v_sub_nc_u32_e32 v2, v2, v3
	v_mad_u64_u32 v[3:4], null, v2, s38, v[0:1]
	v_mad_u64_u32 v[4:5], null, v2, s39, v[1:2]
	v_mov_b32_e32 v2, v6
	s_delay_alu instid0(VALU_DEP_2)
	v_dual_mov_b32 v0, v3 :: v_dual_mov_b32 v1, v4
	s_cbranch_scc1 .LBB215_184
.LBB215_185:
	s_and_not1_b32 vcc_lo, exec_lo, s31
	s_cbranch_vccnz .LBB215_188
; %bb.186:
	s_waitcnt lgkmcnt(0)
	v_mul_hi_u32 v0, s13, v12
	s_and_not1_b32 vcc_lo, exec_lo, s26
	s_delay_alu instid0(VALU_DEP_1) | instskip(NEXT) | instid1(VALU_DEP_1)
	v_add_nc_u32_e32 v0, v12, v0
	v_lshrrev_b32_e32 v2, s14, v0
	s_delay_alu instid0(VALU_DEP_1) | instskip(NEXT) | instid1(VALU_DEP_1)
	v_mul_lo_u32 v0, v2, s12
	v_sub_nc_u32_e32 v1, v12, v0
	s_delay_alu instid0(VALU_DEP_1)
	v_mul_lo_u32 v0, v1, s8
	v_mul_lo_u32 v1, v1, s9
	s_cbranch_vccnz .LBB215_188
; %bb.187:
	v_mul_hi_u32 v3, s2, v2
	s_delay_alu instid0(VALU_DEP_1) | instskip(NEXT) | instid1(VALU_DEP_1)
	v_add_nc_u32_e32 v3, v2, v3
	v_lshrrev_b32_e32 v3, s3, v3
	s_delay_alu instid0(VALU_DEP_1) | instskip(NEXT) | instid1(VALU_DEP_1)
	v_mul_lo_u32 v3, v3, s15
	v_sub_nc_u32_e32 v5, v2, v3
	s_delay_alu instid0(VALU_DEP_1) | instskip(NEXT) | instid1(VALU_DEP_1)
	v_mad_u64_u32 v[2:3], null, v5, s10, v[0:1]
	v_mad_u64_u32 v[3:4], null, v5, s11, v[1:2]
	s_delay_alu instid0(VALU_DEP_1)
	v_dual_mov_b32 v0, v2 :: v_dual_mov_b32 v1, v3
.LBB215_188:
	s_waitcnt lgkmcnt(0)
	global_load_u16 v1, v1, s[6:7]
	v_add_nc_u32_e32 v12, 0x80, v12
	s_waitcnt vmcnt(0)
	v_cvt_f32_f16_e32 v1, v1
	s_delay_alu instid0(VALU_DEP_1) | instskip(NEXT) | instid1(VALU_DEP_1)
	v_cvt_f64_f32_e32 v[1:2], v1
	v_rsq_f64_e32 v[3:4], v[1:2]
	s_waitcnt_depctr 0xfff
	v_mul_f64 v[1:2], v[3:4], -v[1:2]
	v_cmp_class_f64_e64 vcc_lo, v[3:4], 0x180
	s_delay_alu instid0(VALU_DEP_2) | instskip(NEXT) | instid1(VALU_DEP_1)
	v_fma_f64 v[1:2], v[1:2], v[3:4], 1.0
	v_mul_f64 v[5:6], v[3:4], v[1:2]
	v_fma_f64 v[1:2], 0x3fd80000, v[1:2], 0.5
	s_delay_alu instid0(VALU_DEP_1) | instskip(NEXT) | instid1(VALU_DEP_1)
	v_fma_f64 v[1:2], v[5:6], v[1:2], v[3:4]
	v_dual_cndmask_b32 v2, v4, v2 :: v_dual_cndmask_b32 v1, v3, v1
	s_delay_alu instid0(VALU_DEP_1) | instskip(NEXT) | instid1(VALU_DEP_1)
	v_cvt_f32_f64_e32 v1, v[1:2]
	v_cvt_f16_f32_e32 v1, v1
	global_store_b16 v0, v1, s[4:5]
	s_or_b32 exec_lo, exec_lo, s30
	s_delay_alu instid0(SALU_CYCLE_1)
	s_mov_b32 s30, exec_lo
	v_cmpx_gt_i32_e64 s27, v12
	s_cbranch_execnz .LBB215_175
.LBB215_189:
	s_or_b32 exec_lo, exec_lo, s30
	s_delay_alu instid0(SALU_CYCLE_1)
	s_mov_b32 s30, exec_lo
	v_cmpx_gt_i32_e64 s27, v12
	s_cbranch_execz .LBB215_204
.LBB215_190:
	s_and_not1_b32 vcc_lo, exec_lo, s24
	s_cbranch_vccnz .LBB215_195
; %bb.191:
	v_dual_mov_b32 v0, 0 :: v_dual_mov_b32 v1, 0
	s_and_not1_b32 vcc_lo, exec_lo, s29
	s_mov_b32 s31, 0
	s_cbranch_vccnz .LBB215_211
; %bb.192:
	v_mov_b32_e32 v0, 0
	s_add_i32 s34, s28, 1
	s_cmp_eq_u32 s23, 2
	s_mov_b32 s33, 0
	s_cbranch_scc1 .LBB215_207
; %bb.193:
	v_dual_mov_b32 v1, 0 :: v_dual_mov_b32 v0, 0
	v_mov_b32_e32 v2, v12
	s_and_b32 s33, s34, 28
	s_mov_b32 s35, 0
	s_mov_b64 s[18:19], s[16:17]
	s_mov_b64 s[20:21], s[0:1]
.LBB215_194:                            ; =>This Inner Loop Header: Depth=1
	s_clause 0x1
	s_load_b256 s[36:43], s[20:21], 0x4
	s_load_b128 s[52:55], s[20:21], 0x24
	s_load_b256 s[44:51], s[18:19], 0x0
	s_add_u32 s20, s20, 48
	s_addc_u32 s21, s21, 0
	s_add_i32 s35, s35, 4
	s_add_u32 s18, s18, 32
	s_addc_u32 s19, s19, 0
	s_cmp_eq_u32 s33, s35
	s_waitcnt lgkmcnt(0)
	v_mul_hi_u32 v3, s37, v2
	s_delay_alu instid0(VALU_DEP_1) | instskip(NEXT) | instid1(VALU_DEP_1)
	v_add_nc_u32_e32 v3, v2, v3
	v_lshrrev_b32_e32 v3, s38, v3
	s_delay_alu instid0(VALU_DEP_1) | instskip(SKIP_1) | instid1(VALU_DEP_2)
	v_mul_hi_u32 v4, s40, v3
	v_mul_lo_u32 v6, v3, s36
	v_add_nc_u32_e32 v4, v3, v4
	s_delay_alu instid0(VALU_DEP_2) | instskip(NEXT) | instid1(VALU_DEP_2)
	v_sub_nc_u32_e32 v2, v2, v6
	v_lshrrev_b32_e32 v4, s41, v4
	s_delay_alu instid0(VALU_DEP_2) | instskip(SKIP_1) | instid1(VALU_DEP_3)
	v_mul_lo_u32 v6, v2, s44
	v_mul_lo_u32 v8, v2, s45
	v_mul_hi_u32 v5, s43, v4
	s_delay_alu instid0(VALU_DEP_1) | instskip(NEXT) | instid1(VALU_DEP_1)
	v_add_nc_u32_e32 v5, v4, v5
	v_lshrrev_b32_e32 v5, s52, v5
	s_delay_alu instid0(VALU_DEP_1) | instskip(SKIP_1) | instid1(VALU_DEP_2)
	v_mul_hi_u32 v7, s54, v5
	v_mul_lo_u32 v9, v5, s42
	v_add_nc_u32_e32 v2, v5, v7
	v_mul_lo_u32 v7, v4, s39
	s_delay_alu instid0(VALU_DEP_3) | instskip(NEXT) | instid1(VALU_DEP_3)
	v_sub_nc_u32_e32 v4, v4, v9
	v_lshrrev_b32_e32 v2, s55, v2
	s_delay_alu instid0(VALU_DEP_2) | instskip(SKIP_2) | instid1(VALU_DEP_4)
	v_mul_lo_u32 v9, v4, s48
	v_mul_lo_u32 v4, v4, s49
	v_sub_nc_u32_e32 v3, v3, v7
	v_mul_lo_u32 v10, v2, s53
	s_delay_alu instid0(VALU_DEP_2) | instskip(SKIP_1) | instid1(VALU_DEP_3)
	v_mul_lo_u32 v7, v3, s46
	v_mul_lo_u32 v3, v3, s47
	v_sub_nc_u32_e32 v5, v5, v10
	s_delay_alu instid0(VALU_DEP_3) | instskip(NEXT) | instid1(VALU_DEP_2)
	v_add3_u32 v0, v6, v0, v7
	v_mul_lo_u32 v10, v5, s50
	v_mul_lo_u32 v5, v5, s51
	v_add3_u32 v1, v8, v1, v3
	s_delay_alu instid0(VALU_DEP_3) | instskip(NEXT) | instid1(VALU_DEP_2)
	v_add3_u32 v0, v9, v0, v10
	v_add3_u32 v1, v4, v1, v5
	s_cbranch_scc0 .LBB215_194
	s_branch .LBB215_208
.LBB215_195:
	s_mov_b32 s31, -1
                                        ; implicit-def: $vgpr0
                                        ; implicit-def: $vgpr1
	s_branch .LBB215_211
.LBB215_196:
	v_dual_mov_b32 v2, v12 :: v_dual_mov_b32 v1, 0
.LBB215_197:
	s_and_b32 s34, s34, 3
	s_delay_alu instid0(SALU_CYCLE_1)
	s_cmp_eq_u32 s34, 0
	s_cbranch_scc1 .LBB215_200
; %bb.198:
	s_lshl_b32 s18, s33, 3
	s_mul_i32 s20, s33, 12
	s_add_u32 s18, s18, s0
	s_addc_u32 s19, s1, 0
	s_add_u32 s18, s18, 0xc4
	s_addc_u32 s19, s19, 0
	s_add_u32 s20, s0, s20
	s_addc_u32 s21, s1, 0
	.p2align	6
.LBB215_199:                            ; =>This Inner Loop Header: Depth=1
	s_clause 0x1
	s_load_b64 s[36:37], s[20:21], 0x4
	s_load_b32 s33, s[20:21], 0xc
	s_load_b64 s[38:39], s[18:19], 0x0
	s_add_u32 s20, s20, 12
	s_addc_u32 s21, s21, 0
	s_add_u32 s18, s18, 8
	s_addc_u32 s19, s19, 0
	s_add_i32 s34, s34, -1
	s_delay_alu instid0(SALU_CYCLE_1) | instskip(SKIP_2) | instid1(VALU_DEP_1)
	s_cmp_lg_u32 s34, 0
	s_waitcnt lgkmcnt(0)
	v_mul_hi_u32 v3, s37, v2
	v_add_nc_u32_e32 v3, v2, v3
	s_delay_alu instid0(VALU_DEP_1) | instskip(NEXT) | instid1(VALU_DEP_1)
	v_lshrrev_b32_e32 v6, s33, v3
	v_mul_lo_u32 v3, v6, s36
	s_delay_alu instid0(VALU_DEP_1) | instskip(NEXT) | instid1(VALU_DEP_1)
	v_sub_nc_u32_e32 v2, v2, v3
	v_mad_u64_u32 v[3:4], null, v2, s38, v[0:1]
	v_mad_u64_u32 v[4:5], null, v2, s39, v[1:2]
	v_mov_b32_e32 v2, v6
	s_delay_alu instid0(VALU_DEP_2)
	v_dual_mov_b32 v0, v3 :: v_dual_mov_b32 v1, v4
	s_cbranch_scc1 .LBB215_199
.LBB215_200:
	s_and_not1_b32 vcc_lo, exec_lo, s31
	s_cbranch_vccnz .LBB215_203
; %bb.201:
	s_waitcnt lgkmcnt(0)
	v_mul_hi_u32 v0, s13, v12
	s_and_not1_b32 vcc_lo, exec_lo, s26
	s_delay_alu instid0(VALU_DEP_1) | instskip(NEXT) | instid1(VALU_DEP_1)
	v_add_nc_u32_e32 v0, v12, v0
	v_lshrrev_b32_e32 v2, s14, v0
	s_delay_alu instid0(VALU_DEP_1) | instskip(NEXT) | instid1(VALU_DEP_1)
	v_mul_lo_u32 v0, v2, s12
	v_sub_nc_u32_e32 v1, v12, v0
	s_delay_alu instid0(VALU_DEP_1)
	v_mul_lo_u32 v0, v1, s8
	v_mul_lo_u32 v1, v1, s9
	s_cbranch_vccnz .LBB215_203
; %bb.202:
	v_mul_hi_u32 v3, s2, v2
	s_delay_alu instid0(VALU_DEP_1) | instskip(NEXT) | instid1(VALU_DEP_1)
	v_add_nc_u32_e32 v3, v2, v3
	v_lshrrev_b32_e32 v3, s3, v3
	s_delay_alu instid0(VALU_DEP_1) | instskip(NEXT) | instid1(VALU_DEP_1)
	v_mul_lo_u32 v3, v3, s15
	v_sub_nc_u32_e32 v5, v2, v3
	s_delay_alu instid0(VALU_DEP_1) | instskip(NEXT) | instid1(VALU_DEP_1)
	v_mad_u64_u32 v[2:3], null, v5, s10, v[0:1]
	v_mad_u64_u32 v[3:4], null, v5, s11, v[1:2]
	s_delay_alu instid0(VALU_DEP_1)
	v_dual_mov_b32 v0, v2 :: v_dual_mov_b32 v1, v3
.LBB215_203:
	s_waitcnt lgkmcnt(0)
	global_load_u16 v1, v1, s[6:7]
	v_add_nc_u32_e32 v12, 0x80, v12
	s_waitcnt vmcnt(0)
	v_cvt_f32_f16_e32 v1, v1
	s_delay_alu instid0(VALU_DEP_1) | instskip(NEXT) | instid1(VALU_DEP_1)
	v_cvt_f64_f32_e32 v[1:2], v1
	v_rsq_f64_e32 v[3:4], v[1:2]
	s_waitcnt_depctr 0xfff
	v_mul_f64 v[1:2], v[3:4], -v[1:2]
	v_cmp_class_f64_e64 vcc_lo, v[3:4], 0x180
	s_delay_alu instid0(VALU_DEP_2) | instskip(NEXT) | instid1(VALU_DEP_1)
	v_fma_f64 v[1:2], v[1:2], v[3:4], 1.0
	v_mul_f64 v[5:6], v[3:4], v[1:2]
	v_fma_f64 v[1:2], 0x3fd80000, v[1:2], 0.5
	s_delay_alu instid0(VALU_DEP_1) | instskip(NEXT) | instid1(VALU_DEP_1)
	v_fma_f64 v[1:2], v[5:6], v[1:2], v[3:4]
	v_dual_cndmask_b32 v2, v4, v2 :: v_dual_cndmask_b32 v1, v3, v1
	s_delay_alu instid0(VALU_DEP_1) | instskip(NEXT) | instid1(VALU_DEP_1)
	v_cvt_f32_f64_e32 v1, v[1:2]
	v_cvt_f16_f32_e32 v1, v1
	global_store_b16 v0, v1, s[4:5]
	s_or_b32 exec_lo, exec_lo, s30
	s_delay_alu instid0(SALU_CYCLE_1)
	s_mov_b32 s30, exec_lo
	v_cmpx_gt_i32_e64 s27, v12
	s_cbranch_execnz .LBB215_190
.LBB215_204:
	s_or_b32 exec_lo, exec_lo, s30
	s_delay_alu instid0(SALU_CYCLE_1)
	s_mov_b32 s20, exec_lo
	v_cmpx_gt_i32_e64 s27, v12
	s_cbranch_execnz .LBB215_215
.LBB215_205:
	s_or_b32 exec_lo, exec_lo, s20
                                        ; implicit-def: $vgpr16
                                        ; implicit-def: $vgpr12
	s_waitcnt lgkmcnt(0)
	s_and_not1_saveexec_b32 s2, s25
	s_cbranch_execnz .LBB215_8
.LBB215_206:
	s_nop 0
	s_sendmsg sendmsg(MSG_DEALLOC_VGPRS)
	s_endpgm
.LBB215_207:
	v_dual_mov_b32 v2, v12 :: v_dual_mov_b32 v1, 0
.LBB215_208:
	s_and_b32 s34, s34, 3
	s_delay_alu instid0(SALU_CYCLE_1)
	s_cmp_eq_u32 s34, 0
	s_cbranch_scc1 .LBB215_211
; %bb.209:
	s_lshl_b32 s18, s33, 3
	s_mul_i32 s20, s33, 12
	s_add_u32 s18, s18, s0
	s_addc_u32 s19, s1, 0
	s_add_u32 s18, s18, 0xc4
	s_addc_u32 s19, s19, 0
	;; [unrolled: 2-line block ×3, first 2 shown]
	.p2align	6
.LBB215_210:                            ; =>This Inner Loop Header: Depth=1
	s_clause 0x1
	s_load_b64 s[36:37], s[20:21], 0x4
	s_load_b32 s33, s[20:21], 0xc
	s_load_b64 s[38:39], s[18:19], 0x0
	s_add_u32 s20, s20, 12
	s_addc_u32 s21, s21, 0
	s_add_u32 s18, s18, 8
	s_addc_u32 s19, s19, 0
	s_add_i32 s34, s34, -1
	s_delay_alu instid0(SALU_CYCLE_1) | instskip(SKIP_2) | instid1(VALU_DEP_1)
	s_cmp_lg_u32 s34, 0
	s_waitcnt lgkmcnt(0)
	v_mul_hi_u32 v3, s37, v2
	v_add_nc_u32_e32 v3, v2, v3
	s_delay_alu instid0(VALU_DEP_1) | instskip(NEXT) | instid1(VALU_DEP_1)
	v_lshrrev_b32_e32 v6, s33, v3
	v_mul_lo_u32 v3, v6, s36
	s_delay_alu instid0(VALU_DEP_1) | instskip(NEXT) | instid1(VALU_DEP_1)
	v_sub_nc_u32_e32 v2, v2, v3
	v_mad_u64_u32 v[3:4], null, v2, s38, v[0:1]
	v_mad_u64_u32 v[4:5], null, v2, s39, v[1:2]
	v_mov_b32_e32 v2, v6
	s_delay_alu instid0(VALU_DEP_2)
	v_dual_mov_b32 v0, v3 :: v_dual_mov_b32 v1, v4
	s_cbranch_scc1 .LBB215_210
.LBB215_211:
	s_and_not1_b32 vcc_lo, exec_lo, s31
	s_cbranch_vccnz .LBB215_214
; %bb.212:
	s_waitcnt lgkmcnt(0)
	v_mul_hi_u32 v0, s13, v12
	s_and_not1_b32 vcc_lo, exec_lo, s26
	s_delay_alu instid0(VALU_DEP_1) | instskip(NEXT) | instid1(VALU_DEP_1)
	v_add_nc_u32_e32 v0, v12, v0
	v_lshrrev_b32_e32 v2, s14, v0
	s_delay_alu instid0(VALU_DEP_1) | instskip(NEXT) | instid1(VALU_DEP_1)
	v_mul_lo_u32 v0, v2, s12
	v_sub_nc_u32_e32 v1, v12, v0
	s_delay_alu instid0(VALU_DEP_1)
	v_mul_lo_u32 v0, v1, s8
	v_mul_lo_u32 v1, v1, s9
	s_cbranch_vccnz .LBB215_214
; %bb.213:
	v_mul_hi_u32 v3, s2, v2
	s_delay_alu instid0(VALU_DEP_1) | instskip(NEXT) | instid1(VALU_DEP_1)
	v_add_nc_u32_e32 v3, v2, v3
	v_lshrrev_b32_e32 v3, s3, v3
	s_delay_alu instid0(VALU_DEP_1) | instskip(NEXT) | instid1(VALU_DEP_1)
	v_mul_lo_u32 v3, v3, s15
	v_sub_nc_u32_e32 v5, v2, v3
	s_delay_alu instid0(VALU_DEP_1) | instskip(NEXT) | instid1(VALU_DEP_1)
	v_mad_u64_u32 v[2:3], null, v5, s10, v[0:1]
	v_mad_u64_u32 v[3:4], null, v5, s11, v[1:2]
	s_delay_alu instid0(VALU_DEP_1)
	v_dual_mov_b32 v0, v2 :: v_dual_mov_b32 v1, v3
.LBB215_214:
	s_waitcnt lgkmcnt(0)
	global_load_u16 v1, v1, s[6:7]
	v_add_nc_u32_e32 v12, 0x80, v12
	s_waitcnt vmcnt(0)
	v_cvt_f32_f16_e32 v1, v1
	s_delay_alu instid0(VALU_DEP_1) | instskip(NEXT) | instid1(VALU_DEP_1)
	v_cvt_f64_f32_e32 v[1:2], v1
	v_rsq_f64_e32 v[3:4], v[1:2]
	s_waitcnt_depctr 0xfff
	v_mul_f64 v[1:2], v[3:4], -v[1:2]
	v_cmp_class_f64_e64 vcc_lo, v[3:4], 0x180
	s_delay_alu instid0(VALU_DEP_2) | instskip(NEXT) | instid1(VALU_DEP_1)
	v_fma_f64 v[1:2], v[1:2], v[3:4], 1.0
	v_mul_f64 v[5:6], v[3:4], v[1:2]
	v_fma_f64 v[1:2], 0x3fd80000, v[1:2], 0.5
	s_delay_alu instid0(VALU_DEP_1) | instskip(NEXT) | instid1(VALU_DEP_1)
	v_fma_f64 v[1:2], v[5:6], v[1:2], v[3:4]
	v_dual_cndmask_b32 v2, v4, v2 :: v_dual_cndmask_b32 v1, v3, v1
	s_delay_alu instid0(VALU_DEP_1) | instskip(NEXT) | instid1(VALU_DEP_1)
	v_cvt_f32_f64_e32 v1, v[1:2]
	v_cvt_f16_f32_e32 v1, v1
	global_store_b16 v0, v1, s[4:5]
	s_or_b32 exec_lo, exec_lo, s30
	s_delay_alu instid0(SALU_CYCLE_1)
	s_mov_b32 s20, exec_lo
	v_cmpx_gt_i32_e64 s27, v12
	s_cbranch_execz .LBB215_205
.LBB215_215:
	s_and_not1_b32 vcc_lo, exec_lo, s24
	s_cbranch_vccnz .LBB215_220
; %bb.216:
	v_dual_mov_b32 v0, 0 :: v_dual_mov_b32 v1, 0
	s_and_not1_b32 vcc_lo, exec_lo, s29
	s_mov_b32 s21, 0
	s_cbranch_vccnz .LBB215_225
; %bb.217:
	v_mov_b32_e32 v0, 0
	s_add_i32 s28, s28, 1
	s_cmp_eq_u32 s23, 2
	s_mov_b32 s27, 0
	s_cbranch_scc1 .LBB215_221
; %bb.218:
	v_dual_mov_b32 v1, 0 :: v_dual_mov_b32 v0, 0
	v_mov_b32_e32 v2, v12
	s_and_b32 s27, s28, 28
	s_mov_b32 s29, 0
	s_mov_b64 s[18:19], s[0:1]
.LBB215_219:                            ; =>This Inner Loop Header: Depth=1
	s_clause 0x1
	s_load_b256 s[36:43], s[18:19], 0x4
	s_load_b128 s[52:55], s[18:19], 0x24
	s_load_b256 s[44:51], s[16:17], 0x0
	s_add_u32 s18, s18, 48
	s_addc_u32 s19, s19, 0
	s_add_i32 s29, s29, 4
	s_add_u32 s16, s16, 32
	s_addc_u32 s17, s17, 0
	s_cmp_eq_u32 s27, s29
	s_waitcnt lgkmcnt(0)
	v_mul_hi_u32 v3, s37, v2
	s_delay_alu instid0(VALU_DEP_1) | instskip(NEXT) | instid1(VALU_DEP_1)
	v_add_nc_u32_e32 v3, v2, v3
	v_lshrrev_b32_e32 v3, s38, v3
	s_delay_alu instid0(VALU_DEP_1) | instskip(SKIP_1) | instid1(VALU_DEP_2)
	v_mul_hi_u32 v4, s40, v3
	v_mul_lo_u32 v6, v3, s36
	v_add_nc_u32_e32 v4, v3, v4
	s_delay_alu instid0(VALU_DEP_2) | instskip(NEXT) | instid1(VALU_DEP_2)
	v_sub_nc_u32_e32 v2, v2, v6
	v_lshrrev_b32_e32 v4, s41, v4
	s_delay_alu instid0(VALU_DEP_2) | instskip(SKIP_1) | instid1(VALU_DEP_3)
	v_mul_lo_u32 v6, v2, s44
	v_mul_lo_u32 v8, v2, s45
	v_mul_hi_u32 v5, s43, v4
	s_delay_alu instid0(VALU_DEP_1) | instskip(NEXT) | instid1(VALU_DEP_1)
	v_add_nc_u32_e32 v5, v4, v5
	v_lshrrev_b32_e32 v5, s52, v5
	s_delay_alu instid0(VALU_DEP_1) | instskip(SKIP_1) | instid1(VALU_DEP_2)
	v_mul_hi_u32 v7, s54, v5
	v_mul_lo_u32 v9, v5, s42
	v_add_nc_u32_e32 v2, v5, v7
	v_mul_lo_u32 v7, v4, s39
	s_delay_alu instid0(VALU_DEP_3) | instskip(NEXT) | instid1(VALU_DEP_3)
	v_sub_nc_u32_e32 v4, v4, v9
	v_lshrrev_b32_e32 v2, s55, v2
	s_delay_alu instid0(VALU_DEP_2) | instskip(SKIP_2) | instid1(VALU_DEP_4)
	v_mul_lo_u32 v9, v4, s48
	v_mul_lo_u32 v4, v4, s49
	v_sub_nc_u32_e32 v3, v3, v7
	v_mul_lo_u32 v10, v2, s53
	s_delay_alu instid0(VALU_DEP_2) | instskip(SKIP_1) | instid1(VALU_DEP_3)
	v_mul_lo_u32 v7, v3, s46
	v_mul_lo_u32 v3, v3, s47
	v_sub_nc_u32_e32 v5, v5, v10
	s_delay_alu instid0(VALU_DEP_3) | instskip(NEXT) | instid1(VALU_DEP_2)
	v_add3_u32 v0, v6, v0, v7
	v_mul_lo_u32 v10, v5, s50
	v_mul_lo_u32 v5, v5, s51
	v_add3_u32 v1, v8, v1, v3
	s_delay_alu instid0(VALU_DEP_3) | instskip(NEXT) | instid1(VALU_DEP_2)
	v_add3_u32 v0, v9, v0, v10
	v_add3_u32 v1, v4, v1, v5
	s_cbranch_scc0 .LBB215_219
	s_branch .LBB215_222
.LBB215_220:
	s_mov_b32 s21, -1
                                        ; implicit-def: $vgpr0
                                        ; implicit-def: $vgpr1
	s_branch .LBB215_225
.LBB215_221:
	v_dual_mov_b32 v2, v12 :: v_dual_mov_b32 v1, 0
.LBB215_222:
	s_and_b32 s28, s28, 3
	s_delay_alu instid0(SALU_CYCLE_1)
	s_cmp_eq_u32 s28, 0
	s_cbranch_scc1 .LBB215_225
; %bb.223:
	s_lshl_b32 s16, s27, 3
	s_mul_i32 s18, s27, 12
	s_add_u32 s16, s16, s0
	s_addc_u32 s17, s1, 0
	s_add_u32 s16, s16, 0xc4
	s_addc_u32 s17, s17, 0
	;; [unrolled: 2-line block ×3, first 2 shown]
	.p2align	6
.LBB215_224:                            ; =>This Inner Loop Header: Depth=1
	s_clause 0x1
	s_load_b64 s[30:31], s[18:19], 0x4
	s_load_b32 s27, s[18:19], 0xc
	s_load_b64 s[34:35], s[16:17], 0x0
	s_add_u32 s18, s18, 12
	s_addc_u32 s19, s19, 0
	s_add_u32 s16, s16, 8
	s_addc_u32 s17, s17, 0
	s_add_i32 s28, s28, -1
	s_delay_alu instid0(SALU_CYCLE_1) | instskip(SKIP_2) | instid1(VALU_DEP_1)
	s_cmp_lg_u32 s28, 0
	s_waitcnt lgkmcnt(0)
	v_mul_hi_u32 v3, s31, v2
	v_add_nc_u32_e32 v3, v2, v3
	s_delay_alu instid0(VALU_DEP_1) | instskip(NEXT) | instid1(VALU_DEP_1)
	v_lshrrev_b32_e32 v6, s27, v3
	v_mul_lo_u32 v3, v6, s30
	s_delay_alu instid0(VALU_DEP_1) | instskip(NEXT) | instid1(VALU_DEP_1)
	v_sub_nc_u32_e32 v2, v2, v3
	v_mad_u64_u32 v[3:4], null, v2, s34, v[0:1]
	v_mad_u64_u32 v[4:5], null, v2, s35, v[1:2]
	v_mov_b32_e32 v2, v6
	s_delay_alu instid0(VALU_DEP_2)
	v_dual_mov_b32 v0, v3 :: v_dual_mov_b32 v1, v4
	s_cbranch_scc1 .LBB215_224
.LBB215_225:
	s_and_not1_b32 vcc_lo, exec_lo, s21
	s_cbranch_vccnz .LBB215_228
; %bb.226:
	s_waitcnt lgkmcnt(0)
	v_mul_hi_u32 v0, s13, v12
	s_and_not1_b32 vcc_lo, exec_lo, s26
	s_delay_alu instid0(VALU_DEP_1) | instskip(NEXT) | instid1(VALU_DEP_1)
	v_add_nc_u32_e32 v0, v12, v0
	v_lshrrev_b32_e32 v2, s14, v0
	s_delay_alu instid0(VALU_DEP_1) | instskip(NEXT) | instid1(VALU_DEP_1)
	v_mul_lo_u32 v0, v2, s12
	v_sub_nc_u32_e32 v1, v12, v0
	s_delay_alu instid0(VALU_DEP_1)
	v_mul_lo_u32 v0, v1, s8
	v_mul_lo_u32 v1, v1, s9
	s_cbranch_vccnz .LBB215_228
; %bb.227:
	v_mul_hi_u32 v3, s2, v2
	s_delay_alu instid0(VALU_DEP_1) | instskip(NEXT) | instid1(VALU_DEP_1)
	v_add_nc_u32_e32 v3, v2, v3
	v_lshrrev_b32_e32 v3, s3, v3
	s_delay_alu instid0(VALU_DEP_1) | instskip(NEXT) | instid1(VALU_DEP_1)
	v_mul_lo_u32 v3, v3, s15
	v_sub_nc_u32_e32 v5, v2, v3
	s_delay_alu instid0(VALU_DEP_1) | instskip(NEXT) | instid1(VALU_DEP_1)
	v_mad_u64_u32 v[2:3], null, v5, s10, v[0:1]
	v_mad_u64_u32 v[3:4], null, v5, s11, v[1:2]
	s_delay_alu instid0(VALU_DEP_1)
	v_dual_mov_b32 v0, v2 :: v_dual_mov_b32 v1, v3
.LBB215_228:
	s_waitcnt lgkmcnt(0)
	global_load_u16 v1, v1, s[6:7]
	s_waitcnt vmcnt(0)
	v_cvt_f32_f16_e32 v1, v1
	s_delay_alu instid0(VALU_DEP_1) | instskip(NEXT) | instid1(VALU_DEP_1)
	v_cvt_f64_f32_e32 v[1:2], v1
	v_rsq_f64_e32 v[3:4], v[1:2]
	s_waitcnt_depctr 0xfff
	v_mul_f64 v[1:2], v[3:4], -v[1:2]
	v_cmp_class_f64_e64 vcc_lo, v[3:4], 0x180
	s_delay_alu instid0(VALU_DEP_2) | instskip(NEXT) | instid1(VALU_DEP_1)
	v_fma_f64 v[1:2], v[1:2], v[3:4], 1.0
	v_mul_f64 v[5:6], v[3:4], v[1:2]
	v_fma_f64 v[1:2], 0x3fd80000, v[1:2], 0.5
	s_delay_alu instid0(VALU_DEP_1) | instskip(NEXT) | instid1(VALU_DEP_1)
	v_fma_f64 v[1:2], v[5:6], v[1:2], v[3:4]
	v_dual_cndmask_b32 v2, v4, v2 :: v_dual_cndmask_b32 v1, v3, v1
	s_delay_alu instid0(VALU_DEP_1) | instskip(NEXT) | instid1(VALU_DEP_1)
	v_cvt_f32_f64_e32 v1, v[1:2]
	v_cvt_f16_f32_e32 v1, v1
	global_store_b16 v0, v1, s[4:5]
	s_or_b32 exec_lo, exec_lo, s20
                                        ; implicit-def: $vgpr16
                                        ; implicit-def: $vgpr12
	s_and_not1_saveexec_b32 s2, s25
	s_cbranch_execz .LBB215_206
	s_branch .LBB215_8
	.section	.rodata,"a",@progbits
	.p2align	6, 0x0
	.amdhsa_kernel _ZN2at6native32elementwise_kernel_manual_unrollILi128ELi8EZNS0_22gpu_kernel_impl_nocastIZZZNS0_17rsqrt_kernel_cudaERNS_18TensorIteratorBaseEENKUlvE0_clEvENKUlvE2_clEvEUlN3c104HalfEE_EEvS4_RKT_EUlibE_EEviT1_
		.amdhsa_group_segment_fixed_size 0
		.amdhsa_private_segment_fixed_size 0
		.amdhsa_kernarg_size 360
		.amdhsa_user_sgpr_count 15
		.amdhsa_user_sgpr_dispatch_ptr 0
		.amdhsa_user_sgpr_queue_ptr 0
		.amdhsa_user_sgpr_kernarg_segment_ptr 1
		.amdhsa_user_sgpr_dispatch_id 0
		.amdhsa_user_sgpr_private_segment_size 0
		.amdhsa_wavefront_size32 1
		.amdhsa_uses_dynamic_stack 0
		.amdhsa_enable_private_segment 0
		.amdhsa_system_sgpr_workgroup_id_x 1
		.amdhsa_system_sgpr_workgroup_id_y 0
		.amdhsa_system_sgpr_workgroup_id_z 0
		.amdhsa_system_sgpr_workgroup_info 0
		.amdhsa_system_vgpr_workitem_id 0
		.amdhsa_next_free_vgpr 63
		.amdhsa_next_free_sgpr 56
		.amdhsa_reserve_vcc 1
		.amdhsa_float_round_mode_32 0
		.amdhsa_float_round_mode_16_64 0
		.amdhsa_float_denorm_mode_32 3
		.amdhsa_float_denorm_mode_16_64 3
		.amdhsa_dx10_clamp 1
		.amdhsa_ieee_mode 1
		.amdhsa_fp16_overflow 0
		.amdhsa_workgroup_processor_mode 1
		.amdhsa_memory_ordered 1
		.amdhsa_forward_progress 0
		.amdhsa_shared_vgpr_count 0
		.amdhsa_exception_fp_ieee_invalid_op 0
		.amdhsa_exception_fp_denorm_src 0
		.amdhsa_exception_fp_ieee_div_zero 0
		.amdhsa_exception_fp_ieee_overflow 0
		.amdhsa_exception_fp_ieee_underflow 0
		.amdhsa_exception_fp_ieee_inexact 0
		.amdhsa_exception_int_div_zero 0
	.end_amdhsa_kernel
	.section	.text._ZN2at6native32elementwise_kernel_manual_unrollILi128ELi8EZNS0_22gpu_kernel_impl_nocastIZZZNS0_17rsqrt_kernel_cudaERNS_18TensorIteratorBaseEENKUlvE0_clEvENKUlvE2_clEvEUlN3c104HalfEE_EEvS4_RKT_EUlibE_EEviT1_,"axG",@progbits,_ZN2at6native32elementwise_kernel_manual_unrollILi128ELi8EZNS0_22gpu_kernel_impl_nocastIZZZNS0_17rsqrt_kernel_cudaERNS_18TensorIteratorBaseEENKUlvE0_clEvENKUlvE2_clEvEUlN3c104HalfEE_EEvS4_RKT_EUlibE_EEviT1_,comdat
.Lfunc_end215:
	.size	_ZN2at6native32elementwise_kernel_manual_unrollILi128ELi8EZNS0_22gpu_kernel_impl_nocastIZZZNS0_17rsqrt_kernel_cudaERNS_18TensorIteratorBaseEENKUlvE0_clEvENKUlvE2_clEvEUlN3c104HalfEE_EEvS4_RKT_EUlibE_EEviT1_, .Lfunc_end215-_ZN2at6native32elementwise_kernel_manual_unrollILi128ELi8EZNS0_22gpu_kernel_impl_nocastIZZZNS0_17rsqrt_kernel_cudaERNS_18TensorIteratorBaseEENKUlvE0_clEvENKUlvE2_clEvEUlN3c104HalfEE_EEvS4_RKT_EUlibE_EEviT1_
                                        ; -- End function
	.section	.AMDGPU.csdata,"",@progbits
; Kernel info:
; codeLenInByte = 14968
; NumSgprs: 58
; NumVgprs: 63
; ScratchSize: 0
; MemoryBound: 0
; FloatMode: 240
; IeeeMode: 1
; LDSByteSize: 0 bytes/workgroup (compile time only)
; SGPRBlocks: 7
; VGPRBlocks: 7
; NumSGPRsForWavesPerEU: 58
; NumVGPRsForWavesPerEU: 63
; Occupancy: 16
; WaveLimiterHint : 1
; COMPUTE_PGM_RSRC2:SCRATCH_EN: 0
; COMPUTE_PGM_RSRC2:USER_SGPR: 15
; COMPUTE_PGM_RSRC2:TRAP_HANDLER: 0
; COMPUTE_PGM_RSRC2:TGID_X_EN: 1
; COMPUTE_PGM_RSRC2:TGID_Y_EN: 0
; COMPUTE_PGM_RSRC2:TGID_Z_EN: 0
; COMPUTE_PGM_RSRC2:TIDIG_COMP_CNT: 0
	.section	.text._ZN2at6native32elementwise_kernel_manual_unrollILi128ELi4EZNS0_15gpu_kernel_implIZZZNS0_17rsqrt_kernel_cudaERNS_18TensorIteratorBaseEENKUlvE0_clEvENKUlvE2_clEvEUlN3c104HalfEE_EEvS4_RKT_EUlibE_EEviT1_,"axG",@progbits,_ZN2at6native32elementwise_kernel_manual_unrollILi128ELi4EZNS0_15gpu_kernel_implIZZZNS0_17rsqrt_kernel_cudaERNS_18TensorIteratorBaseEENKUlvE0_clEvENKUlvE2_clEvEUlN3c104HalfEE_EEvS4_RKT_EUlibE_EEviT1_,comdat
	.globl	_ZN2at6native32elementwise_kernel_manual_unrollILi128ELi4EZNS0_15gpu_kernel_implIZZZNS0_17rsqrt_kernel_cudaERNS_18TensorIteratorBaseEENKUlvE0_clEvENKUlvE2_clEvEUlN3c104HalfEE_EEvS4_RKT_EUlibE_EEviT1_ ; -- Begin function _ZN2at6native32elementwise_kernel_manual_unrollILi128ELi4EZNS0_15gpu_kernel_implIZZZNS0_17rsqrt_kernel_cudaERNS_18TensorIteratorBaseEENKUlvE0_clEvENKUlvE2_clEvEUlN3c104HalfEE_EEvS4_RKT_EUlibE_EEviT1_
	.p2align	8
	.type	_ZN2at6native32elementwise_kernel_manual_unrollILi128ELi4EZNS0_15gpu_kernel_implIZZZNS0_17rsqrt_kernel_cudaERNS_18TensorIteratorBaseEENKUlvE0_clEvENKUlvE2_clEvEUlN3c104HalfEE_EEvS4_RKT_EUlibE_EEviT1_,@function
_ZN2at6native32elementwise_kernel_manual_unrollILi128ELi4EZNS0_15gpu_kernel_implIZZZNS0_17rsqrt_kernel_cudaERNS_18TensorIteratorBaseEENKUlvE0_clEvENKUlvE2_clEvEUlN3c104HalfEE_EEvS4_RKT_EUlibE_EEviT1_: ; @_ZN2at6native32elementwise_kernel_manual_unrollILi128ELi4EZNS0_15gpu_kernel_implIZZZNS0_17rsqrt_kernel_cudaERNS_18TensorIteratorBaseEENKUlvE0_clEvENKUlvE2_clEvEUlN3c104HalfEE_EEvS4_RKT_EUlibE_EEviT1_
; %bb.0:
	v_mov_b32_e32 v1, 0
	s_clause 0x2
	s_load_b32 s10, s[0:1], 0x0
	s_load_b64 s[2:3], s[0:1], 0x18
	s_load_b128 s[4:7], s[0:1], 0x8
	v_lshl_or_b32 v3, s15, 9, v0
	s_mov_b32 s9, 0
	global_load_u16 v2, v1, s[0:1] offset:33
	s_mov_b32 s1, 0
	v_or_b32_e32 v0, 0x180, v3
	s_mov_b32 s0, exec_lo
	s_waitcnt vmcnt(0)
	v_lshrrev_b16 v4, 8, v2
	s_waitcnt lgkmcnt(0)
	v_cmpx_le_i32_e64 s10, v0
	s_xor_b32 s8, exec_lo, s0
	s_cbranch_execz .LBB216_1033
; %bb.1:
	s_mov_b32 s15, -1
	s_mov_b32 s13, 0
	s_mov_b32 s11, 0
	s_mov_b32 s12, exec_lo
	v_cmpx_gt_i32_e64 s10, v3
	s_cbranch_execz .LBB216_252
; %bb.2:
	v_mul_lo_u32 v0, v3, s3
	v_cmp_gt_i16_e32 vcc_lo, 11, v4
	s_delay_alu instid0(VALU_DEP_2) | instskip(SKIP_1) | instid1(VALU_DEP_1)
	v_ashrrev_i32_e32 v1, 31, v0
	v_add_co_u32 v0, s0, s6, v0
	v_add_co_ci_u32_e64 v1, s0, s7, v1, s0
	s_cbranch_vccnz .LBB216_9
; %bb.3:
	v_cmp_lt_i16_e32 vcc_lo, 25, v4
	s_cbranch_vccz .LBB216_18
; %bb.4:
	v_cmp_lt_i16_e32 vcc_lo, 28, v4
	s_cbranch_vccz .LBB216_21
	;; [unrolled: 3-line block ×4, first 2 shown]
; %bb.7:
	v_cmp_eq_u16_e32 vcc_lo, 46, v4
	s_cbranch_vccz .LBB216_27
; %bb.8:
	global_load_b32 v5, v[0:1], off
	s_mov_b32 s0, -1
	s_waitcnt vmcnt(0)
	v_lshlrev_b32_e32 v5, 16, v5
	s_delay_alu instid0(VALU_DEP_1)
	v_cvt_f16_f32_e32 v5, v5
	s_branch .LBB216_29
.LBB216_9:
	s_mov_b32 s0, 0
                                        ; implicit-def: $vgpr5
	s_cbranch_execnz .LBB216_202
.LBB216_10:
	s_and_not1_b32 vcc_lo, exec_lo, s0
	s_cbranch_vccnz .LBB216_249
.LBB216_11:
	s_waitcnt vmcnt(0)
	s_delay_alu instid0(VALU_DEP_1) | instskip(NEXT) | instid1(VALU_DEP_1)
	v_cvt_f32_f16_e32 v0, v5
	v_cvt_f64_f32_e32 v[0:1], v0
	s_delay_alu instid0(VALU_DEP_1) | instskip(SKIP_3) | instid1(VALU_DEP_2)
	v_rsq_f64_e32 v[5:6], v[0:1]
	s_waitcnt_depctr 0xfff
	v_mul_f64 v[0:1], v[5:6], -v[0:1]
	v_cmp_class_f64_e64 vcc_lo, v[5:6], 0x180
	v_fma_f64 v[0:1], v[0:1], v[5:6], 1.0
	s_delay_alu instid0(VALU_DEP_1) | instskip(SKIP_1) | instid1(VALU_DEP_1)
	v_mul_f64 v[7:8], v[5:6], v[0:1]
	v_fma_f64 v[0:1], 0x3fd80000, v[0:1], 0.5
	v_fma_f64 v[0:1], v[7:8], v[0:1], v[5:6]
	s_delay_alu instid0(VALU_DEP_1) | instskip(SKIP_1) | instid1(VALU_DEP_2)
	v_dual_cndmask_b32 v1, v6, v1 :: v_dual_cndmask_b32 v0, v5, v0
	v_and_b32_e32 v6, 0xff, v2
	v_cvt_f32_f64_e32 v5, v[0:1]
	v_mul_lo_u32 v0, v3, s2
	s_delay_alu instid0(VALU_DEP_3) | instskip(SKIP_1) | instid1(VALU_DEP_2)
	v_cmp_gt_i16_e32 vcc_lo, 11, v6
	s_and_b32 vcc_lo, exec_lo, vcc_lo
	v_ashrrev_i32_e32 v1, 31, v0
	v_add_co_u32 v0, s0, s4, v0
	s_delay_alu instid0(VALU_DEP_1)
	v_add_co_ci_u32_e64 v1, s0, s5, v1, s0
	v_cvt_f16_f32_e32 v5, v5
	s_cbranch_vccnz .LBB216_19
; %bb.12:
	v_cmp_lt_i16_e32 vcc_lo, 25, v6
	s_cbranch_vccz .LBB216_22
; %bb.13:
	v_cmp_lt_i16_e32 vcc_lo, 28, v6
	s_cbranch_vccz .LBB216_24
	;; [unrolled: 3-line block ×4, first 2 shown]
; %bb.16:
	v_cmp_eq_u16_e32 vcc_lo, 46, v6
	s_mov_b32 s14, 0
	s_mov_b32 s0, -1
	s_mov_b32 s9, 0
	s_cbranch_vccz .LBB216_33
; %bb.17:
	v_cvt_f32_f16_e32 v7, v5
	v_cmp_o_f16_e32 vcc_lo, v5, v5
	s_mov_b32 s9, -1
	s_mov_b32 s0, 0
	s_delay_alu instid0(VALU_DEP_2) | instskip(NEXT) | instid1(VALU_DEP_1)
	v_bfe_u32 v8, v7, 16, 1
	v_add3_u32 v7, v7, v8, 0x7fff
	s_delay_alu instid0(VALU_DEP_1) | instskip(NEXT) | instid1(VALU_DEP_1)
	v_lshrrev_b32_e32 v7, 16, v7
	v_cndmask_b32_e32 v7, 0x7fc0, v7, vcc_lo
	global_store_b32 v[0:1], v7, off
	s_branch .LBB216_33
.LBB216_18:
	s_mov_b32 s0, 0
                                        ; implicit-def: $vgpr5
	s_cbranch_execnz .LBB216_167
	s_branch .LBB216_201
.LBB216_19:
	s_mov_b32 s0, 0
	s_mov_b32 s9, 0
	s_cbranch_execnz .LBB216_102
.LBB216_20:
	s_and_not1_b32 vcc_lo, exec_lo, s9
	s_cbranch_vccnz .LBB216_250
	s_branch .LBB216_140
.LBB216_21:
	s_mov_b32 s9, -1
	s_mov_b32 s0, 0
                                        ; implicit-def: $vgpr5
	s_branch .LBB216_148
.LBB216_22:
	s_mov_b32 s14, -1
	s_mov_b32 s0, 0
	s_mov_b32 s9, 0
	s_branch .LBB216_60
.LBB216_23:
	s_mov_b32 s9, -1
	s_mov_b32 s0, 0
                                        ; implicit-def: $vgpr5
	s_branch .LBB216_143
.LBB216_24:
	s_mov_b32 s14, -1
	s_mov_b32 s0, 0
	s_mov_b32 s9, 0
	s_branch .LBB216_43
.LBB216_25:
	s_mov_b32 s9, -1
	s_branch .LBB216_28
.LBB216_26:
	s_mov_b32 s14, -1
	s_mov_b32 s0, 0
	s_mov_b32 s9, 0
	s_branch .LBB216_39
.LBB216_27:
	s_mov_b32 s11, -1
.LBB216_28:
	s_mov_b32 s0, 0
                                        ; implicit-def: $vgpr5
.LBB216_29:
	s_and_b32 vcc_lo, exec_lo, s9
	s_cbranch_vccz .LBB216_142
; %bb.30:
	v_cmp_eq_u16_e32 vcc_lo, 44, v4
	s_cbranch_vccz .LBB216_141
; %bb.31:
	global_load_u8 v5, v[0:1], off
	s_mov_b32 s11, 0
	s_mov_b32 s0, -1
	s_waitcnt vmcnt(0)
	v_lshlrev_b32_e32 v6, 23, v5
	v_cmp_ne_u32_e32 vcc_lo, 0xff, v5
	s_delay_alu instid0(VALU_DEP_2) | instskip(NEXT) | instid1(VALU_DEP_1)
	v_cvt_f16_f32_e32 v6, v6
	v_cndmask_b32_e32 v6, 0x7e00, v6, vcc_lo
	v_cmp_ne_u32_e32 vcc_lo, 0, v5
	s_delay_alu instid0(VALU_DEP_2)
	v_cndmask_b32_e32 v5, 0, v6, vcc_lo
	s_branch .LBB216_142
.LBB216_32:
	s_mov_b32 s14, -1
	s_mov_b32 s0, 0
	s_mov_b32 s9, 0
.LBB216_33:
	s_and_b32 vcc_lo, exec_lo, s14
	s_cbranch_vccz .LBB216_38
; %bb.34:
	v_cmp_eq_u16_e32 vcc_lo, 44, v6
	s_mov_b32 s0, -1
	s_cbranch_vccz .LBB216_38
; %bb.35:
	v_cvt_f32_f16_e32 v7, v5
	v_mov_b32_e32 v8, 0xff
	s_mov_b32 s9, exec_lo
	s_delay_alu instid0(VALU_DEP_2) | instskip(NEXT) | instid1(VALU_DEP_1)
	v_bfe_u32 v9, v7, 23, 8
	v_cmpx_ne_u32_e32 0xff, v9
; %bb.36:
	v_and_b32_e32 v8, 0x400000, v7
	v_and_or_b32 v9, 0x3fffff, v7, v9
	v_lshrrev_b32_e32 v7, 23, v7
	s_delay_alu instid0(VALU_DEP_3) | instskip(NEXT) | instid1(VALU_DEP_3)
	v_cmp_ne_u32_e32 vcc_lo, 0, v8
	v_cmp_ne_u32_e64 s0, 0, v9
	s_delay_alu instid0(VALU_DEP_1) | instskip(NEXT) | instid1(SALU_CYCLE_1)
	s_and_b32 s0, vcc_lo, s0
	v_cndmask_b32_e64 v8, 0, 1, s0
	s_delay_alu instid0(VALU_DEP_1)
	v_add_nc_u32_e32 v8, v7, v8
; %bb.37:
	s_or_b32 exec_lo, exec_lo, s9
	s_mov_b32 s9, -1
	s_mov_b32 s0, 0
	global_store_b8 v[0:1], v8, off
.LBB216_38:
	s_mov_b32 s14, 0
.LBB216_39:
	s_delay_alu instid0(SALU_CYCLE_1)
	s_and_b32 vcc_lo, exec_lo, s14
	s_cbranch_vccz .LBB216_42
; %bb.40:
	v_cmp_eq_u16_e32 vcc_lo, 29, v6
	s_mov_b32 s0, -1
	s_cbranch_vccz .LBB216_42
; %bb.41:
	v_cvt_f32_f16_e32 v7, v5
	v_mov_b32_e32 v8, 0
	s_mov_b32 s0, 0
	s_mov_b32 s9, -1
	s_mov_b32 s14, 0
	v_cvt_u32_f32_e32 v7, v7
	global_store_b64 v[0:1], v[7:8], off
	s_branch .LBB216_43
.LBB216_42:
	s_mov_b32 s14, 0
.LBB216_43:
	s_delay_alu instid0(SALU_CYCLE_1)
	s_and_b32 vcc_lo, exec_lo, s14
	s_cbranch_vccz .LBB216_59
; %bb.44:
	v_cmp_gt_i16_e32 vcc_lo, 27, v6
	s_mov_b32 s9, -1
	s_cbranch_vccnz .LBB216_50
; %bb.45:
	v_cmp_lt_i16_e32 vcc_lo, 27, v6
	s_cbranch_vccz .LBB216_47
; %bb.46:
	v_cvt_f32_f16_e32 v7, v5
	s_mov_b32 s9, 0
	s_delay_alu instid0(VALU_DEP_1)
	v_cvt_u32_f32_e32 v7, v7
	global_store_b32 v[0:1], v7, off
.LBB216_47:
	s_and_not1_b32 vcc_lo, exec_lo, s9
	s_cbranch_vccnz .LBB216_49
; %bb.48:
	v_cvt_u16_f16_e32 v7, v5
	global_store_b16 v[0:1], v7, off
.LBB216_49:
	s_mov_b32 s9, 0
.LBB216_50:
	s_delay_alu instid0(SALU_CYCLE_1)
	s_and_not1_b32 vcc_lo, exec_lo, s9
	s_cbranch_vccnz .LBB216_58
; %bb.51:
	v_cvt_f32_f16_e32 v7, v5
	v_mov_b32_e32 v9, 0x80
	s_mov_b32 s9, exec_lo
	s_delay_alu instid0(VALU_DEP_2) | instskip(NEXT) | instid1(VALU_DEP_1)
	v_and_b32_e32 v8, 0x7fffffff, v7
	v_cmpx_gt_u32_e32 0x43800000, v8
	s_cbranch_execz .LBB216_57
; %bb.52:
	v_cmp_lt_u32_e32 vcc_lo, 0x3bffffff, v8
	s_mov_b32 s14, 0
                                        ; implicit-def: $vgpr8
	s_and_saveexec_b32 s15, vcc_lo
	s_delay_alu instid0(SALU_CYCLE_1)
	s_xor_b32 s15, exec_lo, s15
	s_cbranch_execz .LBB216_276
; %bb.53:
	v_bfe_u32 v8, v7, 20, 1
	s_mov_b32 s14, exec_lo
	s_delay_alu instid0(VALU_DEP_1) | instskip(NEXT) | instid1(VALU_DEP_1)
	v_add3_u32 v8, v7, v8, 0x487ffff
	v_lshrrev_b32_e32 v8, 20, v8
	s_or_saveexec_b32 s15, s15
                                        ; implicit-def: $sgpr16
	s_delay_alu instid0(SALU_CYCLE_1)
	s_xor_b32 exec_lo, exec_lo, s15
	s_cbranch_execnz .LBB216_277
.LBB216_54:
	s_or_b32 exec_lo, exec_lo, s15
	v_mov_b32_e32 v9, s16
	s_and_saveexec_b32 s15, s14
.LBB216_55:
	v_lshrrev_b32_e32 v7, 24, v7
	s_delay_alu instid0(VALU_DEP_1)
	v_and_or_b32 v9, 0x80, v7, v8
.LBB216_56:
	s_or_b32 exec_lo, exec_lo, s15
.LBB216_57:
	s_delay_alu instid0(SALU_CYCLE_1)
	s_or_b32 exec_lo, exec_lo, s9
	global_store_b8 v[0:1], v9, off
.LBB216_58:
	s_mov_b32 s9, -1
.LBB216_59:
	s_mov_b32 s14, 0
.LBB216_60:
	s_delay_alu instid0(SALU_CYCLE_1)
	s_and_b32 vcc_lo, exec_lo, s14
	s_cbranch_vccz .LBB216_101
; %bb.61:
	v_cmp_lt_i16_e32 vcc_lo, 22, v6
	s_mov_b32 s14, -1
	s_cbranch_vccz .LBB216_93
; %bb.62:
	v_cmp_gt_i16_e32 vcc_lo, 24, v6
	s_mov_b32 s9, -1
	s_cbranch_vccnz .LBB216_82
; %bb.63:
	v_cmp_lt_i16_e32 vcc_lo, 24, v6
	s_cbranch_vccz .LBB216_71
; %bb.64:
	v_cvt_f32_f16_e32 v7, v5
	v_mov_b32_e32 v9, 0x80
	s_mov_b32 s9, exec_lo
	s_delay_alu instid0(VALU_DEP_2) | instskip(NEXT) | instid1(VALU_DEP_1)
	v_and_b32_e32 v8, 0x7fffffff, v7
	v_cmpx_gt_u32_e32 0x47800000, v8
	s_cbranch_execz .LBB216_70
; %bb.65:
	v_cmp_lt_u32_e32 vcc_lo, 0x37ffffff, v8
	s_mov_b32 s14, 0
                                        ; implicit-def: $vgpr8
	s_and_saveexec_b32 s15, vcc_lo
	s_delay_alu instid0(SALU_CYCLE_1)
	s_xor_b32 s15, exec_lo, s15
	s_cbranch_execz .LBB216_280
; %bb.66:
	v_bfe_u32 v8, v7, 21, 1
	s_mov_b32 s14, exec_lo
	s_delay_alu instid0(VALU_DEP_1) | instskip(NEXT) | instid1(VALU_DEP_1)
	v_add3_u32 v8, v7, v8, 0x88fffff
	v_lshrrev_b32_e32 v8, 21, v8
	s_or_saveexec_b32 s15, s15
                                        ; implicit-def: $sgpr16
	s_delay_alu instid0(SALU_CYCLE_1)
	s_xor_b32 exec_lo, exec_lo, s15
	s_cbranch_execnz .LBB216_281
.LBB216_67:
	s_or_b32 exec_lo, exec_lo, s15
	v_mov_b32_e32 v9, s16
	s_and_saveexec_b32 s15, s14
.LBB216_68:
	v_lshrrev_b32_e32 v7, 24, v7
	s_delay_alu instid0(VALU_DEP_1)
	v_and_or_b32 v9, 0x80, v7, v8
.LBB216_69:
	s_or_b32 exec_lo, exec_lo, s15
.LBB216_70:
	s_delay_alu instid0(SALU_CYCLE_1)
	s_or_b32 exec_lo, exec_lo, s9
	s_mov_b32 s9, 0
	global_store_b8 v[0:1], v9, off
.LBB216_71:
	s_and_b32 vcc_lo, exec_lo, s9
	s_cbranch_vccz .LBB216_81
; %bb.72:
	v_cvt_f32_f16_e32 v7, v5
	s_mov_b32 s9, exec_lo
                                        ; implicit-def: $vgpr8
	s_delay_alu instid0(VALU_DEP_1) | instskip(NEXT) | instid1(VALU_DEP_1)
	v_and_b32_e32 v9, 0x7fffffff, v7
	v_cmpx_gt_u32_e32 0x43f00000, v9
	s_xor_b32 s9, exec_lo, s9
	s_cbranch_execz .LBB216_78
; %bb.73:
	s_mov_b32 s14, exec_lo
                                        ; implicit-def: $vgpr8
	v_cmpx_lt_u32_e32 0x3c7fffff, v9
	s_xor_b32 s14, exec_lo, s14
; %bb.74:
	v_bfe_u32 v8, v7, 20, 1
	s_delay_alu instid0(VALU_DEP_1) | instskip(NEXT) | instid1(VALU_DEP_1)
	v_add3_u32 v8, v7, v8, 0x407ffff
	v_and_b32_e32 v9, 0xff00000, v8
	v_lshrrev_b32_e32 v8, 20, v8
	s_delay_alu instid0(VALU_DEP_2) | instskip(NEXT) | instid1(VALU_DEP_2)
	v_cmp_ne_u32_e32 vcc_lo, 0x7f00000, v9
	v_cndmask_b32_e32 v8, 0x7e, v8, vcc_lo
; %bb.75:
	s_and_not1_saveexec_b32 s14, s14
; %bb.76:
	v_add_f32_e64 v8, 0x46800000, |v7|
; %bb.77:
	s_or_b32 exec_lo, exec_lo, s14
                                        ; implicit-def: $vgpr9
.LBB216_78:
	s_and_not1_saveexec_b32 s9, s9
; %bb.79:
	v_mov_b32_e32 v8, 0x7f
	v_cmp_lt_u32_e32 vcc_lo, 0x7f800000, v9
	s_delay_alu instid0(VALU_DEP_2)
	v_cndmask_b32_e32 v8, 0x7e, v8, vcc_lo
; %bb.80:
	s_or_b32 exec_lo, exec_lo, s9
	v_lshrrev_b32_e32 v7, 24, v7
	s_delay_alu instid0(VALU_DEP_1)
	v_and_or_b32 v7, 0x80, v7, v8
	global_store_b8 v[0:1], v7, off
.LBB216_81:
	s_mov_b32 s9, 0
.LBB216_82:
	s_delay_alu instid0(SALU_CYCLE_1)
	s_and_not1_b32 vcc_lo, exec_lo, s9
	s_cbranch_vccnz .LBB216_92
; %bb.83:
	v_cvt_f32_f16_e32 v7, v5
	s_mov_b32 s9, exec_lo
                                        ; implicit-def: $vgpr8
	s_delay_alu instid0(VALU_DEP_1) | instskip(NEXT) | instid1(VALU_DEP_1)
	v_and_b32_e32 v9, 0x7fffffff, v7
	v_cmpx_gt_u32_e32 0x47800000, v9
	s_xor_b32 s9, exec_lo, s9
	s_cbranch_execz .LBB216_89
; %bb.84:
	s_mov_b32 s14, exec_lo
                                        ; implicit-def: $vgpr8
	v_cmpx_lt_u32_e32 0x387fffff, v9
	s_xor_b32 s14, exec_lo, s14
; %bb.85:
	v_bfe_u32 v8, v7, 21, 1
	s_delay_alu instid0(VALU_DEP_1) | instskip(NEXT) | instid1(VALU_DEP_1)
	v_add3_u32 v8, v7, v8, 0x80fffff
	v_lshrrev_b32_e32 v8, 21, v8
; %bb.86:
	s_and_not1_saveexec_b32 s14, s14
; %bb.87:
	v_add_f32_e64 v8, 0x43000000, |v7|
; %bb.88:
	s_or_b32 exec_lo, exec_lo, s14
                                        ; implicit-def: $vgpr9
.LBB216_89:
	s_and_not1_saveexec_b32 s9, s9
; %bb.90:
	v_mov_b32_e32 v8, 0x7f
	v_cmp_lt_u32_e32 vcc_lo, 0x7f800000, v9
	s_delay_alu instid0(VALU_DEP_2)
	v_cndmask_b32_e32 v8, 0x7c, v8, vcc_lo
; %bb.91:
	s_or_b32 exec_lo, exec_lo, s9
	v_lshrrev_b32_e32 v7, 24, v7
	s_delay_alu instid0(VALU_DEP_1)
	v_and_or_b32 v7, 0x80, v7, v8
	global_store_b8 v[0:1], v7, off
.LBB216_92:
	s_mov_b32 s14, 0
	s_mov_b32 s9, -1
.LBB216_93:
	s_and_not1_b32 vcc_lo, exec_lo, s14
	s_cbranch_vccnz .LBB216_101
; %bb.94:
	v_cmp_lt_i16_e32 vcc_lo, 14, v6
	s_mov_b32 s14, -1
	s_cbranch_vccz .LBB216_98
; %bb.95:
	v_cmp_eq_u16_e32 vcc_lo, 15, v6
	s_mov_b32 s0, -1
	s_cbranch_vccz .LBB216_97
; %bb.96:
	v_cvt_f32_f16_e32 v7, v5
	v_cmp_o_f16_e32 vcc_lo, v5, v5
	s_mov_b32 s9, -1
	s_mov_b32 s0, 0
	s_delay_alu instid0(VALU_DEP_2) | instskip(NEXT) | instid1(VALU_DEP_1)
	v_bfe_u32 v8, v7, 16, 1
	v_add3_u32 v7, v7, v8, 0x7fff
	s_delay_alu instid0(VALU_DEP_1) | instskip(NEXT) | instid1(VALU_DEP_1)
	v_lshrrev_b32_e32 v7, 16, v7
	v_cndmask_b32_e32 v7, 0x7fc0, v7, vcc_lo
	global_store_b16 v[0:1], v7, off
.LBB216_97:
	s_mov_b32 s14, 0
.LBB216_98:
	s_delay_alu instid0(SALU_CYCLE_1)
	s_and_b32 vcc_lo, exec_lo, s14
	s_cbranch_vccz .LBB216_101
; %bb.99:
	v_cmp_eq_u16_e32 vcc_lo, 11, v6
	s_mov_b32 s0, -1
	s_cbranch_vccz .LBB216_101
; %bb.100:
	v_cmp_neq_f16_e32 vcc_lo, 0, v5
	s_mov_b32 s0, 0
	s_mov_b32 s9, -1
	v_cndmask_b32_e64 v7, 0, 1, vcc_lo
	global_store_b8 v[0:1], v7, off
.LBB216_101:
	s_branch .LBB216_20
.LBB216_102:
	v_cmp_gt_i16_e32 vcc_lo, 5, v6
	s_mov_b32 s9, -1
	s_cbranch_vccnz .LBB216_123
; %bb.103:
	v_cmp_gt_i16_e32 vcc_lo, 8, v6
	s_cbranch_vccnz .LBB216_113
; %bb.104:
	v_cmp_gt_i16_e32 vcc_lo, 9, v6
	s_cbranch_vccnz .LBB216_110
; %bb.105:
	v_cmp_lt_i16_e32 vcc_lo, 9, v6
	s_cbranch_vccz .LBB216_107
; %bb.106:
	v_cvt_f32_f16_e32 v7, v5
	v_mov_b32_e32 v9, 0
	s_mov_b32 s9, 0
	s_delay_alu instid0(VALU_DEP_2) | instskip(NEXT) | instid1(VALU_DEP_2)
	v_cvt_f64_f32_e32 v[7:8], v7
	v_mov_b32_e32 v10, v9
	global_store_b128 v[0:1], v[7:10], off
.LBB216_107:
	s_and_not1_b32 vcc_lo, exec_lo, s9
	s_cbranch_vccnz .LBB216_109
; %bb.108:
	v_cvt_f32_f16_e32 v7, v5
	v_mov_b32_e32 v8, 0
	global_store_b64 v[0:1], v[7:8], off
.LBB216_109:
	s_mov_b32 s9, 0
.LBB216_110:
	s_delay_alu instid0(SALU_CYCLE_1)
	s_and_not1_b32 vcc_lo, exec_lo, s9
	s_cbranch_vccnz .LBB216_112
; %bb.111:
	v_and_b32_e32 v7, 0xffff, v5
	global_store_b32 v[0:1], v7, off
.LBB216_112:
	s_mov_b32 s9, 0
.LBB216_113:
	s_delay_alu instid0(SALU_CYCLE_1)
	s_and_not1_b32 vcc_lo, exec_lo, s9
	s_cbranch_vccnz .LBB216_122
; %bb.114:
	v_cmp_gt_i16_e32 vcc_lo, 6, v6
	s_mov_b32 s9, -1
	s_cbranch_vccnz .LBB216_120
; %bb.115:
	v_cmp_lt_i16_e32 vcc_lo, 6, v6
	s_cbranch_vccz .LBB216_117
; %bb.116:
	v_cvt_f32_f16_e32 v7, v5
	s_mov_b32 s9, 0
	s_delay_alu instid0(VALU_DEP_1)
	v_cvt_f64_f32_e32 v[7:8], v7
	global_store_b64 v[0:1], v[7:8], off
.LBB216_117:
	s_and_not1_b32 vcc_lo, exec_lo, s9
	s_cbranch_vccnz .LBB216_119
; %bb.118:
	v_cvt_f32_f16_e32 v7, v5
	global_store_b32 v[0:1], v7, off
.LBB216_119:
	s_mov_b32 s9, 0
.LBB216_120:
	s_delay_alu instid0(SALU_CYCLE_1)
	s_and_not1_b32 vcc_lo, exec_lo, s9
	s_cbranch_vccnz .LBB216_122
; %bb.121:
	global_store_b16 v[0:1], v5, off
.LBB216_122:
	s_mov_b32 s9, 0
.LBB216_123:
	s_delay_alu instid0(SALU_CYCLE_1)
	s_and_not1_b32 vcc_lo, exec_lo, s9
	s_cbranch_vccnz .LBB216_139
; %bb.124:
	v_cmp_gt_i16_e32 vcc_lo, 2, v6
	s_mov_b32 s9, -1
	s_cbranch_vccnz .LBB216_134
; %bb.125:
	v_cmp_gt_i16_e32 vcc_lo, 3, v6
	s_cbranch_vccnz .LBB216_131
; %bb.126:
	v_cmp_lt_i16_e32 vcc_lo, 3, v6
	s_cbranch_vccz .LBB216_128
; %bb.127:
	v_cvt_f32_f16_e32 v7, v5
	s_mov_b32 s9, 0
	s_delay_alu instid0(VALU_DEP_1) | instskip(NEXT) | instid1(VALU_DEP_1)
	v_cvt_i32_f32_e32 v7, v7
	v_ashrrev_i32_e32 v8, 31, v7
	global_store_b64 v[0:1], v[7:8], off
.LBB216_128:
	s_and_not1_b32 vcc_lo, exec_lo, s9
	s_cbranch_vccnz .LBB216_130
; %bb.129:
	v_cvt_f32_f16_e32 v7, v5
	s_delay_alu instid0(VALU_DEP_1)
	v_cvt_i32_f32_e32 v7, v7
	global_store_b32 v[0:1], v7, off
.LBB216_130:
	s_mov_b32 s9, 0
.LBB216_131:
	s_delay_alu instid0(SALU_CYCLE_1)
	s_and_not1_b32 vcc_lo, exec_lo, s9
	s_cbranch_vccnz .LBB216_133
; %bb.132:
	v_cvt_i16_f16_e32 v7, v5
	global_store_b16 v[0:1], v7, off
.LBB216_133:
	s_mov_b32 s9, 0
.LBB216_134:
	s_delay_alu instid0(SALU_CYCLE_1)
	s_and_not1_b32 vcc_lo, exec_lo, s9
	s_cbranch_vccnz .LBB216_139
; %bb.135:
	v_cmp_lt_i16_e32 vcc_lo, 0, v6
	s_mov_b32 s9, -1
	s_cbranch_vccz .LBB216_137
; %bb.136:
	v_cvt_i16_f16_e32 v6, v5
	s_mov_b32 s9, 0
	global_store_b8 v[0:1], v6, off
.LBB216_137:
	s_and_not1_b32 vcc_lo, exec_lo, s9
	s_cbranch_vccnz .LBB216_139
; %bb.138:
	v_cvt_f32_f16_e32 v5, v5
	s_delay_alu instid0(VALU_DEP_1)
	v_cvt_i32_f32_e32 v5, v5
	global_store_b8 v[0:1], v5, off
.LBB216_139:
.LBB216_140:
	v_add_nc_u32_e32 v3, 0x80, v3
	s_mov_b32 s14, -1
	s_branch .LBB216_251
.LBB216_141:
	s_mov_b32 s11, -1
                                        ; implicit-def: $vgpr5
.LBB216_142:
	s_mov_b32 s9, 0
.LBB216_143:
	s_delay_alu instid0(SALU_CYCLE_1)
	s_and_b32 vcc_lo, exec_lo, s9
	s_cbranch_vccz .LBB216_147
; %bb.144:
	v_cmp_eq_u16_e32 vcc_lo, 29, v4
	s_cbranch_vccz .LBB216_146
; %bb.145:
	global_load_b64 v[5:6], v[0:1], off
	s_mov_b32 s0, -1
	s_mov_b32 s11, 0
	s_mov_b32 s9, 0
	s_waitcnt vmcnt(0)
	v_clz_i32_u32_e32 v7, v6
	s_delay_alu instid0(VALU_DEP_1) | instskip(NEXT) | instid1(VALU_DEP_1)
	v_min_u32_e32 v7, 32, v7
	v_lshlrev_b64 v[5:6], v7, v[5:6]
	s_delay_alu instid0(VALU_DEP_1) | instskip(NEXT) | instid1(VALU_DEP_1)
	v_min_u32_e32 v5, 1, v5
	v_or_b32_e32 v5, v6, v5
	v_sub_nc_u32_e32 v6, 32, v7
	s_delay_alu instid0(VALU_DEP_2) | instskip(NEXT) | instid1(VALU_DEP_1)
	v_cvt_f32_u32_e32 v5, v5
	v_ldexp_f32 v5, v5, v6
	s_delay_alu instid0(VALU_DEP_1)
	v_cvt_f16_f32_e32 v5, v5
	s_branch .LBB216_148
.LBB216_146:
	s_mov_b32 s11, -1
                                        ; implicit-def: $vgpr5
.LBB216_147:
	s_mov_b32 s9, 0
.LBB216_148:
	s_delay_alu instid0(SALU_CYCLE_1)
	s_and_b32 vcc_lo, exec_lo, s9
	s_cbranch_vccz .LBB216_166
; %bb.149:
	v_cmp_gt_i16_e32 vcc_lo, 27, v4
	s_cbranch_vccnz .LBB216_152
; %bb.150:
	v_cmp_lt_i16_e32 vcc_lo, 27, v4
	s_cbranch_vccz .LBB216_153
; %bb.151:
	global_load_b32 v5, v[0:1], off
	s_mov_b32 s0, 0
	s_waitcnt vmcnt(0)
	v_cvt_f32_u32_e32 v5, v5
	s_delay_alu instid0(VALU_DEP_1)
	v_cvt_f16_f32_e32 v5, v5
	s_branch .LBB216_154
.LBB216_152:
	s_mov_b32 s0, -1
                                        ; implicit-def: $vgpr5
	s_branch .LBB216_157
.LBB216_153:
	s_mov_b32 s0, -1
                                        ; implicit-def: $vgpr5
.LBB216_154:
	s_delay_alu instid0(SALU_CYCLE_1)
	s_and_not1_b32 vcc_lo, exec_lo, s0
	s_cbranch_vccnz .LBB216_156
; %bb.155:
	global_load_u16 v5, v[0:1], off
	s_waitcnt vmcnt(0)
	v_cvt_f16_u16_e32 v5, v5
.LBB216_156:
	s_mov_b32 s0, 0
.LBB216_157:
	s_delay_alu instid0(SALU_CYCLE_1)
	s_and_not1_b32 vcc_lo, exec_lo, s0
	s_cbranch_vccnz .LBB216_165
; %bb.158:
	global_load_u8 v6, v[0:1], off
	s_mov_b32 s0, 0
	s_mov_b32 s14, exec_lo
                                        ; implicit-def: $sgpr9
	s_waitcnt vmcnt(0)
	v_cmpx_lt_i16_e32 0x7f, v6
	s_xor_b32 s14, exec_lo, s14
	s_cbranch_execz .LBB216_178
; %bb.159:
	s_mov_b32 s0, -1
	s_mov_b32 s15, exec_lo
                                        ; implicit-def: $sgpr9
	v_cmpx_eq_u16_e32 0x80, v6
; %bb.160:
	s_movk_i32 s9, 0x7e00
	s_xor_b32 s0, exec_lo, -1
; %bb.161:
	s_or_b32 exec_lo, exec_lo, s15
	s_delay_alu instid0(SALU_CYCLE_1)
	s_and_b32 s0, s0, exec_lo
	s_or_saveexec_b32 s14, s14
	v_mov_b32_e32 v5, s9
	s_xor_b32 exec_lo, exec_lo, s14
	s_cbranch_execnz .LBB216_179
.LBB216_162:
	s_or_b32 exec_lo, exec_lo, s14
	s_and_saveexec_b32 s9, s0
	s_cbranch_execz .LBB216_164
.LBB216_163:
	v_and_b32_e32 v5, 0xffff, v6
	s_delay_alu instid0(VALU_DEP_1) | instskip(NEXT) | instid1(VALU_DEP_1)
	v_and_b32_e32 v7, 7, v5
	v_clz_i32_u32_e32 v8, v7
	s_delay_alu instid0(VALU_DEP_1) | instskip(NEXT) | instid1(VALU_DEP_1)
	v_min_u32_e32 v8, 32, v8
	v_subrev_nc_u32_e32 v9, 28, v8
	v_sub_nc_u32_e32 v8, 29, v8
	s_delay_alu instid0(VALU_DEP_2) | instskip(SKIP_1) | instid1(VALU_DEP_2)
	v_lshlrev_b32_e32 v9, v9, v5
	v_bfe_u32 v5, v5, 3, 4
	v_and_b32_e32 v9, 7, v9
	s_delay_alu instid0(VALU_DEP_2) | instskip(SKIP_1) | instid1(VALU_DEP_1)
	v_cmp_eq_u32_e32 vcc_lo, 0, v5
	v_dual_cndmask_b32 v5, v5, v8 :: v_dual_lshlrev_b32 v6, 24, v6
	v_dual_cndmask_b32 v7, v7, v9 :: v_dual_and_b32 v6, 0x80000000, v6
	s_delay_alu instid0(VALU_DEP_2) | instskip(NEXT) | instid1(VALU_DEP_2)
	v_lshl_add_u32 v5, v5, 23, 0x3b800000
	v_lshlrev_b32_e32 v7, 20, v7
	s_delay_alu instid0(VALU_DEP_1) | instskip(NEXT) | instid1(VALU_DEP_1)
	v_or3_b32 v5, v6, v5, v7
	v_cvt_f16_f32_e32 v5, v5
.LBB216_164:
	s_or_b32 exec_lo, exec_lo, s9
.LBB216_165:
	s_mov_b32 s0, -1
.LBB216_166:
	s_branch .LBB216_201
.LBB216_167:
	v_cmp_lt_i16_e32 vcc_lo, 22, v4
	s_cbranch_vccz .LBB216_177
; %bb.168:
	v_cmp_gt_i16_e32 vcc_lo, 24, v4
	s_cbranch_vccnz .LBB216_180
; %bb.169:
	v_cmp_lt_i16_e32 vcc_lo, 24, v4
	s_cbranch_vccz .LBB216_181
; %bb.170:
	global_load_u8 v6, v[0:1], off
	s_mov_b32 s0, 0
	s_mov_b32 s14, exec_lo
                                        ; implicit-def: $sgpr9
	s_waitcnt vmcnt(0)
	v_cmpx_lt_i16_e32 0x7f, v6
	s_xor_b32 s14, exec_lo, s14
	s_cbranch_execz .LBB216_193
; %bb.171:
	s_mov_b32 s0, -1
	s_mov_b32 s15, exec_lo
                                        ; implicit-def: $sgpr9
	v_cmpx_eq_u16_e32 0x80, v6
; %bb.172:
	s_movk_i32 s9, 0x7e00
	s_xor_b32 s0, exec_lo, -1
; %bb.173:
	s_or_b32 exec_lo, exec_lo, s15
	s_delay_alu instid0(SALU_CYCLE_1)
	s_and_b32 s0, s0, exec_lo
	s_or_saveexec_b32 s14, s14
	v_mov_b32_e32 v5, s9
	s_xor_b32 exec_lo, exec_lo, s14
	s_cbranch_execnz .LBB216_194
.LBB216_174:
	s_or_b32 exec_lo, exec_lo, s14
	s_and_saveexec_b32 s9, s0
	s_cbranch_execz .LBB216_176
.LBB216_175:
	v_and_b32_e32 v5, 0xffff, v6
	s_delay_alu instid0(VALU_DEP_1) | instskip(NEXT) | instid1(VALU_DEP_1)
	v_and_b32_e32 v7, 3, v5
	v_clz_i32_u32_e32 v8, v7
	s_delay_alu instid0(VALU_DEP_1) | instskip(NEXT) | instid1(VALU_DEP_1)
	v_min_u32_e32 v8, 32, v8
	v_subrev_nc_u32_e32 v9, 29, v8
	v_sub_nc_u32_e32 v8, 30, v8
	s_delay_alu instid0(VALU_DEP_2) | instskip(SKIP_1) | instid1(VALU_DEP_2)
	v_lshlrev_b32_e32 v9, v9, v5
	v_bfe_u32 v5, v5, 2, 5
	v_and_b32_e32 v9, 3, v9
	s_delay_alu instid0(VALU_DEP_2) | instskip(SKIP_1) | instid1(VALU_DEP_1)
	v_cmp_eq_u32_e32 vcc_lo, 0, v5
	v_dual_cndmask_b32 v5, v5, v8 :: v_dual_lshlrev_b32 v6, 24, v6
	v_dual_cndmask_b32 v7, v7, v9 :: v_dual_and_b32 v6, 0x80000000, v6
	s_delay_alu instid0(VALU_DEP_2) | instskip(NEXT) | instid1(VALU_DEP_2)
	v_lshl_add_u32 v5, v5, 23, 0x37800000
	v_lshlrev_b32_e32 v7, 21, v7
	s_delay_alu instid0(VALU_DEP_1) | instskip(NEXT) | instid1(VALU_DEP_1)
	v_or3_b32 v5, v6, v5, v7
	v_cvt_f16_f32_e32 v5, v5
.LBB216_176:
	s_or_b32 exec_lo, exec_lo, s9
	s_mov_b32 s0, 0
	s_branch .LBB216_182
.LBB216_177:
	s_mov_b32 s9, -1
                                        ; implicit-def: $vgpr5
	s_branch .LBB216_188
.LBB216_178:
	s_or_saveexec_b32 s14, s14
	v_mov_b32_e32 v5, s9
	s_xor_b32 exec_lo, exec_lo, s14
	s_cbranch_execz .LBB216_162
.LBB216_179:
	v_cmp_ne_u16_e32 vcc_lo, 0, v6
	v_mov_b32_e32 v5, v6
	s_and_not1_b32 s0, s0, exec_lo
	s_and_b32 s9, vcc_lo, exec_lo
	s_delay_alu instid0(SALU_CYCLE_1)
	s_or_b32 s0, s0, s9
	s_or_b32 exec_lo, exec_lo, s14
	s_and_saveexec_b32 s9, s0
	s_cbranch_execnz .LBB216_163
	s_branch .LBB216_164
.LBB216_180:
	s_mov_b32 s0, -1
                                        ; implicit-def: $vgpr5
	s_branch .LBB216_185
.LBB216_181:
	s_mov_b32 s0, -1
                                        ; implicit-def: $vgpr5
.LBB216_182:
	s_delay_alu instid0(SALU_CYCLE_1)
	s_and_b32 vcc_lo, exec_lo, s0
	s_cbranch_vccz .LBB216_184
; %bb.183:
	global_load_u8 v5, v[0:1], off
	s_waitcnt vmcnt(0)
	v_lshlrev_b32_e32 v5, 24, v5
	s_delay_alu instid0(VALU_DEP_1) | instskip(NEXT) | instid1(VALU_DEP_1)
	v_and_b32_e32 v6, 0x7f000000, v5
	v_clz_i32_u32_e32 v7, v6
	v_add_nc_u32_e32 v9, 0x1000000, v6
	v_cmp_ne_u32_e32 vcc_lo, 0, v6
	s_delay_alu instid0(VALU_DEP_3) | instskip(NEXT) | instid1(VALU_DEP_1)
	v_min_u32_e32 v7, 32, v7
	v_sub_nc_u32_e64 v7, v7, 4 clamp
	s_delay_alu instid0(VALU_DEP_1) | instskip(SKIP_1) | instid1(VALU_DEP_2)
	v_lshlrev_b32_e32 v8, v7, v6
	v_lshlrev_b32_e32 v7, 23, v7
	v_lshrrev_b32_e32 v8, 4, v8
	s_delay_alu instid0(VALU_DEP_1) | instskip(SKIP_1) | instid1(VALU_DEP_2)
	v_sub_nc_u32_e32 v7, v8, v7
	v_ashrrev_i32_e32 v8, 8, v9
	v_add_nc_u32_e32 v7, 0x3c000000, v7
	s_delay_alu instid0(VALU_DEP_1) | instskip(NEXT) | instid1(VALU_DEP_1)
	v_and_or_b32 v7, 0x7f800000, v8, v7
	v_cndmask_b32_e32 v6, 0, v7, vcc_lo
	s_delay_alu instid0(VALU_DEP_1) | instskip(NEXT) | instid1(VALU_DEP_1)
	v_and_or_b32 v5, 0x80000000, v5, v6
	v_cvt_f16_f32_e32 v5, v5
.LBB216_184:
	s_mov_b32 s0, 0
.LBB216_185:
	s_delay_alu instid0(SALU_CYCLE_1)
	s_and_not1_b32 vcc_lo, exec_lo, s0
	s_cbranch_vccnz .LBB216_187
; %bb.186:
	global_load_u8 v5, v[0:1], off
	s_waitcnt vmcnt(0)
	v_lshlrev_b32_e32 v6, 25, v5
	v_lshlrev_b16 v5, 8, v5
	s_delay_alu instid0(VALU_DEP_2) | instskip(NEXT) | instid1(VALU_DEP_2)
	v_lshrrev_b32_e32 v7, 4, v6
	v_and_or_b32 v8, 0x7f00, v5, 0.5
	v_bfe_i32 v5, v5, 0, 16
	s_delay_alu instid0(VALU_DEP_3) | instskip(NEXT) | instid1(VALU_DEP_1)
	v_or_b32_e32 v7, 0x70000000, v7
	v_dual_add_f32 v8, -0.5, v8 :: v_dual_mul_f32 v7, 0x7800000, v7
	v_cmp_gt_u32_e32 vcc_lo, 0x8000000, v6
	s_delay_alu instid0(VALU_DEP_2) | instskip(NEXT) | instid1(VALU_DEP_1)
	v_cndmask_b32_e32 v6, v7, v8, vcc_lo
	v_and_or_b32 v5, 0x80000000, v5, v6
	s_delay_alu instid0(VALU_DEP_1)
	v_cvt_f16_f32_e32 v5, v5
.LBB216_187:
	s_mov_b32 s9, 0
	s_mov_b32 s0, -1
.LBB216_188:
	s_and_not1_b32 vcc_lo, exec_lo, s9
	s_cbranch_vccnz .LBB216_201
; %bb.189:
	v_cmp_lt_i16_e32 vcc_lo, 14, v4
	s_cbranch_vccz .LBB216_192
; %bb.190:
	v_cmp_eq_u16_e32 vcc_lo, 15, v4
	s_cbranch_vccz .LBB216_195
; %bb.191:
	global_load_u16 v5, v[0:1], off
	s_mov_b32 s0, -1
	s_mov_b32 s11, 0
	s_waitcnt vmcnt(0)
	v_lshlrev_b32_e32 v5, 16, v5
	s_delay_alu instid0(VALU_DEP_1)
	v_cvt_f16_f32_e32 v5, v5
	s_branch .LBB216_196
.LBB216_192:
	s_mov_b32 s9, -1
                                        ; implicit-def: $vgpr5
	s_branch .LBB216_197
.LBB216_193:
	s_or_saveexec_b32 s14, s14
	v_mov_b32_e32 v5, s9
	s_xor_b32 exec_lo, exec_lo, s14
	s_cbranch_execz .LBB216_174
.LBB216_194:
	v_cmp_ne_u16_e32 vcc_lo, 0, v6
	v_mov_b32_e32 v5, v6
	s_and_not1_b32 s0, s0, exec_lo
	s_and_b32 s9, vcc_lo, exec_lo
	s_delay_alu instid0(SALU_CYCLE_1)
	s_or_b32 s0, s0, s9
	s_or_b32 exec_lo, exec_lo, s14
	s_and_saveexec_b32 s9, s0
	s_cbranch_execnz .LBB216_175
	s_branch .LBB216_176
.LBB216_195:
	s_mov_b32 s11, -1
                                        ; implicit-def: $vgpr5
.LBB216_196:
	s_mov_b32 s9, 0
.LBB216_197:
	s_delay_alu instid0(SALU_CYCLE_1)
	s_and_b32 vcc_lo, exec_lo, s9
	s_cbranch_vccz .LBB216_201
; %bb.198:
	v_cmp_eq_u16_e32 vcc_lo, 11, v4
	s_cbranch_vccz .LBB216_200
; %bb.199:
	global_load_u8 v5, v[0:1], off
	s_mov_b32 s11, 0
	s_mov_b32 s0, -1
	s_waitcnt vmcnt(0)
	v_cmp_ne_u16_e32 vcc_lo, 0, v5
	v_cndmask_b32_e64 v5, 0, 0x3c00, vcc_lo
	s_branch .LBB216_201
.LBB216_200:
	s_mov_b32 s11, -1
                                        ; implicit-def: $vgpr5
.LBB216_201:
	s_branch .LBB216_10
.LBB216_202:
	v_cmp_gt_i16_e32 vcc_lo, 5, v4
	s_cbranch_vccnz .LBB216_207
; %bb.203:
	v_cmp_gt_i16_e32 vcc_lo, 8, v4
	s_cbranch_vccnz .LBB216_208
; %bb.204:
	;; [unrolled: 3-line block ×3, first 2 shown]
	v_cmp_lt_i16_e32 vcc_lo, 9, v4
	s_cbranch_vccz .LBB216_210
; %bb.206:
	global_load_b64 v[5:6], v[0:1], off
	s_mov_b32 s0, 0
	s_waitcnt vmcnt(0)
	v_cvt_f32_f64_e32 v5, v[5:6]
	s_delay_alu instid0(VALU_DEP_1)
	v_cvt_f16_f32_e32 v5, v5
	s_branch .LBB216_211
.LBB216_207:
                                        ; implicit-def: $vgpr5
	s_branch .LBB216_229
.LBB216_208:
	s_mov_b32 s0, -1
                                        ; implicit-def: $vgpr5
	s_branch .LBB216_217
.LBB216_209:
	s_mov_b32 s0, -1
                                        ; implicit-def: $vgpr5
	s_branch .LBB216_214
.LBB216_210:
	s_mov_b32 s0, -1
                                        ; implicit-def: $vgpr5
.LBB216_211:
	s_delay_alu instid0(SALU_CYCLE_1)
	s_and_not1_b32 vcc_lo, exec_lo, s0
	s_cbranch_vccnz .LBB216_213
; %bb.212:
	global_load_b32 v5, v[0:1], off
	s_waitcnt vmcnt(0)
	v_cvt_f16_f32_e32 v5, v5
.LBB216_213:
	s_mov_b32 s0, 0
.LBB216_214:
	s_delay_alu instid0(SALU_CYCLE_1)
	s_and_not1_b32 vcc_lo, exec_lo, s0
	s_cbranch_vccnz .LBB216_216
; %bb.215:
	global_load_b32 v5, v[0:1], off
.LBB216_216:
	s_mov_b32 s0, 0
.LBB216_217:
	s_delay_alu instid0(SALU_CYCLE_1)
	s_and_not1_b32 vcc_lo, exec_lo, s0
	s_cbranch_vccnz .LBB216_228
; %bb.218:
	v_cmp_gt_i16_e32 vcc_lo, 6, v4
	s_cbranch_vccnz .LBB216_221
; %bb.219:
	v_cmp_lt_i16_e32 vcc_lo, 6, v4
	s_cbranch_vccz .LBB216_222
; %bb.220:
	global_load_b64 v[5:6], v[0:1], off
	s_mov_b32 s0, 0
	s_waitcnt vmcnt(0)
	v_cvt_f32_f64_e32 v5, v[5:6]
	s_delay_alu instid0(VALU_DEP_1)
	v_cvt_f16_f32_e32 v5, v5
	s_branch .LBB216_223
.LBB216_221:
	s_mov_b32 s0, -1
                                        ; implicit-def: $vgpr5
	s_branch .LBB216_226
.LBB216_222:
	s_mov_b32 s0, -1
                                        ; implicit-def: $vgpr5
.LBB216_223:
	s_delay_alu instid0(SALU_CYCLE_1)
	s_and_not1_b32 vcc_lo, exec_lo, s0
	s_cbranch_vccnz .LBB216_225
; %bb.224:
	global_load_b32 v5, v[0:1], off
	s_waitcnt vmcnt(0)
	v_cvt_f16_f32_e32 v5, v5
.LBB216_225:
	s_mov_b32 s0, 0
.LBB216_226:
	s_delay_alu instid0(SALU_CYCLE_1)
	s_and_not1_b32 vcc_lo, exec_lo, s0
	s_cbranch_vccnz .LBB216_228
; %bb.227:
	global_load_u16 v5, v[0:1], off
.LBB216_228:
	s_cbranch_execnz .LBB216_248
.LBB216_229:
	v_cmp_gt_i16_e32 vcc_lo, 2, v4
	s_cbranch_vccnz .LBB216_233
; %bb.230:
	v_cmp_gt_i16_e32 vcc_lo, 3, v4
	s_cbranch_vccnz .LBB216_234
; %bb.231:
	v_cmp_lt_i16_e32 vcc_lo, 3, v4
	s_cbranch_vccz .LBB216_235
; %bb.232:
	global_load_b64 v[5:6], v[0:1], off
	s_mov_b32 s0, 0
	s_waitcnt vmcnt(0)
	v_xor_b32_e32 v7, v5, v6
	v_cls_i32_e32 v8, v6
	s_delay_alu instid0(VALU_DEP_2) | instskip(NEXT) | instid1(VALU_DEP_2)
	v_ashrrev_i32_e32 v7, 31, v7
	v_add_nc_u32_e32 v8, -1, v8
	s_delay_alu instid0(VALU_DEP_2) | instskip(NEXT) | instid1(VALU_DEP_1)
	v_add_nc_u32_e32 v7, 32, v7
	v_min_u32_e32 v7, v8, v7
	s_delay_alu instid0(VALU_DEP_1) | instskip(NEXT) | instid1(VALU_DEP_1)
	v_lshlrev_b64 v[5:6], v7, v[5:6]
	v_min_u32_e32 v5, 1, v5
	s_delay_alu instid0(VALU_DEP_1) | instskip(SKIP_1) | instid1(VALU_DEP_2)
	v_or_b32_e32 v5, v6, v5
	v_sub_nc_u32_e32 v6, 32, v7
	v_cvt_f32_i32_e32 v5, v5
	s_delay_alu instid0(VALU_DEP_1) | instskip(NEXT) | instid1(VALU_DEP_1)
	v_ldexp_f32 v5, v5, v6
	v_cvt_f16_f32_e32 v5, v5
	s_branch .LBB216_236
.LBB216_233:
	s_mov_b32 s0, -1
                                        ; implicit-def: $vgpr5
	s_branch .LBB216_242
.LBB216_234:
	s_mov_b32 s0, -1
                                        ; implicit-def: $vgpr5
	s_branch .LBB216_239
.LBB216_235:
	s_mov_b32 s0, -1
                                        ; implicit-def: $vgpr5
.LBB216_236:
	s_delay_alu instid0(SALU_CYCLE_1)
	s_and_not1_b32 vcc_lo, exec_lo, s0
	s_cbranch_vccnz .LBB216_238
; %bb.237:
	global_load_b32 v5, v[0:1], off
	s_waitcnt vmcnt(0)
	v_cvt_f32_i32_e32 v5, v5
	s_delay_alu instid0(VALU_DEP_1)
	v_cvt_f16_f32_e32 v5, v5
.LBB216_238:
	s_mov_b32 s0, 0
.LBB216_239:
	s_delay_alu instid0(SALU_CYCLE_1)
	s_and_not1_b32 vcc_lo, exec_lo, s0
	s_cbranch_vccnz .LBB216_241
; %bb.240:
	global_load_u16 v5, v[0:1], off
	s_waitcnt vmcnt(0)
	v_cvt_f16_i16_e32 v5, v5
.LBB216_241:
	s_mov_b32 s0, 0
.LBB216_242:
	s_delay_alu instid0(SALU_CYCLE_1)
	s_and_not1_b32 vcc_lo, exec_lo, s0
	s_cbranch_vccnz .LBB216_248
; %bb.243:
	v_cmp_lt_i16_e32 vcc_lo, 0, v4
	s_mov_b32 s0, 0
	s_cbranch_vccz .LBB216_245
; %bb.244:
	global_load_i8 v5, v[0:1], off
	s_waitcnt vmcnt(0)
	v_cvt_f16_i16_e32 v5, v5
	s_branch .LBB216_246
.LBB216_245:
	s_mov_b32 s0, -1
                                        ; implicit-def: $vgpr5
.LBB216_246:
	s_delay_alu instid0(SALU_CYCLE_1)
	s_and_not1_b32 vcc_lo, exec_lo, s0
	s_cbranch_vccnz .LBB216_248
; %bb.247:
	global_load_u8 v0, v[0:1], off
	s_waitcnt vmcnt(0)
	v_cvt_f16_u16_e32 v5, v0
.LBB216_248:
	s_branch .LBB216_11
.LBB216_249:
	s_mov_b32 s0, 0
.LBB216_250:
	s_mov_b32 s14, 0
                                        ; implicit-def: $vgpr3
.LBB216_251:
	s_and_b32 s9, s0, exec_lo
	s_and_b32 s11, s11, exec_lo
	s_or_not1_b32 s15, s14, exec_lo
.LBB216_252:
	s_or_b32 exec_lo, exec_lo, s12
	s_mov_b32 s14, 0
	s_mov_b32 s0, 0
                                        ; implicit-def: $vgpr0_vgpr1
                                        ; implicit-def: $vgpr6
	s_and_saveexec_b32 s12, s15
	s_cbranch_execz .LBB216_860
; %bb.253:
	s_mov_b32 s17, -1
	s_mov_b32 s13, s11
	s_mov_b32 s14, s9
	s_mov_b32 s15, exec_lo
	v_cmpx_gt_i32_e64 s10, v3
	s_cbranch_execz .LBB216_512
; %bb.254:
	v_mul_lo_u32 v0, v3, s3
	v_cmp_gt_i16_e32 vcc_lo, 11, v4
	s_delay_alu instid0(VALU_DEP_2) | instskip(SKIP_1) | instid1(VALU_DEP_1)
	v_ashrrev_i32_e32 v1, 31, v0
	v_add_co_u32 v0, s0, s6, v0
	v_add_co_ci_u32_e64 v1, s0, s7, v1, s0
	s_cbranch_vccnz .LBB216_261
; %bb.255:
	v_cmp_lt_i16_e32 vcc_lo, 25, v4
	s_cbranch_vccz .LBB216_270
; %bb.256:
	v_cmp_lt_i16_e32 vcc_lo, 28, v4
	s_cbranch_vccz .LBB216_272
	;; [unrolled: 3-line block ×4, first 2 shown]
; %bb.259:
	v_cmp_eq_u16_e32 vcc_lo, 46, v4
	s_mov_b32 s14, 0
	s_cbranch_vccz .LBB216_282
; %bb.260:
	global_load_b32 v5, v[0:1], off
	s_mov_b32 s0, -1
	s_mov_b32 s13, 0
	s_waitcnt vmcnt(0)
	v_lshlrev_b32_e32 v5, 16, v5
	s_delay_alu instid0(VALU_DEP_1)
	v_cvt_f16_f32_e32 v5, v5
	s_branch .LBB216_284
.LBB216_261:
	s_mov_b32 s0, 0
	s_mov_b32 s13, s11
                                        ; implicit-def: $vgpr5
	s_cbranch_execnz .LBB216_461
.LBB216_262:
	s_and_not1_b32 vcc_lo, exec_lo, s0
	s_cbranch_vccnz .LBB216_509
.LBB216_263:
	s_waitcnt vmcnt(0)
	s_delay_alu instid0(VALU_DEP_1) | instskip(NEXT) | instid1(VALU_DEP_1)
	v_cvt_f32_f16_e32 v0, v5
	v_cvt_f64_f32_e32 v[0:1], v0
	s_delay_alu instid0(VALU_DEP_1) | instskip(SKIP_3) | instid1(VALU_DEP_2)
	v_rsq_f64_e32 v[5:6], v[0:1]
	s_waitcnt_depctr 0xfff
	v_mul_f64 v[0:1], v[5:6], -v[0:1]
	v_cmp_class_f64_e64 vcc_lo, v[5:6], 0x180
	v_fma_f64 v[0:1], v[0:1], v[5:6], 1.0
	s_delay_alu instid0(VALU_DEP_1) | instskip(SKIP_1) | instid1(VALU_DEP_1)
	v_mul_f64 v[7:8], v[5:6], v[0:1]
	v_fma_f64 v[0:1], 0x3fd80000, v[0:1], 0.5
	v_fma_f64 v[0:1], v[7:8], v[0:1], v[5:6]
	s_delay_alu instid0(VALU_DEP_1) | instskip(SKIP_1) | instid1(VALU_DEP_2)
	v_dual_cndmask_b32 v1, v6, v1 :: v_dual_cndmask_b32 v0, v5, v0
	v_and_b32_e32 v6, 0xff, v2
	v_cvt_f32_f64_e32 v5, v[0:1]
	v_mul_lo_u32 v0, v3, s2
	s_delay_alu instid0(VALU_DEP_3) | instskip(SKIP_1) | instid1(VALU_DEP_2)
	v_cmp_gt_i16_e32 vcc_lo, 11, v6
	s_and_b32 vcc_lo, exec_lo, vcc_lo
	v_ashrrev_i32_e32 v1, 31, v0
	v_add_co_u32 v0, s0, s4, v0
	s_delay_alu instid0(VALU_DEP_1)
	v_add_co_ci_u32_e64 v1, s0, s5, v1, s0
	v_cvt_f16_f32_e32 v5, v5
	s_cbranch_vccnz .LBB216_271
; %bb.264:
	v_cmp_lt_i16_e32 vcc_lo, 25, v6
	s_cbranch_vccz .LBB216_273
; %bb.265:
	v_cmp_lt_i16_e32 vcc_lo, 28, v6
	s_cbranch_vccz .LBB216_275
	;; [unrolled: 3-line block ×4, first 2 shown]
; %bb.268:
	v_cmp_eq_u16_e32 vcc_lo, 46, v6
	s_mov_b32 s16, 0
	s_mov_b32 s0, -1
	s_mov_b32 s14, 0
	s_cbranch_vccz .LBB216_288
; %bb.269:
	v_cvt_f32_f16_e32 v7, v5
	v_cmp_o_f16_e32 vcc_lo, v5, v5
	s_mov_b32 s14, -1
	s_mov_b32 s0, 0
	s_delay_alu instid0(VALU_DEP_2) | instskip(NEXT) | instid1(VALU_DEP_1)
	v_bfe_u32 v8, v7, 16, 1
	v_add3_u32 v7, v7, v8, 0x7fff
	s_delay_alu instid0(VALU_DEP_1) | instskip(NEXT) | instid1(VALU_DEP_1)
	v_lshrrev_b32_e32 v7, 16, v7
	v_cndmask_b32_e32 v7, 0x7fc0, v7, vcc_lo
	global_store_b32 v[0:1], v7, off
	s_branch .LBB216_288
.LBB216_270:
	s_mov_b32 s14, -1
	s_mov_b32 s0, 0
	s_mov_b32 s13, s11
                                        ; implicit-def: $vgpr5
	s_branch .LBB216_425
.LBB216_271:
	s_mov_b32 s16, -1
	s_mov_b32 s14, 0
	s_mov_b32 s0, s9
	s_branch .LBB216_357
.LBB216_272:
	s_mov_b32 s14, -1
	s_mov_b32 s0, 0
	s_mov_b32 s13, s11
                                        ; implicit-def: $vgpr5
	s_branch .LBB216_406
.LBB216_273:
	s_mov_b32 s16, -1
	s_mov_b32 s14, 0
	s_mov_b32 s0, s9
	s_branch .LBB216_315
.LBB216_274:
	s_mov_b32 s14, -1
	s_mov_b32 s0, 0
	s_mov_b32 s13, s11
                                        ; implicit-def: $vgpr5
	s_branch .LBB216_401
.LBB216_275:
	s_mov_b32 s16, -1
	s_mov_b32 s14, 0
	s_mov_b32 s0, s9
	s_branch .LBB216_298
.LBB216_276:
	s_or_saveexec_b32 s15, s15
                                        ; implicit-def: $sgpr16
	s_delay_alu instid0(SALU_CYCLE_1)
	s_xor_b32 exec_lo, exec_lo, s15
	s_cbranch_execz .LBB216_54
.LBB216_277:
	v_add_f32_e64 v8, 0x46000000, |v7|
	s_and_not1_b32 s14, s14, exec_lo
	s_mov_b32 s16, 0
	s_delay_alu instid0(VALU_DEP_1) | instskip(NEXT) | instid1(VALU_DEP_1)
	v_and_b32_e32 v8, 0xff, v8
	v_cmp_ne_u32_e32 vcc_lo, 0, v8
	s_and_b32 s17, vcc_lo, exec_lo
	s_delay_alu instid0(SALU_CYCLE_1)
	s_or_b32 s14, s14, s17
	s_or_b32 exec_lo, exec_lo, s15
	v_mov_b32_e32 v9, s16
	s_and_saveexec_b32 s15, s14
	s_cbranch_execnz .LBB216_55
	s_branch .LBB216_56
.LBB216_278:
	s_mov_b32 s14, -1
	s_mov_b32 s0, 0
	s_mov_b32 s13, s11
	s_branch .LBB216_283
.LBB216_279:
	s_mov_b32 s16, -1
	s_mov_b32 s14, 0
	s_mov_b32 s0, s9
	s_branch .LBB216_294
.LBB216_280:
	s_or_saveexec_b32 s15, s15
                                        ; implicit-def: $sgpr16
	s_delay_alu instid0(SALU_CYCLE_1)
	s_xor_b32 exec_lo, exec_lo, s15
	s_cbranch_execz .LBB216_67
.LBB216_281:
	v_add_f32_e64 v8, 0x42800000, |v7|
	s_and_not1_b32 s14, s14, exec_lo
	s_mov_b32 s16, 0
	s_delay_alu instid0(VALU_DEP_1) | instskip(NEXT) | instid1(VALU_DEP_1)
	v_and_b32_e32 v8, 0xff, v8
	v_cmp_ne_u32_e32 vcc_lo, 0, v8
	s_and_b32 s17, vcc_lo, exec_lo
	s_delay_alu instid0(SALU_CYCLE_1)
	s_or_b32 s14, s14, s17
	s_or_b32 exec_lo, exec_lo, s15
	v_mov_b32_e32 v9, s16
	s_and_saveexec_b32 s15, s14
	s_cbranch_execnz .LBB216_68
	s_branch .LBB216_69
.LBB216_282:
	s_mov_b32 s13, -1
	s_mov_b32 s0, 0
.LBB216_283:
                                        ; implicit-def: $vgpr5
.LBB216_284:
	s_and_b32 vcc_lo, exec_lo, s14
	s_cbranch_vccz .LBB216_400
; %bb.285:
	v_cmp_eq_u16_e32 vcc_lo, 44, v4
	s_cbranch_vccz .LBB216_399
; %bb.286:
	global_load_u8 v5, v[0:1], off
	s_mov_b32 s13, 0
	s_mov_b32 s0, -1
	s_waitcnt vmcnt(0)
	v_lshlrev_b32_e32 v6, 23, v5
	v_cmp_ne_u32_e32 vcc_lo, 0xff, v5
	s_delay_alu instid0(VALU_DEP_2) | instskip(NEXT) | instid1(VALU_DEP_1)
	v_cvt_f16_f32_e32 v6, v6
	v_cndmask_b32_e32 v6, 0x7e00, v6, vcc_lo
	v_cmp_ne_u32_e32 vcc_lo, 0, v5
	s_delay_alu instid0(VALU_DEP_2)
	v_cndmask_b32_e32 v5, 0, v6, vcc_lo
	s_branch .LBB216_400
.LBB216_287:
	s_mov_b32 s16, -1
	s_mov_b32 s14, 0
	s_mov_b32 s0, s9
.LBB216_288:
	s_and_b32 vcc_lo, exec_lo, s16
	s_cbranch_vccz .LBB216_293
; %bb.289:
	v_cmp_eq_u16_e32 vcc_lo, 44, v6
	s_mov_b32 s0, -1
	s_cbranch_vccz .LBB216_293
; %bb.290:
	v_cvt_f32_f16_e32 v7, v5
	v_mov_b32_e32 v8, 0xff
	s_mov_b32 s14, exec_lo
	s_delay_alu instid0(VALU_DEP_2) | instskip(NEXT) | instid1(VALU_DEP_1)
	v_bfe_u32 v9, v7, 23, 8
	v_cmpx_ne_u32_e32 0xff, v9
; %bb.291:
	v_and_b32_e32 v8, 0x400000, v7
	v_and_or_b32 v9, 0x3fffff, v7, v9
	v_lshrrev_b32_e32 v7, 23, v7
	s_delay_alu instid0(VALU_DEP_3) | instskip(NEXT) | instid1(VALU_DEP_3)
	v_cmp_ne_u32_e32 vcc_lo, 0, v8
	v_cmp_ne_u32_e64 s0, 0, v9
	s_delay_alu instid0(VALU_DEP_1) | instskip(NEXT) | instid1(SALU_CYCLE_1)
	s_and_b32 s0, vcc_lo, s0
	v_cndmask_b32_e64 v8, 0, 1, s0
	s_delay_alu instid0(VALU_DEP_1)
	v_add_nc_u32_e32 v8, v7, v8
; %bb.292:
	s_or_b32 exec_lo, exec_lo, s14
	s_mov_b32 s14, -1
	s_mov_b32 s0, 0
	global_store_b8 v[0:1], v8, off
.LBB216_293:
	s_mov_b32 s16, 0
.LBB216_294:
	s_delay_alu instid0(SALU_CYCLE_1)
	s_and_b32 vcc_lo, exec_lo, s16
	s_cbranch_vccz .LBB216_297
; %bb.295:
	v_cmp_eq_u16_e32 vcc_lo, 29, v6
	s_mov_b32 s0, -1
	s_cbranch_vccz .LBB216_297
; %bb.296:
	v_cvt_f32_f16_e32 v7, v5
	v_mov_b32_e32 v8, 0
	s_mov_b32 s0, 0
	s_mov_b32 s14, -1
	s_mov_b32 s16, 0
	v_cvt_u32_f32_e32 v7, v7
	global_store_b64 v[0:1], v[7:8], off
	s_branch .LBB216_298
.LBB216_297:
	s_mov_b32 s16, 0
.LBB216_298:
	s_delay_alu instid0(SALU_CYCLE_1)
	s_and_b32 vcc_lo, exec_lo, s16
	s_cbranch_vccz .LBB216_314
; %bb.299:
	v_cmp_gt_i16_e32 vcc_lo, 27, v6
	s_mov_b32 s14, -1
	s_cbranch_vccnz .LBB216_305
; %bb.300:
	v_cmp_lt_i16_e32 vcc_lo, 27, v6
	s_cbranch_vccz .LBB216_302
; %bb.301:
	v_cvt_f32_f16_e32 v7, v5
	s_mov_b32 s14, 0
	s_delay_alu instid0(VALU_DEP_1)
	v_cvt_u32_f32_e32 v7, v7
	global_store_b32 v[0:1], v7, off
.LBB216_302:
	s_and_not1_b32 vcc_lo, exec_lo, s14
	s_cbranch_vccnz .LBB216_304
; %bb.303:
	v_cvt_u16_f16_e32 v7, v5
	global_store_b16 v[0:1], v7, off
.LBB216_304:
	s_mov_b32 s14, 0
.LBB216_305:
	s_delay_alu instid0(SALU_CYCLE_1)
	s_and_not1_b32 vcc_lo, exec_lo, s14
	s_cbranch_vccnz .LBB216_313
; %bb.306:
	v_cvt_f32_f16_e32 v7, v5
	v_mov_b32_e32 v9, 0x80
	s_mov_b32 s14, exec_lo
	s_delay_alu instid0(VALU_DEP_2) | instskip(NEXT) | instid1(VALU_DEP_1)
	v_and_b32_e32 v8, 0x7fffffff, v7
	v_cmpx_gt_u32_e32 0x43800000, v8
	s_cbranch_execz .LBB216_312
; %bb.307:
	v_cmp_lt_u32_e32 vcc_lo, 0x3bffffff, v8
	s_mov_b32 s16, 0
                                        ; implicit-def: $vgpr8
	s_and_saveexec_b32 s17, vcc_lo
	s_delay_alu instid0(SALU_CYCLE_1)
	s_xor_b32 s17, exec_lo, s17
	s_cbranch_execz .LBB216_525
; %bb.308:
	v_bfe_u32 v8, v7, 20, 1
	s_mov_b32 s16, exec_lo
	s_delay_alu instid0(VALU_DEP_1) | instskip(NEXT) | instid1(VALU_DEP_1)
	v_add3_u32 v8, v7, v8, 0x487ffff
	v_lshrrev_b32_e32 v8, 20, v8
	s_or_saveexec_b32 s17, s17
                                        ; implicit-def: $sgpr18
	s_delay_alu instid0(SALU_CYCLE_1)
	s_xor_b32 exec_lo, exec_lo, s17
	s_cbranch_execnz .LBB216_526
.LBB216_309:
	s_or_b32 exec_lo, exec_lo, s17
	v_mov_b32_e32 v9, s18
	s_and_saveexec_b32 s17, s16
.LBB216_310:
	v_lshrrev_b32_e32 v7, 24, v7
	s_delay_alu instid0(VALU_DEP_1)
	v_and_or_b32 v9, 0x80, v7, v8
.LBB216_311:
	s_or_b32 exec_lo, exec_lo, s17
.LBB216_312:
	s_delay_alu instid0(SALU_CYCLE_1)
	s_or_b32 exec_lo, exec_lo, s14
	global_store_b8 v[0:1], v9, off
.LBB216_313:
	s_mov_b32 s14, -1
.LBB216_314:
	s_mov_b32 s16, 0
.LBB216_315:
	s_delay_alu instid0(SALU_CYCLE_1)
	s_and_b32 vcc_lo, exec_lo, s16
	s_cbranch_vccz .LBB216_356
; %bb.316:
	v_cmp_lt_i16_e32 vcc_lo, 22, v6
	s_mov_b32 s16, -1
	s_cbranch_vccz .LBB216_348
; %bb.317:
	v_cmp_gt_i16_e32 vcc_lo, 24, v6
	s_mov_b32 s14, -1
	s_cbranch_vccnz .LBB216_337
; %bb.318:
	v_cmp_lt_i16_e32 vcc_lo, 24, v6
	s_cbranch_vccz .LBB216_326
; %bb.319:
	v_cvt_f32_f16_e32 v7, v5
	v_mov_b32_e32 v9, 0x80
	s_mov_b32 s14, exec_lo
	s_delay_alu instid0(VALU_DEP_2) | instskip(NEXT) | instid1(VALU_DEP_1)
	v_and_b32_e32 v8, 0x7fffffff, v7
	v_cmpx_gt_u32_e32 0x47800000, v8
	s_cbranch_execz .LBB216_325
; %bb.320:
	v_cmp_lt_u32_e32 vcc_lo, 0x37ffffff, v8
	s_mov_b32 s16, 0
                                        ; implicit-def: $vgpr8
	s_and_saveexec_b32 s17, vcc_lo
	s_delay_alu instid0(SALU_CYCLE_1)
	s_xor_b32 s17, exec_lo, s17
	s_cbranch_execz .LBB216_528
; %bb.321:
	v_bfe_u32 v8, v7, 21, 1
	s_mov_b32 s16, exec_lo
	s_delay_alu instid0(VALU_DEP_1) | instskip(NEXT) | instid1(VALU_DEP_1)
	v_add3_u32 v8, v7, v8, 0x88fffff
	v_lshrrev_b32_e32 v8, 21, v8
	s_or_saveexec_b32 s17, s17
                                        ; implicit-def: $sgpr18
	s_delay_alu instid0(SALU_CYCLE_1)
	s_xor_b32 exec_lo, exec_lo, s17
	s_cbranch_execnz .LBB216_529
.LBB216_322:
	s_or_b32 exec_lo, exec_lo, s17
	v_mov_b32_e32 v9, s18
	s_and_saveexec_b32 s17, s16
.LBB216_323:
	v_lshrrev_b32_e32 v7, 24, v7
	s_delay_alu instid0(VALU_DEP_1)
	v_and_or_b32 v9, 0x80, v7, v8
.LBB216_324:
	s_or_b32 exec_lo, exec_lo, s17
.LBB216_325:
	s_delay_alu instid0(SALU_CYCLE_1)
	s_or_b32 exec_lo, exec_lo, s14
	s_mov_b32 s14, 0
	global_store_b8 v[0:1], v9, off
.LBB216_326:
	s_and_b32 vcc_lo, exec_lo, s14
	s_cbranch_vccz .LBB216_336
; %bb.327:
	v_cvt_f32_f16_e32 v7, v5
	s_mov_b32 s14, exec_lo
                                        ; implicit-def: $vgpr8
	s_delay_alu instid0(VALU_DEP_1) | instskip(NEXT) | instid1(VALU_DEP_1)
	v_and_b32_e32 v9, 0x7fffffff, v7
	v_cmpx_gt_u32_e32 0x43f00000, v9
	s_xor_b32 s14, exec_lo, s14
	s_cbranch_execz .LBB216_333
; %bb.328:
	s_mov_b32 s16, exec_lo
                                        ; implicit-def: $vgpr8
	v_cmpx_lt_u32_e32 0x3c7fffff, v9
	s_xor_b32 s16, exec_lo, s16
; %bb.329:
	v_bfe_u32 v8, v7, 20, 1
	s_delay_alu instid0(VALU_DEP_1) | instskip(NEXT) | instid1(VALU_DEP_1)
	v_add3_u32 v8, v7, v8, 0x407ffff
	v_and_b32_e32 v9, 0xff00000, v8
	v_lshrrev_b32_e32 v8, 20, v8
	s_delay_alu instid0(VALU_DEP_2) | instskip(NEXT) | instid1(VALU_DEP_2)
	v_cmp_ne_u32_e32 vcc_lo, 0x7f00000, v9
	v_cndmask_b32_e32 v8, 0x7e, v8, vcc_lo
; %bb.330:
	s_and_not1_saveexec_b32 s16, s16
; %bb.331:
	v_add_f32_e64 v8, 0x46800000, |v7|
; %bb.332:
	s_or_b32 exec_lo, exec_lo, s16
                                        ; implicit-def: $vgpr9
.LBB216_333:
	s_and_not1_saveexec_b32 s14, s14
; %bb.334:
	v_mov_b32_e32 v8, 0x7f
	v_cmp_lt_u32_e32 vcc_lo, 0x7f800000, v9
	s_delay_alu instid0(VALU_DEP_2)
	v_cndmask_b32_e32 v8, 0x7e, v8, vcc_lo
; %bb.335:
	s_or_b32 exec_lo, exec_lo, s14
	v_lshrrev_b32_e32 v7, 24, v7
	s_delay_alu instid0(VALU_DEP_1)
	v_and_or_b32 v7, 0x80, v7, v8
	global_store_b8 v[0:1], v7, off
.LBB216_336:
	s_mov_b32 s14, 0
.LBB216_337:
	s_delay_alu instid0(SALU_CYCLE_1)
	s_and_not1_b32 vcc_lo, exec_lo, s14
	s_cbranch_vccnz .LBB216_347
; %bb.338:
	v_cvt_f32_f16_e32 v7, v5
	s_mov_b32 s14, exec_lo
                                        ; implicit-def: $vgpr8
	s_delay_alu instid0(VALU_DEP_1) | instskip(NEXT) | instid1(VALU_DEP_1)
	v_and_b32_e32 v9, 0x7fffffff, v7
	v_cmpx_gt_u32_e32 0x47800000, v9
	s_xor_b32 s14, exec_lo, s14
	s_cbranch_execz .LBB216_344
; %bb.339:
	s_mov_b32 s16, exec_lo
                                        ; implicit-def: $vgpr8
	v_cmpx_lt_u32_e32 0x387fffff, v9
	s_xor_b32 s16, exec_lo, s16
; %bb.340:
	v_bfe_u32 v8, v7, 21, 1
	s_delay_alu instid0(VALU_DEP_1) | instskip(NEXT) | instid1(VALU_DEP_1)
	v_add3_u32 v8, v7, v8, 0x80fffff
	v_lshrrev_b32_e32 v8, 21, v8
; %bb.341:
	s_and_not1_saveexec_b32 s16, s16
; %bb.342:
	v_add_f32_e64 v8, 0x43000000, |v7|
; %bb.343:
	s_or_b32 exec_lo, exec_lo, s16
                                        ; implicit-def: $vgpr9
.LBB216_344:
	s_and_not1_saveexec_b32 s14, s14
; %bb.345:
	v_mov_b32_e32 v8, 0x7f
	v_cmp_lt_u32_e32 vcc_lo, 0x7f800000, v9
	s_delay_alu instid0(VALU_DEP_2)
	v_cndmask_b32_e32 v8, 0x7c, v8, vcc_lo
; %bb.346:
	s_or_b32 exec_lo, exec_lo, s14
	v_lshrrev_b32_e32 v7, 24, v7
	s_delay_alu instid0(VALU_DEP_1)
	v_and_or_b32 v7, 0x80, v7, v8
	global_store_b8 v[0:1], v7, off
.LBB216_347:
	s_mov_b32 s16, 0
	s_mov_b32 s14, -1
.LBB216_348:
	s_and_not1_b32 vcc_lo, exec_lo, s16
	s_cbranch_vccnz .LBB216_356
; %bb.349:
	v_cmp_lt_i16_e32 vcc_lo, 14, v6
	s_mov_b32 s16, -1
	s_cbranch_vccz .LBB216_353
; %bb.350:
	v_cmp_eq_u16_e32 vcc_lo, 15, v6
	s_mov_b32 s0, -1
	s_cbranch_vccz .LBB216_352
; %bb.351:
	v_cvt_f32_f16_e32 v7, v5
	v_cmp_o_f16_e32 vcc_lo, v5, v5
	s_mov_b32 s14, -1
	s_mov_b32 s0, 0
	s_delay_alu instid0(VALU_DEP_2) | instskip(NEXT) | instid1(VALU_DEP_1)
	v_bfe_u32 v8, v7, 16, 1
	v_add3_u32 v7, v7, v8, 0x7fff
	s_delay_alu instid0(VALU_DEP_1) | instskip(NEXT) | instid1(VALU_DEP_1)
	v_lshrrev_b32_e32 v7, 16, v7
	v_cndmask_b32_e32 v7, 0x7fc0, v7, vcc_lo
	global_store_b16 v[0:1], v7, off
.LBB216_352:
	s_mov_b32 s16, 0
.LBB216_353:
	s_delay_alu instid0(SALU_CYCLE_1)
	s_and_b32 vcc_lo, exec_lo, s16
	s_cbranch_vccz .LBB216_356
; %bb.354:
	v_cmp_eq_u16_e32 vcc_lo, 11, v6
	s_mov_b32 s0, -1
	s_cbranch_vccz .LBB216_356
; %bb.355:
	v_cmp_neq_f16_e32 vcc_lo, 0, v5
	s_mov_b32 s0, 0
	s_mov_b32 s14, -1
	v_cndmask_b32_e64 v7, 0, 1, vcc_lo
	global_store_b8 v[0:1], v7, off
.LBB216_356:
	s_mov_b32 s16, 0
.LBB216_357:
	s_delay_alu instid0(SALU_CYCLE_1)
	s_and_b32 vcc_lo, exec_lo, s16
	s_cbranch_vccz .LBB216_396
; %bb.358:
	v_cmp_gt_i16_e32 vcc_lo, 5, v6
	s_mov_b32 s14, -1
	s_cbranch_vccnz .LBB216_379
; %bb.359:
	v_cmp_gt_i16_e32 vcc_lo, 8, v6
	s_cbranch_vccnz .LBB216_369
; %bb.360:
	v_cmp_gt_i16_e32 vcc_lo, 9, v6
	s_cbranch_vccnz .LBB216_366
; %bb.361:
	v_cmp_lt_i16_e32 vcc_lo, 9, v6
	s_cbranch_vccz .LBB216_363
; %bb.362:
	v_cvt_f32_f16_e32 v7, v5
	v_mov_b32_e32 v9, 0
	s_mov_b32 s14, 0
	s_delay_alu instid0(VALU_DEP_2) | instskip(NEXT) | instid1(VALU_DEP_2)
	v_cvt_f64_f32_e32 v[7:8], v7
	v_mov_b32_e32 v10, v9
	global_store_b128 v[0:1], v[7:10], off
.LBB216_363:
	s_and_not1_b32 vcc_lo, exec_lo, s14
	s_cbranch_vccnz .LBB216_365
; %bb.364:
	v_cvt_f32_f16_e32 v7, v5
	v_mov_b32_e32 v8, 0
	global_store_b64 v[0:1], v[7:8], off
.LBB216_365:
	s_mov_b32 s14, 0
.LBB216_366:
	s_delay_alu instid0(SALU_CYCLE_1)
	s_and_not1_b32 vcc_lo, exec_lo, s14
	s_cbranch_vccnz .LBB216_368
; %bb.367:
	v_and_b32_e32 v7, 0xffff, v5
	global_store_b32 v[0:1], v7, off
.LBB216_368:
	s_mov_b32 s14, 0
.LBB216_369:
	s_delay_alu instid0(SALU_CYCLE_1)
	s_and_not1_b32 vcc_lo, exec_lo, s14
	s_cbranch_vccnz .LBB216_378
; %bb.370:
	v_cmp_gt_i16_e32 vcc_lo, 6, v6
	s_mov_b32 s14, -1
	s_cbranch_vccnz .LBB216_376
; %bb.371:
	v_cmp_lt_i16_e32 vcc_lo, 6, v6
	s_cbranch_vccz .LBB216_373
; %bb.372:
	v_cvt_f32_f16_e32 v7, v5
	s_mov_b32 s14, 0
	s_delay_alu instid0(VALU_DEP_1)
	v_cvt_f64_f32_e32 v[7:8], v7
	global_store_b64 v[0:1], v[7:8], off
.LBB216_373:
	s_and_not1_b32 vcc_lo, exec_lo, s14
	s_cbranch_vccnz .LBB216_375
; %bb.374:
	v_cvt_f32_f16_e32 v7, v5
	global_store_b32 v[0:1], v7, off
.LBB216_375:
	s_mov_b32 s14, 0
.LBB216_376:
	s_delay_alu instid0(SALU_CYCLE_1)
	s_and_not1_b32 vcc_lo, exec_lo, s14
	s_cbranch_vccnz .LBB216_378
; %bb.377:
	global_store_b16 v[0:1], v5, off
.LBB216_378:
	s_mov_b32 s14, 0
.LBB216_379:
	s_delay_alu instid0(SALU_CYCLE_1)
	s_and_not1_b32 vcc_lo, exec_lo, s14
	s_cbranch_vccnz .LBB216_395
; %bb.380:
	v_cmp_gt_i16_e32 vcc_lo, 2, v6
	s_mov_b32 s14, -1
	s_cbranch_vccnz .LBB216_390
; %bb.381:
	v_cmp_gt_i16_e32 vcc_lo, 3, v6
	s_cbranch_vccnz .LBB216_387
; %bb.382:
	v_cmp_lt_i16_e32 vcc_lo, 3, v6
	s_cbranch_vccz .LBB216_384
; %bb.383:
	v_cvt_f32_f16_e32 v7, v5
	s_mov_b32 s14, 0
	s_delay_alu instid0(VALU_DEP_1) | instskip(NEXT) | instid1(VALU_DEP_1)
	v_cvt_i32_f32_e32 v7, v7
	v_ashrrev_i32_e32 v8, 31, v7
	global_store_b64 v[0:1], v[7:8], off
.LBB216_384:
	s_and_not1_b32 vcc_lo, exec_lo, s14
	s_cbranch_vccnz .LBB216_386
; %bb.385:
	v_cvt_f32_f16_e32 v7, v5
	s_delay_alu instid0(VALU_DEP_1)
	v_cvt_i32_f32_e32 v7, v7
	global_store_b32 v[0:1], v7, off
.LBB216_386:
	s_mov_b32 s14, 0
.LBB216_387:
	s_delay_alu instid0(SALU_CYCLE_1)
	s_and_not1_b32 vcc_lo, exec_lo, s14
	s_cbranch_vccnz .LBB216_389
; %bb.388:
	v_cvt_i16_f16_e32 v7, v5
	global_store_b16 v[0:1], v7, off
.LBB216_389:
	s_mov_b32 s14, 0
.LBB216_390:
	s_delay_alu instid0(SALU_CYCLE_1)
	s_and_not1_b32 vcc_lo, exec_lo, s14
	s_cbranch_vccnz .LBB216_395
; %bb.391:
	v_cmp_lt_i16_e32 vcc_lo, 0, v6
	s_mov_b32 s14, -1
	s_cbranch_vccz .LBB216_393
; %bb.392:
	v_cvt_i16_f16_e32 v6, v5
	s_mov_b32 s14, 0
	global_store_b8 v[0:1], v6, off
.LBB216_393:
	s_and_not1_b32 vcc_lo, exec_lo, s14
	s_cbranch_vccnz .LBB216_395
; %bb.394:
	v_cvt_f32_f16_e32 v5, v5
	s_delay_alu instid0(VALU_DEP_1)
	v_cvt_i32_f32_e32 v5, v5
	global_store_b8 v[0:1], v5, off
.LBB216_395:
	s_mov_b32 s14, -1
.LBB216_396:
	s_delay_alu instid0(SALU_CYCLE_1)
	s_and_not1_b32 vcc_lo, exec_lo, s14
	s_cbranch_vccnz .LBB216_398
; %bb.397:
	v_add_nc_u32_e32 v3, 0x80, v3
	s_mov_b32 s16, -1
	s_branch .LBB216_511
.LBB216_398:
	s_mov_b32 s16, 0
	s_branch .LBB216_510
.LBB216_399:
	s_mov_b32 s13, -1
                                        ; implicit-def: $vgpr5
.LBB216_400:
	s_mov_b32 s14, 0
.LBB216_401:
	s_delay_alu instid0(SALU_CYCLE_1)
	s_and_b32 vcc_lo, exec_lo, s14
	s_cbranch_vccz .LBB216_405
; %bb.402:
	v_cmp_eq_u16_e32 vcc_lo, 29, v4
	s_cbranch_vccz .LBB216_404
; %bb.403:
	global_load_b64 v[5:6], v[0:1], off
	s_mov_b32 s0, -1
	s_mov_b32 s13, 0
	s_mov_b32 s14, 0
	s_waitcnt vmcnt(0)
	v_clz_i32_u32_e32 v7, v6
	s_delay_alu instid0(VALU_DEP_1) | instskip(NEXT) | instid1(VALU_DEP_1)
	v_min_u32_e32 v7, 32, v7
	v_lshlrev_b64 v[5:6], v7, v[5:6]
	s_delay_alu instid0(VALU_DEP_1) | instskip(NEXT) | instid1(VALU_DEP_1)
	v_min_u32_e32 v5, 1, v5
	v_or_b32_e32 v5, v6, v5
	v_sub_nc_u32_e32 v6, 32, v7
	s_delay_alu instid0(VALU_DEP_2) | instskip(NEXT) | instid1(VALU_DEP_1)
	v_cvt_f32_u32_e32 v5, v5
	v_ldexp_f32 v5, v5, v6
	s_delay_alu instid0(VALU_DEP_1)
	v_cvt_f16_f32_e32 v5, v5
	s_branch .LBB216_406
.LBB216_404:
	s_mov_b32 s13, -1
                                        ; implicit-def: $vgpr5
.LBB216_405:
	s_mov_b32 s14, 0
.LBB216_406:
	s_delay_alu instid0(SALU_CYCLE_1)
	s_and_b32 vcc_lo, exec_lo, s14
	s_cbranch_vccz .LBB216_424
; %bb.407:
	v_cmp_gt_i16_e32 vcc_lo, 27, v4
	s_cbranch_vccnz .LBB216_410
; %bb.408:
	v_cmp_lt_i16_e32 vcc_lo, 27, v4
	s_cbranch_vccz .LBB216_411
; %bb.409:
	global_load_b32 v5, v[0:1], off
	s_mov_b32 s0, 0
	s_waitcnt vmcnt(0)
	v_cvt_f32_u32_e32 v5, v5
	s_delay_alu instid0(VALU_DEP_1)
	v_cvt_f16_f32_e32 v5, v5
	s_branch .LBB216_412
.LBB216_410:
	s_mov_b32 s0, -1
                                        ; implicit-def: $vgpr5
	s_branch .LBB216_415
.LBB216_411:
	s_mov_b32 s0, -1
                                        ; implicit-def: $vgpr5
.LBB216_412:
	s_delay_alu instid0(SALU_CYCLE_1)
	s_and_not1_b32 vcc_lo, exec_lo, s0
	s_cbranch_vccnz .LBB216_414
; %bb.413:
	global_load_u16 v5, v[0:1], off
	s_waitcnt vmcnt(0)
	v_cvt_f16_u16_e32 v5, v5
.LBB216_414:
	s_mov_b32 s0, 0
.LBB216_415:
	s_delay_alu instid0(SALU_CYCLE_1)
	s_and_not1_b32 vcc_lo, exec_lo, s0
	s_cbranch_vccnz .LBB216_423
; %bb.416:
	global_load_u8 v6, v[0:1], off
	s_mov_b32 s0, 0
	s_mov_b32 s16, exec_lo
                                        ; implicit-def: $sgpr14
	s_waitcnt vmcnt(0)
	v_cmpx_lt_i16_e32 0x7f, v6
	s_xor_b32 s16, exec_lo, s16
	s_cbranch_execz .LBB216_437
; %bb.417:
	s_mov_b32 s0, -1
	s_mov_b32 s17, exec_lo
                                        ; implicit-def: $sgpr14
	v_cmpx_eq_u16_e32 0x80, v6
; %bb.418:
	s_movk_i32 s14, 0x7e00
	s_xor_b32 s0, exec_lo, -1
; %bb.419:
	s_or_b32 exec_lo, exec_lo, s17
	s_delay_alu instid0(SALU_CYCLE_1)
	s_and_b32 s0, s0, exec_lo
	s_or_saveexec_b32 s16, s16
	v_mov_b32_e32 v5, s14
	s_xor_b32 exec_lo, exec_lo, s16
	s_cbranch_execnz .LBB216_438
.LBB216_420:
	s_or_b32 exec_lo, exec_lo, s16
	s_and_saveexec_b32 s14, s0
	s_cbranch_execz .LBB216_422
.LBB216_421:
	v_and_b32_e32 v5, 0xffff, v6
	s_delay_alu instid0(VALU_DEP_1) | instskip(NEXT) | instid1(VALU_DEP_1)
	v_and_b32_e32 v7, 7, v5
	v_clz_i32_u32_e32 v8, v7
	s_delay_alu instid0(VALU_DEP_1) | instskip(NEXT) | instid1(VALU_DEP_1)
	v_min_u32_e32 v8, 32, v8
	v_subrev_nc_u32_e32 v9, 28, v8
	v_sub_nc_u32_e32 v8, 29, v8
	s_delay_alu instid0(VALU_DEP_2) | instskip(SKIP_1) | instid1(VALU_DEP_2)
	v_lshlrev_b32_e32 v9, v9, v5
	v_bfe_u32 v5, v5, 3, 4
	v_and_b32_e32 v9, 7, v9
	s_delay_alu instid0(VALU_DEP_2) | instskip(SKIP_1) | instid1(VALU_DEP_1)
	v_cmp_eq_u32_e32 vcc_lo, 0, v5
	v_dual_cndmask_b32 v5, v5, v8 :: v_dual_lshlrev_b32 v6, 24, v6
	v_dual_cndmask_b32 v7, v7, v9 :: v_dual_and_b32 v6, 0x80000000, v6
	s_delay_alu instid0(VALU_DEP_2) | instskip(NEXT) | instid1(VALU_DEP_2)
	v_lshl_add_u32 v5, v5, 23, 0x3b800000
	v_lshlrev_b32_e32 v7, 20, v7
	s_delay_alu instid0(VALU_DEP_1) | instskip(NEXT) | instid1(VALU_DEP_1)
	v_or3_b32 v5, v6, v5, v7
	v_cvt_f16_f32_e32 v5, v5
.LBB216_422:
	s_or_b32 exec_lo, exec_lo, s14
.LBB216_423:
	s_mov_b32 s0, -1
.LBB216_424:
	s_mov_b32 s14, 0
.LBB216_425:
	s_delay_alu instid0(SALU_CYCLE_1)
	s_and_b32 vcc_lo, exec_lo, s14
	s_cbranch_vccz .LBB216_460
; %bb.426:
	v_cmp_lt_i16_e32 vcc_lo, 22, v4
	s_cbranch_vccz .LBB216_436
; %bb.427:
	v_cmp_gt_i16_e32 vcc_lo, 24, v4
	s_cbranch_vccnz .LBB216_439
; %bb.428:
	v_cmp_lt_i16_e32 vcc_lo, 24, v4
	s_cbranch_vccz .LBB216_440
; %bb.429:
	global_load_u8 v6, v[0:1], off
	s_mov_b32 s0, 0
	s_mov_b32 s16, exec_lo
                                        ; implicit-def: $sgpr14
	s_waitcnt vmcnt(0)
	v_cmpx_lt_i16_e32 0x7f, v6
	s_xor_b32 s16, exec_lo, s16
	s_cbranch_execz .LBB216_452
; %bb.430:
	s_mov_b32 s0, -1
	s_mov_b32 s17, exec_lo
                                        ; implicit-def: $sgpr14
	v_cmpx_eq_u16_e32 0x80, v6
; %bb.431:
	s_movk_i32 s14, 0x7e00
	s_xor_b32 s0, exec_lo, -1
; %bb.432:
	s_or_b32 exec_lo, exec_lo, s17
	s_delay_alu instid0(SALU_CYCLE_1)
	s_and_b32 s0, s0, exec_lo
	s_or_saveexec_b32 s16, s16
	v_mov_b32_e32 v5, s14
	s_xor_b32 exec_lo, exec_lo, s16
	s_cbranch_execnz .LBB216_453
.LBB216_433:
	s_or_b32 exec_lo, exec_lo, s16
	s_and_saveexec_b32 s14, s0
	s_cbranch_execz .LBB216_435
.LBB216_434:
	v_and_b32_e32 v5, 0xffff, v6
	s_delay_alu instid0(VALU_DEP_1) | instskip(NEXT) | instid1(VALU_DEP_1)
	v_and_b32_e32 v7, 3, v5
	v_clz_i32_u32_e32 v8, v7
	s_delay_alu instid0(VALU_DEP_1) | instskip(NEXT) | instid1(VALU_DEP_1)
	v_min_u32_e32 v8, 32, v8
	v_subrev_nc_u32_e32 v9, 29, v8
	v_sub_nc_u32_e32 v8, 30, v8
	s_delay_alu instid0(VALU_DEP_2) | instskip(SKIP_1) | instid1(VALU_DEP_2)
	v_lshlrev_b32_e32 v9, v9, v5
	v_bfe_u32 v5, v5, 2, 5
	v_and_b32_e32 v9, 3, v9
	s_delay_alu instid0(VALU_DEP_2) | instskip(SKIP_1) | instid1(VALU_DEP_1)
	v_cmp_eq_u32_e32 vcc_lo, 0, v5
	v_dual_cndmask_b32 v5, v5, v8 :: v_dual_lshlrev_b32 v6, 24, v6
	v_dual_cndmask_b32 v7, v7, v9 :: v_dual_and_b32 v6, 0x80000000, v6
	s_delay_alu instid0(VALU_DEP_2) | instskip(NEXT) | instid1(VALU_DEP_2)
	v_lshl_add_u32 v5, v5, 23, 0x37800000
	v_lshlrev_b32_e32 v7, 21, v7
	s_delay_alu instid0(VALU_DEP_1) | instskip(NEXT) | instid1(VALU_DEP_1)
	v_or3_b32 v5, v6, v5, v7
	v_cvt_f16_f32_e32 v5, v5
.LBB216_435:
	s_or_b32 exec_lo, exec_lo, s14
	s_mov_b32 s0, 0
	s_branch .LBB216_441
.LBB216_436:
	s_mov_b32 s14, -1
                                        ; implicit-def: $vgpr5
	s_branch .LBB216_447
.LBB216_437:
	s_or_saveexec_b32 s16, s16
	v_mov_b32_e32 v5, s14
	s_xor_b32 exec_lo, exec_lo, s16
	s_cbranch_execz .LBB216_420
.LBB216_438:
	v_cmp_ne_u16_e32 vcc_lo, 0, v6
	v_mov_b32_e32 v5, v6
	s_and_not1_b32 s0, s0, exec_lo
	s_and_b32 s14, vcc_lo, exec_lo
	s_delay_alu instid0(SALU_CYCLE_1)
	s_or_b32 s0, s0, s14
	s_or_b32 exec_lo, exec_lo, s16
	s_and_saveexec_b32 s14, s0
	s_cbranch_execnz .LBB216_421
	s_branch .LBB216_422
.LBB216_439:
	s_mov_b32 s0, -1
                                        ; implicit-def: $vgpr5
	s_branch .LBB216_444
.LBB216_440:
	s_mov_b32 s0, -1
                                        ; implicit-def: $vgpr5
.LBB216_441:
	s_delay_alu instid0(SALU_CYCLE_1)
	s_and_b32 vcc_lo, exec_lo, s0
	s_cbranch_vccz .LBB216_443
; %bb.442:
	global_load_u8 v5, v[0:1], off
	s_waitcnt vmcnt(0)
	v_lshlrev_b32_e32 v5, 24, v5
	s_delay_alu instid0(VALU_DEP_1) | instskip(NEXT) | instid1(VALU_DEP_1)
	v_and_b32_e32 v6, 0x7f000000, v5
	v_clz_i32_u32_e32 v7, v6
	v_add_nc_u32_e32 v9, 0x1000000, v6
	v_cmp_ne_u32_e32 vcc_lo, 0, v6
	s_delay_alu instid0(VALU_DEP_3) | instskip(NEXT) | instid1(VALU_DEP_1)
	v_min_u32_e32 v7, 32, v7
	v_sub_nc_u32_e64 v7, v7, 4 clamp
	s_delay_alu instid0(VALU_DEP_1) | instskip(SKIP_1) | instid1(VALU_DEP_2)
	v_lshlrev_b32_e32 v8, v7, v6
	v_lshlrev_b32_e32 v7, 23, v7
	v_lshrrev_b32_e32 v8, 4, v8
	s_delay_alu instid0(VALU_DEP_1) | instskip(SKIP_1) | instid1(VALU_DEP_2)
	v_sub_nc_u32_e32 v7, v8, v7
	v_ashrrev_i32_e32 v8, 8, v9
	v_add_nc_u32_e32 v7, 0x3c000000, v7
	s_delay_alu instid0(VALU_DEP_1) | instskip(NEXT) | instid1(VALU_DEP_1)
	v_and_or_b32 v7, 0x7f800000, v8, v7
	v_cndmask_b32_e32 v6, 0, v7, vcc_lo
	s_delay_alu instid0(VALU_DEP_1) | instskip(NEXT) | instid1(VALU_DEP_1)
	v_and_or_b32 v5, 0x80000000, v5, v6
	v_cvt_f16_f32_e32 v5, v5
.LBB216_443:
	s_mov_b32 s0, 0
.LBB216_444:
	s_delay_alu instid0(SALU_CYCLE_1)
	s_and_not1_b32 vcc_lo, exec_lo, s0
	s_cbranch_vccnz .LBB216_446
; %bb.445:
	global_load_u8 v5, v[0:1], off
	s_waitcnt vmcnt(0)
	v_lshlrev_b32_e32 v6, 25, v5
	v_lshlrev_b16 v5, 8, v5
	s_delay_alu instid0(VALU_DEP_2) | instskip(NEXT) | instid1(VALU_DEP_2)
	v_lshrrev_b32_e32 v7, 4, v6
	v_and_or_b32 v8, 0x7f00, v5, 0.5
	v_bfe_i32 v5, v5, 0, 16
	s_delay_alu instid0(VALU_DEP_3) | instskip(NEXT) | instid1(VALU_DEP_1)
	v_or_b32_e32 v7, 0x70000000, v7
	v_dual_add_f32 v8, -0.5, v8 :: v_dual_mul_f32 v7, 0x7800000, v7
	v_cmp_gt_u32_e32 vcc_lo, 0x8000000, v6
	s_delay_alu instid0(VALU_DEP_2) | instskip(NEXT) | instid1(VALU_DEP_1)
	v_cndmask_b32_e32 v6, v7, v8, vcc_lo
	v_and_or_b32 v5, 0x80000000, v5, v6
	s_delay_alu instid0(VALU_DEP_1)
	v_cvt_f16_f32_e32 v5, v5
.LBB216_446:
	s_mov_b32 s14, 0
	s_mov_b32 s0, -1
.LBB216_447:
	s_and_not1_b32 vcc_lo, exec_lo, s14
	s_cbranch_vccnz .LBB216_460
; %bb.448:
	v_cmp_lt_i16_e32 vcc_lo, 14, v4
	s_cbranch_vccz .LBB216_451
; %bb.449:
	v_cmp_eq_u16_e32 vcc_lo, 15, v4
	s_cbranch_vccz .LBB216_454
; %bb.450:
	global_load_u16 v5, v[0:1], off
	s_mov_b32 s0, -1
	s_mov_b32 s13, 0
	s_waitcnt vmcnt(0)
	v_lshlrev_b32_e32 v5, 16, v5
	s_delay_alu instid0(VALU_DEP_1)
	v_cvt_f16_f32_e32 v5, v5
	s_branch .LBB216_455
.LBB216_451:
	s_mov_b32 s14, -1
                                        ; implicit-def: $vgpr5
	s_branch .LBB216_456
.LBB216_452:
	s_or_saveexec_b32 s16, s16
	v_mov_b32_e32 v5, s14
	s_xor_b32 exec_lo, exec_lo, s16
	s_cbranch_execz .LBB216_433
.LBB216_453:
	v_cmp_ne_u16_e32 vcc_lo, 0, v6
	v_mov_b32_e32 v5, v6
	s_and_not1_b32 s0, s0, exec_lo
	s_and_b32 s14, vcc_lo, exec_lo
	s_delay_alu instid0(SALU_CYCLE_1)
	s_or_b32 s0, s0, s14
	s_or_b32 exec_lo, exec_lo, s16
	s_and_saveexec_b32 s14, s0
	s_cbranch_execnz .LBB216_434
	s_branch .LBB216_435
.LBB216_454:
	s_mov_b32 s13, -1
                                        ; implicit-def: $vgpr5
.LBB216_455:
	s_mov_b32 s14, 0
.LBB216_456:
	s_delay_alu instid0(SALU_CYCLE_1)
	s_and_b32 vcc_lo, exec_lo, s14
	s_cbranch_vccz .LBB216_460
; %bb.457:
	v_cmp_eq_u16_e32 vcc_lo, 11, v4
	s_cbranch_vccz .LBB216_459
; %bb.458:
	global_load_u8 v5, v[0:1], off
	s_mov_b32 s13, 0
	s_mov_b32 s0, -1
	s_waitcnt vmcnt(0)
	v_cmp_ne_u16_e32 vcc_lo, 0, v5
	v_cndmask_b32_e64 v5, 0, 0x3c00, vcc_lo
	s_branch .LBB216_460
.LBB216_459:
	s_mov_b32 s13, -1
                                        ; implicit-def: $vgpr5
.LBB216_460:
	s_branch .LBB216_262
.LBB216_461:
	v_cmp_gt_i16_e32 vcc_lo, 5, v4
	s_cbranch_vccnz .LBB216_466
; %bb.462:
	v_cmp_gt_i16_e32 vcc_lo, 8, v4
	s_cbranch_vccnz .LBB216_467
; %bb.463:
	;; [unrolled: 3-line block ×3, first 2 shown]
	v_cmp_lt_i16_e32 vcc_lo, 9, v4
	s_cbranch_vccz .LBB216_469
; %bb.465:
	global_load_b64 v[5:6], v[0:1], off
	s_mov_b32 s0, 0
	s_waitcnt vmcnt(0)
	v_cvt_f32_f64_e32 v5, v[5:6]
	s_delay_alu instid0(VALU_DEP_1)
	v_cvt_f16_f32_e32 v5, v5
	s_branch .LBB216_470
.LBB216_466:
	s_mov_b32 s0, -1
                                        ; implicit-def: $vgpr5
	s_branch .LBB216_488
.LBB216_467:
	s_mov_b32 s0, -1
                                        ; implicit-def: $vgpr5
	s_branch .LBB216_476
.LBB216_468:
	s_mov_b32 s0, -1
                                        ; implicit-def: $vgpr5
	s_branch .LBB216_473
.LBB216_469:
	s_mov_b32 s0, -1
                                        ; implicit-def: $vgpr5
.LBB216_470:
	s_delay_alu instid0(SALU_CYCLE_1)
	s_and_not1_b32 vcc_lo, exec_lo, s0
	s_cbranch_vccnz .LBB216_472
; %bb.471:
	global_load_b32 v5, v[0:1], off
	s_waitcnt vmcnt(0)
	v_cvt_f16_f32_e32 v5, v5
.LBB216_472:
	s_mov_b32 s0, 0
.LBB216_473:
	s_delay_alu instid0(SALU_CYCLE_1)
	s_and_not1_b32 vcc_lo, exec_lo, s0
	s_cbranch_vccnz .LBB216_475
; %bb.474:
	global_load_b32 v5, v[0:1], off
.LBB216_475:
	s_mov_b32 s0, 0
.LBB216_476:
	s_delay_alu instid0(SALU_CYCLE_1)
	s_and_not1_b32 vcc_lo, exec_lo, s0
	s_cbranch_vccnz .LBB216_487
; %bb.477:
	v_cmp_gt_i16_e32 vcc_lo, 6, v4
	s_cbranch_vccnz .LBB216_480
; %bb.478:
	v_cmp_lt_i16_e32 vcc_lo, 6, v4
	s_cbranch_vccz .LBB216_481
; %bb.479:
	global_load_b64 v[5:6], v[0:1], off
	s_mov_b32 s0, 0
	s_waitcnt vmcnt(0)
	v_cvt_f32_f64_e32 v5, v[5:6]
	s_delay_alu instid0(VALU_DEP_1)
	v_cvt_f16_f32_e32 v5, v5
	s_branch .LBB216_482
.LBB216_480:
	s_mov_b32 s0, -1
                                        ; implicit-def: $vgpr5
	s_branch .LBB216_485
.LBB216_481:
	s_mov_b32 s0, -1
                                        ; implicit-def: $vgpr5
.LBB216_482:
	s_delay_alu instid0(SALU_CYCLE_1)
	s_and_not1_b32 vcc_lo, exec_lo, s0
	s_cbranch_vccnz .LBB216_484
; %bb.483:
	global_load_b32 v5, v[0:1], off
	s_waitcnt vmcnt(0)
	v_cvt_f16_f32_e32 v5, v5
.LBB216_484:
	s_mov_b32 s0, 0
.LBB216_485:
	s_delay_alu instid0(SALU_CYCLE_1)
	s_and_not1_b32 vcc_lo, exec_lo, s0
	s_cbranch_vccnz .LBB216_487
; %bb.486:
	global_load_u16 v5, v[0:1], off
.LBB216_487:
	s_mov_b32 s0, 0
.LBB216_488:
	s_delay_alu instid0(SALU_CYCLE_1)
	s_and_not1_b32 vcc_lo, exec_lo, s0
	s_cbranch_vccnz .LBB216_508
; %bb.489:
	v_cmp_gt_i16_e32 vcc_lo, 2, v4
	s_cbranch_vccnz .LBB216_493
; %bb.490:
	v_cmp_gt_i16_e32 vcc_lo, 3, v4
	s_cbranch_vccnz .LBB216_494
; %bb.491:
	v_cmp_lt_i16_e32 vcc_lo, 3, v4
	s_cbranch_vccz .LBB216_495
; %bb.492:
	global_load_b64 v[5:6], v[0:1], off
	s_mov_b32 s0, 0
	s_waitcnt vmcnt(0)
	v_xor_b32_e32 v7, v5, v6
	v_cls_i32_e32 v8, v6
	s_delay_alu instid0(VALU_DEP_2) | instskip(NEXT) | instid1(VALU_DEP_2)
	v_ashrrev_i32_e32 v7, 31, v7
	v_add_nc_u32_e32 v8, -1, v8
	s_delay_alu instid0(VALU_DEP_2) | instskip(NEXT) | instid1(VALU_DEP_1)
	v_add_nc_u32_e32 v7, 32, v7
	v_min_u32_e32 v7, v8, v7
	s_delay_alu instid0(VALU_DEP_1) | instskip(NEXT) | instid1(VALU_DEP_1)
	v_lshlrev_b64 v[5:6], v7, v[5:6]
	v_min_u32_e32 v5, 1, v5
	s_delay_alu instid0(VALU_DEP_1) | instskip(SKIP_1) | instid1(VALU_DEP_2)
	v_or_b32_e32 v5, v6, v5
	v_sub_nc_u32_e32 v6, 32, v7
	v_cvt_f32_i32_e32 v5, v5
	s_delay_alu instid0(VALU_DEP_1) | instskip(NEXT) | instid1(VALU_DEP_1)
	v_ldexp_f32 v5, v5, v6
	v_cvt_f16_f32_e32 v5, v5
	s_branch .LBB216_496
.LBB216_493:
	s_mov_b32 s0, -1
                                        ; implicit-def: $vgpr5
	s_branch .LBB216_502
.LBB216_494:
	s_mov_b32 s0, -1
                                        ; implicit-def: $vgpr5
	s_branch .LBB216_499
.LBB216_495:
	s_mov_b32 s0, -1
                                        ; implicit-def: $vgpr5
.LBB216_496:
	s_delay_alu instid0(SALU_CYCLE_1)
	s_and_not1_b32 vcc_lo, exec_lo, s0
	s_cbranch_vccnz .LBB216_498
; %bb.497:
	global_load_b32 v5, v[0:1], off
	s_waitcnt vmcnt(0)
	v_cvt_f32_i32_e32 v5, v5
	s_delay_alu instid0(VALU_DEP_1)
	v_cvt_f16_f32_e32 v5, v5
.LBB216_498:
	s_mov_b32 s0, 0
.LBB216_499:
	s_delay_alu instid0(SALU_CYCLE_1)
	s_and_not1_b32 vcc_lo, exec_lo, s0
	s_cbranch_vccnz .LBB216_501
; %bb.500:
	global_load_u16 v5, v[0:1], off
	s_waitcnt vmcnt(0)
	v_cvt_f16_i16_e32 v5, v5
.LBB216_501:
	s_mov_b32 s0, 0
.LBB216_502:
	s_delay_alu instid0(SALU_CYCLE_1)
	s_and_not1_b32 vcc_lo, exec_lo, s0
	s_cbranch_vccnz .LBB216_508
; %bb.503:
	v_cmp_lt_i16_e32 vcc_lo, 0, v4
	s_mov_b32 s0, 0
	s_cbranch_vccz .LBB216_505
; %bb.504:
	global_load_i8 v5, v[0:1], off
	s_waitcnt vmcnt(0)
	v_cvt_f16_i16_e32 v5, v5
	s_branch .LBB216_506
.LBB216_505:
	s_mov_b32 s0, -1
                                        ; implicit-def: $vgpr5
.LBB216_506:
	s_delay_alu instid0(SALU_CYCLE_1)
	s_and_not1_b32 vcc_lo, exec_lo, s0
	s_cbranch_vccnz .LBB216_508
; %bb.507:
	global_load_u8 v0, v[0:1], off
	s_waitcnt vmcnt(0)
	v_cvt_f16_u16_e32 v5, v0
.LBB216_508:
	s_branch .LBB216_263
.LBB216_509:
	s_mov_b32 s16, 0
	s_mov_b32 s0, s9
.LBB216_510:
                                        ; implicit-def: $vgpr3
.LBB216_511:
	s_and_not1_b32 s14, s9, exec_lo
	s_and_b32 s0, s0, exec_lo
	s_and_not1_b32 s17, s11, exec_lo
	s_and_b32 s13, s13, exec_lo
	s_or_b32 s14, s14, s0
	s_or_b32 s13, s17, s13
	s_or_not1_b32 s17, s16, exec_lo
.LBB216_512:
	s_or_b32 exec_lo, exec_lo, s15
	s_mov_b32 s16, 0
	s_mov_b32 s18, 0
	;; [unrolled: 1-line block ×3, first 2 shown]
                                        ; implicit-def: $vgpr0_vgpr1
                                        ; implicit-def: $vgpr6
	s_and_saveexec_b32 s15, s17
	s_cbranch_execz .LBB216_859
; %bb.513:
	s_mov_b32 s0, -1
	s_mov_b32 s17, s13
	s_mov_b32 s18, s14
	s_mov_b32 s16, exec_lo
	v_cmpx_gt_i32_e64 s10, v3
	s_cbranch_execz .LBB216_773
; %bb.514:
	v_mul_lo_u32 v0, v3, s3
	v_cmp_gt_i16_e32 vcc_lo, 11, v4
	s_delay_alu instid0(VALU_DEP_2) | instskip(SKIP_1) | instid1(VALU_DEP_1)
	v_ashrrev_i32_e32 v1, 31, v0
	v_add_co_u32 v0, s0, s6, v0
	v_add_co_ci_u32_e64 v1, s0, s7, v1, s0
	s_cbranch_vccnz .LBB216_521
; %bb.515:
	v_cmp_lt_i16_e32 vcc_lo, 25, v4
	s_cbranch_vccz .LBB216_522
; %bb.516:
	v_cmp_lt_i16_e32 vcc_lo, 28, v4
	s_cbranch_vccz .LBB216_523
	;; [unrolled: 3-line block ×4, first 2 shown]
; %bb.519:
	v_cmp_eq_u16_e32 vcc_lo, 46, v4
	s_mov_b32 s18, 0
	s_cbranch_vccz .LBB216_530
; %bb.520:
	global_load_b32 v5, v[0:1], off
	s_mov_b32 s0, -1
	s_mov_b32 s17, 0
	s_waitcnt vmcnt(0)
	v_lshlrev_b32_e32 v5, 16, v5
	s_delay_alu instid0(VALU_DEP_1)
	v_cvt_f16_f32_e32 v5, v5
	s_branch .LBB216_532
.LBB216_521:
	s_mov_b32 s18, -1
	s_mov_b32 s0, 0
	s_mov_b32 s17, s13
                                        ; implicit-def: $vgpr5
	s_branch .LBB216_597
.LBB216_522:
	s_mov_b32 s18, -1
	s_mov_b32 s0, 0
	s_mov_b32 s17, s13
                                        ; implicit-def: $vgpr5
	s_branch .LBB216_561
.LBB216_523:
	s_mov_b32 s18, -1
	s_mov_b32 s0, 0
	s_mov_b32 s17, s13
                                        ; implicit-def: $vgpr5
	s_branch .LBB216_542
.LBB216_524:
	s_mov_b32 s18, -1
	s_mov_b32 s0, 0
	s_mov_b32 s17, s13
                                        ; implicit-def: $vgpr5
	s_branch .LBB216_537
.LBB216_525:
	s_or_saveexec_b32 s17, s17
                                        ; implicit-def: $sgpr18
	s_delay_alu instid0(SALU_CYCLE_1)
	s_xor_b32 exec_lo, exec_lo, s17
	s_cbranch_execz .LBB216_309
.LBB216_526:
	v_add_f32_e64 v8, 0x46000000, |v7|
	s_and_not1_b32 s16, s16, exec_lo
	s_mov_b32 s18, 0
	s_delay_alu instid0(VALU_DEP_1) | instskip(NEXT) | instid1(VALU_DEP_1)
	v_and_b32_e32 v8, 0xff, v8
	v_cmp_ne_u32_e32 vcc_lo, 0, v8
	s_and_b32 s19, vcc_lo, exec_lo
	s_delay_alu instid0(SALU_CYCLE_1)
	s_or_b32 s16, s16, s19
	s_or_b32 exec_lo, exec_lo, s17
	v_mov_b32_e32 v9, s18
	s_and_saveexec_b32 s17, s16
	s_cbranch_execnz .LBB216_310
	s_branch .LBB216_311
.LBB216_527:
	s_mov_b32 s18, -1
	s_mov_b32 s0, 0
	s_mov_b32 s17, s13
	s_branch .LBB216_531
.LBB216_528:
	s_or_saveexec_b32 s17, s17
                                        ; implicit-def: $sgpr18
	s_delay_alu instid0(SALU_CYCLE_1)
	s_xor_b32 exec_lo, exec_lo, s17
	s_cbranch_execz .LBB216_322
.LBB216_529:
	v_add_f32_e64 v8, 0x42800000, |v7|
	s_and_not1_b32 s16, s16, exec_lo
	s_mov_b32 s18, 0
	s_delay_alu instid0(VALU_DEP_1) | instskip(NEXT) | instid1(VALU_DEP_1)
	v_and_b32_e32 v8, 0xff, v8
	v_cmp_ne_u32_e32 vcc_lo, 0, v8
	s_and_b32 s19, vcc_lo, exec_lo
	s_delay_alu instid0(SALU_CYCLE_1)
	s_or_b32 s16, s16, s19
	s_or_b32 exec_lo, exec_lo, s17
	v_mov_b32_e32 v9, s18
	s_and_saveexec_b32 s17, s16
	s_cbranch_execnz .LBB216_323
	s_branch .LBB216_324
.LBB216_530:
	s_mov_b32 s17, -1
	s_mov_b32 s0, 0
.LBB216_531:
                                        ; implicit-def: $vgpr5
.LBB216_532:
	s_and_b32 vcc_lo, exec_lo, s18
	s_cbranch_vccz .LBB216_536
; %bb.533:
	v_cmp_eq_u16_e32 vcc_lo, 44, v4
	s_cbranch_vccz .LBB216_535
; %bb.534:
	global_load_u8 v5, v[0:1], off
	s_mov_b32 s17, 0
	s_mov_b32 s0, -1
	s_waitcnt vmcnt(0)
	v_lshlrev_b32_e32 v6, 23, v5
	v_cmp_ne_u32_e32 vcc_lo, 0xff, v5
	s_delay_alu instid0(VALU_DEP_2) | instskip(NEXT) | instid1(VALU_DEP_1)
	v_cvt_f16_f32_e32 v6, v6
	v_cndmask_b32_e32 v6, 0x7e00, v6, vcc_lo
	v_cmp_ne_u32_e32 vcc_lo, 0, v5
	s_delay_alu instid0(VALU_DEP_2)
	v_cndmask_b32_e32 v5, 0, v6, vcc_lo
	s_branch .LBB216_536
.LBB216_535:
	s_mov_b32 s17, -1
                                        ; implicit-def: $vgpr5
.LBB216_536:
	s_mov_b32 s18, 0
.LBB216_537:
	s_delay_alu instid0(SALU_CYCLE_1)
	s_and_b32 vcc_lo, exec_lo, s18
	s_cbranch_vccz .LBB216_541
; %bb.538:
	v_cmp_eq_u16_e32 vcc_lo, 29, v4
	s_cbranch_vccz .LBB216_540
; %bb.539:
	global_load_b64 v[5:6], v[0:1], off
	s_mov_b32 s0, -1
	s_mov_b32 s17, 0
	s_mov_b32 s18, 0
	s_waitcnt vmcnt(0)
	v_clz_i32_u32_e32 v7, v6
	s_delay_alu instid0(VALU_DEP_1) | instskip(NEXT) | instid1(VALU_DEP_1)
	v_min_u32_e32 v7, 32, v7
	v_lshlrev_b64 v[5:6], v7, v[5:6]
	s_delay_alu instid0(VALU_DEP_1) | instskip(NEXT) | instid1(VALU_DEP_1)
	v_min_u32_e32 v5, 1, v5
	v_or_b32_e32 v5, v6, v5
	v_sub_nc_u32_e32 v6, 32, v7
	s_delay_alu instid0(VALU_DEP_2) | instskip(NEXT) | instid1(VALU_DEP_1)
	v_cvt_f32_u32_e32 v5, v5
	v_ldexp_f32 v5, v5, v6
	s_delay_alu instid0(VALU_DEP_1)
	v_cvt_f16_f32_e32 v5, v5
	s_branch .LBB216_542
.LBB216_540:
	s_mov_b32 s17, -1
                                        ; implicit-def: $vgpr5
.LBB216_541:
	s_mov_b32 s18, 0
.LBB216_542:
	s_delay_alu instid0(SALU_CYCLE_1)
	s_and_b32 vcc_lo, exec_lo, s18
	s_cbranch_vccz .LBB216_560
; %bb.543:
	v_cmp_gt_i16_e32 vcc_lo, 27, v4
	s_cbranch_vccnz .LBB216_546
; %bb.544:
	v_cmp_lt_i16_e32 vcc_lo, 27, v4
	s_cbranch_vccz .LBB216_547
; %bb.545:
	global_load_b32 v5, v[0:1], off
	s_mov_b32 s0, 0
	s_waitcnt vmcnt(0)
	v_cvt_f32_u32_e32 v5, v5
	s_delay_alu instid0(VALU_DEP_1)
	v_cvt_f16_f32_e32 v5, v5
	s_branch .LBB216_548
.LBB216_546:
	s_mov_b32 s0, -1
                                        ; implicit-def: $vgpr5
	s_branch .LBB216_551
.LBB216_547:
	s_mov_b32 s0, -1
                                        ; implicit-def: $vgpr5
.LBB216_548:
	s_delay_alu instid0(SALU_CYCLE_1)
	s_and_not1_b32 vcc_lo, exec_lo, s0
	s_cbranch_vccnz .LBB216_550
; %bb.549:
	global_load_u16 v5, v[0:1], off
	s_waitcnt vmcnt(0)
	v_cvt_f16_u16_e32 v5, v5
.LBB216_550:
	s_mov_b32 s0, 0
.LBB216_551:
	s_delay_alu instid0(SALU_CYCLE_1)
	s_and_not1_b32 vcc_lo, exec_lo, s0
	s_cbranch_vccnz .LBB216_559
; %bb.552:
	global_load_u8 v6, v[0:1], off
	s_mov_b32 s0, 0
	s_mov_b32 s19, exec_lo
                                        ; implicit-def: $sgpr18
	s_waitcnt vmcnt(0)
	v_cmpx_lt_i16_e32 0x7f, v6
	s_xor_b32 s19, exec_lo, s19
	s_cbranch_execz .LBB216_573
; %bb.553:
	s_mov_b32 s0, -1
	s_mov_b32 s20, exec_lo
                                        ; implicit-def: $sgpr18
	v_cmpx_eq_u16_e32 0x80, v6
; %bb.554:
	s_movk_i32 s18, 0x7e00
	s_xor_b32 s0, exec_lo, -1
; %bb.555:
	s_or_b32 exec_lo, exec_lo, s20
	s_delay_alu instid0(SALU_CYCLE_1)
	s_and_b32 s0, s0, exec_lo
	s_or_saveexec_b32 s19, s19
	v_mov_b32_e32 v5, s18
	s_xor_b32 exec_lo, exec_lo, s19
	s_cbranch_execnz .LBB216_574
.LBB216_556:
	s_or_b32 exec_lo, exec_lo, s19
	s_and_saveexec_b32 s18, s0
	s_cbranch_execz .LBB216_558
.LBB216_557:
	v_and_b32_e32 v5, 0xffff, v6
	s_delay_alu instid0(VALU_DEP_1) | instskip(NEXT) | instid1(VALU_DEP_1)
	v_and_b32_e32 v7, 7, v5
	v_clz_i32_u32_e32 v8, v7
	s_delay_alu instid0(VALU_DEP_1) | instskip(NEXT) | instid1(VALU_DEP_1)
	v_min_u32_e32 v8, 32, v8
	v_subrev_nc_u32_e32 v9, 28, v8
	v_sub_nc_u32_e32 v8, 29, v8
	s_delay_alu instid0(VALU_DEP_2) | instskip(SKIP_1) | instid1(VALU_DEP_2)
	v_lshlrev_b32_e32 v9, v9, v5
	v_bfe_u32 v5, v5, 3, 4
	v_and_b32_e32 v9, 7, v9
	s_delay_alu instid0(VALU_DEP_2) | instskip(SKIP_1) | instid1(VALU_DEP_1)
	v_cmp_eq_u32_e32 vcc_lo, 0, v5
	v_dual_cndmask_b32 v5, v5, v8 :: v_dual_lshlrev_b32 v6, 24, v6
	v_dual_cndmask_b32 v7, v7, v9 :: v_dual_and_b32 v6, 0x80000000, v6
	s_delay_alu instid0(VALU_DEP_2) | instskip(NEXT) | instid1(VALU_DEP_2)
	v_lshl_add_u32 v5, v5, 23, 0x3b800000
	v_lshlrev_b32_e32 v7, 20, v7
	s_delay_alu instid0(VALU_DEP_1) | instskip(NEXT) | instid1(VALU_DEP_1)
	v_or3_b32 v5, v6, v5, v7
	v_cvt_f16_f32_e32 v5, v5
.LBB216_558:
	s_or_b32 exec_lo, exec_lo, s18
.LBB216_559:
	s_mov_b32 s0, -1
.LBB216_560:
	s_mov_b32 s18, 0
.LBB216_561:
	s_delay_alu instid0(SALU_CYCLE_1)
	s_and_b32 vcc_lo, exec_lo, s18
	s_cbranch_vccz .LBB216_596
; %bb.562:
	v_cmp_lt_i16_e32 vcc_lo, 22, v4
	s_cbranch_vccz .LBB216_572
; %bb.563:
	v_cmp_gt_i16_e32 vcc_lo, 24, v4
	s_cbranch_vccnz .LBB216_575
; %bb.564:
	v_cmp_lt_i16_e32 vcc_lo, 24, v4
	s_cbranch_vccz .LBB216_576
; %bb.565:
	global_load_u8 v6, v[0:1], off
	s_mov_b32 s0, 0
	s_mov_b32 s19, exec_lo
                                        ; implicit-def: $sgpr18
	s_waitcnt vmcnt(0)
	v_cmpx_lt_i16_e32 0x7f, v6
	s_xor_b32 s19, exec_lo, s19
	s_cbranch_execz .LBB216_588
; %bb.566:
	s_mov_b32 s0, -1
	s_mov_b32 s20, exec_lo
                                        ; implicit-def: $sgpr18
	v_cmpx_eq_u16_e32 0x80, v6
; %bb.567:
	s_movk_i32 s18, 0x7e00
	s_xor_b32 s0, exec_lo, -1
; %bb.568:
	s_or_b32 exec_lo, exec_lo, s20
	s_delay_alu instid0(SALU_CYCLE_1)
	s_and_b32 s0, s0, exec_lo
	s_or_saveexec_b32 s19, s19
	v_mov_b32_e32 v5, s18
	s_xor_b32 exec_lo, exec_lo, s19
	s_cbranch_execnz .LBB216_589
.LBB216_569:
	s_or_b32 exec_lo, exec_lo, s19
	s_and_saveexec_b32 s18, s0
	s_cbranch_execz .LBB216_571
.LBB216_570:
	v_and_b32_e32 v5, 0xffff, v6
	s_delay_alu instid0(VALU_DEP_1) | instskip(NEXT) | instid1(VALU_DEP_1)
	v_and_b32_e32 v7, 3, v5
	v_clz_i32_u32_e32 v8, v7
	s_delay_alu instid0(VALU_DEP_1) | instskip(NEXT) | instid1(VALU_DEP_1)
	v_min_u32_e32 v8, 32, v8
	v_subrev_nc_u32_e32 v9, 29, v8
	v_sub_nc_u32_e32 v8, 30, v8
	s_delay_alu instid0(VALU_DEP_2) | instskip(SKIP_1) | instid1(VALU_DEP_2)
	v_lshlrev_b32_e32 v9, v9, v5
	v_bfe_u32 v5, v5, 2, 5
	v_and_b32_e32 v9, 3, v9
	s_delay_alu instid0(VALU_DEP_2) | instskip(SKIP_1) | instid1(VALU_DEP_1)
	v_cmp_eq_u32_e32 vcc_lo, 0, v5
	v_dual_cndmask_b32 v5, v5, v8 :: v_dual_lshlrev_b32 v6, 24, v6
	v_dual_cndmask_b32 v7, v7, v9 :: v_dual_and_b32 v6, 0x80000000, v6
	s_delay_alu instid0(VALU_DEP_2) | instskip(NEXT) | instid1(VALU_DEP_2)
	v_lshl_add_u32 v5, v5, 23, 0x37800000
	v_lshlrev_b32_e32 v7, 21, v7
	s_delay_alu instid0(VALU_DEP_1) | instskip(NEXT) | instid1(VALU_DEP_1)
	v_or3_b32 v5, v6, v5, v7
	v_cvt_f16_f32_e32 v5, v5
.LBB216_571:
	s_or_b32 exec_lo, exec_lo, s18
	s_mov_b32 s0, 0
	s_branch .LBB216_577
.LBB216_572:
	s_mov_b32 s18, -1
                                        ; implicit-def: $vgpr5
	s_branch .LBB216_583
.LBB216_573:
	s_or_saveexec_b32 s19, s19
	v_mov_b32_e32 v5, s18
	s_xor_b32 exec_lo, exec_lo, s19
	s_cbranch_execz .LBB216_556
.LBB216_574:
	v_cmp_ne_u16_e32 vcc_lo, 0, v6
	v_mov_b32_e32 v5, v6
	s_and_not1_b32 s0, s0, exec_lo
	s_and_b32 s18, vcc_lo, exec_lo
	s_delay_alu instid0(SALU_CYCLE_1)
	s_or_b32 s0, s0, s18
	s_or_b32 exec_lo, exec_lo, s19
	s_and_saveexec_b32 s18, s0
	s_cbranch_execnz .LBB216_557
	s_branch .LBB216_558
.LBB216_575:
	s_mov_b32 s0, -1
                                        ; implicit-def: $vgpr5
	s_branch .LBB216_580
.LBB216_576:
	s_mov_b32 s0, -1
                                        ; implicit-def: $vgpr5
.LBB216_577:
	s_delay_alu instid0(SALU_CYCLE_1)
	s_and_b32 vcc_lo, exec_lo, s0
	s_cbranch_vccz .LBB216_579
; %bb.578:
	global_load_u8 v5, v[0:1], off
	s_waitcnt vmcnt(0)
	v_lshlrev_b32_e32 v5, 24, v5
	s_delay_alu instid0(VALU_DEP_1) | instskip(NEXT) | instid1(VALU_DEP_1)
	v_and_b32_e32 v6, 0x7f000000, v5
	v_clz_i32_u32_e32 v7, v6
	v_add_nc_u32_e32 v9, 0x1000000, v6
	v_cmp_ne_u32_e32 vcc_lo, 0, v6
	s_delay_alu instid0(VALU_DEP_3) | instskip(NEXT) | instid1(VALU_DEP_1)
	v_min_u32_e32 v7, 32, v7
	v_sub_nc_u32_e64 v7, v7, 4 clamp
	s_delay_alu instid0(VALU_DEP_1) | instskip(SKIP_1) | instid1(VALU_DEP_2)
	v_lshlrev_b32_e32 v8, v7, v6
	v_lshlrev_b32_e32 v7, 23, v7
	v_lshrrev_b32_e32 v8, 4, v8
	s_delay_alu instid0(VALU_DEP_1) | instskip(SKIP_1) | instid1(VALU_DEP_2)
	v_sub_nc_u32_e32 v7, v8, v7
	v_ashrrev_i32_e32 v8, 8, v9
	v_add_nc_u32_e32 v7, 0x3c000000, v7
	s_delay_alu instid0(VALU_DEP_1) | instskip(NEXT) | instid1(VALU_DEP_1)
	v_and_or_b32 v7, 0x7f800000, v8, v7
	v_cndmask_b32_e32 v6, 0, v7, vcc_lo
	s_delay_alu instid0(VALU_DEP_1) | instskip(NEXT) | instid1(VALU_DEP_1)
	v_and_or_b32 v5, 0x80000000, v5, v6
	v_cvt_f16_f32_e32 v5, v5
.LBB216_579:
	s_mov_b32 s0, 0
.LBB216_580:
	s_delay_alu instid0(SALU_CYCLE_1)
	s_and_not1_b32 vcc_lo, exec_lo, s0
	s_cbranch_vccnz .LBB216_582
; %bb.581:
	global_load_u8 v5, v[0:1], off
	s_waitcnt vmcnt(0)
	v_lshlrev_b32_e32 v6, 25, v5
	v_lshlrev_b16 v5, 8, v5
	s_delay_alu instid0(VALU_DEP_2) | instskip(NEXT) | instid1(VALU_DEP_2)
	v_lshrrev_b32_e32 v7, 4, v6
	v_and_or_b32 v8, 0x7f00, v5, 0.5
	v_bfe_i32 v5, v5, 0, 16
	s_delay_alu instid0(VALU_DEP_3) | instskip(NEXT) | instid1(VALU_DEP_1)
	v_or_b32_e32 v7, 0x70000000, v7
	v_dual_add_f32 v8, -0.5, v8 :: v_dual_mul_f32 v7, 0x7800000, v7
	v_cmp_gt_u32_e32 vcc_lo, 0x8000000, v6
	s_delay_alu instid0(VALU_DEP_2) | instskip(NEXT) | instid1(VALU_DEP_1)
	v_cndmask_b32_e32 v6, v7, v8, vcc_lo
	v_and_or_b32 v5, 0x80000000, v5, v6
	s_delay_alu instid0(VALU_DEP_1)
	v_cvt_f16_f32_e32 v5, v5
.LBB216_582:
	s_mov_b32 s18, 0
	s_mov_b32 s0, -1
.LBB216_583:
	s_and_not1_b32 vcc_lo, exec_lo, s18
	s_cbranch_vccnz .LBB216_596
; %bb.584:
	v_cmp_lt_i16_e32 vcc_lo, 14, v4
	s_cbranch_vccz .LBB216_587
; %bb.585:
	v_cmp_eq_u16_e32 vcc_lo, 15, v4
	s_cbranch_vccz .LBB216_590
; %bb.586:
	global_load_u16 v5, v[0:1], off
	s_mov_b32 s0, -1
	s_mov_b32 s17, 0
	s_waitcnt vmcnt(0)
	v_lshlrev_b32_e32 v5, 16, v5
	s_delay_alu instid0(VALU_DEP_1)
	v_cvt_f16_f32_e32 v5, v5
	s_branch .LBB216_591
.LBB216_587:
	s_mov_b32 s18, -1
                                        ; implicit-def: $vgpr5
	s_branch .LBB216_592
.LBB216_588:
	s_or_saveexec_b32 s19, s19
	v_mov_b32_e32 v5, s18
	s_xor_b32 exec_lo, exec_lo, s19
	s_cbranch_execz .LBB216_569
.LBB216_589:
	v_cmp_ne_u16_e32 vcc_lo, 0, v6
	v_mov_b32_e32 v5, v6
	s_and_not1_b32 s0, s0, exec_lo
	s_and_b32 s18, vcc_lo, exec_lo
	s_delay_alu instid0(SALU_CYCLE_1)
	s_or_b32 s0, s0, s18
	s_or_b32 exec_lo, exec_lo, s19
	s_and_saveexec_b32 s18, s0
	s_cbranch_execnz .LBB216_570
	s_branch .LBB216_571
.LBB216_590:
	s_mov_b32 s17, -1
                                        ; implicit-def: $vgpr5
.LBB216_591:
	s_mov_b32 s18, 0
.LBB216_592:
	s_delay_alu instid0(SALU_CYCLE_1)
	s_and_b32 vcc_lo, exec_lo, s18
	s_cbranch_vccz .LBB216_596
; %bb.593:
	v_cmp_eq_u16_e32 vcc_lo, 11, v4
	s_cbranch_vccz .LBB216_595
; %bb.594:
	global_load_u8 v5, v[0:1], off
	s_mov_b32 s17, 0
	s_mov_b32 s0, -1
	s_waitcnt vmcnt(0)
	v_cmp_ne_u16_e32 vcc_lo, 0, v5
	v_cndmask_b32_e64 v5, 0, 0x3c00, vcc_lo
	s_branch .LBB216_596
.LBB216_595:
	s_mov_b32 s17, -1
                                        ; implicit-def: $vgpr5
.LBB216_596:
	s_mov_b32 s18, 0
.LBB216_597:
	s_delay_alu instid0(SALU_CYCLE_1)
	s_and_b32 vcc_lo, exec_lo, s18
	s_cbranch_vccz .LBB216_646
; %bb.598:
	v_cmp_gt_i16_e32 vcc_lo, 5, v4
	s_cbranch_vccnz .LBB216_603
; %bb.599:
	v_cmp_gt_i16_e32 vcc_lo, 8, v4
	s_cbranch_vccnz .LBB216_604
; %bb.600:
	v_cmp_gt_i16_e32 vcc_lo, 9, v4
	s_cbranch_vccnz .LBB216_605
; %bb.601:
	v_cmp_lt_i16_e32 vcc_lo, 9, v4
	s_cbranch_vccz .LBB216_606
; %bb.602:
	global_load_b64 v[5:6], v[0:1], off
	s_mov_b32 s0, 0
	s_waitcnt vmcnt(0)
	v_cvt_f32_f64_e32 v5, v[5:6]
	s_delay_alu instid0(VALU_DEP_1)
	v_cvt_f16_f32_e32 v5, v5
	s_branch .LBB216_607
.LBB216_603:
	s_mov_b32 s0, -1
                                        ; implicit-def: $vgpr5
	s_branch .LBB216_625
.LBB216_604:
	s_mov_b32 s0, -1
                                        ; implicit-def: $vgpr5
	s_branch .LBB216_613
.LBB216_605:
	s_mov_b32 s0, -1
                                        ; implicit-def: $vgpr5
	s_branch .LBB216_610
.LBB216_606:
	s_mov_b32 s0, -1
                                        ; implicit-def: $vgpr5
.LBB216_607:
	s_delay_alu instid0(SALU_CYCLE_1)
	s_and_not1_b32 vcc_lo, exec_lo, s0
	s_cbranch_vccnz .LBB216_609
; %bb.608:
	global_load_b32 v5, v[0:1], off
	s_waitcnt vmcnt(0)
	v_cvt_f16_f32_e32 v5, v5
.LBB216_609:
	s_mov_b32 s0, 0
.LBB216_610:
	s_delay_alu instid0(SALU_CYCLE_1)
	s_and_not1_b32 vcc_lo, exec_lo, s0
	s_cbranch_vccnz .LBB216_612
; %bb.611:
	global_load_b32 v5, v[0:1], off
.LBB216_612:
	s_mov_b32 s0, 0
.LBB216_613:
	s_delay_alu instid0(SALU_CYCLE_1)
	s_and_not1_b32 vcc_lo, exec_lo, s0
	s_cbranch_vccnz .LBB216_624
; %bb.614:
	v_cmp_gt_i16_e32 vcc_lo, 6, v4
	s_cbranch_vccnz .LBB216_617
; %bb.615:
	v_cmp_lt_i16_e32 vcc_lo, 6, v4
	s_cbranch_vccz .LBB216_618
; %bb.616:
	global_load_b64 v[5:6], v[0:1], off
	s_mov_b32 s0, 0
	s_waitcnt vmcnt(0)
	v_cvt_f32_f64_e32 v5, v[5:6]
	s_delay_alu instid0(VALU_DEP_1)
	v_cvt_f16_f32_e32 v5, v5
	s_branch .LBB216_619
.LBB216_617:
	s_mov_b32 s0, -1
                                        ; implicit-def: $vgpr5
	s_branch .LBB216_622
.LBB216_618:
	s_mov_b32 s0, -1
                                        ; implicit-def: $vgpr5
.LBB216_619:
	s_delay_alu instid0(SALU_CYCLE_1)
	s_and_not1_b32 vcc_lo, exec_lo, s0
	s_cbranch_vccnz .LBB216_621
; %bb.620:
	global_load_b32 v5, v[0:1], off
	s_waitcnt vmcnt(0)
	v_cvt_f16_f32_e32 v5, v5
.LBB216_621:
	s_mov_b32 s0, 0
.LBB216_622:
	s_delay_alu instid0(SALU_CYCLE_1)
	s_and_not1_b32 vcc_lo, exec_lo, s0
	s_cbranch_vccnz .LBB216_624
; %bb.623:
	global_load_u16 v5, v[0:1], off
.LBB216_624:
	s_mov_b32 s0, 0
.LBB216_625:
	s_delay_alu instid0(SALU_CYCLE_1)
	s_and_not1_b32 vcc_lo, exec_lo, s0
	s_cbranch_vccnz .LBB216_645
; %bb.626:
	v_cmp_gt_i16_e32 vcc_lo, 2, v4
	s_cbranch_vccnz .LBB216_630
; %bb.627:
	v_cmp_gt_i16_e32 vcc_lo, 3, v4
	s_cbranch_vccnz .LBB216_631
; %bb.628:
	v_cmp_lt_i16_e32 vcc_lo, 3, v4
	s_cbranch_vccz .LBB216_632
; %bb.629:
	global_load_b64 v[5:6], v[0:1], off
	s_mov_b32 s0, 0
	s_waitcnt vmcnt(0)
	v_xor_b32_e32 v7, v5, v6
	v_cls_i32_e32 v8, v6
	s_delay_alu instid0(VALU_DEP_2) | instskip(NEXT) | instid1(VALU_DEP_2)
	v_ashrrev_i32_e32 v7, 31, v7
	v_add_nc_u32_e32 v8, -1, v8
	s_delay_alu instid0(VALU_DEP_2) | instskip(NEXT) | instid1(VALU_DEP_1)
	v_add_nc_u32_e32 v7, 32, v7
	v_min_u32_e32 v7, v8, v7
	s_delay_alu instid0(VALU_DEP_1) | instskip(NEXT) | instid1(VALU_DEP_1)
	v_lshlrev_b64 v[5:6], v7, v[5:6]
	v_min_u32_e32 v5, 1, v5
	s_delay_alu instid0(VALU_DEP_1) | instskip(SKIP_1) | instid1(VALU_DEP_2)
	v_or_b32_e32 v5, v6, v5
	v_sub_nc_u32_e32 v6, 32, v7
	v_cvt_f32_i32_e32 v5, v5
	s_delay_alu instid0(VALU_DEP_1) | instskip(NEXT) | instid1(VALU_DEP_1)
	v_ldexp_f32 v5, v5, v6
	v_cvt_f16_f32_e32 v5, v5
	s_branch .LBB216_633
.LBB216_630:
	s_mov_b32 s0, -1
                                        ; implicit-def: $vgpr5
	s_branch .LBB216_639
.LBB216_631:
	s_mov_b32 s0, -1
                                        ; implicit-def: $vgpr5
	s_branch .LBB216_636
.LBB216_632:
	s_mov_b32 s0, -1
                                        ; implicit-def: $vgpr5
.LBB216_633:
	s_delay_alu instid0(SALU_CYCLE_1)
	s_and_not1_b32 vcc_lo, exec_lo, s0
	s_cbranch_vccnz .LBB216_635
; %bb.634:
	global_load_b32 v5, v[0:1], off
	s_waitcnt vmcnt(0)
	v_cvt_f32_i32_e32 v5, v5
	s_delay_alu instid0(VALU_DEP_1)
	v_cvt_f16_f32_e32 v5, v5
.LBB216_635:
	s_mov_b32 s0, 0
.LBB216_636:
	s_delay_alu instid0(SALU_CYCLE_1)
	s_and_not1_b32 vcc_lo, exec_lo, s0
	s_cbranch_vccnz .LBB216_638
; %bb.637:
	global_load_u16 v5, v[0:1], off
	s_waitcnt vmcnt(0)
	v_cvt_f16_i16_e32 v5, v5
.LBB216_638:
	s_mov_b32 s0, 0
.LBB216_639:
	s_delay_alu instid0(SALU_CYCLE_1)
	s_and_not1_b32 vcc_lo, exec_lo, s0
	s_cbranch_vccnz .LBB216_645
; %bb.640:
	v_cmp_lt_i16_e32 vcc_lo, 0, v4
	s_mov_b32 s0, 0
	s_cbranch_vccz .LBB216_642
; %bb.641:
	global_load_i8 v5, v[0:1], off
	s_waitcnt vmcnt(0)
	v_cvt_f16_i16_e32 v5, v5
	s_branch .LBB216_643
.LBB216_642:
	s_mov_b32 s0, -1
                                        ; implicit-def: $vgpr5
.LBB216_643:
	s_delay_alu instid0(SALU_CYCLE_1)
	s_and_not1_b32 vcc_lo, exec_lo, s0
	s_cbranch_vccnz .LBB216_645
; %bb.644:
	global_load_u8 v0, v[0:1], off
	s_waitcnt vmcnt(0)
	v_cvt_f16_u16_e32 v5, v0
.LBB216_645:
	s_mov_b32 s0, -1
.LBB216_646:
	s_delay_alu instid0(SALU_CYCLE_1)
	s_and_not1_b32 vcc_lo, exec_lo, s0
	s_cbranch_vccnz .LBB216_654
; %bb.647:
	s_waitcnt vmcnt(0)
	v_cvt_f32_f16_e32 v0, v5
	s_delay_alu instid0(VALU_DEP_1) | instskip(NEXT) | instid1(VALU_DEP_1)
	v_cvt_f64_f32_e32 v[0:1], v0
	v_rsq_f64_e32 v[5:6], v[0:1]
	s_waitcnt_depctr 0xfff
	v_mul_f64 v[0:1], v[5:6], -v[0:1]
	v_cmp_class_f64_e64 vcc_lo, v[5:6], 0x180
	s_delay_alu instid0(VALU_DEP_2) | instskip(NEXT) | instid1(VALU_DEP_1)
	v_fma_f64 v[0:1], v[0:1], v[5:6], 1.0
	v_mul_f64 v[7:8], v[5:6], v[0:1]
	v_fma_f64 v[0:1], 0x3fd80000, v[0:1], 0.5
	s_delay_alu instid0(VALU_DEP_1) | instskip(NEXT) | instid1(VALU_DEP_1)
	v_fma_f64 v[0:1], v[7:8], v[0:1], v[5:6]
	v_dual_cndmask_b32 v1, v6, v1 :: v_dual_cndmask_b32 v0, v5, v0
	v_and_b32_e32 v6, 0xff, v2
	s_delay_alu instid0(VALU_DEP_2) | instskip(SKIP_1) | instid1(VALU_DEP_3)
	v_cvt_f32_f64_e32 v5, v[0:1]
	v_mul_lo_u32 v0, v3, s2
	v_cmp_gt_i16_e32 vcc_lo, 11, v6
	s_and_b32 vcc_lo, exec_lo, vcc_lo
	s_delay_alu instid0(VALU_DEP_2) | instskip(SKIP_1) | instid1(VALU_DEP_1)
	v_ashrrev_i32_e32 v1, 31, v0
	v_add_co_u32 v0, s0, s4, v0
	v_add_co_ci_u32_e64 v1, s0, s5, v1, s0
	v_cvt_f16_f32_e32 v5, v5
	s_cbranch_vccnz .LBB216_655
; %bb.648:
	v_cmp_lt_i16_e32 vcc_lo, 25, v6
	s_cbranch_vccz .LBB216_656
; %bb.649:
	v_cmp_lt_i16_e32 vcc_lo, 28, v6
	s_cbranch_vccz .LBB216_657
	;; [unrolled: 3-line block ×4, first 2 shown]
; %bb.652:
	v_cmp_eq_u16_e32 vcc_lo, 46, v6
	s_mov_b32 s19, 0
	s_mov_b32 s0, -1
	s_mov_b32 s18, 0
	s_cbranch_vccz .LBB216_660
; %bb.653:
	v_cvt_f32_f16_e32 v7, v5
	v_cmp_o_f16_e32 vcc_lo, v5, v5
	s_mov_b32 s18, -1
	s_mov_b32 s0, 0
	s_delay_alu instid0(VALU_DEP_2) | instskip(NEXT) | instid1(VALU_DEP_1)
	v_bfe_u32 v8, v7, 16, 1
	v_add3_u32 v7, v7, v8, 0x7fff
	s_delay_alu instid0(VALU_DEP_1) | instskip(NEXT) | instid1(VALU_DEP_1)
	v_lshrrev_b32_e32 v7, 16, v7
	v_cndmask_b32_e32 v7, 0x7fc0, v7, vcc_lo
	global_store_b32 v[0:1], v7, off
	s_branch .LBB216_660
.LBB216_654:
	s_mov_b32 s19, 0
	s_mov_b32 s0, s14
	s_branch .LBB216_771
.LBB216_655:
	s_mov_b32 s19, -1
	s_mov_b32 s18, 0
	s_mov_b32 s0, s14
	s_branch .LBB216_729
.LBB216_656:
	s_mov_b32 s19, -1
	s_mov_b32 s18, 0
	s_mov_b32 s0, s14
	s_branch .LBB216_687
.LBB216_657:
	s_mov_b32 s19, -1
	s_mov_b32 s18, 0
	s_mov_b32 s0, s14
	s_branch .LBB216_670
.LBB216_658:
	s_mov_b32 s19, -1
	s_mov_b32 s18, 0
	s_mov_b32 s0, s14
	s_branch .LBB216_666
.LBB216_659:
	s_mov_b32 s19, -1
	s_mov_b32 s18, 0
	s_mov_b32 s0, s14
.LBB216_660:
	s_and_b32 vcc_lo, exec_lo, s19
	s_cbranch_vccz .LBB216_665
; %bb.661:
	v_cmp_eq_u16_e32 vcc_lo, 44, v6
	s_mov_b32 s0, -1
	s_cbranch_vccz .LBB216_665
; %bb.662:
	v_cvt_f32_f16_e32 v7, v5
	v_mov_b32_e32 v8, 0xff
	s_mov_b32 s18, exec_lo
	s_delay_alu instid0(VALU_DEP_2) | instskip(NEXT) | instid1(VALU_DEP_1)
	v_bfe_u32 v9, v7, 23, 8
	v_cmpx_ne_u32_e32 0xff, v9
; %bb.663:
	v_and_b32_e32 v8, 0x400000, v7
	v_and_or_b32 v9, 0x3fffff, v7, v9
	v_lshrrev_b32_e32 v7, 23, v7
	s_delay_alu instid0(VALU_DEP_3) | instskip(NEXT) | instid1(VALU_DEP_3)
	v_cmp_ne_u32_e32 vcc_lo, 0, v8
	v_cmp_ne_u32_e64 s0, 0, v9
	s_delay_alu instid0(VALU_DEP_1) | instskip(NEXT) | instid1(SALU_CYCLE_1)
	s_and_b32 s0, vcc_lo, s0
	v_cndmask_b32_e64 v8, 0, 1, s0
	s_delay_alu instid0(VALU_DEP_1)
	v_add_nc_u32_e32 v8, v7, v8
; %bb.664:
	s_or_b32 exec_lo, exec_lo, s18
	s_mov_b32 s18, -1
	s_mov_b32 s0, 0
	global_store_b8 v[0:1], v8, off
.LBB216_665:
	s_mov_b32 s19, 0
.LBB216_666:
	s_delay_alu instid0(SALU_CYCLE_1)
	s_and_b32 vcc_lo, exec_lo, s19
	s_cbranch_vccz .LBB216_669
; %bb.667:
	v_cmp_eq_u16_e32 vcc_lo, 29, v6
	s_mov_b32 s0, -1
	s_cbranch_vccz .LBB216_669
; %bb.668:
	v_cvt_f32_f16_e32 v7, v5
	v_mov_b32_e32 v8, 0
	s_mov_b32 s0, 0
	s_mov_b32 s18, -1
	s_mov_b32 s19, 0
	v_cvt_u32_f32_e32 v7, v7
	global_store_b64 v[0:1], v[7:8], off
	s_branch .LBB216_670
.LBB216_669:
	s_mov_b32 s19, 0
.LBB216_670:
	s_delay_alu instid0(SALU_CYCLE_1)
	s_and_b32 vcc_lo, exec_lo, s19
	s_cbranch_vccz .LBB216_686
; %bb.671:
	v_cmp_gt_i16_e32 vcc_lo, 27, v6
	s_mov_b32 s18, -1
	s_cbranch_vccnz .LBB216_677
; %bb.672:
	v_cmp_lt_i16_e32 vcc_lo, 27, v6
	s_cbranch_vccz .LBB216_674
; %bb.673:
	v_cvt_f32_f16_e32 v7, v5
	s_mov_b32 s18, 0
	s_delay_alu instid0(VALU_DEP_1)
	v_cvt_u32_f32_e32 v7, v7
	global_store_b32 v[0:1], v7, off
.LBB216_674:
	s_and_not1_b32 vcc_lo, exec_lo, s18
	s_cbranch_vccnz .LBB216_676
; %bb.675:
	v_cvt_u16_f16_e32 v7, v5
	global_store_b16 v[0:1], v7, off
.LBB216_676:
	s_mov_b32 s18, 0
.LBB216_677:
	s_delay_alu instid0(SALU_CYCLE_1)
	s_and_not1_b32 vcc_lo, exec_lo, s18
	s_cbranch_vccnz .LBB216_685
; %bb.678:
	v_cvt_f32_f16_e32 v7, v5
	v_mov_b32_e32 v9, 0x80
	s_mov_b32 s18, exec_lo
	s_delay_alu instid0(VALU_DEP_2) | instskip(NEXT) | instid1(VALU_DEP_1)
	v_and_b32_e32 v8, 0x7fffffff, v7
	v_cmpx_gt_u32_e32 0x43800000, v8
	s_cbranch_execz .LBB216_684
; %bb.679:
	v_cmp_lt_u32_e32 vcc_lo, 0x3bffffff, v8
	s_mov_b32 s19, 0
                                        ; implicit-def: $vgpr8
	s_and_saveexec_b32 s20, vcc_lo
	s_delay_alu instid0(SALU_CYCLE_1)
	s_xor_b32 s20, exec_lo, s20
	s_cbranch_execz .LBB216_786
; %bb.680:
	v_bfe_u32 v8, v7, 20, 1
	s_mov_b32 s19, exec_lo
	s_delay_alu instid0(VALU_DEP_1) | instskip(NEXT) | instid1(VALU_DEP_1)
	v_add3_u32 v8, v7, v8, 0x487ffff
	v_lshrrev_b32_e32 v8, 20, v8
	s_or_saveexec_b32 s20, s20
                                        ; implicit-def: $sgpr21
	s_delay_alu instid0(SALU_CYCLE_1)
	s_xor_b32 exec_lo, exec_lo, s20
	s_cbranch_execnz .LBB216_787
.LBB216_681:
	s_or_b32 exec_lo, exec_lo, s20
	v_mov_b32_e32 v9, s21
	s_and_saveexec_b32 s20, s19
.LBB216_682:
	v_lshrrev_b32_e32 v7, 24, v7
	s_delay_alu instid0(VALU_DEP_1)
	v_and_or_b32 v9, 0x80, v7, v8
.LBB216_683:
	s_or_b32 exec_lo, exec_lo, s20
.LBB216_684:
	s_delay_alu instid0(SALU_CYCLE_1)
	s_or_b32 exec_lo, exec_lo, s18
	global_store_b8 v[0:1], v9, off
.LBB216_685:
	s_mov_b32 s18, -1
.LBB216_686:
	s_mov_b32 s19, 0
.LBB216_687:
	s_delay_alu instid0(SALU_CYCLE_1)
	s_and_b32 vcc_lo, exec_lo, s19
	s_cbranch_vccz .LBB216_728
; %bb.688:
	v_cmp_lt_i16_e32 vcc_lo, 22, v6
	s_mov_b32 s19, -1
	s_cbranch_vccz .LBB216_720
; %bb.689:
	v_cmp_gt_i16_e32 vcc_lo, 24, v6
	s_mov_b32 s18, -1
	s_cbranch_vccnz .LBB216_709
; %bb.690:
	v_cmp_lt_i16_e32 vcc_lo, 24, v6
	s_cbranch_vccz .LBB216_698
; %bb.691:
	v_cvt_f32_f16_e32 v7, v5
	v_mov_b32_e32 v9, 0x80
	s_mov_b32 s18, exec_lo
	s_delay_alu instid0(VALU_DEP_2) | instskip(NEXT) | instid1(VALU_DEP_1)
	v_and_b32_e32 v8, 0x7fffffff, v7
	v_cmpx_gt_u32_e32 0x47800000, v8
	s_cbranch_execz .LBB216_697
; %bb.692:
	v_cmp_lt_u32_e32 vcc_lo, 0x37ffffff, v8
	s_mov_b32 s19, 0
                                        ; implicit-def: $vgpr8
	s_and_saveexec_b32 s20, vcc_lo
	s_delay_alu instid0(SALU_CYCLE_1)
	s_xor_b32 s20, exec_lo, s20
	s_cbranch_execz .LBB216_789
; %bb.693:
	v_bfe_u32 v8, v7, 21, 1
	s_mov_b32 s19, exec_lo
	s_delay_alu instid0(VALU_DEP_1) | instskip(NEXT) | instid1(VALU_DEP_1)
	v_add3_u32 v8, v7, v8, 0x88fffff
	v_lshrrev_b32_e32 v8, 21, v8
	s_or_saveexec_b32 s20, s20
                                        ; implicit-def: $sgpr21
	s_delay_alu instid0(SALU_CYCLE_1)
	s_xor_b32 exec_lo, exec_lo, s20
	s_cbranch_execnz .LBB216_790
.LBB216_694:
	s_or_b32 exec_lo, exec_lo, s20
	v_mov_b32_e32 v9, s21
	s_and_saveexec_b32 s20, s19
.LBB216_695:
	v_lshrrev_b32_e32 v7, 24, v7
	s_delay_alu instid0(VALU_DEP_1)
	v_and_or_b32 v9, 0x80, v7, v8
.LBB216_696:
	s_or_b32 exec_lo, exec_lo, s20
.LBB216_697:
	s_delay_alu instid0(SALU_CYCLE_1)
	s_or_b32 exec_lo, exec_lo, s18
	s_mov_b32 s18, 0
	global_store_b8 v[0:1], v9, off
.LBB216_698:
	s_and_b32 vcc_lo, exec_lo, s18
	s_cbranch_vccz .LBB216_708
; %bb.699:
	v_cvt_f32_f16_e32 v7, v5
	s_mov_b32 s18, exec_lo
                                        ; implicit-def: $vgpr8
	s_delay_alu instid0(VALU_DEP_1) | instskip(NEXT) | instid1(VALU_DEP_1)
	v_and_b32_e32 v9, 0x7fffffff, v7
	v_cmpx_gt_u32_e32 0x43f00000, v9
	s_xor_b32 s18, exec_lo, s18
	s_cbranch_execz .LBB216_705
; %bb.700:
	s_mov_b32 s19, exec_lo
                                        ; implicit-def: $vgpr8
	v_cmpx_lt_u32_e32 0x3c7fffff, v9
	s_xor_b32 s19, exec_lo, s19
; %bb.701:
	v_bfe_u32 v8, v7, 20, 1
	s_delay_alu instid0(VALU_DEP_1) | instskip(NEXT) | instid1(VALU_DEP_1)
	v_add3_u32 v8, v7, v8, 0x407ffff
	v_and_b32_e32 v9, 0xff00000, v8
	v_lshrrev_b32_e32 v8, 20, v8
	s_delay_alu instid0(VALU_DEP_2) | instskip(NEXT) | instid1(VALU_DEP_2)
	v_cmp_ne_u32_e32 vcc_lo, 0x7f00000, v9
	v_cndmask_b32_e32 v8, 0x7e, v8, vcc_lo
; %bb.702:
	s_and_not1_saveexec_b32 s19, s19
; %bb.703:
	v_add_f32_e64 v8, 0x46800000, |v7|
; %bb.704:
	s_or_b32 exec_lo, exec_lo, s19
                                        ; implicit-def: $vgpr9
.LBB216_705:
	s_and_not1_saveexec_b32 s18, s18
; %bb.706:
	v_mov_b32_e32 v8, 0x7f
	v_cmp_lt_u32_e32 vcc_lo, 0x7f800000, v9
	s_delay_alu instid0(VALU_DEP_2)
	v_cndmask_b32_e32 v8, 0x7e, v8, vcc_lo
; %bb.707:
	s_or_b32 exec_lo, exec_lo, s18
	v_lshrrev_b32_e32 v7, 24, v7
	s_delay_alu instid0(VALU_DEP_1)
	v_and_or_b32 v7, 0x80, v7, v8
	global_store_b8 v[0:1], v7, off
.LBB216_708:
	s_mov_b32 s18, 0
.LBB216_709:
	s_delay_alu instid0(SALU_CYCLE_1)
	s_and_not1_b32 vcc_lo, exec_lo, s18
	s_cbranch_vccnz .LBB216_719
; %bb.710:
	v_cvt_f32_f16_e32 v7, v5
	s_mov_b32 s18, exec_lo
                                        ; implicit-def: $vgpr8
	s_delay_alu instid0(VALU_DEP_1) | instskip(NEXT) | instid1(VALU_DEP_1)
	v_and_b32_e32 v9, 0x7fffffff, v7
	v_cmpx_gt_u32_e32 0x47800000, v9
	s_xor_b32 s18, exec_lo, s18
	s_cbranch_execz .LBB216_716
; %bb.711:
	s_mov_b32 s19, exec_lo
                                        ; implicit-def: $vgpr8
	v_cmpx_lt_u32_e32 0x387fffff, v9
	s_xor_b32 s19, exec_lo, s19
; %bb.712:
	v_bfe_u32 v8, v7, 21, 1
	s_delay_alu instid0(VALU_DEP_1) | instskip(NEXT) | instid1(VALU_DEP_1)
	v_add3_u32 v8, v7, v8, 0x80fffff
	v_lshrrev_b32_e32 v8, 21, v8
; %bb.713:
	s_and_not1_saveexec_b32 s19, s19
; %bb.714:
	v_add_f32_e64 v8, 0x43000000, |v7|
; %bb.715:
	s_or_b32 exec_lo, exec_lo, s19
                                        ; implicit-def: $vgpr9
.LBB216_716:
	s_and_not1_saveexec_b32 s18, s18
; %bb.717:
	v_mov_b32_e32 v8, 0x7f
	v_cmp_lt_u32_e32 vcc_lo, 0x7f800000, v9
	s_delay_alu instid0(VALU_DEP_2)
	v_cndmask_b32_e32 v8, 0x7c, v8, vcc_lo
; %bb.718:
	s_or_b32 exec_lo, exec_lo, s18
	v_lshrrev_b32_e32 v7, 24, v7
	s_delay_alu instid0(VALU_DEP_1)
	v_and_or_b32 v7, 0x80, v7, v8
	global_store_b8 v[0:1], v7, off
.LBB216_719:
	s_mov_b32 s19, 0
	s_mov_b32 s18, -1
.LBB216_720:
	s_and_not1_b32 vcc_lo, exec_lo, s19
	s_cbranch_vccnz .LBB216_728
; %bb.721:
	v_cmp_lt_i16_e32 vcc_lo, 14, v6
	s_mov_b32 s19, -1
	s_cbranch_vccz .LBB216_725
; %bb.722:
	v_cmp_eq_u16_e32 vcc_lo, 15, v6
	s_mov_b32 s0, -1
	s_cbranch_vccz .LBB216_724
; %bb.723:
	v_cvt_f32_f16_e32 v7, v5
	v_cmp_o_f16_e32 vcc_lo, v5, v5
	s_mov_b32 s18, -1
	s_mov_b32 s0, 0
	s_delay_alu instid0(VALU_DEP_2) | instskip(NEXT) | instid1(VALU_DEP_1)
	v_bfe_u32 v8, v7, 16, 1
	v_add3_u32 v7, v7, v8, 0x7fff
	s_delay_alu instid0(VALU_DEP_1) | instskip(NEXT) | instid1(VALU_DEP_1)
	v_lshrrev_b32_e32 v7, 16, v7
	v_cndmask_b32_e32 v7, 0x7fc0, v7, vcc_lo
	global_store_b16 v[0:1], v7, off
.LBB216_724:
	s_mov_b32 s19, 0
.LBB216_725:
	s_delay_alu instid0(SALU_CYCLE_1)
	s_and_b32 vcc_lo, exec_lo, s19
	s_cbranch_vccz .LBB216_728
; %bb.726:
	v_cmp_eq_u16_e32 vcc_lo, 11, v6
	s_mov_b32 s0, -1
	s_cbranch_vccz .LBB216_728
; %bb.727:
	v_cmp_neq_f16_e32 vcc_lo, 0, v5
	s_mov_b32 s0, 0
	s_mov_b32 s18, -1
	v_cndmask_b32_e64 v7, 0, 1, vcc_lo
	global_store_b8 v[0:1], v7, off
.LBB216_728:
	s_mov_b32 s19, 0
.LBB216_729:
	s_delay_alu instid0(SALU_CYCLE_1)
	s_and_b32 vcc_lo, exec_lo, s19
	s_cbranch_vccz .LBB216_768
; %bb.730:
	v_cmp_gt_i16_e32 vcc_lo, 5, v6
	s_mov_b32 s18, -1
	s_cbranch_vccnz .LBB216_751
; %bb.731:
	v_cmp_gt_i16_e32 vcc_lo, 8, v6
	s_cbranch_vccnz .LBB216_741
; %bb.732:
	v_cmp_gt_i16_e32 vcc_lo, 9, v6
	s_cbranch_vccnz .LBB216_738
; %bb.733:
	v_cmp_lt_i16_e32 vcc_lo, 9, v6
	s_cbranch_vccz .LBB216_735
; %bb.734:
	v_cvt_f32_f16_e32 v7, v5
	v_mov_b32_e32 v9, 0
	s_mov_b32 s18, 0
	s_delay_alu instid0(VALU_DEP_2) | instskip(NEXT) | instid1(VALU_DEP_2)
	v_cvt_f64_f32_e32 v[7:8], v7
	v_mov_b32_e32 v10, v9
	global_store_b128 v[0:1], v[7:10], off
.LBB216_735:
	s_and_not1_b32 vcc_lo, exec_lo, s18
	s_cbranch_vccnz .LBB216_737
; %bb.736:
	v_cvt_f32_f16_e32 v7, v5
	v_mov_b32_e32 v8, 0
	global_store_b64 v[0:1], v[7:8], off
.LBB216_737:
	s_mov_b32 s18, 0
.LBB216_738:
	s_delay_alu instid0(SALU_CYCLE_1)
	s_and_not1_b32 vcc_lo, exec_lo, s18
	s_cbranch_vccnz .LBB216_740
; %bb.739:
	v_and_b32_e32 v7, 0xffff, v5
	global_store_b32 v[0:1], v7, off
.LBB216_740:
	s_mov_b32 s18, 0
.LBB216_741:
	s_delay_alu instid0(SALU_CYCLE_1)
	s_and_not1_b32 vcc_lo, exec_lo, s18
	s_cbranch_vccnz .LBB216_750
; %bb.742:
	v_cmp_gt_i16_e32 vcc_lo, 6, v6
	s_mov_b32 s18, -1
	s_cbranch_vccnz .LBB216_748
; %bb.743:
	v_cmp_lt_i16_e32 vcc_lo, 6, v6
	s_cbranch_vccz .LBB216_745
; %bb.744:
	v_cvt_f32_f16_e32 v7, v5
	s_mov_b32 s18, 0
	s_delay_alu instid0(VALU_DEP_1)
	v_cvt_f64_f32_e32 v[7:8], v7
	global_store_b64 v[0:1], v[7:8], off
.LBB216_745:
	s_and_not1_b32 vcc_lo, exec_lo, s18
	s_cbranch_vccnz .LBB216_747
; %bb.746:
	v_cvt_f32_f16_e32 v7, v5
	global_store_b32 v[0:1], v7, off
.LBB216_747:
	s_mov_b32 s18, 0
.LBB216_748:
	s_delay_alu instid0(SALU_CYCLE_1)
	s_and_not1_b32 vcc_lo, exec_lo, s18
	s_cbranch_vccnz .LBB216_750
; %bb.749:
	global_store_b16 v[0:1], v5, off
.LBB216_750:
	s_mov_b32 s18, 0
.LBB216_751:
	s_delay_alu instid0(SALU_CYCLE_1)
	s_and_not1_b32 vcc_lo, exec_lo, s18
	s_cbranch_vccnz .LBB216_767
; %bb.752:
	v_cmp_gt_i16_e32 vcc_lo, 2, v6
	s_mov_b32 s18, -1
	s_cbranch_vccnz .LBB216_762
; %bb.753:
	v_cmp_gt_i16_e32 vcc_lo, 3, v6
	s_cbranch_vccnz .LBB216_759
; %bb.754:
	v_cmp_lt_i16_e32 vcc_lo, 3, v6
	s_cbranch_vccz .LBB216_756
; %bb.755:
	v_cvt_f32_f16_e32 v7, v5
	s_mov_b32 s18, 0
	s_delay_alu instid0(VALU_DEP_1) | instskip(NEXT) | instid1(VALU_DEP_1)
	v_cvt_i32_f32_e32 v7, v7
	v_ashrrev_i32_e32 v8, 31, v7
	global_store_b64 v[0:1], v[7:8], off
.LBB216_756:
	s_and_not1_b32 vcc_lo, exec_lo, s18
	s_cbranch_vccnz .LBB216_758
; %bb.757:
	v_cvt_f32_f16_e32 v7, v5
	s_delay_alu instid0(VALU_DEP_1)
	v_cvt_i32_f32_e32 v7, v7
	global_store_b32 v[0:1], v7, off
.LBB216_758:
	s_mov_b32 s18, 0
.LBB216_759:
	s_delay_alu instid0(SALU_CYCLE_1)
	s_and_not1_b32 vcc_lo, exec_lo, s18
	s_cbranch_vccnz .LBB216_761
; %bb.760:
	v_cvt_i16_f16_e32 v7, v5
	global_store_b16 v[0:1], v7, off
.LBB216_761:
	s_mov_b32 s18, 0
.LBB216_762:
	s_delay_alu instid0(SALU_CYCLE_1)
	s_and_not1_b32 vcc_lo, exec_lo, s18
	s_cbranch_vccnz .LBB216_767
; %bb.763:
	v_cmp_lt_i16_e32 vcc_lo, 0, v6
	s_mov_b32 s18, -1
	s_cbranch_vccz .LBB216_765
; %bb.764:
	v_cvt_i16_f16_e32 v6, v5
	s_mov_b32 s18, 0
	global_store_b8 v[0:1], v6, off
.LBB216_765:
	s_and_not1_b32 vcc_lo, exec_lo, s18
	s_cbranch_vccnz .LBB216_767
; %bb.766:
	v_cvt_f32_f16_e32 v5, v5
	s_delay_alu instid0(VALU_DEP_1)
	v_cvt_i32_f32_e32 v5, v5
	global_store_b8 v[0:1], v5, off
.LBB216_767:
	s_mov_b32 s18, -1
.LBB216_768:
	s_delay_alu instid0(SALU_CYCLE_1)
	s_and_not1_b32 vcc_lo, exec_lo, s18
	s_cbranch_vccnz .LBB216_770
; %bb.769:
	v_add_nc_u32_e32 v3, 0x80, v3
	s_mov_b32 s19, -1
	s_branch .LBB216_772
.LBB216_770:
	s_mov_b32 s19, 0
.LBB216_771:
                                        ; implicit-def: $vgpr3
.LBB216_772:
	s_and_not1_b32 s18, s14, exec_lo
	s_and_b32 s0, s0, exec_lo
	s_and_not1_b32 s20, s13, exec_lo
	s_and_b32 s17, s17, exec_lo
	s_or_b32 s18, s18, s0
	s_or_b32 s17, s20, s17
	s_or_not1_b32 s0, s19, exec_lo
.LBB216_773:
	s_or_b32 exec_lo, exec_lo, s16
	s_mov_b32 s19, 0
	s_mov_b32 s20, 0
	;; [unrolled: 1-line block ×3, first 2 shown]
                                        ; implicit-def: $vgpr0_vgpr1
                                        ; implicit-def: $vgpr6
	s_and_saveexec_b32 s16, s0
	s_cbranch_execz .LBB216_858
; %bb.774:
	v_cmp_gt_i32_e32 vcc_lo, s10, v3
	s_mov_b32 s0, 0
	s_mov_b32 s19, s17
                                        ; implicit-def: $vgpr0_vgpr1
                                        ; implicit-def: $vgpr6
	s_and_saveexec_b32 s10, vcc_lo
	s_cbranch_execz .LBB216_857
; %bb.775:
	v_mul_lo_u32 v0, v3, s3
	v_cmp_gt_i16_e32 vcc_lo, 11, v4
	s_delay_alu instid0(VALU_DEP_2) | instskip(SKIP_1) | instid1(VALU_DEP_1)
	v_ashrrev_i32_e32 v1, 31, v0
	v_add_co_u32 v0, s0, s6, v0
	v_add_co_ci_u32_e64 v1, s0, s7, v1, s0
	s_cbranch_vccnz .LBB216_782
; %bb.776:
	v_cmp_lt_i16_e32 vcc_lo, 25, v4
	s_mov_b32 s19, 0
	s_cbranch_vccz .LBB216_783
; %bb.777:
	v_cmp_lt_i16_e32 vcc_lo, 28, v4
	s_cbranch_vccz .LBB216_784
; %bb.778:
	v_cmp_lt_i16_e32 vcc_lo, 43, v4
	;; [unrolled: 3-line block ×3, first 2 shown]
	s_cbranch_vccz .LBB216_788
; %bb.780:
	v_cmp_eq_u16_e32 vcc_lo, 46, v4
	s_cbranch_vccz .LBB216_791
; %bb.781:
	global_load_b32 v5, v[0:1], off
	s_mov_b32 s0, 0
	s_mov_b32 s20, -1
	s_waitcnt vmcnt(0)
	v_lshlrev_b32_e32 v5, 16, v5
	s_delay_alu instid0(VALU_DEP_1)
	v_cvt_f16_f32_e32 v6, v5
	s_branch .LBB216_793
.LBB216_782:
	s_mov_b32 s22, -1
	s_mov_b32 s19, 0
	s_mov_b32 s0, s17
                                        ; implicit-def: $vgpr6
	s_branch .LBB216_856
.LBB216_783:
	s_mov_b32 s21, -1
	s_mov_b32 s0, s17
                                        ; implicit-def: $vgpr6
	s_branch .LBB216_822
.LBB216_784:
	s_mov_b32 s21, -1
	s_mov_b32 s0, s17
                                        ; implicit-def: $vgpr6
	s_branch .LBB216_803
.LBB216_785:
	s_mov_b32 s21, -1
	s_mov_b32 s0, s17
                                        ; implicit-def: $vgpr6
	s_branch .LBB216_798
.LBB216_786:
	s_or_saveexec_b32 s20, s20
                                        ; implicit-def: $sgpr21
	s_delay_alu instid0(SALU_CYCLE_1)
	s_xor_b32 exec_lo, exec_lo, s20
	s_cbranch_execz .LBB216_681
.LBB216_787:
	v_add_f32_e64 v8, 0x46000000, |v7|
	s_and_not1_b32 s19, s19, exec_lo
	s_mov_b32 s21, 0
	s_delay_alu instid0(VALU_DEP_1) | instskip(NEXT) | instid1(VALU_DEP_1)
	v_and_b32_e32 v8, 0xff, v8
	v_cmp_ne_u32_e32 vcc_lo, 0, v8
	s_and_b32 s22, vcc_lo, exec_lo
	s_delay_alu instid0(SALU_CYCLE_1)
	s_or_b32 s19, s19, s22
	s_or_b32 exec_lo, exec_lo, s20
	v_mov_b32_e32 v9, s21
	s_and_saveexec_b32 s20, s19
	s_cbranch_execnz .LBB216_682
	s_branch .LBB216_683
.LBB216_788:
	s_mov_b32 s21, -1
	s_mov_b32 s0, s17
	s_branch .LBB216_792
.LBB216_789:
	s_or_saveexec_b32 s20, s20
                                        ; implicit-def: $sgpr21
	s_delay_alu instid0(SALU_CYCLE_1)
	s_xor_b32 exec_lo, exec_lo, s20
	s_cbranch_execz .LBB216_694
.LBB216_790:
	v_add_f32_e64 v8, 0x42800000, |v7|
	s_and_not1_b32 s19, s19, exec_lo
	s_mov_b32 s21, 0
	s_delay_alu instid0(VALU_DEP_1) | instskip(NEXT) | instid1(VALU_DEP_1)
	v_and_b32_e32 v8, 0xff, v8
	v_cmp_ne_u32_e32 vcc_lo, 0, v8
	s_and_b32 s22, vcc_lo, exec_lo
	s_delay_alu instid0(SALU_CYCLE_1)
	s_or_b32 s19, s19, s22
	s_or_b32 exec_lo, exec_lo, s20
	v_mov_b32_e32 v9, s21
	s_and_saveexec_b32 s20, s19
	s_cbranch_execnz .LBB216_695
	s_branch .LBB216_696
.LBB216_791:
	s_mov_b32 s0, -1
.LBB216_792:
                                        ; implicit-def: $vgpr6
.LBB216_793:
	s_and_b32 vcc_lo, exec_lo, s21
	s_cbranch_vccz .LBB216_797
; %bb.794:
	v_cmp_eq_u16_e32 vcc_lo, 44, v4
	s_cbranch_vccz .LBB216_796
; %bb.795:
	global_load_u8 v5, v[0:1], off
	s_mov_b32 s0, 0
	s_mov_b32 s20, -1
	s_waitcnt vmcnt(0)
	v_lshlrev_b32_e32 v6, 23, v5
	v_cmp_ne_u32_e32 vcc_lo, 0xff, v5
	s_delay_alu instid0(VALU_DEP_2) | instskip(NEXT) | instid1(VALU_DEP_1)
	v_cvt_f16_f32_e32 v6, v6
	v_cndmask_b32_e32 v6, 0x7e00, v6, vcc_lo
	v_cmp_ne_u32_e32 vcc_lo, 0, v5
	s_delay_alu instid0(VALU_DEP_2)
	v_cndmask_b32_e32 v6, 0, v6, vcc_lo
	s_branch .LBB216_797
.LBB216_796:
	s_mov_b32 s0, -1
                                        ; implicit-def: $vgpr6
.LBB216_797:
	s_mov_b32 s21, 0
.LBB216_798:
	s_delay_alu instid0(SALU_CYCLE_1)
	s_and_b32 vcc_lo, exec_lo, s21
	s_cbranch_vccz .LBB216_802
; %bb.799:
	v_cmp_eq_u16_e32 vcc_lo, 29, v4
	s_cbranch_vccz .LBB216_801
; %bb.800:
	global_load_b64 v[5:6], v[0:1], off
	s_mov_b32 s0, 0
	s_mov_b32 s20, -1
	s_mov_b32 s21, 0
	s_waitcnt vmcnt(0)
	v_clz_i32_u32_e32 v7, v6
	s_delay_alu instid0(VALU_DEP_1) | instskip(NEXT) | instid1(VALU_DEP_1)
	v_min_u32_e32 v7, 32, v7
	v_lshlrev_b64 v[5:6], v7, v[5:6]
	s_delay_alu instid0(VALU_DEP_1) | instskip(NEXT) | instid1(VALU_DEP_1)
	v_min_u32_e32 v5, 1, v5
	v_or_b32_e32 v5, v6, v5
	v_sub_nc_u32_e32 v6, 32, v7
	s_delay_alu instid0(VALU_DEP_2) | instskip(NEXT) | instid1(VALU_DEP_1)
	v_cvt_f32_u32_e32 v5, v5
	v_ldexp_f32 v5, v5, v6
	s_delay_alu instid0(VALU_DEP_1)
	v_cvt_f16_f32_e32 v6, v5
	s_branch .LBB216_803
.LBB216_801:
	s_mov_b32 s0, -1
                                        ; implicit-def: $vgpr6
.LBB216_802:
	s_mov_b32 s21, 0
.LBB216_803:
	s_delay_alu instid0(SALU_CYCLE_1)
	s_and_b32 vcc_lo, exec_lo, s21
	s_cbranch_vccz .LBB216_821
; %bb.804:
	v_cmp_gt_i16_e32 vcc_lo, 27, v4
	s_cbranch_vccnz .LBB216_807
; %bb.805:
	v_cmp_lt_i16_e32 vcc_lo, 27, v4
	s_cbranch_vccz .LBB216_808
; %bb.806:
	global_load_b32 v5, v[0:1], off
	s_mov_b32 s20, 0
	s_waitcnt vmcnt(0)
	v_cvt_f32_u32_e32 v5, v5
	s_delay_alu instid0(VALU_DEP_1)
	v_cvt_f16_f32_e32 v6, v5
	s_branch .LBB216_809
.LBB216_807:
	s_mov_b32 s20, -1
                                        ; implicit-def: $vgpr6
	s_branch .LBB216_812
.LBB216_808:
	s_mov_b32 s20, -1
                                        ; implicit-def: $vgpr6
.LBB216_809:
	s_delay_alu instid0(SALU_CYCLE_1)
	s_and_not1_b32 vcc_lo, exec_lo, s20
	s_cbranch_vccnz .LBB216_811
; %bb.810:
	global_load_u16 v5, v[0:1], off
	s_waitcnt vmcnt(0)
	v_cvt_f16_u16_e32 v6, v5
.LBB216_811:
	s_mov_b32 s20, 0
.LBB216_812:
	s_delay_alu instid0(SALU_CYCLE_1)
	s_and_not1_b32 vcc_lo, exec_lo, s20
	s_cbranch_vccnz .LBB216_820
; %bb.813:
	global_load_u8 v5, v[0:1], off
	s_mov_b32 s20, 0
	s_mov_b32 s22, exec_lo
                                        ; implicit-def: $sgpr21
	s_waitcnt vmcnt(0)
	v_cmpx_lt_i16_e32 0x7f, v5
	s_xor_b32 s22, exec_lo, s22
	s_cbranch_execz .LBB216_834
; %bb.814:
	s_mov_b32 s20, -1
	s_mov_b32 s23, exec_lo
                                        ; implicit-def: $sgpr21
	v_cmpx_eq_u16_e32 0x80, v5
; %bb.815:
	s_movk_i32 s21, 0x7e00
	s_xor_b32 s20, exec_lo, -1
; %bb.816:
	s_or_b32 exec_lo, exec_lo, s23
	s_delay_alu instid0(SALU_CYCLE_1)
	s_and_b32 s20, s20, exec_lo
	s_or_saveexec_b32 s22, s22
	v_mov_b32_e32 v6, s21
	s_xor_b32 exec_lo, exec_lo, s22
	s_cbranch_execnz .LBB216_835
.LBB216_817:
	s_or_b32 exec_lo, exec_lo, s22
	s_and_saveexec_b32 s21, s20
	s_cbranch_execz .LBB216_819
.LBB216_818:
	v_and_b32_e32 v6, 0xffff, v5
	v_lshlrev_b32_e32 v5, 24, v5
	s_delay_alu instid0(VALU_DEP_2) | instskip(NEXT) | instid1(VALU_DEP_2)
	v_and_b32_e32 v7, 7, v6
	v_and_b32_e32 v5, 0x80000000, v5
	s_delay_alu instid0(VALU_DEP_2) | instskip(NEXT) | instid1(VALU_DEP_1)
	v_clz_i32_u32_e32 v8, v7
	v_min_u32_e32 v8, 32, v8
	s_delay_alu instid0(VALU_DEP_1) | instskip(SKIP_1) | instid1(VALU_DEP_2)
	v_subrev_nc_u32_e32 v9, 28, v8
	v_sub_nc_u32_e32 v8, 29, v8
	v_lshlrev_b32_e32 v9, v9, v6
	v_bfe_u32 v6, v6, 3, 4
	s_delay_alu instid0(VALU_DEP_2) | instskip(NEXT) | instid1(VALU_DEP_2)
	v_and_b32_e32 v9, 7, v9
	v_cmp_eq_u32_e32 vcc_lo, 0, v6
	s_delay_alu instid0(VALU_DEP_2) | instskip(NEXT) | instid1(VALU_DEP_1)
	v_dual_cndmask_b32 v6, v6, v8 :: v_dual_cndmask_b32 v7, v7, v9
	v_lshl_add_u32 v6, v6, 23, 0x3b800000
	s_delay_alu instid0(VALU_DEP_2) | instskip(NEXT) | instid1(VALU_DEP_1)
	v_lshlrev_b32_e32 v7, 20, v7
	v_or3_b32 v5, v5, v6, v7
	s_delay_alu instid0(VALU_DEP_1)
	v_cvt_f16_f32_e32 v6, v5
.LBB216_819:
	s_or_b32 exec_lo, exec_lo, s21
.LBB216_820:
	s_mov_b32 s20, -1
.LBB216_821:
	s_mov_b32 s21, 0
.LBB216_822:
	s_delay_alu instid0(SALU_CYCLE_1)
	s_and_b32 vcc_lo, exec_lo, s21
	s_cbranch_vccz .LBB216_855
; %bb.823:
	v_cmp_lt_i16_e32 vcc_lo, 22, v4
	s_cbranch_vccz .LBB216_833
; %bb.824:
	v_cmp_gt_i16_e32 vcc_lo, 24, v4
	s_cbranch_vccnz .LBB216_836
; %bb.825:
	v_cmp_lt_i16_e32 vcc_lo, 24, v4
	s_cbranch_vccz .LBB216_837
; %bb.826:
	global_load_u8 v5, v[0:1], off
	s_mov_b32 s21, exec_lo
                                        ; implicit-def: $sgpr20
	s_waitcnt vmcnt(0)
	v_cmpx_lt_i16_e32 0x7f, v5
	s_xor_b32 s21, exec_lo, s21
	s_cbranch_execz .LBB216_849
; %bb.827:
	s_mov_b32 s19, -1
	s_mov_b32 s22, exec_lo
                                        ; implicit-def: $sgpr20
	v_cmpx_eq_u16_e32 0x80, v5
; %bb.828:
	s_movk_i32 s20, 0x7e00
	s_xor_b32 s19, exec_lo, -1
; %bb.829:
	s_or_b32 exec_lo, exec_lo, s22
	s_delay_alu instid0(SALU_CYCLE_1)
	s_and_b32 s19, s19, exec_lo
	s_or_saveexec_b32 s21, s21
	v_mov_b32_e32 v6, s20
	s_xor_b32 exec_lo, exec_lo, s21
	s_cbranch_execnz .LBB216_850
.LBB216_830:
	s_or_b32 exec_lo, exec_lo, s21
	s_and_saveexec_b32 s20, s19
	s_cbranch_execz .LBB216_832
.LBB216_831:
	v_and_b32_e32 v6, 0xffff, v5
	v_lshlrev_b32_e32 v5, 24, v5
	s_delay_alu instid0(VALU_DEP_2) | instskip(NEXT) | instid1(VALU_DEP_2)
	v_and_b32_e32 v7, 3, v6
	v_and_b32_e32 v5, 0x80000000, v5
	s_delay_alu instid0(VALU_DEP_2) | instskip(NEXT) | instid1(VALU_DEP_1)
	v_clz_i32_u32_e32 v8, v7
	v_min_u32_e32 v8, 32, v8
	s_delay_alu instid0(VALU_DEP_1) | instskip(SKIP_1) | instid1(VALU_DEP_2)
	v_subrev_nc_u32_e32 v9, 29, v8
	v_sub_nc_u32_e32 v8, 30, v8
	v_lshlrev_b32_e32 v9, v9, v6
	v_bfe_u32 v6, v6, 2, 5
	s_delay_alu instid0(VALU_DEP_2) | instskip(NEXT) | instid1(VALU_DEP_2)
	v_and_b32_e32 v9, 3, v9
	v_cmp_eq_u32_e32 vcc_lo, 0, v6
	s_delay_alu instid0(VALU_DEP_2) | instskip(NEXT) | instid1(VALU_DEP_1)
	v_dual_cndmask_b32 v6, v6, v8 :: v_dual_cndmask_b32 v7, v7, v9
	v_lshl_add_u32 v6, v6, 23, 0x37800000
	s_delay_alu instid0(VALU_DEP_2) | instskip(NEXT) | instid1(VALU_DEP_1)
	v_lshlrev_b32_e32 v7, 21, v7
	v_or3_b32 v5, v5, v6, v7
	s_delay_alu instid0(VALU_DEP_1)
	v_cvt_f16_f32_e32 v6, v5
.LBB216_832:
	s_or_b32 exec_lo, exec_lo, s20
	s_mov_b32 s19, 0
	s_branch .LBB216_838
.LBB216_833:
	s_mov_b32 s19, -1
                                        ; implicit-def: $vgpr6
	s_branch .LBB216_844
.LBB216_834:
	s_or_saveexec_b32 s22, s22
	v_mov_b32_e32 v6, s21
	s_xor_b32 exec_lo, exec_lo, s22
	s_cbranch_execz .LBB216_817
.LBB216_835:
	v_cmp_ne_u16_e32 vcc_lo, 0, v5
	v_mov_b32_e32 v6, v5
	s_and_not1_b32 s20, s20, exec_lo
	s_and_b32 s21, vcc_lo, exec_lo
	s_delay_alu instid0(SALU_CYCLE_1)
	s_or_b32 s20, s20, s21
	s_or_b32 exec_lo, exec_lo, s22
	s_and_saveexec_b32 s21, s20
	s_cbranch_execnz .LBB216_818
	s_branch .LBB216_819
.LBB216_836:
	s_mov_b32 s19, -1
                                        ; implicit-def: $vgpr6
	s_branch .LBB216_841
.LBB216_837:
	s_mov_b32 s19, -1
                                        ; implicit-def: $vgpr6
.LBB216_838:
	s_delay_alu instid0(SALU_CYCLE_1)
	s_and_b32 vcc_lo, exec_lo, s19
	s_cbranch_vccz .LBB216_840
; %bb.839:
	global_load_u8 v5, v[0:1], off
	s_waitcnt vmcnt(0)
	v_lshlrev_b32_e32 v5, 24, v5
	s_delay_alu instid0(VALU_DEP_1) | instskip(NEXT) | instid1(VALU_DEP_1)
	v_and_b32_e32 v6, 0x7f000000, v5
	v_clz_i32_u32_e32 v7, v6
	v_add_nc_u32_e32 v9, 0x1000000, v6
	v_cmp_ne_u32_e32 vcc_lo, 0, v6
	s_delay_alu instid0(VALU_DEP_3) | instskip(NEXT) | instid1(VALU_DEP_1)
	v_min_u32_e32 v7, 32, v7
	v_sub_nc_u32_e64 v7, v7, 4 clamp
	s_delay_alu instid0(VALU_DEP_1) | instskip(SKIP_1) | instid1(VALU_DEP_2)
	v_lshlrev_b32_e32 v8, v7, v6
	v_lshlrev_b32_e32 v7, 23, v7
	v_lshrrev_b32_e32 v8, 4, v8
	s_delay_alu instid0(VALU_DEP_1) | instskip(SKIP_1) | instid1(VALU_DEP_2)
	v_sub_nc_u32_e32 v7, v8, v7
	v_ashrrev_i32_e32 v8, 8, v9
	v_add_nc_u32_e32 v7, 0x3c000000, v7
	s_delay_alu instid0(VALU_DEP_1) | instskip(NEXT) | instid1(VALU_DEP_1)
	v_and_or_b32 v7, 0x7f800000, v8, v7
	v_cndmask_b32_e32 v6, 0, v7, vcc_lo
	s_delay_alu instid0(VALU_DEP_1) | instskip(NEXT) | instid1(VALU_DEP_1)
	v_and_or_b32 v5, 0x80000000, v5, v6
	v_cvt_f16_f32_e32 v6, v5
.LBB216_840:
	s_mov_b32 s19, 0
.LBB216_841:
	s_delay_alu instid0(SALU_CYCLE_1)
	s_and_not1_b32 vcc_lo, exec_lo, s19
	s_cbranch_vccnz .LBB216_843
; %bb.842:
	global_load_u8 v5, v[0:1], off
	s_waitcnt vmcnt(0)
	v_lshlrev_b32_e32 v6, 25, v5
	v_lshlrev_b16 v5, 8, v5
	s_delay_alu instid0(VALU_DEP_2) | instskip(NEXT) | instid1(VALU_DEP_2)
	v_lshrrev_b32_e32 v7, 4, v6
	v_and_or_b32 v8, 0x7f00, v5, 0.5
	v_bfe_i32 v5, v5, 0, 16
	s_delay_alu instid0(VALU_DEP_3) | instskip(NEXT) | instid1(VALU_DEP_1)
	v_or_b32_e32 v7, 0x70000000, v7
	v_dual_add_f32 v8, -0.5, v8 :: v_dual_mul_f32 v7, 0x7800000, v7
	v_cmp_gt_u32_e32 vcc_lo, 0x8000000, v6
	s_delay_alu instid0(VALU_DEP_2) | instskip(NEXT) | instid1(VALU_DEP_1)
	v_cndmask_b32_e32 v6, v7, v8, vcc_lo
	v_and_or_b32 v5, 0x80000000, v5, v6
	s_delay_alu instid0(VALU_DEP_1)
	v_cvt_f16_f32_e32 v6, v5
.LBB216_843:
	s_mov_b32 s19, 0
	s_mov_b32 s20, -1
.LBB216_844:
	s_and_not1_b32 vcc_lo, exec_lo, s19
	s_mov_b32 s19, 0
	s_cbranch_vccnz .LBB216_855
; %bb.845:
	v_cmp_lt_i16_e32 vcc_lo, 14, v4
	s_cbranch_vccz .LBB216_848
; %bb.846:
	v_cmp_eq_u16_e32 vcc_lo, 15, v4
	s_cbranch_vccz .LBB216_851
; %bb.847:
	global_load_u16 v5, v[0:1], off
	s_mov_b32 s0, 0
	s_mov_b32 s20, -1
	s_waitcnt vmcnt(0)
	v_lshlrev_b32_e32 v5, 16, v5
	s_delay_alu instid0(VALU_DEP_1)
	v_cvt_f16_f32_e32 v6, v5
	s_branch .LBB216_853
.LBB216_848:
	s_mov_b32 s19, -1
	s_branch .LBB216_852
.LBB216_849:
	s_or_saveexec_b32 s21, s21
	v_mov_b32_e32 v6, s20
	s_xor_b32 exec_lo, exec_lo, s21
	s_cbranch_execz .LBB216_830
.LBB216_850:
	v_cmp_ne_u16_e32 vcc_lo, 0, v5
	v_mov_b32_e32 v6, v5
	s_and_not1_b32 s19, s19, exec_lo
	s_and_b32 s20, vcc_lo, exec_lo
	s_delay_alu instid0(SALU_CYCLE_1)
	s_or_b32 s19, s19, s20
	s_or_b32 exec_lo, exec_lo, s21
	s_and_saveexec_b32 s20, s19
	s_cbranch_execnz .LBB216_831
	s_branch .LBB216_832
.LBB216_851:
	s_mov_b32 s0, -1
.LBB216_852:
                                        ; implicit-def: $vgpr6
.LBB216_853:
	s_and_b32 vcc_lo, exec_lo, s19
	s_mov_b32 s19, 0
	s_cbranch_vccz .LBB216_855
; %bb.854:
	v_cmp_ne_u16_e32 vcc_lo, 11, v4
	s_and_not1_b32 s0, s0, exec_lo
	s_mov_b32 s19, -1
                                        ; implicit-def: $vgpr6
	s_and_b32 s21, vcc_lo, exec_lo
	s_delay_alu instid0(SALU_CYCLE_1)
	s_or_b32 s0, s0, s21
.LBB216_855:
	s_mov_b32 s22, 0
.LBB216_856:
	s_and_b32 s21, s20, exec_lo
	s_and_b32 s20, s22, exec_lo
	s_and_not1_b32 s22, s17, exec_lo
	s_and_b32 s23, s0, exec_lo
	s_and_b32 s0, s19, exec_lo
	s_or_b32 s19, s22, s23
.LBB216_857:
	s_or_b32 exec_lo, exec_lo, s10
	s_delay_alu instid0(SALU_CYCLE_1)
	s_and_not1_b32 s10, s17, exec_lo
	s_and_b32 s17, s19, exec_lo
	s_and_b32 s21, s21, exec_lo
	;; [unrolled: 1-line block ×4, first 2 shown]
	s_or_b32 s17, s10, s17
.LBB216_858:
	s_or_b32 exec_lo, exec_lo, s16
	s_delay_alu instid0(SALU_CYCLE_1)
	s_and_not1_b32 s0, s14, exec_lo
	s_and_b32 s10, s18, exec_lo
	s_and_b32 s18, s20, exec_lo
	s_or_b32 s14, s0, s10
	s_and_not1_b32 s10, s13, exec_lo
	s_and_b32 s13, s17, exec_lo
	s_and_b32 s0, s21, exec_lo
	;; [unrolled: 1-line block ×3, first 2 shown]
	s_or_b32 s13, s10, s13
.LBB216_859:
	s_or_b32 exec_lo, exec_lo, s15
	s_delay_alu instid0(SALU_CYCLE_1)
	s_and_not1_b32 s9, s9, exec_lo
	s_and_b32 s10, s14, exec_lo
	s_and_b32 s0, s0, exec_lo
	s_or_b32 s9, s9, s10
	s_and_not1_b32 s10, s11, exec_lo
	s_and_b32 s11, s13, exec_lo
	s_and_b32 s14, s18, exec_lo
	;; [unrolled: 1-line block ×3, first 2 shown]
	s_or_b32 s11, s10, s11
.LBB216_860:
	s_or_b32 exec_lo, exec_lo, s12
	s_mov_b32 s10, 0
	s_and_saveexec_b32 s12, s11
	s_cbranch_execnz .LBB216_872
; %bb.861:
	s_or_b32 exec_lo, exec_lo, s12
	s_and_saveexec_b32 s11, s13
	s_delay_alu instid0(SALU_CYCLE_1)
	s_xor_b32 s11, exec_lo, s11
	s_cbranch_execz .LBB216_863
.LBB216_862:
	global_load_u8 v5, v[0:1], off
	s_or_b32 s0, s0, exec_lo
	s_waitcnt vmcnt(0)
	v_cmp_ne_u16_e32 vcc_lo, 0, v5
	v_cndmask_b32_e64 v6, 0, 0x3c00, vcc_lo
.LBB216_863:
	s_or_b32 exec_lo, exec_lo, s11
	s_and_saveexec_b32 s11, s14
	s_cbranch_execz .LBB216_911
; %bb.864:
	v_cmp_gt_i16_e32 vcc_lo, 5, v4
	s_cbranch_vccnz .LBB216_869
; %bb.865:
	v_cmp_gt_i16_e32 vcc_lo, 8, v4
	s_cbranch_vccnz .LBB216_870
	;; [unrolled: 3-line block ×3, first 2 shown]
; %bb.867:
	v_cmp_lt_i16_e32 vcc_lo, 9, v4
	s_cbranch_vccz .LBB216_874
; %bb.868:
	global_load_b64 v[5:6], v[0:1], off
	s_mov_b32 s12, 0
	s_waitcnt vmcnt(0)
	v_cvt_f32_f64_e32 v5, v[5:6]
	s_delay_alu instid0(VALU_DEP_1)
	v_cvt_f16_f32_e32 v6, v5
	s_branch .LBB216_875
.LBB216_869:
                                        ; implicit-def: $vgpr6
	s_branch .LBB216_892
.LBB216_870:
                                        ; implicit-def: $vgpr6
	s_branch .LBB216_881
.LBB216_871:
	s_mov_b32 s12, -1
                                        ; implicit-def: $vgpr6
	s_branch .LBB216_878
.LBB216_872:
	s_cbranch_execnz .LBB216_920
; %bb.873:
	s_mov_b32 s10, exec_lo
	s_and_not1_b32 s13, s13, exec_lo
                                        ; implicit-def: $vgpr6
	s_or_b32 exec_lo, exec_lo, s12
	s_and_saveexec_b32 s11, s13
	s_delay_alu instid0(SALU_CYCLE_1)
	s_xor_b32 s11, exec_lo, s11
	s_cbranch_execnz .LBB216_862
	s_branch .LBB216_863
.LBB216_874:
	s_mov_b32 s12, -1
                                        ; implicit-def: $vgpr6
.LBB216_875:
	s_delay_alu instid0(SALU_CYCLE_1)
	s_and_not1_b32 vcc_lo, exec_lo, s12
	s_cbranch_vccnz .LBB216_877
; %bb.876:
	global_load_b32 v5, v[0:1], off
	s_waitcnt vmcnt(0)
	v_cvt_f16_f32_e32 v6, v5
.LBB216_877:
	s_mov_b32 s12, 0
.LBB216_878:
	s_delay_alu instid0(SALU_CYCLE_1)
	s_and_not1_b32 vcc_lo, exec_lo, s12
	s_cbranch_vccnz .LBB216_880
; %bb.879:
	global_load_b32 v6, v[0:1], off
.LBB216_880:
	s_cbranch_execnz .LBB216_891
.LBB216_881:
	v_cmp_gt_i16_e32 vcc_lo, 6, v4
	s_cbranch_vccnz .LBB216_884
; %bb.882:
	v_cmp_lt_i16_e32 vcc_lo, 6, v4
	s_cbranch_vccz .LBB216_885
; %bb.883:
	global_load_b64 v[5:6], v[0:1], off
	s_mov_b32 s12, 0
	s_waitcnt vmcnt(0)
	v_cvt_f32_f64_e32 v5, v[5:6]
	s_delay_alu instid0(VALU_DEP_1)
	v_cvt_f16_f32_e32 v6, v5
	s_branch .LBB216_886
.LBB216_884:
	s_mov_b32 s12, -1
                                        ; implicit-def: $vgpr6
	s_branch .LBB216_889
.LBB216_885:
	s_mov_b32 s12, -1
                                        ; implicit-def: $vgpr6
.LBB216_886:
	s_delay_alu instid0(SALU_CYCLE_1)
	s_and_not1_b32 vcc_lo, exec_lo, s12
	s_cbranch_vccnz .LBB216_888
; %bb.887:
	global_load_b32 v5, v[0:1], off
	s_waitcnt vmcnt(0)
	v_cvt_f16_f32_e32 v6, v5
.LBB216_888:
	s_mov_b32 s12, 0
.LBB216_889:
	s_delay_alu instid0(SALU_CYCLE_1)
	s_and_not1_b32 vcc_lo, exec_lo, s12
	s_cbranch_vccnz .LBB216_891
; %bb.890:
	global_load_u16 v6, v[0:1], off
.LBB216_891:
	s_cbranch_execnz .LBB216_910
.LBB216_892:
	v_cmp_gt_i16_e32 vcc_lo, 2, v4
	s_cbranch_vccnz .LBB216_896
; %bb.893:
	v_cmp_gt_i16_e32 vcc_lo, 3, v4
	s_cbranch_vccnz .LBB216_897
; %bb.894:
	v_cmp_lt_i16_e32 vcc_lo, 3, v4
	s_cbranch_vccz .LBB216_898
; %bb.895:
	global_load_b64 v[5:6], v[0:1], off
	s_mov_b32 s12, 0
	s_waitcnt vmcnt(0)
	v_xor_b32_e32 v7, v5, v6
	v_cls_i32_e32 v8, v6
	s_delay_alu instid0(VALU_DEP_2) | instskip(NEXT) | instid1(VALU_DEP_2)
	v_ashrrev_i32_e32 v7, 31, v7
	v_add_nc_u32_e32 v8, -1, v8
	s_delay_alu instid0(VALU_DEP_2) | instskip(NEXT) | instid1(VALU_DEP_1)
	v_add_nc_u32_e32 v7, 32, v7
	v_min_u32_e32 v7, v8, v7
	s_delay_alu instid0(VALU_DEP_1) | instskip(NEXT) | instid1(VALU_DEP_1)
	v_lshlrev_b64 v[5:6], v7, v[5:6]
	v_min_u32_e32 v5, 1, v5
	s_delay_alu instid0(VALU_DEP_1) | instskip(SKIP_1) | instid1(VALU_DEP_2)
	v_or_b32_e32 v5, v6, v5
	v_sub_nc_u32_e32 v6, 32, v7
	v_cvt_f32_i32_e32 v5, v5
	s_delay_alu instid0(VALU_DEP_1) | instskip(NEXT) | instid1(VALU_DEP_1)
	v_ldexp_f32 v5, v5, v6
	v_cvt_f16_f32_e32 v6, v5
	s_branch .LBB216_899
.LBB216_896:
                                        ; implicit-def: $vgpr6
	s_branch .LBB216_905
.LBB216_897:
	s_mov_b32 s12, -1
                                        ; implicit-def: $vgpr6
	s_branch .LBB216_902
.LBB216_898:
	s_mov_b32 s12, -1
                                        ; implicit-def: $vgpr6
.LBB216_899:
	s_delay_alu instid0(SALU_CYCLE_1)
	s_and_not1_b32 vcc_lo, exec_lo, s12
	s_cbranch_vccnz .LBB216_901
; %bb.900:
	global_load_b32 v5, v[0:1], off
	s_waitcnt vmcnt(0)
	v_cvt_f32_i32_e32 v5, v5
	s_delay_alu instid0(VALU_DEP_1)
	v_cvt_f16_f32_e32 v6, v5
.LBB216_901:
	s_mov_b32 s12, 0
.LBB216_902:
	s_delay_alu instid0(SALU_CYCLE_1)
	s_and_not1_b32 vcc_lo, exec_lo, s12
	s_cbranch_vccnz .LBB216_904
; %bb.903:
	global_load_u16 v5, v[0:1], off
	s_waitcnt vmcnt(0)
	v_cvt_f16_i16_e32 v6, v5
.LBB216_904:
	s_cbranch_execnz .LBB216_910
.LBB216_905:
	v_cmp_lt_i16_e32 vcc_lo, 0, v4
	s_mov_b32 s12, 0
	s_cbranch_vccz .LBB216_907
; %bb.906:
	global_load_i8 v4, v[0:1], off
	s_waitcnt vmcnt(0)
	v_cvt_f16_i16_e32 v6, v4
	s_branch .LBB216_908
.LBB216_907:
	s_mov_b32 s12, -1
                                        ; implicit-def: $vgpr6
.LBB216_908:
	s_delay_alu instid0(SALU_CYCLE_1)
	s_and_not1_b32 vcc_lo, exec_lo, s12
	s_cbranch_vccnz .LBB216_910
; %bb.909:
	global_load_u8 v0, v[0:1], off
	s_waitcnt vmcnt(0)
	v_cvt_f16_u16_e32 v6, v0
.LBB216_910:
	s_or_b32 s0, s0, exec_lo
.LBB216_911:
	s_or_b32 exec_lo, exec_lo, s11
	s_mov_b32 s13, 0
	s_mov_b32 s12, 0
                                        ; implicit-def: $vgpr5
                                        ; implicit-def: $vgpr0_vgpr1
                                        ; implicit-def: $vgpr4
	s_and_saveexec_b32 s11, s0
	s_cbranch_execz .LBB216_991
; %bb.912:
	s_waitcnt vmcnt(0)
	v_cvt_f32_f16_e32 v0, v6
	s_delay_alu instid0(VALU_DEP_1) | instskip(NEXT) | instid1(VALU_DEP_1)
	v_cvt_f64_f32_e32 v[0:1], v0
	v_rsq_f64_e32 v[4:5], v[0:1]
	s_waitcnt_depctr 0xfff
	v_mul_f64 v[0:1], v[4:5], -v[0:1]
	v_cmp_class_f64_e64 vcc_lo, v[4:5], 0x180
	s_delay_alu instid0(VALU_DEP_2) | instskip(NEXT) | instid1(VALU_DEP_1)
	v_fma_f64 v[0:1], v[0:1], v[4:5], 1.0
	v_mul_f64 v[6:7], v[4:5], v[0:1]
	v_fma_f64 v[0:1], 0x3fd80000, v[0:1], 0.5
	s_delay_alu instid0(VALU_DEP_1) | instskip(NEXT) | instid1(VALU_DEP_1)
	v_fma_f64 v[0:1], v[6:7], v[0:1], v[4:5]
	v_dual_cndmask_b32 v1, v5, v1 :: v_dual_cndmask_b32 v0, v4, v0
	v_and_b32_e32 v5, 0xff, v2
	s_delay_alu instid0(VALU_DEP_2) | instskip(SKIP_1) | instid1(VALU_DEP_3)
	v_cvt_f32_f64_e32 v4, v[0:1]
	v_mul_lo_u32 v0, v3, s2
	v_cmp_gt_i16_e32 vcc_lo, 11, v5
	s_and_b32 vcc_lo, exec_lo, vcc_lo
	s_delay_alu instid0(VALU_DEP_2) | instskip(SKIP_1) | instid1(VALU_DEP_1)
	v_ashrrev_i32_e32 v1, 31, v0
	v_add_co_u32 v0, s0, s4, v0
	v_add_co_ci_u32_e64 v1, s0, s5, v1, s0
	v_cvt_f16_f32_e32 v4, v4
	s_cbranch_vccnz .LBB216_919
; %bb.913:
	v_cmp_lt_i16_e32 vcc_lo, 25, v5
	s_mov_b32 s12, -1
	s_mov_b32 s0, s9
	s_cbranch_vccz .LBB216_949
; %bb.914:
	v_cmp_lt_i16_e32 vcc_lo, 28, v5
	s_mov_b32 s0, s9
	s_cbranch_vccz .LBB216_933
; %bb.915:
	v_cmp_lt_i16_e32 vcc_lo, 43, v5
	;; [unrolled: 4-line block ×3, first 2 shown]
	s_mov_b32 s0, s9
	s_cbranch_vccz .LBB216_923
; %bb.917:
	v_cmp_eq_u16_e32 vcc_lo, 46, v5
	s_mov_b32 s0, -1
	s_cbranch_vccz .LBB216_922
; %bb.918:
	v_cvt_f32_f16_e32 v2, v4
	v_cmp_o_f16_e32 vcc_lo, v4, v4
	s_mov_b32 s0, 0
	s_mov_b32 s12, 0
	s_delay_alu instid0(VALU_DEP_2) | instskip(NEXT) | instid1(VALU_DEP_1)
	v_bfe_u32 v3, v2, 16, 1
	v_add3_u32 v2, v2, v3, 0x7fff
	s_delay_alu instid0(VALU_DEP_1) | instskip(NEXT) | instid1(VALU_DEP_1)
	v_lshrrev_b32_e32 v2, 16, v2
	v_cndmask_b32_e32 v2, 0x7fc0, v2, vcc_lo
	global_store_b32 v[0:1], v2, off
	s_branch .LBB216_923
.LBB216_919:
	s_mov_b32 s12, -1
	s_mov_b32 s0, s9
	s_branch .LBB216_990
.LBB216_920:
	s_trap 2
	s_sendmsg_rtn_b32 s0, sendmsg(MSG_RTN_GET_DOORBELL)
	s_mov_b32 ttmp2, m0
	s_waitcnt lgkmcnt(0)
	s_and_b32 s0, s0, 0x3ff
	s_delay_alu instid0(SALU_CYCLE_1) | instskip(NEXT) | instid1(SALU_CYCLE_1)
	s_bitset1_b32 s0, 10
	s_mov_b32 m0, s0
	s_sendmsg sendmsg(MSG_INTERRUPT)
	s_mov_b32 m0, ttmp2
.LBB216_921:                            ; =>This Inner Loop Header: Depth=1
	s_sethalt 5
	s_branch .LBB216_921
.LBB216_922:
	s_mov_b32 s12, 0
.LBB216_923:
	s_delay_alu instid0(SALU_CYCLE_1)
	s_and_b32 vcc_lo, exec_lo, s12
	s_cbranch_vccz .LBB216_928
; %bb.924:
	v_cmp_eq_u16_e32 vcc_lo, 44, v5
	s_mov_b32 s0, -1
	s_cbranch_vccz .LBB216_928
; %bb.925:
	v_cvt_f32_f16_e32 v2, v4
	v_mov_b32_e32 v3, 0xff
	s_mov_b32 s12, exec_lo
	s_delay_alu instid0(VALU_DEP_2) | instskip(NEXT) | instid1(VALU_DEP_1)
	v_bfe_u32 v6, v2, 23, 8
	v_cmpx_ne_u32_e32 0xff, v6
; %bb.926:
	v_and_b32_e32 v3, 0x400000, v2
	v_and_or_b32 v6, 0x3fffff, v2, v6
	v_lshrrev_b32_e32 v2, 23, v2
	s_delay_alu instid0(VALU_DEP_3) | instskip(NEXT) | instid1(VALU_DEP_3)
	v_cmp_ne_u32_e32 vcc_lo, 0, v3
	v_cmp_ne_u32_e64 s0, 0, v6
	s_delay_alu instid0(VALU_DEP_1) | instskip(NEXT) | instid1(SALU_CYCLE_1)
	s_and_b32 s0, vcc_lo, s0
	v_cndmask_b32_e64 v3, 0, 1, s0
	s_delay_alu instid0(VALU_DEP_1)
	v_add_nc_u32_e32 v3, v2, v3
; %bb.927:
	s_or_b32 exec_lo, exec_lo, s12
	s_mov_b32 s0, 0
	global_store_b8 v[0:1], v3, off
.LBB216_928:
	s_mov_b32 s12, 0
.LBB216_929:
	s_delay_alu instid0(SALU_CYCLE_1)
	s_and_b32 vcc_lo, exec_lo, s12
	s_cbranch_vccz .LBB216_932
; %bb.930:
	v_cmp_eq_u16_e32 vcc_lo, 29, v5
	s_mov_b32 s0, -1
	s_cbranch_vccz .LBB216_932
; %bb.931:
	v_cvt_f32_f16_e32 v2, v4
	v_mov_b32_e32 v3, 0
	s_mov_b32 s0, 0
	s_mov_b32 s12, 0
	s_delay_alu instid0(VALU_DEP_2)
	v_cvt_u32_f32_e32 v2, v2
	global_store_b64 v[0:1], v[2:3], off
	s_branch .LBB216_933
.LBB216_932:
	s_mov_b32 s12, 0
.LBB216_933:
	s_delay_alu instid0(SALU_CYCLE_1)
	s_and_b32 vcc_lo, exec_lo, s12
	s_cbranch_vccz .LBB216_948
; %bb.934:
	v_cmp_gt_i16_e32 vcc_lo, 27, v5
	s_mov_b32 s12, -1
	s_cbranch_vccnz .LBB216_940
; %bb.935:
	v_cmp_lt_i16_e32 vcc_lo, 27, v5
	s_cbranch_vccz .LBB216_937
; %bb.936:
	v_cvt_f32_f16_e32 v2, v4
	s_mov_b32 s12, 0
	s_delay_alu instid0(VALU_DEP_1)
	v_cvt_u32_f32_e32 v2, v2
	global_store_b32 v[0:1], v2, off
.LBB216_937:
	s_and_not1_b32 vcc_lo, exec_lo, s12
	s_cbranch_vccnz .LBB216_939
; %bb.938:
	v_cvt_u16_f16_e32 v2, v4
	global_store_b16 v[0:1], v2, off
.LBB216_939:
	s_mov_b32 s12, 0
.LBB216_940:
	s_delay_alu instid0(SALU_CYCLE_1)
	s_and_not1_b32 vcc_lo, exec_lo, s12
	s_cbranch_vccnz .LBB216_948
; %bb.941:
	v_cvt_f32_f16_e32 v2, v4
	v_mov_b32_e32 v6, 0x80
	s_mov_b32 s12, exec_lo
	s_delay_alu instid0(VALU_DEP_2) | instskip(NEXT) | instid1(VALU_DEP_1)
	v_and_b32_e32 v3, 0x7fffffff, v2
	v_cmpx_gt_u32_e32 0x43800000, v3
	s_cbranch_execz .LBB216_947
; %bb.942:
	v_cmp_lt_u32_e32 vcc_lo, 0x3bffffff, v3
                                        ; implicit-def: $vgpr3
	s_and_saveexec_b32 s14, vcc_lo
	s_delay_alu instid0(SALU_CYCLE_1)
	s_xor_b32 s14, exec_lo, s14
	s_cbranch_execz .LBB216_1182
; %bb.943:
	v_bfe_u32 v3, v2, 20, 1
	s_mov_b32 s13, exec_lo
	s_delay_alu instid0(VALU_DEP_1) | instskip(NEXT) | instid1(VALU_DEP_1)
	v_add3_u32 v3, v2, v3, 0x487ffff
	v_lshrrev_b32_e32 v3, 20, v3
	s_or_saveexec_b32 s14, s14
                                        ; implicit-def: $sgpr15
	s_delay_alu instid0(SALU_CYCLE_1)
	s_xor_b32 exec_lo, exec_lo, s14
	s_cbranch_execnz .LBB216_1183
.LBB216_944:
	s_or_b32 exec_lo, exec_lo, s14
	v_mov_b32_e32 v6, s15
	s_and_saveexec_b32 s14, s13
.LBB216_945:
	v_lshrrev_b32_e32 v2, 24, v2
	s_delay_alu instid0(VALU_DEP_1)
	v_and_or_b32 v6, 0x80, v2, v3
.LBB216_946:
	s_or_b32 exec_lo, exec_lo, s14
.LBB216_947:
	s_delay_alu instid0(SALU_CYCLE_1)
	s_or_b32 exec_lo, exec_lo, s12
	global_store_b8 v[0:1], v6, off
.LBB216_948:
	s_mov_b32 s12, 0
.LBB216_949:
	s_delay_alu instid0(SALU_CYCLE_1)
	s_and_b32 vcc_lo, exec_lo, s12
	s_mov_b32 s12, 0
	s_cbranch_vccz .LBB216_989
; %bb.950:
	v_cmp_lt_i16_e32 vcc_lo, 22, v5
	s_mov_b32 s13, -1
	s_cbranch_vccz .LBB216_982
; %bb.951:
	v_cmp_gt_i16_e32 vcc_lo, 24, v5
	s_cbranch_vccnz .LBB216_971
; %bb.952:
	v_cmp_lt_i16_e32 vcc_lo, 24, v5
	s_cbranch_vccz .LBB216_960
; %bb.953:
	v_cvt_f32_f16_e32 v2, v4
	v_mov_b32_e32 v6, 0x80
	s_mov_b32 s13, exec_lo
	s_delay_alu instid0(VALU_DEP_2) | instskip(NEXT) | instid1(VALU_DEP_1)
	v_and_b32_e32 v3, 0x7fffffff, v2
	v_cmpx_gt_u32_e32 0x47800000, v3
	s_cbranch_execz .LBB216_959
; %bb.954:
	v_cmp_lt_u32_e32 vcc_lo, 0x37ffffff, v3
	s_mov_b32 s14, 0
                                        ; implicit-def: $vgpr3
	s_and_saveexec_b32 s15, vcc_lo
	s_delay_alu instid0(SALU_CYCLE_1)
	s_xor_b32 s15, exec_lo, s15
	s_cbranch_execz .LBB216_1226
; %bb.955:
	v_bfe_u32 v3, v2, 21, 1
	s_mov_b32 s14, exec_lo
	s_delay_alu instid0(VALU_DEP_1) | instskip(NEXT) | instid1(VALU_DEP_1)
	v_add3_u32 v3, v2, v3, 0x88fffff
	v_lshrrev_b32_e32 v3, 21, v3
	s_or_saveexec_b32 s15, s15
                                        ; implicit-def: $sgpr16
	s_delay_alu instid0(SALU_CYCLE_1)
	s_xor_b32 exec_lo, exec_lo, s15
	s_cbranch_execnz .LBB216_1227
.LBB216_956:
	s_or_b32 exec_lo, exec_lo, s15
	v_mov_b32_e32 v6, s16
	s_and_saveexec_b32 s15, s14
.LBB216_957:
	v_lshrrev_b32_e32 v2, 24, v2
	s_delay_alu instid0(VALU_DEP_1)
	v_and_or_b32 v6, 0x80, v2, v3
.LBB216_958:
	s_or_b32 exec_lo, exec_lo, s15
.LBB216_959:
	s_delay_alu instid0(SALU_CYCLE_1)
	s_or_b32 exec_lo, exec_lo, s13
	s_mov_b32 s13, 0
	global_store_b8 v[0:1], v6, off
.LBB216_960:
	s_and_b32 vcc_lo, exec_lo, s13
	s_cbranch_vccz .LBB216_970
; %bb.961:
	v_cvt_f32_f16_e32 v2, v4
	s_mov_b32 s13, exec_lo
                                        ; implicit-def: $vgpr3
	s_delay_alu instid0(VALU_DEP_1) | instskip(NEXT) | instid1(VALU_DEP_1)
	v_and_b32_e32 v6, 0x7fffffff, v2
	v_cmpx_gt_u32_e32 0x43f00000, v6
	s_xor_b32 s13, exec_lo, s13
	s_cbranch_execz .LBB216_967
; %bb.962:
	s_mov_b32 s14, exec_lo
                                        ; implicit-def: $vgpr3
	v_cmpx_lt_u32_e32 0x3c7fffff, v6
	s_xor_b32 s14, exec_lo, s14
; %bb.963:
	v_bfe_u32 v3, v2, 20, 1
	s_delay_alu instid0(VALU_DEP_1) | instskip(NEXT) | instid1(VALU_DEP_1)
	v_add3_u32 v3, v2, v3, 0x407ffff
	v_and_b32_e32 v6, 0xff00000, v3
	v_lshrrev_b32_e32 v3, 20, v3
	s_delay_alu instid0(VALU_DEP_2) | instskip(NEXT) | instid1(VALU_DEP_2)
	v_cmp_ne_u32_e32 vcc_lo, 0x7f00000, v6
	v_cndmask_b32_e32 v3, 0x7e, v3, vcc_lo
; %bb.964:
	s_and_not1_saveexec_b32 s14, s14
; %bb.965:
	v_add_f32_e64 v3, 0x46800000, |v2|
; %bb.966:
	s_or_b32 exec_lo, exec_lo, s14
                                        ; implicit-def: $vgpr6
.LBB216_967:
	s_and_not1_saveexec_b32 s13, s13
; %bb.968:
	v_mov_b32_e32 v3, 0x7f
	v_cmp_lt_u32_e32 vcc_lo, 0x7f800000, v6
	s_delay_alu instid0(VALU_DEP_2)
	v_cndmask_b32_e32 v3, 0x7e, v3, vcc_lo
; %bb.969:
	s_or_b32 exec_lo, exec_lo, s13
	v_lshrrev_b32_e32 v2, 24, v2
	s_delay_alu instid0(VALU_DEP_1)
	v_and_or_b32 v2, 0x80, v2, v3
	global_store_b8 v[0:1], v2, off
.LBB216_970:
	s_mov_b32 s13, 0
.LBB216_971:
	s_delay_alu instid0(SALU_CYCLE_1)
	s_and_not1_b32 vcc_lo, exec_lo, s13
	s_cbranch_vccnz .LBB216_981
; %bb.972:
	v_cvt_f32_f16_e32 v2, v4
	s_mov_b32 s13, exec_lo
                                        ; implicit-def: $vgpr3
	s_delay_alu instid0(VALU_DEP_1) | instskip(NEXT) | instid1(VALU_DEP_1)
	v_and_b32_e32 v6, 0x7fffffff, v2
	v_cmpx_gt_u32_e32 0x47800000, v6
	s_xor_b32 s13, exec_lo, s13
	s_cbranch_execz .LBB216_978
; %bb.973:
	s_mov_b32 s14, exec_lo
                                        ; implicit-def: $vgpr3
	v_cmpx_lt_u32_e32 0x387fffff, v6
	s_xor_b32 s14, exec_lo, s14
; %bb.974:
	v_bfe_u32 v3, v2, 21, 1
	s_delay_alu instid0(VALU_DEP_1) | instskip(NEXT) | instid1(VALU_DEP_1)
	v_add3_u32 v3, v2, v3, 0x80fffff
	v_lshrrev_b32_e32 v3, 21, v3
; %bb.975:
	s_and_not1_saveexec_b32 s14, s14
; %bb.976:
	v_add_f32_e64 v3, 0x43000000, |v2|
; %bb.977:
	s_or_b32 exec_lo, exec_lo, s14
                                        ; implicit-def: $vgpr6
.LBB216_978:
	s_and_not1_saveexec_b32 s13, s13
; %bb.979:
	v_mov_b32_e32 v3, 0x7f
	v_cmp_lt_u32_e32 vcc_lo, 0x7f800000, v6
	s_delay_alu instid0(VALU_DEP_2)
	v_cndmask_b32_e32 v3, 0x7c, v3, vcc_lo
; %bb.980:
	s_or_b32 exec_lo, exec_lo, s13
	v_lshrrev_b32_e32 v2, 24, v2
	s_delay_alu instid0(VALU_DEP_1)
	v_and_or_b32 v2, 0x80, v2, v3
	global_store_b8 v[0:1], v2, off
.LBB216_981:
	s_mov_b32 s13, 0
.LBB216_982:
	s_delay_alu instid0(SALU_CYCLE_1)
	s_and_not1_b32 vcc_lo, exec_lo, s13
	s_mov_b32 s13, 0
	s_cbranch_vccnz .LBB216_990
; %bb.983:
	v_cmp_lt_i16_e32 vcc_lo, 14, v5
	s_mov_b32 s13, -1
	s_cbranch_vccz .LBB216_987
; %bb.984:
	v_cmp_eq_u16_e32 vcc_lo, 15, v5
	s_mov_b32 s0, -1
	s_cbranch_vccz .LBB216_986
; %bb.985:
	v_cvt_f32_f16_e32 v2, v4
	v_cmp_o_f16_e32 vcc_lo, v4, v4
	s_mov_b32 s0, 0
	s_delay_alu instid0(VALU_DEP_2) | instskip(NEXT) | instid1(VALU_DEP_1)
	v_bfe_u32 v3, v2, 16, 1
	v_add3_u32 v2, v2, v3, 0x7fff
	s_delay_alu instid0(VALU_DEP_1) | instskip(NEXT) | instid1(VALU_DEP_1)
	v_lshrrev_b32_e32 v2, 16, v2
	v_cndmask_b32_e32 v2, 0x7fc0, v2, vcc_lo
	global_store_b16 v[0:1], v2, off
.LBB216_986:
	s_mov_b32 s13, 0
.LBB216_987:
	s_delay_alu instid0(SALU_CYCLE_1)
	s_and_b32 vcc_lo, exec_lo, s13
	s_mov_b32 s13, 0
	s_cbranch_vccz .LBB216_990
; %bb.988:
	v_cmp_ne_u16_e32 vcc_lo, 11, v5
	s_and_not1_b32 s0, s0, exec_lo
	s_mov_b32 s13, -1
	s_and_b32 s14, vcc_lo, exec_lo
	s_delay_alu instid0(SALU_CYCLE_1)
	s_or_b32 s0, s0, s14
	s_branch .LBB216_990
.LBB216_989:
	s_mov_b32 s13, 0
.LBB216_990:
	s_and_not1_b32 s9, s9, exec_lo
	s_and_b32 s0, s0, exec_lo
	s_and_b32 s12, s12, exec_lo
	;; [unrolled: 1-line block ×3, first 2 shown]
	s_or_b32 s9, s9, s0
.LBB216_991:
	s_or_b32 exec_lo, exec_lo, s11
	s_and_saveexec_b32 s0, s9
	s_cbranch_execnz .LBB216_1053
; %bb.992:
	s_or_b32 exec_lo, exec_lo, s0
	s_and_saveexec_b32 s0, s13
	s_delay_alu instid0(SALU_CYCLE_1)
	s_xor_b32 s0, exec_lo, s0
	s_cbranch_execz .LBB216_994
.LBB216_993:
	v_cmp_neq_f16_e32 vcc_lo, 0, v4
	v_cndmask_b32_e64 v2, 0, 1, vcc_lo
	global_store_b8 v[0:1], v2, off
.LBB216_994:
	s_or_b32 exec_lo, exec_lo, s0
	s_and_saveexec_b32 s0, s12
	s_delay_alu instid0(SALU_CYCLE_1)
	s_xor_b32 s0, exec_lo, s0
	s_cbranch_execz .LBB216_1032
; %bb.995:
	s_waitcnt vmcnt(0)
	v_cmp_gt_i16_e32 vcc_lo, 5, v5
	s_mov_b32 s9, -1
	s_cbranch_vccnz .LBB216_1016
; %bb.996:
	v_cmp_gt_i16_e32 vcc_lo, 8, v5
	s_cbranch_vccnz .LBB216_1006
; %bb.997:
	v_cmp_gt_i16_e32 vcc_lo, 9, v5
	s_cbranch_vccnz .LBB216_1003
; %bb.998:
	v_cmp_lt_i16_e32 vcc_lo, 9, v5
	s_cbranch_vccz .LBB216_1000
; %bb.999:
	v_cvt_f32_f16_e32 v2, v4
	v_mov_b32_e32 v8, 0
	s_mov_b32 s9, 0
	s_delay_alu instid0(VALU_DEP_2) | instskip(NEXT) | instid1(VALU_DEP_2)
	v_cvt_f64_f32_e32 v[6:7], v2
	v_mov_b32_e32 v9, v8
	global_store_b128 v[0:1], v[6:9], off
.LBB216_1000:
	s_and_not1_b32 vcc_lo, exec_lo, s9
	s_cbranch_vccnz .LBB216_1002
; %bb.1001:
	v_cvt_f32_f16_e32 v2, v4
	v_mov_b32_e32 v3, 0
	global_store_b64 v[0:1], v[2:3], off
.LBB216_1002:
	s_mov_b32 s9, 0
.LBB216_1003:
	s_delay_alu instid0(SALU_CYCLE_1)
	s_and_not1_b32 vcc_lo, exec_lo, s9
	s_cbranch_vccnz .LBB216_1005
; %bb.1004:
	v_and_b32_e32 v2, 0xffff, v4
	global_store_b32 v[0:1], v2, off
.LBB216_1005:
	s_mov_b32 s9, 0
.LBB216_1006:
	s_delay_alu instid0(SALU_CYCLE_1)
	s_and_not1_b32 vcc_lo, exec_lo, s9
	s_cbranch_vccnz .LBB216_1015
; %bb.1007:
	v_cmp_gt_i16_e32 vcc_lo, 6, v5
	s_mov_b32 s9, -1
	s_cbranch_vccnz .LBB216_1013
; %bb.1008:
	v_cmp_lt_i16_e32 vcc_lo, 6, v5
	s_cbranch_vccz .LBB216_1010
; %bb.1009:
	v_cvt_f32_f16_e32 v2, v4
	s_mov_b32 s9, 0
	s_delay_alu instid0(VALU_DEP_1)
	v_cvt_f64_f32_e32 v[2:3], v2
	global_store_b64 v[0:1], v[2:3], off
.LBB216_1010:
	s_and_not1_b32 vcc_lo, exec_lo, s9
	s_cbranch_vccnz .LBB216_1012
; %bb.1011:
	v_cvt_f32_f16_e32 v2, v4
	global_store_b32 v[0:1], v2, off
.LBB216_1012:
	s_mov_b32 s9, 0
.LBB216_1013:
	s_delay_alu instid0(SALU_CYCLE_1)
	s_and_not1_b32 vcc_lo, exec_lo, s9
	s_cbranch_vccnz .LBB216_1015
; %bb.1014:
	global_store_b16 v[0:1], v4, off
.LBB216_1015:
	s_mov_b32 s9, 0
.LBB216_1016:
	s_delay_alu instid0(SALU_CYCLE_1)
	s_and_not1_b32 vcc_lo, exec_lo, s9
	s_cbranch_vccnz .LBB216_1032
; %bb.1017:
	v_cmp_gt_i16_e32 vcc_lo, 2, v5
	s_mov_b32 s9, -1
	s_cbranch_vccnz .LBB216_1027
; %bb.1018:
	v_cmp_gt_i16_e32 vcc_lo, 3, v5
	s_cbranch_vccnz .LBB216_1024
; %bb.1019:
	v_cmp_lt_i16_e32 vcc_lo, 3, v5
	s_cbranch_vccz .LBB216_1021
; %bb.1020:
	v_cvt_f32_f16_e32 v2, v4
	s_mov_b32 s9, 0
	s_delay_alu instid0(VALU_DEP_1) | instskip(NEXT) | instid1(VALU_DEP_1)
	v_cvt_i32_f32_e32 v2, v2
	v_ashrrev_i32_e32 v3, 31, v2
	global_store_b64 v[0:1], v[2:3], off
.LBB216_1021:
	s_and_not1_b32 vcc_lo, exec_lo, s9
	s_cbranch_vccnz .LBB216_1023
; %bb.1022:
	v_cvt_f32_f16_e32 v2, v4
	s_delay_alu instid0(VALU_DEP_1)
	v_cvt_i32_f32_e32 v2, v2
	global_store_b32 v[0:1], v2, off
.LBB216_1023:
	s_mov_b32 s9, 0
.LBB216_1024:
	s_delay_alu instid0(SALU_CYCLE_1)
	s_and_not1_b32 vcc_lo, exec_lo, s9
	s_cbranch_vccnz .LBB216_1026
; %bb.1025:
	v_cvt_i16_f16_e32 v2, v4
	global_store_b16 v[0:1], v2, off
.LBB216_1026:
	s_mov_b32 s9, 0
.LBB216_1027:
	s_delay_alu instid0(SALU_CYCLE_1)
	s_and_not1_b32 vcc_lo, exec_lo, s9
	s_cbranch_vccnz .LBB216_1032
; %bb.1028:
	v_cmp_lt_i16_e32 vcc_lo, 0, v5
	s_mov_b32 s9, -1
	s_cbranch_vccz .LBB216_1030
; %bb.1029:
	v_cvt_i16_f16_e32 v2, v4
	s_mov_b32 s9, 0
	global_store_b8 v[0:1], v2, off
.LBB216_1030:
	s_and_not1_b32 vcc_lo, exec_lo, s9
	s_cbranch_vccnz .LBB216_1032
; %bb.1031:
	v_cvt_f32_f16_e32 v2, v4
	s_delay_alu instid0(VALU_DEP_1)
	v_cvt_i32_f32_e32 v2, v2
	global_store_b8 v[0:1], v2, off
.LBB216_1032:
	s_or_b32 exec_lo, exec_lo, s0
	s_delay_alu instid0(SALU_CYCLE_1)
	s_and_b32 s9, s10, exec_lo
                                        ; implicit-def: $vgpr3
                                        ; implicit-def: $vgpr4
                                        ; implicit-def: $vgpr2
.LBB216_1033:
	s_or_saveexec_b32 s8, s8
	s_mov_b32 s0, 0
                                        ; implicit-def: $vgpr5
                                        ; implicit-def: $vgpr0_vgpr1
                                        ; implicit-def: $vgpr6
	s_xor_b32 exec_lo, exec_lo, s8
	s_cbranch_execz .LBB216_1998
; %bb.1034:
	s_waitcnt vmcnt(0)
	v_mul_lo_u32 v6, s3, v3
	v_cmp_gt_i16_e32 vcc_lo, 11, v4
	s_delay_alu instid0(VALU_DEP_2) | instskip(SKIP_1) | instid1(VALU_DEP_1)
	v_ashrrev_i32_e32 v1, 31, v6
	v_add_co_u32 v0, s0, s6, v6
	v_add_co_ci_u32_e64 v1, s0, s7, v1, s0
	s_cbranch_vccnz .LBB216_1041
; %bb.1035:
	v_cmp_lt_i16_e32 vcc_lo, 25, v4
	s_mov_b32 s10, 0
	s_cbranch_vccz .LBB216_1047
; %bb.1036:
	v_cmp_lt_i16_e32 vcc_lo, 28, v4
	s_cbranch_vccz .LBB216_1049
; %bb.1037:
	v_cmp_lt_i16_e32 vcc_lo, 43, v4
	;; [unrolled: 3-line block ×3, first 2 shown]
	s_cbranch_vccz .LBB216_1055
; %bb.1039:
	v_cmp_eq_u16_e32 vcc_lo, 46, v4
	s_cbranch_vccz .LBB216_1095
; %bb.1040:
	global_load_b32 v5, v[0:1], off
	s_mov_b32 s0, 0
	s_mov_b32 s11, -1
	s_waitcnt vmcnt(0)
	v_lshlrev_b32_e32 v5, 16, v5
	s_delay_alu instid0(VALU_DEP_1)
	v_cvt_f16_f32_e32 v5, v5
	s_branch .LBB216_1097
.LBB216_1041:
	s_mov_b32 s11, 0
	s_mov_b32 s1, s9
                                        ; implicit-def: $vgpr5
	s_cbranch_execz .LBB216_1160
; %bb.1042:
	v_cmp_gt_i16_e32 vcc_lo, 5, v4
	s_cbranch_vccnz .LBB216_1048
; %bb.1043:
	v_cmp_gt_i16_e32 vcc_lo, 8, v4
	s_cbranch_vccnz .LBB216_1050
	;; [unrolled: 3-line block ×3, first 2 shown]
; %bb.1045:
	v_cmp_lt_i16_e32 vcc_lo, 9, v4
	s_cbranch_vccz .LBB216_1056
; %bb.1046:
	global_load_b64 v[7:8], v[0:1], off
	s_mov_b32 s0, 0
	s_waitcnt vmcnt(0)
	v_cvt_f32_f64_e32 v5, v[7:8]
	s_delay_alu instid0(VALU_DEP_1)
	v_cvt_f16_f32_e32 v5, v5
	s_branch .LBB216_1057
.LBB216_1047:
	s_mov_b32 s11, 0
	s_mov_b32 s0, 0
                                        ; implicit-def: $vgpr5
	s_cbranch_execnz .LBB216_1125
	s_branch .LBB216_1156
.LBB216_1048:
                                        ; implicit-def: $vgpr5
	s_branch .LBB216_1074
.LBB216_1049:
	s_mov_b32 s1, -1
	s_mov_b32 s11, 0
	s_mov_b32 s0, 0
                                        ; implicit-def: $vgpr5
	s_branch .LBB216_1106
.LBB216_1050:
                                        ; implicit-def: $vgpr5
	s_branch .LBB216_1063
.LBB216_1051:
	s_mov_b32 s11, 0
	s_mov_b32 s0, 0
                                        ; implicit-def: $vgpr5
	s_cbranch_execnz .LBB216_1102
	s_branch .LBB216_1105
.LBB216_1052:
	s_mov_b32 s0, -1
                                        ; implicit-def: $vgpr5
	s_branch .LBB216_1060
.LBB216_1053:
	s_cbranch_execnz .LBB216_1093
; %bb.1054:
	s_or_b32 s10, s10, exec_lo
	s_and_not1_b32 s13, s13, exec_lo
	s_or_b32 exec_lo, exec_lo, s0
	s_and_saveexec_b32 s0, s13
	s_delay_alu instid0(SALU_CYCLE_1)
	s_xor_b32 s0, exec_lo, s0
	s_cbranch_execnz .LBB216_993
	s_branch .LBB216_994
.LBB216_1055:
	s_mov_b32 s1, -1
	s_mov_b32 s11, 0
	s_mov_b32 s0, 0
	s_branch .LBB216_1096
.LBB216_1056:
	s_mov_b32 s0, -1
                                        ; implicit-def: $vgpr5
.LBB216_1057:
	s_delay_alu instid0(SALU_CYCLE_1)
	s_and_not1_b32 vcc_lo, exec_lo, s0
	s_cbranch_vccnz .LBB216_1059
; %bb.1058:
	global_load_b32 v5, v[0:1], off
	s_waitcnt vmcnt(0)
	v_cvt_f16_f32_e32 v5, v5
.LBB216_1059:
	s_mov_b32 s0, 0
.LBB216_1060:
	s_delay_alu instid0(SALU_CYCLE_1)
	s_and_not1_b32 vcc_lo, exec_lo, s0
	s_cbranch_vccnz .LBB216_1062
; %bb.1061:
	global_load_b32 v5, v[0:1], off
.LBB216_1062:
	s_cbranch_execnz .LBB216_1073
.LBB216_1063:
	v_cmp_gt_i16_e32 vcc_lo, 6, v4
	s_cbranch_vccnz .LBB216_1066
; %bb.1064:
	v_cmp_lt_i16_e32 vcc_lo, 6, v4
	s_cbranch_vccz .LBB216_1067
; %bb.1065:
	global_load_b64 v[7:8], v[0:1], off
	s_mov_b32 s0, 0
	s_waitcnt vmcnt(0)
	v_cvt_f32_f64_e32 v5, v[7:8]
	s_delay_alu instid0(VALU_DEP_1)
	v_cvt_f16_f32_e32 v5, v5
	s_branch .LBB216_1068
.LBB216_1066:
	s_mov_b32 s0, -1
                                        ; implicit-def: $vgpr5
	s_branch .LBB216_1071
.LBB216_1067:
	s_mov_b32 s0, -1
                                        ; implicit-def: $vgpr5
.LBB216_1068:
	s_delay_alu instid0(SALU_CYCLE_1)
	s_and_not1_b32 vcc_lo, exec_lo, s0
	s_cbranch_vccnz .LBB216_1070
; %bb.1069:
	global_load_b32 v5, v[0:1], off
	s_waitcnt vmcnt(0)
	v_cvt_f16_f32_e32 v5, v5
.LBB216_1070:
	s_mov_b32 s0, 0
.LBB216_1071:
	s_delay_alu instid0(SALU_CYCLE_1)
	s_and_not1_b32 vcc_lo, exec_lo, s0
	s_cbranch_vccnz .LBB216_1073
; %bb.1072:
	global_load_u16 v5, v[0:1], off
.LBB216_1073:
	s_cbranch_execnz .LBB216_1092
.LBB216_1074:
	v_cmp_gt_i16_e32 vcc_lo, 2, v4
	s_cbranch_vccnz .LBB216_1078
; %bb.1075:
	v_cmp_gt_i16_e32 vcc_lo, 3, v4
	s_cbranch_vccnz .LBB216_1079
; %bb.1076:
	v_cmp_lt_i16_e32 vcc_lo, 3, v4
	s_cbranch_vccz .LBB216_1080
; %bb.1077:
	global_load_b64 v[7:8], v[0:1], off
	s_mov_b32 s0, 0
	s_waitcnt vmcnt(0)
	v_xor_b32_e32 v5, v7, v8
	v_cls_i32_e32 v9, v8
	s_delay_alu instid0(VALU_DEP_2) | instskip(NEXT) | instid1(VALU_DEP_2)
	v_ashrrev_i32_e32 v5, 31, v5
	v_add_nc_u32_e32 v9, -1, v9
	s_delay_alu instid0(VALU_DEP_2) | instskip(NEXT) | instid1(VALU_DEP_1)
	v_add_nc_u32_e32 v5, 32, v5
	v_min_u32_e32 v5, v9, v5
	s_delay_alu instid0(VALU_DEP_1) | instskip(SKIP_1) | instid1(VALU_DEP_2)
	v_lshlrev_b64 v[7:8], v5, v[7:8]
	v_sub_nc_u32_e32 v5, 32, v5
	v_min_u32_e32 v7, 1, v7
	s_delay_alu instid0(VALU_DEP_1) | instskip(NEXT) | instid1(VALU_DEP_1)
	v_or_b32_e32 v7, v8, v7
	v_cvt_f32_i32_e32 v7, v7
	s_delay_alu instid0(VALU_DEP_1) | instskip(NEXT) | instid1(VALU_DEP_1)
	v_ldexp_f32 v5, v7, v5
	v_cvt_f16_f32_e32 v5, v5
	s_branch .LBB216_1081
.LBB216_1078:
                                        ; implicit-def: $vgpr5
	s_branch .LBB216_1087
.LBB216_1079:
	s_mov_b32 s0, -1
                                        ; implicit-def: $vgpr5
	s_branch .LBB216_1084
.LBB216_1080:
	s_mov_b32 s0, -1
                                        ; implicit-def: $vgpr5
.LBB216_1081:
	s_delay_alu instid0(SALU_CYCLE_1)
	s_and_not1_b32 vcc_lo, exec_lo, s0
	s_cbranch_vccnz .LBB216_1083
; %bb.1082:
	global_load_b32 v5, v[0:1], off
	s_waitcnt vmcnt(0)
	v_cvt_f32_i32_e32 v5, v5
	s_delay_alu instid0(VALU_DEP_1)
	v_cvt_f16_f32_e32 v5, v5
.LBB216_1083:
	s_mov_b32 s0, 0
.LBB216_1084:
	s_delay_alu instid0(SALU_CYCLE_1)
	s_and_not1_b32 vcc_lo, exec_lo, s0
	s_cbranch_vccnz .LBB216_1086
; %bb.1085:
	global_load_u16 v5, v[0:1], off
	s_waitcnt vmcnt(0)
	v_cvt_f16_i16_e32 v5, v5
.LBB216_1086:
	s_cbranch_execnz .LBB216_1092
.LBB216_1087:
	v_cmp_lt_i16_e32 vcc_lo, 0, v4
	s_mov_b32 s0, 0
	s_cbranch_vccz .LBB216_1089
; %bb.1088:
	global_load_i8 v5, v[0:1], off
	s_waitcnt vmcnt(0)
	v_cvt_f16_i16_e32 v5, v5
	s_branch .LBB216_1090
.LBB216_1089:
	s_mov_b32 s0, -1
                                        ; implicit-def: $vgpr5
.LBB216_1090:
	s_delay_alu instid0(SALU_CYCLE_1)
	s_and_not1_b32 vcc_lo, exec_lo, s0
	s_cbranch_vccnz .LBB216_1092
; %bb.1091:
	global_load_u8 v0, v[0:1], off
	s_waitcnt vmcnt(0)
	v_cvt_f16_u16_e32 v5, v0
.LBB216_1092:
	s_branch .LBB216_1161
.LBB216_1093:
	s_trap 2
	s_sendmsg_rtn_b32 s0, sendmsg(MSG_RTN_GET_DOORBELL)
	s_mov_b32 ttmp2, m0
	s_waitcnt lgkmcnt(0)
	s_and_b32 s0, s0, 0x3ff
	s_delay_alu instid0(SALU_CYCLE_1) | instskip(NEXT) | instid1(SALU_CYCLE_1)
	s_bitset1_b32 s0, 10
	s_mov_b32 m0, s0
	s_sendmsg sendmsg(MSG_INTERRUPT)
	s_mov_b32 m0, ttmp2
.LBB216_1094:                           ; =>This Inner Loop Header: Depth=1
	s_sethalt 5
	s_branch .LBB216_1094
.LBB216_1095:
	s_mov_b32 s0, -1
	s_mov_b32 s11, 0
.LBB216_1096:
                                        ; implicit-def: $vgpr5
.LBB216_1097:
	s_and_b32 vcc_lo, exec_lo, s1
	s_cbranch_vccz .LBB216_1100
; %bb.1098:
	v_cmp_eq_u16_e32 vcc_lo, 44, v4
	s_cbranch_vccz .LBB216_1101
; %bb.1099:
	global_load_u8 v5, v[0:1], off
	s_mov_b32 s0, 0
	s_mov_b32 s11, -1
	s_waitcnt vmcnt(0)
	v_lshlrev_b32_e32 v7, 23, v5
	v_cmp_ne_u32_e32 vcc_lo, 0xff, v5
	s_delay_alu instid0(VALU_DEP_2) | instskip(NEXT) | instid1(VALU_DEP_1)
	v_cvt_f16_f32_e32 v7, v7
	v_cndmask_b32_e32 v7, 0x7e00, v7, vcc_lo
	v_cmp_ne_u32_e32 vcc_lo, 0, v5
	s_delay_alu instid0(VALU_DEP_2)
	v_cndmask_b32_e32 v5, 0, v7, vcc_lo
.LBB216_1100:
	s_branch .LBB216_1105
.LBB216_1101:
	s_mov_b32 s0, -1
                                        ; implicit-def: $vgpr5
	s_branch .LBB216_1105
.LBB216_1102:
	v_cmp_eq_u16_e32 vcc_lo, 29, v4
	s_cbranch_vccz .LBB216_1104
; %bb.1103:
	global_load_b64 v[7:8], v[0:1], off
	s_mov_b32 s0, 0
	s_mov_b32 s11, -1
	s_mov_b32 s1, 0
	s_waitcnt vmcnt(0)
	v_clz_i32_u32_e32 v5, v8
	s_delay_alu instid0(VALU_DEP_1) | instskip(NEXT) | instid1(VALU_DEP_1)
	v_min_u32_e32 v5, 32, v5
	v_lshlrev_b64 v[7:8], v5, v[7:8]
	v_sub_nc_u32_e32 v5, 32, v5
	s_delay_alu instid0(VALU_DEP_2) | instskip(NEXT) | instid1(VALU_DEP_1)
	v_min_u32_e32 v7, 1, v7
	v_or_b32_e32 v7, v8, v7
	s_delay_alu instid0(VALU_DEP_1) | instskip(NEXT) | instid1(VALU_DEP_1)
	v_cvt_f32_u32_e32 v7, v7
	v_ldexp_f32 v5, v7, v5
	s_delay_alu instid0(VALU_DEP_1)
	v_cvt_f16_f32_e32 v5, v5
	s_branch .LBB216_1106
.LBB216_1104:
	s_mov_b32 s0, -1
                                        ; implicit-def: $vgpr5
.LBB216_1105:
	s_mov_b32 s1, 0
.LBB216_1106:
	s_delay_alu instid0(SALU_CYCLE_1)
	s_and_b32 vcc_lo, exec_lo, s1
	s_cbranch_vccz .LBB216_1124
; %bb.1107:
	v_cmp_gt_i16_e32 vcc_lo, 27, v4
	s_cbranch_vccnz .LBB216_1110
; %bb.1108:
	v_cmp_lt_i16_e32 vcc_lo, 27, v4
	s_cbranch_vccz .LBB216_1111
; %bb.1109:
	global_load_b32 v5, v[0:1], off
	s_mov_b32 s1, 0
	s_waitcnt vmcnt(0)
	v_cvt_f32_u32_e32 v5, v5
	s_delay_alu instid0(VALU_DEP_1)
	v_cvt_f16_f32_e32 v5, v5
	s_branch .LBB216_1112
.LBB216_1110:
	s_mov_b32 s1, -1
                                        ; implicit-def: $vgpr5
	s_branch .LBB216_1115
.LBB216_1111:
	s_mov_b32 s1, -1
                                        ; implicit-def: $vgpr5
.LBB216_1112:
	s_delay_alu instid0(SALU_CYCLE_1)
	s_and_not1_b32 vcc_lo, exec_lo, s1
	s_cbranch_vccnz .LBB216_1114
; %bb.1113:
	global_load_u16 v5, v[0:1], off
	s_waitcnt vmcnt(0)
	v_cvt_f16_u16_e32 v5, v5
.LBB216_1114:
	s_mov_b32 s1, 0
.LBB216_1115:
	s_delay_alu instid0(SALU_CYCLE_1)
	s_and_not1_b32 vcc_lo, exec_lo, s1
	s_cbranch_vccnz .LBB216_1123
; %bb.1116:
	global_load_u8 v7, v[0:1], off
	s_mov_b32 s1, 0
	s_mov_b32 s12, exec_lo
                                        ; implicit-def: $sgpr11
	s_waitcnt vmcnt(0)
	v_cmpx_lt_i16_e32 0x7f, v7
	s_xor_b32 s12, exec_lo, s12
	s_cbranch_execz .LBB216_1136
; %bb.1117:
	s_mov_b32 s1, -1
	s_mov_b32 s13, exec_lo
                                        ; implicit-def: $sgpr11
	v_cmpx_eq_u16_e32 0x80, v7
; %bb.1118:
	s_movk_i32 s11, 0x7e00
	s_xor_b32 s1, exec_lo, -1
; %bb.1119:
	s_or_b32 exec_lo, exec_lo, s13
	s_delay_alu instid0(SALU_CYCLE_1)
	s_and_b32 s1, s1, exec_lo
	s_or_saveexec_b32 s12, s12
	v_mov_b32_e32 v5, s11
	s_xor_b32 exec_lo, exec_lo, s12
	s_cbranch_execnz .LBB216_1137
.LBB216_1120:
	s_or_b32 exec_lo, exec_lo, s12
	s_and_saveexec_b32 s11, s1
	s_cbranch_execz .LBB216_1122
.LBB216_1121:
	v_and_b32_e32 v5, 0xffff, v7
	v_lshlrev_b32_e32 v7, 24, v7
	s_delay_alu instid0(VALU_DEP_2) | instskip(NEXT) | instid1(VALU_DEP_2)
	v_and_b32_e32 v8, 7, v5
	v_and_b32_e32 v7, 0x80000000, v7
	s_delay_alu instid0(VALU_DEP_2) | instskip(NEXT) | instid1(VALU_DEP_1)
	v_clz_i32_u32_e32 v9, v8
	v_min_u32_e32 v9, 32, v9
	s_delay_alu instid0(VALU_DEP_1) | instskip(SKIP_1) | instid1(VALU_DEP_2)
	v_subrev_nc_u32_e32 v10, 28, v9
	v_sub_nc_u32_e32 v9, 29, v9
	v_lshlrev_b32_e32 v10, v10, v5
	v_bfe_u32 v5, v5, 3, 4
	s_delay_alu instid0(VALU_DEP_1) | instskip(NEXT) | instid1(VALU_DEP_3)
	v_cmp_eq_u32_e32 vcc_lo, 0, v5
	v_dual_cndmask_b32 v5, v5, v9 :: v_dual_and_b32 v10, 7, v10
	s_delay_alu instid0(VALU_DEP_1) | instskip(NEXT) | instid1(VALU_DEP_2)
	v_cndmask_b32_e32 v8, v8, v10, vcc_lo
	v_lshl_add_u32 v5, v5, 23, 0x3b800000
	s_delay_alu instid0(VALU_DEP_2) | instskip(NEXT) | instid1(VALU_DEP_1)
	v_lshlrev_b32_e32 v8, 20, v8
	v_or3_b32 v5, v7, v5, v8
	s_delay_alu instid0(VALU_DEP_1)
	v_cvt_f16_f32_e32 v5, v5
.LBB216_1122:
	s_or_b32 exec_lo, exec_lo, s11
.LBB216_1123:
	s_mov_b32 s11, -1
.LBB216_1124:
	s_branch .LBB216_1156
.LBB216_1125:
	v_cmp_lt_i16_e32 vcc_lo, 22, v4
	s_cbranch_vccz .LBB216_1135
; %bb.1126:
	v_cmp_gt_i16_e32 vcc_lo, 24, v4
	s_cbranch_vccnz .LBB216_1138
; %bb.1127:
	v_cmp_lt_i16_e32 vcc_lo, 24, v4
	s_cbranch_vccz .LBB216_1139
; %bb.1128:
	global_load_u8 v7, v[0:1], off
	s_mov_b32 s1, 0
	s_mov_b32 s11, exec_lo
                                        ; implicit-def: $sgpr10
	s_waitcnt vmcnt(0)
	v_cmpx_lt_i16_e32 0x7f, v7
	s_xor_b32 s11, exec_lo, s11
	s_cbranch_execz .LBB216_1150
; %bb.1129:
	s_mov_b32 s1, -1
	s_mov_b32 s12, exec_lo
                                        ; implicit-def: $sgpr10
	v_cmpx_eq_u16_e32 0x80, v7
; %bb.1130:
	s_movk_i32 s10, 0x7e00
	s_xor_b32 s1, exec_lo, -1
; %bb.1131:
	s_or_b32 exec_lo, exec_lo, s12
	s_delay_alu instid0(SALU_CYCLE_1)
	s_and_b32 s1, s1, exec_lo
	s_or_saveexec_b32 s11, s11
	v_mov_b32_e32 v5, s10
	s_xor_b32 exec_lo, exec_lo, s11
	s_cbranch_execnz .LBB216_1151
.LBB216_1132:
	s_or_b32 exec_lo, exec_lo, s11
	s_and_saveexec_b32 s10, s1
	s_cbranch_execz .LBB216_1134
.LBB216_1133:
	v_and_b32_e32 v5, 0xffff, v7
	v_lshlrev_b32_e32 v7, 24, v7
	s_delay_alu instid0(VALU_DEP_2) | instskip(NEXT) | instid1(VALU_DEP_2)
	v_and_b32_e32 v8, 3, v5
	v_and_b32_e32 v7, 0x80000000, v7
	s_delay_alu instid0(VALU_DEP_2) | instskip(NEXT) | instid1(VALU_DEP_1)
	v_clz_i32_u32_e32 v9, v8
	v_min_u32_e32 v9, 32, v9
	s_delay_alu instid0(VALU_DEP_1) | instskip(SKIP_1) | instid1(VALU_DEP_2)
	v_subrev_nc_u32_e32 v10, 29, v9
	v_sub_nc_u32_e32 v9, 30, v9
	v_lshlrev_b32_e32 v10, v10, v5
	v_bfe_u32 v5, v5, 2, 5
	s_delay_alu instid0(VALU_DEP_1) | instskip(NEXT) | instid1(VALU_DEP_3)
	v_cmp_eq_u32_e32 vcc_lo, 0, v5
	v_dual_cndmask_b32 v5, v5, v9 :: v_dual_and_b32 v10, 3, v10
	s_delay_alu instid0(VALU_DEP_1) | instskip(NEXT) | instid1(VALU_DEP_2)
	v_cndmask_b32_e32 v8, v8, v10, vcc_lo
	v_lshl_add_u32 v5, v5, 23, 0x37800000
	s_delay_alu instid0(VALU_DEP_2) | instskip(NEXT) | instid1(VALU_DEP_1)
	v_lshlrev_b32_e32 v8, 21, v8
	v_or3_b32 v5, v7, v5, v8
	s_delay_alu instid0(VALU_DEP_1)
	v_cvt_f16_f32_e32 v5, v5
.LBB216_1134:
	s_or_b32 exec_lo, exec_lo, s10
	s_mov_b32 s1, 0
	s_branch .LBB216_1140
.LBB216_1135:
                                        ; implicit-def: $vgpr5
	s_mov_b32 s10, 0
	s_branch .LBB216_1146
.LBB216_1136:
	s_or_saveexec_b32 s12, s12
	v_mov_b32_e32 v5, s11
	s_xor_b32 exec_lo, exec_lo, s12
	s_cbranch_execz .LBB216_1120
.LBB216_1137:
	v_cmp_ne_u16_e32 vcc_lo, 0, v7
	v_mov_b32_e32 v5, v7
	s_and_not1_b32 s1, s1, exec_lo
	s_and_b32 s11, vcc_lo, exec_lo
	s_delay_alu instid0(SALU_CYCLE_1)
	s_or_b32 s1, s1, s11
	s_or_b32 exec_lo, exec_lo, s12
	s_and_saveexec_b32 s11, s1
	s_cbranch_execnz .LBB216_1121
	s_branch .LBB216_1122
.LBB216_1138:
	s_mov_b32 s1, -1
                                        ; implicit-def: $vgpr5
	s_branch .LBB216_1143
.LBB216_1139:
	s_mov_b32 s1, -1
                                        ; implicit-def: $vgpr5
.LBB216_1140:
	s_delay_alu instid0(SALU_CYCLE_1)
	s_and_b32 vcc_lo, exec_lo, s1
	s_cbranch_vccz .LBB216_1142
; %bb.1141:
	global_load_u8 v5, v[0:1], off
	s_waitcnt vmcnt(0)
	v_lshlrev_b32_e32 v5, 24, v5
	s_delay_alu instid0(VALU_DEP_1) | instskip(NEXT) | instid1(VALU_DEP_1)
	v_and_b32_e32 v7, 0x7f000000, v5
	v_clz_i32_u32_e32 v8, v7
	v_cmp_ne_u32_e32 vcc_lo, 0, v7
	v_add_nc_u32_e32 v10, 0x1000000, v7
	s_delay_alu instid0(VALU_DEP_3) | instskip(NEXT) | instid1(VALU_DEP_1)
	v_min_u32_e32 v8, 32, v8
	v_sub_nc_u32_e64 v8, v8, 4 clamp
	s_delay_alu instid0(VALU_DEP_1) | instskip(SKIP_1) | instid1(VALU_DEP_2)
	v_lshlrev_b32_e32 v9, v8, v7
	v_lshlrev_b32_e32 v8, 23, v8
	v_lshrrev_b32_e32 v9, 4, v9
	s_delay_alu instid0(VALU_DEP_1) | instskip(SKIP_1) | instid1(VALU_DEP_2)
	v_sub_nc_u32_e32 v8, v9, v8
	v_ashrrev_i32_e32 v9, 8, v10
	v_add_nc_u32_e32 v8, 0x3c000000, v8
	s_delay_alu instid0(VALU_DEP_1) | instskip(NEXT) | instid1(VALU_DEP_1)
	v_and_or_b32 v8, 0x7f800000, v9, v8
	v_cndmask_b32_e32 v7, 0, v8, vcc_lo
	s_delay_alu instid0(VALU_DEP_1) | instskip(NEXT) | instid1(VALU_DEP_1)
	v_and_or_b32 v5, 0x80000000, v5, v7
	v_cvt_f16_f32_e32 v5, v5
.LBB216_1142:
	s_mov_b32 s1, 0
.LBB216_1143:
	s_delay_alu instid0(SALU_CYCLE_1)
	s_and_not1_b32 vcc_lo, exec_lo, s1
	s_cbranch_vccnz .LBB216_1145
; %bb.1144:
	global_load_u8 v5, v[0:1], off
	s_waitcnt vmcnt(0)
	v_lshlrev_b32_e32 v7, 25, v5
	v_lshlrev_b16 v5, 8, v5
	s_delay_alu instid0(VALU_DEP_2) | instskip(NEXT) | instid1(VALU_DEP_2)
	v_lshrrev_b32_e32 v8, 4, v7
	v_and_or_b32 v9, 0x7f00, v5, 0.5
	v_bfe_i32 v5, v5, 0, 16
	s_delay_alu instid0(VALU_DEP_3) | instskip(NEXT) | instid1(VALU_DEP_1)
	v_or_b32_e32 v8, 0x70000000, v8
	v_dual_add_f32 v9, -0.5, v9 :: v_dual_mul_f32 v8, 0x7800000, v8
	v_cmp_gt_u32_e32 vcc_lo, 0x8000000, v7
	s_delay_alu instid0(VALU_DEP_2) | instskip(NEXT) | instid1(VALU_DEP_1)
	v_cndmask_b32_e32 v7, v8, v9, vcc_lo
	v_and_or_b32 v5, 0x80000000, v5, v7
	s_delay_alu instid0(VALU_DEP_1)
	v_cvt_f16_f32_e32 v5, v5
.LBB216_1145:
	s_mov_b32 s11, -1
	s_mov_b32 s10, 0
	s_cbranch_execnz .LBB216_1156
.LBB216_1146:
	v_cmp_lt_i16_e32 vcc_lo, 14, v4
	s_cbranch_vccz .LBB216_1149
; %bb.1147:
	v_cmp_eq_u16_e32 vcc_lo, 15, v4
	s_cbranch_vccz .LBB216_1152
; %bb.1148:
	global_load_u16 v5, v[0:1], off
	s_mov_b32 s0, 0
	s_mov_b32 s11, -1
	s_waitcnt vmcnt(0)
	v_lshlrev_b32_e32 v5, 16, v5
	s_delay_alu instid0(VALU_DEP_1)
	v_cvt_f16_f32_e32 v5, v5
	s_branch .LBB216_1153
.LBB216_1149:
	s_mov_b32 s1, -1
                                        ; implicit-def: $vgpr5
	s_branch .LBB216_1154
.LBB216_1150:
	s_or_saveexec_b32 s11, s11
	v_mov_b32_e32 v5, s10
	s_xor_b32 exec_lo, exec_lo, s11
	s_cbranch_execz .LBB216_1132
.LBB216_1151:
	v_cmp_ne_u16_e32 vcc_lo, 0, v7
	v_mov_b32_e32 v5, v7
	s_and_not1_b32 s1, s1, exec_lo
	s_and_b32 s10, vcc_lo, exec_lo
	s_delay_alu instid0(SALU_CYCLE_1)
	s_or_b32 s1, s1, s10
	s_or_b32 exec_lo, exec_lo, s11
	s_and_saveexec_b32 s10, s1
	s_cbranch_execnz .LBB216_1133
	s_branch .LBB216_1134
.LBB216_1152:
	s_mov_b32 s0, -1
                                        ; implicit-def: $vgpr5
.LBB216_1153:
	s_mov_b32 s1, 0
.LBB216_1154:
	s_delay_alu instid0(SALU_CYCLE_1)
	s_and_b32 vcc_lo, exec_lo, s1
	s_cbranch_vccz .LBB216_1156
; %bb.1155:
	v_cmp_ne_u16_e64 s0, 11, v4
	s_mov_b32 s10, -1
                                        ; implicit-def: $vgpr5
.LBB216_1156:
	s_delay_alu instid0(VALU_DEP_1)
	s_and_b32 vcc_lo, exec_lo, s0
	s_mov_b32 s1, s9
	s_cbranch_vccnz .LBB216_1180
; %bb.1157:
	s_and_not1_b32 vcc_lo, exec_lo, s10
	s_cbranch_vccnz .LBB216_1159
.LBB216_1158:
	global_load_u8 v5, v[0:1], off
	s_mov_b32 s11, -1
	s_waitcnt vmcnt(0)
	v_cmp_ne_u16_e32 vcc_lo, 0, v5
	v_cndmask_b32_e64 v5, 0, 0x3c00, vcc_lo
.LBB216_1159:
.LBB216_1160:
	s_and_not1_b32 vcc_lo, exec_lo, s11
	s_cbranch_vccnz .LBB216_1996
.LBB216_1161:
	s_lshl_b32 s3, s3, 7
	v_cmp_gt_i16_e32 vcc_lo, 11, v4
	v_add_nc_u32_e32 v7, s3, v6
	s_delay_alu instid0(VALU_DEP_1) | instskip(SKIP_1) | instid1(VALU_DEP_1)
	v_ashrrev_i32_e32 v1, 31, v7
	v_add_co_u32 v0, s0, s6, v7
	v_add_co_ci_u32_e64 v1, s0, s7, v1, s0
	s_cbranch_vccnz .LBB216_1168
; %bb.1162:
	v_cmp_lt_i16_e32 vcc_lo, 25, v4
	s_mov_b32 s10, 0
	s_cbranch_vccz .LBB216_1174
; %bb.1163:
	v_cmp_lt_i16_e32 vcc_lo, 28, v4
	s_cbranch_vccz .LBB216_1176
; %bb.1164:
	v_cmp_lt_i16_e32 vcc_lo, 43, v4
	;; [unrolled: 3-line block ×3, first 2 shown]
	s_cbranch_vccz .LBB216_1184
; %bb.1166:
	v_cmp_eq_u16_e32 vcc_lo, 46, v4
	s_mov_b32 s12, 0
	s_cbranch_vccz .LBB216_1228
; %bb.1167:
	global_load_b32 v6, v[0:1], off
	s_mov_b32 s0, 0
	s_mov_b32 s11, -1
	s_waitcnt vmcnt(0)
	v_lshlrev_b32_e32 v6, 16, v6
	s_delay_alu instid0(VALU_DEP_1)
	v_cvt_f16_f32_e32 v6, v6
	s_branch .LBB216_1230
.LBB216_1168:
	s_mov_b32 s11, 0
                                        ; implicit-def: $vgpr6
	s_cbranch_execz .LBB216_1295
; %bb.1169:
	v_cmp_gt_i16_e32 vcc_lo, 5, v4
	s_cbranch_vccnz .LBB216_1175
; %bb.1170:
	v_cmp_gt_i16_e32 vcc_lo, 8, v4
	s_cbranch_vccnz .LBB216_1177
	;; [unrolled: 3-line block ×3, first 2 shown]
; %bb.1172:
	v_cmp_lt_i16_e32 vcc_lo, 9, v4
	s_cbranch_vccz .LBB216_1185
; %bb.1173:
	global_load_b64 v[8:9], v[0:1], off
	s_mov_b32 s0, 0
	s_waitcnt vmcnt(0)
	v_cvt_f32_f64_e32 v6, v[8:9]
	s_delay_alu instid0(VALU_DEP_1)
	v_cvt_f16_f32_e32 v6, v6
	s_branch .LBB216_1186
.LBB216_1174:
	s_mov_b32 s11, 0
	s_mov_b32 s0, 0
                                        ; implicit-def: $vgpr6
	s_cbranch_execnz .LBB216_1259
	s_branch .LBB216_1291
.LBB216_1175:
                                        ; implicit-def: $vgpr6
	s_branch .LBB216_1204
.LBB216_1176:
	s_mov_b32 s12, -1
	s_mov_b32 s11, 0
	s_mov_b32 s0, 0
                                        ; implicit-def: $vgpr6
	s_branch .LBB216_1240
.LBB216_1177:
	s_mov_b32 s0, -1
                                        ; implicit-def: $vgpr6
	s_branch .LBB216_1192
.LBB216_1178:
	s_mov_b32 s12, -1
	s_mov_b32 s11, 0
	s_mov_b32 s0, 0
                                        ; implicit-def: $vgpr6
	s_branch .LBB216_1235
.LBB216_1179:
	s_mov_b32 s0, -1
                                        ; implicit-def: $vgpr6
	s_branch .LBB216_1189
.LBB216_1180:
	s_cbranch_execnz .LBB216_1224
; %bb.1181:
	s_or_b32 s1, s9, exec_lo
                                        ; implicit-def: $vgpr5
	s_cbranch_execz .LBB216_1158
	s_branch .LBB216_1159
.LBB216_1182:
	s_or_saveexec_b32 s14, s14
                                        ; implicit-def: $sgpr15
	s_delay_alu instid0(SALU_CYCLE_1)
	s_xor_b32 exec_lo, exec_lo, s14
	s_cbranch_execz .LBB216_944
.LBB216_1183:
	v_add_f32_e64 v3, 0x46000000, |v2|
	s_and_not1_b32 s13, s13, exec_lo
	s_mov_b32 s15, 0
	s_delay_alu instid0(VALU_DEP_1) | instskip(NEXT) | instid1(VALU_DEP_1)
	v_and_b32_e32 v3, 0xff, v3
	v_cmp_ne_u32_e32 vcc_lo, 0, v3
	s_and_b32 s16, vcc_lo, exec_lo
	s_delay_alu instid0(SALU_CYCLE_1)
	s_or_b32 s13, s13, s16
	s_or_b32 exec_lo, exec_lo, s14
	v_mov_b32_e32 v6, s15
	s_and_saveexec_b32 s14, s13
	s_cbranch_execnz .LBB216_945
	s_branch .LBB216_946
.LBB216_1184:
	s_mov_b32 s12, -1
	s_mov_b32 s11, 0
	s_mov_b32 s0, 0
	s_branch .LBB216_1229
.LBB216_1185:
	s_mov_b32 s0, -1
                                        ; implicit-def: $vgpr6
.LBB216_1186:
	s_delay_alu instid0(SALU_CYCLE_1)
	s_and_not1_b32 vcc_lo, exec_lo, s0
	s_cbranch_vccnz .LBB216_1188
; %bb.1187:
	global_load_b32 v6, v[0:1], off
	s_waitcnt vmcnt(0)
	v_cvt_f16_f32_e32 v6, v6
.LBB216_1188:
	s_mov_b32 s0, 0
.LBB216_1189:
	s_delay_alu instid0(SALU_CYCLE_1)
	s_and_not1_b32 vcc_lo, exec_lo, s0
	s_cbranch_vccnz .LBB216_1191
; %bb.1190:
	global_load_b32 v6, v[0:1], off
.LBB216_1191:
	s_mov_b32 s0, 0
.LBB216_1192:
	s_delay_alu instid0(SALU_CYCLE_1)
	s_and_not1_b32 vcc_lo, exec_lo, s0
	s_cbranch_vccnz .LBB216_1203
; %bb.1193:
	v_cmp_gt_i16_e32 vcc_lo, 6, v4
	s_cbranch_vccnz .LBB216_1196
; %bb.1194:
	v_cmp_lt_i16_e32 vcc_lo, 6, v4
	s_cbranch_vccz .LBB216_1197
; %bb.1195:
	global_load_b64 v[8:9], v[0:1], off
	s_mov_b32 s0, 0
	s_waitcnt vmcnt(0)
	v_cvt_f32_f64_e32 v6, v[8:9]
	s_delay_alu instid0(VALU_DEP_1)
	v_cvt_f16_f32_e32 v6, v6
	s_branch .LBB216_1198
.LBB216_1196:
	s_mov_b32 s0, -1
                                        ; implicit-def: $vgpr6
	s_branch .LBB216_1201
.LBB216_1197:
	s_mov_b32 s0, -1
                                        ; implicit-def: $vgpr6
.LBB216_1198:
	s_delay_alu instid0(SALU_CYCLE_1)
	s_and_not1_b32 vcc_lo, exec_lo, s0
	s_cbranch_vccnz .LBB216_1200
; %bb.1199:
	global_load_b32 v6, v[0:1], off
	s_waitcnt vmcnt(0)
	v_cvt_f16_f32_e32 v6, v6
.LBB216_1200:
	s_mov_b32 s0, 0
.LBB216_1201:
	s_delay_alu instid0(SALU_CYCLE_1)
	s_and_not1_b32 vcc_lo, exec_lo, s0
	s_cbranch_vccnz .LBB216_1203
; %bb.1202:
	global_load_u16 v6, v[0:1], off
.LBB216_1203:
	s_cbranch_execnz .LBB216_1223
.LBB216_1204:
	v_cmp_gt_i16_e32 vcc_lo, 2, v4
	s_cbranch_vccnz .LBB216_1208
; %bb.1205:
	v_cmp_gt_i16_e32 vcc_lo, 3, v4
	s_cbranch_vccnz .LBB216_1209
; %bb.1206:
	v_cmp_lt_i16_e32 vcc_lo, 3, v4
	s_cbranch_vccz .LBB216_1210
; %bb.1207:
	global_load_b64 v[8:9], v[0:1], off
	s_mov_b32 s0, 0
	s_waitcnt vmcnt(0)
	v_xor_b32_e32 v6, v8, v9
	v_cls_i32_e32 v10, v9
	s_delay_alu instid0(VALU_DEP_2) | instskip(NEXT) | instid1(VALU_DEP_2)
	v_ashrrev_i32_e32 v6, 31, v6
	v_add_nc_u32_e32 v10, -1, v10
	s_delay_alu instid0(VALU_DEP_2) | instskip(NEXT) | instid1(VALU_DEP_1)
	v_add_nc_u32_e32 v6, 32, v6
	v_min_u32_e32 v6, v10, v6
	s_delay_alu instid0(VALU_DEP_1) | instskip(SKIP_1) | instid1(VALU_DEP_2)
	v_lshlrev_b64 v[8:9], v6, v[8:9]
	v_sub_nc_u32_e32 v6, 32, v6
	v_min_u32_e32 v8, 1, v8
	s_delay_alu instid0(VALU_DEP_1) | instskip(NEXT) | instid1(VALU_DEP_1)
	v_or_b32_e32 v8, v9, v8
	v_cvt_f32_i32_e32 v8, v8
	s_delay_alu instid0(VALU_DEP_1) | instskip(NEXT) | instid1(VALU_DEP_1)
	v_ldexp_f32 v6, v8, v6
	v_cvt_f16_f32_e32 v6, v6
	s_branch .LBB216_1211
.LBB216_1208:
	s_mov_b32 s0, -1
                                        ; implicit-def: $vgpr6
	s_branch .LBB216_1217
.LBB216_1209:
	s_mov_b32 s0, -1
                                        ; implicit-def: $vgpr6
	s_branch .LBB216_1214
.LBB216_1210:
	s_mov_b32 s0, -1
                                        ; implicit-def: $vgpr6
.LBB216_1211:
	s_delay_alu instid0(SALU_CYCLE_1)
	s_and_not1_b32 vcc_lo, exec_lo, s0
	s_cbranch_vccnz .LBB216_1213
; %bb.1212:
	global_load_b32 v6, v[0:1], off
	s_waitcnt vmcnt(0)
	v_cvt_f32_i32_e32 v6, v6
	s_delay_alu instid0(VALU_DEP_1)
	v_cvt_f16_f32_e32 v6, v6
.LBB216_1213:
	s_mov_b32 s0, 0
.LBB216_1214:
	s_delay_alu instid0(SALU_CYCLE_1)
	s_and_not1_b32 vcc_lo, exec_lo, s0
	s_cbranch_vccnz .LBB216_1216
; %bb.1215:
	global_load_u16 v6, v[0:1], off
	s_waitcnt vmcnt(0)
	v_cvt_f16_i16_e32 v6, v6
.LBB216_1216:
	s_mov_b32 s0, 0
.LBB216_1217:
	s_delay_alu instid0(SALU_CYCLE_1)
	s_and_not1_b32 vcc_lo, exec_lo, s0
	s_cbranch_vccnz .LBB216_1223
; %bb.1218:
	v_cmp_lt_i16_e32 vcc_lo, 0, v4
	s_mov_b32 s0, 0
	s_cbranch_vccz .LBB216_1220
; %bb.1219:
	global_load_i8 v6, v[0:1], off
	s_waitcnt vmcnt(0)
	v_cvt_f16_i16_e32 v6, v6
	s_branch .LBB216_1221
.LBB216_1220:
	s_mov_b32 s0, -1
                                        ; implicit-def: $vgpr6
.LBB216_1221:
	s_delay_alu instid0(SALU_CYCLE_1)
	s_and_not1_b32 vcc_lo, exec_lo, s0
	s_cbranch_vccnz .LBB216_1223
; %bb.1222:
	global_load_u8 v0, v[0:1], off
	s_waitcnt vmcnt(0)
	v_cvt_f16_u16_e32 v6, v0
.LBB216_1223:
	s_branch .LBB216_1296
.LBB216_1224:
	s_trap 2
	s_sendmsg_rtn_b32 s0, sendmsg(MSG_RTN_GET_DOORBELL)
	s_mov_b32 ttmp2, m0
	s_waitcnt lgkmcnt(0)
	s_and_b32 s0, s0, 0x3ff
	s_delay_alu instid0(SALU_CYCLE_1) | instskip(NEXT) | instid1(SALU_CYCLE_1)
	s_bitset1_b32 s0, 10
	s_mov_b32 m0, s0
	s_sendmsg sendmsg(MSG_INTERRUPT)
	s_mov_b32 m0, ttmp2
.LBB216_1225:                           ; =>This Inner Loop Header: Depth=1
	s_sethalt 5
	s_branch .LBB216_1225
.LBB216_1226:
	s_or_saveexec_b32 s15, s15
                                        ; implicit-def: $sgpr16
	s_delay_alu instid0(SALU_CYCLE_1)
	s_xor_b32 exec_lo, exec_lo, s15
	s_cbranch_execz .LBB216_956
.LBB216_1227:
	v_add_f32_e64 v3, 0x42800000, |v2|
	s_and_not1_b32 s14, s14, exec_lo
	s_mov_b32 s16, 0
	s_delay_alu instid0(VALU_DEP_1) | instskip(NEXT) | instid1(VALU_DEP_1)
	v_and_b32_e32 v3, 0xff, v3
	v_cmp_ne_u32_e32 vcc_lo, 0, v3
	s_and_b32 s17, vcc_lo, exec_lo
	s_delay_alu instid0(SALU_CYCLE_1)
	s_or_b32 s14, s14, s17
	s_or_b32 exec_lo, exec_lo, s15
	v_mov_b32_e32 v6, s16
	s_and_saveexec_b32 s15, s14
	s_cbranch_execnz .LBB216_957
	s_branch .LBB216_958
.LBB216_1228:
	s_mov_b32 s0, -1
	s_mov_b32 s11, 0
.LBB216_1229:
                                        ; implicit-def: $vgpr6
.LBB216_1230:
	s_and_b32 vcc_lo, exec_lo, s12
	s_cbranch_vccz .LBB216_1234
; %bb.1231:
	v_cmp_eq_u16_e32 vcc_lo, 44, v4
	s_cbranch_vccz .LBB216_1233
; %bb.1232:
	global_load_u8 v6, v[0:1], off
	s_mov_b32 s0, 0
	s_mov_b32 s11, -1
	s_waitcnt vmcnt(0)
	v_lshlrev_b32_e32 v8, 23, v6
	v_cmp_ne_u32_e32 vcc_lo, 0xff, v6
	s_delay_alu instid0(VALU_DEP_2) | instskip(NEXT) | instid1(VALU_DEP_1)
	v_cvt_f16_f32_e32 v8, v8
	v_cndmask_b32_e32 v8, 0x7e00, v8, vcc_lo
	v_cmp_ne_u32_e32 vcc_lo, 0, v6
	s_delay_alu instid0(VALU_DEP_2)
	v_cndmask_b32_e32 v6, 0, v8, vcc_lo
	s_branch .LBB216_1234
.LBB216_1233:
	s_mov_b32 s0, -1
                                        ; implicit-def: $vgpr6
.LBB216_1234:
	s_mov_b32 s12, 0
.LBB216_1235:
	s_delay_alu instid0(SALU_CYCLE_1)
	s_and_b32 vcc_lo, exec_lo, s12
	s_cbranch_vccz .LBB216_1239
; %bb.1236:
	v_cmp_eq_u16_e32 vcc_lo, 29, v4
	s_cbranch_vccz .LBB216_1238
; %bb.1237:
	global_load_b64 v[8:9], v[0:1], off
	s_mov_b32 s0, 0
	s_mov_b32 s11, -1
	s_mov_b32 s12, 0
	s_waitcnt vmcnt(0)
	v_clz_i32_u32_e32 v6, v9
	s_delay_alu instid0(VALU_DEP_1) | instskip(NEXT) | instid1(VALU_DEP_1)
	v_min_u32_e32 v6, 32, v6
	v_lshlrev_b64 v[8:9], v6, v[8:9]
	v_sub_nc_u32_e32 v6, 32, v6
	s_delay_alu instid0(VALU_DEP_2) | instskip(NEXT) | instid1(VALU_DEP_1)
	v_min_u32_e32 v8, 1, v8
	v_or_b32_e32 v8, v9, v8
	s_delay_alu instid0(VALU_DEP_1) | instskip(NEXT) | instid1(VALU_DEP_1)
	v_cvt_f32_u32_e32 v8, v8
	v_ldexp_f32 v6, v8, v6
	s_delay_alu instid0(VALU_DEP_1)
	v_cvt_f16_f32_e32 v6, v6
	s_branch .LBB216_1240
.LBB216_1238:
	s_mov_b32 s0, -1
                                        ; implicit-def: $vgpr6
.LBB216_1239:
	s_mov_b32 s12, 0
.LBB216_1240:
	s_delay_alu instid0(SALU_CYCLE_1)
	s_and_b32 vcc_lo, exec_lo, s12
	s_cbranch_vccz .LBB216_1258
; %bb.1241:
	v_cmp_gt_i16_e32 vcc_lo, 27, v4
	s_cbranch_vccnz .LBB216_1244
; %bb.1242:
	v_cmp_lt_i16_e32 vcc_lo, 27, v4
	s_cbranch_vccz .LBB216_1245
; %bb.1243:
	global_load_b32 v6, v[0:1], off
	s_mov_b32 s11, 0
	s_waitcnt vmcnt(0)
	v_cvt_f32_u32_e32 v6, v6
	s_delay_alu instid0(VALU_DEP_1)
	v_cvt_f16_f32_e32 v6, v6
	s_branch .LBB216_1246
.LBB216_1244:
	s_mov_b32 s11, -1
                                        ; implicit-def: $vgpr6
	s_branch .LBB216_1249
.LBB216_1245:
	s_mov_b32 s11, -1
                                        ; implicit-def: $vgpr6
.LBB216_1246:
	s_delay_alu instid0(SALU_CYCLE_1)
	s_and_not1_b32 vcc_lo, exec_lo, s11
	s_cbranch_vccnz .LBB216_1248
; %bb.1247:
	global_load_u16 v6, v[0:1], off
	s_waitcnt vmcnt(0)
	v_cvt_f16_u16_e32 v6, v6
.LBB216_1248:
	s_mov_b32 s11, 0
.LBB216_1249:
	s_delay_alu instid0(SALU_CYCLE_1)
	s_and_not1_b32 vcc_lo, exec_lo, s11
	s_cbranch_vccnz .LBB216_1257
; %bb.1250:
	global_load_u8 v8, v[0:1], off
	s_mov_b32 s11, 0
	s_mov_b32 s13, exec_lo
                                        ; implicit-def: $sgpr12
	s_waitcnt vmcnt(0)
	v_cmpx_lt_i16_e32 0x7f, v8
	s_xor_b32 s13, exec_lo, s13
	s_cbranch_execz .LBB216_1270
; %bb.1251:
	s_mov_b32 s11, -1
	s_mov_b32 s14, exec_lo
                                        ; implicit-def: $sgpr12
	v_cmpx_eq_u16_e32 0x80, v8
; %bb.1252:
	s_movk_i32 s12, 0x7e00
	s_xor_b32 s11, exec_lo, -1
; %bb.1253:
	s_or_b32 exec_lo, exec_lo, s14
	s_delay_alu instid0(SALU_CYCLE_1)
	s_and_b32 s11, s11, exec_lo
	s_or_saveexec_b32 s13, s13
	v_mov_b32_e32 v6, s12
	s_xor_b32 exec_lo, exec_lo, s13
	s_cbranch_execnz .LBB216_1271
.LBB216_1254:
	s_or_b32 exec_lo, exec_lo, s13
	s_and_saveexec_b32 s12, s11
	s_cbranch_execz .LBB216_1256
.LBB216_1255:
	v_and_b32_e32 v6, 0xffff, v8
	v_lshlrev_b32_e32 v8, 24, v8
	s_delay_alu instid0(VALU_DEP_2) | instskip(NEXT) | instid1(VALU_DEP_2)
	v_and_b32_e32 v9, 7, v6
	v_and_b32_e32 v8, 0x80000000, v8
	s_delay_alu instid0(VALU_DEP_2) | instskip(NEXT) | instid1(VALU_DEP_1)
	v_clz_i32_u32_e32 v10, v9
	v_min_u32_e32 v10, 32, v10
	s_delay_alu instid0(VALU_DEP_1) | instskip(SKIP_1) | instid1(VALU_DEP_2)
	v_subrev_nc_u32_e32 v11, 28, v10
	v_sub_nc_u32_e32 v10, 29, v10
	v_lshlrev_b32_e32 v11, v11, v6
	v_bfe_u32 v6, v6, 3, 4
	s_delay_alu instid0(VALU_DEP_1) | instskip(NEXT) | instid1(VALU_DEP_3)
	v_cmp_eq_u32_e32 vcc_lo, 0, v6
	v_dual_cndmask_b32 v6, v6, v10 :: v_dual_and_b32 v11, 7, v11
	s_delay_alu instid0(VALU_DEP_1) | instskip(NEXT) | instid1(VALU_DEP_2)
	v_cndmask_b32_e32 v9, v9, v11, vcc_lo
	v_lshl_add_u32 v6, v6, 23, 0x3b800000
	s_delay_alu instid0(VALU_DEP_2) | instskip(NEXT) | instid1(VALU_DEP_1)
	v_lshlrev_b32_e32 v9, 20, v9
	v_or3_b32 v6, v8, v6, v9
	s_delay_alu instid0(VALU_DEP_1)
	v_cvt_f16_f32_e32 v6, v6
.LBB216_1256:
	s_or_b32 exec_lo, exec_lo, s12
.LBB216_1257:
	s_mov_b32 s11, -1
.LBB216_1258:
	s_branch .LBB216_1291
.LBB216_1259:
	v_cmp_lt_i16_e32 vcc_lo, 22, v4
	s_cbranch_vccz .LBB216_1269
; %bb.1260:
	v_cmp_gt_i16_e32 vcc_lo, 24, v4
	s_cbranch_vccnz .LBB216_1272
; %bb.1261:
	v_cmp_lt_i16_e32 vcc_lo, 24, v4
	s_cbranch_vccz .LBB216_1273
; %bb.1262:
	global_load_u8 v8, v[0:1], off
	s_mov_b32 s12, exec_lo
                                        ; implicit-def: $sgpr11
	s_waitcnt vmcnt(0)
	v_cmpx_lt_i16_e32 0x7f, v8
	s_xor_b32 s12, exec_lo, s12
	s_cbranch_execz .LBB216_1285
; %bb.1263:
	s_mov_b32 s10, -1
	s_mov_b32 s13, exec_lo
                                        ; implicit-def: $sgpr11
	v_cmpx_eq_u16_e32 0x80, v8
; %bb.1264:
	s_movk_i32 s11, 0x7e00
	s_xor_b32 s10, exec_lo, -1
; %bb.1265:
	s_or_b32 exec_lo, exec_lo, s13
	s_delay_alu instid0(SALU_CYCLE_1)
	s_and_b32 s10, s10, exec_lo
	s_or_saveexec_b32 s12, s12
	v_mov_b32_e32 v6, s11
	s_xor_b32 exec_lo, exec_lo, s12
	s_cbranch_execnz .LBB216_1286
.LBB216_1266:
	s_or_b32 exec_lo, exec_lo, s12
	s_and_saveexec_b32 s11, s10
	s_cbranch_execz .LBB216_1268
.LBB216_1267:
	v_and_b32_e32 v6, 0xffff, v8
	v_lshlrev_b32_e32 v8, 24, v8
	s_delay_alu instid0(VALU_DEP_2) | instskip(NEXT) | instid1(VALU_DEP_2)
	v_and_b32_e32 v9, 3, v6
	v_and_b32_e32 v8, 0x80000000, v8
	s_delay_alu instid0(VALU_DEP_2) | instskip(NEXT) | instid1(VALU_DEP_1)
	v_clz_i32_u32_e32 v10, v9
	v_min_u32_e32 v10, 32, v10
	s_delay_alu instid0(VALU_DEP_1) | instskip(SKIP_1) | instid1(VALU_DEP_2)
	v_subrev_nc_u32_e32 v11, 29, v10
	v_sub_nc_u32_e32 v10, 30, v10
	v_lshlrev_b32_e32 v11, v11, v6
	v_bfe_u32 v6, v6, 2, 5
	s_delay_alu instid0(VALU_DEP_1) | instskip(NEXT) | instid1(VALU_DEP_3)
	v_cmp_eq_u32_e32 vcc_lo, 0, v6
	v_dual_cndmask_b32 v6, v6, v10 :: v_dual_and_b32 v11, 3, v11
	s_delay_alu instid0(VALU_DEP_1) | instskip(NEXT) | instid1(VALU_DEP_2)
	v_cndmask_b32_e32 v9, v9, v11, vcc_lo
	v_lshl_add_u32 v6, v6, 23, 0x37800000
	s_delay_alu instid0(VALU_DEP_2) | instskip(NEXT) | instid1(VALU_DEP_1)
	v_lshlrev_b32_e32 v9, 21, v9
	v_or3_b32 v6, v8, v6, v9
	s_delay_alu instid0(VALU_DEP_1)
	v_cvt_f16_f32_e32 v6, v6
.LBB216_1268:
	s_or_b32 exec_lo, exec_lo, s11
	s_mov_b32 s10, 0
	s_branch .LBB216_1274
.LBB216_1269:
	s_mov_b32 s10, -1
                                        ; implicit-def: $vgpr6
	s_branch .LBB216_1280
.LBB216_1270:
	s_or_saveexec_b32 s13, s13
	v_mov_b32_e32 v6, s12
	s_xor_b32 exec_lo, exec_lo, s13
	s_cbranch_execz .LBB216_1254
.LBB216_1271:
	v_cmp_ne_u16_e32 vcc_lo, 0, v8
	v_mov_b32_e32 v6, v8
	s_and_not1_b32 s11, s11, exec_lo
	s_and_b32 s12, vcc_lo, exec_lo
	s_delay_alu instid0(SALU_CYCLE_1)
	s_or_b32 s11, s11, s12
	s_or_b32 exec_lo, exec_lo, s13
	s_and_saveexec_b32 s12, s11
	s_cbranch_execnz .LBB216_1255
	s_branch .LBB216_1256
.LBB216_1272:
	s_mov_b32 s10, -1
                                        ; implicit-def: $vgpr6
	s_branch .LBB216_1277
.LBB216_1273:
	s_mov_b32 s10, -1
                                        ; implicit-def: $vgpr6
.LBB216_1274:
	s_delay_alu instid0(SALU_CYCLE_1)
	s_and_b32 vcc_lo, exec_lo, s10
	s_cbranch_vccz .LBB216_1276
; %bb.1275:
	global_load_u8 v6, v[0:1], off
	s_waitcnt vmcnt(0)
	v_lshlrev_b32_e32 v6, 24, v6
	s_delay_alu instid0(VALU_DEP_1) | instskip(NEXT) | instid1(VALU_DEP_1)
	v_and_b32_e32 v8, 0x7f000000, v6
	v_clz_i32_u32_e32 v9, v8
	v_cmp_ne_u32_e32 vcc_lo, 0, v8
	v_add_nc_u32_e32 v11, 0x1000000, v8
	s_delay_alu instid0(VALU_DEP_3) | instskip(NEXT) | instid1(VALU_DEP_1)
	v_min_u32_e32 v9, 32, v9
	v_sub_nc_u32_e64 v9, v9, 4 clamp
	s_delay_alu instid0(VALU_DEP_1) | instskip(SKIP_1) | instid1(VALU_DEP_2)
	v_lshlrev_b32_e32 v10, v9, v8
	v_lshlrev_b32_e32 v9, 23, v9
	v_lshrrev_b32_e32 v10, 4, v10
	s_delay_alu instid0(VALU_DEP_1) | instskip(SKIP_1) | instid1(VALU_DEP_2)
	v_sub_nc_u32_e32 v9, v10, v9
	v_ashrrev_i32_e32 v10, 8, v11
	v_add_nc_u32_e32 v9, 0x3c000000, v9
	s_delay_alu instid0(VALU_DEP_1) | instskip(NEXT) | instid1(VALU_DEP_1)
	v_and_or_b32 v9, 0x7f800000, v10, v9
	v_cndmask_b32_e32 v8, 0, v9, vcc_lo
	s_delay_alu instid0(VALU_DEP_1) | instskip(NEXT) | instid1(VALU_DEP_1)
	v_and_or_b32 v6, 0x80000000, v6, v8
	v_cvt_f16_f32_e32 v6, v6
.LBB216_1276:
	s_mov_b32 s10, 0
.LBB216_1277:
	s_delay_alu instid0(SALU_CYCLE_1)
	s_and_not1_b32 vcc_lo, exec_lo, s10
	s_cbranch_vccnz .LBB216_1279
; %bb.1278:
	global_load_u8 v6, v[0:1], off
	s_waitcnt vmcnt(0)
	v_lshlrev_b32_e32 v8, 25, v6
	v_lshlrev_b16 v6, 8, v6
	s_delay_alu instid0(VALU_DEP_2) | instskip(NEXT) | instid1(VALU_DEP_2)
	v_lshrrev_b32_e32 v9, 4, v8
	v_and_or_b32 v10, 0x7f00, v6, 0.5
	v_bfe_i32 v6, v6, 0, 16
	s_delay_alu instid0(VALU_DEP_3) | instskip(NEXT) | instid1(VALU_DEP_1)
	v_or_b32_e32 v9, 0x70000000, v9
	v_dual_add_f32 v10, -0.5, v10 :: v_dual_mul_f32 v9, 0x7800000, v9
	v_cmp_gt_u32_e32 vcc_lo, 0x8000000, v8
	s_delay_alu instid0(VALU_DEP_2) | instskip(NEXT) | instid1(VALU_DEP_1)
	v_cndmask_b32_e32 v8, v9, v10, vcc_lo
	v_and_or_b32 v6, 0x80000000, v6, v8
	s_delay_alu instid0(VALU_DEP_1)
	v_cvt_f16_f32_e32 v6, v6
.LBB216_1279:
	s_mov_b32 s10, 0
	s_mov_b32 s11, -1
.LBB216_1280:
	s_and_not1_b32 vcc_lo, exec_lo, s10
	s_mov_b32 s10, 0
	s_cbranch_vccnz .LBB216_1291
; %bb.1281:
	v_cmp_lt_i16_e32 vcc_lo, 14, v4
	s_cbranch_vccz .LBB216_1284
; %bb.1282:
	v_cmp_eq_u16_e32 vcc_lo, 15, v4
	s_cbranch_vccz .LBB216_1287
; %bb.1283:
	global_load_u16 v6, v[0:1], off
	s_mov_b32 s0, 0
	s_mov_b32 s11, -1
	s_waitcnt vmcnt(0)
	v_lshlrev_b32_e32 v6, 16, v6
	s_delay_alu instid0(VALU_DEP_1)
	v_cvt_f16_f32_e32 v6, v6
	s_branch .LBB216_1289
.LBB216_1284:
	s_mov_b32 s10, -1
	s_branch .LBB216_1288
.LBB216_1285:
	s_or_saveexec_b32 s12, s12
	v_mov_b32_e32 v6, s11
	s_xor_b32 exec_lo, exec_lo, s12
	s_cbranch_execz .LBB216_1266
.LBB216_1286:
	v_cmp_ne_u16_e32 vcc_lo, 0, v8
	v_mov_b32_e32 v6, v8
	s_and_not1_b32 s10, s10, exec_lo
	s_and_b32 s11, vcc_lo, exec_lo
	s_delay_alu instid0(SALU_CYCLE_1)
	s_or_b32 s10, s10, s11
	s_or_b32 exec_lo, exec_lo, s12
	s_and_saveexec_b32 s11, s10
	s_cbranch_execnz .LBB216_1267
	s_branch .LBB216_1268
.LBB216_1287:
	s_mov_b32 s0, -1
.LBB216_1288:
                                        ; implicit-def: $vgpr6
.LBB216_1289:
	s_and_b32 vcc_lo, exec_lo, s10
	s_mov_b32 s10, 0
	s_cbranch_vccz .LBB216_1291
; %bb.1290:
	v_cmp_ne_u16_e64 s0, 11, v4
	s_mov_b32 s10, -1
                                        ; implicit-def: $vgpr6
.LBB216_1291:
	s_delay_alu instid0(VALU_DEP_1)
	s_and_b32 vcc_lo, exec_lo, s0
	s_cbranch_vccnz .LBB216_1315
; %bb.1292:
	s_and_not1_b32 vcc_lo, exec_lo, s10
	s_cbranch_vccnz .LBB216_1294
.LBB216_1293:
	global_load_u8 v6, v[0:1], off
	s_mov_b32 s11, -1
	s_waitcnt vmcnt(0)
	v_cmp_ne_u16_e32 vcc_lo, 0, v6
	v_cndmask_b32_e64 v6, 0, 0x3c00, vcc_lo
.LBB216_1294:
.LBB216_1295:
	s_and_not1_b32 vcc_lo, exec_lo, s11
	s_cbranch_vccnz .LBB216_1996
.LBB216_1296:
	v_add_nc_u32_e32 v8, s3, v7
	v_cmp_gt_i16_e32 vcc_lo, 11, v4
	s_delay_alu instid0(VALU_DEP_2) | instskip(SKIP_1) | instid1(VALU_DEP_1)
	v_ashrrev_i32_e32 v1, 31, v8
	v_add_co_u32 v0, s0, s6, v8
	v_add_co_ci_u32_e64 v1, s0, s7, v1, s0
	s_cbranch_vccnz .LBB216_1303
; %bb.1297:
	v_cmp_lt_i16_e32 vcc_lo, 25, v4
	s_mov_b32 s10, 0
	s_cbranch_vccz .LBB216_1309
; %bb.1298:
	v_cmp_lt_i16_e32 vcc_lo, 28, v4
	s_cbranch_vccz .LBB216_1311
; %bb.1299:
	v_cmp_lt_i16_e32 vcc_lo, 43, v4
	;; [unrolled: 3-line block ×3, first 2 shown]
	s_cbranch_vccz .LBB216_1317
; %bb.1301:
	v_cmp_eq_u16_e32 vcc_lo, 46, v4
	s_mov_b32 s12, 0
	s_cbranch_vccz .LBB216_1360
; %bb.1302:
	global_load_b32 v7, v[0:1], off
	s_mov_b32 s0, 0
	s_mov_b32 s11, -1
	s_waitcnt vmcnt(0)
	v_lshlrev_b32_e32 v7, 16, v7
	s_delay_alu instid0(VALU_DEP_1)
	v_cvt_f16_f32_e32 v7, v7
	s_branch .LBB216_1362
.LBB216_1303:
	s_mov_b32 s11, 0
                                        ; implicit-def: $vgpr7
	s_cbranch_execz .LBB216_1428
; %bb.1304:
	v_cmp_gt_i16_e32 vcc_lo, 5, v4
	s_cbranch_vccnz .LBB216_1310
; %bb.1305:
	v_cmp_gt_i16_e32 vcc_lo, 8, v4
	s_cbranch_vccnz .LBB216_1312
	;; [unrolled: 3-line block ×3, first 2 shown]
; %bb.1307:
	v_cmp_lt_i16_e32 vcc_lo, 9, v4
	s_cbranch_vccz .LBB216_1318
; %bb.1308:
	global_load_b64 v[9:10], v[0:1], off
	s_mov_b32 s0, 0
	s_waitcnt vmcnt(0)
	v_cvt_f32_f64_e32 v7, v[9:10]
	s_delay_alu instid0(VALU_DEP_1)
	v_cvt_f16_f32_e32 v7, v7
	s_branch .LBB216_1319
.LBB216_1309:
	s_mov_b32 s12, -1
	s_mov_b32 s11, 0
	s_mov_b32 s0, 0
                                        ; implicit-def: $vgpr7
	s_branch .LBB216_1391
.LBB216_1310:
	s_mov_b32 s0, -1
                                        ; implicit-def: $vgpr7
	s_branch .LBB216_1337
.LBB216_1311:
	s_mov_b32 s12, -1
	s_mov_b32 s11, 0
	s_mov_b32 s0, 0
                                        ; implicit-def: $vgpr7
	s_branch .LBB216_1372
.LBB216_1312:
	s_mov_b32 s0, -1
                                        ; implicit-def: $vgpr7
	s_branch .LBB216_1325
.LBB216_1313:
	s_mov_b32 s12, -1
	s_mov_b32 s11, 0
	s_mov_b32 s0, 0
                                        ; implicit-def: $vgpr7
	s_branch .LBB216_1367
.LBB216_1314:
	s_mov_b32 s0, -1
                                        ; implicit-def: $vgpr7
	s_branch .LBB216_1322
.LBB216_1315:
	s_cbranch_execnz .LBB216_1358
; %bb.1316:
	s_or_b32 s1, s1, exec_lo
                                        ; implicit-def: $vgpr6
	s_cbranch_execz .LBB216_1293
	s_branch .LBB216_1294
.LBB216_1317:
	s_mov_b32 s12, -1
	s_mov_b32 s11, 0
	s_mov_b32 s0, 0
	s_branch .LBB216_1361
.LBB216_1318:
	s_mov_b32 s0, -1
                                        ; implicit-def: $vgpr7
.LBB216_1319:
	s_delay_alu instid0(SALU_CYCLE_1)
	s_and_not1_b32 vcc_lo, exec_lo, s0
	s_cbranch_vccnz .LBB216_1321
; %bb.1320:
	global_load_b32 v7, v[0:1], off
	s_waitcnt vmcnt(0)
	v_cvt_f16_f32_e32 v7, v7
.LBB216_1321:
	s_mov_b32 s0, 0
.LBB216_1322:
	s_delay_alu instid0(SALU_CYCLE_1)
	s_and_not1_b32 vcc_lo, exec_lo, s0
	s_cbranch_vccnz .LBB216_1324
; %bb.1323:
	global_load_b32 v7, v[0:1], off
.LBB216_1324:
	s_mov_b32 s0, 0
.LBB216_1325:
	s_delay_alu instid0(SALU_CYCLE_1)
	s_and_not1_b32 vcc_lo, exec_lo, s0
	s_cbranch_vccnz .LBB216_1336
; %bb.1326:
	v_cmp_gt_i16_e32 vcc_lo, 6, v4
	s_cbranch_vccnz .LBB216_1329
; %bb.1327:
	v_cmp_lt_i16_e32 vcc_lo, 6, v4
	s_cbranch_vccz .LBB216_1330
; %bb.1328:
	global_load_b64 v[9:10], v[0:1], off
	s_mov_b32 s0, 0
	s_waitcnt vmcnt(0)
	v_cvt_f32_f64_e32 v7, v[9:10]
	s_delay_alu instid0(VALU_DEP_1)
	v_cvt_f16_f32_e32 v7, v7
	s_branch .LBB216_1331
.LBB216_1329:
	s_mov_b32 s0, -1
                                        ; implicit-def: $vgpr7
	s_branch .LBB216_1334
.LBB216_1330:
	s_mov_b32 s0, -1
                                        ; implicit-def: $vgpr7
.LBB216_1331:
	s_delay_alu instid0(SALU_CYCLE_1)
	s_and_not1_b32 vcc_lo, exec_lo, s0
	s_cbranch_vccnz .LBB216_1333
; %bb.1332:
	global_load_b32 v7, v[0:1], off
	s_waitcnt vmcnt(0)
	v_cvt_f16_f32_e32 v7, v7
.LBB216_1333:
	s_mov_b32 s0, 0
.LBB216_1334:
	s_delay_alu instid0(SALU_CYCLE_1)
	s_and_not1_b32 vcc_lo, exec_lo, s0
	s_cbranch_vccnz .LBB216_1336
; %bb.1335:
	global_load_u16 v7, v[0:1], off
.LBB216_1336:
	s_mov_b32 s0, 0
.LBB216_1337:
	s_delay_alu instid0(SALU_CYCLE_1)
	s_and_not1_b32 vcc_lo, exec_lo, s0
	s_cbranch_vccnz .LBB216_1357
; %bb.1338:
	v_cmp_gt_i16_e32 vcc_lo, 2, v4
	s_cbranch_vccnz .LBB216_1342
; %bb.1339:
	v_cmp_gt_i16_e32 vcc_lo, 3, v4
	s_cbranch_vccnz .LBB216_1343
; %bb.1340:
	v_cmp_lt_i16_e32 vcc_lo, 3, v4
	s_cbranch_vccz .LBB216_1344
; %bb.1341:
	global_load_b64 v[9:10], v[0:1], off
	s_mov_b32 s0, 0
	s_waitcnt vmcnt(0)
	v_xor_b32_e32 v7, v9, v10
	v_cls_i32_e32 v11, v10
	s_delay_alu instid0(VALU_DEP_2) | instskip(NEXT) | instid1(VALU_DEP_2)
	v_ashrrev_i32_e32 v7, 31, v7
	v_add_nc_u32_e32 v11, -1, v11
	s_delay_alu instid0(VALU_DEP_2) | instskip(NEXT) | instid1(VALU_DEP_1)
	v_add_nc_u32_e32 v7, 32, v7
	v_min_u32_e32 v7, v11, v7
	s_delay_alu instid0(VALU_DEP_1) | instskip(SKIP_1) | instid1(VALU_DEP_2)
	v_lshlrev_b64 v[9:10], v7, v[9:10]
	v_sub_nc_u32_e32 v7, 32, v7
	v_min_u32_e32 v9, 1, v9
	s_delay_alu instid0(VALU_DEP_1) | instskip(NEXT) | instid1(VALU_DEP_1)
	v_or_b32_e32 v9, v10, v9
	v_cvt_f32_i32_e32 v9, v9
	s_delay_alu instid0(VALU_DEP_1) | instskip(NEXT) | instid1(VALU_DEP_1)
	v_ldexp_f32 v7, v9, v7
	v_cvt_f16_f32_e32 v7, v7
	s_branch .LBB216_1345
.LBB216_1342:
	s_mov_b32 s0, -1
                                        ; implicit-def: $vgpr7
	s_branch .LBB216_1351
.LBB216_1343:
	s_mov_b32 s0, -1
                                        ; implicit-def: $vgpr7
	s_branch .LBB216_1348
.LBB216_1344:
	s_mov_b32 s0, -1
                                        ; implicit-def: $vgpr7
.LBB216_1345:
	s_delay_alu instid0(SALU_CYCLE_1)
	s_and_not1_b32 vcc_lo, exec_lo, s0
	s_cbranch_vccnz .LBB216_1347
; %bb.1346:
	global_load_b32 v7, v[0:1], off
	s_waitcnt vmcnt(0)
	v_cvt_f32_i32_e32 v7, v7
	s_delay_alu instid0(VALU_DEP_1)
	v_cvt_f16_f32_e32 v7, v7
.LBB216_1347:
	s_mov_b32 s0, 0
.LBB216_1348:
	s_delay_alu instid0(SALU_CYCLE_1)
	s_and_not1_b32 vcc_lo, exec_lo, s0
	s_cbranch_vccnz .LBB216_1350
; %bb.1349:
	global_load_u16 v7, v[0:1], off
	s_waitcnt vmcnt(0)
	v_cvt_f16_i16_e32 v7, v7
.LBB216_1350:
	s_mov_b32 s0, 0
.LBB216_1351:
	s_delay_alu instid0(SALU_CYCLE_1)
	s_and_not1_b32 vcc_lo, exec_lo, s0
	s_cbranch_vccnz .LBB216_1357
; %bb.1352:
	v_cmp_lt_i16_e32 vcc_lo, 0, v4
	s_mov_b32 s0, 0
	s_cbranch_vccz .LBB216_1354
; %bb.1353:
	global_load_i8 v7, v[0:1], off
	s_waitcnt vmcnt(0)
	v_cvt_f16_i16_e32 v7, v7
	s_branch .LBB216_1355
.LBB216_1354:
	s_mov_b32 s0, -1
                                        ; implicit-def: $vgpr7
.LBB216_1355:
	s_delay_alu instid0(SALU_CYCLE_1)
	s_and_not1_b32 vcc_lo, exec_lo, s0
	s_cbranch_vccnz .LBB216_1357
; %bb.1356:
	global_load_u8 v0, v[0:1], off
	s_waitcnt vmcnt(0)
	v_cvt_f16_u16_e32 v7, v0
.LBB216_1357:
	s_branch .LBB216_1429
.LBB216_1358:
	s_trap 2
	s_sendmsg_rtn_b32 s0, sendmsg(MSG_RTN_GET_DOORBELL)
	s_mov_b32 ttmp2, m0
	s_waitcnt lgkmcnt(0)
	s_and_b32 s0, s0, 0x3ff
	s_delay_alu instid0(SALU_CYCLE_1) | instskip(NEXT) | instid1(SALU_CYCLE_1)
	s_bitset1_b32 s0, 10
	s_mov_b32 m0, s0
	s_sendmsg sendmsg(MSG_INTERRUPT)
	s_mov_b32 m0, ttmp2
.LBB216_1359:                           ; =>This Inner Loop Header: Depth=1
	s_sethalt 5
	s_branch .LBB216_1359
.LBB216_1360:
	s_mov_b32 s0, -1
	s_mov_b32 s11, 0
.LBB216_1361:
                                        ; implicit-def: $vgpr7
.LBB216_1362:
	s_and_b32 vcc_lo, exec_lo, s12
	s_cbranch_vccz .LBB216_1366
; %bb.1363:
	v_cmp_eq_u16_e32 vcc_lo, 44, v4
	s_cbranch_vccz .LBB216_1365
; %bb.1364:
	global_load_u8 v7, v[0:1], off
	s_mov_b32 s0, 0
	s_mov_b32 s11, -1
	s_waitcnt vmcnt(0)
	v_lshlrev_b32_e32 v9, 23, v7
	v_cmp_ne_u32_e32 vcc_lo, 0xff, v7
	s_delay_alu instid0(VALU_DEP_2) | instskip(NEXT) | instid1(VALU_DEP_1)
	v_cvt_f16_f32_e32 v9, v9
	v_cndmask_b32_e32 v9, 0x7e00, v9, vcc_lo
	v_cmp_ne_u32_e32 vcc_lo, 0, v7
	s_delay_alu instid0(VALU_DEP_2)
	v_cndmask_b32_e32 v7, 0, v9, vcc_lo
	s_branch .LBB216_1366
.LBB216_1365:
	s_mov_b32 s0, -1
                                        ; implicit-def: $vgpr7
.LBB216_1366:
	s_mov_b32 s12, 0
.LBB216_1367:
	s_delay_alu instid0(SALU_CYCLE_1)
	s_and_b32 vcc_lo, exec_lo, s12
	s_cbranch_vccz .LBB216_1371
; %bb.1368:
	v_cmp_eq_u16_e32 vcc_lo, 29, v4
	s_cbranch_vccz .LBB216_1370
; %bb.1369:
	global_load_b64 v[9:10], v[0:1], off
	s_mov_b32 s0, 0
	s_mov_b32 s11, -1
	s_mov_b32 s12, 0
	s_waitcnt vmcnt(0)
	v_clz_i32_u32_e32 v7, v10
	s_delay_alu instid0(VALU_DEP_1) | instskip(NEXT) | instid1(VALU_DEP_1)
	v_min_u32_e32 v7, 32, v7
	v_lshlrev_b64 v[9:10], v7, v[9:10]
	v_sub_nc_u32_e32 v7, 32, v7
	s_delay_alu instid0(VALU_DEP_2) | instskip(NEXT) | instid1(VALU_DEP_1)
	v_min_u32_e32 v9, 1, v9
	v_or_b32_e32 v9, v10, v9
	s_delay_alu instid0(VALU_DEP_1) | instskip(NEXT) | instid1(VALU_DEP_1)
	v_cvt_f32_u32_e32 v9, v9
	v_ldexp_f32 v7, v9, v7
	s_delay_alu instid0(VALU_DEP_1)
	v_cvt_f16_f32_e32 v7, v7
	s_branch .LBB216_1372
.LBB216_1370:
	s_mov_b32 s0, -1
                                        ; implicit-def: $vgpr7
.LBB216_1371:
	s_mov_b32 s12, 0
.LBB216_1372:
	s_delay_alu instid0(SALU_CYCLE_1)
	s_and_b32 vcc_lo, exec_lo, s12
	s_cbranch_vccz .LBB216_1390
; %bb.1373:
	v_cmp_gt_i16_e32 vcc_lo, 27, v4
	s_cbranch_vccnz .LBB216_1376
; %bb.1374:
	v_cmp_lt_i16_e32 vcc_lo, 27, v4
	s_cbranch_vccz .LBB216_1377
; %bb.1375:
	global_load_b32 v7, v[0:1], off
	s_mov_b32 s11, 0
	s_waitcnt vmcnt(0)
	v_cvt_f32_u32_e32 v7, v7
	s_delay_alu instid0(VALU_DEP_1)
	v_cvt_f16_f32_e32 v7, v7
	s_branch .LBB216_1378
.LBB216_1376:
	s_mov_b32 s11, -1
                                        ; implicit-def: $vgpr7
	s_branch .LBB216_1381
.LBB216_1377:
	s_mov_b32 s11, -1
                                        ; implicit-def: $vgpr7
.LBB216_1378:
	s_delay_alu instid0(SALU_CYCLE_1)
	s_and_not1_b32 vcc_lo, exec_lo, s11
	s_cbranch_vccnz .LBB216_1380
; %bb.1379:
	global_load_u16 v7, v[0:1], off
	s_waitcnt vmcnt(0)
	v_cvt_f16_u16_e32 v7, v7
.LBB216_1380:
	s_mov_b32 s11, 0
.LBB216_1381:
	s_delay_alu instid0(SALU_CYCLE_1)
	s_and_not1_b32 vcc_lo, exec_lo, s11
	s_cbranch_vccnz .LBB216_1389
; %bb.1382:
	global_load_u8 v9, v[0:1], off
	s_mov_b32 s11, 0
	s_mov_b32 s13, exec_lo
                                        ; implicit-def: $sgpr12
	s_waitcnt vmcnt(0)
	v_cmpx_lt_i16_e32 0x7f, v9
	s_xor_b32 s13, exec_lo, s13
	s_cbranch_execz .LBB216_1403
; %bb.1383:
	s_mov_b32 s11, -1
	s_mov_b32 s14, exec_lo
                                        ; implicit-def: $sgpr12
	v_cmpx_eq_u16_e32 0x80, v9
; %bb.1384:
	s_movk_i32 s12, 0x7e00
	s_xor_b32 s11, exec_lo, -1
; %bb.1385:
	s_or_b32 exec_lo, exec_lo, s14
	s_delay_alu instid0(SALU_CYCLE_1)
	s_and_b32 s11, s11, exec_lo
	s_or_saveexec_b32 s13, s13
	v_mov_b32_e32 v7, s12
	s_xor_b32 exec_lo, exec_lo, s13
	s_cbranch_execnz .LBB216_1404
.LBB216_1386:
	s_or_b32 exec_lo, exec_lo, s13
	s_and_saveexec_b32 s12, s11
	s_cbranch_execz .LBB216_1388
.LBB216_1387:
	v_and_b32_e32 v7, 0xffff, v9
	v_lshlrev_b32_e32 v9, 24, v9
	s_delay_alu instid0(VALU_DEP_2) | instskip(NEXT) | instid1(VALU_DEP_2)
	v_and_b32_e32 v10, 7, v7
	v_and_b32_e32 v9, 0x80000000, v9
	s_delay_alu instid0(VALU_DEP_2) | instskip(NEXT) | instid1(VALU_DEP_1)
	v_clz_i32_u32_e32 v11, v10
	v_min_u32_e32 v11, 32, v11
	s_delay_alu instid0(VALU_DEP_1) | instskip(SKIP_1) | instid1(VALU_DEP_2)
	v_subrev_nc_u32_e32 v12, 28, v11
	v_sub_nc_u32_e32 v11, 29, v11
	v_lshlrev_b32_e32 v12, v12, v7
	v_bfe_u32 v7, v7, 3, 4
	s_delay_alu instid0(VALU_DEP_1) | instskip(NEXT) | instid1(VALU_DEP_3)
	v_cmp_eq_u32_e32 vcc_lo, 0, v7
	v_dual_cndmask_b32 v7, v7, v11 :: v_dual_and_b32 v12, 7, v12
	s_delay_alu instid0(VALU_DEP_1) | instskip(NEXT) | instid1(VALU_DEP_2)
	v_cndmask_b32_e32 v10, v10, v12, vcc_lo
	v_lshl_add_u32 v7, v7, 23, 0x3b800000
	s_delay_alu instid0(VALU_DEP_2) | instskip(NEXT) | instid1(VALU_DEP_1)
	v_lshlrev_b32_e32 v10, 20, v10
	v_or3_b32 v7, v9, v7, v10
	s_delay_alu instid0(VALU_DEP_1)
	v_cvt_f16_f32_e32 v7, v7
.LBB216_1388:
	s_or_b32 exec_lo, exec_lo, s12
.LBB216_1389:
	s_mov_b32 s11, -1
.LBB216_1390:
	s_mov_b32 s12, 0
.LBB216_1391:
	s_delay_alu instid0(SALU_CYCLE_1)
	s_and_b32 vcc_lo, exec_lo, s12
	s_cbranch_vccz .LBB216_1424
; %bb.1392:
	v_cmp_lt_i16_e32 vcc_lo, 22, v4
	s_cbranch_vccz .LBB216_1402
; %bb.1393:
	v_cmp_gt_i16_e32 vcc_lo, 24, v4
	s_cbranch_vccnz .LBB216_1405
; %bb.1394:
	v_cmp_lt_i16_e32 vcc_lo, 24, v4
	s_cbranch_vccz .LBB216_1406
; %bb.1395:
	global_load_u8 v9, v[0:1], off
	s_mov_b32 s12, exec_lo
                                        ; implicit-def: $sgpr11
	s_waitcnt vmcnt(0)
	v_cmpx_lt_i16_e32 0x7f, v9
	s_xor_b32 s12, exec_lo, s12
	s_cbranch_execz .LBB216_1418
; %bb.1396:
	s_mov_b32 s10, -1
	s_mov_b32 s13, exec_lo
                                        ; implicit-def: $sgpr11
	v_cmpx_eq_u16_e32 0x80, v9
; %bb.1397:
	s_movk_i32 s11, 0x7e00
	s_xor_b32 s10, exec_lo, -1
; %bb.1398:
	s_or_b32 exec_lo, exec_lo, s13
	s_delay_alu instid0(SALU_CYCLE_1)
	s_and_b32 s10, s10, exec_lo
	s_or_saveexec_b32 s12, s12
	v_mov_b32_e32 v7, s11
	s_xor_b32 exec_lo, exec_lo, s12
	s_cbranch_execnz .LBB216_1419
.LBB216_1399:
	s_or_b32 exec_lo, exec_lo, s12
	s_and_saveexec_b32 s11, s10
	s_cbranch_execz .LBB216_1401
.LBB216_1400:
	v_and_b32_e32 v7, 0xffff, v9
	v_lshlrev_b32_e32 v9, 24, v9
	s_delay_alu instid0(VALU_DEP_2) | instskip(NEXT) | instid1(VALU_DEP_2)
	v_and_b32_e32 v10, 3, v7
	v_and_b32_e32 v9, 0x80000000, v9
	s_delay_alu instid0(VALU_DEP_2) | instskip(NEXT) | instid1(VALU_DEP_1)
	v_clz_i32_u32_e32 v11, v10
	v_min_u32_e32 v11, 32, v11
	s_delay_alu instid0(VALU_DEP_1) | instskip(SKIP_1) | instid1(VALU_DEP_2)
	v_subrev_nc_u32_e32 v12, 29, v11
	v_sub_nc_u32_e32 v11, 30, v11
	v_lshlrev_b32_e32 v12, v12, v7
	v_bfe_u32 v7, v7, 2, 5
	s_delay_alu instid0(VALU_DEP_1) | instskip(NEXT) | instid1(VALU_DEP_3)
	v_cmp_eq_u32_e32 vcc_lo, 0, v7
	v_dual_cndmask_b32 v7, v7, v11 :: v_dual_and_b32 v12, 3, v12
	s_delay_alu instid0(VALU_DEP_1) | instskip(NEXT) | instid1(VALU_DEP_2)
	v_cndmask_b32_e32 v10, v10, v12, vcc_lo
	v_lshl_add_u32 v7, v7, 23, 0x37800000
	s_delay_alu instid0(VALU_DEP_2) | instskip(NEXT) | instid1(VALU_DEP_1)
	v_lshlrev_b32_e32 v10, 21, v10
	v_or3_b32 v7, v9, v7, v10
	s_delay_alu instid0(VALU_DEP_1)
	v_cvt_f16_f32_e32 v7, v7
.LBB216_1401:
	s_or_b32 exec_lo, exec_lo, s11
	s_mov_b32 s10, 0
	s_branch .LBB216_1407
.LBB216_1402:
	s_mov_b32 s10, -1
                                        ; implicit-def: $vgpr7
	s_branch .LBB216_1413
.LBB216_1403:
	s_or_saveexec_b32 s13, s13
	v_mov_b32_e32 v7, s12
	s_xor_b32 exec_lo, exec_lo, s13
	s_cbranch_execz .LBB216_1386
.LBB216_1404:
	v_cmp_ne_u16_e32 vcc_lo, 0, v9
	v_mov_b32_e32 v7, v9
	s_and_not1_b32 s11, s11, exec_lo
	s_and_b32 s12, vcc_lo, exec_lo
	s_delay_alu instid0(SALU_CYCLE_1)
	s_or_b32 s11, s11, s12
	s_or_b32 exec_lo, exec_lo, s13
	s_and_saveexec_b32 s12, s11
	s_cbranch_execnz .LBB216_1387
	s_branch .LBB216_1388
.LBB216_1405:
	s_mov_b32 s10, -1
                                        ; implicit-def: $vgpr7
	s_branch .LBB216_1410
.LBB216_1406:
	s_mov_b32 s10, -1
                                        ; implicit-def: $vgpr7
.LBB216_1407:
	s_delay_alu instid0(SALU_CYCLE_1)
	s_and_b32 vcc_lo, exec_lo, s10
	s_cbranch_vccz .LBB216_1409
; %bb.1408:
	global_load_u8 v7, v[0:1], off
	s_waitcnt vmcnt(0)
	v_lshlrev_b32_e32 v7, 24, v7
	s_delay_alu instid0(VALU_DEP_1) | instskip(NEXT) | instid1(VALU_DEP_1)
	v_and_b32_e32 v9, 0x7f000000, v7
	v_clz_i32_u32_e32 v10, v9
	v_cmp_ne_u32_e32 vcc_lo, 0, v9
	v_add_nc_u32_e32 v12, 0x1000000, v9
	s_delay_alu instid0(VALU_DEP_3) | instskip(NEXT) | instid1(VALU_DEP_1)
	v_min_u32_e32 v10, 32, v10
	v_sub_nc_u32_e64 v10, v10, 4 clamp
	s_delay_alu instid0(VALU_DEP_1) | instskip(SKIP_1) | instid1(VALU_DEP_2)
	v_lshlrev_b32_e32 v11, v10, v9
	v_lshlrev_b32_e32 v10, 23, v10
	v_lshrrev_b32_e32 v11, 4, v11
	s_delay_alu instid0(VALU_DEP_1) | instskip(SKIP_1) | instid1(VALU_DEP_2)
	v_sub_nc_u32_e32 v10, v11, v10
	v_ashrrev_i32_e32 v11, 8, v12
	v_add_nc_u32_e32 v10, 0x3c000000, v10
	s_delay_alu instid0(VALU_DEP_1) | instskip(NEXT) | instid1(VALU_DEP_1)
	v_and_or_b32 v10, 0x7f800000, v11, v10
	v_cndmask_b32_e32 v9, 0, v10, vcc_lo
	s_delay_alu instid0(VALU_DEP_1) | instskip(NEXT) | instid1(VALU_DEP_1)
	v_and_or_b32 v7, 0x80000000, v7, v9
	v_cvt_f16_f32_e32 v7, v7
.LBB216_1409:
	s_mov_b32 s10, 0
.LBB216_1410:
	s_delay_alu instid0(SALU_CYCLE_1)
	s_and_not1_b32 vcc_lo, exec_lo, s10
	s_cbranch_vccnz .LBB216_1412
; %bb.1411:
	global_load_u8 v7, v[0:1], off
	s_waitcnt vmcnt(0)
	v_lshlrev_b32_e32 v9, 25, v7
	v_lshlrev_b16 v7, 8, v7
	s_delay_alu instid0(VALU_DEP_2) | instskip(NEXT) | instid1(VALU_DEP_2)
	v_lshrrev_b32_e32 v10, 4, v9
	v_and_or_b32 v11, 0x7f00, v7, 0.5
	v_bfe_i32 v7, v7, 0, 16
	s_delay_alu instid0(VALU_DEP_3) | instskip(NEXT) | instid1(VALU_DEP_1)
	v_or_b32_e32 v10, 0x70000000, v10
	v_dual_add_f32 v11, -0.5, v11 :: v_dual_mul_f32 v10, 0x7800000, v10
	v_cmp_gt_u32_e32 vcc_lo, 0x8000000, v9
	s_delay_alu instid0(VALU_DEP_2) | instskip(NEXT) | instid1(VALU_DEP_1)
	v_cndmask_b32_e32 v9, v10, v11, vcc_lo
	v_and_or_b32 v7, 0x80000000, v7, v9
	s_delay_alu instid0(VALU_DEP_1)
	v_cvt_f16_f32_e32 v7, v7
.LBB216_1412:
	s_mov_b32 s10, 0
	s_mov_b32 s11, -1
.LBB216_1413:
	s_and_not1_b32 vcc_lo, exec_lo, s10
	s_mov_b32 s10, 0
	s_cbranch_vccnz .LBB216_1424
; %bb.1414:
	v_cmp_lt_i16_e32 vcc_lo, 14, v4
	s_cbranch_vccz .LBB216_1417
; %bb.1415:
	v_cmp_eq_u16_e32 vcc_lo, 15, v4
	s_cbranch_vccz .LBB216_1420
; %bb.1416:
	global_load_u16 v7, v[0:1], off
	s_mov_b32 s0, 0
	s_mov_b32 s11, -1
	s_waitcnt vmcnt(0)
	v_lshlrev_b32_e32 v7, 16, v7
	s_delay_alu instid0(VALU_DEP_1)
	v_cvt_f16_f32_e32 v7, v7
	s_branch .LBB216_1422
.LBB216_1417:
	s_mov_b32 s10, -1
	s_branch .LBB216_1421
.LBB216_1418:
	s_or_saveexec_b32 s12, s12
	v_mov_b32_e32 v7, s11
	s_xor_b32 exec_lo, exec_lo, s12
	s_cbranch_execz .LBB216_1399
.LBB216_1419:
	v_cmp_ne_u16_e32 vcc_lo, 0, v9
	v_mov_b32_e32 v7, v9
	s_and_not1_b32 s10, s10, exec_lo
	s_and_b32 s11, vcc_lo, exec_lo
	s_delay_alu instid0(SALU_CYCLE_1)
	s_or_b32 s10, s10, s11
	s_or_b32 exec_lo, exec_lo, s12
	s_and_saveexec_b32 s11, s10
	s_cbranch_execnz .LBB216_1400
	s_branch .LBB216_1401
.LBB216_1420:
	s_mov_b32 s0, -1
.LBB216_1421:
                                        ; implicit-def: $vgpr7
.LBB216_1422:
	s_and_b32 vcc_lo, exec_lo, s10
	s_mov_b32 s10, 0
	s_cbranch_vccz .LBB216_1424
; %bb.1423:
	v_cmp_ne_u16_e64 s0, 11, v4
	s_mov_b32 s10, -1
                                        ; implicit-def: $vgpr7
.LBB216_1424:
	s_delay_alu instid0(VALU_DEP_1)
	s_and_b32 vcc_lo, exec_lo, s0
	s_cbranch_vccnz .LBB216_1440
; %bb.1425:
	s_and_not1_b32 vcc_lo, exec_lo, s10
	s_cbranch_vccnz .LBB216_1427
.LBB216_1426:
	global_load_u8 v7, v[0:1], off
	s_mov_b32 s11, -1
	s_waitcnt vmcnt(0)
	v_cmp_ne_u16_e32 vcc_lo, 0, v7
	v_cndmask_b32_e64 v7, 0, 0x3c00, vcc_lo
.LBB216_1427:
.LBB216_1428:
	s_and_not1_b32 vcc_lo, exec_lo, s11
	s_cbranch_vccnz .LBB216_1996
.LBB216_1429:
	v_add_nc_u32_e32 v0, s3, v8
	v_cmp_gt_i16_e32 vcc_lo, 11, v4
	s_delay_alu instid0(VALU_DEP_2) | instskip(SKIP_1) | instid1(VALU_DEP_1)
	v_ashrrev_i32_e32 v1, 31, v0
	v_add_co_u32 v0, s0, s6, v0
	v_add_co_ci_u32_e64 v1, s0, s7, v1, s0
	s_cbranch_vccnz .LBB216_1436
; %bb.1430:
	v_cmp_lt_i16_e32 vcc_lo, 25, v4
	s_mov_b32 s3, 0
	s_cbranch_vccz .LBB216_1437
; %bb.1431:
	v_cmp_lt_i16_e32 vcc_lo, 28, v4
	s_cbranch_vccz .LBB216_1438
; %bb.1432:
	v_cmp_lt_i16_e32 vcc_lo, 43, v4
	;; [unrolled: 3-line block ×3, first 2 shown]
	s_cbranch_vccz .LBB216_1442
; %bb.1434:
	v_cmp_eq_u16_e32 vcc_lo, 46, v4
	s_mov_b32 s7, 0
	s_cbranch_vccz .LBB216_1445
; %bb.1435:
	global_load_b32 v8, v[0:1], off
	s_mov_b32 s0, 0
	s_mov_b32 s6, -1
	s_waitcnt vmcnt(0)
	v_lshlrev_b32_e32 v8, 16, v8
	s_delay_alu instid0(VALU_DEP_1)
	v_cvt_f16_f32_e32 v8, v8
	s_branch .LBB216_1447
.LBB216_1436:
	s_mov_b32 s0, -1
	s_mov_b32 s6, 0
                                        ; implicit-def: $vgpr8
	s_branch .LBB216_1513
.LBB216_1437:
	s_mov_b32 s7, -1
	s_mov_b32 s6, 0
	s_mov_b32 s0, 0
                                        ; implicit-def: $vgpr8
	s_branch .LBB216_1476
.LBB216_1438:
	s_mov_b32 s7, -1
	s_mov_b32 s6, 0
	s_mov_b32 s0, 0
                                        ; implicit-def: $vgpr8
	s_branch .LBB216_1457
.LBB216_1439:
	s_mov_b32 s7, -1
	s_mov_b32 s6, 0
	s_mov_b32 s0, 0
                                        ; implicit-def: $vgpr8
	s_branch .LBB216_1452
.LBB216_1440:
	s_cbranch_execnz .LBB216_1443
; %bb.1441:
	s_or_b32 s1, s1, exec_lo
                                        ; implicit-def: $vgpr7
	s_cbranch_execz .LBB216_1426
	s_branch .LBB216_1427
.LBB216_1442:
	s_mov_b32 s7, -1
	s_mov_b32 s6, 0
	s_mov_b32 s0, 0
	s_branch .LBB216_1446
.LBB216_1443:
	s_trap 2
	s_sendmsg_rtn_b32 s0, sendmsg(MSG_RTN_GET_DOORBELL)
	s_mov_b32 ttmp2, m0
	s_waitcnt lgkmcnt(0)
	s_and_b32 s0, s0, 0x3ff
	s_delay_alu instid0(SALU_CYCLE_1) | instskip(NEXT) | instid1(SALU_CYCLE_1)
	s_bitset1_b32 s0, 10
	s_mov_b32 m0, s0
	s_sendmsg sendmsg(MSG_INTERRUPT)
	s_mov_b32 m0, ttmp2
.LBB216_1444:                           ; =>This Inner Loop Header: Depth=1
	s_sethalt 5
	s_branch .LBB216_1444
.LBB216_1445:
	s_mov_b32 s0, -1
	s_mov_b32 s6, 0
.LBB216_1446:
                                        ; implicit-def: $vgpr8
.LBB216_1447:
	s_and_b32 vcc_lo, exec_lo, s7
	s_cbranch_vccz .LBB216_1451
; %bb.1448:
	v_cmp_eq_u16_e32 vcc_lo, 44, v4
	s_cbranch_vccz .LBB216_1450
; %bb.1449:
	global_load_u8 v8, v[0:1], off
	s_mov_b32 s0, 0
	s_mov_b32 s6, -1
	s_waitcnt vmcnt(0)
	v_lshlrev_b32_e32 v9, 23, v8
	v_cmp_ne_u32_e32 vcc_lo, 0xff, v8
	s_delay_alu instid0(VALU_DEP_2) | instskip(NEXT) | instid1(VALU_DEP_1)
	v_cvt_f16_f32_e32 v9, v9
	v_cndmask_b32_e32 v9, 0x7e00, v9, vcc_lo
	v_cmp_ne_u32_e32 vcc_lo, 0, v8
	s_delay_alu instid0(VALU_DEP_2)
	v_cndmask_b32_e32 v8, 0, v9, vcc_lo
	s_branch .LBB216_1451
.LBB216_1450:
	s_mov_b32 s0, -1
                                        ; implicit-def: $vgpr8
.LBB216_1451:
	s_mov_b32 s7, 0
.LBB216_1452:
	s_delay_alu instid0(SALU_CYCLE_1)
	s_and_b32 vcc_lo, exec_lo, s7
	s_cbranch_vccz .LBB216_1456
; %bb.1453:
	v_cmp_eq_u16_e32 vcc_lo, 29, v4
	s_cbranch_vccz .LBB216_1455
; %bb.1454:
	global_load_b64 v[8:9], v[0:1], off
	s_mov_b32 s0, 0
	s_mov_b32 s6, -1
	s_mov_b32 s7, 0
	s_waitcnt vmcnt(0)
	v_clz_i32_u32_e32 v10, v9
	s_delay_alu instid0(VALU_DEP_1) | instskip(NEXT) | instid1(VALU_DEP_1)
	v_min_u32_e32 v10, 32, v10
	v_lshlrev_b64 v[8:9], v10, v[8:9]
	s_delay_alu instid0(VALU_DEP_1) | instskip(NEXT) | instid1(VALU_DEP_1)
	v_min_u32_e32 v8, 1, v8
	v_or_b32_e32 v8, v9, v8
	v_sub_nc_u32_e32 v9, 32, v10
	s_delay_alu instid0(VALU_DEP_2) | instskip(NEXT) | instid1(VALU_DEP_1)
	v_cvt_f32_u32_e32 v8, v8
	v_ldexp_f32 v8, v8, v9
	s_delay_alu instid0(VALU_DEP_1)
	v_cvt_f16_f32_e32 v8, v8
	s_branch .LBB216_1457
.LBB216_1455:
	s_mov_b32 s0, -1
                                        ; implicit-def: $vgpr8
.LBB216_1456:
	s_mov_b32 s7, 0
.LBB216_1457:
	s_delay_alu instid0(SALU_CYCLE_1)
	s_and_b32 vcc_lo, exec_lo, s7
	s_cbranch_vccz .LBB216_1475
; %bb.1458:
	v_cmp_gt_i16_e32 vcc_lo, 27, v4
	s_cbranch_vccnz .LBB216_1461
; %bb.1459:
	v_cmp_lt_i16_e32 vcc_lo, 27, v4
	s_cbranch_vccz .LBB216_1462
; %bb.1460:
	global_load_b32 v8, v[0:1], off
	s_mov_b32 s6, 0
	s_waitcnt vmcnt(0)
	v_cvt_f32_u32_e32 v8, v8
	s_delay_alu instid0(VALU_DEP_1)
	v_cvt_f16_f32_e32 v8, v8
	s_branch .LBB216_1463
.LBB216_1461:
	s_mov_b32 s6, -1
                                        ; implicit-def: $vgpr8
	s_branch .LBB216_1466
.LBB216_1462:
	s_mov_b32 s6, -1
                                        ; implicit-def: $vgpr8
.LBB216_1463:
	s_delay_alu instid0(SALU_CYCLE_1)
	s_and_not1_b32 vcc_lo, exec_lo, s6
	s_cbranch_vccnz .LBB216_1465
; %bb.1464:
	global_load_u16 v8, v[0:1], off
	s_waitcnt vmcnt(0)
	v_cvt_f16_u16_e32 v8, v8
.LBB216_1465:
	s_mov_b32 s6, 0
.LBB216_1466:
	s_delay_alu instid0(SALU_CYCLE_1)
	s_and_not1_b32 vcc_lo, exec_lo, s6
	s_cbranch_vccnz .LBB216_1474
; %bb.1467:
	global_load_u8 v9, v[0:1], off
	s_mov_b32 s6, 0
	s_mov_b32 s10, exec_lo
                                        ; implicit-def: $sgpr7
	s_waitcnt vmcnt(0)
	v_cmpx_lt_i16_e32 0x7f, v9
	s_xor_b32 s10, exec_lo, s10
	s_cbranch_execz .LBB216_1488
; %bb.1468:
	s_mov_b32 s6, -1
	s_mov_b32 s11, exec_lo
                                        ; implicit-def: $sgpr7
	v_cmpx_eq_u16_e32 0x80, v9
; %bb.1469:
	s_movk_i32 s7, 0x7e00
	s_xor_b32 s6, exec_lo, -1
; %bb.1470:
	s_or_b32 exec_lo, exec_lo, s11
	s_delay_alu instid0(SALU_CYCLE_1)
	s_and_b32 s6, s6, exec_lo
	s_or_saveexec_b32 s10, s10
	v_mov_b32_e32 v8, s7
	s_xor_b32 exec_lo, exec_lo, s10
	s_cbranch_execnz .LBB216_1489
.LBB216_1471:
	s_or_b32 exec_lo, exec_lo, s10
	s_and_saveexec_b32 s7, s6
	s_cbranch_execz .LBB216_1473
.LBB216_1472:
	v_and_b32_e32 v8, 0xffff, v9
	s_delay_alu instid0(VALU_DEP_1) | instskip(NEXT) | instid1(VALU_DEP_1)
	v_and_b32_e32 v10, 7, v8
	v_clz_i32_u32_e32 v11, v10
	s_delay_alu instid0(VALU_DEP_1) | instskip(NEXT) | instid1(VALU_DEP_1)
	v_min_u32_e32 v11, 32, v11
	v_subrev_nc_u32_e32 v12, 28, v11
	v_sub_nc_u32_e32 v11, 29, v11
	s_delay_alu instid0(VALU_DEP_2) | instskip(SKIP_1) | instid1(VALU_DEP_2)
	v_lshlrev_b32_e32 v12, v12, v8
	v_bfe_u32 v8, v8, 3, 4
	v_and_b32_e32 v12, 7, v12
	s_delay_alu instid0(VALU_DEP_2) | instskip(SKIP_1) | instid1(VALU_DEP_1)
	v_cmp_eq_u32_e32 vcc_lo, 0, v8
	v_dual_cndmask_b32 v8, v8, v11 :: v_dual_lshlrev_b32 v9, 24, v9
	v_dual_cndmask_b32 v10, v10, v12 :: v_dual_and_b32 v9, 0x80000000, v9
	s_delay_alu instid0(VALU_DEP_2) | instskip(NEXT) | instid1(VALU_DEP_2)
	v_lshl_add_u32 v8, v8, 23, 0x3b800000
	v_lshlrev_b32_e32 v10, 20, v10
	s_delay_alu instid0(VALU_DEP_1) | instskip(NEXT) | instid1(VALU_DEP_1)
	v_or3_b32 v8, v9, v8, v10
	v_cvt_f16_f32_e32 v8, v8
.LBB216_1473:
	s_or_b32 exec_lo, exec_lo, s7
.LBB216_1474:
	s_mov_b32 s6, -1
.LBB216_1475:
	s_mov_b32 s7, 0
.LBB216_1476:
	s_delay_alu instid0(SALU_CYCLE_1)
	s_and_b32 vcc_lo, exec_lo, s7
	s_cbranch_vccz .LBB216_1509
; %bb.1477:
	v_cmp_lt_i16_e32 vcc_lo, 22, v4
	s_cbranch_vccz .LBB216_1487
; %bb.1478:
	v_cmp_gt_i16_e32 vcc_lo, 24, v4
	s_cbranch_vccnz .LBB216_1490
; %bb.1479:
	v_cmp_lt_i16_e32 vcc_lo, 24, v4
	s_cbranch_vccz .LBB216_1491
; %bb.1480:
	global_load_u8 v9, v[0:1], off
	s_mov_b32 s7, exec_lo
                                        ; implicit-def: $sgpr6
	s_waitcnt vmcnt(0)
	v_cmpx_lt_i16_e32 0x7f, v9
	s_xor_b32 s7, exec_lo, s7
	s_cbranch_execz .LBB216_1503
; %bb.1481:
	s_mov_b32 s3, -1
	s_mov_b32 s10, exec_lo
                                        ; implicit-def: $sgpr6
	v_cmpx_eq_u16_e32 0x80, v9
; %bb.1482:
	s_movk_i32 s6, 0x7e00
	s_xor_b32 s3, exec_lo, -1
; %bb.1483:
	s_or_b32 exec_lo, exec_lo, s10
	s_delay_alu instid0(SALU_CYCLE_1)
	s_and_b32 s3, s3, exec_lo
	s_or_saveexec_b32 s7, s7
	v_mov_b32_e32 v8, s6
	s_xor_b32 exec_lo, exec_lo, s7
	s_cbranch_execnz .LBB216_1504
.LBB216_1484:
	s_or_b32 exec_lo, exec_lo, s7
	s_and_saveexec_b32 s6, s3
	s_cbranch_execz .LBB216_1486
.LBB216_1485:
	v_and_b32_e32 v8, 0xffff, v9
	s_delay_alu instid0(VALU_DEP_1) | instskip(NEXT) | instid1(VALU_DEP_1)
	v_and_b32_e32 v10, 3, v8
	v_clz_i32_u32_e32 v11, v10
	s_delay_alu instid0(VALU_DEP_1) | instskip(NEXT) | instid1(VALU_DEP_1)
	v_min_u32_e32 v11, 32, v11
	v_subrev_nc_u32_e32 v12, 29, v11
	v_sub_nc_u32_e32 v11, 30, v11
	s_delay_alu instid0(VALU_DEP_2) | instskip(SKIP_1) | instid1(VALU_DEP_2)
	v_lshlrev_b32_e32 v12, v12, v8
	v_bfe_u32 v8, v8, 2, 5
	v_and_b32_e32 v12, 3, v12
	s_delay_alu instid0(VALU_DEP_2) | instskip(SKIP_1) | instid1(VALU_DEP_1)
	v_cmp_eq_u32_e32 vcc_lo, 0, v8
	v_dual_cndmask_b32 v8, v8, v11 :: v_dual_lshlrev_b32 v9, 24, v9
	v_dual_cndmask_b32 v10, v10, v12 :: v_dual_and_b32 v9, 0x80000000, v9
	s_delay_alu instid0(VALU_DEP_2) | instskip(NEXT) | instid1(VALU_DEP_2)
	v_lshl_add_u32 v8, v8, 23, 0x37800000
	v_lshlrev_b32_e32 v10, 21, v10
	s_delay_alu instid0(VALU_DEP_1) | instskip(NEXT) | instid1(VALU_DEP_1)
	v_or3_b32 v8, v9, v8, v10
	v_cvt_f16_f32_e32 v8, v8
.LBB216_1486:
	s_or_b32 exec_lo, exec_lo, s6
	s_mov_b32 s3, 0
	s_branch .LBB216_1492
.LBB216_1487:
	s_mov_b32 s3, -1
                                        ; implicit-def: $vgpr8
	s_branch .LBB216_1498
.LBB216_1488:
	s_or_saveexec_b32 s10, s10
	v_mov_b32_e32 v8, s7
	s_xor_b32 exec_lo, exec_lo, s10
	s_cbranch_execz .LBB216_1471
.LBB216_1489:
	v_cmp_ne_u16_e32 vcc_lo, 0, v9
	v_mov_b32_e32 v8, v9
	s_and_not1_b32 s6, s6, exec_lo
	s_and_b32 s7, vcc_lo, exec_lo
	s_delay_alu instid0(SALU_CYCLE_1)
	s_or_b32 s6, s6, s7
	s_or_b32 exec_lo, exec_lo, s10
	s_and_saveexec_b32 s7, s6
	s_cbranch_execnz .LBB216_1472
	s_branch .LBB216_1473
.LBB216_1490:
	s_mov_b32 s3, -1
                                        ; implicit-def: $vgpr8
	s_branch .LBB216_1495
.LBB216_1491:
	s_mov_b32 s3, -1
                                        ; implicit-def: $vgpr8
.LBB216_1492:
	s_delay_alu instid0(SALU_CYCLE_1)
	s_and_b32 vcc_lo, exec_lo, s3
	s_cbranch_vccz .LBB216_1494
; %bb.1493:
	global_load_u8 v8, v[0:1], off
	s_waitcnt vmcnt(0)
	v_lshlrev_b32_e32 v8, 24, v8
	s_delay_alu instid0(VALU_DEP_1) | instskip(NEXT) | instid1(VALU_DEP_1)
	v_and_b32_e32 v9, 0x7f000000, v8
	v_clz_i32_u32_e32 v10, v9
	v_add_nc_u32_e32 v12, 0x1000000, v9
	v_cmp_ne_u32_e32 vcc_lo, 0, v9
	s_delay_alu instid0(VALU_DEP_3) | instskip(NEXT) | instid1(VALU_DEP_1)
	v_min_u32_e32 v10, 32, v10
	v_sub_nc_u32_e64 v10, v10, 4 clamp
	s_delay_alu instid0(VALU_DEP_1) | instskip(SKIP_1) | instid1(VALU_DEP_2)
	v_lshlrev_b32_e32 v11, v10, v9
	v_lshlrev_b32_e32 v10, 23, v10
	v_lshrrev_b32_e32 v11, 4, v11
	s_delay_alu instid0(VALU_DEP_1) | instskip(SKIP_1) | instid1(VALU_DEP_2)
	v_sub_nc_u32_e32 v10, v11, v10
	v_ashrrev_i32_e32 v11, 8, v12
	v_add_nc_u32_e32 v10, 0x3c000000, v10
	s_delay_alu instid0(VALU_DEP_1) | instskip(NEXT) | instid1(VALU_DEP_1)
	v_and_or_b32 v10, 0x7f800000, v11, v10
	v_cndmask_b32_e32 v9, 0, v10, vcc_lo
	s_delay_alu instid0(VALU_DEP_1) | instskip(NEXT) | instid1(VALU_DEP_1)
	v_and_or_b32 v8, 0x80000000, v8, v9
	v_cvt_f16_f32_e32 v8, v8
.LBB216_1494:
	s_mov_b32 s3, 0
.LBB216_1495:
	s_delay_alu instid0(SALU_CYCLE_1)
	s_and_not1_b32 vcc_lo, exec_lo, s3
	s_cbranch_vccnz .LBB216_1497
; %bb.1496:
	global_load_u8 v8, v[0:1], off
	s_waitcnt vmcnt(0)
	v_lshlrev_b32_e32 v9, 25, v8
	v_lshlrev_b16 v8, 8, v8
	s_delay_alu instid0(VALU_DEP_2) | instskip(NEXT) | instid1(VALU_DEP_2)
	v_lshrrev_b32_e32 v10, 4, v9
	v_and_or_b32 v11, 0x7f00, v8, 0.5
	v_bfe_i32 v8, v8, 0, 16
	s_delay_alu instid0(VALU_DEP_3) | instskip(NEXT) | instid1(VALU_DEP_1)
	v_or_b32_e32 v10, 0x70000000, v10
	v_dual_add_f32 v11, -0.5, v11 :: v_dual_mul_f32 v10, 0x7800000, v10
	v_cmp_gt_u32_e32 vcc_lo, 0x8000000, v9
	s_delay_alu instid0(VALU_DEP_2) | instskip(NEXT) | instid1(VALU_DEP_1)
	v_cndmask_b32_e32 v9, v10, v11, vcc_lo
	v_and_or_b32 v8, 0x80000000, v8, v9
	s_delay_alu instid0(VALU_DEP_1)
	v_cvt_f16_f32_e32 v8, v8
.LBB216_1497:
	s_mov_b32 s3, 0
	s_mov_b32 s6, -1
.LBB216_1498:
	s_and_not1_b32 vcc_lo, exec_lo, s3
	s_mov_b32 s3, 0
	s_cbranch_vccnz .LBB216_1509
; %bb.1499:
	v_cmp_lt_i16_e32 vcc_lo, 14, v4
	s_cbranch_vccz .LBB216_1502
; %bb.1500:
	v_cmp_eq_u16_e32 vcc_lo, 15, v4
	s_cbranch_vccz .LBB216_1505
; %bb.1501:
	global_load_u16 v8, v[0:1], off
	s_mov_b32 s0, 0
	s_mov_b32 s6, -1
	s_waitcnt vmcnt(0)
	v_lshlrev_b32_e32 v8, 16, v8
	s_delay_alu instid0(VALU_DEP_1)
	v_cvt_f16_f32_e32 v8, v8
	s_branch .LBB216_1507
.LBB216_1502:
	s_mov_b32 s3, -1
	s_branch .LBB216_1506
.LBB216_1503:
	s_or_saveexec_b32 s7, s7
	v_mov_b32_e32 v8, s6
	s_xor_b32 exec_lo, exec_lo, s7
	s_cbranch_execz .LBB216_1484
.LBB216_1504:
	v_cmp_ne_u16_e32 vcc_lo, 0, v9
	v_mov_b32_e32 v8, v9
	s_and_not1_b32 s3, s3, exec_lo
	s_and_b32 s6, vcc_lo, exec_lo
	s_delay_alu instid0(SALU_CYCLE_1)
	s_or_b32 s3, s3, s6
	s_or_b32 exec_lo, exec_lo, s7
	s_and_saveexec_b32 s6, s3
	s_cbranch_execnz .LBB216_1485
	s_branch .LBB216_1486
.LBB216_1505:
	s_mov_b32 s0, -1
.LBB216_1506:
                                        ; implicit-def: $vgpr8
.LBB216_1507:
	s_and_b32 vcc_lo, exec_lo, s3
	s_mov_b32 s3, 0
	s_cbranch_vccz .LBB216_1509
; %bb.1508:
	v_cmp_ne_u16_e64 s0, 11, v4
	s_mov_b32 s3, -1
                                        ; implicit-def: $vgpr8
.LBB216_1509:
	s_delay_alu instid0(VALU_DEP_1)
	s_and_b32 vcc_lo, exec_lo, s0
	s_cbranch_vccnz .LBB216_2042
; %bb.1510:
	s_and_not1_b32 vcc_lo, exec_lo, s3
	s_cbranch_vccnz .LBB216_1512
.LBB216_1511:
	global_load_u8 v8, v[0:1], off
	s_mov_b32 s6, -1
	s_waitcnt vmcnt(0)
	v_cmp_ne_u16_e32 vcc_lo, 0, v8
	v_cndmask_b32_e64 v8, 0, 0x3c00, vcc_lo
.LBB216_1512:
	s_mov_b32 s0, 0
.LBB216_1513:
	s_delay_alu instid0(SALU_CYCLE_1)
	s_and_b32 vcc_lo, exec_lo, s0
	s_cbranch_vccz .LBB216_1562
; %bb.1514:
	v_cmp_gt_i16_e32 vcc_lo, 5, v4
	s_cbranch_vccnz .LBB216_1519
; %bb.1515:
	v_cmp_gt_i16_e32 vcc_lo, 8, v4
	s_cbranch_vccnz .LBB216_1520
; %bb.1516:
	v_cmp_gt_i16_e32 vcc_lo, 9, v4
	s_cbranch_vccnz .LBB216_1521
; %bb.1517:
	v_cmp_lt_i16_e32 vcc_lo, 9, v4
	s_cbranch_vccz .LBB216_1522
; %bb.1518:
	global_load_b64 v[8:9], v[0:1], off
	s_mov_b32 s0, 0
	s_waitcnt vmcnt(0)
	v_cvt_f32_f64_e32 v8, v[8:9]
	s_delay_alu instid0(VALU_DEP_1)
	v_cvt_f16_f32_e32 v8, v8
	s_branch .LBB216_1523
.LBB216_1519:
	s_mov_b32 s0, -1
                                        ; implicit-def: $vgpr8
	s_branch .LBB216_1541
.LBB216_1520:
	s_mov_b32 s0, -1
                                        ; implicit-def: $vgpr8
	s_branch .LBB216_1529
.LBB216_1521:
	s_mov_b32 s0, -1
                                        ; implicit-def: $vgpr8
	s_branch .LBB216_1526
.LBB216_1522:
	s_mov_b32 s0, -1
                                        ; implicit-def: $vgpr8
.LBB216_1523:
	s_delay_alu instid0(SALU_CYCLE_1)
	s_and_not1_b32 vcc_lo, exec_lo, s0
	s_cbranch_vccnz .LBB216_1525
; %bb.1524:
	global_load_b32 v8, v[0:1], off
	s_waitcnt vmcnt(0)
	v_cvt_f16_f32_e32 v8, v8
.LBB216_1525:
	s_mov_b32 s0, 0
.LBB216_1526:
	s_delay_alu instid0(SALU_CYCLE_1)
	s_and_not1_b32 vcc_lo, exec_lo, s0
	s_cbranch_vccnz .LBB216_1528
; %bb.1527:
	global_load_b32 v8, v[0:1], off
.LBB216_1528:
	s_mov_b32 s0, 0
.LBB216_1529:
	s_delay_alu instid0(SALU_CYCLE_1)
	s_and_not1_b32 vcc_lo, exec_lo, s0
	s_cbranch_vccnz .LBB216_1540
; %bb.1530:
	v_cmp_gt_i16_e32 vcc_lo, 6, v4
	s_cbranch_vccnz .LBB216_1533
; %bb.1531:
	v_cmp_lt_i16_e32 vcc_lo, 6, v4
	s_cbranch_vccz .LBB216_1534
; %bb.1532:
	global_load_b64 v[8:9], v[0:1], off
	s_mov_b32 s0, 0
	s_waitcnt vmcnt(0)
	v_cvt_f32_f64_e32 v8, v[8:9]
	s_delay_alu instid0(VALU_DEP_1)
	v_cvt_f16_f32_e32 v8, v8
	s_branch .LBB216_1535
.LBB216_1533:
	s_mov_b32 s0, -1
                                        ; implicit-def: $vgpr8
	s_branch .LBB216_1538
.LBB216_1534:
	s_mov_b32 s0, -1
                                        ; implicit-def: $vgpr8
.LBB216_1535:
	s_delay_alu instid0(SALU_CYCLE_1)
	s_and_not1_b32 vcc_lo, exec_lo, s0
	s_cbranch_vccnz .LBB216_1537
; %bb.1536:
	global_load_b32 v8, v[0:1], off
	s_waitcnt vmcnt(0)
	v_cvt_f16_f32_e32 v8, v8
.LBB216_1537:
	s_mov_b32 s0, 0
.LBB216_1538:
	s_delay_alu instid0(SALU_CYCLE_1)
	s_and_not1_b32 vcc_lo, exec_lo, s0
	s_cbranch_vccnz .LBB216_1540
; %bb.1539:
	global_load_u16 v8, v[0:1], off
.LBB216_1540:
	s_mov_b32 s0, 0
.LBB216_1541:
	s_delay_alu instid0(SALU_CYCLE_1)
	s_and_not1_b32 vcc_lo, exec_lo, s0
	s_cbranch_vccnz .LBB216_1561
; %bb.1542:
	v_cmp_gt_i16_e32 vcc_lo, 2, v4
	s_cbranch_vccnz .LBB216_1546
; %bb.1543:
	v_cmp_gt_i16_e32 vcc_lo, 3, v4
	s_cbranch_vccnz .LBB216_1547
; %bb.1544:
	v_cmp_lt_i16_e32 vcc_lo, 3, v4
	s_cbranch_vccz .LBB216_1548
; %bb.1545:
	global_load_b64 v[8:9], v[0:1], off
	s_mov_b32 s0, 0
	s_waitcnt vmcnt(0)
	v_xor_b32_e32 v10, v8, v9
	v_cls_i32_e32 v11, v9
	s_delay_alu instid0(VALU_DEP_2) | instskip(NEXT) | instid1(VALU_DEP_2)
	v_ashrrev_i32_e32 v10, 31, v10
	v_add_nc_u32_e32 v11, -1, v11
	s_delay_alu instid0(VALU_DEP_2) | instskip(NEXT) | instid1(VALU_DEP_1)
	v_add_nc_u32_e32 v10, 32, v10
	v_min_u32_e32 v10, v11, v10
	s_delay_alu instid0(VALU_DEP_1) | instskip(NEXT) | instid1(VALU_DEP_1)
	v_lshlrev_b64 v[8:9], v10, v[8:9]
	v_min_u32_e32 v8, 1, v8
	s_delay_alu instid0(VALU_DEP_1) | instskip(SKIP_1) | instid1(VALU_DEP_2)
	v_or_b32_e32 v8, v9, v8
	v_sub_nc_u32_e32 v9, 32, v10
	v_cvt_f32_i32_e32 v8, v8
	s_delay_alu instid0(VALU_DEP_1) | instskip(NEXT) | instid1(VALU_DEP_1)
	v_ldexp_f32 v8, v8, v9
	v_cvt_f16_f32_e32 v8, v8
	s_branch .LBB216_1549
.LBB216_1546:
	s_mov_b32 s0, -1
                                        ; implicit-def: $vgpr8
	s_branch .LBB216_1555
.LBB216_1547:
	s_mov_b32 s0, -1
                                        ; implicit-def: $vgpr8
	s_branch .LBB216_1552
.LBB216_1548:
	s_mov_b32 s0, -1
                                        ; implicit-def: $vgpr8
.LBB216_1549:
	s_delay_alu instid0(SALU_CYCLE_1)
	s_and_not1_b32 vcc_lo, exec_lo, s0
	s_cbranch_vccnz .LBB216_1551
; %bb.1550:
	global_load_b32 v8, v[0:1], off
	s_waitcnt vmcnt(0)
	v_cvt_f32_i32_e32 v8, v8
	s_delay_alu instid0(VALU_DEP_1)
	v_cvt_f16_f32_e32 v8, v8
.LBB216_1551:
	s_mov_b32 s0, 0
.LBB216_1552:
	s_delay_alu instid0(SALU_CYCLE_1)
	s_and_not1_b32 vcc_lo, exec_lo, s0
	s_cbranch_vccnz .LBB216_1554
; %bb.1553:
	global_load_u16 v8, v[0:1], off
	s_waitcnt vmcnt(0)
	v_cvt_f16_i16_e32 v8, v8
.LBB216_1554:
	s_mov_b32 s0, 0
.LBB216_1555:
	s_delay_alu instid0(SALU_CYCLE_1)
	s_and_not1_b32 vcc_lo, exec_lo, s0
	s_cbranch_vccnz .LBB216_1561
; %bb.1556:
	v_cmp_lt_i16_e32 vcc_lo, 0, v4
	s_mov_b32 s0, 0
	s_cbranch_vccz .LBB216_1558
; %bb.1557:
	global_load_i8 v4, v[0:1], off
	s_waitcnt vmcnt(0)
	v_cvt_f16_i16_e32 v8, v4
	s_branch .LBB216_1559
.LBB216_1558:
	s_mov_b32 s0, -1
                                        ; implicit-def: $vgpr8
.LBB216_1559:
	s_delay_alu instid0(SALU_CYCLE_1)
	s_and_not1_b32 vcc_lo, exec_lo, s0
	s_cbranch_vccnz .LBB216_1561
; %bb.1560:
	global_load_u8 v0, v[0:1], off
	s_waitcnt vmcnt(0)
	v_cvt_f16_u16_e32 v8, v0
.LBB216_1561:
	s_mov_b32 s6, -1
.LBB216_1562:
	s_delay_alu instid0(SALU_CYCLE_1)
	s_and_not1_b32 vcc_lo, exec_lo, s6
	s_cbranch_vccnz .LBB216_1996
; %bb.1563:
	s_waitcnt vmcnt(0)
	v_cvt_f32_f16_e32 v0, v5
	v_mul_lo_u32 v3, s2, v3
	s_delay_alu instid0(VALU_DEP_2) | instskip(NEXT) | instid1(VALU_DEP_1)
	v_cvt_f64_f32_e32 v[0:1], v0
	v_rsq_f64_e32 v[4:5], v[0:1]
	s_waitcnt_depctr 0xfff
	v_mul_f64 v[0:1], v[4:5], -v[0:1]
	v_cmp_class_f64_e64 vcc_lo, v[4:5], 0x180
	s_delay_alu instid0(VALU_DEP_2) | instskip(NEXT) | instid1(VALU_DEP_1)
	v_fma_f64 v[0:1], v[0:1], v[4:5], 1.0
	v_mul_f64 v[9:10], v[4:5], v[0:1]
	v_fma_f64 v[0:1], 0x3fd80000, v[0:1], 0.5
	s_delay_alu instid0(VALU_DEP_1) | instskip(NEXT) | instid1(VALU_DEP_1)
	v_fma_f64 v[0:1], v[9:10], v[0:1], v[4:5]
	v_dual_cndmask_b32 v1, v5, v1 :: v_dual_cndmask_b32 v0, v4, v0
	v_and_b32_e32 v5, 0xff, v2
	s_delay_alu instid0(VALU_DEP_2) | instskip(SKIP_1) | instid1(VALU_DEP_3)
	v_cvt_f32_f64_e32 v4, v[0:1]
	v_ashrrev_i32_e32 v1, 31, v3
	v_cmp_gt_i16_e32 vcc_lo, 11, v5
	v_add_co_u32 v0, s0, s4, v3
	s_delay_alu instid0(VALU_DEP_1)
	v_add_co_ci_u32_e64 v1, s0, s5, v1, s0
	v_cvt_f16_f32_e32 v2, v4
	s_cbranch_vccnz .LBB216_1641
; %bb.1564:
	v_cmp_lt_i16_e32 vcc_lo, 25, v5
	s_mov_b32 s7, -1
	s_mov_b32 s3, 0
	s_mov_b32 s6, 0
	;; [unrolled: 1-line block ×3, first 2 shown]
	s_cbranch_vccz .LBB216_1597
; %bb.1565:
	v_cmp_lt_i16_e32 vcc_lo, 28, v5
	s_cbranch_vccz .LBB216_1580
; %bb.1566:
	v_cmp_lt_i16_e32 vcc_lo, 43, v5
	;; [unrolled: 3-line block ×3, first 2 shown]
	s_cbranch_vccz .LBB216_1570
; %bb.1568:
	v_cmp_eq_u16_e32 vcc_lo, 46, v5
	s_mov_b32 s0, -1
	s_mov_b32 s7, 0
	s_cbranch_vccz .LBB216_1570
; %bb.1569:
	v_cvt_f32_f16_e32 v4, v2
	v_cmp_o_f16_e32 vcc_lo, v2, v2
	s_mov_b32 s0, 0
	s_mov_b32 s6, -1
	s_delay_alu instid0(VALU_DEP_2) | instskip(NEXT) | instid1(VALU_DEP_1)
	v_bfe_u32 v9, v4, 16, 1
	v_add3_u32 v4, v4, v9, 0x7fff
	s_delay_alu instid0(VALU_DEP_1) | instskip(NEXT) | instid1(VALU_DEP_1)
	v_lshrrev_b32_e32 v4, 16, v4
	v_cndmask_b32_e32 v4, 0x7fc0, v4, vcc_lo
	global_store_b32 v[0:1], v4, off
.LBB216_1570:
	s_and_b32 vcc_lo, exec_lo, s7
	s_cbranch_vccz .LBB216_1575
; %bb.1571:
	v_cmp_eq_u16_e32 vcc_lo, 44, v5
	s_mov_b32 s0, -1
	s_cbranch_vccz .LBB216_1575
; %bb.1572:
	v_cvt_f32_f16_e32 v4, v2
	v_mov_b32_e32 v9, 0xff
	s_mov_b32 s6, exec_lo
	s_delay_alu instid0(VALU_DEP_2) | instskip(NEXT) | instid1(VALU_DEP_1)
	v_bfe_u32 v10, v4, 23, 8
	v_cmpx_ne_u32_e32 0xff, v10
; %bb.1573:
	v_and_b32_e32 v9, 0x400000, v4
	v_and_or_b32 v10, 0x3fffff, v4, v10
	v_lshrrev_b32_e32 v4, 23, v4
	s_delay_alu instid0(VALU_DEP_3) | instskip(NEXT) | instid1(VALU_DEP_3)
	v_cmp_ne_u32_e32 vcc_lo, 0, v9
	v_cmp_ne_u32_e64 s0, 0, v10
	s_delay_alu instid0(VALU_DEP_1) | instskip(NEXT) | instid1(SALU_CYCLE_1)
	s_and_b32 s0, vcc_lo, s0
	v_cndmask_b32_e64 v9, 0, 1, s0
	s_delay_alu instid0(VALU_DEP_1)
	v_add_nc_u32_e32 v9, v4, v9
; %bb.1574:
	s_or_b32 exec_lo, exec_lo, s6
	s_mov_b32 s0, 0
	s_mov_b32 s6, -1
	global_store_b8 v[0:1], v9, off
.LBB216_1575:
	s_mov_b32 s7, 0
.LBB216_1576:
	s_delay_alu instid0(SALU_CYCLE_1)
	s_and_b32 vcc_lo, exec_lo, s7
	s_cbranch_vccz .LBB216_1579
; %bb.1577:
	v_cmp_eq_u16_e32 vcc_lo, 29, v5
	s_mov_b32 s0, -1
	s_cbranch_vccz .LBB216_1579
; %bb.1578:
	v_cvt_f32_f16_e32 v4, v2
	v_mov_b32_e32 v10, 0
	s_mov_b32 s0, 0
	s_mov_b32 s6, -1
	s_delay_alu instid0(VALU_DEP_2)
	v_cvt_u32_f32_e32 v9, v4
	global_store_b64 v[0:1], v[9:10], off
.LBB216_1579:
	s_mov_b32 s7, 0
.LBB216_1580:
	s_delay_alu instid0(SALU_CYCLE_1)
	s_and_b32 vcc_lo, exec_lo, s7
	s_cbranch_vccz .LBB216_1596
; %bb.1581:
	v_cmp_gt_i16_e32 vcc_lo, 27, v5
	s_mov_b32 s6, -1
	s_cbranch_vccnz .LBB216_1587
; %bb.1582:
	v_cmp_lt_i16_e32 vcc_lo, 27, v5
	s_cbranch_vccz .LBB216_1584
; %bb.1583:
	v_cvt_f32_f16_e32 v4, v2
	s_mov_b32 s6, 0
	s_delay_alu instid0(VALU_DEP_1)
	v_cvt_u32_f32_e32 v4, v4
	global_store_b32 v[0:1], v4, off
.LBB216_1584:
	s_and_not1_b32 vcc_lo, exec_lo, s6
	s_cbranch_vccnz .LBB216_1586
; %bb.1585:
	v_cvt_u16_f16_e32 v4, v2
	global_store_b16 v[0:1], v4, off
.LBB216_1586:
	s_mov_b32 s6, 0
.LBB216_1587:
	s_delay_alu instid0(SALU_CYCLE_1)
	s_and_not1_b32 vcc_lo, exec_lo, s6
	s_cbranch_vccnz .LBB216_1595
; %bb.1588:
	v_cvt_f32_f16_e32 v4, v2
	v_mov_b32_e32 v10, 0x80
	s_mov_b32 s6, exec_lo
	s_delay_alu instid0(VALU_DEP_2) | instskip(NEXT) | instid1(VALU_DEP_1)
	v_and_b32_e32 v9, 0x7fffffff, v4
	v_cmpx_gt_u32_e32 0x43800000, v9
	s_cbranch_execz .LBB216_1594
; %bb.1589:
	v_cmp_lt_u32_e32 vcc_lo, 0x3bffffff, v9
	s_mov_b32 s7, 0
                                        ; implicit-def: $vgpr9
	s_and_saveexec_b32 s10, vcc_lo
	s_delay_alu instid0(SALU_CYCLE_1)
	s_xor_b32 s10, exec_lo, s10
	s_cbranch_execz .LBB216_2044
; %bb.1590:
	v_bfe_u32 v9, v4, 20, 1
	s_mov_b32 s7, exec_lo
	s_delay_alu instid0(VALU_DEP_1) | instskip(NEXT) | instid1(VALU_DEP_1)
	v_add3_u32 v9, v4, v9, 0x487ffff
	v_lshrrev_b32_e32 v9, 20, v9
	s_or_saveexec_b32 s10, s10
                                        ; implicit-def: $sgpr11
	s_delay_alu instid0(SALU_CYCLE_1)
	s_xor_b32 exec_lo, exec_lo, s10
	s_cbranch_execnz .LBB216_2045
.LBB216_1591:
	s_or_b32 exec_lo, exec_lo, s10
	v_mov_b32_e32 v10, s11
	s_and_saveexec_b32 s10, s7
.LBB216_1592:
	v_lshrrev_b32_e32 v4, 24, v4
	s_delay_alu instid0(VALU_DEP_1)
	v_and_or_b32 v10, 0x80, v4, v9
.LBB216_1593:
	s_or_b32 exec_lo, exec_lo, s10
.LBB216_1594:
	s_delay_alu instid0(SALU_CYCLE_1)
	s_or_b32 exec_lo, exec_lo, s6
	global_store_b8 v[0:1], v10, off
.LBB216_1595:
	s_mov_b32 s6, -1
.LBB216_1596:
	s_mov_b32 s7, 0
.LBB216_1597:
	s_delay_alu instid0(SALU_CYCLE_1)
	s_and_b32 vcc_lo, exec_lo, s7
	s_cbranch_vccz .LBB216_1637
; %bb.1598:
	v_cmp_lt_i16_e32 vcc_lo, 22, v5
	s_mov_b32 s3, -1
	s_cbranch_vccz .LBB216_1630
; %bb.1599:
	v_cmp_gt_i16_e32 vcc_lo, 24, v5
	s_cbranch_vccnz .LBB216_1619
; %bb.1600:
	v_cmp_lt_i16_e32 vcc_lo, 24, v5
	s_cbranch_vccz .LBB216_1608
; %bb.1601:
	v_cvt_f32_f16_e32 v4, v2
	v_mov_b32_e32 v10, 0x80
	s_mov_b32 s3, exec_lo
	s_delay_alu instid0(VALU_DEP_2) | instskip(NEXT) | instid1(VALU_DEP_1)
	v_and_b32_e32 v9, 0x7fffffff, v4
	v_cmpx_gt_u32_e32 0x47800000, v9
	s_cbranch_execz .LBB216_1607
; %bb.1602:
	v_cmp_lt_u32_e32 vcc_lo, 0x37ffffff, v9
	s_mov_b32 s6, 0
                                        ; implicit-def: $vgpr9
	s_and_saveexec_b32 s7, vcc_lo
	s_delay_alu instid0(SALU_CYCLE_1)
	s_xor_b32 s7, exec_lo, s7
	s_cbranch_execz .LBB216_2050
; %bb.1603:
	v_bfe_u32 v9, v4, 21, 1
	s_mov_b32 s6, exec_lo
	s_delay_alu instid0(VALU_DEP_1) | instskip(NEXT) | instid1(VALU_DEP_1)
	v_add3_u32 v9, v4, v9, 0x88fffff
	v_lshrrev_b32_e32 v9, 21, v9
	s_or_saveexec_b32 s7, s7
                                        ; implicit-def: $sgpr10
	s_delay_alu instid0(SALU_CYCLE_1)
	s_xor_b32 exec_lo, exec_lo, s7
	s_cbranch_execnz .LBB216_2051
.LBB216_1604:
	s_or_b32 exec_lo, exec_lo, s7
	v_mov_b32_e32 v10, s10
	s_and_saveexec_b32 s7, s6
.LBB216_1605:
	v_lshrrev_b32_e32 v4, 24, v4
	s_delay_alu instid0(VALU_DEP_1)
	v_and_or_b32 v10, 0x80, v4, v9
.LBB216_1606:
	s_or_b32 exec_lo, exec_lo, s7
.LBB216_1607:
	s_delay_alu instid0(SALU_CYCLE_1)
	s_or_b32 exec_lo, exec_lo, s3
	s_mov_b32 s3, 0
	global_store_b8 v[0:1], v10, off
.LBB216_1608:
	s_and_b32 vcc_lo, exec_lo, s3
	s_cbranch_vccz .LBB216_1618
; %bb.1609:
	v_cvt_f32_f16_e32 v4, v2
	s_mov_b32 s3, exec_lo
                                        ; implicit-def: $vgpr9
	s_delay_alu instid0(VALU_DEP_1) | instskip(NEXT) | instid1(VALU_DEP_1)
	v_and_b32_e32 v10, 0x7fffffff, v4
	v_cmpx_gt_u32_e32 0x43f00000, v10
	s_xor_b32 s3, exec_lo, s3
	s_cbranch_execz .LBB216_1615
; %bb.1610:
	s_mov_b32 s6, exec_lo
                                        ; implicit-def: $vgpr9
	v_cmpx_lt_u32_e32 0x3c7fffff, v10
	s_xor_b32 s6, exec_lo, s6
; %bb.1611:
	v_bfe_u32 v9, v4, 20, 1
	s_delay_alu instid0(VALU_DEP_1) | instskip(NEXT) | instid1(VALU_DEP_1)
	v_add3_u32 v9, v4, v9, 0x407ffff
	v_and_b32_e32 v10, 0xff00000, v9
	v_lshrrev_b32_e32 v9, 20, v9
	s_delay_alu instid0(VALU_DEP_2) | instskip(NEXT) | instid1(VALU_DEP_2)
	v_cmp_ne_u32_e32 vcc_lo, 0x7f00000, v10
	v_cndmask_b32_e32 v9, 0x7e, v9, vcc_lo
; %bb.1612:
	s_and_not1_saveexec_b32 s6, s6
; %bb.1613:
	v_add_f32_e64 v9, 0x46800000, |v4|
; %bb.1614:
	s_or_b32 exec_lo, exec_lo, s6
                                        ; implicit-def: $vgpr10
.LBB216_1615:
	s_and_not1_saveexec_b32 s3, s3
; %bb.1616:
	v_mov_b32_e32 v9, 0x7f
	v_cmp_lt_u32_e32 vcc_lo, 0x7f800000, v10
	s_delay_alu instid0(VALU_DEP_2)
	v_cndmask_b32_e32 v9, 0x7e, v9, vcc_lo
; %bb.1617:
	s_or_b32 exec_lo, exec_lo, s3
	v_lshrrev_b32_e32 v4, 24, v4
	s_delay_alu instid0(VALU_DEP_1)
	v_and_or_b32 v4, 0x80, v4, v9
	global_store_b8 v[0:1], v4, off
.LBB216_1618:
	s_mov_b32 s3, 0
.LBB216_1619:
	s_delay_alu instid0(SALU_CYCLE_1)
	s_and_not1_b32 vcc_lo, exec_lo, s3
	s_cbranch_vccnz .LBB216_1629
; %bb.1620:
	v_cvt_f32_f16_e32 v4, v2
	s_mov_b32 s3, exec_lo
                                        ; implicit-def: $vgpr9
	s_delay_alu instid0(VALU_DEP_1) | instskip(NEXT) | instid1(VALU_DEP_1)
	v_and_b32_e32 v10, 0x7fffffff, v4
	v_cmpx_gt_u32_e32 0x47800000, v10
	s_xor_b32 s3, exec_lo, s3
	s_cbranch_execz .LBB216_1626
; %bb.1621:
	s_mov_b32 s6, exec_lo
                                        ; implicit-def: $vgpr9
	v_cmpx_lt_u32_e32 0x387fffff, v10
	s_xor_b32 s6, exec_lo, s6
; %bb.1622:
	v_bfe_u32 v9, v4, 21, 1
	s_delay_alu instid0(VALU_DEP_1) | instskip(NEXT) | instid1(VALU_DEP_1)
	v_add3_u32 v9, v4, v9, 0x80fffff
	v_lshrrev_b32_e32 v9, 21, v9
; %bb.1623:
	s_and_not1_saveexec_b32 s6, s6
; %bb.1624:
	v_add_f32_e64 v9, 0x43000000, |v4|
; %bb.1625:
	s_or_b32 exec_lo, exec_lo, s6
                                        ; implicit-def: $vgpr10
.LBB216_1626:
	s_and_not1_saveexec_b32 s3, s3
; %bb.1627:
	v_mov_b32_e32 v9, 0x7f
	v_cmp_lt_u32_e32 vcc_lo, 0x7f800000, v10
	s_delay_alu instid0(VALU_DEP_2)
	v_cndmask_b32_e32 v9, 0x7c, v9, vcc_lo
; %bb.1628:
	s_or_b32 exec_lo, exec_lo, s3
	v_lshrrev_b32_e32 v4, 24, v4
	s_delay_alu instid0(VALU_DEP_1)
	v_and_or_b32 v4, 0x80, v4, v9
	global_store_b8 v[0:1], v4, off
.LBB216_1629:
	s_mov_b32 s3, 0
	s_mov_b32 s6, -1
.LBB216_1630:
	s_and_not1_b32 vcc_lo, exec_lo, s3
	s_mov_b32 s3, 0
	s_cbranch_vccnz .LBB216_1637
; %bb.1631:
	v_cmp_lt_i16_e32 vcc_lo, 14, v5
	s_mov_b32 s3, -1
	s_cbranch_vccz .LBB216_1635
; %bb.1632:
	v_cmp_eq_u16_e32 vcc_lo, 15, v5
	s_mov_b32 s0, -1
	s_cbranch_vccz .LBB216_1634
; %bb.1633:
	v_cvt_f32_f16_e32 v4, v2
	v_cmp_o_f16_e32 vcc_lo, v2, v2
	s_mov_b32 s0, 0
	s_mov_b32 s6, -1
	s_delay_alu instid0(VALU_DEP_2) | instskip(NEXT) | instid1(VALU_DEP_1)
	v_bfe_u32 v9, v4, 16, 1
	v_add3_u32 v4, v4, v9, 0x7fff
	s_delay_alu instid0(VALU_DEP_1) | instskip(NEXT) | instid1(VALU_DEP_1)
	v_lshrrev_b32_e32 v4, 16, v4
	v_cndmask_b32_e32 v4, 0x7fc0, v4, vcc_lo
	global_store_b16 v[0:1], v4, off
.LBB216_1634:
	s_mov_b32 s3, 0
.LBB216_1635:
	s_delay_alu instid0(SALU_CYCLE_1)
	s_and_b32 vcc_lo, exec_lo, s3
	s_mov_b32 s3, 0
	s_cbranch_vccz .LBB216_1637
; %bb.1636:
	v_cmp_ne_u16_e64 s0, 11, v5
	s_mov_b32 s3, -1
.LBB216_1637:
	s_delay_alu instid0(VALU_DEP_1)
	s_and_b32 vcc_lo, exec_lo, s0
	s_cbranch_vccnz .LBB216_2048
; %bb.1638:
	s_and_not1_b32 vcc_lo, exec_lo, s3
	s_cbranch_vccnz .LBB216_1640
.LBB216_1639:
	v_cmp_neq_f16_e32 vcc_lo, 0, v2
	s_mov_b32 s6, -1
	v_cndmask_b32_e64 v4, 0, 1, vcc_lo
	global_store_b8 v[0:1], v4, off
.LBB216_1640:
	s_mov_b32 s0, 0
	s_branch .LBB216_1642
.LBB216_1641:
	s_mov_b32 s0, -1
	s_mov_b32 s6, 0
.LBB216_1642:
	s_and_b32 vcc_lo, exec_lo, s0
	s_cbranch_vccz .LBB216_1681
; %bb.1643:
	v_cmp_gt_i16_e32 vcc_lo, 5, v5
	s_mov_b32 s0, -1
	s_cbranch_vccnz .LBB216_1664
; %bb.1644:
	v_cmp_gt_i16_e32 vcc_lo, 8, v5
	s_cbranch_vccnz .LBB216_1654
; %bb.1645:
	v_cmp_gt_i16_e32 vcc_lo, 9, v5
	s_cbranch_vccnz .LBB216_1651
; %bb.1646:
	v_cmp_lt_i16_e32 vcc_lo, 9, v5
	s_cbranch_vccz .LBB216_1648
; %bb.1647:
	v_cvt_f32_f16_e32 v4, v2
	v_mov_b32_e32 v11, 0
	s_mov_b32 s0, 0
	s_delay_alu instid0(VALU_DEP_2) | instskip(NEXT) | instid1(VALU_DEP_2)
	v_cvt_f64_f32_e32 v[9:10], v4
	v_mov_b32_e32 v12, v11
	global_store_b128 v[0:1], v[9:12], off
.LBB216_1648:
	s_and_not1_b32 vcc_lo, exec_lo, s0
	s_cbranch_vccnz .LBB216_1650
; %bb.1649:
	v_cvt_f32_f16_e32 v9, v2
	v_mov_b32_e32 v10, 0
	global_store_b64 v[0:1], v[9:10], off
.LBB216_1650:
	s_mov_b32 s0, 0
.LBB216_1651:
	s_delay_alu instid0(SALU_CYCLE_1)
	s_and_not1_b32 vcc_lo, exec_lo, s0
	s_cbranch_vccnz .LBB216_1653
; %bb.1652:
	v_and_b32_e32 v4, 0xffff, v2
	global_store_b32 v[0:1], v4, off
.LBB216_1653:
	s_mov_b32 s0, 0
.LBB216_1654:
	s_delay_alu instid0(SALU_CYCLE_1)
	s_and_not1_b32 vcc_lo, exec_lo, s0
	s_cbranch_vccnz .LBB216_1663
; %bb.1655:
	v_cmp_gt_i16_e32 vcc_lo, 6, v5
	s_mov_b32 s0, -1
	s_cbranch_vccnz .LBB216_1661
; %bb.1656:
	v_cmp_lt_i16_e32 vcc_lo, 6, v5
	s_cbranch_vccz .LBB216_1658
; %bb.1657:
	v_cvt_f32_f16_e32 v4, v2
	s_mov_b32 s0, 0
	s_delay_alu instid0(VALU_DEP_1)
	v_cvt_f64_f32_e32 v[9:10], v4
	global_store_b64 v[0:1], v[9:10], off
.LBB216_1658:
	s_and_not1_b32 vcc_lo, exec_lo, s0
	s_cbranch_vccnz .LBB216_1660
; %bb.1659:
	v_cvt_f32_f16_e32 v4, v2
	global_store_b32 v[0:1], v4, off
.LBB216_1660:
	s_mov_b32 s0, 0
.LBB216_1661:
	s_delay_alu instid0(SALU_CYCLE_1)
	s_and_not1_b32 vcc_lo, exec_lo, s0
	s_cbranch_vccnz .LBB216_1663
; %bb.1662:
	global_store_b16 v[0:1], v2, off
.LBB216_1663:
	s_mov_b32 s0, 0
.LBB216_1664:
	s_delay_alu instid0(SALU_CYCLE_1)
	s_and_not1_b32 vcc_lo, exec_lo, s0
	s_cbranch_vccnz .LBB216_1680
; %bb.1665:
	v_cmp_gt_i16_e32 vcc_lo, 2, v5
	s_mov_b32 s0, -1
	s_cbranch_vccnz .LBB216_1675
; %bb.1666:
	v_cmp_gt_i16_e32 vcc_lo, 3, v5
	s_cbranch_vccnz .LBB216_1672
; %bb.1667:
	v_cmp_lt_i16_e32 vcc_lo, 3, v5
	s_cbranch_vccz .LBB216_1669
; %bb.1668:
	v_cvt_f32_f16_e32 v4, v2
	s_mov_b32 s0, 0
	s_delay_alu instid0(VALU_DEP_1) | instskip(NEXT) | instid1(VALU_DEP_1)
	v_cvt_i32_f32_e32 v9, v4
	v_ashrrev_i32_e32 v10, 31, v9
	global_store_b64 v[0:1], v[9:10], off
.LBB216_1669:
	s_and_not1_b32 vcc_lo, exec_lo, s0
	s_cbranch_vccnz .LBB216_1671
; %bb.1670:
	v_cvt_f32_f16_e32 v4, v2
	s_delay_alu instid0(VALU_DEP_1)
	v_cvt_i32_f32_e32 v4, v4
	global_store_b32 v[0:1], v4, off
.LBB216_1671:
	s_mov_b32 s0, 0
.LBB216_1672:
	s_delay_alu instid0(SALU_CYCLE_1)
	s_and_not1_b32 vcc_lo, exec_lo, s0
	s_cbranch_vccnz .LBB216_1674
; %bb.1673:
	v_cvt_i16_f16_e32 v4, v2
	global_store_b16 v[0:1], v4, off
.LBB216_1674:
	s_mov_b32 s0, 0
.LBB216_1675:
	s_delay_alu instid0(SALU_CYCLE_1)
	s_and_not1_b32 vcc_lo, exec_lo, s0
	s_cbranch_vccnz .LBB216_1680
; %bb.1676:
	v_cmp_lt_i16_e32 vcc_lo, 0, v5
	s_mov_b32 s0, -1
	s_cbranch_vccz .LBB216_1678
; %bb.1677:
	v_cvt_i16_f16_e32 v4, v2
	s_mov_b32 s0, 0
	global_store_b8 v[0:1], v4, off
.LBB216_1678:
	s_and_not1_b32 vcc_lo, exec_lo, s0
	s_cbranch_vccnz .LBB216_1680
; %bb.1679:
	v_cvt_f32_f16_e32 v2, v2
	s_delay_alu instid0(VALU_DEP_1)
	v_cvt_i32_f32_e32 v2, v2
	global_store_b8 v[0:1], v2, off
.LBB216_1680:
	s_mov_b32 s6, -1
.LBB216_1681:
	s_delay_alu instid0(SALU_CYCLE_1)
	s_and_not1_b32 vcc_lo, exec_lo, s6
	s_cbranch_vccnz .LBB216_1996
; %bb.1682:
	v_cvt_f32_f16_e32 v0, v6
	s_lshl_b32 s2, s2, 7
	s_delay_alu instid0(SALU_CYCLE_1) | instskip(NEXT) | instid1(VALU_DEP_2)
	v_add_nc_u32_e32 v2, s2, v3
	v_cvt_f64_f32_e32 v[0:1], v0
	s_delay_alu instid0(VALU_DEP_1) | instskip(SKIP_3) | instid1(VALU_DEP_2)
	v_rsq_f64_e32 v[9:10], v[0:1]
	s_waitcnt_depctr 0xfff
	v_mul_f64 v[0:1], v[9:10], -v[0:1]
	v_cmp_class_f64_e64 vcc_lo, v[9:10], 0x180
	v_fma_f64 v[0:1], v[0:1], v[9:10], 1.0
	s_delay_alu instid0(VALU_DEP_1) | instskip(SKIP_1) | instid1(VALU_DEP_1)
	v_mul_f64 v[11:12], v[9:10], v[0:1]
	v_fma_f64 v[0:1], 0x3fd80000, v[0:1], 0.5
	v_fma_f64 v[0:1], v[11:12], v[0:1], v[9:10]
	s_delay_alu instid0(VALU_DEP_1) | instskip(SKIP_1) | instid1(VALU_DEP_2)
	v_dual_cndmask_b32 v1, v10, v1 :: v_dual_cndmask_b32 v0, v9, v0
	v_cmp_gt_i16_e32 vcc_lo, 11, v5
	v_cvt_f32_f64_e32 v4, v[0:1]
	v_ashrrev_i32_e32 v1, 31, v2
	v_add_co_u32 v0, s0, s4, v2
	s_delay_alu instid0(VALU_DEP_1) | instskip(NEXT) | instid1(VALU_DEP_4)
	v_add_co_ci_u32_e64 v1, s0, s5, v1, s0
	v_cvt_f16_f32_e32 v3, v4
	s_cbranch_vccnz .LBB216_1760
; %bb.1683:
	v_cmp_lt_i16_e32 vcc_lo, 25, v5
	s_mov_b32 s7, -1
	s_mov_b32 s3, 0
	s_mov_b32 s6, 0
	s_mov_b32 s0, 0
	s_cbranch_vccz .LBB216_1716
; %bb.1684:
	v_cmp_lt_i16_e32 vcc_lo, 28, v5
	s_cbranch_vccz .LBB216_1699
; %bb.1685:
	v_cmp_lt_i16_e32 vcc_lo, 43, v5
	;; [unrolled: 3-line block ×3, first 2 shown]
	s_cbranch_vccz .LBB216_1689
; %bb.1687:
	v_cmp_eq_u16_e32 vcc_lo, 46, v5
	s_mov_b32 s0, -1
	s_mov_b32 s7, 0
	s_cbranch_vccz .LBB216_1689
; %bb.1688:
	v_cvt_f32_f16_e32 v4, v3
	v_cmp_o_f16_e32 vcc_lo, v3, v3
	s_mov_b32 s0, 0
	s_mov_b32 s6, -1
	s_delay_alu instid0(VALU_DEP_2) | instskip(NEXT) | instid1(VALU_DEP_1)
	v_bfe_u32 v6, v4, 16, 1
	v_add3_u32 v4, v4, v6, 0x7fff
	s_delay_alu instid0(VALU_DEP_1) | instskip(NEXT) | instid1(VALU_DEP_1)
	v_lshrrev_b32_e32 v4, 16, v4
	v_cndmask_b32_e32 v4, 0x7fc0, v4, vcc_lo
	global_store_b32 v[0:1], v4, off
.LBB216_1689:
	s_and_b32 vcc_lo, exec_lo, s7
	s_cbranch_vccz .LBB216_1694
; %bb.1690:
	v_cmp_eq_u16_e32 vcc_lo, 44, v5
	s_mov_b32 s0, -1
	s_cbranch_vccz .LBB216_1694
; %bb.1691:
	v_cvt_f32_f16_e32 v4, v3
	v_mov_b32_e32 v6, 0xff
	s_mov_b32 s6, exec_lo
	s_delay_alu instid0(VALU_DEP_2) | instskip(NEXT) | instid1(VALU_DEP_1)
	v_bfe_u32 v9, v4, 23, 8
	v_cmpx_ne_u32_e32 0xff, v9
; %bb.1692:
	v_and_b32_e32 v6, 0x400000, v4
	v_and_or_b32 v9, 0x3fffff, v4, v9
	v_lshrrev_b32_e32 v4, 23, v4
	s_delay_alu instid0(VALU_DEP_3) | instskip(NEXT) | instid1(VALU_DEP_3)
	v_cmp_ne_u32_e32 vcc_lo, 0, v6
	v_cmp_ne_u32_e64 s0, 0, v9
	s_delay_alu instid0(VALU_DEP_1) | instskip(NEXT) | instid1(SALU_CYCLE_1)
	s_and_b32 s0, vcc_lo, s0
	v_cndmask_b32_e64 v6, 0, 1, s0
	s_delay_alu instid0(VALU_DEP_1)
	v_add_nc_u32_e32 v6, v4, v6
; %bb.1693:
	s_or_b32 exec_lo, exec_lo, s6
	s_mov_b32 s0, 0
	s_mov_b32 s6, -1
	global_store_b8 v[0:1], v6, off
.LBB216_1694:
	s_mov_b32 s7, 0
.LBB216_1695:
	s_delay_alu instid0(SALU_CYCLE_1)
	s_and_b32 vcc_lo, exec_lo, s7
	s_cbranch_vccz .LBB216_1698
; %bb.1696:
	v_cmp_eq_u16_e32 vcc_lo, 29, v5
	s_mov_b32 s0, -1
	s_cbranch_vccz .LBB216_1698
; %bb.1697:
	v_cvt_f32_f16_e32 v4, v3
	v_mov_b32_e32 v10, 0
	s_mov_b32 s0, 0
	s_mov_b32 s6, -1
	s_delay_alu instid0(VALU_DEP_2)
	v_cvt_u32_f32_e32 v9, v4
	global_store_b64 v[0:1], v[9:10], off
.LBB216_1698:
	s_mov_b32 s7, 0
.LBB216_1699:
	s_delay_alu instid0(SALU_CYCLE_1)
	s_and_b32 vcc_lo, exec_lo, s7
	s_cbranch_vccz .LBB216_1715
; %bb.1700:
	v_cmp_gt_i16_e32 vcc_lo, 27, v5
	s_mov_b32 s6, -1
	s_cbranch_vccnz .LBB216_1706
; %bb.1701:
	v_cmp_lt_i16_e32 vcc_lo, 27, v5
	s_cbranch_vccz .LBB216_1703
; %bb.1702:
	v_cvt_f32_f16_e32 v4, v3
	s_mov_b32 s6, 0
	s_delay_alu instid0(VALU_DEP_1)
	v_cvt_u32_f32_e32 v4, v4
	global_store_b32 v[0:1], v4, off
.LBB216_1703:
	s_and_not1_b32 vcc_lo, exec_lo, s6
	s_cbranch_vccnz .LBB216_1705
; %bb.1704:
	v_cvt_u16_f16_e32 v4, v3
	global_store_b16 v[0:1], v4, off
.LBB216_1705:
	s_mov_b32 s6, 0
.LBB216_1706:
	s_delay_alu instid0(SALU_CYCLE_1)
	s_and_not1_b32 vcc_lo, exec_lo, s6
	s_cbranch_vccnz .LBB216_1714
; %bb.1707:
	v_cvt_f32_f16_e32 v4, v3
	v_mov_b32_e32 v9, 0x80
	s_mov_b32 s6, exec_lo
	s_delay_alu instid0(VALU_DEP_2) | instskip(NEXT) | instid1(VALU_DEP_1)
	v_and_b32_e32 v6, 0x7fffffff, v4
	v_cmpx_gt_u32_e32 0x43800000, v6
	s_cbranch_execz .LBB216_1713
; %bb.1708:
	v_cmp_lt_u32_e32 vcc_lo, 0x3bffffff, v6
	s_mov_b32 s7, 0
                                        ; implicit-def: $vgpr6
	s_and_saveexec_b32 s10, vcc_lo
	s_delay_alu instid0(SALU_CYCLE_1)
	s_xor_b32 s10, exec_lo, s10
	s_cbranch_execz .LBB216_2052
; %bb.1709:
	v_bfe_u32 v6, v4, 20, 1
	s_mov_b32 s7, exec_lo
	s_delay_alu instid0(VALU_DEP_1) | instskip(NEXT) | instid1(VALU_DEP_1)
	v_add3_u32 v6, v4, v6, 0x487ffff
	v_lshrrev_b32_e32 v6, 20, v6
	s_or_saveexec_b32 s10, s10
                                        ; implicit-def: $sgpr11
	s_delay_alu instid0(SALU_CYCLE_1)
	s_xor_b32 exec_lo, exec_lo, s10
	s_cbranch_execnz .LBB216_2053
.LBB216_1710:
	s_or_b32 exec_lo, exec_lo, s10
	v_mov_b32_e32 v9, s11
	s_and_saveexec_b32 s10, s7
.LBB216_1711:
	v_lshrrev_b32_e32 v4, 24, v4
	s_delay_alu instid0(VALU_DEP_1)
	v_and_or_b32 v9, 0x80, v4, v6
.LBB216_1712:
	s_or_b32 exec_lo, exec_lo, s10
.LBB216_1713:
	s_delay_alu instid0(SALU_CYCLE_1)
	s_or_b32 exec_lo, exec_lo, s6
	global_store_b8 v[0:1], v9, off
.LBB216_1714:
	s_mov_b32 s6, -1
.LBB216_1715:
	s_mov_b32 s7, 0
.LBB216_1716:
	s_delay_alu instid0(SALU_CYCLE_1)
	s_and_b32 vcc_lo, exec_lo, s7
	s_cbranch_vccz .LBB216_1756
; %bb.1717:
	v_cmp_lt_i16_e32 vcc_lo, 22, v5
	s_mov_b32 s3, -1
	s_cbranch_vccz .LBB216_1749
; %bb.1718:
	v_cmp_gt_i16_e32 vcc_lo, 24, v5
	s_cbranch_vccnz .LBB216_1738
; %bb.1719:
	v_cmp_lt_i16_e32 vcc_lo, 24, v5
	s_cbranch_vccz .LBB216_1727
; %bb.1720:
	v_cvt_f32_f16_e32 v4, v3
	v_mov_b32_e32 v9, 0x80
	s_mov_b32 s3, exec_lo
	s_delay_alu instid0(VALU_DEP_2) | instskip(NEXT) | instid1(VALU_DEP_1)
	v_and_b32_e32 v6, 0x7fffffff, v4
	v_cmpx_gt_u32_e32 0x47800000, v6
	s_cbranch_execz .LBB216_1726
; %bb.1721:
	v_cmp_lt_u32_e32 vcc_lo, 0x37ffffff, v6
	s_mov_b32 s6, 0
                                        ; implicit-def: $vgpr6
	s_and_saveexec_b32 s7, vcc_lo
	s_delay_alu instid0(SALU_CYCLE_1)
	s_xor_b32 s7, exec_lo, s7
	s_cbranch_execz .LBB216_2058
; %bb.1722:
	v_bfe_u32 v6, v4, 21, 1
	s_mov_b32 s6, exec_lo
	s_delay_alu instid0(VALU_DEP_1) | instskip(NEXT) | instid1(VALU_DEP_1)
	v_add3_u32 v6, v4, v6, 0x88fffff
	v_lshrrev_b32_e32 v6, 21, v6
	s_or_saveexec_b32 s7, s7
                                        ; implicit-def: $sgpr10
	s_delay_alu instid0(SALU_CYCLE_1)
	s_xor_b32 exec_lo, exec_lo, s7
	s_cbranch_execnz .LBB216_2059
.LBB216_1723:
	s_or_b32 exec_lo, exec_lo, s7
	v_mov_b32_e32 v9, s10
	s_and_saveexec_b32 s7, s6
.LBB216_1724:
	v_lshrrev_b32_e32 v4, 24, v4
	s_delay_alu instid0(VALU_DEP_1)
	v_and_or_b32 v9, 0x80, v4, v6
.LBB216_1725:
	s_or_b32 exec_lo, exec_lo, s7
.LBB216_1726:
	s_delay_alu instid0(SALU_CYCLE_1)
	s_or_b32 exec_lo, exec_lo, s3
	s_mov_b32 s3, 0
	global_store_b8 v[0:1], v9, off
.LBB216_1727:
	s_and_b32 vcc_lo, exec_lo, s3
	s_cbranch_vccz .LBB216_1737
; %bb.1728:
	v_cvt_f32_f16_e32 v4, v3
	s_mov_b32 s3, exec_lo
                                        ; implicit-def: $vgpr6
	s_delay_alu instid0(VALU_DEP_1) | instskip(NEXT) | instid1(VALU_DEP_1)
	v_and_b32_e32 v9, 0x7fffffff, v4
	v_cmpx_gt_u32_e32 0x43f00000, v9
	s_xor_b32 s3, exec_lo, s3
	s_cbranch_execz .LBB216_1734
; %bb.1729:
	s_mov_b32 s6, exec_lo
                                        ; implicit-def: $vgpr6
	v_cmpx_lt_u32_e32 0x3c7fffff, v9
	s_xor_b32 s6, exec_lo, s6
; %bb.1730:
	v_bfe_u32 v6, v4, 20, 1
	s_delay_alu instid0(VALU_DEP_1) | instskip(NEXT) | instid1(VALU_DEP_1)
	v_add3_u32 v6, v4, v6, 0x407ffff
	v_and_b32_e32 v9, 0xff00000, v6
	v_lshrrev_b32_e32 v6, 20, v6
	s_delay_alu instid0(VALU_DEP_2) | instskip(NEXT) | instid1(VALU_DEP_2)
	v_cmp_ne_u32_e32 vcc_lo, 0x7f00000, v9
	v_cndmask_b32_e32 v6, 0x7e, v6, vcc_lo
; %bb.1731:
	s_and_not1_saveexec_b32 s6, s6
; %bb.1732:
	v_add_f32_e64 v6, 0x46800000, |v4|
; %bb.1733:
	s_or_b32 exec_lo, exec_lo, s6
                                        ; implicit-def: $vgpr9
.LBB216_1734:
	s_and_not1_saveexec_b32 s3, s3
; %bb.1735:
	v_mov_b32_e32 v6, 0x7f
	v_cmp_lt_u32_e32 vcc_lo, 0x7f800000, v9
	s_delay_alu instid0(VALU_DEP_2)
	v_cndmask_b32_e32 v6, 0x7e, v6, vcc_lo
; %bb.1736:
	s_or_b32 exec_lo, exec_lo, s3
	v_lshrrev_b32_e32 v4, 24, v4
	s_delay_alu instid0(VALU_DEP_1)
	v_and_or_b32 v4, 0x80, v4, v6
	global_store_b8 v[0:1], v4, off
.LBB216_1737:
	s_mov_b32 s3, 0
.LBB216_1738:
	s_delay_alu instid0(SALU_CYCLE_1)
	s_and_not1_b32 vcc_lo, exec_lo, s3
	s_cbranch_vccnz .LBB216_1748
; %bb.1739:
	v_cvt_f32_f16_e32 v4, v3
	s_mov_b32 s3, exec_lo
                                        ; implicit-def: $vgpr6
	s_delay_alu instid0(VALU_DEP_1) | instskip(NEXT) | instid1(VALU_DEP_1)
	v_and_b32_e32 v9, 0x7fffffff, v4
	v_cmpx_gt_u32_e32 0x47800000, v9
	s_xor_b32 s3, exec_lo, s3
	s_cbranch_execz .LBB216_1745
; %bb.1740:
	s_mov_b32 s6, exec_lo
                                        ; implicit-def: $vgpr6
	v_cmpx_lt_u32_e32 0x387fffff, v9
	s_xor_b32 s6, exec_lo, s6
; %bb.1741:
	v_bfe_u32 v6, v4, 21, 1
	s_delay_alu instid0(VALU_DEP_1) | instskip(NEXT) | instid1(VALU_DEP_1)
	v_add3_u32 v6, v4, v6, 0x80fffff
	v_lshrrev_b32_e32 v6, 21, v6
; %bb.1742:
	s_and_not1_saveexec_b32 s6, s6
; %bb.1743:
	v_add_f32_e64 v6, 0x43000000, |v4|
; %bb.1744:
	s_or_b32 exec_lo, exec_lo, s6
                                        ; implicit-def: $vgpr9
.LBB216_1745:
	s_and_not1_saveexec_b32 s3, s3
; %bb.1746:
	v_mov_b32_e32 v6, 0x7f
	v_cmp_lt_u32_e32 vcc_lo, 0x7f800000, v9
	s_delay_alu instid0(VALU_DEP_2)
	v_cndmask_b32_e32 v6, 0x7c, v6, vcc_lo
; %bb.1747:
	s_or_b32 exec_lo, exec_lo, s3
	v_lshrrev_b32_e32 v4, 24, v4
	s_delay_alu instid0(VALU_DEP_1)
	v_and_or_b32 v4, 0x80, v4, v6
	global_store_b8 v[0:1], v4, off
.LBB216_1748:
	s_mov_b32 s3, 0
	s_mov_b32 s6, -1
.LBB216_1749:
	s_and_not1_b32 vcc_lo, exec_lo, s3
	s_mov_b32 s3, 0
	s_cbranch_vccnz .LBB216_1756
; %bb.1750:
	v_cmp_lt_i16_e32 vcc_lo, 14, v5
	s_mov_b32 s3, -1
	s_cbranch_vccz .LBB216_1754
; %bb.1751:
	v_cmp_eq_u16_e32 vcc_lo, 15, v5
	s_mov_b32 s0, -1
	s_cbranch_vccz .LBB216_1753
; %bb.1752:
	v_cvt_f32_f16_e32 v4, v3
	v_cmp_o_f16_e32 vcc_lo, v3, v3
	s_mov_b32 s0, 0
	s_mov_b32 s6, -1
	s_delay_alu instid0(VALU_DEP_2) | instskip(NEXT) | instid1(VALU_DEP_1)
	v_bfe_u32 v6, v4, 16, 1
	v_add3_u32 v4, v4, v6, 0x7fff
	s_delay_alu instid0(VALU_DEP_1) | instskip(NEXT) | instid1(VALU_DEP_1)
	v_lshrrev_b32_e32 v4, 16, v4
	v_cndmask_b32_e32 v4, 0x7fc0, v4, vcc_lo
	global_store_b16 v[0:1], v4, off
.LBB216_1753:
	s_mov_b32 s3, 0
.LBB216_1754:
	s_delay_alu instid0(SALU_CYCLE_1)
	s_and_b32 vcc_lo, exec_lo, s3
	s_mov_b32 s3, 0
	s_cbranch_vccz .LBB216_1756
; %bb.1755:
	v_cmp_ne_u16_e64 s0, 11, v5
	s_mov_b32 s3, -1
.LBB216_1756:
	s_delay_alu instid0(VALU_DEP_1)
	s_and_b32 vcc_lo, exec_lo, s0
	s_cbranch_vccnz .LBB216_2056
; %bb.1757:
	s_and_not1_b32 vcc_lo, exec_lo, s3
	s_cbranch_vccnz .LBB216_1759
.LBB216_1758:
	v_cmp_neq_f16_e32 vcc_lo, 0, v3
	s_mov_b32 s6, -1
	v_cndmask_b32_e64 v4, 0, 1, vcc_lo
	global_store_b8 v[0:1], v4, off
.LBB216_1759:
	s_mov_b32 s0, 0
	s_branch .LBB216_1761
.LBB216_1760:
	s_mov_b32 s0, -1
	s_mov_b32 s6, 0
.LBB216_1761:
	s_and_b32 vcc_lo, exec_lo, s0
	s_cbranch_vccz .LBB216_1800
; %bb.1762:
	v_cmp_gt_i16_e32 vcc_lo, 5, v5
	s_mov_b32 s0, -1
	s_cbranch_vccnz .LBB216_1783
; %bb.1763:
	v_cmp_gt_i16_e32 vcc_lo, 8, v5
	s_cbranch_vccnz .LBB216_1773
; %bb.1764:
	v_cmp_gt_i16_e32 vcc_lo, 9, v5
	s_cbranch_vccnz .LBB216_1770
; %bb.1765:
	v_cmp_lt_i16_e32 vcc_lo, 9, v5
	s_cbranch_vccz .LBB216_1767
; %bb.1766:
	v_cvt_f32_f16_e32 v4, v3
	v_mov_b32_e32 v11, 0
	s_mov_b32 s0, 0
	s_delay_alu instid0(VALU_DEP_2) | instskip(NEXT) | instid1(VALU_DEP_2)
	v_cvt_f64_f32_e32 v[9:10], v4
	v_mov_b32_e32 v12, v11
	global_store_b128 v[0:1], v[9:12], off
.LBB216_1767:
	s_and_not1_b32 vcc_lo, exec_lo, s0
	s_cbranch_vccnz .LBB216_1769
; %bb.1768:
	v_cvt_f32_f16_e32 v9, v3
	v_mov_b32_e32 v10, 0
	global_store_b64 v[0:1], v[9:10], off
.LBB216_1769:
	s_mov_b32 s0, 0
.LBB216_1770:
	s_delay_alu instid0(SALU_CYCLE_1)
	s_and_not1_b32 vcc_lo, exec_lo, s0
	s_cbranch_vccnz .LBB216_1772
; %bb.1771:
	v_and_b32_e32 v4, 0xffff, v3
	global_store_b32 v[0:1], v4, off
.LBB216_1772:
	s_mov_b32 s0, 0
.LBB216_1773:
	s_delay_alu instid0(SALU_CYCLE_1)
	s_and_not1_b32 vcc_lo, exec_lo, s0
	s_cbranch_vccnz .LBB216_1782
; %bb.1774:
	v_cmp_gt_i16_e32 vcc_lo, 6, v5
	s_mov_b32 s0, -1
	s_cbranch_vccnz .LBB216_1780
; %bb.1775:
	v_cmp_lt_i16_e32 vcc_lo, 6, v5
	s_cbranch_vccz .LBB216_1777
; %bb.1776:
	v_cvt_f32_f16_e32 v4, v3
	s_mov_b32 s0, 0
	s_delay_alu instid0(VALU_DEP_1)
	v_cvt_f64_f32_e32 v[9:10], v4
	global_store_b64 v[0:1], v[9:10], off
.LBB216_1777:
	s_and_not1_b32 vcc_lo, exec_lo, s0
	s_cbranch_vccnz .LBB216_1779
; %bb.1778:
	v_cvt_f32_f16_e32 v4, v3
	global_store_b32 v[0:1], v4, off
.LBB216_1779:
	s_mov_b32 s0, 0
.LBB216_1780:
	s_delay_alu instid0(SALU_CYCLE_1)
	s_and_not1_b32 vcc_lo, exec_lo, s0
	s_cbranch_vccnz .LBB216_1782
; %bb.1781:
	global_store_b16 v[0:1], v3, off
.LBB216_1782:
	s_mov_b32 s0, 0
.LBB216_1783:
	s_delay_alu instid0(SALU_CYCLE_1)
	s_and_not1_b32 vcc_lo, exec_lo, s0
	s_cbranch_vccnz .LBB216_1799
; %bb.1784:
	v_cmp_gt_i16_e32 vcc_lo, 2, v5
	s_mov_b32 s0, -1
	s_cbranch_vccnz .LBB216_1794
; %bb.1785:
	v_cmp_gt_i16_e32 vcc_lo, 3, v5
	s_cbranch_vccnz .LBB216_1791
; %bb.1786:
	v_cmp_lt_i16_e32 vcc_lo, 3, v5
	s_cbranch_vccz .LBB216_1788
; %bb.1787:
	v_cvt_f32_f16_e32 v4, v3
	s_mov_b32 s0, 0
	s_delay_alu instid0(VALU_DEP_1) | instskip(NEXT) | instid1(VALU_DEP_1)
	v_cvt_i32_f32_e32 v9, v4
	v_ashrrev_i32_e32 v10, 31, v9
	global_store_b64 v[0:1], v[9:10], off
.LBB216_1788:
	s_and_not1_b32 vcc_lo, exec_lo, s0
	s_cbranch_vccnz .LBB216_1790
; %bb.1789:
	v_cvt_f32_f16_e32 v4, v3
	s_delay_alu instid0(VALU_DEP_1)
	v_cvt_i32_f32_e32 v4, v4
	global_store_b32 v[0:1], v4, off
.LBB216_1790:
	s_mov_b32 s0, 0
.LBB216_1791:
	s_delay_alu instid0(SALU_CYCLE_1)
	s_and_not1_b32 vcc_lo, exec_lo, s0
	s_cbranch_vccnz .LBB216_1793
; %bb.1792:
	v_cvt_i16_f16_e32 v4, v3
	global_store_b16 v[0:1], v4, off
.LBB216_1793:
	s_mov_b32 s0, 0
.LBB216_1794:
	s_delay_alu instid0(SALU_CYCLE_1)
	s_and_not1_b32 vcc_lo, exec_lo, s0
	s_cbranch_vccnz .LBB216_1799
; %bb.1795:
	v_cmp_lt_i16_e32 vcc_lo, 0, v5
	s_mov_b32 s0, -1
	s_cbranch_vccz .LBB216_1797
; %bb.1796:
	v_cvt_i16_f16_e32 v4, v3
	s_mov_b32 s0, 0
	global_store_b8 v[0:1], v4, off
.LBB216_1797:
	s_and_not1_b32 vcc_lo, exec_lo, s0
	s_cbranch_vccnz .LBB216_1799
; %bb.1798:
	v_cvt_f32_f16_e32 v3, v3
	s_delay_alu instid0(VALU_DEP_1)
	v_cvt_i32_f32_e32 v3, v3
	global_store_b8 v[0:1], v3, off
.LBB216_1799:
	s_mov_b32 s6, -1
.LBB216_1800:
	s_delay_alu instid0(SALU_CYCLE_1)
	s_and_not1_b32 vcc_lo, exec_lo, s6
	s_cbranch_vccnz .LBB216_1996
; %bb.1801:
	v_cvt_f32_f16_e32 v0, v7
	v_add_nc_u32_e32 v2, s2, v2
	s_delay_alu instid0(VALU_DEP_2) | instskip(NEXT) | instid1(VALU_DEP_1)
	v_cvt_f64_f32_e32 v[0:1], v0
	v_rsq_f64_e32 v[3:4], v[0:1]
	s_waitcnt_depctr 0xfff
	v_mul_f64 v[0:1], v[3:4], -v[0:1]
	v_cmp_class_f64_e64 vcc_lo, v[3:4], 0x180
	s_delay_alu instid0(VALU_DEP_2) | instskip(NEXT) | instid1(VALU_DEP_1)
	v_fma_f64 v[0:1], v[0:1], v[3:4], 1.0
	v_mul_f64 v[6:7], v[3:4], v[0:1]
	v_fma_f64 v[0:1], 0x3fd80000, v[0:1], 0.5
	s_delay_alu instid0(VALU_DEP_1) | instskip(NEXT) | instid1(VALU_DEP_1)
	v_fma_f64 v[0:1], v[6:7], v[0:1], v[3:4]
	v_dual_cndmask_b32 v1, v4, v1 :: v_dual_cndmask_b32 v0, v3, v0
	v_cmp_gt_i16_e32 vcc_lo, 11, v5
	s_delay_alu instid0(VALU_DEP_2) | instskip(SKIP_2) | instid1(VALU_DEP_1)
	v_cvt_f32_f64_e32 v3, v[0:1]
	v_ashrrev_i32_e32 v1, 31, v2
	v_add_co_u32 v0, s0, s4, v2
	v_add_co_ci_u32_e64 v1, s0, s5, v1, s0
	s_delay_alu instid0(VALU_DEP_4)
	v_cvt_f16_f32_e32 v3, v3
	s_cbranch_vccnz .LBB216_1879
; %bb.1802:
	v_cmp_lt_i16_e32 vcc_lo, 25, v5
	s_mov_b32 s7, -1
	s_mov_b32 s3, 0
	s_mov_b32 s6, 0
	;; [unrolled: 1-line block ×3, first 2 shown]
	s_cbranch_vccz .LBB216_1835
; %bb.1803:
	v_cmp_lt_i16_e32 vcc_lo, 28, v5
	s_cbranch_vccz .LBB216_1818
; %bb.1804:
	v_cmp_lt_i16_e32 vcc_lo, 43, v5
	;; [unrolled: 3-line block ×3, first 2 shown]
	s_cbranch_vccz .LBB216_1808
; %bb.1806:
	v_cmp_eq_u16_e32 vcc_lo, 46, v5
	s_mov_b32 s0, -1
	s_mov_b32 s7, 0
	s_cbranch_vccz .LBB216_1808
; %bb.1807:
	v_cvt_f32_f16_e32 v4, v3
	v_cmp_o_f16_e32 vcc_lo, v3, v3
	s_mov_b32 s0, 0
	s_mov_b32 s6, -1
	s_delay_alu instid0(VALU_DEP_2) | instskip(NEXT) | instid1(VALU_DEP_1)
	v_bfe_u32 v6, v4, 16, 1
	v_add3_u32 v4, v4, v6, 0x7fff
	s_delay_alu instid0(VALU_DEP_1) | instskip(NEXT) | instid1(VALU_DEP_1)
	v_lshrrev_b32_e32 v4, 16, v4
	v_cndmask_b32_e32 v4, 0x7fc0, v4, vcc_lo
	global_store_b32 v[0:1], v4, off
.LBB216_1808:
	s_and_b32 vcc_lo, exec_lo, s7
	s_cbranch_vccz .LBB216_1813
; %bb.1809:
	v_cmp_eq_u16_e32 vcc_lo, 44, v5
	s_mov_b32 s0, -1
	s_cbranch_vccz .LBB216_1813
; %bb.1810:
	v_cvt_f32_f16_e32 v4, v3
	v_mov_b32_e32 v6, 0xff
	s_mov_b32 s6, exec_lo
	s_delay_alu instid0(VALU_DEP_2) | instskip(NEXT) | instid1(VALU_DEP_1)
	v_bfe_u32 v7, v4, 23, 8
	v_cmpx_ne_u32_e32 0xff, v7
; %bb.1811:
	v_and_b32_e32 v6, 0x400000, v4
	v_and_or_b32 v7, 0x3fffff, v4, v7
	v_lshrrev_b32_e32 v4, 23, v4
	s_delay_alu instid0(VALU_DEP_3) | instskip(NEXT) | instid1(VALU_DEP_3)
	v_cmp_ne_u32_e32 vcc_lo, 0, v6
	v_cmp_ne_u32_e64 s0, 0, v7
	s_delay_alu instid0(VALU_DEP_1) | instskip(NEXT) | instid1(SALU_CYCLE_1)
	s_and_b32 s0, vcc_lo, s0
	v_cndmask_b32_e64 v6, 0, 1, s0
	s_delay_alu instid0(VALU_DEP_1)
	v_add_nc_u32_e32 v6, v4, v6
; %bb.1812:
	s_or_b32 exec_lo, exec_lo, s6
	s_mov_b32 s0, 0
	s_mov_b32 s6, -1
	global_store_b8 v[0:1], v6, off
.LBB216_1813:
	s_mov_b32 s7, 0
.LBB216_1814:
	s_delay_alu instid0(SALU_CYCLE_1)
	s_and_b32 vcc_lo, exec_lo, s7
	s_cbranch_vccz .LBB216_1817
; %bb.1815:
	v_cmp_eq_u16_e32 vcc_lo, 29, v5
	s_mov_b32 s0, -1
	s_cbranch_vccz .LBB216_1817
; %bb.1816:
	v_cvt_f32_f16_e32 v4, v3
	v_mov_b32_e32 v7, 0
	s_mov_b32 s0, 0
	s_mov_b32 s6, -1
	s_delay_alu instid0(VALU_DEP_2)
	v_cvt_u32_f32_e32 v6, v4
	global_store_b64 v[0:1], v[6:7], off
.LBB216_1817:
	s_mov_b32 s7, 0
.LBB216_1818:
	s_delay_alu instid0(SALU_CYCLE_1)
	s_and_b32 vcc_lo, exec_lo, s7
	s_cbranch_vccz .LBB216_1834
; %bb.1819:
	v_cmp_gt_i16_e32 vcc_lo, 27, v5
	s_mov_b32 s6, -1
	s_cbranch_vccnz .LBB216_1825
; %bb.1820:
	v_cmp_lt_i16_e32 vcc_lo, 27, v5
	s_cbranch_vccz .LBB216_1822
; %bb.1821:
	v_cvt_f32_f16_e32 v4, v3
	s_mov_b32 s6, 0
	s_delay_alu instid0(VALU_DEP_1)
	v_cvt_u32_f32_e32 v4, v4
	global_store_b32 v[0:1], v4, off
.LBB216_1822:
	s_and_not1_b32 vcc_lo, exec_lo, s6
	s_cbranch_vccnz .LBB216_1824
; %bb.1823:
	v_cvt_u16_f16_e32 v4, v3
	global_store_b16 v[0:1], v4, off
.LBB216_1824:
	s_mov_b32 s6, 0
.LBB216_1825:
	s_delay_alu instid0(SALU_CYCLE_1)
	s_and_not1_b32 vcc_lo, exec_lo, s6
	s_cbranch_vccnz .LBB216_1833
; %bb.1826:
	v_cvt_f32_f16_e32 v4, v3
	v_mov_b32_e32 v7, 0x80
	s_mov_b32 s6, exec_lo
	s_delay_alu instid0(VALU_DEP_2) | instskip(NEXT) | instid1(VALU_DEP_1)
	v_and_b32_e32 v6, 0x7fffffff, v4
	v_cmpx_gt_u32_e32 0x43800000, v6
	s_cbranch_execz .LBB216_1832
; %bb.1827:
	v_cmp_lt_u32_e32 vcc_lo, 0x3bffffff, v6
	s_mov_b32 s7, 0
                                        ; implicit-def: $vgpr6
	s_and_saveexec_b32 s10, vcc_lo
	s_delay_alu instid0(SALU_CYCLE_1)
	s_xor_b32 s10, exec_lo, s10
	s_cbranch_execz .LBB216_2060
; %bb.1828:
	v_bfe_u32 v6, v4, 20, 1
	s_mov_b32 s7, exec_lo
	s_delay_alu instid0(VALU_DEP_1) | instskip(NEXT) | instid1(VALU_DEP_1)
	v_add3_u32 v6, v4, v6, 0x487ffff
	v_lshrrev_b32_e32 v6, 20, v6
	s_or_saveexec_b32 s10, s10
                                        ; implicit-def: $sgpr11
	s_delay_alu instid0(SALU_CYCLE_1)
	s_xor_b32 exec_lo, exec_lo, s10
	s_cbranch_execnz .LBB216_2061
.LBB216_1829:
	s_or_b32 exec_lo, exec_lo, s10
	v_mov_b32_e32 v7, s11
	s_and_saveexec_b32 s10, s7
.LBB216_1830:
	v_lshrrev_b32_e32 v4, 24, v4
	s_delay_alu instid0(VALU_DEP_1)
	v_and_or_b32 v7, 0x80, v4, v6
.LBB216_1831:
	s_or_b32 exec_lo, exec_lo, s10
.LBB216_1832:
	s_delay_alu instid0(SALU_CYCLE_1)
	s_or_b32 exec_lo, exec_lo, s6
	global_store_b8 v[0:1], v7, off
.LBB216_1833:
	s_mov_b32 s6, -1
.LBB216_1834:
	s_mov_b32 s7, 0
.LBB216_1835:
	s_delay_alu instid0(SALU_CYCLE_1)
	s_and_b32 vcc_lo, exec_lo, s7
	s_cbranch_vccz .LBB216_1875
; %bb.1836:
	v_cmp_lt_i16_e32 vcc_lo, 22, v5
	s_mov_b32 s3, -1
	s_cbranch_vccz .LBB216_1868
; %bb.1837:
	v_cmp_gt_i16_e32 vcc_lo, 24, v5
	s_cbranch_vccnz .LBB216_1857
; %bb.1838:
	v_cmp_lt_i16_e32 vcc_lo, 24, v5
	s_cbranch_vccz .LBB216_1846
; %bb.1839:
	v_cvt_f32_f16_e32 v4, v3
	v_mov_b32_e32 v7, 0x80
	s_mov_b32 s3, exec_lo
	s_delay_alu instid0(VALU_DEP_2) | instskip(NEXT) | instid1(VALU_DEP_1)
	v_and_b32_e32 v6, 0x7fffffff, v4
	v_cmpx_gt_u32_e32 0x47800000, v6
	s_cbranch_execz .LBB216_1845
; %bb.1840:
	v_cmp_lt_u32_e32 vcc_lo, 0x37ffffff, v6
	s_mov_b32 s6, 0
                                        ; implicit-def: $vgpr6
	s_and_saveexec_b32 s7, vcc_lo
	s_delay_alu instid0(SALU_CYCLE_1)
	s_xor_b32 s7, exec_lo, s7
	s_cbranch_execz .LBB216_2066
; %bb.1841:
	v_bfe_u32 v6, v4, 21, 1
	s_mov_b32 s6, exec_lo
	s_delay_alu instid0(VALU_DEP_1) | instskip(NEXT) | instid1(VALU_DEP_1)
	v_add3_u32 v6, v4, v6, 0x88fffff
	v_lshrrev_b32_e32 v6, 21, v6
	s_or_saveexec_b32 s7, s7
                                        ; implicit-def: $sgpr10
	s_delay_alu instid0(SALU_CYCLE_1)
	s_xor_b32 exec_lo, exec_lo, s7
	s_cbranch_execnz .LBB216_2067
.LBB216_1842:
	s_or_b32 exec_lo, exec_lo, s7
	v_mov_b32_e32 v7, s10
	s_and_saveexec_b32 s7, s6
.LBB216_1843:
	v_lshrrev_b32_e32 v4, 24, v4
	s_delay_alu instid0(VALU_DEP_1)
	v_and_or_b32 v7, 0x80, v4, v6
.LBB216_1844:
	s_or_b32 exec_lo, exec_lo, s7
.LBB216_1845:
	s_delay_alu instid0(SALU_CYCLE_1)
	s_or_b32 exec_lo, exec_lo, s3
	s_mov_b32 s3, 0
	global_store_b8 v[0:1], v7, off
.LBB216_1846:
	s_and_b32 vcc_lo, exec_lo, s3
	s_cbranch_vccz .LBB216_1856
; %bb.1847:
	v_cvt_f32_f16_e32 v4, v3
	s_mov_b32 s3, exec_lo
                                        ; implicit-def: $vgpr6
	s_delay_alu instid0(VALU_DEP_1) | instskip(NEXT) | instid1(VALU_DEP_1)
	v_and_b32_e32 v7, 0x7fffffff, v4
	v_cmpx_gt_u32_e32 0x43f00000, v7
	s_xor_b32 s3, exec_lo, s3
	s_cbranch_execz .LBB216_1853
; %bb.1848:
	s_mov_b32 s6, exec_lo
                                        ; implicit-def: $vgpr6
	v_cmpx_lt_u32_e32 0x3c7fffff, v7
	s_xor_b32 s6, exec_lo, s6
; %bb.1849:
	v_bfe_u32 v6, v4, 20, 1
	s_delay_alu instid0(VALU_DEP_1) | instskip(NEXT) | instid1(VALU_DEP_1)
	v_add3_u32 v6, v4, v6, 0x407ffff
	v_and_b32_e32 v7, 0xff00000, v6
	v_lshrrev_b32_e32 v6, 20, v6
	s_delay_alu instid0(VALU_DEP_2) | instskip(NEXT) | instid1(VALU_DEP_2)
	v_cmp_ne_u32_e32 vcc_lo, 0x7f00000, v7
	v_cndmask_b32_e32 v6, 0x7e, v6, vcc_lo
; %bb.1850:
	s_and_not1_saveexec_b32 s6, s6
; %bb.1851:
	v_add_f32_e64 v6, 0x46800000, |v4|
; %bb.1852:
	s_or_b32 exec_lo, exec_lo, s6
                                        ; implicit-def: $vgpr7
.LBB216_1853:
	s_and_not1_saveexec_b32 s3, s3
; %bb.1854:
	v_mov_b32_e32 v6, 0x7f
	v_cmp_lt_u32_e32 vcc_lo, 0x7f800000, v7
	s_delay_alu instid0(VALU_DEP_2)
	v_cndmask_b32_e32 v6, 0x7e, v6, vcc_lo
; %bb.1855:
	s_or_b32 exec_lo, exec_lo, s3
	v_lshrrev_b32_e32 v4, 24, v4
	s_delay_alu instid0(VALU_DEP_1)
	v_and_or_b32 v4, 0x80, v4, v6
	global_store_b8 v[0:1], v4, off
.LBB216_1856:
	s_mov_b32 s3, 0
.LBB216_1857:
	s_delay_alu instid0(SALU_CYCLE_1)
	s_and_not1_b32 vcc_lo, exec_lo, s3
	s_cbranch_vccnz .LBB216_1867
; %bb.1858:
	v_cvt_f32_f16_e32 v4, v3
	s_mov_b32 s3, exec_lo
                                        ; implicit-def: $vgpr6
	s_delay_alu instid0(VALU_DEP_1) | instskip(NEXT) | instid1(VALU_DEP_1)
	v_and_b32_e32 v7, 0x7fffffff, v4
	v_cmpx_gt_u32_e32 0x47800000, v7
	s_xor_b32 s3, exec_lo, s3
	s_cbranch_execz .LBB216_1864
; %bb.1859:
	s_mov_b32 s6, exec_lo
                                        ; implicit-def: $vgpr6
	v_cmpx_lt_u32_e32 0x387fffff, v7
	s_xor_b32 s6, exec_lo, s6
; %bb.1860:
	v_bfe_u32 v6, v4, 21, 1
	s_delay_alu instid0(VALU_DEP_1) | instskip(NEXT) | instid1(VALU_DEP_1)
	v_add3_u32 v6, v4, v6, 0x80fffff
	v_lshrrev_b32_e32 v6, 21, v6
; %bb.1861:
	s_and_not1_saveexec_b32 s6, s6
; %bb.1862:
	v_add_f32_e64 v6, 0x43000000, |v4|
; %bb.1863:
	s_or_b32 exec_lo, exec_lo, s6
                                        ; implicit-def: $vgpr7
.LBB216_1864:
	s_and_not1_saveexec_b32 s3, s3
; %bb.1865:
	v_mov_b32_e32 v6, 0x7f
	v_cmp_lt_u32_e32 vcc_lo, 0x7f800000, v7
	s_delay_alu instid0(VALU_DEP_2)
	v_cndmask_b32_e32 v6, 0x7c, v6, vcc_lo
; %bb.1866:
	s_or_b32 exec_lo, exec_lo, s3
	v_lshrrev_b32_e32 v4, 24, v4
	s_delay_alu instid0(VALU_DEP_1)
	v_and_or_b32 v4, 0x80, v4, v6
	global_store_b8 v[0:1], v4, off
.LBB216_1867:
	s_mov_b32 s3, 0
	s_mov_b32 s6, -1
.LBB216_1868:
	s_and_not1_b32 vcc_lo, exec_lo, s3
	s_mov_b32 s3, 0
	s_cbranch_vccnz .LBB216_1875
; %bb.1869:
	v_cmp_lt_i16_e32 vcc_lo, 14, v5
	s_mov_b32 s3, -1
	s_cbranch_vccz .LBB216_1873
; %bb.1870:
	v_cmp_eq_u16_e32 vcc_lo, 15, v5
	s_mov_b32 s0, -1
	s_cbranch_vccz .LBB216_1872
; %bb.1871:
	v_cvt_f32_f16_e32 v4, v3
	v_cmp_o_f16_e32 vcc_lo, v3, v3
	s_mov_b32 s0, 0
	s_mov_b32 s6, -1
	s_delay_alu instid0(VALU_DEP_2) | instskip(NEXT) | instid1(VALU_DEP_1)
	v_bfe_u32 v6, v4, 16, 1
	v_add3_u32 v4, v4, v6, 0x7fff
	s_delay_alu instid0(VALU_DEP_1) | instskip(NEXT) | instid1(VALU_DEP_1)
	v_lshrrev_b32_e32 v4, 16, v4
	v_cndmask_b32_e32 v4, 0x7fc0, v4, vcc_lo
	global_store_b16 v[0:1], v4, off
.LBB216_1872:
	s_mov_b32 s3, 0
.LBB216_1873:
	s_delay_alu instid0(SALU_CYCLE_1)
	s_and_b32 vcc_lo, exec_lo, s3
	s_mov_b32 s3, 0
	s_cbranch_vccz .LBB216_1875
; %bb.1874:
	v_cmp_ne_u16_e64 s0, 11, v5
	s_mov_b32 s3, -1
.LBB216_1875:
	s_delay_alu instid0(VALU_DEP_1)
	s_and_b32 vcc_lo, exec_lo, s0
	s_cbranch_vccnz .LBB216_2064
; %bb.1876:
	s_and_not1_b32 vcc_lo, exec_lo, s3
	s_cbranch_vccnz .LBB216_1878
.LBB216_1877:
	v_cmp_neq_f16_e32 vcc_lo, 0, v3
	s_mov_b32 s6, -1
	v_cndmask_b32_e64 v4, 0, 1, vcc_lo
	global_store_b8 v[0:1], v4, off
.LBB216_1878:
	s_mov_b32 s0, 0
	s_branch .LBB216_1880
.LBB216_1879:
	s_mov_b32 s0, -1
	s_mov_b32 s6, 0
.LBB216_1880:
	s_and_b32 vcc_lo, exec_lo, s0
	s_cbranch_vccz .LBB216_1919
; %bb.1881:
	v_cmp_gt_i16_e32 vcc_lo, 5, v5
	s_mov_b32 s0, -1
	s_cbranch_vccnz .LBB216_1902
; %bb.1882:
	v_cmp_gt_i16_e32 vcc_lo, 8, v5
	s_cbranch_vccnz .LBB216_1892
; %bb.1883:
	v_cmp_gt_i16_e32 vcc_lo, 9, v5
	s_cbranch_vccnz .LBB216_1889
; %bb.1884:
	v_cmp_lt_i16_e32 vcc_lo, 9, v5
	s_cbranch_vccz .LBB216_1886
; %bb.1885:
	v_cvt_f32_f16_e32 v4, v3
	v_mov_b32_e32 v11, 0
	s_mov_b32 s0, 0
	s_delay_alu instid0(VALU_DEP_2) | instskip(NEXT) | instid1(VALU_DEP_2)
	v_cvt_f64_f32_e32 v[9:10], v4
	v_mov_b32_e32 v12, v11
	global_store_b128 v[0:1], v[9:12], off
.LBB216_1886:
	s_and_not1_b32 vcc_lo, exec_lo, s0
	s_cbranch_vccnz .LBB216_1888
; %bb.1887:
	v_cvt_f32_f16_e32 v6, v3
	v_mov_b32_e32 v7, 0
	global_store_b64 v[0:1], v[6:7], off
.LBB216_1888:
	s_mov_b32 s0, 0
.LBB216_1889:
	s_delay_alu instid0(SALU_CYCLE_1)
	s_and_not1_b32 vcc_lo, exec_lo, s0
	s_cbranch_vccnz .LBB216_1891
; %bb.1890:
	v_and_b32_e32 v4, 0xffff, v3
	global_store_b32 v[0:1], v4, off
.LBB216_1891:
	s_mov_b32 s0, 0
.LBB216_1892:
	s_delay_alu instid0(SALU_CYCLE_1)
	s_and_not1_b32 vcc_lo, exec_lo, s0
	s_cbranch_vccnz .LBB216_1901
; %bb.1893:
	v_cmp_gt_i16_e32 vcc_lo, 6, v5
	s_mov_b32 s0, -1
	s_cbranch_vccnz .LBB216_1899
; %bb.1894:
	v_cmp_lt_i16_e32 vcc_lo, 6, v5
	s_cbranch_vccz .LBB216_1896
; %bb.1895:
	v_cvt_f32_f16_e32 v4, v3
	s_mov_b32 s0, 0
	s_delay_alu instid0(VALU_DEP_1)
	v_cvt_f64_f32_e32 v[6:7], v4
	global_store_b64 v[0:1], v[6:7], off
.LBB216_1896:
	s_and_not1_b32 vcc_lo, exec_lo, s0
	s_cbranch_vccnz .LBB216_1898
; %bb.1897:
	v_cvt_f32_f16_e32 v4, v3
	global_store_b32 v[0:1], v4, off
.LBB216_1898:
	s_mov_b32 s0, 0
.LBB216_1899:
	s_delay_alu instid0(SALU_CYCLE_1)
	s_and_not1_b32 vcc_lo, exec_lo, s0
	s_cbranch_vccnz .LBB216_1901
; %bb.1900:
	global_store_b16 v[0:1], v3, off
.LBB216_1901:
	s_mov_b32 s0, 0
.LBB216_1902:
	s_delay_alu instid0(SALU_CYCLE_1)
	s_and_not1_b32 vcc_lo, exec_lo, s0
	s_cbranch_vccnz .LBB216_1918
; %bb.1903:
	v_cmp_gt_i16_e32 vcc_lo, 2, v5
	s_mov_b32 s0, -1
	s_cbranch_vccnz .LBB216_1913
; %bb.1904:
	v_cmp_gt_i16_e32 vcc_lo, 3, v5
	s_cbranch_vccnz .LBB216_1910
; %bb.1905:
	v_cmp_lt_i16_e32 vcc_lo, 3, v5
	s_cbranch_vccz .LBB216_1907
; %bb.1906:
	v_cvt_f32_f16_e32 v4, v3
	s_mov_b32 s0, 0
	s_delay_alu instid0(VALU_DEP_1) | instskip(NEXT) | instid1(VALU_DEP_1)
	v_cvt_i32_f32_e32 v6, v4
	v_ashrrev_i32_e32 v7, 31, v6
	global_store_b64 v[0:1], v[6:7], off
.LBB216_1907:
	s_and_not1_b32 vcc_lo, exec_lo, s0
	s_cbranch_vccnz .LBB216_1909
; %bb.1908:
	v_cvt_f32_f16_e32 v4, v3
	s_delay_alu instid0(VALU_DEP_1)
	v_cvt_i32_f32_e32 v4, v4
	global_store_b32 v[0:1], v4, off
.LBB216_1909:
	s_mov_b32 s0, 0
.LBB216_1910:
	s_delay_alu instid0(SALU_CYCLE_1)
	s_and_not1_b32 vcc_lo, exec_lo, s0
	s_cbranch_vccnz .LBB216_1912
; %bb.1911:
	v_cvt_i16_f16_e32 v4, v3
	global_store_b16 v[0:1], v4, off
.LBB216_1912:
	s_mov_b32 s0, 0
.LBB216_1913:
	s_delay_alu instid0(SALU_CYCLE_1)
	s_and_not1_b32 vcc_lo, exec_lo, s0
	s_cbranch_vccnz .LBB216_1918
; %bb.1914:
	v_cmp_lt_i16_e32 vcc_lo, 0, v5
	s_mov_b32 s0, -1
	s_cbranch_vccz .LBB216_1916
; %bb.1915:
	v_cvt_i16_f16_e32 v4, v3
	s_mov_b32 s0, 0
	global_store_b8 v[0:1], v4, off
.LBB216_1916:
	s_and_not1_b32 vcc_lo, exec_lo, s0
	s_cbranch_vccnz .LBB216_1918
; %bb.1917:
	v_cvt_f32_f16_e32 v3, v3
	s_delay_alu instid0(VALU_DEP_1)
	v_cvt_i32_f32_e32 v3, v3
	global_store_b8 v[0:1], v3, off
.LBB216_1918:
	s_mov_b32 s6, -1
.LBB216_1919:
	s_delay_alu instid0(SALU_CYCLE_1)
	s_and_not1_b32 vcc_lo, exec_lo, s6
	s_cbranch_vccnz .LBB216_1996
; %bb.1920:
	v_cvt_f32_f16_e32 v0, v8
	s_delay_alu instid0(VALU_DEP_1) | instskip(NEXT) | instid1(VALU_DEP_1)
	v_cvt_f64_f32_e32 v[0:1], v0
	v_rsq_f64_e32 v[3:4], v[0:1]
	s_waitcnt_depctr 0xfff
	v_mul_f64 v[0:1], v[3:4], -v[0:1]
	v_cmp_class_f64_e64 vcc_lo, v[3:4], 0x180
	s_delay_alu instid0(VALU_DEP_2) | instskip(NEXT) | instid1(VALU_DEP_1)
	v_fma_f64 v[0:1], v[0:1], v[3:4], 1.0
	v_mul_f64 v[6:7], v[3:4], v[0:1]
	v_fma_f64 v[0:1], 0x3fd80000, v[0:1], 0.5
	s_delay_alu instid0(VALU_DEP_1) | instskip(NEXT) | instid1(VALU_DEP_1)
	v_fma_f64 v[0:1], v[6:7], v[0:1], v[3:4]
	v_dual_cndmask_b32 v1, v4, v1 :: v_dual_cndmask_b32 v0, v3, v0
	v_cmp_gt_i16_e32 vcc_lo, 11, v5
	s_delay_alu instid0(VALU_DEP_2) | instskip(SKIP_2) | instid1(VALU_DEP_1)
	v_cvt_f32_f64_e32 v3, v[0:1]
	v_add_nc_u32_e32 v0, s2, v2
	s_and_b32 vcc_lo, exec_lo, vcc_lo
	v_ashrrev_i32_e32 v1, 31, v0
	v_add_co_u32 v0, s0, s4, v0
	s_delay_alu instid0(VALU_DEP_1)
	v_add_co_ci_u32_e64 v1, s0, s5, v1, s0
	v_cvt_f16_f32_e32 v6, v3
	s_cbranch_vccnz .LBB216_2041
; %bb.1921:
	v_cmp_lt_i16_e32 vcc_lo, 25, v5
	s_mov_b32 s3, -1
	s_mov_b32 s2, 0
	s_mov_b32 s0, 0
	s_cbranch_vccz .LBB216_1954
; %bb.1922:
	v_cmp_lt_i16_e32 vcc_lo, 28, v5
	s_cbranch_vccz .LBB216_1938
; %bb.1923:
	v_cmp_lt_i16_e32 vcc_lo, 43, v5
	;; [unrolled: 3-line block ×3, first 2 shown]
	s_cbranch_vccz .LBB216_1928
; %bb.1925:
	v_cmp_eq_u16_e32 vcc_lo, 46, v5
	s_mov_b32 s0, -1
	s_cbranch_vccz .LBB216_1927
; %bb.1926:
	v_cvt_f32_f16_e32 v2, v6
	v_cmp_o_f16_e32 vcc_lo, v6, v6
	s_mov_b32 s0, 0
	s_delay_alu instid0(VALU_DEP_2) | instskip(NEXT) | instid1(VALU_DEP_1)
	v_bfe_u32 v3, v2, 16, 1
	v_add3_u32 v2, v2, v3, 0x7fff
	s_delay_alu instid0(VALU_DEP_1) | instskip(NEXT) | instid1(VALU_DEP_1)
	v_lshrrev_b32_e32 v2, 16, v2
	v_cndmask_b32_e32 v2, 0x7fc0, v2, vcc_lo
	global_store_b32 v[0:1], v2, off
.LBB216_1927:
	s_mov_b32 s3, 0
.LBB216_1928:
	s_delay_alu instid0(SALU_CYCLE_1)
	s_and_b32 vcc_lo, exec_lo, s3
	s_cbranch_vccz .LBB216_1933
; %bb.1929:
	v_cmp_eq_u16_e32 vcc_lo, 44, v5
	s_mov_b32 s0, -1
	s_cbranch_vccz .LBB216_1933
; %bb.1930:
	v_cvt_f32_f16_e32 v2, v6
	v_mov_b32_e32 v3, 0xff
	s_mov_b32 s3, exec_lo
	s_delay_alu instid0(VALU_DEP_2) | instskip(NEXT) | instid1(VALU_DEP_1)
	v_bfe_u32 v4, v2, 23, 8
	v_cmpx_ne_u32_e32 0xff, v4
; %bb.1931:
	v_and_b32_e32 v3, 0x400000, v2
	v_and_or_b32 v4, 0x3fffff, v2, v4
	v_lshrrev_b32_e32 v2, 23, v2
	s_delay_alu instid0(VALU_DEP_3) | instskip(NEXT) | instid1(VALU_DEP_3)
	v_cmp_ne_u32_e32 vcc_lo, 0, v3
	v_cmp_ne_u32_e64 s0, 0, v4
	s_delay_alu instid0(VALU_DEP_1) | instskip(NEXT) | instid1(SALU_CYCLE_1)
	s_and_b32 s0, vcc_lo, s0
	v_cndmask_b32_e64 v3, 0, 1, s0
	s_delay_alu instid0(VALU_DEP_1)
	v_add_nc_u32_e32 v3, v2, v3
; %bb.1932:
	s_or_b32 exec_lo, exec_lo, s3
	s_mov_b32 s0, 0
	global_store_b8 v[0:1], v3, off
.LBB216_1933:
	s_mov_b32 s3, 0
.LBB216_1934:
	s_delay_alu instid0(SALU_CYCLE_1)
	s_and_b32 vcc_lo, exec_lo, s3
	s_cbranch_vccz .LBB216_1937
; %bb.1935:
	v_cmp_eq_u16_e32 vcc_lo, 29, v5
	s_mov_b32 s0, -1
	s_cbranch_vccz .LBB216_1937
; %bb.1936:
	v_cvt_f32_f16_e32 v2, v6
	v_mov_b32_e32 v3, 0
	s_mov_b32 s0, 0
	s_delay_alu instid0(VALU_DEP_2)
	v_cvt_u32_f32_e32 v2, v2
	global_store_b64 v[0:1], v[2:3], off
.LBB216_1937:
	s_mov_b32 s3, 0
.LBB216_1938:
	s_delay_alu instid0(SALU_CYCLE_1)
	s_and_b32 vcc_lo, exec_lo, s3
	s_cbranch_vccz .LBB216_1953
; %bb.1939:
	v_cmp_gt_i16_e32 vcc_lo, 27, v5
	s_mov_b32 s3, -1
	s_cbranch_vccnz .LBB216_1945
; %bb.1940:
	v_cmp_lt_i16_e32 vcc_lo, 27, v5
	s_cbranch_vccz .LBB216_1942
; %bb.1941:
	v_cvt_f32_f16_e32 v2, v6
	s_mov_b32 s3, 0
	s_delay_alu instid0(VALU_DEP_1)
	v_cvt_u32_f32_e32 v2, v2
	global_store_b32 v[0:1], v2, off
.LBB216_1942:
	s_and_not1_b32 vcc_lo, exec_lo, s3
	s_cbranch_vccnz .LBB216_1944
; %bb.1943:
	v_cvt_u16_f16_e32 v2, v6
	global_store_b16 v[0:1], v2, off
.LBB216_1944:
	s_mov_b32 s3, 0
.LBB216_1945:
	s_delay_alu instid0(SALU_CYCLE_1)
	s_and_not1_b32 vcc_lo, exec_lo, s3
	s_cbranch_vccnz .LBB216_1953
; %bb.1946:
	v_cvt_f32_f16_e32 v2, v6
	v_mov_b32_e32 v4, 0x80
	s_mov_b32 s3, exec_lo
	s_delay_alu instid0(VALU_DEP_2) | instskip(NEXT) | instid1(VALU_DEP_1)
	v_and_b32_e32 v3, 0x7fffffff, v2
	v_cmpx_gt_u32_e32 0x43800000, v3
	s_cbranch_execz .LBB216_1952
; %bb.1947:
	v_cmp_lt_u32_e32 vcc_lo, 0x3bffffff, v3
	s_mov_b32 s4, 0
                                        ; implicit-def: $vgpr3
	s_and_saveexec_b32 s5, vcc_lo
	s_delay_alu instid0(SALU_CYCLE_1)
	s_xor_b32 s5, exec_lo, s5
	s_cbranch_execz .LBB216_2068
; %bb.1948:
	v_bfe_u32 v3, v2, 20, 1
	s_mov_b32 s4, exec_lo
	s_delay_alu instid0(VALU_DEP_1) | instskip(NEXT) | instid1(VALU_DEP_1)
	v_add3_u32 v3, v2, v3, 0x487ffff
	v_lshrrev_b32_e32 v3, 20, v3
	s_or_saveexec_b32 s5, s5
                                        ; implicit-def: $sgpr6
	s_delay_alu instid0(SALU_CYCLE_1)
	s_xor_b32 exec_lo, exec_lo, s5
	s_cbranch_execnz .LBB216_2069
.LBB216_1949:
	s_or_b32 exec_lo, exec_lo, s5
	v_mov_b32_e32 v4, s6
	s_and_saveexec_b32 s5, s4
.LBB216_1950:
	v_lshrrev_b32_e32 v2, 24, v2
	s_delay_alu instid0(VALU_DEP_1)
	v_and_or_b32 v4, 0x80, v2, v3
.LBB216_1951:
	s_or_b32 exec_lo, exec_lo, s5
.LBB216_1952:
	s_delay_alu instid0(SALU_CYCLE_1)
	s_or_b32 exec_lo, exec_lo, s3
	global_store_b8 v[0:1], v4, off
.LBB216_1953:
	s_mov_b32 s3, 0
.LBB216_1954:
	s_delay_alu instid0(SALU_CYCLE_1)
	s_and_b32 vcc_lo, exec_lo, s3
	s_cbranch_vccz .LBB216_1994
; %bb.1955:
	v_cmp_lt_i16_e32 vcc_lo, 22, v5
	s_mov_b32 s2, -1
	s_cbranch_vccz .LBB216_1987
; %bb.1956:
	v_cmp_gt_i16_e32 vcc_lo, 24, v5
	s_cbranch_vccnz .LBB216_1976
; %bb.1957:
	v_cmp_lt_i16_e32 vcc_lo, 24, v5
	s_cbranch_vccz .LBB216_1965
; %bb.1958:
	v_cvt_f32_f16_e32 v2, v6
	v_mov_b32_e32 v4, 0x80
	s_mov_b32 s2, exec_lo
	s_delay_alu instid0(VALU_DEP_2) | instskip(NEXT) | instid1(VALU_DEP_1)
	v_and_b32_e32 v3, 0x7fffffff, v2
	v_cmpx_gt_u32_e32 0x47800000, v3
	s_cbranch_execz .LBB216_1964
; %bb.1959:
	v_cmp_lt_u32_e32 vcc_lo, 0x37ffffff, v3
	s_mov_b32 s3, 0
                                        ; implicit-def: $vgpr3
	s_and_saveexec_b32 s4, vcc_lo
	s_delay_alu instid0(SALU_CYCLE_1)
	s_xor_b32 s4, exec_lo, s4
	s_cbranch_execz .LBB216_2074
; %bb.1960:
	v_bfe_u32 v3, v2, 21, 1
	s_mov_b32 s3, exec_lo
	s_delay_alu instid0(VALU_DEP_1) | instskip(NEXT) | instid1(VALU_DEP_1)
	v_add3_u32 v3, v2, v3, 0x88fffff
	v_lshrrev_b32_e32 v3, 21, v3
	s_or_saveexec_b32 s4, s4
                                        ; implicit-def: $sgpr5
	s_delay_alu instid0(SALU_CYCLE_1)
	s_xor_b32 exec_lo, exec_lo, s4
	s_cbranch_execnz .LBB216_2075
.LBB216_1961:
	s_or_b32 exec_lo, exec_lo, s4
	v_mov_b32_e32 v4, s5
	s_and_saveexec_b32 s4, s3
.LBB216_1962:
	v_lshrrev_b32_e32 v2, 24, v2
	s_delay_alu instid0(VALU_DEP_1)
	v_and_or_b32 v4, 0x80, v2, v3
.LBB216_1963:
	s_or_b32 exec_lo, exec_lo, s4
.LBB216_1964:
	s_delay_alu instid0(SALU_CYCLE_1)
	s_or_b32 exec_lo, exec_lo, s2
	s_mov_b32 s2, 0
	global_store_b8 v[0:1], v4, off
.LBB216_1965:
	s_and_b32 vcc_lo, exec_lo, s2
	s_cbranch_vccz .LBB216_1975
; %bb.1966:
	v_cvt_f32_f16_e32 v2, v6
	s_mov_b32 s2, exec_lo
                                        ; implicit-def: $vgpr3
	s_delay_alu instid0(VALU_DEP_1) | instskip(NEXT) | instid1(VALU_DEP_1)
	v_and_b32_e32 v4, 0x7fffffff, v2
	v_cmpx_gt_u32_e32 0x43f00000, v4
	s_xor_b32 s2, exec_lo, s2
	s_cbranch_execz .LBB216_1972
; %bb.1967:
	s_mov_b32 s3, exec_lo
                                        ; implicit-def: $vgpr3
	v_cmpx_lt_u32_e32 0x3c7fffff, v4
	s_xor_b32 s3, exec_lo, s3
; %bb.1968:
	v_bfe_u32 v3, v2, 20, 1
	s_delay_alu instid0(VALU_DEP_1) | instskip(NEXT) | instid1(VALU_DEP_1)
	v_add3_u32 v3, v2, v3, 0x407ffff
	v_and_b32_e32 v4, 0xff00000, v3
	v_lshrrev_b32_e32 v3, 20, v3
	s_delay_alu instid0(VALU_DEP_2) | instskip(NEXT) | instid1(VALU_DEP_2)
	v_cmp_ne_u32_e32 vcc_lo, 0x7f00000, v4
	v_cndmask_b32_e32 v3, 0x7e, v3, vcc_lo
; %bb.1969:
	s_and_not1_saveexec_b32 s3, s3
; %bb.1970:
	v_add_f32_e64 v3, 0x46800000, |v2|
; %bb.1971:
	s_or_b32 exec_lo, exec_lo, s3
                                        ; implicit-def: $vgpr4
.LBB216_1972:
	s_and_not1_saveexec_b32 s2, s2
; %bb.1973:
	v_mov_b32_e32 v3, 0x7f
	v_cmp_lt_u32_e32 vcc_lo, 0x7f800000, v4
	s_delay_alu instid0(VALU_DEP_2)
	v_cndmask_b32_e32 v3, 0x7e, v3, vcc_lo
; %bb.1974:
	s_or_b32 exec_lo, exec_lo, s2
	v_lshrrev_b32_e32 v2, 24, v2
	s_delay_alu instid0(VALU_DEP_1)
	v_and_or_b32 v2, 0x80, v2, v3
	global_store_b8 v[0:1], v2, off
.LBB216_1975:
	s_mov_b32 s2, 0
.LBB216_1976:
	s_delay_alu instid0(SALU_CYCLE_1)
	s_and_not1_b32 vcc_lo, exec_lo, s2
	s_cbranch_vccnz .LBB216_1986
; %bb.1977:
	v_cvt_f32_f16_e32 v2, v6
	s_mov_b32 s2, exec_lo
                                        ; implicit-def: $vgpr3
	s_delay_alu instid0(VALU_DEP_1) | instskip(NEXT) | instid1(VALU_DEP_1)
	v_and_b32_e32 v4, 0x7fffffff, v2
	v_cmpx_gt_u32_e32 0x47800000, v4
	s_xor_b32 s2, exec_lo, s2
	s_cbranch_execz .LBB216_1983
; %bb.1978:
	s_mov_b32 s3, exec_lo
                                        ; implicit-def: $vgpr3
	v_cmpx_lt_u32_e32 0x387fffff, v4
	s_xor_b32 s3, exec_lo, s3
; %bb.1979:
	v_bfe_u32 v3, v2, 21, 1
	s_delay_alu instid0(VALU_DEP_1) | instskip(NEXT) | instid1(VALU_DEP_1)
	v_add3_u32 v3, v2, v3, 0x80fffff
	v_lshrrev_b32_e32 v3, 21, v3
; %bb.1980:
	s_and_not1_saveexec_b32 s3, s3
; %bb.1981:
	v_add_f32_e64 v3, 0x43000000, |v2|
; %bb.1982:
	s_or_b32 exec_lo, exec_lo, s3
                                        ; implicit-def: $vgpr4
.LBB216_1983:
	s_and_not1_saveexec_b32 s2, s2
; %bb.1984:
	v_mov_b32_e32 v3, 0x7f
	v_cmp_lt_u32_e32 vcc_lo, 0x7f800000, v4
	s_delay_alu instid0(VALU_DEP_2)
	v_cndmask_b32_e32 v3, 0x7c, v3, vcc_lo
; %bb.1985:
	s_or_b32 exec_lo, exec_lo, s2
	v_lshrrev_b32_e32 v2, 24, v2
	s_delay_alu instid0(VALU_DEP_1)
	v_and_or_b32 v2, 0x80, v2, v3
	global_store_b8 v[0:1], v2, off
.LBB216_1986:
	s_mov_b32 s2, 0
.LBB216_1987:
	s_delay_alu instid0(SALU_CYCLE_1)
	s_and_not1_b32 vcc_lo, exec_lo, s2
	s_mov_b32 s2, 0
	s_cbranch_vccnz .LBB216_1994
; %bb.1988:
	v_cmp_lt_i16_e32 vcc_lo, 14, v5
	s_mov_b32 s2, -1
	s_cbranch_vccz .LBB216_1992
; %bb.1989:
	v_cmp_eq_u16_e32 vcc_lo, 15, v5
	s_mov_b32 s0, -1
	s_cbranch_vccz .LBB216_1991
; %bb.1990:
	v_cvt_f32_f16_e32 v2, v6
	v_cmp_o_f16_e32 vcc_lo, v6, v6
	s_mov_b32 s0, 0
	s_delay_alu instid0(VALU_DEP_2) | instskip(NEXT) | instid1(VALU_DEP_1)
	v_bfe_u32 v3, v2, 16, 1
	v_add3_u32 v2, v2, v3, 0x7fff
	s_delay_alu instid0(VALU_DEP_1) | instskip(NEXT) | instid1(VALU_DEP_1)
	v_lshrrev_b32_e32 v2, 16, v2
	v_cndmask_b32_e32 v2, 0x7fc0, v2, vcc_lo
	global_store_b16 v[0:1], v2, off
.LBB216_1991:
	s_mov_b32 s2, 0
.LBB216_1992:
	s_delay_alu instid0(SALU_CYCLE_1)
	s_and_b32 vcc_lo, exec_lo, s2
	s_mov_b32 s2, 0
	s_cbranch_vccz .LBB216_1994
; %bb.1993:
	v_cmp_ne_u16_e64 s0, 11, v5
	s_mov_b32 s2, -1
.LBB216_1994:
	s_delay_alu instid0(VALU_DEP_1)
	s_and_b32 vcc_lo, exec_lo, s0
	s_cbranch_vccnz .LBB216_2072
.LBB216_1995:
	s_mov_b32 s0, 0
	s_branch .LBB216_1997
.LBB216_1996:
	s_mov_b32 s0, 0
	s_mov_b32 s2, 0
                                        ; implicit-def: $vgpr5
                                        ; implicit-def: $vgpr0_vgpr1
                                        ; implicit-def: $vgpr6
.LBB216_1997:
	s_and_not1_b32 s3, s9, exec_lo
	s_and_b32 s4, s1, exec_lo
	s_and_b32 s0, s0, exec_lo
	;; [unrolled: 1-line block ×3, first 2 shown]
	s_or_b32 s9, s3, s4
.LBB216_1998:
	s_or_b32 exec_lo, exec_lo, s8
	s_and_saveexec_b32 s2, s9
	s_cbranch_execz .LBB216_2001
; %bb.1999:
	; divergent unreachable
	s_or_b32 exec_lo, exec_lo, s2
	s_and_saveexec_b32 s2, s1
	s_delay_alu instid0(SALU_CYCLE_1)
	s_xor_b32 s1, exec_lo, s2
	s_cbranch_execnz .LBB216_2002
.LBB216_2000:
	s_or_b32 exec_lo, exec_lo, s1
	s_and_saveexec_b32 s1, s0
	s_cbranch_execnz .LBB216_2003
	s_branch .LBB216_2040
.LBB216_2001:
	s_or_b32 exec_lo, exec_lo, s2
	s_and_saveexec_b32 s2, s1
	s_delay_alu instid0(SALU_CYCLE_1)
	s_xor_b32 s1, exec_lo, s2
	s_cbranch_execz .LBB216_2000
.LBB216_2002:
	s_waitcnt vmcnt(0)
	v_cmp_neq_f16_e32 vcc_lo, 0, v6
	v_cndmask_b32_e64 v2, 0, 1, vcc_lo
	global_store_b8 v[0:1], v2, off
	s_or_b32 exec_lo, exec_lo, s1
	s_and_saveexec_b32 s1, s0
	s_cbranch_execz .LBB216_2040
.LBB216_2003:
	s_waitcnt vmcnt(0)
	v_cmp_gt_i16_e32 vcc_lo, 5, v5
	s_mov_b32 s0, -1
	s_cbranch_vccnz .LBB216_2024
; %bb.2004:
	v_cmp_gt_i16_e32 vcc_lo, 8, v5
	s_cbranch_vccnz .LBB216_2014
; %bb.2005:
	v_cmp_gt_i16_e32 vcc_lo, 9, v5
	s_cbranch_vccnz .LBB216_2011
; %bb.2006:
	v_cmp_lt_i16_e32 vcc_lo, 9, v5
	s_cbranch_vccz .LBB216_2008
; %bb.2007:
	v_cvt_f32_f16_e32 v2, v6
	v_mov_b32_e32 v9, 0
	s_mov_b32 s0, 0
	s_delay_alu instid0(VALU_DEP_2) | instskip(NEXT) | instid1(VALU_DEP_2)
	v_cvt_f64_f32_e32 v[7:8], v2
	v_mov_b32_e32 v10, v9
	global_store_b128 v[0:1], v[7:10], off
.LBB216_2008:
	s_and_not1_b32 vcc_lo, exec_lo, s0
	s_cbranch_vccnz .LBB216_2010
; %bb.2009:
	v_cvt_f32_f16_e32 v2, v6
	v_mov_b32_e32 v3, 0
	global_store_b64 v[0:1], v[2:3], off
.LBB216_2010:
	s_mov_b32 s0, 0
.LBB216_2011:
	s_delay_alu instid0(SALU_CYCLE_1)
	s_and_not1_b32 vcc_lo, exec_lo, s0
	s_cbranch_vccnz .LBB216_2013
; %bb.2012:
	v_and_b32_e32 v2, 0xffff, v6
	global_store_b32 v[0:1], v2, off
.LBB216_2013:
	s_mov_b32 s0, 0
.LBB216_2014:
	s_delay_alu instid0(SALU_CYCLE_1)
	s_and_not1_b32 vcc_lo, exec_lo, s0
	s_cbranch_vccnz .LBB216_2023
; %bb.2015:
	v_cmp_gt_i16_e32 vcc_lo, 6, v5
	s_mov_b32 s0, -1
	s_cbranch_vccnz .LBB216_2021
; %bb.2016:
	v_cmp_lt_i16_e32 vcc_lo, 6, v5
	s_cbranch_vccz .LBB216_2018
; %bb.2017:
	v_cvt_f32_f16_e32 v2, v6
	s_mov_b32 s0, 0
	s_delay_alu instid0(VALU_DEP_1)
	v_cvt_f64_f32_e32 v[2:3], v2
	global_store_b64 v[0:1], v[2:3], off
.LBB216_2018:
	s_and_not1_b32 vcc_lo, exec_lo, s0
	s_cbranch_vccnz .LBB216_2020
; %bb.2019:
	v_cvt_f32_f16_e32 v2, v6
	global_store_b32 v[0:1], v2, off
.LBB216_2020:
	s_mov_b32 s0, 0
.LBB216_2021:
	s_delay_alu instid0(SALU_CYCLE_1)
	s_and_not1_b32 vcc_lo, exec_lo, s0
	s_cbranch_vccnz .LBB216_2023
; %bb.2022:
	global_store_b16 v[0:1], v6, off
.LBB216_2023:
	s_mov_b32 s0, 0
.LBB216_2024:
	s_delay_alu instid0(SALU_CYCLE_1)
	s_and_not1_b32 vcc_lo, exec_lo, s0
	s_cbranch_vccnz .LBB216_2040
; %bb.2025:
	v_cmp_gt_i16_e32 vcc_lo, 2, v5
	s_mov_b32 s0, -1
	s_cbranch_vccnz .LBB216_2035
; %bb.2026:
	v_cmp_gt_i16_e32 vcc_lo, 3, v5
	s_cbranch_vccnz .LBB216_2032
; %bb.2027:
	v_cmp_lt_i16_e32 vcc_lo, 3, v5
	s_cbranch_vccz .LBB216_2029
; %bb.2028:
	v_cvt_f32_f16_e32 v2, v6
	s_mov_b32 s0, 0
	s_delay_alu instid0(VALU_DEP_1) | instskip(NEXT) | instid1(VALU_DEP_1)
	v_cvt_i32_f32_e32 v2, v2
	v_ashrrev_i32_e32 v3, 31, v2
	global_store_b64 v[0:1], v[2:3], off
.LBB216_2029:
	s_and_not1_b32 vcc_lo, exec_lo, s0
	s_cbranch_vccnz .LBB216_2031
; %bb.2030:
	v_cvt_f32_f16_e32 v2, v6
	s_delay_alu instid0(VALU_DEP_1)
	v_cvt_i32_f32_e32 v2, v2
	global_store_b32 v[0:1], v2, off
.LBB216_2031:
	s_mov_b32 s0, 0
.LBB216_2032:
	s_delay_alu instid0(SALU_CYCLE_1)
	s_and_not1_b32 vcc_lo, exec_lo, s0
	s_cbranch_vccnz .LBB216_2034
; %bb.2033:
	v_cvt_i16_f16_e32 v2, v6
	global_store_b16 v[0:1], v2, off
.LBB216_2034:
	s_mov_b32 s0, 0
.LBB216_2035:
	s_delay_alu instid0(SALU_CYCLE_1)
	s_and_not1_b32 vcc_lo, exec_lo, s0
	s_cbranch_vccnz .LBB216_2040
; %bb.2036:
	v_cmp_lt_i16_e32 vcc_lo, 0, v5
	s_mov_b32 s0, -1
	s_cbranch_vccz .LBB216_2038
; %bb.2037:
	v_cvt_i16_f16_e32 v2, v6
	s_mov_b32 s0, 0
	global_store_b8 v[0:1], v2, off
.LBB216_2038:
	s_and_not1_b32 vcc_lo, exec_lo, s0
	s_cbranch_vccnz .LBB216_2040
; %bb.2039:
	v_cvt_f32_f16_e32 v2, v6
	s_delay_alu instid0(VALU_DEP_1)
	v_cvt_i32_f32_e32 v2, v2
	global_store_b8 v[0:1], v2, off
	s_nop 0
	s_sendmsg sendmsg(MSG_DEALLOC_VGPRS)
	s_endpgm
.LBB216_2040:
	s_nop 0
	s_sendmsg sendmsg(MSG_DEALLOC_VGPRS)
	s_endpgm
.LBB216_2041:
	s_mov_b32 s2, 0
	s_mov_b32 s0, -1
	s_branch .LBB216_1997
.LBB216_2042:
	s_cbranch_execnz .LBB216_2046
; %bb.2043:
	s_or_b32 s1, s1, exec_lo
                                        ; implicit-def: $vgpr8
	s_cbranch_execz .LBB216_1511
	s_branch .LBB216_1512
.LBB216_2044:
	s_or_saveexec_b32 s10, s10
                                        ; implicit-def: $sgpr11
	s_delay_alu instid0(SALU_CYCLE_1)
	s_xor_b32 exec_lo, exec_lo, s10
	s_cbranch_execz .LBB216_1591
.LBB216_2045:
	v_add_f32_e64 v9, 0x46000000, |v4|
	s_and_not1_b32 s7, s7, exec_lo
	s_mov_b32 s11, 0
	s_delay_alu instid0(VALU_DEP_1) | instskip(NEXT) | instid1(VALU_DEP_1)
	v_and_b32_e32 v9, 0xff, v9
	v_cmp_ne_u32_e32 vcc_lo, 0, v9
	s_and_b32 s12, vcc_lo, exec_lo
	s_delay_alu instid0(SALU_CYCLE_1)
	s_or_b32 s7, s7, s12
	s_or_b32 exec_lo, exec_lo, s10
	v_mov_b32_e32 v10, s11
	s_and_saveexec_b32 s10, s7
	s_cbranch_execnz .LBB216_1592
	s_branch .LBB216_1593
.LBB216_2046:
	s_trap 2
	s_sendmsg_rtn_b32 s0, sendmsg(MSG_RTN_GET_DOORBELL)
	s_mov_b32 ttmp2, m0
	s_waitcnt lgkmcnt(0)
	s_and_b32 s0, s0, 0x3ff
	s_delay_alu instid0(SALU_CYCLE_1) | instskip(NEXT) | instid1(SALU_CYCLE_1)
	s_bitset1_b32 s0, 10
	s_mov_b32 m0, s0
	s_sendmsg sendmsg(MSG_INTERRUPT)
	s_mov_b32 m0, ttmp2
.LBB216_2047:                           ; =>This Inner Loop Header: Depth=1
	s_sethalt 5
	s_branch .LBB216_2047
.LBB216_2048:
	s_cbranch_execnz .LBB216_2054
; %bb.2049:
	s_or_b32 s1, s1, exec_lo
	s_cbranch_execz .LBB216_1639
	s_branch .LBB216_1640
.LBB216_2050:
	s_or_saveexec_b32 s7, s7
                                        ; implicit-def: $sgpr10
	s_delay_alu instid0(SALU_CYCLE_1)
	s_xor_b32 exec_lo, exec_lo, s7
	s_cbranch_execz .LBB216_1604
.LBB216_2051:
	v_add_f32_e64 v9, 0x42800000, |v4|
	s_and_not1_b32 s6, s6, exec_lo
	s_mov_b32 s10, 0
	s_delay_alu instid0(VALU_DEP_1) | instskip(NEXT) | instid1(VALU_DEP_1)
	v_and_b32_e32 v9, 0xff, v9
	v_cmp_ne_u32_e32 vcc_lo, 0, v9
	s_and_b32 s11, vcc_lo, exec_lo
	s_delay_alu instid0(SALU_CYCLE_1)
	s_or_b32 s6, s6, s11
	s_or_b32 exec_lo, exec_lo, s7
	v_mov_b32_e32 v10, s10
	s_and_saveexec_b32 s7, s6
	s_cbranch_execnz .LBB216_1605
	s_branch .LBB216_1606
.LBB216_2052:
	s_or_saveexec_b32 s10, s10
                                        ; implicit-def: $sgpr11
	s_delay_alu instid0(SALU_CYCLE_1)
	s_xor_b32 exec_lo, exec_lo, s10
	s_cbranch_execz .LBB216_1710
.LBB216_2053:
	v_add_f32_e64 v6, 0x46000000, |v4|
	s_and_not1_b32 s7, s7, exec_lo
	s_mov_b32 s11, 0
	s_delay_alu instid0(VALU_DEP_1) | instskip(NEXT) | instid1(VALU_DEP_1)
	v_and_b32_e32 v6, 0xff, v6
	v_cmp_ne_u32_e32 vcc_lo, 0, v6
	s_and_b32 s12, vcc_lo, exec_lo
	s_delay_alu instid0(SALU_CYCLE_1)
	s_or_b32 s7, s7, s12
	s_or_b32 exec_lo, exec_lo, s10
	v_mov_b32_e32 v9, s11
	s_and_saveexec_b32 s10, s7
	s_cbranch_execnz .LBB216_1711
	s_branch .LBB216_1712
.LBB216_2054:
	s_trap 2
	s_sendmsg_rtn_b32 s0, sendmsg(MSG_RTN_GET_DOORBELL)
	s_mov_b32 ttmp2, m0
	s_waitcnt lgkmcnt(0)
	s_and_b32 s0, s0, 0x3ff
	s_delay_alu instid0(SALU_CYCLE_1) | instskip(NEXT) | instid1(SALU_CYCLE_1)
	s_bitset1_b32 s0, 10
	s_mov_b32 m0, s0
	s_sendmsg sendmsg(MSG_INTERRUPT)
	s_mov_b32 m0, ttmp2
.LBB216_2055:                           ; =>This Inner Loop Header: Depth=1
	s_sethalt 5
	s_branch .LBB216_2055
.LBB216_2056:
	s_cbranch_execnz .LBB216_2062
; %bb.2057:
	s_or_b32 s1, s1, exec_lo
	s_cbranch_execz .LBB216_1758
	s_branch .LBB216_1759
.LBB216_2058:
	s_or_saveexec_b32 s7, s7
                                        ; implicit-def: $sgpr10
	s_delay_alu instid0(SALU_CYCLE_1)
	s_xor_b32 exec_lo, exec_lo, s7
	s_cbranch_execz .LBB216_1723
.LBB216_2059:
	v_add_f32_e64 v6, 0x42800000, |v4|
	s_and_not1_b32 s6, s6, exec_lo
	s_mov_b32 s10, 0
	s_delay_alu instid0(VALU_DEP_1) | instskip(NEXT) | instid1(VALU_DEP_1)
	v_and_b32_e32 v6, 0xff, v6
	v_cmp_ne_u32_e32 vcc_lo, 0, v6
	s_and_b32 s11, vcc_lo, exec_lo
	s_delay_alu instid0(SALU_CYCLE_1)
	s_or_b32 s6, s6, s11
	s_or_b32 exec_lo, exec_lo, s7
	v_mov_b32_e32 v9, s10
	s_and_saveexec_b32 s7, s6
	s_cbranch_execnz .LBB216_1724
	s_branch .LBB216_1725
.LBB216_2060:
	s_or_saveexec_b32 s10, s10
                                        ; implicit-def: $sgpr11
	s_delay_alu instid0(SALU_CYCLE_1)
	s_xor_b32 exec_lo, exec_lo, s10
	s_cbranch_execz .LBB216_1829
.LBB216_2061:
	v_add_f32_e64 v6, 0x46000000, |v4|
	s_and_not1_b32 s7, s7, exec_lo
	s_mov_b32 s11, 0
	s_delay_alu instid0(VALU_DEP_1) | instskip(NEXT) | instid1(VALU_DEP_1)
	v_and_b32_e32 v6, 0xff, v6
	v_cmp_ne_u32_e32 vcc_lo, 0, v6
	s_and_b32 s12, vcc_lo, exec_lo
	s_delay_alu instid0(SALU_CYCLE_1)
	s_or_b32 s7, s7, s12
	s_or_b32 exec_lo, exec_lo, s10
	v_mov_b32_e32 v7, s11
	s_and_saveexec_b32 s10, s7
	s_cbranch_execnz .LBB216_1830
	s_branch .LBB216_1831
.LBB216_2062:
	s_trap 2
	s_sendmsg_rtn_b32 s0, sendmsg(MSG_RTN_GET_DOORBELL)
	s_mov_b32 ttmp2, m0
	s_waitcnt lgkmcnt(0)
	s_and_b32 s0, s0, 0x3ff
	s_delay_alu instid0(SALU_CYCLE_1) | instskip(NEXT) | instid1(SALU_CYCLE_1)
	s_bitset1_b32 s0, 10
	s_mov_b32 m0, s0
	s_sendmsg sendmsg(MSG_INTERRUPT)
	s_mov_b32 m0, ttmp2
.LBB216_2063:                           ; =>This Inner Loop Header: Depth=1
	s_sethalt 5
	s_branch .LBB216_2063
.LBB216_2064:
	s_cbranch_execnz .LBB216_2070
; %bb.2065:
	s_or_b32 s1, s1, exec_lo
	s_cbranch_execz .LBB216_1877
	s_branch .LBB216_1878
.LBB216_2066:
	s_or_saveexec_b32 s7, s7
                                        ; implicit-def: $sgpr10
	s_delay_alu instid0(SALU_CYCLE_1)
	s_xor_b32 exec_lo, exec_lo, s7
	s_cbranch_execz .LBB216_1842
.LBB216_2067:
	v_add_f32_e64 v6, 0x42800000, |v4|
	s_and_not1_b32 s6, s6, exec_lo
	s_mov_b32 s10, 0
	s_delay_alu instid0(VALU_DEP_1) | instskip(NEXT) | instid1(VALU_DEP_1)
	v_and_b32_e32 v6, 0xff, v6
	v_cmp_ne_u32_e32 vcc_lo, 0, v6
	s_and_b32 s11, vcc_lo, exec_lo
	s_delay_alu instid0(SALU_CYCLE_1)
	s_or_b32 s6, s6, s11
	s_or_b32 exec_lo, exec_lo, s7
	v_mov_b32_e32 v7, s10
	s_and_saveexec_b32 s7, s6
	s_cbranch_execnz .LBB216_1843
	s_branch .LBB216_1844
.LBB216_2068:
	s_or_saveexec_b32 s5, s5
                                        ; implicit-def: $sgpr6
	s_delay_alu instid0(SALU_CYCLE_1)
	s_xor_b32 exec_lo, exec_lo, s5
	s_cbranch_execz .LBB216_1949
.LBB216_2069:
	v_add_f32_e64 v3, 0x46000000, |v2|
	s_and_not1_b32 s4, s4, exec_lo
	s_mov_b32 s6, 0
	s_delay_alu instid0(VALU_DEP_1) | instskip(NEXT) | instid1(VALU_DEP_1)
	v_and_b32_e32 v3, 0xff, v3
	v_cmp_ne_u32_e32 vcc_lo, 0, v3
	s_and_b32 s7, vcc_lo, exec_lo
	s_delay_alu instid0(SALU_CYCLE_1)
	s_or_b32 s4, s4, s7
	s_or_b32 exec_lo, exec_lo, s5
	v_mov_b32_e32 v4, s6
	s_and_saveexec_b32 s5, s4
	s_cbranch_execnz .LBB216_1950
	s_branch .LBB216_1951
.LBB216_2070:
	s_trap 2
	s_sendmsg_rtn_b32 s0, sendmsg(MSG_RTN_GET_DOORBELL)
	s_mov_b32 ttmp2, m0
	s_waitcnt lgkmcnt(0)
	s_and_b32 s0, s0, 0x3ff
	s_delay_alu instid0(SALU_CYCLE_1) | instskip(NEXT) | instid1(SALU_CYCLE_1)
	s_bitset1_b32 s0, 10
	s_mov_b32 m0, s0
	s_sendmsg sendmsg(MSG_INTERRUPT)
	s_mov_b32 m0, ttmp2
.LBB216_2071:                           ; =>This Inner Loop Header: Depth=1
	s_sethalt 5
	s_branch .LBB216_2071
.LBB216_2072:
	s_cbranch_execnz .LBB216_2076
; %bb.2073:
	s_mov_b32 s2, 0
	s_or_b32 s1, s1, exec_lo
	s_branch .LBB216_1995
.LBB216_2074:
	s_or_saveexec_b32 s4, s4
                                        ; implicit-def: $sgpr5
	s_delay_alu instid0(SALU_CYCLE_1)
	s_xor_b32 exec_lo, exec_lo, s4
	s_cbranch_execz .LBB216_1961
.LBB216_2075:
	v_add_f32_e64 v3, 0x42800000, |v2|
	s_and_not1_b32 s3, s3, exec_lo
	s_mov_b32 s5, 0
	s_delay_alu instid0(VALU_DEP_1) | instskip(NEXT) | instid1(VALU_DEP_1)
	v_and_b32_e32 v3, 0xff, v3
	v_cmp_ne_u32_e32 vcc_lo, 0, v3
	s_and_b32 s6, vcc_lo, exec_lo
	s_delay_alu instid0(SALU_CYCLE_1)
	s_or_b32 s3, s3, s6
	s_or_b32 exec_lo, exec_lo, s4
	v_mov_b32_e32 v4, s5
	s_and_saveexec_b32 s4, s3
	s_cbranch_execnz .LBB216_1962
	s_branch .LBB216_1963
.LBB216_2076:
	s_trap 2
	s_sendmsg_rtn_b32 s0, sendmsg(MSG_RTN_GET_DOORBELL)
	s_mov_b32 ttmp2, m0
	s_waitcnt lgkmcnt(0)
	s_and_b32 s0, s0, 0x3ff
	s_delay_alu instid0(SALU_CYCLE_1) | instskip(NEXT) | instid1(SALU_CYCLE_1)
	s_bitset1_b32 s0, 10
	s_mov_b32 m0, s0
	s_sendmsg sendmsg(MSG_INTERRUPT)
	s_mov_b32 m0, ttmp2
.LBB216_2077:                           ; =>This Inner Loop Header: Depth=1
	s_sethalt 5
	s_branch .LBB216_2077
	.section	.rodata,"a",@progbits
	.p2align	6, 0x0
	.amdhsa_kernel _ZN2at6native32elementwise_kernel_manual_unrollILi128ELi4EZNS0_15gpu_kernel_implIZZZNS0_17rsqrt_kernel_cudaERNS_18TensorIteratorBaseEENKUlvE0_clEvENKUlvE2_clEvEUlN3c104HalfEE_EEvS4_RKT_EUlibE_EEviT1_
		.amdhsa_group_segment_fixed_size 0
		.amdhsa_private_segment_fixed_size 0
		.amdhsa_kernarg_size 40
		.amdhsa_user_sgpr_count 15
		.amdhsa_user_sgpr_dispatch_ptr 0
		.amdhsa_user_sgpr_queue_ptr 0
		.amdhsa_user_sgpr_kernarg_segment_ptr 1
		.amdhsa_user_sgpr_dispatch_id 0
		.amdhsa_user_sgpr_private_segment_size 0
		.amdhsa_wavefront_size32 1
		.amdhsa_uses_dynamic_stack 0
		.amdhsa_enable_private_segment 0
		.amdhsa_system_sgpr_workgroup_id_x 1
		.amdhsa_system_sgpr_workgroup_id_y 0
		.amdhsa_system_sgpr_workgroup_id_z 0
		.amdhsa_system_sgpr_workgroup_info 0
		.amdhsa_system_vgpr_workitem_id 0
		.amdhsa_next_free_vgpr 13
		.amdhsa_next_free_sgpr 24
		.amdhsa_reserve_vcc 1
		.amdhsa_float_round_mode_32 0
		.amdhsa_float_round_mode_16_64 0
		.amdhsa_float_denorm_mode_32 3
		.amdhsa_float_denorm_mode_16_64 3
		.amdhsa_dx10_clamp 1
		.amdhsa_ieee_mode 1
		.amdhsa_fp16_overflow 0
		.amdhsa_workgroup_processor_mode 1
		.amdhsa_memory_ordered 1
		.amdhsa_forward_progress 0
		.amdhsa_shared_vgpr_count 0
		.amdhsa_exception_fp_ieee_invalid_op 0
		.amdhsa_exception_fp_denorm_src 0
		.amdhsa_exception_fp_ieee_div_zero 0
		.amdhsa_exception_fp_ieee_overflow 0
		.amdhsa_exception_fp_ieee_underflow 0
		.amdhsa_exception_fp_ieee_inexact 0
		.amdhsa_exception_int_div_zero 0
	.end_amdhsa_kernel
	.section	.text._ZN2at6native32elementwise_kernel_manual_unrollILi128ELi4EZNS0_15gpu_kernel_implIZZZNS0_17rsqrt_kernel_cudaERNS_18TensorIteratorBaseEENKUlvE0_clEvENKUlvE2_clEvEUlN3c104HalfEE_EEvS4_RKT_EUlibE_EEviT1_,"axG",@progbits,_ZN2at6native32elementwise_kernel_manual_unrollILi128ELi4EZNS0_15gpu_kernel_implIZZZNS0_17rsqrt_kernel_cudaERNS_18TensorIteratorBaseEENKUlvE0_clEvENKUlvE2_clEvEUlN3c104HalfEE_EEvS4_RKT_EUlibE_EEviT1_,comdat
.Lfunc_end216:
	.size	_ZN2at6native32elementwise_kernel_manual_unrollILi128ELi4EZNS0_15gpu_kernel_implIZZZNS0_17rsqrt_kernel_cudaERNS_18TensorIteratorBaseEENKUlvE0_clEvENKUlvE2_clEvEUlN3c104HalfEE_EEvS4_RKT_EUlibE_EEviT1_, .Lfunc_end216-_ZN2at6native32elementwise_kernel_manual_unrollILi128ELi4EZNS0_15gpu_kernel_implIZZZNS0_17rsqrt_kernel_cudaERNS_18TensorIteratorBaseEENKUlvE0_clEvENKUlvE2_clEvEUlN3c104HalfEE_EEvS4_RKT_EUlibE_EEviT1_
                                        ; -- End function
	.section	.AMDGPU.csdata,"",@progbits
; Kernel info:
; codeLenInByte = 36232
; NumSgprs: 26
; NumVgprs: 13
; ScratchSize: 0
; MemoryBound: 0
; FloatMode: 240
; IeeeMode: 1
; LDSByteSize: 0 bytes/workgroup (compile time only)
; SGPRBlocks: 3
; VGPRBlocks: 1
; NumSGPRsForWavesPerEU: 26
; NumVGPRsForWavesPerEU: 13
; Occupancy: 16
; WaveLimiterHint : 0
; COMPUTE_PGM_RSRC2:SCRATCH_EN: 0
; COMPUTE_PGM_RSRC2:USER_SGPR: 15
; COMPUTE_PGM_RSRC2:TRAP_HANDLER: 0
; COMPUTE_PGM_RSRC2:TGID_X_EN: 1
; COMPUTE_PGM_RSRC2:TGID_Y_EN: 0
; COMPUTE_PGM_RSRC2:TGID_Z_EN: 0
; COMPUTE_PGM_RSRC2:TIDIG_COMP_CNT: 0
	.section	.text._ZN2at6native32elementwise_kernel_manual_unrollILi128ELi4EZNS0_15gpu_kernel_implIZZZNS0_17rsqrt_kernel_cudaERNS_18TensorIteratorBaseEENKUlvE0_clEvENKUlvE2_clEvEUlN3c104HalfEE_EEvS4_RKT_EUlibE0_EEviT1_,"axG",@progbits,_ZN2at6native32elementwise_kernel_manual_unrollILi128ELi4EZNS0_15gpu_kernel_implIZZZNS0_17rsqrt_kernel_cudaERNS_18TensorIteratorBaseEENKUlvE0_clEvENKUlvE2_clEvEUlN3c104HalfEE_EEvS4_RKT_EUlibE0_EEviT1_,comdat
	.globl	_ZN2at6native32elementwise_kernel_manual_unrollILi128ELi4EZNS0_15gpu_kernel_implIZZZNS0_17rsqrt_kernel_cudaERNS_18TensorIteratorBaseEENKUlvE0_clEvENKUlvE2_clEvEUlN3c104HalfEE_EEvS4_RKT_EUlibE0_EEviT1_ ; -- Begin function _ZN2at6native32elementwise_kernel_manual_unrollILi128ELi4EZNS0_15gpu_kernel_implIZZZNS0_17rsqrt_kernel_cudaERNS_18TensorIteratorBaseEENKUlvE0_clEvENKUlvE2_clEvEUlN3c104HalfEE_EEvS4_RKT_EUlibE0_EEviT1_
	.p2align	8
	.type	_ZN2at6native32elementwise_kernel_manual_unrollILi128ELi4EZNS0_15gpu_kernel_implIZZZNS0_17rsqrt_kernel_cudaERNS_18TensorIteratorBaseEENKUlvE0_clEvENKUlvE2_clEvEUlN3c104HalfEE_EEvS4_RKT_EUlibE0_EEviT1_,@function
_ZN2at6native32elementwise_kernel_manual_unrollILi128ELi4EZNS0_15gpu_kernel_implIZZZNS0_17rsqrt_kernel_cudaERNS_18TensorIteratorBaseEENKUlvE0_clEvENKUlvE2_clEvEUlN3c104HalfEE_EEvS4_RKT_EUlibE0_EEviT1_: ; @_ZN2at6native32elementwise_kernel_manual_unrollILi128ELi4EZNS0_15gpu_kernel_implIZZZNS0_17rsqrt_kernel_cudaERNS_18TensorIteratorBaseEENKUlvE0_clEvENKUlvE2_clEvEUlN3c104HalfEE_EEvS4_RKT_EUlibE0_EEviT1_
; %bb.0:
	s_clause 0x1
	s_load_b32 s24, s[0:1], 0x8
	s_load_b32 s30, s[0:1], 0x0
	v_lshl_or_b32 v5, s15, 9, v0
	s_or_b32 s16, s0, 8
	s_mov_b32 s3, -1
	s_mov_b32 s26, 0
	s_mov_b32 s17, s1
	v_or_b32_e32 v8, 0x180, v5
	s_mov_b32 s8, 0
	s_mov_b32 s2, exec_lo
	s_waitcnt lgkmcnt(0)
	s_add_i32 s25, s24, -1
	s_delay_alu instid0(SALU_CYCLE_1)
	s_cmp_gt_u32 s25, 1
	s_cselect_b32 s27, -1, 0
	v_cmpx_le_i32_e64 s30, v8
	s_xor_b32 s28, exec_lo, s2
	s_cbranch_execz .LBB217_1076
; %bb.1:
	v_mov_b32_e32 v0, 0
	s_clause 0x3
	s_load_b128 s[12:15], s[16:17], 0x4
	s_load_b64 s[18:19], s[16:17], 0x14
	s_load_b128 s[8:11], s[16:17], 0xc4
	s_load_b128 s[4:7], s[16:17], 0x148
	s_cmp_lg_u32 s24, 0
	s_mov_b32 s37, 0
	s_cselect_b32 s33, -1, 0
	global_load_u16 v3, v0, s[16:17] offset:345
	s_add_u32 s20, s16, 0xc4
	s_addc_u32 s21, s17, 0
	s_min_u32 s31, s25, 15
	s_cmp_gt_u32 s24, 1
	s_mov_b32 s35, 0
	s_cselect_b32 s29, -1, 0
	s_mov_b32 s34, 0
	s_mov_b32 s36, exec_lo
	s_waitcnt vmcnt(0)
	v_lshrrev_b16 v4, 8, v3
	v_cmpx_gt_i32_e64 s30, v5
	s_cbranch_execz .LBB217_263
; %bb.2:
	s_and_not1_b32 vcc_lo, exec_lo, s27
	s_cbranch_vccnz .LBB217_7
; %bb.3:
	v_dual_mov_b32 v0, 0 :: v_dual_mov_b32 v1, 0
	s_and_not1_b32 vcc_lo, exec_lo, s33
	s_cbranch_vccnz .LBB217_12
; %bb.4:
	v_mov_b32_e32 v0, 0
	s_add_i32 s38, s31, 1
	s_cmp_eq_u32 s25, 2
	s_cbranch_scc1 .LBB217_8
; %bb.5:
	v_dual_mov_b32 v1, 0 :: v_dual_mov_b32 v0, 0
	v_mov_b32_e32 v2, v5
	s_and_b32 s35, s38, 28
	s_mov_b32 s39, 0
	s_mov_b64 s[2:3], s[20:21]
	s_mov_b64 s[22:23], s[16:17]
.LBB217_6:                              ; =>This Inner Loop Header: Depth=1
	s_clause 0x1
	s_load_b256 s[40:47], s[22:23], 0x4
	s_load_b128 s[56:59], s[22:23], 0x24
	s_load_b256 s[48:55], s[2:3], 0x0
	s_add_u32 s22, s22, 48
	s_addc_u32 s23, s23, 0
	s_add_i32 s39, s39, 4
	s_add_u32 s2, s2, 32
	s_addc_u32 s3, s3, 0
	s_cmp_lg_u32 s35, s39
	s_waitcnt lgkmcnt(0)
	v_mul_hi_u32 v6, s41, v2
	s_delay_alu instid0(VALU_DEP_1) | instskip(NEXT) | instid1(VALU_DEP_1)
	v_add_nc_u32_e32 v6, v2, v6
	v_lshrrev_b32_e32 v6, s42, v6
	s_delay_alu instid0(VALU_DEP_1) | instskip(SKIP_1) | instid1(VALU_DEP_2)
	v_mul_hi_u32 v7, s44, v6
	v_mul_lo_u32 v9, v6, s40
	v_add_nc_u32_e32 v7, v6, v7
	s_delay_alu instid0(VALU_DEP_2) | instskip(NEXT) | instid1(VALU_DEP_2)
	v_sub_nc_u32_e32 v2, v2, v9
	v_lshrrev_b32_e32 v7, s45, v7
	s_delay_alu instid0(VALU_DEP_2) | instskip(SKIP_1) | instid1(VALU_DEP_3)
	v_mul_lo_u32 v9, v2, s48
	v_mul_lo_u32 v11, v2, s49
	v_mul_hi_u32 v8, s47, v7
	s_delay_alu instid0(VALU_DEP_1) | instskip(NEXT) | instid1(VALU_DEP_1)
	v_add_nc_u32_e32 v8, v7, v8
	v_lshrrev_b32_e32 v8, s56, v8
	s_delay_alu instid0(VALU_DEP_1) | instskip(SKIP_1) | instid1(VALU_DEP_2)
	v_mul_hi_u32 v10, s58, v8
	v_mul_lo_u32 v12, v8, s46
	v_add_nc_u32_e32 v2, v8, v10
	v_mul_lo_u32 v10, v7, s43
	s_delay_alu instid0(VALU_DEP_3) | instskip(NEXT) | instid1(VALU_DEP_3)
	v_sub_nc_u32_e32 v7, v7, v12
	v_lshrrev_b32_e32 v2, s59, v2
	s_delay_alu instid0(VALU_DEP_2) | instskip(SKIP_2) | instid1(VALU_DEP_4)
	v_mul_lo_u32 v12, v7, s52
	v_mul_lo_u32 v7, v7, s53
	v_sub_nc_u32_e32 v6, v6, v10
	v_mul_lo_u32 v13, v2, s57
	s_delay_alu instid0(VALU_DEP_2) | instskip(SKIP_1) | instid1(VALU_DEP_3)
	v_mul_lo_u32 v10, v6, s50
	v_mul_lo_u32 v6, v6, s51
	v_sub_nc_u32_e32 v8, v8, v13
	s_delay_alu instid0(VALU_DEP_3) | instskip(NEXT) | instid1(VALU_DEP_2)
	v_add3_u32 v0, v9, v0, v10
	v_mul_lo_u32 v13, v8, s54
	v_mul_lo_u32 v8, v8, s55
	v_add3_u32 v1, v11, v1, v6
	s_delay_alu instid0(VALU_DEP_3) | instskip(NEXT) | instid1(VALU_DEP_2)
	v_add3_u32 v0, v12, v0, v13
	v_add3_u32 v1, v7, v1, v8
	s_cbranch_scc1 .LBB217_6
	s_branch .LBB217_9
.LBB217_7:
	s_mov_b32 s34, -1
                                        ; implicit-def: $vgpr0
                                        ; implicit-def: $vgpr1
	s_branch .LBB217_12
.LBB217_8:
	v_dual_mov_b32 v2, v5 :: v_dual_mov_b32 v1, 0
.LBB217_9:
	s_and_b32 s38, s38, 3
	s_delay_alu instid0(SALU_CYCLE_1)
	s_cmp_eq_u32 s38, 0
	s_cbranch_scc1 .LBB217_12
; %bb.10:
	s_lshl_b32 s2, s35, 3
	s_mul_i32 s22, s35, 12
	s_add_u32 s2, s2, s16
	s_addc_u32 s3, s17, 0
	s_add_u32 s2, s2, 0xc4
	s_addc_u32 s3, s3, 0
	;; [unrolled: 2-line block ×3, first 2 shown]
	.p2align	6
.LBB217_11:                             ; =>This Inner Loop Header: Depth=1
	s_clause 0x1
	s_load_b64 s[40:41], s[22:23], 0x4
	s_load_b32 s35, s[22:23], 0xc
	s_load_b64 s[42:43], s[2:3], 0x0
	s_add_u32 s22, s22, 12
	s_addc_u32 s23, s23, 0
	s_add_u32 s2, s2, 8
	s_addc_u32 s3, s3, 0
	s_add_i32 s38, s38, -1
	s_delay_alu instid0(SALU_CYCLE_1) | instskip(SKIP_2) | instid1(VALU_DEP_1)
	s_cmp_lg_u32 s38, 0
	s_waitcnt lgkmcnt(0)
	v_mul_hi_u32 v6, s41, v2
	v_add_nc_u32_e32 v6, v2, v6
	s_delay_alu instid0(VALU_DEP_1) | instskip(NEXT) | instid1(VALU_DEP_1)
	v_lshrrev_b32_e32 v9, s35, v6
	v_mul_lo_u32 v6, v9, s40
	s_delay_alu instid0(VALU_DEP_1) | instskip(NEXT) | instid1(VALU_DEP_1)
	v_sub_nc_u32_e32 v2, v2, v6
	v_mad_u64_u32 v[6:7], null, v2, s42, v[0:1]
	v_mad_u64_u32 v[7:8], null, v2, s43, v[1:2]
	v_mov_b32_e32 v2, v9
	s_delay_alu instid0(VALU_DEP_2)
	v_dual_mov_b32 v0, v6 :: v_dual_mov_b32 v1, v7
	s_cbranch_scc1 .LBB217_11
.LBB217_12:
	s_and_not1_b32 vcc_lo, exec_lo, s34
	s_cbranch_vccnz .LBB217_15
; %bb.13:
	s_waitcnt lgkmcnt(0)
	v_mul_hi_u32 v0, s13, v5
	s_and_not1_b32 vcc_lo, exec_lo, s29
	s_delay_alu instid0(VALU_DEP_1) | instskip(NEXT) | instid1(VALU_DEP_1)
	v_add_nc_u32_e32 v0, v5, v0
	v_lshrrev_b32_e32 v2, s14, v0
	s_delay_alu instid0(VALU_DEP_1) | instskip(NEXT) | instid1(VALU_DEP_1)
	v_mul_lo_u32 v0, v2, s12
	v_sub_nc_u32_e32 v1, v5, v0
	s_delay_alu instid0(VALU_DEP_1)
	v_mul_lo_u32 v0, v1, s8
	v_mul_lo_u32 v1, v1, s9
	s_cbranch_vccnz .LBB217_15
; %bb.14:
	v_mul_hi_u32 v6, s18, v2
	s_delay_alu instid0(VALU_DEP_1) | instskip(NEXT) | instid1(VALU_DEP_1)
	v_add_nc_u32_e32 v6, v2, v6
	v_lshrrev_b32_e32 v6, s19, v6
	s_delay_alu instid0(VALU_DEP_1) | instskip(NEXT) | instid1(VALU_DEP_1)
	v_mul_lo_u32 v6, v6, s15
	v_sub_nc_u32_e32 v2, v2, v6
	s_delay_alu instid0(VALU_DEP_1) | instskip(SKIP_1) | instid1(VALU_DEP_1)
	v_mad_u64_u32 v[6:7], null, v2, s10, v[0:1]
	v_mad_u64_u32 v[7:8], null, v2, s11, v[1:2]
	v_dual_mov_b32 v0, v6 :: v_dual_mov_b32 v1, v7
.LBB217_15:
	v_cmp_gt_i16_e32 vcc_lo, 11, v4
	s_waitcnt lgkmcnt(0)
	s_delay_alu instid0(VALU_DEP_2) | instskip(NEXT) | instid1(VALU_DEP_1)
	v_add_co_u32 v1, s2, s6, v1
	v_add_co_ci_u32_e64 v2, null, s7, 0, s2
	s_mov_b32 s3, 0
	s_cbranch_vccnz .LBB217_22
; %bb.16:
	v_cmp_lt_i16_e32 vcc_lo, 25, v4
	s_cbranch_vccz .LBB217_141
; %bb.17:
	v_cmp_lt_i16_e32 vcc_lo, 28, v4
	s_cbranch_vccz .LBB217_142
	;; [unrolled: 3-line block ×4, first 2 shown]
; %bb.20:
	v_cmp_eq_u16_e32 vcc_lo, 46, v4
	s_mov_b32 s22, 0
	s_cbranch_vccz .LBB217_145
; %bb.21:
	global_load_b32 v6, v[1:2], off
	s_mov_b32 s2, -1
	s_waitcnt vmcnt(0)
	v_lshlrev_b32_e32 v6, 16, v6
	s_delay_alu instid0(VALU_DEP_1)
	v_cvt_f16_f32_e32 v6, v6
	s_branch .LBB217_147
.LBB217_22:
	s_mov_b32 s2, 0
                                        ; implicit-def: $vgpr6
	s_cbranch_execnz .LBB217_213
.LBB217_23:
	s_and_not1_b32 vcc_lo, exec_lo, s2
	s_cbranch_vccnz .LBB217_260
.LBB217_24:
	s_waitcnt vmcnt(0)
	s_delay_alu instid0(VALU_DEP_1) | instskip(SKIP_3) | instid1(VALU_DEP_2)
	v_cvt_f32_f16_e32 v1, v6
	v_add_co_u32 v0, s22, s4, v0
	s_mov_b32 s2, 0
	s_mov_b32 s23, -1
	v_cvt_f64_f32_e32 v[1:2], v1
	s_delay_alu instid0(VALU_DEP_1) | instskip(SKIP_3) | instid1(VALU_DEP_2)
	v_rsq_f64_e32 v[6:7], v[1:2]
	s_waitcnt_depctr 0xfff
	v_mul_f64 v[1:2], v[6:7], -v[1:2]
	v_cmp_class_f64_e64 vcc_lo, v[6:7], 0x180
	v_fma_f64 v[1:2], v[1:2], v[6:7], 1.0
	s_delay_alu instid0(VALU_DEP_1) | instskip(SKIP_1) | instid1(VALU_DEP_1)
	v_mul_f64 v[8:9], v[6:7], v[1:2]
	v_fma_f64 v[1:2], 0x3fd80000, v[1:2], 0.5
	v_fma_f64 v[1:2], v[8:9], v[1:2], v[6:7]
	s_delay_alu instid0(VALU_DEP_1) | instskip(SKIP_1) | instid1(VALU_DEP_2)
	v_dual_cndmask_b32 v2, v7, v2 :: v_dual_cndmask_b32 v1, v6, v1
	v_and_b32_e32 v6, 0xff, v3
	v_cvt_f32_f64_e32 v2, v[1:2]
	s_delay_alu instid0(VALU_DEP_2) | instskip(SKIP_2) | instid1(VALU_DEP_3)
	v_cmp_gt_i16_e32 vcc_lo, 11, v6
	v_add_co_ci_u32_e64 v1, null, s5, 0, s22
	s_mov_b32 s22, 0
	v_cvt_f16_f32_e32 v2, v2
	s_cbranch_vccnz .LBB217_101
; %bb.25:
	v_cmp_lt_i16_e32 vcc_lo, 25, v6
	s_cbranch_vccz .LBB217_58
; %bb.26:
	v_cmp_lt_i16_e32 vcc_lo, 28, v6
	s_cbranch_vccz .LBB217_41
	;; [unrolled: 3-line block ×4, first 2 shown]
; %bb.29:
	v_cmp_eq_u16_e32 vcc_lo, 46, v6
	s_mov_b32 s23, 0
	s_mov_b32 s2, -1
	s_cbranch_vccz .LBB217_31
; %bb.30:
	v_cvt_f32_f16_e32 v7, v2
	v_cmp_o_f16_e32 vcc_lo, v2, v2
	s_mov_b32 s22, -1
	s_mov_b32 s2, 0
	s_delay_alu instid0(VALU_DEP_2) | instskip(NEXT) | instid1(VALU_DEP_1)
	v_bfe_u32 v8, v7, 16, 1
	v_add3_u32 v7, v7, v8, 0x7fff
	s_delay_alu instid0(VALU_DEP_1) | instskip(NEXT) | instid1(VALU_DEP_1)
	v_lshrrev_b32_e32 v7, 16, v7
	v_cndmask_b32_e32 v7, 0x7fc0, v7, vcc_lo
	global_store_b32 v[0:1], v7, off
.LBB217_31:
	s_and_b32 vcc_lo, exec_lo, s23
	s_cbranch_vccz .LBB217_36
; %bb.32:
	v_cmp_eq_u16_e32 vcc_lo, 44, v6
	s_mov_b32 s2, -1
	s_cbranch_vccz .LBB217_36
; %bb.33:
	v_cvt_f32_f16_e32 v7, v2
	v_mov_b32_e32 v8, 0xff
	s_mov_b32 s22, exec_lo
	s_delay_alu instid0(VALU_DEP_2) | instskip(NEXT) | instid1(VALU_DEP_1)
	v_bfe_u32 v9, v7, 23, 8
	v_cmpx_ne_u32_e32 0xff, v9
; %bb.34:
	v_and_b32_e32 v8, 0x400000, v7
	v_and_or_b32 v9, 0x3fffff, v7, v9
	v_lshrrev_b32_e32 v7, 23, v7
	s_delay_alu instid0(VALU_DEP_3) | instskip(NEXT) | instid1(VALU_DEP_3)
	v_cmp_ne_u32_e32 vcc_lo, 0, v8
	v_cmp_ne_u32_e64 s2, 0, v9
	s_delay_alu instid0(VALU_DEP_1) | instskip(NEXT) | instid1(SALU_CYCLE_1)
	s_and_b32 s2, vcc_lo, s2
	v_cndmask_b32_e64 v8, 0, 1, s2
	s_delay_alu instid0(VALU_DEP_1)
	v_add_nc_u32_e32 v8, v7, v8
; %bb.35:
	s_or_b32 exec_lo, exec_lo, s22
	s_mov_b32 s22, -1
	s_mov_b32 s2, 0
	global_store_b8 v[0:1], v8, off
.LBB217_36:
	s_mov_b32 s23, 0
.LBB217_37:
	s_delay_alu instid0(SALU_CYCLE_1)
	s_and_b32 vcc_lo, exec_lo, s23
	s_cbranch_vccz .LBB217_40
; %bb.38:
	v_cmp_eq_u16_e32 vcc_lo, 29, v6
	s_mov_b32 s2, -1
	s_cbranch_vccz .LBB217_40
; %bb.39:
	v_cvt_f32_f16_e32 v7, v2
	v_mov_b32_e32 v8, 0
	s_mov_b32 s2, 0
	s_mov_b32 s22, -1
	s_delay_alu instid0(VALU_DEP_2)
	v_cvt_u32_f32_e32 v7, v7
	global_store_b64 v[0:1], v[7:8], off
.LBB217_40:
	s_mov_b32 s23, 0
.LBB217_41:
	s_delay_alu instid0(SALU_CYCLE_1)
	s_and_b32 vcc_lo, exec_lo, s23
	s_cbranch_vccz .LBB217_57
; %bb.42:
	v_cmp_gt_i16_e32 vcc_lo, 27, v6
	s_mov_b32 s22, -1
	s_cbranch_vccnz .LBB217_48
; %bb.43:
	v_cmp_lt_i16_e32 vcc_lo, 27, v6
	s_cbranch_vccz .LBB217_45
; %bb.44:
	v_cvt_f32_f16_e32 v7, v2
	s_mov_b32 s22, 0
	s_delay_alu instid0(VALU_DEP_1)
	v_cvt_u32_f32_e32 v7, v7
	global_store_b32 v[0:1], v7, off
.LBB217_45:
	s_and_not1_b32 vcc_lo, exec_lo, s22
	s_cbranch_vccnz .LBB217_47
; %bb.46:
	v_cvt_u16_f16_e32 v7, v2
	global_store_b16 v[0:1], v7, off
.LBB217_47:
	s_mov_b32 s22, 0
.LBB217_48:
	s_delay_alu instid0(SALU_CYCLE_1)
	s_and_not1_b32 vcc_lo, exec_lo, s22
	s_cbranch_vccnz .LBB217_56
; %bb.49:
	v_cvt_f32_f16_e32 v7, v2
	v_mov_b32_e32 v9, 0x80
	s_mov_b32 s22, exec_lo
	s_delay_alu instid0(VALU_DEP_2) | instskip(NEXT) | instid1(VALU_DEP_1)
	v_and_b32_e32 v8, 0x7fffffff, v7
	v_cmpx_gt_u32_e32 0x43800000, v8
	s_cbranch_execz .LBB217_55
; %bb.50:
	v_cmp_lt_u32_e32 vcc_lo, 0x3bffffff, v8
	s_mov_b32 s23, 0
                                        ; implicit-def: $vgpr8
	s_and_saveexec_b32 s34, vcc_lo
	s_delay_alu instid0(SALU_CYCLE_1)
	s_xor_b32 s34, exec_lo, s34
	s_cbranch_execz .LBB217_150
; %bb.51:
	v_bfe_u32 v8, v7, 20, 1
	s_mov_b32 s23, exec_lo
	s_delay_alu instid0(VALU_DEP_1) | instskip(NEXT) | instid1(VALU_DEP_1)
	v_add3_u32 v8, v7, v8, 0x487ffff
	v_lshrrev_b32_e32 v8, 20, v8
	s_or_saveexec_b32 s34, s34
                                        ; implicit-def: $sgpr35
	s_delay_alu instid0(SALU_CYCLE_1)
	s_xor_b32 exec_lo, exec_lo, s34
	s_cbranch_execnz .LBB217_151
.LBB217_52:
	s_or_b32 exec_lo, exec_lo, s34
	v_mov_b32_e32 v9, s35
	s_and_saveexec_b32 s34, s23
.LBB217_53:
	v_lshrrev_b32_e32 v7, 24, v7
	s_delay_alu instid0(VALU_DEP_1)
	v_and_or_b32 v9, 0x80, v7, v8
.LBB217_54:
	s_or_b32 exec_lo, exec_lo, s34
.LBB217_55:
	s_delay_alu instid0(SALU_CYCLE_1)
	s_or_b32 exec_lo, exec_lo, s22
	global_store_b8 v[0:1], v9, off
.LBB217_56:
	s_mov_b32 s22, -1
.LBB217_57:
	s_mov_b32 s23, 0
.LBB217_58:
	s_delay_alu instid0(SALU_CYCLE_1)
	s_and_b32 vcc_lo, exec_lo, s23
	s_cbranch_vccz .LBB217_99
; %bb.59:
	v_cmp_lt_i16_e32 vcc_lo, 22, v6
	s_mov_b32 s23, -1
	s_cbranch_vccz .LBB217_91
; %bb.60:
	v_cmp_gt_i16_e32 vcc_lo, 24, v6
	s_mov_b32 s22, -1
	s_cbranch_vccnz .LBB217_80
; %bb.61:
	v_cmp_lt_i16_e32 vcc_lo, 24, v6
	s_cbranch_vccz .LBB217_69
; %bb.62:
	v_cvt_f32_f16_e32 v7, v2
	v_mov_b32_e32 v9, 0x80
	s_mov_b32 s22, exec_lo
	s_delay_alu instid0(VALU_DEP_2) | instskip(NEXT) | instid1(VALU_DEP_1)
	v_and_b32_e32 v8, 0x7fffffff, v7
	v_cmpx_gt_u32_e32 0x47800000, v8
	s_cbranch_execz .LBB217_68
; %bb.63:
	v_cmp_lt_u32_e32 vcc_lo, 0x37ffffff, v8
	s_mov_b32 s23, 0
                                        ; implicit-def: $vgpr8
	s_and_saveexec_b32 s34, vcc_lo
	s_delay_alu instid0(SALU_CYCLE_1)
	s_xor_b32 s34, exec_lo, s34
	s_cbranch_execz .LBB217_341
; %bb.64:
	v_bfe_u32 v8, v7, 21, 1
	s_mov_b32 s23, exec_lo
	s_delay_alu instid0(VALU_DEP_1) | instskip(NEXT) | instid1(VALU_DEP_1)
	v_add3_u32 v8, v7, v8, 0x88fffff
	v_lshrrev_b32_e32 v8, 21, v8
	s_or_saveexec_b32 s34, s34
                                        ; implicit-def: $sgpr35
	s_delay_alu instid0(SALU_CYCLE_1)
	s_xor_b32 exec_lo, exec_lo, s34
	s_cbranch_execnz .LBB217_342
.LBB217_65:
	s_or_b32 exec_lo, exec_lo, s34
	v_mov_b32_e32 v9, s35
	s_and_saveexec_b32 s34, s23
.LBB217_66:
	v_lshrrev_b32_e32 v7, 24, v7
	s_delay_alu instid0(VALU_DEP_1)
	v_and_or_b32 v9, 0x80, v7, v8
.LBB217_67:
	s_or_b32 exec_lo, exec_lo, s34
.LBB217_68:
	s_delay_alu instid0(SALU_CYCLE_1)
	s_or_b32 exec_lo, exec_lo, s22
	s_mov_b32 s22, 0
	global_store_b8 v[0:1], v9, off
.LBB217_69:
	s_and_b32 vcc_lo, exec_lo, s22
	s_cbranch_vccz .LBB217_79
; %bb.70:
	v_cvt_f32_f16_e32 v7, v2
	s_mov_b32 s22, exec_lo
                                        ; implicit-def: $vgpr8
	s_delay_alu instid0(VALU_DEP_1) | instskip(NEXT) | instid1(VALU_DEP_1)
	v_and_b32_e32 v9, 0x7fffffff, v7
	v_cmpx_gt_u32_e32 0x43f00000, v9
	s_xor_b32 s22, exec_lo, s22
	s_cbranch_execz .LBB217_76
; %bb.71:
	s_mov_b32 s23, exec_lo
                                        ; implicit-def: $vgpr8
	v_cmpx_lt_u32_e32 0x3c7fffff, v9
	s_xor_b32 s23, exec_lo, s23
; %bb.72:
	v_bfe_u32 v8, v7, 20, 1
	s_delay_alu instid0(VALU_DEP_1) | instskip(NEXT) | instid1(VALU_DEP_1)
	v_add3_u32 v8, v7, v8, 0x407ffff
	v_and_b32_e32 v9, 0xff00000, v8
	v_lshrrev_b32_e32 v8, 20, v8
	s_delay_alu instid0(VALU_DEP_2) | instskip(NEXT) | instid1(VALU_DEP_2)
	v_cmp_ne_u32_e32 vcc_lo, 0x7f00000, v9
	v_cndmask_b32_e32 v8, 0x7e, v8, vcc_lo
; %bb.73:
	s_and_not1_saveexec_b32 s23, s23
; %bb.74:
	v_add_f32_e64 v8, 0x46800000, |v7|
; %bb.75:
	s_or_b32 exec_lo, exec_lo, s23
                                        ; implicit-def: $vgpr9
.LBB217_76:
	s_and_not1_saveexec_b32 s22, s22
; %bb.77:
	v_mov_b32_e32 v8, 0x7f
	v_cmp_lt_u32_e32 vcc_lo, 0x7f800000, v9
	s_delay_alu instid0(VALU_DEP_2)
	v_cndmask_b32_e32 v8, 0x7e, v8, vcc_lo
; %bb.78:
	s_or_b32 exec_lo, exec_lo, s22
	v_lshrrev_b32_e32 v7, 24, v7
	s_delay_alu instid0(VALU_DEP_1)
	v_and_or_b32 v7, 0x80, v7, v8
	global_store_b8 v[0:1], v7, off
.LBB217_79:
	s_mov_b32 s22, 0
.LBB217_80:
	s_delay_alu instid0(SALU_CYCLE_1)
	s_and_not1_b32 vcc_lo, exec_lo, s22
	s_cbranch_vccnz .LBB217_90
; %bb.81:
	v_cvt_f32_f16_e32 v7, v2
	s_mov_b32 s22, exec_lo
                                        ; implicit-def: $vgpr8
	s_delay_alu instid0(VALU_DEP_1) | instskip(NEXT) | instid1(VALU_DEP_1)
	v_and_b32_e32 v9, 0x7fffffff, v7
	v_cmpx_gt_u32_e32 0x47800000, v9
	s_xor_b32 s22, exec_lo, s22
	s_cbranch_execz .LBB217_87
; %bb.82:
	s_mov_b32 s23, exec_lo
                                        ; implicit-def: $vgpr8
	v_cmpx_lt_u32_e32 0x387fffff, v9
	s_xor_b32 s23, exec_lo, s23
; %bb.83:
	v_bfe_u32 v8, v7, 21, 1
	s_delay_alu instid0(VALU_DEP_1) | instskip(NEXT) | instid1(VALU_DEP_1)
	v_add3_u32 v8, v7, v8, 0x80fffff
	v_lshrrev_b32_e32 v8, 21, v8
; %bb.84:
	s_and_not1_saveexec_b32 s23, s23
; %bb.85:
	v_add_f32_e64 v8, 0x43000000, |v7|
; %bb.86:
	s_or_b32 exec_lo, exec_lo, s23
                                        ; implicit-def: $vgpr9
.LBB217_87:
	s_and_not1_saveexec_b32 s22, s22
; %bb.88:
	v_mov_b32_e32 v8, 0x7f
	v_cmp_lt_u32_e32 vcc_lo, 0x7f800000, v9
	s_delay_alu instid0(VALU_DEP_2)
	v_cndmask_b32_e32 v8, 0x7c, v8, vcc_lo
; %bb.89:
	s_or_b32 exec_lo, exec_lo, s22
	v_lshrrev_b32_e32 v7, 24, v7
	s_delay_alu instid0(VALU_DEP_1)
	v_and_or_b32 v7, 0x80, v7, v8
	global_store_b8 v[0:1], v7, off
.LBB217_90:
	s_mov_b32 s23, 0
	s_mov_b32 s22, -1
.LBB217_91:
	s_and_not1_b32 vcc_lo, exec_lo, s23
	s_cbranch_vccnz .LBB217_99
; %bb.92:
	v_cmp_lt_i16_e32 vcc_lo, 14, v6
	s_mov_b32 s23, -1
	s_cbranch_vccz .LBB217_96
; %bb.93:
	v_cmp_eq_u16_e32 vcc_lo, 15, v6
	s_mov_b32 s2, -1
	s_cbranch_vccz .LBB217_95
; %bb.94:
	v_cvt_f32_f16_e32 v7, v2
	v_cmp_o_f16_e32 vcc_lo, v2, v2
	s_mov_b32 s22, -1
	s_mov_b32 s2, 0
	s_delay_alu instid0(VALU_DEP_2) | instskip(NEXT) | instid1(VALU_DEP_1)
	v_bfe_u32 v8, v7, 16, 1
	v_add3_u32 v7, v7, v8, 0x7fff
	s_delay_alu instid0(VALU_DEP_1) | instskip(NEXT) | instid1(VALU_DEP_1)
	v_lshrrev_b32_e32 v7, 16, v7
	v_cndmask_b32_e32 v7, 0x7fc0, v7, vcc_lo
	global_store_b16 v[0:1], v7, off
.LBB217_95:
	s_mov_b32 s23, 0
.LBB217_96:
	s_delay_alu instid0(SALU_CYCLE_1)
	s_and_b32 vcc_lo, exec_lo, s23
	s_cbranch_vccz .LBB217_99
; %bb.97:
	v_cmp_eq_u16_e32 vcc_lo, 11, v6
	s_mov_b32 s2, -1
	s_cbranch_vccz .LBB217_99
; %bb.98:
	v_cmp_neq_f16_e32 vcc_lo, 0, v2
	s_mov_b32 s2, 0
	s_mov_b32 s22, -1
	v_cndmask_b32_e64 v7, 0, 1, vcc_lo
	global_store_b8 v[0:1], v7, off
.LBB217_99:
.LBB217_100:
	s_and_not1_b32 vcc_lo, exec_lo, s22
	s_cbranch_vccz .LBB217_140
	s_branch .LBB217_261
.LBB217_101:
	s_and_b32 vcc_lo, exec_lo, s23
	s_cbranch_vccz .LBB217_100
; %bb.102:
	v_cmp_gt_i16_e32 vcc_lo, 5, v6
	s_mov_b32 s22, -1
	s_cbranch_vccnz .LBB217_123
; %bb.103:
	v_cmp_gt_i16_e32 vcc_lo, 8, v6
	s_cbranch_vccnz .LBB217_113
; %bb.104:
	v_cmp_gt_i16_e32 vcc_lo, 9, v6
	s_cbranch_vccnz .LBB217_110
; %bb.105:
	v_cmp_lt_i16_e32 vcc_lo, 9, v6
	s_cbranch_vccz .LBB217_107
; %bb.106:
	v_cvt_f32_f16_e32 v7, v2
	v_mov_b32_e32 v9, 0
	s_mov_b32 s22, 0
	s_delay_alu instid0(VALU_DEP_2) | instskip(NEXT) | instid1(VALU_DEP_2)
	v_cvt_f64_f32_e32 v[7:8], v7
	v_mov_b32_e32 v10, v9
	global_store_b128 v[0:1], v[7:10], off
.LBB217_107:
	s_and_not1_b32 vcc_lo, exec_lo, s22
	s_cbranch_vccnz .LBB217_109
; %bb.108:
	v_cvt_f32_f16_e32 v7, v2
	v_mov_b32_e32 v8, 0
	global_store_b64 v[0:1], v[7:8], off
.LBB217_109:
	s_mov_b32 s22, 0
.LBB217_110:
	s_delay_alu instid0(SALU_CYCLE_1)
	s_and_not1_b32 vcc_lo, exec_lo, s22
	s_cbranch_vccnz .LBB217_112
; %bb.111:
	v_and_b32_e32 v7, 0xffff, v2
	global_store_b32 v[0:1], v7, off
.LBB217_112:
	s_mov_b32 s22, 0
.LBB217_113:
	s_delay_alu instid0(SALU_CYCLE_1)
	s_and_not1_b32 vcc_lo, exec_lo, s22
	s_cbranch_vccnz .LBB217_122
; %bb.114:
	v_cmp_gt_i16_e32 vcc_lo, 6, v6
	s_mov_b32 s22, -1
	s_cbranch_vccnz .LBB217_120
; %bb.115:
	v_cmp_lt_i16_e32 vcc_lo, 6, v6
	s_cbranch_vccz .LBB217_117
; %bb.116:
	v_cvt_f32_f16_e32 v7, v2
	s_mov_b32 s22, 0
	s_delay_alu instid0(VALU_DEP_1)
	v_cvt_f64_f32_e32 v[7:8], v7
	global_store_b64 v[0:1], v[7:8], off
.LBB217_117:
	s_and_not1_b32 vcc_lo, exec_lo, s22
	s_cbranch_vccnz .LBB217_119
; %bb.118:
	v_cvt_f32_f16_e32 v7, v2
	global_store_b32 v[0:1], v7, off
.LBB217_119:
	s_mov_b32 s22, 0
.LBB217_120:
	s_delay_alu instid0(SALU_CYCLE_1)
	s_and_not1_b32 vcc_lo, exec_lo, s22
	s_cbranch_vccnz .LBB217_122
; %bb.121:
	global_store_b16 v[0:1], v2, off
.LBB217_122:
	s_mov_b32 s22, 0
.LBB217_123:
	s_delay_alu instid0(SALU_CYCLE_1)
	s_and_not1_b32 vcc_lo, exec_lo, s22
	s_cbranch_vccnz .LBB217_139
; %bb.124:
	v_cmp_gt_i16_e32 vcc_lo, 2, v6
	s_mov_b32 s22, -1
	s_cbranch_vccnz .LBB217_134
; %bb.125:
	v_cmp_gt_i16_e32 vcc_lo, 3, v6
	s_cbranch_vccnz .LBB217_131
; %bb.126:
	v_cmp_lt_i16_e32 vcc_lo, 3, v6
	s_cbranch_vccz .LBB217_128
; %bb.127:
	v_cvt_f32_f16_e32 v7, v2
	s_mov_b32 s22, 0
	s_delay_alu instid0(VALU_DEP_1) | instskip(NEXT) | instid1(VALU_DEP_1)
	v_cvt_i32_f32_e32 v7, v7
	v_ashrrev_i32_e32 v8, 31, v7
	global_store_b64 v[0:1], v[7:8], off
.LBB217_128:
	s_and_not1_b32 vcc_lo, exec_lo, s22
	s_cbranch_vccnz .LBB217_130
; %bb.129:
	v_cvt_f32_f16_e32 v7, v2
	s_delay_alu instid0(VALU_DEP_1)
	v_cvt_i32_f32_e32 v7, v7
	global_store_b32 v[0:1], v7, off
.LBB217_130:
	s_mov_b32 s22, 0
.LBB217_131:
	s_delay_alu instid0(SALU_CYCLE_1)
	s_and_not1_b32 vcc_lo, exec_lo, s22
	s_cbranch_vccnz .LBB217_133
; %bb.132:
	v_cvt_i16_f16_e32 v7, v2
	global_store_b16 v[0:1], v7, off
.LBB217_133:
	s_mov_b32 s22, 0
.LBB217_134:
	s_delay_alu instid0(SALU_CYCLE_1)
	s_and_not1_b32 vcc_lo, exec_lo, s22
	s_cbranch_vccnz .LBB217_139
; %bb.135:
	v_cmp_lt_i16_e32 vcc_lo, 0, v6
	s_mov_b32 s22, -1
	s_cbranch_vccz .LBB217_137
; %bb.136:
	v_cvt_i16_f16_e32 v6, v2
	s_mov_b32 s22, 0
	global_store_b8 v[0:1], v6, off
.LBB217_137:
	s_and_not1_b32 vcc_lo, exec_lo, s22
	s_cbranch_vccnz .LBB217_139
; %bb.138:
	v_cvt_f32_f16_e32 v2, v2
	s_delay_alu instid0(VALU_DEP_1)
	v_cvt_i32_f32_e32 v2, v2
	global_store_b8 v[0:1], v2, off
.LBB217_139:
.LBB217_140:
	v_add_nc_u32_e32 v5, 0x80, v5
	s_mov_b32 s22, -1
	s_branch .LBB217_262
.LBB217_141:
	s_mov_b32 s2, 0
                                        ; implicit-def: $vgpr6
	s_cbranch_execnz .LBB217_178
	s_branch .LBB217_212
.LBB217_142:
	s_mov_b32 s22, -1
	s_mov_b32 s2, 0
                                        ; implicit-def: $vgpr6
	s_branch .LBB217_159
.LBB217_143:
	s_mov_b32 s22, -1
	s_mov_b32 s2, 0
                                        ; implicit-def: $vgpr6
	s_branch .LBB217_154
.LBB217_144:
	s_mov_b32 s22, -1
	s_branch .LBB217_146
.LBB217_145:
	s_mov_b32 s3, -1
.LBB217_146:
	s_mov_b32 s2, 0
                                        ; implicit-def: $vgpr6
.LBB217_147:
	s_and_b32 vcc_lo, exec_lo, s22
	s_cbranch_vccz .LBB217_153
; %bb.148:
	v_cmp_eq_u16_e32 vcc_lo, 44, v4
	s_cbranch_vccz .LBB217_152
; %bb.149:
	global_load_u8 v6, v[1:2], off
	s_mov_b32 s3, 0
	s_mov_b32 s2, -1
	s_waitcnt vmcnt(0)
	v_lshlrev_b32_e32 v7, 23, v6
	v_cmp_ne_u32_e32 vcc_lo, 0xff, v6
	s_delay_alu instid0(VALU_DEP_2) | instskip(NEXT) | instid1(VALU_DEP_1)
	v_cvt_f16_f32_e32 v7, v7
	v_cndmask_b32_e32 v7, 0x7e00, v7, vcc_lo
	v_cmp_ne_u32_e32 vcc_lo, 0, v6
	s_delay_alu instid0(VALU_DEP_2)
	v_cndmask_b32_e32 v6, 0, v7, vcc_lo
	s_branch .LBB217_153
.LBB217_150:
	s_or_saveexec_b32 s34, s34
                                        ; implicit-def: $sgpr35
	s_delay_alu instid0(SALU_CYCLE_1)
	s_xor_b32 exec_lo, exec_lo, s34
	s_cbranch_execz .LBB217_52
.LBB217_151:
	v_add_f32_e64 v8, 0x46000000, |v7|
	s_and_not1_b32 s23, s23, exec_lo
	s_mov_b32 s35, 0
	s_delay_alu instid0(VALU_DEP_1) | instskip(NEXT) | instid1(VALU_DEP_1)
	v_and_b32_e32 v8, 0xff, v8
	v_cmp_ne_u32_e32 vcc_lo, 0, v8
	s_and_b32 s38, vcc_lo, exec_lo
	s_delay_alu instid0(SALU_CYCLE_1)
	s_or_b32 s23, s23, s38
	s_or_b32 exec_lo, exec_lo, s34
	v_mov_b32_e32 v9, s35
	s_and_saveexec_b32 s34, s23
	s_cbranch_execnz .LBB217_53
	s_branch .LBB217_54
.LBB217_152:
	s_mov_b32 s3, -1
                                        ; implicit-def: $vgpr6
.LBB217_153:
	s_mov_b32 s22, 0
.LBB217_154:
	s_delay_alu instid0(SALU_CYCLE_1)
	s_and_b32 vcc_lo, exec_lo, s22
	s_cbranch_vccz .LBB217_158
; %bb.155:
	v_cmp_eq_u16_e32 vcc_lo, 29, v4
	s_cbranch_vccz .LBB217_157
; %bb.156:
	global_load_b64 v[6:7], v[1:2], off
	s_mov_b32 s2, -1
	s_mov_b32 s3, 0
	s_mov_b32 s22, 0
	s_waitcnt vmcnt(0)
	v_clz_i32_u32_e32 v8, v7
	s_delay_alu instid0(VALU_DEP_1) | instskip(NEXT) | instid1(VALU_DEP_1)
	v_min_u32_e32 v8, 32, v8
	v_lshlrev_b64 v[6:7], v8, v[6:7]
	s_delay_alu instid0(VALU_DEP_1) | instskip(NEXT) | instid1(VALU_DEP_1)
	v_min_u32_e32 v6, 1, v6
	v_or_b32_e32 v6, v7, v6
	v_sub_nc_u32_e32 v7, 32, v8
	s_delay_alu instid0(VALU_DEP_2) | instskip(NEXT) | instid1(VALU_DEP_1)
	v_cvt_f32_u32_e32 v6, v6
	v_ldexp_f32 v6, v6, v7
	s_delay_alu instid0(VALU_DEP_1)
	v_cvt_f16_f32_e32 v6, v6
	s_branch .LBB217_159
.LBB217_157:
	s_mov_b32 s3, -1
                                        ; implicit-def: $vgpr6
.LBB217_158:
	s_mov_b32 s22, 0
.LBB217_159:
	s_delay_alu instid0(SALU_CYCLE_1)
	s_and_b32 vcc_lo, exec_lo, s22
	s_cbranch_vccz .LBB217_177
; %bb.160:
	v_cmp_gt_i16_e32 vcc_lo, 27, v4
	s_cbranch_vccnz .LBB217_163
; %bb.161:
	v_cmp_lt_i16_e32 vcc_lo, 27, v4
	s_cbranch_vccz .LBB217_164
; %bb.162:
	global_load_b32 v6, v[1:2], off
	s_mov_b32 s2, 0
	s_waitcnt vmcnt(0)
	v_cvt_f32_u32_e32 v6, v6
	s_delay_alu instid0(VALU_DEP_1)
	v_cvt_f16_f32_e32 v6, v6
	s_branch .LBB217_165
.LBB217_163:
	s_mov_b32 s2, -1
                                        ; implicit-def: $vgpr6
	s_branch .LBB217_168
.LBB217_164:
	s_mov_b32 s2, -1
                                        ; implicit-def: $vgpr6
.LBB217_165:
	s_delay_alu instid0(SALU_CYCLE_1)
	s_and_not1_b32 vcc_lo, exec_lo, s2
	s_cbranch_vccnz .LBB217_167
; %bb.166:
	global_load_u16 v6, v[1:2], off
	s_waitcnt vmcnt(0)
	v_cvt_f16_u16_e32 v6, v6
.LBB217_167:
	s_mov_b32 s2, 0
.LBB217_168:
	s_delay_alu instid0(SALU_CYCLE_1)
	s_and_not1_b32 vcc_lo, exec_lo, s2
	s_cbranch_vccnz .LBB217_176
; %bb.169:
	global_load_u8 v7, v[1:2], off
	s_mov_b32 s2, 0
	s_mov_b32 s23, exec_lo
                                        ; implicit-def: $sgpr22
	s_waitcnt vmcnt(0)
	v_cmpx_lt_i16_e32 0x7f, v7
	s_xor_b32 s23, exec_lo, s23
	s_cbranch_execz .LBB217_189
; %bb.170:
	s_mov_b32 s2, -1
	s_mov_b32 s34, exec_lo
                                        ; implicit-def: $sgpr22
	v_cmpx_eq_u16_e32 0x80, v7
; %bb.171:
	s_movk_i32 s22, 0x7e00
	s_xor_b32 s2, exec_lo, -1
; %bb.172:
	s_or_b32 exec_lo, exec_lo, s34
	s_delay_alu instid0(SALU_CYCLE_1)
	s_and_b32 s2, s2, exec_lo
	s_or_saveexec_b32 s23, s23
	v_mov_b32_e32 v6, s22
	s_xor_b32 exec_lo, exec_lo, s23
	s_cbranch_execnz .LBB217_190
.LBB217_173:
	s_or_b32 exec_lo, exec_lo, s23
	s_and_saveexec_b32 s22, s2
	s_cbranch_execz .LBB217_175
.LBB217_174:
	v_and_b32_e32 v6, 0xffff, v7
	s_delay_alu instid0(VALU_DEP_1) | instskip(NEXT) | instid1(VALU_DEP_1)
	v_and_b32_e32 v8, 7, v6
	v_clz_i32_u32_e32 v9, v8
	s_delay_alu instid0(VALU_DEP_1) | instskip(NEXT) | instid1(VALU_DEP_1)
	v_min_u32_e32 v9, 32, v9
	v_subrev_nc_u32_e32 v10, 28, v9
	v_sub_nc_u32_e32 v9, 29, v9
	s_delay_alu instid0(VALU_DEP_2) | instskip(SKIP_1) | instid1(VALU_DEP_2)
	v_lshlrev_b32_e32 v10, v10, v6
	v_bfe_u32 v6, v6, 3, 4
	v_and_b32_e32 v10, 7, v10
	s_delay_alu instid0(VALU_DEP_2) | instskip(SKIP_1) | instid1(VALU_DEP_1)
	v_cmp_eq_u32_e32 vcc_lo, 0, v6
	v_dual_cndmask_b32 v6, v6, v9 :: v_dual_lshlrev_b32 v7, 24, v7
	v_dual_cndmask_b32 v8, v8, v10 :: v_dual_and_b32 v7, 0x80000000, v7
	s_delay_alu instid0(VALU_DEP_2) | instskip(NEXT) | instid1(VALU_DEP_2)
	v_lshl_add_u32 v6, v6, 23, 0x3b800000
	v_lshlrev_b32_e32 v8, 20, v8
	s_delay_alu instid0(VALU_DEP_1) | instskip(NEXT) | instid1(VALU_DEP_1)
	v_or3_b32 v6, v7, v6, v8
	v_cvt_f16_f32_e32 v6, v6
.LBB217_175:
	s_or_b32 exec_lo, exec_lo, s22
.LBB217_176:
	s_mov_b32 s2, -1
.LBB217_177:
	s_branch .LBB217_212
.LBB217_178:
	v_cmp_lt_i16_e32 vcc_lo, 22, v4
	s_cbranch_vccz .LBB217_188
; %bb.179:
	v_cmp_gt_i16_e32 vcc_lo, 24, v4
	s_cbranch_vccnz .LBB217_191
; %bb.180:
	v_cmp_lt_i16_e32 vcc_lo, 24, v4
	s_cbranch_vccz .LBB217_192
; %bb.181:
	global_load_u8 v7, v[1:2], off
	s_mov_b32 s2, 0
	s_mov_b32 s23, exec_lo
                                        ; implicit-def: $sgpr22
	s_waitcnt vmcnt(0)
	v_cmpx_lt_i16_e32 0x7f, v7
	s_xor_b32 s23, exec_lo, s23
	s_cbranch_execz .LBB217_204
; %bb.182:
	s_mov_b32 s2, -1
	s_mov_b32 s34, exec_lo
                                        ; implicit-def: $sgpr22
	v_cmpx_eq_u16_e32 0x80, v7
; %bb.183:
	s_movk_i32 s22, 0x7e00
	s_xor_b32 s2, exec_lo, -1
; %bb.184:
	s_or_b32 exec_lo, exec_lo, s34
	s_delay_alu instid0(SALU_CYCLE_1)
	s_and_b32 s2, s2, exec_lo
	s_or_saveexec_b32 s23, s23
	v_mov_b32_e32 v6, s22
	s_xor_b32 exec_lo, exec_lo, s23
	s_cbranch_execnz .LBB217_205
.LBB217_185:
	s_or_b32 exec_lo, exec_lo, s23
	s_and_saveexec_b32 s22, s2
	s_cbranch_execz .LBB217_187
.LBB217_186:
	v_and_b32_e32 v6, 0xffff, v7
	s_delay_alu instid0(VALU_DEP_1) | instskip(NEXT) | instid1(VALU_DEP_1)
	v_and_b32_e32 v8, 3, v6
	v_clz_i32_u32_e32 v9, v8
	s_delay_alu instid0(VALU_DEP_1) | instskip(NEXT) | instid1(VALU_DEP_1)
	v_min_u32_e32 v9, 32, v9
	v_subrev_nc_u32_e32 v10, 29, v9
	v_sub_nc_u32_e32 v9, 30, v9
	s_delay_alu instid0(VALU_DEP_2) | instskip(SKIP_1) | instid1(VALU_DEP_2)
	v_lshlrev_b32_e32 v10, v10, v6
	v_bfe_u32 v6, v6, 2, 5
	v_and_b32_e32 v10, 3, v10
	s_delay_alu instid0(VALU_DEP_2) | instskip(SKIP_1) | instid1(VALU_DEP_1)
	v_cmp_eq_u32_e32 vcc_lo, 0, v6
	v_dual_cndmask_b32 v6, v6, v9 :: v_dual_lshlrev_b32 v7, 24, v7
	v_dual_cndmask_b32 v8, v8, v10 :: v_dual_and_b32 v7, 0x80000000, v7
	s_delay_alu instid0(VALU_DEP_2) | instskip(NEXT) | instid1(VALU_DEP_2)
	v_lshl_add_u32 v6, v6, 23, 0x37800000
	v_lshlrev_b32_e32 v8, 21, v8
	s_delay_alu instid0(VALU_DEP_1) | instskip(NEXT) | instid1(VALU_DEP_1)
	v_or3_b32 v6, v7, v6, v8
	v_cvt_f16_f32_e32 v6, v6
.LBB217_187:
	s_or_b32 exec_lo, exec_lo, s22
	s_mov_b32 s2, 0
	s_branch .LBB217_193
.LBB217_188:
	s_mov_b32 s22, -1
                                        ; implicit-def: $vgpr6
	s_branch .LBB217_199
.LBB217_189:
	s_or_saveexec_b32 s23, s23
	v_mov_b32_e32 v6, s22
	s_xor_b32 exec_lo, exec_lo, s23
	s_cbranch_execz .LBB217_173
.LBB217_190:
	v_cmp_ne_u16_e32 vcc_lo, 0, v7
	v_mov_b32_e32 v6, v7
	s_and_not1_b32 s2, s2, exec_lo
	s_and_b32 s22, vcc_lo, exec_lo
	s_delay_alu instid0(SALU_CYCLE_1)
	s_or_b32 s2, s2, s22
	s_or_b32 exec_lo, exec_lo, s23
	s_and_saveexec_b32 s22, s2
	s_cbranch_execnz .LBB217_174
	s_branch .LBB217_175
.LBB217_191:
	s_mov_b32 s2, -1
                                        ; implicit-def: $vgpr6
	s_branch .LBB217_196
.LBB217_192:
	s_mov_b32 s2, -1
                                        ; implicit-def: $vgpr6
.LBB217_193:
	s_delay_alu instid0(SALU_CYCLE_1)
	s_and_b32 vcc_lo, exec_lo, s2
	s_cbranch_vccz .LBB217_195
; %bb.194:
	global_load_u8 v6, v[1:2], off
	s_waitcnt vmcnt(0)
	v_lshlrev_b32_e32 v6, 24, v6
	s_delay_alu instid0(VALU_DEP_1) | instskip(NEXT) | instid1(VALU_DEP_1)
	v_and_b32_e32 v7, 0x7f000000, v6
	v_clz_i32_u32_e32 v8, v7
	v_add_nc_u32_e32 v10, 0x1000000, v7
	v_cmp_ne_u32_e32 vcc_lo, 0, v7
	s_delay_alu instid0(VALU_DEP_3) | instskip(NEXT) | instid1(VALU_DEP_1)
	v_min_u32_e32 v8, 32, v8
	v_sub_nc_u32_e64 v8, v8, 4 clamp
	s_delay_alu instid0(VALU_DEP_1) | instskip(SKIP_1) | instid1(VALU_DEP_2)
	v_lshlrev_b32_e32 v9, v8, v7
	v_lshlrev_b32_e32 v8, 23, v8
	v_lshrrev_b32_e32 v9, 4, v9
	s_delay_alu instid0(VALU_DEP_1) | instskip(SKIP_1) | instid1(VALU_DEP_2)
	v_sub_nc_u32_e32 v8, v9, v8
	v_ashrrev_i32_e32 v9, 8, v10
	v_add_nc_u32_e32 v8, 0x3c000000, v8
	s_delay_alu instid0(VALU_DEP_1) | instskip(NEXT) | instid1(VALU_DEP_1)
	v_and_or_b32 v8, 0x7f800000, v9, v8
	v_cndmask_b32_e32 v7, 0, v8, vcc_lo
	s_delay_alu instid0(VALU_DEP_1) | instskip(NEXT) | instid1(VALU_DEP_1)
	v_and_or_b32 v6, 0x80000000, v6, v7
	v_cvt_f16_f32_e32 v6, v6
.LBB217_195:
	s_mov_b32 s2, 0
.LBB217_196:
	s_delay_alu instid0(SALU_CYCLE_1)
	s_and_not1_b32 vcc_lo, exec_lo, s2
	s_cbranch_vccnz .LBB217_198
; %bb.197:
	global_load_u8 v6, v[1:2], off
	s_waitcnt vmcnt(0)
	v_lshlrev_b32_e32 v7, 25, v6
	v_lshlrev_b16 v6, 8, v6
	s_delay_alu instid0(VALU_DEP_2) | instskip(NEXT) | instid1(VALU_DEP_2)
	v_lshrrev_b32_e32 v8, 4, v7
	v_and_or_b32 v9, 0x7f00, v6, 0.5
	v_bfe_i32 v6, v6, 0, 16
	s_delay_alu instid0(VALU_DEP_3) | instskip(NEXT) | instid1(VALU_DEP_1)
	v_or_b32_e32 v8, 0x70000000, v8
	v_dual_add_f32 v9, -0.5, v9 :: v_dual_mul_f32 v8, 0x7800000, v8
	v_cmp_gt_u32_e32 vcc_lo, 0x8000000, v7
	s_delay_alu instid0(VALU_DEP_2) | instskip(NEXT) | instid1(VALU_DEP_1)
	v_cndmask_b32_e32 v7, v8, v9, vcc_lo
	v_and_or_b32 v6, 0x80000000, v6, v7
	s_delay_alu instid0(VALU_DEP_1)
	v_cvt_f16_f32_e32 v6, v6
.LBB217_198:
	s_mov_b32 s22, 0
	s_mov_b32 s2, -1
.LBB217_199:
	s_and_not1_b32 vcc_lo, exec_lo, s22
	s_cbranch_vccnz .LBB217_212
; %bb.200:
	v_cmp_lt_i16_e32 vcc_lo, 14, v4
	s_cbranch_vccz .LBB217_203
; %bb.201:
	v_cmp_eq_u16_e32 vcc_lo, 15, v4
	s_cbranch_vccz .LBB217_206
; %bb.202:
	global_load_u16 v6, v[1:2], off
	s_mov_b32 s2, -1
	s_mov_b32 s3, 0
	s_waitcnt vmcnt(0)
	v_lshlrev_b32_e32 v6, 16, v6
	s_delay_alu instid0(VALU_DEP_1)
	v_cvt_f16_f32_e32 v6, v6
	s_branch .LBB217_207
.LBB217_203:
	s_mov_b32 s22, -1
                                        ; implicit-def: $vgpr6
	s_branch .LBB217_208
.LBB217_204:
	s_or_saveexec_b32 s23, s23
	v_mov_b32_e32 v6, s22
	s_xor_b32 exec_lo, exec_lo, s23
	s_cbranch_execz .LBB217_185
.LBB217_205:
	v_cmp_ne_u16_e32 vcc_lo, 0, v7
	v_mov_b32_e32 v6, v7
	s_and_not1_b32 s2, s2, exec_lo
	s_and_b32 s22, vcc_lo, exec_lo
	s_delay_alu instid0(SALU_CYCLE_1)
	s_or_b32 s2, s2, s22
	s_or_b32 exec_lo, exec_lo, s23
	s_and_saveexec_b32 s22, s2
	s_cbranch_execnz .LBB217_186
	s_branch .LBB217_187
.LBB217_206:
	s_mov_b32 s3, -1
                                        ; implicit-def: $vgpr6
.LBB217_207:
	s_mov_b32 s22, 0
.LBB217_208:
	s_delay_alu instid0(SALU_CYCLE_1)
	s_and_b32 vcc_lo, exec_lo, s22
	s_cbranch_vccz .LBB217_212
; %bb.209:
	v_cmp_eq_u16_e32 vcc_lo, 11, v4
	s_cbranch_vccz .LBB217_211
; %bb.210:
	global_load_u8 v6, v[1:2], off
	s_mov_b32 s3, 0
	s_mov_b32 s2, -1
	s_waitcnt vmcnt(0)
	v_cmp_ne_u16_e32 vcc_lo, 0, v6
	v_cndmask_b32_e64 v6, 0, 0x3c00, vcc_lo
	s_branch .LBB217_212
.LBB217_211:
	s_mov_b32 s3, -1
                                        ; implicit-def: $vgpr6
.LBB217_212:
	s_branch .LBB217_23
.LBB217_213:
	v_cmp_gt_i16_e32 vcc_lo, 5, v4
	s_cbranch_vccnz .LBB217_218
; %bb.214:
	v_cmp_gt_i16_e32 vcc_lo, 8, v4
	s_cbranch_vccnz .LBB217_219
; %bb.215:
	v_cmp_gt_i16_e32 vcc_lo, 9, v4
	s_cbranch_vccnz .LBB217_220
; %bb.216:
	v_cmp_lt_i16_e32 vcc_lo, 9, v4
	s_cbranch_vccz .LBB217_221
; %bb.217:
	global_load_b64 v[6:7], v[1:2], off
	s_mov_b32 s2, 0
	s_waitcnt vmcnt(0)
	v_cvt_f32_f64_e32 v6, v[6:7]
	s_delay_alu instid0(VALU_DEP_1)
	v_cvt_f16_f32_e32 v6, v6
	s_branch .LBB217_222
.LBB217_218:
                                        ; implicit-def: $vgpr6
	s_branch .LBB217_240
.LBB217_219:
	s_mov_b32 s2, -1
                                        ; implicit-def: $vgpr6
	s_branch .LBB217_228
.LBB217_220:
	s_mov_b32 s2, -1
                                        ; implicit-def: $vgpr6
	s_branch .LBB217_225
.LBB217_221:
	s_mov_b32 s2, -1
                                        ; implicit-def: $vgpr6
.LBB217_222:
	s_delay_alu instid0(SALU_CYCLE_1)
	s_and_not1_b32 vcc_lo, exec_lo, s2
	s_cbranch_vccnz .LBB217_224
; %bb.223:
	global_load_b32 v6, v[1:2], off
	s_waitcnt vmcnt(0)
	v_cvt_f16_f32_e32 v6, v6
.LBB217_224:
	s_mov_b32 s2, 0
.LBB217_225:
	s_delay_alu instid0(SALU_CYCLE_1)
	s_and_not1_b32 vcc_lo, exec_lo, s2
	s_cbranch_vccnz .LBB217_227
; %bb.226:
	global_load_b32 v6, v[1:2], off
.LBB217_227:
	s_mov_b32 s2, 0
.LBB217_228:
	s_delay_alu instid0(SALU_CYCLE_1)
	s_and_not1_b32 vcc_lo, exec_lo, s2
	s_cbranch_vccnz .LBB217_239
; %bb.229:
	v_cmp_gt_i16_e32 vcc_lo, 6, v4
	s_cbranch_vccnz .LBB217_232
; %bb.230:
	v_cmp_lt_i16_e32 vcc_lo, 6, v4
	s_cbranch_vccz .LBB217_233
; %bb.231:
	global_load_b64 v[6:7], v[1:2], off
	s_mov_b32 s2, 0
	s_waitcnt vmcnt(0)
	v_cvt_f32_f64_e32 v6, v[6:7]
	s_delay_alu instid0(VALU_DEP_1)
	v_cvt_f16_f32_e32 v6, v6
	s_branch .LBB217_234
.LBB217_232:
	s_mov_b32 s2, -1
                                        ; implicit-def: $vgpr6
	s_branch .LBB217_237
.LBB217_233:
	s_mov_b32 s2, -1
                                        ; implicit-def: $vgpr6
.LBB217_234:
	s_delay_alu instid0(SALU_CYCLE_1)
	s_and_not1_b32 vcc_lo, exec_lo, s2
	s_cbranch_vccnz .LBB217_236
; %bb.235:
	global_load_b32 v6, v[1:2], off
	s_waitcnt vmcnt(0)
	v_cvt_f16_f32_e32 v6, v6
.LBB217_236:
	s_mov_b32 s2, 0
.LBB217_237:
	s_delay_alu instid0(SALU_CYCLE_1)
	s_and_not1_b32 vcc_lo, exec_lo, s2
	s_cbranch_vccnz .LBB217_239
; %bb.238:
	global_load_u16 v6, v[1:2], off
.LBB217_239:
	s_cbranch_execnz .LBB217_259
.LBB217_240:
	v_cmp_gt_i16_e32 vcc_lo, 2, v4
	s_cbranch_vccnz .LBB217_244
; %bb.241:
	v_cmp_gt_i16_e32 vcc_lo, 3, v4
	s_cbranch_vccnz .LBB217_245
; %bb.242:
	v_cmp_lt_i16_e32 vcc_lo, 3, v4
	s_cbranch_vccz .LBB217_246
; %bb.243:
	global_load_b64 v[6:7], v[1:2], off
	s_mov_b32 s2, 0
	s_waitcnt vmcnt(0)
	v_xor_b32_e32 v8, v6, v7
	v_cls_i32_e32 v9, v7
	s_delay_alu instid0(VALU_DEP_2) | instskip(NEXT) | instid1(VALU_DEP_2)
	v_ashrrev_i32_e32 v8, 31, v8
	v_add_nc_u32_e32 v9, -1, v9
	s_delay_alu instid0(VALU_DEP_2) | instskip(NEXT) | instid1(VALU_DEP_1)
	v_add_nc_u32_e32 v8, 32, v8
	v_min_u32_e32 v8, v9, v8
	s_delay_alu instid0(VALU_DEP_1) | instskip(NEXT) | instid1(VALU_DEP_1)
	v_lshlrev_b64 v[6:7], v8, v[6:7]
	v_min_u32_e32 v6, 1, v6
	s_delay_alu instid0(VALU_DEP_1) | instskip(SKIP_1) | instid1(VALU_DEP_2)
	v_or_b32_e32 v6, v7, v6
	v_sub_nc_u32_e32 v7, 32, v8
	v_cvt_f32_i32_e32 v6, v6
	s_delay_alu instid0(VALU_DEP_1) | instskip(NEXT) | instid1(VALU_DEP_1)
	v_ldexp_f32 v6, v6, v7
	v_cvt_f16_f32_e32 v6, v6
	s_branch .LBB217_247
.LBB217_244:
	s_mov_b32 s2, -1
                                        ; implicit-def: $vgpr6
	s_branch .LBB217_253
.LBB217_245:
	s_mov_b32 s2, -1
                                        ; implicit-def: $vgpr6
	s_branch .LBB217_250
.LBB217_246:
	s_mov_b32 s2, -1
                                        ; implicit-def: $vgpr6
.LBB217_247:
	s_delay_alu instid0(SALU_CYCLE_1)
	s_and_not1_b32 vcc_lo, exec_lo, s2
	s_cbranch_vccnz .LBB217_249
; %bb.248:
	global_load_b32 v6, v[1:2], off
	s_waitcnt vmcnt(0)
	v_cvt_f32_i32_e32 v6, v6
	s_delay_alu instid0(VALU_DEP_1)
	v_cvt_f16_f32_e32 v6, v6
.LBB217_249:
	s_mov_b32 s2, 0
.LBB217_250:
	s_delay_alu instid0(SALU_CYCLE_1)
	s_and_not1_b32 vcc_lo, exec_lo, s2
	s_cbranch_vccnz .LBB217_252
; %bb.251:
	global_load_u16 v6, v[1:2], off
	s_waitcnt vmcnt(0)
	v_cvt_f16_i16_e32 v6, v6
.LBB217_252:
	s_mov_b32 s2, 0
.LBB217_253:
	s_delay_alu instid0(SALU_CYCLE_1)
	s_and_not1_b32 vcc_lo, exec_lo, s2
	s_cbranch_vccnz .LBB217_259
; %bb.254:
	v_cmp_lt_i16_e32 vcc_lo, 0, v4
	s_mov_b32 s2, 0
	s_cbranch_vccz .LBB217_256
; %bb.255:
	global_load_i8 v6, v[1:2], off
	s_waitcnt vmcnt(0)
	v_cvt_f16_i16_e32 v6, v6
	s_branch .LBB217_257
.LBB217_256:
	s_mov_b32 s2, -1
                                        ; implicit-def: $vgpr6
.LBB217_257:
	s_delay_alu instid0(SALU_CYCLE_1)
	s_and_not1_b32 vcc_lo, exec_lo, s2
	s_cbranch_vccnz .LBB217_259
; %bb.258:
	global_load_u8 v1, v[1:2], off
	s_waitcnt vmcnt(0)
	v_cvt_f16_u16_e32 v6, v1
.LBB217_259:
	s_branch .LBB217_24
.LBB217_260:
	s_mov_b32 s2, 0
.LBB217_261:
	s_mov_b32 s22, 0
                                        ; implicit-def: $vgpr5
.LBB217_262:
	s_and_b32 s34, s2, exec_lo
	s_and_b32 s35, s3, exec_lo
	s_or_not1_b32 s3, s22, exec_lo
.LBB217_263:
	s_or_b32 exec_lo, exec_lo, s36
	s_mov_b32 s22, 0
	s_mov_b32 s2, 0
                                        ; implicit-def: $vgpr1_vgpr2
                                        ; implicit-def: $vgpr0
                                        ; implicit-def: $vgpr6
	s_and_saveexec_b32 s36, s3
	s_cbranch_execz .LBB217_906
; %bb.264:
	s_mov_b32 s2, -1
	s_mov_b32 s37, s35
	s_mov_b32 s38, s34
	s_mov_b32 s39, exec_lo
	v_cmpx_gt_i32_e64 s30, v5
	s_cbranch_execz .LBB217_533
; %bb.265:
	s_and_not1_b32 vcc_lo, exec_lo, s27
	s_cbranch_vccnz .LBB217_270
; %bb.266:
	v_dual_mov_b32 v0, 0 :: v_dual_mov_b32 v1, 0
	s_and_not1_b32 vcc_lo, exec_lo, s33
	s_mov_b32 s37, 0
	s_cbranch_vccnz .LBB217_275
; %bb.267:
	v_mov_b32_e32 v0, 0
	s_add_i32 s40, s31, 1
	s_cmp_eq_u32 s25, 2
	s_mov_b32 s38, 0
	s_cbranch_scc1 .LBB217_271
; %bb.268:
	v_dual_mov_b32 v1, 0 :: v_dual_mov_b32 v0, 0
	v_mov_b32_e32 v2, v5
	s_and_b32 s38, s40, 28
	s_mov_b32 s41, 0
	s_mov_b64 s[2:3], s[20:21]
	s_mov_b64 s[22:23], s[16:17]
.LBB217_269:                            ; =>This Inner Loop Header: Depth=1
	s_clause 0x1
	s_load_b256 s[44:51], s[22:23], 0x4
	s_load_b128 s[60:63], s[22:23], 0x24
	s_load_b256 s[52:59], s[2:3], 0x0
	s_add_u32 s22, s22, 48
	s_addc_u32 s23, s23, 0
	s_add_i32 s41, s41, 4
	s_add_u32 s2, s2, 32
	s_addc_u32 s3, s3, 0
	s_cmp_eq_u32 s38, s41
	s_waitcnt vmcnt(0) lgkmcnt(0)
	v_mul_hi_u32 v6, s45, v2
	s_delay_alu instid0(VALU_DEP_1) | instskip(NEXT) | instid1(VALU_DEP_1)
	v_add_nc_u32_e32 v6, v2, v6
	v_lshrrev_b32_e32 v6, s46, v6
	s_delay_alu instid0(VALU_DEP_1) | instskip(SKIP_1) | instid1(VALU_DEP_2)
	v_mul_hi_u32 v7, s48, v6
	v_mul_lo_u32 v9, v6, s44
	v_add_nc_u32_e32 v7, v6, v7
	s_delay_alu instid0(VALU_DEP_2) | instskip(NEXT) | instid1(VALU_DEP_2)
	v_sub_nc_u32_e32 v2, v2, v9
	v_lshrrev_b32_e32 v7, s49, v7
	s_delay_alu instid0(VALU_DEP_2) | instskip(SKIP_1) | instid1(VALU_DEP_3)
	v_mul_lo_u32 v9, v2, s52
	v_mul_lo_u32 v11, v2, s53
	v_mul_hi_u32 v8, s51, v7
	s_delay_alu instid0(VALU_DEP_1) | instskip(NEXT) | instid1(VALU_DEP_1)
	v_add_nc_u32_e32 v8, v7, v8
	v_lshrrev_b32_e32 v8, s60, v8
	s_delay_alu instid0(VALU_DEP_1) | instskip(SKIP_1) | instid1(VALU_DEP_2)
	v_mul_hi_u32 v10, s62, v8
	v_mul_lo_u32 v12, v8, s50
	v_add_nc_u32_e32 v2, v8, v10
	v_mul_lo_u32 v10, v7, s47
	s_delay_alu instid0(VALU_DEP_3) | instskip(NEXT) | instid1(VALU_DEP_3)
	v_sub_nc_u32_e32 v7, v7, v12
	v_lshrrev_b32_e32 v2, s63, v2
	s_delay_alu instid0(VALU_DEP_2) | instskip(SKIP_2) | instid1(VALU_DEP_4)
	v_mul_lo_u32 v12, v7, s56
	v_mul_lo_u32 v7, v7, s57
	v_sub_nc_u32_e32 v6, v6, v10
	v_mul_lo_u32 v13, v2, s61
	s_delay_alu instid0(VALU_DEP_2) | instskip(SKIP_1) | instid1(VALU_DEP_3)
	v_mul_lo_u32 v10, v6, s54
	v_mul_lo_u32 v6, v6, s55
	v_sub_nc_u32_e32 v8, v8, v13
	s_delay_alu instid0(VALU_DEP_3) | instskip(NEXT) | instid1(VALU_DEP_2)
	v_add3_u32 v0, v9, v0, v10
	v_mul_lo_u32 v13, v8, s58
	v_mul_lo_u32 v8, v8, s59
	v_add3_u32 v1, v11, v1, v6
	s_delay_alu instid0(VALU_DEP_3) | instskip(NEXT) | instid1(VALU_DEP_2)
	v_add3_u32 v0, v12, v0, v13
	v_add3_u32 v1, v7, v1, v8
	s_cbranch_scc0 .LBB217_269
	s_branch .LBB217_272
.LBB217_270:
	s_mov_b32 s37, -1
                                        ; implicit-def: $vgpr0
                                        ; implicit-def: $vgpr1
	s_branch .LBB217_275
.LBB217_271:
	v_dual_mov_b32 v2, v5 :: v_dual_mov_b32 v1, 0
.LBB217_272:
	s_and_b32 s40, s40, 3
	s_delay_alu instid0(SALU_CYCLE_1)
	s_cmp_eq_u32 s40, 0
	s_cbranch_scc1 .LBB217_275
; %bb.273:
	s_lshl_b32 s2, s38, 3
	s_mul_i32 s22, s38, 12
	s_add_u32 s2, s2, s16
	s_addc_u32 s3, s17, 0
	s_add_u32 s2, s2, 0xc4
	s_addc_u32 s3, s3, 0
	;; [unrolled: 2-line block ×3, first 2 shown]
	.p2align	6
.LBB217_274:                            ; =>This Inner Loop Header: Depth=1
	s_clause 0x1
	s_load_b64 s[42:43], s[22:23], 0x4
	s_load_b32 s38, s[22:23], 0xc
	s_load_b64 s[44:45], s[2:3], 0x0
	s_add_u32 s22, s22, 12
	s_addc_u32 s23, s23, 0
	s_add_u32 s2, s2, 8
	s_addc_u32 s3, s3, 0
	s_add_i32 s40, s40, -1
	s_delay_alu instid0(SALU_CYCLE_1) | instskip(SKIP_2) | instid1(VALU_DEP_1)
	s_cmp_lg_u32 s40, 0
	s_waitcnt vmcnt(0) lgkmcnt(0)
	v_mul_hi_u32 v6, s43, v2
	v_add_nc_u32_e32 v6, v2, v6
	s_delay_alu instid0(VALU_DEP_1) | instskip(NEXT) | instid1(VALU_DEP_1)
	v_lshrrev_b32_e32 v9, s38, v6
	v_mul_lo_u32 v6, v9, s42
	s_delay_alu instid0(VALU_DEP_1) | instskip(NEXT) | instid1(VALU_DEP_1)
	v_sub_nc_u32_e32 v2, v2, v6
	v_mad_u64_u32 v[6:7], null, v2, s44, v[0:1]
	v_mad_u64_u32 v[7:8], null, v2, s45, v[1:2]
	v_mov_b32_e32 v2, v9
	s_delay_alu instid0(VALU_DEP_2)
	v_dual_mov_b32 v0, v6 :: v_dual_mov_b32 v1, v7
	s_cbranch_scc1 .LBB217_274
.LBB217_275:
	s_and_not1_b32 vcc_lo, exec_lo, s37
	s_cbranch_vccnz .LBB217_278
; %bb.276:
	s_waitcnt lgkmcnt(0)
	v_mul_hi_u32 v0, s13, v5
	s_and_not1_b32 vcc_lo, exec_lo, s29
	s_delay_alu instid0(VALU_DEP_1) | instskip(NEXT) | instid1(VALU_DEP_1)
	v_add_nc_u32_e32 v0, v5, v0
	v_lshrrev_b32_e32 v2, s14, v0
	s_delay_alu instid0(VALU_DEP_1) | instskip(NEXT) | instid1(VALU_DEP_1)
	v_mul_lo_u32 v0, v2, s12
	v_sub_nc_u32_e32 v1, v5, v0
	s_delay_alu instid0(VALU_DEP_1)
	v_mul_lo_u32 v0, v1, s8
	v_mul_lo_u32 v1, v1, s9
	s_cbranch_vccnz .LBB217_278
; %bb.277:
	s_waitcnt vmcnt(0)
	v_mul_hi_u32 v6, s18, v2
	s_delay_alu instid0(VALU_DEP_1) | instskip(NEXT) | instid1(VALU_DEP_1)
	v_add_nc_u32_e32 v6, v2, v6
	v_lshrrev_b32_e32 v6, s19, v6
	s_delay_alu instid0(VALU_DEP_1) | instskip(NEXT) | instid1(VALU_DEP_1)
	v_mul_lo_u32 v6, v6, s15
	v_sub_nc_u32_e32 v2, v2, v6
	s_delay_alu instid0(VALU_DEP_1) | instskip(SKIP_1) | instid1(VALU_DEP_1)
	v_mad_u64_u32 v[6:7], null, v2, s10, v[0:1]
	v_mad_u64_u32 v[7:8], null, v2, s11, v[1:2]
	v_dual_mov_b32 v0, v6 :: v_dual_mov_b32 v1, v7
.LBB217_278:
	v_cmp_gt_i16_e32 vcc_lo, 11, v4
	s_waitcnt lgkmcnt(0)
	s_delay_alu instid0(VALU_DEP_2) | instskip(NEXT) | instid1(VALU_DEP_1)
	v_add_co_u32 v1, s2, s6, v1
	v_add_co_ci_u32_e64 v2, null, s7, 0, s2
	s_mov_b32 s2, 0
	s_cbranch_vccnz .LBB217_285
; %bb.279:
	v_cmp_lt_i16_e32 vcc_lo, 25, v4
	s_cbranch_vccz .LBB217_334
; %bb.280:
	v_cmp_lt_i16_e32 vcc_lo, 28, v4
	s_cbranch_vccz .LBB217_335
	;; [unrolled: 3-line block ×4, first 2 shown]
; %bb.283:
	v_cmp_eq_u16_e32 vcc_lo, 46, v4
	s_mov_b32 s22, 0
	s_cbranch_vccz .LBB217_343
; %bb.284:
	global_load_b32 v6, v[1:2], off
	s_mov_b32 s2, -1
	s_mov_b32 s3, 0
	s_waitcnt vmcnt(0)
	v_lshlrev_b32_e32 v6, 16, v6
	s_delay_alu instid0(VALU_DEP_1)
	v_cvt_f16_f32_e32 v6, v6
	s_branch .LBB217_345
.LBB217_285:
	s_mov_b32 s3, s35
                                        ; implicit-def: $vgpr6
	s_cbranch_execnz .LBB217_482
.LBB217_286:
	s_and_not1_b32 vcc_lo, exec_lo, s2
	s_cbranch_vccnz .LBB217_530
.LBB217_287:
	s_waitcnt vmcnt(0)
	s_delay_alu instid0(VALU_DEP_1) | instskip(SKIP_3) | instid1(VALU_DEP_2)
	v_cvt_f32_f16_e32 v1, v6
	v_add_co_u32 v0, s2, s4, v0
	s_mov_b32 s22, 0
	s_mov_b32 s23, -1
	v_cvt_f64_f32_e32 v[1:2], v1
	s_delay_alu instid0(VALU_DEP_1) | instskip(SKIP_3) | instid1(VALU_DEP_2)
	v_rsq_f64_e32 v[6:7], v[1:2]
	s_waitcnt_depctr 0xfff
	v_mul_f64 v[1:2], v[6:7], -v[1:2]
	v_cmp_class_f64_e64 vcc_lo, v[6:7], 0x180
	v_fma_f64 v[1:2], v[1:2], v[6:7], 1.0
	s_delay_alu instid0(VALU_DEP_1) | instskip(SKIP_1) | instid1(VALU_DEP_1)
	v_mul_f64 v[8:9], v[6:7], v[1:2]
	v_fma_f64 v[1:2], 0x3fd80000, v[1:2], 0.5
	v_fma_f64 v[1:2], v[8:9], v[1:2], v[6:7]
	s_delay_alu instid0(VALU_DEP_1) | instskip(SKIP_1) | instid1(VALU_DEP_2)
	v_dual_cndmask_b32 v2, v7, v2 :: v_dual_cndmask_b32 v1, v6, v1
	v_and_b32_e32 v6, 0xff, v3
	v_cvt_f32_f64_e32 v2, v[1:2]
	s_delay_alu instid0(VALU_DEP_2) | instskip(SKIP_2) | instid1(VALU_DEP_3)
	v_cmp_gt_i16_e32 vcc_lo, 11, v6
	v_add_co_ci_u32_e64 v1, null, s5, 0, s2
	s_mov_b32 s2, s34
	v_cvt_f16_f32_e32 v2, v2
	s_cbranch_vccnz .LBB217_294
; %bb.288:
	v_cmp_lt_i16_e32 vcc_lo, 25, v6
	s_cbranch_vccz .LBB217_336
; %bb.289:
	v_cmp_lt_i16_e32 vcc_lo, 28, v6
	s_cbranch_vccz .LBB217_338
	;; [unrolled: 3-line block ×4, first 2 shown]
; %bb.292:
	v_cmp_eq_u16_e32 vcc_lo, 46, v6
	s_mov_b32 s23, 0
	s_mov_b32 s2, -1
	s_cbranch_vccz .LBB217_349
; %bb.293:
	v_cvt_f32_f16_e32 v7, v2
	v_cmp_o_f16_e32 vcc_lo, v2, v2
	s_mov_b32 s22, -1
	s_mov_b32 s2, 0
	s_delay_alu instid0(VALU_DEP_2) | instskip(NEXT) | instid1(VALU_DEP_1)
	v_bfe_u32 v8, v7, 16, 1
	v_add3_u32 v7, v7, v8, 0x7fff
	s_delay_alu instid0(VALU_DEP_1) | instskip(NEXT) | instid1(VALU_DEP_1)
	v_lshrrev_b32_e32 v7, 16, v7
	v_cndmask_b32_e32 v7, 0x7fc0, v7, vcc_lo
	global_store_b32 v[0:1], v7, off
	s_branch .LBB217_349
.LBB217_294:
	s_and_b32 vcc_lo, exec_lo, s23
	s_cbranch_vccz .LBB217_418
; %bb.295:
	v_cmp_gt_i16_e32 vcc_lo, 5, v6
	s_mov_b32 s22, -1
	s_cbranch_vccnz .LBB217_316
; %bb.296:
	v_cmp_gt_i16_e32 vcc_lo, 8, v6
	s_cbranch_vccnz .LBB217_306
; %bb.297:
	v_cmp_gt_i16_e32 vcc_lo, 9, v6
	s_cbranch_vccnz .LBB217_303
; %bb.298:
	v_cmp_lt_i16_e32 vcc_lo, 9, v6
	s_cbranch_vccz .LBB217_300
; %bb.299:
	v_cvt_f32_f16_e32 v7, v2
	v_mov_b32_e32 v9, 0
	s_mov_b32 s22, 0
	s_delay_alu instid0(VALU_DEP_2) | instskip(NEXT) | instid1(VALU_DEP_2)
	v_cvt_f64_f32_e32 v[7:8], v7
	v_mov_b32_e32 v10, v9
	global_store_b128 v[0:1], v[7:10], off
.LBB217_300:
	s_and_not1_b32 vcc_lo, exec_lo, s22
	s_cbranch_vccnz .LBB217_302
; %bb.301:
	v_cvt_f32_f16_e32 v7, v2
	v_mov_b32_e32 v8, 0
	global_store_b64 v[0:1], v[7:8], off
.LBB217_302:
	s_mov_b32 s22, 0
.LBB217_303:
	s_delay_alu instid0(SALU_CYCLE_1)
	s_and_not1_b32 vcc_lo, exec_lo, s22
	s_cbranch_vccnz .LBB217_305
; %bb.304:
	v_and_b32_e32 v7, 0xffff, v2
	global_store_b32 v[0:1], v7, off
.LBB217_305:
	s_mov_b32 s22, 0
.LBB217_306:
	s_delay_alu instid0(SALU_CYCLE_1)
	s_and_not1_b32 vcc_lo, exec_lo, s22
	s_cbranch_vccnz .LBB217_315
; %bb.307:
	v_cmp_gt_i16_e32 vcc_lo, 6, v6
	s_mov_b32 s22, -1
	s_cbranch_vccnz .LBB217_313
; %bb.308:
	v_cmp_lt_i16_e32 vcc_lo, 6, v6
	s_cbranch_vccz .LBB217_310
; %bb.309:
	v_cvt_f32_f16_e32 v7, v2
	s_mov_b32 s22, 0
	s_delay_alu instid0(VALU_DEP_1)
	v_cvt_f64_f32_e32 v[7:8], v7
	global_store_b64 v[0:1], v[7:8], off
.LBB217_310:
	s_and_not1_b32 vcc_lo, exec_lo, s22
	s_cbranch_vccnz .LBB217_312
; %bb.311:
	v_cvt_f32_f16_e32 v7, v2
	global_store_b32 v[0:1], v7, off
.LBB217_312:
	s_mov_b32 s22, 0
.LBB217_313:
	s_delay_alu instid0(SALU_CYCLE_1)
	s_and_not1_b32 vcc_lo, exec_lo, s22
	s_cbranch_vccnz .LBB217_315
; %bb.314:
	global_store_b16 v[0:1], v2, off
.LBB217_315:
	s_mov_b32 s22, 0
.LBB217_316:
	s_delay_alu instid0(SALU_CYCLE_1)
	s_and_not1_b32 vcc_lo, exec_lo, s22
	s_cbranch_vccnz .LBB217_332
; %bb.317:
	v_cmp_gt_i16_e32 vcc_lo, 2, v6
	s_mov_b32 s22, -1
	s_cbranch_vccnz .LBB217_327
; %bb.318:
	v_cmp_gt_i16_e32 vcc_lo, 3, v6
	s_cbranch_vccnz .LBB217_324
; %bb.319:
	v_cmp_lt_i16_e32 vcc_lo, 3, v6
	s_cbranch_vccz .LBB217_321
; %bb.320:
	v_cvt_f32_f16_e32 v7, v2
	s_mov_b32 s22, 0
	s_delay_alu instid0(VALU_DEP_1) | instskip(NEXT) | instid1(VALU_DEP_1)
	v_cvt_i32_f32_e32 v7, v7
	v_ashrrev_i32_e32 v8, 31, v7
	global_store_b64 v[0:1], v[7:8], off
.LBB217_321:
	s_and_not1_b32 vcc_lo, exec_lo, s22
	s_cbranch_vccnz .LBB217_323
; %bb.322:
	v_cvt_f32_f16_e32 v7, v2
	s_delay_alu instid0(VALU_DEP_1)
	v_cvt_i32_f32_e32 v7, v7
	global_store_b32 v[0:1], v7, off
.LBB217_323:
	s_mov_b32 s22, 0
.LBB217_324:
	s_delay_alu instid0(SALU_CYCLE_1)
	s_and_not1_b32 vcc_lo, exec_lo, s22
	s_cbranch_vccnz .LBB217_326
; %bb.325:
	v_cvt_i16_f16_e32 v7, v2
	global_store_b16 v[0:1], v7, off
.LBB217_326:
	s_mov_b32 s22, 0
.LBB217_327:
	s_delay_alu instid0(SALU_CYCLE_1)
	s_and_not1_b32 vcc_lo, exec_lo, s22
	s_cbranch_vccnz .LBB217_332
; %bb.328:
	v_cmp_lt_i16_e32 vcc_lo, 0, v6
	s_mov_b32 s22, -1
	s_cbranch_vccz .LBB217_330
; %bb.329:
	v_cvt_i16_f16_e32 v6, v2
	s_mov_b32 s22, 0
	global_store_b8 v[0:1], v6, off
.LBB217_330:
	s_and_not1_b32 vcc_lo, exec_lo, s22
	s_cbranch_vccnz .LBB217_332
; %bb.331:
	v_cvt_f32_f16_e32 v2, v2
	s_delay_alu instid0(VALU_DEP_1)
	v_cvt_i32_f32_e32 v2, v2
	global_store_b8 v[0:1], v2, off
.LBB217_332:
	s_branch .LBB217_419
.LBB217_333:
	s_mov_b32 s22, 0
	s_branch .LBB217_531
.LBB217_334:
	s_mov_b32 s22, -1
	s_mov_b32 s3, s35
                                        ; implicit-def: $vgpr6
	s_branch .LBB217_446
.LBB217_335:
	s_mov_b32 s22, -1
	s_mov_b32 s3, s35
                                        ; implicit-def: $vgpr6
	s_branch .LBB217_427
.LBB217_336:
	s_mov_b32 s2, s34
	s_branch .LBB217_376
.LBB217_337:
	s_mov_b32 s22, -1
	s_mov_b32 s3, s35
                                        ; implicit-def: $vgpr6
	s_branch .LBB217_422
.LBB217_338:
	s_mov_b32 s2, s34
	s_branch .LBB217_359
.LBB217_339:
	s_mov_b32 s22, -1
	s_mov_b32 s3, s35
	s_branch .LBB217_344
.LBB217_340:
	s_mov_b32 s2, s34
	s_branch .LBB217_355
.LBB217_341:
	s_or_saveexec_b32 s34, s34
                                        ; implicit-def: $sgpr35
	s_delay_alu instid0(SALU_CYCLE_1)
	s_xor_b32 exec_lo, exec_lo, s34
	s_cbranch_execz .LBB217_65
.LBB217_342:
	v_add_f32_e64 v8, 0x42800000, |v7|
	s_and_not1_b32 s23, s23, exec_lo
	s_mov_b32 s35, 0
	s_delay_alu instid0(VALU_DEP_1) | instskip(NEXT) | instid1(VALU_DEP_1)
	v_and_b32_e32 v8, 0xff, v8
	v_cmp_ne_u32_e32 vcc_lo, 0, v8
	s_and_b32 s38, vcc_lo, exec_lo
	s_delay_alu instid0(SALU_CYCLE_1)
	s_or_b32 s23, s23, s38
	s_or_b32 exec_lo, exec_lo, s34
	v_mov_b32_e32 v9, s35
	s_and_saveexec_b32 s34, s23
	s_cbranch_execnz .LBB217_66
	s_branch .LBB217_67
.LBB217_343:
	s_mov_b32 s3, -1
.LBB217_344:
                                        ; implicit-def: $vgpr6
.LBB217_345:
	s_and_b32 vcc_lo, exec_lo, s22
	s_cbranch_vccz .LBB217_421
; %bb.346:
	v_cmp_eq_u16_e32 vcc_lo, 44, v4
	s_cbranch_vccz .LBB217_420
; %bb.347:
	global_load_u8 v6, v[1:2], off
	s_mov_b32 s3, 0
	s_mov_b32 s2, -1
	s_waitcnt vmcnt(0)
	v_lshlrev_b32_e32 v7, 23, v6
	v_cmp_ne_u32_e32 vcc_lo, 0xff, v6
	s_delay_alu instid0(VALU_DEP_2) | instskip(NEXT) | instid1(VALU_DEP_1)
	v_cvt_f16_f32_e32 v7, v7
	v_cndmask_b32_e32 v7, 0x7e00, v7, vcc_lo
	v_cmp_ne_u32_e32 vcc_lo, 0, v6
	s_delay_alu instid0(VALU_DEP_2)
	v_cndmask_b32_e32 v6, 0, v7, vcc_lo
	s_branch .LBB217_421
.LBB217_348:
	s_mov_b32 s2, s34
.LBB217_349:
	s_and_b32 vcc_lo, exec_lo, s23
	s_cbranch_vccz .LBB217_354
; %bb.350:
	v_cmp_eq_u16_e32 vcc_lo, 44, v6
	s_mov_b32 s2, -1
	s_cbranch_vccz .LBB217_354
; %bb.351:
	v_cvt_f32_f16_e32 v7, v2
	v_mov_b32_e32 v8, 0xff
	s_mov_b32 s22, exec_lo
	s_delay_alu instid0(VALU_DEP_2) | instskip(NEXT) | instid1(VALU_DEP_1)
	v_bfe_u32 v9, v7, 23, 8
	v_cmpx_ne_u32_e32 0xff, v9
; %bb.352:
	v_and_b32_e32 v8, 0x400000, v7
	v_and_or_b32 v9, 0x3fffff, v7, v9
	v_lshrrev_b32_e32 v7, 23, v7
	s_delay_alu instid0(VALU_DEP_3) | instskip(NEXT) | instid1(VALU_DEP_3)
	v_cmp_ne_u32_e32 vcc_lo, 0, v8
	v_cmp_ne_u32_e64 s2, 0, v9
	s_delay_alu instid0(VALU_DEP_1) | instskip(NEXT) | instid1(SALU_CYCLE_1)
	s_and_b32 s2, vcc_lo, s2
	v_cndmask_b32_e64 v8, 0, 1, s2
	s_delay_alu instid0(VALU_DEP_1)
	v_add_nc_u32_e32 v8, v7, v8
; %bb.353:
	s_or_b32 exec_lo, exec_lo, s22
	s_mov_b32 s22, -1
	s_mov_b32 s2, 0
	global_store_b8 v[0:1], v8, off
.LBB217_354:
	s_mov_b32 s23, 0
.LBB217_355:
	s_delay_alu instid0(SALU_CYCLE_1)
	s_and_b32 vcc_lo, exec_lo, s23
	s_cbranch_vccz .LBB217_358
; %bb.356:
	v_cmp_eq_u16_e32 vcc_lo, 29, v6
	s_mov_b32 s2, -1
	s_cbranch_vccz .LBB217_358
; %bb.357:
	v_cvt_f32_f16_e32 v7, v2
	v_mov_b32_e32 v8, 0
	s_mov_b32 s2, 0
	s_mov_b32 s22, -1
	s_mov_b32 s23, 0
	v_cvt_u32_f32_e32 v7, v7
	global_store_b64 v[0:1], v[7:8], off
	s_branch .LBB217_359
.LBB217_358:
	s_mov_b32 s23, 0
.LBB217_359:
	s_delay_alu instid0(SALU_CYCLE_1)
	s_and_b32 vcc_lo, exec_lo, s23
	s_cbranch_vccz .LBB217_375
; %bb.360:
	v_cmp_gt_i16_e32 vcc_lo, 27, v6
	s_mov_b32 s22, -1
	s_cbranch_vccnz .LBB217_366
; %bb.361:
	v_cmp_lt_i16_e32 vcc_lo, 27, v6
	s_cbranch_vccz .LBB217_363
; %bb.362:
	v_cvt_f32_f16_e32 v7, v2
	s_mov_b32 s22, 0
	s_delay_alu instid0(VALU_DEP_1)
	v_cvt_u32_f32_e32 v7, v7
	global_store_b32 v[0:1], v7, off
.LBB217_363:
	s_and_not1_b32 vcc_lo, exec_lo, s22
	s_cbranch_vccnz .LBB217_365
; %bb.364:
	v_cvt_u16_f16_e32 v7, v2
	global_store_b16 v[0:1], v7, off
.LBB217_365:
	s_mov_b32 s22, 0
.LBB217_366:
	s_delay_alu instid0(SALU_CYCLE_1)
	s_and_not1_b32 vcc_lo, exec_lo, s22
	s_cbranch_vccnz .LBB217_374
; %bb.367:
	v_cvt_f32_f16_e32 v7, v2
	v_mov_b32_e32 v9, 0x80
	s_mov_b32 s22, exec_lo
	s_delay_alu instid0(VALU_DEP_2) | instskip(NEXT) | instid1(VALU_DEP_1)
	v_and_b32_e32 v8, 0x7fffffff, v7
	v_cmpx_gt_u32_e32 0x43800000, v8
	s_cbranch_execz .LBB217_373
; %bb.368:
	v_cmp_lt_u32_e32 vcc_lo, 0x3bffffff, v8
	s_mov_b32 s23, 0
                                        ; implicit-def: $vgpr8
	s_and_saveexec_b32 s37, vcc_lo
	s_delay_alu instid0(SALU_CYCLE_1)
	s_xor_b32 s37, exec_lo, s37
	s_cbranch_execz .LBB217_559
; %bb.369:
	v_bfe_u32 v8, v7, 20, 1
	s_mov_b32 s23, exec_lo
	s_delay_alu instid0(VALU_DEP_1) | instskip(NEXT) | instid1(VALU_DEP_1)
	v_add3_u32 v8, v7, v8, 0x487ffff
	v_lshrrev_b32_e32 v8, 20, v8
	s_or_saveexec_b32 s37, s37
                                        ; implicit-def: $sgpr38
	s_delay_alu instid0(SALU_CYCLE_1)
	s_xor_b32 exec_lo, exec_lo, s37
	s_cbranch_execnz .LBB217_560
.LBB217_370:
	s_or_b32 exec_lo, exec_lo, s37
	v_mov_b32_e32 v9, s38
	s_and_saveexec_b32 s37, s23
.LBB217_371:
	v_lshrrev_b32_e32 v7, 24, v7
	s_delay_alu instid0(VALU_DEP_1)
	v_and_or_b32 v9, 0x80, v7, v8
.LBB217_372:
	s_or_b32 exec_lo, exec_lo, s37
.LBB217_373:
	s_delay_alu instid0(SALU_CYCLE_1)
	s_or_b32 exec_lo, exec_lo, s22
	global_store_b8 v[0:1], v9, off
.LBB217_374:
	s_mov_b32 s22, -1
.LBB217_375:
	s_mov_b32 s23, 0
.LBB217_376:
	s_delay_alu instid0(SALU_CYCLE_1)
	s_and_b32 vcc_lo, exec_lo, s23
	s_cbranch_vccz .LBB217_417
; %bb.377:
	v_cmp_lt_i16_e32 vcc_lo, 22, v6
	s_mov_b32 s23, -1
	s_cbranch_vccz .LBB217_409
; %bb.378:
	v_cmp_gt_i16_e32 vcc_lo, 24, v6
	s_mov_b32 s22, -1
	s_cbranch_vccnz .LBB217_398
; %bb.379:
	v_cmp_lt_i16_e32 vcc_lo, 24, v6
	s_cbranch_vccz .LBB217_387
; %bb.380:
	v_cvt_f32_f16_e32 v7, v2
	v_mov_b32_e32 v9, 0x80
	s_mov_b32 s22, exec_lo
	s_delay_alu instid0(VALU_DEP_2) | instskip(NEXT) | instid1(VALU_DEP_1)
	v_and_b32_e32 v8, 0x7fffffff, v7
	v_cmpx_gt_u32_e32 0x47800000, v8
	s_cbranch_execz .LBB217_386
; %bb.381:
	v_cmp_lt_u32_e32 vcc_lo, 0x37ffffff, v8
	s_mov_b32 s23, 0
                                        ; implicit-def: $vgpr8
	s_and_saveexec_b32 s37, vcc_lo
	s_delay_alu instid0(SALU_CYCLE_1)
	s_xor_b32 s37, exec_lo, s37
	s_cbranch_execz .LBB217_562
; %bb.382:
	v_bfe_u32 v8, v7, 21, 1
	s_mov_b32 s23, exec_lo
	s_delay_alu instid0(VALU_DEP_1) | instskip(NEXT) | instid1(VALU_DEP_1)
	v_add3_u32 v8, v7, v8, 0x88fffff
	v_lshrrev_b32_e32 v8, 21, v8
	s_or_saveexec_b32 s37, s37
                                        ; implicit-def: $sgpr38
	s_delay_alu instid0(SALU_CYCLE_1)
	s_xor_b32 exec_lo, exec_lo, s37
	s_cbranch_execnz .LBB217_563
.LBB217_383:
	s_or_b32 exec_lo, exec_lo, s37
	v_mov_b32_e32 v9, s38
	s_and_saveexec_b32 s37, s23
.LBB217_384:
	v_lshrrev_b32_e32 v7, 24, v7
	s_delay_alu instid0(VALU_DEP_1)
	v_and_or_b32 v9, 0x80, v7, v8
.LBB217_385:
	s_or_b32 exec_lo, exec_lo, s37
.LBB217_386:
	s_delay_alu instid0(SALU_CYCLE_1)
	s_or_b32 exec_lo, exec_lo, s22
	s_mov_b32 s22, 0
	global_store_b8 v[0:1], v9, off
.LBB217_387:
	s_and_b32 vcc_lo, exec_lo, s22
	s_cbranch_vccz .LBB217_397
; %bb.388:
	v_cvt_f32_f16_e32 v7, v2
	s_mov_b32 s22, exec_lo
                                        ; implicit-def: $vgpr8
	s_delay_alu instid0(VALU_DEP_1) | instskip(NEXT) | instid1(VALU_DEP_1)
	v_and_b32_e32 v9, 0x7fffffff, v7
	v_cmpx_gt_u32_e32 0x43f00000, v9
	s_xor_b32 s22, exec_lo, s22
	s_cbranch_execz .LBB217_394
; %bb.389:
	s_mov_b32 s23, exec_lo
                                        ; implicit-def: $vgpr8
	v_cmpx_lt_u32_e32 0x3c7fffff, v9
	s_xor_b32 s23, exec_lo, s23
; %bb.390:
	v_bfe_u32 v8, v7, 20, 1
	s_delay_alu instid0(VALU_DEP_1) | instskip(NEXT) | instid1(VALU_DEP_1)
	v_add3_u32 v8, v7, v8, 0x407ffff
	v_and_b32_e32 v9, 0xff00000, v8
	v_lshrrev_b32_e32 v8, 20, v8
	s_delay_alu instid0(VALU_DEP_2) | instskip(NEXT) | instid1(VALU_DEP_2)
	v_cmp_ne_u32_e32 vcc_lo, 0x7f00000, v9
	v_cndmask_b32_e32 v8, 0x7e, v8, vcc_lo
; %bb.391:
	s_and_not1_saveexec_b32 s23, s23
; %bb.392:
	v_add_f32_e64 v8, 0x46800000, |v7|
; %bb.393:
	s_or_b32 exec_lo, exec_lo, s23
                                        ; implicit-def: $vgpr9
.LBB217_394:
	s_and_not1_saveexec_b32 s22, s22
; %bb.395:
	v_mov_b32_e32 v8, 0x7f
	v_cmp_lt_u32_e32 vcc_lo, 0x7f800000, v9
	s_delay_alu instid0(VALU_DEP_2)
	v_cndmask_b32_e32 v8, 0x7e, v8, vcc_lo
; %bb.396:
	s_or_b32 exec_lo, exec_lo, s22
	v_lshrrev_b32_e32 v7, 24, v7
	s_delay_alu instid0(VALU_DEP_1)
	v_and_or_b32 v7, 0x80, v7, v8
	global_store_b8 v[0:1], v7, off
.LBB217_397:
	s_mov_b32 s22, 0
.LBB217_398:
	s_delay_alu instid0(SALU_CYCLE_1)
	s_and_not1_b32 vcc_lo, exec_lo, s22
	s_cbranch_vccnz .LBB217_408
; %bb.399:
	v_cvt_f32_f16_e32 v7, v2
	s_mov_b32 s22, exec_lo
                                        ; implicit-def: $vgpr8
	s_delay_alu instid0(VALU_DEP_1) | instskip(NEXT) | instid1(VALU_DEP_1)
	v_and_b32_e32 v9, 0x7fffffff, v7
	v_cmpx_gt_u32_e32 0x47800000, v9
	s_xor_b32 s22, exec_lo, s22
	s_cbranch_execz .LBB217_405
; %bb.400:
	s_mov_b32 s23, exec_lo
                                        ; implicit-def: $vgpr8
	v_cmpx_lt_u32_e32 0x387fffff, v9
	s_xor_b32 s23, exec_lo, s23
; %bb.401:
	v_bfe_u32 v8, v7, 21, 1
	s_delay_alu instid0(VALU_DEP_1) | instskip(NEXT) | instid1(VALU_DEP_1)
	v_add3_u32 v8, v7, v8, 0x80fffff
	v_lshrrev_b32_e32 v8, 21, v8
; %bb.402:
	s_and_not1_saveexec_b32 s23, s23
; %bb.403:
	v_add_f32_e64 v8, 0x43000000, |v7|
; %bb.404:
	s_or_b32 exec_lo, exec_lo, s23
                                        ; implicit-def: $vgpr9
.LBB217_405:
	s_and_not1_saveexec_b32 s22, s22
; %bb.406:
	v_mov_b32_e32 v8, 0x7f
	v_cmp_lt_u32_e32 vcc_lo, 0x7f800000, v9
	s_delay_alu instid0(VALU_DEP_2)
	v_cndmask_b32_e32 v8, 0x7c, v8, vcc_lo
; %bb.407:
	s_or_b32 exec_lo, exec_lo, s22
	v_lshrrev_b32_e32 v7, 24, v7
	s_delay_alu instid0(VALU_DEP_1)
	v_and_or_b32 v7, 0x80, v7, v8
	global_store_b8 v[0:1], v7, off
.LBB217_408:
	s_mov_b32 s23, 0
	s_mov_b32 s22, -1
.LBB217_409:
	s_and_not1_b32 vcc_lo, exec_lo, s23
	s_cbranch_vccnz .LBB217_417
; %bb.410:
	v_cmp_lt_i16_e32 vcc_lo, 14, v6
	s_mov_b32 s23, -1
	s_cbranch_vccz .LBB217_414
; %bb.411:
	v_cmp_eq_u16_e32 vcc_lo, 15, v6
	s_mov_b32 s2, -1
	s_cbranch_vccz .LBB217_413
; %bb.412:
	v_cvt_f32_f16_e32 v7, v2
	v_cmp_o_f16_e32 vcc_lo, v2, v2
	s_mov_b32 s22, -1
	s_mov_b32 s2, 0
	s_delay_alu instid0(VALU_DEP_2) | instskip(NEXT) | instid1(VALU_DEP_1)
	v_bfe_u32 v8, v7, 16, 1
	v_add3_u32 v7, v7, v8, 0x7fff
	s_delay_alu instid0(VALU_DEP_1) | instskip(NEXT) | instid1(VALU_DEP_1)
	v_lshrrev_b32_e32 v7, 16, v7
	v_cndmask_b32_e32 v7, 0x7fc0, v7, vcc_lo
	global_store_b16 v[0:1], v7, off
.LBB217_413:
	s_mov_b32 s23, 0
.LBB217_414:
	s_delay_alu instid0(SALU_CYCLE_1)
	s_and_b32 vcc_lo, exec_lo, s23
	s_cbranch_vccz .LBB217_417
; %bb.415:
	v_cmp_eq_u16_e32 vcc_lo, 11, v6
	s_mov_b32 s2, -1
	s_cbranch_vccz .LBB217_417
; %bb.416:
	v_cmp_neq_f16_e32 vcc_lo, 0, v2
	s_mov_b32 s2, 0
	s_mov_b32 s22, -1
	v_cndmask_b32_e64 v7, 0, 1, vcc_lo
	global_store_b8 v[0:1], v7, off
.LBB217_417:
.LBB217_418:
	s_and_not1_b32 vcc_lo, exec_lo, s22
	s_cbranch_vccnz .LBB217_333
.LBB217_419:
	v_add_nc_u32_e32 v5, 0x80, v5
	s_mov_b32 s22, -1
	s_branch .LBB217_532
.LBB217_420:
	s_mov_b32 s3, -1
                                        ; implicit-def: $vgpr6
.LBB217_421:
	s_mov_b32 s22, 0
.LBB217_422:
	s_delay_alu instid0(SALU_CYCLE_1)
	s_and_b32 vcc_lo, exec_lo, s22
	s_cbranch_vccz .LBB217_426
; %bb.423:
	v_cmp_eq_u16_e32 vcc_lo, 29, v4
	s_cbranch_vccz .LBB217_425
; %bb.424:
	global_load_b64 v[6:7], v[1:2], off
	s_mov_b32 s2, -1
	s_mov_b32 s3, 0
	s_mov_b32 s22, 0
	s_waitcnt vmcnt(0)
	v_clz_i32_u32_e32 v8, v7
	s_delay_alu instid0(VALU_DEP_1) | instskip(NEXT) | instid1(VALU_DEP_1)
	v_min_u32_e32 v8, 32, v8
	v_lshlrev_b64 v[6:7], v8, v[6:7]
	s_delay_alu instid0(VALU_DEP_1) | instskip(NEXT) | instid1(VALU_DEP_1)
	v_min_u32_e32 v6, 1, v6
	v_or_b32_e32 v6, v7, v6
	v_sub_nc_u32_e32 v7, 32, v8
	s_delay_alu instid0(VALU_DEP_2) | instskip(NEXT) | instid1(VALU_DEP_1)
	v_cvt_f32_u32_e32 v6, v6
	v_ldexp_f32 v6, v6, v7
	s_delay_alu instid0(VALU_DEP_1)
	v_cvt_f16_f32_e32 v6, v6
	s_branch .LBB217_427
.LBB217_425:
	s_mov_b32 s3, -1
                                        ; implicit-def: $vgpr6
.LBB217_426:
	s_mov_b32 s22, 0
.LBB217_427:
	s_delay_alu instid0(SALU_CYCLE_1)
	s_and_b32 vcc_lo, exec_lo, s22
	s_cbranch_vccz .LBB217_445
; %bb.428:
	v_cmp_gt_i16_e32 vcc_lo, 27, v4
	s_cbranch_vccnz .LBB217_431
; %bb.429:
	v_cmp_lt_i16_e32 vcc_lo, 27, v4
	s_cbranch_vccz .LBB217_432
; %bb.430:
	global_load_b32 v6, v[1:2], off
	s_mov_b32 s2, 0
	s_waitcnt vmcnt(0)
	v_cvt_f32_u32_e32 v6, v6
	s_delay_alu instid0(VALU_DEP_1)
	v_cvt_f16_f32_e32 v6, v6
	s_branch .LBB217_433
.LBB217_431:
	s_mov_b32 s2, -1
                                        ; implicit-def: $vgpr6
	s_branch .LBB217_436
.LBB217_432:
	s_mov_b32 s2, -1
                                        ; implicit-def: $vgpr6
.LBB217_433:
	s_delay_alu instid0(SALU_CYCLE_1)
	s_and_not1_b32 vcc_lo, exec_lo, s2
	s_cbranch_vccnz .LBB217_435
; %bb.434:
	global_load_u16 v6, v[1:2], off
	s_waitcnt vmcnt(0)
	v_cvt_f16_u16_e32 v6, v6
.LBB217_435:
	s_mov_b32 s2, 0
.LBB217_436:
	s_delay_alu instid0(SALU_CYCLE_1)
	s_and_not1_b32 vcc_lo, exec_lo, s2
	s_cbranch_vccnz .LBB217_444
; %bb.437:
	global_load_u8 v7, v[1:2], off
	s_mov_b32 s2, 0
	s_mov_b32 s23, exec_lo
                                        ; implicit-def: $sgpr22
	s_waitcnt vmcnt(0)
	v_cmpx_lt_i16_e32 0x7f, v7
	s_xor_b32 s23, exec_lo, s23
	s_cbranch_execz .LBB217_458
; %bb.438:
	s_mov_b32 s2, -1
	s_mov_b32 s37, exec_lo
                                        ; implicit-def: $sgpr22
	v_cmpx_eq_u16_e32 0x80, v7
; %bb.439:
	s_movk_i32 s22, 0x7e00
	s_xor_b32 s2, exec_lo, -1
; %bb.440:
	s_or_b32 exec_lo, exec_lo, s37
	s_delay_alu instid0(SALU_CYCLE_1)
	s_and_b32 s2, s2, exec_lo
	s_or_saveexec_b32 s23, s23
	v_mov_b32_e32 v6, s22
	s_xor_b32 exec_lo, exec_lo, s23
	s_cbranch_execnz .LBB217_459
.LBB217_441:
	s_or_b32 exec_lo, exec_lo, s23
	s_and_saveexec_b32 s22, s2
	s_cbranch_execz .LBB217_443
.LBB217_442:
	v_and_b32_e32 v6, 0xffff, v7
	s_delay_alu instid0(VALU_DEP_1) | instskip(NEXT) | instid1(VALU_DEP_1)
	v_and_b32_e32 v8, 7, v6
	v_clz_i32_u32_e32 v9, v8
	s_delay_alu instid0(VALU_DEP_1) | instskip(NEXT) | instid1(VALU_DEP_1)
	v_min_u32_e32 v9, 32, v9
	v_subrev_nc_u32_e32 v10, 28, v9
	v_sub_nc_u32_e32 v9, 29, v9
	s_delay_alu instid0(VALU_DEP_2) | instskip(SKIP_1) | instid1(VALU_DEP_2)
	v_lshlrev_b32_e32 v10, v10, v6
	v_bfe_u32 v6, v6, 3, 4
	v_and_b32_e32 v10, 7, v10
	s_delay_alu instid0(VALU_DEP_2) | instskip(SKIP_1) | instid1(VALU_DEP_1)
	v_cmp_eq_u32_e32 vcc_lo, 0, v6
	v_dual_cndmask_b32 v6, v6, v9 :: v_dual_lshlrev_b32 v7, 24, v7
	v_dual_cndmask_b32 v8, v8, v10 :: v_dual_and_b32 v7, 0x80000000, v7
	s_delay_alu instid0(VALU_DEP_2) | instskip(NEXT) | instid1(VALU_DEP_2)
	v_lshl_add_u32 v6, v6, 23, 0x3b800000
	v_lshlrev_b32_e32 v8, 20, v8
	s_delay_alu instid0(VALU_DEP_1) | instskip(NEXT) | instid1(VALU_DEP_1)
	v_or3_b32 v6, v7, v6, v8
	v_cvt_f16_f32_e32 v6, v6
.LBB217_443:
	s_or_b32 exec_lo, exec_lo, s22
.LBB217_444:
	s_mov_b32 s2, -1
.LBB217_445:
	s_mov_b32 s22, 0
.LBB217_446:
	s_delay_alu instid0(SALU_CYCLE_1)
	s_and_b32 vcc_lo, exec_lo, s22
	s_cbranch_vccz .LBB217_481
; %bb.447:
	v_cmp_lt_i16_e32 vcc_lo, 22, v4
	s_cbranch_vccz .LBB217_457
; %bb.448:
	v_cmp_gt_i16_e32 vcc_lo, 24, v4
	s_cbranch_vccnz .LBB217_460
; %bb.449:
	v_cmp_lt_i16_e32 vcc_lo, 24, v4
	s_cbranch_vccz .LBB217_461
; %bb.450:
	global_load_u8 v7, v[1:2], off
	s_mov_b32 s2, 0
	s_mov_b32 s23, exec_lo
                                        ; implicit-def: $sgpr22
	s_waitcnt vmcnt(0)
	v_cmpx_lt_i16_e32 0x7f, v7
	s_xor_b32 s23, exec_lo, s23
	s_cbranch_execz .LBB217_473
; %bb.451:
	s_mov_b32 s2, -1
	s_mov_b32 s37, exec_lo
                                        ; implicit-def: $sgpr22
	v_cmpx_eq_u16_e32 0x80, v7
; %bb.452:
	s_movk_i32 s22, 0x7e00
	s_xor_b32 s2, exec_lo, -1
; %bb.453:
	s_or_b32 exec_lo, exec_lo, s37
	s_delay_alu instid0(SALU_CYCLE_1)
	s_and_b32 s2, s2, exec_lo
	s_or_saveexec_b32 s23, s23
	v_mov_b32_e32 v6, s22
	s_xor_b32 exec_lo, exec_lo, s23
	s_cbranch_execnz .LBB217_474
.LBB217_454:
	s_or_b32 exec_lo, exec_lo, s23
	s_and_saveexec_b32 s22, s2
	s_cbranch_execz .LBB217_456
.LBB217_455:
	v_and_b32_e32 v6, 0xffff, v7
	s_delay_alu instid0(VALU_DEP_1) | instskip(NEXT) | instid1(VALU_DEP_1)
	v_and_b32_e32 v8, 3, v6
	v_clz_i32_u32_e32 v9, v8
	s_delay_alu instid0(VALU_DEP_1) | instskip(NEXT) | instid1(VALU_DEP_1)
	v_min_u32_e32 v9, 32, v9
	v_subrev_nc_u32_e32 v10, 29, v9
	v_sub_nc_u32_e32 v9, 30, v9
	s_delay_alu instid0(VALU_DEP_2) | instskip(SKIP_1) | instid1(VALU_DEP_2)
	v_lshlrev_b32_e32 v10, v10, v6
	v_bfe_u32 v6, v6, 2, 5
	v_and_b32_e32 v10, 3, v10
	s_delay_alu instid0(VALU_DEP_2) | instskip(SKIP_1) | instid1(VALU_DEP_1)
	v_cmp_eq_u32_e32 vcc_lo, 0, v6
	v_dual_cndmask_b32 v6, v6, v9 :: v_dual_lshlrev_b32 v7, 24, v7
	v_dual_cndmask_b32 v8, v8, v10 :: v_dual_and_b32 v7, 0x80000000, v7
	s_delay_alu instid0(VALU_DEP_2) | instskip(NEXT) | instid1(VALU_DEP_2)
	v_lshl_add_u32 v6, v6, 23, 0x37800000
	v_lshlrev_b32_e32 v8, 21, v8
	s_delay_alu instid0(VALU_DEP_1) | instskip(NEXT) | instid1(VALU_DEP_1)
	v_or3_b32 v6, v7, v6, v8
	v_cvt_f16_f32_e32 v6, v6
.LBB217_456:
	s_or_b32 exec_lo, exec_lo, s22
	s_mov_b32 s2, 0
	s_branch .LBB217_462
.LBB217_457:
	s_mov_b32 s22, -1
                                        ; implicit-def: $vgpr6
	s_branch .LBB217_468
.LBB217_458:
	s_or_saveexec_b32 s23, s23
	v_mov_b32_e32 v6, s22
	s_xor_b32 exec_lo, exec_lo, s23
	s_cbranch_execz .LBB217_441
.LBB217_459:
	v_cmp_ne_u16_e32 vcc_lo, 0, v7
	v_mov_b32_e32 v6, v7
	s_and_not1_b32 s2, s2, exec_lo
	s_and_b32 s22, vcc_lo, exec_lo
	s_delay_alu instid0(SALU_CYCLE_1)
	s_or_b32 s2, s2, s22
	s_or_b32 exec_lo, exec_lo, s23
	s_and_saveexec_b32 s22, s2
	s_cbranch_execnz .LBB217_442
	s_branch .LBB217_443
.LBB217_460:
	s_mov_b32 s2, -1
                                        ; implicit-def: $vgpr6
	s_branch .LBB217_465
.LBB217_461:
	s_mov_b32 s2, -1
                                        ; implicit-def: $vgpr6
.LBB217_462:
	s_delay_alu instid0(SALU_CYCLE_1)
	s_and_b32 vcc_lo, exec_lo, s2
	s_cbranch_vccz .LBB217_464
; %bb.463:
	global_load_u8 v6, v[1:2], off
	s_waitcnt vmcnt(0)
	v_lshlrev_b32_e32 v6, 24, v6
	s_delay_alu instid0(VALU_DEP_1) | instskip(NEXT) | instid1(VALU_DEP_1)
	v_and_b32_e32 v7, 0x7f000000, v6
	v_clz_i32_u32_e32 v8, v7
	v_add_nc_u32_e32 v10, 0x1000000, v7
	v_cmp_ne_u32_e32 vcc_lo, 0, v7
	s_delay_alu instid0(VALU_DEP_3) | instskip(NEXT) | instid1(VALU_DEP_1)
	v_min_u32_e32 v8, 32, v8
	v_sub_nc_u32_e64 v8, v8, 4 clamp
	s_delay_alu instid0(VALU_DEP_1) | instskip(SKIP_1) | instid1(VALU_DEP_2)
	v_lshlrev_b32_e32 v9, v8, v7
	v_lshlrev_b32_e32 v8, 23, v8
	v_lshrrev_b32_e32 v9, 4, v9
	s_delay_alu instid0(VALU_DEP_1) | instskip(SKIP_1) | instid1(VALU_DEP_2)
	v_sub_nc_u32_e32 v8, v9, v8
	v_ashrrev_i32_e32 v9, 8, v10
	v_add_nc_u32_e32 v8, 0x3c000000, v8
	s_delay_alu instid0(VALU_DEP_1) | instskip(NEXT) | instid1(VALU_DEP_1)
	v_and_or_b32 v8, 0x7f800000, v9, v8
	v_cndmask_b32_e32 v7, 0, v8, vcc_lo
	s_delay_alu instid0(VALU_DEP_1) | instskip(NEXT) | instid1(VALU_DEP_1)
	v_and_or_b32 v6, 0x80000000, v6, v7
	v_cvt_f16_f32_e32 v6, v6
.LBB217_464:
	s_mov_b32 s2, 0
.LBB217_465:
	s_delay_alu instid0(SALU_CYCLE_1)
	s_and_not1_b32 vcc_lo, exec_lo, s2
	s_cbranch_vccnz .LBB217_467
; %bb.466:
	global_load_u8 v6, v[1:2], off
	s_waitcnt vmcnt(0)
	v_lshlrev_b32_e32 v7, 25, v6
	v_lshlrev_b16 v6, 8, v6
	s_delay_alu instid0(VALU_DEP_2) | instskip(NEXT) | instid1(VALU_DEP_2)
	v_lshrrev_b32_e32 v8, 4, v7
	v_and_or_b32 v9, 0x7f00, v6, 0.5
	v_bfe_i32 v6, v6, 0, 16
	s_delay_alu instid0(VALU_DEP_3) | instskip(NEXT) | instid1(VALU_DEP_1)
	v_or_b32_e32 v8, 0x70000000, v8
	v_dual_add_f32 v9, -0.5, v9 :: v_dual_mul_f32 v8, 0x7800000, v8
	v_cmp_gt_u32_e32 vcc_lo, 0x8000000, v7
	s_delay_alu instid0(VALU_DEP_2) | instskip(NEXT) | instid1(VALU_DEP_1)
	v_cndmask_b32_e32 v7, v8, v9, vcc_lo
	v_and_or_b32 v6, 0x80000000, v6, v7
	s_delay_alu instid0(VALU_DEP_1)
	v_cvt_f16_f32_e32 v6, v6
.LBB217_467:
	s_mov_b32 s22, 0
	s_mov_b32 s2, -1
.LBB217_468:
	s_and_not1_b32 vcc_lo, exec_lo, s22
	s_cbranch_vccnz .LBB217_481
; %bb.469:
	v_cmp_lt_i16_e32 vcc_lo, 14, v4
	s_cbranch_vccz .LBB217_472
; %bb.470:
	v_cmp_eq_u16_e32 vcc_lo, 15, v4
	s_cbranch_vccz .LBB217_475
; %bb.471:
	global_load_u16 v6, v[1:2], off
	s_mov_b32 s2, -1
	s_mov_b32 s3, 0
	s_waitcnt vmcnt(0)
	v_lshlrev_b32_e32 v6, 16, v6
	s_delay_alu instid0(VALU_DEP_1)
	v_cvt_f16_f32_e32 v6, v6
	s_branch .LBB217_476
.LBB217_472:
	s_mov_b32 s22, -1
                                        ; implicit-def: $vgpr6
	s_branch .LBB217_477
.LBB217_473:
	s_or_saveexec_b32 s23, s23
	v_mov_b32_e32 v6, s22
	s_xor_b32 exec_lo, exec_lo, s23
	s_cbranch_execz .LBB217_454
.LBB217_474:
	v_cmp_ne_u16_e32 vcc_lo, 0, v7
	v_mov_b32_e32 v6, v7
	s_and_not1_b32 s2, s2, exec_lo
	s_and_b32 s22, vcc_lo, exec_lo
	s_delay_alu instid0(SALU_CYCLE_1)
	s_or_b32 s2, s2, s22
	s_or_b32 exec_lo, exec_lo, s23
	s_and_saveexec_b32 s22, s2
	s_cbranch_execnz .LBB217_455
	s_branch .LBB217_456
.LBB217_475:
	s_mov_b32 s3, -1
                                        ; implicit-def: $vgpr6
.LBB217_476:
	s_mov_b32 s22, 0
.LBB217_477:
	s_delay_alu instid0(SALU_CYCLE_1)
	s_and_b32 vcc_lo, exec_lo, s22
	s_cbranch_vccz .LBB217_481
; %bb.478:
	v_cmp_eq_u16_e32 vcc_lo, 11, v4
	s_cbranch_vccz .LBB217_480
; %bb.479:
	global_load_u8 v6, v[1:2], off
	s_mov_b32 s3, 0
	s_mov_b32 s2, -1
	s_waitcnt vmcnt(0)
	v_cmp_ne_u16_e32 vcc_lo, 0, v6
	v_cndmask_b32_e64 v6, 0, 0x3c00, vcc_lo
	s_branch .LBB217_481
.LBB217_480:
	s_mov_b32 s3, -1
                                        ; implicit-def: $vgpr6
.LBB217_481:
	s_branch .LBB217_286
.LBB217_482:
	v_cmp_gt_i16_e32 vcc_lo, 5, v4
	s_cbranch_vccnz .LBB217_487
; %bb.483:
	v_cmp_gt_i16_e32 vcc_lo, 8, v4
	s_cbranch_vccnz .LBB217_488
; %bb.484:
	;; [unrolled: 3-line block ×3, first 2 shown]
	v_cmp_lt_i16_e32 vcc_lo, 9, v4
	s_cbranch_vccz .LBB217_490
; %bb.486:
	global_load_b64 v[6:7], v[1:2], off
	s_mov_b32 s2, 0
	s_waitcnt vmcnt(0)
	v_cvt_f32_f64_e32 v6, v[6:7]
	s_delay_alu instid0(VALU_DEP_1)
	v_cvt_f16_f32_e32 v6, v6
	s_branch .LBB217_491
.LBB217_487:
	s_mov_b32 s2, -1
                                        ; implicit-def: $vgpr6
	s_branch .LBB217_509
.LBB217_488:
	s_mov_b32 s2, -1
                                        ; implicit-def: $vgpr6
	s_branch .LBB217_497
.LBB217_489:
	s_mov_b32 s2, -1
                                        ; implicit-def: $vgpr6
	s_branch .LBB217_494
.LBB217_490:
	s_mov_b32 s2, -1
                                        ; implicit-def: $vgpr6
.LBB217_491:
	s_delay_alu instid0(SALU_CYCLE_1)
	s_and_not1_b32 vcc_lo, exec_lo, s2
	s_cbranch_vccnz .LBB217_493
; %bb.492:
	global_load_b32 v6, v[1:2], off
	s_waitcnt vmcnt(0)
	v_cvt_f16_f32_e32 v6, v6
.LBB217_493:
	s_mov_b32 s2, 0
.LBB217_494:
	s_delay_alu instid0(SALU_CYCLE_1)
	s_and_not1_b32 vcc_lo, exec_lo, s2
	s_cbranch_vccnz .LBB217_496
; %bb.495:
	global_load_b32 v6, v[1:2], off
.LBB217_496:
	s_mov_b32 s2, 0
.LBB217_497:
	s_delay_alu instid0(SALU_CYCLE_1)
	s_and_not1_b32 vcc_lo, exec_lo, s2
	s_cbranch_vccnz .LBB217_508
; %bb.498:
	v_cmp_gt_i16_e32 vcc_lo, 6, v4
	s_cbranch_vccnz .LBB217_501
; %bb.499:
	v_cmp_lt_i16_e32 vcc_lo, 6, v4
	s_cbranch_vccz .LBB217_502
; %bb.500:
	global_load_b64 v[6:7], v[1:2], off
	s_mov_b32 s2, 0
	s_waitcnt vmcnt(0)
	v_cvt_f32_f64_e32 v6, v[6:7]
	s_delay_alu instid0(VALU_DEP_1)
	v_cvt_f16_f32_e32 v6, v6
	s_branch .LBB217_503
.LBB217_501:
	s_mov_b32 s2, -1
                                        ; implicit-def: $vgpr6
	s_branch .LBB217_506
.LBB217_502:
	s_mov_b32 s2, -1
                                        ; implicit-def: $vgpr6
.LBB217_503:
	s_delay_alu instid0(SALU_CYCLE_1)
	s_and_not1_b32 vcc_lo, exec_lo, s2
	s_cbranch_vccnz .LBB217_505
; %bb.504:
	global_load_b32 v6, v[1:2], off
	s_waitcnt vmcnt(0)
	v_cvt_f16_f32_e32 v6, v6
.LBB217_505:
	s_mov_b32 s2, 0
.LBB217_506:
	s_delay_alu instid0(SALU_CYCLE_1)
	s_and_not1_b32 vcc_lo, exec_lo, s2
	s_cbranch_vccnz .LBB217_508
; %bb.507:
	global_load_u16 v6, v[1:2], off
.LBB217_508:
	s_mov_b32 s2, 0
.LBB217_509:
	s_delay_alu instid0(SALU_CYCLE_1)
	s_and_not1_b32 vcc_lo, exec_lo, s2
	s_cbranch_vccnz .LBB217_529
; %bb.510:
	v_cmp_gt_i16_e32 vcc_lo, 2, v4
	s_cbranch_vccnz .LBB217_514
; %bb.511:
	v_cmp_gt_i16_e32 vcc_lo, 3, v4
	s_cbranch_vccnz .LBB217_515
; %bb.512:
	v_cmp_lt_i16_e32 vcc_lo, 3, v4
	s_cbranch_vccz .LBB217_516
; %bb.513:
	global_load_b64 v[6:7], v[1:2], off
	s_mov_b32 s2, 0
	s_waitcnt vmcnt(0)
	v_xor_b32_e32 v8, v6, v7
	v_cls_i32_e32 v9, v7
	s_delay_alu instid0(VALU_DEP_2) | instskip(NEXT) | instid1(VALU_DEP_2)
	v_ashrrev_i32_e32 v8, 31, v8
	v_add_nc_u32_e32 v9, -1, v9
	s_delay_alu instid0(VALU_DEP_2) | instskip(NEXT) | instid1(VALU_DEP_1)
	v_add_nc_u32_e32 v8, 32, v8
	v_min_u32_e32 v8, v9, v8
	s_delay_alu instid0(VALU_DEP_1) | instskip(NEXT) | instid1(VALU_DEP_1)
	v_lshlrev_b64 v[6:7], v8, v[6:7]
	v_min_u32_e32 v6, 1, v6
	s_delay_alu instid0(VALU_DEP_1) | instskip(SKIP_1) | instid1(VALU_DEP_2)
	v_or_b32_e32 v6, v7, v6
	v_sub_nc_u32_e32 v7, 32, v8
	v_cvt_f32_i32_e32 v6, v6
	s_delay_alu instid0(VALU_DEP_1) | instskip(NEXT) | instid1(VALU_DEP_1)
	v_ldexp_f32 v6, v6, v7
	v_cvt_f16_f32_e32 v6, v6
	s_branch .LBB217_517
.LBB217_514:
	s_mov_b32 s2, -1
                                        ; implicit-def: $vgpr6
	s_branch .LBB217_523
.LBB217_515:
	s_mov_b32 s2, -1
                                        ; implicit-def: $vgpr6
	s_branch .LBB217_520
.LBB217_516:
	s_mov_b32 s2, -1
                                        ; implicit-def: $vgpr6
.LBB217_517:
	s_delay_alu instid0(SALU_CYCLE_1)
	s_and_not1_b32 vcc_lo, exec_lo, s2
	s_cbranch_vccnz .LBB217_519
; %bb.518:
	global_load_b32 v6, v[1:2], off
	s_waitcnt vmcnt(0)
	v_cvt_f32_i32_e32 v6, v6
	s_delay_alu instid0(VALU_DEP_1)
	v_cvt_f16_f32_e32 v6, v6
.LBB217_519:
	s_mov_b32 s2, 0
.LBB217_520:
	s_delay_alu instid0(SALU_CYCLE_1)
	s_and_not1_b32 vcc_lo, exec_lo, s2
	s_cbranch_vccnz .LBB217_522
; %bb.521:
	global_load_u16 v6, v[1:2], off
	s_waitcnt vmcnt(0)
	v_cvt_f16_i16_e32 v6, v6
.LBB217_522:
	s_mov_b32 s2, 0
.LBB217_523:
	s_delay_alu instid0(SALU_CYCLE_1)
	s_and_not1_b32 vcc_lo, exec_lo, s2
	s_cbranch_vccnz .LBB217_529
; %bb.524:
	v_cmp_lt_i16_e32 vcc_lo, 0, v4
	s_mov_b32 s2, 0
	s_cbranch_vccz .LBB217_526
; %bb.525:
	global_load_i8 v6, v[1:2], off
	s_waitcnt vmcnt(0)
	v_cvt_f16_i16_e32 v6, v6
	s_branch .LBB217_527
.LBB217_526:
	s_mov_b32 s2, -1
                                        ; implicit-def: $vgpr6
.LBB217_527:
	s_delay_alu instid0(SALU_CYCLE_1)
	s_and_not1_b32 vcc_lo, exec_lo, s2
	s_cbranch_vccnz .LBB217_529
; %bb.528:
	global_load_u8 v1, v[1:2], off
	s_waitcnt vmcnt(0)
	v_cvt_f16_u16_e32 v6, v1
.LBB217_529:
	s_branch .LBB217_287
.LBB217_530:
	s_mov_b32 s22, 0
	s_mov_b32 s2, s34
.LBB217_531:
                                        ; implicit-def: $vgpr5
.LBB217_532:
	s_and_not1_b32 s23, s34, exec_lo
	s_and_b32 s2, s2, exec_lo
	s_and_not1_b32 s37, s35, exec_lo
	s_and_b32 s3, s3, exec_lo
	s_or_b32 s38, s23, s2
	s_or_b32 s37, s37, s3
	s_or_not1_b32 s2, s22, exec_lo
.LBB217_533:
	s_or_b32 exec_lo, exec_lo, s39
	s_mov_b32 s3, 0
	s_mov_b32 s23, 0
	;; [unrolled: 1-line block ×3, first 2 shown]
                                        ; implicit-def: $vgpr1_vgpr2
                                        ; implicit-def: $vgpr0
                                        ; implicit-def: $vgpr6
	s_and_saveexec_b32 s39, s2
	s_cbranch_execz .LBB217_905
; %bb.534:
	s_mov_b32 s42, -1
	s_mov_b32 s22, s37
	s_mov_b32 s23, s38
	s_mov_b32 s40, exec_lo
	v_cmpx_gt_i32_e64 s30, v5
	s_cbranch_execz .LBB217_806
; %bb.535:
	s_and_not1_b32 vcc_lo, exec_lo, s27
	s_cbranch_vccnz .LBB217_540
; %bb.536:
	v_dual_mov_b32 v0, 0 :: v_dual_mov_b32 v1, 0
	s_and_not1_b32 vcc_lo, exec_lo, s33
	s_mov_b32 s41, 0
	s_cbranch_vccnz .LBB217_545
; %bb.537:
	v_mov_b32_e32 v0, 0
	s_add_i32 s43, s31, 1
	s_cmp_eq_u32 s25, 2
	s_mov_b32 s42, 0
	s_cbranch_scc1 .LBB217_541
; %bb.538:
	v_dual_mov_b32 v1, 0 :: v_dual_mov_b32 v0, 0
	v_mov_b32_e32 v2, v5
	s_and_b32 s42, s43, 28
	s_mov_b32 s44, 0
	s_mov_b64 s[2:3], s[20:21]
	s_mov_b64 s[22:23], s[16:17]
.LBB217_539:                            ; =>This Inner Loop Header: Depth=1
	s_clause 0x1
	s_load_b256 s[48:55], s[22:23], 0x4
	s_load_b128 s[64:67], s[22:23], 0x24
	s_load_b256 s[56:63], s[2:3], 0x0
	s_add_u32 s22, s22, 48
	s_addc_u32 s23, s23, 0
	s_add_i32 s44, s44, 4
	s_add_u32 s2, s2, 32
	s_addc_u32 s3, s3, 0
	s_cmp_eq_u32 s42, s44
	s_waitcnt vmcnt(0) lgkmcnt(0)
	v_mul_hi_u32 v6, s49, v2
	s_delay_alu instid0(VALU_DEP_1) | instskip(NEXT) | instid1(VALU_DEP_1)
	v_add_nc_u32_e32 v6, v2, v6
	v_lshrrev_b32_e32 v6, s50, v6
	s_delay_alu instid0(VALU_DEP_1) | instskip(SKIP_1) | instid1(VALU_DEP_2)
	v_mul_hi_u32 v7, s52, v6
	v_mul_lo_u32 v9, v6, s48
	v_add_nc_u32_e32 v7, v6, v7
	s_delay_alu instid0(VALU_DEP_2) | instskip(NEXT) | instid1(VALU_DEP_2)
	v_sub_nc_u32_e32 v2, v2, v9
	v_lshrrev_b32_e32 v7, s53, v7
	s_delay_alu instid0(VALU_DEP_2) | instskip(SKIP_1) | instid1(VALU_DEP_3)
	v_mul_lo_u32 v9, v2, s56
	v_mul_lo_u32 v11, v2, s57
	v_mul_hi_u32 v8, s55, v7
	s_delay_alu instid0(VALU_DEP_1) | instskip(NEXT) | instid1(VALU_DEP_1)
	v_add_nc_u32_e32 v8, v7, v8
	v_lshrrev_b32_e32 v8, s64, v8
	s_delay_alu instid0(VALU_DEP_1) | instskip(SKIP_1) | instid1(VALU_DEP_2)
	v_mul_hi_u32 v10, s66, v8
	v_mul_lo_u32 v12, v8, s54
	v_add_nc_u32_e32 v2, v8, v10
	v_mul_lo_u32 v10, v7, s51
	s_delay_alu instid0(VALU_DEP_3) | instskip(NEXT) | instid1(VALU_DEP_3)
	v_sub_nc_u32_e32 v7, v7, v12
	v_lshrrev_b32_e32 v2, s67, v2
	s_delay_alu instid0(VALU_DEP_2) | instskip(SKIP_2) | instid1(VALU_DEP_4)
	v_mul_lo_u32 v12, v7, s60
	v_mul_lo_u32 v7, v7, s61
	v_sub_nc_u32_e32 v6, v6, v10
	v_mul_lo_u32 v13, v2, s65
	s_delay_alu instid0(VALU_DEP_2) | instskip(SKIP_1) | instid1(VALU_DEP_3)
	v_mul_lo_u32 v10, v6, s58
	v_mul_lo_u32 v6, v6, s59
	v_sub_nc_u32_e32 v8, v8, v13
	s_delay_alu instid0(VALU_DEP_3) | instskip(NEXT) | instid1(VALU_DEP_2)
	v_add3_u32 v0, v9, v0, v10
	v_mul_lo_u32 v13, v8, s62
	v_mul_lo_u32 v8, v8, s63
	v_add3_u32 v1, v11, v1, v6
	s_delay_alu instid0(VALU_DEP_3) | instskip(NEXT) | instid1(VALU_DEP_2)
	v_add3_u32 v0, v12, v0, v13
	v_add3_u32 v1, v7, v1, v8
	s_cbranch_scc0 .LBB217_539
	s_branch .LBB217_542
.LBB217_540:
	s_mov_b32 s41, -1
                                        ; implicit-def: $vgpr0
                                        ; implicit-def: $vgpr1
	s_branch .LBB217_545
.LBB217_541:
	v_dual_mov_b32 v2, v5 :: v_dual_mov_b32 v1, 0
.LBB217_542:
	s_and_b32 s43, s43, 3
	s_delay_alu instid0(SALU_CYCLE_1)
	s_cmp_eq_u32 s43, 0
	s_cbranch_scc1 .LBB217_545
; %bb.543:
	s_lshl_b32 s2, s42, 3
	s_mul_i32 s22, s42, 12
	s_add_u32 s2, s2, s16
	s_addc_u32 s3, s17, 0
	s_add_u32 s2, s2, 0xc4
	s_addc_u32 s3, s3, 0
	;; [unrolled: 2-line block ×3, first 2 shown]
	.p2align	6
.LBB217_544:                            ; =>This Inner Loop Header: Depth=1
	s_clause 0x1
	s_load_b64 s[44:45], s[22:23], 0x4
	s_load_b32 s42, s[22:23], 0xc
	s_load_b64 s[46:47], s[2:3], 0x0
	s_add_u32 s22, s22, 12
	s_addc_u32 s23, s23, 0
	s_add_u32 s2, s2, 8
	s_addc_u32 s3, s3, 0
	s_add_i32 s43, s43, -1
	s_delay_alu instid0(SALU_CYCLE_1) | instskip(SKIP_2) | instid1(VALU_DEP_1)
	s_cmp_lg_u32 s43, 0
	s_waitcnt vmcnt(0) lgkmcnt(0)
	v_mul_hi_u32 v6, s45, v2
	v_add_nc_u32_e32 v6, v2, v6
	s_delay_alu instid0(VALU_DEP_1) | instskip(NEXT) | instid1(VALU_DEP_1)
	v_lshrrev_b32_e32 v9, s42, v6
	v_mul_lo_u32 v6, v9, s44
	s_delay_alu instid0(VALU_DEP_1) | instskip(NEXT) | instid1(VALU_DEP_1)
	v_sub_nc_u32_e32 v2, v2, v6
	v_mad_u64_u32 v[6:7], null, v2, s46, v[0:1]
	v_mad_u64_u32 v[7:8], null, v2, s47, v[1:2]
	v_mov_b32_e32 v2, v9
	s_delay_alu instid0(VALU_DEP_2)
	v_dual_mov_b32 v0, v6 :: v_dual_mov_b32 v1, v7
	s_cbranch_scc1 .LBB217_544
.LBB217_545:
	s_and_not1_b32 vcc_lo, exec_lo, s41
	s_cbranch_vccnz .LBB217_548
; %bb.546:
	s_waitcnt lgkmcnt(0)
	v_mul_hi_u32 v0, s13, v5
	s_and_not1_b32 vcc_lo, exec_lo, s29
	s_delay_alu instid0(VALU_DEP_1) | instskip(NEXT) | instid1(VALU_DEP_1)
	v_add_nc_u32_e32 v0, v5, v0
	v_lshrrev_b32_e32 v2, s14, v0
	s_delay_alu instid0(VALU_DEP_1) | instskip(NEXT) | instid1(VALU_DEP_1)
	v_mul_lo_u32 v0, v2, s12
	v_sub_nc_u32_e32 v1, v5, v0
	s_delay_alu instid0(VALU_DEP_1)
	v_mul_lo_u32 v0, v1, s8
	v_mul_lo_u32 v1, v1, s9
	s_cbranch_vccnz .LBB217_548
; %bb.547:
	s_waitcnt vmcnt(0)
	v_mul_hi_u32 v6, s18, v2
	s_delay_alu instid0(VALU_DEP_1) | instskip(NEXT) | instid1(VALU_DEP_1)
	v_add_nc_u32_e32 v6, v2, v6
	v_lshrrev_b32_e32 v6, s19, v6
	s_delay_alu instid0(VALU_DEP_1) | instskip(NEXT) | instid1(VALU_DEP_1)
	v_mul_lo_u32 v6, v6, s15
	v_sub_nc_u32_e32 v2, v2, v6
	s_delay_alu instid0(VALU_DEP_1) | instskip(SKIP_1) | instid1(VALU_DEP_1)
	v_mad_u64_u32 v[6:7], null, v2, s10, v[0:1]
	v_mad_u64_u32 v[7:8], null, v2, s11, v[1:2]
	v_dual_mov_b32 v0, v6 :: v_dual_mov_b32 v1, v7
.LBB217_548:
	v_cmp_gt_i16_e32 vcc_lo, 11, v4
	s_waitcnt lgkmcnt(0)
	s_delay_alu instid0(VALU_DEP_2) | instskip(NEXT) | instid1(VALU_DEP_1)
	v_add_co_u32 v1, s2, s6, v1
	v_add_co_ci_u32_e64 v2, null, s7, 0, s2
	s_mov_b32 s2, 0
	s_cbranch_vccnz .LBB217_555
; %bb.549:
	v_cmp_lt_i16_e32 vcc_lo, 25, v4
	s_cbranch_vccz .LBB217_556
; %bb.550:
	v_cmp_lt_i16_e32 vcc_lo, 28, v4
	s_cbranch_vccz .LBB217_557
	;; [unrolled: 3-line block ×4, first 2 shown]
; %bb.553:
	v_cmp_eq_u16_e32 vcc_lo, 46, v4
	s_mov_b32 s22, 0
	s_cbranch_vccz .LBB217_564
; %bb.554:
	global_load_b32 v6, v[1:2], off
	s_mov_b32 s2, -1
	s_mov_b32 s3, 0
	s_waitcnt vmcnt(0)
	v_lshlrev_b32_e32 v6, 16, v6
	s_delay_alu instid0(VALU_DEP_1)
	v_cvt_f16_f32_e32 v6, v6
	s_branch .LBB217_566
.LBB217_555:
	s_mov_b32 s22, -1
	s_mov_b32 s3, s37
                                        ; implicit-def: $vgpr6
	s_branch .LBB217_631
.LBB217_556:
	s_mov_b32 s22, -1
	s_mov_b32 s3, s37
                                        ; implicit-def: $vgpr6
	s_branch .LBB217_595
.LBB217_557:
	s_mov_b32 s22, -1
	s_mov_b32 s3, s37
                                        ; implicit-def: $vgpr6
	s_branch .LBB217_576
.LBB217_558:
	s_mov_b32 s22, -1
	s_mov_b32 s3, s37
                                        ; implicit-def: $vgpr6
	s_branch .LBB217_571
.LBB217_559:
	s_or_saveexec_b32 s37, s37
                                        ; implicit-def: $sgpr38
	s_delay_alu instid0(SALU_CYCLE_1)
	s_xor_b32 exec_lo, exec_lo, s37
	s_cbranch_execz .LBB217_370
.LBB217_560:
	v_add_f32_e64 v8, 0x46000000, |v7|
	s_and_not1_b32 s23, s23, exec_lo
	s_mov_b32 s38, 0
	s_delay_alu instid0(VALU_DEP_1) | instskip(NEXT) | instid1(VALU_DEP_1)
	v_and_b32_e32 v8, 0xff, v8
	v_cmp_ne_u32_e32 vcc_lo, 0, v8
	s_and_b32 s40, vcc_lo, exec_lo
	s_delay_alu instid0(SALU_CYCLE_1)
	s_or_b32 s23, s23, s40
	s_or_b32 exec_lo, exec_lo, s37
	v_mov_b32_e32 v9, s38
	s_and_saveexec_b32 s37, s23
	s_cbranch_execnz .LBB217_371
	s_branch .LBB217_372
.LBB217_561:
	s_mov_b32 s22, -1
	s_mov_b32 s3, s37
	s_branch .LBB217_565
.LBB217_562:
	s_or_saveexec_b32 s37, s37
                                        ; implicit-def: $sgpr38
	s_delay_alu instid0(SALU_CYCLE_1)
	s_xor_b32 exec_lo, exec_lo, s37
	s_cbranch_execz .LBB217_383
.LBB217_563:
	v_add_f32_e64 v8, 0x42800000, |v7|
	s_and_not1_b32 s23, s23, exec_lo
	s_mov_b32 s38, 0
	s_delay_alu instid0(VALU_DEP_1) | instskip(NEXT) | instid1(VALU_DEP_1)
	v_and_b32_e32 v8, 0xff, v8
	v_cmp_ne_u32_e32 vcc_lo, 0, v8
	s_and_b32 s40, vcc_lo, exec_lo
	s_delay_alu instid0(SALU_CYCLE_1)
	s_or_b32 s23, s23, s40
	s_or_b32 exec_lo, exec_lo, s37
	v_mov_b32_e32 v9, s38
	s_and_saveexec_b32 s37, s23
	s_cbranch_execnz .LBB217_384
	s_branch .LBB217_385
.LBB217_564:
	s_mov_b32 s3, -1
.LBB217_565:
                                        ; implicit-def: $vgpr6
.LBB217_566:
	s_and_b32 vcc_lo, exec_lo, s22
	s_cbranch_vccz .LBB217_570
; %bb.567:
	v_cmp_eq_u16_e32 vcc_lo, 44, v4
	s_cbranch_vccz .LBB217_569
; %bb.568:
	global_load_u8 v6, v[1:2], off
	s_mov_b32 s3, 0
	s_mov_b32 s2, -1
	s_waitcnt vmcnt(0)
	v_lshlrev_b32_e32 v7, 23, v6
	v_cmp_ne_u32_e32 vcc_lo, 0xff, v6
	s_delay_alu instid0(VALU_DEP_2) | instskip(NEXT) | instid1(VALU_DEP_1)
	v_cvt_f16_f32_e32 v7, v7
	v_cndmask_b32_e32 v7, 0x7e00, v7, vcc_lo
	v_cmp_ne_u32_e32 vcc_lo, 0, v6
	s_delay_alu instid0(VALU_DEP_2)
	v_cndmask_b32_e32 v6, 0, v7, vcc_lo
	s_branch .LBB217_570
.LBB217_569:
	s_mov_b32 s3, -1
                                        ; implicit-def: $vgpr6
.LBB217_570:
	s_mov_b32 s22, 0
.LBB217_571:
	s_delay_alu instid0(SALU_CYCLE_1)
	s_and_b32 vcc_lo, exec_lo, s22
	s_cbranch_vccz .LBB217_575
; %bb.572:
	v_cmp_eq_u16_e32 vcc_lo, 29, v4
	s_cbranch_vccz .LBB217_574
; %bb.573:
	global_load_b64 v[6:7], v[1:2], off
	s_mov_b32 s2, -1
	s_mov_b32 s3, 0
	s_mov_b32 s22, 0
	s_waitcnt vmcnt(0)
	v_clz_i32_u32_e32 v8, v7
	s_delay_alu instid0(VALU_DEP_1) | instskip(NEXT) | instid1(VALU_DEP_1)
	v_min_u32_e32 v8, 32, v8
	v_lshlrev_b64 v[6:7], v8, v[6:7]
	s_delay_alu instid0(VALU_DEP_1) | instskip(NEXT) | instid1(VALU_DEP_1)
	v_min_u32_e32 v6, 1, v6
	v_or_b32_e32 v6, v7, v6
	v_sub_nc_u32_e32 v7, 32, v8
	s_delay_alu instid0(VALU_DEP_2) | instskip(NEXT) | instid1(VALU_DEP_1)
	v_cvt_f32_u32_e32 v6, v6
	v_ldexp_f32 v6, v6, v7
	s_delay_alu instid0(VALU_DEP_1)
	v_cvt_f16_f32_e32 v6, v6
	s_branch .LBB217_576
.LBB217_574:
	s_mov_b32 s3, -1
                                        ; implicit-def: $vgpr6
.LBB217_575:
	s_mov_b32 s22, 0
.LBB217_576:
	s_delay_alu instid0(SALU_CYCLE_1)
	s_and_b32 vcc_lo, exec_lo, s22
	s_cbranch_vccz .LBB217_594
; %bb.577:
	v_cmp_gt_i16_e32 vcc_lo, 27, v4
	s_cbranch_vccnz .LBB217_580
; %bb.578:
	v_cmp_lt_i16_e32 vcc_lo, 27, v4
	s_cbranch_vccz .LBB217_581
; %bb.579:
	global_load_b32 v6, v[1:2], off
	s_mov_b32 s2, 0
	s_waitcnt vmcnt(0)
	v_cvt_f32_u32_e32 v6, v6
	s_delay_alu instid0(VALU_DEP_1)
	v_cvt_f16_f32_e32 v6, v6
	s_branch .LBB217_582
.LBB217_580:
	s_mov_b32 s2, -1
                                        ; implicit-def: $vgpr6
	s_branch .LBB217_585
.LBB217_581:
	s_mov_b32 s2, -1
                                        ; implicit-def: $vgpr6
.LBB217_582:
	s_delay_alu instid0(SALU_CYCLE_1)
	s_and_not1_b32 vcc_lo, exec_lo, s2
	s_cbranch_vccnz .LBB217_584
; %bb.583:
	global_load_u16 v6, v[1:2], off
	s_waitcnt vmcnt(0)
	v_cvt_f16_u16_e32 v6, v6
.LBB217_584:
	s_mov_b32 s2, 0
.LBB217_585:
	s_delay_alu instid0(SALU_CYCLE_1)
	s_and_not1_b32 vcc_lo, exec_lo, s2
	s_cbranch_vccnz .LBB217_593
; %bb.586:
	global_load_u8 v7, v[1:2], off
	s_mov_b32 s2, 0
	s_mov_b32 s23, exec_lo
                                        ; implicit-def: $sgpr22
	s_waitcnt vmcnt(0)
	v_cmpx_lt_i16_e32 0x7f, v7
	s_xor_b32 s23, exec_lo, s23
	s_cbranch_execz .LBB217_607
; %bb.587:
	s_mov_b32 s2, -1
	s_mov_b32 s41, exec_lo
                                        ; implicit-def: $sgpr22
	v_cmpx_eq_u16_e32 0x80, v7
; %bb.588:
	s_movk_i32 s22, 0x7e00
	s_xor_b32 s2, exec_lo, -1
; %bb.589:
	s_or_b32 exec_lo, exec_lo, s41
	s_delay_alu instid0(SALU_CYCLE_1)
	s_and_b32 s2, s2, exec_lo
	s_or_saveexec_b32 s23, s23
	v_mov_b32_e32 v6, s22
	s_xor_b32 exec_lo, exec_lo, s23
	s_cbranch_execnz .LBB217_608
.LBB217_590:
	s_or_b32 exec_lo, exec_lo, s23
	s_and_saveexec_b32 s22, s2
	s_cbranch_execz .LBB217_592
.LBB217_591:
	v_and_b32_e32 v6, 0xffff, v7
	s_delay_alu instid0(VALU_DEP_1) | instskip(NEXT) | instid1(VALU_DEP_1)
	v_and_b32_e32 v8, 7, v6
	v_clz_i32_u32_e32 v9, v8
	s_delay_alu instid0(VALU_DEP_1) | instskip(NEXT) | instid1(VALU_DEP_1)
	v_min_u32_e32 v9, 32, v9
	v_subrev_nc_u32_e32 v10, 28, v9
	v_sub_nc_u32_e32 v9, 29, v9
	s_delay_alu instid0(VALU_DEP_2) | instskip(SKIP_1) | instid1(VALU_DEP_2)
	v_lshlrev_b32_e32 v10, v10, v6
	v_bfe_u32 v6, v6, 3, 4
	v_and_b32_e32 v10, 7, v10
	s_delay_alu instid0(VALU_DEP_2) | instskip(SKIP_1) | instid1(VALU_DEP_1)
	v_cmp_eq_u32_e32 vcc_lo, 0, v6
	v_dual_cndmask_b32 v6, v6, v9 :: v_dual_lshlrev_b32 v7, 24, v7
	v_dual_cndmask_b32 v8, v8, v10 :: v_dual_and_b32 v7, 0x80000000, v7
	s_delay_alu instid0(VALU_DEP_2) | instskip(NEXT) | instid1(VALU_DEP_2)
	v_lshl_add_u32 v6, v6, 23, 0x3b800000
	v_lshlrev_b32_e32 v8, 20, v8
	s_delay_alu instid0(VALU_DEP_1) | instskip(NEXT) | instid1(VALU_DEP_1)
	v_or3_b32 v6, v7, v6, v8
	v_cvt_f16_f32_e32 v6, v6
.LBB217_592:
	s_or_b32 exec_lo, exec_lo, s22
.LBB217_593:
	s_mov_b32 s2, -1
.LBB217_594:
	s_mov_b32 s22, 0
.LBB217_595:
	s_delay_alu instid0(SALU_CYCLE_1)
	s_and_b32 vcc_lo, exec_lo, s22
	s_cbranch_vccz .LBB217_630
; %bb.596:
	v_cmp_lt_i16_e32 vcc_lo, 22, v4
	s_cbranch_vccz .LBB217_606
; %bb.597:
	v_cmp_gt_i16_e32 vcc_lo, 24, v4
	s_cbranch_vccnz .LBB217_609
; %bb.598:
	v_cmp_lt_i16_e32 vcc_lo, 24, v4
	s_cbranch_vccz .LBB217_610
; %bb.599:
	global_load_u8 v7, v[1:2], off
	s_mov_b32 s2, 0
	s_mov_b32 s23, exec_lo
                                        ; implicit-def: $sgpr22
	s_waitcnt vmcnt(0)
	v_cmpx_lt_i16_e32 0x7f, v7
	s_xor_b32 s23, exec_lo, s23
	s_cbranch_execz .LBB217_622
; %bb.600:
	s_mov_b32 s2, -1
	s_mov_b32 s41, exec_lo
                                        ; implicit-def: $sgpr22
	v_cmpx_eq_u16_e32 0x80, v7
; %bb.601:
	s_movk_i32 s22, 0x7e00
	s_xor_b32 s2, exec_lo, -1
; %bb.602:
	s_or_b32 exec_lo, exec_lo, s41
	s_delay_alu instid0(SALU_CYCLE_1)
	s_and_b32 s2, s2, exec_lo
	s_or_saveexec_b32 s23, s23
	v_mov_b32_e32 v6, s22
	s_xor_b32 exec_lo, exec_lo, s23
	s_cbranch_execnz .LBB217_623
.LBB217_603:
	s_or_b32 exec_lo, exec_lo, s23
	s_and_saveexec_b32 s22, s2
	s_cbranch_execz .LBB217_605
.LBB217_604:
	v_and_b32_e32 v6, 0xffff, v7
	s_delay_alu instid0(VALU_DEP_1) | instskip(NEXT) | instid1(VALU_DEP_1)
	v_and_b32_e32 v8, 3, v6
	v_clz_i32_u32_e32 v9, v8
	s_delay_alu instid0(VALU_DEP_1) | instskip(NEXT) | instid1(VALU_DEP_1)
	v_min_u32_e32 v9, 32, v9
	v_subrev_nc_u32_e32 v10, 29, v9
	v_sub_nc_u32_e32 v9, 30, v9
	s_delay_alu instid0(VALU_DEP_2) | instskip(SKIP_1) | instid1(VALU_DEP_2)
	v_lshlrev_b32_e32 v10, v10, v6
	v_bfe_u32 v6, v6, 2, 5
	v_and_b32_e32 v10, 3, v10
	s_delay_alu instid0(VALU_DEP_2) | instskip(SKIP_1) | instid1(VALU_DEP_1)
	v_cmp_eq_u32_e32 vcc_lo, 0, v6
	v_dual_cndmask_b32 v6, v6, v9 :: v_dual_lshlrev_b32 v7, 24, v7
	v_dual_cndmask_b32 v8, v8, v10 :: v_dual_and_b32 v7, 0x80000000, v7
	s_delay_alu instid0(VALU_DEP_2) | instskip(NEXT) | instid1(VALU_DEP_2)
	v_lshl_add_u32 v6, v6, 23, 0x37800000
	v_lshlrev_b32_e32 v8, 21, v8
	s_delay_alu instid0(VALU_DEP_1) | instskip(NEXT) | instid1(VALU_DEP_1)
	v_or3_b32 v6, v7, v6, v8
	v_cvt_f16_f32_e32 v6, v6
.LBB217_605:
	s_or_b32 exec_lo, exec_lo, s22
	s_mov_b32 s2, 0
	s_branch .LBB217_611
.LBB217_606:
	s_mov_b32 s22, -1
                                        ; implicit-def: $vgpr6
	s_branch .LBB217_617
.LBB217_607:
	s_or_saveexec_b32 s23, s23
	v_mov_b32_e32 v6, s22
	s_xor_b32 exec_lo, exec_lo, s23
	s_cbranch_execz .LBB217_590
.LBB217_608:
	v_cmp_ne_u16_e32 vcc_lo, 0, v7
	v_mov_b32_e32 v6, v7
	s_and_not1_b32 s2, s2, exec_lo
	s_and_b32 s22, vcc_lo, exec_lo
	s_delay_alu instid0(SALU_CYCLE_1)
	s_or_b32 s2, s2, s22
	s_or_b32 exec_lo, exec_lo, s23
	s_and_saveexec_b32 s22, s2
	s_cbranch_execnz .LBB217_591
	s_branch .LBB217_592
.LBB217_609:
	s_mov_b32 s2, -1
                                        ; implicit-def: $vgpr6
	s_branch .LBB217_614
.LBB217_610:
	s_mov_b32 s2, -1
                                        ; implicit-def: $vgpr6
.LBB217_611:
	s_delay_alu instid0(SALU_CYCLE_1)
	s_and_b32 vcc_lo, exec_lo, s2
	s_cbranch_vccz .LBB217_613
; %bb.612:
	global_load_u8 v6, v[1:2], off
	s_waitcnt vmcnt(0)
	v_lshlrev_b32_e32 v6, 24, v6
	s_delay_alu instid0(VALU_DEP_1) | instskip(NEXT) | instid1(VALU_DEP_1)
	v_and_b32_e32 v7, 0x7f000000, v6
	v_clz_i32_u32_e32 v8, v7
	v_add_nc_u32_e32 v10, 0x1000000, v7
	v_cmp_ne_u32_e32 vcc_lo, 0, v7
	s_delay_alu instid0(VALU_DEP_3) | instskip(NEXT) | instid1(VALU_DEP_1)
	v_min_u32_e32 v8, 32, v8
	v_sub_nc_u32_e64 v8, v8, 4 clamp
	s_delay_alu instid0(VALU_DEP_1) | instskip(SKIP_1) | instid1(VALU_DEP_2)
	v_lshlrev_b32_e32 v9, v8, v7
	v_lshlrev_b32_e32 v8, 23, v8
	v_lshrrev_b32_e32 v9, 4, v9
	s_delay_alu instid0(VALU_DEP_1) | instskip(SKIP_1) | instid1(VALU_DEP_2)
	v_sub_nc_u32_e32 v8, v9, v8
	v_ashrrev_i32_e32 v9, 8, v10
	v_add_nc_u32_e32 v8, 0x3c000000, v8
	s_delay_alu instid0(VALU_DEP_1) | instskip(NEXT) | instid1(VALU_DEP_1)
	v_and_or_b32 v8, 0x7f800000, v9, v8
	v_cndmask_b32_e32 v7, 0, v8, vcc_lo
	s_delay_alu instid0(VALU_DEP_1) | instskip(NEXT) | instid1(VALU_DEP_1)
	v_and_or_b32 v6, 0x80000000, v6, v7
	v_cvt_f16_f32_e32 v6, v6
.LBB217_613:
	s_mov_b32 s2, 0
.LBB217_614:
	s_delay_alu instid0(SALU_CYCLE_1)
	s_and_not1_b32 vcc_lo, exec_lo, s2
	s_cbranch_vccnz .LBB217_616
; %bb.615:
	global_load_u8 v6, v[1:2], off
	s_waitcnt vmcnt(0)
	v_lshlrev_b32_e32 v7, 25, v6
	v_lshlrev_b16 v6, 8, v6
	s_delay_alu instid0(VALU_DEP_2) | instskip(NEXT) | instid1(VALU_DEP_2)
	v_lshrrev_b32_e32 v8, 4, v7
	v_and_or_b32 v9, 0x7f00, v6, 0.5
	v_bfe_i32 v6, v6, 0, 16
	s_delay_alu instid0(VALU_DEP_3) | instskip(NEXT) | instid1(VALU_DEP_1)
	v_or_b32_e32 v8, 0x70000000, v8
	v_dual_add_f32 v9, -0.5, v9 :: v_dual_mul_f32 v8, 0x7800000, v8
	v_cmp_gt_u32_e32 vcc_lo, 0x8000000, v7
	s_delay_alu instid0(VALU_DEP_2) | instskip(NEXT) | instid1(VALU_DEP_1)
	v_cndmask_b32_e32 v7, v8, v9, vcc_lo
	v_and_or_b32 v6, 0x80000000, v6, v7
	s_delay_alu instid0(VALU_DEP_1)
	v_cvt_f16_f32_e32 v6, v6
.LBB217_616:
	s_mov_b32 s22, 0
	s_mov_b32 s2, -1
.LBB217_617:
	s_and_not1_b32 vcc_lo, exec_lo, s22
	s_cbranch_vccnz .LBB217_630
; %bb.618:
	v_cmp_lt_i16_e32 vcc_lo, 14, v4
	s_cbranch_vccz .LBB217_621
; %bb.619:
	v_cmp_eq_u16_e32 vcc_lo, 15, v4
	s_cbranch_vccz .LBB217_624
; %bb.620:
	global_load_u16 v6, v[1:2], off
	s_mov_b32 s2, -1
	s_mov_b32 s3, 0
	s_waitcnt vmcnt(0)
	v_lshlrev_b32_e32 v6, 16, v6
	s_delay_alu instid0(VALU_DEP_1)
	v_cvt_f16_f32_e32 v6, v6
	s_branch .LBB217_625
.LBB217_621:
	s_mov_b32 s22, -1
                                        ; implicit-def: $vgpr6
	s_branch .LBB217_626
.LBB217_622:
	s_or_saveexec_b32 s23, s23
	v_mov_b32_e32 v6, s22
	s_xor_b32 exec_lo, exec_lo, s23
	s_cbranch_execz .LBB217_603
.LBB217_623:
	v_cmp_ne_u16_e32 vcc_lo, 0, v7
	v_mov_b32_e32 v6, v7
	s_and_not1_b32 s2, s2, exec_lo
	s_and_b32 s22, vcc_lo, exec_lo
	s_delay_alu instid0(SALU_CYCLE_1)
	s_or_b32 s2, s2, s22
	s_or_b32 exec_lo, exec_lo, s23
	s_and_saveexec_b32 s22, s2
	s_cbranch_execnz .LBB217_604
	s_branch .LBB217_605
.LBB217_624:
	s_mov_b32 s3, -1
                                        ; implicit-def: $vgpr6
.LBB217_625:
	s_mov_b32 s22, 0
.LBB217_626:
	s_delay_alu instid0(SALU_CYCLE_1)
	s_and_b32 vcc_lo, exec_lo, s22
	s_cbranch_vccz .LBB217_630
; %bb.627:
	v_cmp_eq_u16_e32 vcc_lo, 11, v4
	s_cbranch_vccz .LBB217_629
; %bb.628:
	global_load_u8 v6, v[1:2], off
	s_mov_b32 s3, 0
	s_mov_b32 s2, -1
	s_waitcnt vmcnt(0)
	v_cmp_ne_u16_e32 vcc_lo, 0, v6
	v_cndmask_b32_e64 v6, 0, 0x3c00, vcc_lo
	s_branch .LBB217_630
.LBB217_629:
	s_mov_b32 s3, -1
                                        ; implicit-def: $vgpr6
.LBB217_630:
	s_mov_b32 s22, 0
.LBB217_631:
	s_delay_alu instid0(SALU_CYCLE_1)
	s_and_b32 vcc_lo, exec_lo, s22
	s_cbranch_vccz .LBB217_680
; %bb.632:
	v_cmp_gt_i16_e32 vcc_lo, 5, v4
	s_cbranch_vccnz .LBB217_637
; %bb.633:
	v_cmp_gt_i16_e32 vcc_lo, 8, v4
	s_cbranch_vccnz .LBB217_638
; %bb.634:
	v_cmp_gt_i16_e32 vcc_lo, 9, v4
	s_cbranch_vccnz .LBB217_639
; %bb.635:
	v_cmp_lt_i16_e32 vcc_lo, 9, v4
	s_cbranch_vccz .LBB217_640
; %bb.636:
	global_load_b64 v[6:7], v[1:2], off
	s_mov_b32 s2, 0
	s_waitcnt vmcnt(0)
	v_cvt_f32_f64_e32 v6, v[6:7]
	s_delay_alu instid0(VALU_DEP_1)
	v_cvt_f16_f32_e32 v6, v6
	s_branch .LBB217_641
.LBB217_637:
	s_mov_b32 s2, -1
                                        ; implicit-def: $vgpr6
	s_branch .LBB217_659
.LBB217_638:
	s_mov_b32 s2, -1
                                        ; implicit-def: $vgpr6
	s_branch .LBB217_647
.LBB217_639:
	s_mov_b32 s2, -1
                                        ; implicit-def: $vgpr6
	s_branch .LBB217_644
.LBB217_640:
	s_mov_b32 s2, -1
                                        ; implicit-def: $vgpr6
.LBB217_641:
	s_delay_alu instid0(SALU_CYCLE_1)
	s_and_not1_b32 vcc_lo, exec_lo, s2
	s_cbranch_vccnz .LBB217_643
; %bb.642:
	global_load_b32 v6, v[1:2], off
	s_waitcnt vmcnt(0)
	v_cvt_f16_f32_e32 v6, v6
.LBB217_643:
	s_mov_b32 s2, 0
.LBB217_644:
	s_delay_alu instid0(SALU_CYCLE_1)
	s_and_not1_b32 vcc_lo, exec_lo, s2
	s_cbranch_vccnz .LBB217_646
; %bb.645:
	global_load_b32 v6, v[1:2], off
.LBB217_646:
	s_mov_b32 s2, 0
.LBB217_647:
	s_delay_alu instid0(SALU_CYCLE_1)
	s_and_not1_b32 vcc_lo, exec_lo, s2
	s_cbranch_vccnz .LBB217_658
; %bb.648:
	v_cmp_gt_i16_e32 vcc_lo, 6, v4
	s_cbranch_vccnz .LBB217_651
; %bb.649:
	v_cmp_lt_i16_e32 vcc_lo, 6, v4
	s_cbranch_vccz .LBB217_652
; %bb.650:
	global_load_b64 v[6:7], v[1:2], off
	s_mov_b32 s2, 0
	s_waitcnt vmcnt(0)
	v_cvt_f32_f64_e32 v6, v[6:7]
	s_delay_alu instid0(VALU_DEP_1)
	v_cvt_f16_f32_e32 v6, v6
	s_branch .LBB217_653
.LBB217_651:
	s_mov_b32 s2, -1
                                        ; implicit-def: $vgpr6
	s_branch .LBB217_656
.LBB217_652:
	s_mov_b32 s2, -1
                                        ; implicit-def: $vgpr6
.LBB217_653:
	s_delay_alu instid0(SALU_CYCLE_1)
	s_and_not1_b32 vcc_lo, exec_lo, s2
	s_cbranch_vccnz .LBB217_655
; %bb.654:
	global_load_b32 v6, v[1:2], off
	s_waitcnt vmcnt(0)
	v_cvt_f16_f32_e32 v6, v6
.LBB217_655:
	s_mov_b32 s2, 0
.LBB217_656:
	s_delay_alu instid0(SALU_CYCLE_1)
	s_and_not1_b32 vcc_lo, exec_lo, s2
	s_cbranch_vccnz .LBB217_658
; %bb.657:
	global_load_u16 v6, v[1:2], off
.LBB217_658:
	s_mov_b32 s2, 0
.LBB217_659:
	s_delay_alu instid0(SALU_CYCLE_1)
	s_and_not1_b32 vcc_lo, exec_lo, s2
	s_cbranch_vccnz .LBB217_679
; %bb.660:
	v_cmp_gt_i16_e32 vcc_lo, 2, v4
	s_cbranch_vccnz .LBB217_664
; %bb.661:
	v_cmp_gt_i16_e32 vcc_lo, 3, v4
	s_cbranch_vccnz .LBB217_665
; %bb.662:
	v_cmp_lt_i16_e32 vcc_lo, 3, v4
	s_cbranch_vccz .LBB217_666
; %bb.663:
	global_load_b64 v[6:7], v[1:2], off
	s_mov_b32 s2, 0
	s_waitcnt vmcnt(0)
	v_xor_b32_e32 v8, v6, v7
	v_cls_i32_e32 v9, v7
	s_delay_alu instid0(VALU_DEP_2) | instskip(NEXT) | instid1(VALU_DEP_2)
	v_ashrrev_i32_e32 v8, 31, v8
	v_add_nc_u32_e32 v9, -1, v9
	s_delay_alu instid0(VALU_DEP_2) | instskip(NEXT) | instid1(VALU_DEP_1)
	v_add_nc_u32_e32 v8, 32, v8
	v_min_u32_e32 v8, v9, v8
	s_delay_alu instid0(VALU_DEP_1) | instskip(NEXT) | instid1(VALU_DEP_1)
	v_lshlrev_b64 v[6:7], v8, v[6:7]
	v_min_u32_e32 v6, 1, v6
	s_delay_alu instid0(VALU_DEP_1) | instskip(SKIP_1) | instid1(VALU_DEP_2)
	v_or_b32_e32 v6, v7, v6
	v_sub_nc_u32_e32 v7, 32, v8
	v_cvt_f32_i32_e32 v6, v6
	s_delay_alu instid0(VALU_DEP_1) | instskip(NEXT) | instid1(VALU_DEP_1)
	v_ldexp_f32 v6, v6, v7
	v_cvt_f16_f32_e32 v6, v6
	s_branch .LBB217_667
.LBB217_664:
	s_mov_b32 s2, -1
                                        ; implicit-def: $vgpr6
	s_branch .LBB217_673
.LBB217_665:
	s_mov_b32 s2, -1
                                        ; implicit-def: $vgpr6
	s_branch .LBB217_670
.LBB217_666:
	s_mov_b32 s2, -1
                                        ; implicit-def: $vgpr6
.LBB217_667:
	s_delay_alu instid0(SALU_CYCLE_1)
	s_and_not1_b32 vcc_lo, exec_lo, s2
	s_cbranch_vccnz .LBB217_669
; %bb.668:
	global_load_b32 v6, v[1:2], off
	s_waitcnt vmcnt(0)
	v_cvt_f32_i32_e32 v6, v6
	s_delay_alu instid0(VALU_DEP_1)
	v_cvt_f16_f32_e32 v6, v6
.LBB217_669:
	s_mov_b32 s2, 0
.LBB217_670:
	s_delay_alu instid0(SALU_CYCLE_1)
	s_and_not1_b32 vcc_lo, exec_lo, s2
	s_cbranch_vccnz .LBB217_672
; %bb.671:
	global_load_u16 v6, v[1:2], off
	s_waitcnt vmcnt(0)
	v_cvt_f16_i16_e32 v6, v6
.LBB217_672:
	s_mov_b32 s2, 0
.LBB217_673:
	s_delay_alu instid0(SALU_CYCLE_1)
	s_and_not1_b32 vcc_lo, exec_lo, s2
	s_cbranch_vccnz .LBB217_679
; %bb.674:
	v_cmp_lt_i16_e32 vcc_lo, 0, v4
	s_mov_b32 s2, 0
	s_cbranch_vccz .LBB217_676
; %bb.675:
	global_load_i8 v6, v[1:2], off
	s_waitcnt vmcnt(0)
	v_cvt_f16_i16_e32 v6, v6
	s_branch .LBB217_677
.LBB217_676:
	s_mov_b32 s2, -1
                                        ; implicit-def: $vgpr6
.LBB217_677:
	s_delay_alu instid0(SALU_CYCLE_1)
	s_and_not1_b32 vcc_lo, exec_lo, s2
	s_cbranch_vccnz .LBB217_679
; %bb.678:
	global_load_u8 v1, v[1:2], off
	s_waitcnt vmcnt(0)
	v_cvt_f16_u16_e32 v6, v1
.LBB217_679:
	s_mov_b32 s2, -1
.LBB217_680:
	s_delay_alu instid0(SALU_CYCLE_1)
	s_and_not1_b32 vcc_lo, exec_lo, s2
	s_cbranch_vccnz .LBB217_688
; %bb.681:
	s_waitcnt vmcnt(0)
	v_cvt_f32_f16_e32 v1, v6
	v_add_co_u32 v0, s2, s4, v0
	s_mov_b32 s22, 0
	s_mov_b32 s23, -1
	s_delay_alu instid0(VALU_DEP_2) | instskip(NEXT) | instid1(VALU_DEP_1)
	v_cvt_f64_f32_e32 v[1:2], v1
	v_rsq_f64_e32 v[6:7], v[1:2]
	s_waitcnt_depctr 0xfff
	v_mul_f64 v[1:2], v[6:7], -v[1:2]
	v_cmp_class_f64_e64 vcc_lo, v[6:7], 0x180
	s_delay_alu instid0(VALU_DEP_2) | instskip(NEXT) | instid1(VALU_DEP_1)
	v_fma_f64 v[1:2], v[1:2], v[6:7], 1.0
	v_mul_f64 v[8:9], v[6:7], v[1:2]
	v_fma_f64 v[1:2], 0x3fd80000, v[1:2], 0.5
	s_delay_alu instid0(VALU_DEP_1) | instskip(NEXT) | instid1(VALU_DEP_1)
	v_fma_f64 v[1:2], v[8:9], v[1:2], v[6:7]
	v_dual_cndmask_b32 v2, v7, v2 :: v_dual_cndmask_b32 v1, v6, v1
	v_and_b32_e32 v6, 0xff, v3
	s_delay_alu instid0(VALU_DEP_2) | instskip(NEXT) | instid1(VALU_DEP_2)
	v_cvt_f32_f64_e32 v2, v[1:2]
	v_cmp_gt_i16_e32 vcc_lo, 11, v6
	v_add_co_ci_u32_e64 v1, null, s5, 0, s2
	s_mov_b32 s2, s38
	s_delay_alu instid0(VALU_DEP_3)
	v_cvt_f16_f32_e32 v2, v2
	s_cbranch_vccnz .LBB217_689
; %bb.682:
	v_cmp_lt_i16_e32 vcc_lo, 25, v6
	s_cbranch_vccz .LBB217_730
; %bb.683:
	v_cmp_lt_i16_e32 vcc_lo, 28, v6
	s_cbranch_vccz .LBB217_731
; %bb.684:
	v_cmp_lt_i16_e32 vcc_lo, 43, v6
	s_cbranch_vccz .LBB217_732
; %bb.685:
	v_cmp_lt_i16_e32 vcc_lo, 45, v6
	s_cbranch_vccz .LBB217_733
; %bb.686:
	v_cmp_eq_u16_e32 vcc_lo, 46, v6
	s_mov_b32 s23, 0
	s_mov_b32 s2, -1
	s_cbranch_vccz .LBB217_734
; %bb.687:
	v_cvt_f32_f16_e32 v7, v2
	v_cmp_o_f16_e32 vcc_lo, v2, v2
	s_mov_b32 s22, -1
	s_mov_b32 s2, 0
	s_delay_alu instid0(VALU_DEP_2) | instskip(NEXT) | instid1(VALU_DEP_1)
	v_bfe_u32 v8, v7, 16, 1
	v_add3_u32 v7, v7, v8, 0x7fff
	s_delay_alu instid0(VALU_DEP_1) | instskip(NEXT) | instid1(VALU_DEP_1)
	v_lshrrev_b32_e32 v7, 16, v7
	v_cndmask_b32_e32 v7, 0x7fc0, v7, vcc_lo
	global_store_b32 v[0:1], v7, off
	s_branch .LBB217_734
.LBB217_688:
	s_mov_b32 s41, 0
	s_mov_b32 s2, s38
	s_branch .LBB217_729
.LBB217_689:
	s_and_b32 vcc_lo, exec_lo, s23
	s_cbranch_vccz .LBB217_803
; %bb.690:
	v_cmp_gt_i16_e32 vcc_lo, 5, v6
	s_mov_b32 s22, -1
	s_cbranch_vccnz .LBB217_711
; %bb.691:
	v_cmp_gt_i16_e32 vcc_lo, 8, v6
	s_cbranch_vccnz .LBB217_701
; %bb.692:
	v_cmp_gt_i16_e32 vcc_lo, 9, v6
	s_cbranch_vccnz .LBB217_698
; %bb.693:
	v_cmp_lt_i16_e32 vcc_lo, 9, v6
	s_cbranch_vccz .LBB217_695
; %bb.694:
	v_cvt_f32_f16_e32 v7, v2
	v_mov_b32_e32 v9, 0
	s_mov_b32 s22, 0
	s_delay_alu instid0(VALU_DEP_2) | instskip(NEXT) | instid1(VALU_DEP_2)
	v_cvt_f64_f32_e32 v[7:8], v7
	v_mov_b32_e32 v10, v9
	global_store_b128 v[0:1], v[7:10], off
.LBB217_695:
	s_and_not1_b32 vcc_lo, exec_lo, s22
	s_cbranch_vccnz .LBB217_697
; %bb.696:
	v_cvt_f32_f16_e32 v7, v2
	v_mov_b32_e32 v8, 0
	global_store_b64 v[0:1], v[7:8], off
.LBB217_697:
	s_mov_b32 s22, 0
.LBB217_698:
	s_delay_alu instid0(SALU_CYCLE_1)
	s_and_not1_b32 vcc_lo, exec_lo, s22
	s_cbranch_vccnz .LBB217_700
; %bb.699:
	v_and_b32_e32 v7, 0xffff, v2
	global_store_b32 v[0:1], v7, off
.LBB217_700:
	s_mov_b32 s22, 0
.LBB217_701:
	s_delay_alu instid0(SALU_CYCLE_1)
	s_and_not1_b32 vcc_lo, exec_lo, s22
	s_cbranch_vccnz .LBB217_710
; %bb.702:
	v_cmp_gt_i16_e32 vcc_lo, 6, v6
	s_mov_b32 s22, -1
	s_cbranch_vccnz .LBB217_708
; %bb.703:
	v_cmp_lt_i16_e32 vcc_lo, 6, v6
	s_cbranch_vccz .LBB217_705
; %bb.704:
	v_cvt_f32_f16_e32 v7, v2
	s_mov_b32 s22, 0
	s_delay_alu instid0(VALU_DEP_1)
	v_cvt_f64_f32_e32 v[7:8], v7
	global_store_b64 v[0:1], v[7:8], off
.LBB217_705:
	s_and_not1_b32 vcc_lo, exec_lo, s22
	s_cbranch_vccnz .LBB217_707
; %bb.706:
	v_cvt_f32_f16_e32 v7, v2
	global_store_b32 v[0:1], v7, off
.LBB217_707:
	s_mov_b32 s22, 0
.LBB217_708:
	s_delay_alu instid0(SALU_CYCLE_1)
	s_and_not1_b32 vcc_lo, exec_lo, s22
	s_cbranch_vccnz .LBB217_710
; %bb.709:
	global_store_b16 v[0:1], v2, off
.LBB217_710:
	s_mov_b32 s22, 0
.LBB217_711:
	s_delay_alu instid0(SALU_CYCLE_1)
	s_and_not1_b32 vcc_lo, exec_lo, s22
	s_cbranch_vccnz .LBB217_727
; %bb.712:
	v_cmp_gt_i16_e32 vcc_lo, 2, v6
	s_mov_b32 s22, -1
	s_cbranch_vccnz .LBB217_722
; %bb.713:
	v_cmp_gt_i16_e32 vcc_lo, 3, v6
	s_cbranch_vccnz .LBB217_719
; %bb.714:
	v_cmp_lt_i16_e32 vcc_lo, 3, v6
	s_cbranch_vccz .LBB217_716
; %bb.715:
	v_cvt_f32_f16_e32 v7, v2
	s_mov_b32 s22, 0
	s_delay_alu instid0(VALU_DEP_1) | instskip(NEXT) | instid1(VALU_DEP_1)
	v_cvt_i32_f32_e32 v7, v7
	v_ashrrev_i32_e32 v8, 31, v7
	global_store_b64 v[0:1], v[7:8], off
.LBB217_716:
	s_and_not1_b32 vcc_lo, exec_lo, s22
	s_cbranch_vccnz .LBB217_718
; %bb.717:
	v_cvt_f32_f16_e32 v7, v2
	s_delay_alu instid0(VALU_DEP_1)
	v_cvt_i32_f32_e32 v7, v7
	global_store_b32 v[0:1], v7, off
.LBB217_718:
	s_mov_b32 s22, 0
.LBB217_719:
	s_delay_alu instid0(SALU_CYCLE_1)
	s_and_not1_b32 vcc_lo, exec_lo, s22
	s_cbranch_vccnz .LBB217_721
; %bb.720:
	v_cvt_i16_f16_e32 v7, v2
	global_store_b16 v[0:1], v7, off
.LBB217_721:
	s_mov_b32 s22, 0
.LBB217_722:
	s_delay_alu instid0(SALU_CYCLE_1)
	s_and_not1_b32 vcc_lo, exec_lo, s22
	s_cbranch_vccnz .LBB217_727
; %bb.723:
	v_cmp_lt_i16_e32 vcc_lo, 0, v6
	s_mov_b32 s22, -1
	s_cbranch_vccz .LBB217_725
; %bb.724:
	v_cvt_i16_f16_e32 v6, v2
	s_mov_b32 s22, 0
	global_store_b8 v[0:1], v6, off
.LBB217_725:
	s_and_not1_b32 vcc_lo, exec_lo, s22
	s_cbranch_vccnz .LBB217_727
; %bb.726:
	v_cvt_f32_f16_e32 v2, v2
	s_delay_alu instid0(VALU_DEP_1)
	v_cvt_i32_f32_e32 v2, v2
	global_store_b8 v[0:1], v2, off
.LBB217_727:
	s_branch .LBB217_804
.LBB217_728:
	s_mov_b32 s41, 0
.LBB217_729:
                                        ; implicit-def: $vgpr5
	s_branch .LBB217_805
.LBB217_730:
	s_mov_b32 s2, s38
	s_branch .LBB217_761
.LBB217_731:
	s_mov_b32 s2, s38
	s_branch .LBB217_744
.LBB217_732:
	s_mov_b32 s2, s38
	s_branch .LBB217_740
.LBB217_733:
	s_mov_b32 s2, s38
.LBB217_734:
	s_and_b32 vcc_lo, exec_lo, s23
	s_cbranch_vccz .LBB217_739
; %bb.735:
	v_cmp_eq_u16_e32 vcc_lo, 44, v6
	s_mov_b32 s2, -1
	s_cbranch_vccz .LBB217_739
; %bb.736:
	v_cvt_f32_f16_e32 v7, v2
	v_mov_b32_e32 v8, 0xff
	s_mov_b32 s22, exec_lo
	s_delay_alu instid0(VALU_DEP_2) | instskip(NEXT) | instid1(VALU_DEP_1)
	v_bfe_u32 v9, v7, 23, 8
	v_cmpx_ne_u32_e32 0xff, v9
; %bb.737:
	v_and_b32_e32 v8, 0x400000, v7
	v_and_or_b32 v9, 0x3fffff, v7, v9
	v_lshrrev_b32_e32 v7, 23, v7
	s_delay_alu instid0(VALU_DEP_3) | instskip(NEXT) | instid1(VALU_DEP_3)
	v_cmp_ne_u32_e32 vcc_lo, 0, v8
	v_cmp_ne_u32_e64 s2, 0, v9
	s_delay_alu instid0(VALU_DEP_1) | instskip(NEXT) | instid1(SALU_CYCLE_1)
	s_and_b32 s2, vcc_lo, s2
	v_cndmask_b32_e64 v8, 0, 1, s2
	s_delay_alu instid0(VALU_DEP_1)
	v_add_nc_u32_e32 v8, v7, v8
; %bb.738:
	s_or_b32 exec_lo, exec_lo, s22
	s_mov_b32 s22, -1
	s_mov_b32 s2, 0
	global_store_b8 v[0:1], v8, off
.LBB217_739:
	s_mov_b32 s23, 0
.LBB217_740:
	s_delay_alu instid0(SALU_CYCLE_1)
	s_and_b32 vcc_lo, exec_lo, s23
	s_cbranch_vccz .LBB217_743
; %bb.741:
	v_cmp_eq_u16_e32 vcc_lo, 29, v6
	s_mov_b32 s2, -1
	s_cbranch_vccz .LBB217_743
; %bb.742:
	v_cvt_f32_f16_e32 v7, v2
	v_mov_b32_e32 v8, 0
	s_mov_b32 s2, 0
	s_mov_b32 s22, -1
	s_mov_b32 s23, 0
	v_cvt_u32_f32_e32 v7, v7
	global_store_b64 v[0:1], v[7:8], off
	s_branch .LBB217_744
.LBB217_743:
	s_mov_b32 s23, 0
.LBB217_744:
	s_delay_alu instid0(SALU_CYCLE_1)
	s_and_b32 vcc_lo, exec_lo, s23
	s_cbranch_vccz .LBB217_760
; %bb.745:
	v_cmp_gt_i16_e32 vcc_lo, 27, v6
	s_mov_b32 s22, -1
	s_cbranch_vccnz .LBB217_751
; %bb.746:
	v_cmp_lt_i16_e32 vcc_lo, 27, v6
	s_cbranch_vccz .LBB217_748
; %bb.747:
	v_cvt_f32_f16_e32 v7, v2
	s_mov_b32 s22, 0
	s_delay_alu instid0(VALU_DEP_1)
	v_cvt_u32_f32_e32 v7, v7
	global_store_b32 v[0:1], v7, off
.LBB217_748:
	s_and_not1_b32 vcc_lo, exec_lo, s22
	s_cbranch_vccnz .LBB217_750
; %bb.749:
	v_cvt_u16_f16_e32 v7, v2
	global_store_b16 v[0:1], v7, off
.LBB217_750:
	s_mov_b32 s22, 0
.LBB217_751:
	s_delay_alu instid0(SALU_CYCLE_1)
	s_and_not1_b32 vcc_lo, exec_lo, s22
	s_cbranch_vccnz .LBB217_759
; %bb.752:
	v_cvt_f32_f16_e32 v7, v2
	v_mov_b32_e32 v9, 0x80
	s_mov_b32 s22, exec_lo
	s_delay_alu instid0(VALU_DEP_2) | instskip(NEXT) | instid1(VALU_DEP_1)
	v_and_b32_e32 v8, 0x7fffffff, v7
	v_cmpx_gt_u32_e32 0x43800000, v8
	s_cbranch_execz .LBB217_758
; %bb.753:
	v_cmp_lt_u32_e32 vcc_lo, 0x3bffffff, v8
	s_mov_b32 s23, 0
                                        ; implicit-def: $vgpr8
	s_and_saveexec_b32 s41, vcc_lo
	s_delay_alu instid0(SALU_CYCLE_1)
	s_xor_b32 s41, exec_lo, s41
	s_cbranch_execz .LBB217_832
; %bb.754:
	v_bfe_u32 v8, v7, 20, 1
	s_mov_b32 s23, exec_lo
	s_delay_alu instid0(VALU_DEP_1) | instskip(NEXT) | instid1(VALU_DEP_1)
	v_add3_u32 v8, v7, v8, 0x487ffff
	v_lshrrev_b32_e32 v8, 20, v8
	s_or_saveexec_b32 s41, s41
                                        ; implicit-def: $sgpr42
	s_delay_alu instid0(SALU_CYCLE_1)
	s_xor_b32 exec_lo, exec_lo, s41
	s_cbranch_execnz .LBB217_833
.LBB217_755:
	s_or_b32 exec_lo, exec_lo, s41
	v_mov_b32_e32 v9, s42
	s_and_saveexec_b32 s41, s23
.LBB217_756:
	v_lshrrev_b32_e32 v7, 24, v7
	s_delay_alu instid0(VALU_DEP_1)
	v_and_or_b32 v9, 0x80, v7, v8
.LBB217_757:
	s_or_b32 exec_lo, exec_lo, s41
.LBB217_758:
	s_delay_alu instid0(SALU_CYCLE_1)
	s_or_b32 exec_lo, exec_lo, s22
	global_store_b8 v[0:1], v9, off
.LBB217_759:
	s_mov_b32 s22, -1
.LBB217_760:
	s_mov_b32 s23, 0
.LBB217_761:
	s_delay_alu instid0(SALU_CYCLE_1)
	s_and_b32 vcc_lo, exec_lo, s23
	s_cbranch_vccz .LBB217_802
; %bb.762:
	v_cmp_lt_i16_e32 vcc_lo, 22, v6
	s_mov_b32 s23, -1
	s_cbranch_vccz .LBB217_794
; %bb.763:
	v_cmp_gt_i16_e32 vcc_lo, 24, v6
	s_mov_b32 s22, -1
	s_cbranch_vccnz .LBB217_783
; %bb.764:
	v_cmp_lt_i16_e32 vcc_lo, 24, v6
	s_cbranch_vccz .LBB217_772
; %bb.765:
	v_cvt_f32_f16_e32 v7, v2
	v_mov_b32_e32 v9, 0x80
	s_mov_b32 s22, exec_lo
	s_delay_alu instid0(VALU_DEP_2) | instskip(NEXT) | instid1(VALU_DEP_1)
	v_and_b32_e32 v8, 0x7fffffff, v7
	v_cmpx_gt_u32_e32 0x47800000, v8
	s_cbranch_execz .LBB217_771
; %bb.766:
	v_cmp_lt_u32_e32 vcc_lo, 0x37ffffff, v8
	s_mov_b32 s23, 0
                                        ; implicit-def: $vgpr8
	s_and_saveexec_b32 s41, vcc_lo
	s_delay_alu instid0(SALU_CYCLE_1)
	s_xor_b32 s41, exec_lo, s41
	s_cbranch_execz .LBB217_835
; %bb.767:
	v_bfe_u32 v8, v7, 21, 1
	s_mov_b32 s23, exec_lo
	s_delay_alu instid0(VALU_DEP_1) | instskip(NEXT) | instid1(VALU_DEP_1)
	v_add3_u32 v8, v7, v8, 0x88fffff
	v_lshrrev_b32_e32 v8, 21, v8
	s_or_saveexec_b32 s41, s41
                                        ; implicit-def: $sgpr42
	s_delay_alu instid0(SALU_CYCLE_1)
	s_xor_b32 exec_lo, exec_lo, s41
	s_cbranch_execnz .LBB217_836
.LBB217_768:
	s_or_b32 exec_lo, exec_lo, s41
	v_mov_b32_e32 v9, s42
	s_and_saveexec_b32 s41, s23
.LBB217_769:
	v_lshrrev_b32_e32 v7, 24, v7
	s_delay_alu instid0(VALU_DEP_1)
	v_and_or_b32 v9, 0x80, v7, v8
.LBB217_770:
	s_or_b32 exec_lo, exec_lo, s41
.LBB217_771:
	s_delay_alu instid0(SALU_CYCLE_1)
	s_or_b32 exec_lo, exec_lo, s22
	s_mov_b32 s22, 0
	global_store_b8 v[0:1], v9, off
.LBB217_772:
	s_and_b32 vcc_lo, exec_lo, s22
	s_cbranch_vccz .LBB217_782
; %bb.773:
	v_cvt_f32_f16_e32 v7, v2
	s_mov_b32 s22, exec_lo
                                        ; implicit-def: $vgpr8
	s_delay_alu instid0(VALU_DEP_1) | instskip(NEXT) | instid1(VALU_DEP_1)
	v_and_b32_e32 v9, 0x7fffffff, v7
	v_cmpx_gt_u32_e32 0x43f00000, v9
	s_xor_b32 s22, exec_lo, s22
	s_cbranch_execz .LBB217_779
; %bb.774:
	s_mov_b32 s23, exec_lo
                                        ; implicit-def: $vgpr8
	v_cmpx_lt_u32_e32 0x3c7fffff, v9
	s_xor_b32 s23, exec_lo, s23
; %bb.775:
	v_bfe_u32 v8, v7, 20, 1
	s_delay_alu instid0(VALU_DEP_1) | instskip(NEXT) | instid1(VALU_DEP_1)
	v_add3_u32 v8, v7, v8, 0x407ffff
	v_and_b32_e32 v9, 0xff00000, v8
	v_lshrrev_b32_e32 v8, 20, v8
	s_delay_alu instid0(VALU_DEP_2) | instskip(NEXT) | instid1(VALU_DEP_2)
	v_cmp_ne_u32_e32 vcc_lo, 0x7f00000, v9
	v_cndmask_b32_e32 v8, 0x7e, v8, vcc_lo
; %bb.776:
	s_and_not1_saveexec_b32 s23, s23
; %bb.777:
	v_add_f32_e64 v8, 0x46800000, |v7|
; %bb.778:
	s_or_b32 exec_lo, exec_lo, s23
                                        ; implicit-def: $vgpr9
.LBB217_779:
	s_and_not1_saveexec_b32 s22, s22
; %bb.780:
	v_mov_b32_e32 v8, 0x7f
	v_cmp_lt_u32_e32 vcc_lo, 0x7f800000, v9
	s_delay_alu instid0(VALU_DEP_2)
	v_cndmask_b32_e32 v8, 0x7e, v8, vcc_lo
; %bb.781:
	s_or_b32 exec_lo, exec_lo, s22
	v_lshrrev_b32_e32 v7, 24, v7
	s_delay_alu instid0(VALU_DEP_1)
	v_and_or_b32 v7, 0x80, v7, v8
	global_store_b8 v[0:1], v7, off
.LBB217_782:
	s_mov_b32 s22, 0
.LBB217_783:
	s_delay_alu instid0(SALU_CYCLE_1)
	s_and_not1_b32 vcc_lo, exec_lo, s22
	s_cbranch_vccnz .LBB217_793
; %bb.784:
	v_cvt_f32_f16_e32 v7, v2
	s_mov_b32 s22, exec_lo
                                        ; implicit-def: $vgpr8
	s_delay_alu instid0(VALU_DEP_1) | instskip(NEXT) | instid1(VALU_DEP_1)
	v_and_b32_e32 v9, 0x7fffffff, v7
	v_cmpx_gt_u32_e32 0x47800000, v9
	s_xor_b32 s22, exec_lo, s22
	s_cbranch_execz .LBB217_790
; %bb.785:
	s_mov_b32 s23, exec_lo
                                        ; implicit-def: $vgpr8
	v_cmpx_lt_u32_e32 0x387fffff, v9
	s_xor_b32 s23, exec_lo, s23
; %bb.786:
	v_bfe_u32 v8, v7, 21, 1
	s_delay_alu instid0(VALU_DEP_1) | instskip(NEXT) | instid1(VALU_DEP_1)
	v_add3_u32 v8, v7, v8, 0x80fffff
	v_lshrrev_b32_e32 v8, 21, v8
; %bb.787:
	s_and_not1_saveexec_b32 s23, s23
; %bb.788:
	v_add_f32_e64 v8, 0x43000000, |v7|
; %bb.789:
	s_or_b32 exec_lo, exec_lo, s23
                                        ; implicit-def: $vgpr9
.LBB217_790:
	s_and_not1_saveexec_b32 s22, s22
; %bb.791:
	v_mov_b32_e32 v8, 0x7f
	v_cmp_lt_u32_e32 vcc_lo, 0x7f800000, v9
	s_delay_alu instid0(VALU_DEP_2)
	v_cndmask_b32_e32 v8, 0x7c, v8, vcc_lo
; %bb.792:
	s_or_b32 exec_lo, exec_lo, s22
	v_lshrrev_b32_e32 v7, 24, v7
	s_delay_alu instid0(VALU_DEP_1)
	v_and_or_b32 v7, 0x80, v7, v8
	global_store_b8 v[0:1], v7, off
.LBB217_793:
	s_mov_b32 s23, 0
	s_mov_b32 s22, -1
.LBB217_794:
	s_and_not1_b32 vcc_lo, exec_lo, s23
	s_cbranch_vccnz .LBB217_802
; %bb.795:
	v_cmp_lt_i16_e32 vcc_lo, 14, v6
	s_mov_b32 s23, -1
	s_cbranch_vccz .LBB217_799
; %bb.796:
	v_cmp_eq_u16_e32 vcc_lo, 15, v6
	s_mov_b32 s2, -1
	s_cbranch_vccz .LBB217_798
; %bb.797:
	v_cvt_f32_f16_e32 v7, v2
	v_cmp_o_f16_e32 vcc_lo, v2, v2
	s_mov_b32 s22, -1
	s_mov_b32 s2, 0
	s_delay_alu instid0(VALU_DEP_2) | instskip(NEXT) | instid1(VALU_DEP_1)
	v_bfe_u32 v8, v7, 16, 1
	v_add3_u32 v7, v7, v8, 0x7fff
	s_delay_alu instid0(VALU_DEP_1) | instskip(NEXT) | instid1(VALU_DEP_1)
	v_lshrrev_b32_e32 v7, 16, v7
	v_cndmask_b32_e32 v7, 0x7fc0, v7, vcc_lo
	global_store_b16 v[0:1], v7, off
.LBB217_798:
	s_mov_b32 s23, 0
.LBB217_799:
	s_delay_alu instid0(SALU_CYCLE_1)
	s_and_b32 vcc_lo, exec_lo, s23
	s_cbranch_vccz .LBB217_802
; %bb.800:
	v_cmp_eq_u16_e32 vcc_lo, 11, v6
	s_mov_b32 s2, -1
	s_cbranch_vccz .LBB217_802
; %bb.801:
	v_cmp_neq_f16_e32 vcc_lo, 0, v2
	s_mov_b32 s2, 0
	s_mov_b32 s22, -1
	v_cndmask_b32_e64 v7, 0, 1, vcc_lo
	global_store_b8 v[0:1], v7, off
.LBB217_802:
.LBB217_803:
	s_and_not1_b32 vcc_lo, exec_lo, s22
	s_cbranch_vccnz .LBB217_728
.LBB217_804:
	v_add_nc_u32_e32 v5, 0x80, v5
	s_mov_b32 s41, -1
.LBB217_805:
	s_and_not1_b32 s22, s38, exec_lo
	s_and_b32 s2, s2, exec_lo
	s_and_not1_b32 s42, s37, exec_lo
	s_and_b32 s3, s3, exec_lo
	s_or_b32 s23, s22, s2
	s_or_b32 s22, s42, s3
	s_or_not1_b32 s42, s41, exec_lo
.LBB217_806:
	s_or_b32 exec_lo, exec_lo, s40
	s_mov_b32 s2, 0
	s_mov_b32 s3, 0
	;; [unrolled: 1-line block ×3, first 2 shown]
                                        ; implicit-def: $vgpr1_vgpr2
                                        ; implicit-def: $vgpr0
                                        ; implicit-def: $vgpr6
	s_and_saveexec_b32 s40, s42
	s_cbranch_execz .LBB217_904
; %bb.807:
	v_cmp_gt_i32_e32 vcc_lo, s30, v5
	s_mov_b32 s43, s22
	s_mov_b32 s42, 0
                                        ; implicit-def: $vgpr1_vgpr2
                                        ; implicit-def: $vgpr0
                                        ; implicit-def: $vgpr6
	s_and_saveexec_b32 s30, vcc_lo
	s_cbranch_execz .LBB217_903
; %bb.808:
	s_and_not1_b32 vcc_lo, exec_lo, s27
	s_cbranch_vccnz .LBB217_813
; %bb.809:
	v_dual_mov_b32 v0, 0 :: v_dual_mov_b32 v1, 0
	s_and_not1_b32 vcc_lo, exec_lo, s33
	s_mov_b32 s33, 0
	s_cbranch_vccnz .LBB217_818
; %bb.810:
	v_mov_b32_e32 v0, 0
	s_add_i32 s41, s31, 1
	s_cmp_eq_u32 s25, 2
	s_mov_b32 s31, 0
	s_cbranch_scc1 .LBB217_814
; %bb.811:
	v_dual_mov_b32 v1, 0 :: v_dual_mov_b32 v0, 0
	v_mov_b32_e32 v2, v5
	s_and_b32 s31, s41, 28
	s_mov_b64 s[2:3], s[16:17]
.LBB217_812:                            ; =>This Inner Loop Header: Depth=1
	s_clause 0x1
	s_load_b256 s[44:51], s[2:3], 0x4
	s_load_b128 s[60:63], s[2:3], 0x24
	s_load_b256 s[52:59], s[20:21], 0x0
	s_add_u32 s2, s2, 48
	s_addc_u32 s3, s3, 0
	s_add_i32 s42, s42, 4
	s_add_u32 s20, s20, 32
	s_addc_u32 s21, s21, 0
	s_cmp_eq_u32 s31, s42
	s_waitcnt vmcnt(0) lgkmcnt(0)
	v_mul_hi_u32 v6, s45, v2
	s_delay_alu instid0(VALU_DEP_1) | instskip(NEXT) | instid1(VALU_DEP_1)
	v_add_nc_u32_e32 v6, v2, v6
	v_lshrrev_b32_e32 v6, s46, v6
	s_delay_alu instid0(VALU_DEP_1) | instskip(SKIP_1) | instid1(VALU_DEP_2)
	v_mul_hi_u32 v7, s48, v6
	v_mul_lo_u32 v9, v6, s44
	v_add_nc_u32_e32 v7, v6, v7
	s_delay_alu instid0(VALU_DEP_2) | instskip(NEXT) | instid1(VALU_DEP_2)
	v_sub_nc_u32_e32 v2, v2, v9
	v_lshrrev_b32_e32 v7, s49, v7
	s_delay_alu instid0(VALU_DEP_2) | instskip(SKIP_1) | instid1(VALU_DEP_3)
	v_mul_lo_u32 v9, v2, s52
	v_mul_lo_u32 v11, v2, s53
	v_mul_hi_u32 v8, s51, v7
	s_delay_alu instid0(VALU_DEP_1) | instskip(NEXT) | instid1(VALU_DEP_1)
	v_add_nc_u32_e32 v8, v7, v8
	v_lshrrev_b32_e32 v8, s60, v8
	s_delay_alu instid0(VALU_DEP_1) | instskip(SKIP_1) | instid1(VALU_DEP_2)
	v_mul_hi_u32 v10, s62, v8
	v_mul_lo_u32 v12, v8, s50
	v_add_nc_u32_e32 v2, v8, v10
	v_mul_lo_u32 v10, v7, s47
	s_delay_alu instid0(VALU_DEP_3) | instskip(NEXT) | instid1(VALU_DEP_3)
	v_sub_nc_u32_e32 v7, v7, v12
	v_lshrrev_b32_e32 v2, s63, v2
	s_delay_alu instid0(VALU_DEP_2) | instskip(SKIP_2) | instid1(VALU_DEP_4)
	v_mul_lo_u32 v12, v7, s56
	v_mul_lo_u32 v7, v7, s57
	v_sub_nc_u32_e32 v6, v6, v10
	v_mul_lo_u32 v13, v2, s61
	s_delay_alu instid0(VALU_DEP_2) | instskip(SKIP_1) | instid1(VALU_DEP_3)
	v_mul_lo_u32 v10, v6, s54
	v_mul_lo_u32 v6, v6, s55
	v_sub_nc_u32_e32 v8, v8, v13
	s_delay_alu instid0(VALU_DEP_3) | instskip(NEXT) | instid1(VALU_DEP_2)
	v_add3_u32 v0, v9, v0, v10
	v_mul_lo_u32 v13, v8, s58
	v_mul_lo_u32 v8, v8, s59
	v_add3_u32 v1, v11, v1, v6
	s_delay_alu instid0(VALU_DEP_3) | instskip(NEXT) | instid1(VALU_DEP_2)
	v_add3_u32 v0, v12, v0, v13
	v_add3_u32 v1, v7, v1, v8
	s_cbranch_scc0 .LBB217_812
	s_branch .LBB217_815
.LBB217_813:
	s_mov_b32 s33, -1
                                        ; implicit-def: $vgpr0
                                        ; implicit-def: $vgpr1
	s_branch .LBB217_818
.LBB217_814:
	v_dual_mov_b32 v2, v5 :: v_dual_mov_b32 v1, 0
.LBB217_815:
	s_and_b32 s41, s41, 3
	s_delay_alu instid0(SALU_CYCLE_1)
	s_cmp_eq_u32 s41, 0
	s_cbranch_scc1 .LBB217_818
; %bb.816:
	s_lshl_b32 s2, s31, 3
	s_mul_i32 s20, s31, 12
	s_add_u32 s2, s2, s16
	s_addc_u32 s3, s17, 0
	s_add_u32 s2, s2, 0xc4
	s_addc_u32 s3, s3, 0
	;; [unrolled: 2-line block ×3, first 2 shown]
.LBB217_817:                            ; =>This Inner Loop Header: Depth=1
	s_clause 0x1
	s_load_b64 s[42:43], s[20:21], 0x4
	s_load_b32 s31, s[20:21], 0xc
	s_load_b64 s[44:45], s[2:3], 0x0
	s_add_u32 s20, s20, 12
	s_addc_u32 s21, s21, 0
	s_add_u32 s2, s2, 8
	s_addc_u32 s3, s3, 0
	s_add_i32 s41, s41, -1
	s_delay_alu instid0(SALU_CYCLE_1) | instskip(SKIP_2) | instid1(VALU_DEP_1)
	s_cmp_lg_u32 s41, 0
	s_waitcnt vmcnt(0) lgkmcnt(0)
	v_mul_hi_u32 v6, s43, v2
	v_add_nc_u32_e32 v6, v2, v6
	s_delay_alu instid0(VALU_DEP_1) | instskip(NEXT) | instid1(VALU_DEP_1)
	v_lshrrev_b32_e32 v9, s31, v6
	v_mul_lo_u32 v6, v9, s42
	s_delay_alu instid0(VALU_DEP_1) | instskip(NEXT) | instid1(VALU_DEP_1)
	v_sub_nc_u32_e32 v2, v2, v6
	v_mad_u64_u32 v[6:7], null, v2, s44, v[0:1]
	v_mad_u64_u32 v[7:8], null, v2, s45, v[1:2]
	v_mov_b32_e32 v2, v9
	s_delay_alu instid0(VALU_DEP_2)
	v_dual_mov_b32 v0, v6 :: v_dual_mov_b32 v1, v7
	s_cbranch_scc1 .LBB217_817
.LBB217_818:
	s_and_not1_b32 vcc_lo, exec_lo, s33
	s_cbranch_vccnz .LBB217_821
; %bb.819:
	s_waitcnt lgkmcnt(0)
	v_mul_hi_u32 v0, s13, v5
	s_and_not1_b32 vcc_lo, exec_lo, s29
	s_delay_alu instid0(VALU_DEP_1) | instskip(NEXT) | instid1(VALU_DEP_1)
	v_add_nc_u32_e32 v0, v5, v0
	v_lshrrev_b32_e32 v2, s14, v0
	s_delay_alu instid0(VALU_DEP_1) | instskip(NEXT) | instid1(VALU_DEP_1)
	v_mul_lo_u32 v0, v2, s12
	v_sub_nc_u32_e32 v1, v5, v0
	s_delay_alu instid0(VALU_DEP_1)
	v_mul_lo_u32 v0, v1, s8
	v_mul_lo_u32 v1, v1, s9
	s_cbranch_vccnz .LBB217_821
; %bb.820:
	v_mul_hi_u32 v5, s18, v2
	s_delay_alu instid0(VALU_DEP_1) | instskip(NEXT) | instid1(VALU_DEP_1)
	v_add_nc_u32_e32 v5, v2, v5
	v_lshrrev_b32_e32 v5, s19, v5
	s_delay_alu instid0(VALU_DEP_1) | instskip(NEXT) | instid1(VALU_DEP_1)
	v_mul_lo_u32 v5, v5, s15
	v_sub_nc_u32_e32 v2, v2, v5
	s_waitcnt vmcnt(0)
	s_delay_alu instid0(VALU_DEP_1) | instskip(SKIP_1) | instid1(VALU_DEP_1)
	v_mad_u64_u32 v[5:6], null, v2, s10, v[0:1]
	v_mad_u64_u32 v[6:7], null, v2, s11, v[1:2]
	v_dual_mov_b32 v0, v5 :: v_dual_mov_b32 v1, v6
.LBB217_821:
	v_cmp_gt_i16_e32 vcc_lo, 11, v4
	s_waitcnt lgkmcnt(0)
	s_delay_alu instid0(VALU_DEP_2) | instskip(NEXT) | instid1(VALU_DEP_1)
	v_add_co_u32 v1, s2, s6, v1
	v_add_co_ci_u32_e64 v2, null, s7, 0, s2
	s_mov_b32 s6, 0
	s_cbranch_vccnz .LBB217_828
; %bb.822:
	v_cmp_lt_i16_e32 vcc_lo, 25, v4
	s_mov_b32 s3, 0
	s_cbranch_vccz .LBB217_829
; %bb.823:
	v_cmp_lt_i16_e32 vcc_lo, 28, v4
	s_cbranch_vccz .LBB217_830
; %bb.824:
	v_cmp_lt_i16_e32 vcc_lo, 43, v4
	;; [unrolled: 3-line block ×3, first 2 shown]
	s_cbranch_vccz .LBB217_834
; %bb.826:
	v_cmp_eq_u16_e32 vcc_lo, 46, v4
	s_mov_b32 s7, 0
	s_cbranch_vccz .LBB217_837
; %bb.827:
	global_load_b32 v5, v[1:2], off
	s_mov_b32 s2, 0
	s_mov_b32 s6, -1
	s_waitcnt vmcnt(0)
	v_lshlrev_b32_e32 v5, 16, v5
	s_delay_alu instid0(VALU_DEP_1)
	v_cvt_f16_f32_e32 v6, v5
	s_branch .LBB217_839
.LBB217_828:
	s_mov_b32 s7, -1
	s_mov_b32 s3, 0
	s_mov_b32 s2, s22
                                        ; implicit-def: $vgpr6
	s_branch .LBB217_902
.LBB217_829:
	s_mov_b32 s7, -1
	s_mov_b32 s2, s22
                                        ; implicit-def: $vgpr6
	s_branch .LBB217_868
.LBB217_830:
	s_mov_b32 s7, -1
	s_mov_b32 s2, s22
                                        ; implicit-def: $vgpr6
	s_branch .LBB217_849
.LBB217_831:
	s_mov_b32 s7, -1
	s_mov_b32 s2, s22
                                        ; implicit-def: $vgpr6
	s_branch .LBB217_844
.LBB217_832:
	s_or_saveexec_b32 s41, s41
                                        ; implicit-def: $sgpr42
	s_delay_alu instid0(SALU_CYCLE_1)
	s_xor_b32 exec_lo, exec_lo, s41
	s_cbranch_execz .LBB217_755
.LBB217_833:
	v_add_f32_e64 v8, 0x46000000, |v7|
	s_and_not1_b32 s23, s23, exec_lo
	s_mov_b32 s42, 0
	s_delay_alu instid0(VALU_DEP_1) | instskip(NEXT) | instid1(VALU_DEP_1)
	v_and_b32_e32 v8, 0xff, v8
	v_cmp_ne_u32_e32 vcc_lo, 0, v8
	s_and_b32 s43, vcc_lo, exec_lo
	s_delay_alu instid0(SALU_CYCLE_1)
	s_or_b32 s23, s23, s43
	s_or_b32 exec_lo, exec_lo, s41
	v_mov_b32_e32 v9, s42
	s_and_saveexec_b32 s41, s23
	s_cbranch_execnz .LBB217_756
	s_branch .LBB217_757
.LBB217_834:
	s_mov_b32 s7, -1
	s_mov_b32 s2, s22
	s_branch .LBB217_838
.LBB217_835:
	s_or_saveexec_b32 s41, s41
                                        ; implicit-def: $sgpr42
	s_delay_alu instid0(SALU_CYCLE_1)
	s_xor_b32 exec_lo, exec_lo, s41
	s_cbranch_execz .LBB217_768
.LBB217_836:
	v_add_f32_e64 v8, 0x42800000, |v7|
	s_and_not1_b32 s23, s23, exec_lo
	s_mov_b32 s42, 0
	s_delay_alu instid0(VALU_DEP_1) | instskip(NEXT) | instid1(VALU_DEP_1)
	v_and_b32_e32 v8, 0xff, v8
	v_cmp_ne_u32_e32 vcc_lo, 0, v8
	s_and_b32 s43, vcc_lo, exec_lo
	s_delay_alu instid0(SALU_CYCLE_1)
	s_or_b32 s23, s23, s43
	s_or_b32 exec_lo, exec_lo, s41
	v_mov_b32_e32 v9, s42
	s_and_saveexec_b32 s41, s23
	s_cbranch_execnz .LBB217_769
	s_branch .LBB217_770
.LBB217_837:
	s_mov_b32 s2, -1
.LBB217_838:
                                        ; implicit-def: $vgpr6
.LBB217_839:
	s_and_b32 vcc_lo, exec_lo, s7
	s_cbranch_vccz .LBB217_843
; %bb.840:
	v_cmp_eq_u16_e32 vcc_lo, 44, v4
	s_cbranch_vccz .LBB217_842
; %bb.841:
	global_load_u8 v5, v[1:2], off
	s_mov_b32 s2, 0
	s_mov_b32 s6, -1
	s_waitcnt vmcnt(0)
	v_lshlrev_b32_e32 v6, 23, v5
	v_cmp_ne_u32_e32 vcc_lo, 0xff, v5
	s_delay_alu instid0(VALU_DEP_2) | instskip(NEXT) | instid1(VALU_DEP_1)
	v_cvt_f16_f32_e32 v6, v6
	v_cndmask_b32_e32 v6, 0x7e00, v6, vcc_lo
	v_cmp_ne_u32_e32 vcc_lo, 0, v5
	s_delay_alu instid0(VALU_DEP_2)
	v_cndmask_b32_e32 v6, 0, v6, vcc_lo
	s_branch .LBB217_843
.LBB217_842:
	s_mov_b32 s2, -1
                                        ; implicit-def: $vgpr6
.LBB217_843:
	s_mov_b32 s7, 0
.LBB217_844:
	s_delay_alu instid0(SALU_CYCLE_1)
	s_and_b32 vcc_lo, exec_lo, s7
	s_cbranch_vccz .LBB217_848
; %bb.845:
	v_cmp_eq_u16_e32 vcc_lo, 29, v4
	s_cbranch_vccz .LBB217_847
; %bb.846:
	global_load_b64 v[5:6], v[1:2], off
	s_mov_b32 s2, 0
	s_mov_b32 s6, -1
	s_mov_b32 s7, 0
	s_waitcnt vmcnt(0)
	v_clz_i32_u32_e32 v7, v6
	s_delay_alu instid0(VALU_DEP_1) | instskip(NEXT) | instid1(VALU_DEP_1)
	v_min_u32_e32 v7, 32, v7
	v_lshlrev_b64 v[5:6], v7, v[5:6]
	s_delay_alu instid0(VALU_DEP_1) | instskip(NEXT) | instid1(VALU_DEP_1)
	v_min_u32_e32 v5, 1, v5
	v_or_b32_e32 v5, v6, v5
	v_sub_nc_u32_e32 v6, 32, v7
	s_delay_alu instid0(VALU_DEP_2) | instskip(NEXT) | instid1(VALU_DEP_1)
	v_cvt_f32_u32_e32 v5, v5
	v_ldexp_f32 v5, v5, v6
	s_delay_alu instid0(VALU_DEP_1)
	v_cvt_f16_f32_e32 v6, v5
	s_branch .LBB217_849
.LBB217_847:
	s_mov_b32 s2, -1
                                        ; implicit-def: $vgpr6
.LBB217_848:
	s_mov_b32 s7, 0
.LBB217_849:
	s_delay_alu instid0(SALU_CYCLE_1)
	s_and_b32 vcc_lo, exec_lo, s7
	s_cbranch_vccz .LBB217_867
; %bb.850:
	v_cmp_gt_i16_e32 vcc_lo, 27, v4
	s_cbranch_vccnz .LBB217_853
; %bb.851:
	v_cmp_lt_i16_e32 vcc_lo, 27, v4
	s_cbranch_vccz .LBB217_854
; %bb.852:
	global_load_b32 v5, v[1:2], off
	s_mov_b32 s6, 0
	s_waitcnt vmcnt(0)
	v_cvt_f32_u32_e32 v5, v5
	s_delay_alu instid0(VALU_DEP_1)
	v_cvt_f16_f32_e32 v6, v5
	s_branch .LBB217_855
.LBB217_853:
	s_mov_b32 s6, -1
                                        ; implicit-def: $vgpr6
	s_branch .LBB217_858
.LBB217_854:
	s_mov_b32 s6, -1
                                        ; implicit-def: $vgpr6
.LBB217_855:
	s_delay_alu instid0(SALU_CYCLE_1)
	s_and_not1_b32 vcc_lo, exec_lo, s6
	s_cbranch_vccnz .LBB217_857
; %bb.856:
	global_load_u16 v5, v[1:2], off
	s_waitcnt vmcnt(0)
	v_cvt_f16_u16_e32 v6, v5
.LBB217_857:
	s_mov_b32 s6, 0
.LBB217_858:
	s_delay_alu instid0(SALU_CYCLE_1)
	s_and_not1_b32 vcc_lo, exec_lo, s6
	s_cbranch_vccnz .LBB217_866
; %bb.859:
	global_load_u8 v5, v[1:2], off
	s_mov_b32 s6, 0
	s_mov_b32 s8, exec_lo
                                        ; implicit-def: $sgpr7
	s_waitcnt vmcnt(0)
	v_cmpx_lt_i16_e32 0x7f, v5
	s_xor_b32 s8, exec_lo, s8
	s_cbranch_execz .LBB217_880
; %bb.860:
	s_mov_b32 s6, -1
	s_mov_b32 s9, exec_lo
                                        ; implicit-def: $sgpr7
	v_cmpx_eq_u16_e32 0x80, v5
; %bb.861:
	s_movk_i32 s7, 0x7e00
	s_xor_b32 s6, exec_lo, -1
; %bb.862:
	s_or_b32 exec_lo, exec_lo, s9
	s_delay_alu instid0(SALU_CYCLE_1)
	s_and_b32 s6, s6, exec_lo
	s_or_saveexec_b32 s8, s8
	v_mov_b32_e32 v6, s7
	s_xor_b32 exec_lo, exec_lo, s8
	s_cbranch_execnz .LBB217_881
.LBB217_863:
	s_or_b32 exec_lo, exec_lo, s8
	s_and_saveexec_b32 s7, s6
	s_cbranch_execz .LBB217_865
.LBB217_864:
	v_and_b32_e32 v6, 0xffff, v5
	v_lshlrev_b32_e32 v5, 24, v5
	s_delay_alu instid0(VALU_DEP_2) | instskip(NEXT) | instid1(VALU_DEP_2)
	v_and_b32_e32 v7, 7, v6
	v_and_b32_e32 v5, 0x80000000, v5
	s_delay_alu instid0(VALU_DEP_2) | instskip(NEXT) | instid1(VALU_DEP_1)
	v_clz_i32_u32_e32 v8, v7
	v_min_u32_e32 v8, 32, v8
	s_delay_alu instid0(VALU_DEP_1) | instskip(SKIP_1) | instid1(VALU_DEP_2)
	v_subrev_nc_u32_e32 v9, 28, v8
	v_sub_nc_u32_e32 v8, 29, v8
	v_lshlrev_b32_e32 v9, v9, v6
	v_bfe_u32 v6, v6, 3, 4
	s_delay_alu instid0(VALU_DEP_2) | instskip(NEXT) | instid1(VALU_DEP_2)
	v_and_b32_e32 v9, 7, v9
	v_cmp_eq_u32_e32 vcc_lo, 0, v6
	s_delay_alu instid0(VALU_DEP_2) | instskip(NEXT) | instid1(VALU_DEP_1)
	v_dual_cndmask_b32 v6, v6, v8 :: v_dual_cndmask_b32 v7, v7, v9
	v_lshl_add_u32 v6, v6, 23, 0x3b800000
	s_delay_alu instid0(VALU_DEP_2) | instskip(NEXT) | instid1(VALU_DEP_1)
	v_lshlrev_b32_e32 v7, 20, v7
	v_or3_b32 v5, v5, v6, v7
	s_delay_alu instid0(VALU_DEP_1)
	v_cvt_f16_f32_e32 v6, v5
.LBB217_865:
	s_or_b32 exec_lo, exec_lo, s7
.LBB217_866:
	s_mov_b32 s6, -1
.LBB217_867:
	s_mov_b32 s7, 0
.LBB217_868:
	s_delay_alu instid0(SALU_CYCLE_1)
	s_and_b32 vcc_lo, exec_lo, s7
	s_cbranch_vccz .LBB217_901
; %bb.869:
	v_cmp_lt_i16_e32 vcc_lo, 22, v4
	s_cbranch_vccz .LBB217_879
; %bb.870:
	v_cmp_gt_i16_e32 vcc_lo, 24, v4
	s_cbranch_vccnz .LBB217_882
; %bb.871:
	v_cmp_lt_i16_e32 vcc_lo, 24, v4
	s_cbranch_vccz .LBB217_883
; %bb.872:
	global_load_u8 v5, v[1:2], off
	s_mov_b32 s7, exec_lo
                                        ; implicit-def: $sgpr6
	s_waitcnt vmcnt(0)
	v_cmpx_lt_i16_e32 0x7f, v5
	s_xor_b32 s7, exec_lo, s7
	s_cbranch_execz .LBB217_895
; %bb.873:
	s_mov_b32 s3, -1
	s_mov_b32 s8, exec_lo
                                        ; implicit-def: $sgpr6
	v_cmpx_eq_u16_e32 0x80, v5
; %bb.874:
	s_movk_i32 s6, 0x7e00
	s_xor_b32 s3, exec_lo, -1
; %bb.875:
	s_or_b32 exec_lo, exec_lo, s8
	s_delay_alu instid0(SALU_CYCLE_1)
	s_and_b32 s3, s3, exec_lo
	s_or_saveexec_b32 s7, s7
	v_mov_b32_e32 v6, s6
	s_xor_b32 exec_lo, exec_lo, s7
	s_cbranch_execnz .LBB217_896
.LBB217_876:
	s_or_b32 exec_lo, exec_lo, s7
	s_and_saveexec_b32 s6, s3
	s_cbranch_execz .LBB217_878
.LBB217_877:
	v_and_b32_e32 v6, 0xffff, v5
	v_lshlrev_b32_e32 v5, 24, v5
	s_delay_alu instid0(VALU_DEP_2) | instskip(NEXT) | instid1(VALU_DEP_2)
	v_and_b32_e32 v7, 3, v6
	v_and_b32_e32 v5, 0x80000000, v5
	s_delay_alu instid0(VALU_DEP_2) | instskip(NEXT) | instid1(VALU_DEP_1)
	v_clz_i32_u32_e32 v8, v7
	v_min_u32_e32 v8, 32, v8
	s_delay_alu instid0(VALU_DEP_1) | instskip(SKIP_1) | instid1(VALU_DEP_2)
	v_subrev_nc_u32_e32 v9, 29, v8
	v_sub_nc_u32_e32 v8, 30, v8
	v_lshlrev_b32_e32 v9, v9, v6
	v_bfe_u32 v6, v6, 2, 5
	s_delay_alu instid0(VALU_DEP_2) | instskip(NEXT) | instid1(VALU_DEP_2)
	v_and_b32_e32 v9, 3, v9
	v_cmp_eq_u32_e32 vcc_lo, 0, v6
	s_delay_alu instid0(VALU_DEP_2) | instskip(NEXT) | instid1(VALU_DEP_1)
	v_dual_cndmask_b32 v6, v6, v8 :: v_dual_cndmask_b32 v7, v7, v9
	v_lshl_add_u32 v6, v6, 23, 0x37800000
	s_delay_alu instid0(VALU_DEP_2) | instskip(NEXT) | instid1(VALU_DEP_1)
	v_lshlrev_b32_e32 v7, 21, v7
	v_or3_b32 v5, v5, v6, v7
	s_delay_alu instid0(VALU_DEP_1)
	v_cvt_f16_f32_e32 v6, v5
.LBB217_878:
	s_or_b32 exec_lo, exec_lo, s6
	s_mov_b32 s3, 0
	s_branch .LBB217_884
.LBB217_879:
	s_mov_b32 s3, -1
                                        ; implicit-def: $vgpr6
	s_branch .LBB217_890
.LBB217_880:
	s_or_saveexec_b32 s8, s8
	v_mov_b32_e32 v6, s7
	s_xor_b32 exec_lo, exec_lo, s8
	s_cbranch_execz .LBB217_863
.LBB217_881:
	v_cmp_ne_u16_e32 vcc_lo, 0, v5
	v_mov_b32_e32 v6, v5
	s_and_not1_b32 s6, s6, exec_lo
	s_and_b32 s7, vcc_lo, exec_lo
	s_delay_alu instid0(SALU_CYCLE_1)
	s_or_b32 s6, s6, s7
	s_or_b32 exec_lo, exec_lo, s8
	s_and_saveexec_b32 s7, s6
	s_cbranch_execnz .LBB217_864
	s_branch .LBB217_865
.LBB217_882:
	s_mov_b32 s3, -1
                                        ; implicit-def: $vgpr6
	s_branch .LBB217_887
.LBB217_883:
	s_mov_b32 s3, -1
                                        ; implicit-def: $vgpr6
.LBB217_884:
	s_delay_alu instid0(SALU_CYCLE_1)
	s_and_b32 vcc_lo, exec_lo, s3
	s_cbranch_vccz .LBB217_886
; %bb.885:
	global_load_u8 v5, v[1:2], off
	s_waitcnt vmcnt(0)
	v_lshlrev_b32_e32 v5, 24, v5
	s_delay_alu instid0(VALU_DEP_1) | instskip(NEXT) | instid1(VALU_DEP_1)
	v_and_b32_e32 v6, 0x7f000000, v5
	v_clz_i32_u32_e32 v7, v6
	v_add_nc_u32_e32 v9, 0x1000000, v6
	v_cmp_ne_u32_e32 vcc_lo, 0, v6
	s_delay_alu instid0(VALU_DEP_3) | instskip(NEXT) | instid1(VALU_DEP_1)
	v_min_u32_e32 v7, 32, v7
	v_sub_nc_u32_e64 v7, v7, 4 clamp
	s_delay_alu instid0(VALU_DEP_1) | instskip(SKIP_1) | instid1(VALU_DEP_2)
	v_lshlrev_b32_e32 v8, v7, v6
	v_lshlrev_b32_e32 v7, 23, v7
	v_lshrrev_b32_e32 v8, 4, v8
	s_delay_alu instid0(VALU_DEP_1) | instskip(SKIP_1) | instid1(VALU_DEP_2)
	v_sub_nc_u32_e32 v7, v8, v7
	v_ashrrev_i32_e32 v8, 8, v9
	v_add_nc_u32_e32 v7, 0x3c000000, v7
	s_delay_alu instid0(VALU_DEP_1) | instskip(NEXT) | instid1(VALU_DEP_1)
	v_and_or_b32 v7, 0x7f800000, v8, v7
	v_cndmask_b32_e32 v6, 0, v7, vcc_lo
	s_delay_alu instid0(VALU_DEP_1) | instskip(NEXT) | instid1(VALU_DEP_1)
	v_and_or_b32 v5, 0x80000000, v5, v6
	v_cvt_f16_f32_e32 v6, v5
.LBB217_886:
	s_mov_b32 s3, 0
.LBB217_887:
	s_delay_alu instid0(SALU_CYCLE_1)
	s_and_not1_b32 vcc_lo, exec_lo, s3
	s_cbranch_vccnz .LBB217_889
; %bb.888:
	global_load_u8 v5, v[1:2], off
	s_waitcnt vmcnt(0)
	v_lshlrev_b32_e32 v6, 25, v5
	v_lshlrev_b16 v5, 8, v5
	s_delay_alu instid0(VALU_DEP_2) | instskip(NEXT) | instid1(VALU_DEP_2)
	v_lshrrev_b32_e32 v7, 4, v6
	v_and_or_b32 v8, 0x7f00, v5, 0.5
	v_bfe_i32 v5, v5, 0, 16
	s_delay_alu instid0(VALU_DEP_3) | instskip(NEXT) | instid1(VALU_DEP_1)
	v_or_b32_e32 v7, 0x70000000, v7
	v_dual_add_f32 v8, -0.5, v8 :: v_dual_mul_f32 v7, 0x7800000, v7
	v_cmp_gt_u32_e32 vcc_lo, 0x8000000, v6
	s_delay_alu instid0(VALU_DEP_2) | instskip(NEXT) | instid1(VALU_DEP_1)
	v_cndmask_b32_e32 v6, v7, v8, vcc_lo
	v_and_or_b32 v5, 0x80000000, v5, v6
	s_delay_alu instid0(VALU_DEP_1)
	v_cvt_f16_f32_e32 v6, v5
.LBB217_889:
	s_mov_b32 s3, 0
	s_mov_b32 s6, -1
.LBB217_890:
	s_and_not1_b32 vcc_lo, exec_lo, s3
	s_mov_b32 s3, 0
	s_cbranch_vccnz .LBB217_901
; %bb.891:
	v_cmp_lt_i16_e32 vcc_lo, 14, v4
	s_cbranch_vccz .LBB217_894
; %bb.892:
	v_cmp_eq_u16_e32 vcc_lo, 15, v4
	s_cbranch_vccz .LBB217_897
; %bb.893:
	global_load_u16 v5, v[1:2], off
	s_mov_b32 s2, 0
	s_mov_b32 s6, -1
	s_waitcnt vmcnt(0)
	v_lshlrev_b32_e32 v5, 16, v5
	s_delay_alu instid0(VALU_DEP_1)
	v_cvt_f16_f32_e32 v6, v5
	s_branch .LBB217_899
.LBB217_894:
	s_mov_b32 s3, -1
	s_branch .LBB217_898
.LBB217_895:
	s_or_saveexec_b32 s7, s7
	v_mov_b32_e32 v6, s6
	s_xor_b32 exec_lo, exec_lo, s7
	s_cbranch_execz .LBB217_876
.LBB217_896:
	v_cmp_ne_u16_e32 vcc_lo, 0, v5
	v_mov_b32_e32 v6, v5
	s_and_not1_b32 s3, s3, exec_lo
	s_and_b32 s6, vcc_lo, exec_lo
	s_delay_alu instid0(SALU_CYCLE_1)
	s_or_b32 s3, s3, s6
	s_or_b32 exec_lo, exec_lo, s7
	s_and_saveexec_b32 s6, s3
	s_cbranch_execnz .LBB217_877
	s_branch .LBB217_878
.LBB217_897:
	s_mov_b32 s2, -1
.LBB217_898:
                                        ; implicit-def: $vgpr6
.LBB217_899:
	s_and_b32 vcc_lo, exec_lo, s3
	s_mov_b32 s3, 0
	s_cbranch_vccz .LBB217_901
; %bb.900:
	v_cmp_ne_u16_e32 vcc_lo, 11, v4
	s_and_not1_b32 s2, s2, exec_lo
	s_mov_b32 s3, -1
                                        ; implicit-def: $vgpr6
	s_and_b32 s7, vcc_lo, exec_lo
	s_delay_alu instid0(SALU_CYCLE_1)
	s_or_b32 s2, s2, s7
.LBB217_901:
	s_mov_b32 s7, 0
.LBB217_902:
	s_and_b32 s41, s6, exec_lo
	s_and_b32 s42, s7, exec_lo
	s_and_not1_b32 s6, s22, exec_lo
	s_and_b32 s7, s2, exec_lo
	s_and_b32 s2, s3, exec_lo
	s_or_b32 s43, s6, s7
.LBB217_903:
	s_or_b32 exec_lo, exec_lo, s30
	s_waitcnt lgkmcnt(0)
	s_and_not1_b32 s6, s22, exec_lo
	s_and_b32 s7, s43, exec_lo
	s_and_b32 s41, s41, exec_lo
	;; [unrolled: 1-line block ×4, first 2 shown]
	s_or_b32 s22, s6, s7
.LBB217_904:
	s_or_b32 exec_lo, exec_lo, s40
	s_waitcnt lgkmcnt(0)
	s_and_not1_b32 s6, s38, exec_lo
	s_and_b32 s7, s23, exec_lo
	s_and_b32 s40, s41, exec_lo
	s_or_b32 s38, s6, s7
	s_and_not1_b32 s6, s37, exec_lo
	s_and_b32 s7, s22, exec_lo
	s_and_b32 s23, s3, exec_lo
	;; [unrolled: 1-line block ×3, first 2 shown]
	s_or_b32 s37, s6, s7
.LBB217_905:
	s_or_b32 exec_lo, exec_lo, s39
	s_delay_alu instid0(SALU_CYCLE_1)
	s_and_not1_b32 s2, s34, exec_lo
	s_waitcnt lgkmcnt(0)
	s_and_b32 s6, s38, exec_lo
	s_and_b32 s7, s37, exec_lo
	s_or_b32 s34, s2, s6
	s_and_not1_b32 s6, s35, exec_lo
	s_and_b32 s2, s40, exec_lo
	s_and_b32 s22, s23, exec_lo
	s_and_b32 s37, s3, exec_lo
	s_or_b32 s35, s6, s7
.LBB217_906:
	s_or_b32 exec_lo, exec_lo, s36
	s_mov_b32 s3, 0
	s_waitcnt lgkmcnt(0)
	s_and_saveexec_b32 s6, s35
	s_cbranch_execnz .LBB217_918
; %bb.907:
	s_or_b32 exec_lo, exec_lo, s6
	s_and_saveexec_b32 s6, s37
	s_delay_alu instid0(SALU_CYCLE_1)
	s_xor_b32 s6, exec_lo, s6
	s_cbranch_execz .LBB217_909
.LBB217_908:
	global_load_u8 v5, v[1:2], off
	s_or_b32 s2, s2, exec_lo
	s_waitcnt vmcnt(0)
	v_cmp_ne_u16_e32 vcc_lo, 0, v5
	v_cndmask_b32_e64 v6, 0, 0x3c00, vcc_lo
.LBB217_909:
	s_or_b32 exec_lo, exec_lo, s6
	s_and_saveexec_b32 s6, s22
	s_cbranch_execz .LBB217_957
; %bb.910:
	v_cmp_gt_i16_e32 vcc_lo, 5, v4
	s_cbranch_vccnz .LBB217_915
; %bb.911:
	v_cmp_gt_i16_e32 vcc_lo, 8, v4
	s_cbranch_vccnz .LBB217_916
	;; [unrolled: 3-line block ×3, first 2 shown]
; %bb.913:
	v_cmp_lt_i16_e32 vcc_lo, 9, v4
	s_cbranch_vccz .LBB217_920
; %bb.914:
	global_load_b64 v[5:6], v[1:2], off
	s_mov_b32 s7, 0
	s_waitcnt vmcnt(0)
	v_cvt_f32_f64_e32 v5, v[5:6]
	s_delay_alu instid0(VALU_DEP_1)
	v_cvt_f16_f32_e32 v6, v5
	s_branch .LBB217_921
.LBB217_915:
                                        ; implicit-def: $vgpr6
	s_branch .LBB217_938
.LBB217_916:
                                        ; implicit-def: $vgpr6
	s_branch .LBB217_927
.LBB217_917:
	s_mov_b32 s7, -1
                                        ; implicit-def: $vgpr6
	s_branch .LBB217_924
.LBB217_918:
	s_cbranch_execnz .LBB217_1188
; %bb.919:
	s_mov_b32 s3, exec_lo
	s_and_not1_b32 s37, s37, exec_lo
                                        ; implicit-def: $vgpr6
	s_or_b32 exec_lo, exec_lo, s6
	s_and_saveexec_b32 s6, s37
	s_delay_alu instid0(SALU_CYCLE_1)
	s_xor_b32 s6, exec_lo, s6
	s_cbranch_execnz .LBB217_908
	s_branch .LBB217_909
.LBB217_920:
	s_mov_b32 s7, -1
                                        ; implicit-def: $vgpr6
.LBB217_921:
	s_delay_alu instid0(SALU_CYCLE_1)
	s_and_not1_b32 vcc_lo, exec_lo, s7
	s_cbranch_vccnz .LBB217_923
; %bb.922:
	global_load_b32 v5, v[1:2], off
	s_waitcnt vmcnt(0)
	v_cvt_f16_f32_e32 v6, v5
.LBB217_923:
	s_mov_b32 s7, 0
.LBB217_924:
	s_delay_alu instid0(SALU_CYCLE_1)
	s_and_not1_b32 vcc_lo, exec_lo, s7
	s_cbranch_vccnz .LBB217_926
; %bb.925:
	global_load_b32 v6, v[1:2], off
.LBB217_926:
	s_cbranch_execnz .LBB217_937
.LBB217_927:
	v_cmp_gt_i16_e32 vcc_lo, 6, v4
	s_cbranch_vccnz .LBB217_930
; %bb.928:
	v_cmp_lt_i16_e32 vcc_lo, 6, v4
	s_cbranch_vccz .LBB217_931
; %bb.929:
	global_load_b64 v[5:6], v[1:2], off
	s_mov_b32 s7, 0
	s_waitcnt vmcnt(0)
	v_cvt_f32_f64_e32 v5, v[5:6]
	s_delay_alu instid0(VALU_DEP_1)
	v_cvt_f16_f32_e32 v6, v5
	s_branch .LBB217_932
.LBB217_930:
	s_mov_b32 s7, -1
                                        ; implicit-def: $vgpr6
	s_branch .LBB217_935
.LBB217_931:
	s_mov_b32 s7, -1
                                        ; implicit-def: $vgpr6
.LBB217_932:
	s_delay_alu instid0(SALU_CYCLE_1)
	s_and_not1_b32 vcc_lo, exec_lo, s7
	s_cbranch_vccnz .LBB217_934
; %bb.933:
	global_load_b32 v5, v[1:2], off
	s_waitcnt vmcnt(0)
	v_cvt_f16_f32_e32 v6, v5
.LBB217_934:
	s_mov_b32 s7, 0
.LBB217_935:
	s_delay_alu instid0(SALU_CYCLE_1)
	s_and_not1_b32 vcc_lo, exec_lo, s7
	s_cbranch_vccnz .LBB217_937
; %bb.936:
	global_load_u16 v6, v[1:2], off
.LBB217_937:
	s_cbranch_execnz .LBB217_956
.LBB217_938:
	v_cmp_gt_i16_e32 vcc_lo, 2, v4
	s_cbranch_vccnz .LBB217_942
; %bb.939:
	v_cmp_gt_i16_e32 vcc_lo, 3, v4
	s_cbranch_vccnz .LBB217_943
; %bb.940:
	v_cmp_lt_i16_e32 vcc_lo, 3, v4
	s_cbranch_vccz .LBB217_944
; %bb.941:
	global_load_b64 v[5:6], v[1:2], off
	s_mov_b32 s7, 0
	s_waitcnt vmcnt(0)
	v_xor_b32_e32 v7, v5, v6
	v_cls_i32_e32 v8, v6
	s_delay_alu instid0(VALU_DEP_2) | instskip(NEXT) | instid1(VALU_DEP_2)
	v_ashrrev_i32_e32 v7, 31, v7
	v_add_nc_u32_e32 v8, -1, v8
	s_delay_alu instid0(VALU_DEP_2) | instskip(NEXT) | instid1(VALU_DEP_1)
	v_add_nc_u32_e32 v7, 32, v7
	v_min_u32_e32 v7, v8, v7
	s_delay_alu instid0(VALU_DEP_1) | instskip(NEXT) | instid1(VALU_DEP_1)
	v_lshlrev_b64 v[5:6], v7, v[5:6]
	v_min_u32_e32 v5, 1, v5
	s_delay_alu instid0(VALU_DEP_1) | instskip(SKIP_1) | instid1(VALU_DEP_2)
	v_or_b32_e32 v5, v6, v5
	v_sub_nc_u32_e32 v6, 32, v7
	v_cvt_f32_i32_e32 v5, v5
	s_delay_alu instid0(VALU_DEP_1) | instskip(NEXT) | instid1(VALU_DEP_1)
	v_ldexp_f32 v5, v5, v6
	v_cvt_f16_f32_e32 v6, v5
	s_branch .LBB217_945
.LBB217_942:
                                        ; implicit-def: $vgpr6
	s_branch .LBB217_951
.LBB217_943:
	s_mov_b32 s7, -1
                                        ; implicit-def: $vgpr6
	s_branch .LBB217_948
.LBB217_944:
	s_mov_b32 s7, -1
                                        ; implicit-def: $vgpr6
.LBB217_945:
	s_delay_alu instid0(SALU_CYCLE_1)
	s_and_not1_b32 vcc_lo, exec_lo, s7
	s_cbranch_vccnz .LBB217_947
; %bb.946:
	global_load_b32 v5, v[1:2], off
	s_waitcnt vmcnt(0)
	v_cvt_f32_i32_e32 v5, v5
	s_delay_alu instid0(VALU_DEP_1)
	v_cvt_f16_f32_e32 v6, v5
.LBB217_947:
	s_mov_b32 s7, 0
.LBB217_948:
	s_delay_alu instid0(SALU_CYCLE_1)
	s_and_not1_b32 vcc_lo, exec_lo, s7
	s_cbranch_vccnz .LBB217_950
; %bb.949:
	global_load_u16 v5, v[1:2], off
	s_waitcnt vmcnt(0)
	v_cvt_f16_i16_e32 v6, v5
.LBB217_950:
	s_cbranch_execnz .LBB217_956
.LBB217_951:
	v_cmp_lt_i16_e32 vcc_lo, 0, v4
	s_mov_b32 s7, 0
	s_cbranch_vccz .LBB217_953
; %bb.952:
	global_load_i8 v4, v[1:2], off
	s_waitcnt vmcnt(0)
	v_cvt_f16_i16_e32 v6, v4
	s_branch .LBB217_954
.LBB217_953:
	s_mov_b32 s7, -1
                                        ; implicit-def: $vgpr6
.LBB217_954:
	s_delay_alu instid0(SALU_CYCLE_1)
	s_and_not1_b32 vcc_lo, exec_lo, s7
	s_cbranch_vccnz .LBB217_956
; %bb.955:
	global_load_u8 v1, v[1:2], off
	s_waitcnt vmcnt(0)
	v_cvt_f16_u16_e32 v6, v1
.LBB217_956:
	s_or_b32 s2, s2, exec_lo
.LBB217_957:
	s_or_b32 exec_lo, exec_lo, s6
	s_mov_b32 s8, 0
	s_mov_b32 s7, 0
                                        ; implicit-def: $vgpr5
                                        ; implicit-def: $vgpr1_vgpr2
                                        ; implicit-def: $vgpr4
	s_and_saveexec_b32 s6, s2
	s_cbranch_execz .LBB217_1034
; %bb.958:
	s_waitcnt vmcnt(0)
	v_cvt_f32_f16_e32 v1, v6
	s_delay_alu instid0(VALU_DEP_1) | instskip(NEXT) | instid1(VALU_DEP_1)
	v_cvt_f64_f32_e32 v[1:2], v1
	v_rsq_f64_e32 v[4:5], v[1:2]
	s_waitcnt_depctr 0xfff
	v_mul_f64 v[1:2], v[4:5], -v[1:2]
	v_cmp_class_f64_e64 vcc_lo, v[4:5], 0x180
	s_delay_alu instid0(VALU_DEP_2) | instskip(NEXT) | instid1(VALU_DEP_1)
	v_fma_f64 v[1:2], v[1:2], v[4:5], 1.0
	v_mul_f64 v[6:7], v[4:5], v[1:2]
	v_fma_f64 v[1:2], 0x3fd80000, v[1:2], 0.5
	s_delay_alu instid0(VALU_DEP_1) | instskip(NEXT) | instid1(VALU_DEP_1)
	v_fma_f64 v[1:2], v[6:7], v[1:2], v[4:5]
	v_dual_cndmask_b32 v2, v5, v2 :: v_dual_cndmask_b32 v1, v4, v1
	v_and_b32_e32 v5, 0xff, v3
	s_delay_alu instid0(VALU_DEP_2) | instskip(NEXT) | instid1(VALU_DEP_2)
	v_cvt_f32_f64_e32 v4, v[1:2]
	v_cmp_gt_i16_e32 vcc_lo, 11, v5
	v_add_co_u32 v1, s2, s4, v0
	s_delay_alu instid0(VALU_DEP_1) | instskip(SKIP_2) | instid1(VALU_DEP_4)
	v_add_co_ci_u32_e64 v2, null, s5, 0, s2
	s_mov_b32 s4, -1
	s_mov_b32 s2, s34
	v_cvt_f16_f32_e32 v4, v4
	s_cbranch_vccnz .LBB217_1033
; %bb.959:
	v_cmp_lt_i16_e32 vcc_lo, 25, v5
	s_mov_b32 s2, s34
	s_cbranch_vccz .LBB217_992
; %bb.960:
	v_cmp_lt_i16_e32 vcc_lo, 28, v5
	s_mov_b32 s2, s34
	s_cbranch_vccz .LBB217_976
; %bb.961:
	v_cmp_lt_i16_e32 vcc_lo, 43, v5
	s_mov_b32 s2, s34
	s_cbranch_vccz .LBB217_972
; %bb.962:
	v_cmp_lt_i16_e32 vcc_lo, 45, v5
	s_mov_b32 s2, s34
	s_cbranch_vccz .LBB217_966
; %bb.963:
	v_cmp_eq_u16_e32 vcc_lo, 46, v5
	s_mov_b32 s2, -1
	s_cbranch_vccz .LBB217_965
; %bb.964:
	v_cvt_f32_f16_e32 v0, v4
	v_cmp_o_f16_e32 vcc_lo, v4, v4
	s_mov_b32 s2, 0
	s_delay_alu instid0(VALU_DEP_2) | instskip(NEXT) | instid1(VALU_DEP_1)
	v_bfe_u32 v3, v0, 16, 1
	v_add3_u32 v0, v0, v3, 0x7fff
	s_delay_alu instid0(VALU_DEP_1) | instskip(NEXT) | instid1(VALU_DEP_1)
	v_lshrrev_b32_e32 v0, 16, v0
	v_cndmask_b32_e32 v0, 0x7fc0, v0, vcc_lo
	global_store_b32 v[1:2], v0, off
.LBB217_965:
	s_mov_b32 s4, 0
.LBB217_966:
	s_delay_alu instid0(SALU_CYCLE_1)
	s_and_b32 vcc_lo, exec_lo, s4
	s_cbranch_vccz .LBB217_971
; %bb.967:
	v_cmp_eq_u16_e32 vcc_lo, 44, v5
	s_mov_b32 s2, -1
	s_cbranch_vccz .LBB217_971
; %bb.968:
	v_cvt_f32_f16_e32 v0, v4
	v_mov_b32_e32 v3, 0xff
	s_mov_b32 s4, exec_lo
	s_delay_alu instid0(VALU_DEP_2) | instskip(NEXT) | instid1(VALU_DEP_1)
	v_bfe_u32 v6, v0, 23, 8
	v_cmpx_ne_u32_e32 0xff, v6
; %bb.969:
	v_and_b32_e32 v3, 0x400000, v0
	v_and_or_b32 v6, 0x3fffff, v0, v6
	v_lshrrev_b32_e32 v0, 23, v0
	s_delay_alu instid0(VALU_DEP_3) | instskip(NEXT) | instid1(VALU_DEP_3)
	v_cmp_ne_u32_e32 vcc_lo, 0, v3
	v_cmp_ne_u32_e64 s2, 0, v6
	s_delay_alu instid0(VALU_DEP_1) | instskip(NEXT) | instid1(SALU_CYCLE_1)
	s_and_b32 s2, vcc_lo, s2
	v_cndmask_b32_e64 v3, 0, 1, s2
	s_delay_alu instid0(VALU_DEP_1)
	v_add_nc_u32_e32 v3, v0, v3
; %bb.970:
	s_or_b32 exec_lo, exec_lo, s4
	s_mov_b32 s2, 0
	global_store_b8 v[1:2], v3, off
.LBB217_971:
	s_mov_b32 s4, 0
.LBB217_972:
	s_delay_alu instid0(SALU_CYCLE_1)
	s_and_b32 vcc_lo, exec_lo, s4
	s_cbranch_vccz .LBB217_975
; %bb.973:
	v_cmp_eq_u16_e32 vcc_lo, 29, v5
	s_mov_b32 s2, -1
	s_cbranch_vccz .LBB217_975
; %bb.974:
	v_cvt_f32_f16_e32 v0, v4
	v_mov_b32_e32 v7, 0
	s_mov_b32 s2, 0
	s_delay_alu instid0(VALU_DEP_2)
	v_cvt_u32_f32_e32 v6, v0
	global_store_b64 v[1:2], v[6:7], off
.LBB217_975:
	s_mov_b32 s4, 0
.LBB217_976:
	s_delay_alu instid0(SALU_CYCLE_1)
	s_and_b32 vcc_lo, exec_lo, s4
	s_cbranch_vccz .LBB217_991
; %bb.977:
	v_cmp_gt_i16_e32 vcc_lo, 27, v5
	s_mov_b32 s4, -1
	s_cbranch_vccnz .LBB217_983
; %bb.978:
	v_cmp_lt_i16_e32 vcc_lo, 27, v5
	s_cbranch_vccz .LBB217_980
; %bb.979:
	v_cvt_f32_f16_e32 v0, v4
	s_mov_b32 s4, 0
	s_delay_alu instid0(VALU_DEP_1)
	v_cvt_u32_f32_e32 v0, v0
	global_store_b32 v[1:2], v0, off
.LBB217_980:
	s_and_not1_b32 vcc_lo, exec_lo, s4
	s_cbranch_vccnz .LBB217_982
; %bb.981:
	v_cvt_u16_f16_e32 v0, v4
	global_store_b16 v[1:2], v0, off
.LBB217_982:
	s_mov_b32 s4, 0
.LBB217_983:
	s_delay_alu instid0(SALU_CYCLE_1)
	s_and_not1_b32 vcc_lo, exec_lo, s4
	s_cbranch_vccnz .LBB217_991
; %bb.984:
	v_cvt_f32_f16_e32 v0, v4
	v_mov_b32_e32 v6, 0x80
	s_mov_b32 s4, exec_lo
	s_delay_alu instid0(VALU_DEP_2) | instskip(NEXT) | instid1(VALU_DEP_1)
	v_and_b32_e32 v3, 0x7fffffff, v0
	v_cmpx_gt_u32_e32 0x43800000, v3
	s_cbranch_execz .LBB217_990
; %bb.985:
	v_cmp_lt_u32_e32 vcc_lo, 0x3bffffff, v3
	s_mov_b32 s5, 0
                                        ; implicit-def: $vgpr3
	s_and_saveexec_b32 s7, vcc_lo
	s_delay_alu instid0(SALU_CYCLE_1)
	s_xor_b32 s7, exec_lo, s7
	s_cbranch_execz .LBB217_1279
; %bb.986:
	v_bfe_u32 v3, v0, 20, 1
	s_mov_b32 s5, exec_lo
	s_delay_alu instid0(VALU_DEP_1) | instskip(NEXT) | instid1(VALU_DEP_1)
	v_add3_u32 v3, v0, v3, 0x487ffff
	v_lshrrev_b32_e32 v3, 20, v3
	s_or_saveexec_b32 s7, s7
                                        ; implicit-def: $sgpr8
	s_delay_alu instid0(SALU_CYCLE_1)
	s_xor_b32 exec_lo, exec_lo, s7
	s_cbranch_execnz .LBB217_1280
.LBB217_987:
	s_or_b32 exec_lo, exec_lo, s7
	v_mov_b32_e32 v6, s8
	s_and_saveexec_b32 s7, s5
.LBB217_988:
	v_lshrrev_b32_e32 v0, 24, v0
	s_delay_alu instid0(VALU_DEP_1)
	v_and_or_b32 v6, 0x80, v0, v3
.LBB217_989:
	s_or_b32 exec_lo, exec_lo, s7
.LBB217_990:
	s_delay_alu instid0(SALU_CYCLE_1)
	s_or_b32 exec_lo, exec_lo, s4
	global_store_b8 v[1:2], v6, off
.LBB217_991:
	s_mov_b32 s4, 0
.LBB217_992:
	s_delay_alu instid0(SALU_CYCLE_1)
	s_and_b32 vcc_lo, exec_lo, s4
	s_mov_b32 s4, 0
	s_cbranch_vccz .LBB217_1032
; %bb.993:
	v_cmp_lt_i16_e32 vcc_lo, 22, v5
	s_mov_b32 s5, -1
	s_cbranch_vccz .LBB217_1025
; %bb.994:
	v_cmp_gt_i16_e32 vcc_lo, 24, v5
	s_cbranch_vccnz .LBB217_1014
; %bb.995:
	v_cmp_lt_i16_e32 vcc_lo, 24, v5
	s_cbranch_vccz .LBB217_1003
; %bb.996:
	v_cvt_f32_f16_e32 v0, v4
	v_mov_b32_e32 v6, 0x80
	s_mov_b32 s5, exec_lo
	s_delay_alu instid0(VALU_DEP_2) | instskip(NEXT) | instid1(VALU_DEP_1)
	v_and_b32_e32 v3, 0x7fffffff, v0
	v_cmpx_gt_u32_e32 0x47800000, v3
	s_cbranch_execz .LBB217_1002
; %bb.997:
	v_cmp_lt_u32_e32 vcc_lo, 0x37ffffff, v3
	s_mov_b32 s7, 0
                                        ; implicit-def: $vgpr3
	s_and_saveexec_b32 s8, vcc_lo
	s_delay_alu instid0(SALU_CYCLE_1)
	s_xor_b32 s8, exec_lo, s8
	s_cbranch_execz .LBB217_1323
; %bb.998:
	v_bfe_u32 v3, v0, 21, 1
	s_mov_b32 s7, exec_lo
	s_delay_alu instid0(VALU_DEP_1) | instskip(NEXT) | instid1(VALU_DEP_1)
	v_add3_u32 v3, v0, v3, 0x88fffff
	v_lshrrev_b32_e32 v3, 21, v3
	s_or_saveexec_b32 s8, s8
                                        ; implicit-def: $sgpr9
	s_delay_alu instid0(SALU_CYCLE_1)
	s_xor_b32 exec_lo, exec_lo, s8
	s_cbranch_execnz .LBB217_1324
.LBB217_999:
	s_or_b32 exec_lo, exec_lo, s8
	v_mov_b32_e32 v6, s9
	s_and_saveexec_b32 s8, s7
.LBB217_1000:
	v_lshrrev_b32_e32 v0, 24, v0
	s_delay_alu instid0(VALU_DEP_1)
	v_and_or_b32 v6, 0x80, v0, v3
.LBB217_1001:
	s_or_b32 exec_lo, exec_lo, s8
.LBB217_1002:
	s_delay_alu instid0(SALU_CYCLE_1)
	s_or_b32 exec_lo, exec_lo, s5
	s_mov_b32 s5, 0
	global_store_b8 v[1:2], v6, off
.LBB217_1003:
	s_and_b32 vcc_lo, exec_lo, s5
	s_cbranch_vccz .LBB217_1013
; %bb.1004:
	v_cvt_f32_f16_e32 v0, v4
	s_mov_b32 s5, exec_lo
                                        ; implicit-def: $vgpr3
	s_delay_alu instid0(VALU_DEP_1) | instskip(NEXT) | instid1(VALU_DEP_1)
	v_and_b32_e32 v6, 0x7fffffff, v0
	v_cmpx_gt_u32_e32 0x43f00000, v6
	s_xor_b32 s5, exec_lo, s5
	s_cbranch_execz .LBB217_1010
; %bb.1005:
	s_mov_b32 s7, exec_lo
                                        ; implicit-def: $vgpr3
	v_cmpx_lt_u32_e32 0x3c7fffff, v6
	s_xor_b32 s7, exec_lo, s7
; %bb.1006:
	v_bfe_u32 v3, v0, 20, 1
	s_delay_alu instid0(VALU_DEP_1) | instskip(NEXT) | instid1(VALU_DEP_1)
	v_add3_u32 v3, v0, v3, 0x407ffff
	v_and_b32_e32 v6, 0xff00000, v3
	v_lshrrev_b32_e32 v3, 20, v3
	s_delay_alu instid0(VALU_DEP_2) | instskip(NEXT) | instid1(VALU_DEP_2)
	v_cmp_ne_u32_e32 vcc_lo, 0x7f00000, v6
	v_cndmask_b32_e32 v3, 0x7e, v3, vcc_lo
; %bb.1007:
	s_and_not1_saveexec_b32 s7, s7
; %bb.1008:
	v_add_f32_e64 v3, 0x46800000, |v0|
; %bb.1009:
	s_or_b32 exec_lo, exec_lo, s7
                                        ; implicit-def: $vgpr6
.LBB217_1010:
	s_and_not1_saveexec_b32 s5, s5
; %bb.1011:
	v_mov_b32_e32 v3, 0x7f
	v_cmp_lt_u32_e32 vcc_lo, 0x7f800000, v6
	s_delay_alu instid0(VALU_DEP_2)
	v_cndmask_b32_e32 v3, 0x7e, v3, vcc_lo
; %bb.1012:
	s_or_b32 exec_lo, exec_lo, s5
	v_lshrrev_b32_e32 v0, 24, v0
	s_delay_alu instid0(VALU_DEP_1)
	v_and_or_b32 v0, 0x80, v0, v3
	global_store_b8 v[1:2], v0, off
.LBB217_1013:
	s_mov_b32 s5, 0
.LBB217_1014:
	s_delay_alu instid0(SALU_CYCLE_1)
	s_and_not1_b32 vcc_lo, exec_lo, s5
	s_cbranch_vccnz .LBB217_1024
; %bb.1015:
	v_cvt_f32_f16_e32 v0, v4
	s_mov_b32 s5, exec_lo
                                        ; implicit-def: $vgpr3
	s_delay_alu instid0(VALU_DEP_1) | instskip(NEXT) | instid1(VALU_DEP_1)
	v_and_b32_e32 v6, 0x7fffffff, v0
	v_cmpx_gt_u32_e32 0x47800000, v6
	s_xor_b32 s5, exec_lo, s5
	s_cbranch_execz .LBB217_1021
; %bb.1016:
	s_mov_b32 s7, exec_lo
                                        ; implicit-def: $vgpr3
	v_cmpx_lt_u32_e32 0x387fffff, v6
	s_xor_b32 s7, exec_lo, s7
; %bb.1017:
	v_bfe_u32 v3, v0, 21, 1
	s_delay_alu instid0(VALU_DEP_1) | instskip(NEXT) | instid1(VALU_DEP_1)
	v_add3_u32 v3, v0, v3, 0x80fffff
	v_lshrrev_b32_e32 v3, 21, v3
; %bb.1018:
	s_and_not1_saveexec_b32 s7, s7
; %bb.1019:
	v_add_f32_e64 v3, 0x43000000, |v0|
; %bb.1020:
	s_or_b32 exec_lo, exec_lo, s7
                                        ; implicit-def: $vgpr6
.LBB217_1021:
	s_and_not1_saveexec_b32 s5, s5
; %bb.1022:
	v_mov_b32_e32 v3, 0x7f
	v_cmp_lt_u32_e32 vcc_lo, 0x7f800000, v6
	s_delay_alu instid0(VALU_DEP_2)
	v_cndmask_b32_e32 v3, 0x7c, v3, vcc_lo
; %bb.1023:
	s_or_b32 exec_lo, exec_lo, s5
	v_lshrrev_b32_e32 v0, 24, v0
	s_delay_alu instid0(VALU_DEP_1)
	v_and_or_b32 v0, 0x80, v0, v3
	global_store_b8 v[1:2], v0, off
.LBB217_1024:
	s_mov_b32 s5, 0
.LBB217_1025:
	s_delay_alu instid0(SALU_CYCLE_1)
	s_and_not1_b32 vcc_lo, exec_lo, s5
	s_mov_b32 s8, 0
	s_cbranch_vccnz .LBB217_1033
; %bb.1026:
	v_cmp_lt_i16_e32 vcc_lo, 14, v5
	s_mov_b32 s5, -1
	s_cbranch_vccz .LBB217_1030
; %bb.1027:
	v_cmp_eq_u16_e32 vcc_lo, 15, v5
	s_mov_b32 s2, -1
	s_cbranch_vccz .LBB217_1029
; %bb.1028:
	v_cvt_f32_f16_e32 v0, v4
	v_cmp_o_f16_e32 vcc_lo, v4, v4
	s_mov_b32 s2, 0
	s_delay_alu instid0(VALU_DEP_2) | instskip(NEXT) | instid1(VALU_DEP_1)
	v_bfe_u32 v3, v0, 16, 1
	v_add3_u32 v0, v0, v3, 0x7fff
	s_delay_alu instid0(VALU_DEP_1) | instskip(NEXT) | instid1(VALU_DEP_1)
	v_lshrrev_b32_e32 v0, 16, v0
	v_cndmask_b32_e32 v0, 0x7fc0, v0, vcc_lo
	global_store_b16 v[1:2], v0, off
.LBB217_1029:
	s_mov_b32 s5, 0
.LBB217_1030:
	s_delay_alu instid0(SALU_CYCLE_1)
	s_and_b32 vcc_lo, exec_lo, s5
	s_cbranch_vccz .LBB217_1033
; %bb.1031:
	v_cmp_ne_u16_e32 vcc_lo, 11, v5
	s_and_not1_b32 s2, s2, exec_lo
	s_mov_b32 s8, -1
	s_and_b32 s5, vcc_lo, exec_lo
	s_delay_alu instid0(SALU_CYCLE_1)
	s_or_b32 s2, s2, s5
	s_branch .LBB217_1033
.LBB217_1032:
	s_mov_b32 s8, 0
.LBB217_1033:
	s_and_b32 s7, s4, exec_lo
	s_and_not1_b32 s4, s34, exec_lo
	s_and_b32 s2, s2, exec_lo
	s_and_b32 s8, s8, exec_lo
	s_or_b32 s34, s4, s2
.LBB217_1034:
	s_or_b32 exec_lo, exec_lo, s6
	s_and_saveexec_b32 s2, s34
	s_cbranch_execnz .LBB217_1148
; %bb.1035:
	s_or_b32 exec_lo, exec_lo, s2
	s_and_saveexec_b32 s2, s8
	s_delay_alu instid0(SALU_CYCLE_1)
	s_xor_b32 s2, exec_lo, s2
	s_cbranch_execz .LBB217_1037
.LBB217_1036:
	v_cmp_neq_f16_e32 vcc_lo, 0, v4
	v_cndmask_b32_e64 v0, 0, 1, vcc_lo
	global_store_b8 v[1:2], v0, off
.LBB217_1037:
	s_or_b32 exec_lo, exec_lo, s2
	s_and_saveexec_b32 s2, s7
	s_delay_alu instid0(SALU_CYCLE_1)
	s_xor_b32 s2, exec_lo, s2
	s_cbranch_execz .LBB217_1075
; %bb.1038:
	v_cmp_gt_i16_e32 vcc_lo, 5, v5
	s_mov_b32 s4, -1
	s_cbranch_vccnz .LBB217_1059
; %bb.1039:
	v_cmp_gt_i16_e32 vcc_lo, 8, v5
	s_cbranch_vccnz .LBB217_1049
; %bb.1040:
	v_cmp_gt_i16_e32 vcc_lo, 9, v5
	s_cbranch_vccnz .LBB217_1046
; %bb.1041:
	v_cmp_lt_i16_e32 vcc_lo, 9, v5
	s_cbranch_vccz .LBB217_1043
; %bb.1042:
	v_cvt_f32_f16_e32 v0, v4
	v_mov_b32_e32 v8, 0
	s_mov_b32 s4, 0
	s_waitcnt vmcnt(0)
	s_delay_alu instid0(VALU_DEP_2) | instskip(NEXT) | instid1(VALU_DEP_2)
	v_cvt_f64_f32_e32 v[6:7], v0
	v_mov_b32_e32 v9, v8
	global_store_b128 v[1:2], v[6:9], off
.LBB217_1043:
	s_and_not1_b32 vcc_lo, exec_lo, s4
	s_cbranch_vccnz .LBB217_1045
; %bb.1044:
	s_waitcnt vmcnt(0)
	v_cvt_f32_f16_e32 v6, v4
	v_mov_b32_e32 v7, 0
	global_store_b64 v[1:2], v[6:7], off
.LBB217_1045:
	s_mov_b32 s4, 0
.LBB217_1046:
	s_delay_alu instid0(SALU_CYCLE_1)
	s_and_not1_b32 vcc_lo, exec_lo, s4
	s_cbranch_vccnz .LBB217_1048
; %bb.1047:
	v_and_b32_e32 v0, 0xffff, v4
	global_store_b32 v[1:2], v0, off
.LBB217_1048:
	s_mov_b32 s4, 0
.LBB217_1049:
	s_delay_alu instid0(SALU_CYCLE_1)
	s_and_not1_b32 vcc_lo, exec_lo, s4
	s_cbranch_vccnz .LBB217_1058
; %bb.1050:
	v_cmp_gt_i16_e32 vcc_lo, 6, v5
	s_mov_b32 s4, -1
	s_cbranch_vccnz .LBB217_1056
; %bb.1051:
	v_cmp_lt_i16_e32 vcc_lo, 6, v5
	s_cbranch_vccz .LBB217_1053
; %bb.1052:
	v_cvt_f32_f16_e32 v0, v4
	s_mov_b32 s4, 0
	s_waitcnt vmcnt(0)
	s_delay_alu instid0(VALU_DEP_1)
	v_cvt_f64_f32_e32 v[6:7], v0
	global_store_b64 v[1:2], v[6:7], off
.LBB217_1053:
	s_and_not1_b32 vcc_lo, exec_lo, s4
	s_cbranch_vccnz .LBB217_1055
; %bb.1054:
	v_cvt_f32_f16_e32 v0, v4
	global_store_b32 v[1:2], v0, off
.LBB217_1055:
	s_mov_b32 s4, 0
.LBB217_1056:
	s_delay_alu instid0(SALU_CYCLE_1)
	s_and_not1_b32 vcc_lo, exec_lo, s4
	s_cbranch_vccnz .LBB217_1058
; %bb.1057:
	global_store_b16 v[1:2], v4, off
.LBB217_1058:
	s_mov_b32 s4, 0
.LBB217_1059:
	s_delay_alu instid0(SALU_CYCLE_1)
	s_and_not1_b32 vcc_lo, exec_lo, s4
	s_cbranch_vccnz .LBB217_1075
; %bb.1060:
	v_cmp_gt_i16_e32 vcc_lo, 2, v5
	s_mov_b32 s4, -1
	s_cbranch_vccnz .LBB217_1070
; %bb.1061:
	v_cmp_gt_i16_e32 vcc_lo, 3, v5
	s_cbranch_vccnz .LBB217_1067
; %bb.1062:
	v_cmp_lt_i16_e32 vcc_lo, 3, v5
	s_cbranch_vccz .LBB217_1064
; %bb.1063:
	v_cvt_f32_f16_e32 v0, v4
	s_mov_b32 s4, 0
	s_waitcnt vmcnt(0)
	s_delay_alu instid0(VALU_DEP_1) | instskip(NEXT) | instid1(VALU_DEP_1)
	v_cvt_i32_f32_e32 v6, v0
	v_ashrrev_i32_e32 v7, 31, v6
	global_store_b64 v[1:2], v[6:7], off
.LBB217_1064:
	s_and_not1_b32 vcc_lo, exec_lo, s4
	s_cbranch_vccnz .LBB217_1066
; %bb.1065:
	v_cvt_f32_f16_e32 v0, v4
	s_delay_alu instid0(VALU_DEP_1)
	v_cvt_i32_f32_e32 v0, v0
	global_store_b32 v[1:2], v0, off
.LBB217_1066:
	s_mov_b32 s4, 0
.LBB217_1067:
	s_delay_alu instid0(SALU_CYCLE_1)
	s_and_not1_b32 vcc_lo, exec_lo, s4
	s_cbranch_vccnz .LBB217_1069
; %bb.1068:
	v_cvt_i16_f16_e32 v0, v4
	global_store_b16 v[1:2], v0, off
.LBB217_1069:
	s_mov_b32 s4, 0
.LBB217_1070:
	s_delay_alu instid0(SALU_CYCLE_1)
	s_and_not1_b32 vcc_lo, exec_lo, s4
	s_cbranch_vccnz .LBB217_1075
; %bb.1071:
	v_cmp_lt_i16_e32 vcc_lo, 0, v5
	s_mov_b32 s4, -1
	s_cbranch_vccz .LBB217_1073
; %bb.1072:
	v_cvt_i16_f16_e32 v0, v4
	s_mov_b32 s4, 0
	global_store_b8 v[1:2], v0, off
.LBB217_1073:
	s_and_not1_b32 vcc_lo, exec_lo, s4
	s_cbranch_vccnz .LBB217_1075
; %bb.1074:
	v_cvt_f32_f16_e32 v0, v4
	s_delay_alu instid0(VALU_DEP_1)
	v_cvt_i32_f32_e32 v0, v0
	global_store_b8 v[1:2], v0, off
.LBB217_1075:
	s_or_b32 exec_lo, exec_lo, s2
	s_delay_alu instid0(SALU_CYCLE_1)
	s_and_b32 s8, s3, exec_lo
                                        ; implicit-def: $vgpr8
                                        ; implicit-def: $vgpr5
.LBB217_1076:
	s_or_saveexec_b32 s9, s28
	s_mov_b32 s3, 0
                                        ; implicit-def: $vgpr0_vgpr1
                                        ; implicit-def: $vgpr6
                                        ; implicit-def: $vgpr2
	s_xor_b32 exec_lo, exec_lo, s9
	s_cbranch_execz .LBB217_2092
; %bb.1077:
	v_cndmask_b32_e64 v0, 0, 1, s27
	s_and_not1_b32 vcc_lo, exec_lo, s27
	s_cbranch_vccnz .LBB217_1083
; %bb.1078:
	v_mov_b32_e32 v3, 0
	v_mov_b32_e32 v7, 0
	s_cmp_lg_u32 s24, 0
	s_mov_b32 s6, 0
	s_cbranch_scc0 .LBB217_1087
; %bb.1079:
	s_min_u32 s7, s25, 15
	v_mov_b32_e32 v3, 0
	s_add_i32 s7, s7, 1
	s_cmp_eq_u32 s25, 2
	s_mov_b32 s10, 0
	s_cbranch_scc1 .LBB217_1084
; %bb.1080:
	v_mov_b32_e32 v7, 0
	v_mov_b32_e32 v3, 0
	v_mov_b32_e32 v1, v5
	s_add_u32 s2, s16, 0xc4
	s_addc_u32 s3, s17, 0
	s_and_b32 s10, s7, 28
	s_mov_b32 s11, 0
	s_mov_b64 s[4:5], s[16:17]
.LBB217_1081:                           ; =>This Inner Loop Header: Depth=1
	s_clause 0x1
	s_load_b256 s[36:43], s[4:5], 0x4
	s_load_b128 s[12:15], s[4:5], 0x24
	s_load_b256 s[44:51], s[2:3], 0x0
	s_add_u32 s4, s4, 48
	s_addc_u32 s5, s5, 0
	s_add_i32 s11, s11, 4
	s_add_u32 s2, s2, 32
	s_addc_u32 s3, s3, 0
	s_cmp_lg_u32 s10, s11
	s_waitcnt lgkmcnt(0)
	v_mul_hi_u32 v2, s37, v1
	s_delay_alu instid0(VALU_DEP_1) | instskip(NEXT) | instid1(VALU_DEP_1)
	v_add_nc_u32_e32 v2, v1, v2
	v_lshrrev_b32_e32 v2, s38, v2
	s_delay_alu instid0(VALU_DEP_1) | instskip(SKIP_1) | instid1(VALU_DEP_2)
	v_mul_hi_u32 v4, s40, v2
	v_mul_lo_u32 v9, v2, s36
	v_add_nc_u32_e32 v4, v2, v4
	s_delay_alu instid0(VALU_DEP_2) | instskip(NEXT) | instid1(VALU_DEP_2)
	v_sub_nc_u32_e32 v1, v1, v9
	v_lshrrev_b32_e32 v4, s41, v4
	s_delay_alu instid0(VALU_DEP_2) | instskip(SKIP_2) | instid1(VALU_DEP_3)
	v_mul_lo_u32 v9, v1, s44
	v_mul_lo_u32 v11, v1, s45
	s_waitcnt vmcnt(0)
	v_mul_hi_u32 v6, s43, v4
	s_delay_alu instid0(VALU_DEP_1) | instskip(NEXT) | instid1(VALU_DEP_1)
	v_add_nc_u32_e32 v6, v4, v6
	v_lshrrev_b32_e32 v6, s12, v6
	s_delay_alu instid0(VALU_DEP_1) | instskip(SKIP_1) | instid1(VALU_DEP_2)
	v_mul_hi_u32 v10, s14, v6
	v_mul_lo_u32 v12, v6, s42
	v_add_nc_u32_e32 v1, v6, v10
	v_mul_lo_u32 v10, v4, s39
	s_delay_alu instid0(VALU_DEP_3) | instskip(NEXT) | instid1(VALU_DEP_3)
	v_sub_nc_u32_e32 v4, v4, v12
	v_lshrrev_b32_e32 v1, s15, v1
	s_delay_alu instid0(VALU_DEP_2) | instskip(SKIP_2) | instid1(VALU_DEP_4)
	v_mul_lo_u32 v12, v4, s48
	v_mul_lo_u32 v4, v4, s49
	v_sub_nc_u32_e32 v2, v2, v10
	v_mul_lo_u32 v13, v1, s13
	s_delay_alu instid0(VALU_DEP_2) | instskip(SKIP_1) | instid1(VALU_DEP_3)
	v_mul_lo_u32 v10, v2, s46
	v_mul_lo_u32 v2, v2, s47
	v_sub_nc_u32_e32 v6, v6, v13
	s_delay_alu instid0(VALU_DEP_3) | instskip(NEXT) | instid1(VALU_DEP_2)
	v_add3_u32 v3, v9, v3, v10
	v_mul_lo_u32 v13, v6, s50
	v_mul_lo_u32 v6, v6, s51
	v_add3_u32 v2, v11, v7, v2
	s_delay_alu instid0(VALU_DEP_3) | instskip(NEXT) | instid1(VALU_DEP_2)
	v_add3_u32 v3, v12, v3, v13
	v_add3_u32 v7, v4, v2, v6
	s_cbranch_scc1 .LBB217_1081
; %bb.1082:
	s_and_b32 s7, s7, 3
	s_delay_alu instid0(SALU_CYCLE_1)
	s_cmp_eq_u32 s7, 0
	s_cbranch_scc0 .LBB217_1085
	s_branch .LBB217_1087
.LBB217_1083:
	s_mov_b32 s6, -1
                                        ; implicit-def: $vgpr3
                                        ; implicit-def: $vgpr7
	s_branch .LBB217_1087
.LBB217_1084:
	v_mov_b32_e32 v1, v5
	v_mov_b32_e32 v7, 0
	s_and_b32 s7, s7, 3
	s_delay_alu instid0(SALU_CYCLE_1)
	s_cmp_eq_u32 s7, 0
	s_cbranch_scc1 .LBB217_1087
.LBB217_1085:
	s_lshl_b32 s2, s10, 3
	s_mul_i32 s4, s10, 12
	s_add_u32 s2, s2, s16
	s_addc_u32 s3, 0, s17
	s_add_u32 s2, s2, 0xc4
	s_addc_u32 s3, s3, 0
	;; [unrolled: 2-line block ×3, first 2 shown]
	.p2align	6
.LBB217_1086:                           ; =>This Inner Loop Header: Depth=1
	s_clause 0x1
	s_load_b64 s[10:11], s[4:5], 0x4
	s_load_b32 s14, s[4:5], 0xc
	s_load_b64 s[12:13], s[2:3], 0x0
	s_add_u32 s4, s4, 12
	s_addc_u32 s5, s5, 0
	s_add_u32 s2, s2, 8
	s_addc_u32 s3, s3, 0
	s_add_i32 s7, s7, -1
	s_delay_alu instid0(SALU_CYCLE_1) | instskip(SKIP_2) | instid1(VALU_DEP_1)
	s_cmp_lg_u32 s7, 0
	s_waitcnt lgkmcnt(0)
	v_mul_hi_u32 v2, s11, v1
	v_add_nc_u32_e32 v2, v1, v2
	s_delay_alu instid0(VALU_DEP_1) | instskip(NEXT) | instid1(VALU_DEP_1)
	v_lshrrev_b32_e32 v4, s14, v2
	v_mul_lo_u32 v2, v4, s10
	s_delay_alu instid0(VALU_DEP_1) | instskip(NEXT) | instid1(VALU_DEP_1)
	v_sub_nc_u32_e32 v1, v1, v2
	v_mad_u64_u32 v[9:10], null, v1, s12, v[3:4]
	v_mad_u64_u32 v[2:3], null, v1, s13, v[7:8]
	v_mov_b32_e32 v1, v4
	s_delay_alu instid0(VALU_DEP_3) | instskip(NEXT) | instid1(VALU_DEP_3)
	v_mov_b32_e32 v3, v9
	v_mov_b32_e32 v7, v2
	s_cbranch_scc1 .LBB217_1086
.LBB217_1087:
	s_and_not1_b32 vcc_lo, exec_lo, s6
	s_cbranch_vccnz .LBB217_1090
; %bb.1088:
	s_clause 0x1
	s_load_b128 s[4:7], s[16:17], 0x4
	s_load_b64 s[2:3], s[16:17], 0xc4
	s_cmp_lt_u32 s24, 2
	s_waitcnt lgkmcnt(0)
	v_mul_hi_u32 v1, s5, v5
	s_delay_alu instid0(VALU_DEP_1) | instskip(NEXT) | instid1(VALU_DEP_1)
	v_add_nc_u32_e32 v1, v5, v1
	v_lshrrev_b32_e32 v1, s6, v1
	s_delay_alu instid0(VALU_DEP_1) | instskip(NEXT) | instid1(VALU_DEP_1)
	v_mul_lo_u32 v2, v1, s4
	v_sub_nc_u32_e32 v2, v5, v2
	s_delay_alu instid0(VALU_DEP_1)
	v_mul_lo_u32 v3, v2, s2
	v_mul_lo_u32 v7, v2, s3
	s_cbranch_scc1 .LBB217_1090
; %bb.1089:
	s_clause 0x1
	s_load_b128 s[4:7], s[16:17], 0x10
	s_load_b64 s[2:3], s[16:17], 0xcc
	s_waitcnt lgkmcnt(0)
	v_mul_hi_u32 v2, s5, v1
	s_delay_alu instid0(VALU_DEP_1) | instskip(NEXT) | instid1(VALU_DEP_1)
	v_add_nc_u32_e32 v2, v1, v2
	v_lshrrev_b32_e32 v2, s6, v2
	s_delay_alu instid0(VALU_DEP_1) | instskip(NEXT) | instid1(VALU_DEP_1)
	v_mul_lo_u32 v2, v2, s4
	v_sub_nc_u32_e32 v4, v1, v2
	s_delay_alu instid0(VALU_DEP_1) | instskip(SKIP_1) | instid1(VALU_DEP_2)
	v_mad_u64_u32 v[1:2], null, v4, s2, v[3:4]
	v_mad_u64_u32 v[2:3], null, v4, s3, v[7:8]
	v_mov_b32_e32 v3, v1
	s_delay_alu instid0(VALU_DEP_2)
	v_mov_b32_e32 v7, v2
.LBB217_1090:
	v_cmp_ne_u32_e32 vcc_lo, 1, v0
	v_add_nc_u32_e32 v1, 0x80, v5
	s_cbranch_vccnz .LBB217_1096
; %bb.1091:
	v_mov_b32_e32 v2, 0
	s_waitcnt vmcnt(0)
	v_mov_b32_e32 v6, 0
	s_cmp_lg_u32 s24, 0
	s_mov_b32 s6, 0
	s_cbranch_scc0 .LBB217_1100
; %bb.1092:
	s_min_u32 s7, s25, 15
	v_mov_b32_e32 v2, 0
	s_add_i32 s7, s7, 1
	s_cmp_eq_u32 s25, 2
	s_mov_b32 s10, 0
	s_cbranch_scc1 .LBB217_1097
; %bb.1093:
	v_mov_b32_e32 v6, 0
	v_mov_b32_e32 v2, 0
	;; [unrolled: 1-line block ×3, first 2 shown]
	s_add_u32 s2, s16, 0xc4
	s_addc_u32 s3, s17, 0
	s_and_b32 s10, s7, 28
	s_mov_b32 s11, 0
	s_mov_b64 s[4:5], s[16:17]
.LBB217_1094:                           ; =>This Inner Loop Header: Depth=1
	s_clause 0x1
	s_load_b256 s[36:43], s[4:5], 0x4
	s_load_b128 s[12:15], s[4:5], 0x24
	s_load_b256 s[44:51], s[2:3], 0x0
	s_add_u32 s4, s4, 48
	s_addc_u32 s5, s5, 0
	s_add_i32 s11, s11, 4
	s_add_u32 s2, s2, 32
	s_addc_u32 s3, s3, 0
	s_cmp_lg_u32 s10, s11
	s_waitcnt lgkmcnt(0)
	v_mul_hi_u32 v9, s37, v4
	s_delay_alu instid0(VALU_DEP_1) | instskip(NEXT) | instid1(VALU_DEP_1)
	v_add_nc_u32_e32 v9, v4, v9
	v_lshrrev_b32_e32 v9, s38, v9
	s_delay_alu instid0(VALU_DEP_1) | instskip(SKIP_1) | instid1(VALU_DEP_2)
	v_mul_hi_u32 v10, s40, v9
	v_mul_lo_u32 v12, v9, s36
	v_add_nc_u32_e32 v10, v9, v10
	s_delay_alu instid0(VALU_DEP_2) | instskip(NEXT) | instid1(VALU_DEP_2)
	v_sub_nc_u32_e32 v4, v4, v12
	v_lshrrev_b32_e32 v10, s41, v10
	s_delay_alu instid0(VALU_DEP_2) | instskip(SKIP_1) | instid1(VALU_DEP_3)
	v_mul_lo_u32 v12, v4, s44
	v_mul_lo_u32 v14, v4, s45
	v_mul_hi_u32 v11, s43, v10
	s_delay_alu instid0(VALU_DEP_1) | instskip(NEXT) | instid1(VALU_DEP_1)
	v_add_nc_u32_e32 v11, v10, v11
	v_lshrrev_b32_e32 v11, s12, v11
	s_delay_alu instid0(VALU_DEP_1) | instskip(SKIP_1) | instid1(VALU_DEP_2)
	v_mul_hi_u32 v13, s14, v11
	v_mul_lo_u32 v15, v11, s42
	v_add_nc_u32_e32 v4, v11, v13
	v_mul_lo_u32 v13, v10, s39
	s_delay_alu instid0(VALU_DEP_3) | instskip(NEXT) | instid1(VALU_DEP_3)
	v_sub_nc_u32_e32 v10, v10, v15
	v_lshrrev_b32_e32 v4, s15, v4
	s_delay_alu instid0(VALU_DEP_2) | instskip(SKIP_2) | instid1(VALU_DEP_4)
	v_mul_lo_u32 v15, v10, s48
	v_mul_lo_u32 v10, v10, s49
	v_sub_nc_u32_e32 v9, v9, v13
	v_mul_lo_u32 v16, v4, s13
	s_delay_alu instid0(VALU_DEP_2) | instskip(SKIP_1) | instid1(VALU_DEP_3)
	v_mul_lo_u32 v13, v9, s46
	v_mul_lo_u32 v9, v9, s47
	v_sub_nc_u32_e32 v11, v11, v16
	s_delay_alu instid0(VALU_DEP_3) | instskip(NEXT) | instid1(VALU_DEP_2)
	v_add3_u32 v2, v12, v2, v13
	v_mul_lo_u32 v16, v11, s50
	v_mul_lo_u32 v11, v11, s51
	v_add3_u32 v6, v14, v6, v9
	s_delay_alu instid0(VALU_DEP_3) | instskip(NEXT) | instid1(VALU_DEP_2)
	v_add3_u32 v2, v15, v2, v16
	v_add3_u32 v6, v10, v6, v11
	s_cbranch_scc1 .LBB217_1094
; %bb.1095:
	s_and_b32 s7, s7, 3
	s_delay_alu instid0(SALU_CYCLE_1)
	s_cmp_eq_u32 s7, 0
	s_cbranch_scc0 .LBB217_1098
	s_branch .LBB217_1100
.LBB217_1096:
	s_mov_b32 s6, -1
                                        ; implicit-def: $vgpr2
                                        ; implicit-def: $vgpr6
	s_branch .LBB217_1100
.LBB217_1097:
	v_mov_b32_e32 v4, v1
	v_mov_b32_e32 v6, 0
	s_and_b32 s7, s7, 3
	s_delay_alu instid0(SALU_CYCLE_1)
	s_cmp_eq_u32 s7, 0
	s_cbranch_scc1 .LBB217_1100
.LBB217_1098:
	s_lshl_b32 s2, s10, 3
	s_mul_i32 s4, s10, 12
	s_add_u32 s2, s2, s16
	s_addc_u32 s3, 0, s17
	s_add_u32 s2, s2, 0xc4
	s_addc_u32 s3, s3, 0
	;; [unrolled: 2-line block ×3, first 2 shown]
	.p2align	6
.LBB217_1099:                           ; =>This Inner Loop Header: Depth=1
	s_clause 0x1
	s_load_b64 s[10:11], s[4:5], 0x4
	s_load_b32 s14, s[4:5], 0xc
	s_load_b64 s[12:13], s[2:3], 0x0
	s_add_u32 s4, s4, 12
	s_addc_u32 s5, s5, 0
	s_add_u32 s2, s2, 8
	s_addc_u32 s3, s3, 0
	s_add_i32 s7, s7, -1
	s_delay_alu instid0(SALU_CYCLE_1) | instskip(SKIP_2) | instid1(VALU_DEP_1)
	s_cmp_lg_u32 s7, 0
	s_waitcnt lgkmcnt(0)
	v_mul_hi_u32 v9, s11, v4
	v_add_nc_u32_e32 v9, v4, v9
	s_delay_alu instid0(VALU_DEP_1) | instskip(NEXT) | instid1(VALU_DEP_1)
	v_lshrrev_b32_e32 v12, s14, v9
	v_mul_lo_u32 v9, v12, s10
	s_delay_alu instid0(VALU_DEP_1) | instskip(NEXT) | instid1(VALU_DEP_1)
	v_sub_nc_u32_e32 v4, v4, v9
	v_mad_u64_u32 v[9:10], null, v4, s12, v[2:3]
	v_mad_u64_u32 v[10:11], null, v4, s13, v[6:7]
	v_mov_b32_e32 v4, v12
	s_delay_alu instid0(VALU_DEP_3) | instskip(NEXT) | instid1(VALU_DEP_3)
	v_mov_b32_e32 v2, v9
	v_mov_b32_e32 v6, v10
	s_cbranch_scc1 .LBB217_1099
.LBB217_1100:
	s_and_not1_b32 vcc_lo, exec_lo, s6
	s_cbranch_vccnz .LBB217_1103
; %bb.1101:
	s_clause 0x1
	s_load_b128 s[4:7], s[16:17], 0x4
	s_load_b64 s[2:3], s[16:17], 0xc4
	s_cmp_lt_u32 s24, 2
	s_waitcnt lgkmcnt(0)
	v_mul_hi_u32 v2, s5, v1
	s_delay_alu instid0(VALU_DEP_1) | instskip(NEXT) | instid1(VALU_DEP_1)
	v_add_nc_u32_e32 v2, v1, v2
	v_lshrrev_b32_e32 v4, s6, v2
	s_delay_alu instid0(VALU_DEP_1) | instskip(NEXT) | instid1(VALU_DEP_1)
	v_mul_lo_u32 v2, v4, s4
	v_sub_nc_u32_e32 v1, v1, v2
	s_delay_alu instid0(VALU_DEP_1)
	v_mul_lo_u32 v2, v1, s2
	s_waitcnt vmcnt(0)
	v_mul_lo_u32 v6, v1, s3
	s_cbranch_scc1 .LBB217_1103
; %bb.1102:
	s_clause 0x1
	s_load_b128 s[4:7], s[16:17], 0x10
	s_load_b64 s[2:3], s[16:17], 0xcc
	s_waitcnt lgkmcnt(0)
	v_mul_hi_u32 v1, s5, v4
	s_delay_alu instid0(VALU_DEP_1) | instskip(NEXT) | instid1(VALU_DEP_1)
	v_add_nc_u32_e32 v1, v4, v1
	v_lshrrev_b32_e32 v1, s6, v1
	s_delay_alu instid0(VALU_DEP_1) | instskip(NEXT) | instid1(VALU_DEP_1)
	v_mul_lo_u32 v1, v1, s4
	v_sub_nc_u32_e32 v4, v4, v1
	s_delay_alu instid0(VALU_DEP_1) | instskip(SKIP_1) | instid1(VALU_DEP_2)
	v_mad_u64_u32 v[9:10], null, v4, s2, v[2:3]
	v_mad_u64_u32 v[1:2], null, v4, s3, v[6:7]
	v_mov_b32_e32 v2, v9
	s_delay_alu instid0(VALU_DEP_2)
	v_mov_b32_e32 v6, v1
.LBB217_1103:
	v_cmp_ne_u32_e32 vcc_lo, 1, v0
	v_add_nc_u32_e32 v4, 0x100, v5
	s_cbranch_vccnz .LBB217_1109
; %bb.1104:
	v_mov_b32_e32 v1, 0
	v_mov_b32_e32 v5, 0
	s_cmp_lg_u32 s24, 0
	s_mov_b32 s6, 0
	s_cbranch_scc0 .LBB217_1113
; %bb.1105:
	s_min_u32 s7, s25, 15
	v_mov_b32_e32 v1, 0
	s_add_i32 s7, s7, 1
	s_cmp_eq_u32 s25, 2
	s_mov_b32 s10, 0
	s_cbranch_scc1 .LBB217_1110
; %bb.1106:
	v_mov_b32_e32 v5, 0
	v_mov_b32_e32 v1, 0
	;; [unrolled: 1-line block ×3, first 2 shown]
	s_add_u32 s2, s16, 0xc4
	s_addc_u32 s3, s17, 0
	s_and_b32 s10, s7, 28
	s_mov_b32 s11, 0
	s_mov_b64 s[4:5], s[16:17]
.LBB217_1107:                           ; =>This Inner Loop Header: Depth=1
	s_clause 0x1
	s_load_b256 s[36:43], s[4:5], 0x4
	s_load_b128 s[12:15], s[4:5], 0x24
	s_load_b256 s[44:51], s[2:3], 0x0
	s_add_u32 s4, s4, 48
	s_addc_u32 s5, s5, 0
	s_add_i32 s11, s11, 4
	s_add_u32 s2, s2, 32
	s_addc_u32 s3, s3, 0
	s_cmp_lg_u32 s10, s11
	s_waitcnt lgkmcnt(0)
	v_mul_hi_u32 v10, s37, v9
	s_delay_alu instid0(VALU_DEP_1) | instskip(NEXT) | instid1(VALU_DEP_1)
	v_add_nc_u32_e32 v10, v9, v10
	v_lshrrev_b32_e32 v10, s38, v10
	s_delay_alu instid0(VALU_DEP_1) | instskip(SKIP_1) | instid1(VALU_DEP_2)
	v_mul_hi_u32 v11, s40, v10
	v_mul_lo_u32 v13, v10, s36
	v_add_nc_u32_e32 v11, v10, v11
	s_delay_alu instid0(VALU_DEP_2) | instskip(NEXT) | instid1(VALU_DEP_2)
	v_sub_nc_u32_e32 v9, v9, v13
	v_lshrrev_b32_e32 v11, s41, v11
	s_delay_alu instid0(VALU_DEP_2) | instskip(SKIP_1) | instid1(VALU_DEP_3)
	v_mul_lo_u32 v13, v9, s44
	v_mul_lo_u32 v15, v9, s45
	v_mul_hi_u32 v12, s43, v11
	s_delay_alu instid0(VALU_DEP_1) | instskip(NEXT) | instid1(VALU_DEP_1)
	v_add_nc_u32_e32 v12, v11, v12
	v_lshrrev_b32_e32 v12, s12, v12
	s_delay_alu instid0(VALU_DEP_1) | instskip(SKIP_1) | instid1(VALU_DEP_2)
	v_mul_hi_u32 v14, s14, v12
	v_mul_lo_u32 v16, v12, s42
	v_add_nc_u32_e32 v9, v12, v14
	v_mul_lo_u32 v14, v11, s39
	s_delay_alu instid0(VALU_DEP_3) | instskip(NEXT) | instid1(VALU_DEP_3)
	v_sub_nc_u32_e32 v11, v11, v16
	v_lshrrev_b32_e32 v9, s15, v9
	s_delay_alu instid0(VALU_DEP_2) | instskip(SKIP_2) | instid1(VALU_DEP_4)
	v_mul_lo_u32 v16, v11, s48
	v_mul_lo_u32 v11, v11, s49
	v_sub_nc_u32_e32 v10, v10, v14
	v_mul_lo_u32 v17, v9, s13
	s_delay_alu instid0(VALU_DEP_2) | instskip(SKIP_1) | instid1(VALU_DEP_3)
	v_mul_lo_u32 v14, v10, s46
	v_mul_lo_u32 v10, v10, s47
	v_sub_nc_u32_e32 v12, v12, v17
	s_delay_alu instid0(VALU_DEP_3) | instskip(NEXT) | instid1(VALU_DEP_2)
	v_add3_u32 v1, v13, v1, v14
	v_mul_lo_u32 v17, v12, s50
	v_mul_lo_u32 v12, v12, s51
	v_add3_u32 v5, v15, v5, v10
	s_delay_alu instid0(VALU_DEP_3) | instskip(NEXT) | instid1(VALU_DEP_2)
	v_add3_u32 v1, v16, v1, v17
	v_add3_u32 v5, v11, v5, v12
	s_cbranch_scc1 .LBB217_1107
; %bb.1108:
	s_and_b32 s7, s7, 3
	s_delay_alu instid0(SALU_CYCLE_1)
	s_cmp_eq_u32 s7, 0
	s_cbranch_scc0 .LBB217_1111
	s_branch .LBB217_1113
.LBB217_1109:
	s_mov_b32 s6, -1
                                        ; implicit-def: $vgpr1
                                        ; implicit-def: $vgpr5
	s_branch .LBB217_1113
.LBB217_1110:
	v_mov_b32_e32 v9, v4
	v_mov_b32_e32 v5, 0
	s_and_b32 s7, s7, 3
	s_delay_alu instid0(SALU_CYCLE_1)
	s_cmp_eq_u32 s7, 0
	s_cbranch_scc1 .LBB217_1113
.LBB217_1111:
	s_lshl_b32 s2, s10, 3
	s_mul_i32 s4, s10, 12
	s_add_u32 s2, s2, s16
	s_addc_u32 s3, 0, s17
	s_add_u32 s2, s2, 0xc4
	s_addc_u32 s3, s3, 0
	;; [unrolled: 2-line block ×3, first 2 shown]
	.p2align	6
.LBB217_1112:                           ; =>This Inner Loop Header: Depth=1
	s_clause 0x1
	s_load_b64 s[10:11], s[4:5], 0x4
	s_load_b32 s14, s[4:5], 0xc
	s_load_b64 s[12:13], s[2:3], 0x0
	s_add_u32 s4, s4, 12
	s_addc_u32 s5, s5, 0
	s_add_u32 s2, s2, 8
	s_addc_u32 s3, s3, 0
	s_add_i32 s7, s7, -1
	s_delay_alu instid0(SALU_CYCLE_1) | instskip(SKIP_2) | instid1(VALU_DEP_1)
	s_cmp_lg_u32 s7, 0
	s_waitcnt lgkmcnt(0)
	v_mul_hi_u32 v10, s11, v9
	v_add_nc_u32_e32 v10, v9, v10
	s_delay_alu instid0(VALU_DEP_1) | instskip(NEXT) | instid1(VALU_DEP_1)
	v_lshrrev_b32_e32 v13, s14, v10
	v_mul_lo_u32 v10, v13, s10
	s_delay_alu instid0(VALU_DEP_1) | instskip(NEXT) | instid1(VALU_DEP_1)
	v_sub_nc_u32_e32 v9, v9, v10
	v_mad_u64_u32 v[10:11], null, v9, s12, v[1:2]
	s_waitcnt vmcnt(0)
	v_mad_u64_u32 v[11:12], null, v9, s13, v[5:6]
	v_mov_b32_e32 v9, v13
	s_delay_alu instid0(VALU_DEP_3) | instskip(NEXT) | instid1(VALU_DEP_3)
	v_mov_b32_e32 v1, v10
	v_mov_b32_e32 v5, v11
	s_cbranch_scc1 .LBB217_1112
.LBB217_1113:
	s_and_not1_b32 vcc_lo, exec_lo, s6
	s_cbranch_vccnz .LBB217_1116
; %bb.1114:
	s_clause 0x1
	s_load_b128 s[4:7], s[16:17], 0x4
	s_load_b64 s[2:3], s[16:17], 0xc4
	s_cmp_lt_u32 s24, 2
	s_waitcnt lgkmcnt(0)
	v_mul_hi_u32 v1, s5, v4
	s_delay_alu instid0(VALU_DEP_1) | instskip(NEXT) | instid1(VALU_DEP_1)
	v_add_nc_u32_e32 v1, v4, v1
	v_lshrrev_b32_e32 v9, s6, v1
	s_delay_alu instid0(VALU_DEP_1) | instskip(NEXT) | instid1(VALU_DEP_1)
	v_mul_lo_u32 v1, v9, s4
	v_sub_nc_u32_e32 v4, v4, v1
	s_delay_alu instid0(VALU_DEP_1)
	v_mul_lo_u32 v1, v4, s2
	v_mul_lo_u32 v5, v4, s3
	s_cbranch_scc1 .LBB217_1116
; %bb.1115:
	s_clause 0x1
	s_load_b128 s[4:7], s[16:17], 0x10
	s_load_b64 s[2:3], s[16:17], 0xcc
	s_waitcnt lgkmcnt(0)
	v_mul_hi_u32 v4, s5, v9
	s_delay_alu instid0(VALU_DEP_1) | instskip(NEXT) | instid1(VALU_DEP_1)
	v_add_nc_u32_e32 v4, v9, v4
	v_lshrrev_b32_e32 v4, s6, v4
	s_delay_alu instid0(VALU_DEP_1) | instskip(NEXT) | instid1(VALU_DEP_1)
	v_mul_lo_u32 v4, v4, s4
	v_sub_nc_u32_e32 v4, v9, v4
	s_delay_alu instid0(VALU_DEP_1) | instskip(SKIP_2) | instid1(VALU_DEP_2)
	v_mad_u64_u32 v[9:10], null, v4, s2, v[1:2]
	s_waitcnt vmcnt(0)
	v_mad_u64_u32 v[10:11], null, v4, s3, v[5:6]
	v_mov_b32_e32 v1, v9
	s_delay_alu instid0(VALU_DEP_2)
	v_mov_b32_e32 v5, v10
.LBB217_1116:
	v_cmp_ne_u32_e32 vcc_lo, 1, v0
	s_cbranch_vccnz .LBB217_1122
; %bb.1117:
	v_mov_b32_e32 v0, 0
	v_mov_b32_e32 v4, 0
	s_cmp_lg_u32 s24, 0
	s_mov_b32 s6, 0
	s_cbranch_scc0 .LBB217_1126
; %bb.1118:
	s_min_u32 s7, s25, 15
	v_mov_b32_e32 v0, 0
	s_add_i32 s7, s7, 1
	s_cmp_eq_u32 s25, 2
	s_mov_b32 s10, 0
	s_cbranch_scc1 .LBB217_1123
; %bb.1119:
	v_dual_mov_b32 v4, 0 :: v_dual_mov_b32 v9, v8
	v_mov_b32_e32 v0, 0
	s_add_u32 s2, s16, 0xc4
	s_addc_u32 s3, s17, 0
	s_and_b32 s10, s7, 28
	s_mov_b32 s11, 0
	s_mov_b64 s[4:5], s[16:17]
.LBB217_1120:                           ; =>This Inner Loop Header: Depth=1
	s_clause 0x1
	s_load_b256 s[36:43], s[4:5], 0x4
	s_load_b128 s[12:15], s[4:5], 0x24
	s_load_b256 s[44:51], s[2:3], 0x0
	s_add_u32 s4, s4, 48
	s_addc_u32 s5, s5, 0
	s_add_i32 s11, s11, 4
	s_add_u32 s2, s2, 32
	s_addc_u32 s3, s3, 0
	s_cmp_lg_u32 s10, s11
	s_waitcnt lgkmcnt(0)
	v_mul_hi_u32 v10, s37, v9
	s_delay_alu instid0(VALU_DEP_1) | instskip(NEXT) | instid1(VALU_DEP_1)
	v_add_nc_u32_e32 v10, v9, v10
	v_lshrrev_b32_e32 v10, s38, v10
	s_delay_alu instid0(VALU_DEP_1) | instskip(SKIP_1) | instid1(VALU_DEP_2)
	v_mul_hi_u32 v11, s40, v10
	v_mul_lo_u32 v13, v10, s36
	v_add_nc_u32_e32 v11, v10, v11
	s_delay_alu instid0(VALU_DEP_2) | instskip(NEXT) | instid1(VALU_DEP_2)
	v_sub_nc_u32_e32 v9, v9, v13
	v_lshrrev_b32_e32 v11, s41, v11
	s_delay_alu instid0(VALU_DEP_2) | instskip(SKIP_1) | instid1(VALU_DEP_3)
	v_mul_lo_u32 v13, v9, s44
	v_mul_lo_u32 v15, v9, s45
	v_mul_hi_u32 v12, s43, v11
	s_delay_alu instid0(VALU_DEP_1) | instskip(NEXT) | instid1(VALU_DEP_1)
	v_add_nc_u32_e32 v12, v11, v12
	v_lshrrev_b32_e32 v12, s12, v12
	s_delay_alu instid0(VALU_DEP_1) | instskip(SKIP_1) | instid1(VALU_DEP_2)
	v_mul_hi_u32 v14, s14, v12
	v_mul_lo_u32 v16, v12, s42
	v_add_nc_u32_e32 v9, v12, v14
	v_mul_lo_u32 v14, v11, s39
	s_delay_alu instid0(VALU_DEP_3) | instskip(NEXT) | instid1(VALU_DEP_3)
	v_sub_nc_u32_e32 v11, v11, v16
	v_lshrrev_b32_e32 v9, s15, v9
	s_delay_alu instid0(VALU_DEP_2) | instskip(SKIP_2) | instid1(VALU_DEP_4)
	v_mul_lo_u32 v16, v11, s48
	v_mul_lo_u32 v11, v11, s49
	v_sub_nc_u32_e32 v10, v10, v14
	v_mul_lo_u32 v17, v9, s13
	s_delay_alu instid0(VALU_DEP_2) | instskip(SKIP_1) | instid1(VALU_DEP_3)
	v_mul_lo_u32 v14, v10, s46
	v_mul_lo_u32 v10, v10, s47
	v_sub_nc_u32_e32 v12, v12, v17
	s_delay_alu instid0(VALU_DEP_3) | instskip(NEXT) | instid1(VALU_DEP_2)
	v_add3_u32 v0, v13, v0, v14
	v_mul_lo_u32 v17, v12, s50
	v_mul_lo_u32 v12, v12, s51
	v_add3_u32 v4, v15, v4, v10
	s_delay_alu instid0(VALU_DEP_3) | instskip(NEXT) | instid1(VALU_DEP_2)
	v_add3_u32 v0, v16, v0, v17
	v_add3_u32 v4, v11, v4, v12
	s_cbranch_scc1 .LBB217_1120
; %bb.1121:
	s_and_b32 s7, s7, 3
	s_delay_alu instid0(SALU_CYCLE_1)
	s_cmp_eq_u32 s7, 0
	s_cbranch_scc0 .LBB217_1124
	s_branch .LBB217_1126
.LBB217_1122:
	s_mov_b32 s6, -1
                                        ; implicit-def: $vgpr0
                                        ; implicit-def: $vgpr4
	s_branch .LBB217_1126
.LBB217_1123:
	v_dual_mov_b32 v9, v8 :: v_dual_mov_b32 v4, 0
	s_and_b32 s7, s7, 3
	s_delay_alu instid0(SALU_CYCLE_1)
	s_cmp_eq_u32 s7, 0
	s_cbranch_scc1 .LBB217_1126
.LBB217_1124:
	s_lshl_b32 s2, s10, 3
	s_mul_i32 s4, s10, 12
	s_add_u32 s2, s2, s16
	s_addc_u32 s3, 0, s17
	s_add_u32 s2, s2, 0xc4
	s_addc_u32 s3, s3, 0
	;; [unrolled: 2-line block ×3, first 2 shown]
	.p2align	6
.LBB217_1125:                           ; =>This Inner Loop Header: Depth=1
	s_clause 0x1
	s_load_b64 s[10:11], s[4:5], 0x4
	s_load_b32 s14, s[4:5], 0xc
	s_load_b64 s[12:13], s[2:3], 0x0
	s_add_u32 s4, s4, 12
	s_addc_u32 s5, s5, 0
	s_add_u32 s2, s2, 8
	s_addc_u32 s3, s3, 0
	s_add_i32 s7, s7, -1
	s_delay_alu instid0(SALU_CYCLE_1) | instskip(SKIP_2) | instid1(VALU_DEP_1)
	s_cmp_lg_u32 s7, 0
	s_waitcnt lgkmcnt(0)
	v_mul_hi_u32 v10, s11, v9
	v_add_nc_u32_e32 v10, v9, v10
	s_delay_alu instid0(VALU_DEP_1) | instskip(NEXT) | instid1(VALU_DEP_1)
	v_lshrrev_b32_e32 v13, s14, v10
	v_mul_lo_u32 v10, v13, s10
	s_delay_alu instid0(VALU_DEP_1) | instskip(NEXT) | instid1(VALU_DEP_1)
	v_sub_nc_u32_e32 v9, v9, v10
	v_mad_u64_u32 v[10:11], null, v9, s12, v[0:1]
	v_mad_u64_u32 v[11:12], null, v9, s13, v[4:5]
	s_delay_alu instid0(VALU_DEP_2) | instskip(NEXT) | instid1(VALU_DEP_2)
	v_dual_mov_b32 v9, v13 :: v_dual_mov_b32 v0, v10
	v_mov_b32_e32 v4, v11
	s_cbranch_scc1 .LBB217_1125
.LBB217_1126:
	s_and_not1_b32 vcc_lo, exec_lo, s6
	s_cbranch_vccnz .LBB217_1129
; %bb.1127:
	s_clause 0x1
	s_load_b128 s[4:7], s[16:17], 0x4
	s_load_b64 s[2:3], s[16:17], 0xc4
	s_cmp_lt_u32 s24, 2
	s_waitcnt lgkmcnt(0)
	v_mul_hi_u32 v0, s5, v8
	s_delay_alu instid0(VALU_DEP_1) | instskip(NEXT) | instid1(VALU_DEP_1)
	v_add_nc_u32_e32 v0, v8, v0
	v_lshrrev_b32_e32 v9, s6, v0
	s_delay_alu instid0(VALU_DEP_1) | instskip(NEXT) | instid1(VALU_DEP_1)
	v_mul_lo_u32 v0, v9, s4
	v_sub_nc_u32_e32 v4, v8, v0
	s_delay_alu instid0(VALU_DEP_1)
	v_mul_lo_u32 v0, v4, s2
	v_mul_lo_u32 v4, v4, s3
	s_cbranch_scc1 .LBB217_1129
; %bb.1128:
	s_clause 0x1
	s_load_b128 s[4:7], s[16:17], 0x10
	s_load_b64 s[2:3], s[16:17], 0xcc
	s_waitcnt lgkmcnt(0)
	v_mul_hi_u32 v8, s5, v9
	s_delay_alu instid0(VALU_DEP_1) | instskip(NEXT) | instid1(VALU_DEP_1)
	v_add_nc_u32_e32 v8, v9, v8
	v_lshrrev_b32_e32 v8, s6, v8
	s_delay_alu instid0(VALU_DEP_1) | instskip(NEXT) | instid1(VALU_DEP_1)
	v_mul_lo_u32 v8, v8, s4
	v_sub_nc_u32_e32 v11, v9, v8
	s_delay_alu instid0(VALU_DEP_1) | instskip(SKIP_1) | instid1(VALU_DEP_2)
	v_mad_u64_u32 v[8:9], null, v11, s2, v[0:1]
	v_mad_u64_u32 v[9:10], null, v11, s3, v[4:5]
	v_mov_b32_e32 v0, v8
	s_delay_alu instid0(VALU_DEP_2)
	v_mov_b32_e32 v4, v9
.LBB217_1129:
	s_clause 0x1
	s_load_b32 s0, s[0:1], 0x160
	s_load_b128 s[4:7], s[16:17], 0x148
	s_mov_b32 s3, 0
	s_waitcnt lgkmcnt(0)
	s_lshr_b32 s1, s0, 16
	s_delay_alu instid0(SALU_CYCLE_1) | instskip(SKIP_1) | instid1(VALU_DEP_1)
	v_and_b32_e64 v9, 0xff, s1
	v_add_co_u32 v7, s1, s6, v7
	v_add_co_ci_u32_e64 v8, null, s7, 0, s1
	s_delay_alu instid0(VALU_DEP_3)
	v_cmp_gt_i16_e32 vcc_lo, 11, v9
	s_cbranch_vccnz .LBB217_1136
; %bb.1130:
	v_cmp_lt_i16_e32 vcc_lo, 25, v9
	s_mov_b32 s2, 0
	s_cbranch_vccz .LBB217_1142
; %bb.1131:
	v_cmp_lt_i16_e32 vcc_lo, 28, v9
	s_cbranch_vccz .LBB217_1144
; %bb.1132:
	v_cmp_lt_i16_e32 vcc_lo, 43, v9
	;; [unrolled: 3-line block ×3, first 2 shown]
	s_cbranch_vccz .LBB217_1150
; %bb.1134:
	v_cmp_eq_u16_e32 vcc_lo, 46, v9
	s_mov_b32 s10, 0
	s_cbranch_vccz .LBB217_1192
; %bb.1135:
	global_load_b32 v10, v[7:8], off
	s_mov_b32 s1, 0
	s_mov_b32 s3, -1
	s_waitcnt vmcnt(0)
	v_lshlrev_b32_e32 v10, 16, v10
	s_delay_alu instid0(VALU_DEP_1)
	v_cvt_f16_f32_e32 v10, v10
	s_branch .LBB217_1194
.LBB217_1136:
	s_mov_b32 s1, s8
                                        ; implicit-def: $vgpr10
	s_cbranch_execz .LBB217_1257
; %bb.1137:
	v_cmp_gt_i16_e32 vcc_lo, 5, v9
	s_cbranch_vccnz .LBB217_1143
; %bb.1138:
	v_cmp_gt_i16_e32 vcc_lo, 8, v9
	s_cbranch_vccnz .LBB217_1145
	;; [unrolled: 3-line block ×3, first 2 shown]
; %bb.1140:
	v_cmp_lt_i16_e32 vcc_lo, 9, v9
	s_cbranch_vccz .LBB217_1151
; %bb.1141:
	global_load_b64 v[10:11], v[7:8], off
	s_mov_b32 s2, 0
	s_waitcnt vmcnt(0)
	v_cvt_f32_f64_e32 v10, v[10:11]
	s_delay_alu instid0(VALU_DEP_1)
	v_cvt_f16_f32_e32 v10, v10
	s_branch .LBB217_1152
.LBB217_1142:
	s_mov_b32 s1, 0
                                        ; implicit-def: $vgpr10
	s_cbranch_execnz .LBB217_1222
	s_branch .LBB217_1253
.LBB217_1143:
                                        ; implicit-def: $vgpr10
	s_branch .LBB217_1169
.LBB217_1144:
	s_mov_b32 s10, -1
	s_mov_b32 s1, 0
                                        ; implicit-def: $vgpr10
	s_branch .LBB217_1203
.LBB217_1145:
                                        ; implicit-def: $vgpr10
	s_branch .LBB217_1158
.LBB217_1146:
	s_mov_b32 s1, 0
                                        ; implicit-def: $vgpr10
	s_cbranch_execnz .LBB217_1199
	s_branch .LBB217_1202
.LBB217_1147:
	s_mov_b32 s2, -1
                                        ; implicit-def: $vgpr10
	s_branch .LBB217_1155
.LBB217_1148:
	s_cbranch_execnz .LBB217_1190
; %bb.1149:
	s_or_b32 s3, s3, exec_lo
	s_and_not1_b32 s8, s8, exec_lo
	s_or_b32 exec_lo, exec_lo, s2
	s_and_saveexec_b32 s2, s8
	s_delay_alu instid0(SALU_CYCLE_1)
	s_xor_b32 s2, exec_lo, s2
	s_cbranch_execnz .LBB217_1036
	s_branch .LBB217_1037
.LBB217_1150:
	s_mov_b32 s10, -1
	s_mov_b32 s1, 0
	s_branch .LBB217_1193
.LBB217_1151:
	s_mov_b32 s2, -1
                                        ; implicit-def: $vgpr10
.LBB217_1152:
	s_delay_alu instid0(SALU_CYCLE_1)
	s_and_not1_b32 vcc_lo, exec_lo, s2
	s_cbranch_vccnz .LBB217_1154
; %bb.1153:
	global_load_b32 v10, v[7:8], off
	s_waitcnt vmcnt(0)
	v_cvt_f16_f32_e32 v10, v10
.LBB217_1154:
	s_mov_b32 s2, 0
.LBB217_1155:
	s_delay_alu instid0(SALU_CYCLE_1)
	s_and_not1_b32 vcc_lo, exec_lo, s2
	s_cbranch_vccnz .LBB217_1157
; %bb.1156:
	global_load_b32 v10, v[7:8], off
.LBB217_1157:
	s_cbranch_execnz .LBB217_1168
.LBB217_1158:
	v_cmp_gt_i16_e32 vcc_lo, 6, v9
	s_cbranch_vccnz .LBB217_1161
; %bb.1159:
	v_cmp_lt_i16_e32 vcc_lo, 6, v9
	s_cbranch_vccz .LBB217_1162
; %bb.1160:
	global_load_b64 v[10:11], v[7:8], off
	s_mov_b32 s2, 0
	s_waitcnt vmcnt(0)
	v_cvt_f32_f64_e32 v10, v[10:11]
	s_delay_alu instid0(VALU_DEP_1)
	v_cvt_f16_f32_e32 v10, v10
	s_branch .LBB217_1163
.LBB217_1161:
	s_mov_b32 s2, -1
                                        ; implicit-def: $vgpr10
	s_branch .LBB217_1166
.LBB217_1162:
	s_mov_b32 s2, -1
                                        ; implicit-def: $vgpr10
.LBB217_1163:
	s_delay_alu instid0(SALU_CYCLE_1)
	s_and_not1_b32 vcc_lo, exec_lo, s2
	s_cbranch_vccnz .LBB217_1165
; %bb.1164:
	global_load_b32 v10, v[7:8], off
	s_waitcnt vmcnt(0)
	v_cvt_f16_f32_e32 v10, v10
.LBB217_1165:
	s_mov_b32 s2, 0
.LBB217_1166:
	s_delay_alu instid0(SALU_CYCLE_1)
	s_and_not1_b32 vcc_lo, exec_lo, s2
	s_cbranch_vccnz .LBB217_1168
; %bb.1167:
	global_load_u16 v10, v[7:8], off
.LBB217_1168:
	s_cbranch_execnz .LBB217_1187
.LBB217_1169:
	v_cmp_gt_i16_e32 vcc_lo, 2, v9
	s_cbranch_vccnz .LBB217_1173
; %bb.1170:
	v_cmp_gt_i16_e32 vcc_lo, 3, v9
	s_cbranch_vccnz .LBB217_1174
; %bb.1171:
	v_cmp_lt_i16_e32 vcc_lo, 3, v9
	s_cbranch_vccz .LBB217_1175
; %bb.1172:
	global_load_b64 v[10:11], v[7:8], off
	s_mov_b32 s2, 0
	s_waitcnt vmcnt(0)
	v_xor_b32_e32 v12, v10, v11
	v_cls_i32_e32 v13, v11
	s_delay_alu instid0(VALU_DEP_2) | instskip(NEXT) | instid1(VALU_DEP_2)
	v_ashrrev_i32_e32 v12, 31, v12
	v_add_nc_u32_e32 v13, -1, v13
	s_delay_alu instid0(VALU_DEP_2) | instskip(NEXT) | instid1(VALU_DEP_1)
	v_add_nc_u32_e32 v12, 32, v12
	v_min_u32_e32 v12, v13, v12
	s_delay_alu instid0(VALU_DEP_1) | instskip(NEXT) | instid1(VALU_DEP_1)
	v_lshlrev_b64 v[10:11], v12, v[10:11]
	v_min_u32_e32 v10, 1, v10
	s_delay_alu instid0(VALU_DEP_1) | instskip(SKIP_1) | instid1(VALU_DEP_2)
	v_or_b32_e32 v10, v11, v10
	v_sub_nc_u32_e32 v11, 32, v12
	v_cvt_f32_i32_e32 v10, v10
	s_delay_alu instid0(VALU_DEP_1) | instskip(NEXT) | instid1(VALU_DEP_1)
	v_ldexp_f32 v10, v10, v11
	v_cvt_f16_f32_e32 v10, v10
	s_branch .LBB217_1176
.LBB217_1173:
                                        ; implicit-def: $vgpr10
	s_branch .LBB217_1182
.LBB217_1174:
	s_mov_b32 s2, -1
                                        ; implicit-def: $vgpr10
	s_branch .LBB217_1179
.LBB217_1175:
	s_mov_b32 s2, -1
                                        ; implicit-def: $vgpr10
.LBB217_1176:
	s_delay_alu instid0(SALU_CYCLE_1)
	s_and_not1_b32 vcc_lo, exec_lo, s2
	s_cbranch_vccnz .LBB217_1178
; %bb.1177:
	global_load_b32 v10, v[7:8], off
	s_waitcnt vmcnt(0)
	v_cvt_f32_i32_e32 v10, v10
	s_delay_alu instid0(VALU_DEP_1)
	v_cvt_f16_f32_e32 v10, v10
.LBB217_1178:
	s_mov_b32 s2, 0
.LBB217_1179:
	s_delay_alu instid0(SALU_CYCLE_1)
	s_and_not1_b32 vcc_lo, exec_lo, s2
	s_cbranch_vccnz .LBB217_1181
; %bb.1180:
	global_load_u16 v10, v[7:8], off
	s_waitcnt vmcnt(0)
	v_cvt_f16_i16_e32 v10, v10
.LBB217_1181:
	s_cbranch_execnz .LBB217_1187
.LBB217_1182:
	v_cmp_lt_i16_e32 vcc_lo, 0, v9
	s_mov_b32 s2, 0
	s_cbranch_vccz .LBB217_1184
; %bb.1183:
	global_load_i8 v10, v[7:8], off
	s_waitcnt vmcnt(0)
	v_cvt_f16_i16_e32 v10, v10
	s_branch .LBB217_1185
.LBB217_1184:
	s_mov_b32 s2, -1
                                        ; implicit-def: $vgpr10
.LBB217_1185:
	s_delay_alu instid0(SALU_CYCLE_1)
	s_and_not1_b32 vcc_lo, exec_lo, s2
	s_cbranch_vccnz .LBB217_1187
; %bb.1186:
	global_load_u8 v7, v[7:8], off
	s_waitcnt vmcnt(0)
	v_cvt_f16_u16_e32 v10, v7
.LBB217_1187:
	s_branch .LBB217_1258
.LBB217_1188:
	s_trap 2
	s_sendmsg_rtn_b32 s0, sendmsg(MSG_RTN_GET_DOORBELL)
	s_mov_b32 ttmp2, m0
	s_waitcnt lgkmcnt(0)
	s_and_b32 s0, s0, 0x3ff
	s_delay_alu instid0(SALU_CYCLE_1) | instskip(NEXT) | instid1(SALU_CYCLE_1)
	s_bitset1_b32 s0, 10
	s_mov_b32 m0, s0
	s_sendmsg sendmsg(MSG_INTERRUPT)
	s_mov_b32 m0, ttmp2
.LBB217_1189:                           ; =>This Inner Loop Header: Depth=1
	s_sethalt 5
	s_branch .LBB217_1189
.LBB217_1190:
	s_trap 2
	s_sendmsg_rtn_b32 s0, sendmsg(MSG_RTN_GET_DOORBELL)
	s_mov_b32 ttmp2, m0
	s_waitcnt lgkmcnt(0)
	s_and_b32 s0, s0, 0x3ff
	s_delay_alu instid0(SALU_CYCLE_1) | instskip(NEXT) | instid1(SALU_CYCLE_1)
	s_bitset1_b32 s0, 10
	s_mov_b32 m0, s0
	s_sendmsg sendmsg(MSG_INTERRUPT)
	s_mov_b32 m0, ttmp2
.LBB217_1191:                           ; =>This Inner Loop Header: Depth=1
	s_sethalt 5
	s_branch .LBB217_1191
.LBB217_1192:
	s_mov_b32 s1, -1
.LBB217_1193:
                                        ; implicit-def: $vgpr10
.LBB217_1194:
	s_and_b32 vcc_lo, exec_lo, s10
	s_cbranch_vccz .LBB217_1197
; %bb.1195:
	v_cmp_eq_u16_e32 vcc_lo, 44, v9
	s_cbranch_vccz .LBB217_1198
; %bb.1196:
	global_load_u8 v10, v[7:8], off
	s_mov_b32 s1, 0
	s_mov_b32 s3, -1
	s_waitcnt vmcnt(0)
	v_lshlrev_b32_e32 v11, 23, v10
	v_cmp_ne_u32_e32 vcc_lo, 0xff, v10
	s_delay_alu instid0(VALU_DEP_2) | instskip(NEXT) | instid1(VALU_DEP_1)
	v_cvt_f16_f32_e32 v11, v11
	v_cndmask_b32_e32 v11, 0x7e00, v11, vcc_lo
	v_cmp_ne_u32_e32 vcc_lo, 0, v10
	s_delay_alu instid0(VALU_DEP_2)
	v_cndmask_b32_e32 v10, 0, v11, vcc_lo
.LBB217_1197:
	s_branch .LBB217_1202
.LBB217_1198:
	s_mov_b32 s1, -1
                                        ; implicit-def: $vgpr10
	s_branch .LBB217_1202
.LBB217_1199:
	v_cmp_eq_u16_e32 vcc_lo, 29, v9
	s_cbranch_vccz .LBB217_1201
; %bb.1200:
	global_load_b64 v[10:11], v[7:8], off
	s_mov_b32 s1, 0
	s_mov_b32 s3, -1
	s_mov_b32 s10, 0
	s_waitcnt vmcnt(0)
	v_clz_i32_u32_e32 v12, v11
	s_delay_alu instid0(VALU_DEP_1) | instskip(NEXT) | instid1(VALU_DEP_1)
	v_min_u32_e32 v12, 32, v12
	v_lshlrev_b64 v[10:11], v12, v[10:11]
	s_delay_alu instid0(VALU_DEP_1) | instskip(NEXT) | instid1(VALU_DEP_1)
	v_min_u32_e32 v10, 1, v10
	v_or_b32_e32 v10, v11, v10
	v_sub_nc_u32_e32 v11, 32, v12
	s_delay_alu instid0(VALU_DEP_2) | instskip(NEXT) | instid1(VALU_DEP_1)
	v_cvt_f32_u32_e32 v10, v10
	v_ldexp_f32 v10, v10, v11
	s_delay_alu instid0(VALU_DEP_1)
	v_cvt_f16_f32_e32 v10, v10
	s_branch .LBB217_1203
.LBB217_1201:
	s_mov_b32 s1, -1
                                        ; implicit-def: $vgpr10
.LBB217_1202:
	s_mov_b32 s10, 0
.LBB217_1203:
	s_delay_alu instid0(SALU_CYCLE_1)
	s_and_b32 vcc_lo, exec_lo, s10
	s_cbranch_vccz .LBB217_1221
; %bb.1204:
	v_cmp_gt_i16_e32 vcc_lo, 27, v9
	s_cbranch_vccnz .LBB217_1207
; %bb.1205:
	v_cmp_lt_i16_e32 vcc_lo, 27, v9
	s_cbranch_vccz .LBB217_1208
; %bb.1206:
	global_load_b32 v10, v[7:8], off
	s_mov_b32 s3, 0
	s_waitcnt vmcnt(0)
	v_cvt_f32_u32_e32 v10, v10
	s_delay_alu instid0(VALU_DEP_1)
	v_cvt_f16_f32_e32 v10, v10
	s_branch .LBB217_1209
.LBB217_1207:
	s_mov_b32 s3, -1
                                        ; implicit-def: $vgpr10
	s_branch .LBB217_1212
.LBB217_1208:
	s_mov_b32 s3, -1
                                        ; implicit-def: $vgpr10
.LBB217_1209:
	s_delay_alu instid0(SALU_CYCLE_1)
	s_and_not1_b32 vcc_lo, exec_lo, s3
	s_cbranch_vccnz .LBB217_1211
; %bb.1210:
	global_load_u16 v10, v[7:8], off
	s_waitcnt vmcnt(0)
	v_cvt_f16_u16_e32 v10, v10
.LBB217_1211:
	s_mov_b32 s3, 0
.LBB217_1212:
	s_delay_alu instid0(SALU_CYCLE_1)
	s_and_not1_b32 vcc_lo, exec_lo, s3
	s_cbranch_vccnz .LBB217_1220
; %bb.1213:
	global_load_u8 v11, v[7:8], off
	s_mov_b32 s3, 0
	s_mov_b32 s11, exec_lo
                                        ; implicit-def: $sgpr10
	s_waitcnt vmcnt(0)
	v_cmpx_lt_i16_e32 0x7f, v11
	s_xor_b32 s11, exec_lo, s11
	s_cbranch_execz .LBB217_1233
; %bb.1214:
	s_mov_b32 s3, -1
	s_mov_b32 s12, exec_lo
                                        ; implicit-def: $sgpr10
	v_cmpx_eq_u16_e32 0x80, v11
; %bb.1215:
	s_movk_i32 s10, 0x7e00
	s_xor_b32 s3, exec_lo, -1
; %bb.1216:
	s_or_b32 exec_lo, exec_lo, s12
	s_delay_alu instid0(SALU_CYCLE_1)
	s_and_b32 s3, s3, exec_lo
	s_or_saveexec_b32 s11, s11
	v_mov_b32_e32 v10, s10
	s_xor_b32 exec_lo, exec_lo, s11
	s_cbranch_execnz .LBB217_1234
.LBB217_1217:
	s_or_b32 exec_lo, exec_lo, s11
	s_and_saveexec_b32 s10, s3
	s_cbranch_execz .LBB217_1219
.LBB217_1218:
	v_and_b32_e32 v10, 0xffff, v11
	s_delay_alu instid0(VALU_DEP_1) | instskip(NEXT) | instid1(VALU_DEP_1)
	v_and_b32_e32 v12, 7, v10
	v_clz_i32_u32_e32 v13, v12
	s_delay_alu instid0(VALU_DEP_1) | instskip(NEXT) | instid1(VALU_DEP_1)
	v_min_u32_e32 v13, 32, v13
	v_subrev_nc_u32_e32 v14, 28, v13
	v_sub_nc_u32_e32 v13, 29, v13
	s_delay_alu instid0(VALU_DEP_2) | instskip(SKIP_1) | instid1(VALU_DEP_2)
	v_lshlrev_b32_e32 v14, v14, v10
	v_bfe_u32 v10, v10, 3, 4
	v_and_b32_e32 v14, 7, v14
	s_delay_alu instid0(VALU_DEP_2) | instskip(SKIP_1) | instid1(VALU_DEP_1)
	v_cmp_eq_u32_e32 vcc_lo, 0, v10
	v_dual_cndmask_b32 v10, v10, v13 :: v_dual_lshlrev_b32 v11, 24, v11
	v_dual_cndmask_b32 v12, v12, v14 :: v_dual_and_b32 v11, 0x80000000, v11
	s_delay_alu instid0(VALU_DEP_2) | instskip(NEXT) | instid1(VALU_DEP_2)
	v_lshl_add_u32 v10, v10, 23, 0x3b800000
	v_lshlrev_b32_e32 v12, 20, v12
	s_delay_alu instid0(VALU_DEP_1) | instskip(NEXT) | instid1(VALU_DEP_1)
	v_or3_b32 v10, v11, v10, v12
	v_cvt_f16_f32_e32 v10, v10
.LBB217_1219:
	s_or_b32 exec_lo, exec_lo, s10
.LBB217_1220:
	s_mov_b32 s3, -1
.LBB217_1221:
	s_branch .LBB217_1253
.LBB217_1222:
	v_cmp_lt_i16_e32 vcc_lo, 22, v9
	s_cbranch_vccz .LBB217_1232
; %bb.1223:
	v_cmp_gt_i16_e32 vcc_lo, 24, v9
	s_cbranch_vccnz .LBB217_1235
; %bb.1224:
	v_cmp_lt_i16_e32 vcc_lo, 24, v9
	s_cbranch_vccz .LBB217_1236
; %bb.1225:
	global_load_u8 v11, v[7:8], off
	s_mov_b32 s10, exec_lo
                                        ; implicit-def: $sgpr3
	s_waitcnt vmcnt(0)
	v_cmpx_lt_i16_e32 0x7f, v11
	s_xor_b32 s10, exec_lo, s10
	s_cbranch_execz .LBB217_1247
; %bb.1226:
	s_mov_b32 s2, -1
	s_mov_b32 s11, exec_lo
                                        ; implicit-def: $sgpr3
	v_cmpx_eq_u16_e32 0x80, v11
; %bb.1227:
	s_movk_i32 s3, 0x7e00
	s_xor_b32 s2, exec_lo, -1
; %bb.1228:
	s_or_b32 exec_lo, exec_lo, s11
	s_delay_alu instid0(SALU_CYCLE_1)
	s_and_b32 s2, s2, exec_lo
	s_or_saveexec_b32 s10, s10
	v_mov_b32_e32 v10, s3
	s_xor_b32 exec_lo, exec_lo, s10
	s_cbranch_execnz .LBB217_1248
.LBB217_1229:
	s_or_b32 exec_lo, exec_lo, s10
	s_and_saveexec_b32 s3, s2
	s_cbranch_execz .LBB217_1231
.LBB217_1230:
	v_and_b32_e32 v10, 0xffff, v11
	s_delay_alu instid0(VALU_DEP_1) | instskip(NEXT) | instid1(VALU_DEP_1)
	v_and_b32_e32 v12, 3, v10
	v_clz_i32_u32_e32 v13, v12
	s_delay_alu instid0(VALU_DEP_1) | instskip(NEXT) | instid1(VALU_DEP_1)
	v_min_u32_e32 v13, 32, v13
	v_subrev_nc_u32_e32 v14, 29, v13
	v_sub_nc_u32_e32 v13, 30, v13
	s_delay_alu instid0(VALU_DEP_2) | instskip(SKIP_1) | instid1(VALU_DEP_2)
	v_lshlrev_b32_e32 v14, v14, v10
	v_bfe_u32 v10, v10, 2, 5
	v_and_b32_e32 v14, 3, v14
	s_delay_alu instid0(VALU_DEP_2) | instskip(SKIP_1) | instid1(VALU_DEP_1)
	v_cmp_eq_u32_e32 vcc_lo, 0, v10
	v_dual_cndmask_b32 v10, v10, v13 :: v_dual_lshlrev_b32 v11, 24, v11
	v_dual_cndmask_b32 v12, v12, v14 :: v_dual_and_b32 v11, 0x80000000, v11
	s_delay_alu instid0(VALU_DEP_2) | instskip(NEXT) | instid1(VALU_DEP_2)
	v_lshl_add_u32 v10, v10, 23, 0x37800000
	v_lshlrev_b32_e32 v12, 21, v12
	s_delay_alu instid0(VALU_DEP_1) | instskip(NEXT) | instid1(VALU_DEP_1)
	v_or3_b32 v10, v11, v10, v12
	v_cvt_f16_f32_e32 v10, v10
.LBB217_1231:
	s_or_b32 exec_lo, exec_lo, s3
	s_mov_b32 s2, 0
	s_branch .LBB217_1237
.LBB217_1232:
                                        ; implicit-def: $vgpr10
	s_mov_b32 s2, 0
	s_branch .LBB217_1243
.LBB217_1233:
	s_or_saveexec_b32 s11, s11
	v_mov_b32_e32 v10, s10
	s_xor_b32 exec_lo, exec_lo, s11
	s_cbranch_execz .LBB217_1217
.LBB217_1234:
	v_cmp_ne_u16_e32 vcc_lo, 0, v11
	v_mov_b32_e32 v10, v11
	s_and_not1_b32 s3, s3, exec_lo
	s_and_b32 s10, vcc_lo, exec_lo
	s_delay_alu instid0(SALU_CYCLE_1)
	s_or_b32 s3, s3, s10
	s_or_b32 exec_lo, exec_lo, s11
	s_and_saveexec_b32 s10, s3
	s_cbranch_execnz .LBB217_1218
	s_branch .LBB217_1219
.LBB217_1235:
	s_mov_b32 s2, -1
                                        ; implicit-def: $vgpr10
	s_branch .LBB217_1240
.LBB217_1236:
	s_mov_b32 s2, -1
                                        ; implicit-def: $vgpr10
.LBB217_1237:
	s_delay_alu instid0(SALU_CYCLE_1)
	s_and_b32 vcc_lo, exec_lo, s2
	s_cbranch_vccz .LBB217_1239
; %bb.1238:
	global_load_u8 v10, v[7:8], off
	s_waitcnt vmcnt(0)
	v_lshlrev_b32_e32 v10, 24, v10
	s_delay_alu instid0(VALU_DEP_1) | instskip(NEXT) | instid1(VALU_DEP_1)
	v_and_b32_e32 v11, 0x7f000000, v10
	v_clz_i32_u32_e32 v12, v11
	v_add_nc_u32_e32 v14, 0x1000000, v11
	v_cmp_ne_u32_e32 vcc_lo, 0, v11
	s_delay_alu instid0(VALU_DEP_3) | instskip(NEXT) | instid1(VALU_DEP_1)
	v_min_u32_e32 v12, 32, v12
	v_sub_nc_u32_e64 v12, v12, 4 clamp
	s_delay_alu instid0(VALU_DEP_1) | instskip(SKIP_1) | instid1(VALU_DEP_2)
	v_lshlrev_b32_e32 v13, v12, v11
	v_lshlrev_b32_e32 v12, 23, v12
	v_lshrrev_b32_e32 v13, 4, v13
	s_delay_alu instid0(VALU_DEP_1) | instskip(SKIP_1) | instid1(VALU_DEP_2)
	v_sub_nc_u32_e32 v12, v13, v12
	v_ashrrev_i32_e32 v13, 8, v14
	v_add_nc_u32_e32 v12, 0x3c000000, v12
	s_delay_alu instid0(VALU_DEP_1) | instskip(NEXT) | instid1(VALU_DEP_1)
	v_and_or_b32 v12, 0x7f800000, v13, v12
	v_cndmask_b32_e32 v11, 0, v12, vcc_lo
	s_delay_alu instid0(VALU_DEP_1) | instskip(NEXT) | instid1(VALU_DEP_1)
	v_and_or_b32 v10, 0x80000000, v10, v11
	v_cvt_f16_f32_e32 v10, v10
.LBB217_1239:
	s_mov_b32 s2, 0
.LBB217_1240:
	s_delay_alu instid0(SALU_CYCLE_1)
	s_and_not1_b32 vcc_lo, exec_lo, s2
	s_cbranch_vccnz .LBB217_1242
; %bb.1241:
	global_load_u8 v10, v[7:8], off
	s_waitcnt vmcnt(0)
	v_lshlrev_b32_e32 v11, 25, v10
	v_lshlrev_b16 v10, 8, v10
	s_delay_alu instid0(VALU_DEP_2) | instskip(NEXT) | instid1(VALU_DEP_2)
	v_lshrrev_b32_e32 v12, 4, v11
	v_and_or_b32 v13, 0x7f00, v10, 0.5
	v_bfe_i32 v10, v10, 0, 16
	s_delay_alu instid0(VALU_DEP_3) | instskip(NEXT) | instid1(VALU_DEP_1)
	v_or_b32_e32 v12, 0x70000000, v12
	v_dual_add_f32 v13, -0.5, v13 :: v_dual_mul_f32 v12, 0x7800000, v12
	v_cmp_gt_u32_e32 vcc_lo, 0x8000000, v11
	s_delay_alu instid0(VALU_DEP_2) | instskip(NEXT) | instid1(VALU_DEP_1)
	v_cndmask_b32_e32 v11, v12, v13, vcc_lo
	v_and_or_b32 v10, 0x80000000, v10, v11
	s_delay_alu instid0(VALU_DEP_1)
	v_cvt_f16_f32_e32 v10, v10
.LBB217_1242:
	s_mov_b32 s3, -1
	s_mov_b32 s2, 0
	s_cbranch_execnz .LBB217_1253
.LBB217_1243:
	v_cmp_lt_i16_e32 vcc_lo, 14, v9
	s_cbranch_vccz .LBB217_1246
; %bb.1244:
	v_cmp_eq_u16_e32 vcc_lo, 15, v9
	s_cbranch_vccz .LBB217_1249
; %bb.1245:
	global_load_u16 v10, v[7:8], off
	s_mov_b32 s1, 0
	s_mov_b32 s3, -1
	s_waitcnt vmcnt(0)
	v_lshlrev_b32_e32 v10, 16, v10
	s_delay_alu instid0(VALU_DEP_1)
	v_cvt_f16_f32_e32 v10, v10
	s_branch .LBB217_1251
.LBB217_1246:
	s_mov_b32 s2, -1
	s_branch .LBB217_1250
.LBB217_1247:
	s_or_saveexec_b32 s10, s10
	v_mov_b32_e32 v10, s3
	s_xor_b32 exec_lo, exec_lo, s10
	s_cbranch_execz .LBB217_1229
.LBB217_1248:
	v_cmp_ne_u16_e32 vcc_lo, 0, v11
	v_mov_b32_e32 v10, v11
	s_and_not1_b32 s2, s2, exec_lo
	s_and_b32 s3, vcc_lo, exec_lo
	s_delay_alu instid0(SALU_CYCLE_1)
	s_or_b32 s2, s2, s3
	s_or_b32 exec_lo, exec_lo, s10
	s_and_saveexec_b32 s3, s2
	s_cbranch_execnz .LBB217_1230
	s_branch .LBB217_1231
.LBB217_1249:
	s_mov_b32 s1, -1
.LBB217_1250:
                                        ; implicit-def: $vgpr10
.LBB217_1251:
	s_and_b32 vcc_lo, exec_lo, s2
	s_mov_b32 s2, 0
	s_cbranch_vccz .LBB217_1253
; %bb.1252:
	v_cmp_ne_u16_e64 s1, 11, v9
	s_mov_b32 s2, -1
                                        ; implicit-def: $vgpr10
.LBB217_1253:
	s_delay_alu instid0(VALU_DEP_1)
	s_and_b32 vcc_lo, exec_lo, s1
	s_mov_b32 s1, s8
	s_cbranch_vccnz .LBB217_1277
; %bb.1254:
	s_and_not1_b32 vcc_lo, exec_lo, s2
	s_cbranch_vccnz .LBB217_1256
.LBB217_1255:
	global_load_u8 v10, v[7:8], off
	s_mov_b32 s3, -1
	s_waitcnt vmcnt(0)
	v_cmp_ne_u16_e32 vcc_lo, 0, v10
	v_cndmask_b32_e64 v10, 0, 0x3c00, vcc_lo
.LBB217_1256:
.LBB217_1257:
	s_and_not1_b32 vcc_lo, exec_lo, s3
	s_cbranch_vccnz .LBB217_2090
.LBB217_1258:
	v_cmp_gt_i16_e32 vcc_lo, 11, v9
	s_waitcnt vmcnt(0)
	v_add_co_u32 v6, s2, s6, v6
	s_delay_alu instid0(VALU_DEP_1)
	v_add_co_ci_u32_e64 v7, null, s7, 0, s2
	s_mov_b32 s10, 0
	s_cbranch_vccnz .LBB217_1265
; %bb.1259:
	v_cmp_lt_i16_e32 vcc_lo, 25, v9
	s_mov_b32 s3, 0
	s_cbranch_vccz .LBB217_1271
; %bb.1260:
	v_cmp_lt_i16_e32 vcc_lo, 28, v9
	s_cbranch_vccz .LBB217_1273
; %bb.1261:
	v_cmp_lt_i16_e32 vcc_lo, 43, v9
	;; [unrolled: 3-line block ×3, first 2 shown]
	s_cbranch_vccz .LBB217_1281
; %bb.1263:
	v_cmp_eq_u16_e32 vcc_lo, 46, v9
	s_mov_b32 s11, 0
	s_cbranch_vccz .LBB217_1325
; %bb.1264:
	global_load_b32 v8, v[6:7], off
	s_mov_b32 s2, 0
	s_mov_b32 s10, -1
	s_waitcnt vmcnt(0)
	v_lshlrev_b32_e32 v8, 16, v8
	s_delay_alu instid0(VALU_DEP_1)
	v_cvt_f16_f32_e32 v8, v8
	s_branch .LBB217_1327
.LBB217_1265:
                                        ; implicit-def: $vgpr8
	s_cbranch_execz .LBB217_1392
; %bb.1266:
	v_cmp_gt_i16_e32 vcc_lo, 5, v9
	s_cbranch_vccnz .LBB217_1272
; %bb.1267:
	v_cmp_gt_i16_e32 vcc_lo, 8, v9
	s_cbranch_vccnz .LBB217_1274
	;; [unrolled: 3-line block ×3, first 2 shown]
; %bb.1269:
	v_cmp_lt_i16_e32 vcc_lo, 9, v9
	s_cbranch_vccz .LBB217_1282
; %bb.1270:
	global_load_b64 v[11:12], v[6:7], off
	s_mov_b32 s2, 0
	s_waitcnt vmcnt(0)
	v_cvt_f32_f64_e32 v8, v[11:12]
	s_delay_alu instid0(VALU_DEP_1)
	v_cvt_f16_f32_e32 v8, v8
	s_branch .LBB217_1283
.LBB217_1271:
	s_mov_b32 s2, 0
                                        ; implicit-def: $vgpr8
	s_cbranch_execnz .LBB217_1356
	s_branch .LBB217_1388
.LBB217_1272:
                                        ; implicit-def: $vgpr8
	s_branch .LBB217_1301
.LBB217_1273:
	s_mov_b32 s11, -1
	s_mov_b32 s2, 0
                                        ; implicit-def: $vgpr8
	s_branch .LBB217_1337
.LBB217_1274:
	s_mov_b32 s2, -1
                                        ; implicit-def: $vgpr8
	s_branch .LBB217_1289
.LBB217_1275:
	s_mov_b32 s11, -1
	s_mov_b32 s2, 0
                                        ; implicit-def: $vgpr8
	s_branch .LBB217_1332
.LBB217_1276:
	s_mov_b32 s2, -1
                                        ; implicit-def: $vgpr8
	s_branch .LBB217_1286
.LBB217_1277:
	s_cbranch_execnz .LBB217_1321
; %bb.1278:
	s_or_b32 s1, s8, exec_lo
                                        ; implicit-def: $vgpr10
	s_cbranch_execz .LBB217_1255
	s_branch .LBB217_1256
.LBB217_1279:
	s_or_saveexec_b32 s7, s7
                                        ; implicit-def: $sgpr8
	s_delay_alu instid0(SALU_CYCLE_1)
	s_xor_b32 exec_lo, exec_lo, s7
	s_cbranch_execz .LBB217_987
.LBB217_1280:
	v_add_f32_e64 v3, 0x46000000, |v0|
	s_and_not1_b32 s5, s5, exec_lo
	s_mov_b32 s8, 0
	s_delay_alu instid0(VALU_DEP_1) | instskip(NEXT) | instid1(VALU_DEP_1)
	v_and_b32_e32 v3, 0xff, v3
	v_cmp_ne_u32_e32 vcc_lo, 0, v3
	s_and_b32 s9, vcc_lo, exec_lo
	s_delay_alu instid0(SALU_CYCLE_1)
	s_or_b32 s5, s5, s9
	s_or_b32 exec_lo, exec_lo, s7
	v_mov_b32_e32 v6, s8
	s_and_saveexec_b32 s7, s5
	s_cbranch_execnz .LBB217_988
	s_branch .LBB217_989
.LBB217_1281:
	s_mov_b32 s11, -1
	s_mov_b32 s2, 0
	s_branch .LBB217_1326
.LBB217_1282:
	s_mov_b32 s2, -1
                                        ; implicit-def: $vgpr8
.LBB217_1283:
	s_delay_alu instid0(SALU_CYCLE_1)
	s_and_not1_b32 vcc_lo, exec_lo, s2
	s_cbranch_vccnz .LBB217_1285
; %bb.1284:
	global_load_b32 v8, v[6:7], off
	s_waitcnt vmcnt(0)
	v_cvt_f16_f32_e32 v8, v8
.LBB217_1285:
	s_mov_b32 s2, 0
.LBB217_1286:
	s_delay_alu instid0(SALU_CYCLE_1)
	s_and_not1_b32 vcc_lo, exec_lo, s2
	s_cbranch_vccnz .LBB217_1288
; %bb.1287:
	global_load_b32 v8, v[6:7], off
.LBB217_1288:
	s_mov_b32 s2, 0
.LBB217_1289:
	s_delay_alu instid0(SALU_CYCLE_1)
	s_and_not1_b32 vcc_lo, exec_lo, s2
	s_cbranch_vccnz .LBB217_1300
; %bb.1290:
	v_cmp_gt_i16_e32 vcc_lo, 6, v9
	s_cbranch_vccnz .LBB217_1293
; %bb.1291:
	v_cmp_lt_i16_e32 vcc_lo, 6, v9
	s_cbranch_vccz .LBB217_1294
; %bb.1292:
	global_load_b64 v[11:12], v[6:7], off
	s_mov_b32 s2, 0
	s_waitcnt vmcnt(0)
	v_cvt_f32_f64_e32 v8, v[11:12]
	s_delay_alu instid0(VALU_DEP_1)
	v_cvt_f16_f32_e32 v8, v8
	s_branch .LBB217_1295
.LBB217_1293:
	s_mov_b32 s2, -1
                                        ; implicit-def: $vgpr8
	s_branch .LBB217_1298
.LBB217_1294:
	s_mov_b32 s2, -1
                                        ; implicit-def: $vgpr8
.LBB217_1295:
	s_delay_alu instid0(SALU_CYCLE_1)
	s_and_not1_b32 vcc_lo, exec_lo, s2
	s_cbranch_vccnz .LBB217_1297
; %bb.1296:
	global_load_b32 v8, v[6:7], off
	s_waitcnt vmcnt(0)
	v_cvt_f16_f32_e32 v8, v8
.LBB217_1297:
	s_mov_b32 s2, 0
.LBB217_1298:
	s_delay_alu instid0(SALU_CYCLE_1)
	s_and_not1_b32 vcc_lo, exec_lo, s2
	s_cbranch_vccnz .LBB217_1300
; %bb.1299:
	global_load_u16 v8, v[6:7], off
.LBB217_1300:
	s_cbranch_execnz .LBB217_1320
.LBB217_1301:
	v_cmp_gt_i16_e32 vcc_lo, 2, v9
	s_cbranch_vccnz .LBB217_1305
; %bb.1302:
	v_cmp_gt_i16_e32 vcc_lo, 3, v9
	s_cbranch_vccnz .LBB217_1306
; %bb.1303:
	v_cmp_lt_i16_e32 vcc_lo, 3, v9
	s_cbranch_vccz .LBB217_1307
; %bb.1304:
	global_load_b64 v[11:12], v[6:7], off
	s_mov_b32 s2, 0
	s_waitcnt vmcnt(0)
	v_xor_b32_e32 v8, v11, v12
	v_cls_i32_e32 v13, v12
	s_delay_alu instid0(VALU_DEP_2) | instskip(NEXT) | instid1(VALU_DEP_2)
	v_ashrrev_i32_e32 v8, 31, v8
	v_add_nc_u32_e32 v13, -1, v13
	s_delay_alu instid0(VALU_DEP_2) | instskip(NEXT) | instid1(VALU_DEP_1)
	v_add_nc_u32_e32 v8, 32, v8
	v_min_u32_e32 v8, v13, v8
	s_delay_alu instid0(VALU_DEP_1) | instskip(SKIP_1) | instid1(VALU_DEP_2)
	v_lshlrev_b64 v[11:12], v8, v[11:12]
	v_sub_nc_u32_e32 v8, 32, v8
	v_min_u32_e32 v11, 1, v11
	s_delay_alu instid0(VALU_DEP_1) | instskip(NEXT) | instid1(VALU_DEP_1)
	v_or_b32_e32 v11, v12, v11
	v_cvt_f32_i32_e32 v11, v11
	s_delay_alu instid0(VALU_DEP_1) | instskip(NEXT) | instid1(VALU_DEP_1)
	v_ldexp_f32 v8, v11, v8
	v_cvt_f16_f32_e32 v8, v8
	s_branch .LBB217_1308
.LBB217_1305:
	s_mov_b32 s2, -1
                                        ; implicit-def: $vgpr8
	s_branch .LBB217_1314
.LBB217_1306:
	s_mov_b32 s2, -1
                                        ; implicit-def: $vgpr8
	s_branch .LBB217_1311
.LBB217_1307:
	s_mov_b32 s2, -1
                                        ; implicit-def: $vgpr8
.LBB217_1308:
	s_delay_alu instid0(SALU_CYCLE_1)
	s_and_not1_b32 vcc_lo, exec_lo, s2
	s_cbranch_vccnz .LBB217_1310
; %bb.1309:
	global_load_b32 v8, v[6:7], off
	s_waitcnt vmcnt(0)
	v_cvt_f32_i32_e32 v8, v8
	s_delay_alu instid0(VALU_DEP_1)
	v_cvt_f16_f32_e32 v8, v8
.LBB217_1310:
	s_mov_b32 s2, 0
.LBB217_1311:
	s_delay_alu instid0(SALU_CYCLE_1)
	s_and_not1_b32 vcc_lo, exec_lo, s2
	s_cbranch_vccnz .LBB217_1313
; %bb.1312:
	global_load_u16 v8, v[6:7], off
	s_waitcnt vmcnt(0)
	v_cvt_f16_i16_e32 v8, v8
.LBB217_1313:
	s_mov_b32 s2, 0
.LBB217_1314:
	s_delay_alu instid0(SALU_CYCLE_1)
	s_and_not1_b32 vcc_lo, exec_lo, s2
	s_cbranch_vccnz .LBB217_1320
; %bb.1315:
	v_cmp_lt_i16_e32 vcc_lo, 0, v9
	s_mov_b32 s2, 0
	s_cbranch_vccz .LBB217_1317
; %bb.1316:
	global_load_i8 v8, v[6:7], off
	s_waitcnt vmcnt(0)
	v_cvt_f16_i16_e32 v8, v8
	s_branch .LBB217_1318
.LBB217_1317:
	s_mov_b32 s2, -1
                                        ; implicit-def: $vgpr8
.LBB217_1318:
	s_delay_alu instid0(SALU_CYCLE_1)
	s_and_not1_b32 vcc_lo, exec_lo, s2
	s_cbranch_vccnz .LBB217_1320
; %bb.1319:
	global_load_u8 v6, v[6:7], off
	s_waitcnt vmcnt(0)
	v_cvt_f16_u16_e32 v8, v6
.LBB217_1320:
	s_branch .LBB217_1393
.LBB217_1321:
	s_trap 2
	s_sendmsg_rtn_b32 s0, sendmsg(MSG_RTN_GET_DOORBELL)
	s_mov_b32 ttmp2, m0
	s_waitcnt lgkmcnt(0)
	s_and_b32 s0, s0, 0x3ff
	s_delay_alu instid0(SALU_CYCLE_1) | instskip(NEXT) | instid1(SALU_CYCLE_1)
	s_bitset1_b32 s0, 10
	s_mov_b32 m0, s0
	s_sendmsg sendmsg(MSG_INTERRUPT)
	s_mov_b32 m0, ttmp2
.LBB217_1322:                           ; =>This Inner Loop Header: Depth=1
	s_sethalt 5
	s_branch .LBB217_1322
.LBB217_1323:
	s_or_saveexec_b32 s8, s8
                                        ; implicit-def: $sgpr9
	s_delay_alu instid0(SALU_CYCLE_1)
	s_xor_b32 exec_lo, exec_lo, s8
	s_cbranch_execz .LBB217_999
.LBB217_1324:
	v_add_f32_e64 v3, 0x42800000, |v0|
	s_and_not1_b32 s7, s7, exec_lo
	s_mov_b32 s9, 0
	s_delay_alu instid0(VALU_DEP_1) | instskip(NEXT) | instid1(VALU_DEP_1)
	v_and_b32_e32 v3, 0xff, v3
	v_cmp_ne_u32_e32 vcc_lo, 0, v3
	s_and_b32 s10, vcc_lo, exec_lo
	s_delay_alu instid0(SALU_CYCLE_1)
	s_or_b32 s7, s7, s10
	s_or_b32 exec_lo, exec_lo, s8
	v_mov_b32_e32 v6, s9
	s_and_saveexec_b32 s8, s7
	s_cbranch_execnz .LBB217_1000
	s_branch .LBB217_1001
.LBB217_1325:
	s_mov_b32 s2, -1
.LBB217_1326:
                                        ; implicit-def: $vgpr8
.LBB217_1327:
	s_and_b32 vcc_lo, exec_lo, s11
	s_cbranch_vccz .LBB217_1331
; %bb.1328:
	v_cmp_eq_u16_e32 vcc_lo, 44, v9
	s_cbranch_vccz .LBB217_1330
; %bb.1329:
	global_load_u8 v8, v[6:7], off
	s_mov_b32 s2, 0
	s_mov_b32 s10, -1
	s_waitcnt vmcnt(0)
	v_lshlrev_b32_e32 v11, 23, v8
	v_cmp_ne_u32_e32 vcc_lo, 0xff, v8
	s_delay_alu instid0(VALU_DEP_2) | instskip(NEXT) | instid1(VALU_DEP_1)
	v_cvt_f16_f32_e32 v11, v11
	v_cndmask_b32_e32 v11, 0x7e00, v11, vcc_lo
	v_cmp_ne_u32_e32 vcc_lo, 0, v8
	s_delay_alu instid0(VALU_DEP_2)
	v_cndmask_b32_e32 v8, 0, v11, vcc_lo
	s_branch .LBB217_1331
.LBB217_1330:
	s_mov_b32 s2, -1
                                        ; implicit-def: $vgpr8
.LBB217_1331:
	s_mov_b32 s11, 0
.LBB217_1332:
	s_delay_alu instid0(SALU_CYCLE_1)
	s_and_b32 vcc_lo, exec_lo, s11
	s_cbranch_vccz .LBB217_1336
; %bb.1333:
	v_cmp_eq_u16_e32 vcc_lo, 29, v9
	s_cbranch_vccz .LBB217_1335
; %bb.1334:
	global_load_b64 v[11:12], v[6:7], off
	s_mov_b32 s2, 0
	s_mov_b32 s10, -1
	s_mov_b32 s11, 0
	s_waitcnt vmcnt(0)
	v_clz_i32_u32_e32 v8, v12
	s_delay_alu instid0(VALU_DEP_1) | instskip(NEXT) | instid1(VALU_DEP_1)
	v_min_u32_e32 v8, 32, v8
	v_lshlrev_b64 v[11:12], v8, v[11:12]
	v_sub_nc_u32_e32 v8, 32, v8
	s_delay_alu instid0(VALU_DEP_2) | instskip(NEXT) | instid1(VALU_DEP_1)
	v_min_u32_e32 v11, 1, v11
	v_or_b32_e32 v11, v12, v11
	s_delay_alu instid0(VALU_DEP_1) | instskip(NEXT) | instid1(VALU_DEP_1)
	v_cvt_f32_u32_e32 v11, v11
	v_ldexp_f32 v8, v11, v8
	s_delay_alu instid0(VALU_DEP_1)
	v_cvt_f16_f32_e32 v8, v8
	s_branch .LBB217_1337
.LBB217_1335:
	s_mov_b32 s2, -1
                                        ; implicit-def: $vgpr8
.LBB217_1336:
	s_mov_b32 s11, 0
.LBB217_1337:
	s_delay_alu instid0(SALU_CYCLE_1)
	s_and_b32 vcc_lo, exec_lo, s11
	s_cbranch_vccz .LBB217_1355
; %bb.1338:
	v_cmp_gt_i16_e32 vcc_lo, 27, v9
	s_cbranch_vccnz .LBB217_1341
; %bb.1339:
	v_cmp_lt_i16_e32 vcc_lo, 27, v9
	s_cbranch_vccz .LBB217_1342
; %bb.1340:
	global_load_b32 v8, v[6:7], off
	s_mov_b32 s10, 0
	s_waitcnt vmcnt(0)
	v_cvt_f32_u32_e32 v8, v8
	s_delay_alu instid0(VALU_DEP_1)
	v_cvt_f16_f32_e32 v8, v8
	s_branch .LBB217_1343
.LBB217_1341:
	s_mov_b32 s10, -1
                                        ; implicit-def: $vgpr8
	s_branch .LBB217_1346
.LBB217_1342:
	s_mov_b32 s10, -1
                                        ; implicit-def: $vgpr8
.LBB217_1343:
	s_delay_alu instid0(SALU_CYCLE_1)
	s_and_not1_b32 vcc_lo, exec_lo, s10
	s_cbranch_vccnz .LBB217_1345
; %bb.1344:
	global_load_u16 v8, v[6:7], off
	s_waitcnt vmcnt(0)
	v_cvt_f16_u16_e32 v8, v8
.LBB217_1345:
	s_mov_b32 s10, 0
.LBB217_1346:
	s_delay_alu instid0(SALU_CYCLE_1)
	s_and_not1_b32 vcc_lo, exec_lo, s10
	s_cbranch_vccnz .LBB217_1354
; %bb.1347:
	global_load_u8 v11, v[6:7], off
	s_mov_b32 s10, 0
	s_mov_b32 s12, exec_lo
                                        ; implicit-def: $sgpr11
	s_waitcnt vmcnt(0)
	v_cmpx_lt_i16_e32 0x7f, v11
	s_xor_b32 s12, exec_lo, s12
	s_cbranch_execz .LBB217_1367
; %bb.1348:
	s_mov_b32 s10, -1
	s_mov_b32 s13, exec_lo
                                        ; implicit-def: $sgpr11
	v_cmpx_eq_u16_e32 0x80, v11
; %bb.1349:
	s_movk_i32 s11, 0x7e00
	s_xor_b32 s10, exec_lo, -1
; %bb.1350:
	s_or_b32 exec_lo, exec_lo, s13
	s_delay_alu instid0(SALU_CYCLE_1)
	s_and_b32 s10, s10, exec_lo
	s_or_saveexec_b32 s12, s12
	v_mov_b32_e32 v8, s11
	s_xor_b32 exec_lo, exec_lo, s12
	s_cbranch_execnz .LBB217_1368
.LBB217_1351:
	s_or_b32 exec_lo, exec_lo, s12
	s_and_saveexec_b32 s11, s10
	s_cbranch_execz .LBB217_1353
.LBB217_1352:
	v_and_b32_e32 v8, 0xffff, v11
	s_delay_alu instid0(VALU_DEP_1) | instskip(NEXT) | instid1(VALU_DEP_1)
	v_and_b32_e32 v12, 7, v8
	v_clz_i32_u32_e32 v13, v12
	s_delay_alu instid0(VALU_DEP_1) | instskip(NEXT) | instid1(VALU_DEP_1)
	v_min_u32_e32 v13, 32, v13
	v_subrev_nc_u32_e32 v14, 28, v13
	v_sub_nc_u32_e32 v13, 29, v13
	s_delay_alu instid0(VALU_DEP_2) | instskip(SKIP_1) | instid1(VALU_DEP_2)
	v_lshlrev_b32_e32 v14, v14, v8
	v_bfe_u32 v8, v8, 3, 4
	v_and_b32_e32 v14, 7, v14
	s_delay_alu instid0(VALU_DEP_2) | instskip(SKIP_1) | instid1(VALU_DEP_1)
	v_cmp_eq_u32_e32 vcc_lo, 0, v8
	v_dual_cndmask_b32 v8, v8, v13 :: v_dual_lshlrev_b32 v11, 24, v11
	v_dual_cndmask_b32 v12, v12, v14 :: v_dual_and_b32 v11, 0x80000000, v11
	s_delay_alu instid0(VALU_DEP_2) | instskip(NEXT) | instid1(VALU_DEP_2)
	v_lshl_add_u32 v8, v8, 23, 0x3b800000
	v_lshlrev_b32_e32 v12, 20, v12
	s_delay_alu instid0(VALU_DEP_1) | instskip(NEXT) | instid1(VALU_DEP_1)
	v_or3_b32 v8, v11, v8, v12
	v_cvt_f16_f32_e32 v8, v8
.LBB217_1353:
	s_or_b32 exec_lo, exec_lo, s11
.LBB217_1354:
	s_mov_b32 s10, -1
.LBB217_1355:
	s_branch .LBB217_1388
.LBB217_1356:
	v_cmp_lt_i16_e32 vcc_lo, 22, v9
	s_cbranch_vccz .LBB217_1366
; %bb.1357:
	v_cmp_gt_i16_e32 vcc_lo, 24, v9
	s_cbranch_vccnz .LBB217_1369
; %bb.1358:
	v_cmp_lt_i16_e32 vcc_lo, 24, v9
	s_cbranch_vccz .LBB217_1370
; %bb.1359:
	global_load_u8 v11, v[6:7], off
	s_mov_b32 s11, exec_lo
                                        ; implicit-def: $sgpr10
	s_waitcnt vmcnt(0)
	v_cmpx_lt_i16_e32 0x7f, v11
	s_xor_b32 s11, exec_lo, s11
	s_cbranch_execz .LBB217_1382
; %bb.1360:
	s_mov_b32 s3, -1
	s_mov_b32 s12, exec_lo
                                        ; implicit-def: $sgpr10
	v_cmpx_eq_u16_e32 0x80, v11
; %bb.1361:
	s_movk_i32 s10, 0x7e00
	s_xor_b32 s3, exec_lo, -1
; %bb.1362:
	s_or_b32 exec_lo, exec_lo, s12
	s_delay_alu instid0(SALU_CYCLE_1)
	s_and_b32 s3, s3, exec_lo
	s_or_saveexec_b32 s11, s11
	v_mov_b32_e32 v8, s10
	s_xor_b32 exec_lo, exec_lo, s11
	s_cbranch_execnz .LBB217_1383
.LBB217_1363:
	s_or_b32 exec_lo, exec_lo, s11
	s_and_saveexec_b32 s10, s3
	s_cbranch_execz .LBB217_1365
.LBB217_1364:
	v_and_b32_e32 v8, 0xffff, v11
	s_delay_alu instid0(VALU_DEP_1) | instskip(NEXT) | instid1(VALU_DEP_1)
	v_and_b32_e32 v12, 3, v8
	v_clz_i32_u32_e32 v13, v12
	s_delay_alu instid0(VALU_DEP_1) | instskip(NEXT) | instid1(VALU_DEP_1)
	v_min_u32_e32 v13, 32, v13
	v_subrev_nc_u32_e32 v14, 29, v13
	v_sub_nc_u32_e32 v13, 30, v13
	s_delay_alu instid0(VALU_DEP_2) | instskip(SKIP_1) | instid1(VALU_DEP_2)
	v_lshlrev_b32_e32 v14, v14, v8
	v_bfe_u32 v8, v8, 2, 5
	v_and_b32_e32 v14, 3, v14
	s_delay_alu instid0(VALU_DEP_2) | instskip(SKIP_1) | instid1(VALU_DEP_1)
	v_cmp_eq_u32_e32 vcc_lo, 0, v8
	v_dual_cndmask_b32 v8, v8, v13 :: v_dual_lshlrev_b32 v11, 24, v11
	v_dual_cndmask_b32 v12, v12, v14 :: v_dual_and_b32 v11, 0x80000000, v11
	s_delay_alu instid0(VALU_DEP_2) | instskip(NEXT) | instid1(VALU_DEP_2)
	v_lshl_add_u32 v8, v8, 23, 0x37800000
	v_lshlrev_b32_e32 v12, 21, v12
	s_delay_alu instid0(VALU_DEP_1) | instskip(NEXT) | instid1(VALU_DEP_1)
	v_or3_b32 v8, v11, v8, v12
	v_cvt_f16_f32_e32 v8, v8
.LBB217_1365:
	s_or_b32 exec_lo, exec_lo, s10
	s_mov_b32 s3, 0
	s_branch .LBB217_1371
.LBB217_1366:
	s_mov_b32 s3, -1
                                        ; implicit-def: $vgpr8
	s_branch .LBB217_1377
.LBB217_1367:
	s_or_saveexec_b32 s12, s12
	v_mov_b32_e32 v8, s11
	s_xor_b32 exec_lo, exec_lo, s12
	s_cbranch_execz .LBB217_1351
.LBB217_1368:
	v_cmp_ne_u16_e32 vcc_lo, 0, v11
	v_mov_b32_e32 v8, v11
	s_and_not1_b32 s10, s10, exec_lo
	s_and_b32 s11, vcc_lo, exec_lo
	s_delay_alu instid0(SALU_CYCLE_1)
	s_or_b32 s10, s10, s11
	s_or_b32 exec_lo, exec_lo, s12
	s_and_saveexec_b32 s11, s10
	s_cbranch_execnz .LBB217_1352
	s_branch .LBB217_1353
.LBB217_1369:
	s_mov_b32 s3, -1
                                        ; implicit-def: $vgpr8
	s_branch .LBB217_1374
.LBB217_1370:
	s_mov_b32 s3, -1
                                        ; implicit-def: $vgpr8
.LBB217_1371:
	s_delay_alu instid0(SALU_CYCLE_1)
	s_and_b32 vcc_lo, exec_lo, s3
	s_cbranch_vccz .LBB217_1373
; %bb.1372:
	global_load_u8 v8, v[6:7], off
	s_waitcnt vmcnt(0)
	v_lshlrev_b32_e32 v8, 24, v8
	s_delay_alu instid0(VALU_DEP_1) | instskip(NEXT) | instid1(VALU_DEP_1)
	v_and_b32_e32 v11, 0x7f000000, v8
	v_clz_i32_u32_e32 v12, v11
	v_cmp_ne_u32_e32 vcc_lo, 0, v11
	v_add_nc_u32_e32 v14, 0x1000000, v11
	s_delay_alu instid0(VALU_DEP_3) | instskip(NEXT) | instid1(VALU_DEP_1)
	v_min_u32_e32 v12, 32, v12
	v_sub_nc_u32_e64 v12, v12, 4 clamp
	s_delay_alu instid0(VALU_DEP_1) | instskip(SKIP_1) | instid1(VALU_DEP_2)
	v_lshlrev_b32_e32 v13, v12, v11
	v_lshlrev_b32_e32 v12, 23, v12
	v_lshrrev_b32_e32 v13, 4, v13
	s_delay_alu instid0(VALU_DEP_1) | instskip(SKIP_1) | instid1(VALU_DEP_2)
	v_sub_nc_u32_e32 v12, v13, v12
	v_ashrrev_i32_e32 v13, 8, v14
	v_add_nc_u32_e32 v12, 0x3c000000, v12
	s_delay_alu instid0(VALU_DEP_1) | instskip(NEXT) | instid1(VALU_DEP_1)
	v_and_or_b32 v12, 0x7f800000, v13, v12
	v_cndmask_b32_e32 v11, 0, v12, vcc_lo
	s_delay_alu instid0(VALU_DEP_1) | instskip(NEXT) | instid1(VALU_DEP_1)
	v_and_or_b32 v8, 0x80000000, v8, v11
	v_cvt_f16_f32_e32 v8, v8
.LBB217_1373:
	s_mov_b32 s3, 0
.LBB217_1374:
	s_delay_alu instid0(SALU_CYCLE_1)
	s_and_not1_b32 vcc_lo, exec_lo, s3
	s_cbranch_vccnz .LBB217_1376
; %bb.1375:
	global_load_u8 v8, v[6:7], off
	s_waitcnt vmcnt(0)
	v_lshlrev_b32_e32 v11, 25, v8
	v_lshlrev_b16 v8, 8, v8
	s_delay_alu instid0(VALU_DEP_2) | instskip(NEXT) | instid1(VALU_DEP_2)
	v_lshrrev_b32_e32 v12, 4, v11
	v_and_or_b32 v13, 0x7f00, v8, 0.5
	v_cmp_gt_u32_e32 vcc_lo, 0x8000000, v11
	v_bfe_i32 v8, v8, 0, 16
	s_delay_alu instid0(VALU_DEP_4) | instskip(NEXT) | instid1(VALU_DEP_1)
	v_or_b32_e32 v12, 0x70000000, v12
	v_dual_add_f32 v13, -0.5, v13 :: v_dual_mul_f32 v12, 0x7800000, v12
	s_delay_alu instid0(VALU_DEP_1) | instskip(NEXT) | instid1(VALU_DEP_1)
	v_cndmask_b32_e32 v11, v12, v13, vcc_lo
	v_and_or_b32 v8, 0x80000000, v8, v11
	s_delay_alu instid0(VALU_DEP_1)
	v_cvt_f16_f32_e32 v8, v8
.LBB217_1376:
	s_mov_b32 s3, 0
	s_mov_b32 s10, -1
.LBB217_1377:
	s_and_not1_b32 vcc_lo, exec_lo, s3
	s_mov_b32 s3, 0
	s_cbranch_vccnz .LBB217_1388
; %bb.1378:
	v_cmp_lt_i16_e32 vcc_lo, 14, v9
	s_cbranch_vccz .LBB217_1381
; %bb.1379:
	v_cmp_eq_u16_e32 vcc_lo, 15, v9
	s_cbranch_vccz .LBB217_1384
; %bb.1380:
	global_load_u16 v8, v[6:7], off
	s_mov_b32 s2, 0
	s_mov_b32 s10, -1
	s_waitcnt vmcnt(0)
	v_lshlrev_b32_e32 v8, 16, v8
	s_delay_alu instid0(VALU_DEP_1)
	v_cvt_f16_f32_e32 v8, v8
	s_branch .LBB217_1386
.LBB217_1381:
	s_mov_b32 s3, -1
	s_branch .LBB217_1385
.LBB217_1382:
	s_or_saveexec_b32 s11, s11
	v_mov_b32_e32 v8, s10
	s_xor_b32 exec_lo, exec_lo, s11
	s_cbranch_execz .LBB217_1363
.LBB217_1383:
	v_cmp_ne_u16_e32 vcc_lo, 0, v11
	v_mov_b32_e32 v8, v11
	s_and_not1_b32 s3, s3, exec_lo
	s_and_b32 s10, vcc_lo, exec_lo
	s_delay_alu instid0(SALU_CYCLE_1)
	s_or_b32 s3, s3, s10
	s_or_b32 exec_lo, exec_lo, s11
	s_and_saveexec_b32 s10, s3
	s_cbranch_execnz .LBB217_1364
	s_branch .LBB217_1365
.LBB217_1384:
	s_mov_b32 s2, -1
.LBB217_1385:
                                        ; implicit-def: $vgpr8
.LBB217_1386:
	s_and_b32 vcc_lo, exec_lo, s3
	s_mov_b32 s3, 0
	s_cbranch_vccz .LBB217_1388
; %bb.1387:
	v_cmp_ne_u16_e64 s2, 11, v9
	s_mov_b32 s3, -1
                                        ; implicit-def: $vgpr8
.LBB217_1388:
	s_delay_alu instid0(VALU_DEP_1)
	s_and_b32 vcc_lo, exec_lo, s2
	s_cbranch_vccnz .LBB217_1412
; %bb.1389:
	s_and_not1_b32 vcc_lo, exec_lo, s3
	s_cbranch_vccnz .LBB217_1391
.LBB217_1390:
	global_load_u8 v8, v[6:7], off
	s_mov_b32 s10, -1
	s_waitcnt vmcnt(0)
	v_cmp_ne_u16_e32 vcc_lo, 0, v8
	v_cndmask_b32_e64 v8, 0, 0x3c00, vcc_lo
.LBB217_1391:
.LBB217_1392:
	s_and_not1_b32 vcc_lo, exec_lo, s10
	s_cbranch_vccnz .LBB217_2090
.LBB217_1393:
	v_cmp_gt_i16_e32 vcc_lo, 11, v9
	v_add_co_u32 v5, s2, s6, v5
	s_delay_alu instid0(VALU_DEP_1)
	v_add_co_ci_u32_e64 v6, null, s7, 0, s2
	s_mov_b32 s10, 0
	s_cbranch_vccnz .LBB217_1400
; %bb.1394:
	v_cmp_lt_i16_e32 vcc_lo, 25, v9
	s_mov_b32 s3, 0
	s_cbranch_vccz .LBB217_1406
; %bb.1395:
	v_cmp_lt_i16_e32 vcc_lo, 28, v9
	s_cbranch_vccz .LBB217_1408
; %bb.1396:
	v_cmp_lt_i16_e32 vcc_lo, 43, v9
	;; [unrolled: 3-line block ×3, first 2 shown]
	s_cbranch_vccz .LBB217_1414
; %bb.1398:
	v_cmp_eq_u16_e32 vcc_lo, 46, v9
	s_mov_b32 s11, 0
	s_cbranch_vccz .LBB217_1457
; %bb.1399:
	global_load_b32 v7, v[5:6], off
	s_mov_b32 s2, 0
	s_mov_b32 s10, -1
	s_waitcnt vmcnt(0)
	v_lshlrev_b32_e32 v7, 16, v7
	s_delay_alu instid0(VALU_DEP_1)
	v_cvt_f16_f32_e32 v7, v7
	s_branch .LBB217_1459
.LBB217_1400:
                                        ; implicit-def: $vgpr7
	s_cbranch_execz .LBB217_1525
; %bb.1401:
	v_cmp_gt_i16_e32 vcc_lo, 5, v9
	s_cbranch_vccnz .LBB217_1407
; %bb.1402:
	v_cmp_gt_i16_e32 vcc_lo, 8, v9
	s_cbranch_vccnz .LBB217_1409
	;; [unrolled: 3-line block ×3, first 2 shown]
; %bb.1404:
	v_cmp_lt_i16_e32 vcc_lo, 9, v9
	s_cbranch_vccz .LBB217_1415
; %bb.1405:
	global_load_b64 v[11:12], v[5:6], off
	s_mov_b32 s2, 0
	s_waitcnt vmcnt(0)
	v_cvt_f32_f64_e32 v7, v[11:12]
	s_delay_alu instid0(VALU_DEP_1)
	v_cvt_f16_f32_e32 v7, v7
	s_branch .LBB217_1416
.LBB217_1406:
	s_mov_b32 s11, -1
	s_mov_b32 s2, 0
                                        ; implicit-def: $vgpr7
	s_branch .LBB217_1488
.LBB217_1407:
	s_mov_b32 s2, -1
                                        ; implicit-def: $vgpr7
	s_branch .LBB217_1434
.LBB217_1408:
	s_mov_b32 s11, -1
	s_mov_b32 s2, 0
                                        ; implicit-def: $vgpr7
	s_branch .LBB217_1469
.LBB217_1409:
	s_mov_b32 s2, -1
                                        ; implicit-def: $vgpr7
	s_branch .LBB217_1422
.LBB217_1410:
	s_mov_b32 s11, -1
	s_mov_b32 s2, 0
                                        ; implicit-def: $vgpr7
	s_branch .LBB217_1464
.LBB217_1411:
	s_mov_b32 s2, -1
                                        ; implicit-def: $vgpr7
	s_branch .LBB217_1419
.LBB217_1412:
	s_cbranch_execnz .LBB217_1455
; %bb.1413:
	s_or_b32 s1, s1, exec_lo
                                        ; implicit-def: $vgpr8
	s_cbranch_execz .LBB217_1390
	s_branch .LBB217_1391
.LBB217_1414:
	s_mov_b32 s11, -1
	s_mov_b32 s2, 0
	s_branch .LBB217_1458
.LBB217_1415:
	s_mov_b32 s2, -1
                                        ; implicit-def: $vgpr7
.LBB217_1416:
	s_delay_alu instid0(SALU_CYCLE_1)
	s_and_not1_b32 vcc_lo, exec_lo, s2
	s_cbranch_vccnz .LBB217_1418
; %bb.1417:
	global_load_b32 v7, v[5:6], off
	s_waitcnt vmcnt(0)
	v_cvt_f16_f32_e32 v7, v7
.LBB217_1418:
	s_mov_b32 s2, 0
.LBB217_1419:
	s_delay_alu instid0(SALU_CYCLE_1)
	s_and_not1_b32 vcc_lo, exec_lo, s2
	s_cbranch_vccnz .LBB217_1421
; %bb.1420:
	global_load_b32 v7, v[5:6], off
.LBB217_1421:
	s_mov_b32 s2, 0
.LBB217_1422:
	s_delay_alu instid0(SALU_CYCLE_1)
	s_and_not1_b32 vcc_lo, exec_lo, s2
	s_cbranch_vccnz .LBB217_1433
; %bb.1423:
	v_cmp_gt_i16_e32 vcc_lo, 6, v9
	s_cbranch_vccnz .LBB217_1426
; %bb.1424:
	v_cmp_lt_i16_e32 vcc_lo, 6, v9
	s_cbranch_vccz .LBB217_1427
; %bb.1425:
	global_load_b64 v[11:12], v[5:6], off
	s_mov_b32 s2, 0
	s_waitcnt vmcnt(0)
	v_cvt_f32_f64_e32 v7, v[11:12]
	s_delay_alu instid0(VALU_DEP_1)
	v_cvt_f16_f32_e32 v7, v7
	s_branch .LBB217_1428
.LBB217_1426:
	s_mov_b32 s2, -1
                                        ; implicit-def: $vgpr7
	s_branch .LBB217_1431
.LBB217_1427:
	s_mov_b32 s2, -1
                                        ; implicit-def: $vgpr7
.LBB217_1428:
	s_delay_alu instid0(SALU_CYCLE_1)
	s_and_not1_b32 vcc_lo, exec_lo, s2
	s_cbranch_vccnz .LBB217_1430
; %bb.1429:
	global_load_b32 v7, v[5:6], off
	s_waitcnt vmcnt(0)
	v_cvt_f16_f32_e32 v7, v7
.LBB217_1430:
	s_mov_b32 s2, 0
.LBB217_1431:
	s_delay_alu instid0(SALU_CYCLE_1)
	s_and_not1_b32 vcc_lo, exec_lo, s2
	s_cbranch_vccnz .LBB217_1433
; %bb.1432:
	global_load_u16 v7, v[5:6], off
.LBB217_1433:
	s_mov_b32 s2, 0
.LBB217_1434:
	s_delay_alu instid0(SALU_CYCLE_1)
	s_and_not1_b32 vcc_lo, exec_lo, s2
	s_cbranch_vccnz .LBB217_1454
; %bb.1435:
	v_cmp_gt_i16_e32 vcc_lo, 2, v9
	s_cbranch_vccnz .LBB217_1439
; %bb.1436:
	v_cmp_gt_i16_e32 vcc_lo, 3, v9
	s_cbranch_vccnz .LBB217_1440
; %bb.1437:
	v_cmp_lt_i16_e32 vcc_lo, 3, v9
	s_cbranch_vccz .LBB217_1441
; %bb.1438:
	global_load_b64 v[11:12], v[5:6], off
	s_mov_b32 s2, 0
	s_waitcnt vmcnt(0)
	v_xor_b32_e32 v7, v11, v12
	v_cls_i32_e32 v13, v12
	s_delay_alu instid0(VALU_DEP_2) | instskip(NEXT) | instid1(VALU_DEP_2)
	v_ashrrev_i32_e32 v7, 31, v7
	v_add_nc_u32_e32 v13, -1, v13
	s_delay_alu instid0(VALU_DEP_2) | instskip(NEXT) | instid1(VALU_DEP_1)
	v_add_nc_u32_e32 v7, 32, v7
	v_min_u32_e32 v7, v13, v7
	s_delay_alu instid0(VALU_DEP_1) | instskip(SKIP_1) | instid1(VALU_DEP_2)
	v_lshlrev_b64 v[11:12], v7, v[11:12]
	v_sub_nc_u32_e32 v7, 32, v7
	v_min_u32_e32 v11, 1, v11
	s_delay_alu instid0(VALU_DEP_1) | instskip(NEXT) | instid1(VALU_DEP_1)
	v_or_b32_e32 v11, v12, v11
	v_cvt_f32_i32_e32 v11, v11
	s_delay_alu instid0(VALU_DEP_1) | instskip(NEXT) | instid1(VALU_DEP_1)
	v_ldexp_f32 v7, v11, v7
	v_cvt_f16_f32_e32 v7, v7
	s_branch .LBB217_1442
.LBB217_1439:
	s_mov_b32 s2, -1
                                        ; implicit-def: $vgpr7
	s_branch .LBB217_1448
.LBB217_1440:
	s_mov_b32 s2, -1
                                        ; implicit-def: $vgpr7
	s_branch .LBB217_1445
.LBB217_1441:
	s_mov_b32 s2, -1
                                        ; implicit-def: $vgpr7
.LBB217_1442:
	s_delay_alu instid0(SALU_CYCLE_1)
	s_and_not1_b32 vcc_lo, exec_lo, s2
	s_cbranch_vccnz .LBB217_1444
; %bb.1443:
	global_load_b32 v7, v[5:6], off
	s_waitcnt vmcnt(0)
	v_cvt_f32_i32_e32 v7, v7
	s_delay_alu instid0(VALU_DEP_1)
	v_cvt_f16_f32_e32 v7, v7
.LBB217_1444:
	s_mov_b32 s2, 0
.LBB217_1445:
	s_delay_alu instid0(SALU_CYCLE_1)
	s_and_not1_b32 vcc_lo, exec_lo, s2
	s_cbranch_vccnz .LBB217_1447
; %bb.1446:
	global_load_u16 v7, v[5:6], off
	s_waitcnt vmcnt(0)
	v_cvt_f16_i16_e32 v7, v7
.LBB217_1447:
	s_mov_b32 s2, 0
.LBB217_1448:
	s_delay_alu instid0(SALU_CYCLE_1)
	s_and_not1_b32 vcc_lo, exec_lo, s2
	s_cbranch_vccnz .LBB217_1454
; %bb.1449:
	v_cmp_lt_i16_e32 vcc_lo, 0, v9
	s_mov_b32 s2, 0
	s_cbranch_vccz .LBB217_1451
; %bb.1450:
	global_load_i8 v7, v[5:6], off
	s_waitcnt vmcnt(0)
	v_cvt_f16_i16_e32 v7, v7
	s_branch .LBB217_1452
.LBB217_1451:
	s_mov_b32 s2, -1
                                        ; implicit-def: $vgpr7
.LBB217_1452:
	s_delay_alu instid0(SALU_CYCLE_1)
	s_and_not1_b32 vcc_lo, exec_lo, s2
	s_cbranch_vccnz .LBB217_1454
; %bb.1453:
	global_load_u8 v5, v[5:6], off
	s_waitcnt vmcnt(0)
	v_cvt_f16_u16_e32 v7, v5
.LBB217_1454:
	s_branch .LBB217_1526
.LBB217_1455:
	s_trap 2
	s_sendmsg_rtn_b32 s0, sendmsg(MSG_RTN_GET_DOORBELL)
	s_mov_b32 ttmp2, m0
	s_waitcnt lgkmcnt(0)
	s_and_b32 s0, s0, 0x3ff
	s_delay_alu instid0(SALU_CYCLE_1) | instskip(NEXT) | instid1(SALU_CYCLE_1)
	s_bitset1_b32 s0, 10
	s_mov_b32 m0, s0
	s_sendmsg sendmsg(MSG_INTERRUPT)
	s_mov_b32 m0, ttmp2
.LBB217_1456:                           ; =>This Inner Loop Header: Depth=1
	s_sethalt 5
	s_branch .LBB217_1456
.LBB217_1457:
	s_mov_b32 s2, -1
.LBB217_1458:
                                        ; implicit-def: $vgpr7
.LBB217_1459:
	s_and_b32 vcc_lo, exec_lo, s11
	s_cbranch_vccz .LBB217_1463
; %bb.1460:
	v_cmp_eq_u16_e32 vcc_lo, 44, v9
	s_cbranch_vccz .LBB217_1462
; %bb.1461:
	global_load_u8 v7, v[5:6], off
	s_mov_b32 s2, 0
	s_mov_b32 s10, -1
	s_waitcnt vmcnt(0)
	v_lshlrev_b32_e32 v11, 23, v7
	v_cmp_ne_u32_e32 vcc_lo, 0xff, v7
	s_delay_alu instid0(VALU_DEP_2) | instskip(NEXT) | instid1(VALU_DEP_1)
	v_cvt_f16_f32_e32 v11, v11
	v_cndmask_b32_e32 v11, 0x7e00, v11, vcc_lo
	v_cmp_ne_u32_e32 vcc_lo, 0, v7
	s_delay_alu instid0(VALU_DEP_2)
	v_cndmask_b32_e32 v7, 0, v11, vcc_lo
	s_branch .LBB217_1463
.LBB217_1462:
	s_mov_b32 s2, -1
                                        ; implicit-def: $vgpr7
.LBB217_1463:
	s_mov_b32 s11, 0
.LBB217_1464:
	s_delay_alu instid0(SALU_CYCLE_1)
	s_and_b32 vcc_lo, exec_lo, s11
	s_cbranch_vccz .LBB217_1468
; %bb.1465:
	v_cmp_eq_u16_e32 vcc_lo, 29, v9
	s_cbranch_vccz .LBB217_1467
; %bb.1466:
	global_load_b64 v[11:12], v[5:6], off
	s_mov_b32 s2, 0
	s_mov_b32 s10, -1
	s_mov_b32 s11, 0
	s_waitcnt vmcnt(0)
	v_clz_i32_u32_e32 v7, v12
	s_delay_alu instid0(VALU_DEP_1) | instskip(NEXT) | instid1(VALU_DEP_1)
	v_min_u32_e32 v7, 32, v7
	v_lshlrev_b64 v[11:12], v7, v[11:12]
	v_sub_nc_u32_e32 v7, 32, v7
	s_delay_alu instid0(VALU_DEP_2) | instskip(NEXT) | instid1(VALU_DEP_1)
	v_min_u32_e32 v11, 1, v11
	v_or_b32_e32 v11, v12, v11
	s_delay_alu instid0(VALU_DEP_1) | instskip(NEXT) | instid1(VALU_DEP_1)
	v_cvt_f32_u32_e32 v11, v11
	v_ldexp_f32 v7, v11, v7
	s_delay_alu instid0(VALU_DEP_1)
	v_cvt_f16_f32_e32 v7, v7
	s_branch .LBB217_1469
.LBB217_1467:
	s_mov_b32 s2, -1
                                        ; implicit-def: $vgpr7
.LBB217_1468:
	s_mov_b32 s11, 0
.LBB217_1469:
	s_delay_alu instid0(SALU_CYCLE_1)
	s_and_b32 vcc_lo, exec_lo, s11
	s_cbranch_vccz .LBB217_1487
; %bb.1470:
	v_cmp_gt_i16_e32 vcc_lo, 27, v9
	s_cbranch_vccnz .LBB217_1473
; %bb.1471:
	v_cmp_lt_i16_e32 vcc_lo, 27, v9
	s_cbranch_vccz .LBB217_1474
; %bb.1472:
	global_load_b32 v7, v[5:6], off
	s_mov_b32 s10, 0
	s_waitcnt vmcnt(0)
	v_cvt_f32_u32_e32 v7, v7
	s_delay_alu instid0(VALU_DEP_1)
	v_cvt_f16_f32_e32 v7, v7
	s_branch .LBB217_1475
.LBB217_1473:
	s_mov_b32 s10, -1
                                        ; implicit-def: $vgpr7
	s_branch .LBB217_1478
.LBB217_1474:
	s_mov_b32 s10, -1
                                        ; implicit-def: $vgpr7
.LBB217_1475:
	s_delay_alu instid0(SALU_CYCLE_1)
	s_and_not1_b32 vcc_lo, exec_lo, s10
	s_cbranch_vccnz .LBB217_1477
; %bb.1476:
	global_load_u16 v7, v[5:6], off
	s_waitcnt vmcnt(0)
	v_cvt_f16_u16_e32 v7, v7
.LBB217_1477:
	s_mov_b32 s10, 0
.LBB217_1478:
	s_delay_alu instid0(SALU_CYCLE_1)
	s_and_not1_b32 vcc_lo, exec_lo, s10
	s_cbranch_vccnz .LBB217_1486
; %bb.1479:
	global_load_u8 v11, v[5:6], off
	s_mov_b32 s10, 0
	s_mov_b32 s12, exec_lo
                                        ; implicit-def: $sgpr11
	s_waitcnt vmcnt(0)
	v_cmpx_lt_i16_e32 0x7f, v11
	s_xor_b32 s12, exec_lo, s12
	s_cbranch_execz .LBB217_1500
; %bb.1480:
	s_mov_b32 s10, -1
	s_mov_b32 s13, exec_lo
                                        ; implicit-def: $sgpr11
	v_cmpx_eq_u16_e32 0x80, v11
; %bb.1481:
	s_movk_i32 s11, 0x7e00
	s_xor_b32 s10, exec_lo, -1
; %bb.1482:
	s_or_b32 exec_lo, exec_lo, s13
	s_delay_alu instid0(SALU_CYCLE_1)
	s_and_b32 s10, s10, exec_lo
	s_or_saveexec_b32 s12, s12
	v_mov_b32_e32 v7, s11
	s_xor_b32 exec_lo, exec_lo, s12
	s_cbranch_execnz .LBB217_1501
.LBB217_1483:
	s_or_b32 exec_lo, exec_lo, s12
	s_and_saveexec_b32 s11, s10
	s_cbranch_execz .LBB217_1485
.LBB217_1484:
	v_and_b32_e32 v7, 0xffff, v11
	v_lshlrev_b32_e32 v11, 24, v11
	s_delay_alu instid0(VALU_DEP_2) | instskip(NEXT) | instid1(VALU_DEP_2)
	v_and_b32_e32 v12, 7, v7
	v_and_b32_e32 v11, 0x80000000, v11
	s_delay_alu instid0(VALU_DEP_2) | instskip(NEXT) | instid1(VALU_DEP_1)
	v_clz_i32_u32_e32 v13, v12
	v_min_u32_e32 v13, 32, v13
	s_delay_alu instid0(VALU_DEP_1) | instskip(SKIP_1) | instid1(VALU_DEP_2)
	v_subrev_nc_u32_e32 v14, 28, v13
	v_sub_nc_u32_e32 v13, 29, v13
	v_lshlrev_b32_e32 v14, v14, v7
	v_bfe_u32 v7, v7, 3, 4
	s_delay_alu instid0(VALU_DEP_2) | instskip(NEXT) | instid1(VALU_DEP_2)
	v_and_b32_e32 v14, 7, v14
	v_cmp_eq_u32_e32 vcc_lo, 0, v7
	s_delay_alu instid0(VALU_DEP_2) | instskip(NEXT) | instid1(VALU_DEP_1)
	v_dual_cndmask_b32 v7, v7, v13 :: v_dual_cndmask_b32 v12, v12, v14
	v_lshl_add_u32 v7, v7, 23, 0x3b800000
	s_delay_alu instid0(VALU_DEP_2) | instskip(NEXT) | instid1(VALU_DEP_1)
	v_lshlrev_b32_e32 v12, 20, v12
	v_or3_b32 v7, v11, v7, v12
	s_delay_alu instid0(VALU_DEP_1)
	v_cvt_f16_f32_e32 v7, v7
.LBB217_1485:
	s_or_b32 exec_lo, exec_lo, s11
.LBB217_1486:
	s_mov_b32 s10, -1
.LBB217_1487:
	s_mov_b32 s11, 0
.LBB217_1488:
	s_delay_alu instid0(SALU_CYCLE_1)
	s_and_b32 vcc_lo, exec_lo, s11
	s_cbranch_vccz .LBB217_1521
; %bb.1489:
	v_cmp_lt_i16_e32 vcc_lo, 22, v9
	s_cbranch_vccz .LBB217_1499
; %bb.1490:
	v_cmp_gt_i16_e32 vcc_lo, 24, v9
	s_cbranch_vccnz .LBB217_1502
; %bb.1491:
	v_cmp_lt_i16_e32 vcc_lo, 24, v9
	s_cbranch_vccz .LBB217_1503
; %bb.1492:
	global_load_u8 v11, v[5:6], off
	s_mov_b32 s11, exec_lo
                                        ; implicit-def: $sgpr10
	s_waitcnt vmcnt(0)
	v_cmpx_lt_i16_e32 0x7f, v11
	s_xor_b32 s11, exec_lo, s11
	s_cbranch_execz .LBB217_1515
; %bb.1493:
	s_mov_b32 s3, -1
	s_mov_b32 s12, exec_lo
                                        ; implicit-def: $sgpr10
	v_cmpx_eq_u16_e32 0x80, v11
; %bb.1494:
	s_movk_i32 s10, 0x7e00
	s_xor_b32 s3, exec_lo, -1
; %bb.1495:
	s_or_b32 exec_lo, exec_lo, s12
	s_delay_alu instid0(SALU_CYCLE_1)
	s_and_b32 s3, s3, exec_lo
	s_or_saveexec_b32 s11, s11
	v_mov_b32_e32 v7, s10
	s_xor_b32 exec_lo, exec_lo, s11
	s_cbranch_execnz .LBB217_1516
.LBB217_1496:
	s_or_b32 exec_lo, exec_lo, s11
	s_and_saveexec_b32 s10, s3
	s_cbranch_execz .LBB217_1498
.LBB217_1497:
	v_and_b32_e32 v7, 0xffff, v11
	v_lshlrev_b32_e32 v11, 24, v11
	s_delay_alu instid0(VALU_DEP_2) | instskip(NEXT) | instid1(VALU_DEP_2)
	v_and_b32_e32 v12, 3, v7
	v_and_b32_e32 v11, 0x80000000, v11
	s_delay_alu instid0(VALU_DEP_2) | instskip(NEXT) | instid1(VALU_DEP_1)
	v_clz_i32_u32_e32 v13, v12
	v_min_u32_e32 v13, 32, v13
	s_delay_alu instid0(VALU_DEP_1) | instskip(SKIP_1) | instid1(VALU_DEP_2)
	v_subrev_nc_u32_e32 v14, 29, v13
	v_sub_nc_u32_e32 v13, 30, v13
	v_lshlrev_b32_e32 v14, v14, v7
	v_bfe_u32 v7, v7, 2, 5
	s_delay_alu instid0(VALU_DEP_2) | instskip(NEXT) | instid1(VALU_DEP_2)
	v_and_b32_e32 v14, 3, v14
	v_cmp_eq_u32_e32 vcc_lo, 0, v7
	s_delay_alu instid0(VALU_DEP_2) | instskip(NEXT) | instid1(VALU_DEP_1)
	v_dual_cndmask_b32 v7, v7, v13 :: v_dual_cndmask_b32 v12, v12, v14
	v_lshl_add_u32 v7, v7, 23, 0x37800000
	s_delay_alu instid0(VALU_DEP_2) | instskip(NEXT) | instid1(VALU_DEP_1)
	v_lshlrev_b32_e32 v12, 21, v12
	v_or3_b32 v7, v11, v7, v12
	s_delay_alu instid0(VALU_DEP_1)
	v_cvt_f16_f32_e32 v7, v7
.LBB217_1498:
	s_or_b32 exec_lo, exec_lo, s10
	s_mov_b32 s3, 0
	s_branch .LBB217_1504
.LBB217_1499:
	s_mov_b32 s3, -1
                                        ; implicit-def: $vgpr7
	s_branch .LBB217_1510
.LBB217_1500:
	s_or_saveexec_b32 s12, s12
	v_mov_b32_e32 v7, s11
	s_xor_b32 exec_lo, exec_lo, s12
	s_cbranch_execz .LBB217_1483
.LBB217_1501:
	v_cmp_ne_u16_e32 vcc_lo, 0, v11
	v_mov_b32_e32 v7, v11
	s_and_not1_b32 s10, s10, exec_lo
	s_and_b32 s11, vcc_lo, exec_lo
	s_delay_alu instid0(SALU_CYCLE_1)
	s_or_b32 s10, s10, s11
	s_or_b32 exec_lo, exec_lo, s12
	s_and_saveexec_b32 s11, s10
	s_cbranch_execnz .LBB217_1484
	s_branch .LBB217_1485
.LBB217_1502:
	s_mov_b32 s3, -1
                                        ; implicit-def: $vgpr7
	s_branch .LBB217_1507
.LBB217_1503:
	s_mov_b32 s3, -1
                                        ; implicit-def: $vgpr7
.LBB217_1504:
	s_delay_alu instid0(SALU_CYCLE_1)
	s_and_b32 vcc_lo, exec_lo, s3
	s_cbranch_vccz .LBB217_1506
; %bb.1505:
	global_load_u8 v7, v[5:6], off
	s_waitcnt vmcnt(0)
	v_lshlrev_b32_e32 v7, 24, v7
	s_delay_alu instid0(VALU_DEP_1) | instskip(NEXT) | instid1(VALU_DEP_1)
	v_and_b32_e32 v11, 0x7f000000, v7
	v_clz_i32_u32_e32 v12, v11
	v_cmp_ne_u32_e32 vcc_lo, 0, v11
	v_add_nc_u32_e32 v14, 0x1000000, v11
	s_delay_alu instid0(VALU_DEP_3) | instskip(NEXT) | instid1(VALU_DEP_1)
	v_min_u32_e32 v12, 32, v12
	v_sub_nc_u32_e64 v12, v12, 4 clamp
	s_delay_alu instid0(VALU_DEP_1) | instskip(SKIP_1) | instid1(VALU_DEP_2)
	v_lshlrev_b32_e32 v13, v12, v11
	v_lshlrev_b32_e32 v12, 23, v12
	v_lshrrev_b32_e32 v13, 4, v13
	s_delay_alu instid0(VALU_DEP_1) | instskip(SKIP_1) | instid1(VALU_DEP_2)
	v_sub_nc_u32_e32 v12, v13, v12
	v_ashrrev_i32_e32 v13, 8, v14
	v_add_nc_u32_e32 v12, 0x3c000000, v12
	s_delay_alu instid0(VALU_DEP_1) | instskip(NEXT) | instid1(VALU_DEP_1)
	v_and_or_b32 v12, 0x7f800000, v13, v12
	v_cndmask_b32_e32 v11, 0, v12, vcc_lo
	s_delay_alu instid0(VALU_DEP_1) | instskip(NEXT) | instid1(VALU_DEP_1)
	v_and_or_b32 v7, 0x80000000, v7, v11
	v_cvt_f16_f32_e32 v7, v7
.LBB217_1506:
	s_mov_b32 s3, 0
.LBB217_1507:
	s_delay_alu instid0(SALU_CYCLE_1)
	s_and_not1_b32 vcc_lo, exec_lo, s3
	s_cbranch_vccnz .LBB217_1509
; %bb.1508:
	global_load_u8 v7, v[5:6], off
	s_waitcnt vmcnt(0)
	v_lshlrev_b32_e32 v11, 25, v7
	v_lshlrev_b16 v7, 8, v7
	s_delay_alu instid0(VALU_DEP_2) | instskip(NEXT) | instid1(VALU_DEP_2)
	v_lshrrev_b32_e32 v12, 4, v11
	v_and_or_b32 v13, 0x7f00, v7, 0.5
	v_bfe_i32 v7, v7, 0, 16
	s_delay_alu instid0(VALU_DEP_3) | instskip(NEXT) | instid1(VALU_DEP_1)
	v_or_b32_e32 v12, 0x70000000, v12
	v_dual_add_f32 v13, -0.5, v13 :: v_dual_mul_f32 v12, 0x7800000, v12
	v_cmp_gt_u32_e32 vcc_lo, 0x8000000, v11
	s_delay_alu instid0(VALU_DEP_2) | instskip(NEXT) | instid1(VALU_DEP_1)
	v_cndmask_b32_e32 v11, v12, v13, vcc_lo
	v_and_or_b32 v7, 0x80000000, v7, v11
	s_delay_alu instid0(VALU_DEP_1)
	v_cvt_f16_f32_e32 v7, v7
.LBB217_1509:
	s_mov_b32 s3, 0
	s_mov_b32 s10, -1
.LBB217_1510:
	s_and_not1_b32 vcc_lo, exec_lo, s3
	s_mov_b32 s3, 0
	s_cbranch_vccnz .LBB217_1521
; %bb.1511:
	v_cmp_lt_i16_e32 vcc_lo, 14, v9
	s_cbranch_vccz .LBB217_1514
; %bb.1512:
	v_cmp_eq_u16_e32 vcc_lo, 15, v9
	s_cbranch_vccz .LBB217_1517
; %bb.1513:
	global_load_u16 v7, v[5:6], off
	s_mov_b32 s2, 0
	s_mov_b32 s10, -1
	s_waitcnt vmcnt(0)
	v_lshlrev_b32_e32 v7, 16, v7
	s_delay_alu instid0(VALU_DEP_1)
	v_cvt_f16_f32_e32 v7, v7
	s_branch .LBB217_1519
.LBB217_1514:
	s_mov_b32 s3, -1
	s_branch .LBB217_1518
.LBB217_1515:
	s_or_saveexec_b32 s11, s11
	v_mov_b32_e32 v7, s10
	s_xor_b32 exec_lo, exec_lo, s11
	s_cbranch_execz .LBB217_1496
.LBB217_1516:
	v_cmp_ne_u16_e32 vcc_lo, 0, v11
	v_mov_b32_e32 v7, v11
	s_and_not1_b32 s3, s3, exec_lo
	s_and_b32 s10, vcc_lo, exec_lo
	s_delay_alu instid0(SALU_CYCLE_1)
	s_or_b32 s3, s3, s10
	s_or_b32 exec_lo, exec_lo, s11
	s_and_saveexec_b32 s10, s3
	s_cbranch_execnz .LBB217_1497
	s_branch .LBB217_1498
.LBB217_1517:
	s_mov_b32 s2, -1
.LBB217_1518:
                                        ; implicit-def: $vgpr7
.LBB217_1519:
	s_and_b32 vcc_lo, exec_lo, s3
	s_mov_b32 s3, 0
	s_cbranch_vccz .LBB217_1521
; %bb.1520:
	v_cmp_ne_u16_e64 s2, 11, v9
	s_mov_b32 s3, -1
                                        ; implicit-def: $vgpr7
.LBB217_1521:
	s_delay_alu instid0(VALU_DEP_1)
	s_and_b32 vcc_lo, exec_lo, s2
	s_cbranch_vccnz .LBB217_1537
; %bb.1522:
	s_and_not1_b32 vcc_lo, exec_lo, s3
	s_cbranch_vccnz .LBB217_1524
.LBB217_1523:
	global_load_u8 v7, v[5:6], off
	s_mov_b32 s10, -1
	s_waitcnt vmcnt(0)
	v_cmp_ne_u16_e32 vcc_lo, 0, v7
	v_cndmask_b32_e64 v7, 0, 0x3c00, vcc_lo
.LBB217_1524:
.LBB217_1525:
	s_and_not1_b32 vcc_lo, exec_lo, s10
	s_cbranch_vccnz .LBB217_2090
.LBB217_1526:
	v_cmp_gt_i16_e32 vcc_lo, 11, v9
	v_add_co_u32 v4, s2, s6, v4
	s_delay_alu instid0(VALU_DEP_1)
	v_add_co_ci_u32_e64 v5, null, s7, 0, s2
	s_mov_b32 s6, 0
	s_cbranch_vccnz .LBB217_1533
; %bb.1527:
	v_cmp_lt_i16_e32 vcc_lo, 25, v9
	s_mov_b32 s3, 0
	s_cbranch_vccz .LBB217_1534
; %bb.1528:
	v_cmp_lt_i16_e32 vcc_lo, 28, v9
	s_cbranch_vccz .LBB217_1535
; %bb.1529:
	v_cmp_lt_i16_e32 vcc_lo, 43, v9
	;; [unrolled: 3-line block ×3, first 2 shown]
	s_cbranch_vccz .LBB217_1539
; %bb.1531:
	v_cmp_eq_u16_e32 vcc_lo, 46, v9
	s_mov_b32 s7, 0
	s_cbranch_vccz .LBB217_1542
; %bb.1532:
	global_load_b32 v6, v[4:5], off
	s_mov_b32 s2, 0
	s_mov_b32 s6, -1
	s_waitcnt vmcnt(0)
	v_lshlrev_b32_e32 v6, 16, v6
	s_delay_alu instid0(VALU_DEP_1)
	v_cvt_f16_f32_e32 v11, v6
	s_branch .LBB217_1544
.LBB217_1533:
	s_mov_b32 s2, -1
                                        ; implicit-def: $vgpr11
	s_branch .LBB217_1610
.LBB217_1534:
	s_mov_b32 s7, -1
	s_mov_b32 s2, 0
                                        ; implicit-def: $vgpr11
	s_branch .LBB217_1573
.LBB217_1535:
	s_mov_b32 s7, -1
	s_mov_b32 s2, 0
                                        ; implicit-def: $vgpr11
	s_branch .LBB217_1554
.LBB217_1536:
	s_mov_b32 s7, -1
	s_mov_b32 s2, 0
                                        ; implicit-def: $vgpr11
	s_branch .LBB217_1549
.LBB217_1537:
	s_cbranch_execnz .LBB217_1540
; %bb.1538:
	s_or_b32 s1, s1, exec_lo
                                        ; implicit-def: $vgpr7
	s_cbranch_execz .LBB217_1523
	s_branch .LBB217_1524
.LBB217_1539:
	s_mov_b32 s7, -1
	s_mov_b32 s2, 0
	s_branch .LBB217_1543
.LBB217_1540:
	s_trap 2
	s_sendmsg_rtn_b32 s0, sendmsg(MSG_RTN_GET_DOORBELL)
	s_mov_b32 ttmp2, m0
	s_waitcnt lgkmcnt(0)
	s_and_b32 s0, s0, 0x3ff
	s_delay_alu instid0(SALU_CYCLE_1) | instskip(NEXT) | instid1(SALU_CYCLE_1)
	s_bitset1_b32 s0, 10
	s_mov_b32 m0, s0
	s_sendmsg sendmsg(MSG_INTERRUPT)
	s_mov_b32 m0, ttmp2
.LBB217_1541:                           ; =>This Inner Loop Header: Depth=1
	s_sethalt 5
	s_branch .LBB217_1541
.LBB217_1542:
	s_mov_b32 s2, -1
.LBB217_1543:
                                        ; implicit-def: $vgpr11
.LBB217_1544:
	s_and_b32 vcc_lo, exec_lo, s7
	s_cbranch_vccz .LBB217_1548
; %bb.1545:
	v_cmp_eq_u16_e32 vcc_lo, 44, v9
	s_cbranch_vccz .LBB217_1547
; %bb.1546:
	global_load_u8 v6, v[4:5], off
	s_mov_b32 s2, 0
	s_mov_b32 s6, -1
	s_waitcnt vmcnt(0)
	v_lshlrev_b32_e32 v11, 23, v6
	v_cmp_ne_u32_e32 vcc_lo, 0xff, v6
	s_delay_alu instid0(VALU_DEP_2) | instskip(NEXT) | instid1(VALU_DEP_1)
	v_cvt_f16_f32_e32 v11, v11
	v_cndmask_b32_e32 v11, 0x7e00, v11, vcc_lo
	v_cmp_ne_u32_e32 vcc_lo, 0, v6
	s_delay_alu instid0(VALU_DEP_2)
	v_cndmask_b32_e32 v11, 0, v11, vcc_lo
	s_branch .LBB217_1548
.LBB217_1547:
	s_mov_b32 s2, -1
                                        ; implicit-def: $vgpr11
.LBB217_1548:
	s_mov_b32 s7, 0
.LBB217_1549:
	s_delay_alu instid0(SALU_CYCLE_1)
	s_and_b32 vcc_lo, exec_lo, s7
	s_cbranch_vccz .LBB217_1553
; %bb.1550:
	v_cmp_eq_u16_e32 vcc_lo, 29, v9
	s_cbranch_vccz .LBB217_1552
; %bb.1551:
	global_load_b64 v[11:12], v[4:5], off
	s_mov_b32 s2, 0
	s_mov_b32 s6, -1
	s_mov_b32 s7, 0
	s_waitcnt vmcnt(0)
	v_clz_i32_u32_e32 v6, v12
	s_delay_alu instid0(VALU_DEP_1) | instskip(NEXT) | instid1(VALU_DEP_1)
	v_min_u32_e32 v6, 32, v6
	v_lshlrev_b64 v[11:12], v6, v[11:12]
	v_sub_nc_u32_e32 v6, 32, v6
	s_delay_alu instid0(VALU_DEP_2) | instskip(NEXT) | instid1(VALU_DEP_1)
	v_min_u32_e32 v11, 1, v11
	v_or_b32_e32 v11, v12, v11
	s_delay_alu instid0(VALU_DEP_1) | instskip(NEXT) | instid1(VALU_DEP_1)
	v_cvt_f32_u32_e32 v11, v11
	v_ldexp_f32 v6, v11, v6
	s_delay_alu instid0(VALU_DEP_1)
	v_cvt_f16_f32_e32 v11, v6
	s_branch .LBB217_1554
.LBB217_1552:
	s_mov_b32 s2, -1
                                        ; implicit-def: $vgpr11
.LBB217_1553:
	s_mov_b32 s7, 0
.LBB217_1554:
	s_delay_alu instid0(SALU_CYCLE_1)
	s_and_b32 vcc_lo, exec_lo, s7
	s_cbranch_vccz .LBB217_1572
; %bb.1555:
	v_cmp_gt_i16_e32 vcc_lo, 27, v9
	s_cbranch_vccnz .LBB217_1558
; %bb.1556:
	v_cmp_lt_i16_e32 vcc_lo, 27, v9
	s_cbranch_vccz .LBB217_1559
; %bb.1557:
	global_load_b32 v6, v[4:5], off
	s_mov_b32 s6, 0
	s_waitcnt vmcnt(0)
	v_cvt_f32_u32_e32 v6, v6
	s_delay_alu instid0(VALU_DEP_1)
	v_cvt_f16_f32_e32 v11, v6
	s_branch .LBB217_1560
.LBB217_1558:
	s_mov_b32 s6, -1
                                        ; implicit-def: $vgpr11
	s_branch .LBB217_1563
.LBB217_1559:
	s_mov_b32 s6, -1
                                        ; implicit-def: $vgpr11
.LBB217_1560:
	s_delay_alu instid0(SALU_CYCLE_1)
	s_and_not1_b32 vcc_lo, exec_lo, s6
	s_cbranch_vccnz .LBB217_1562
; %bb.1561:
	global_load_u16 v6, v[4:5], off
	s_waitcnt vmcnt(0)
	v_cvt_f16_u16_e32 v11, v6
.LBB217_1562:
	s_mov_b32 s6, 0
.LBB217_1563:
	s_delay_alu instid0(SALU_CYCLE_1)
	s_and_not1_b32 vcc_lo, exec_lo, s6
	s_cbranch_vccnz .LBB217_1571
; %bb.1564:
	global_load_u8 v6, v[4:5], off
	s_mov_b32 s6, 0
	s_mov_b32 s10, exec_lo
                                        ; implicit-def: $sgpr7
	s_waitcnt vmcnt(0)
	v_cmpx_lt_i16_e32 0x7f, v6
	s_xor_b32 s10, exec_lo, s10
	s_cbranch_execz .LBB217_1585
; %bb.1565:
	s_mov_b32 s6, -1
	s_mov_b32 s11, exec_lo
                                        ; implicit-def: $sgpr7
	v_cmpx_eq_u16_e32 0x80, v6
; %bb.1566:
	s_movk_i32 s7, 0x7e00
	s_xor_b32 s6, exec_lo, -1
; %bb.1567:
	s_or_b32 exec_lo, exec_lo, s11
	s_delay_alu instid0(SALU_CYCLE_1)
	s_and_b32 s6, s6, exec_lo
	s_or_saveexec_b32 s10, s10
	v_mov_b32_e32 v11, s7
	s_xor_b32 exec_lo, exec_lo, s10
	s_cbranch_execnz .LBB217_1586
.LBB217_1568:
	s_or_b32 exec_lo, exec_lo, s10
	s_and_saveexec_b32 s7, s6
	s_cbranch_execz .LBB217_1570
.LBB217_1569:
	v_and_b32_e32 v11, 0xffff, v6
	v_lshlrev_b32_e32 v6, 24, v6
	s_delay_alu instid0(VALU_DEP_2) | instskip(NEXT) | instid1(VALU_DEP_2)
	v_and_b32_e32 v12, 7, v11
	v_and_b32_e32 v6, 0x80000000, v6
	s_delay_alu instid0(VALU_DEP_2) | instskip(NEXT) | instid1(VALU_DEP_1)
	v_clz_i32_u32_e32 v13, v12
	v_min_u32_e32 v13, 32, v13
	s_delay_alu instid0(VALU_DEP_1) | instskip(SKIP_1) | instid1(VALU_DEP_2)
	v_subrev_nc_u32_e32 v14, 28, v13
	v_sub_nc_u32_e32 v13, 29, v13
	v_lshlrev_b32_e32 v14, v14, v11
	v_bfe_u32 v11, v11, 3, 4
	s_delay_alu instid0(VALU_DEP_2) | instskip(NEXT) | instid1(VALU_DEP_2)
	v_and_b32_e32 v14, 7, v14
	v_cmp_eq_u32_e32 vcc_lo, 0, v11
	s_delay_alu instid0(VALU_DEP_2) | instskip(NEXT) | instid1(VALU_DEP_1)
	v_dual_cndmask_b32 v11, v11, v13 :: v_dual_cndmask_b32 v12, v12, v14
	v_lshl_add_u32 v11, v11, 23, 0x3b800000
	s_delay_alu instid0(VALU_DEP_2) | instskip(NEXT) | instid1(VALU_DEP_1)
	v_lshlrev_b32_e32 v12, 20, v12
	v_or3_b32 v6, v6, v11, v12
	s_delay_alu instid0(VALU_DEP_1)
	v_cvt_f16_f32_e32 v11, v6
.LBB217_1570:
	s_or_b32 exec_lo, exec_lo, s7
.LBB217_1571:
	s_mov_b32 s6, -1
.LBB217_1572:
	s_mov_b32 s7, 0
.LBB217_1573:
	s_delay_alu instid0(SALU_CYCLE_1)
	s_and_b32 vcc_lo, exec_lo, s7
	s_cbranch_vccz .LBB217_1606
; %bb.1574:
	v_cmp_lt_i16_e32 vcc_lo, 22, v9
	s_cbranch_vccz .LBB217_1584
; %bb.1575:
	v_cmp_gt_i16_e32 vcc_lo, 24, v9
	s_cbranch_vccnz .LBB217_1587
; %bb.1576:
	v_cmp_lt_i16_e32 vcc_lo, 24, v9
	s_cbranch_vccz .LBB217_1588
; %bb.1577:
	global_load_u8 v6, v[4:5], off
	s_mov_b32 s7, exec_lo
                                        ; implicit-def: $sgpr6
	s_waitcnt vmcnt(0)
	v_cmpx_lt_i16_e32 0x7f, v6
	s_xor_b32 s7, exec_lo, s7
	s_cbranch_execz .LBB217_1600
; %bb.1578:
	s_mov_b32 s3, -1
	s_mov_b32 s10, exec_lo
                                        ; implicit-def: $sgpr6
	v_cmpx_eq_u16_e32 0x80, v6
; %bb.1579:
	s_movk_i32 s6, 0x7e00
	s_xor_b32 s3, exec_lo, -1
; %bb.1580:
	s_or_b32 exec_lo, exec_lo, s10
	s_delay_alu instid0(SALU_CYCLE_1)
	s_and_b32 s3, s3, exec_lo
	s_or_saveexec_b32 s7, s7
	v_mov_b32_e32 v11, s6
	s_xor_b32 exec_lo, exec_lo, s7
	s_cbranch_execnz .LBB217_1601
.LBB217_1581:
	s_or_b32 exec_lo, exec_lo, s7
	s_and_saveexec_b32 s6, s3
	s_cbranch_execz .LBB217_1583
.LBB217_1582:
	v_and_b32_e32 v11, 0xffff, v6
	v_lshlrev_b32_e32 v6, 24, v6
	s_delay_alu instid0(VALU_DEP_2) | instskip(NEXT) | instid1(VALU_DEP_2)
	v_and_b32_e32 v12, 3, v11
	v_and_b32_e32 v6, 0x80000000, v6
	s_delay_alu instid0(VALU_DEP_2) | instskip(NEXT) | instid1(VALU_DEP_1)
	v_clz_i32_u32_e32 v13, v12
	v_min_u32_e32 v13, 32, v13
	s_delay_alu instid0(VALU_DEP_1) | instskip(SKIP_1) | instid1(VALU_DEP_2)
	v_subrev_nc_u32_e32 v14, 29, v13
	v_sub_nc_u32_e32 v13, 30, v13
	v_lshlrev_b32_e32 v14, v14, v11
	v_bfe_u32 v11, v11, 2, 5
	s_delay_alu instid0(VALU_DEP_2) | instskip(NEXT) | instid1(VALU_DEP_2)
	v_and_b32_e32 v14, 3, v14
	v_cmp_eq_u32_e32 vcc_lo, 0, v11
	s_delay_alu instid0(VALU_DEP_2) | instskip(NEXT) | instid1(VALU_DEP_1)
	v_dual_cndmask_b32 v11, v11, v13 :: v_dual_cndmask_b32 v12, v12, v14
	v_lshl_add_u32 v11, v11, 23, 0x37800000
	s_delay_alu instid0(VALU_DEP_2) | instskip(NEXT) | instid1(VALU_DEP_1)
	v_lshlrev_b32_e32 v12, 21, v12
	v_or3_b32 v6, v6, v11, v12
	s_delay_alu instid0(VALU_DEP_1)
	v_cvt_f16_f32_e32 v11, v6
.LBB217_1583:
	s_or_b32 exec_lo, exec_lo, s6
	s_mov_b32 s3, 0
	s_branch .LBB217_1589
.LBB217_1584:
	s_mov_b32 s3, -1
                                        ; implicit-def: $vgpr11
	s_branch .LBB217_1595
.LBB217_1585:
	s_or_saveexec_b32 s10, s10
	v_mov_b32_e32 v11, s7
	s_xor_b32 exec_lo, exec_lo, s10
	s_cbranch_execz .LBB217_1568
.LBB217_1586:
	v_cmp_ne_u16_e32 vcc_lo, 0, v6
	v_mov_b32_e32 v11, v6
	s_and_not1_b32 s6, s6, exec_lo
	s_and_b32 s7, vcc_lo, exec_lo
	s_delay_alu instid0(SALU_CYCLE_1)
	s_or_b32 s6, s6, s7
	s_or_b32 exec_lo, exec_lo, s10
	s_and_saveexec_b32 s7, s6
	s_cbranch_execnz .LBB217_1569
	s_branch .LBB217_1570
.LBB217_1587:
	s_mov_b32 s3, -1
                                        ; implicit-def: $vgpr11
	s_branch .LBB217_1592
.LBB217_1588:
	s_mov_b32 s3, -1
                                        ; implicit-def: $vgpr11
.LBB217_1589:
	s_delay_alu instid0(SALU_CYCLE_1)
	s_and_b32 vcc_lo, exec_lo, s3
	s_cbranch_vccz .LBB217_1591
; %bb.1590:
	global_load_u8 v6, v[4:5], off
	s_waitcnt vmcnt(0)
	v_lshlrev_b32_e32 v6, 24, v6
	s_delay_alu instid0(VALU_DEP_1) | instskip(NEXT) | instid1(VALU_DEP_1)
	v_and_b32_e32 v11, 0x7f000000, v6
	v_clz_i32_u32_e32 v12, v11
	v_add_nc_u32_e32 v14, 0x1000000, v11
	v_cmp_ne_u32_e32 vcc_lo, 0, v11
	s_delay_alu instid0(VALU_DEP_3) | instskip(NEXT) | instid1(VALU_DEP_1)
	v_min_u32_e32 v12, 32, v12
	v_sub_nc_u32_e64 v12, v12, 4 clamp
	s_delay_alu instid0(VALU_DEP_1) | instskip(SKIP_1) | instid1(VALU_DEP_2)
	v_lshlrev_b32_e32 v13, v12, v11
	v_lshlrev_b32_e32 v12, 23, v12
	v_lshrrev_b32_e32 v13, 4, v13
	s_delay_alu instid0(VALU_DEP_1) | instskip(SKIP_1) | instid1(VALU_DEP_2)
	v_sub_nc_u32_e32 v12, v13, v12
	v_ashrrev_i32_e32 v13, 8, v14
	v_add_nc_u32_e32 v12, 0x3c000000, v12
	s_delay_alu instid0(VALU_DEP_1) | instskip(NEXT) | instid1(VALU_DEP_1)
	v_and_or_b32 v12, 0x7f800000, v13, v12
	v_cndmask_b32_e32 v11, 0, v12, vcc_lo
	s_delay_alu instid0(VALU_DEP_1) | instskip(NEXT) | instid1(VALU_DEP_1)
	v_and_or_b32 v6, 0x80000000, v6, v11
	v_cvt_f16_f32_e32 v11, v6
.LBB217_1591:
	s_mov_b32 s3, 0
.LBB217_1592:
	s_delay_alu instid0(SALU_CYCLE_1)
	s_and_not1_b32 vcc_lo, exec_lo, s3
	s_cbranch_vccnz .LBB217_1594
; %bb.1593:
	global_load_u8 v6, v[4:5], off
	s_waitcnt vmcnt(0)
	v_lshlrev_b32_e32 v11, 25, v6
	v_lshlrev_b16 v6, 8, v6
	s_delay_alu instid0(VALU_DEP_2) | instskip(NEXT) | instid1(VALU_DEP_2)
	v_lshrrev_b32_e32 v12, 4, v11
	v_and_or_b32 v13, 0x7f00, v6, 0.5
	v_bfe_i32 v6, v6, 0, 16
	s_delay_alu instid0(VALU_DEP_3) | instskip(NEXT) | instid1(VALU_DEP_1)
	v_or_b32_e32 v12, 0x70000000, v12
	v_dual_add_f32 v13, -0.5, v13 :: v_dual_mul_f32 v12, 0x7800000, v12
	v_cmp_gt_u32_e32 vcc_lo, 0x8000000, v11
	s_delay_alu instid0(VALU_DEP_2) | instskip(NEXT) | instid1(VALU_DEP_1)
	v_cndmask_b32_e32 v11, v12, v13, vcc_lo
	v_and_or_b32 v6, 0x80000000, v6, v11
	s_delay_alu instid0(VALU_DEP_1)
	v_cvt_f16_f32_e32 v11, v6
.LBB217_1594:
	s_mov_b32 s3, 0
	s_mov_b32 s6, -1
.LBB217_1595:
	s_and_not1_b32 vcc_lo, exec_lo, s3
	s_mov_b32 s3, 0
	s_cbranch_vccnz .LBB217_1606
; %bb.1596:
	v_cmp_lt_i16_e32 vcc_lo, 14, v9
	s_cbranch_vccz .LBB217_1599
; %bb.1597:
	v_cmp_eq_u16_e32 vcc_lo, 15, v9
	s_cbranch_vccz .LBB217_1602
; %bb.1598:
	global_load_u16 v6, v[4:5], off
	s_mov_b32 s2, 0
	s_mov_b32 s6, -1
	s_waitcnt vmcnt(0)
	v_lshlrev_b32_e32 v6, 16, v6
	s_delay_alu instid0(VALU_DEP_1)
	v_cvt_f16_f32_e32 v11, v6
	s_branch .LBB217_1604
.LBB217_1599:
	s_mov_b32 s3, -1
	s_branch .LBB217_1603
.LBB217_1600:
	s_or_saveexec_b32 s7, s7
	v_mov_b32_e32 v11, s6
	s_xor_b32 exec_lo, exec_lo, s7
	s_cbranch_execz .LBB217_1581
.LBB217_1601:
	v_cmp_ne_u16_e32 vcc_lo, 0, v6
	v_mov_b32_e32 v11, v6
	s_and_not1_b32 s3, s3, exec_lo
	s_and_b32 s6, vcc_lo, exec_lo
	s_delay_alu instid0(SALU_CYCLE_1)
	s_or_b32 s3, s3, s6
	s_or_b32 exec_lo, exec_lo, s7
	s_and_saveexec_b32 s6, s3
	s_cbranch_execnz .LBB217_1582
	s_branch .LBB217_1583
.LBB217_1602:
	s_mov_b32 s2, -1
.LBB217_1603:
                                        ; implicit-def: $vgpr11
.LBB217_1604:
	s_and_b32 vcc_lo, exec_lo, s3
	s_mov_b32 s3, 0
	s_cbranch_vccz .LBB217_1606
; %bb.1605:
	v_cmp_ne_u16_e64 s2, 11, v9
	s_mov_b32 s3, -1
                                        ; implicit-def: $vgpr11
.LBB217_1606:
	s_delay_alu instid0(VALU_DEP_1)
	s_and_b32 vcc_lo, exec_lo, s2
	s_cbranch_vccnz .LBB217_2135
; %bb.1607:
	s_and_not1_b32 vcc_lo, exec_lo, s3
	s_cbranch_vccnz .LBB217_1609
.LBB217_1608:
	global_load_u8 v6, v[4:5], off
	s_mov_b32 s6, -1
	s_waitcnt vmcnt(0)
	v_cmp_ne_u16_e32 vcc_lo, 0, v6
	v_cndmask_b32_e64 v11, 0, 0x3c00, vcc_lo
.LBB217_1609:
	s_mov_b32 s2, 0
.LBB217_1610:
	s_delay_alu instid0(SALU_CYCLE_1)
	s_and_b32 vcc_lo, exec_lo, s2
	s_cbranch_vccz .LBB217_1659
; %bb.1611:
	v_cmp_gt_i16_e32 vcc_lo, 5, v9
	s_cbranch_vccnz .LBB217_1616
; %bb.1612:
	v_cmp_gt_i16_e32 vcc_lo, 8, v9
	s_cbranch_vccnz .LBB217_1617
	;; [unrolled: 3-line block ×3, first 2 shown]
; %bb.1614:
	v_cmp_lt_i16_e32 vcc_lo, 9, v9
	s_cbranch_vccz .LBB217_1619
; %bb.1615:
	global_load_b64 v[11:12], v[4:5], off
	s_mov_b32 s2, 0
	s_waitcnt vmcnt(0)
	v_cvt_f32_f64_e32 v6, v[11:12]
	s_delay_alu instid0(VALU_DEP_1)
	v_cvt_f16_f32_e32 v11, v6
	s_branch .LBB217_1620
.LBB217_1616:
	s_mov_b32 s2, -1
                                        ; implicit-def: $vgpr11
	s_branch .LBB217_1638
.LBB217_1617:
	s_mov_b32 s2, -1
                                        ; implicit-def: $vgpr11
	s_branch .LBB217_1626
.LBB217_1618:
	s_mov_b32 s2, -1
                                        ; implicit-def: $vgpr11
	s_branch .LBB217_1623
.LBB217_1619:
	s_mov_b32 s2, -1
                                        ; implicit-def: $vgpr11
.LBB217_1620:
	s_delay_alu instid0(SALU_CYCLE_1)
	s_and_not1_b32 vcc_lo, exec_lo, s2
	s_cbranch_vccnz .LBB217_1622
; %bb.1621:
	global_load_b32 v6, v[4:5], off
	s_waitcnt vmcnt(0)
	v_cvt_f16_f32_e32 v11, v6
.LBB217_1622:
	s_mov_b32 s2, 0
.LBB217_1623:
	s_delay_alu instid0(SALU_CYCLE_1)
	s_and_not1_b32 vcc_lo, exec_lo, s2
	s_cbranch_vccnz .LBB217_1625
; %bb.1624:
	global_load_b32 v11, v[4:5], off
.LBB217_1625:
	s_mov_b32 s2, 0
.LBB217_1626:
	s_delay_alu instid0(SALU_CYCLE_1)
	s_and_not1_b32 vcc_lo, exec_lo, s2
	s_cbranch_vccnz .LBB217_1637
; %bb.1627:
	v_cmp_gt_i16_e32 vcc_lo, 6, v9
	s_cbranch_vccnz .LBB217_1630
; %bb.1628:
	v_cmp_lt_i16_e32 vcc_lo, 6, v9
	s_cbranch_vccz .LBB217_1631
; %bb.1629:
	global_load_b64 v[11:12], v[4:5], off
	s_mov_b32 s2, 0
	s_waitcnt vmcnt(0)
	v_cvt_f32_f64_e32 v6, v[11:12]
	s_delay_alu instid0(VALU_DEP_1)
	v_cvt_f16_f32_e32 v11, v6
	s_branch .LBB217_1632
.LBB217_1630:
	s_mov_b32 s2, -1
                                        ; implicit-def: $vgpr11
	s_branch .LBB217_1635
.LBB217_1631:
	s_mov_b32 s2, -1
                                        ; implicit-def: $vgpr11
.LBB217_1632:
	s_delay_alu instid0(SALU_CYCLE_1)
	s_and_not1_b32 vcc_lo, exec_lo, s2
	s_cbranch_vccnz .LBB217_1634
; %bb.1633:
	global_load_b32 v6, v[4:5], off
	s_waitcnt vmcnt(0)
	v_cvt_f16_f32_e32 v11, v6
.LBB217_1634:
	s_mov_b32 s2, 0
.LBB217_1635:
	s_delay_alu instid0(SALU_CYCLE_1)
	s_and_not1_b32 vcc_lo, exec_lo, s2
	s_cbranch_vccnz .LBB217_1637
; %bb.1636:
	global_load_u16 v11, v[4:5], off
.LBB217_1637:
	s_mov_b32 s2, 0
.LBB217_1638:
	s_delay_alu instid0(SALU_CYCLE_1)
	s_and_not1_b32 vcc_lo, exec_lo, s2
	s_cbranch_vccnz .LBB217_1658
; %bb.1639:
	v_cmp_gt_i16_e32 vcc_lo, 2, v9
	s_cbranch_vccnz .LBB217_1643
; %bb.1640:
	v_cmp_gt_i16_e32 vcc_lo, 3, v9
	s_cbranch_vccnz .LBB217_1644
; %bb.1641:
	v_cmp_lt_i16_e32 vcc_lo, 3, v9
	s_cbranch_vccz .LBB217_1645
; %bb.1642:
	global_load_b64 v[11:12], v[4:5], off
	s_mov_b32 s2, 0
	s_waitcnt vmcnt(0)
	v_xor_b32_e32 v6, v11, v12
	v_cls_i32_e32 v13, v12
	s_delay_alu instid0(VALU_DEP_2) | instskip(NEXT) | instid1(VALU_DEP_2)
	v_ashrrev_i32_e32 v6, 31, v6
	v_add_nc_u32_e32 v13, -1, v13
	s_delay_alu instid0(VALU_DEP_2) | instskip(NEXT) | instid1(VALU_DEP_1)
	v_add_nc_u32_e32 v6, 32, v6
	v_min_u32_e32 v6, v13, v6
	s_delay_alu instid0(VALU_DEP_1) | instskip(SKIP_1) | instid1(VALU_DEP_2)
	v_lshlrev_b64 v[11:12], v6, v[11:12]
	v_sub_nc_u32_e32 v6, 32, v6
	v_min_u32_e32 v11, 1, v11
	s_delay_alu instid0(VALU_DEP_1) | instskip(NEXT) | instid1(VALU_DEP_1)
	v_or_b32_e32 v11, v12, v11
	v_cvt_f32_i32_e32 v11, v11
	s_delay_alu instid0(VALU_DEP_1) | instskip(NEXT) | instid1(VALU_DEP_1)
	v_ldexp_f32 v6, v11, v6
	v_cvt_f16_f32_e32 v11, v6
	s_branch .LBB217_1646
.LBB217_1643:
	s_mov_b32 s2, -1
                                        ; implicit-def: $vgpr11
	s_branch .LBB217_1652
.LBB217_1644:
	s_mov_b32 s2, -1
                                        ; implicit-def: $vgpr11
	s_branch .LBB217_1649
.LBB217_1645:
	s_mov_b32 s2, -1
                                        ; implicit-def: $vgpr11
.LBB217_1646:
	s_delay_alu instid0(SALU_CYCLE_1)
	s_and_not1_b32 vcc_lo, exec_lo, s2
	s_cbranch_vccnz .LBB217_1648
; %bb.1647:
	global_load_b32 v6, v[4:5], off
	s_waitcnt vmcnt(0)
	v_cvt_f32_i32_e32 v6, v6
	s_delay_alu instid0(VALU_DEP_1)
	v_cvt_f16_f32_e32 v11, v6
.LBB217_1648:
	s_mov_b32 s2, 0
.LBB217_1649:
	s_delay_alu instid0(SALU_CYCLE_1)
	s_and_not1_b32 vcc_lo, exec_lo, s2
	s_cbranch_vccnz .LBB217_1651
; %bb.1650:
	global_load_u16 v6, v[4:5], off
	s_waitcnt vmcnt(0)
	v_cvt_f16_i16_e32 v11, v6
.LBB217_1651:
	s_mov_b32 s2, 0
.LBB217_1652:
	s_delay_alu instid0(SALU_CYCLE_1)
	s_and_not1_b32 vcc_lo, exec_lo, s2
	s_cbranch_vccnz .LBB217_1658
; %bb.1653:
	v_cmp_lt_i16_e32 vcc_lo, 0, v9
	s_mov_b32 s2, 0
	s_cbranch_vccz .LBB217_1655
; %bb.1654:
	global_load_i8 v6, v[4:5], off
	s_waitcnt vmcnt(0)
	v_cvt_f16_i16_e32 v11, v6
	s_branch .LBB217_1656
.LBB217_1655:
	s_mov_b32 s2, -1
                                        ; implicit-def: $vgpr11
.LBB217_1656:
	s_delay_alu instid0(SALU_CYCLE_1)
	s_and_not1_b32 vcc_lo, exec_lo, s2
	s_cbranch_vccnz .LBB217_1658
; %bb.1657:
	global_load_u8 v4, v[4:5], off
	s_waitcnt vmcnt(0)
	v_cvt_f16_u16_e32 v11, v4
.LBB217_1658:
	s_mov_b32 s6, -1
.LBB217_1659:
	s_delay_alu instid0(SALU_CYCLE_1)
	s_and_not1_b32 vcc_lo, exec_lo, s6
	s_cbranch_vccnz .LBB217_2090
; %bb.1660:
	v_cvt_f32_f16_e32 v4, v10
	s_lshr_b32 s0, s0, 8
	s_mov_b32 s3, 0
	v_and_b32_e64 v6, 0xff, s0
	v_add_co_u32 v3, s0, s4, v3
	v_cvt_f64_f32_e32 v[4:5], v4
	s_delay_alu instid0(VALU_DEP_1) | instskip(SKIP_3) | instid1(VALU_DEP_2)
	v_rsq_f64_e32 v[9:10], v[4:5]
	s_waitcnt_depctr 0xfff
	v_mul_f64 v[4:5], v[9:10], -v[4:5]
	v_cmp_class_f64_e64 vcc_lo, v[9:10], 0x180
	v_fma_f64 v[4:5], v[4:5], v[9:10], 1.0
	s_delay_alu instid0(VALU_DEP_1) | instskip(SKIP_1) | instid1(VALU_DEP_1)
	v_mul_f64 v[12:13], v[9:10], v[4:5]
	v_fma_f64 v[4:5], 0x3fd80000, v[4:5], 0.5
	v_fma_f64 v[4:5], v[12:13], v[4:5], v[9:10]
	s_delay_alu instid0(VALU_DEP_1) | instskip(SKIP_1) | instid1(VALU_DEP_2)
	v_dual_cndmask_b32 v5, v10, v5 :: v_dual_cndmask_b32 v4, v9, v4
	v_cmp_gt_i16_e32 vcc_lo, 11, v6
	v_cvt_f32_f64_e32 v5, v[4:5]
	v_add_co_ci_u32_e64 v4, null, s5, 0, s0
	s_mov_b32 s0, -1
	s_delay_alu instid0(VALU_DEP_2)
	v_cvt_f16_f32_e32 v5, v5
	s_cbranch_vccnz .LBB217_1738
; %bb.1661:
	v_cmp_lt_i16_e32 vcc_lo, 25, v6
	s_mov_b32 s6, -1
	s_mov_b32 s2, 0
	s_mov_b32 s0, 0
	s_cbranch_vccz .LBB217_1694
; %bb.1662:
	v_cmp_lt_i16_e32 vcc_lo, 28, v6
	s_cbranch_vccz .LBB217_1677
; %bb.1663:
	v_cmp_lt_i16_e32 vcc_lo, 43, v6
	;; [unrolled: 3-line block ×3, first 2 shown]
	s_cbranch_vccz .LBB217_1667
; %bb.1665:
	v_cmp_eq_u16_e32 vcc_lo, 46, v6
	s_mov_b32 s0, -1
	s_mov_b32 s6, 0
	s_cbranch_vccz .LBB217_1667
; %bb.1666:
	v_cvt_f32_f16_e32 v9, v5
	v_cmp_o_f16_e32 vcc_lo, v5, v5
	s_mov_b32 s0, 0
	s_mov_b32 s3, -1
	s_delay_alu instid0(VALU_DEP_2) | instskip(NEXT) | instid1(VALU_DEP_1)
	v_bfe_u32 v10, v9, 16, 1
	v_add3_u32 v9, v9, v10, 0x7fff
	s_delay_alu instid0(VALU_DEP_1) | instskip(NEXT) | instid1(VALU_DEP_1)
	v_lshrrev_b32_e32 v9, 16, v9
	v_cndmask_b32_e32 v9, 0x7fc0, v9, vcc_lo
	global_store_b32 v[3:4], v9, off
.LBB217_1667:
	s_and_b32 vcc_lo, exec_lo, s6
	s_cbranch_vccz .LBB217_1672
; %bb.1668:
	v_cmp_eq_u16_e32 vcc_lo, 44, v6
	s_mov_b32 s0, -1
	s_cbranch_vccz .LBB217_1672
; %bb.1669:
	v_cvt_f32_f16_e32 v9, v5
	v_mov_b32_e32 v10, 0xff
	s_mov_b32 s3, exec_lo
	s_delay_alu instid0(VALU_DEP_2) | instskip(NEXT) | instid1(VALU_DEP_1)
	v_bfe_u32 v12, v9, 23, 8
	v_cmpx_ne_u32_e32 0xff, v12
; %bb.1670:
	v_and_b32_e32 v10, 0x400000, v9
	v_and_or_b32 v12, 0x3fffff, v9, v12
	v_lshrrev_b32_e32 v9, 23, v9
	s_delay_alu instid0(VALU_DEP_3) | instskip(NEXT) | instid1(VALU_DEP_3)
	v_cmp_ne_u32_e32 vcc_lo, 0, v10
	v_cmp_ne_u32_e64 s0, 0, v12
	s_delay_alu instid0(VALU_DEP_1) | instskip(NEXT) | instid1(SALU_CYCLE_1)
	s_and_b32 s0, vcc_lo, s0
	v_cndmask_b32_e64 v10, 0, 1, s0
	s_delay_alu instid0(VALU_DEP_1)
	v_add_nc_u32_e32 v10, v9, v10
; %bb.1671:
	s_or_b32 exec_lo, exec_lo, s3
	s_mov_b32 s0, 0
	s_mov_b32 s3, -1
	global_store_b8 v[3:4], v10, off
.LBB217_1672:
	s_mov_b32 s6, 0
.LBB217_1673:
	s_delay_alu instid0(SALU_CYCLE_1)
	s_and_b32 vcc_lo, exec_lo, s6
	s_cbranch_vccz .LBB217_1676
; %bb.1674:
	v_cmp_eq_u16_e32 vcc_lo, 29, v6
	s_mov_b32 s0, -1
	s_cbranch_vccz .LBB217_1676
; %bb.1675:
	v_cvt_f32_f16_e32 v9, v5
	v_mov_b32_e32 v10, 0
	s_mov_b32 s0, 0
	s_mov_b32 s3, -1
	s_delay_alu instid0(VALU_DEP_2)
	v_cvt_u32_f32_e32 v9, v9
	global_store_b64 v[3:4], v[9:10], off
.LBB217_1676:
	s_mov_b32 s6, 0
.LBB217_1677:
	s_delay_alu instid0(SALU_CYCLE_1)
	s_and_b32 vcc_lo, exec_lo, s6
	s_cbranch_vccz .LBB217_1693
; %bb.1678:
	v_cmp_gt_i16_e32 vcc_lo, 27, v6
	s_mov_b32 s3, -1
	s_cbranch_vccnz .LBB217_1684
; %bb.1679:
	v_cmp_lt_i16_e32 vcc_lo, 27, v6
	s_cbranch_vccz .LBB217_1681
; %bb.1680:
	v_cvt_f32_f16_e32 v9, v5
	s_mov_b32 s3, 0
	s_delay_alu instid0(VALU_DEP_1)
	v_cvt_u32_f32_e32 v9, v9
	global_store_b32 v[3:4], v9, off
.LBB217_1681:
	s_and_not1_b32 vcc_lo, exec_lo, s3
	s_cbranch_vccnz .LBB217_1683
; %bb.1682:
	v_cvt_u16_f16_e32 v9, v5
	global_store_b16 v[3:4], v9, off
.LBB217_1683:
	s_mov_b32 s3, 0
.LBB217_1684:
	s_delay_alu instid0(SALU_CYCLE_1)
	s_and_not1_b32 vcc_lo, exec_lo, s3
	s_cbranch_vccnz .LBB217_1692
; %bb.1685:
	v_cvt_f32_f16_e32 v9, v5
	v_mov_b32_e32 v12, 0x80
	s_mov_b32 s3, exec_lo
	s_delay_alu instid0(VALU_DEP_2) | instskip(NEXT) | instid1(VALU_DEP_1)
	v_and_b32_e32 v10, 0x7fffffff, v9
	v_cmpx_gt_u32_e32 0x43800000, v10
	s_cbranch_execz .LBB217_1691
; %bb.1686:
	v_cmp_lt_u32_e32 vcc_lo, 0x3bffffff, v10
	s_mov_b32 s6, 0
                                        ; implicit-def: $vgpr10
	s_and_saveexec_b32 s7, vcc_lo
	s_delay_alu instid0(SALU_CYCLE_1)
	s_xor_b32 s7, exec_lo, s7
	s_cbranch_execz .LBB217_2137
; %bb.1687:
	v_bfe_u32 v10, v9, 20, 1
	s_mov_b32 s6, exec_lo
	s_delay_alu instid0(VALU_DEP_1) | instskip(NEXT) | instid1(VALU_DEP_1)
	v_add3_u32 v10, v9, v10, 0x487ffff
	v_lshrrev_b32_e32 v10, 20, v10
	s_or_saveexec_b32 s7, s7
                                        ; implicit-def: $sgpr10
	s_delay_alu instid0(SALU_CYCLE_1)
	s_xor_b32 exec_lo, exec_lo, s7
	s_cbranch_execnz .LBB217_2138
.LBB217_1688:
	s_or_b32 exec_lo, exec_lo, s7
	v_mov_b32_e32 v12, s10
	s_and_saveexec_b32 s7, s6
.LBB217_1689:
	v_lshrrev_b32_e32 v9, 24, v9
	s_delay_alu instid0(VALU_DEP_1)
	v_and_or_b32 v12, 0x80, v9, v10
.LBB217_1690:
	s_or_b32 exec_lo, exec_lo, s7
.LBB217_1691:
	s_delay_alu instid0(SALU_CYCLE_1)
	s_or_b32 exec_lo, exec_lo, s3
	global_store_b8 v[3:4], v12, off
.LBB217_1692:
	s_mov_b32 s3, -1
.LBB217_1693:
	s_mov_b32 s6, 0
.LBB217_1694:
	s_delay_alu instid0(SALU_CYCLE_1)
	s_and_b32 vcc_lo, exec_lo, s6
	s_cbranch_vccz .LBB217_1734
; %bb.1695:
	v_cmp_lt_i16_e32 vcc_lo, 22, v6
	s_mov_b32 s2, -1
	s_cbranch_vccz .LBB217_1727
; %bb.1696:
	v_cmp_gt_i16_e32 vcc_lo, 24, v6
	s_cbranch_vccnz .LBB217_1716
; %bb.1697:
	v_cmp_lt_i16_e32 vcc_lo, 24, v6
	s_cbranch_vccz .LBB217_1705
; %bb.1698:
	v_cvt_f32_f16_e32 v9, v5
	v_mov_b32_e32 v12, 0x80
	s_mov_b32 s2, exec_lo
	s_delay_alu instid0(VALU_DEP_2) | instskip(NEXT) | instid1(VALU_DEP_1)
	v_and_b32_e32 v10, 0x7fffffff, v9
	v_cmpx_gt_u32_e32 0x47800000, v10
	s_cbranch_execz .LBB217_1704
; %bb.1699:
	v_cmp_lt_u32_e32 vcc_lo, 0x37ffffff, v10
	s_mov_b32 s3, 0
                                        ; implicit-def: $vgpr10
	s_and_saveexec_b32 s6, vcc_lo
	s_delay_alu instid0(SALU_CYCLE_1)
	s_xor_b32 s6, exec_lo, s6
	s_cbranch_execz .LBB217_2143
; %bb.1700:
	v_bfe_u32 v10, v9, 21, 1
	s_mov_b32 s3, exec_lo
	s_delay_alu instid0(VALU_DEP_1) | instskip(NEXT) | instid1(VALU_DEP_1)
	v_add3_u32 v10, v9, v10, 0x88fffff
	v_lshrrev_b32_e32 v10, 21, v10
	s_or_saveexec_b32 s6, s6
                                        ; implicit-def: $sgpr7
	s_delay_alu instid0(SALU_CYCLE_1)
	s_xor_b32 exec_lo, exec_lo, s6
	s_cbranch_execnz .LBB217_2144
.LBB217_1701:
	s_or_b32 exec_lo, exec_lo, s6
	v_mov_b32_e32 v12, s7
	s_and_saveexec_b32 s6, s3
.LBB217_1702:
	v_lshrrev_b32_e32 v9, 24, v9
	s_delay_alu instid0(VALU_DEP_1)
	v_and_or_b32 v12, 0x80, v9, v10
.LBB217_1703:
	s_or_b32 exec_lo, exec_lo, s6
.LBB217_1704:
	s_delay_alu instid0(SALU_CYCLE_1)
	s_or_b32 exec_lo, exec_lo, s2
	s_mov_b32 s2, 0
	global_store_b8 v[3:4], v12, off
.LBB217_1705:
	s_and_b32 vcc_lo, exec_lo, s2
	s_cbranch_vccz .LBB217_1715
; %bb.1706:
	v_cvt_f32_f16_e32 v9, v5
	s_mov_b32 s2, exec_lo
                                        ; implicit-def: $vgpr10
	s_delay_alu instid0(VALU_DEP_1) | instskip(NEXT) | instid1(VALU_DEP_1)
	v_and_b32_e32 v12, 0x7fffffff, v9
	v_cmpx_gt_u32_e32 0x43f00000, v12
	s_xor_b32 s2, exec_lo, s2
	s_cbranch_execz .LBB217_1712
; %bb.1707:
	s_mov_b32 s3, exec_lo
                                        ; implicit-def: $vgpr10
	v_cmpx_lt_u32_e32 0x3c7fffff, v12
	s_xor_b32 s3, exec_lo, s3
; %bb.1708:
	v_bfe_u32 v10, v9, 20, 1
	s_delay_alu instid0(VALU_DEP_1) | instskip(NEXT) | instid1(VALU_DEP_1)
	v_add3_u32 v10, v9, v10, 0x407ffff
	v_and_b32_e32 v12, 0xff00000, v10
	v_lshrrev_b32_e32 v10, 20, v10
	s_delay_alu instid0(VALU_DEP_2) | instskip(NEXT) | instid1(VALU_DEP_2)
	v_cmp_ne_u32_e32 vcc_lo, 0x7f00000, v12
	v_cndmask_b32_e32 v10, 0x7e, v10, vcc_lo
; %bb.1709:
	s_and_not1_saveexec_b32 s3, s3
; %bb.1710:
	v_add_f32_e64 v10, 0x46800000, |v9|
; %bb.1711:
	s_or_b32 exec_lo, exec_lo, s3
                                        ; implicit-def: $vgpr12
.LBB217_1712:
	s_and_not1_saveexec_b32 s2, s2
; %bb.1713:
	v_mov_b32_e32 v10, 0x7f
	v_cmp_lt_u32_e32 vcc_lo, 0x7f800000, v12
	s_delay_alu instid0(VALU_DEP_2)
	v_cndmask_b32_e32 v10, 0x7e, v10, vcc_lo
; %bb.1714:
	s_or_b32 exec_lo, exec_lo, s2
	v_lshrrev_b32_e32 v9, 24, v9
	s_delay_alu instid0(VALU_DEP_1)
	v_and_or_b32 v9, 0x80, v9, v10
	global_store_b8 v[3:4], v9, off
.LBB217_1715:
	s_mov_b32 s2, 0
.LBB217_1716:
	s_delay_alu instid0(SALU_CYCLE_1)
	s_and_not1_b32 vcc_lo, exec_lo, s2
	s_cbranch_vccnz .LBB217_1726
; %bb.1717:
	v_cvt_f32_f16_e32 v9, v5
	s_mov_b32 s2, exec_lo
                                        ; implicit-def: $vgpr10
	s_delay_alu instid0(VALU_DEP_1) | instskip(NEXT) | instid1(VALU_DEP_1)
	v_and_b32_e32 v12, 0x7fffffff, v9
	v_cmpx_gt_u32_e32 0x47800000, v12
	s_xor_b32 s2, exec_lo, s2
	s_cbranch_execz .LBB217_1723
; %bb.1718:
	s_mov_b32 s3, exec_lo
                                        ; implicit-def: $vgpr10
	v_cmpx_lt_u32_e32 0x387fffff, v12
	s_xor_b32 s3, exec_lo, s3
; %bb.1719:
	v_bfe_u32 v10, v9, 21, 1
	s_delay_alu instid0(VALU_DEP_1) | instskip(NEXT) | instid1(VALU_DEP_1)
	v_add3_u32 v10, v9, v10, 0x80fffff
	v_lshrrev_b32_e32 v10, 21, v10
; %bb.1720:
	s_and_not1_saveexec_b32 s3, s3
; %bb.1721:
	v_add_f32_e64 v10, 0x43000000, |v9|
; %bb.1722:
	s_or_b32 exec_lo, exec_lo, s3
                                        ; implicit-def: $vgpr12
.LBB217_1723:
	s_and_not1_saveexec_b32 s2, s2
; %bb.1724:
	v_mov_b32_e32 v10, 0x7f
	v_cmp_lt_u32_e32 vcc_lo, 0x7f800000, v12
	s_delay_alu instid0(VALU_DEP_2)
	v_cndmask_b32_e32 v10, 0x7c, v10, vcc_lo
; %bb.1725:
	s_or_b32 exec_lo, exec_lo, s2
	v_lshrrev_b32_e32 v9, 24, v9
	s_delay_alu instid0(VALU_DEP_1)
	v_and_or_b32 v9, 0x80, v9, v10
	global_store_b8 v[3:4], v9, off
.LBB217_1726:
	s_mov_b32 s2, 0
	s_mov_b32 s3, -1
.LBB217_1727:
	s_and_not1_b32 vcc_lo, exec_lo, s2
	s_mov_b32 s2, 0
	s_cbranch_vccnz .LBB217_1734
; %bb.1728:
	v_cmp_lt_i16_e32 vcc_lo, 14, v6
	s_mov_b32 s2, -1
	s_cbranch_vccz .LBB217_1732
; %bb.1729:
	v_cmp_eq_u16_e32 vcc_lo, 15, v6
	s_mov_b32 s0, -1
	s_cbranch_vccz .LBB217_1731
; %bb.1730:
	v_cvt_f32_f16_e32 v9, v5
	v_cmp_o_f16_e32 vcc_lo, v5, v5
	s_mov_b32 s0, 0
	s_mov_b32 s3, -1
	s_delay_alu instid0(VALU_DEP_2) | instskip(NEXT) | instid1(VALU_DEP_1)
	v_bfe_u32 v10, v9, 16, 1
	v_add3_u32 v9, v9, v10, 0x7fff
	s_delay_alu instid0(VALU_DEP_1) | instskip(NEXT) | instid1(VALU_DEP_1)
	v_lshrrev_b32_e32 v9, 16, v9
	v_cndmask_b32_e32 v9, 0x7fc0, v9, vcc_lo
	global_store_b16 v[3:4], v9, off
.LBB217_1731:
	s_mov_b32 s2, 0
.LBB217_1732:
	s_delay_alu instid0(SALU_CYCLE_1)
	s_and_b32 vcc_lo, exec_lo, s2
	s_mov_b32 s2, 0
	s_cbranch_vccz .LBB217_1734
; %bb.1733:
	v_cmp_ne_u16_e64 s0, 11, v6
	s_mov_b32 s2, -1
.LBB217_1734:
	s_delay_alu instid0(VALU_DEP_1)
	s_and_b32 vcc_lo, exec_lo, s0
	s_cbranch_vccnz .LBB217_2141
; %bb.1735:
	s_and_not1_b32 vcc_lo, exec_lo, s2
	s_cbranch_vccnz .LBB217_1737
.LBB217_1736:
	v_cmp_neq_f16_e32 vcc_lo, 0, v5
	s_mov_b32 s3, -1
	v_cndmask_b32_e64 v9, 0, 1, vcc_lo
	global_store_b8 v[3:4], v9, off
.LBB217_1737:
	s_mov_b32 s0, 0
.LBB217_1738:
	s_delay_alu instid0(SALU_CYCLE_1)
	s_and_b32 vcc_lo, exec_lo, s0
	s_cbranch_vccz .LBB217_1777
; %bb.1739:
	v_cmp_gt_i16_e32 vcc_lo, 5, v6
	s_mov_b32 s0, -1
	s_cbranch_vccnz .LBB217_1760
; %bb.1740:
	v_cmp_gt_i16_e32 vcc_lo, 8, v6
	s_cbranch_vccnz .LBB217_1750
; %bb.1741:
	v_cmp_gt_i16_e32 vcc_lo, 9, v6
	s_cbranch_vccnz .LBB217_1747
; %bb.1742:
	v_cmp_lt_i16_e32 vcc_lo, 9, v6
	s_cbranch_vccz .LBB217_1744
; %bb.1743:
	v_cvt_f32_f16_e32 v9, v5
	v_mov_b32_e32 v14, 0
	s_mov_b32 s0, 0
	s_delay_alu instid0(VALU_DEP_2) | instskip(NEXT) | instid1(VALU_DEP_2)
	v_cvt_f64_f32_e32 v[12:13], v9
	v_mov_b32_e32 v15, v14
	global_store_b128 v[3:4], v[12:15], off
.LBB217_1744:
	s_and_not1_b32 vcc_lo, exec_lo, s0
	s_cbranch_vccnz .LBB217_1746
; %bb.1745:
	v_cvt_f32_f16_e32 v9, v5
	v_mov_b32_e32 v10, 0
	global_store_b64 v[3:4], v[9:10], off
.LBB217_1746:
	s_mov_b32 s0, 0
.LBB217_1747:
	s_delay_alu instid0(SALU_CYCLE_1)
	s_and_not1_b32 vcc_lo, exec_lo, s0
	s_cbranch_vccnz .LBB217_1749
; %bb.1748:
	v_and_b32_e32 v9, 0xffff, v5
	global_store_b32 v[3:4], v9, off
.LBB217_1749:
	s_mov_b32 s0, 0
.LBB217_1750:
	s_delay_alu instid0(SALU_CYCLE_1)
	s_and_not1_b32 vcc_lo, exec_lo, s0
	s_cbranch_vccnz .LBB217_1759
; %bb.1751:
	v_cmp_gt_i16_e32 vcc_lo, 6, v6
	s_mov_b32 s0, -1
	s_cbranch_vccnz .LBB217_1757
; %bb.1752:
	v_cmp_lt_i16_e32 vcc_lo, 6, v6
	s_cbranch_vccz .LBB217_1754
; %bb.1753:
	v_cvt_f32_f16_e32 v9, v5
	s_mov_b32 s0, 0
	s_delay_alu instid0(VALU_DEP_1)
	v_cvt_f64_f32_e32 v[9:10], v9
	global_store_b64 v[3:4], v[9:10], off
.LBB217_1754:
	s_and_not1_b32 vcc_lo, exec_lo, s0
	s_cbranch_vccnz .LBB217_1756
; %bb.1755:
	v_cvt_f32_f16_e32 v9, v5
	global_store_b32 v[3:4], v9, off
.LBB217_1756:
	s_mov_b32 s0, 0
.LBB217_1757:
	s_delay_alu instid0(SALU_CYCLE_1)
	s_and_not1_b32 vcc_lo, exec_lo, s0
	s_cbranch_vccnz .LBB217_1759
; %bb.1758:
	global_store_b16 v[3:4], v5, off
.LBB217_1759:
	s_mov_b32 s0, 0
.LBB217_1760:
	s_delay_alu instid0(SALU_CYCLE_1)
	s_and_not1_b32 vcc_lo, exec_lo, s0
	s_cbranch_vccnz .LBB217_1776
; %bb.1761:
	v_cmp_gt_i16_e32 vcc_lo, 2, v6
	s_mov_b32 s0, -1
	s_cbranch_vccnz .LBB217_1771
; %bb.1762:
	v_cmp_gt_i16_e32 vcc_lo, 3, v6
	s_cbranch_vccnz .LBB217_1768
; %bb.1763:
	v_cmp_lt_i16_e32 vcc_lo, 3, v6
	s_cbranch_vccz .LBB217_1765
; %bb.1764:
	v_cvt_f32_f16_e32 v9, v5
	s_mov_b32 s0, 0
	s_delay_alu instid0(VALU_DEP_1) | instskip(NEXT) | instid1(VALU_DEP_1)
	v_cvt_i32_f32_e32 v9, v9
	v_ashrrev_i32_e32 v10, 31, v9
	global_store_b64 v[3:4], v[9:10], off
.LBB217_1765:
	s_and_not1_b32 vcc_lo, exec_lo, s0
	s_cbranch_vccnz .LBB217_1767
; %bb.1766:
	v_cvt_f32_f16_e32 v9, v5
	s_delay_alu instid0(VALU_DEP_1)
	v_cvt_i32_f32_e32 v9, v9
	global_store_b32 v[3:4], v9, off
.LBB217_1767:
	s_mov_b32 s0, 0
.LBB217_1768:
	s_delay_alu instid0(SALU_CYCLE_1)
	s_and_not1_b32 vcc_lo, exec_lo, s0
	s_cbranch_vccnz .LBB217_1770
; %bb.1769:
	v_cvt_i16_f16_e32 v9, v5
	global_store_b16 v[3:4], v9, off
.LBB217_1770:
	s_mov_b32 s0, 0
.LBB217_1771:
	s_delay_alu instid0(SALU_CYCLE_1)
	s_and_not1_b32 vcc_lo, exec_lo, s0
	s_cbranch_vccnz .LBB217_1776
; %bb.1772:
	v_cmp_lt_i16_e32 vcc_lo, 0, v6
	s_mov_b32 s0, -1
	s_cbranch_vccz .LBB217_1774
; %bb.1773:
	v_cvt_i16_f16_e32 v9, v5
	s_mov_b32 s0, 0
	global_store_b8 v[3:4], v9, off
.LBB217_1774:
	s_and_not1_b32 vcc_lo, exec_lo, s0
	s_cbranch_vccnz .LBB217_1776
; %bb.1775:
	v_cvt_f32_f16_e32 v5, v5
	s_delay_alu instid0(VALU_DEP_1)
	v_cvt_i32_f32_e32 v5, v5
	global_store_b8 v[3:4], v5, off
.LBB217_1776:
	s_mov_b32 s3, -1
.LBB217_1777:
	s_delay_alu instid0(SALU_CYCLE_1)
	s_and_not1_b32 vcc_lo, exec_lo, s3
	s_cbranch_vccnz .LBB217_2090
; %bb.1778:
	s_waitcnt vmcnt(0)
	v_cvt_f32_f16_e32 v3, v8
	v_add_co_u32 v2, s0, s4, v2
	s_mov_b32 s3, 0
	s_delay_alu instid0(VALU_DEP_2) | instskip(NEXT) | instid1(VALU_DEP_1)
	v_cvt_f64_f32_e32 v[3:4], v3
	v_rsq_f64_e32 v[8:9], v[3:4]
	s_waitcnt_depctr 0xfff
	v_mul_f64 v[3:4], v[8:9], -v[3:4]
	v_cmp_class_f64_e64 vcc_lo, v[8:9], 0x180
	s_delay_alu instid0(VALU_DEP_2) | instskip(NEXT) | instid1(VALU_DEP_1)
	v_fma_f64 v[3:4], v[3:4], v[8:9], 1.0
	v_mul_f64 v[12:13], v[8:9], v[3:4]
	v_fma_f64 v[3:4], 0x3fd80000, v[3:4], 0.5
	s_delay_alu instid0(VALU_DEP_1) | instskip(NEXT) | instid1(VALU_DEP_1)
	v_fma_f64 v[3:4], v[12:13], v[3:4], v[8:9]
	v_dual_cndmask_b32 v4, v9, v4 :: v_dual_cndmask_b32 v3, v8, v3
	v_cmp_gt_i16_e32 vcc_lo, 11, v6
	s_delay_alu instid0(VALU_DEP_2) | instskip(SKIP_2) | instid1(VALU_DEP_2)
	v_cvt_f32_f64_e32 v4, v[3:4]
	v_add_co_ci_u32_e64 v3, null, s5, 0, s0
	s_mov_b32 s0, -1
	v_cvt_f16_f32_e32 v4, v4
	s_cbranch_vccnz .LBB217_1856
; %bb.1779:
	v_cmp_lt_i16_e32 vcc_lo, 25, v6
	s_mov_b32 s6, -1
	s_mov_b32 s2, 0
	s_mov_b32 s0, 0
	s_cbranch_vccz .LBB217_1812
; %bb.1780:
	v_cmp_lt_i16_e32 vcc_lo, 28, v6
	s_cbranch_vccz .LBB217_1795
; %bb.1781:
	v_cmp_lt_i16_e32 vcc_lo, 43, v6
	;; [unrolled: 3-line block ×3, first 2 shown]
	s_cbranch_vccz .LBB217_1785
; %bb.1783:
	v_cmp_eq_u16_e32 vcc_lo, 46, v6
	s_mov_b32 s0, -1
	s_mov_b32 s6, 0
	s_cbranch_vccz .LBB217_1785
; %bb.1784:
	v_cvt_f32_f16_e32 v5, v4
	v_cmp_o_f16_e32 vcc_lo, v4, v4
	s_mov_b32 s0, 0
	s_mov_b32 s3, -1
	s_delay_alu instid0(VALU_DEP_2) | instskip(NEXT) | instid1(VALU_DEP_1)
	v_bfe_u32 v8, v5, 16, 1
	v_add3_u32 v5, v5, v8, 0x7fff
	s_delay_alu instid0(VALU_DEP_1) | instskip(NEXT) | instid1(VALU_DEP_1)
	v_lshrrev_b32_e32 v5, 16, v5
	v_cndmask_b32_e32 v5, 0x7fc0, v5, vcc_lo
	global_store_b32 v[2:3], v5, off
.LBB217_1785:
	s_and_b32 vcc_lo, exec_lo, s6
	s_cbranch_vccz .LBB217_1790
; %bb.1786:
	v_cmp_eq_u16_e32 vcc_lo, 44, v6
	s_mov_b32 s0, -1
	s_cbranch_vccz .LBB217_1790
; %bb.1787:
	v_cvt_f32_f16_e32 v5, v4
	v_mov_b32_e32 v8, 0xff
	s_mov_b32 s3, exec_lo
	s_delay_alu instid0(VALU_DEP_2) | instskip(NEXT) | instid1(VALU_DEP_1)
	v_bfe_u32 v9, v5, 23, 8
	v_cmpx_ne_u32_e32 0xff, v9
; %bb.1788:
	v_and_b32_e32 v8, 0x400000, v5
	v_and_or_b32 v9, 0x3fffff, v5, v9
	v_lshrrev_b32_e32 v5, 23, v5
	s_delay_alu instid0(VALU_DEP_3) | instskip(NEXT) | instid1(VALU_DEP_3)
	v_cmp_ne_u32_e32 vcc_lo, 0, v8
	v_cmp_ne_u32_e64 s0, 0, v9
	s_delay_alu instid0(VALU_DEP_1) | instskip(NEXT) | instid1(SALU_CYCLE_1)
	s_and_b32 s0, vcc_lo, s0
	v_cndmask_b32_e64 v8, 0, 1, s0
	s_delay_alu instid0(VALU_DEP_1)
	v_add_nc_u32_e32 v8, v5, v8
; %bb.1789:
	s_or_b32 exec_lo, exec_lo, s3
	s_mov_b32 s0, 0
	s_mov_b32 s3, -1
	global_store_b8 v[2:3], v8, off
.LBB217_1790:
	s_mov_b32 s6, 0
.LBB217_1791:
	s_delay_alu instid0(SALU_CYCLE_1)
	s_and_b32 vcc_lo, exec_lo, s6
	s_cbranch_vccz .LBB217_1794
; %bb.1792:
	v_cmp_eq_u16_e32 vcc_lo, 29, v6
	s_mov_b32 s0, -1
	s_cbranch_vccz .LBB217_1794
; %bb.1793:
	v_cvt_f32_f16_e32 v5, v4
	v_mov_b32_e32 v9, 0
	s_mov_b32 s0, 0
	s_mov_b32 s3, -1
	s_delay_alu instid0(VALU_DEP_2)
	v_cvt_u32_f32_e32 v8, v5
	global_store_b64 v[2:3], v[8:9], off
.LBB217_1794:
	s_mov_b32 s6, 0
.LBB217_1795:
	s_delay_alu instid0(SALU_CYCLE_1)
	s_and_b32 vcc_lo, exec_lo, s6
	s_cbranch_vccz .LBB217_1811
; %bb.1796:
	v_cmp_gt_i16_e32 vcc_lo, 27, v6
	s_mov_b32 s3, -1
	s_cbranch_vccnz .LBB217_1802
; %bb.1797:
	v_cmp_lt_i16_e32 vcc_lo, 27, v6
	s_cbranch_vccz .LBB217_1799
; %bb.1798:
	v_cvt_f32_f16_e32 v5, v4
	s_mov_b32 s3, 0
	s_delay_alu instid0(VALU_DEP_1)
	v_cvt_u32_f32_e32 v5, v5
	global_store_b32 v[2:3], v5, off
.LBB217_1799:
	s_and_not1_b32 vcc_lo, exec_lo, s3
	s_cbranch_vccnz .LBB217_1801
; %bb.1800:
	v_cvt_u16_f16_e32 v5, v4
	global_store_b16 v[2:3], v5, off
.LBB217_1801:
	s_mov_b32 s3, 0
.LBB217_1802:
	s_delay_alu instid0(SALU_CYCLE_1)
	s_and_not1_b32 vcc_lo, exec_lo, s3
	s_cbranch_vccnz .LBB217_1810
; %bb.1803:
	v_cvt_f32_f16_e32 v5, v4
	v_mov_b32_e32 v9, 0x80
	s_mov_b32 s3, exec_lo
	s_delay_alu instid0(VALU_DEP_2) | instskip(NEXT) | instid1(VALU_DEP_1)
	v_and_b32_e32 v8, 0x7fffffff, v5
	v_cmpx_gt_u32_e32 0x43800000, v8
	s_cbranch_execz .LBB217_1809
; %bb.1804:
	v_cmp_lt_u32_e32 vcc_lo, 0x3bffffff, v8
	s_mov_b32 s6, 0
                                        ; implicit-def: $vgpr8
	s_and_saveexec_b32 s7, vcc_lo
	s_delay_alu instid0(SALU_CYCLE_1)
	s_xor_b32 s7, exec_lo, s7
	s_cbranch_execz .LBB217_2145
; %bb.1805:
	v_bfe_u32 v8, v5, 20, 1
	s_mov_b32 s6, exec_lo
	s_delay_alu instid0(VALU_DEP_1) | instskip(NEXT) | instid1(VALU_DEP_1)
	v_add3_u32 v8, v5, v8, 0x487ffff
	v_lshrrev_b32_e32 v8, 20, v8
	s_or_saveexec_b32 s7, s7
                                        ; implicit-def: $sgpr10
	s_delay_alu instid0(SALU_CYCLE_1)
	s_xor_b32 exec_lo, exec_lo, s7
	s_cbranch_execnz .LBB217_2146
.LBB217_1806:
	s_or_b32 exec_lo, exec_lo, s7
	v_mov_b32_e32 v9, s10
	s_and_saveexec_b32 s7, s6
.LBB217_1807:
	v_lshrrev_b32_e32 v5, 24, v5
	s_delay_alu instid0(VALU_DEP_1)
	v_and_or_b32 v9, 0x80, v5, v8
.LBB217_1808:
	s_or_b32 exec_lo, exec_lo, s7
.LBB217_1809:
	s_delay_alu instid0(SALU_CYCLE_1)
	s_or_b32 exec_lo, exec_lo, s3
	global_store_b8 v[2:3], v9, off
.LBB217_1810:
	s_mov_b32 s3, -1
.LBB217_1811:
	s_mov_b32 s6, 0
.LBB217_1812:
	s_delay_alu instid0(SALU_CYCLE_1)
	s_and_b32 vcc_lo, exec_lo, s6
	s_cbranch_vccz .LBB217_1852
; %bb.1813:
	v_cmp_lt_i16_e32 vcc_lo, 22, v6
	s_mov_b32 s2, -1
	s_cbranch_vccz .LBB217_1845
; %bb.1814:
	v_cmp_gt_i16_e32 vcc_lo, 24, v6
	s_cbranch_vccnz .LBB217_1834
; %bb.1815:
	v_cmp_lt_i16_e32 vcc_lo, 24, v6
	s_cbranch_vccz .LBB217_1823
; %bb.1816:
	v_cvt_f32_f16_e32 v5, v4
	v_mov_b32_e32 v9, 0x80
	s_mov_b32 s2, exec_lo
	s_delay_alu instid0(VALU_DEP_2) | instskip(NEXT) | instid1(VALU_DEP_1)
	v_and_b32_e32 v8, 0x7fffffff, v5
	v_cmpx_gt_u32_e32 0x47800000, v8
	s_cbranch_execz .LBB217_1822
; %bb.1817:
	v_cmp_lt_u32_e32 vcc_lo, 0x37ffffff, v8
	s_mov_b32 s3, 0
                                        ; implicit-def: $vgpr8
	s_and_saveexec_b32 s6, vcc_lo
	s_delay_alu instid0(SALU_CYCLE_1)
	s_xor_b32 s6, exec_lo, s6
	s_cbranch_execz .LBB217_2151
; %bb.1818:
	v_bfe_u32 v8, v5, 21, 1
	s_mov_b32 s3, exec_lo
	s_delay_alu instid0(VALU_DEP_1) | instskip(NEXT) | instid1(VALU_DEP_1)
	v_add3_u32 v8, v5, v8, 0x88fffff
	v_lshrrev_b32_e32 v8, 21, v8
	s_or_saveexec_b32 s6, s6
                                        ; implicit-def: $sgpr7
	s_delay_alu instid0(SALU_CYCLE_1)
	s_xor_b32 exec_lo, exec_lo, s6
	s_cbranch_execnz .LBB217_2152
.LBB217_1819:
	s_or_b32 exec_lo, exec_lo, s6
	v_mov_b32_e32 v9, s7
	s_and_saveexec_b32 s6, s3
.LBB217_1820:
	v_lshrrev_b32_e32 v5, 24, v5
	s_delay_alu instid0(VALU_DEP_1)
	v_and_or_b32 v9, 0x80, v5, v8
.LBB217_1821:
	s_or_b32 exec_lo, exec_lo, s6
.LBB217_1822:
	s_delay_alu instid0(SALU_CYCLE_1)
	s_or_b32 exec_lo, exec_lo, s2
	s_mov_b32 s2, 0
	global_store_b8 v[2:3], v9, off
.LBB217_1823:
	s_and_b32 vcc_lo, exec_lo, s2
	s_cbranch_vccz .LBB217_1833
; %bb.1824:
	v_cvt_f32_f16_e32 v5, v4
	s_mov_b32 s2, exec_lo
                                        ; implicit-def: $vgpr8
	s_delay_alu instid0(VALU_DEP_1) | instskip(NEXT) | instid1(VALU_DEP_1)
	v_and_b32_e32 v9, 0x7fffffff, v5
	v_cmpx_gt_u32_e32 0x43f00000, v9
	s_xor_b32 s2, exec_lo, s2
	s_cbranch_execz .LBB217_1830
; %bb.1825:
	s_mov_b32 s3, exec_lo
                                        ; implicit-def: $vgpr8
	v_cmpx_lt_u32_e32 0x3c7fffff, v9
	s_xor_b32 s3, exec_lo, s3
; %bb.1826:
	v_bfe_u32 v8, v5, 20, 1
	s_delay_alu instid0(VALU_DEP_1) | instskip(NEXT) | instid1(VALU_DEP_1)
	v_add3_u32 v8, v5, v8, 0x407ffff
	v_and_b32_e32 v9, 0xff00000, v8
	v_lshrrev_b32_e32 v8, 20, v8
	s_delay_alu instid0(VALU_DEP_2) | instskip(NEXT) | instid1(VALU_DEP_2)
	v_cmp_ne_u32_e32 vcc_lo, 0x7f00000, v9
	v_cndmask_b32_e32 v8, 0x7e, v8, vcc_lo
; %bb.1827:
	s_and_not1_saveexec_b32 s3, s3
; %bb.1828:
	v_add_f32_e64 v8, 0x46800000, |v5|
; %bb.1829:
	s_or_b32 exec_lo, exec_lo, s3
                                        ; implicit-def: $vgpr9
.LBB217_1830:
	s_and_not1_saveexec_b32 s2, s2
; %bb.1831:
	v_mov_b32_e32 v8, 0x7f
	v_cmp_lt_u32_e32 vcc_lo, 0x7f800000, v9
	s_delay_alu instid0(VALU_DEP_2)
	v_cndmask_b32_e32 v8, 0x7e, v8, vcc_lo
; %bb.1832:
	s_or_b32 exec_lo, exec_lo, s2
	v_lshrrev_b32_e32 v5, 24, v5
	s_delay_alu instid0(VALU_DEP_1)
	v_and_or_b32 v5, 0x80, v5, v8
	global_store_b8 v[2:3], v5, off
.LBB217_1833:
	s_mov_b32 s2, 0
.LBB217_1834:
	s_delay_alu instid0(SALU_CYCLE_1)
	s_and_not1_b32 vcc_lo, exec_lo, s2
	s_cbranch_vccnz .LBB217_1844
; %bb.1835:
	v_cvt_f32_f16_e32 v5, v4
	s_mov_b32 s2, exec_lo
                                        ; implicit-def: $vgpr8
	s_delay_alu instid0(VALU_DEP_1) | instskip(NEXT) | instid1(VALU_DEP_1)
	v_and_b32_e32 v9, 0x7fffffff, v5
	v_cmpx_gt_u32_e32 0x47800000, v9
	s_xor_b32 s2, exec_lo, s2
	s_cbranch_execz .LBB217_1841
; %bb.1836:
	s_mov_b32 s3, exec_lo
                                        ; implicit-def: $vgpr8
	v_cmpx_lt_u32_e32 0x387fffff, v9
	s_xor_b32 s3, exec_lo, s3
; %bb.1837:
	v_bfe_u32 v8, v5, 21, 1
	s_delay_alu instid0(VALU_DEP_1) | instskip(NEXT) | instid1(VALU_DEP_1)
	v_add3_u32 v8, v5, v8, 0x80fffff
	v_lshrrev_b32_e32 v8, 21, v8
; %bb.1838:
	s_and_not1_saveexec_b32 s3, s3
; %bb.1839:
	v_add_f32_e64 v8, 0x43000000, |v5|
; %bb.1840:
	s_or_b32 exec_lo, exec_lo, s3
                                        ; implicit-def: $vgpr9
.LBB217_1841:
	s_and_not1_saveexec_b32 s2, s2
; %bb.1842:
	v_mov_b32_e32 v8, 0x7f
	v_cmp_lt_u32_e32 vcc_lo, 0x7f800000, v9
	s_delay_alu instid0(VALU_DEP_2)
	v_cndmask_b32_e32 v8, 0x7c, v8, vcc_lo
; %bb.1843:
	s_or_b32 exec_lo, exec_lo, s2
	v_lshrrev_b32_e32 v5, 24, v5
	s_delay_alu instid0(VALU_DEP_1)
	v_and_or_b32 v5, 0x80, v5, v8
	global_store_b8 v[2:3], v5, off
.LBB217_1844:
	s_mov_b32 s2, 0
	s_mov_b32 s3, -1
.LBB217_1845:
	s_and_not1_b32 vcc_lo, exec_lo, s2
	s_mov_b32 s2, 0
	s_cbranch_vccnz .LBB217_1852
; %bb.1846:
	v_cmp_lt_i16_e32 vcc_lo, 14, v6
	s_mov_b32 s2, -1
	s_cbranch_vccz .LBB217_1850
; %bb.1847:
	v_cmp_eq_u16_e32 vcc_lo, 15, v6
	s_mov_b32 s0, -1
	s_cbranch_vccz .LBB217_1849
; %bb.1848:
	v_cvt_f32_f16_e32 v5, v4
	v_cmp_o_f16_e32 vcc_lo, v4, v4
	s_mov_b32 s0, 0
	s_mov_b32 s3, -1
	s_delay_alu instid0(VALU_DEP_2) | instskip(NEXT) | instid1(VALU_DEP_1)
	v_bfe_u32 v8, v5, 16, 1
	v_add3_u32 v5, v5, v8, 0x7fff
	s_delay_alu instid0(VALU_DEP_1) | instskip(NEXT) | instid1(VALU_DEP_1)
	v_lshrrev_b32_e32 v5, 16, v5
	v_cndmask_b32_e32 v5, 0x7fc0, v5, vcc_lo
	global_store_b16 v[2:3], v5, off
.LBB217_1849:
	s_mov_b32 s2, 0
.LBB217_1850:
	s_delay_alu instid0(SALU_CYCLE_1)
	s_and_b32 vcc_lo, exec_lo, s2
	s_mov_b32 s2, 0
	s_cbranch_vccz .LBB217_1852
; %bb.1851:
	v_cmp_ne_u16_e64 s0, 11, v6
	s_mov_b32 s2, -1
.LBB217_1852:
	s_delay_alu instid0(VALU_DEP_1)
	s_and_b32 vcc_lo, exec_lo, s0
	s_cbranch_vccnz .LBB217_2149
; %bb.1853:
	s_and_not1_b32 vcc_lo, exec_lo, s2
	s_cbranch_vccnz .LBB217_1855
.LBB217_1854:
	v_cmp_neq_f16_e32 vcc_lo, 0, v4
	s_mov_b32 s3, -1
	v_cndmask_b32_e64 v5, 0, 1, vcc_lo
	global_store_b8 v[2:3], v5, off
.LBB217_1855:
	s_mov_b32 s0, 0
.LBB217_1856:
	s_delay_alu instid0(SALU_CYCLE_1)
	s_and_b32 vcc_lo, exec_lo, s0
	s_cbranch_vccz .LBB217_1895
; %bb.1857:
	v_cmp_gt_i16_e32 vcc_lo, 5, v6
	s_mov_b32 s0, -1
	s_cbranch_vccnz .LBB217_1878
; %bb.1858:
	v_cmp_gt_i16_e32 vcc_lo, 8, v6
	s_cbranch_vccnz .LBB217_1868
; %bb.1859:
	v_cmp_gt_i16_e32 vcc_lo, 9, v6
	s_cbranch_vccnz .LBB217_1865
; %bb.1860:
	v_cmp_lt_i16_e32 vcc_lo, 9, v6
	s_cbranch_vccz .LBB217_1862
; %bb.1861:
	v_cvt_f32_f16_e32 v5, v4
	v_mov_b32_e32 v14, 0
	s_mov_b32 s0, 0
	s_delay_alu instid0(VALU_DEP_2) | instskip(NEXT) | instid1(VALU_DEP_2)
	v_cvt_f64_f32_e32 v[12:13], v5
	v_mov_b32_e32 v15, v14
	global_store_b128 v[2:3], v[12:15], off
.LBB217_1862:
	s_and_not1_b32 vcc_lo, exec_lo, s0
	s_cbranch_vccnz .LBB217_1864
; %bb.1863:
	v_cvt_f32_f16_e32 v8, v4
	v_mov_b32_e32 v9, 0
	global_store_b64 v[2:3], v[8:9], off
.LBB217_1864:
	s_mov_b32 s0, 0
.LBB217_1865:
	s_delay_alu instid0(SALU_CYCLE_1)
	s_and_not1_b32 vcc_lo, exec_lo, s0
	s_cbranch_vccnz .LBB217_1867
; %bb.1866:
	v_and_b32_e32 v5, 0xffff, v4
	global_store_b32 v[2:3], v5, off
.LBB217_1867:
	s_mov_b32 s0, 0
.LBB217_1868:
	s_delay_alu instid0(SALU_CYCLE_1)
	s_and_not1_b32 vcc_lo, exec_lo, s0
	s_cbranch_vccnz .LBB217_1877
; %bb.1869:
	v_cmp_gt_i16_e32 vcc_lo, 6, v6
	s_mov_b32 s0, -1
	s_cbranch_vccnz .LBB217_1875
; %bb.1870:
	v_cmp_lt_i16_e32 vcc_lo, 6, v6
	s_cbranch_vccz .LBB217_1872
; %bb.1871:
	v_cvt_f32_f16_e32 v5, v4
	s_mov_b32 s0, 0
	s_delay_alu instid0(VALU_DEP_1)
	v_cvt_f64_f32_e32 v[8:9], v5
	global_store_b64 v[2:3], v[8:9], off
.LBB217_1872:
	s_and_not1_b32 vcc_lo, exec_lo, s0
	s_cbranch_vccnz .LBB217_1874
; %bb.1873:
	v_cvt_f32_f16_e32 v5, v4
	global_store_b32 v[2:3], v5, off
.LBB217_1874:
	s_mov_b32 s0, 0
.LBB217_1875:
	s_delay_alu instid0(SALU_CYCLE_1)
	s_and_not1_b32 vcc_lo, exec_lo, s0
	s_cbranch_vccnz .LBB217_1877
; %bb.1876:
	global_store_b16 v[2:3], v4, off
.LBB217_1877:
	s_mov_b32 s0, 0
.LBB217_1878:
	s_delay_alu instid0(SALU_CYCLE_1)
	s_and_not1_b32 vcc_lo, exec_lo, s0
	s_cbranch_vccnz .LBB217_1894
; %bb.1879:
	v_cmp_gt_i16_e32 vcc_lo, 2, v6
	s_mov_b32 s0, -1
	s_cbranch_vccnz .LBB217_1889
; %bb.1880:
	v_cmp_gt_i16_e32 vcc_lo, 3, v6
	s_cbranch_vccnz .LBB217_1886
; %bb.1881:
	v_cmp_lt_i16_e32 vcc_lo, 3, v6
	s_cbranch_vccz .LBB217_1883
; %bb.1882:
	v_cvt_f32_f16_e32 v5, v4
	s_mov_b32 s0, 0
	s_delay_alu instid0(VALU_DEP_1) | instskip(NEXT) | instid1(VALU_DEP_1)
	v_cvt_i32_f32_e32 v8, v5
	v_ashrrev_i32_e32 v9, 31, v8
	global_store_b64 v[2:3], v[8:9], off
.LBB217_1883:
	s_and_not1_b32 vcc_lo, exec_lo, s0
	s_cbranch_vccnz .LBB217_1885
; %bb.1884:
	v_cvt_f32_f16_e32 v5, v4
	s_delay_alu instid0(VALU_DEP_1)
	v_cvt_i32_f32_e32 v5, v5
	global_store_b32 v[2:3], v5, off
.LBB217_1885:
	s_mov_b32 s0, 0
.LBB217_1886:
	s_delay_alu instid0(SALU_CYCLE_1)
	s_and_not1_b32 vcc_lo, exec_lo, s0
	s_cbranch_vccnz .LBB217_1888
; %bb.1887:
	v_cvt_i16_f16_e32 v5, v4
	global_store_b16 v[2:3], v5, off
.LBB217_1888:
	s_mov_b32 s0, 0
.LBB217_1889:
	s_delay_alu instid0(SALU_CYCLE_1)
	s_and_not1_b32 vcc_lo, exec_lo, s0
	s_cbranch_vccnz .LBB217_1894
; %bb.1890:
	v_cmp_lt_i16_e32 vcc_lo, 0, v6
	s_mov_b32 s0, -1
	s_cbranch_vccz .LBB217_1892
; %bb.1891:
	v_cvt_i16_f16_e32 v5, v4
	s_mov_b32 s0, 0
	global_store_b8 v[2:3], v5, off
.LBB217_1892:
	s_and_not1_b32 vcc_lo, exec_lo, s0
	s_cbranch_vccnz .LBB217_1894
; %bb.1893:
	v_cvt_f32_f16_e32 v4, v4
	s_delay_alu instid0(VALU_DEP_1)
	v_cvt_i32_f32_e32 v4, v4
	global_store_b8 v[2:3], v4, off
.LBB217_1894:
	s_mov_b32 s3, -1
.LBB217_1895:
	s_delay_alu instid0(SALU_CYCLE_1)
	s_and_not1_b32 vcc_lo, exec_lo, s3
	s_cbranch_vccnz .LBB217_2090
; %bb.1896:
	v_cvt_f32_f16_e32 v2, v7
	v_add_co_u32 v1, s0, s4, v1
	s_mov_b32 s3, 0
	s_delay_alu instid0(VALU_DEP_2) | instskip(NEXT) | instid1(VALU_DEP_1)
	v_cvt_f64_f32_e32 v[2:3], v2
	v_rsq_f64_e32 v[4:5], v[2:3]
	s_waitcnt_depctr 0xfff
	v_mul_f64 v[2:3], v[4:5], -v[2:3]
	v_cmp_class_f64_e64 vcc_lo, v[4:5], 0x180
	s_delay_alu instid0(VALU_DEP_2) | instskip(NEXT) | instid1(VALU_DEP_1)
	v_fma_f64 v[2:3], v[2:3], v[4:5], 1.0
	v_mul_f64 v[7:8], v[4:5], v[2:3]
	v_fma_f64 v[2:3], 0x3fd80000, v[2:3], 0.5
	s_delay_alu instid0(VALU_DEP_1) | instskip(NEXT) | instid1(VALU_DEP_1)
	v_fma_f64 v[2:3], v[7:8], v[2:3], v[4:5]
	v_dual_cndmask_b32 v3, v5, v3 :: v_dual_cndmask_b32 v2, v4, v2
	v_cmp_gt_i16_e32 vcc_lo, 11, v6
	s_delay_alu instid0(VALU_DEP_2) | instskip(SKIP_2) | instid1(VALU_DEP_2)
	v_cvt_f32_f64_e32 v3, v[2:3]
	v_add_co_ci_u32_e64 v2, null, s5, 0, s0
	s_mov_b32 s0, -1
	v_cvt_f16_f32_e32 v3, v3
	s_cbranch_vccnz .LBB217_1974
; %bb.1897:
	v_cmp_lt_i16_e32 vcc_lo, 25, v6
	s_mov_b32 s6, -1
	s_mov_b32 s2, 0
	s_mov_b32 s0, 0
	s_cbranch_vccz .LBB217_1930
; %bb.1898:
	v_cmp_lt_i16_e32 vcc_lo, 28, v6
	s_cbranch_vccz .LBB217_1913
; %bb.1899:
	v_cmp_lt_i16_e32 vcc_lo, 43, v6
	;; [unrolled: 3-line block ×3, first 2 shown]
	s_cbranch_vccz .LBB217_1903
; %bb.1901:
	v_cmp_eq_u16_e32 vcc_lo, 46, v6
	s_mov_b32 s0, -1
	s_mov_b32 s6, 0
	s_cbranch_vccz .LBB217_1903
; %bb.1902:
	v_cvt_f32_f16_e32 v4, v3
	v_cmp_o_f16_e32 vcc_lo, v3, v3
	s_mov_b32 s0, 0
	s_mov_b32 s3, -1
	s_delay_alu instid0(VALU_DEP_2) | instskip(NEXT) | instid1(VALU_DEP_1)
	v_bfe_u32 v5, v4, 16, 1
	v_add3_u32 v4, v4, v5, 0x7fff
	s_delay_alu instid0(VALU_DEP_1) | instskip(NEXT) | instid1(VALU_DEP_1)
	v_lshrrev_b32_e32 v4, 16, v4
	v_cndmask_b32_e32 v4, 0x7fc0, v4, vcc_lo
	global_store_b32 v[1:2], v4, off
.LBB217_1903:
	s_and_b32 vcc_lo, exec_lo, s6
	s_cbranch_vccz .LBB217_1908
; %bb.1904:
	v_cmp_eq_u16_e32 vcc_lo, 44, v6
	s_mov_b32 s0, -1
	s_cbranch_vccz .LBB217_1908
; %bb.1905:
	v_cvt_f32_f16_e32 v4, v3
	v_mov_b32_e32 v5, 0xff
	s_mov_b32 s3, exec_lo
	s_delay_alu instid0(VALU_DEP_2) | instskip(NEXT) | instid1(VALU_DEP_1)
	v_bfe_u32 v7, v4, 23, 8
	v_cmpx_ne_u32_e32 0xff, v7
; %bb.1906:
	v_and_b32_e32 v5, 0x400000, v4
	v_and_or_b32 v7, 0x3fffff, v4, v7
	v_lshrrev_b32_e32 v4, 23, v4
	s_delay_alu instid0(VALU_DEP_3) | instskip(NEXT) | instid1(VALU_DEP_3)
	v_cmp_ne_u32_e32 vcc_lo, 0, v5
	v_cmp_ne_u32_e64 s0, 0, v7
	s_delay_alu instid0(VALU_DEP_1) | instskip(NEXT) | instid1(SALU_CYCLE_1)
	s_and_b32 s0, vcc_lo, s0
	v_cndmask_b32_e64 v5, 0, 1, s0
	s_delay_alu instid0(VALU_DEP_1)
	v_add_nc_u32_e32 v5, v4, v5
; %bb.1907:
	s_or_b32 exec_lo, exec_lo, s3
	s_mov_b32 s0, 0
	s_mov_b32 s3, -1
	global_store_b8 v[1:2], v5, off
.LBB217_1908:
	s_mov_b32 s6, 0
.LBB217_1909:
	s_delay_alu instid0(SALU_CYCLE_1)
	s_and_b32 vcc_lo, exec_lo, s6
	s_cbranch_vccz .LBB217_1912
; %bb.1910:
	v_cmp_eq_u16_e32 vcc_lo, 29, v6
	s_mov_b32 s0, -1
	s_cbranch_vccz .LBB217_1912
; %bb.1911:
	v_cvt_f32_f16_e32 v4, v3
	v_mov_b32_e32 v5, 0
	s_mov_b32 s0, 0
	s_mov_b32 s3, -1
	s_delay_alu instid0(VALU_DEP_2)
	v_cvt_u32_f32_e32 v4, v4
	global_store_b64 v[1:2], v[4:5], off
.LBB217_1912:
	s_mov_b32 s6, 0
.LBB217_1913:
	s_delay_alu instid0(SALU_CYCLE_1)
	s_and_b32 vcc_lo, exec_lo, s6
	s_cbranch_vccz .LBB217_1929
; %bb.1914:
	v_cmp_gt_i16_e32 vcc_lo, 27, v6
	s_mov_b32 s3, -1
	s_cbranch_vccnz .LBB217_1920
; %bb.1915:
	v_cmp_lt_i16_e32 vcc_lo, 27, v6
	s_cbranch_vccz .LBB217_1917
; %bb.1916:
	v_cvt_f32_f16_e32 v4, v3
	s_mov_b32 s3, 0
	s_delay_alu instid0(VALU_DEP_1)
	v_cvt_u32_f32_e32 v4, v4
	global_store_b32 v[1:2], v4, off
.LBB217_1917:
	s_and_not1_b32 vcc_lo, exec_lo, s3
	s_cbranch_vccnz .LBB217_1919
; %bb.1918:
	v_cvt_u16_f16_e32 v4, v3
	global_store_b16 v[1:2], v4, off
.LBB217_1919:
	s_mov_b32 s3, 0
.LBB217_1920:
	s_delay_alu instid0(SALU_CYCLE_1)
	s_and_not1_b32 vcc_lo, exec_lo, s3
	s_cbranch_vccnz .LBB217_1928
; %bb.1921:
	v_cvt_f32_f16_e32 v4, v3
	v_mov_b32_e32 v7, 0x80
	s_mov_b32 s3, exec_lo
	s_delay_alu instid0(VALU_DEP_2) | instskip(NEXT) | instid1(VALU_DEP_1)
	v_and_b32_e32 v5, 0x7fffffff, v4
	v_cmpx_gt_u32_e32 0x43800000, v5
	s_cbranch_execz .LBB217_1927
; %bb.1922:
	v_cmp_lt_u32_e32 vcc_lo, 0x3bffffff, v5
	s_mov_b32 s6, 0
                                        ; implicit-def: $vgpr5
	s_and_saveexec_b32 s7, vcc_lo
	s_delay_alu instid0(SALU_CYCLE_1)
	s_xor_b32 s7, exec_lo, s7
	s_cbranch_execz .LBB217_2153
; %bb.1923:
	v_bfe_u32 v5, v4, 20, 1
	s_mov_b32 s6, exec_lo
	s_delay_alu instid0(VALU_DEP_1) | instskip(NEXT) | instid1(VALU_DEP_1)
	v_add3_u32 v5, v4, v5, 0x487ffff
	v_lshrrev_b32_e32 v5, 20, v5
	s_or_saveexec_b32 s7, s7
                                        ; implicit-def: $sgpr10
	s_delay_alu instid0(SALU_CYCLE_1)
	s_xor_b32 exec_lo, exec_lo, s7
	s_cbranch_execnz .LBB217_2154
.LBB217_1924:
	s_or_b32 exec_lo, exec_lo, s7
	v_mov_b32_e32 v7, s10
	s_and_saveexec_b32 s7, s6
.LBB217_1925:
	v_lshrrev_b32_e32 v4, 24, v4
	s_delay_alu instid0(VALU_DEP_1)
	v_and_or_b32 v7, 0x80, v4, v5
.LBB217_1926:
	s_or_b32 exec_lo, exec_lo, s7
.LBB217_1927:
	s_delay_alu instid0(SALU_CYCLE_1)
	s_or_b32 exec_lo, exec_lo, s3
	global_store_b8 v[1:2], v7, off
.LBB217_1928:
	s_mov_b32 s3, -1
.LBB217_1929:
	s_mov_b32 s6, 0
.LBB217_1930:
	s_delay_alu instid0(SALU_CYCLE_1)
	s_and_b32 vcc_lo, exec_lo, s6
	s_cbranch_vccz .LBB217_1970
; %bb.1931:
	v_cmp_lt_i16_e32 vcc_lo, 22, v6
	s_mov_b32 s2, -1
	s_cbranch_vccz .LBB217_1963
; %bb.1932:
	v_cmp_gt_i16_e32 vcc_lo, 24, v6
	s_cbranch_vccnz .LBB217_1952
; %bb.1933:
	v_cmp_lt_i16_e32 vcc_lo, 24, v6
	s_cbranch_vccz .LBB217_1941
; %bb.1934:
	v_cvt_f32_f16_e32 v4, v3
	v_mov_b32_e32 v7, 0x80
	s_mov_b32 s2, exec_lo
	s_delay_alu instid0(VALU_DEP_2) | instskip(NEXT) | instid1(VALU_DEP_1)
	v_and_b32_e32 v5, 0x7fffffff, v4
	v_cmpx_gt_u32_e32 0x47800000, v5
	s_cbranch_execz .LBB217_1940
; %bb.1935:
	v_cmp_lt_u32_e32 vcc_lo, 0x37ffffff, v5
	s_mov_b32 s3, 0
                                        ; implicit-def: $vgpr5
	s_and_saveexec_b32 s6, vcc_lo
	s_delay_alu instid0(SALU_CYCLE_1)
	s_xor_b32 s6, exec_lo, s6
	s_cbranch_execz .LBB217_2159
; %bb.1936:
	v_bfe_u32 v5, v4, 21, 1
	s_mov_b32 s3, exec_lo
	s_delay_alu instid0(VALU_DEP_1) | instskip(NEXT) | instid1(VALU_DEP_1)
	v_add3_u32 v5, v4, v5, 0x88fffff
	v_lshrrev_b32_e32 v5, 21, v5
	s_or_saveexec_b32 s6, s6
                                        ; implicit-def: $sgpr7
	s_delay_alu instid0(SALU_CYCLE_1)
	s_xor_b32 exec_lo, exec_lo, s6
	s_cbranch_execnz .LBB217_2160
.LBB217_1937:
	s_or_b32 exec_lo, exec_lo, s6
	v_mov_b32_e32 v7, s7
	s_and_saveexec_b32 s6, s3
.LBB217_1938:
	v_lshrrev_b32_e32 v4, 24, v4
	s_delay_alu instid0(VALU_DEP_1)
	v_and_or_b32 v7, 0x80, v4, v5
.LBB217_1939:
	s_or_b32 exec_lo, exec_lo, s6
.LBB217_1940:
	s_delay_alu instid0(SALU_CYCLE_1)
	s_or_b32 exec_lo, exec_lo, s2
	s_mov_b32 s2, 0
	global_store_b8 v[1:2], v7, off
.LBB217_1941:
	s_and_b32 vcc_lo, exec_lo, s2
	s_cbranch_vccz .LBB217_1951
; %bb.1942:
	v_cvt_f32_f16_e32 v4, v3
	s_mov_b32 s2, exec_lo
                                        ; implicit-def: $vgpr5
	s_delay_alu instid0(VALU_DEP_1) | instskip(NEXT) | instid1(VALU_DEP_1)
	v_and_b32_e32 v7, 0x7fffffff, v4
	v_cmpx_gt_u32_e32 0x43f00000, v7
	s_xor_b32 s2, exec_lo, s2
	s_cbranch_execz .LBB217_1948
; %bb.1943:
	s_mov_b32 s3, exec_lo
                                        ; implicit-def: $vgpr5
	v_cmpx_lt_u32_e32 0x3c7fffff, v7
	s_xor_b32 s3, exec_lo, s3
; %bb.1944:
	v_bfe_u32 v5, v4, 20, 1
	s_delay_alu instid0(VALU_DEP_1) | instskip(NEXT) | instid1(VALU_DEP_1)
	v_add3_u32 v5, v4, v5, 0x407ffff
	v_and_b32_e32 v7, 0xff00000, v5
	v_lshrrev_b32_e32 v5, 20, v5
	s_delay_alu instid0(VALU_DEP_2) | instskip(NEXT) | instid1(VALU_DEP_2)
	v_cmp_ne_u32_e32 vcc_lo, 0x7f00000, v7
	v_cndmask_b32_e32 v5, 0x7e, v5, vcc_lo
; %bb.1945:
	s_and_not1_saveexec_b32 s3, s3
; %bb.1946:
	v_add_f32_e64 v5, 0x46800000, |v4|
; %bb.1947:
	s_or_b32 exec_lo, exec_lo, s3
                                        ; implicit-def: $vgpr7
.LBB217_1948:
	s_and_not1_saveexec_b32 s2, s2
; %bb.1949:
	v_mov_b32_e32 v5, 0x7f
	v_cmp_lt_u32_e32 vcc_lo, 0x7f800000, v7
	s_delay_alu instid0(VALU_DEP_2)
	v_cndmask_b32_e32 v5, 0x7e, v5, vcc_lo
; %bb.1950:
	s_or_b32 exec_lo, exec_lo, s2
	v_lshrrev_b32_e32 v4, 24, v4
	s_delay_alu instid0(VALU_DEP_1)
	v_and_or_b32 v4, 0x80, v4, v5
	global_store_b8 v[1:2], v4, off
.LBB217_1951:
	s_mov_b32 s2, 0
.LBB217_1952:
	s_delay_alu instid0(SALU_CYCLE_1)
	s_and_not1_b32 vcc_lo, exec_lo, s2
	s_cbranch_vccnz .LBB217_1962
; %bb.1953:
	v_cvt_f32_f16_e32 v4, v3
	s_mov_b32 s2, exec_lo
                                        ; implicit-def: $vgpr5
	s_delay_alu instid0(VALU_DEP_1) | instskip(NEXT) | instid1(VALU_DEP_1)
	v_and_b32_e32 v7, 0x7fffffff, v4
	v_cmpx_gt_u32_e32 0x47800000, v7
	s_xor_b32 s2, exec_lo, s2
	s_cbranch_execz .LBB217_1959
; %bb.1954:
	s_mov_b32 s3, exec_lo
                                        ; implicit-def: $vgpr5
	v_cmpx_lt_u32_e32 0x387fffff, v7
	s_xor_b32 s3, exec_lo, s3
; %bb.1955:
	v_bfe_u32 v5, v4, 21, 1
	s_delay_alu instid0(VALU_DEP_1) | instskip(NEXT) | instid1(VALU_DEP_1)
	v_add3_u32 v5, v4, v5, 0x80fffff
	v_lshrrev_b32_e32 v5, 21, v5
; %bb.1956:
	s_and_not1_saveexec_b32 s3, s3
; %bb.1957:
	v_add_f32_e64 v5, 0x43000000, |v4|
; %bb.1958:
	s_or_b32 exec_lo, exec_lo, s3
                                        ; implicit-def: $vgpr7
.LBB217_1959:
	s_and_not1_saveexec_b32 s2, s2
; %bb.1960:
	v_mov_b32_e32 v5, 0x7f
	v_cmp_lt_u32_e32 vcc_lo, 0x7f800000, v7
	s_delay_alu instid0(VALU_DEP_2)
	v_cndmask_b32_e32 v5, 0x7c, v5, vcc_lo
; %bb.1961:
	s_or_b32 exec_lo, exec_lo, s2
	v_lshrrev_b32_e32 v4, 24, v4
	s_delay_alu instid0(VALU_DEP_1)
	v_and_or_b32 v4, 0x80, v4, v5
	global_store_b8 v[1:2], v4, off
.LBB217_1962:
	s_mov_b32 s2, 0
	s_mov_b32 s3, -1
.LBB217_1963:
	s_and_not1_b32 vcc_lo, exec_lo, s2
	s_mov_b32 s2, 0
	s_cbranch_vccnz .LBB217_1970
; %bb.1964:
	v_cmp_lt_i16_e32 vcc_lo, 14, v6
	s_mov_b32 s2, -1
	s_cbranch_vccz .LBB217_1968
; %bb.1965:
	v_cmp_eq_u16_e32 vcc_lo, 15, v6
	s_mov_b32 s0, -1
	s_cbranch_vccz .LBB217_1967
; %bb.1966:
	v_cvt_f32_f16_e32 v4, v3
	v_cmp_o_f16_e32 vcc_lo, v3, v3
	s_mov_b32 s0, 0
	s_mov_b32 s3, -1
	s_delay_alu instid0(VALU_DEP_2) | instskip(NEXT) | instid1(VALU_DEP_1)
	v_bfe_u32 v5, v4, 16, 1
	v_add3_u32 v4, v4, v5, 0x7fff
	s_delay_alu instid0(VALU_DEP_1) | instskip(NEXT) | instid1(VALU_DEP_1)
	v_lshrrev_b32_e32 v4, 16, v4
	v_cndmask_b32_e32 v4, 0x7fc0, v4, vcc_lo
	global_store_b16 v[1:2], v4, off
.LBB217_1967:
	s_mov_b32 s2, 0
.LBB217_1968:
	s_delay_alu instid0(SALU_CYCLE_1)
	s_and_b32 vcc_lo, exec_lo, s2
	s_mov_b32 s2, 0
	s_cbranch_vccz .LBB217_1970
; %bb.1969:
	v_cmp_ne_u16_e64 s0, 11, v6
	s_mov_b32 s2, -1
.LBB217_1970:
	s_delay_alu instid0(VALU_DEP_1)
	s_and_b32 vcc_lo, exec_lo, s0
	s_cbranch_vccnz .LBB217_2157
; %bb.1971:
	s_and_not1_b32 vcc_lo, exec_lo, s2
	s_cbranch_vccnz .LBB217_1973
.LBB217_1972:
	v_cmp_neq_f16_e32 vcc_lo, 0, v3
	s_mov_b32 s3, -1
	v_cndmask_b32_e64 v4, 0, 1, vcc_lo
	global_store_b8 v[1:2], v4, off
.LBB217_1973:
	s_mov_b32 s0, 0
.LBB217_1974:
	s_delay_alu instid0(SALU_CYCLE_1)
	s_and_b32 vcc_lo, exec_lo, s0
	s_cbranch_vccz .LBB217_2013
; %bb.1975:
	v_cmp_gt_i16_e32 vcc_lo, 5, v6
	s_mov_b32 s0, -1
	s_cbranch_vccnz .LBB217_1996
; %bb.1976:
	v_cmp_gt_i16_e32 vcc_lo, 8, v6
	s_cbranch_vccnz .LBB217_1986
; %bb.1977:
	v_cmp_gt_i16_e32 vcc_lo, 9, v6
	s_cbranch_vccnz .LBB217_1983
; %bb.1978:
	v_cmp_lt_i16_e32 vcc_lo, 9, v6
	s_cbranch_vccz .LBB217_1980
; %bb.1979:
	v_cvt_f32_f16_e32 v4, v3
	v_mov_b32_e32 v9, 0
	s_mov_b32 s0, 0
	s_delay_alu instid0(VALU_DEP_2) | instskip(NEXT) | instid1(VALU_DEP_2)
	v_cvt_f64_f32_e32 v[7:8], v4
	v_mov_b32_e32 v10, v9
	global_store_b128 v[1:2], v[7:10], off
.LBB217_1980:
	s_and_not1_b32 vcc_lo, exec_lo, s0
	s_cbranch_vccnz .LBB217_1982
; %bb.1981:
	v_cvt_f32_f16_e32 v4, v3
	v_mov_b32_e32 v5, 0
	global_store_b64 v[1:2], v[4:5], off
.LBB217_1982:
	s_mov_b32 s0, 0
.LBB217_1983:
	s_delay_alu instid0(SALU_CYCLE_1)
	s_and_not1_b32 vcc_lo, exec_lo, s0
	s_cbranch_vccnz .LBB217_1985
; %bb.1984:
	v_and_b32_e32 v4, 0xffff, v3
	global_store_b32 v[1:2], v4, off
.LBB217_1985:
	s_mov_b32 s0, 0
.LBB217_1986:
	s_delay_alu instid0(SALU_CYCLE_1)
	s_and_not1_b32 vcc_lo, exec_lo, s0
	s_cbranch_vccnz .LBB217_1995
; %bb.1987:
	v_cmp_gt_i16_e32 vcc_lo, 6, v6
	s_mov_b32 s0, -1
	s_cbranch_vccnz .LBB217_1993
; %bb.1988:
	v_cmp_lt_i16_e32 vcc_lo, 6, v6
	s_cbranch_vccz .LBB217_1990
; %bb.1989:
	v_cvt_f32_f16_e32 v4, v3
	s_mov_b32 s0, 0
	s_delay_alu instid0(VALU_DEP_1)
	v_cvt_f64_f32_e32 v[4:5], v4
	global_store_b64 v[1:2], v[4:5], off
.LBB217_1990:
	s_and_not1_b32 vcc_lo, exec_lo, s0
	s_cbranch_vccnz .LBB217_1992
; %bb.1991:
	v_cvt_f32_f16_e32 v4, v3
	global_store_b32 v[1:2], v4, off
.LBB217_1992:
	s_mov_b32 s0, 0
.LBB217_1993:
	s_delay_alu instid0(SALU_CYCLE_1)
	s_and_not1_b32 vcc_lo, exec_lo, s0
	s_cbranch_vccnz .LBB217_1995
; %bb.1994:
	global_store_b16 v[1:2], v3, off
.LBB217_1995:
	s_mov_b32 s0, 0
.LBB217_1996:
	s_delay_alu instid0(SALU_CYCLE_1)
	s_and_not1_b32 vcc_lo, exec_lo, s0
	s_cbranch_vccnz .LBB217_2012
; %bb.1997:
	v_cmp_gt_i16_e32 vcc_lo, 2, v6
	s_mov_b32 s0, -1
	s_cbranch_vccnz .LBB217_2007
; %bb.1998:
	v_cmp_gt_i16_e32 vcc_lo, 3, v6
	s_cbranch_vccnz .LBB217_2004
; %bb.1999:
	v_cmp_lt_i16_e32 vcc_lo, 3, v6
	s_cbranch_vccz .LBB217_2001
; %bb.2000:
	v_cvt_f32_f16_e32 v4, v3
	s_mov_b32 s0, 0
	s_delay_alu instid0(VALU_DEP_1) | instskip(NEXT) | instid1(VALU_DEP_1)
	v_cvt_i32_f32_e32 v4, v4
	v_ashrrev_i32_e32 v5, 31, v4
	global_store_b64 v[1:2], v[4:5], off
.LBB217_2001:
	s_and_not1_b32 vcc_lo, exec_lo, s0
	s_cbranch_vccnz .LBB217_2003
; %bb.2002:
	v_cvt_f32_f16_e32 v4, v3
	s_delay_alu instid0(VALU_DEP_1)
	v_cvt_i32_f32_e32 v4, v4
	global_store_b32 v[1:2], v4, off
.LBB217_2003:
	s_mov_b32 s0, 0
.LBB217_2004:
	s_delay_alu instid0(SALU_CYCLE_1)
	s_and_not1_b32 vcc_lo, exec_lo, s0
	s_cbranch_vccnz .LBB217_2006
; %bb.2005:
	v_cvt_i16_f16_e32 v4, v3
	global_store_b16 v[1:2], v4, off
.LBB217_2006:
	s_mov_b32 s0, 0
.LBB217_2007:
	s_delay_alu instid0(SALU_CYCLE_1)
	s_and_not1_b32 vcc_lo, exec_lo, s0
	s_cbranch_vccnz .LBB217_2012
; %bb.2008:
	v_cmp_lt_i16_e32 vcc_lo, 0, v6
	s_mov_b32 s0, -1
	s_cbranch_vccz .LBB217_2010
; %bb.2009:
	v_cvt_i16_f16_e32 v4, v3
	s_mov_b32 s0, 0
	global_store_b8 v[1:2], v4, off
.LBB217_2010:
	s_and_not1_b32 vcc_lo, exec_lo, s0
	s_cbranch_vccnz .LBB217_2012
; %bb.2011:
	v_cvt_f32_f16_e32 v3, v3
	s_delay_alu instid0(VALU_DEP_1)
	v_cvt_i32_f32_e32 v3, v3
	global_store_b8 v[1:2], v3, off
.LBB217_2012:
	s_mov_b32 s3, -1
.LBB217_2013:
	s_delay_alu instid0(SALU_CYCLE_1)
	s_and_not1_b32 vcc_lo, exec_lo, s3
	s_cbranch_vccnz .LBB217_2090
; %bb.2014:
	v_cvt_f32_f16_e32 v1, v11
	v_add_co_u32 v0, s0, s4, v0
	s_mov_b32 s2, 0
	s_delay_alu instid0(VALU_DEP_2) | instskip(NEXT) | instid1(VALU_DEP_1)
	v_cvt_f64_f32_e32 v[1:2], v1
	v_rsq_f64_e32 v[3:4], v[1:2]
	s_waitcnt_depctr 0xfff
	v_mul_f64 v[1:2], v[3:4], -v[1:2]
	v_cmp_class_f64_e64 vcc_lo, v[3:4], 0x180
	s_delay_alu instid0(VALU_DEP_2) | instskip(NEXT) | instid1(VALU_DEP_1)
	v_fma_f64 v[1:2], v[1:2], v[3:4], 1.0
	v_mul_f64 v[7:8], v[3:4], v[1:2]
	v_fma_f64 v[1:2], 0x3fd80000, v[1:2], 0.5
	s_delay_alu instid0(VALU_DEP_1) | instskip(NEXT) | instid1(VALU_DEP_1)
	v_fma_f64 v[1:2], v[7:8], v[1:2], v[3:4]
	v_dual_cndmask_b32 v2, v4, v2 :: v_dual_cndmask_b32 v1, v3, v1
	v_cmp_gt_i16_e32 vcc_lo, 11, v6
	s_delay_alu instid0(VALU_DEP_2) | instskip(SKIP_2) | instid1(VALU_DEP_2)
	v_cvt_f32_f64_e32 v2, v[1:2]
	v_add_co_ci_u32_e64 v1, null, s5, 0, s0
	s_mov_b32 s0, -1
	v_cvt_f16_f32_e32 v2, v2
	s_cbranch_vccnz .LBB217_2091
; %bb.2015:
	v_cmp_lt_i16_e32 vcc_lo, 25, v6
	s_mov_b32 s3, -1
	s_mov_b32 s0, 0
	s_cbranch_vccz .LBB217_2048
; %bb.2016:
	v_cmp_lt_i16_e32 vcc_lo, 28, v6
	s_cbranch_vccz .LBB217_2032
; %bb.2017:
	v_cmp_lt_i16_e32 vcc_lo, 43, v6
	;; [unrolled: 3-line block ×3, first 2 shown]
	s_cbranch_vccz .LBB217_2022
; %bb.2019:
	v_cmp_eq_u16_e32 vcc_lo, 46, v6
	s_mov_b32 s0, -1
	s_cbranch_vccz .LBB217_2021
; %bb.2020:
	v_cvt_f32_f16_e32 v3, v2
	v_cmp_o_f16_e32 vcc_lo, v2, v2
	s_mov_b32 s0, 0
	s_delay_alu instid0(VALU_DEP_2) | instskip(NEXT) | instid1(VALU_DEP_1)
	v_bfe_u32 v4, v3, 16, 1
	v_add3_u32 v3, v3, v4, 0x7fff
	s_delay_alu instid0(VALU_DEP_1) | instskip(NEXT) | instid1(VALU_DEP_1)
	v_lshrrev_b32_e32 v3, 16, v3
	v_cndmask_b32_e32 v3, 0x7fc0, v3, vcc_lo
	global_store_b32 v[0:1], v3, off
.LBB217_2021:
	s_mov_b32 s3, 0
.LBB217_2022:
	s_delay_alu instid0(SALU_CYCLE_1)
	s_and_b32 vcc_lo, exec_lo, s3
	s_cbranch_vccz .LBB217_2027
; %bb.2023:
	v_cmp_eq_u16_e32 vcc_lo, 44, v6
	s_mov_b32 s0, -1
	s_cbranch_vccz .LBB217_2027
; %bb.2024:
	v_cvt_f32_f16_e32 v3, v2
	v_mov_b32_e32 v4, 0xff
	s_mov_b32 s3, exec_lo
	s_delay_alu instid0(VALU_DEP_2) | instskip(NEXT) | instid1(VALU_DEP_1)
	v_bfe_u32 v5, v3, 23, 8
	v_cmpx_ne_u32_e32 0xff, v5
; %bb.2025:
	v_and_b32_e32 v4, 0x400000, v3
	v_and_or_b32 v5, 0x3fffff, v3, v5
	v_lshrrev_b32_e32 v3, 23, v3
	s_delay_alu instid0(VALU_DEP_3) | instskip(NEXT) | instid1(VALU_DEP_3)
	v_cmp_ne_u32_e32 vcc_lo, 0, v4
	v_cmp_ne_u32_e64 s0, 0, v5
	s_delay_alu instid0(VALU_DEP_1) | instskip(NEXT) | instid1(SALU_CYCLE_1)
	s_and_b32 s0, vcc_lo, s0
	v_cndmask_b32_e64 v4, 0, 1, s0
	s_delay_alu instid0(VALU_DEP_1)
	v_add_nc_u32_e32 v4, v3, v4
; %bb.2026:
	s_or_b32 exec_lo, exec_lo, s3
	s_mov_b32 s0, 0
	global_store_b8 v[0:1], v4, off
.LBB217_2027:
	s_mov_b32 s3, 0
.LBB217_2028:
	s_delay_alu instid0(SALU_CYCLE_1)
	s_and_b32 vcc_lo, exec_lo, s3
	s_cbranch_vccz .LBB217_2031
; %bb.2029:
	v_cmp_eq_u16_e32 vcc_lo, 29, v6
	s_mov_b32 s0, -1
	s_cbranch_vccz .LBB217_2031
; %bb.2030:
	v_cvt_f32_f16_e32 v3, v2
	v_mov_b32_e32 v4, 0
	s_mov_b32 s0, 0
	s_delay_alu instid0(VALU_DEP_2)
	v_cvt_u32_f32_e32 v3, v3
	global_store_b64 v[0:1], v[3:4], off
.LBB217_2031:
	s_mov_b32 s3, 0
.LBB217_2032:
	s_delay_alu instid0(SALU_CYCLE_1)
	s_and_b32 vcc_lo, exec_lo, s3
	s_cbranch_vccz .LBB217_2047
; %bb.2033:
	v_cmp_gt_i16_e32 vcc_lo, 27, v6
	s_mov_b32 s3, -1
	s_cbranch_vccnz .LBB217_2039
; %bb.2034:
	v_cmp_lt_i16_e32 vcc_lo, 27, v6
	s_cbranch_vccz .LBB217_2036
; %bb.2035:
	v_cvt_f32_f16_e32 v3, v2
	s_mov_b32 s3, 0
	s_delay_alu instid0(VALU_DEP_1)
	v_cvt_u32_f32_e32 v3, v3
	global_store_b32 v[0:1], v3, off
.LBB217_2036:
	s_and_not1_b32 vcc_lo, exec_lo, s3
	s_cbranch_vccnz .LBB217_2038
; %bb.2037:
	v_cvt_u16_f16_e32 v3, v2
	global_store_b16 v[0:1], v3, off
.LBB217_2038:
	s_mov_b32 s3, 0
.LBB217_2039:
	s_delay_alu instid0(SALU_CYCLE_1)
	s_and_not1_b32 vcc_lo, exec_lo, s3
	s_cbranch_vccnz .LBB217_2047
; %bb.2040:
	v_cvt_f32_f16_e32 v3, v2
	v_mov_b32_e32 v5, 0x80
	s_mov_b32 s3, exec_lo
	s_delay_alu instid0(VALU_DEP_2) | instskip(NEXT) | instid1(VALU_DEP_1)
	v_and_b32_e32 v4, 0x7fffffff, v3
	v_cmpx_gt_u32_e32 0x43800000, v4
	s_cbranch_execz .LBB217_2046
; %bb.2041:
	v_cmp_lt_u32_e32 vcc_lo, 0x3bffffff, v4
	s_mov_b32 s4, 0
                                        ; implicit-def: $vgpr4
	s_and_saveexec_b32 s5, vcc_lo
	s_delay_alu instid0(SALU_CYCLE_1)
	s_xor_b32 s5, exec_lo, s5
	s_cbranch_execz .LBB217_2161
; %bb.2042:
	v_bfe_u32 v4, v3, 20, 1
	s_mov_b32 s4, exec_lo
	s_delay_alu instid0(VALU_DEP_1) | instskip(NEXT) | instid1(VALU_DEP_1)
	v_add3_u32 v4, v3, v4, 0x487ffff
	v_lshrrev_b32_e32 v4, 20, v4
	s_or_saveexec_b32 s5, s5
                                        ; implicit-def: $sgpr6
	s_delay_alu instid0(SALU_CYCLE_1)
	s_xor_b32 exec_lo, exec_lo, s5
	s_cbranch_execnz .LBB217_2162
.LBB217_2043:
	s_or_b32 exec_lo, exec_lo, s5
	v_mov_b32_e32 v5, s6
	s_and_saveexec_b32 s5, s4
.LBB217_2044:
	v_lshrrev_b32_e32 v3, 24, v3
	s_delay_alu instid0(VALU_DEP_1)
	v_and_or_b32 v5, 0x80, v3, v4
.LBB217_2045:
	s_or_b32 exec_lo, exec_lo, s5
.LBB217_2046:
	s_delay_alu instid0(SALU_CYCLE_1)
	s_or_b32 exec_lo, exec_lo, s3
	global_store_b8 v[0:1], v5, off
.LBB217_2047:
	s_mov_b32 s3, 0
.LBB217_2048:
	s_delay_alu instid0(SALU_CYCLE_1)
	s_and_b32 vcc_lo, exec_lo, s3
	s_cbranch_vccz .LBB217_2088
; %bb.2049:
	v_cmp_lt_i16_e32 vcc_lo, 22, v6
	s_mov_b32 s2, -1
	s_cbranch_vccz .LBB217_2081
; %bb.2050:
	v_cmp_gt_i16_e32 vcc_lo, 24, v6
	s_cbranch_vccnz .LBB217_2070
; %bb.2051:
	v_cmp_lt_i16_e32 vcc_lo, 24, v6
	s_cbranch_vccz .LBB217_2059
; %bb.2052:
	v_cvt_f32_f16_e32 v3, v2
	v_mov_b32_e32 v5, 0x80
	s_mov_b32 s2, exec_lo
	s_delay_alu instid0(VALU_DEP_2) | instskip(NEXT) | instid1(VALU_DEP_1)
	v_and_b32_e32 v4, 0x7fffffff, v3
	v_cmpx_gt_u32_e32 0x47800000, v4
	s_cbranch_execz .LBB217_2058
; %bb.2053:
	v_cmp_lt_u32_e32 vcc_lo, 0x37ffffff, v4
	s_mov_b32 s3, 0
                                        ; implicit-def: $vgpr4
	s_and_saveexec_b32 s4, vcc_lo
	s_delay_alu instid0(SALU_CYCLE_1)
	s_xor_b32 s4, exec_lo, s4
	s_cbranch_execz .LBB217_2167
; %bb.2054:
	v_bfe_u32 v4, v3, 21, 1
	s_mov_b32 s3, exec_lo
	s_delay_alu instid0(VALU_DEP_1) | instskip(NEXT) | instid1(VALU_DEP_1)
	v_add3_u32 v4, v3, v4, 0x88fffff
	v_lshrrev_b32_e32 v4, 21, v4
	s_or_saveexec_b32 s4, s4
                                        ; implicit-def: $sgpr5
	s_delay_alu instid0(SALU_CYCLE_1)
	s_xor_b32 exec_lo, exec_lo, s4
	s_cbranch_execnz .LBB217_2168
.LBB217_2055:
	s_or_b32 exec_lo, exec_lo, s4
	v_mov_b32_e32 v5, s5
	s_and_saveexec_b32 s4, s3
.LBB217_2056:
	v_lshrrev_b32_e32 v3, 24, v3
	s_delay_alu instid0(VALU_DEP_1)
	v_and_or_b32 v5, 0x80, v3, v4
.LBB217_2057:
	s_or_b32 exec_lo, exec_lo, s4
.LBB217_2058:
	s_delay_alu instid0(SALU_CYCLE_1)
	s_or_b32 exec_lo, exec_lo, s2
	s_mov_b32 s2, 0
	global_store_b8 v[0:1], v5, off
.LBB217_2059:
	s_and_b32 vcc_lo, exec_lo, s2
	s_cbranch_vccz .LBB217_2069
; %bb.2060:
	v_cvt_f32_f16_e32 v3, v2
	s_mov_b32 s2, exec_lo
                                        ; implicit-def: $vgpr4
	s_delay_alu instid0(VALU_DEP_1) | instskip(NEXT) | instid1(VALU_DEP_1)
	v_and_b32_e32 v5, 0x7fffffff, v3
	v_cmpx_gt_u32_e32 0x43f00000, v5
	s_xor_b32 s2, exec_lo, s2
	s_cbranch_execz .LBB217_2066
; %bb.2061:
	s_mov_b32 s3, exec_lo
                                        ; implicit-def: $vgpr4
	v_cmpx_lt_u32_e32 0x3c7fffff, v5
	s_xor_b32 s3, exec_lo, s3
; %bb.2062:
	v_bfe_u32 v4, v3, 20, 1
	s_delay_alu instid0(VALU_DEP_1) | instskip(NEXT) | instid1(VALU_DEP_1)
	v_add3_u32 v4, v3, v4, 0x407ffff
	v_and_b32_e32 v5, 0xff00000, v4
	v_lshrrev_b32_e32 v4, 20, v4
	s_delay_alu instid0(VALU_DEP_2) | instskip(NEXT) | instid1(VALU_DEP_2)
	v_cmp_ne_u32_e32 vcc_lo, 0x7f00000, v5
	v_cndmask_b32_e32 v4, 0x7e, v4, vcc_lo
; %bb.2063:
	s_and_not1_saveexec_b32 s3, s3
; %bb.2064:
	v_add_f32_e64 v4, 0x46800000, |v3|
; %bb.2065:
	s_or_b32 exec_lo, exec_lo, s3
                                        ; implicit-def: $vgpr5
.LBB217_2066:
	s_and_not1_saveexec_b32 s2, s2
; %bb.2067:
	v_mov_b32_e32 v4, 0x7f
	v_cmp_lt_u32_e32 vcc_lo, 0x7f800000, v5
	s_delay_alu instid0(VALU_DEP_2)
	v_cndmask_b32_e32 v4, 0x7e, v4, vcc_lo
; %bb.2068:
	s_or_b32 exec_lo, exec_lo, s2
	v_lshrrev_b32_e32 v3, 24, v3
	s_delay_alu instid0(VALU_DEP_1)
	v_and_or_b32 v3, 0x80, v3, v4
	global_store_b8 v[0:1], v3, off
.LBB217_2069:
	s_mov_b32 s2, 0
.LBB217_2070:
	s_delay_alu instid0(SALU_CYCLE_1)
	s_and_not1_b32 vcc_lo, exec_lo, s2
	s_cbranch_vccnz .LBB217_2080
; %bb.2071:
	v_cvt_f32_f16_e32 v3, v2
	s_mov_b32 s2, exec_lo
                                        ; implicit-def: $vgpr4
	s_delay_alu instid0(VALU_DEP_1) | instskip(NEXT) | instid1(VALU_DEP_1)
	v_and_b32_e32 v5, 0x7fffffff, v3
	v_cmpx_gt_u32_e32 0x47800000, v5
	s_xor_b32 s2, exec_lo, s2
	s_cbranch_execz .LBB217_2077
; %bb.2072:
	s_mov_b32 s3, exec_lo
                                        ; implicit-def: $vgpr4
	v_cmpx_lt_u32_e32 0x387fffff, v5
	s_xor_b32 s3, exec_lo, s3
; %bb.2073:
	v_bfe_u32 v4, v3, 21, 1
	s_delay_alu instid0(VALU_DEP_1) | instskip(NEXT) | instid1(VALU_DEP_1)
	v_add3_u32 v4, v3, v4, 0x80fffff
	v_lshrrev_b32_e32 v4, 21, v4
; %bb.2074:
	s_and_not1_saveexec_b32 s3, s3
; %bb.2075:
	v_add_f32_e64 v4, 0x43000000, |v3|
; %bb.2076:
	s_or_b32 exec_lo, exec_lo, s3
                                        ; implicit-def: $vgpr5
.LBB217_2077:
	s_and_not1_saveexec_b32 s2, s2
; %bb.2078:
	v_mov_b32_e32 v4, 0x7f
	v_cmp_lt_u32_e32 vcc_lo, 0x7f800000, v5
	s_delay_alu instid0(VALU_DEP_2)
	v_cndmask_b32_e32 v4, 0x7c, v4, vcc_lo
; %bb.2079:
	s_or_b32 exec_lo, exec_lo, s2
	v_lshrrev_b32_e32 v3, 24, v3
	s_delay_alu instid0(VALU_DEP_1)
	v_and_or_b32 v3, 0x80, v3, v4
	global_store_b8 v[0:1], v3, off
.LBB217_2080:
	s_mov_b32 s2, 0
.LBB217_2081:
	s_delay_alu instid0(SALU_CYCLE_1)
	s_and_not1_b32 vcc_lo, exec_lo, s2
	s_mov_b32 s2, 0
	s_cbranch_vccnz .LBB217_2088
; %bb.2082:
	v_cmp_lt_i16_e32 vcc_lo, 14, v6
	s_mov_b32 s2, -1
	s_cbranch_vccz .LBB217_2086
; %bb.2083:
	v_cmp_eq_u16_e32 vcc_lo, 15, v6
	s_mov_b32 s0, -1
	s_cbranch_vccz .LBB217_2085
; %bb.2084:
	v_cvt_f32_f16_e32 v3, v2
	v_cmp_o_f16_e32 vcc_lo, v2, v2
	s_mov_b32 s0, 0
	s_delay_alu instid0(VALU_DEP_2) | instskip(NEXT) | instid1(VALU_DEP_1)
	v_bfe_u32 v4, v3, 16, 1
	v_add3_u32 v3, v3, v4, 0x7fff
	s_delay_alu instid0(VALU_DEP_1) | instskip(NEXT) | instid1(VALU_DEP_1)
	v_lshrrev_b32_e32 v3, 16, v3
	v_cndmask_b32_e32 v3, 0x7fc0, v3, vcc_lo
	global_store_b16 v[0:1], v3, off
.LBB217_2085:
	s_mov_b32 s2, 0
.LBB217_2086:
	s_delay_alu instid0(SALU_CYCLE_1)
	s_and_b32 vcc_lo, exec_lo, s2
	s_mov_b32 s2, 0
	s_cbranch_vccz .LBB217_2088
; %bb.2087:
	v_cmp_ne_u16_e64 s0, 11, v6
	s_mov_b32 s2, -1
.LBB217_2088:
	s_delay_alu instid0(VALU_DEP_1)
	s_and_b32 vcc_lo, exec_lo, s0
	s_cbranch_vccnz .LBB217_2165
.LBB217_2089:
	s_mov_b32 s0, 0
	s_branch .LBB217_2091
.LBB217_2090:
	s_mov_b32 s0, 0
	s_mov_b32 s2, 0
                                        ; implicit-def: $vgpr0_vgpr1
                                        ; implicit-def: $vgpr6
                                        ; implicit-def: $vgpr2
.LBB217_2091:
	s_and_b32 s3, s0, exec_lo
	s_and_not1_b32 s0, s8, exec_lo
	s_and_b32 s1, s1, exec_lo
	s_and_b32 s26, s2, exec_lo
	s_or_b32 s8, s0, s1
.LBB217_2092:
	s_or_b32 exec_lo, exec_lo, s9
	s_and_saveexec_b32 s0, s8
	s_cbranch_execz .LBB217_2095
; %bb.2093:
	; divergent unreachable
	s_or_b32 exec_lo, exec_lo, s0
	s_and_saveexec_b32 s0, s26
	s_delay_alu instid0(SALU_CYCLE_1)
	s_xor_b32 s0, exec_lo, s0
	s_cbranch_execnz .LBB217_2096
.LBB217_2094:
	s_or_b32 exec_lo, exec_lo, s0
	s_and_saveexec_b32 s0, s3
	s_cbranch_execnz .LBB217_2097
	s_branch .LBB217_2134
.LBB217_2095:
	s_or_b32 exec_lo, exec_lo, s0
	s_and_saveexec_b32 s0, s26
	s_delay_alu instid0(SALU_CYCLE_1)
	s_xor_b32 s0, exec_lo, s0
	s_cbranch_execz .LBB217_2094
.LBB217_2096:
	v_cmp_neq_f16_e32 vcc_lo, 0, v2
	v_cndmask_b32_e64 v3, 0, 1, vcc_lo
	global_store_b8 v[0:1], v3, off
	s_or_b32 exec_lo, exec_lo, s0
	s_and_saveexec_b32 s0, s3
	s_cbranch_execz .LBB217_2134
.LBB217_2097:
	s_waitcnt vmcnt(0)
	v_cmp_gt_i16_e32 vcc_lo, 5, v6
	s_mov_b32 s0, -1
	s_cbranch_vccnz .LBB217_2118
; %bb.2098:
	v_cmp_gt_i16_e32 vcc_lo, 8, v6
	s_cbranch_vccnz .LBB217_2108
; %bb.2099:
	v_cmp_gt_i16_e32 vcc_lo, 9, v6
	s_cbranch_vccnz .LBB217_2105
; %bb.2100:
	v_cmp_lt_i16_e32 vcc_lo, 9, v6
	s_cbranch_vccz .LBB217_2102
; %bb.2101:
	v_cvt_f32_f16_e32 v3, v2
	v_mov_b32_e32 v9, 0
	s_mov_b32 s0, 0
	s_delay_alu instid0(VALU_DEP_2) | instskip(NEXT) | instid1(VALU_DEP_2)
	v_cvt_f64_f32_e32 v[7:8], v3
	v_mov_b32_e32 v10, v9
	global_store_b128 v[0:1], v[7:10], off
.LBB217_2102:
	s_and_not1_b32 vcc_lo, exec_lo, s0
	s_cbranch_vccnz .LBB217_2104
; %bb.2103:
	v_cvt_f32_f16_e32 v3, v2
	v_mov_b32_e32 v4, 0
	global_store_b64 v[0:1], v[3:4], off
.LBB217_2104:
	s_mov_b32 s0, 0
.LBB217_2105:
	s_delay_alu instid0(SALU_CYCLE_1)
	s_and_not1_b32 vcc_lo, exec_lo, s0
	s_cbranch_vccnz .LBB217_2107
; %bb.2106:
	v_and_b32_e32 v3, 0xffff, v2
	global_store_b32 v[0:1], v3, off
.LBB217_2107:
	s_mov_b32 s0, 0
.LBB217_2108:
	s_delay_alu instid0(SALU_CYCLE_1)
	s_and_not1_b32 vcc_lo, exec_lo, s0
	s_cbranch_vccnz .LBB217_2117
; %bb.2109:
	v_cmp_gt_i16_e32 vcc_lo, 6, v6
	s_mov_b32 s0, -1
	s_cbranch_vccnz .LBB217_2115
; %bb.2110:
	v_cmp_lt_i16_e32 vcc_lo, 6, v6
	s_cbranch_vccz .LBB217_2112
; %bb.2111:
	v_cvt_f32_f16_e32 v3, v2
	s_mov_b32 s0, 0
	s_delay_alu instid0(VALU_DEP_1)
	v_cvt_f64_f32_e32 v[3:4], v3
	global_store_b64 v[0:1], v[3:4], off
.LBB217_2112:
	s_and_not1_b32 vcc_lo, exec_lo, s0
	s_cbranch_vccnz .LBB217_2114
; %bb.2113:
	v_cvt_f32_f16_e32 v3, v2
	global_store_b32 v[0:1], v3, off
.LBB217_2114:
	s_mov_b32 s0, 0
.LBB217_2115:
	s_delay_alu instid0(SALU_CYCLE_1)
	s_and_not1_b32 vcc_lo, exec_lo, s0
	s_cbranch_vccnz .LBB217_2117
; %bb.2116:
	global_store_b16 v[0:1], v2, off
.LBB217_2117:
	s_mov_b32 s0, 0
.LBB217_2118:
	s_delay_alu instid0(SALU_CYCLE_1)
	s_and_not1_b32 vcc_lo, exec_lo, s0
	s_cbranch_vccnz .LBB217_2134
; %bb.2119:
	v_cmp_gt_i16_e32 vcc_lo, 2, v6
	s_mov_b32 s0, -1
	s_cbranch_vccnz .LBB217_2129
; %bb.2120:
	v_cmp_gt_i16_e32 vcc_lo, 3, v6
	s_cbranch_vccnz .LBB217_2126
; %bb.2121:
	v_cmp_lt_i16_e32 vcc_lo, 3, v6
	s_cbranch_vccz .LBB217_2123
; %bb.2122:
	v_cvt_f32_f16_e32 v3, v2
	s_mov_b32 s0, 0
	s_delay_alu instid0(VALU_DEP_1) | instskip(NEXT) | instid1(VALU_DEP_1)
	v_cvt_i32_f32_e32 v3, v3
	v_ashrrev_i32_e32 v4, 31, v3
	global_store_b64 v[0:1], v[3:4], off
.LBB217_2123:
	s_and_not1_b32 vcc_lo, exec_lo, s0
	s_cbranch_vccnz .LBB217_2125
; %bb.2124:
	v_cvt_f32_f16_e32 v3, v2
	s_delay_alu instid0(VALU_DEP_1)
	v_cvt_i32_f32_e32 v3, v3
	global_store_b32 v[0:1], v3, off
.LBB217_2125:
	s_mov_b32 s0, 0
.LBB217_2126:
	s_delay_alu instid0(SALU_CYCLE_1)
	s_and_not1_b32 vcc_lo, exec_lo, s0
	s_cbranch_vccnz .LBB217_2128
; %bb.2127:
	v_cvt_i16_f16_e32 v3, v2
	global_store_b16 v[0:1], v3, off
.LBB217_2128:
	s_mov_b32 s0, 0
.LBB217_2129:
	s_delay_alu instid0(SALU_CYCLE_1)
	s_and_not1_b32 vcc_lo, exec_lo, s0
	s_cbranch_vccnz .LBB217_2134
; %bb.2130:
	v_cmp_lt_i16_e32 vcc_lo, 0, v6
	s_mov_b32 s0, -1
	s_cbranch_vccz .LBB217_2132
; %bb.2131:
	v_cvt_i16_f16_e32 v3, v2
	s_mov_b32 s0, 0
	global_store_b8 v[0:1], v3, off
.LBB217_2132:
	s_and_not1_b32 vcc_lo, exec_lo, s0
	s_cbranch_vccnz .LBB217_2134
; %bb.2133:
	v_cvt_f32_f16_e32 v2, v2
	s_delay_alu instid0(VALU_DEP_1)
	v_cvt_i32_f32_e32 v2, v2
	global_store_b8 v[0:1], v2, off
	s_nop 0
	s_sendmsg sendmsg(MSG_DEALLOC_VGPRS)
	s_endpgm
.LBB217_2134:
	s_nop 0
	s_sendmsg sendmsg(MSG_DEALLOC_VGPRS)
	s_endpgm
.LBB217_2135:
	s_cbranch_execnz .LBB217_2139
; %bb.2136:
	s_or_b32 s1, s1, exec_lo
                                        ; implicit-def: $vgpr11
	s_cbranch_execz .LBB217_1608
	s_branch .LBB217_1609
.LBB217_2137:
	s_or_saveexec_b32 s7, s7
                                        ; implicit-def: $sgpr10
	s_delay_alu instid0(SALU_CYCLE_1)
	s_xor_b32 exec_lo, exec_lo, s7
	s_cbranch_execz .LBB217_1688
.LBB217_2138:
	v_add_f32_e64 v10, 0x46000000, |v9|
	s_and_not1_b32 s6, s6, exec_lo
	s_mov_b32 s10, 0
	s_delay_alu instid0(VALU_DEP_1) | instskip(NEXT) | instid1(VALU_DEP_1)
	v_and_b32_e32 v10, 0xff, v10
	v_cmp_ne_u32_e32 vcc_lo, 0, v10
	s_and_b32 s11, vcc_lo, exec_lo
	s_delay_alu instid0(SALU_CYCLE_1)
	s_or_b32 s6, s6, s11
	s_or_b32 exec_lo, exec_lo, s7
	v_mov_b32_e32 v12, s10
	s_and_saveexec_b32 s7, s6
	s_cbranch_execnz .LBB217_1689
	s_branch .LBB217_1690
.LBB217_2139:
	s_trap 2
	s_sendmsg_rtn_b32 s0, sendmsg(MSG_RTN_GET_DOORBELL)
	s_mov_b32 ttmp2, m0
	s_waitcnt lgkmcnt(0)
	s_and_b32 s0, s0, 0x3ff
	s_delay_alu instid0(SALU_CYCLE_1) | instskip(NEXT) | instid1(SALU_CYCLE_1)
	s_bitset1_b32 s0, 10
	s_mov_b32 m0, s0
	s_sendmsg sendmsg(MSG_INTERRUPT)
	s_mov_b32 m0, ttmp2
.LBB217_2140:                           ; =>This Inner Loop Header: Depth=1
	s_sethalt 5
	s_branch .LBB217_2140
.LBB217_2141:
	s_cbranch_execnz .LBB217_2147
; %bb.2142:
	s_or_b32 s1, s1, exec_lo
	s_cbranch_execz .LBB217_1736
	s_branch .LBB217_1737
.LBB217_2143:
	s_or_saveexec_b32 s6, s6
                                        ; implicit-def: $sgpr7
	s_delay_alu instid0(SALU_CYCLE_1)
	s_xor_b32 exec_lo, exec_lo, s6
	s_cbranch_execz .LBB217_1701
.LBB217_2144:
	v_add_f32_e64 v10, 0x42800000, |v9|
	s_and_not1_b32 s3, s3, exec_lo
	s_mov_b32 s7, 0
	s_delay_alu instid0(VALU_DEP_1) | instskip(NEXT) | instid1(VALU_DEP_1)
	v_and_b32_e32 v10, 0xff, v10
	v_cmp_ne_u32_e32 vcc_lo, 0, v10
	s_and_b32 s10, vcc_lo, exec_lo
	s_delay_alu instid0(SALU_CYCLE_1)
	s_or_b32 s3, s3, s10
	s_or_b32 exec_lo, exec_lo, s6
	v_mov_b32_e32 v12, s7
	s_and_saveexec_b32 s6, s3
	s_cbranch_execnz .LBB217_1702
	s_branch .LBB217_1703
.LBB217_2145:
	s_or_saveexec_b32 s7, s7
                                        ; implicit-def: $sgpr10
	s_delay_alu instid0(SALU_CYCLE_1)
	s_xor_b32 exec_lo, exec_lo, s7
	s_cbranch_execz .LBB217_1806
.LBB217_2146:
	v_add_f32_e64 v8, 0x46000000, |v5|
	s_and_not1_b32 s6, s6, exec_lo
	s_mov_b32 s10, 0
	s_delay_alu instid0(VALU_DEP_1) | instskip(NEXT) | instid1(VALU_DEP_1)
	v_and_b32_e32 v8, 0xff, v8
	v_cmp_ne_u32_e32 vcc_lo, 0, v8
	s_and_b32 s11, vcc_lo, exec_lo
	s_delay_alu instid0(SALU_CYCLE_1)
	s_or_b32 s6, s6, s11
	s_or_b32 exec_lo, exec_lo, s7
	v_mov_b32_e32 v9, s10
	s_and_saveexec_b32 s7, s6
	s_cbranch_execnz .LBB217_1807
	s_branch .LBB217_1808
.LBB217_2147:
	s_trap 2
	s_sendmsg_rtn_b32 s0, sendmsg(MSG_RTN_GET_DOORBELL)
	s_mov_b32 ttmp2, m0
	s_waitcnt lgkmcnt(0)
	s_and_b32 s0, s0, 0x3ff
	s_delay_alu instid0(SALU_CYCLE_1) | instskip(NEXT) | instid1(SALU_CYCLE_1)
	s_bitset1_b32 s0, 10
	s_mov_b32 m0, s0
	s_sendmsg sendmsg(MSG_INTERRUPT)
	s_mov_b32 m0, ttmp2
.LBB217_2148:                           ; =>This Inner Loop Header: Depth=1
	s_sethalt 5
	s_branch .LBB217_2148
.LBB217_2149:
	s_cbranch_execnz .LBB217_2155
; %bb.2150:
	s_or_b32 s1, s1, exec_lo
	s_cbranch_execz .LBB217_1854
	s_branch .LBB217_1855
.LBB217_2151:
	s_or_saveexec_b32 s6, s6
                                        ; implicit-def: $sgpr7
	s_delay_alu instid0(SALU_CYCLE_1)
	s_xor_b32 exec_lo, exec_lo, s6
	s_cbranch_execz .LBB217_1819
.LBB217_2152:
	v_add_f32_e64 v8, 0x42800000, |v5|
	s_and_not1_b32 s3, s3, exec_lo
	s_mov_b32 s7, 0
	s_delay_alu instid0(VALU_DEP_1) | instskip(NEXT) | instid1(VALU_DEP_1)
	v_and_b32_e32 v8, 0xff, v8
	v_cmp_ne_u32_e32 vcc_lo, 0, v8
	s_and_b32 s10, vcc_lo, exec_lo
	s_delay_alu instid0(SALU_CYCLE_1)
	s_or_b32 s3, s3, s10
	s_or_b32 exec_lo, exec_lo, s6
	v_mov_b32_e32 v9, s7
	s_and_saveexec_b32 s6, s3
	s_cbranch_execnz .LBB217_1820
	s_branch .LBB217_1821
.LBB217_2153:
	s_or_saveexec_b32 s7, s7
                                        ; implicit-def: $sgpr10
	s_delay_alu instid0(SALU_CYCLE_1)
	s_xor_b32 exec_lo, exec_lo, s7
	s_cbranch_execz .LBB217_1924
.LBB217_2154:
	v_add_f32_e64 v5, 0x46000000, |v4|
	s_and_not1_b32 s6, s6, exec_lo
	s_mov_b32 s10, 0
	s_delay_alu instid0(VALU_DEP_1) | instskip(NEXT) | instid1(VALU_DEP_1)
	v_and_b32_e32 v5, 0xff, v5
	v_cmp_ne_u32_e32 vcc_lo, 0, v5
	s_and_b32 s11, vcc_lo, exec_lo
	s_delay_alu instid0(SALU_CYCLE_1)
	s_or_b32 s6, s6, s11
	s_or_b32 exec_lo, exec_lo, s7
	v_mov_b32_e32 v7, s10
	s_and_saveexec_b32 s7, s6
	s_cbranch_execnz .LBB217_1925
	s_branch .LBB217_1926
.LBB217_2155:
	s_trap 2
	s_sendmsg_rtn_b32 s0, sendmsg(MSG_RTN_GET_DOORBELL)
	s_mov_b32 ttmp2, m0
	s_waitcnt lgkmcnt(0)
	s_and_b32 s0, s0, 0x3ff
	s_delay_alu instid0(SALU_CYCLE_1) | instskip(NEXT) | instid1(SALU_CYCLE_1)
	s_bitset1_b32 s0, 10
	s_mov_b32 m0, s0
	s_sendmsg sendmsg(MSG_INTERRUPT)
	s_mov_b32 m0, ttmp2
.LBB217_2156:                           ; =>This Inner Loop Header: Depth=1
	s_sethalt 5
	s_branch .LBB217_2156
.LBB217_2157:
	s_cbranch_execnz .LBB217_2163
; %bb.2158:
	s_or_b32 s1, s1, exec_lo
	s_cbranch_execz .LBB217_1972
	s_branch .LBB217_1973
.LBB217_2159:
	s_or_saveexec_b32 s6, s6
                                        ; implicit-def: $sgpr7
	s_delay_alu instid0(SALU_CYCLE_1)
	s_xor_b32 exec_lo, exec_lo, s6
	s_cbranch_execz .LBB217_1937
.LBB217_2160:
	v_add_f32_e64 v5, 0x42800000, |v4|
	s_and_not1_b32 s3, s3, exec_lo
	s_mov_b32 s7, 0
	s_delay_alu instid0(VALU_DEP_1) | instskip(NEXT) | instid1(VALU_DEP_1)
	v_and_b32_e32 v5, 0xff, v5
	v_cmp_ne_u32_e32 vcc_lo, 0, v5
	s_and_b32 s10, vcc_lo, exec_lo
	s_delay_alu instid0(SALU_CYCLE_1)
	s_or_b32 s3, s3, s10
	s_or_b32 exec_lo, exec_lo, s6
	v_mov_b32_e32 v7, s7
	s_and_saveexec_b32 s6, s3
	s_cbranch_execnz .LBB217_1938
	s_branch .LBB217_1939
.LBB217_2161:
	s_or_saveexec_b32 s5, s5
                                        ; implicit-def: $sgpr6
	s_delay_alu instid0(SALU_CYCLE_1)
	s_xor_b32 exec_lo, exec_lo, s5
	s_cbranch_execz .LBB217_2043
.LBB217_2162:
	v_add_f32_e64 v4, 0x46000000, |v3|
	s_and_not1_b32 s4, s4, exec_lo
	s_mov_b32 s6, 0
	s_delay_alu instid0(VALU_DEP_1) | instskip(NEXT) | instid1(VALU_DEP_1)
	v_and_b32_e32 v4, 0xff, v4
	v_cmp_ne_u32_e32 vcc_lo, 0, v4
	s_and_b32 s7, vcc_lo, exec_lo
	s_delay_alu instid0(SALU_CYCLE_1)
	s_or_b32 s4, s4, s7
	s_or_b32 exec_lo, exec_lo, s5
	v_mov_b32_e32 v5, s6
	s_and_saveexec_b32 s5, s4
	s_cbranch_execnz .LBB217_2044
	s_branch .LBB217_2045
.LBB217_2163:
	s_trap 2
	s_sendmsg_rtn_b32 s0, sendmsg(MSG_RTN_GET_DOORBELL)
	s_mov_b32 ttmp2, m0
	s_waitcnt lgkmcnt(0)
	s_and_b32 s0, s0, 0x3ff
	s_delay_alu instid0(SALU_CYCLE_1) | instskip(NEXT) | instid1(SALU_CYCLE_1)
	s_bitset1_b32 s0, 10
	s_mov_b32 m0, s0
	s_sendmsg sendmsg(MSG_INTERRUPT)
	s_mov_b32 m0, ttmp2
.LBB217_2164:                           ; =>This Inner Loop Header: Depth=1
	s_sethalt 5
	s_branch .LBB217_2164
.LBB217_2165:
	s_cbranch_execnz .LBB217_2169
; %bb.2166:
	s_mov_b32 s2, 0
	s_or_b32 s1, s1, exec_lo
	s_branch .LBB217_2089
.LBB217_2167:
	s_or_saveexec_b32 s4, s4
                                        ; implicit-def: $sgpr5
	s_delay_alu instid0(SALU_CYCLE_1)
	s_xor_b32 exec_lo, exec_lo, s4
	s_cbranch_execz .LBB217_2055
.LBB217_2168:
	v_add_f32_e64 v4, 0x42800000, |v3|
	s_and_not1_b32 s3, s3, exec_lo
	s_mov_b32 s5, 0
	s_delay_alu instid0(VALU_DEP_1) | instskip(NEXT) | instid1(VALU_DEP_1)
	v_and_b32_e32 v4, 0xff, v4
	v_cmp_ne_u32_e32 vcc_lo, 0, v4
	s_and_b32 s6, vcc_lo, exec_lo
	s_delay_alu instid0(SALU_CYCLE_1)
	s_or_b32 s3, s3, s6
	s_or_b32 exec_lo, exec_lo, s4
	v_mov_b32_e32 v5, s5
	s_and_saveexec_b32 s4, s3
	s_cbranch_execnz .LBB217_2056
	s_branch .LBB217_2057
.LBB217_2169:
	s_trap 2
	s_sendmsg_rtn_b32 s0, sendmsg(MSG_RTN_GET_DOORBELL)
	s_mov_b32 ttmp2, m0
	s_waitcnt lgkmcnt(0)
	s_and_b32 s0, s0, 0x3ff
	s_delay_alu instid0(SALU_CYCLE_1) | instskip(NEXT) | instid1(SALU_CYCLE_1)
	s_bitset1_b32 s0, 10
	s_mov_b32 m0, s0
	s_sendmsg sendmsg(MSG_INTERRUPT)
	s_mov_b32 m0, ttmp2
.LBB217_2170:                           ; =>This Inner Loop Header: Depth=1
	s_sethalt 5
	s_branch .LBB217_2170
	.section	.rodata,"a",@progbits
	.p2align	6, 0x0
	.amdhsa_kernel _ZN2at6native32elementwise_kernel_manual_unrollILi128ELi4EZNS0_15gpu_kernel_implIZZZNS0_17rsqrt_kernel_cudaERNS_18TensorIteratorBaseEENKUlvE0_clEvENKUlvE2_clEvEUlN3c104HalfEE_EEvS4_RKT_EUlibE0_EEviT1_
		.amdhsa_group_segment_fixed_size 0
		.amdhsa_private_segment_fixed_size 0
		.amdhsa_kernarg_size 360
		.amdhsa_user_sgpr_count 15
		.amdhsa_user_sgpr_dispatch_ptr 0
		.amdhsa_user_sgpr_queue_ptr 0
		.amdhsa_user_sgpr_kernarg_segment_ptr 1
		.amdhsa_user_sgpr_dispatch_id 0
		.amdhsa_user_sgpr_private_segment_size 0
		.amdhsa_wavefront_size32 1
		.amdhsa_uses_dynamic_stack 0
		.amdhsa_enable_private_segment 0
		.amdhsa_system_sgpr_workgroup_id_x 1
		.amdhsa_system_sgpr_workgroup_id_y 0
		.amdhsa_system_sgpr_workgroup_id_z 0
		.amdhsa_system_sgpr_workgroup_info 0
		.amdhsa_system_vgpr_workitem_id 0
		.amdhsa_next_free_vgpr 18
		.amdhsa_next_free_sgpr 68
		.amdhsa_reserve_vcc 1
		.amdhsa_float_round_mode_32 0
		.amdhsa_float_round_mode_16_64 0
		.amdhsa_float_denorm_mode_32 3
		.amdhsa_float_denorm_mode_16_64 3
		.amdhsa_dx10_clamp 1
		.amdhsa_ieee_mode 1
		.amdhsa_fp16_overflow 0
		.amdhsa_workgroup_processor_mode 1
		.amdhsa_memory_ordered 1
		.amdhsa_forward_progress 0
		.amdhsa_shared_vgpr_count 0
		.amdhsa_exception_fp_ieee_invalid_op 0
		.amdhsa_exception_fp_denorm_src 0
		.amdhsa_exception_fp_ieee_div_zero 0
		.amdhsa_exception_fp_ieee_overflow 0
		.amdhsa_exception_fp_ieee_underflow 0
		.amdhsa_exception_fp_ieee_inexact 0
		.amdhsa_exception_int_div_zero 0
	.end_amdhsa_kernel
	.section	.text._ZN2at6native32elementwise_kernel_manual_unrollILi128ELi4EZNS0_15gpu_kernel_implIZZZNS0_17rsqrt_kernel_cudaERNS_18TensorIteratorBaseEENKUlvE0_clEvENKUlvE2_clEvEUlN3c104HalfEE_EEvS4_RKT_EUlibE0_EEviT1_,"axG",@progbits,_ZN2at6native32elementwise_kernel_manual_unrollILi128ELi4EZNS0_15gpu_kernel_implIZZZNS0_17rsqrt_kernel_cudaERNS_18TensorIteratorBaseEENKUlvE0_clEvENKUlvE2_clEvEUlN3c104HalfEE_EEvS4_RKT_EUlibE0_EEviT1_,comdat
.Lfunc_end217:
	.size	_ZN2at6native32elementwise_kernel_manual_unrollILi128ELi4EZNS0_15gpu_kernel_implIZZZNS0_17rsqrt_kernel_cudaERNS_18TensorIteratorBaseEENKUlvE0_clEvENKUlvE2_clEvEUlN3c104HalfEE_EEvS4_RKT_EUlibE0_EEviT1_, .Lfunc_end217-_ZN2at6native32elementwise_kernel_manual_unrollILi128ELi4EZNS0_15gpu_kernel_implIZZZNS0_17rsqrt_kernel_cudaERNS_18TensorIteratorBaseEENKUlvE0_clEvENKUlvE2_clEvEUlN3c104HalfEE_EEvS4_RKT_EUlibE0_EEviT1_
                                        ; -- End function
	.section	.AMDGPU.csdata,"",@progbits
; Kernel info:
; codeLenInByte = 42052
; NumSgprs: 70
; NumVgprs: 18
; ScratchSize: 0
; MemoryBound: 0
; FloatMode: 240
; IeeeMode: 1
; LDSByteSize: 0 bytes/workgroup (compile time only)
; SGPRBlocks: 8
; VGPRBlocks: 2
; NumSGPRsForWavesPerEU: 70
; NumVGPRsForWavesPerEU: 18
; Occupancy: 16
; WaveLimiterHint : 1
; COMPUTE_PGM_RSRC2:SCRATCH_EN: 0
; COMPUTE_PGM_RSRC2:USER_SGPR: 15
; COMPUTE_PGM_RSRC2:TRAP_HANDLER: 0
; COMPUTE_PGM_RSRC2:TGID_X_EN: 1
; COMPUTE_PGM_RSRC2:TGID_Y_EN: 0
; COMPUTE_PGM_RSRC2:TGID_Z_EN: 0
; COMPUTE_PGM_RSRC2:TIDIG_COMP_CNT: 0
	.section	.text._ZN2at6native29vectorized_elementwise_kernelILi16EZZZNS0_16sqrt_kernel_cudaERNS_18TensorIteratorBaseEENKUlvE_clEvENKUlvE_clEvEUlN3c107complexIdEEE_St5arrayIPcLm2EEEEviT0_T1_,"axG",@progbits,_ZN2at6native29vectorized_elementwise_kernelILi16EZZZNS0_16sqrt_kernel_cudaERNS_18TensorIteratorBaseEENKUlvE_clEvENKUlvE_clEvEUlN3c107complexIdEEE_St5arrayIPcLm2EEEEviT0_T1_,comdat
	.globl	_ZN2at6native29vectorized_elementwise_kernelILi16EZZZNS0_16sqrt_kernel_cudaERNS_18TensorIteratorBaseEENKUlvE_clEvENKUlvE_clEvEUlN3c107complexIdEEE_St5arrayIPcLm2EEEEviT0_T1_ ; -- Begin function _ZN2at6native29vectorized_elementwise_kernelILi16EZZZNS0_16sqrt_kernel_cudaERNS_18TensorIteratorBaseEENKUlvE_clEvENKUlvE_clEvEUlN3c107complexIdEEE_St5arrayIPcLm2EEEEviT0_T1_
	.p2align	8
	.type	_ZN2at6native29vectorized_elementwise_kernelILi16EZZZNS0_16sqrt_kernel_cudaERNS_18TensorIteratorBaseEENKUlvE_clEvENKUlvE_clEvEUlN3c107complexIdEEE_St5arrayIPcLm2EEEEviT0_T1_,@function
_ZN2at6native29vectorized_elementwise_kernelILi16EZZZNS0_16sqrt_kernel_cudaERNS_18TensorIteratorBaseEENKUlvE_clEvENKUlvE_clEvEUlN3c107complexIdEEE_St5arrayIPcLm2EEEEviT0_T1_: ; @_ZN2at6native29vectorized_elementwise_kernelILi16EZZZNS0_16sqrt_kernel_cudaERNS_18TensorIteratorBaseEENKUlvE_clEvENKUlvE_clEvEUlN3c107complexIdEEE_St5arrayIPcLm2EEEEviT0_T1_
; %bb.0:
	s_clause 0x1
	s_load_b32 s2, s[0:1], 0x0
	s_load_b128 s[4:7], s[0:1], 0x8
	s_lshl_b32 s8, s15, 10
	s_mov_b32 s0, -1
	s_waitcnt lgkmcnt(0)
	s_sub_i32 s10, s2, s8
	s_delay_alu instid0(SALU_CYCLE_1)
	s_cmpk_gt_i32 s10, 0x3ff
	s_cbranch_scc0 .LBB218_130
; %bb.1:
	s_ashr_i32 s9, s8, 31
	v_lshlrev_b32_e32 v25, 6, v0
	s_lshl_b64 s[2:3], s[8:9], 4
	v_mov_b32_e32 v17, 0
	v_mov_b32_e32 v18, 0
	s_add_u32 s0, s6, s2
	s_addc_u32 s1, s7, s3
	s_clause 0x3
	global_load_b128 v[13:16], v25, s[0:1]
	global_load_b128 v[9:12], v25, s[0:1] offset:16
	global_load_b128 v[1:4], v25, s[0:1] offset:48
	;; [unrolled: 1-line block ×3, first 2 shown]
	v_dual_mov_b32 v22, v18 :: v_dual_mov_b32 v21, v17
	s_waitcnt vmcnt(3)
	v_cmp_neq_f64_e32 vcc_lo, 0, v[13:14]
	v_cmp_neq_f64_e64 s0, 0, v[15:16]
	s_delay_alu instid0(VALU_DEP_1) | instskip(NEXT) | instid1(SALU_CYCLE_1)
	s_or_b32 s0, vcc_lo, s0
	s_and_saveexec_b32 s9, s0
	s_cbranch_execz .LBB218_33
; %bb.2:
	s_mov_b32 s0, 0
	s_mov_b32 s1, 0x7ff00000
	v_mov_b32_e32 v21, s0
	v_mov_b32_e32 v22, s1
	s_mov_b32 s11, exec_lo
	v_cmpx_neq_f64_e64 0x7ff00000, |v[15:16]|
	s_cbranch_execz .LBB218_32
; %bb.3:
	s_mov_b32 s0, exec_lo
	v_cmpx_o_f64_e32 v[13:14], v[13:14]
	s_xor_b32 s12, exec_lo, s0
	s_cbranch_execz .LBB218_29
; %bb.4:
	s_mov_b32 s1, exec_lo
	v_cmpx_neq_f64_e64 0x7ff00000, |v[13:14]|
	s_xor_b32 s13, exec_lo, s1
	s_cbranch_execz .LBB218_22
; %bb.5:
	v_max_f64 v[19:20], |v[15:16]|, |v[15:16]|
	v_max_f64 v[21:22], |v[13:14]|, |v[13:14]|
	s_mov_b32 s0, 0x99fcef32
	s_mov_b32 s1, 0x7fda8279
                                        ; implicit-def: $sgpr14
	s_delay_alu instid0(VALU_DEP_1) | instskip(NEXT) | instid1(VALU_DEP_1)
	v_max_f64 v[19:20], v[21:22], v[19:20]
	v_cmp_nle_f64_e64 s0, s[0:1], v[19:20]
	s_delay_alu instid0(VALU_DEP_1) | instskip(NEXT) | instid1(SALU_CYCLE_1)
	s_and_saveexec_b32 s1, s0
	s_xor_b32 s1, exec_lo, s1
	s_cbranch_execz .LBB218_9
; %bb.6:
	v_cmp_ge_f64_e64 s14, 0x200000, |v[13:14]|
	v_cmp_ge_f64_e64 s15, 0x200000, |v[15:16]|
	s_delay_alu instid0(VALU_DEP_1)
	s_and_b32 s16, s14, s15
	s_mov_b32 s14, 0
	s_and_saveexec_b32 s15, s16
; %bb.7:
	v_mul_f64 v[13:14], v[13:14], 4.0
	v_mul_f64 v[15:16], v[15:16], 4.0
	s_mov_b32 s14, exec_lo
; %bb.8:
	s_or_b32 exec_lo, exec_lo, s15
	s_delay_alu instid0(SALU_CYCLE_1)
	s_and_b32 s14, s14, exec_lo
.LBB218_9:
	s_and_not1_saveexec_b32 s1, s1
; %bb.10:
	s_delay_alu instid0(VALU_DEP_2) | instskip(NEXT) | instid1(VALU_DEP_2)
	v_ldexp_f64 v[13:14], v[13:14], -2
	v_ldexp_f64 v[15:16], v[15:16], -2
	s_and_not1_b32 s14, s14, exec_lo
; %bb.11:
	s_or_b32 exec_lo, exec_lo, s1
	s_delay_alu instid0(VALU_DEP_1) | instskip(NEXT) | instid1(VALU_DEP_3)
	v_max_f64 v[19:20], |v[15:16]|, |v[15:16]|
	v_max_f64 v[21:22], |v[13:14]|, |v[13:14]|
	v_cmp_class_f64_e64 s15, v[13:14], 0x204
	v_cmp_class_f64_e64 s16, v[15:16], 0x204
	v_cmp_le_f64_e64 s1, 0, v[13:14]
	s_delay_alu instid0(VALU_DEP_4) | instskip(NEXT) | instid1(VALU_DEP_3)
	v_max_f64 v[19:20], v[21:22], v[19:20]
	s_or_b32 s15, s16, s15
	s_delay_alu instid0(VALU_DEP_1) | instskip(NEXT) | instid1(VALU_DEP_1)
	v_frexp_exp_i32_f64_e32 v28, v[19:20]
	v_sub_nc_u32_e32 v21, 0, v28
	s_delay_alu instid0(VALU_DEP_1) | instskip(SKIP_1) | instid1(VALU_DEP_2)
	v_ldexp_f64 v[19:20], |v[15:16]|, v21
	v_ldexp_f64 v[21:22], |v[13:14]|, v21
	v_mul_f64 v[19:20], v[19:20], v[19:20]
	s_delay_alu instid0(VALU_DEP_1) | instskip(NEXT) | instid1(VALU_DEP_1)
	v_fma_f64 v[19:20], v[21:22], v[21:22], v[19:20]
	v_rsq_f64_e32 v[21:22], v[19:20]
	v_cmp_eq_f64_e32 vcc_lo, 0, v[19:20]
	s_waitcnt_depctr 0xfff
	v_mul_f64 v[23:24], v[19:20], v[21:22]
	v_mul_f64 v[21:22], v[21:22], 0.5
	s_delay_alu instid0(VALU_DEP_1) | instskip(NEXT) | instid1(VALU_DEP_1)
	v_fma_f64 v[26:27], -v[21:22], v[23:24], 0.5
	v_fma_f64 v[23:24], v[23:24], v[26:27], v[23:24]
	v_fma_f64 v[21:22], v[21:22], v[26:27], v[21:22]
	s_delay_alu instid0(VALU_DEP_2) | instskip(NEXT) | instid1(VALU_DEP_1)
	v_fma_f64 v[26:27], -v[23:24], v[23:24], v[19:20]
	v_fma_f64 v[21:22], v[26:27], v[21:22], v[23:24]
	s_delay_alu instid0(VALU_DEP_1) | instskip(SKIP_1) | instid1(VALU_DEP_2)
	v_dual_cndmask_b32 v20, v22, v20 :: v_dual_cndmask_b32 v19, v21, v19
	v_cmp_o_f64_e32 vcc_lo, v[15:16], v[15:16]
	v_ldexp_f64 v[19:20], v[19:20], v28
	s_delay_alu instid0(VALU_DEP_1) | instskip(NEXT) | instid1(VALU_DEP_2)
	v_cndmask_b32_e32 v19, 0, v19, vcc_lo
	v_cndmask_b32_e32 v20, 0x7ff80000, v20, vcc_lo
	s_delay_alu instid0(VALU_DEP_2) | instskip(NEXT) | instid1(VALU_DEP_2)
	v_cndmask_b32_e64 v19, v19, 0, s15
	v_cndmask_b32_e64 v20, v20, 0x7ff00000, s15
	s_and_saveexec_b32 s15, s1
	s_delay_alu instid0(SALU_CYCLE_1)
	s_xor_b32 s1, exec_lo, s15
	s_cbranch_execz .LBB218_17
; %bb.12:
	s_delay_alu instid0(VALU_DEP_1) | instskip(NEXT) | instid1(VALU_DEP_1)
	v_add_f64 v[13:14], v[13:14], v[19:20]
	v_mul_f64 v[13:14], v[13:14], 0.5
	s_delay_alu instid0(VALU_DEP_1) | instskip(SKIP_1) | instid1(VALU_DEP_1)
	v_cmp_gt_f64_e32 vcc_lo, 0x10000000, v[13:14]
	v_cndmask_b32_e64 v19, 0, 1, vcc_lo
	v_lshlrev_b32_e32 v19, 8, v19
	s_delay_alu instid0(VALU_DEP_1) | instskip(NEXT) | instid1(VALU_DEP_1)
	v_ldexp_f64 v[13:14], v[13:14], v19
	v_rsq_f64_e32 v[19:20], v[13:14]
	s_waitcnt_depctr 0xfff
	v_mul_f64 v[21:22], v[13:14], v[19:20]
	v_mul_f64 v[19:20], v[19:20], 0.5
	s_delay_alu instid0(VALU_DEP_1) | instskip(NEXT) | instid1(VALU_DEP_1)
	v_fma_f64 v[23:24], -v[19:20], v[21:22], 0.5
	v_fma_f64 v[21:22], v[21:22], v[23:24], v[21:22]
	v_fma_f64 v[19:20], v[19:20], v[23:24], v[19:20]
	s_delay_alu instid0(VALU_DEP_2) | instskip(NEXT) | instid1(VALU_DEP_1)
	v_fma_f64 v[23:24], -v[21:22], v[21:22], v[13:14]
	v_fma_f64 v[21:22], v[23:24], v[19:20], v[21:22]
	s_delay_alu instid0(VALU_DEP_1) | instskip(NEXT) | instid1(VALU_DEP_1)
	v_fma_f64 v[23:24], -v[21:22], v[21:22], v[13:14]
	v_fma_f64 v[19:20], v[23:24], v[19:20], v[21:22]
	v_cndmask_b32_e64 v21, 0, 0xffffff80, vcc_lo
	v_cmp_class_f64_e64 vcc_lo, v[13:14], 0x260
	s_delay_alu instid0(VALU_DEP_2) | instskip(NEXT) | instid1(VALU_DEP_1)
	v_ldexp_f64 v[19:20], v[19:20], v21
	v_dual_cndmask_b32 v14, v20, v14 :: v_dual_cndmask_b32 v13, v19, v13
	s_delay_alu instid0(VALU_DEP_1) | instskip(NEXT) | instid1(VALU_DEP_1)
	v_add_f64 v[19:20], v[13:14], v[13:14]
	v_div_scale_f64 v[21:22], null, v[19:20], v[19:20], v[15:16]
	s_delay_alu instid0(VALU_DEP_1) | instskip(SKIP_2) | instid1(VALU_DEP_1)
	v_rcp_f64_e32 v[23:24], v[21:22]
	s_waitcnt_depctr 0xfff
	v_fma_f64 v[26:27], -v[21:22], v[23:24], 1.0
	v_fma_f64 v[23:24], v[23:24], v[26:27], v[23:24]
	s_delay_alu instid0(VALU_DEP_1) | instskip(NEXT) | instid1(VALU_DEP_1)
	v_fma_f64 v[26:27], -v[21:22], v[23:24], 1.0
	v_fma_f64 v[23:24], v[23:24], v[26:27], v[23:24]
	v_div_scale_f64 v[26:27], vcc_lo, v[15:16], v[19:20], v[15:16]
	s_delay_alu instid0(VALU_DEP_1) | instskip(NEXT) | instid1(VALU_DEP_1)
	v_mul_f64 v[28:29], v[26:27], v[23:24]
	v_fma_f64 v[21:22], -v[21:22], v[28:29], v[26:27]
	s_delay_alu instid0(VALU_DEP_1) | instskip(NEXT) | instid1(VALU_DEP_1)
	v_div_fmas_f64 v[21:22], v[21:22], v[23:24], v[28:29]
	v_div_fixup_f64 v[15:16], v[21:22], v[19:20], v[15:16]
                                        ; implicit-def: $vgpr19_vgpr20
	s_and_not1_saveexec_b32 s1, s1
	s_cbranch_execnz .LBB218_18
.LBB218_13:
	s_or_b32 exec_lo, exec_lo, s1
	s_and_saveexec_b32 s1, s0
	s_delay_alu instid0(SALU_CYCLE_1)
	s_xor_b32 s0, exec_lo, s1
	s_cbranch_execz .LBB218_19
.LBB218_14:
	s_and_saveexec_b32 s1, s14
; %bb.15:
	s_delay_alu instid0(VALU_DEP_2) | instskip(NEXT) | instid1(VALU_DEP_2)
	v_mul_f64 v[13:14], v[13:14], 0.5
	v_mul_f64 v[15:16], v[15:16], 0.5
; %bb.16:
	s_or_b32 exec_lo, exec_lo, s1
	s_and_not1_saveexec_b32 s0, s0
	s_cbranch_execnz .LBB218_20
	s_branch .LBB218_21
.LBB218_17:
	s_and_not1_saveexec_b32 s1, s1
	s_cbranch_execz .LBB218_13
.LBB218_18:
	v_add_f64 v[13:14], v[19:20], -v[13:14]
	s_delay_alu instid0(VALU_DEP_1) | instskip(NEXT) | instid1(VALU_DEP_1)
	v_mul_f64 v[13:14], v[13:14], 0.5
	v_cmp_gt_f64_e32 vcc_lo, 0x10000000, v[13:14]
	v_cndmask_b32_e64 v19, 0, 1, vcc_lo
	s_delay_alu instid0(VALU_DEP_1) | instskip(NEXT) | instid1(VALU_DEP_1)
	v_lshlrev_b32_e32 v19, 8, v19
	v_ldexp_f64 v[13:14], v[13:14], v19
	s_delay_alu instid0(VALU_DEP_1) | instskip(SKIP_3) | instid1(VALU_DEP_1)
	v_rsq_f64_e32 v[19:20], v[13:14]
	s_waitcnt_depctr 0xfff
	v_mul_f64 v[21:22], v[13:14], v[19:20]
	v_mul_f64 v[19:20], v[19:20], 0.5
	v_fma_f64 v[23:24], -v[19:20], v[21:22], 0.5
	s_delay_alu instid0(VALU_DEP_1) | instskip(SKIP_1) | instid1(VALU_DEP_2)
	v_fma_f64 v[21:22], v[21:22], v[23:24], v[21:22]
	v_fma_f64 v[19:20], v[19:20], v[23:24], v[19:20]
	v_fma_f64 v[23:24], -v[21:22], v[21:22], v[13:14]
	s_delay_alu instid0(VALU_DEP_1) | instskip(NEXT) | instid1(VALU_DEP_1)
	v_fma_f64 v[21:22], v[23:24], v[19:20], v[21:22]
	v_fma_f64 v[23:24], -v[21:22], v[21:22], v[13:14]
	s_delay_alu instid0(VALU_DEP_1) | instskip(SKIP_3) | instid1(VALU_DEP_3)
	v_fma_f64 v[19:20], v[23:24], v[19:20], v[21:22]
	v_cndmask_b32_e64 v21, 0, 0xffffff80, vcc_lo
	v_cmp_class_f64_e64 vcc_lo, v[13:14], 0x260
	v_and_b32_e32 v22, 0x7fffffff, v16
	v_ldexp_f64 v[19:20], v[19:20], v21
	s_delay_alu instid0(VALU_DEP_1) | instskip(NEXT) | instid1(VALU_DEP_1)
	v_dual_cndmask_b32 v20, v20, v14 :: v_dual_cndmask_b32 v19, v19, v13
	v_add_f64 v[13:14], v[19:20], v[19:20]
	v_bfi_b32 v20, 0x7fffffff, v20, v16
	v_mov_b32_e32 v21, v15
	s_delay_alu instid0(VALU_DEP_1) | instskip(SKIP_1) | instid1(VALU_DEP_2)
	v_div_scale_f64 v[23:24], null, v[13:14], v[13:14], v[21:22]
	v_div_scale_f64 v[21:22], vcc_lo, v[21:22], v[13:14], v[21:22]
	v_rcp_f64_e32 v[26:27], v[23:24]
	s_waitcnt_depctr 0xfff
	v_fma_f64 v[28:29], -v[23:24], v[26:27], 1.0
	s_delay_alu instid0(VALU_DEP_1) | instskip(NEXT) | instid1(VALU_DEP_1)
	v_fma_f64 v[26:27], v[26:27], v[28:29], v[26:27]
	v_fma_f64 v[28:29], -v[23:24], v[26:27], 1.0
	s_delay_alu instid0(VALU_DEP_1) | instskip(NEXT) | instid1(VALU_DEP_1)
	v_fma_f64 v[26:27], v[26:27], v[28:29], v[26:27]
	v_mul_f64 v[28:29], v[21:22], v[26:27]
	s_delay_alu instid0(VALU_DEP_1) | instskip(NEXT) | instid1(VALU_DEP_1)
	v_fma_f64 v[21:22], -v[23:24], v[28:29], v[21:22]
	v_div_fmas_f64 v[21:22], v[21:22], v[26:27], v[28:29]
	s_delay_alu instid0(VALU_DEP_1) | instskip(SKIP_3) | instid1(SALU_CYCLE_1)
	v_div_fixup_f64 v[13:14], v[21:22], v[13:14], |v[15:16]|
	v_dual_mov_b32 v15, v19 :: v_dual_mov_b32 v16, v20
	s_or_b32 exec_lo, exec_lo, s1
	s_and_saveexec_b32 s1, s0
	s_xor_b32 s0, exec_lo, s1
	s_cbranch_execnz .LBB218_14
.LBB218_19:
	s_and_not1_saveexec_b32 s0, s0
.LBB218_20:
	s_delay_alu instid0(VALU_DEP_2) | instskip(NEXT) | instid1(VALU_DEP_2)
	v_add_f64 v[13:14], v[13:14], v[13:14]
	v_add_f64 v[15:16], v[15:16], v[15:16]
.LBB218_21:
	s_or_b32 exec_lo, exec_lo, s0
.LBB218_22:
	s_and_not1_saveexec_b32 s0, s13
	s_cbranch_execz .LBB218_28
; %bb.23:
	s_delay_alu instid0(VALU_DEP_1) | instskip(SKIP_1) | instid1(VALU_DEP_3)
	v_add_f64 v[19:20], v[15:16], -v[15:16]
	s_mov_b32 s1, exec_lo
	v_cmpx_lt_i64_e32 -1, v[13:14]
	s_xor_b32 s1, exec_lo, s1
; %bb.24:
	s_delay_alu instid0(VALU_DEP_2) | instskip(NEXT) | instid1(VALU_DEP_1)
	v_bfi_b32 v20, 0x7fffffff, v20, v16
	v_dual_mov_b32 v15, v19 :: v_dual_mov_b32 v16, v20
                                        ; implicit-def: $vgpr19_vgpr20
; %bb.25:
	s_and_not1_saveexec_b32 s1, s1
; %bb.26:
	s_delay_alu instid0(VALU_DEP_1) | instskip(SKIP_1) | instid1(VALU_DEP_2)
	v_bfi_b32 v14, 0x7fffffff, v14, v16
	v_and_b32_e32 v20, 0x7fffffff, v20
	v_dual_mov_b32 v16, v14 :: v_dual_mov_b32 v15, v13
	s_delay_alu instid0(VALU_DEP_2)
	v_dual_mov_b32 v13, v19 :: v_dual_mov_b32 v14, v20
; %bb.27:
	s_or_b32 exec_lo, exec_lo, s1
.LBB218_28:
	s_delay_alu instid0(SALU_CYCLE_1)
	s_or_b32 exec_lo, exec_lo, s0
.LBB218_29:
	s_and_not1_saveexec_b32 s0, s12
; %bb.30:
	s_delay_alu instid0(VALU_DEP_1) | instskip(NEXT) | instid1(VALU_DEP_1)
	v_add_f64 v[15:16], v[15:16], -v[15:16]
	v_div_scale_f64 v[19:20], vcc_lo, v[15:16], v[15:16], v[15:16]
	s_delay_alu instid0(VALU_DEP_1) | instskip(SKIP_2) | instid1(VALU_DEP_1)
	v_rcp_f64_e32 v[21:22], v[19:20]
	s_waitcnt_depctr 0xfff
	v_fma_f64 v[23:24], -v[19:20], v[21:22], 1.0
	v_fma_f64 v[21:22], v[21:22], v[23:24], v[21:22]
	s_delay_alu instid0(VALU_DEP_1) | instskip(NEXT) | instid1(VALU_DEP_1)
	v_fma_f64 v[23:24], -v[19:20], v[21:22], 1.0
	v_fma_f64 v[21:22], v[21:22], v[23:24], v[21:22]
	s_delay_alu instid0(VALU_DEP_1) | instskip(NEXT) | instid1(VALU_DEP_1)
	v_mul_f64 v[23:24], v[19:20], v[21:22]
	v_fma_f64 v[19:20], -v[19:20], v[23:24], v[19:20]
	s_delay_alu instid0(VALU_DEP_1) | instskip(NEXT) | instid1(VALU_DEP_1)
	v_div_fmas_f64 v[19:20], v[19:20], v[21:22], v[23:24]
	v_div_fixup_f64 v[15:16], v[19:20], v[15:16], v[15:16]
; %bb.31:
	s_or_b32 exec_lo, exec_lo, s0
	v_dual_mov_b32 v22, v14 :: v_dual_mov_b32 v21, v13
.LBB218_32:
	s_or_b32 exec_lo, exec_lo, s11
.LBB218_33:
	s_delay_alu instid0(SALU_CYCLE_1) | instskip(SKIP_3) | instid1(VALU_DEP_1)
	s_or_b32 exec_lo, exec_lo, s9
	s_waitcnt vmcnt(2)
	v_cmp_neq_f64_e32 vcc_lo, 0, v[9:10]
	v_cmp_neq_f64_e64 s0, 0, v[11:12]
	s_or_b32 s0, vcc_lo, s0
	s_delay_alu instid0(SALU_CYCLE_1)
	s_and_saveexec_b32 s9, s0
	s_cbranch_execz .LBB218_65
; %bb.34:
	s_mov_b32 s0, 0
	s_mov_b32 s1, 0x7ff00000
	v_mov_b32_e32 v17, s0
	v_mov_b32_e32 v18, s1
	s_mov_b32 s11, exec_lo
	v_cmpx_neq_f64_e64 0x7ff00000, |v[11:12]|
	s_cbranch_execz .LBB218_64
; %bb.35:
	s_mov_b32 s0, exec_lo
	v_cmpx_o_f64_e32 v[9:10], v[9:10]
	s_xor_b32 s12, exec_lo, s0
	s_cbranch_execz .LBB218_61
; %bb.36:
	s_mov_b32 s1, exec_lo
	v_cmpx_neq_f64_e64 0x7ff00000, |v[9:10]|
	s_xor_b32 s13, exec_lo, s1
	s_cbranch_execz .LBB218_54
; %bb.37:
	v_max_f64 v[13:14], |v[11:12]|, |v[11:12]|
	v_max_f64 v[17:18], |v[9:10]|, |v[9:10]|
	s_mov_b32 s0, 0x99fcef32
	s_mov_b32 s1, 0x7fda8279
                                        ; implicit-def: $sgpr14
	s_delay_alu instid0(VALU_DEP_1) | instskip(NEXT) | instid1(VALU_DEP_1)
	v_max_f64 v[13:14], v[17:18], v[13:14]
	v_cmp_nle_f64_e64 s0, s[0:1], v[13:14]
	s_delay_alu instid0(VALU_DEP_1) | instskip(NEXT) | instid1(SALU_CYCLE_1)
	s_and_saveexec_b32 s1, s0
	s_xor_b32 s1, exec_lo, s1
	s_cbranch_execz .LBB218_41
; %bb.38:
	v_cmp_ge_f64_e64 s14, 0x200000, |v[9:10]|
	v_cmp_ge_f64_e64 s15, 0x200000, |v[11:12]|
	s_delay_alu instid0(VALU_DEP_1)
	s_and_b32 s16, s14, s15
	s_mov_b32 s14, 0
	s_and_saveexec_b32 s15, s16
; %bb.39:
	v_mul_f64 v[9:10], v[9:10], 4.0
	v_mul_f64 v[11:12], v[11:12], 4.0
	s_mov_b32 s14, exec_lo
; %bb.40:
	s_or_b32 exec_lo, exec_lo, s15
	s_delay_alu instid0(SALU_CYCLE_1)
	s_and_b32 s14, s14, exec_lo
.LBB218_41:
	s_and_not1_saveexec_b32 s1, s1
; %bb.42:
	s_delay_alu instid0(VALU_DEP_2) | instskip(NEXT) | instid1(VALU_DEP_2)
	v_ldexp_f64 v[9:10], v[9:10], -2
	v_ldexp_f64 v[11:12], v[11:12], -2
	s_and_not1_b32 s14, s14, exec_lo
; %bb.43:
	s_or_b32 exec_lo, exec_lo, s1
	s_delay_alu instid0(VALU_DEP_1) | instskip(NEXT) | instid1(VALU_DEP_3)
	v_max_f64 v[13:14], |v[11:12]|, |v[11:12]|
	v_max_f64 v[17:18], |v[9:10]|, |v[9:10]|
	v_cmp_class_f64_e64 s15, v[9:10], 0x204
	v_cmp_class_f64_e64 s16, v[11:12], 0x204
	v_cmp_le_f64_e64 s1, 0, v[9:10]
	s_delay_alu instid0(VALU_DEP_4) | instskip(NEXT) | instid1(VALU_DEP_3)
	v_max_f64 v[13:14], v[17:18], v[13:14]
	s_or_b32 s15, s16, s15
	s_delay_alu instid0(VALU_DEP_1) | instskip(NEXT) | instid1(VALU_DEP_1)
	v_frexp_exp_i32_f64_e32 v26, v[13:14]
	v_sub_nc_u32_e32 v17, 0, v26
	s_delay_alu instid0(VALU_DEP_1) | instskip(SKIP_1) | instid1(VALU_DEP_2)
	v_ldexp_f64 v[13:14], |v[11:12]|, v17
	v_ldexp_f64 v[17:18], |v[9:10]|, v17
	v_mul_f64 v[13:14], v[13:14], v[13:14]
	s_delay_alu instid0(VALU_DEP_1) | instskip(NEXT) | instid1(VALU_DEP_1)
	v_fma_f64 v[13:14], v[17:18], v[17:18], v[13:14]
	v_rsq_f64_e32 v[17:18], v[13:14]
	v_cmp_eq_f64_e32 vcc_lo, 0, v[13:14]
	s_waitcnt_depctr 0xfff
	v_mul_f64 v[19:20], v[13:14], v[17:18]
	v_mul_f64 v[17:18], v[17:18], 0.5
	s_delay_alu instid0(VALU_DEP_1) | instskip(NEXT) | instid1(VALU_DEP_1)
	v_fma_f64 v[23:24], -v[17:18], v[19:20], 0.5
	v_fma_f64 v[19:20], v[19:20], v[23:24], v[19:20]
	v_fma_f64 v[17:18], v[17:18], v[23:24], v[17:18]
	s_delay_alu instid0(VALU_DEP_2) | instskip(NEXT) | instid1(VALU_DEP_1)
	v_fma_f64 v[23:24], -v[19:20], v[19:20], v[13:14]
	v_fma_f64 v[17:18], v[23:24], v[17:18], v[19:20]
	s_delay_alu instid0(VALU_DEP_1) | instskip(SKIP_1) | instid1(VALU_DEP_2)
	v_dual_cndmask_b32 v14, v18, v14 :: v_dual_cndmask_b32 v13, v17, v13
	v_cmp_o_f64_e32 vcc_lo, v[11:12], v[11:12]
	v_ldexp_f64 v[13:14], v[13:14], v26
	s_delay_alu instid0(VALU_DEP_1) | instskip(NEXT) | instid1(VALU_DEP_2)
	v_cndmask_b32_e32 v13, 0, v13, vcc_lo
	v_cndmask_b32_e32 v14, 0x7ff80000, v14, vcc_lo
	s_delay_alu instid0(VALU_DEP_2) | instskip(NEXT) | instid1(VALU_DEP_2)
	v_cndmask_b32_e64 v13, v13, 0, s15
	v_cndmask_b32_e64 v14, v14, 0x7ff00000, s15
	s_and_saveexec_b32 s15, s1
	s_delay_alu instid0(SALU_CYCLE_1)
	s_xor_b32 s1, exec_lo, s15
	s_cbranch_execz .LBB218_49
; %bb.44:
	s_delay_alu instid0(VALU_DEP_1) | instskip(NEXT) | instid1(VALU_DEP_1)
	v_add_f64 v[9:10], v[9:10], v[13:14]
	v_mul_f64 v[9:10], v[9:10], 0.5
	s_delay_alu instid0(VALU_DEP_1) | instskip(SKIP_1) | instid1(VALU_DEP_1)
	v_cmp_gt_f64_e32 vcc_lo, 0x10000000, v[9:10]
	v_cndmask_b32_e64 v13, 0, 1, vcc_lo
	v_lshlrev_b32_e32 v13, 8, v13
	s_delay_alu instid0(VALU_DEP_1) | instskip(NEXT) | instid1(VALU_DEP_1)
	v_ldexp_f64 v[9:10], v[9:10], v13
	v_rsq_f64_e32 v[13:14], v[9:10]
	s_waitcnt_depctr 0xfff
	v_mul_f64 v[17:18], v[9:10], v[13:14]
	v_mul_f64 v[13:14], v[13:14], 0.5
	s_delay_alu instid0(VALU_DEP_1) | instskip(NEXT) | instid1(VALU_DEP_1)
	v_fma_f64 v[19:20], -v[13:14], v[17:18], 0.5
	v_fma_f64 v[17:18], v[17:18], v[19:20], v[17:18]
	v_fma_f64 v[13:14], v[13:14], v[19:20], v[13:14]
	s_delay_alu instid0(VALU_DEP_2) | instskip(NEXT) | instid1(VALU_DEP_1)
	v_fma_f64 v[19:20], -v[17:18], v[17:18], v[9:10]
	v_fma_f64 v[17:18], v[19:20], v[13:14], v[17:18]
	s_delay_alu instid0(VALU_DEP_1) | instskip(NEXT) | instid1(VALU_DEP_1)
	v_fma_f64 v[19:20], -v[17:18], v[17:18], v[9:10]
	v_fma_f64 v[13:14], v[19:20], v[13:14], v[17:18]
	v_cndmask_b32_e64 v17, 0, 0xffffff80, vcc_lo
	v_cmp_class_f64_e64 vcc_lo, v[9:10], 0x260
	s_delay_alu instid0(VALU_DEP_2) | instskip(NEXT) | instid1(VALU_DEP_1)
	v_ldexp_f64 v[13:14], v[13:14], v17
	v_dual_cndmask_b32 v10, v14, v10 :: v_dual_cndmask_b32 v9, v13, v9
	s_delay_alu instid0(VALU_DEP_1) | instskip(NEXT) | instid1(VALU_DEP_1)
	v_add_f64 v[13:14], v[9:10], v[9:10]
	v_div_scale_f64 v[17:18], null, v[13:14], v[13:14], v[11:12]
	s_delay_alu instid0(VALU_DEP_1) | instskip(SKIP_2) | instid1(VALU_DEP_1)
	v_rcp_f64_e32 v[19:20], v[17:18]
	s_waitcnt_depctr 0xfff
	v_fma_f64 v[23:24], -v[17:18], v[19:20], 1.0
	v_fma_f64 v[19:20], v[19:20], v[23:24], v[19:20]
	s_delay_alu instid0(VALU_DEP_1) | instskip(NEXT) | instid1(VALU_DEP_1)
	v_fma_f64 v[23:24], -v[17:18], v[19:20], 1.0
	v_fma_f64 v[19:20], v[19:20], v[23:24], v[19:20]
	v_div_scale_f64 v[23:24], vcc_lo, v[11:12], v[13:14], v[11:12]
	s_delay_alu instid0(VALU_DEP_1) | instskip(NEXT) | instid1(VALU_DEP_1)
	v_mul_f64 v[26:27], v[23:24], v[19:20]
	v_fma_f64 v[17:18], -v[17:18], v[26:27], v[23:24]
	s_delay_alu instid0(VALU_DEP_1) | instskip(NEXT) | instid1(VALU_DEP_1)
	v_div_fmas_f64 v[17:18], v[17:18], v[19:20], v[26:27]
	v_div_fixup_f64 v[11:12], v[17:18], v[13:14], v[11:12]
                                        ; implicit-def: $vgpr13_vgpr14
	s_and_not1_saveexec_b32 s1, s1
	s_cbranch_execnz .LBB218_50
.LBB218_45:
	s_or_b32 exec_lo, exec_lo, s1
	s_and_saveexec_b32 s1, s0
	s_delay_alu instid0(SALU_CYCLE_1)
	s_xor_b32 s0, exec_lo, s1
	s_cbranch_execz .LBB218_51
.LBB218_46:
	s_and_saveexec_b32 s1, s14
; %bb.47:
	s_delay_alu instid0(VALU_DEP_2) | instskip(NEXT) | instid1(VALU_DEP_2)
	v_mul_f64 v[9:10], v[9:10], 0.5
	v_mul_f64 v[11:12], v[11:12], 0.5
; %bb.48:
	s_or_b32 exec_lo, exec_lo, s1
	s_and_not1_saveexec_b32 s0, s0
	s_cbranch_execnz .LBB218_52
	s_branch .LBB218_53
.LBB218_49:
	s_and_not1_saveexec_b32 s1, s1
	s_cbranch_execz .LBB218_45
.LBB218_50:
	v_add_f64 v[9:10], v[13:14], -v[9:10]
	s_delay_alu instid0(VALU_DEP_1) | instskip(NEXT) | instid1(VALU_DEP_1)
	v_mul_f64 v[9:10], v[9:10], 0.5
	v_cmp_gt_f64_e32 vcc_lo, 0x10000000, v[9:10]
	v_cndmask_b32_e64 v13, 0, 1, vcc_lo
	s_delay_alu instid0(VALU_DEP_1) | instskip(NEXT) | instid1(VALU_DEP_1)
	v_lshlrev_b32_e32 v13, 8, v13
	v_ldexp_f64 v[9:10], v[9:10], v13
	s_delay_alu instid0(VALU_DEP_1) | instskip(SKIP_3) | instid1(VALU_DEP_1)
	v_rsq_f64_e32 v[13:14], v[9:10]
	s_waitcnt_depctr 0xfff
	v_mul_f64 v[17:18], v[9:10], v[13:14]
	v_mul_f64 v[13:14], v[13:14], 0.5
	v_fma_f64 v[19:20], -v[13:14], v[17:18], 0.5
	s_delay_alu instid0(VALU_DEP_1) | instskip(SKIP_1) | instid1(VALU_DEP_2)
	v_fma_f64 v[17:18], v[17:18], v[19:20], v[17:18]
	v_fma_f64 v[13:14], v[13:14], v[19:20], v[13:14]
	v_fma_f64 v[19:20], -v[17:18], v[17:18], v[9:10]
	s_delay_alu instid0(VALU_DEP_1) | instskip(NEXT) | instid1(VALU_DEP_1)
	v_fma_f64 v[17:18], v[19:20], v[13:14], v[17:18]
	v_fma_f64 v[19:20], -v[17:18], v[17:18], v[9:10]
	s_delay_alu instid0(VALU_DEP_1) | instskip(SKIP_3) | instid1(VALU_DEP_3)
	v_fma_f64 v[13:14], v[19:20], v[13:14], v[17:18]
	v_cndmask_b32_e64 v17, 0, 0xffffff80, vcc_lo
	v_cmp_class_f64_e64 vcc_lo, v[9:10], 0x260
	v_and_b32_e32 v18, 0x7fffffff, v12
	v_ldexp_f64 v[13:14], v[13:14], v17
	s_delay_alu instid0(VALU_DEP_1) | instskip(NEXT) | instid1(VALU_DEP_1)
	v_dual_cndmask_b32 v14, v14, v10 :: v_dual_cndmask_b32 v13, v13, v9
	v_add_f64 v[9:10], v[13:14], v[13:14]
	v_bfi_b32 v14, 0x7fffffff, v14, v12
	v_mov_b32_e32 v17, v11
	s_delay_alu instid0(VALU_DEP_1) | instskip(SKIP_1) | instid1(VALU_DEP_2)
	v_div_scale_f64 v[19:20], null, v[9:10], v[9:10], v[17:18]
	v_div_scale_f64 v[17:18], vcc_lo, v[17:18], v[9:10], v[17:18]
	v_rcp_f64_e32 v[23:24], v[19:20]
	s_waitcnt_depctr 0xfff
	v_fma_f64 v[26:27], -v[19:20], v[23:24], 1.0
	s_delay_alu instid0(VALU_DEP_1) | instskip(NEXT) | instid1(VALU_DEP_1)
	v_fma_f64 v[23:24], v[23:24], v[26:27], v[23:24]
	v_fma_f64 v[26:27], -v[19:20], v[23:24], 1.0
	s_delay_alu instid0(VALU_DEP_1) | instskip(NEXT) | instid1(VALU_DEP_1)
	v_fma_f64 v[23:24], v[23:24], v[26:27], v[23:24]
	v_mul_f64 v[26:27], v[17:18], v[23:24]
	s_delay_alu instid0(VALU_DEP_1) | instskip(NEXT) | instid1(VALU_DEP_1)
	v_fma_f64 v[17:18], -v[19:20], v[26:27], v[17:18]
	v_div_fmas_f64 v[17:18], v[17:18], v[23:24], v[26:27]
	s_delay_alu instid0(VALU_DEP_1) | instskip(SKIP_3) | instid1(SALU_CYCLE_1)
	v_div_fixup_f64 v[9:10], v[17:18], v[9:10], |v[11:12]|
	v_dual_mov_b32 v11, v13 :: v_dual_mov_b32 v12, v14
	s_or_b32 exec_lo, exec_lo, s1
	s_and_saveexec_b32 s1, s0
	s_xor_b32 s0, exec_lo, s1
	s_cbranch_execnz .LBB218_46
.LBB218_51:
	s_and_not1_saveexec_b32 s0, s0
.LBB218_52:
	s_delay_alu instid0(VALU_DEP_2) | instskip(NEXT) | instid1(VALU_DEP_2)
	v_add_f64 v[9:10], v[9:10], v[9:10]
	v_add_f64 v[11:12], v[11:12], v[11:12]
.LBB218_53:
	s_or_b32 exec_lo, exec_lo, s0
.LBB218_54:
	s_and_not1_saveexec_b32 s0, s13
	s_cbranch_execz .LBB218_60
; %bb.55:
	s_delay_alu instid0(VALU_DEP_1) | instskip(SKIP_1) | instid1(VALU_DEP_3)
	v_add_f64 v[13:14], v[11:12], -v[11:12]
	s_mov_b32 s1, exec_lo
	v_cmpx_lt_i64_e32 -1, v[9:10]
	s_xor_b32 s1, exec_lo, s1
; %bb.56:
	s_delay_alu instid0(VALU_DEP_2) | instskip(NEXT) | instid1(VALU_DEP_1)
	v_bfi_b32 v14, 0x7fffffff, v14, v12
	v_dual_mov_b32 v11, v13 :: v_dual_mov_b32 v12, v14
                                        ; implicit-def: $vgpr13_vgpr14
; %bb.57:
	s_and_not1_saveexec_b32 s1, s1
; %bb.58:
	s_delay_alu instid0(VALU_DEP_1) | instskip(SKIP_1) | instid1(VALU_DEP_2)
	v_bfi_b32 v10, 0x7fffffff, v10, v12
	v_and_b32_e32 v14, 0x7fffffff, v14
	v_dual_mov_b32 v12, v10 :: v_dual_mov_b32 v11, v9
	s_delay_alu instid0(VALU_DEP_2)
	v_dual_mov_b32 v9, v13 :: v_dual_mov_b32 v10, v14
; %bb.59:
	s_or_b32 exec_lo, exec_lo, s1
.LBB218_60:
	s_delay_alu instid0(SALU_CYCLE_1)
	s_or_b32 exec_lo, exec_lo, s0
.LBB218_61:
	s_and_not1_saveexec_b32 s0, s12
; %bb.62:
	s_delay_alu instid0(VALU_DEP_1) | instskip(NEXT) | instid1(VALU_DEP_1)
	v_add_f64 v[11:12], v[11:12], -v[11:12]
	v_div_scale_f64 v[13:14], vcc_lo, v[11:12], v[11:12], v[11:12]
	s_delay_alu instid0(VALU_DEP_1) | instskip(SKIP_2) | instid1(VALU_DEP_1)
	v_rcp_f64_e32 v[17:18], v[13:14]
	s_waitcnt_depctr 0xfff
	v_fma_f64 v[19:20], -v[13:14], v[17:18], 1.0
	v_fma_f64 v[17:18], v[17:18], v[19:20], v[17:18]
	s_delay_alu instid0(VALU_DEP_1) | instskip(NEXT) | instid1(VALU_DEP_1)
	v_fma_f64 v[19:20], -v[13:14], v[17:18], 1.0
	v_fma_f64 v[17:18], v[17:18], v[19:20], v[17:18]
	s_delay_alu instid0(VALU_DEP_1) | instskip(NEXT) | instid1(VALU_DEP_1)
	v_mul_f64 v[19:20], v[13:14], v[17:18]
	v_fma_f64 v[13:14], -v[13:14], v[19:20], v[13:14]
	s_delay_alu instid0(VALU_DEP_1) | instskip(NEXT) | instid1(VALU_DEP_1)
	v_div_fmas_f64 v[13:14], v[13:14], v[17:18], v[19:20]
	v_div_fixup_f64 v[11:12], v[13:14], v[11:12], v[11:12]
; %bb.63:
	s_or_b32 exec_lo, exec_lo, s0
	v_dual_mov_b32 v18, v10 :: v_dual_mov_b32 v17, v9
.LBB218_64:
	s_or_b32 exec_lo, exec_lo, s11
.LBB218_65:
	s_delay_alu instid0(SALU_CYCLE_1)
	s_or_b32 exec_lo, exec_lo, s9
	s_waitcnt vmcnt(0)
	v_cmp_neq_f64_e32 vcc_lo, 0, v[5:6]
	v_cmp_neq_f64_e64 s0, 0, v[7:8]
	v_mov_b32_e32 v9, 0
	v_mov_b32_e32 v10, 0
	s_delay_alu instid0(VALU_DEP_1) | instskip(NEXT) | instid1(VALU_DEP_4)
	v_dual_mov_b32 v14, v10 :: v_dual_mov_b32 v13, v9
	s_or_b32 s0, vcc_lo, s0
	s_delay_alu instid0(SALU_CYCLE_1)
	s_and_saveexec_b32 s9, s0
	s_cbranch_execz .LBB218_97
; %bb.66:
	s_mov_b32 s0, 0
	s_mov_b32 s1, 0x7ff00000
	v_mov_b32_e32 v13, s0
	v_mov_b32_e32 v14, s1
	s_mov_b32 s11, exec_lo
	v_cmpx_neq_f64_e64 0x7ff00000, |v[7:8]|
	s_cbranch_execz .LBB218_96
; %bb.67:
	s_mov_b32 s0, exec_lo
	v_cmpx_o_f64_e32 v[5:6], v[5:6]
	s_xor_b32 s12, exec_lo, s0
	s_cbranch_execz .LBB218_93
; %bb.68:
	s_mov_b32 s1, exec_lo
	v_cmpx_neq_f64_e64 0x7ff00000, |v[5:6]|
	s_xor_b32 s13, exec_lo, s1
	s_cbranch_execz .LBB218_86
; %bb.69:
	v_max_f64 v[13:14], |v[7:8]|, |v[7:8]|
	v_max_f64 v[19:20], |v[5:6]|, |v[5:6]|
	s_mov_b32 s0, 0x99fcef32
	s_mov_b32 s1, 0x7fda8279
                                        ; implicit-def: $sgpr14
	s_delay_alu instid0(VALU_DEP_1) | instskip(NEXT) | instid1(VALU_DEP_1)
	v_max_f64 v[13:14], v[19:20], v[13:14]
	v_cmp_nle_f64_e64 s0, s[0:1], v[13:14]
	s_delay_alu instid0(VALU_DEP_1) | instskip(NEXT) | instid1(SALU_CYCLE_1)
	s_and_saveexec_b32 s1, s0
	s_xor_b32 s1, exec_lo, s1
	s_cbranch_execz .LBB218_73
; %bb.70:
	v_cmp_ge_f64_e64 s14, 0x200000, |v[5:6]|
	v_cmp_ge_f64_e64 s15, 0x200000, |v[7:8]|
	s_delay_alu instid0(VALU_DEP_1)
	s_and_b32 s16, s14, s15
	s_mov_b32 s14, 0
	s_and_saveexec_b32 s15, s16
; %bb.71:
	v_mul_f64 v[5:6], v[5:6], 4.0
	v_mul_f64 v[7:8], v[7:8], 4.0
	s_mov_b32 s14, exec_lo
; %bb.72:
	s_or_b32 exec_lo, exec_lo, s15
	s_delay_alu instid0(SALU_CYCLE_1)
	s_and_b32 s14, s14, exec_lo
.LBB218_73:
	s_and_not1_saveexec_b32 s1, s1
; %bb.74:
	s_delay_alu instid0(VALU_DEP_2) | instskip(NEXT) | instid1(VALU_DEP_2)
	v_ldexp_f64 v[5:6], v[5:6], -2
	v_ldexp_f64 v[7:8], v[7:8], -2
	s_and_not1_b32 s14, s14, exec_lo
; %bb.75:
	s_or_b32 exec_lo, exec_lo, s1
	s_delay_alu instid0(VALU_DEP_1) | instskip(NEXT) | instid1(VALU_DEP_3)
	v_max_f64 v[13:14], |v[7:8]|, |v[7:8]|
	v_max_f64 v[19:20], |v[5:6]|, |v[5:6]|
	v_cmp_class_f64_e64 s15, v[5:6], 0x204
	v_cmp_class_f64_e64 s16, v[7:8], 0x204
	v_cmp_le_f64_e64 s1, 0, v[5:6]
	s_delay_alu instid0(VALU_DEP_4) | instskip(NEXT) | instid1(VALU_DEP_3)
	v_max_f64 v[13:14], v[19:20], v[13:14]
	s_or_b32 s15, s16, s15
	s_delay_alu instid0(VALU_DEP_1) | instskip(NEXT) | instid1(VALU_DEP_1)
	v_frexp_exp_i32_f64_e32 v28, v[13:14]
	v_sub_nc_u32_e32 v19, 0, v28
	s_delay_alu instid0(VALU_DEP_1) | instskip(SKIP_1) | instid1(VALU_DEP_2)
	v_ldexp_f64 v[13:14], |v[7:8]|, v19
	v_ldexp_f64 v[19:20], |v[5:6]|, v19
	v_mul_f64 v[13:14], v[13:14], v[13:14]
	s_delay_alu instid0(VALU_DEP_1) | instskip(NEXT) | instid1(VALU_DEP_1)
	v_fma_f64 v[13:14], v[19:20], v[19:20], v[13:14]
	v_rsq_f64_e32 v[19:20], v[13:14]
	v_cmp_eq_f64_e32 vcc_lo, 0, v[13:14]
	s_waitcnt_depctr 0xfff
	v_mul_f64 v[23:24], v[13:14], v[19:20]
	v_mul_f64 v[19:20], v[19:20], 0.5
	s_delay_alu instid0(VALU_DEP_1) | instskip(NEXT) | instid1(VALU_DEP_1)
	v_fma_f64 v[26:27], -v[19:20], v[23:24], 0.5
	v_fma_f64 v[23:24], v[23:24], v[26:27], v[23:24]
	v_fma_f64 v[19:20], v[19:20], v[26:27], v[19:20]
	s_delay_alu instid0(VALU_DEP_2) | instskip(NEXT) | instid1(VALU_DEP_1)
	v_fma_f64 v[26:27], -v[23:24], v[23:24], v[13:14]
	v_fma_f64 v[19:20], v[26:27], v[19:20], v[23:24]
	s_delay_alu instid0(VALU_DEP_1) | instskip(SKIP_1) | instid1(VALU_DEP_2)
	v_dual_cndmask_b32 v14, v20, v14 :: v_dual_cndmask_b32 v13, v19, v13
	v_cmp_o_f64_e32 vcc_lo, v[7:8], v[7:8]
	v_ldexp_f64 v[13:14], v[13:14], v28
	s_delay_alu instid0(VALU_DEP_1) | instskip(NEXT) | instid1(VALU_DEP_2)
	v_cndmask_b32_e32 v13, 0, v13, vcc_lo
	v_cndmask_b32_e32 v14, 0x7ff80000, v14, vcc_lo
	s_delay_alu instid0(VALU_DEP_2) | instskip(NEXT) | instid1(VALU_DEP_2)
	v_cndmask_b32_e64 v13, v13, 0, s15
	v_cndmask_b32_e64 v14, v14, 0x7ff00000, s15
	s_and_saveexec_b32 s15, s1
	s_delay_alu instid0(SALU_CYCLE_1)
	s_xor_b32 s1, exec_lo, s15
	s_cbranch_execz .LBB218_81
; %bb.76:
	s_delay_alu instid0(VALU_DEP_1) | instskip(NEXT) | instid1(VALU_DEP_1)
	v_add_f64 v[5:6], v[5:6], v[13:14]
	v_mul_f64 v[5:6], v[5:6], 0.5
	s_delay_alu instid0(VALU_DEP_1) | instskip(SKIP_1) | instid1(VALU_DEP_1)
	v_cmp_gt_f64_e32 vcc_lo, 0x10000000, v[5:6]
	v_cndmask_b32_e64 v13, 0, 1, vcc_lo
	v_lshlrev_b32_e32 v13, 8, v13
	s_delay_alu instid0(VALU_DEP_1) | instskip(NEXT) | instid1(VALU_DEP_1)
	v_ldexp_f64 v[5:6], v[5:6], v13
	v_rsq_f64_e32 v[13:14], v[5:6]
	s_waitcnt_depctr 0xfff
	v_mul_f64 v[19:20], v[5:6], v[13:14]
	v_mul_f64 v[13:14], v[13:14], 0.5
	s_delay_alu instid0(VALU_DEP_1) | instskip(NEXT) | instid1(VALU_DEP_1)
	v_fma_f64 v[23:24], -v[13:14], v[19:20], 0.5
	v_fma_f64 v[19:20], v[19:20], v[23:24], v[19:20]
	v_fma_f64 v[13:14], v[13:14], v[23:24], v[13:14]
	s_delay_alu instid0(VALU_DEP_2) | instskip(NEXT) | instid1(VALU_DEP_1)
	v_fma_f64 v[23:24], -v[19:20], v[19:20], v[5:6]
	v_fma_f64 v[19:20], v[23:24], v[13:14], v[19:20]
	s_delay_alu instid0(VALU_DEP_1) | instskip(NEXT) | instid1(VALU_DEP_1)
	v_fma_f64 v[23:24], -v[19:20], v[19:20], v[5:6]
	v_fma_f64 v[13:14], v[23:24], v[13:14], v[19:20]
	v_cndmask_b32_e64 v19, 0, 0xffffff80, vcc_lo
	v_cmp_class_f64_e64 vcc_lo, v[5:6], 0x260
	s_delay_alu instid0(VALU_DEP_2) | instskip(NEXT) | instid1(VALU_DEP_1)
	v_ldexp_f64 v[13:14], v[13:14], v19
	v_dual_cndmask_b32 v6, v14, v6 :: v_dual_cndmask_b32 v5, v13, v5
	s_delay_alu instid0(VALU_DEP_1) | instskip(NEXT) | instid1(VALU_DEP_1)
	v_add_f64 v[13:14], v[5:6], v[5:6]
	v_div_scale_f64 v[19:20], null, v[13:14], v[13:14], v[7:8]
	s_delay_alu instid0(VALU_DEP_1) | instskip(SKIP_2) | instid1(VALU_DEP_1)
	v_rcp_f64_e32 v[23:24], v[19:20]
	s_waitcnt_depctr 0xfff
	v_fma_f64 v[26:27], -v[19:20], v[23:24], 1.0
	v_fma_f64 v[23:24], v[23:24], v[26:27], v[23:24]
	s_delay_alu instid0(VALU_DEP_1) | instskip(NEXT) | instid1(VALU_DEP_1)
	v_fma_f64 v[26:27], -v[19:20], v[23:24], 1.0
	v_fma_f64 v[23:24], v[23:24], v[26:27], v[23:24]
	v_div_scale_f64 v[26:27], vcc_lo, v[7:8], v[13:14], v[7:8]
	s_delay_alu instid0(VALU_DEP_1) | instskip(NEXT) | instid1(VALU_DEP_1)
	v_mul_f64 v[28:29], v[26:27], v[23:24]
	v_fma_f64 v[19:20], -v[19:20], v[28:29], v[26:27]
	s_delay_alu instid0(VALU_DEP_1) | instskip(NEXT) | instid1(VALU_DEP_1)
	v_div_fmas_f64 v[19:20], v[19:20], v[23:24], v[28:29]
	v_div_fixup_f64 v[7:8], v[19:20], v[13:14], v[7:8]
                                        ; implicit-def: $vgpr13_vgpr14
	s_and_not1_saveexec_b32 s1, s1
	s_cbranch_execnz .LBB218_82
.LBB218_77:
	s_or_b32 exec_lo, exec_lo, s1
	s_and_saveexec_b32 s1, s0
	s_delay_alu instid0(SALU_CYCLE_1)
	s_xor_b32 s0, exec_lo, s1
	s_cbranch_execz .LBB218_83
.LBB218_78:
	s_and_saveexec_b32 s1, s14
; %bb.79:
	s_delay_alu instid0(VALU_DEP_2) | instskip(NEXT) | instid1(VALU_DEP_2)
	v_mul_f64 v[5:6], v[5:6], 0.5
	v_mul_f64 v[7:8], v[7:8], 0.5
; %bb.80:
	s_or_b32 exec_lo, exec_lo, s1
	s_and_not1_saveexec_b32 s0, s0
	s_cbranch_execnz .LBB218_84
	s_branch .LBB218_85
.LBB218_81:
	s_and_not1_saveexec_b32 s1, s1
	s_cbranch_execz .LBB218_77
.LBB218_82:
	v_add_f64 v[5:6], v[13:14], -v[5:6]
	s_delay_alu instid0(VALU_DEP_1) | instskip(NEXT) | instid1(VALU_DEP_1)
	v_mul_f64 v[5:6], v[5:6], 0.5
	v_cmp_gt_f64_e32 vcc_lo, 0x10000000, v[5:6]
	v_cndmask_b32_e64 v13, 0, 1, vcc_lo
	s_delay_alu instid0(VALU_DEP_1) | instskip(NEXT) | instid1(VALU_DEP_1)
	v_lshlrev_b32_e32 v13, 8, v13
	v_ldexp_f64 v[5:6], v[5:6], v13
	s_delay_alu instid0(VALU_DEP_1) | instskip(SKIP_3) | instid1(VALU_DEP_1)
	v_rsq_f64_e32 v[13:14], v[5:6]
	s_waitcnt_depctr 0xfff
	v_mul_f64 v[19:20], v[5:6], v[13:14]
	v_mul_f64 v[13:14], v[13:14], 0.5
	v_fma_f64 v[23:24], -v[13:14], v[19:20], 0.5
	s_delay_alu instid0(VALU_DEP_1) | instskip(SKIP_1) | instid1(VALU_DEP_2)
	v_fma_f64 v[19:20], v[19:20], v[23:24], v[19:20]
	v_fma_f64 v[13:14], v[13:14], v[23:24], v[13:14]
	v_fma_f64 v[23:24], -v[19:20], v[19:20], v[5:6]
	s_delay_alu instid0(VALU_DEP_1) | instskip(NEXT) | instid1(VALU_DEP_1)
	v_fma_f64 v[19:20], v[23:24], v[13:14], v[19:20]
	v_fma_f64 v[23:24], -v[19:20], v[19:20], v[5:6]
	s_delay_alu instid0(VALU_DEP_1) | instskip(SKIP_3) | instid1(VALU_DEP_3)
	v_fma_f64 v[13:14], v[23:24], v[13:14], v[19:20]
	v_cndmask_b32_e64 v19, 0, 0xffffff80, vcc_lo
	v_cmp_class_f64_e64 vcc_lo, v[5:6], 0x260
	v_and_b32_e32 v20, 0x7fffffff, v8
	v_ldexp_f64 v[13:14], v[13:14], v19
	s_delay_alu instid0(VALU_DEP_1) | instskip(NEXT) | instid1(VALU_DEP_1)
	v_dual_cndmask_b32 v14, v14, v6 :: v_dual_cndmask_b32 v13, v13, v5
	v_add_f64 v[5:6], v[13:14], v[13:14]
	v_bfi_b32 v14, 0x7fffffff, v14, v8
	v_mov_b32_e32 v19, v7
	s_delay_alu instid0(VALU_DEP_1) | instskip(SKIP_1) | instid1(VALU_DEP_2)
	v_div_scale_f64 v[23:24], null, v[5:6], v[5:6], v[19:20]
	v_div_scale_f64 v[19:20], vcc_lo, v[19:20], v[5:6], v[19:20]
	v_rcp_f64_e32 v[26:27], v[23:24]
	s_waitcnt_depctr 0xfff
	v_fma_f64 v[28:29], -v[23:24], v[26:27], 1.0
	s_delay_alu instid0(VALU_DEP_1) | instskip(NEXT) | instid1(VALU_DEP_1)
	v_fma_f64 v[26:27], v[26:27], v[28:29], v[26:27]
	v_fma_f64 v[28:29], -v[23:24], v[26:27], 1.0
	s_delay_alu instid0(VALU_DEP_1) | instskip(NEXT) | instid1(VALU_DEP_1)
	v_fma_f64 v[26:27], v[26:27], v[28:29], v[26:27]
	v_mul_f64 v[28:29], v[19:20], v[26:27]
	s_delay_alu instid0(VALU_DEP_1) | instskip(NEXT) | instid1(VALU_DEP_1)
	v_fma_f64 v[19:20], -v[23:24], v[28:29], v[19:20]
	v_div_fmas_f64 v[19:20], v[19:20], v[26:27], v[28:29]
	s_delay_alu instid0(VALU_DEP_1) | instskip(SKIP_3) | instid1(SALU_CYCLE_1)
	v_div_fixup_f64 v[5:6], v[19:20], v[5:6], |v[7:8]|
	v_dual_mov_b32 v7, v13 :: v_dual_mov_b32 v8, v14
	s_or_b32 exec_lo, exec_lo, s1
	s_and_saveexec_b32 s1, s0
	s_xor_b32 s0, exec_lo, s1
	s_cbranch_execnz .LBB218_78
.LBB218_83:
	s_and_not1_saveexec_b32 s0, s0
.LBB218_84:
	s_delay_alu instid0(VALU_DEP_2) | instskip(NEXT) | instid1(VALU_DEP_2)
	v_add_f64 v[5:6], v[5:6], v[5:6]
	v_add_f64 v[7:8], v[7:8], v[7:8]
.LBB218_85:
	s_or_b32 exec_lo, exec_lo, s0
.LBB218_86:
	s_and_not1_saveexec_b32 s0, s13
	s_cbranch_execz .LBB218_92
; %bb.87:
	s_delay_alu instid0(VALU_DEP_1) | instskip(SKIP_1) | instid1(VALU_DEP_3)
	v_add_f64 v[13:14], v[7:8], -v[7:8]
	s_mov_b32 s1, exec_lo
	v_cmpx_lt_i64_e32 -1, v[5:6]
	s_xor_b32 s1, exec_lo, s1
; %bb.88:
	s_delay_alu instid0(VALU_DEP_2) | instskip(NEXT) | instid1(VALU_DEP_1)
	v_bfi_b32 v14, 0x7fffffff, v14, v8
	v_dual_mov_b32 v7, v13 :: v_dual_mov_b32 v8, v14
                                        ; implicit-def: $vgpr13_vgpr14
; %bb.89:
	s_and_not1_saveexec_b32 s1, s1
; %bb.90:
	s_delay_alu instid0(VALU_DEP_1) | instskip(SKIP_1) | instid1(VALU_DEP_2)
	v_bfi_b32 v6, 0x7fffffff, v6, v8
	v_and_b32_e32 v14, 0x7fffffff, v14
	v_dual_mov_b32 v8, v6 :: v_dual_mov_b32 v7, v5
	s_delay_alu instid0(VALU_DEP_2)
	v_dual_mov_b32 v5, v13 :: v_dual_mov_b32 v6, v14
; %bb.91:
	s_or_b32 exec_lo, exec_lo, s1
.LBB218_92:
	s_delay_alu instid0(SALU_CYCLE_1)
	s_or_b32 exec_lo, exec_lo, s0
.LBB218_93:
	s_and_not1_saveexec_b32 s0, s12
; %bb.94:
	s_delay_alu instid0(VALU_DEP_1) | instskip(NEXT) | instid1(VALU_DEP_1)
	v_add_f64 v[7:8], v[7:8], -v[7:8]
	v_div_scale_f64 v[13:14], vcc_lo, v[7:8], v[7:8], v[7:8]
	s_delay_alu instid0(VALU_DEP_1) | instskip(SKIP_2) | instid1(VALU_DEP_1)
	v_rcp_f64_e32 v[19:20], v[13:14]
	s_waitcnt_depctr 0xfff
	v_fma_f64 v[23:24], -v[13:14], v[19:20], 1.0
	v_fma_f64 v[19:20], v[19:20], v[23:24], v[19:20]
	s_delay_alu instid0(VALU_DEP_1) | instskip(NEXT) | instid1(VALU_DEP_1)
	v_fma_f64 v[23:24], -v[13:14], v[19:20], 1.0
	v_fma_f64 v[19:20], v[19:20], v[23:24], v[19:20]
	s_delay_alu instid0(VALU_DEP_1) | instskip(NEXT) | instid1(VALU_DEP_1)
	v_mul_f64 v[23:24], v[13:14], v[19:20]
	v_fma_f64 v[13:14], -v[13:14], v[23:24], v[13:14]
	s_delay_alu instid0(VALU_DEP_1) | instskip(NEXT) | instid1(VALU_DEP_1)
	v_div_fmas_f64 v[13:14], v[13:14], v[19:20], v[23:24]
	v_div_fixup_f64 v[7:8], v[13:14], v[7:8], v[7:8]
; %bb.95:
	s_or_b32 exec_lo, exec_lo, s0
	v_dual_mov_b32 v14, v6 :: v_dual_mov_b32 v13, v5
.LBB218_96:
	s_or_b32 exec_lo, exec_lo, s11
.LBB218_97:
	s_delay_alu instid0(SALU_CYCLE_1) | instskip(SKIP_2) | instid1(VALU_DEP_1)
	s_or_b32 exec_lo, exec_lo, s9
	v_cmp_neq_f64_e32 vcc_lo, 0, v[1:2]
	v_cmp_neq_f64_e64 s0, 0, v[3:4]
	s_or_b32 s0, vcc_lo, s0
	s_delay_alu instid0(SALU_CYCLE_1)
	s_and_saveexec_b32 s9, s0
	s_cbranch_execz .LBB218_129
; %bb.98:
	s_mov_b32 s0, 0
	s_mov_b32 s1, 0x7ff00000
	v_mov_b32_e32 v9, s0
	v_mov_b32_e32 v10, s1
	s_mov_b32 s11, exec_lo
	v_cmpx_neq_f64_e64 0x7ff00000, |v[3:4]|
	s_cbranch_execz .LBB218_128
; %bb.99:
	s_mov_b32 s0, exec_lo
	v_cmpx_o_f64_e32 v[1:2], v[1:2]
	s_xor_b32 s12, exec_lo, s0
	s_cbranch_execz .LBB218_125
; %bb.100:
	s_mov_b32 s1, exec_lo
	v_cmpx_neq_f64_e64 0x7ff00000, |v[1:2]|
	s_xor_b32 s13, exec_lo, s1
	s_cbranch_execz .LBB218_118
; %bb.101:
	v_max_f64 v[5:6], |v[3:4]|, |v[3:4]|
	v_max_f64 v[9:10], |v[1:2]|, |v[1:2]|
	s_mov_b32 s0, 0x99fcef32
	s_mov_b32 s1, 0x7fda8279
                                        ; implicit-def: $sgpr14
	s_delay_alu instid0(VALU_DEP_1) | instskip(NEXT) | instid1(VALU_DEP_1)
	v_max_f64 v[5:6], v[9:10], v[5:6]
	v_cmp_nle_f64_e64 s0, s[0:1], v[5:6]
	s_delay_alu instid0(VALU_DEP_1) | instskip(NEXT) | instid1(SALU_CYCLE_1)
	s_and_saveexec_b32 s1, s0
	s_xor_b32 s1, exec_lo, s1
	s_cbranch_execz .LBB218_105
; %bb.102:
	v_cmp_ge_f64_e64 s14, 0x200000, |v[1:2]|
	v_cmp_ge_f64_e64 s15, 0x200000, |v[3:4]|
	s_delay_alu instid0(VALU_DEP_1)
	s_and_b32 s16, s14, s15
	s_mov_b32 s14, 0
	s_and_saveexec_b32 s15, s16
; %bb.103:
	v_mul_f64 v[1:2], v[1:2], 4.0
	v_mul_f64 v[3:4], v[3:4], 4.0
	s_mov_b32 s14, exec_lo
; %bb.104:
	s_or_b32 exec_lo, exec_lo, s15
	s_delay_alu instid0(SALU_CYCLE_1)
	s_and_b32 s14, s14, exec_lo
.LBB218_105:
	s_and_not1_saveexec_b32 s1, s1
; %bb.106:
	s_delay_alu instid0(VALU_DEP_2) | instskip(NEXT) | instid1(VALU_DEP_2)
	v_ldexp_f64 v[1:2], v[1:2], -2
	v_ldexp_f64 v[3:4], v[3:4], -2
	s_and_not1_b32 s14, s14, exec_lo
; %bb.107:
	s_or_b32 exec_lo, exec_lo, s1
	s_delay_alu instid0(VALU_DEP_1) | instskip(NEXT) | instid1(VALU_DEP_3)
	v_max_f64 v[5:6], |v[3:4]|, |v[3:4]|
	v_max_f64 v[9:10], |v[1:2]|, |v[1:2]|
	v_cmp_class_f64_e64 s15, v[1:2], 0x204
	v_cmp_class_f64_e64 s16, v[3:4], 0x204
	v_cmp_le_f64_e64 s1, 0, v[1:2]
	s_delay_alu instid0(VALU_DEP_4) | instskip(NEXT) | instid1(VALU_DEP_3)
	v_max_f64 v[5:6], v[9:10], v[5:6]
	s_or_b32 s15, s16, s15
	s_delay_alu instid0(VALU_DEP_1) | instskip(NEXT) | instid1(VALU_DEP_1)
	v_frexp_exp_i32_f64_e32 v26, v[5:6]
	v_sub_nc_u32_e32 v9, 0, v26
	s_delay_alu instid0(VALU_DEP_1) | instskip(SKIP_1) | instid1(VALU_DEP_2)
	v_ldexp_f64 v[5:6], |v[3:4]|, v9
	v_ldexp_f64 v[9:10], |v[1:2]|, v9
	v_mul_f64 v[5:6], v[5:6], v[5:6]
	s_delay_alu instid0(VALU_DEP_1) | instskip(NEXT) | instid1(VALU_DEP_1)
	v_fma_f64 v[5:6], v[9:10], v[9:10], v[5:6]
	v_rsq_f64_e32 v[9:10], v[5:6]
	v_cmp_eq_f64_e32 vcc_lo, 0, v[5:6]
	s_waitcnt_depctr 0xfff
	v_mul_f64 v[19:20], v[5:6], v[9:10]
	v_mul_f64 v[9:10], v[9:10], 0.5
	s_delay_alu instid0(VALU_DEP_1) | instskip(NEXT) | instid1(VALU_DEP_1)
	v_fma_f64 v[23:24], -v[9:10], v[19:20], 0.5
	v_fma_f64 v[19:20], v[19:20], v[23:24], v[19:20]
	v_fma_f64 v[9:10], v[9:10], v[23:24], v[9:10]
	s_delay_alu instid0(VALU_DEP_2) | instskip(NEXT) | instid1(VALU_DEP_1)
	v_fma_f64 v[23:24], -v[19:20], v[19:20], v[5:6]
	v_fma_f64 v[9:10], v[23:24], v[9:10], v[19:20]
	s_delay_alu instid0(VALU_DEP_1) | instskip(SKIP_1) | instid1(VALU_DEP_2)
	v_dual_cndmask_b32 v6, v10, v6 :: v_dual_cndmask_b32 v5, v9, v5
	v_cmp_o_f64_e32 vcc_lo, v[3:4], v[3:4]
	v_ldexp_f64 v[5:6], v[5:6], v26
	s_delay_alu instid0(VALU_DEP_1) | instskip(NEXT) | instid1(VALU_DEP_2)
	v_cndmask_b32_e32 v5, 0, v5, vcc_lo
	v_cndmask_b32_e32 v6, 0x7ff80000, v6, vcc_lo
	s_delay_alu instid0(VALU_DEP_2) | instskip(NEXT) | instid1(VALU_DEP_2)
	v_cndmask_b32_e64 v5, v5, 0, s15
	v_cndmask_b32_e64 v6, v6, 0x7ff00000, s15
	s_and_saveexec_b32 s15, s1
	s_delay_alu instid0(SALU_CYCLE_1)
	s_xor_b32 s1, exec_lo, s15
	s_cbranch_execz .LBB218_113
; %bb.108:
	s_delay_alu instid0(VALU_DEP_1) | instskip(NEXT) | instid1(VALU_DEP_1)
	v_add_f64 v[1:2], v[1:2], v[5:6]
	v_mul_f64 v[1:2], v[1:2], 0.5
	s_delay_alu instid0(VALU_DEP_1) | instskip(SKIP_1) | instid1(VALU_DEP_1)
	v_cmp_gt_f64_e32 vcc_lo, 0x10000000, v[1:2]
	v_cndmask_b32_e64 v5, 0, 1, vcc_lo
	v_lshlrev_b32_e32 v5, 8, v5
	s_delay_alu instid0(VALU_DEP_1) | instskip(NEXT) | instid1(VALU_DEP_1)
	v_ldexp_f64 v[1:2], v[1:2], v5
	v_rsq_f64_e32 v[5:6], v[1:2]
	s_waitcnt_depctr 0xfff
	v_mul_f64 v[9:10], v[1:2], v[5:6]
	v_mul_f64 v[5:6], v[5:6], 0.5
	s_delay_alu instid0(VALU_DEP_1) | instskip(NEXT) | instid1(VALU_DEP_1)
	v_fma_f64 v[19:20], -v[5:6], v[9:10], 0.5
	v_fma_f64 v[9:10], v[9:10], v[19:20], v[9:10]
	v_fma_f64 v[5:6], v[5:6], v[19:20], v[5:6]
	s_delay_alu instid0(VALU_DEP_2) | instskip(NEXT) | instid1(VALU_DEP_1)
	v_fma_f64 v[19:20], -v[9:10], v[9:10], v[1:2]
	v_fma_f64 v[9:10], v[19:20], v[5:6], v[9:10]
	s_delay_alu instid0(VALU_DEP_1) | instskip(NEXT) | instid1(VALU_DEP_1)
	v_fma_f64 v[19:20], -v[9:10], v[9:10], v[1:2]
	v_fma_f64 v[5:6], v[19:20], v[5:6], v[9:10]
	v_cndmask_b32_e64 v9, 0, 0xffffff80, vcc_lo
	v_cmp_class_f64_e64 vcc_lo, v[1:2], 0x260
	s_delay_alu instid0(VALU_DEP_2) | instskip(NEXT) | instid1(VALU_DEP_1)
	v_ldexp_f64 v[5:6], v[5:6], v9
	v_dual_cndmask_b32 v2, v6, v2 :: v_dual_cndmask_b32 v1, v5, v1
	s_delay_alu instid0(VALU_DEP_1) | instskip(NEXT) | instid1(VALU_DEP_1)
	v_add_f64 v[5:6], v[1:2], v[1:2]
	v_div_scale_f64 v[9:10], null, v[5:6], v[5:6], v[3:4]
	s_delay_alu instid0(VALU_DEP_1) | instskip(SKIP_2) | instid1(VALU_DEP_1)
	v_rcp_f64_e32 v[19:20], v[9:10]
	s_waitcnt_depctr 0xfff
	v_fma_f64 v[23:24], -v[9:10], v[19:20], 1.0
	v_fma_f64 v[19:20], v[19:20], v[23:24], v[19:20]
	s_delay_alu instid0(VALU_DEP_1) | instskip(NEXT) | instid1(VALU_DEP_1)
	v_fma_f64 v[23:24], -v[9:10], v[19:20], 1.0
	v_fma_f64 v[19:20], v[19:20], v[23:24], v[19:20]
	v_div_scale_f64 v[23:24], vcc_lo, v[3:4], v[5:6], v[3:4]
	s_delay_alu instid0(VALU_DEP_1) | instskip(NEXT) | instid1(VALU_DEP_1)
	v_mul_f64 v[26:27], v[23:24], v[19:20]
	v_fma_f64 v[9:10], -v[9:10], v[26:27], v[23:24]
	s_delay_alu instid0(VALU_DEP_1) | instskip(NEXT) | instid1(VALU_DEP_1)
	v_div_fmas_f64 v[9:10], v[9:10], v[19:20], v[26:27]
	v_div_fixup_f64 v[3:4], v[9:10], v[5:6], v[3:4]
                                        ; implicit-def: $vgpr5_vgpr6
	s_and_not1_saveexec_b32 s1, s1
	s_cbranch_execnz .LBB218_114
.LBB218_109:
	s_or_b32 exec_lo, exec_lo, s1
	s_and_saveexec_b32 s1, s0
	s_delay_alu instid0(SALU_CYCLE_1)
	s_xor_b32 s0, exec_lo, s1
	s_cbranch_execz .LBB218_115
.LBB218_110:
	s_and_saveexec_b32 s1, s14
; %bb.111:
	s_delay_alu instid0(VALU_DEP_2) | instskip(NEXT) | instid1(VALU_DEP_2)
	v_mul_f64 v[1:2], v[1:2], 0.5
	v_mul_f64 v[3:4], v[3:4], 0.5
; %bb.112:
	s_or_b32 exec_lo, exec_lo, s1
	s_and_not1_saveexec_b32 s0, s0
	s_cbranch_execnz .LBB218_116
	s_branch .LBB218_117
.LBB218_113:
	s_and_not1_saveexec_b32 s1, s1
	s_cbranch_execz .LBB218_109
.LBB218_114:
	v_add_f64 v[1:2], v[5:6], -v[1:2]
	s_delay_alu instid0(VALU_DEP_1) | instskip(NEXT) | instid1(VALU_DEP_1)
	v_mul_f64 v[1:2], v[1:2], 0.5
	v_cmp_gt_f64_e32 vcc_lo, 0x10000000, v[1:2]
	v_cndmask_b32_e64 v5, 0, 1, vcc_lo
	s_delay_alu instid0(VALU_DEP_1) | instskip(NEXT) | instid1(VALU_DEP_1)
	v_lshlrev_b32_e32 v5, 8, v5
	v_ldexp_f64 v[1:2], v[1:2], v5
	s_delay_alu instid0(VALU_DEP_1) | instskip(SKIP_3) | instid1(VALU_DEP_1)
	v_rsq_f64_e32 v[5:6], v[1:2]
	s_waitcnt_depctr 0xfff
	v_mul_f64 v[9:10], v[1:2], v[5:6]
	v_mul_f64 v[5:6], v[5:6], 0.5
	v_fma_f64 v[19:20], -v[5:6], v[9:10], 0.5
	s_delay_alu instid0(VALU_DEP_1) | instskip(SKIP_1) | instid1(VALU_DEP_2)
	v_fma_f64 v[9:10], v[9:10], v[19:20], v[9:10]
	v_fma_f64 v[5:6], v[5:6], v[19:20], v[5:6]
	v_fma_f64 v[19:20], -v[9:10], v[9:10], v[1:2]
	s_delay_alu instid0(VALU_DEP_1) | instskip(NEXT) | instid1(VALU_DEP_1)
	v_fma_f64 v[9:10], v[19:20], v[5:6], v[9:10]
	v_fma_f64 v[19:20], -v[9:10], v[9:10], v[1:2]
	s_delay_alu instid0(VALU_DEP_1) | instskip(SKIP_3) | instid1(VALU_DEP_3)
	v_fma_f64 v[5:6], v[19:20], v[5:6], v[9:10]
	v_cndmask_b32_e64 v9, 0, 0xffffff80, vcc_lo
	v_cmp_class_f64_e64 vcc_lo, v[1:2], 0x260
	v_and_b32_e32 v10, 0x7fffffff, v4
	v_ldexp_f64 v[5:6], v[5:6], v9
	s_delay_alu instid0(VALU_DEP_1) | instskip(NEXT) | instid1(VALU_DEP_1)
	v_dual_cndmask_b32 v6, v6, v2 :: v_dual_cndmask_b32 v5, v5, v1
	v_add_f64 v[1:2], v[5:6], v[5:6]
	v_bfi_b32 v6, 0x7fffffff, v6, v4
	v_mov_b32_e32 v9, v3
	s_delay_alu instid0(VALU_DEP_1) | instskip(SKIP_1) | instid1(VALU_DEP_2)
	v_div_scale_f64 v[19:20], null, v[1:2], v[1:2], v[9:10]
	v_div_scale_f64 v[9:10], vcc_lo, v[9:10], v[1:2], v[9:10]
	v_rcp_f64_e32 v[23:24], v[19:20]
	s_waitcnt_depctr 0xfff
	v_fma_f64 v[26:27], -v[19:20], v[23:24], 1.0
	s_delay_alu instid0(VALU_DEP_1) | instskip(NEXT) | instid1(VALU_DEP_1)
	v_fma_f64 v[23:24], v[23:24], v[26:27], v[23:24]
	v_fma_f64 v[26:27], -v[19:20], v[23:24], 1.0
	s_delay_alu instid0(VALU_DEP_1) | instskip(NEXT) | instid1(VALU_DEP_1)
	v_fma_f64 v[23:24], v[23:24], v[26:27], v[23:24]
	v_mul_f64 v[26:27], v[9:10], v[23:24]
	s_delay_alu instid0(VALU_DEP_1) | instskip(NEXT) | instid1(VALU_DEP_1)
	v_fma_f64 v[9:10], -v[19:20], v[26:27], v[9:10]
	v_div_fmas_f64 v[9:10], v[9:10], v[23:24], v[26:27]
	s_delay_alu instid0(VALU_DEP_1) | instskip(SKIP_3) | instid1(SALU_CYCLE_1)
	v_div_fixup_f64 v[1:2], v[9:10], v[1:2], |v[3:4]|
	v_dual_mov_b32 v3, v5 :: v_dual_mov_b32 v4, v6
	s_or_b32 exec_lo, exec_lo, s1
	s_and_saveexec_b32 s1, s0
	s_xor_b32 s0, exec_lo, s1
	s_cbranch_execnz .LBB218_110
.LBB218_115:
	s_and_not1_saveexec_b32 s0, s0
.LBB218_116:
	s_delay_alu instid0(VALU_DEP_2) | instskip(NEXT) | instid1(VALU_DEP_2)
	v_add_f64 v[1:2], v[1:2], v[1:2]
	v_add_f64 v[3:4], v[3:4], v[3:4]
.LBB218_117:
	s_or_b32 exec_lo, exec_lo, s0
.LBB218_118:
	s_and_not1_saveexec_b32 s0, s13
	s_cbranch_execz .LBB218_124
; %bb.119:
	s_delay_alu instid0(VALU_DEP_1) | instskip(SKIP_1) | instid1(VALU_DEP_3)
	v_add_f64 v[5:6], v[3:4], -v[3:4]
	s_mov_b32 s1, exec_lo
	v_cmpx_lt_i64_e32 -1, v[1:2]
	s_xor_b32 s1, exec_lo, s1
; %bb.120:
	s_delay_alu instid0(VALU_DEP_2) | instskip(NEXT) | instid1(VALU_DEP_1)
	v_bfi_b32 v6, 0x7fffffff, v6, v4
	v_dual_mov_b32 v3, v5 :: v_dual_mov_b32 v4, v6
                                        ; implicit-def: $vgpr5_vgpr6
; %bb.121:
	s_and_not1_saveexec_b32 s1, s1
; %bb.122:
	s_delay_alu instid0(VALU_DEP_1) | instskip(SKIP_1) | instid1(VALU_DEP_2)
	v_bfi_b32 v2, 0x7fffffff, v2, v4
	v_and_b32_e32 v6, 0x7fffffff, v6
	v_dual_mov_b32 v4, v2 :: v_dual_mov_b32 v3, v1
	s_delay_alu instid0(VALU_DEP_2)
	v_dual_mov_b32 v1, v5 :: v_dual_mov_b32 v2, v6
; %bb.123:
	s_or_b32 exec_lo, exec_lo, s1
.LBB218_124:
	s_delay_alu instid0(SALU_CYCLE_1)
	s_or_b32 exec_lo, exec_lo, s0
.LBB218_125:
	s_and_not1_saveexec_b32 s0, s12
; %bb.126:
	s_delay_alu instid0(VALU_DEP_1) | instskip(NEXT) | instid1(VALU_DEP_1)
	v_add_f64 v[3:4], v[3:4], -v[3:4]
	v_div_scale_f64 v[5:6], vcc_lo, v[3:4], v[3:4], v[3:4]
	s_delay_alu instid0(VALU_DEP_1) | instskip(SKIP_2) | instid1(VALU_DEP_1)
	v_rcp_f64_e32 v[9:10], v[5:6]
	s_waitcnt_depctr 0xfff
	v_fma_f64 v[19:20], -v[5:6], v[9:10], 1.0
	v_fma_f64 v[9:10], v[9:10], v[19:20], v[9:10]
	s_delay_alu instid0(VALU_DEP_1) | instskip(NEXT) | instid1(VALU_DEP_1)
	v_fma_f64 v[19:20], -v[5:6], v[9:10], 1.0
	v_fma_f64 v[9:10], v[9:10], v[19:20], v[9:10]
	s_delay_alu instid0(VALU_DEP_1) | instskip(NEXT) | instid1(VALU_DEP_1)
	v_mul_f64 v[19:20], v[5:6], v[9:10]
	v_fma_f64 v[5:6], -v[5:6], v[19:20], v[5:6]
	s_delay_alu instid0(VALU_DEP_1) | instskip(NEXT) | instid1(VALU_DEP_1)
	v_div_fmas_f64 v[5:6], v[5:6], v[9:10], v[19:20]
	v_div_fixup_f64 v[3:4], v[5:6], v[3:4], v[3:4]
; %bb.127:
	s_or_b32 exec_lo, exec_lo, s0
	v_dual_mov_b32 v10, v2 :: v_dual_mov_b32 v9, v1
.LBB218_128:
	s_or_b32 exec_lo, exec_lo, s11
.LBB218_129:
	s_delay_alu instid0(SALU_CYCLE_1)
	s_or_b32 exec_lo, exec_lo, s9
	v_dual_mov_b32 v23, v15 :: v_dual_mov_b32 v24, v16
	v_dual_mov_b32 v15, v7 :: v_dual_mov_b32 v16, v8
	;; [unrolled: 1-line block ×4, first 2 shown]
	s_add_u32 s2, s4, s2
	s_addc_u32 s3, s5, s3
	s_mov_b32 s0, 0
	s_clause 0x3
	global_store_b128 v25, v[21:24], s[2:3]
	global_store_b128 v25, v[17:20], s[2:3] offset:16
	global_store_b128 v25, v[13:16], s[2:3] offset:32
	;; [unrolled: 1-line block ×3, first 2 shown]
.LBB218_130:
	s_and_b32 vcc_lo, exec_lo, s0
	s_cbranch_vccz .LBB218_283
; %bb.131:
	v_mov_b32_e32 v17, 0
	v_dual_mov_b32 v18, 0 :: v_dual_mov_b32 v5, v0
	v_cmp_gt_i32_e64 s0, s10, v0
	v_or_b32_e32 v25, s8, v0
	v_or_b32_e32 v27, 0x100, v0
	s_delay_alu instid0(VALU_DEP_4)
	v_dual_mov_b32 v22, v18 :: v_dual_mov_b32 v21, v17
	v_dual_mov_b32 v24, v18 :: v_dual_mov_b32 v23, v17
	s_and_saveexec_b32 s1, s0
	s_cbranch_execz .LBB218_133
; %bb.132:
	v_mov_b32_e32 v26, 0
	v_or_b32_e32 v5, 0x100, v0
	s_delay_alu instid0(VALU_DEP_2) | instskip(NEXT) | instid1(VALU_DEP_1)
	v_lshlrev_b64 v[1:2], 4, v[25:26]
	v_add_co_u32 v1, vcc_lo, s6, v1
	s_delay_alu instid0(VALU_DEP_2)
	v_add_co_ci_u32_e32 v2, vcc_lo, s7, v2, vcc_lo
	global_load_b128 v[21:24], v[1:2], off
.LBB218_133:
	s_or_b32 exec_lo, exec_lo, s1
	v_dual_mov_b32 v20, v18 :: v_dual_mov_b32 v19, v17
	s_mov_b32 s1, exec_lo
	v_cmpx_gt_i32_e64 s10, v5
	s_cbranch_execz .LBB218_135
; %bb.134:
	v_dual_mov_b32 v2, 0 :: v_dual_add_nc_u32 v1, s8, v5
	v_add_nc_u32_e32 v5, 0x100, v5
	s_delay_alu instid0(VALU_DEP_2) | instskip(NEXT) | instid1(VALU_DEP_1)
	v_lshlrev_b64 v[1:2], 4, v[1:2]
	v_add_co_u32 v1, vcc_lo, s6, v1
	s_delay_alu instid0(VALU_DEP_2)
	v_add_co_ci_u32_e32 v2, vcc_lo, s7, v2, vcc_lo
	global_load_b128 v[17:20], v[1:2], off
.LBB218_135:
	s_or_b32 exec_lo, exec_lo, s1
	v_mov_b32_e32 v1, 0
	v_mov_b32_e32 v2, 0
	s_mov_b32 s1, exec_lo
	s_delay_alu instid0(VALU_DEP_1)
	v_dual_mov_b32 v14, v2 :: v_dual_mov_b32 v13, v1
	v_dual_mov_b32 v16, v2 :: v_dual_mov_b32 v15, v1
	v_cmpx_gt_i32_e64 s10, v5
	s_cbranch_execz .LBB218_137
; %bb.136:
	v_dual_mov_b32 v4, 0 :: v_dual_add_nc_u32 v3, s8, v5
	v_add_nc_u32_e32 v5, 0x100, v5
	s_delay_alu instid0(VALU_DEP_2) | instskip(NEXT) | instid1(VALU_DEP_1)
	v_lshlrev_b64 v[3:4], 4, v[3:4]
	v_add_co_u32 v3, vcc_lo, s6, v3
	s_delay_alu instid0(VALU_DEP_2)
	v_add_co_ci_u32_e32 v4, vcc_lo, s7, v4, vcc_lo
	global_load_b128 v[13:16], v[3:4], off
.LBB218_137:
	s_or_b32 exec_lo, exec_lo, s1
	v_dual_mov_b32 v4, v2 :: v_dual_mov_b32 v3, v1
	s_mov_b32 s1, exec_lo
	v_cmpx_gt_i32_e64 s10, v5
	s_cbranch_execz .LBB218_139
; %bb.138:
	v_dual_mov_b32 v2, 0 :: v_dual_add_nc_u32 v1, s8, v5
	s_delay_alu instid0(VALU_DEP_1) | instskip(NEXT) | instid1(VALU_DEP_1)
	v_lshlrev_b64 v[1:2], 4, v[1:2]
	v_add_co_u32 v1, vcc_lo, s6, v1
	s_delay_alu instid0(VALU_DEP_2)
	v_add_co_ci_u32_e32 v2, vcc_lo, s7, v2, vcc_lo
	global_load_b128 v[1:4], v[1:2], off
.LBB218_139:
	s_or_b32 exec_lo, exec_lo, s1
	v_mov_b32_e32 v7, 0
	v_mov_b32_e32 v8, 0
	s_delay_alu instid0(VALU_DEP_1)
	v_dual_mov_b32 v12, v8 :: v_dual_mov_b32 v11, v7
	v_dual_mov_b32 v10, v8 :: v_dual_mov_b32 v9, v7
	s_and_saveexec_b32 s3, s0
	s_cbranch_execz .LBB218_173
; %bb.140:
	s_waitcnt vmcnt(0)
	v_cmp_neq_f64_e32 vcc_lo, 0, v[21:22]
	v_cmp_neq_f64_e64 s1, 0, v[23:24]
	v_mov_b32_e32 v9, 0
	v_mov_b32_e32 v10, 0
	s_delay_alu instid0(VALU_DEP_3) | instskip(NEXT) | instid1(SALU_CYCLE_1)
	s_or_b32 s1, vcc_lo, s1
	s_and_saveexec_b32 s6, s1
	s_cbranch_execz .LBB218_172
; %bb.141:
	s_mov_b32 s12, 0
	s_mov_b32 s13, 0x7ff00000
	v_mov_b32_e32 v9, s12
	v_mov_b32_e32 v10, s13
	s_mov_b32 s7, exec_lo
	v_cmpx_neq_f64_e64 0x7ff00000, |v[23:24]|
	s_cbranch_execz .LBB218_171
; %bb.142:
	s_mov_b32 s1, exec_lo
	v_cmpx_o_f64_e32 v[21:22], v[21:22]
	s_xor_b32 s9, exec_lo, s1
	s_cbranch_execz .LBB218_168
; %bb.143:
	s_mov_b32 s2, exec_lo
	v_cmpx_neq_f64_e64 0x7ff00000, |v[21:22]|
	s_xor_b32 s11, exec_lo, s2
	s_cbranch_execz .LBB218_161
; %bb.144:
	v_max_f64 v[5:6], |v[23:24]|, |v[23:24]|
	v_max_f64 v[9:10], |v[21:22]|, |v[21:22]|
	s_mov_b32 s12, 0x99fcef32
	s_mov_b32 s13, 0x7fda8279
	s_delay_alu instid0(VALU_DEP_1) | instskip(NEXT) | instid1(VALU_DEP_1)
	v_max_f64 v[5:6], v[9:10], v[5:6]
	v_cmp_nle_f64_e64 s1, s[12:13], v[5:6]
                                        ; implicit-def: $sgpr12
	s_delay_alu instid0(VALU_DEP_1) | instskip(NEXT) | instid1(SALU_CYCLE_1)
	s_and_saveexec_b32 s2, s1
	s_xor_b32 s2, exec_lo, s2
	s_cbranch_execz .LBB218_148
; %bb.145:
	v_cmp_ge_f64_e64 s12, 0x200000, |v[21:22]|
	v_cmp_ge_f64_e64 s13, 0x200000, |v[23:24]|
	s_delay_alu instid0(VALU_DEP_1)
	s_and_b32 s14, s12, s13
	s_mov_b32 s12, 0
	s_and_saveexec_b32 s13, s14
; %bb.146:
	v_mul_f64 v[21:22], v[21:22], 4.0
	v_mul_f64 v[23:24], v[23:24], 4.0
	s_mov_b32 s12, exec_lo
; %bb.147:
	s_or_b32 exec_lo, exec_lo, s13
	s_delay_alu instid0(SALU_CYCLE_1)
	s_and_b32 s12, s12, exec_lo
.LBB218_148:
	s_and_not1_saveexec_b32 s2, s2
; %bb.149:
	s_delay_alu instid0(VALU_DEP_2) | instskip(NEXT) | instid1(VALU_DEP_2)
	v_ldexp_f64 v[21:22], v[21:22], -2
	v_ldexp_f64 v[23:24], v[23:24], -2
	s_and_not1_b32 s12, s12, exec_lo
; %bb.150:
	s_or_b32 exec_lo, exec_lo, s2
	s_delay_alu instid0(VALU_DEP_1) | instskip(NEXT) | instid1(VALU_DEP_3)
	v_max_f64 v[5:6], |v[23:24]|, |v[23:24]|
	v_max_f64 v[9:10], |v[21:22]|, |v[21:22]|
	v_cmp_class_f64_e64 s13, v[21:22], 0x204
	v_cmp_class_f64_e64 s14, v[23:24], 0x204
	v_cmp_le_f64_e64 s2, 0, v[21:22]
	s_delay_alu instid0(VALU_DEP_4) | instskip(NEXT) | instid1(VALU_DEP_3)
	v_max_f64 v[5:6], v[9:10], v[5:6]
	s_or_b32 s13, s14, s13
	s_delay_alu instid0(VALU_DEP_1) | instskip(NEXT) | instid1(VALU_DEP_1)
	v_frexp_exp_i32_f64_e32 v26, v[5:6]
	v_sub_nc_u32_e32 v9, 0, v26
	s_delay_alu instid0(VALU_DEP_1) | instskip(SKIP_1) | instid1(VALU_DEP_2)
	v_ldexp_f64 v[5:6], |v[23:24]|, v9
	v_ldexp_f64 v[9:10], |v[21:22]|, v9
	v_mul_f64 v[5:6], v[5:6], v[5:6]
	s_delay_alu instid0(VALU_DEP_1) | instskip(NEXT) | instid1(VALU_DEP_1)
	v_fma_f64 v[5:6], v[9:10], v[9:10], v[5:6]
	v_rsq_f64_e32 v[9:10], v[5:6]
	v_cmp_eq_f64_e32 vcc_lo, 0, v[5:6]
	s_waitcnt_depctr 0xfff
	v_mul_f64 v[11:12], v[5:6], v[9:10]
	v_mul_f64 v[9:10], v[9:10], 0.5
	s_delay_alu instid0(VALU_DEP_1) | instskip(NEXT) | instid1(VALU_DEP_1)
	v_fma_f64 v[28:29], -v[9:10], v[11:12], 0.5
	v_fma_f64 v[11:12], v[11:12], v[28:29], v[11:12]
	v_fma_f64 v[9:10], v[9:10], v[28:29], v[9:10]
	s_delay_alu instid0(VALU_DEP_2) | instskip(NEXT) | instid1(VALU_DEP_1)
	v_fma_f64 v[28:29], -v[11:12], v[11:12], v[5:6]
	v_fma_f64 v[9:10], v[28:29], v[9:10], v[11:12]
	s_delay_alu instid0(VALU_DEP_1) | instskip(SKIP_1) | instid1(VALU_DEP_2)
	v_dual_cndmask_b32 v6, v10, v6 :: v_dual_cndmask_b32 v5, v9, v5
	v_cmp_o_f64_e32 vcc_lo, v[23:24], v[23:24]
	v_ldexp_f64 v[5:6], v[5:6], v26
	s_delay_alu instid0(VALU_DEP_1) | instskip(NEXT) | instid1(VALU_DEP_2)
	v_cndmask_b32_e32 v5, 0, v5, vcc_lo
	v_cndmask_b32_e32 v6, 0x7ff80000, v6, vcc_lo
	s_delay_alu instid0(VALU_DEP_2) | instskip(NEXT) | instid1(VALU_DEP_2)
	v_cndmask_b32_e64 v5, v5, 0, s13
	v_cndmask_b32_e64 v6, v6, 0x7ff00000, s13
	s_and_saveexec_b32 s13, s2
	s_delay_alu instid0(SALU_CYCLE_1)
	s_xor_b32 s2, exec_lo, s13
	s_cbranch_execz .LBB218_156
; %bb.151:
	s_delay_alu instid0(VALU_DEP_1) | instskip(NEXT) | instid1(VALU_DEP_1)
	v_add_f64 v[5:6], v[21:22], v[5:6]
	v_mul_f64 v[5:6], v[5:6], 0.5
	s_delay_alu instid0(VALU_DEP_1) | instskip(SKIP_1) | instid1(VALU_DEP_1)
	v_cmp_gt_f64_e32 vcc_lo, 0x10000000, v[5:6]
	v_cndmask_b32_e64 v9, 0, 1, vcc_lo
	v_lshlrev_b32_e32 v9, 8, v9
	s_delay_alu instid0(VALU_DEP_1) | instskip(NEXT) | instid1(VALU_DEP_1)
	v_ldexp_f64 v[5:6], v[5:6], v9
	v_rsq_f64_e32 v[9:10], v[5:6]
	s_waitcnt_depctr 0xfff
	v_mul_f64 v[11:12], v[5:6], v[9:10]
	v_mul_f64 v[9:10], v[9:10], 0.5
	s_delay_alu instid0(VALU_DEP_1) | instskip(NEXT) | instid1(VALU_DEP_1)
	v_fma_f64 v[21:22], -v[9:10], v[11:12], 0.5
	v_fma_f64 v[11:12], v[11:12], v[21:22], v[11:12]
	v_fma_f64 v[9:10], v[9:10], v[21:22], v[9:10]
	s_delay_alu instid0(VALU_DEP_2) | instskip(NEXT) | instid1(VALU_DEP_1)
	v_fma_f64 v[21:22], -v[11:12], v[11:12], v[5:6]
	v_fma_f64 v[11:12], v[21:22], v[9:10], v[11:12]
	s_delay_alu instid0(VALU_DEP_1) | instskip(NEXT) | instid1(VALU_DEP_1)
	v_fma_f64 v[21:22], -v[11:12], v[11:12], v[5:6]
	v_fma_f64 v[9:10], v[21:22], v[9:10], v[11:12]
	v_cndmask_b32_e64 v11, 0, 0xffffff80, vcc_lo
	v_cmp_class_f64_e64 vcc_lo, v[5:6], 0x260
	s_delay_alu instid0(VALU_DEP_2) | instskip(NEXT) | instid1(VALU_DEP_1)
	v_ldexp_f64 v[9:10], v[9:10], v11
	v_dual_cndmask_b32 v22, v10, v6 :: v_dual_cndmask_b32 v21, v9, v5
	s_delay_alu instid0(VALU_DEP_1) | instskip(NEXT) | instid1(VALU_DEP_1)
	v_add_f64 v[5:6], v[21:22], v[21:22]
	v_div_scale_f64 v[9:10], null, v[5:6], v[5:6], v[23:24]
	s_delay_alu instid0(VALU_DEP_1) | instskip(SKIP_2) | instid1(VALU_DEP_1)
	v_rcp_f64_e32 v[11:12], v[9:10]
	s_waitcnt_depctr 0xfff
	v_fma_f64 v[28:29], -v[9:10], v[11:12], 1.0
	v_fma_f64 v[11:12], v[11:12], v[28:29], v[11:12]
	s_delay_alu instid0(VALU_DEP_1) | instskip(NEXT) | instid1(VALU_DEP_1)
	v_fma_f64 v[28:29], -v[9:10], v[11:12], 1.0
	v_fma_f64 v[11:12], v[11:12], v[28:29], v[11:12]
	v_div_scale_f64 v[28:29], vcc_lo, v[23:24], v[5:6], v[23:24]
	s_delay_alu instid0(VALU_DEP_1) | instskip(NEXT) | instid1(VALU_DEP_1)
	v_mul_f64 v[30:31], v[28:29], v[11:12]
	v_fma_f64 v[9:10], -v[9:10], v[30:31], v[28:29]
	s_delay_alu instid0(VALU_DEP_1) | instskip(NEXT) | instid1(VALU_DEP_1)
	v_div_fmas_f64 v[9:10], v[9:10], v[11:12], v[30:31]
	v_div_fixup_f64 v[23:24], v[9:10], v[5:6], v[23:24]
                                        ; implicit-def: $vgpr5_vgpr6
	s_and_not1_saveexec_b32 s2, s2
	s_cbranch_execnz .LBB218_157
.LBB218_152:
	s_or_b32 exec_lo, exec_lo, s2
	s_and_saveexec_b32 s2, s1
	s_delay_alu instid0(SALU_CYCLE_1)
	s_xor_b32 s1, exec_lo, s2
	s_cbranch_execz .LBB218_158
.LBB218_153:
	s_and_saveexec_b32 s2, s12
; %bb.154:
	s_delay_alu instid0(VALU_DEP_2) | instskip(NEXT) | instid1(VALU_DEP_2)
	v_mul_f64 v[21:22], v[21:22], 0.5
	v_mul_f64 v[23:24], v[23:24], 0.5
; %bb.155:
	s_or_b32 exec_lo, exec_lo, s2
	s_and_not1_saveexec_b32 s1, s1
	s_cbranch_execnz .LBB218_159
	s_branch .LBB218_160
.LBB218_156:
	s_and_not1_saveexec_b32 s2, s2
	s_cbranch_execz .LBB218_152
.LBB218_157:
	v_add_f64 v[5:6], v[5:6], -v[21:22]
	s_delay_alu instid0(VALU_DEP_1) | instskip(NEXT) | instid1(VALU_DEP_1)
	v_mul_f64 v[5:6], v[5:6], 0.5
	v_cmp_gt_f64_e32 vcc_lo, 0x10000000, v[5:6]
	v_cndmask_b32_e64 v9, 0, 1, vcc_lo
	s_delay_alu instid0(VALU_DEP_1) | instskip(NEXT) | instid1(VALU_DEP_1)
	v_lshlrev_b32_e32 v9, 8, v9
	v_ldexp_f64 v[5:6], v[5:6], v9
	s_delay_alu instid0(VALU_DEP_1) | instskip(SKIP_3) | instid1(VALU_DEP_1)
	v_rsq_f64_e32 v[9:10], v[5:6]
	s_waitcnt_depctr 0xfff
	v_mul_f64 v[11:12], v[5:6], v[9:10]
	v_mul_f64 v[9:10], v[9:10], 0.5
	v_fma_f64 v[21:22], -v[9:10], v[11:12], 0.5
	s_delay_alu instid0(VALU_DEP_1) | instskip(SKIP_1) | instid1(VALU_DEP_2)
	v_fma_f64 v[11:12], v[11:12], v[21:22], v[11:12]
	v_fma_f64 v[9:10], v[9:10], v[21:22], v[9:10]
	v_fma_f64 v[21:22], -v[11:12], v[11:12], v[5:6]
	s_delay_alu instid0(VALU_DEP_1) | instskip(NEXT) | instid1(VALU_DEP_1)
	v_fma_f64 v[11:12], v[21:22], v[9:10], v[11:12]
	v_fma_f64 v[21:22], -v[11:12], v[11:12], v[5:6]
	s_delay_alu instid0(VALU_DEP_1) | instskip(SKIP_3) | instid1(VALU_DEP_3)
	v_fma_f64 v[9:10], v[21:22], v[9:10], v[11:12]
	v_cndmask_b32_e64 v11, 0, 0xffffff80, vcc_lo
	v_cmp_class_f64_e64 vcc_lo, v[5:6], 0x260
	v_and_b32_e32 v12, 0x7fffffff, v24
	v_ldexp_f64 v[9:10], v[9:10], v11
	s_delay_alu instid0(VALU_DEP_1) | instskip(NEXT) | instid1(VALU_DEP_1)
	v_dual_cndmask_b32 v6, v10, v6 :: v_dual_cndmask_b32 v5, v9, v5
	v_add_f64 v[9:10], v[5:6], v[5:6]
	v_bfi_b32 v6, 0x7fffffff, v6, v24
	v_mov_b32_e32 v11, v23
	s_delay_alu instid0(VALU_DEP_1) | instskip(SKIP_1) | instid1(VALU_DEP_2)
	v_div_scale_f64 v[21:22], null, v[9:10], v[9:10], v[11:12]
	v_div_scale_f64 v[11:12], vcc_lo, v[11:12], v[9:10], v[11:12]
	v_rcp_f64_e32 v[28:29], v[21:22]
	s_waitcnt_depctr 0xfff
	v_fma_f64 v[30:31], -v[21:22], v[28:29], 1.0
	s_delay_alu instid0(VALU_DEP_1) | instskip(NEXT) | instid1(VALU_DEP_1)
	v_fma_f64 v[28:29], v[28:29], v[30:31], v[28:29]
	v_fma_f64 v[30:31], -v[21:22], v[28:29], 1.0
	s_delay_alu instid0(VALU_DEP_1) | instskip(NEXT) | instid1(VALU_DEP_1)
	v_fma_f64 v[28:29], v[28:29], v[30:31], v[28:29]
	v_mul_f64 v[30:31], v[11:12], v[28:29]
	s_delay_alu instid0(VALU_DEP_1) | instskip(NEXT) | instid1(VALU_DEP_1)
	v_fma_f64 v[11:12], -v[21:22], v[30:31], v[11:12]
	v_div_fmas_f64 v[11:12], v[11:12], v[28:29], v[30:31]
	s_delay_alu instid0(VALU_DEP_1) | instskip(SKIP_3) | instid1(SALU_CYCLE_1)
	v_div_fixup_f64 v[21:22], v[11:12], v[9:10], |v[23:24]|
	v_dual_mov_b32 v24, v6 :: v_dual_mov_b32 v23, v5
	s_or_b32 exec_lo, exec_lo, s2
	s_and_saveexec_b32 s2, s1
	s_xor_b32 s1, exec_lo, s2
	s_cbranch_execnz .LBB218_153
.LBB218_158:
	s_and_not1_saveexec_b32 s1, s1
.LBB218_159:
	s_delay_alu instid0(VALU_DEP_2) | instskip(NEXT) | instid1(VALU_DEP_2)
	v_add_f64 v[21:22], v[21:22], v[21:22]
	v_add_f64 v[23:24], v[23:24], v[23:24]
.LBB218_160:
	s_or_b32 exec_lo, exec_lo, s1
.LBB218_161:
	s_and_not1_saveexec_b32 s1, s11
	s_cbranch_execz .LBB218_167
; %bb.162:
	s_delay_alu instid0(VALU_DEP_1) | instskip(SKIP_1) | instid1(VALU_DEP_3)
	v_add_f64 v[5:6], v[23:24], -v[23:24]
	s_mov_b32 s2, exec_lo
	v_cmpx_lt_i64_e32 -1, v[21:22]
	s_xor_b32 s2, exec_lo, s2
; %bb.163:
	s_delay_alu instid0(VALU_DEP_2) | instskip(NEXT) | instid1(VALU_DEP_1)
	v_bfi_b32 v6, 0x7fffffff, v6, v24
	v_dual_mov_b32 v24, v6 :: v_dual_mov_b32 v23, v5
                                        ; implicit-def: $vgpr5_vgpr6
; %bb.164:
	s_and_not1_saveexec_b32 s2, s2
; %bb.165:
	s_delay_alu instid0(VALU_DEP_1) | instskip(SKIP_1) | instid1(VALU_DEP_2)
	v_bfi_b32 v22, 0x7fffffff, v22, v24
	v_and_b32_e32 v6, 0x7fffffff, v6
	v_dual_mov_b32 v24, v22 :: v_dual_mov_b32 v23, v21
	s_delay_alu instid0(VALU_DEP_2)
	v_dual_mov_b32 v22, v6 :: v_dual_mov_b32 v21, v5
; %bb.166:
	s_or_b32 exec_lo, exec_lo, s2
.LBB218_167:
	s_delay_alu instid0(SALU_CYCLE_1)
	s_or_b32 exec_lo, exec_lo, s1
.LBB218_168:
	s_and_not1_saveexec_b32 s1, s9
; %bb.169:
	s_delay_alu instid0(VALU_DEP_1) | instskip(NEXT) | instid1(VALU_DEP_1)
	v_add_f64 v[5:6], v[23:24], -v[23:24]
	v_div_scale_f64 v[9:10], vcc_lo, v[5:6], v[5:6], v[5:6]
	s_delay_alu instid0(VALU_DEP_1) | instskip(SKIP_2) | instid1(VALU_DEP_1)
	v_rcp_f64_e32 v[11:12], v[9:10]
	s_waitcnt_depctr 0xfff
	v_fma_f64 v[23:24], -v[9:10], v[11:12], 1.0
	v_fma_f64 v[11:12], v[11:12], v[23:24], v[11:12]
	s_delay_alu instid0(VALU_DEP_1) | instskip(NEXT) | instid1(VALU_DEP_1)
	v_fma_f64 v[23:24], -v[9:10], v[11:12], 1.0
	v_fma_f64 v[11:12], v[11:12], v[23:24], v[11:12]
	s_delay_alu instid0(VALU_DEP_1) | instskip(NEXT) | instid1(VALU_DEP_1)
	v_mul_f64 v[23:24], v[9:10], v[11:12]
	v_fma_f64 v[9:10], -v[9:10], v[23:24], v[9:10]
	s_delay_alu instid0(VALU_DEP_1) | instskip(NEXT) | instid1(VALU_DEP_1)
	v_div_fmas_f64 v[9:10], v[9:10], v[11:12], v[23:24]
	v_div_fixup_f64 v[23:24], v[9:10], v[5:6], v[5:6]
; %bb.170:
	s_or_b32 exec_lo, exec_lo, s1
	v_dual_mov_b32 v9, v21 :: v_dual_mov_b32 v10, v22
.LBB218_171:
	s_or_b32 exec_lo, exec_lo, s7
.LBB218_172:
	s_delay_alu instid0(SALU_CYCLE_1) | instskip(NEXT) | instid1(VALU_DEP_2)
	s_or_b32 exec_lo, exec_lo, s6
	v_dual_mov_b32 v11, v23 :: v_dual_mov_b32 v12, v24
.LBB218_173:
	s_or_b32 exec_lo, exec_lo, s3
	v_dual_mov_b32 v5, v7 :: v_dual_mov_b32 v6, v8
	s_mov_b32 s3, exec_lo
	v_cmpx_gt_i32_e64 s10, v27
	s_cbranch_execz .LBB218_207
; %bb.174:
	s_waitcnt vmcnt(0)
	v_cmp_neq_f64_e32 vcc_lo, 0, v[17:18]
	v_cmp_neq_f64_e64 s1, 0, v[19:20]
	v_mov_b32_e32 v5, 0
	v_mov_b32_e32 v6, 0
	s_delay_alu instid0(VALU_DEP_3) | instskip(NEXT) | instid1(SALU_CYCLE_1)
	s_or_b32 s1, vcc_lo, s1
	s_and_saveexec_b32 s6, s1
	s_cbranch_execz .LBB218_206
; %bb.175:
	s_mov_b32 s12, 0
	s_mov_b32 s13, 0x7ff00000
	v_mov_b32_e32 v5, s12
	v_mov_b32_e32 v6, s13
	s_mov_b32 s7, exec_lo
	v_cmpx_neq_f64_e64 0x7ff00000, |v[19:20]|
	s_cbranch_execz .LBB218_205
; %bb.176:
	s_mov_b32 s1, exec_lo
	v_cmpx_o_f64_e32 v[17:18], v[17:18]
	s_xor_b32 s9, exec_lo, s1
	s_cbranch_execz .LBB218_202
; %bb.177:
	s_mov_b32 s2, exec_lo
	v_cmpx_neq_f64_e64 0x7ff00000, |v[17:18]|
	s_xor_b32 s11, exec_lo, s2
	s_cbranch_execz .LBB218_195
; %bb.178:
	v_max_f64 v[5:6], |v[19:20]|, |v[19:20]|
	v_max_f64 v[7:8], |v[17:18]|, |v[17:18]|
	s_mov_b32 s12, 0x99fcef32
	s_mov_b32 s13, 0x7fda8279
	s_delay_alu instid0(VALU_DEP_1) | instskip(NEXT) | instid1(VALU_DEP_1)
	v_max_f64 v[5:6], v[7:8], v[5:6]
	v_cmp_nle_f64_e64 s1, s[12:13], v[5:6]
                                        ; implicit-def: $sgpr12
	s_delay_alu instid0(VALU_DEP_1) | instskip(NEXT) | instid1(SALU_CYCLE_1)
	s_and_saveexec_b32 s2, s1
	s_xor_b32 s2, exec_lo, s2
	s_cbranch_execz .LBB218_182
; %bb.179:
	v_cmp_ge_f64_e64 s12, 0x200000, |v[17:18]|
	v_cmp_ge_f64_e64 s13, 0x200000, |v[19:20]|
	s_delay_alu instid0(VALU_DEP_1)
	s_and_b32 s14, s12, s13
	s_mov_b32 s12, 0
	s_and_saveexec_b32 s13, s14
; %bb.180:
	v_mul_f64 v[17:18], v[17:18], 4.0
	v_mul_f64 v[19:20], v[19:20], 4.0
	s_mov_b32 s12, exec_lo
; %bb.181:
	s_or_b32 exec_lo, exec_lo, s13
	s_delay_alu instid0(SALU_CYCLE_1)
	s_and_b32 s12, s12, exec_lo
.LBB218_182:
	s_and_not1_saveexec_b32 s2, s2
; %bb.183:
	s_delay_alu instid0(VALU_DEP_2) | instskip(NEXT) | instid1(VALU_DEP_2)
	v_ldexp_f64 v[17:18], v[17:18], -2
	v_ldexp_f64 v[19:20], v[19:20], -2
	s_and_not1_b32 s12, s12, exec_lo
; %bb.184:
	s_or_b32 exec_lo, exec_lo, s2
	s_delay_alu instid0(VALU_DEP_1) | instskip(NEXT) | instid1(VALU_DEP_3)
	v_max_f64 v[5:6], |v[19:20]|, |v[19:20]|
	v_max_f64 v[7:8], |v[17:18]|, |v[17:18]|
	v_cmp_class_f64_e64 s13, v[17:18], 0x204
	v_cmp_class_f64_e64 s14, v[19:20], 0x204
	v_cmp_le_f64_e64 s2, 0, v[17:18]
	s_delay_alu instid0(VALU_DEP_4) | instskip(NEXT) | instid1(VALU_DEP_3)
	v_max_f64 v[5:6], v[7:8], v[5:6]
	s_or_b32 s13, s14, s13
	s_delay_alu instid0(VALU_DEP_1) | instskip(NEXT) | instid1(VALU_DEP_1)
	v_frexp_exp_i32_f64_e32 v26, v[5:6]
	v_sub_nc_u32_e32 v7, 0, v26
	s_delay_alu instid0(VALU_DEP_1) | instskip(SKIP_1) | instid1(VALU_DEP_2)
	v_ldexp_f64 v[5:6], |v[19:20]|, v7
	v_ldexp_f64 v[7:8], |v[17:18]|, v7
	v_mul_f64 v[5:6], v[5:6], v[5:6]
	s_delay_alu instid0(VALU_DEP_1) | instskip(NEXT) | instid1(VALU_DEP_1)
	v_fma_f64 v[5:6], v[7:8], v[7:8], v[5:6]
	v_rsq_f64_e32 v[7:8], v[5:6]
	v_cmp_eq_f64_e32 vcc_lo, 0, v[5:6]
	s_waitcnt_depctr 0xfff
	v_mul_f64 v[21:22], v[5:6], v[7:8]
	v_mul_f64 v[7:8], v[7:8], 0.5
	s_delay_alu instid0(VALU_DEP_1) | instskip(NEXT) | instid1(VALU_DEP_1)
	v_fma_f64 v[23:24], -v[7:8], v[21:22], 0.5
	v_fma_f64 v[21:22], v[21:22], v[23:24], v[21:22]
	v_fma_f64 v[7:8], v[7:8], v[23:24], v[7:8]
	s_delay_alu instid0(VALU_DEP_2) | instskip(NEXT) | instid1(VALU_DEP_1)
	v_fma_f64 v[23:24], -v[21:22], v[21:22], v[5:6]
	v_fma_f64 v[7:8], v[23:24], v[7:8], v[21:22]
	s_delay_alu instid0(VALU_DEP_1) | instskip(SKIP_1) | instid1(VALU_DEP_2)
	v_dual_cndmask_b32 v6, v8, v6 :: v_dual_cndmask_b32 v5, v7, v5
	v_cmp_o_f64_e32 vcc_lo, v[19:20], v[19:20]
	v_ldexp_f64 v[5:6], v[5:6], v26
	s_delay_alu instid0(VALU_DEP_1) | instskip(NEXT) | instid1(VALU_DEP_2)
	v_cndmask_b32_e32 v5, 0, v5, vcc_lo
	v_cndmask_b32_e32 v6, 0x7ff80000, v6, vcc_lo
	s_delay_alu instid0(VALU_DEP_2) | instskip(NEXT) | instid1(VALU_DEP_2)
	v_cndmask_b32_e64 v5, v5, 0, s13
	v_cndmask_b32_e64 v6, v6, 0x7ff00000, s13
	s_and_saveexec_b32 s13, s2
	s_delay_alu instid0(SALU_CYCLE_1)
	s_xor_b32 s2, exec_lo, s13
	s_cbranch_execz .LBB218_190
; %bb.185:
	s_delay_alu instid0(VALU_DEP_1) | instskip(NEXT) | instid1(VALU_DEP_1)
	v_add_f64 v[5:6], v[17:18], v[5:6]
	v_mul_f64 v[5:6], v[5:6], 0.5
	s_delay_alu instid0(VALU_DEP_1) | instskip(SKIP_1) | instid1(VALU_DEP_1)
	v_cmp_gt_f64_e32 vcc_lo, 0x10000000, v[5:6]
	v_cndmask_b32_e64 v7, 0, 1, vcc_lo
	v_lshlrev_b32_e32 v7, 8, v7
	s_delay_alu instid0(VALU_DEP_1) | instskip(NEXT) | instid1(VALU_DEP_1)
	v_ldexp_f64 v[5:6], v[5:6], v7
	v_rsq_f64_e32 v[7:8], v[5:6]
	s_waitcnt_depctr 0xfff
	v_mul_f64 v[17:18], v[5:6], v[7:8]
	v_mul_f64 v[7:8], v[7:8], 0.5
	s_delay_alu instid0(VALU_DEP_1) | instskip(NEXT) | instid1(VALU_DEP_1)
	v_fma_f64 v[21:22], -v[7:8], v[17:18], 0.5
	v_fma_f64 v[17:18], v[17:18], v[21:22], v[17:18]
	v_fma_f64 v[7:8], v[7:8], v[21:22], v[7:8]
	s_delay_alu instid0(VALU_DEP_2) | instskip(NEXT) | instid1(VALU_DEP_1)
	v_fma_f64 v[21:22], -v[17:18], v[17:18], v[5:6]
	v_fma_f64 v[17:18], v[21:22], v[7:8], v[17:18]
	s_delay_alu instid0(VALU_DEP_1) | instskip(NEXT) | instid1(VALU_DEP_1)
	v_fma_f64 v[21:22], -v[17:18], v[17:18], v[5:6]
	v_fma_f64 v[7:8], v[21:22], v[7:8], v[17:18]
	v_cndmask_b32_e64 v17, 0, 0xffffff80, vcc_lo
	v_cmp_class_f64_e64 vcc_lo, v[5:6], 0x260
	s_delay_alu instid0(VALU_DEP_2) | instskip(NEXT) | instid1(VALU_DEP_1)
	v_ldexp_f64 v[7:8], v[7:8], v17
	v_dual_cndmask_b32 v18, v8, v6 :: v_dual_cndmask_b32 v17, v7, v5
	s_delay_alu instid0(VALU_DEP_1) | instskip(NEXT) | instid1(VALU_DEP_1)
	v_add_f64 v[5:6], v[17:18], v[17:18]
	v_div_scale_f64 v[7:8], null, v[5:6], v[5:6], v[19:20]
	s_delay_alu instid0(VALU_DEP_1) | instskip(SKIP_2) | instid1(VALU_DEP_1)
	v_rcp_f64_e32 v[21:22], v[7:8]
	s_waitcnt_depctr 0xfff
	v_fma_f64 v[23:24], -v[7:8], v[21:22], 1.0
	v_fma_f64 v[21:22], v[21:22], v[23:24], v[21:22]
	s_delay_alu instid0(VALU_DEP_1) | instskip(NEXT) | instid1(VALU_DEP_1)
	v_fma_f64 v[23:24], -v[7:8], v[21:22], 1.0
	v_fma_f64 v[21:22], v[21:22], v[23:24], v[21:22]
	v_div_scale_f64 v[23:24], vcc_lo, v[19:20], v[5:6], v[19:20]
	s_delay_alu instid0(VALU_DEP_1) | instskip(NEXT) | instid1(VALU_DEP_1)
	v_mul_f64 v[28:29], v[23:24], v[21:22]
	v_fma_f64 v[7:8], -v[7:8], v[28:29], v[23:24]
	s_delay_alu instid0(VALU_DEP_1) | instskip(NEXT) | instid1(VALU_DEP_1)
	v_div_fmas_f64 v[7:8], v[7:8], v[21:22], v[28:29]
	v_div_fixup_f64 v[19:20], v[7:8], v[5:6], v[19:20]
                                        ; implicit-def: $vgpr5_vgpr6
	s_and_not1_saveexec_b32 s2, s2
	s_cbranch_execnz .LBB218_191
.LBB218_186:
	s_or_b32 exec_lo, exec_lo, s2
	s_and_saveexec_b32 s2, s1
	s_delay_alu instid0(SALU_CYCLE_1)
	s_xor_b32 s1, exec_lo, s2
	s_cbranch_execz .LBB218_192
.LBB218_187:
	s_and_saveexec_b32 s2, s12
; %bb.188:
	s_delay_alu instid0(VALU_DEP_2) | instskip(NEXT) | instid1(VALU_DEP_2)
	v_mul_f64 v[17:18], v[17:18], 0.5
	v_mul_f64 v[19:20], v[19:20], 0.5
; %bb.189:
	s_or_b32 exec_lo, exec_lo, s2
	s_and_not1_saveexec_b32 s1, s1
	s_cbranch_execnz .LBB218_193
	s_branch .LBB218_194
.LBB218_190:
	s_and_not1_saveexec_b32 s2, s2
	s_cbranch_execz .LBB218_186
.LBB218_191:
	v_add_f64 v[5:6], v[5:6], -v[17:18]
	s_delay_alu instid0(VALU_DEP_1) | instskip(NEXT) | instid1(VALU_DEP_1)
	v_mul_f64 v[5:6], v[5:6], 0.5
	v_cmp_gt_f64_e32 vcc_lo, 0x10000000, v[5:6]
	v_cndmask_b32_e64 v7, 0, 1, vcc_lo
	s_delay_alu instid0(VALU_DEP_1) | instskip(NEXT) | instid1(VALU_DEP_1)
	v_lshlrev_b32_e32 v7, 8, v7
	v_ldexp_f64 v[5:6], v[5:6], v7
	s_delay_alu instid0(VALU_DEP_1) | instskip(SKIP_3) | instid1(VALU_DEP_1)
	v_rsq_f64_e32 v[7:8], v[5:6]
	s_waitcnt_depctr 0xfff
	v_mul_f64 v[17:18], v[5:6], v[7:8]
	v_mul_f64 v[7:8], v[7:8], 0.5
	v_fma_f64 v[21:22], -v[7:8], v[17:18], 0.5
	s_delay_alu instid0(VALU_DEP_1) | instskip(SKIP_1) | instid1(VALU_DEP_2)
	v_fma_f64 v[17:18], v[17:18], v[21:22], v[17:18]
	v_fma_f64 v[7:8], v[7:8], v[21:22], v[7:8]
	v_fma_f64 v[21:22], -v[17:18], v[17:18], v[5:6]
	s_delay_alu instid0(VALU_DEP_1) | instskip(NEXT) | instid1(VALU_DEP_1)
	v_fma_f64 v[17:18], v[21:22], v[7:8], v[17:18]
	v_fma_f64 v[21:22], -v[17:18], v[17:18], v[5:6]
	s_delay_alu instid0(VALU_DEP_1) | instskip(SKIP_3) | instid1(VALU_DEP_3)
	v_fma_f64 v[7:8], v[21:22], v[7:8], v[17:18]
	v_cndmask_b32_e64 v17, 0, 0xffffff80, vcc_lo
	v_cmp_class_f64_e64 vcc_lo, v[5:6], 0x260
	v_and_b32_e32 v18, 0x7fffffff, v20
	v_ldexp_f64 v[7:8], v[7:8], v17
	s_delay_alu instid0(VALU_DEP_1) | instskip(NEXT) | instid1(VALU_DEP_1)
	v_dual_cndmask_b32 v6, v8, v6 :: v_dual_cndmask_b32 v5, v7, v5
	v_add_f64 v[7:8], v[5:6], v[5:6]
	v_bfi_b32 v6, 0x7fffffff, v6, v20
	v_mov_b32_e32 v17, v19
	s_delay_alu instid0(VALU_DEP_1) | instskip(SKIP_1) | instid1(VALU_DEP_2)
	v_div_scale_f64 v[21:22], null, v[7:8], v[7:8], v[17:18]
	v_div_scale_f64 v[17:18], vcc_lo, v[17:18], v[7:8], v[17:18]
	v_rcp_f64_e32 v[23:24], v[21:22]
	s_waitcnt_depctr 0xfff
	v_fma_f64 v[28:29], -v[21:22], v[23:24], 1.0
	s_delay_alu instid0(VALU_DEP_1) | instskip(NEXT) | instid1(VALU_DEP_1)
	v_fma_f64 v[23:24], v[23:24], v[28:29], v[23:24]
	v_fma_f64 v[28:29], -v[21:22], v[23:24], 1.0
	s_delay_alu instid0(VALU_DEP_1) | instskip(NEXT) | instid1(VALU_DEP_1)
	v_fma_f64 v[23:24], v[23:24], v[28:29], v[23:24]
	v_mul_f64 v[28:29], v[17:18], v[23:24]
	s_delay_alu instid0(VALU_DEP_1) | instskip(NEXT) | instid1(VALU_DEP_1)
	v_fma_f64 v[17:18], -v[21:22], v[28:29], v[17:18]
	v_div_fmas_f64 v[17:18], v[17:18], v[23:24], v[28:29]
	s_delay_alu instid0(VALU_DEP_1) | instskip(SKIP_3) | instid1(SALU_CYCLE_1)
	v_div_fixup_f64 v[17:18], v[17:18], v[7:8], |v[19:20]|
	v_dual_mov_b32 v20, v6 :: v_dual_mov_b32 v19, v5
	s_or_b32 exec_lo, exec_lo, s2
	s_and_saveexec_b32 s2, s1
	s_xor_b32 s1, exec_lo, s2
	s_cbranch_execnz .LBB218_187
.LBB218_192:
	s_and_not1_saveexec_b32 s1, s1
.LBB218_193:
	s_delay_alu instid0(VALU_DEP_2) | instskip(NEXT) | instid1(VALU_DEP_2)
	v_add_f64 v[17:18], v[17:18], v[17:18]
	v_add_f64 v[19:20], v[19:20], v[19:20]
.LBB218_194:
	s_or_b32 exec_lo, exec_lo, s1
.LBB218_195:
	s_and_not1_saveexec_b32 s1, s11
	s_cbranch_execz .LBB218_201
; %bb.196:
	s_delay_alu instid0(VALU_DEP_1) | instskip(SKIP_1) | instid1(VALU_DEP_3)
	v_add_f64 v[5:6], v[19:20], -v[19:20]
	s_mov_b32 s2, exec_lo
	v_cmpx_lt_i64_e32 -1, v[17:18]
	s_xor_b32 s2, exec_lo, s2
; %bb.197:
	s_delay_alu instid0(VALU_DEP_2) | instskip(NEXT) | instid1(VALU_DEP_1)
	v_bfi_b32 v6, 0x7fffffff, v6, v20
	v_dual_mov_b32 v20, v6 :: v_dual_mov_b32 v19, v5
                                        ; implicit-def: $vgpr5_vgpr6
; %bb.198:
	s_and_not1_saveexec_b32 s2, s2
; %bb.199:
	s_delay_alu instid0(VALU_DEP_1) | instskip(SKIP_1) | instid1(VALU_DEP_2)
	v_bfi_b32 v18, 0x7fffffff, v18, v20
	v_and_b32_e32 v6, 0x7fffffff, v6
	v_dual_mov_b32 v20, v18 :: v_dual_mov_b32 v19, v17
	s_delay_alu instid0(VALU_DEP_2)
	v_dual_mov_b32 v18, v6 :: v_dual_mov_b32 v17, v5
; %bb.200:
	s_or_b32 exec_lo, exec_lo, s2
.LBB218_201:
	s_delay_alu instid0(SALU_CYCLE_1)
	s_or_b32 exec_lo, exec_lo, s1
.LBB218_202:
	s_and_not1_saveexec_b32 s1, s9
; %bb.203:
	s_delay_alu instid0(VALU_DEP_1) | instskip(NEXT) | instid1(VALU_DEP_1)
	v_add_f64 v[5:6], v[19:20], -v[19:20]
	v_div_scale_f64 v[7:8], vcc_lo, v[5:6], v[5:6], v[5:6]
	s_delay_alu instid0(VALU_DEP_1) | instskip(SKIP_2) | instid1(VALU_DEP_1)
	v_rcp_f64_e32 v[19:20], v[7:8]
	s_waitcnt_depctr 0xfff
	v_fma_f64 v[21:22], -v[7:8], v[19:20], 1.0
	v_fma_f64 v[19:20], v[19:20], v[21:22], v[19:20]
	s_delay_alu instid0(VALU_DEP_1) | instskip(NEXT) | instid1(VALU_DEP_1)
	v_fma_f64 v[21:22], -v[7:8], v[19:20], 1.0
	v_fma_f64 v[19:20], v[19:20], v[21:22], v[19:20]
	s_delay_alu instid0(VALU_DEP_1) | instskip(NEXT) | instid1(VALU_DEP_1)
	v_mul_f64 v[21:22], v[7:8], v[19:20]
	v_fma_f64 v[7:8], -v[7:8], v[21:22], v[7:8]
	s_delay_alu instid0(VALU_DEP_1) | instskip(NEXT) | instid1(VALU_DEP_1)
	v_div_fmas_f64 v[7:8], v[7:8], v[19:20], v[21:22]
	v_div_fixup_f64 v[19:20], v[7:8], v[5:6], v[5:6]
; %bb.204:
	s_or_b32 exec_lo, exec_lo, s1
	v_dual_mov_b32 v5, v17 :: v_dual_mov_b32 v6, v18
.LBB218_205:
	s_or_b32 exec_lo, exec_lo, s7
.LBB218_206:
	s_delay_alu instid0(SALU_CYCLE_1) | instskip(NEXT) | instid1(VALU_DEP_2)
	s_or_b32 exec_lo, exec_lo, s6
	v_dual_mov_b32 v7, v19 :: v_dual_mov_b32 v8, v20
.LBB218_207:
	s_or_b32 exec_lo, exec_lo, s3
	s_waitcnt vmcnt(0)
	v_mov_b32_e32 v17, 0
	v_mov_b32_e32 v18, 0
	v_or_b32_e32 v19, 0x200, v0
	s_delay_alu instid0(VALU_DEP_2) | instskip(NEXT) | instid1(VALU_DEP_2)
	v_dual_mov_b32 v22, v18 :: v_dual_mov_b32 v21, v17
	v_cmp_gt_i32_e32 vcc_lo, s10, v19
	v_dual_mov_b32 v20, v18 :: v_dual_mov_b32 v19, v17
	s_and_saveexec_b32 s3, vcc_lo
	s_cbranch_execz .LBB218_241
; %bb.208:
	v_cmp_neq_f64_e32 vcc_lo, 0, v[13:14]
	v_cmp_neq_f64_e64 s1, 0, v[15:16]
	v_mov_b32_e32 v19, 0
	v_mov_b32_e32 v20, 0
	s_delay_alu instid0(VALU_DEP_3) | instskip(NEXT) | instid1(SALU_CYCLE_1)
	s_or_b32 s1, vcc_lo, s1
	s_and_saveexec_b32 s6, s1
	s_cbranch_execz .LBB218_240
; %bb.209:
	s_mov_b32 s12, 0
	s_mov_b32 s13, 0x7ff00000
	v_mov_b32_e32 v19, s12
	v_mov_b32_e32 v20, s13
	s_mov_b32 s7, exec_lo
	v_cmpx_neq_f64_e64 0x7ff00000, |v[15:16]|
	s_cbranch_execz .LBB218_239
; %bb.210:
	s_mov_b32 s1, exec_lo
	v_cmpx_o_f64_e32 v[13:14], v[13:14]
	s_xor_b32 s9, exec_lo, s1
	s_cbranch_execz .LBB218_236
; %bb.211:
	s_mov_b32 s2, exec_lo
	v_cmpx_neq_f64_e64 0x7ff00000, |v[13:14]|
	s_xor_b32 s11, exec_lo, s2
	s_cbranch_execz .LBB218_229
; %bb.212:
	v_max_f64 v[19:20], |v[15:16]|, |v[15:16]|
	v_max_f64 v[21:22], |v[13:14]|, |v[13:14]|
	s_mov_b32 s12, 0x99fcef32
	s_mov_b32 s13, 0x7fda8279
	s_delay_alu instid0(VALU_DEP_1) | instskip(NEXT) | instid1(VALU_DEP_1)
	v_max_f64 v[19:20], v[21:22], v[19:20]
	v_cmp_nle_f64_e64 s1, s[12:13], v[19:20]
                                        ; implicit-def: $sgpr12
	s_delay_alu instid0(VALU_DEP_1) | instskip(NEXT) | instid1(SALU_CYCLE_1)
	s_and_saveexec_b32 s2, s1
	s_xor_b32 s2, exec_lo, s2
	s_cbranch_execz .LBB218_216
; %bb.213:
	v_cmp_ge_f64_e64 s12, 0x200000, |v[13:14]|
	v_cmp_ge_f64_e64 s13, 0x200000, |v[15:16]|
	s_delay_alu instid0(VALU_DEP_1)
	s_and_b32 s14, s12, s13
	s_mov_b32 s12, 0
	s_and_saveexec_b32 s13, s14
; %bb.214:
	v_mul_f64 v[13:14], v[13:14], 4.0
	v_mul_f64 v[15:16], v[15:16], 4.0
	s_mov_b32 s12, exec_lo
; %bb.215:
	s_or_b32 exec_lo, exec_lo, s13
	s_delay_alu instid0(SALU_CYCLE_1)
	s_and_b32 s12, s12, exec_lo
.LBB218_216:
	s_and_not1_saveexec_b32 s2, s2
; %bb.217:
	s_delay_alu instid0(VALU_DEP_2) | instskip(NEXT) | instid1(VALU_DEP_2)
	v_ldexp_f64 v[13:14], v[13:14], -2
	v_ldexp_f64 v[15:16], v[15:16], -2
	s_and_not1_b32 s12, s12, exec_lo
; %bb.218:
	s_or_b32 exec_lo, exec_lo, s2
	s_delay_alu instid0(VALU_DEP_1) | instskip(NEXT) | instid1(VALU_DEP_3)
	v_max_f64 v[19:20], |v[15:16]|, |v[15:16]|
	v_max_f64 v[21:22], |v[13:14]|, |v[13:14]|
	v_cmp_class_f64_e64 s13, v[13:14], 0x204
	v_cmp_class_f64_e64 s14, v[15:16], 0x204
	v_cmp_le_f64_e64 s2, 0, v[13:14]
	s_delay_alu instid0(VALU_DEP_4) | instskip(NEXT) | instid1(VALU_DEP_3)
	v_max_f64 v[19:20], v[21:22], v[19:20]
	s_or_b32 s13, s14, s13
	s_delay_alu instid0(VALU_DEP_1) | instskip(NEXT) | instid1(VALU_DEP_1)
	v_frexp_exp_i32_f64_e32 v26, v[19:20]
	v_sub_nc_u32_e32 v21, 0, v26
	s_delay_alu instid0(VALU_DEP_1) | instskip(SKIP_1) | instid1(VALU_DEP_2)
	v_ldexp_f64 v[19:20], |v[15:16]|, v21
	v_ldexp_f64 v[21:22], |v[13:14]|, v21
	v_mul_f64 v[19:20], v[19:20], v[19:20]
	s_delay_alu instid0(VALU_DEP_1) | instskip(NEXT) | instid1(VALU_DEP_1)
	v_fma_f64 v[19:20], v[21:22], v[21:22], v[19:20]
	v_rsq_f64_e32 v[21:22], v[19:20]
	v_cmp_eq_f64_e32 vcc_lo, 0, v[19:20]
	s_waitcnt_depctr 0xfff
	v_mul_f64 v[23:24], v[19:20], v[21:22]
	v_mul_f64 v[21:22], v[21:22], 0.5
	s_delay_alu instid0(VALU_DEP_1) | instskip(NEXT) | instid1(VALU_DEP_1)
	v_fma_f64 v[28:29], -v[21:22], v[23:24], 0.5
	v_fma_f64 v[23:24], v[23:24], v[28:29], v[23:24]
	v_fma_f64 v[21:22], v[21:22], v[28:29], v[21:22]
	s_delay_alu instid0(VALU_DEP_2) | instskip(NEXT) | instid1(VALU_DEP_1)
	v_fma_f64 v[28:29], -v[23:24], v[23:24], v[19:20]
	v_fma_f64 v[21:22], v[28:29], v[21:22], v[23:24]
	s_delay_alu instid0(VALU_DEP_1) | instskip(SKIP_1) | instid1(VALU_DEP_2)
	v_dual_cndmask_b32 v20, v22, v20 :: v_dual_cndmask_b32 v19, v21, v19
	v_cmp_o_f64_e32 vcc_lo, v[15:16], v[15:16]
	v_ldexp_f64 v[19:20], v[19:20], v26
	s_delay_alu instid0(VALU_DEP_1) | instskip(NEXT) | instid1(VALU_DEP_2)
	v_cndmask_b32_e32 v19, 0, v19, vcc_lo
	v_cndmask_b32_e32 v20, 0x7ff80000, v20, vcc_lo
	s_delay_alu instid0(VALU_DEP_2) | instskip(NEXT) | instid1(VALU_DEP_2)
	v_cndmask_b32_e64 v19, v19, 0, s13
	v_cndmask_b32_e64 v20, v20, 0x7ff00000, s13
	s_and_saveexec_b32 s13, s2
	s_delay_alu instid0(SALU_CYCLE_1)
	s_xor_b32 s2, exec_lo, s13
	s_cbranch_execz .LBB218_224
; %bb.219:
	s_delay_alu instid0(VALU_DEP_1) | instskip(NEXT) | instid1(VALU_DEP_1)
	v_add_f64 v[13:14], v[13:14], v[19:20]
	v_mul_f64 v[13:14], v[13:14], 0.5
	s_delay_alu instid0(VALU_DEP_1) | instskip(SKIP_1) | instid1(VALU_DEP_1)
	v_cmp_gt_f64_e32 vcc_lo, 0x10000000, v[13:14]
	v_cndmask_b32_e64 v19, 0, 1, vcc_lo
	v_lshlrev_b32_e32 v19, 8, v19
	s_delay_alu instid0(VALU_DEP_1) | instskip(NEXT) | instid1(VALU_DEP_1)
	v_ldexp_f64 v[13:14], v[13:14], v19
	v_rsq_f64_e32 v[19:20], v[13:14]
	s_waitcnt_depctr 0xfff
	v_mul_f64 v[21:22], v[13:14], v[19:20]
	v_mul_f64 v[19:20], v[19:20], 0.5
	s_delay_alu instid0(VALU_DEP_1) | instskip(NEXT) | instid1(VALU_DEP_1)
	v_fma_f64 v[23:24], -v[19:20], v[21:22], 0.5
	v_fma_f64 v[21:22], v[21:22], v[23:24], v[21:22]
	v_fma_f64 v[19:20], v[19:20], v[23:24], v[19:20]
	s_delay_alu instid0(VALU_DEP_2) | instskip(NEXT) | instid1(VALU_DEP_1)
	v_fma_f64 v[23:24], -v[21:22], v[21:22], v[13:14]
	v_fma_f64 v[21:22], v[23:24], v[19:20], v[21:22]
	s_delay_alu instid0(VALU_DEP_1) | instskip(NEXT) | instid1(VALU_DEP_1)
	v_fma_f64 v[23:24], -v[21:22], v[21:22], v[13:14]
	v_fma_f64 v[19:20], v[23:24], v[19:20], v[21:22]
	v_cndmask_b32_e64 v21, 0, 0xffffff80, vcc_lo
	v_cmp_class_f64_e64 vcc_lo, v[13:14], 0x260
	s_delay_alu instid0(VALU_DEP_2) | instskip(NEXT) | instid1(VALU_DEP_1)
	v_ldexp_f64 v[19:20], v[19:20], v21
	v_dual_cndmask_b32 v14, v20, v14 :: v_dual_cndmask_b32 v13, v19, v13
	s_delay_alu instid0(VALU_DEP_1) | instskip(NEXT) | instid1(VALU_DEP_1)
	v_add_f64 v[19:20], v[13:14], v[13:14]
	v_div_scale_f64 v[21:22], null, v[19:20], v[19:20], v[15:16]
	s_delay_alu instid0(VALU_DEP_1) | instskip(SKIP_2) | instid1(VALU_DEP_1)
	v_rcp_f64_e32 v[23:24], v[21:22]
	s_waitcnt_depctr 0xfff
	v_fma_f64 v[28:29], -v[21:22], v[23:24], 1.0
	v_fma_f64 v[23:24], v[23:24], v[28:29], v[23:24]
	s_delay_alu instid0(VALU_DEP_1) | instskip(NEXT) | instid1(VALU_DEP_1)
	v_fma_f64 v[28:29], -v[21:22], v[23:24], 1.0
	v_fma_f64 v[23:24], v[23:24], v[28:29], v[23:24]
	v_div_scale_f64 v[28:29], vcc_lo, v[15:16], v[19:20], v[15:16]
	s_delay_alu instid0(VALU_DEP_1) | instskip(NEXT) | instid1(VALU_DEP_1)
	v_mul_f64 v[30:31], v[28:29], v[23:24]
	v_fma_f64 v[21:22], -v[21:22], v[30:31], v[28:29]
	s_delay_alu instid0(VALU_DEP_1) | instskip(NEXT) | instid1(VALU_DEP_1)
	v_div_fmas_f64 v[21:22], v[21:22], v[23:24], v[30:31]
	v_div_fixup_f64 v[15:16], v[21:22], v[19:20], v[15:16]
                                        ; implicit-def: $vgpr19_vgpr20
	s_and_not1_saveexec_b32 s2, s2
	s_cbranch_execnz .LBB218_225
.LBB218_220:
	s_or_b32 exec_lo, exec_lo, s2
	s_and_saveexec_b32 s2, s1
	s_delay_alu instid0(SALU_CYCLE_1)
	s_xor_b32 s1, exec_lo, s2
	s_cbranch_execz .LBB218_226
.LBB218_221:
	s_and_saveexec_b32 s2, s12
; %bb.222:
	s_delay_alu instid0(VALU_DEP_2) | instskip(NEXT) | instid1(VALU_DEP_2)
	v_mul_f64 v[13:14], v[13:14], 0.5
	v_mul_f64 v[15:16], v[15:16], 0.5
; %bb.223:
	s_or_b32 exec_lo, exec_lo, s2
	s_and_not1_saveexec_b32 s1, s1
	s_cbranch_execnz .LBB218_227
	s_branch .LBB218_228
.LBB218_224:
	s_and_not1_saveexec_b32 s2, s2
	s_cbranch_execz .LBB218_220
.LBB218_225:
	v_add_f64 v[13:14], v[19:20], -v[13:14]
	s_delay_alu instid0(VALU_DEP_1) | instskip(NEXT) | instid1(VALU_DEP_1)
	v_mul_f64 v[13:14], v[13:14], 0.5
	v_cmp_gt_f64_e32 vcc_lo, 0x10000000, v[13:14]
	v_cndmask_b32_e64 v19, 0, 1, vcc_lo
	s_delay_alu instid0(VALU_DEP_1) | instskip(NEXT) | instid1(VALU_DEP_1)
	v_lshlrev_b32_e32 v19, 8, v19
	v_ldexp_f64 v[13:14], v[13:14], v19
	s_delay_alu instid0(VALU_DEP_1) | instskip(SKIP_3) | instid1(VALU_DEP_1)
	v_rsq_f64_e32 v[19:20], v[13:14]
	s_waitcnt_depctr 0xfff
	v_mul_f64 v[21:22], v[13:14], v[19:20]
	v_mul_f64 v[19:20], v[19:20], 0.5
	v_fma_f64 v[23:24], -v[19:20], v[21:22], 0.5
	s_delay_alu instid0(VALU_DEP_1) | instskip(SKIP_1) | instid1(VALU_DEP_2)
	v_fma_f64 v[21:22], v[21:22], v[23:24], v[21:22]
	v_fma_f64 v[19:20], v[19:20], v[23:24], v[19:20]
	v_fma_f64 v[23:24], -v[21:22], v[21:22], v[13:14]
	s_delay_alu instid0(VALU_DEP_1) | instskip(NEXT) | instid1(VALU_DEP_1)
	v_fma_f64 v[21:22], v[23:24], v[19:20], v[21:22]
	v_fma_f64 v[23:24], -v[21:22], v[21:22], v[13:14]
	s_delay_alu instid0(VALU_DEP_1) | instskip(SKIP_3) | instid1(VALU_DEP_3)
	v_fma_f64 v[19:20], v[23:24], v[19:20], v[21:22]
	v_cndmask_b32_e64 v21, 0, 0xffffff80, vcc_lo
	v_cmp_class_f64_e64 vcc_lo, v[13:14], 0x260
	v_and_b32_e32 v22, 0x7fffffff, v16
	v_ldexp_f64 v[19:20], v[19:20], v21
	s_delay_alu instid0(VALU_DEP_1) | instskip(NEXT) | instid1(VALU_DEP_1)
	v_dual_cndmask_b32 v20, v20, v14 :: v_dual_cndmask_b32 v19, v19, v13
	v_add_f64 v[13:14], v[19:20], v[19:20]
	v_bfi_b32 v20, 0x7fffffff, v20, v16
	v_mov_b32_e32 v21, v15
	s_delay_alu instid0(VALU_DEP_1) | instskip(SKIP_1) | instid1(VALU_DEP_2)
	v_div_scale_f64 v[23:24], null, v[13:14], v[13:14], v[21:22]
	v_div_scale_f64 v[21:22], vcc_lo, v[21:22], v[13:14], v[21:22]
	v_rcp_f64_e32 v[28:29], v[23:24]
	s_waitcnt_depctr 0xfff
	v_fma_f64 v[30:31], -v[23:24], v[28:29], 1.0
	s_delay_alu instid0(VALU_DEP_1) | instskip(NEXT) | instid1(VALU_DEP_1)
	v_fma_f64 v[28:29], v[28:29], v[30:31], v[28:29]
	v_fma_f64 v[30:31], -v[23:24], v[28:29], 1.0
	s_delay_alu instid0(VALU_DEP_1) | instskip(NEXT) | instid1(VALU_DEP_1)
	v_fma_f64 v[28:29], v[28:29], v[30:31], v[28:29]
	v_mul_f64 v[30:31], v[21:22], v[28:29]
	s_delay_alu instid0(VALU_DEP_1) | instskip(NEXT) | instid1(VALU_DEP_1)
	v_fma_f64 v[21:22], -v[23:24], v[30:31], v[21:22]
	v_div_fmas_f64 v[21:22], v[21:22], v[28:29], v[30:31]
	s_delay_alu instid0(VALU_DEP_1) | instskip(SKIP_3) | instid1(SALU_CYCLE_1)
	v_div_fixup_f64 v[13:14], v[21:22], v[13:14], |v[15:16]|
	v_dual_mov_b32 v15, v19 :: v_dual_mov_b32 v16, v20
	s_or_b32 exec_lo, exec_lo, s2
	s_and_saveexec_b32 s2, s1
	s_xor_b32 s1, exec_lo, s2
	s_cbranch_execnz .LBB218_221
.LBB218_226:
	s_and_not1_saveexec_b32 s1, s1
.LBB218_227:
	s_delay_alu instid0(VALU_DEP_2) | instskip(NEXT) | instid1(VALU_DEP_2)
	v_add_f64 v[13:14], v[13:14], v[13:14]
	v_add_f64 v[15:16], v[15:16], v[15:16]
.LBB218_228:
	s_or_b32 exec_lo, exec_lo, s1
.LBB218_229:
	s_and_not1_saveexec_b32 s1, s11
	s_cbranch_execz .LBB218_235
; %bb.230:
	s_delay_alu instid0(VALU_DEP_1) | instskip(SKIP_1) | instid1(VALU_DEP_3)
	v_add_f64 v[19:20], v[15:16], -v[15:16]
	s_mov_b32 s2, exec_lo
	v_cmpx_lt_i64_e32 -1, v[13:14]
	s_xor_b32 s2, exec_lo, s2
; %bb.231:
	s_delay_alu instid0(VALU_DEP_2) | instskip(NEXT) | instid1(VALU_DEP_1)
	v_bfi_b32 v20, 0x7fffffff, v20, v16
	v_dual_mov_b32 v15, v19 :: v_dual_mov_b32 v16, v20
                                        ; implicit-def: $vgpr19_vgpr20
; %bb.232:
	s_and_not1_saveexec_b32 s2, s2
; %bb.233:
	s_delay_alu instid0(VALU_DEP_1) | instskip(SKIP_1) | instid1(VALU_DEP_2)
	v_bfi_b32 v14, 0x7fffffff, v14, v16
	v_and_b32_e32 v20, 0x7fffffff, v20
	v_dual_mov_b32 v16, v14 :: v_dual_mov_b32 v15, v13
	s_delay_alu instid0(VALU_DEP_2)
	v_dual_mov_b32 v13, v19 :: v_dual_mov_b32 v14, v20
; %bb.234:
	s_or_b32 exec_lo, exec_lo, s2
.LBB218_235:
	s_delay_alu instid0(SALU_CYCLE_1)
	s_or_b32 exec_lo, exec_lo, s1
.LBB218_236:
	s_and_not1_saveexec_b32 s1, s9
; %bb.237:
	s_delay_alu instid0(VALU_DEP_1) | instskip(NEXT) | instid1(VALU_DEP_1)
	v_add_f64 v[15:16], v[15:16], -v[15:16]
	v_div_scale_f64 v[19:20], vcc_lo, v[15:16], v[15:16], v[15:16]
	s_delay_alu instid0(VALU_DEP_1) | instskip(SKIP_2) | instid1(VALU_DEP_1)
	v_rcp_f64_e32 v[21:22], v[19:20]
	s_waitcnt_depctr 0xfff
	v_fma_f64 v[23:24], -v[19:20], v[21:22], 1.0
	v_fma_f64 v[21:22], v[21:22], v[23:24], v[21:22]
	s_delay_alu instid0(VALU_DEP_1) | instskip(NEXT) | instid1(VALU_DEP_1)
	v_fma_f64 v[23:24], -v[19:20], v[21:22], 1.0
	v_fma_f64 v[21:22], v[21:22], v[23:24], v[21:22]
	s_delay_alu instid0(VALU_DEP_1) | instskip(NEXT) | instid1(VALU_DEP_1)
	v_mul_f64 v[23:24], v[19:20], v[21:22]
	v_fma_f64 v[19:20], -v[19:20], v[23:24], v[19:20]
	s_delay_alu instid0(VALU_DEP_1) | instskip(NEXT) | instid1(VALU_DEP_1)
	v_div_fmas_f64 v[19:20], v[19:20], v[21:22], v[23:24]
	v_div_fixup_f64 v[15:16], v[19:20], v[15:16], v[15:16]
; %bb.238:
	s_or_b32 exec_lo, exec_lo, s1
	v_dual_mov_b32 v20, v14 :: v_dual_mov_b32 v19, v13
.LBB218_239:
	s_or_b32 exec_lo, exec_lo, s7
.LBB218_240:
	s_delay_alu instid0(SALU_CYCLE_1) | instskip(NEXT) | instid1(VALU_DEP_2)
	s_or_b32 exec_lo, exec_lo, s6
	v_dual_mov_b32 v22, v16 :: v_dual_mov_b32 v21, v15
.LBB218_241:
	s_or_b32 exec_lo, exec_lo, s3
	v_or_b32_e32 v13, 0x300, v0
	v_dual_mov_b32 v15, v17 :: v_dual_mov_b32 v16, v18
	s_mov_b32 s3, exec_lo
	s_delay_alu instid0(VALU_DEP_2)
	v_cmpx_gt_i32_e64 s10, v13
	s_cbranch_execz .LBB218_258
; %bb.242:
	v_cmp_neq_f64_e32 vcc_lo, 0, v[1:2]
	v_cmp_neq_f64_e64 s1, 0, v[3:4]
	v_mov_b32_e32 v15, 0
	v_mov_b32_e32 v16, 0
	s_delay_alu instid0(VALU_DEP_3) | instskip(NEXT) | instid1(SALU_CYCLE_1)
	s_or_b32 s1, vcc_lo, s1
	s_and_saveexec_b32 s6, s1
	s_cbranch_execz .LBB218_278
; %bb.243:
	s_mov_b32 s12, 0
	s_mov_b32 s13, 0x7ff00000
	v_mov_b32_e32 v15, s12
	v_mov_b32_e32 v16, s13
	s_mov_b32 s7, exec_lo
	v_cmpx_neq_f64_e64 0x7ff00000, |v[3:4]|
	s_cbranch_execz .LBB218_277
; %bb.244:
	s_mov_b32 s1, exec_lo
	v_cmpx_o_f64_e32 v[1:2], v[1:2]
	s_xor_b32 s9, exec_lo, s1
	s_cbranch_execz .LBB218_274
; %bb.245:
	s_mov_b32 s2, exec_lo
	v_cmpx_neq_f64_e64 0x7ff00000, |v[1:2]|
	s_xor_b32 s11, exec_lo, s2
	s_cbranch_execz .LBB218_267
; %bb.246:
	v_max_f64 v[13:14], |v[3:4]|, |v[3:4]|
	v_max_f64 v[15:16], |v[1:2]|, |v[1:2]|
	s_mov_b32 s12, 0x99fcef32
	s_mov_b32 s13, 0x7fda8279
	s_delay_alu instid0(VALU_DEP_1) | instskip(NEXT) | instid1(VALU_DEP_1)
	v_max_f64 v[13:14], v[15:16], v[13:14]
	v_cmp_nle_f64_e64 s1, s[12:13], v[13:14]
                                        ; implicit-def: $sgpr12
	s_delay_alu instid0(VALU_DEP_1) | instskip(NEXT) | instid1(SALU_CYCLE_1)
	s_and_saveexec_b32 s2, s1
	s_xor_b32 s2, exec_lo, s2
	s_cbranch_execz .LBB218_250
; %bb.247:
	v_cmp_ge_f64_e64 s12, 0x200000, |v[1:2]|
	v_cmp_ge_f64_e64 s13, 0x200000, |v[3:4]|
	s_delay_alu instid0(VALU_DEP_1)
	s_and_b32 s14, s12, s13
	s_mov_b32 s12, 0
	s_and_saveexec_b32 s13, s14
; %bb.248:
	v_mul_f64 v[1:2], v[1:2], 4.0
	v_mul_f64 v[3:4], v[3:4], 4.0
	s_mov_b32 s12, exec_lo
; %bb.249:
	s_or_b32 exec_lo, exec_lo, s13
	s_delay_alu instid0(SALU_CYCLE_1)
	s_and_b32 s12, s12, exec_lo
.LBB218_250:
	s_and_not1_saveexec_b32 s2, s2
; %bb.251:
	s_delay_alu instid0(VALU_DEP_2) | instskip(NEXT) | instid1(VALU_DEP_2)
	v_ldexp_f64 v[1:2], v[1:2], -2
	v_ldexp_f64 v[3:4], v[3:4], -2
	s_and_not1_b32 s12, s12, exec_lo
; %bb.252:
	s_or_b32 exec_lo, exec_lo, s2
	s_delay_alu instid0(VALU_DEP_1) | instskip(NEXT) | instid1(VALU_DEP_3)
	v_max_f64 v[13:14], |v[3:4]|, |v[3:4]|
	v_max_f64 v[15:16], |v[1:2]|, |v[1:2]|
	v_cmp_class_f64_e64 s13, v[1:2], 0x204
	v_cmp_class_f64_e64 s14, v[3:4], 0x204
	v_cmp_le_f64_e64 s2, 0, v[1:2]
	s_delay_alu instid0(VALU_DEP_4) | instskip(NEXT) | instid1(VALU_DEP_3)
	v_max_f64 v[13:14], v[15:16], v[13:14]
	s_or_b32 s13, s14, s13
	s_delay_alu instid0(VALU_DEP_1) | instskip(NEXT) | instid1(VALU_DEP_1)
	v_frexp_exp_i32_f64_e32 v26, v[13:14]
	v_sub_nc_u32_e32 v15, 0, v26
	s_delay_alu instid0(VALU_DEP_1) | instskip(SKIP_1) | instid1(VALU_DEP_2)
	v_ldexp_f64 v[13:14], |v[3:4]|, v15
	v_ldexp_f64 v[15:16], |v[1:2]|, v15
	v_mul_f64 v[13:14], v[13:14], v[13:14]
	s_delay_alu instid0(VALU_DEP_1) | instskip(NEXT) | instid1(VALU_DEP_1)
	v_fma_f64 v[13:14], v[15:16], v[15:16], v[13:14]
	v_rsq_f64_e32 v[15:16], v[13:14]
	v_cmp_eq_f64_e32 vcc_lo, 0, v[13:14]
	s_waitcnt_depctr 0xfff
	v_mul_f64 v[17:18], v[13:14], v[15:16]
	v_mul_f64 v[15:16], v[15:16], 0.5
	s_delay_alu instid0(VALU_DEP_1) | instskip(NEXT) | instid1(VALU_DEP_1)
	v_fma_f64 v[23:24], -v[15:16], v[17:18], 0.5
	v_fma_f64 v[17:18], v[17:18], v[23:24], v[17:18]
	v_fma_f64 v[15:16], v[15:16], v[23:24], v[15:16]
	s_delay_alu instid0(VALU_DEP_2) | instskip(NEXT) | instid1(VALU_DEP_1)
	v_fma_f64 v[23:24], -v[17:18], v[17:18], v[13:14]
	v_fma_f64 v[15:16], v[23:24], v[15:16], v[17:18]
	s_delay_alu instid0(VALU_DEP_1) | instskip(SKIP_1) | instid1(VALU_DEP_2)
	v_dual_cndmask_b32 v14, v16, v14 :: v_dual_cndmask_b32 v13, v15, v13
	v_cmp_o_f64_e32 vcc_lo, v[3:4], v[3:4]
	v_ldexp_f64 v[13:14], v[13:14], v26
	s_delay_alu instid0(VALU_DEP_1) | instskip(NEXT) | instid1(VALU_DEP_2)
	v_cndmask_b32_e32 v13, 0, v13, vcc_lo
	v_cndmask_b32_e32 v14, 0x7ff80000, v14, vcc_lo
	s_delay_alu instid0(VALU_DEP_2) | instskip(NEXT) | instid1(VALU_DEP_2)
	v_cndmask_b32_e64 v13, v13, 0, s13
	v_cndmask_b32_e64 v14, v14, 0x7ff00000, s13
	s_and_saveexec_b32 s13, s2
	s_delay_alu instid0(SALU_CYCLE_1)
	s_xor_b32 s2, exec_lo, s13
	s_cbranch_execz .LBB218_262
; %bb.253:
	s_delay_alu instid0(VALU_DEP_1) | instskip(NEXT) | instid1(VALU_DEP_1)
	v_add_f64 v[1:2], v[1:2], v[13:14]
	v_mul_f64 v[1:2], v[1:2], 0.5
	s_delay_alu instid0(VALU_DEP_1) | instskip(SKIP_1) | instid1(VALU_DEP_1)
	v_cmp_gt_f64_e32 vcc_lo, 0x10000000, v[1:2]
	v_cndmask_b32_e64 v13, 0, 1, vcc_lo
	v_lshlrev_b32_e32 v13, 8, v13
	s_delay_alu instid0(VALU_DEP_1) | instskip(NEXT) | instid1(VALU_DEP_1)
	v_ldexp_f64 v[1:2], v[1:2], v13
	v_rsq_f64_e32 v[13:14], v[1:2]
	s_waitcnt_depctr 0xfff
	v_mul_f64 v[15:16], v[1:2], v[13:14]
	v_mul_f64 v[13:14], v[13:14], 0.5
	s_delay_alu instid0(VALU_DEP_1) | instskip(NEXT) | instid1(VALU_DEP_1)
	v_fma_f64 v[17:18], -v[13:14], v[15:16], 0.5
	v_fma_f64 v[15:16], v[15:16], v[17:18], v[15:16]
	v_fma_f64 v[13:14], v[13:14], v[17:18], v[13:14]
	s_delay_alu instid0(VALU_DEP_2) | instskip(NEXT) | instid1(VALU_DEP_1)
	v_fma_f64 v[17:18], -v[15:16], v[15:16], v[1:2]
	v_fma_f64 v[15:16], v[17:18], v[13:14], v[15:16]
	s_delay_alu instid0(VALU_DEP_1) | instskip(NEXT) | instid1(VALU_DEP_1)
	v_fma_f64 v[17:18], -v[15:16], v[15:16], v[1:2]
	v_fma_f64 v[13:14], v[17:18], v[13:14], v[15:16]
	v_cndmask_b32_e64 v15, 0, 0xffffff80, vcc_lo
	v_cmp_class_f64_e64 vcc_lo, v[1:2], 0x260
	s_delay_alu instid0(VALU_DEP_2) | instskip(NEXT) | instid1(VALU_DEP_1)
	v_ldexp_f64 v[13:14], v[13:14], v15
	v_dual_cndmask_b32 v2, v14, v2 :: v_dual_cndmask_b32 v1, v13, v1
	s_delay_alu instid0(VALU_DEP_1) | instskip(NEXT) | instid1(VALU_DEP_1)
	v_add_f64 v[13:14], v[1:2], v[1:2]
	v_div_scale_f64 v[15:16], null, v[13:14], v[13:14], v[3:4]
	s_delay_alu instid0(VALU_DEP_1) | instskip(SKIP_2) | instid1(VALU_DEP_1)
	v_rcp_f64_e32 v[17:18], v[15:16]
	s_waitcnt_depctr 0xfff
	v_fma_f64 v[23:24], -v[15:16], v[17:18], 1.0
	v_fma_f64 v[17:18], v[17:18], v[23:24], v[17:18]
	s_delay_alu instid0(VALU_DEP_1) | instskip(NEXT) | instid1(VALU_DEP_1)
	v_fma_f64 v[23:24], -v[15:16], v[17:18], 1.0
	v_fma_f64 v[17:18], v[17:18], v[23:24], v[17:18]
	v_div_scale_f64 v[23:24], vcc_lo, v[3:4], v[13:14], v[3:4]
	s_delay_alu instid0(VALU_DEP_1) | instskip(NEXT) | instid1(VALU_DEP_1)
	v_mul_f64 v[28:29], v[23:24], v[17:18]
	v_fma_f64 v[15:16], -v[15:16], v[28:29], v[23:24]
	s_delay_alu instid0(VALU_DEP_1) | instskip(NEXT) | instid1(VALU_DEP_1)
	v_div_fmas_f64 v[15:16], v[15:16], v[17:18], v[28:29]
	v_div_fixup_f64 v[3:4], v[15:16], v[13:14], v[3:4]
                                        ; implicit-def: $vgpr13_vgpr14
	s_and_not1_saveexec_b32 s2, s2
	s_cbranch_execnz .LBB218_263
.LBB218_254:
	s_or_b32 exec_lo, exec_lo, s2
	s_and_saveexec_b32 s2, s1
	s_delay_alu instid0(SALU_CYCLE_1)
	s_xor_b32 s1, exec_lo, s2
	s_cbranch_execz .LBB218_264
.LBB218_255:
	s_and_saveexec_b32 s2, s12
; %bb.256:
	s_delay_alu instid0(VALU_DEP_2) | instskip(NEXT) | instid1(VALU_DEP_2)
	v_mul_f64 v[1:2], v[1:2], 0.5
	v_mul_f64 v[3:4], v[3:4], 0.5
; %bb.257:
	s_or_b32 exec_lo, exec_lo, s2
	s_and_not1_saveexec_b32 s1, s1
	s_cbranch_execnz .LBB218_265
	s_branch .LBB218_266
.LBB218_258:
	s_or_b32 exec_lo, exec_lo, s3
	s_and_saveexec_b32 s1, s0
	s_delay_alu instid0(SALU_CYCLE_1)
	s_xor_b32 s0, exec_lo, s1
	s_cbranch_execz .LBB218_279
.LBB218_259:
	v_mov_b32_e32 v26, 0
	s_delay_alu instid0(VALU_DEP_1) | instskip(NEXT) | instid1(VALU_DEP_1)
	v_lshlrev_b64 v[0:1], 4, v[25:26]
	v_add_co_u32 v2, vcc_lo, s4, v0
	s_delay_alu instid0(VALU_DEP_2) | instskip(SKIP_3) | instid1(SALU_CYCLE_1)
	v_add_co_ci_u32_e32 v3, vcc_lo, s5, v1, vcc_lo
	v_mov_b32_e32 v0, v27
	global_store_b128 v[2:3], v[9:12], off
	s_or_b32 exec_lo, exec_lo, s0
	s_mov_b32 s0, exec_lo
	v_cmpx_gt_i32_e64 s10, v0
	s_cbranch_execnz .LBB218_280
.LBB218_260:
	s_or_b32 exec_lo, exec_lo, s0
	s_delay_alu instid0(SALU_CYCLE_1)
	s_mov_b32 s0, exec_lo
	v_cmpx_gt_i32_e64 s10, v0
	s_cbranch_execz .LBB218_281
.LBB218_261:
	v_dual_mov_b32 v2, 0 :: v_dual_add_nc_u32 v1, s8, v0
	v_add_nc_u32_e32 v0, 0x100, v0
	s_delay_alu instid0(VALU_DEP_2) | instskip(NEXT) | instid1(VALU_DEP_1)
	v_lshlrev_b64 v[1:2], 4, v[1:2]
	v_add_co_u32 v1, vcc_lo, s4, v1
	s_delay_alu instid0(VALU_DEP_2) | instskip(SKIP_2) | instid1(SALU_CYCLE_1)
	v_add_co_ci_u32_e32 v2, vcc_lo, s5, v2, vcc_lo
	global_store_b128 v[1:2], v[19:22], off
	s_or_b32 exec_lo, exec_lo, s0
	s_mov_b32 s0, exec_lo
	v_cmpx_gt_i32_e64 s10, v0
	s_cbranch_execnz .LBB218_282
	s_branch .LBB218_283
.LBB218_262:
	s_and_not1_saveexec_b32 s2, s2
	s_cbranch_execz .LBB218_254
.LBB218_263:
	v_add_f64 v[1:2], v[13:14], -v[1:2]
	s_delay_alu instid0(VALU_DEP_1) | instskip(NEXT) | instid1(VALU_DEP_1)
	v_mul_f64 v[1:2], v[1:2], 0.5
	v_cmp_gt_f64_e32 vcc_lo, 0x10000000, v[1:2]
	v_cndmask_b32_e64 v13, 0, 1, vcc_lo
	s_delay_alu instid0(VALU_DEP_1) | instskip(NEXT) | instid1(VALU_DEP_1)
	v_lshlrev_b32_e32 v13, 8, v13
	v_ldexp_f64 v[1:2], v[1:2], v13
	s_delay_alu instid0(VALU_DEP_1) | instskip(SKIP_3) | instid1(VALU_DEP_1)
	v_rsq_f64_e32 v[13:14], v[1:2]
	s_waitcnt_depctr 0xfff
	v_mul_f64 v[15:16], v[1:2], v[13:14]
	v_mul_f64 v[13:14], v[13:14], 0.5
	v_fma_f64 v[17:18], -v[13:14], v[15:16], 0.5
	s_delay_alu instid0(VALU_DEP_1) | instskip(SKIP_1) | instid1(VALU_DEP_2)
	v_fma_f64 v[15:16], v[15:16], v[17:18], v[15:16]
	v_fma_f64 v[13:14], v[13:14], v[17:18], v[13:14]
	v_fma_f64 v[17:18], -v[15:16], v[15:16], v[1:2]
	s_delay_alu instid0(VALU_DEP_1) | instskip(NEXT) | instid1(VALU_DEP_1)
	v_fma_f64 v[15:16], v[17:18], v[13:14], v[15:16]
	v_fma_f64 v[17:18], -v[15:16], v[15:16], v[1:2]
	s_delay_alu instid0(VALU_DEP_1) | instskip(SKIP_3) | instid1(VALU_DEP_3)
	v_fma_f64 v[13:14], v[17:18], v[13:14], v[15:16]
	v_cndmask_b32_e64 v15, 0, 0xffffff80, vcc_lo
	v_cmp_class_f64_e64 vcc_lo, v[1:2], 0x260
	v_and_b32_e32 v16, 0x7fffffff, v4
	v_ldexp_f64 v[13:14], v[13:14], v15
	s_delay_alu instid0(VALU_DEP_1) | instskip(NEXT) | instid1(VALU_DEP_1)
	v_dual_cndmask_b32 v14, v14, v2 :: v_dual_cndmask_b32 v13, v13, v1
	v_add_f64 v[1:2], v[13:14], v[13:14]
	v_bfi_b32 v14, 0x7fffffff, v14, v4
	v_mov_b32_e32 v15, v3
	s_delay_alu instid0(VALU_DEP_1) | instskip(SKIP_1) | instid1(VALU_DEP_2)
	v_div_scale_f64 v[17:18], null, v[1:2], v[1:2], v[15:16]
	v_div_scale_f64 v[15:16], vcc_lo, v[15:16], v[1:2], v[15:16]
	v_rcp_f64_e32 v[23:24], v[17:18]
	s_waitcnt_depctr 0xfff
	v_fma_f64 v[28:29], -v[17:18], v[23:24], 1.0
	s_delay_alu instid0(VALU_DEP_1) | instskip(NEXT) | instid1(VALU_DEP_1)
	v_fma_f64 v[23:24], v[23:24], v[28:29], v[23:24]
	v_fma_f64 v[28:29], -v[17:18], v[23:24], 1.0
	s_delay_alu instid0(VALU_DEP_1) | instskip(NEXT) | instid1(VALU_DEP_1)
	v_fma_f64 v[23:24], v[23:24], v[28:29], v[23:24]
	v_mul_f64 v[28:29], v[15:16], v[23:24]
	s_delay_alu instid0(VALU_DEP_1) | instskip(NEXT) | instid1(VALU_DEP_1)
	v_fma_f64 v[15:16], -v[17:18], v[28:29], v[15:16]
	v_div_fmas_f64 v[15:16], v[15:16], v[23:24], v[28:29]
	s_delay_alu instid0(VALU_DEP_1) | instskip(SKIP_3) | instid1(SALU_CYCLE_1)
	v_div_fixup_f64 v[1:2], v[15:16], v[1:2], |v[3:4]|
	v_dual_mov_b32 v3, v13 :: v_dual_mov_b32 v4, v14
	s_or_b32 exec_lo, exec_lo, s2
	s_and_saveexec_b32 s2, s1
	s_xor_b32 s1, exec_lo, s2
	s_cbranch_execnz .LBB218_255
.LBB218_264:
	s_and_not1_saveexec_b32 s1, s1
.LBB218_265:
	s_delay_alu instid0(VALU_DEP_2) | instskip(NEXT) | instid1(VALU_DEP_2)
	v_add_f64 v[1:2], v[1:2], v[1:2]
	v_add_f64 v[3:4], v[3:4], v[3:4]
.LBB218_266:
	s_or_b32 exec_lo, exec_lo, s1
.LBB218_267:
	s_and_not1_saveexec_b32 s1, s11
	s_cbranch_execz .LBB218_273
; %bb.268:
	s_delay_alu instid0(VALU_DEP_1) | instskip(SKIP_1) | instid1(VALU_DEP_3)
	v_add_f64 v[13:14], v[3:4], -v[3:4]
	s_mov_b32 s2, exec_lo
	v_cmpx_lt_i64_e32 -1, v[1:2]
	s_xor_b32 s2, exec_lo, s2
; %bb.269:
	s_delay_alu instid0(VALU_DEP_2) | instskip(NEXT) | instid1(VALU_DEP_1)
	v_bfi_b32 v14, 0x7fffffff, v14, v4
	v_dual_mov_b32 v3, v13 :: v_dual_mov_b32 v4, v14
                                        ; implicit-def: $vgpr13_vgpr14
; %bb.270:
	s_and_not1_saveexec_b32 s2, s2
; %bb.271:
	s_delay_alu instid0(VALU_DEP_1) | instskip(SKIP_1) | instid1(VALU_DEP_2)
	v_bfi_b32 v2, 0x7fffffff, v2, v4
	v_and_b32_e32 v14, 0x7fffffff, v14
	v_dual_mov_b32 v4, v2 :: v_dual_mov_b32 v3, v1
	s_delay_alu instid0(VALU_DEP_2)
	v_dual_mov_b32 v1, v13 :: v_dual_mov_b32 v2, v14
; %bb.272:
	s_or_b32 exec_lo, exec_lo, s2
.LBB218_273:
	s_delay_alu instid0(SALU_CYCLE_1)
	s_or_b32 exec_lo, exec_lo, s1
.LBB218_274:
	s_and_not1_saveexec_b32 s1, s9
; %bb.275:
	s_delay_alu instid0(VALU_DEP_1) | instskip(NEXT) | instid1(VALU_DEP_1)
	v_add_f64 v[3:4], v[3:4], -v[3:4]
	v_div_scale_f64 v[13:14], vcc_lo, v[3:4], v[3:4], v[3:4]
	s_delay_alu instid0(VALU_DEP_1) | instskip(SKIP_2) | instid1(VALU_DEP_1)
	v_rcp_f64_e32 v[15:16], v[13:14]
	s_waitcnt_depctr 0xfff
	v_fma_f64 v[17:18], -v[13:14], v[15:16], 1.0
	v_fma_f64 v[15:16], v[15:16], v[17:18], v[15:16]
	s_delay_alu instid0(VALU_DEP_1) | instskip(NEXT) | instid1(VALU_DEP_1)
	v_fma_f64 v[17:18], -v[13:14], v[15:16], 1.0
	v_fma_f64 v[15:16], v[15:16], v[17:18], v[15:16]
	s_delay_alu instid0(VALU_DEP_1) | instskip(NEXT) | instid1(VALU_DEP_1)
	v_mul_f64 v[17:18], v[13:14], v[15:16]
	v_fma_f64 v[13:14], -v[13:14], v[17:18], v[13:14]
	s_delay_alu instid0(VALU_DEP_1) | instskip(NEXT) | instid1(VALU_DEP_1)
	v_div_fmas_f64 v[13:14], v[13:14], v[15:16], v[17:18]
	v_div_fixup_f64 v[3:4], v[13:14], v[3:4], v[3:4]
; %bb.276:
	s_or_b32 exec_lo, exec_lo, s1
	v_dual_mov_b32 v16, v2 :: v_dual_mov_b32 v15, v1
.LBB218_277:
	s_or_b32 exec_lo, exec_lo, s7
.LBB218_278:
	s_delay_alu instid0(SALU_CYCLE_1) | instskip(NEXT) | instid1(VALU_DEP_2)
	s_or_b32 exec_lo, exec_lo, s6
	v_dual_mov_b32 v18, v4 :: v_dual_mov_b32 v17, v3
	s_or_b32 exec_lo, exec_lo, s3
	s_and_saveexec_b32 s1, s0
	s_delay_alu instid0(SALU_CYCLE_1)
	s_xor_b32 s0, exec_lo, s1
	s_cbranch_execnz .LBB218_259
.LBB218_279:
	s_or_b32 exec_lo, exec_lo, s0
	s_delay_alu instid0(SALU_CYCLE_1)
	s_mov_b32 s0, exec_lo
	v_cmpx_gt_i32_e64 s10, v0
	s_cbranch_execz .LBB218_260
.LBB218_280:
	v_dual_mov_b32 v2, 0 :: v_dual_add_nc_u32 v1, s8, v0
	v_add_nc_u32_e32 v0, 0x100, v0
	s_delay_alu instid0(VALU_DEP_2) | instskip(NEXT) | instid1(VALU_DEP_1)
	v_lshlrev_b64 v[1:2], 4, v[1:2]
	v_add_co_u32 v1, vcc_lo, s4, v1
	s_delay_alu instid0(VALU_DEP_2) | instskip(SKIP_2) | instid1(SALU_CYCLE_1)
	v_add_co_ci_u32_e32 v2, vcc_lo, s5, v2, vcc_lo
	global_store_b128 v[1:2], v[5:8], off
	s_or_b32 exec_lo, exec_lo, s0
	s_mov_b32 s0, exec_lo
	v_cmpx_gt_i32_e64 s10, v0
	s_cbranch_execnz .LBB218_261
.LBB218_281:
	s_or_b32 exec_lo, exec_lo, s0
	s_delay_alu instid0(SALU_CYCLE_1)
	s_mov_b32 s0, exec_lo
	v_cmpx_gt_i32_e64 s10, v0
	s_cbranch_execz .LBB218_283
.LBB218_282:
	v_dual_mov_b32 v1, 0 :: v_dual_add_nc_u32 v0, s8, v0
	s_delay_alu instid0(VALU_DEP_1) | instskip(NEXT) | instid1(VALU_DEP_1)
	v_lshlrev_b64 v[0:1], 4, v[0:1]
	v_add_co_u32 v0, vcc_lo, s4, v0
	s_delay_alu instid0(VALU_DEP_2)
	v_add_co_ci_u32_e32 v1, vcc_lo, s5, v1, vcc_lo
	global_store_b128 v[0:1], v[15:18], off
.LBB218_283:
	s_nop 0
	s_sendmsg sendmsg(MSG_DEALLOC_VGPRS)
	s_endpgm
	.section	.rodata,"a",@progbits
	.p2align	6, 0x0
	.amdhsa_kernel _ZN2at6native29vectorized_elementwise_kernelILi16EZZZNS0_16sqrt_kernel_cudaERNS_18TensorIteratorBaseEENKUlvE_clEvENKUlvE_clEvEUlN3c107complexIdEEE_St5arrayIPcLm2EEEEviT0_T1_
		.amdhsa_group_segment_fixed_size 0
		.amdhsa_private_segment_fixed_size 0
		.amdhsa_kernarg_size 24
		.amdhsa_user_sgpr_count 15
		.amdhsa_user_sgpr_dispatch_ptr 0
		.amdhsa_user_sgpr_queue_ptr 0
		.amdhsa_user_sgpr_kernarg_segment_ptr 1
		.amdhsa_user_sgpr_dispatch_id 0
		.amdhsa_user_sgpr_private_segment_size 0
		.amdhsa_wavefront_size32 1
		.amdhsa_uses_dynamic_stack 0
		.amdhsa_enable_private_segment 0
		.amdhsa_system_sgpr_workgroup_id_x 1
		.amdhsa_system_sgpr_workgroup_id_y 0
		.amdhsa_system_sgpr_workgroup_id_z 0
		.amdhsa_system_sgpr_workgroup_info 0
		.amdhsa_system_vgpr_workitem_id 0
		.amdhsa_next_free_vgpr 32
		.amdhsa_next_free_sgpr 17
		.amdhsa_reserve_vcc 1
		.amdhsa_float_round_mode_32 0
		.amdhsa_float_round_mode_16_64 0
		.amdhsa_float_denorm_mode_32 3
		.amdhsa_float_denorm_mode_16_64 3
		.amdhsa_dx10_clamp 1
		.amdhsa_ieee_mode 1
		.amdhsa_fp16_overflow 0
		.amdhsa_workgroup_processor_mode 1
		.amdhsa_memory_ordered 1
		.amdhsa_forward_progress 0
		.amdhsa_shared_vgpr_count 0
		.amdhsa_exception_fp_ieee_invalid_op 0
		.amdhsa_exception_fp_denorm_src 0
		.amdhsa_exception_fp_ieee_div_zero 0
		.amdhsa_exception_fp_ieee_overflow 0
		.amdhsa_exception_fp_ieee_underflow 0
		.amdhsa_exception_fp_ieee_inexact 0
		.amdhsa_exception_int_div_zero 0
	.end_amdhsa_kernel
	.section	.text._ZN2at6native29vectorized_elementwise_kernelILi16EZZZNS0_16sqrt_kernel_cudaERNS_18TensorIteratorBaseEENKUlvE_clEvENKUlvE_clEvEUlN3c107complexIdEEE_St5arrayIPcLm2EEEEviT0_T1_,"axG",@progbits,_ZN2at6native29vectorized_elementwise_kernelILi16EZZZNS0_16sqrt_kernel_cudaERNS_18TensorIteratorBaseEENKUlvE_clEvENKUlvE_clEvEUlN3c107complexIdEEE_St5arrayIPcLm2EEEEviT0_T1_,comdat
.Lfunc_end218:
	.size	_ZN2at6native29vectorized_elementwise_kernelILi16EZZZNS0_16sqrt_kernel_cudaERNS_18TensorIteratorBaseEENKUlvE_clEvENKUlvE_clEvEUlN3c107complexIdEEE_St5arrayIPcLm2EEEEviT0_T1_, .Lfunc_end218-_ZN2at6native29vectorized_elementwise_kernelILi16EZZZNS0_16sqrt_kernel_cudaERNS_18TensorIteratorBaseEENKUlvE_clEvENKUlvE_clEvEUlN3c107complexIdEEE_St5arrayIPcLm2EEEEviT0_T1_
                                        ; -- End function
	.section	.AMDGPU.csdata,"",@progbits
; Kernel info:
; codeLenInByte = 13824
; NumSgprs: 19
; NumVgprs: 32
; ScratchSize: 0
; MemoryBound: 1
; FloatMode: 240
; IeeeMode: 1
; LDSByteSize: 0 bytes/workgroup (compile time only)
; SGPRBlocks: 2
; VGPRBlocks: 3
; NumSGPRsForWavesPerEU: 19
; NumVGPRsForWavesPerEU: 32
; Occupancy: 16
; WaveLimiterHint : 0
; COMPUTE_PGM_RSRC2:SCRATCH_EN: 0
; COMPUTE_PGM_RSRC2:USER_SGPR: 15
; COMPUTE_PGM_RSRC2:TRAP_HANDLER: 0
; COMPUTE_PGM_RSRC2:TGID_X_EN: 1
; COMPUTE_PGM_RSRC2:TGID_Y_EN: 0
; COMPUTE_PGM_RSRC2:TGID_Z_EN: 0
; COMPUTE_PGM_RSRC2:TIDIG_COMP_CNT: 0
	.section	.text._ZN2at6native29vectorized_elementwise_kernelILi8EZZZNS0_16sqrt_kernel_cudaERNS_18TensorIteratorBaseEENKUlvE_clEvENKUlvE_clEvEUlN3c107complexIdEEE_St5arrayIPcLm2EEEEviT0_T1_,"axG",@progbits,_ZN2at6native29vectorized_elementwise_kernelILi8EZZZNS0_16sqrt_kernel_cudaERNS_18TensorIteratorBaseEENKUlvE_clEvENKUlvE_clEvEUlN3c107complexIdEEE_St5arrayIPcLm2EEEEviT0_T1_,comdat
	.globl	_ZN2at6native29vectorized_elementwise_kernelILi8EZZZNS0_16sqrt_kernel_cudaERNS_18TensorIteratorBaseEENKUlvE_clEvENKUlvE_clEvEUlN3c107complexIdEEE_St5arrayIPcLm2EEEEviT0_T1_ ; -- Begin function _ZN2at6native29vectorized_elementwise_kernelILi8EZZZNS0_16sqrt_kernel_cudaERNS_18TensorIteratorBaseEENKUlvE_clEvENKUlvE_clEvEUlN3c107complexIdEEE_St5arrayIPcLm2EEEEviT0_T1_
	.p2align	8
	.type	_ZN2at6native29vectorized_elementwise_kernelILi8EZZZNS0_16sqrt_kernel_cudaERNS_18TensorIteratorBaseEENKUlvE_clEvENKUlvE_clEvEUlN3c107complexIdEEE_St5arrayIPcLm2EEEEviT0_T1_,@function
_ZN2at6native29vectorized_elementwise_kernelILi8EZZZNS0_16sqrt_kernel_cudaERNS_18TensorIteratorBaseEENKUlvE_clEvENKUlvE_clEvEUlN3c107complexIdEEE_St5arrayIPcLm2EEEEviT0_T1_: ; @_ZN2at6native29vectorized_elementwise_kernelILi8EZZZNS0_16sqrt_kernel_cudaERNS_18TensorIteratorBaseEENKUlvE_clEvENKUlvE_clEvEUlN3c107complexIdEEE_St5arrayIPcLm2EEEEviT0_T1_
; %bb.0:
	s_clause 0x1
	s_load_b32 s2, s[0:1], 0x0
	s_load_b128 s[4:7], s[0:1], 0x8
	s_lshl_b32 s8, s15, 10
	s_mov_b32 s0, -1
	s_waitcnt lgkmcnt(0)
	s_sub_i32 s10, s2, s8
	s_delay_alu instid0(SALU_CYCLE_1)
	s_cmpk_gt_i32 s10, 0x3ff
	s_cbranch_scc0 .LBB219_130
; %bb.1:
	s_ashr_i32 s9, s8, 31
	v_lshlrev_b32_e32 v25, 6, v0
	s_lshl_b64 s[2:3], s[8:9], 4
	v_mov_b32_e32 v17, 0
	v_mov_b32_e32 v18, 0
	s_add_u32 s0, s6, s2
	s_addc_u32 s1, s7, s3
	s_clause 0x3
	global_load_b128 v[13:16], v25, s[0:1]
	global_load_b128 v[9:12], v25, s[0:1] offset:16
	global_load_b128 v[1:4], v25, s[0:1] offset:48
	;; [unrolled: 1-line block ×3, first 2 shown]
	v_dual_mov_b32 v22, v18 :: v_dual_mov_b32 v21, v17
	s_waitcnt vmcnt(3)
	v_cmp_neq_f64_e32 vcc_lo, 0, v[13:14]
	v_cmp_neq_f64_e64 s0, 0, v[15:16]
	s_delay_alu instid0(VALU_DEP_1) | instskip(NEXT) | instid1(SALU_CYCLE_1)
	s_or_b32 s0, vcc_lo, s0
	s_and_saveexec_b32 s9, s0
	s_cbranch_execz .LBB219_33
; %bb.2:
	s_mov_b32 s0, 0
	s_mov_b32 s1, 0x7ff00000
	v_mov_b32_e32 v21, s0
	v_mov_b32_e32 v22, s1
	s_mov_b32 s11, exec_lo
	v_cmpx_neq_f64_e64 0x7ff00000, |v[15:16]|
	s_cbranch_execz .LBB219_32
; %bb.3:
	s_mov_b32 s0, exec_lo
	v_cmpx_o_f64_e32 v[13:14], v[13:14]
	s_xor_b32 s12, exec_lo, s0
	s_cbranch_execz .LBB219_29
; %bb.4:
	s_mov_b32 s1, exec_lo
	v_cmpx_neq_f64_e64 0x7ff00000, |v[13:14]|
	s_xor_b32 s13, exec_lo, s1
	s_cbranch_execz .LBB219_22
; %bb.5:
	v_max_f64 v[19:20], |v[15:16]|, |v[15:16]|
	v_max_f64 v[21:22], |v[13:14]|, |v[13:14]|
	s_mov_b32 s0, 0x99fcef32
	s_mov_b32 s1, 0x7fda8279
                                        ; implicit-def: $sgpr14
	s_delay_alu instid0(VALU_DEP_1) | instskip(NEXT) | instid1(VALU_DEP_1)
	v_max_f64 v[19:20], v[21:22], v[19:20]
	v_cmp_nle_f64_e64 s0, s[0:1], v[19:20]
	s_delay_alu instid0(VALU_DEP_1) | instskip(NEXT) | instid1(SALU_CYCLE_1)
	s_and_saveexec_b32 s1, s0
	s_xor_b32 s1, exec_lo, s1
	s_cbranch_execz .LBB219_9
; %bb.6:
	v_cmp_ge_f64_e64 s14, 0x200000, |v[13:14]|
	v_cmp_ge_f64_e64 s15, 0x200000, |v[15:16]|
	s_delay_alu instid0(VALU_DEP_1)
	s_and_b32 s16, s14, s15
	s_mov_b32 s14, 0
	s_and_saveexec_b32 s15, s16
; %bb.7:
	v_mul_f64 v[13:14], v[13:14], 4.0
	v_mul_f64 v[15:16], v[15:16], 4.0
	s_mov_b32 s14, exec_lo
; %bb.8:
	s_or_b32 exec_lo, exec_lo, s15
	s_delay_alu instid0(SALU_CYCLE_1)
	s_and_b32 s14, s14, exec_lo
.LBB219_9:
	s_and_not1_saveexec_b32 s1, s1
; %bb.10:
	s_delay_alu instid0(VALU_DEP_2) | instskip(NEXT) | instid1(VALU_DEP_2)
	v_ldexp_f64 v[13:14], v[13:14], -2
	v_ldexp_f64 v[15:16], v[15:16], -2
	s_and_not1_b32 s14, s14, exec_lo
; %bb.11:
	s_or_b32 exec_lo, exec_lo, s1
	s_delay_alu instid0(VALU_DEP_1) | instskip(NEXT) | instid1(VALU_DEP_3)
	v_max_f64 v[19:20], |v[15:16]|, |v[15:16]|
	v_max_f64 v[21:22], |v[13:14]|, |v[13:14]|
	v_cmp_class_f64_e64 s15, v[13:14], 0x204
	v_cmp_class_f64_e64 s16, v[15:16], 0x204
	v_cmp_le_f64_e64 s1, 0, v[13:14]
	s_delay_alu instid0(VALU_DEP_4) | instskip(NEXT) | instid1(VALU_DEP_3)
	v_max_f64 v[19:20], v[21:22], v[19:20]
	s_or_b32 s15, s16, s15
	s_delay_alu instid0(VALU_DEP_1) | instskip(NEXT) | instid1(VALU_DEP_1)
	v_frexp_exp_i32_f64_e32 v28, v[19:20]
	v_sub_nc_u32_e32 v21, 0, v28
	s_delay_alu instid0(VALU_DEP_1) | instskip(SKIP_1) | instid1(VALU_DEP_2)
	v_ldexp_f64 v[19:20], |v[15:16]|, v21
	v_ldexp_f64 v[21:22], |v[13:14]|, v21
	v_mul_f64 v[19:20], v[19:20], v[19:20]
	s_delay_alu instid0(VALU_DEP_1) | instskip(NEXT) | instid1(VALU_DEP_1)
	v_fma_f64 v[19:20], v[21:22], v[21:22], v[19:20]
	v_rsq_f64_e32 v[21:22], v[19:20]
	v_cmp_eq_f64_e32 vcc_lo, 0, v[19:20]
	s_waitcnt_depctr 0xfff
	v_mul_f64 v[23:24], v[19:20], v[21:22]
	v_mul_f64 v[21:22], v[21:22], 0.5
	s_delay_alu instid0(VALU_DEP_1) | instskip(NEXT) | instid1(VALU_DEP_1)
	v_fma_f64 v[26:27], -v[21:22], v[23:24], 0.5
	v_fma_f64 v[23:24], v[23:24], v[26:27], v[23:24]
	v_fma_f64 v[21:22], v[21:22], v[26:27], v[21:22]
	s_delay_alu instid0(VALU_DEP_2) | instskip(NEXT) | instid1(VALU_DEP_1)
	v_fma_f64 v[26:27], -v[23:24], v[23:24], v[19:20]
	v_fma_f64 v[21:22], v[26:27], v[21:22], v[23:24]
	s_delay_alu instid0(VALU_DEP_1) | instskip(SKIP_1) | instid1(VALU_DEP_2)
	v_dual_cndmask_b32 v20, v22, v20 :: v_dual_cndmask_b32 v19, v21, v19
	v_cmp_o_f64_e32 vcc_lo, v[15:16], v[15:16]
	v_ldexp_f64 v[19:20], v[19:20], v28
	s_delay_alu instid0(VALU_DEP_1) | instskip(NEXT) | instid1(VALU_DEP_2)
	v_cndmask_b32_e32 v19, 0, v19, vcc_lo
	v_cndmask_b32_e32 v20, 0x7ff80000, v20, vcc_lo
	s_delay_alu instid0(VALU_DEP_2) | instskip(NEXT) | instid1(VALU_DEP_2)
	v_cndmask_b32_e64 v19, v19, 0, s15
	v_cndmask_b32_e64 v20, v20, 0x7ff00000, s15
	s_and_saveexec_b32 s15, s1
	s_delay_alu instid0(SALU_CYCLE_1)
	s_xor_b32 s1, exec_lo, s15
	s_cbranch_execz .LBB219_17
; %bb.12:
	s_delay_alu instid0(VALU_DEP_1) | instskip(NEXT) | instid1(VALU_DEP_1)
	v_add_f64 v[13:14], v[13:14], v[19:20]
	v_mul_f64 v[13:14], v[13:14], 0.5
	s_delay_alu instid0(VALU_DEP_1) | instskip(SKIP_1) | instid1(VALU_DEP_1)
	v_cmp_gt_f64_e32 vcc_lo, 0x10000000, v[13:14]
	v_cndmask_b32_e64 v19, 0, 1, vcc_lo
	v_lshlrev_b32_e32 v19, 8, v19
	s_delay_alu instid0(VALU_DEP_1) | instskip(NEXT) | instid1(VALU_DEP_1)
	v_ldexp_f64 v[13:14], v[13:14], v19
	v_rsq_f64_e32 v[19:20], v[13:14]
	s_waitcnt_depctr 0xfff
	v_mul_f64 v[21:22], v[13:14], v[19:20]
	v_mul_f64 v[19:20], v[19:20], 0.5
	s_delay_alu instid0(VALU_DEP_1) | instskip(NEXT) | instid1(VALU_DEP_1)
	v_fma_f64 v[23:24], -v[19:20], v[21:22], 0.5
	v_fma_f64 v[21:22], v[21:22], v[23:24], v[21:22]
	v_fma_f64 v[19:20], v[19:20], v[23:24], v[19:20]
	s_delay_alu instid0(VALU_DEP_2) | instskip(NEXT) | instid1(VALU_DEP_1)
	v_fma_f64 v[23:24], -v[21:22], v[21:22], v[13:14]
	v_fma_f64 v[21:22], v[23:24], v[19:20], v[21:22]
	s_delay_alu instid0(VALU_DEP_1) | instskip(NEXT) | instid1(VALU_DEP_1)
	v_fma_f64 v[23:24], -v[21:22], v[21:22], v[13:14]
	v_fma_f64 v[19:20], v[23:24], v[19:20], v[21:22]
	v_cndmask_b32_e64 v21, 0, 0xffffff80, vcc_lo
	v_cmp_class_f64_e64 vcc_lo, v[13:14], 0x260
	s_delay_alu instid0(VALU_DEP_2) | instskip(NEXT) | instid1(VALU_DEP_1)
	v_ldexp_f64 v[19:20], v[19:20], v21
	v_dual_cndmask_b32 v14, v20, v14 :: v_dual_cndmask_b32 v13, v19, v13
	s_delay_alu instid0(VALU_DEP_1) | instskip(NEXT) | instid1(VALU_DEP_1)
	v_add_f64 v[19:20], v[13:14], v[13:14]
	v_div_scale_f64 v[21:22], null, v[19:20], v[19:20], v[15:16]
	s_delay_alu instid0(VALU_DEP_1) | instskip(SKIP_2) | instid1(VALU_DEP_1)
	v_rcp_f64_e32 v[23:24], v[21:22]
	s_waitcnt_depctr 0xfff
	v_fma_f64 v[26:27], -v[21:22], v[23:24], 1.0
	v_fma_f64 v[23:24], v[23:24], v[26:27], v[23:24]
	s_delay_alu instid0(VALU_DEP_1) | instskip(NEXT) | instid1(VALU_DEP_1)
	v_fma_f64 v[26:27], -v[21:22], v[23:24], 1.0
	v_fma_f64 v[23:24], v[23:24], v[26:27], v[23:24]
	v_div_scale_f64 v[26:27], vcc_lo, v[15:16], v[19:20], v[15:16]
	s_delay_alu instid0(VALU_DEP_1) | instskip(NEXT) | instid1(VALU_DEP_1)
	v_mul_f64 v[28:29], v[26:27], v[23:24]
	v_fma_f64 v[21:22], -v[21:22], v[28:29], v[26:27]
	s_delay_alu instid0(VALU_DEP_1) | instskip(NEXT) | instid1(VALU_DEP_1)
	v_div_fmas_f64 v[21:22], v[21:22], v[23:24], v[28:29]
	v_div_fixup_f64 v[15:16], v[21:22], v[19:20], v[15:16]
                                        ; implicit-def: $vgpr19_vgpr20
	s_and_not1_saveexec_b32 s1, s1
	s_cbranch_execnz .LBB219_18
.LBB219_13:
	s_or_b32 exec_lo, exec_lo, s1
	s_and_saveexec_b32 s1, s0
	s_delay_alu instid0(SALU_CYCLE_1)
	s_xor_b32 s0, exec_lo, s1
	s_cbranch_execz .LBB219_19
.LBB219_14:
	s_and_saveexec_b32 s1, s14
; %bb.15:
	s_delay_alu instid0(VALU_DEP_2) | instskip(NEXT) | instid1(VALU_DEP_2)
	v_mul_f64 v[13:14], v[13:14], 0.5
	v_mul_f64 v[15:16], v[15:16], 0.5
; %bb.16:
	s_or_b32 exec_lo, exec_lo, s1
	s_and_not1_saveexec_b32 s0, s0
	s_cbranch_execnz .LBB219_20
	s_branch .LBB219_21
.LBB219_17:
	s_and_not1_saveexec_b32 s1, s1
	s_cbranch_execz .LBB219_13
.LBB219_18:
	v_add_f64 v[13:14], v[19:20], -v[13:14]
	s_delay_alu instid0(VALU_DEP_1) | instskip(NEXT) | instid1(VALU_DEP_1)
	v_mul_f64 v[13:14], v[13:14], 0.5
	v_cmp_gt_f64_e32 vcc_lo, 0x10000000, v[13:14]
	v_cndmask_b32_e64 v19, 0, 1, vcc_lo
	s_delay_alu instid0(VALU_DEP_1) | instskip(NEXT) | instid1(VALU_DEP_1)
	v_lshlrev_b32_e32 v19, 8, v19
	v_ldexp_f64 v[13:14], v[13:14], v19
	s_delay_alu instid0(VALU_DEP_1) | instskip(SKIP_3) | instid1(VALU_DEP_1)
	v_rsq_f64_e32 v[19:20], v[13:14]
	s_waitcnt_depctr 0xfff
	v_mul_f64 v[21:22], v[13:14], v[19:20]
	v_mul_f64 v[19:20], v[19:20], 0.5
	v_fma_f64 v[23:24], -v[19:20], v[21:22], 0.5
	s_delay_alu instid0(VALU_DEP_1) | instskip(SKIP_1) | instid1(VALU_DEP_2)
	v_fma_f64 v[21:22], v[21:22], v[23:24], v[21:22]
	v_fma_f64 v[19:20], v[19:20], v[23:24], v[19:20]
	v_fma_f64 v[23:24], -v[21:22], v[21:22], v[13:14]
	s_delay_alu instid0(VALU_DEP_1) | instskip(NEXT) | instid1(VALU_DEP_1)
	v_fma_f64 v[21:22], v[23:24], v[19:20], v[21:22]
	v_fma_f64 v[23:24], -v[21:22], v[21:22], v[13:14]
	s_delay_alu instid0(VALU_DEP_1) | instskip(SKIP_3) | instid1(VALU_DEP_3)
	v_fma_f64 v[19:20], v[23:24], v[19:20], v[21:22]
	v_cndmask_b32_e64 v21, 0, 0xffffff80, vcc_lo
	v_cmp_class_f64_e64 vcc_lo, v[13:14], 0x260
	v_and_b32_e32 v22, 0x7fffffff, v16
	v_ldexp_f64 v[19:20], v[19:20], v21
	s_delay_alu instid0(VALU_DEP_1) | instskip(NEXT) | instid1(VALU_DEP_1)
	v_dual_cndmask_b32 v20, v20, v14 :: v_dual_cndmask_b32 v19, v19, v13
	v_add_f64 v[13:14], v[19:20], v[19:20]
	v_bfi_b32 v20, 0x7fffffff, v20, v16
	v_mov_b32_e32 v21, v15
	s_delay_alu instid0(VALU_DEP_1) | instskip(SKIP_1) | instid1(VALU_DEP_2)
	v_div_scale_f64 v[23:24], null, v[13:14], v[13:14], v[21:22]
	v_div_scale_f64 v[21:22], vcc_lo, v[21:22], v[13:14], v[21:22]
	v_rcp_f64_e32 v[26:27], v[23:24]
	s_waitcnt_depctr 0xfff
	v_fma_f64 v[28:29], -v[23:24], v[26:27], 1.0
	s_delay_alu instid0(VALU_DEP_1) | instskip(NEXT) | instid1(VALU_DEP_1)
	v_fma_f64 v[26:27], v[26:27], v[28:29], v[26:27]
	v_fma_f64 v[28:29], -v[23:24], v[26:27], 1.0
	s_delay_alu instid0(VALU_DEP_1) | instskip(NEXT) | instid1(VALU_DEP_1)
	v_fma_f64 v[26:27], v[26:27], v[28:29], v[26:27]
	v_mul_f64 v[28:29], v[21:22], v[26:27]
	s_delay_alu instid0(VALU_DEP_1) | instskip(NEXT) | instid1(VALU_DEP_1)
	v_fma_f64 v[21:22], -v[23:24], v[28:29], v[21:22]
	v_div_fmas_f64 v[21:22], v[21:22], v[26:27], v[28:29]
	s_delay_alu instid0(VALU_DEP_1) | instskip(SKIP_3) | instid1(SALU_CYCLE_1)
	v_div_fixup_f64 v[13:14], v[21:22], v[13:14], |v[15:16]|
	v_dual_mov_b32 v15, v19 :: v_dual_mov_b32 v16, v20
	s_or_b32 exec_lo, exec_lo, s1
	s_and_saveexec_b32 s1, s0
	s_xor_b32 s0, exec_lo, s1
	s_cbranch_execnz .LBB219_14
.LBB219_19:
	s_and_not1_saveexec_b32 s0, s0
.LBB219_20:
	s_delay_alu instid0(VALU_DEP_2) | instskip(NEXT) | instid1(VALU_DEP_2)
	v_add_f64 v[13:14], v[13:14], v[13:14]
	v_add_f64 v[15:16], v[15:16], v[15:16]
.LBB219_21:
	s_or_b32 exec_lo, exec_lo, s0
.LBB219_22:
	s_and_not1_saveexec_b32 s0, s13
	s_cbranch_execz .LBB219_28
; %bb.23:
	s_delay_alu instid0(VALU_DEP_1) | instskip(SKIP_1) | instid1(VALU_DEP_3)
	v_add_f64 v[19:20], v[15:16], -v[15:16]
	s_mov_b32 s1, exec_lo
	v_cmpx_lt_i64_e32 -1, v[13:14]
	s_xor_b32 s1, exec_lo, s1
; %bb.24:
	s_delay_alu instid0(VALU_DEP_2) | instskip(NEXT) | instid1(VALU_DEP_1)
	v_bfi_b32 v20, 0x7fffffff, v20, v16
	v_dual_mov_b32 v15, v19 :: v_dual_mov_b32 v16, v20
                                        ; implicit-def: $vgpr19_vgpr20
; %bb.25:
	s_and_not1_saveexec_b32 s1, s1
; %bb.26:
	s_delay_alu instid0(VALU_DEP_1) | instskip(SKIP_1) | instid1(VALU_DEP_2)
	v_bfi_b32 v14, 0x7fffffff, v14, v16
	v_and_b32_e32 v20, 0x7fffffff, v20
	v_dual_mov_b32 v16, v14 :: v_dual_mov_b32 v15, v13
	s_delay_alu instid0(VALU_DEP_2)
	v_dual_mov_b32 v13, v19 :: v_dual_mov_b32 v14, v20
; %bb.27:
	s_or_b32 exec_lo, exec_lo, s1
.LBB219_28:
	s_delay_alu instid0(SALU_CYCLE_1)
	s_or_b32 exec_lo, exec_lo, s0
.LBB219_29:
	s_and_not1_saveexec_b32 s0, s12
; %bb.30:
	s_delay_alu instid0(VALU_DEP_1) | instskip(NEXT) | instid1(VALU_DEP_1)
	v_add_f64 v[15:16], v[15:16], -v[15:16]
	v_div_scale_f64 v[19:20], vcc_lo, v[15:16], v[15:16], v[15:16]
	s_delay_alu instid0(VALU_DEP_1) | instskip(SKIP_2) | instid1(VALU_DEP_1)
	v_rcp_f64_e32 v[21:22], v[19:20]
	s_waitcnt_depctr 0xfff
	v_fma_f64 v[23:24], -v[19:20], v[21:22], 1.0
	v_fma_f64 v[21:22], v[21:22], v[23:24], v[21:22]
	s_delay_alu instid0(VALU_DEP_1) | instskip(NEXT) | instid1(VALU_DEP_1)
	v_fma_f64 v[23:24], -v[19:20], v[21:22], 1.0
	v_fma_f64 v[21:22], v[21:22], v[23:24], v[21:22]
	s_delay_alu instid0(VALU_DEP_1) | instskip(NEXT) | instid1(VALU_DEP_1)
	v_mul_f64 v[23:24], v[19:20], v[21:22]
	v_fma_f64 v[19:20], -v[19:20], v[23:24], v[19:20]
	s_delay_alu instid0(VALU_DEP_1) | instskip(NEXT) | instid1(VALU_DEP_1)
	v_div_fmas_f64 v[19:20], v[19:20], v[21:22], v[23:24]
	v_div_fixup_f64 v[15:16], v[19:20], v[15:16], v[15:16]
; %bb.31:
	s_or_b32 exec_lo, exec_lo, s0
	v_dual_mov_b32 v22, v14 :: v_dual_mov_b32 v21, v13
.LBB219_32:
	s_or_b32 exec_lo, exec_lo, s11
.LBB219_33:
	s_delay_alu instid0(SALU_CYCLE_1) | instskip(SKIP_3) | instid1(VALU_DEP_1)
	s_or_b32 exec_lo, exec_lo, s9
	s_waitcnt vmcnt(2)
	v_cmp_neq_f64_e32 vcc_lo, 0, v[9:10]
	v_cmp_neq_f64_e64 s0, 0, v[11:12]
	s_or_b32 s0, vcc_lo, s0
	s_delay_alu instid0(SALU_CYCLE_1)
	s_and_saveexec_b32 s9, s0
	s_cbranch_execz .LBB219_65
; %bb.34:
	s_mov_b32 s0, 0
	s_mov_b32 s1, 0x7ff00000
	v_mov_b32_e32 v17, s0
	v_mov_b32_e32 v18, s1
	s_mov_b32 s11, exec_lo
	v_cmpx_neq_f64_e64 0x7ff00000, |v[11:12]|
	s_cbranch_execz .LBB219_64
; %bb.35:
	s_mov_b32 s0, exec_lo
	v_cmpx_o_f64_e32 v[9:10], v[9:10]
	s_xor_b32 s12, exec_lo, s0
	s_cbranch_execz .LBB219_61
; %bb.36:
	s_mov_b32 s1, exec_lo
	v_cmpx_neq_f64_e64 0x7ff00000, |v[9:10]|
	s_xor_b32 s13, exec_lo, s1
	s_cbranch_execz .LBB219_54
; %bb.37:
	v_max_f64 v[13:14], |v[11:12]|, |v[11:12]|
	v_max_f64 v[17:18], |v[9:10]|, |v[9:10]|
	s_mov_b32 s0, 0x99fcef32
	s_mov_b32 s1, 0x7fda8279
                                        ; implicit-def: $sgpr14
	s_delay_alu instid0(VALU_DEP_1) | instskip(NEXT) | instid1(VALU_DEP_1)
	v_max_f64 v[13:14], v[17:18], v[13:14]
	v_cmp_nle_f64_e64 s0, s[0:1], v[13:14]
	s_delay_alu instid0(VALU_DEP_1) | instskip(NEXT) | instid1(SALU_CYCLE_1)
	s_and_saveexec_b32 s1, s0
	s_xor_b32 s1, exec_lo, s1
	s_cbranch_execz .LBB219_41
; %bb.38:
	v_cmp_ge_f64_e64 s14, 0x200000, |v[9:10]|
	v_cmp_ge_f64_e64 s15, 0x200000, |v[11:12]|
	s_delay_alu instid0(VALU_DEP_1)
	s_and_b32 s16, s14, s15
	s_mov_b32 s14, 0
	s_and_saveexec_b32 s15, s16
; %bb.39:
	v_mul_f64 v[9:10], v[9:10], 4.0
	v_mul_f64 v[11:12], v[11:12], 4.0
	s_mov_b32 s14, exec_lo
; %bb.40:
	s_or_b32 exec_lo, exec_lo, s15
	s_delay_alu instid0(SALU_CYCLE_1)
	s_and_b32 s14, s14, exec_lo
.LBB219_41:
	s_and_not1_saveexec_b32 s1, s1
; %bb.42:
	s_delay_alu instid0(VALU_DEP_2) | instskip(NEXT) | instid1(VALU_DEP_2)
	v_ldexp_f64 v[9:10], v[9:10], -2
	v_ldexp_f64 v[11:12], v[11:12], -2
	s_and_not1_b32 s14, s14, exec_lo
; %bb.43:
	s_or_b32 exec_lo, exec_lo, s1
	s_delay_alu instid0(VALU_DEP_1) | instskip(NEXT) | instid1(VALU_DEP_3)
	v_max_f64 v[13:14], |v[11:12]|, |v[11:12]|
	v_max_f64 v[17:18], |v[9:10]|, |v[9:10]|
	v_cmp_class_f64_e64 s15, v[9:10], 0x204
	v_cmp_class_f64_e64 s16, v[11:12], 0x204
	v_cmp_le_f64_e64 s1, 0, v[9:10]
	s_delay_alu instid0(VALU_DEP_4) | instskip(NEXT) | instid1(VALU_DEP_3)
	v_max_f64 v[13:14], v[17:18], v[13:14]
	s_or_b32 s15, s16, s15
	s_delay_alu instid0(VALU_DEP_1) | instskip(NEXT) | instid1(VALU_DEP_1)
	v_frexp_exp_i32_f64_e32 v26, v[13:14]
	v_sub_nc_u32_e32 v17, 0, v26
	s_delay_alu instid0(VALU_DEP_1) | instskip(SKIP_1) | instid1(VALU_DEP_2)
	v_ldexp_f64 v[13:14], |v[11:12]|, v17
	v_ldexp_f64 v[17:18], |v[9:10]|, v17
	v_mul_f64 v[13:14], v[13:14], v[13:14]
	s_delay_alu instid0(VALU_DEP_1) | instskip(NEXT) | instid1(VALU_DEP_1)
	v_fma_f64 v[13:14], v[17:18], v[17:18], v[13:14]
	v_rsq_f64_e32 v[17:18], v[13:14]
	v_cmp_eq_f64_e32 vcc_lo, 0, v[13:14]
	s_waitcnt_depctr 0xfff
	v_mul_f64 v[19:20], v[13:14], v[17:18]
	v_mul_f64 v[17:18], v[17:18], 0.5
	s_delay_alu instid0(VALU_DEP_1) | instskip(NEXT) | instid1(VALU_DEP_1)
	v_fma_f64 v[23:24], -v[17:18], v[19:20], 0.5
	v_fma_f64 v[19:20], v[19:20], v[23:24], v[19:20]
	v_fma_f64 v[17:18], v[17:18], v[23:24], v[17:18]
	s_delay_alu instid0(VALU_DEP_2) | instskip(NEXT) | instid1(VALU_DEP_1)
	v_fma_f64 v[23:24], -v[19:20], v[19:20], v[13:14]
	v_fma_f64 v[17:18], v[23:24], v[17:18], v[19:20]
	s_delay_alu instid0(VALU_DEP_1) | instskip(SKIP_1) | instid1(VALU_DEP_2)
	v_dual_cndmask_b32 v14, v18, v14 :: v_dual_cndmask_b32 v13, v17, v13
	v_cmp_o_f64_e32 vcc_lo, v[11:12], v[11:12]
	v_ldexp_f64 v[13:14], v[13:14], v26
	s_delay_alu instid0(VALU_DEP_1) | instskip(NEXT) | instid1(VALU_DEP_2)
	v_cndmask_b32_e32 v13, 0, v13, vcc_lo
	v_cndmask_b32_e32 v14, 0x7ff80000, v14, vcc_lo
	s_delay_alu instid0(VALU_DEP_2) | instskip(NEXT) | instid1(VALU_DEP_2)
	v_cndmask_b32_e64 v13, v13, 0, s15
	v_cndmask_b32_e64 v14, v14, 0x7ff00000, s15
	s_and_saveexec_b32 s15, s1
	s_delay_alu instid0(SALU_CYCLE_1)
	s_xor_b32 s1, exec_lo, s15
	s_cbranch_execz .LBB219_49
; %bb.44:
	s_delay_alu instid0(VALU_DEP_1) | instskip(NEXT) | instid1(VALU_DEP_1)
	v_add_f64 v[9:10], v[9:10], v[13:14]
	v_mul_f64 v[9:10], v[9:10], 0.5
	s_delay_alu instid0(VALU_DEP_1) | instskip(SKIP_1) | instid1(VALU_DEP_1)
	v_cmp_gt_f64_e32 vcc_lo, 0x10000000, v[9:10]
	v_cndmask_b32_e64 v13, 0, 1, vcc_lo
	v_lshlrev_b32_e32 v13, 8, v13
	s_delay_alu instid0(VALU_DEP_1) | instskip(NEXT) | instid1(VALU_DEP_1)
	v_ldexp_f64 v[9:10], v[9:10], v13
	v_rsq_f64_e32 v[13:14], v[9:10]
	s_waitcnt_depctr 0xfff
	v_mul_f64 v[17:18], v[9:10], v[13:14]
	v_mul_f64 v[13:14], v[13:14], 0.5
	s_delay_alu instid0(VALU_DEP_1) | instskip(NEXT) | instid1(VALU_DEP_1)
	v_fma_f64 v[19:20], -v[13:14], v[17:18], 0.5
	v_fma_f64 v[17:18], v[17:18], v[19:20], v[17:18]
	v_fma_f64 v[13:14], v[13:14], v[19:20], v[13:14]
	s_delay_alu instid0(VALU_DEP_2) | instskip(NEXT) | instid1(VALU_DEP_1)
	v_fma_f64 v[19:20], -v[17:18], v[17:18], v[9:10]
	v_fma_f64 v[17:18], v[19:20], v[13:14], v[17:18]
	s_delay_alu instid0(VALU_DEP_1) | instskip(NEXT) | instid1(VALU_DEP_1)
	v_fma_f64 v[19:20], -v[17:18], v[17:18], v[9:10]
	v_fma_f64 v[13:14], v[19:20], v[13:14], v[17:18]
	v_cndmask_b32_e64 v17, 0, 0xffffff80, vcc_lo
	v_cmp_class_f64_e64 vcc_lo, v[9:10], 0x260
	s_delay_alu instid0(VALU_DEP_2) | instskip(NEXT) | instid1(VALU_DEP_1)
	v_ldexp_f64 v[13:14], v[13:14], v17
	v_dual_cndmask_b32 v10, v14, v10 :: v_dual_cndmask_b32 v9, v13, v9
	s_delay_alu instid0(VALU_DEP_1) | instskip(NEXT) | instid1(VALU_DEP_1)
	v_add_f64 v[13:14], v[9:10], v[9:10]
	v_div_scale_f64 v[17:18], null, v[13:14], v[13:14], v[11:12]
	s_delay_alu instid0(VALU_DEP_1) | instskip(SKIP_2) | instid1(VALU_DEP_1)
	v_rcp_f64_e32 v[19:20], v[17:18]
	s_waitcnt_depctr 0xfff
	v_fma_f64 v[23:24], -v[17:18], v[19:20], 1.0
	v_fma_f64 v[19:20], v[19:20], v[23:24], v[19:20]
	s_delay_alu instid0(VALU_DEP_1) | instskip(NEXT) | instid1(VALU_DEP_1)
	v_fma_f64 v[23:24], -v[17:18], v[19:20], 1.0
	v_fma_f64 v[19:20], v[19:20], v[23:24], v[19:20]
	v_div_scale_f64 v[23:24], vcc_lo, v[11:12], v[13:14], v[11:12]
	s_delay_alu instid0(VALU_DEP_1) | instskip(NEXT) | instid1(VALU_DEP_1)
	v_mul_f64 v[26:27], v[23:24], v[19:20]
	v_fma_f64 v[17:18], -v[17:18], v[26:27], v[23:24]
	s_delay_alu instid0(VALU_DEP_1) | instskip(NEXT) | instid1(VALU_DEP_1)
	v_div_fmas_f64 v[17:18], v[17:18], v[19:20], v[26:27]
	v_div_fixup_f64 v[11:12], v[17:18], v[13:14], v[11:12]
                                        ; implicit-def: $vgpr13_vgpr14
	s_and_not1_saveexec_b32 s1, s1
	s_cbranch_execnz .LBB219_50
.LBB219_45:
	s_or_b32 exec_lo, exec_lo, s1
	s_and_saveexec_b32 s1, s0
	s_delay_alu instid0(SALU_CYCLE_1)
	s_xor_b32 s0, exec_lo, s1
	s_cbranch_execz .LBB219_51
.LBB219_46:
	s_and_saveexec_b32 s1, s14
; %bb.47:
	s_delay_alu instid0(VALU_DEP_2) | instskip(NEXT) | instid1(VALU_DEP_2)
	v_mul_f64 v[9:10], v[9:10], 0.5
	v_mul_f64 v[11:12], v[11:12], 0.5
; %bb.48:
	s_or_b32 exec_lo, exec_lo, s1
	s_and_not1_saveexec_b32 s0, s0
	s_cbranch_execnz .LBB219_52
	s_branch .LBB219_53
.LBB219_49:
	s_and_not1_saveexec_b32 s1, s1
	s_cbranch_execz .LBB219_45
.LBB219_50:
	v_add_f64 v[9:10], v[13:14], -v[9:10]
	s_delay_alu instid0(VALU_DEP_1) | instskip(NEXT) | instid1(VALU_DEP_1)
	v_mul_f64 v[9:10], v[9:10], 0.5
	v_cmp_gt_f64_e32 vcc_lo, 0x10000000, v[9:10]
	v_cndmask_b32_e64 v13, 0, 1, vcc_lo
	s_delay_alu instid0(VALU_DEP_1) | instskip(NEXT) | instid1(VALU_DEP_1)
	v_lshlrev_b32_e32 v13, 8, v13
	v_ldexp_f64 v[9:10], v[9:10], v13
	s_delay_alu instid0(VALU_DEP_1) | instskip(SKIP_3) | instid1(VALU_DEP_1)
	v_rsq_f64_e32 v[13:14], v[9:10]
	s_waitcnt_depctr 0xfff
	v_mul_f64 v[17:18], v[9:10], v[13:14]
	v_mul_f64 v[13:14], v[13:14], 0.5
	v_fma_f64 v[19:20], -v[13:14], v[17:18], 0.5
	s_delay_alu instid0(VALU_DEP_1) | instskip(SKIP_1) | instid1(VALU_DEP_2)
	v_fma_f64 v[17:18], v[17:18], v[19:20], v[17:18]
	v_fma_f64 v[13:14], v[13:14], v[19:20], v[13:14]
	v_fma_f64 v[19:20], -v[17:18], v[17:18], v[9:10]
	s_delay_alu instid0(VALU_DEP_1) | instskip(NEXT) | instid1(VALU_DEP_1)
	v_fma_f64 v[17:18], v[19:20], v[13:14], v[17:18]
	v_fma_f64 v[19:20], -v[17:18], v[17:18], v[9:10]
	s_delay_alu instid0(VALU_DEP_1) | instskip(SKIP_3) | instid1(VALU_DEP_3)
	v_fma_f64 v[13:14], v[19:20], v[13:14], v[17:18]
	v_cndmask_b32_e64 v17, 0, 0xffffff80, vcc_lo
	v_cmp_class_f64_e64 vcc_lo, v[9:10], 0x260
	v_and_b32_e32 v18, 0x7fffffff, v12
	v_ldexp_f64 v[13:14], v[13:14], v17
	s_delay_alu instid0(VALU_DEP_1) | instskip(NEXT) | instid1(VALU_DEP_1)
	v_dual_cndmask_b32 v14, v14, v10 :: v_dual_cndmask_b32 v13, v13, v9
	v_add_f64 v[9:10], v[13:14], v[13:14]
	v_bfi_b32 v14, 0x7fffffff, v14, v12
	v_mov_b32_e32 v17, v11
	s_delay_alu instid0(VALU_DEP_1) | instskip(SKIP_1) | instid1(VALU_DEP_2)
	v_div_scale_f64 v[19:20], null, v[9:10], v[9:10], v[17:18]
	v_div_scale_f64 v[17:18], vcc_lo, v[17:18], v[9:10], v[17:18]
	v_rcp_f64_e32 v[23:24], v[19:20]
	s_waitcnt_depctr 0xfff
	v_fma_f64 v[26:27], -v[19:20], v[23:24], 1.0
	s_delay_alu instid0(VALU_DEP_1) | instskip(NEXT) | instid1(VALU_DEP_1)
	v_fma_f64 v[23:24], v[23:24], v[26:27], v[23:24]
	v_fma_f64 v[26:27], -v[19:20], v[23:24], 1.0
	s_delay_alu instid0(VALU_DEP_1) | instskip(NEXT) | instid1(VALU_DEP_1)
	v_fma_f64 v[23:24], v[23:24], v[26:27], v[23:24]
	v_mul_f64 v[26:27], v[17:18], v[23:24]
	s_delay_alu instid0(VALU_DEP_1) | instskip(NEXT) | instid1(VALU_DEP_1)
	v_fma_f64 v[17:18], -v[19:20], v[26:27], v[17:18]
	v_div_fmas_f64 v[17:18], v[17:18], v[23:24], v[26:27]
	s_delay_alu instid0(VALU_DEP_1) | instskip(SKIP_3) | instid1(SALU_CYCLE_1)
	v_div_fixup_f64 v[9:10], v[17:18], v[9:10], |v[11:12]|
	v_dual_mov_b32 v11, v13 :: v_dual_mov_b32 v12, v14
	s_or_b32 exec_lo, exec_lo, s1
	s_and_saveexec_b32 s1, s0
	s_xor_b32 s0, exec_lo, s1
	s_cbranch_execnz .LBB219_46
.LBB219_51:
	s_and_not1_saveexec_b32 s0, s0
.LBB219_52:
	s_delay_alu instid0(VALU_DEP_2) | instskip(NEXT) | instid1(VALU_DEP_2)
	v_add_f64 v[9:10], v[9:10], v[9:10]
	v_add_f64 v[11:12], v[11:12], v[11:12]
.LBB219_53:
	s_or_b32 exec_lo, exec_lo, s0
.LBB219_54:
	s_and_not1_saveexec_b32 s0, s13
	s_cbranch_execz .LBB219_60
; %bb.55:
	s_delay_alu instid0(VALU_DEP_1) | instskip(SKIP_1) | instid1(VALU_DEP_3)
	v_add_f64 v[13:14], v[11:12], -v[11:12]
	s_mov_b32 s1, exec_lo
	v_cmpx_lt_i64_e32 -1, v[9:10]
	s_xor_b32 s1, exec_lo, s1
; %bb.56:
	s_delay_alu instid0(VALU_DEP_2) | instskip(NEXT) | instid1(VALU_DEP_1)
	v_bfi_b32 v14, 0x7fffffff, v14, v12
	v_dual_mov_b32 v11, v13 :: v_dual_mov_b32 v12, v14
                                        ; implicit-def: $vgpr13_vgpr14
; %bb.57:
	s_and_not1_saveexec_b32 s1, s1
; %bb.58:
	s_delay_alu instid0(VALU_DEP_1) | instskip(SKIP_1) | instid1(VALU_DEP_2)
	v_bfi_b32 v10, 0x7fffffff, v10, v12
	v_and_b32_e32 v14, 0x7fffffff, v14
	v_dual_mov_b32 v12, v10 :: v_dual_mov_b32 v11, v9
	s_delay_alu instid0(VALU_DEP_2)
	v_dual_mov_b32 v9, v13 :: v_dual_mov_b32 v10, v14
; %bb.59:
	s_or_b32 exec_lo, exec_lo, s1
.LBB219_60:
	s_delay_alu instid0(SALU_CYCLE_1)
	s_or_b32 exec_lo, exec_lo, s0
.LBB219_61:
	s_and_not1_saveexec_b32 s0, s12
; %bb.62:
	s_delay_alu instid0(VALU_DEP_1) | instskip(NEXT) | instid1(VALU_DEP_1)
	v_add_f64 v[11:12], v[11:12], -v[11:12]
	v_div_scale_f64 v[13:14], vcc_lo, v[11:12], v[11:12], v[11:12]
	s_delay_alu instid0(VALU_DEP_1) | instskip(SKIP_2) | instid1(VALU_DEP_1)
	v_rcp_f64_e32 v[17:18], v[13:14]
	s_waitcnt_depctr 0xfff
	v_fma_f64 v[19:20], -v[13:14], v[17:18], 1.0
	v_fma_f64 v[17:18], v[17:18], v[19:20], v[17:18]
	s_delay_alu instid0(VALU_DEP_1) | instskip(NEXT) | instid1(VALU_DEP_1)
	v_fma_f64 v[19:20], -v[13:14], v[17:18], 1.0
	v_fma_f64 v[17:18], v[17:18], v[19:20], v[17:18]
	s_delay_alu instid0(VALU_DEP_1) | instskip(NEXT) | instid1(VALU_DEP_1)
	v_mul_f64 v[19:20], v[13:14], v[17:18]
	v_fma_f64 v[13:14], -v[13:14], v[19:20], v[13:14]
	s_delay_alu instid0(VALU_DEP_1) | instskip(NEXT) | instid1(VALU_DEP_1)
	v_div_fmas_f64 v[13:14], v[13:14], v[17:18], v[19:20]
	v_div_fixup_f64 v[11:12], v[13:14], v[11:12], v[11:12]
; %bb.63:
	s_or_b32 exec_lo, exec_lo, s0
	v_dual_mov_b32 v18, v10 :: v_dual_mov_b32 v17, v9
.LBB219_64:
	s_or_b32 exec_lo, exec_lo, s11
.LBB219_65:
	s_delay_alu instid0(SALU_CYCLE_1)
	s_or_b32 exec_lo, exec_lo, s9
	s_waitcnt vmcnt(0)
	v_cmp_neq_f64_e32 vcc_lo, 0, v[5:6]
	v_cmp_neq_f64_e64 s0, 0, v[7:8]
	v_mov_b32_e32 v9, 0
	v_mov_b32_e32 v10, 0
	s_delay_alu instid0(VALU_DEP_1) | instskip(NEXT) | instid1(VALU_DEP_4)
	v_dual_mov_b32 v14, v10 :: v_dual_mov_b32 v13, v9
	s_or_b32 s0, vcc_lo, s0
	s_delay_alu instid0(SALU_CYCLE_1)
	s_and_saveexec_b32 s9, s0
	s_cbranch_execz .LBB219_97
; %bb.66:
	s_mov_b32 s0, 0
	s_mov_b32 s1, 0x7ff00000
	v_mov_b32_e32 v13, s0
	v_mov_b32_e32 v14, s1
	s_mov_b32 s11, exec_lo
	v_cmpx_neq_f64_e64 0x7ff00000, |v[7:8]|
	s_cbranch_execz .LBB219_96
; %bb.67:
	s_mov_b32 s0, exec_lo
	v_cmpx_o_f64_e32 v[5:6], v[5:6]
	s_xor_b32 s12, exec_lo, s0
	s_cbranch_execz .LBB219_93
; %bb.68:
	s_mov_b32 s1, exec_lo
	v_cmpx_neq_f64_e64 0x7ff00000, |v[5:6]|
	s_xor_b32 s13, exec_lo, s1
	s_cbranch_execz .LBB219_86
; %bb.69:
	v_max_f64 v[13:14], |v[7:8]|, |v[7:8]|
	v_max_f64 v[19:20], |v[5:6]|, |v[5:6]|
	s_mov_b32 s0, 0x99fcef32
	s_mov_b32 s1, 0x7fda8279
                                        ; implicit-def: $sgpr14
	s_delay_alu instid0(VALU_DEP_1) | instskip(NEXT) | instid1(VALU_DEP_1)
	v_max_f64 v[13:14], v[19:20], v[13:14]
	v_cmp_nle_f64_e64 s0, s[0:1], v[13:14]
	s_delay_alu instid0(VALU_DEP_1) | instskip(NEXT) | instid1(SALU_CYCLE_1)
	s_and_saveexec_b32 s1, s0
	s_xor_b32 s1, exec_lo, s1
	s_cbranch_execz .LBB219_73
; %bb.70:
	v_cmp_ge_f64_e64 s14, 0x200000, |v[5:6]|
	v_cmp_ge_f64_e64 s15, 0x200000, |v[7:8]|
	s_delay_alu instid0(VALU_DEP_1)
	s_and_b32 s16, s14, s15
	s_mov_b32 s14, 0
	s_and_saveexec_b32 s15, s16
; %bb.71:
	v_mul_f64 v[5:6], v[5:6], 4.0
	v_mul_f64 v[7:8], v[7:8], 4.0
	s_mov_b32 s14, exec_lo
; %bb.72:
	s_or_b32 exec_lo, exec_lo, s15
	s_delay_alu instid0(SALU_CYCLE_1)
	s_and_b32 s14, s14, exec_lo
.LBB219_73:
	s_and_not1_saveexec_b32 s1, s1
; %bb.74:
	s_delay_alu instid0(VALU_DEP_2) | instskip(NEXT) | instid1(VALU_DEP_2)
	v_ldexp_f64 v[5:6], v[5:6], -2
	v_ldexp_f64 v[7:8], v[7:8], -2
	s_and_not1_b32 s14, s14, exec_lo
; %bb.75:
	s_or_b32 exec_lo, exec_lo, s1
	s_delay_alu instid0(VALU_DEP_1) | instskip(NEXT) | instid1(VALU_DEP_3)
	v_max_f64 v[13:14], |v[7:8]|, |v[7:8]|
	v_max_f64 v[19:20], |v[5:6]|, |v[5:6]|
	v_cmp_class_f64_e64 s15, v[5:6], 0x204
	v_cmp_class_f64_e64 s16, v[7:8], 0x204
	v_cmp_le_f64_e64 s1, 0, v[5:6]
	s_delay_alu instid0(VALU_DEP_4) | instskip(NEXT) | instid1(VALU_DEP_3)
	v_max_f64 v[13:14], v[19:20], v[13:14]
	s_or_b32 s15, s16, s15
	s_delay_alu instid0(VALU_DEP_1) | instskip(NEXT) | instid1(VALU_DEP_1)
	v_frexp_exp_i32_f64_e32 v28, v[13:14]
	v_sub_nc_u32_e32 v19, 0, v28
	s_delay_alu instid0(VALU_DEP_1) | instskip(SKIP_1) | instid1(VALU_DEP_2)
	v_ldexp_f64 v[13:14], |v[7:8]|, v19
	v_ldexp_f64 v[19:20], |v[5:6]|, v19
	v_mul_f64 v[13:14], v[13:14], v[13:14]
	s_delay_alu instid0(VALU_DEP_1) | instskip(NEXT) | instid1(VALU_DEP_1)
	v_fma_f64 v[13:14], v[19:20], v[19:20], v[13:14]
	v_rsq_f64_e32 v[19:20], v[13:14]
	v_cmp_eq_f64_e32 vcc_lo, 0, v[13:14]
	s_waitcnt_depctr 0xfff
	v_mul_f64 v[23:24], v[13:14], v[19:20]
	v_mul_f64 v[19:20], v[19:20], 0.5
	s_delay_alu instid0(VALU_DEP_1) | instskip(NEXT) | instid1(VALU_DEP_1)
	v_fma_f64 v[26:27], -v[19:20], v[23:24], 0.5
	v_fma_f64 v[23:24], v[23:24], v[26:27], v[23:24]
	v_fma_f64 v[19:20], v[19:20], v[26:27], v[19:20]
	s_delay_alu instid0(VALU_DEP_2) | instskip(NEXT) | instid1(VALU_DEP_1)
	v_fma_f64 v[26:27], -v[23:24], v[23:24], v[13:14]
	v_fma_f64 v[19:20], v[26:27], v[19:20], v[23:24]
	s_delay_alu instid0(VALU_DEP_1) | instskip(SKIP_1) | instid1(VALU_DEP_2)
	v_dual_cndmask_b32 v14, v20, v14 :: v_dual_cndmask_b32 v13, v19, v13
	v_cmp_o_f64_e32 vcc_lo, v[7:8], v[7:8]
	v_ldexp_f64 v[13:14], v[13:14], v28
	s_delay_alu instid0(VALU_DEP_1) | instskip(NEXT) | instid1(VALU_DEP_2)
	v_cndmask_b32_e32 v13, 0, v13, vcc_lo
	v_cndmask_b32_e32 v14, 0x7ff80000, v14, vcc_lo
	s_delay_alu instid0(VALU_DEP_2) | instskip(NEXT) | instid1(VALU_DEP_2)
	v_cndmask_b32_e64 v13, v13, 0, s15
	v_cndmask_b32_e64 v14, v14, 0x7ff00000, s15
	s_and_saveexec_b32 s15, s1
	s_delay_alu instid0(SALU_CYCLE_1)
	s_xor_b32 s1, exec_lo, s15
	s_cbranch_execz .LBB219_81
; %bb.76:
	s_delay_alu instid0(VALU_DEP_1) | instskip(NEXT) | instid1(VALU_DEP_1)
	v_add_f64 v[5:6], v[5:6], v[13:14]
	v_mul_f64 v[5:6], v[5:6], 0.5
	s_delay_alu instid0(VALU_DEP_1) | instskip(SKIP_1) | instid1(VALU_DEP_1)
	v_cmp_gt_f64_e32 vcc_lo, 0x10000000, v[5:6]
	v_cndmask_b32_e64 v13, 0, 1, vcc_lo
	v_lshlrev_b32_e32 v13, 8, v13
	s_delay_alu instid0(VALU_DEP_1) | instskip(NEXT) | instid1(VALU_DEP_1)
	v_ldexp_f64 v[5:6], v[5:6], v13
	v_rsq_f64_e32 v[13:14], v[5:6]
	s_waitcnt_depctr 0xfff
	v_mul_f64 v[19:20], v[5:6], v[13:14]
	v_mul_f64 v[13:14], v[13:14], 0.5
	s_delay_alu instid0(VALU_DEP_1) | instskip(NEXT) | instid1(VALU_DEP_1)
	v_fma_f64 v[23:24], -v[13:14], v[19:20], 0.5
	v_fma_f64 v[19:20], v[19:20], v[23:24], v[19:20]
	v_fma_f64 v[13:14], v[13:14], v[23:24], v[13:14]
	s_delay_alu instid0(VALU_DEP_2) | instskip(NEXT) | instid1(VALU_DEP_1)
	v_fma_f64 v[23:24], -v[19:20], v[19:20], v[5:6]
	v_fma_f64 v[19:20], v[23:24], v[13:14], v[19:20]
	s_delay_alu instid0(VALU_DEP_1) | instskip(NEXT) | instid1(VALU_DEP_1)
	v_fma_f64 v[23:24], -v[19:20], v[19:20], v[5:6]
	v_fma_f64 v[13:14], v[23:24], v[13:14], v[19:20]
	v_cndmask_b32_e64 v19, 0, 0xffffff80, vcc_lo
	v_cmp_class_f64_e64 vcc_lo, v[5:6], 0x260
	s_delay_alu instid0(VALU_DEP_2) | instskip(NEXT) | instid1(VALU_DEP_1)
	v_ldexp_f64 v[13:14], v[13:14], v19
	v_dual_cndmask_b32 v6, v14, v6 :: v_dual_cndmask_b32 v5, v13, v5
	s_delay_alu instid0(VALU_DEP_1) | instskip(NEXT) | instid1(VALU_DEP_1)
	v_add_f64 v[13:14], v[5:6], v[5:6]
	v_div_scale_f64 v[19:20], null, v[13:14], v[13:14], v[7:8]
	s_delay_alu instid0(VALU_DEP_1) | instskip(SKIP_2) | instid1(VALU_DEP_1)
	v_rcp_f64_e32 v[23:24], v[19:20]
	s_waitcnt_depctr 0xfff
	v_fma_f64 v[26:27], -v[19:20], v[23:24], 1.0
	v_fma_f64 v[23:24], v[23:24], v[26:27], v[23:24]
	s_delay_alu instid0(VALU_DEP_1) | instskip(NEXT) | instid1(VALU_DEP_1)
	v_fma_f64 v[26:27], -v[19:20], v[23:24], 1.0
	v_fma_f64 v[23:24], v[23:24], v[26:27], v[23:24]
	v_div_scale_f64 v[26:27], vcc_lo, v[7:8], v[13:14], v[7:8]
	s_delay_alu instid0(VALU_DEP_1) | instskip(NEXT) | instid1(VALU_DEP_1)
	v_mul_f64 v[28:29], v[26:27], v[23:24]
	v_fma_f64 v[19:20], -v[19:20], v[28:29], v[26:27]
	s_delay_alu instid0(VALU_DEP_1) | instskip(NEXT) | instid1(VALU_DEP_1)
	v_div_fmas_f64 v[19:20], v[19:20], v[23:24], v[28:29]
	v_div_fixup_f64 v[7:8], v[19:20], v[13:14], v[7:8]
                                        ; implicit-def: $vgpr13_vgpr14
	s_and_not1_saveexec_b32 s1, s1
	s_cbranch_execnz .LBB219_82
.LBB219_77:
	s_or_b32 exec_lo, exec_lo, s1
	s_and_saveexec_b32 s1, s0
	s_delay_alu instid0(SALU_CYCLE_1)
	s_xor_b32 s0, exec_lo, s1
	s_cbranch_execz .LBB219_83
.LBB219_78:
	s_and_saveexec_b32 s1, s14
; %bb.79:
	s_delay_alu instid0(VALU_DEP_2) | instskip(NEXT) | instid1(VALU_DEP_2)
	v_mul_f64 v[5:6], v[5:6], 0.5
	v_mul_f64 v[7:8], v[7:8], 0.5
; %bb.80:
	s_or_b32 exec_lo, exec_lo, s1
	s_and_not1_saveexec_b32 s0, s0
	s_cbranch_execnz .LBB219_84
	s_branch .LBB219_85
.LBB219_81:
	s_and_not1_saveexec_b32 s1, s1
	s_cbranch_execz .LBB219_77
.LBB219_82:
	v_add_f64 v[5:6], v[13:14], -v[5:6]
	s_delay_alu instid0(VALU_DEP_1) | instskip(NEXT) | instid1(VALU_DEP_1)
	v_mul_f64 v[5:6], v[5:6], 0.5
	v_cmp_gt_f64_e32 vcc_lo, 0x10000000, v[5:6]
	v_cndmask_b32_e64 v13, 0, 1, vcc_lo
	s_delay_alu instid0(VALU_DEP_1) | instskip(NEXT) | instid1(VALU_DEP_1)
	v_lshlrev_b32_e32 v13, 8, v13
	v_ldexp_f64 v[5:6], v[5:6], v13
	s_delay_alu instid0(VALU_DEP_1) | instskip(SKIP_3) | instid1(VALU_DEP_1)
	v_rsq_f64_e32 v[13:14], v[5:6]
	s_waitcnt_depctr 0xfff
	v_mul_f64 v[19:20], v[5:6], v[13:14]
	v_mul_f64 v[13:14], v[13:14], 0.5
	v_fma_f64 v[23:24], -v[13:14], v[19:20], 0.5
	s_delay_alu instid0(VALU_DEP_1) | instskip(SKIP_1) | instid1(VALU_DEP_2)
	v_fma_f64 v[19:20], v[19:20], v[23:24], v[19:20]
	v_fma_f64 v[13:14], v[13:14], v[23:24], v[13:14]
	v_fma_f64 v[23:24], -v[19:20], v[19:20], v[5:6]
	s_delay_alu instid0(VALU_DEP_1) | instskip(NEXT) | instid1(VALU_DEP_1)
	v_fma_f64 v[19:20], v[23:24], v[13:14], v[19:20]
	v_fma_f64 v[23:24], -v[19:20], v[19:20], v[5:6]
	s_delay_alu instid0(VALU_DEP_1) | instskip(SKIP_3) | instid1(VALU_DEP_3)
	v_fma_f64 v[13:14], v[23:24], v[13:14], v[19:20]
	v_cndmask_b32_e64 v19, 0, 0xffffff80, vcc_lo
	v_cmp_class_f64_e64 vcc_lo, v[5:6], 0x260
	v_and_b32_e32 v20, 0x7fffffff, v8
	v_ldexp_f64 v[13:14], v[13:14], v19
	s_delay_alu instid0(VALU_DEP_1) | instskip(NEXT) | instid1(VALU_DEP_1)
	v_dual_cndmask_b32 v14, v14, v6 :: v_dual_cndmask_b32 v13, v13, v5
	v_add_f64 v[5:6], v[13:14], v[13:14]
	v_bfi_b32 v14, 0x7fffffff, v14, v8
	v_mov_b32_e32 v19, v7
	s_delay_alu instid0(VALU_DEP_1) | instskip(SKIP_1) | instid1(VALU_DEP_2)
	v_div_scale_f64 v[23:24], null, v[5:6], v[5:6], v[19:20]
	v_div_scale_f64 v[19:20], vcc_lo, v[19:20], v[5:6], v[19:20]
	v_rcp_f64_e32 v[26:27], v[23:24]
	s_waitcnt_depctr 0xfff
	v_fma_f64 v[28:29], -v[23:24], v[26:27], 1.0
	s_delay_alu instid0(VALU_DEP_1) | instskip(NEXT) | instid1(VALU_DEP_1)
	v_fma_f64 v[26:27], v[26:27], v[28:29], v[26:27]
	v_fma_f64 v[28:29], -v[23:24], v[26:27], 1.0
	s_delay_alu instid0(VALU_DEP_1) | instskip(NEXT) | instid1(VALU_DEP_1)
	v_fma_f64 v[26:27], v[26:27], v[28:29], v[26:27]
	v_mul_f64 v[28:29], v[19:20], v[26:27]
	s_delay_alu instid0(VALU_DEP_1) | instskip(NEXT) | instid1(VALU_DEP_1)
	v_fma_f64 v[19:20], -v[23:24], v[28:29], v[19:20]
	v_div_fmas_f64 v[19:20], v[19:20], v[26:27], v[28:29]
	s_delay_alu instid0(VALU_DEP_1) | instskip(SKIP_3) | instid1(SALU_CYCLE_1)
	v_div_fixup_f64 v[5:6], v[19:20], v[5:6], |v[7:8]|
	v_dual_mov_b32 v7, v13 :: v_dual_mov_b32 v8, v14
	s_or_b32 exec_lo, exec_lo, s1
	s_and_saveexec_b32 s1, s0
	s_xor_b32 s0, exec_lo, s1
	s_cbranch_execnz .LBB219_78
.LBB219_83:
	s_and_not1_saveexec_b32 s0, s0
.LBB219_84:
	s_delay_alu instid0(VALU_DEP_2) | instskip(NEXT) | instid1(VALU_DEP_2)
	v_add_f64 v[5:6], v[5:6], v[5:6]
	v_add_f64 v[7:8], v[7:8], v[7:8]
.LBB219_85:
	s_or_b32 exec_lo, exec_lo, s0
.LBB219_86:
	s_and_not1_saveexec_b32 s0, s13
	s_cbranch_execz .LBB219_92
; %bb.87:
	s_delay_alu instid0(VALU_DEP_1) | instskip(SKIP_1) | instid1(VALU_DEP_3)
	v_add_f64 v[13:14], v[7:8], -v[7:8]
	s_mov_b32 s1, exec_lo
	v_cmpx_lt_i64_e32 -1, v[5:6]
	s_xor_b32 s1, exec_lo, s1
; %bb.88:
	s_delay_alu instid0(VALU_DEP_2) | instskip(NEXT) | instid1(VALU_DEP_1)
	v_bfi_b32 v14, 0x7fffffff, v14, v8
	v_dual_mov_b32 v7, v13 :: v_dual_mov_b32 v8, v14
                                        ; implicit-def: $vgpr13_vgpr14
; %bb.89:
	s_and_not1_saveexec_b32 s1, s1
; %bb.90:
	s_delay_alu instid0(VALU_DEP_1) | instskip(SKIP_1) | instid1(VALU_DEP_2)
	v_bfi_b32 v6, 0x7fffffff, v6, v8
	v_and_b32_e32 v14, 0x7fffffff, v14
	v_dual_mov_b32 v8, v6 :: v_dual_mov_b32 v7, v5
	s_delay_alu instid0(VALU_DEP_2)
	v_dual_mov_b32 v5, v13 :: v_dual_mov_b32 v6, v14
; %bb.91:
	s_or_b32 exec_lo, exec_lo, s1
.LBB219_92:
	s_delay_alu instid0(SALU_CYCLE_1)
	s_or_b32 exec_lo, exec_lo, s0
.LBB219_93:
	s_and_not1_saveexec_b32 s0, s12
; %bb.94:
	s_delay_alu instid0(VALU_DEP_1) | instskip(NEXT) | instid1(VALU_DEP_1)
	v_add_f64 v[7:8], v[7:8], -v[7:8]
	v_div_scale_f64 v[13:14], vcc_lo, v[7:8], v[7:8], v[7:8]
	s_delay_alu instid0(VALU_DEP_1) | instskip(SKIP_2) | instid1(VALU_DEP_1)
	v_rcp_f64_e32 v[19:20], v[13:14]
	s_waitcnt_depctr 0xfff
	v_fma_f64 v[23:24], -v[13:14], v[19:20], 1.0
	v_fma_f64 v[19:20], v[19:20], v[23:24], v[19:20]
	s_delay_alu instid0(VALU_DEP_1) | instskip(NEXT) | instid1(VALU_DEP_1)
	v_fma_f64 v[23:24], -v[13:14], v[19:20], 1.0
	v_fma_f64 v[19:20], v[19:20], v[23:24], v[19:20]
	s_delay_alu instid0(VALU_DEP_1) | instskip(NEXT) | instid1(VALU_DEP_1)
	v_mul_f64 v[23:24], v[13:14], v[19:20]
	v_fma_f64 v[13:14], -v[13:14], v[23:24], v[13:14]
	s_delay_alu instid0(VALU_DEP_1) | instskip(NEXT) | instid1(VALU_DEP_1)
	v_div_fmas_f64 v[13:14], v[13:14], v[19:20], v[23:24]
	v_div_fixup_f64 v[7:8], v[13:14], v[7:8], v[7:8]
; %bb.95:
	s_or_b32 exec_lo, exec_lo, s0
	v_dual_mov_b32 v14, v6 :: v_dual_mov_b32 v13, v5
.LBB219_96:
	s_or_b32 exec_lo, exec_lo, s11
.LBB219_97:
	s_delay_alu instid0(SALU_CYCLE_1) | instskip(SKIP_2) | instid1(VALU_DEP_1)
	s_or_b32 exec_lo, exec_lo, s9
	v_cmp_neq_f64_e32 vcc_lo, 0, v[1:2]
	v_cmp_neq_f64_e64 s0, 0, v[3:4]
	s_or_b32 s0, vcc_lo, s0
	s_delay_alu instid0(SALU_CYCLE_1)
	s_and_saveexec_b32 s9, s0
	s_cbranch_execz .LBB219_129
; %bb.98:
	s_mov_b32 s0, 0
	s_mov_b32 s1, 0x7ff00000
	v_mov_b32_e32 v9, s0
	v_mov_b32_e32 v10, s1
	s_mov_b32 s11, exec_lo
	v_cmpx_neq_f64_e64 0x7ff00000, |v[3:4]|
	s_cbranch_execz .LBB219_128
; %bb.99:
	s_mov_b32 s0, exec_lo
	v_cmpx_o_f64_e32 v[1:2], v[1:2]
	s_xor_b32 s12, exec_lo, s0
	s_cbranch_execz .LBB219_125
; %bb.100:
	s_mov_b32 s1, exec_lo
	v_cmpx_neq_f64_e64 0x7ff00000, |v[1:2]|
	s_xor_b32 s13, exec_lo, s1
	s_cbranch_execz .LBB219_118
; %bb.101:
	v_max_f64 v[5:6], |v[3:4]|, |v[3:4]|
	v_max_f64 v[9:10], |v[1:2]|, |v[1:2]|
	s_mov_b32 s0, 0x99fcef32
	s_mov_b32 s1, 0x7fda8279
                                        ; implicit-def: $sgpr14
	s_delay_alu instid0(VALU_DEP_1) | instskip(NEXT) | instid1(VALU_DEP_1)
	v_max_f64 v[5:6], v[9:10], v[5:6]
	v_cmp_nle_f64_e64 s0, s[0:1], v[5:6]
	s_delay_alu instid0(VALU_DEP_1) | instskip(NEXT) | instid1(SALU_CYCLE_1)
	s_and_saveexec_b32 s1, s0
	s_xor_b32 s1, exec_lo, s1
	s_cbranch_execz .LBB219_105
; %bb.102:
	v_cmp_ge_f64_e64 s14, 0x200000, |v[1:2]|
	v_cmp_ge_f64_e64 s15, 0x200000, |v[3:4]|
	s_delay_alu instid0(VALU_DEP_1)
	s_and_b32 s16, s14, s15
	s_mov_b32 s14, 0
	s_and_saveexec_b32 s15, s16
; %bb.103:
	v_mul_f64 v[1:2], v[1:2], 4.0
	v_mul_f64 v[3:4], v[3:4], 4.0
	s_mov_b32 s14, exec_lo
; %bb.104:
	s_or_b32 exec_lo, exec_lo, s15
	s_delay_alu instid0(SALU_CYCLE_1)
	s_and_b32 s14, s14, exec_lo
.LBB219_105:
	s_and_not1_saveexec_b32 s1, s1
; %bb.106:
	s_delay_alu instid0(VALU_DEP_2) | instskip(NEXT) | instid1(VALU_DEP_2)
	v_ldexp_f64 v[1:2], v[1:2], -2
	v_ldexp_f64 v[3:4], v[3:4], -2
	s_and_not1_b32 s14, s14, exec_lo
; %bb.107:
	s_or_b32 exec_lo, exec_lo, s1
	s_delay_alu instid0(VALU_DEP_1) | instskip(NEXT) | instid1(VALU_DEP_3)
	v_max_f64 v[5:6], |v[3:4]|, |v[3:4]|
	v_max_f64 v[9:10], |v[1:2]|, |v[1:2]|
	v_cmp_class_f64_e64 s15, v[1:2], 0x204
	v_cmp_class_f64_e64 s16, v[3:4], 0x204
	v_cmp_le_f64_e64 s1, 0, v[1:2]
	s_delay_alu instid0(VALU_DEP_4) | instskip(NEXT) | instid1(VALU_DEP_3)
	v_max_f64 v[5:6], v[9:10], v[5:6]
	s_or_b32 s15, s16, s15
	s_delay_alu instid0(VALU_DEP_1) | instskip(NEXT) | instid1(VALU_DEP_1)
	v_frexp_exp_i32_f64_e32 v26, v[5:6]
	v_sub_nc_u32_e32 v9, 0, v26
	s_delay_alu instid0(VALU_DEP_1) | instskip(SKIP_1) | instid1(VALU_DEP_2)
	v_ldexp_f64 v[5:6], |v[3:4]|, v9
	v_ldexp_f64 v[9:10], |v[1:2]|, v9
	v_mul_f64 v[5:6], v[5:6], v[5:6]
	s_delay_alu instid0(VALU_DEP_1) | instskip(NEXT) | instid1(VALU_DEP_1)
	v_fma_f64 v[5:6], v[9:10], v[9:10], v[5:6]
	v_rsq_f64_e32 v[9:10], v[5:6]
	v_cmp_eq_f64_e32 vcc_lo, 0, v[5:6]
	s_waitcnt_depctr 0xfff
	v_mul_f64 v[19:20], v[5:6], v[9:10]
	v_mul_f64 v[9:10], v[9:10], 0.5
	s_delay_alu instid0(VALU_DEP_1) | instskip(NEXT) | instid1(VALU_DEP_1)
	v_fma_f64 v[23:24], -v[9:10], v[19:20], 0.5
	v_fma_f64 v[19:20], v[19:20], v[23:24], v[19:20]
	v_fma_f64 v[9:10], v[9:10], v[23:24], v[9:10]
	s_delay_alu instid0(VALU_DEP_2) | instskip(NEXT) | instid1(VALU_DEP_1)
	v_fma_f64 v[23:24], -v[19:20], v[19:20], v[5:6]
	v_fma_f64 v[9:10], v[23:24], v[9:10], v[19:20]
	s_delay_alu instid0(VALU_DEP_1) | instskip(SKIP_1) | instid1(VALU_DEP_2)
	v_dual_cndmask_b32 v6, v10, v6 :: v_dual_cndmask_b32 v5, v9, v5
	v_cmp_o_f64_e32 vcc_lo, v[3:4], v[3:4]
	v_ldexp_f64 v[5:6], v[5:6], v26
	s_delay_alu instid0(VALU_DEP_1) | instskip(NEXT) | instid1(VALU_DEP_2)
	v_cndmask_b32_e32 v5, 0, v5, vcc_lo
	v_cndmask_b32_e32 v6, 0x7ff80000, v6, vcc_lo
	s_delay_alu instid0(VALU_DEP_2) | instskip(NEXT) | instid1(VALU_DEP_2)
	v_cndmask_b32_e64 v5, v5, 0, s15
	v_cndmask_b32_e64 v6, v6, 0x7ff00000, s15
	s_and_saveexec_b32 s15, s1
	s_delay_alu instid0(SALU_CYCLE_1)
	s_xor_b32 s1, exec_lo, s15
	s_cbranch_execz .LBB219_113
; %bb.108:
	s_delay_alu instid0(VALU_DEP_1) | instskip(NEXT) | instid1(VALU_DEP_1)
	v_add_f64 v[1:2], v[1:2], v[5:6]
	v_mul_f64 v[1:2], v[1:2], 0.5
	s_delay_alu instid0(VALU_DEP_1) | instskip(SKIP_1) | instid1(VALU_DEP_1)
	v_cmp_gt_f64_e32 vcc_lo, 0x10000000, v[1:2]
	v_cndmask_b32_e64 v5, 0, 1, vcc_lo
	v_lshlrev_b32_e32 v5, 8, v5
	s_delay_alu instid0(VALU_DEP_1) | instskip(NEXT) | instid1(VALU_DEP_1)
	v_ldexp_f64 v[1:2], v[1:2], v5
	v_rsq_f64_e32 v[5:6], v[1:2]
	s_waitcnt_depctr 0xfff
	v_mul_f64 v[9:10], v[1:2], v[5:6]
	v_mul_f64 v[5:6], v[5:6], 0.5
	s_delay_alu instid0(VALU_DEP_1) | instskip(NEXT) | instid1(VALU_DEP_1)
	v_fma_f64 v[19:20], -v[5:6], v[9:10], 0.5
	v_fma_f64 v[9:10], v[9:10], v[19:20], v[9:10]
	v_fma_f64 v[5:6], v[5:6], v[19:20], v[5:6]
	s_delay_alu instid0(VALU_DEP_2) | instskip(NEXT) | instid1(VALU_DEP_1)
	v_fma_f64 v[19:20], -v[9:10], v[9:10], v[1:2]
	v_fma_f64 v[9:10], v[19:20], v[5:6], v[9:10]
	s_delay_alu instid0(VALU_DEP_1) | instskip(NEXT) | instid1(VALU_DEP_1)
	v_fma_f64 v[19:20], -v[9:10], v[9:10], v[1:2]
	v_fma_f64 v[5:6], v[19:20], v[5:6], v[9:10]
	v_cndmask_b32_e64 v9, 0, 0xffffff80, vcc_lo
	v_cmp_class_f64_e64 vcc_lo, v[1:2], 0x260
	s_delay_alu instid0(VALU_DEP_2) | instskip(NEXT) | instid1(VALU_DEP_1)
	v_ldexp_f64 v[5:6], v[5:6], v9
	v_dual_cndmask_b32 v2, v6, v2 :: v_dual_cndmask_b32 v1, v5, v1
	s_delay_alu instid0(VALU_DEP_1) | instskip(NEXT) | instid1(VALU_DEP_1)
	v_add_f64 v[5:6], v[1:2], v[1:2]
	v_div_scale_f64 v[9:10], null, v[5:6], v[5:6], v[3:4]
	s_delay_alu instid0(VALU_DEP_1) | instskip(SKIP_2) | instid1(VALU_DEP_1)
	v_rcp_f64_e32 v[19:20], v[9:10]
	s_waitcnt_depctr 0xfff
	v_fma_f64 v[23:24], -v[9:10], v[19:20], 1.0
	v_fma_f64 v[19:20], v[19:20], v[23:24], v[19:20]
	s_delay_alu instid0(VALU_DEP_1) | instskip(NEXT) | instid1(VALU_DEP_1)
	v_fma_f64 v[23:24], -v[9:10], v[19:20], 1.0
	v_fma_f64 v[19:20], v[19:20], v[23:24], v[19:20]
	v_div_scale_f64 v[23:24], vcc_lo, v[3:4], v[5:6], v[3:4]
	s_delay_alu instid0(VALU_DEP_1) | instskip(NEXT) | instid1(VALU_DEP_1)
	v_mul_f64 v[26:27], v[23:24], v[19:20]
	v_fma_f64 v[9:10], -v[9:10], v[26:27], v[23:24]
	s_delay_alu instid0(VALU_DEP_1) | instskip(NEXT) | instid1(VALU_DEP_1)
	v_div_fmas_f64 v[9:10], v[9:10], v[19:20], v[26:27]
	v_div_fixup_f64 v[3:4], v[9:10], v[5:6], v[3:4]
                                        ; implicit-def: $vgpr5_vgpr6
	s_and_not1_saveexec_b32 s1, s1
	s_cbranch_execnz .LBB219_114
.LBB219_109:
	s_or_b32 exec_lo, exec_lo, s1
	s_and_saveexec_b32 s1, s0
	s_delay_alu instid0(SALU_CYCLE_1)
	s_xor_b32 s0, exec_lo, s1
	s_cbranch_execz .LBB219_115
.LBB219_110:
	s_and_saveexec_b32 s1, s14
; %bb.111:
	s_delay_alu instid0(VALU_DEP_2) | instskip(NEXT) | instid1(VALU_DEP_2)
	v_mul_f64 v[1:2], v[1:2], 0.5
	v_mul_f64 v[3:4], v[3:4], 0.5
; %bb.112:
	s_or_b32 exec_lo, exec_lo, s1
	s_and_not1_saveexec_b32 s0, s0
	s_cbranch_execnz .LBB219_116
	s_branch .LBB219_117
.LBB219_113:
	s_and_not1_saveexec_b32 s1, s1
	s_cbranch_execz .LBB219_109
.LBB219_114:
	v_add_f64 v[1:2], v[5:6], -v[1:2]
	s_delay_alu instid0(VALU_DEP_1) | instskip(NEXT) | instid1(VALU_DEP_1)
	v_mul_f64 v[1:2], v[1:2], 0.5
	v_cmp_gt_f64_e32 vcc_lo, 0x10000000, v[1:2]
	v_cndmask_b32_e64 v5, 0, 1, vcc_lo
	s_delay_alu instid0(VALU_DEP_1) | instskip(NEXT) | instid1(VALU_DEP_1)
	v_lshlrev_b32_e32 v5, 8, v5
	v_ldexp_f64 v[1:2], v[1:2], v5
	s_delay_alu instid0(VALU_DEP_1) | instskip(SKIP_3) | instid1(VALU_DEP_1)
	v_rsq_f64_e32 v[5:6], v[1:2]
	s_waitcnt_depctr 0xfff
	v_mul_f64 v[9:10], v[1:2], v[5:6]
	v_mul_f64 v[5:6], v[5:6], 0.5
	v_fma_f64 v[19:20], -v[5:6], v[9:10], 0.5
	s_delay_alu instid0(VALU_DEP_1) | instskip(SKIP_1) | instid1(VALU_DEP_2)
	v_fma_f64 v[9:10], v[9:10], v[19:20], v[9:10]
	v_fma_f64 v[5:6], v[5:6], v[19:20], v[5:6]
	v_fma_f64 v[19:20], -v[9:10], v[9:10], v[1:2]
	s_delay_alu instid0(VALU_DEP_1) | instskip(NEXT) | instid1(VALU_DEP_1)
	v_fma_f64 v[9:10], v[19:20], v[5:6], v[9:10]
	v_fma_f64 v[19:20], -v[9:10], v[9:10], v[1:2]
	s_delay_alu instid0(VALU_DEP_1) | instskip(SKIP_3) | instid1(VALU_DEP_3)
	v_fma_f64 v[5:6], v[19:20], v[5:6], v[9:10]
	v_cndmask_b32_e64 v9, 0, 0xffffff80, vcc_lo
	v_cmp_class_f64_e64 vcc_lo, v[1:2], 0x260
	v_and_b32_e32 v10, 0x7fffffff, v4
	v_ldexp_f64 v[5:6], v[5:6], v9
	s_delay_alu instid0(VALU_DEP_1) | instskip(NEXT) | instid1(VALU_DEP_1)
	v_dual_cndmask_b32 v6, v6, v2 :: v_dual_cndmask_b32 v5, v5, v1
	v_add_f64 v[1:2], v[5:6], v[5:6]
	v_bfi_b32 v6, 0x7fffffff, v6, v4
	v_mov_b32_e32 v9, v3
	s_delay_alu instid0(VALU_DEP_1) | instskip(SKIP_1) | instid1(VALU_DEP_2)
	v_div_scale_f64 v[19:20], null, v[1:2], v[1:2], v[9:10]
	v_div_scale_f64 v[9:10], vcc_lo, v[9:10], v[1:2], v[9:10]
	v_rcp_f64_e32 v[23:24], v[19:20]
	s_waitcnt_depctr 0xfff
	v_fma_f64 v[26:27], -v[19:20], v[23:24], 1.0
	s_delay_alu instid0(VALU_DEP_1) | instskip(NEXT) | instid1(VALU_DEP_1)
	v_fma_f64 v[23:24], v[23:24], v[26:27], v[23:24]
	v_fma_f64 v[26:27], -v[19:20], v[23:24], 1.0
	s_delay_alu instid0(VALU_DEP_1) | instskip(NEXT) | instid1(VALU_DEP_1)
	v_fma_f64 v[23:24], v[23:24], v[26:27], v[23:24]
	v_mul_f64 v[26:27], v[9:10], v[23:24]
	s_delay_alu instid0(VALU_DEP_1) | instskip(NEXT) | instid1(VALU_DEP_1)
	v_fma_f64 v[9:10], -v[19:20], v[26:27], v[9:10]
	v_div_fmas_f64 v[9:10], v[9:10], v[23:24], v[26:27]
	s_delay_alu instid0(VALU_DEP_1) | instskip(SKIP_3) | instid1(SALU_CYCLE_1)
	v_div_fixup_f64 v[1:2], v[9:10], v[1:2], |v[3:4]|
	v_dual_mov_b32 v3, v5 :: v_dual_mov_b32 v4, v6
	s_or_b32 exec_lo, exec_lo, s1
	s_and_saveexec_b32 s1, s0
	s_xor_b32 s0, exec_lo, s1
	s_cbranch_execnz .LBB219_110
.LBB219_115:
	s_and_not1_saveexec_b32 s0, s0
.LBB219_116:
	s_delay_alu instid0(VALU_DEP_2) | instskip(NEXT) | instid1(VALU_DEP_2)
	v_add_f64 v[1:2], v[1:2], v[1:2]
	v_add_f64 v[3:4], v[3:4], v[3:4]
.LBB219_117:
	s_or_b32 exec_lo, exec_lo, s0
.LBB219_118:
	s_and_not1_saveexec_b32 s0, s13
	s_cbranch_execz .LBB219_124
; %bb.119:
	s_delay_alu instid0(VALU_DEP_1) | instskip(SKIP_1) | instid1(VALU_DEP_3)
	v_add_f64 v[5:6], v[3:4], -v[3:4]
	s_mov_b32 s1, exec_lo
	v_cmpx_lt_i64_e32 -1, v[1:2]
	s_xor_b32 s1, exec_lo, s1
; %bb.120:
	s_delay_alu instid0(VALU_DEP_2) | instskip(NEXT) | instid1(VALU_DEP_1)
	v_bfi_b32 v6, 0x7fffffff, v6, v4
	v_dual_mov_b32 v3, v5 :: v_dual_mov_b32 v4, v6
                                        ; implicit-def: $vgpr5_vgpr6
; %bb.121:
	s_and_not1_saveexec_b32 s1, s1
; %bb.122:
	s_delay_alu instid0(VALU_DEP_1) | instskip(SKIP_1) | instid1(VALU_DEP_2)
	v_bfi_b32 v2, 0x7fffffff, v2, v4
	v_and_b32_e32 v6, 0x7fffffff, v6
	v_dual_mov_b32 v4, v2 :: v_dual_mov_b32 v3, v1
	s_delay_alu instid0(VALU_DEP_2)
	v_dual_mov_b32 v1, v5 :: v_dual_mov_b32 v2, v6
; %bb.123:
	s_or_b32 exec_lo, exec_lo, s1
.LBB219_124:
	s_delay_alu instid0(SALU_CYCLE_1)
	s_or_b32 exec_lo, exec_lo, s0
.LBB219_125:
	s_and_not1_saveexec_b32 s0, s12
; %bb.126:
	s_delay_alu instid0(VALU_DEP_1) | instskip(NEXT) | instid1(VALU_DEP_1)
	v_add_f64 v[3:4], v[3:4], -v[3:4]
	v_div_scale_f64 v[5:6], vcc_lo, v[3:4], v[3:4], v[3:4]
	s_delay_alu instid0(VALU_DEP_1) | instskip(SKIP_2) | instid1(VALU_DEP_1)
	v_rcp_f64_e32 v[9:10], v[5:6]
	s_waitcnt_depctr 0xfff
	v_fma_f64 v[19:20], -v[5:6], v[9:10], 1.0
	v_fma_f64 v[9:10], v[9:10], v[19:20], v[9:10]
	s_delay_alu instid0(VALU_DEP_1) | instskip(NEXT) | instid1(VALU_DEP_1)
	v_fma_f64 v[19:20], -v[5:6], v[9:10], 1.0
	v_fma_f64 v[9:10], v[9:10], v[19:20], v[9:10]
	s_delay_alu instid0(VALU_DEP_1) | instskip(NEXT) | instid1(VALU_DEP_1)
	v_mul_f64 v[19:20], v[5:6], v[9:10]
	v_fma_f64 v[5:6], -v[5:6], v[19:20], v[5:6]
	s_delay_alu instid0(VALU_DEP_1) | instskip(NEXT) | instid1(VALU_DEP_1)
	v_div_fmas_f64 v[5:6], v[5:6], v[9:10], v[19:20]
	v_div_fixup_f64 v[3:4], v[5:6], v[3:4], v[3:4]
; %bb.127:
	s_or_b32 exec_lo, exec_lo, s0
	v_dual_mov_b32 v10, v2 :: v_dual_mov_b32 v9, v1
.LBB219_128:
	s_or_b32 exec_lo, exec_lo, s11
.LBB219_129:
	s_delay_alu instid0(SALU_CYCLE_1)
	s_or_b32 exec_lo, exec_lo, s9
	v_dual_mov_b32 v23, v15 :: v_dual_mov_b32 v24, v16
	v_dual_mov_b32 v15, v7 :: v_dual_mov_b32 v16, v8
	;; [unrolled: 1-line block ×4, first 2 shown]
	s_add_u32 s2, s4, s2
	s_addc_u32 s3, s5, s3
	s_mov_b32 s0, 0
	s_clause 0x3
	global_store_b128 v25, v[21:24], s[2:3]
	global_store_b128 v25, v[17:20], s[2:3] offset:16
	global_store_b128 v25, v[13:16], s[2:3] offset:32
	;; [unrolled: 1-line block ×3, first 2 shown]
.LBB219_130:
	s_and_b32 vcc_lo, exec_lo, s0
	s_cbranch_vccz .LBB219_283
; %bb.131:
	v_mov_b32_e32 v17, 0
	v_dual_mov_b32 v18, 0 :: v_dual_mov_b32 v5, v0
	v_cmp_gt_i32_e64 s0, s10, v0
	v_or_b32_e32 v25, s8, v0
	v_or_b32_e32 v27, 0x100, v0
	s_delay_alu instid0(VALU_DEP_4)
	v_dual_mov_b32 v22, v18 :: v_dual_mov_b32 v21, v17
	v_dual_mov_b32 v24, v18 :: v_dual_mov_b32 v23, v17
	s_and_saveexec_b32 s1, s0
	s_cbranch_execz .LBB219_133
; %bb.132:
	v_mov_b32_e32 v26, 0
	v_or_b32_e32 v5, 0x100, v0
	s_delay_alu instid0(VALU_DEP_2) | instskip(NEXT) | instid1(VALU_DEP_1)
	v_lshlrev_b64 v[1:2], 4, v[25:26]
	v_add_co_u32 v1, vcc_lo, s6, v1
	s_delay_alu instid0(VALU_DEP_2)
	v_add_co_ci_u32_e32 v2, vcc_lo, s7, v2, vcc_lo
	global_load_b128 v[21:24], v[1:2], off
.LBB219_133:
	s_or_b32 exec_lo, exec_lo, s1
	v_dual_mov_b32 v20, v18 :: v_dual_mov_b32 v19, v17
	s_mov_b32 s1, exec_lo
	v_cmpx_gt_i32_e64 s10, v5
	s_cbranch_execz .LBB219_135
; %bb.134:
	v_dual_mov_b32 v2, 0 :: v_dual_add_nc_u32 v1, s8, v5
	v_add_nc_u32_e32 v5, 0x100, v5
	s_delay_alu instid0(VALU_DEP_2) | instskip(NEXT) | instid1(VALU_DEP_1)
	v_lshlrev_b64 v[1:2], 4, v[1:2]
	v_add_co_u32 v1, vcc_lo, s6, v1
	s_delay_alu instid0(VALU_DEP_2)
	v_add_co_ci_u32_e32 v2, vcc_lo, s7, v2, vcc_lo
	global_load_b128 v[17:20], v[1:2], off
.LBB219_135:
	s_or_b32 exec_lo, exec_lo, s1
	v_mov_b32_e32 v1, 0
	v_mov_b32_e32 v2, 0
	s_mov_b32 s1, exec_lo
	s_delay_alu instid0(VALU_DEP_1)
	v_dual_mov_b32 v14, v2 :: v_dual_mov_b32 v13, v1
	v_dual_mov_b32 v16, v2 :: v_dual_mov_b32 v15, v1
	v_cmpx_gt_i32_e64 s10, v5
	s_cbranch_execz .LBB219_137
; %bb.136:
	v_dual_mov_b32 v4, 0 :: v_dual_add_nc_u32 v3, s8, v5
	v_add_nc_u32_e32 v5, 0x100, v5
	s_delay_alu instid0(VALU_DEP_2) | instskip(NEXT) | instid1(VALU_DEP_1)
	v_lshlrev_b64 v[3:4], 4, v[3:4]
	v_add_co_u32 v3, vcc_lo, s6, v3
	s_delay_alu instid0(VALU_DEP_2)
	v_add_co_ci_u32_e32 v4, vcc_lo, s7, v4, vcc_lo
	global_load_b128 v[13:16], v[3:4], off
.LBB219_137:
	s_or_b32 exec_lo, exec_lo, s1
	v_dual_mov_b32 v4, v2 :: v_dual_mov_b32 v3, v1
	s_mov_b32 s1, exec_lo
	v_cmpx_gt_i32_e64 s10, v5
	s_cbranch_execz .LBB219_139
; %bb.138:
	v_dual_mov_b32 v2, 0 :: v_dual_add_nc_u32 v1, s8, v5
	s_delay_alu instid0(VALU_DEP_1) | instskip(NEXT) | instid1(VALU_DEP_1)
	v_lshlrev_b64 v[1:2], 4, v[1:2]
	v_add_co_u32 v1, vcc_lo, s6, v1
	s_delay_alu instid0(VALU_DEP_2)
	v_add_co_ci_u32_e32 v2, vcc_lo, s7, v2, vcc_lo
	global_load_b128 v[1:4], v[1:2], off
.LBB219_139:
	s_or_b32 exec_lo, exec_lo, s1
	v_mov_b32_e32 v7, 0
	v_mov_b32_e32 v8, 0
	s_delay_alu instid0(VALU_DEP_1)
	v_dual_mov_b32 v12, v8 :: v_dual_mov_b32 v11, v7
	v_dual_mov_b32 v10, v8 :: v_dual_mov_b32 v9, v7
	s_and_saveexec_b32 s3, s0
	s_cbranch_execz .LBB219_173
; %bb.140:
	s_waitcnt vmcnt(0)
	v_cmp_neq_f64_e32 vcc_lo, 0, v[21:22]
	v_cmp_neq_f64_e64 s1, 0, v[23:24]
	v_mov_b32_e32 v9, 0
	v_mov_b32_e32 v10, 0
	s_delay_alu instid0(VALU_DEP_3) | instskip(NEXT) | instid1(SALU_CYCLE_1)
	s_or_b32 s1, vcc_lo, s1
	s_and_saveexec_b32 s6, s1
	s_cbranch_execz .LBB219_172
; %bb.141:
	s_mov_b32 s12, 0
	s_mov_b32 s13, 0x7ff00000
	v_mov_b32_e32 v9, s12
	v_mov_b32_e32 v10, s13
	s_mov_b32 s7, exec_lo
	v_cmpx_neq_f64_e64 0x7ff00000, |v[23:24]|
	s_cbranch_execz .LBB219_171
; %bb.142:
	s_mov_b32 s1, exec_lo
	v_cmpx_o_f64_e32 v[21:22], v[21:22]
	s_xor_b32 s9, exec_lo, s1
	s_cbranch_execz .LBB219_168
; %bb.143:
	s_mov_b32 s2, exec_lo
	v_cmpx_neq_f64_e64 0x7ff00000, |v[21:22]|
	s_xor_b32 s11, exec_lo, s2
	s_cbranch_execz .LBB219_161
; %bb.144:
	v_max_f64 v[5:6], |v[23:24]|, |v[23:24]|
	v_max_f64 v[9:10], |v[21:22]|, |v[21:22]|
	s_mov_b32 s12, 0x99fcef32
	s_mov_b32 s13, 0x7fda8279
	s_delay_alu instid0(VALU_DEP_1) | instskip(NEXT) | instid1(VALU_DEP_1)
	v_max_f64 v[5:6], v[9:10], v[5:6]
	v_cmp_nle_f64_e64 s1, s[12:13], v[5:6]
                                        ; implicit-def: $sgpr12
	s_delay_alu instid0(VALU_DEP_1) | instskip(NEXT) | instid1(SALU_CYCLE_1)
	s_and_saveexec_b32 s2, s1
	s_xor_b32 s2, exec_lo, s2
	s_cbranch_execz .LBB219_148
; %bb.145:
	v_cmp_ge_f64_e64 s12, 0x200000, |v[21:22]|
	v_cmp_ge_f64_e64 s13, 0x200000, |v[23:24]|
	s_delay_alu instid0(VALU_DEP_1)
	s_and_b32 s14, s12, s13
	s_mov_b32 s12, 0
	s_and_saveexec_b32 s13, s14
; %bb.146:
	v_mul_f64 v[21:22], v[21:22], 4.0
	v_mul_f64 v[23:24], v[23:24], 4.0
	s_mov_b32 s12, exec_lo
; %bb.147:
	s_or_b32 exec_lo, exec_lo, s13
	s_delay_alu instid0(SALU_CYCLE_1)
	s_and_b32 s12, s12, exec_lo
.LBB219_148:
	s_and_not1_saveexec_b32 s2, s2
; %bb.149:
	s_delay_alu instid0(VALU_DEP_2) | instskip(NEXT) | instid1(VALU_DEP_2)
	v_ldexp_f64 v[21:22], v[21:22], -2
	v_ldexp_f64 v[23:24], v[23:24], -2
	s_and_not1_b32 s12, s12, exec_lo
; %bb.150:
	s_or_b32 exec_lo, exec_lo, s2
	s_delay_alu instid0(VALU_DEP_1) | instskip(NEXT) | instid1(VALU_DEP_3)
	v_max_f64 v[5:6], |v[23:24]|, |v[23:24]|
	v_max_f64 v[9:10], |v[21:22]|, |v[21:22]|
	v_cmp_class_f64_e64 s13, v[21:22], 0x204
	v_cmp_class_f64_e64 s14, v[23:24], 0x204
	v_cmp_le_f64_e64 s2, 0, v[21:22]
	s_delay_alu instid0(VALU_DEP_4) | instskip(NEXT) | instid1(VALU_DEP_3)
	v_max_f64 v[5:6], v[9:10], v[5:6]
	s_or_b32 s13, s14, s13
	s_delay_alu instid0(VALU_DEP_1) | instskip(NEXT) | instid1(VALU_DEP_1)
	v_frexp_exp_i32_f64_e32 v26, v[5:6]
	v_sub_nc_u32_e32 v9, 0, v26
	s_delay_alu instid0(VALU_DEP_1) | instskip(SKIP_1) | instid1(VALU_DEP_2)
	v_ldexp_f64 v[5:6], |v[23:24]|, v9
	v_ldexp_f64 v[9:10], |v[21:22]|, v9
	v_mul_f64 v[5:6], v[5:6], v[5:6]
	s_delay_alu instid0(VALU_DEP_1) | instskip(NEXT) | instid1(VALU_DEP_1)
	v_fma_f64 v[5:6], v[9:10], v[9:10], v[5:6]
	v_rsq_f64_e32 v[9:10], v[5:6]
	v_cmp_eq_f64_e32 vcc_lo, 0, v[5:6]
	s_waitcnt_depctr 0xfff
	v_mul_f64 v[11:12], v[5:6], v[9:10]
	v_mul_f64 v[9:10], v[9:10], 0.5
	s_delay_alu instid0(VALU_DEP_1) | instskip(NEXT) | instid1(VALU_DEP_1)
	v_fma_f64 v[28:29], -v[9:10], v[11:12], 0.5
	v_fma_f64 v[11:12], v[11:12], v[28:29], v[11:12]
	v_fma_f64 v[9:10], v[9:10], v[28:29], v[9:10]
	s_delay_alu instid0(VALU_DEP_2) | instskip(NEXT) | instid1(VALU_DEP_1)
	v_fma_f64 v[28:29], -v[11:12], v[11:12], v[5:6]
	v_fma_f64 v[9:10], v[28:29], v[9:10], v[11:12]
	s_delay_alu instid0(VALU_DEP_1) | instskip(SKIP_1) | instid1(VALU_DEP_2)
	v_dual_cndmask_b32 v6, v10, v6 :: v_dual_cndmask_b32 v5, v9, v5
	v_cmp_o_f64_e32 vcc_lo, v[23:24], v[23:24]
	v_ldexp_f64 v[5:6], v[5:6], v26
	s_delay_alu instid0(VALU_DEP_1) | instskip(NEXT) | instid1(VALU_DEP_2)
	v_cndmask_b32_e32 v5, 0, v5, vcc_lo
	v_cndmask_b32_e32 v6, 0x7ff80000, v6, vcc_lo
	s_delay_alu instid0(VALU_DEP_2) | instskip(NEXT) | instid1(VALU_DEP_2)
	v_cndmask_b32_e64 v5, v5, 0, s13
	v_cndmask_b32_e64 v6, v6, 0x7ff00000, s13
	s_and_saveexec_b32 s13, s2
	s_delay_alu instid0(SALU_CYCLE_1)
	s_xor_b32 s2, exec_lo, s13
	s_cbranch_execz .LBB219_156
; %bb.151:
	s_delay_alu instid0(VALU_DEP_1) | instskip(NEXT) | instid1(VALU_DEP_1)
	v_add_f64 v[5:6], v[21:22], v[5:6]
	v_mul_f64 v[5:6], v[5:6], 0.5
	s_delay_alu instid0(VALU_DEP_1) | instskip(SKIP_1) | instid1(VALU_DEP_1)
	v_cmp_gt_f64_e32 vcc_lo, 0x10000000, v[5:6]
	v_cndmask_b32_e64 v9, 0, 1, vcc_lo
	v_lshlrev_b32_e32 v9, 8, v9
	s_delay_alu instid0(VALU_DEP_1) | instskip(NEXT) | instid1(VALU_DEP_1)
	v_ldexp_f64 v[5:6], v[5:6], v9
	v_rsq_f64_e32 v[9:10], v[5:6]
	s_waitcnt_depctr 0xfff
	v_mul_f64 v[11:12], v[5:6], v[9:10]
	v_mul_f64 v[9:10], v[9:10], 0.5
	s_delay_alu instid0(VALU_DEP_1) | instskip(NEXT) | instid1(VALU_DEP_1)
	v_fma_f64 v[21:22], -v[9:10], v[11:12], 0.5
	v_fma_f64 v[11:12], v[11:12], v[21:22], v[11:12]
	v_fma_f64 v[9:10], v[9:10], v[21:22], v[9:10]
	s_delay_alu instid0(VALU_DEP_2) | instskip(NEXT) | instid1(VALU_DEP_1)
	v_fma_f64 v[21:22], -v[11:12], v[11:12], v[5:6]
	v_fma_f64 v[11:12], v[21:22], v[9:10], v[11:12]
	s_delay_alu instid0(VALU_DEP_1) | instskip(NEXT) | instid1(VALU_DEP_1)
	v_fma_f64 v[21:22], -v[11:12], v[11:12], v[5:6]
	v_fma_f64 v[9:10], v[21:22], v[9:10], v[11:12]
	v_cndmask_b32_e64 v11, 0, 0xffffff80, vcc_lo
	v_cmp_class_f64_e64 vcc_lo, v[5:6], 0x260
	s_delay_alu instid0(VALU_DEP_2) | instskip(NEXT) | instid1(VALU_DEP_1)
	v_ldexp_f64 v[9:10], v[9:10], v11
	v_dual_cndmask_b32 v22, v10, v6 :: v_dual_cndmask_b32 v21, v9, v5
	s_delay_alu instid0(VALU_DEP_1) | instskip(NEXT) | instid1(VALU_DEP_1)
	v_add_f64 v[5:6], v[21:22], v[21:22]
	v_div_scale_f64 v[9:10], null, v[5:6], v[5:6], v[23:24]
	s_delay_alu instid0(VALU_DEP_1) | instskip(SKIP_2) | instid1(VALU_DEP_1)
	v_rcp_f64_e32 v[11:12], v[9:10]
	s_waitcnt_depctr 0xfff
	v_fma_f64 v[28:29], -v[9:10], v[11:12], 1.0
	v_fma_f64 v[11:12], v[11:12], v[28:29], v[11:12]
	s_delay_alu instid0(VALU_DEP_1) | instskip(NEXT) | instid1(VALU_DEP_1)
	v_fma_f64 v[28:29], -v[9:10], v[11:12], 1.0
	v_fma_f64 v[11:12], v[11:12], v[28:29], v[11:12]
	v_div_scale_f64 v[28:29], vcc_lo, v[23:24], v[5:6], v[23:24]
	s_delay_alu instid0(VALU_DEP_1) | instskip(NEXT) | instid1(VALU_DEP_1)
	v_mul_f64 v[30:31], v[28:29], v[11:12]
	v_fma_f64 v[9:10], -v[9:10], v[30:31], v[28:29]
	s_delay_alu instid0(VALU_DEP_1) | instskip(NEXT) | instid1(VALU_DEP_1)
	v_div_fmas_f64 v[9:10], v[9:10], v[11:12], v[30:31]
	v_div_fixup_f64 v[23:24], v[9:10], v[5:6], v[23:24]
                                        ; implicit-def: $vgpr5_vgpr6
	s_and_not1_saveexec_b32 s2, s2
	s_cbranch_execnz .LBB219_157
.LBB219_152:
	s_or_b32 exec_lo, exec_lo, s2
	s_and_saveexec_b32 s2, s1
	s_delay_alu instid0(SALU_CYCLE_1)
	s_xor_b32 s1, exec_lo, s2
	s_cbranch_execz .LBB219_158
.LBB219_153:
	s_and_saveexec_b32 s2, s12
; %bb.154:
	s_delay_alu instid0(VALU_DEP_2) | instskip(NEXT) | instid1(VALU_DEP_2)
	v_mul_f64 v[21:22], v[21:22], 0.5
	v_mul_f64 v[23:24], v[23:24], 0.5
; %bb.155:
	s_or_b32 exec_lo, exec_lo, s2
	s_and_not1_saveexec_b32 s1, s1
	s_cbranch_execnz .LBB219_159
	s_branch .LBB219_160
.LBB219_156:
	s_and_not1_saveexec_b32 s2, s2
	s_cbranch_execz .LBB219_152
.LBB219_157:
	v_add_f64 v[5:6], v[5:6], -v[21:22]
	s_delay_alu instid0(VALU_DEP_1) | instskip(NEXT) | instid1(VALU_DEP_1)
	v_mul_f64 v[5:6], v[5:6], 0.5
	v_cmp_gt_f64_e32 vcc_lo, 0x10000000, v[5:6]
	v_cndmask_b32_e64 v9, 0, 1, vcc_lo
	s_delay_alu instid0(VALU_DEP_1) | instskip(NEXT) | instid1(VALU_DEP_1)
	v_lshlrev_b32_e32 v9, 8, v9
	v_ldexp_f64 v[5:6], v[5:6], v9
	s_delay_alu instid0(VALU_DEP_1) | instskip(SKIP_3) | instid1(VALU_DEP_1)
	v_rsq_f64_e32 v[9:10], v[5:6]
	s_waitcnt_depctr 0xfff
	v_mul_f64 v[11:12], v[5:6], v[9:10]
	v_mul_f64 v[9:10], v[9:10], 0.5
	v_fma_f64 v[21:22], -v[9:10], v[11:12], 0.5
	s_delay_alu instid0(VALU_DEP_1) | instskip(SKIP_1) | instid1(VALU_DEP_2)
	v_fma_f64 v[11:12], v[11:12], v[21:22], v[11:12]
	v_fma_f64 v[9:10], v[9:10], v[21:22], v[9:10]
	v_fma_f64 v[21:22], -v[11:12], v[11:12], v[5:6]
	s_delay_alu instid0(VALU_DEP_1) | instskip(NEXT) | instid1(VALU_DEP_1)
	v_fma_f64 v[11:12], v[21:22], v[9:10], v[11:12]
	v_fma_f64 v[21:22], -v[11:12], v[11:12], v[5:6]
	s_delay_alu instid0(VALU_DEP_1) | instskip(SKIP_3) | instid1(VALU_DEP_3)
	v_fma_f64 v[9:10], v[21:22], v[9:10], v[11:12]
	v_cndmask_b32_e64 v11, 0, 0xffffff80, vcc_lo
	v_cmp_class_f64_e64 vcc_lo, v[5:6], 0x260
	v_and_b32_e32 v12, 0x7fffffff, v24
	v_ldexp_f64 v[9:10], v[9:10], v11
	s_delay_alu instid0(VALU_DEP_1) | instskip(NEXT) | instid1(VALU_DEP_1)
	v_dual_cndmask_b32 v6, v10, v6 :: v_dual_cndmask_b32 v5, v9, v5
	v_add_f64 v[9:10], v[5:6], v[5:6]
	v_bfi_b32 v6, 0x7fffffff, v6, v24
	v_mov_b32_e32 v11, v23
	s_delay_alu instid0(VALU_DEP_1) | instskip(SKIP_1) | instid1(VALU_DEP_2)
	v_div_scale_f64 v[21:22], null, v[9:10], v[9:10], v[11:12]
	v_div_scale_f64 v[11:12], vcc_lo, v[11:12], v[9:10], v[11:12]
	v_rcp_f64_e32 v[28:29], v[21:22]
	s_waitcnt_depctr 0xfff
	v_fma_f64 v[30:31], -v[21:22], v[28:29], 1.0
	s_delay_alu instid0(VALU_DEP_1) | instskip(NEXT) | instid1(VALU_DEP_1)
	v_fma_f64 v[28:29], v[28:29], v[30:31], v[28:29]
	v_fma_f64 v[30:31], -v[21:22], v[28:29], 1.0
	s_delay_alu instid0(VALU_DEP_1) | instskip(NEXT) | instid1(VALU_DEP_1)
	v_fma_f64 v[28:29], v[28:29], v[30:31], v[28:29]
	v_mul_f64 v[30:31], v[11:12], v[28:29]
	s_delay_alu instid0(VALU_DEP_1) | instskip(NEXT) | instid1(VALU_DEP_1)
	v_fma_f64 v[11:12], -v[21:22], v[30:31], v[11:12]
	v_div_fmas_f64 v[11:12], v[11:12], v[28:29], v[30:31]
	s_delay_alu instid0(VALU_DEP_1) | instskip(SKIP_3) | instid1(SALU_CYCLE_1)
	v_div_fixup_f64 v[21:22], v[11:12], v[9:10], |v[23:24]|
	v_dual_mov_b32 v24, v6 :: v_dual_mov_b32 v23, v5
	s_or_b32 exec_lo, exec_lo, s2
	s_and_saveexec_b32 s2, s1
	s_xor_b32 s1, exec_lo, s2
	s_cbranch_execnz .LBB219_153
.LBB219_158:
	s_and_not1_saveexec_b32 s1, s1
.LBB219_159:
	s_delay_alu instid0(VALU_DEP_2) | instskip(NEXT) | instid1(VALU_DEP_2)
	v_add_f64 v[21:22], v[21:22], v[21:22]
	v_add_f64 v[23:24], v[23:24], v[23:24]
.LBB219_160:
	s_or_b32 exec_lo, exec_lo, s1
.LBB219_161:
	s_and_not1_saveexec_b32 s1, s11
	s_cbranch_execz .LBB219_167
; %bb.162:
	s_delay_alu instid0(VALU_DEP_1) | instskip(SKIP_1) | instid1(VALU_DEP_3)
	v_add_f64 v[5:6], v[23:24], -v[23:24]
	s_mov_b32 s2, exec_lo
	v_cmpx_lt_i64_e32 -1, v[21:22]
	s_xor_b32 s2, exec_lo, s2
; %bb.163:
	s_delay_alu instid0(VALU_DEP_2) | instskip(NEXT) | instid1(VALU_DEP_1)
	v_bfi_b32 v6, 0x7fffffff, v6, v24
	v_dual_mov_b32 v24, v6 :: v_dual_mov_b32 v23, v5
                                        ; implicit-def: $vgpr5_vgpr6
; %bb.164:
	s_and_not1_saveexec_b32 s2, s2
; %bb.165:
	s_delay_alu instid0(VALU_DEP_1) | instskip(SKIP_1) | instid1(VALU_DEP_2)
	v_bfi_b32 v22, 0x7fffffff, v22, v24
	v_and_b32_e32 v6, 0x7fffffff, v6
	v_dual_mov_b32 v24, v22 :: v_dual_mov_b32 v23, v21
	s_delay_alu instid0(VALU_DEP_2)
	v_dual_mov_b32 v22, v6 :: v_dual_mov_b32 v21, v5
; %bb.166:
	s_or_b32 exec_lo, exec_lo, s2
.LBB219_167:
	s_delay_alu instid0(SALU_CYCLE_1)
	s_or_b32 exec_lo, exec_lo, s1
.LBB219_168:
	s_and_not1_saveexec_b32 s1, s9
; %bb.169:
	s_delay_alu instid0(VALU_DEP_1) | instskip(NEXT) | instid1(VALU_DEP_1)
	v_add_f64 v[5:6], v[23:24], -v[23:24]
	v_div_scale_f64 v[9:10], vcc_lo, v[5:6], v[5:6], v[5:6]
	s_delay_alu instid0(VALU_DEP_1) | instskip(SKIP_2) | instid1(VALU_DEP_1)
	v_rcp_f64_e32 v[11:12], v[9:10]
	s_waitcnt_depctr 0xfff
	v_fma_f64 v[23:24], -v[9:10], v[11:12], 1.0
	v_fma_f64 v[11:12], v[11:12], v[23:24], v[11:12]
	s_delay_alu instid0(VALU_DEP_1) | instskip(NEXT) | instid1(VALU_DEP_1)
	v_fma_f64 v[23:24], -v[9:10], v[11:12], 1.0
	v_fma_f64 v[11:12], v[11:12], v[23:24], v[11:12]
	s_delay_alu instid0(VALU_DEP_1) | instskip(NEXT) | instid1(VALU_DEP_1)
	v_mul_f64 v[23:24], v[9:10], v[11:12]
	v_fma_f64 v[9:10], -v[9:10], v[23:24], v[9:10]
	s_delay_alu instid0(VALU_DEP_1) | instskip(NEXT) | instid1(VALU_DEP_1)
	v_div_fmas_f64 v[9:10], v[9:10], v[11:12], v[23:24]
	v_div_fixup_f64 v[23:24], v[9:10], v[5:6], v[5:6]
; %bb.170:
	s_or_b32 exec_lo, exec_lo, s1
	v_dual_mov_b32 v9, v21 :: v_dual_mov_b32 v10, v22
.LBB219_171:
	s_or_b32 exec_lo, exec_lo, s7
.LBB219_172:
	s_delay_alu instid0(SALU_CYCLE_1) | instskip(NEXT) | instid1(VALU_DEP_2)
	s_or_b32 exec_lo, exec_lo, s6
	v_dual_mov_b32 v11, v23 :: v_dual_mov_b32 v12, v24
.LBB219_173:
	s_or_b32 exec_lo, exec_lo, s3
	v_dual_mov_b32 v5, v7 :: v_dual_mov_b32 v6, v8
	s_mov_b32 s3, exec_lo
	v_cmpx_gt_i32_e64 s10, v27
	s_cbranch_execz .LBB219_207
; %bb.174:
	s_waitcnt vmcnt(0)
	v_cmp_neq_f64_e32 vcc_lo, 0, v[17:18]
	v_cmp_neq_f64_e64 s1, 0, v[19:20]
	v_mov_b32_e32 v5, 0
	v_mov_b32_e32 v6, 0
	s_delay_alu instid0(VALU_DEP_3) | instskip(NEXT) | instid1(SALU_CYCLE_1)
	s_or_b32 s1, vcc_lo, s1
	s_and_saveexec_b32 s6, s1
	s_cbranch_execz .LBB219_206
; %bb.175:
	s_mov_b32 s12, 0
	s_mov_b32 s13, 0x7ff00000
	v_mov_b32_e32 v5, s12
	v_mov_b32_e32 v6, s13
	s_mov_b32 s7, exec_lo
	v_cmpx_neq_f64_e64 0x7ff00000, |v[19:20]|
	s_cbranch_execz .LBB219_205
; %bb.176:
	s_mov_b32 s1, exec_lo
	v_cmpx_o_f64_e32 v[17:18], v[17:18]
	s_xor_b32 s9, exec_lo, s1
	s_cbranch_execz .LBB219_202
; %bb.177:
	s_mov_b32 s2, exec_lo
	v_cmpx_neq_f64_e64 0x7ff00000, |v[17:18]|
	s_xor_b32 s11, exec_lo, s2
	s_cbranch_execz .LBB219_195
; %bb.178:
	v_max_f64 v[5:6], |v[19:20]|, |v[19:20]|
	v_max_f64 v[7:8], |v[17:18]|, |v[17:18]|
	s_mov_b32 s12, 0x99fcef32
	s_mov_b32 s13, 0x7fda8279
	s_delay_alu instid0(VALU_DEP_1) | instskip(NEXT) | instid1(VALU_DEP_1)
	v_max_f64 v[5:6], v[7:8], v[5:6]
	v_cmp_nle_f64_e64 s1, s[12:13], v[5:6]
                                        ; implicit-def: $sgpr12
	s_delay_alu instid0(VALU_DEP_1) | instskip(NEXT) | instid1(SALU_CYCLE_1)
	s_and_saveexec_b32 s2, s1
	s_xor_b32 s2, exec_lo, s2
	s_cbranch_execz .LBB219_182
; %bb.179:
	v_cmp_ge_f64_e64 s12, 0x200000, |v[17:18]|
	v_cmp_ge_f64_e64 s13, 0x200000, |v[19:20]|
	s_delay_alu instid0(VALU_DEP_1)
	s_and_b32 s14, s12, s13
	s_mov_b32 s12, 0
	s_and_saveexec_b32 s13, s14
; %bb.180:
	v_mul_f64 v[17:18], v[17:18], 4.0
	v_mul_f64 v[19:20], v[19:20], 4.0
	s_mov_b32 s12, exec_lo
; %bb.181:
	s_or_b32 exec_lo, exec_lo, s13
	s_delay_alu instid0(SALU_CYCLE_1)
	s_and_b32 s12, s12, exec_lo
.LBB219_182:
	s_and_not1_saveexec_b32 s2, s2
; %bb.183:
	s_delay_alu instid0(VALU_DEP_2) | instskip(NEXT) | instid1(VALU_DEP_2)
	v_ldexp_f64 v[17:18], v[17:18], -2
	v_ldexp_f64 v[19:20], v[19:20], -2
	s_and_not1_b32 s12, s12, exec_lo
; %bb.184:
	s_or_b32 exec_lo, exec_lo, s2
	s_delay_alu instid0(VALU_DEP_1) | instskip(NEXT) | instid1(VALU_DEP_3)
	v_max_f64 v[5:6], |v[19:20]|, |v[19:20]|
	v_max_f64 v[7:8], |v[17:18]|, |v[17:18]|
	v_cmp_class_f64_e64 s13, v[17:18], 0x204
	v_cmp_class_f64_e64 s14, v[19:20], 0x204
	v_cmp_le_f64_e64 s2, 0, v[17:18]
	s_delay_alu instid0(VALU_DEP_4) | instskip(NEXT) | instid1(VALU_DEP_3)
	v_max_f64 v[5:6], v[7:8], v[5:6]
	s_or_b32 s13, s14, s13
	s_delay_alu instid0(VALU_DEP_1) | instskip(NEXT) | instid1(VALU_DEP_1)
	v_frexp_exp_i32_f64_e32 v26, v[5:6]
	v_sub_nc_u32_e32 v7, 0, v26
	s_delay_alu instid0(VALU_DEP_1) | instskip(SKIP_1) | instid1(VALU_DEP_2)
	v_ldexp_f64 v[5:6], |v[19:20]|, v7
	v_ldexp_f64 v[7:8], |v[17:18]|, v7
	v_mul_f64 v[5:6], v[5:6], v[5:6]
	s_delay_alu instid0(VALU_DEP_1) | instskip(NEXT) | instid1(VALU_DEP_1)
	v_fma_f64 v[5:6], v[7:8], v[7:8], v[5:6]
	v_rsq_f64_e32 v[7:8], v[5:6]
	v_cmp_eq_f64_e32 vcc_lo, 0, v[5:6]
	s_waitcnt_depctr 0xfff
	v_mul_f64 v[21:22], v[5:6], v[7:8]
	v_mul_f64 v[7:8], v[7:8], 0.5
	s_delay_alu instid0(VALU_DEP_1) | instskip(NEXT) | instid1(VALU_DEP_1)
	v_fma_f64 v[23:24], -v[7:8], v[21:22], 0.5
	v_fma_f64 v[21:22], v[21:22], v[23:24], v[21:22]
	v_fma_f64 v[7:8], v[7:8], v[23:24], v[7:8]
	s_delay_alu instid0(VALU_DEP_2) | instskip(NEXT) | instid1(VALU_DEP_1)
	v_fma_f64 v[23:24], -v[21:22], v[21:22], v[5:6]
	v_fma_f64 v[7:8], v[23:24], v[7:8], v[21:22]
	s_delay_alu instid0(VALU_DEP_1) | instskip(SKIP_1) | instid1(VALU_DEP_2)
	v_dual_cndmask_b32 v6, v8, v6 :: v_dual_cndmask_b32 v5, v7, v5
	v_cmp_o_f64_e32 vcc_lo, v[19:20], v[19:20]
	v_ldexp_f64 v[5:6], v[5:6], v26
	s_delay_alu instid0(VALU_DEP_1) | instskip(NEXT) | instid1(VALU_DEP_2)
	v_cndmask_b32_e32 v5, 0, v5, vcc_lo
	v_cndmask_b32_e32 v6, 0x7ff80000, v6, vcc_lo
	s_delay_alu instid0(VALU_DEP_2) | instskip(NEXT) | instid1(VALU_DEP_2)
	v_cndmask_b32_e64 v5, v5, 0, s13
	v_cndmask_b32_e64 v6, v6, 0x7ff00000, s13
	s_and_saveexec_b32 s13, s2
	s_delay_alu instid0(SALU_CYCLE_1)
	s_xor_b32 s2, exec_lo, s13
	s_cbranch_execz .LBB219_190
; %bb.185:
	s_delay_alu instid0(VALU_DEP_1) | instskip(NEXT) | instid1(VALU_DEP_1)
	v_add_f64 v[5:6], v[17:18], v[5:6]
	v_mul_f64 v[5:6], v[5:6], 0.5
	s_delay_alu instid0(VALU_DEP_1) | instskip(SKIP_1) | instid1(VALU_DEP_1)
	v_cmp_gt_f64_e32 vcc_lo, 0x10000000, v[5:6]
	v_cndmask_b32_e64 v7, 0, 1, vcc_lo
	v_lshlrev_b32_e32 v7, 8, v7
	s_delay_alu instid0(VALU_DEP_1) | instskip(NEXT) | instid1(VALU_DEP_1)
	v_ldexp_f64 v[5:6], v[5:6], v7
	v_rsq_f64_e32 v[7:8], v[5:6]
	s_waitcnt_depctr 0xfff
	v_mul_f64 v[17:18], v[5:6], v[7:8]
	v_mul_f64 v[7:8], v[7:8], 0.5
	s_delay_alu instid0(VALU_DEP_1) | instskip(NEXT) | instid1(VALU_DEP_1)
	v_fma_f64 v[21:22], -v[7:8], v[17:18], 0.5
	v_fma_f64 v[17:18], v[17:18], v[21:22], v[17:18]
	v_fma_f64 v[7:8], v[7:8], v[21:22], v[7:8]
	s_delay_alu instid0(VALU_DEP_2) | instskip(NEXT) | instid1(VALU_DEP_1)
	v_fma_f64 v[21:22], -v[17:18], v[17:18], v[5:6]
	v_fma_f64 v[17:18], v[21:22], v[7:8], v[17:18]
	s_delay_alu instid0(VALU_DEP_1) | instskip(NEXT) | instid1(VALU_DEP_1)
	v_fma_f64 v[21:22], -v[17:18], v[17:18], v[5:6]
	v_fma_f64 v[7:8], v[21:22], v[7:8], v[17:18]
	v_cndmask_b32_e64 v17, 0, 0xffffff80, vcc_lo
	v_cmp_class_f64_e64 vcc_lo, v[5:6], 0x260
	s_delay_alu instid0(VALU_DEP_2) | instskip(NEXT) | instid1(VALU_DEP_1)
	v_ldexp_f64 v[7:8], v[7:8], v17
	v_dual_cndmask_b32 v18, v8, v6 :: v_dual_cndmask_b32 v17, v7, v5
	s_delay_alu instid0(VALU_DEP_1) | instskip(NEXT) | instid1(VALU_DEP_1)
	v_add_f64 v[5:6], v[17:18], v[17:18]
	v_div_scale_f64 v[7:8], null, v[5:6], v[5:6], v[19:20]
	s_delay_alu instid0(VALU_DEP_1) | instskip(SKIP_2) | instid1(VALU_DEP_1)
	v_rcp_f64_e32 v[21:22], v[7:8]
	s_waitcnt_depctr 0xfff
	v_fma_f64 v[23:24], -v[7:8], v[21:22], 1.0
	v_fma_f64 v[21:22], v[21:22], v[23:24], v[21:22]
	s_delay_alu instid0(VALU_DEP_1) | instskip(NEXT) | instid1(VALU_DEP_1)
	v_fma_f64 v[23:24], -v[7:8], v[21:22], 1.0
	v_fma_f64 v[21:22], v[21:22], v[23:24], v[21:22]
	v_div_scale_f64 v[23:24], vcc_lo, v[19:20], v[5:6], v[19:20]
	s_delay_alu instid0(VALU_DEP_1) | instskip(NEXT) | instid1(VALU_DEP_1)
	v_mul_f64 v[28:29], v[23:24], v[21:22]
	v_fma_f64 v[7:8], -v[7:8], v[28:29], v[23:24]
	s_delay_alu instid0(VALU_DEP_1) | instskip(NEXT) | instid1(VALU_DEP_1)
	v_div_fmas_f64 v[7:8], v[7:8], v[21:22], v[28:29]
	v_div_fixup_f64 v[19:20], v[7:8], v[5:6], v[19:20]
                                        ; implicit-def: $vgpr5_vgpr6
	s_and_not1_saveexec_b32 s2, s2
	s_cbranch_execnz .LBB219_191
.LBB219_186:
	s_or_b32 exec_lo, exec_lo, s2
	s_and_saveexec_b32 s2, s1
	s_delay_alu instid0(SALU_CYCLE_1)
	s_xor_b32 s1, exec_lo, s2
	s_cbranch_execz .LBB219_192
.LBB219_187:
	s_and_saveexec_b32 s2, s12
; %bb.188:
	s_delay_alu instid0(VALU_DEP_2) | instskip(NEXT) | instid1(VALU_DEP_2)
	v_mul_f64 v[17:18], v[17:18], 0.5
	v_mul_f64 v[19:20], v[19:20], 0.5
; %bb.189:
	s_or_b32 exec_lo, exec_lo, s2
	s_and_not1_saveexec_b32 s1, s1
	s_cbranch_execnz .LBB219_193
	s_branch .LBB219_194
.LBB219_190:
	s_and_not1_saveexec_b32 s2, s2
	s_cbranch_execz .LBB219_186
.LBB219_191:
	v_add_f64 v[5:6], v[5:6], -v[17:18]
	s_delay_alu instid0(VALU_DEP_1) | instskip(NEXT) | instid1(VALU_DEP_1)
	v_mul_f64 v[5:6], v[5:6], 0.5
	v_cmp_gt_f64_e32 vcc_lo, 0x10000000, v[5:6]
	v_cndmask_b32_e64 v7, 0, 1, vcc_lo
	s_delay_alu instid0(VALU_DEP_1) | instskip(NEXT) | instid1(VALU_DEP_1)
	v_lshlrev_b32_e32 v7, 8, v7
	v_ldexp_f64 v[5:6], v[5:6], v7
	s_delay_alu instid0(VALU_DEP_1) | instskip(SKIP_3) | instid1(VALU_DEP_1)
	v_rsq_f64_e32 v[7:8], v[5:6]
	s_waitcnt_depctr 0xfff
	v_mul_f64 v[17:18], v[5:6], v[7:8]
	v_mul_f64 v[7:8], v[7:8], 0.5
	v_fma_f64 v[21:22], -v[7:8], v[17:18], 0.5
	s_delay_alu instid0(VALU_DEP_1) | instskip(SKIP_1) | instid1(VALU_DEP_2)
	v_fma_f64 v[17:18], v[17:18], v[21:22], v[17:18]
	v_fma_f64 v[7:8], v[7:8], v[21:22], v[7:8]
	v_fma_f64 v[21:22], -v[17:18], v[17:18], v[5:6]
	s_delay_alu instid0(VALU_DEP_1) | instskip(NEXT) | instid1(VALU_DEP_1)
	v_fma_f64 v[17:18], v[21:22], v[7:8], v[17:18]
	v_fma_f64 v[21:22], -v[17:18], v[17:18], v[5:6]
	s_delay_alu instid0(VALU_DEP_1) | instskip(SKIP_3) | instid1(VALU_DEP_3)
	v_fma_f64 v[7:8], v[21:22], v[7:8], v[17:18]
	v_cndmask_b32_e64 v17, 0, 0xffffff80, vcc_lo
	v_cmp_class_f64_e64 vcc_lo, v[5:6], 0x260
	v_and_b32_e32 v18, 0x7fffffff, v20
	v_ldexp_f64 v[7:8], v[7:8], v17
	s_delay_alu instid0(VALU_DEP_1) | instskip(NEXT) | instid1(VALU_DEP_1)
	v_dual_cndmask_b32 v6, v8, v6 :: v_dual_cndmask_b32 v5, v7, v5
	v_add_f64 v[7:8], v[5:6], v[5:6]
	v_bfi_b32 v6, 0x7fffffff, v6, v20
	v_mov_b32_e32 v17, v19
	s_delay_alu instid0(VALU_DEP_1) | instskip(SKIP_1) | instid1(VALU_DEP_2)
	v_div_scale_f64 v[21:22], null, v[7:8], v[7:8], v[17:18]
	v_div_scale_f64 v[17:18], vcc_lo, v[17:18], v[7:8], v[17:18]
	v_rcp_f64_e32 v[23:24], v[21:22]
	s_waitcnt_depctr 0xfff
	v_fma_f64 v[28:29], -v[21:22], v[23:24], 1.0
	s_delay_alu instid0(VALU_DEP_1) | instskip(NEXT) | instid1(VALU_DEP_1)
	v_fma_f64 v[23:24], v[23:24], v[28:29], v[23:24]
	v_fma_f64 v[28:29], -v[21:22], v[23:24], 1.0
	s_delay_alu instid0(VALU_DEP_1) | instskip(NEXT) | instid1(VALU_DEP_1)
	v_fma_f64 v[23:24], v[23:24], v[28:29], v[23:24]
	v_mul_f64 v[28:29], v[17:18], v[23:24]
	s_delay_alu instid0(VALU_DEP_1) | instskip(NEXT) | instid1(VALU_DEP_1)
	v_fma_f64 v[17:18], -v[21:22], v[28:29], v[17:18]
	v_div_fmas_f64 v[17:18], v[17:18], v[23:24], v[28:29]
	s_delay_alu instid0(VALU_DEP_1) | instskip(SKIP_3) | instid1(SALU_CYCLE_1)
	v_div_fixup_f64 v[17:18], v[17:18], v[7:8], |v[19:20]|
	v_dual_mov_b32 v20, v6 :: v_dual_mov_b32 v19, v5
	s_or_b32 exec_lo, exec_lo, s2
	s_and_saveexec_b32 s2, s1
	s_xor_b32 s1, exec_lo, s2
	s_cbranch_execnz .LBB219_187
.LBB219_192:
	s_and_not1_saveexec_b32 s1, s1
.LBB219_193:
	s_delay_alu instid0(VALU_DEP_2) | instskip(NEXT) | instid1(VALU_DEP_2)
	v_add_f64 v[17:18], v[17:18], v[17:18]
	v_add_f64 v[19:20], v[19:20], v[19:20]
.LBB219_194:
	s_or_b32 exec_lo, exec_lo, s1
.LBB219_195:
	s_and_not1_saveexec_b32 s1, s11
	s_cbranch_execz .LBB219_201
; %bb.196:
	s_delay_alu instid0(VALU_DEP_1) | instskip(SKIP_1) | instid1(VALU_DEP_3)
	v_add_f64 v[5:6], v[19:20], -v[19:20]
	s_mov_b32 s2, exec_lo
	v_cmpx_lt_i64_e32 -1, v[17:18]
	s_xor_b32 s2, exec_lo, s2
; %bb.197:
	s_delay_alu instid0(VALU_DEP_2) | instskip(NEXT) | instid1(VALU_DEP_1)
	v_bfi_b32 v6, 0x7fffffff, v6, v20
	v_dual_mov_b32 v20, v6 :: v_dual_mov_b32 v19, v5
                                        ; implicit-def: $vgpr5_vgpr6
; %bb.198:
	s_and_not1_saveexec_b32 s2, s2
; %bb.199:
	s_delay_alu instid0(VALU_DEP_1) | instskip(SKIP_1) | instid1(VALU_DEP_2)
	v_bfi_b32 v18, 0x7fffffff, v18, v20
	v_and_b32_e32 v6, 0x7fffffff, v6
	v_dual_mov_b32 v20, v18 :: v_dual_mov_b32 v19, v17
	s_delay_alu instid0(VALU_DEP_2)
	v_dual_mov_b32 v18, v6 :: v_dual_mov_b32 v17, v5
; %bb.200:
	s_or_b32 exec_lo, exec_lo, s2
.LBB219_201:
	s_delay_alu instid0(SALU_CYCLE_1)
	s_or_b32 exec_lo, exec_lo, s1
.LBB219_202:
	s_and_not1_saveexec_b32 s1, s9
; %bb.203:
	s_delay_alu instid0(VALU_DEP_1) | instskip(NEXT) | instid1(VALU_DEP_1)
	v_add_f64 v[5:6], v[19:20], -v[19:20]
	v_div_scale_f64 v[7:8], vcc_lo, v[5:6], v[5:6], v[5:6]
	s_delay_alu instid0(VALU_DEP_1) | instskip(SKIP_2) | instid1(VALU_DEP_1)
	v_rcp_f64_e32 v[19:20], v[7:8]
	s_waitcnt_depctr 0xfff
	v_fma_f64 v[21:22], -v[7:8], v[19:20], 1.0
	v_fma_f64 v[19:20], v[19:20], v[21:22], v[19:20]
	s_delay_alu instid0(VALU_DEP_1) | instskip(NEXT) | instid1(VALU_DEP_1)
	v_fma_f64 v[21:22], -v[7:8], v[19:20], 1.0
	v_fma_f64 v[19:20], v[19:20], v[21:22], v[19:20]
	s_delay_alu instid0(VALU_DEP_1) | instskip(NEXT) | instid1(VALU_DEP_1)
	v_mul_f64 v[21:22], v[7:8], v[19:20]
	v_fma_f64 v[7:8], -v[7:8], v[21:22], v[7:8]
	s_delay_alu instid0(VALU_DEP_1) | instskip(NEXT) | instid1(VALU_DEP_1)
	v_div_fmas_f64 v[7:8], v[7:8], v[19:20], v[21:22]
	v_div_fixup_f64 v[19:20], v[7:8], v[5:6], v[5:6]
; %bb.204:
	s_or_b32 exec_lo, exec_lo, s1
	v_dual_mov_b32 v5, v17 :: v_dual_mov_b32 v6, v18
.LBB219_205:
	s_or_b32 exec_lo, exec_lo, s7
.LBB219_206:
	s_delay_alu instid0(SALU_CYCLE_1) | instskip(NEXT) | instid1(VALU_DEP_2)
	s_or_b32 exec_lo, exec_lo, s6
	v_dual_mov_b32 v7, v19 :: v_dual_mov_b32 v8, v20
.LBB219_207:
	s_or_b32 exec_lo, exec_lo, s3
	s_waitcnt vmcnt(0)
	v_mov_b32_e32 v17, 0
	v_mov_b32_e32 v18, 0
	v_or_b32_e32 v19, 0x200, v0
	s_delay_alu instid0(VALU_DEP_2) | instskip(NEXT) | instid1(VALU_DEP_2)
	v_dual_mov_b32 v22, v18 :: v_dual_mov_b32 v21, v17
	v_cmp_gt_i32_e32 vcc_lo, s10, v19
	v_dual_mov_b32 v20, v18 :: v_dual_mov_b32 v19, v17
	s_and_saveexec_b32 s3, vcc_lo
	s_cbranch_execz .LBB219_241
; %bb.208:
	v_cmp_neq_f64_e32 vcc_lo, 0, v[13:14]
	v_cmp_neq_f64_e64 s1, 0, v[15:16]
	v_mov_b32_e32 v19, 0
	v_mov_b32_e32 v20, 0
	s_delay_alu instid0(VALU_DEP_3) | instskip(NEXT) | instid1(SALU_CYCLE_1)
	s_or_b32 s1, vcc_lo, s1
	s_and_saveexec_b32 s6, s1
	s_cbranch_execz .LBB219_240
; %bb.209:
	s_mov_b32 s12, 0
	s_mov_b32 s13, 0x7ff00000
	v_mov_b32_e32 v19, s12
	v_mov_b32_e32 v20, s13
	s_mov_b32 s7, exec_lo
	v_cmpx_neq_f64_e64 0x7ff00000, |v[15:16]|
	s_cbranch_execz .LBB219_239
; %bb.210:
	s_mov_b32 s1, exec_lo
	v_cmpx_o_f64_e32 v[13:14], v[13:14]
	s_xor_b32 s9, exec_lo, s1
	s_cbranch_execz .LBB219_236
; %bb.211:
	s_mov_b32 s2, exec_lo
	v_cmpx_neq_f64_e64 0x7ff00000, |v[13:14]|
	s_xor_b32 s11, exec_lo, s2
	s_cbranch_execz .LBB219_229
; %bb.212:
	v_max_f64 v[19:20], |v[15:16]|, |v[15:16]|
	v_max_f64 v[21:22], |v[13:14]|, |v[13:14]|
	s_mov_b32 s12, 0x99fcef32
	s_mov_b32 s13, 0x7fda8279
	s_delay_alu instid0(VALU_DEP_1) | instskip(NEXT) | instid1(VALU_DEP_1)
	v_max_f64 v[19:20], v[21:22], v[19:20]
	v_cmp_nle_f64_e64 s1, s[12:13], v[19:20]
                                        ; implicit-def: $sgpr12
	s_delay_alu instid0(VALU_DEP_1) | instskip(NEXT) | instid1(SALU_CYCLE_1)
	s_and_saveexec_b32 s2, s1
	s_xor_b32 s2, exec_lo, s2
	s_cbranch_execz .LBB219_216
; %bb.213:
	v_cmp_ge_f64_e64 s12, 0x200000, |v[13:14]|
	v_cmp_ge_f64_e64 s13, 0x200000, |v[15:16]|
	s_delay_alu instid0(VALU_DEP_1)
	s_and_b32 s14, s12, s13
	s_mov_b32 s12, 0
	s_and_saveexec_b32 s13, s14
; %bb.214:
	v_mul_f64 v[13:14], v[13:14], 4.0
	v_mul_f64 v[15:16], v[15:16], 4.0
	s_mov_b32 s12, exec_lo
; %bb.215:
	s_or_b32 exec_lo, exec_lo, s13
	s_delay_alu instid0(SALU_CYCLE_1)
	s_and_b32 s12, s12, exec_lo
.LBB219_216:
	s_and_not1_saveexec_b32 s2, s2
; %bb.217:
	s_delay_alu instid0(VALU_DEP_2) | instskip(NEXT) | instid1(VALU_DEP_2)
	v_ldexp_f64 v[13:14], v[13:14], -2
	v_ldexp_f64 v[15:16], v[15:16], -2
	s_and_not1_b32 s12, s12, exec_lo
; %bb.218:
	s_or_b32 exec_lo, exec_lo, s2
	s_delay_alu instid0(VALU_DEP_1) | instskip(NEXT) | instid1(VALU_DEP_3)
	v_max_f64 v[19:20], |v[15:16]|, |v[15:16]|
	v_max_f64 v[21:22], |v[13:14]|, |v[13:14]|
	v_cmp_class_f64_e64 s13, v[13:14], 0x204
	v_cmp_class_f64_e64 s14, v[15:16], 0x204
	v_cmp_le_f64_e64 s2, 0, v[13:14]
	s_delay_alu instid0(VALU_DEP_4) | instskip(NEXT) | instid1(VALU_DEP_3)
	v_max_f64 v[19:20], v[21:22], v[19:20]
	s_or_b32 s13, s14, s13
	s_delay_alu instid0(VALU_DEP_1) | instskip(NEXT) | instid1(VALU_DEP_1)
	v_frexp_exp_i32_f64_e32 v26, v[19:20]
	v_sub_nc_u32_e32 v21, 0, v26
	s_delay_alu instid0(VALU_DEP_1) | instskip(SKIP_1) | instid1(VALU_DEP_2)
	v_ldexp_f64 v[19:20], |v[15:16]|, v21
	v_ldexp_f64 v[21:22], |v[13:14]|, v21
	v_mul_f64 v[19:20], v[19:20], v[19:20]
	s_delay_alu instid0(VALU_DEP_1) | instskip(NEXT) | instid1(VALU_DEP_1)
	v_fma_f64 v[19:20], v[21:22], v[21:22], v[19:20]
	v_rsq_f64_e32 v[21:22], v[19:20]
	v_cmp_eq_f64_e32 vcc_lo, 0, v[19:20]
	s_waitcnt_depctr 0xfff
	v_mul_f64 v[23:24], v[19:20], v[21:22]
	v_mul_f64 v[21:22], v[21:22], 0.5
	s_delay_alu instid0(VALU_DEP_1) | instskip(NEXT) | instid1(VALU_DEP_1)
	v_fma_f64 v[28:29], -v[21:22], v[23:24], 0.5
	v_fma_f64 v[23:24], v[23:24], v[28:29], v[23:24]
	v_fma_f64 v[21:22], v[21:22], v[28:29], v[21:22]
	s_delay_alu instid0(VALU_DEP_2) | instskip(NEXT) | instid1(VALU_DEP_1)
	v_fma_f64 v[28:29], -v[23:24], v[23:24], v[19:20]
	v_fma_f64 v[21:22], v[28:29], v[21:22], v[23:24]
	s_delay_alu instid0(VALU_DEP_1) | instskip(SKIP_1) | instid1(VALU_DEP_2)
	v_dual_cndmask_b32 v20, v22, v20 :: v_dual_cndmask_b32 v19, v21, v19
	v_cmp_o_f64_e32 vcc_lo, v[15:16], v[15:16]
	v_ldexp_f64 v[19:20], v[19:20], v26
	s_delay_alu instid0(VALU_DEP_1) | instskip(NEXT) | instid1(VALU_DEP_2)
	v_cndmask_b32_e32 v19, 0, v19, vcc_lo
	v_cndmask_b32_e32 v20, 0x7ff80000, v20, vcc_lo
	s_delay_alu instid0(VALU_DEP_2) | instskip(NEXT) | instid1(VALU_DEP_2)
	v_cndmask_b32_e64 v19, v19, 0, s13
	v_cndmask_b32_e64 v20, v20, 0x7ff00000, s13
	s_and_saveexec_b32 s13, s2
	s_delay_alu instid0(SALU_CYCLE_1)
	s_xor_b32 s2, exec_lo, s13
	s_cbranch_execz .LBB219_224
; %bb.219:
	s_delay_alu instid0(VALU_DEP_1) | instskip(NEXT) | instid1(VALU_DEP_1)
	v_add_f64 v[13:14], v[13:14], v[19:20]
	v_mul_f64 v[13:14], v[13:14], 0.5
	s_delay_alu instid0(VALU_DEP_1) | instskip(SKIP_1) | instid1(VALU_DEP_1)
	v_cmp_gt_f64_e32 vcc_lo, 0x10000000, v[13:14]
	v_cndmask_b32_e64 v19, 0, 1, vcc_lo
	v_lshlrev_b32_e32 v19, 8, v19
	s_delay_alu instid0(VALU_DEP_1) | instskip(NEXT) | instid1(VALU_DEP_1)
	v_ldexp_f64 v[13:14], v[13:14], v19
	v_rsq_f64_e32 v[19:20], v[13:14]
	s_waitcnt_depctr 0xfff
	v_mul_f64 v[21:22], v[13:14], v[19:20]
	v_mul_f64 v[19:20], v[19:20], 0.5
	s_delay_alu instid0(VALU_DEP_1) | instskip(NEXT) | instid1(VALU_DEP_1)
	v_fma_f64 v[23:24], -v[19:20], v[21:22], 0.5
	v_fma_f64 v[21:22], v[21:22], v[23:24], v[21:22]
	v_fma_f64 v[19:20], v[19:20], v[23:24], v[19:20]
	s_delay_alu instid0(VALU_DEP_2) | instskip(NEXT) | instid1(VALU_DEP_1)
	v_fma_f64 v[23:24], -v[21:22], v[21:22], v[13:14]
	v_fma_f64 v[21:22], v[23:24], v[19:20], v[21:22]
	s_delay_alu instid0(VALU_DEP_1) | instskip(NEXT) | instid1(VALU_DEP_1)
	v_fma_f64 v[23:24], -v[21:22], v[21:22], v[13:14]
	v_fma_f64 v[19:20], v[23:24], v[19:20], v[21:22]
	v_cndmask_b32_e64 v21, 0, 0xffffff80, vcc_lo
	v_cmp_class_f64_e64 vcc_lo, v[13:14], 0x260
	s_delay_alu instid0(VALU_DEP_2) | instskip(NEXT) | instid1(VALU_DEP_1)
	v_ldexp_f64 v[19:20], v[19:20], v21
	v_dual_cndmask_b32 v14, v20, v14 :: v_dual_cndmask_b32 v13, v19, v13
	s_delay_alu instid0(VALU_DEP_1) | instskip(NEXT) | instid1(VALU_DEP_1)
	v_add_f64 v[19:20], v[13:14], v[13:14]
	v_div_scale_f64 v[21:22], null, v[19:20], v[19:20], v[15:16]
	s_delay_alu instid0(VALU_DEP_1) | instskip(SKIP_2) | instid1(VALU_DEP_1)
	v_rcp_f64_e32 v[23:24], v[21:22]
	s_waitcnt_depctr 0xfff
	v_fma_f64 v[28:29], -v[21:22], v[23:24], 1.0
	v_fma_f64 v[23:24], v[23:24], v[28:29], v[23:24]
	s_delay_alu instid0(VALU_DEP_1) | instskip(NEXT) | instid1(VALU_DEP_1)
	v_fma_f64 v[28:29], -v[21:22], v[23:24], 1.0
	v_fma_f64 v[23:24], v[23:24], v[28:29], v[23:24]
	v_div_scale_f64 v[28:29], vcc_lo, v[15:16], v[19:20], v[15:16]
	s_delay_alu instid0(VALU_DEP_1) | instskip(NEXT) | instid1(VALU_DEP_1)
	v_mul_f64 v[30:31], v[28:29], v[23:24]
	v_fma_f64 v[21:22], -v[21:22], v[30:31], v[28:29]
	s_delay_alu instid0(VALU_DEP_1) | instskip(NEXT) | instid1(VALU_DEP_1)
	v_div_fmas_f64 v[21:22], v[21:22], v[23:24], v[30:31]
	v_div_fixup_f64 v[15:16], v[21:22], v[19:20], v[15:16]
                                        ; implicit-def: $vgpr19_vgpr20
	s_and_not1_saveexec_b32 s2, s2
	s_cbranch_execnz .LBB219_225
.LBB219_220:
	s_or_b32 exec_lo, exec_lo, s2
	s_and_saveexec_b32 s2, s1
	s_delay_alu instid0(SALU_CYCLE_1)
	s_xor_b32 s1, exec_lo, s2
	s_cbranch_execz .LBB219_226
.LBB219_221:
	s_and_saveexec_b32 s2, s12
; %bb.222:
	s_delay_alu instid0(VALU_DEP_2) | instskip(NEXT) | instid1(VALU_DEP_2)
	v_mul_f64 v[13:14], v[13:14], 0.5
	v_mul_f64 v[15:16], v[15:16], 0.5
; %bb.223:
	s_or_b32 exec_lo, exec_lo, s2
	s_and_not1_saveexec_b32 s1, s1
	s_cbranch_execnz .LBB219_227
	s_branch .LBB219_228
.LBB219_224:
	s_and_not1_saveexec_b32 s2, s2
	s_cbranch_execz .LBB219_220
.LBB219_225:
	v_add_f64 v[13:14], v[19:20], -v[13:14]
	s_delay_alu instid0(VALU_DEP_1) | instskip(NEXT) | instid1(VALU_DEP_1)
	v_mul_f64 v[13:14], v[13:14], 0.5
	v_cmp_gt_f64_e32 vcc_lo, 0x10000000, v[13:14]
	v_cndmask_b32_e64 v19, 0, 1, vcc_lo
	s_delay_alu instid0(VALU_DEP_1) | instskip(NEXT) | instid1(VALU_DEP_1)
	v_lshlrev_b32_e32 v19, 8, v19
	v_ldexp_f64 v[13:14], v[13:14], v19
	s_delay_alu instid0(VALU_DEP_1) | instskip(SKIP_3) | instid1(VALU_DEP_1)
	v_rsq_f64_e32 v[19:20], v[13:14]
	s_waitcnt_depctr 0xfff
	v_mul_f64 v[21:22], v[13:14], v[19:20]
	v_mul_f64 v[19:20], v[19:20], 0.5
	v_fma_f64 v[23:24], -v[19:20], v[21:22], 0.5
	s_delay_alu instid0(VALU_DEP_1) | instskip(SKIP_1) | instid1(VALU_DEP_2)
	v_fma_f64 v[21:22], v[21:22], v[23:24], v[21:22]
	v_fma_f64 v[19:20], v[19:20], v[23:24], v[19:20]
	v_fma_f64 v[23:24], -v[21:22], v[21:22], v[13:14]
	s_delay_alu instid0(VALU_DEP_1) | instskip(NEXT) | instid1(VALU_DEP_1)
	v_fma_f64 v[21:22], v[23:24], v[19:20], v[21:22]
	v_fma_f64 v[23:24], -v[21:22], v[21:22], v[13:14]
	s_delay_alu instid0(VALU_DEP_1) | instskip(SKIP_3) | instid1(VALU_DEP_3)
	v_fma_f64 v[19:20], v[23:24], v[19:20], v[21:22]
	v_cndmask_b32_e64 v21, 0, 0xffffff80, vcc_lo
	v_cmp_class_f64_e64 vcc_lo, v[13:14], 0x260
	v_and_b32_e32 v22, 0x7fffffff, v16
	v_ldexp_f64 v[19:20], v[19:20], v21
	s_delay_alu instid0(VALU_DEP_1) | instskip(NEXT) | instid1(VALU_DEP_1)
	v_dual_cndmask_b32 v20, v20, v14 :: v_dual_cndmask_b32 v19, v19, v13
	v_add_f64 v[13:14], v[19:20], v[19:20]
	v_bfi_b32 v20, 0x7fffffff, v20, v16
	v_mov_b32_e32 v21, v15
	s_delay_alu instid0(VALU_DEP_1) | instskip(SKIP_1) | instid1(VALU_DEP_2)
	v_div_scale_f64 v[23:24], null, v[13:14], v[13:14], v[21:22]
	v_div_scale_f64 v[21:22], vcc_lo, v[21:22], v[13:14], v[21:22]
	v_rcp_f64_e32 v[28:29], v[23:24]
	s_waitcnt_depctr 0xfff
	v_fma_f64 v[30:31], -v[23:24], v[28:29], 1.0
	s_delay_alu instid0(VALU_DEP_1) | instskip(NEXT) | instid1(VALU_DEP_1)
	v_fma_f64 v[28:29], v[28:29], v[30:31], v[28:29]
	v_fma_f64 v[30:31], -v[23:24], v[28:29], 1.0
	s_delay_alu instid0(VALU_DEP_1) | instskip(NEXT) | instid1(VALU_DEP_1)
	v_fma_f64 v[28:29], v[28:29], v[30:31], v[28:29]
	v_mul_f64 v[30:31], v[21:22], v[28:29]
	s_delay_alu instid0(VALU_DEP_1) | instskip(NEXT) | instid1(VALU_DEP_1)
	v_fma_f64 v[21:22], -v[23:24], v[30:31], v[21:22]
	v_div_fmas_f64 v[21:22], v[21:22], v[28:29], v[30:31]
	s_delay_alu instid0(VALU_DEP_1) | instskip(SKIP_3) | instid1(SALU_CYCLE_1)
	v_div_fixup_f64 v[13:14], v[21:22], v[13:14], |v[15:16]|
	v_dual_mov_b32 v15, v19 :: v_dual_mov_b32 v16, v20
	s_or_b32 exec_lo, exec_lo, s2
	s_and_saveexec_b32 s2, s1
	s_xor_b32 s1, exec_lo, s2
	s_cbranch_execnz .LBB219_221
.LBB219_226:
	s_and_not1_saveexec_b32 s1, s1
.LBB219_227:
	s_delay_alu instid0(VALU_DEP_2) | instskip(NEXT) | instid1(VALU_DEP_2)
	v_add_f64 v[13:14], v[13:14], v[13:14]
	v_add_f64 v[15:16], v[15:16], v[15:16]
.LBB219_228:
	s_or_b32 exec_lo, exec_lo, s1
.LBB219_229:
	s_and_not1_saveexec_b32 s1, s11
	s_cbranch_execz .LBB219_235
; %bb.230:
	s_delay_alu instid0(VALU_DEP_1) | instskip(SKIP_1) | instid1(VALU_DEP_3)
	v_add_f64 v[19:20], v[15:16], -v[15:16]
	s_mov_b32 s2, exec_lo
	v_cmpx_lt_i64_e32 -1, v[13:14]
	s_xor_b32 s2, exec_lo, s2
; %bb.231:
	s_delay_alu instid0(VALU_DEP_2) | instskip(NEXT) | instid1(VALU_DEP_1)
	v_bfi_b32 v20, 0x7fffffff, v20, v16
	v_dual_mov_b32 v15, v19 :: v_dual_mov_b32 v16, v20
                                        ; implicit-def: $vgpr19_vgpr20
; %bb.232:
	s_and_not1_saveexec_b32 s2, s2
; %bb.233:
	s_delay_alu instid0(VALU_DEP_1) | instskip(SKIP_1) | instid1(VALU_DEP_2)
	v_bfi_b32 v14, 0x7fffffff, v14, v16
	v_and_b32_e32 v20, 0x7fffffff, v20
	v_dual_mov_b32 v16, v14 :: v_dual_mov_b32 v15, v13
	s_delay_alu instid0(VALU_DEP_2)
	v_dual_mov_b32 v13, v19 :: v_dual_mov_b32 v14, v20
; %bb.234:
	s_or_b32 exec_lo, exec_lo, s2
.LBB219_235:
	s_delay_alu instid0(SALU_CYCLE_1)
	s_or_b32 exec_lo, exec_lo, s1
.LBB219_236:
	s_and_not1_saveexec_b32 s1, s9
; %bb.237:
	s_delay_alu instid0(VALU_DEP_1) | instskip(NEXT) | instid1(VALU_DEP_1)
	v_add_f64 v[15:16], v[15:16], -v[15:16]
	v_div_scale_f64 v[19:20], vcc_lo, v[15:16], v[15:16], v[15:16]
	s_delay_alu instid0(VALU_DEP_1) | instskip(SKIP_2) | instid1(VALU_DEP_1)
	v_rcp_f64_e32 v[21:22], v[19:20]
	s_waitcnt_depctr 0xfff
	v_fma_f64 v[23:24], -v[19:20], v[21:22], 1.0
	v_fma_f64 v[21:22], v[21:22], v[23:24], v[21:22]
	s_delay_alu instid0(VALU_DEP_1) | instskip(NEXT) | instid1(VALU_DEP_1)
	v_fma_f64 v[23:24], -v[19:20], v[21:22], 1.0
	v_fma_f64 v[21:22], v[21:22], v[23:24], v[21:22]
	s_delay_alu instid0(VALU_DEP_1) | instskip(NEXT) | instid1(VALU_DEP_1)
	v_mul_f64 v[23:24], v[19:20], v[21:22]
	v_fma_f64 v[19:20], -v[19:20], v[23:24], v[19:20]
	s_delay_alu instid0(VALU_DEP_1) | instskip(NEXT) | instid1(VALU_DEP_1)
	v_div_fmas_f64 v[19:20], v[19:20], v[21:22], v[23:24]
	v_div_fixup_f64 v[15:16], v[19:20], v[15:16], v[15:16]
; %bb.238:
	s_or_b32 exec_lo, exec_lo, s1
	v_dual_mov_b32 v20, v14 :: v_dual_mov_b32 v19, v13
.LBB219_239:
	s_or_b32 exec_lo, exec_lo, s7
.LBB219_240:
	s_delay_alu instid0(SALU_CYCLE_1) | instskip(NEXT) | instid1(VALU_DEP_2)
	s_or_b32 exec_lo, exec_lo, s6
	v_dual_mov_b32 v22, v16 :: v_dual_mov_b32 v21, v15
.LBB219_241:
	s_or_b32 exec_lo, exec_lo, s3
	v_or_b32_e32 v13, 0x300, v0
	v_dual_mov_b32 v15, v17 :: v_dual_mov_b32 v16, v18
	s_mov_b32 s3, exec_lo
	s_delay_alu instid0(VALU_DEP_2)
	v_cmpx_gt_i32_e64 s10, v13
	s_cbranch_execz .LBB219_258
; %bb.242:
	v_cmp_neq_f64_e32 vcc_lo, 0, v[1:2]
	v_cmp_neq_f64_e64 s1, 0, v[3:4]
	v_mov_b32_e32 v15, 0
	v_mov_b32_e32 v16, 0
	s_delay_alu instid0(VALU_DEP_3) | instskip(NEXT) | instid1(SALU_CYCLE_1)
	s_or_b32 s1, vcc_lo, s1
	s_and_saveexec_b32 s6, s1
	s_cbranch_execz .LBB219_278
; %bb.243:
	s_mov_b32 s12, 0
	s_mov_b32 s13, 0x7ff00000
	v_mov_b32_e32 v15, s12
	v_mov_b32_e32 v16, s13
	s_mov_b32 s7, exec_lo
	v_cmpx_neq_f64_e64 0x7ff00000, |v[3:4]|
	s_cbranch_execz .LBB219_277
; %bb.244:
	s_mov_b32 s1, exec_lo
	v_cmpx_o_f64_e32 v[1:2], v[1:2]
	s_xor_b32 s9, exec_lo, s1
	s_cbranch_execz .LBB219_274
; %bb.245:
	s_mov_b32 s2, exec_lo
	v_cmpx_neq_f64_e64 0x7ff00000, |v[1:2]|
	s_xor_b32 s11, exec_lo, s2
	s_cbranch_execz .LBB219_267
; %bb.246:
	v_max_f64 v[13:14], |v[3:4]|, |v[3:4]|
	v_max_f64 v[15:16], |v[1:2]|, |v[1:2]|
	s_mov_b32 s12, 0x99fcef32
	s_mov_b32 s13, 0x7fda8279
	s_delay_alu instid0(VALU_DEP_1) | instskip(NEXT) | instid1(VALU_DEP_1)
	v_max_f64 v[13:14], v[15:16], v[13:14]
	v_cmp_nle_f64_e64 s1, s[12:13], v[13:14]
                                        ; implicit-def: $sgpr12
	s_delay_alu instid0(VALU_DEP_1) | instskip(NEXT) | instid1(SALU_CYCLE_1)
	s_and_saveexec_b32 s2, s1
	s_xor_b32 s2, exec_lo, s2
	s_cbranch_execz .LBB219_250
; %bb.247:
	v_cmp_ge_f64_e64 s12, 0x200000, |v[1:2]|
	v_cmp_ge_f64_e64 s13, 0x200000, |v[3:4]|
	s_delay_alu instid0(VALU_DEP_1)
	s_and_b32 s14, s12, s13
	s_mov_b32 s12, 0
	s_and_saveexec_b32 s13, s14
; %bb.248:
	v_mul_f64 v[1:2], v[1:2], 4.0
	v_mul_f64 v[3:4], v[3:4], 4.0
	s_mov_b32 s12, exec_lo
; %bb.249:
	s_or_b32 exec_lo, exec_lo, s13
	s_delay_alu instid0(SALU_CYCLE_1)
	s_and_b32 s12, s12, exec_lo
.LBB219_250:
	s_and_not1_saveexec_b32 s2, s2
; %bb.251:
	s_delay_alu instid0(VALU_DEP_2) | instskip(NEXT) | instid1(VALU_DEP_2)
	v_ldexp_f64 v[1:2], v[1:2], -2
	v_ldexp_f64 v[3:4], v[3:4], -2
	s_and_not1_b32 s12, s12, exec_lo
; %bb.252:
	s_or_b32 exec_lo, exec_lo, s2
	s_delay_alu instid0(VALU_DEP_1) | instskip(NEXT) | instid1(VALU_DEP_3)
	v_max_f64 v[13:14], |v[3:4]|, |v[3:4]|
	v_max_f64 v[15:16], |v[1:2]|, |v[1:2]|
	v_cmp_class_f64_e64 s13, v[1:2], 0x204
	v_cmp_class_f64_e64 s14, v[3:4], 0x204
	v_cmp_le_f64_e64 s2, 0, v[1:2]
	s_delay_alu instid0(VALU_DEP_4) | instskip(NEXT) | instid1(VALU_DEP_3)
	v_max_f64 v[13:14], v[15:16], v[13:14]
	s_or_b32 s13, s14, s13
	s_delay_alu instid0(VALU_DEP_1) | instskip(NEXT) | instid1(VALU_DEP_1)
	v_frexp_exp_i32_f64_e32 v26, v[13:14]
	v_sub_nc_u32_e32 v15, 0, v26
	s_delay_alu instid0(VALU_DEP_1) | instskip(SKIP_1) | instid1(VALU_DEP_2)
	v_ldexp_f64 v[13:14], |v[3:4]|, v15
	v_ldexp_f64 v[15:16], |v[1:2]|, v15
	v_mul_f64 v[13:14], v[13:14], v[13:14]
	s_delay_alu instid0(VALU_DEP_1) | instskip(NEXT) | instid1(VALU_DEP_1)
	v_fma_f64 v[13:14], v[15:16], v[15:16], v[13:14]
	v_rsq_f64_e32 v[15:16], v[13:14]
	v_cmp_eq_f64_e32 vcc_lo, 0, v[13:14]
	s_waitcnt_depctr 0xfff
	v_mul_f64 v[17:18], v[13:14], v[15:16]
	v_mul_f64 v[15:16], v[15:16], 0.5
	s_delay_alu instid0(VALU_DEP_1) | instskip(NEXT) | instid1(VALU_DEP_1)
	v_fma_f64 v[23:24], -v[15:16], v[17:18], 0.5
	v_fma_f64 v[17:18], v[17:18], v[23:24], v[17:18]
	v_fma_f64 v[15:16], v[15:16], v[23:24], v[15:16]
	s_delay_alu instid0(VALU_DEP_2) | instskip(NEXT) | instid1(VALU_DEP_1)
	v_fma_f64 v[23:24], -v[17:18], v[17:18], v[13:14]
	v_fma_f64 v[15:16], v[23:24], v[15:16], v[17:18]
	s_delay_alu instid0(VALU_DEP_1) | instskip(SKIP_1) | instid1(VALU_DEP_2)
	v_dual_cndmask_b32 v14, v16, v14 :: v_dual_cndmask_b32 v13, v15, v13
	v_cmp_o_f64_e32 vcc_lo, v[3:4], v[3:4]
	v_ldexp_f64 v[13:14], v[13:14], v26
	s_delay_alu instid0(VALU_DEP_1) | instskip(NEXT) | instid1(VALU_DEP_2)
	v_cndmask_b32_e32 v13, 0, v13, vcc_lo
	v_cndmask_b32_e32 v14, 0x7ff80000, v14, vcc_lo
	s_delay_alu instid0(VALU_DEP_2) | instskip(NEXT) | instid1(VALU_DEP_2)
	v_cndmask_b32_e64 v13, v13, 0, s13
	v_cndmask_b32_e64 v14, v14, 0x7ff00000, s13
	s_and_saveexec_b32 s13, s2
	s_delay_alu instid0(SALU_CYCLE_1)
	s_xor_b32 s2, exec_lo, s13
	s_cbranch_execz .LBB219_262
; %bb.253:
	s_delay_alu instid0(VALU_DEP_1) | instskip(NEXT) | instid1(VALU_DEP_1)
	v_add_f64 v[1:2], v[1:2], v[13:14]
	v_mul_f64 v[1:2], v[1:2], 0.5
	s_delay_alu instid0(VALU_DEP_1) | instskip(SKIP_1) | instid1(VALU_DEP_1)
	v_cmp_gt_f64_e32 vcc_lo, 0x10000000, v[1:2]
	v_cndmask_b32_e64 v13, 0, 1, vcc_lo
	v_lshlrev_b32_e32 v13, 8, v13
	s_delay_alu instid0(VALU_DEP_1) | instskip(NEXT) | instid1(VALU_DEP_1)
	v_ldexp_f64 v[1:2], v[1:2], v13
	v_rsq_f64_e32 v[13:14], v[1:2]
	s_waitcnt_depctr 0xfff
	v_mul_f64 v[15:16], v[1:2], v[13:14]
	v_mul_f64 v[13:14], v[13:14], 0.5
	s_delay_alu instid0(VALU_DEP_1) | instskip(NEXT) | instid1(VALU_DEP_1)
	v_fma_f64 v[17:18], -v[13:14], v[15:16], 0.5
	v_fma_f64 v[15:16], v[15:16], v[17:18], v[15:16]
	v_fma_f64 v[13:14], v[13:14], v[17:18], v[13:14]
	s_delay_alu instid0(VALU_DEP_2) | instskip(NEXT) | instid1(VALU_DEP_1)
	v_fma_f64 v[17:18], -v[15:16], v[15:16], v[1:2]
	v_fma_f64 v[15:16], v[17:18], v[13:14], v[15:16]
	s_delay_alu instid0(VALU_DEP_1) | instskip(NEXT) | instid1(VALU_DEP_1)
	v_fma_f64 v[17:18], -v[15:16], v[15:16], v[1:2]
	v_fma_f64 v[13:14], v[17:18], v[13:14], v[15:16]
	v_cndmask_b32_e64 v15, 0, 0xffffff80, vcc_lo
	v_cmp_class_f64_e64 vcc_lo, v[1:2], 0x260
	s_delay_alu instid0(VALU_DEP_2) | instskip(NEXT) | instid1(VALU_DEP_1)
	v_ldexp_f64 v[13:14], v[13:14], v15
	v_dual_cndmask_b32 v2, v14, v2 :: v_dual_cndmask_b32 v1, v13, v1
	s_delay_alu instid0(VALU_DEP_1) | instskip(NEXT) | instid1(VALU_DEP_1)
	v_add_f64 v[13:14], v[1:2], v[1:2]
	v_div_scale_f64 v[15:16], null, v[13:14], v[13:14], v[3:4]
	s_delay_alu instid0(VALU_DEP_1) | instskip(SKIP_2) | instid1(VALU_DEP_1)
	v_rcp_f64_e32 v[17:18], v[15:16]
	s_waitcnt_depctr 0xfff
	v_fma_f64 v[23:24], -v[15:16], v[17:18], 1.0
	v_fma_f64 v[17:18], v[17:18], v[23:24], v[17:18]
	s_delay_alu instid0(VALU_DEP_1) | instskip(NEXT) | instid1(VALU_DEP_1)
	v_fma_f64 v[23:24], -v[15:16], v[17:18], 1.0
	v_fma_f64 v[17:18], v[17:18], v[23:24], v[17:18]
	v_div_scale_f64 v[23:24], vcc_lo, v[3:4], v[13:14], v[3:4]
	s_delay_alu instid0(VALU_DEP_1) | instskip(NEXT) | instid1(VALU_DEP_1)
	v_mul_f64 v[28:29], v[23:24], v[17:18]
	v_fma_f64 v[15:16], -v[15:16], v[28:29], v[23:24]
	s_delay_alu instid0(VALU_DEP_1) | instskip(NEXT) | instid1(VALU_DEP_1)
	v_div_fmas_f64 v[15:16], v[15:16], v[17:18], v[28:29]
	v_div_fixup_f64 v[3:4], v[15:16], v[13:14], v[3:4]
                                        ; implicit-def: $vgpr13_vgpr14
	s_and_not1_saveexec_b32 s2, s2
	s_cbranch_execnz .LBB219_263
.LBB219_254:
	s_or_b32 exec_lo, exec_lo, s2
	s_and_saveexec_b32 s2, s1
	s_delay_alu instid0(SALU_CYCLE_1)
	s_xor_b32 s1, exec_lo, s2
	s_cbranch_execz .LBB219_264
.LBB219_255:
	s_and_saveexec_b32 s2, s12
; %bb.256:
	s_delay_alu instid0(VALU_DEP_2) | instskip(NEXT) | instid1(VALU_DEP_2)
	v_mul_f64 v[1:2], v[1:2], 0.5
	v_mul_f64 v[3:4], v[3:4], 0.5
; %bb.257:
	s_or_b32 exec_lo, exec_lo, s2
	s_and_not1_saveexec_b32 s1, s1
	s_cbranch_execnz .LBB219_265
	s_branch .LBB219_266
.LBB219_258:
	s_or_b32 exec_lo, exec_lo, s3
	s_and_saveexec_b32 s1, s0
	s_delay_alu instid0(SALU_CYCLE_1)
	s_xor_b32 s0, exec_lo, s1
	s_cbranch_execz .LBB219_279
.LBB219_259:
	v_mov_b32_e32 v26, 0
	s_delay_alu instid0(VALU_DEP_1) | instskip(NEXT) | instid1(VALU_DEP_1)
	v_lshlrev_b64 v[0:1], 4, v[25:26]
	v_add_co_u32 v2, vcc_lo, s4, v0
	s_delay_alu instid0(VALU_DEP_2) | instskip(SKIP_3) | instid1(SALU_CYCLE_1)
	v_add_co_ci_u32_e32 v3, vcc_lo, s5, v1, vcc_lo
	v_mov_b32_e32 v0, v27
	global_store_b128 v[2:3], v[9:12], off
	s_or_b32 exec_lo, exec_lo, s0
	s_mov_b32 s0, exec_lo
	v_cmpx_gt_i32_e64 s10, v0
	s_cbranch_execnz .LBB219_280
.LBB219_260:
	s_or_b32 exec_lo, exec_lo, s0
	s_delay_alu instid0(SALU_CYCLE_1)
	s_mov_b32 s0, exec_lo
	v_cmpx_gt_i32_e64 s10, v0
	s_cbranch_execz .LBB219_281
.LBB219_261:
	v_dual_mov_b32 v2, 0 :: v_dual_add_nc_u32 v1, s8, v0
	v_add_nc_u32_e32 v0, 0x100, v0
	s_delay_alu instid0(VALU_DEP_2) | instskip(NEXT) | instid1(VALU_DEP_1)
	v_lshlrev_b64 v[1:2], 4, v[1:2]
	v_add_co_u32 v1, vcc_lo, s4, v1
	s_delay_alu instid0(VALU_DEP_2) | instskip(SKIP_2) | instid1(SALU_CYCLE_1)
	v_add_co_ci_u32_e32 v2, vcc_lo, s5, v2, vcc_lo
	global_store_b128 v[1:2], v[19:22], off
	s_or_b32 exec_lo, exec_lo, s0
	s_mov_b32 s0, exec_lo
	v_cmpx_gt_i32_e64 s10, v0
	s_cbranch_execnz .LBB219_282
	s_branch .LBB219_283
.LBB219_262:
	s_and_not1_saveexec_b32 s2, s2
	s_cbranch_execz .LBB219_254
.LBB219_263:
	v_add_f64 v[1:2], v[13:14], -v[1:2]
	s_delay_alu instid0(VALU_DEP_1) | instskip(NEXT) | instid1(VALU_DEP_1)
	v_mul_f64 v[1:2], v[1:2], 0.5
	v_cmp_gt_f64_e32 vcc_lo, 0x10000000, v[1:2]
	v_cndmask_b32_e64 v13, 0, 1, vcc_lo
	s_delay_alu instid0(VALU_DEP_1) | instskip(NEXT) | instid1(VALU_DEP_1)
	v_lshlrev_b32_e32 v13, 8, v13
	v_ldexp_f64 v[1:2], v[1:2], v13
	s_delay_alu instid0(VALU_DEP_1) | instskip(SKIP_3) | instid1(VALU_DEP_1)
	v_rsq_f64_e32 v[13:14], v[1:2]
	s_waitcnt_depctr 0xfff
	v_mul_f64 v[15:16], v[1:2], v[13:14]
	v_mul_f64 v[13:14], v[13:14], 0.5
	v_fma_f64 v[17:18], -v[13:14], v[15:16], 0.5
	s_delay_alu instid0(VALU_DEP_1) | instskip(SKIP_1) | instid1(VALU_DEP_2)
	v_fma_f64 v[15:16], v[15:16], v[17:18], v[15:16]
	v_fma_f64 v[13:14], v[13:14], v[17:18], v[13:14]
	v_fma_f64 v[17:18], -v[15:16], v[15:16], v[1:2]
	s_delay_alu instid0(VALU_DEP_1) | instskip(NEXT) | instid1(VALU_DEP_1)
	v_fma_f64 v[15:16], v[17:18], v[13:14], v[15:16]
	v_fma_f64 v[17:18], -v[15:16], v[15:16], v[1:2]
	s_delay_alu instid0(VALU_DEP_1) | instskip(SKIP_3) | instid1(VALU_DEP_3)
	v_fma_f64 v[13:14], v[17:18], v[13:14], v[15:16]
	v_cndmask_b32_e64 v15, 0, 0xffffff80, vcc_lo
	v_cmp_class_f64_e64 vcc_lo, v[1:2], 0x260
	v_and_b32_e32 v16, 0x7fffffff, v4
	v_ldexp_f64 v[13:14], v[13:14], v15
	s_delay_alu instid0(VALU_DEP_1) | instskip(NEXT) | instid1(VALU_DEP_1)
	v_dual_cndmask_b32 v14, v14, v2 :: v_dual_cndmask_b32 v13, v13, v1
	v_add_f64 v[1:2], v[13:14], v[13:14]
	v_bfi_b32 v14, 0x7fffffff, v14, v4
	v_mov_b32_e32 v15, v3
	s_delay_alu instid0(VALU_DEP_1) | instskip(SKIP_1) | instid1(VALU_DEP_2)
	v_div_scale_f64 v[17:18], null, v[1:2], v[1:2], v[15:16]
	v_div_scale_f64 v[15:16], vcc_lo, v[15:16], v[1:2], v[15:16]
	v_rcp_f64_e32 v[23:24], v[17:18]
	s_waitcnt_depctr 0xfff
	v_fma_f64 v[28:29], -v[17:18], v[23:24], 1.0
	s_delay_alu instid0(VALU_DEP_1) | instskip(NEXT) | instid1(VALU_DEP_1)
	v_fma_f64 v[23:24], v[23:24], v[28:29], v[23:24]
	v_fma_f64 v[28:29], -v[17:18], v[23:24], 1.0
	s_delay_alu instid0(VALU_DEP_1) | instskip(NEXT) | instid1(VALU_DEP_1)
	v_fma_f64 v[23:24], v[23:24], v[28:29], v[23:24]
	v_mul_f64 v[28:29], v[15:16], v[23:24]
	s_delay_alu instid0(VALU_DEP_1) | instskip(NEXT) | instid1(VALU_DEP_1)
	v_fma_f64 v[15:16], -v[17:18], v[28:29], v[15:16]
	v_div_fmas_f64 v[15:16], v[15:16], v[23:24], v[28:29]
	s_delay_alu instid0(VALU_DEP_1) | instskip(SKIP_3) | instid1(SALU_CYCLE_1)
	v_div_fixup_f64 v[1:2], v[15:16], v[1:2], |v[3:4]|
	v_dual_mov_b32 v3, v13 :: v_dual_mov_b32 v4, v14
	s_or_b32 exec_lo, exec_lo, s2
	s_and_saveexec_b32 s2, s1
	s_xor_b32 s1, exec_lo, s2
	s_cbranch_execnz .LBB219_255
.LBB219_264:
	s_and_not1_saveexec_b32 s1, s1
.LBB219_265:
	s_delay_alu instid0(VALU_DEP_2) | instskip(NEXT) | instid1(VALU_DEP_2)
	v_add_f64 v[1:2], v[1:2], v[1:2]
	v_add_f64 v[3:4], v[3:4], v[3:4]
.LBB219_266:
	s_or_b32 exec_lo, exec_lo, s1
.LBB219_267:
	s_and_not1_saveexec_b32 s1, s11
	s_cbranch_execz .LBB219_273
; %bb.268:
	s_delay_alu instid0(VALU_DEP_1) | instskip(SKIP_1) | instid1(VALU_DEP_3)
	v_add_f64 v[13:14], v[3:4], -v[3:4]
	s_mov_b32 s2, exec_lo
	v_cmpx_lt_i64_e32 -1, v[1:2]
	s_xor_b32 s2, exec_lo, s2
; %bb.269:
	s_delay_alu instid0(VALU_DEP_2) | instskip(NEXT) | instid1(VALU_DEP_1)
	v_bfi_b32 v14, 0x7fffffff, v14, v4
	v_dual_mov_b32 v3, v13 :: v_dual_mov_b32 v4, v14
                                        ; implicit-def: $vgpr13_vgpr14
; %bb.270:
	s_and_not1_saveexec_b32 s2, s2
; %bb.271:
	s_delay_alu instid0(VALU_DEP_1) | instskip(SKIP_1) | instid1(VALU_DEP_2)
	v_bfi_b32 v2, 0x7fffffff, v2, v4
	v_and_b32_e32 v14, 0x7fffffff, v14
	v_dual_mov_b32 v4, v2 :: v_dual_mov_b32 v3, v1
	s_delay_alu instid0(VALU_DEP_2)
	v_dual_mov_b32 v1, v13 :: v_dual_mov_b32 v2, v14
; %bb.272:
	s_or_b32 exec_lo, exec_lo, s2
.LBB219_273:
	s_delay_alu instid0(SALU_CYCLE_1)
	s_or_b32 exec_lo, exec_lo, s1
.LBB219_274:
	s_and_not1_saveexec_b32 s1, s9
; %bb.275:
	s_delay_alu instid0(VALU_DEP_1) | instskip(NEXT) | instid1(VALU_DEP_1)
	v_add_f64 v[3:4], v[3:4], -v[3:4]
	v_div_scale_f64 v[13:14], vcc_lo, v[3:4], v[3:4], v[3:4]
	s_delay_alu instid0(VALU_DEP_1) | instskip(SKIP_2) | instid1(VALU_DEP_1)
	v_rcp_f64_e32 v[15:16], v[13:14]
	s_waitcnt_depctr 0xfff
	v_fma_f64 v[17:18], -v[13:14], v[15:16], 1.0
	v_fma_f64 v[15:16], v[15:16], v[17:18], v[15:16]
	s_delay_alu instid0(VALU_DEP_1) | instskip(NEXT) | instid1(VALU_DEP_1)
	v_fma_f64 v[17:18], -v[13:14], v[15:16], 1.0
	v_fma_f64 v[15:16], v[15:16], v[17:18], v[15:16]
	s_delay_alu instid0(VALU_DEP_1) | instskip(NEXT) | instid1(VALU_DEP_1)
	v_mul_f64 v[17:18], v[13:14], v[15:16]
	v_fma_f64 v[13:14], -v[13:14], v[17:18], v[13:14]
	s_delay_alu instid0(VALU_DEP_1) | instskip(NEXT) | instid1(VALU_DEP_1)
	v_div_fmas_f64 v[13:14], v[13:14], v[15:16], v[17:18]
	v_div_fixup_f64 v[3:4], v[13:14], v[3:4], v[3:4]
; %bb.276:
	s_or_b32 exec_lo, exec_lo, s1
	v_dual_mov_b32 v16, v2 :: v_dual_mov_b32 v15, v1
.LBB219_277:
	s_or_b32 exec_lo, exec_lo, s7
.LBB219_278:
	s_delay_alu instid0(SALU_CYCLE_1) | instskip(NEXT) | instid1(VALU_DEP_2)
	s_or_b32 exec_lo, exec_lo, s6
	v_dual_mov_b32 v18, v4 :: v_dual_mov_b32 v17, v3
	s_or_b32 exec_lo, exec_lo, s3
	s_and_saveexec_b32 s1, s0
	s_delay_alu instid0(SALU_CYCLE_1)
	s_xor_b32 s0, exec_lo, s1
	s_cbranch_execnz .LBB219_259
.LBB219_279:
	s_or_b32 exec_lo, exec_lo, s0
	s_delay_alu instid0(SALU_CYCLE_1)
	s_mov_b32 s0, exec_lo
	v_cmpx_gt_i32_e64 s10, v0
	s_cbranch_execz .LBB219_260
.LBB219_280:
	v_dual_mov_b32 v2, 0 :: v_dual_add_nc_u32 v1, s8, v0
	v_add_nc_u32_e32 v0, 0x100, v0
	s_delay_alu instid0(VALU_DEP_2) | instskip(NEXT) | instid1(VALU_DEP_1)
	v_lshlrev_b64 v[1:2], 4, v[1:2]
	v_add_co_u32 v1, vcc_lo, s4, v1
	s_delay_alu instid0(VALU_DEP_2) | instskip(SKIP_2) | instid1(SALU_CYCLE_1)
	v_add_co_ci_u32_e32 v2, vcc_lo, s5, v2, vcc_lo
	global_store_b128 v[1:2], v[5:8], off
	s_or_b32 exec_lo, exec_lo, s0
	s_mov_b32 s0, exec_lo
	v_cmpx_gt_i32_e64 s10, v0
	s_cbranch_execnz .LBB219_261
.LBB219_281:
	s_or_b32 exec_lo, exec_lo, s0
	s_delay_alu instid0(SALU_CYCLE_1)
	s_mov_b32 s0, exec_lo
	v_cmpx_gt_i32_e64 s10, v0
	s_cbranch_execz .LBB219_283
.LBB219_282:
	v_dual_mov_b32 v1, 0 :: v_dual_add_nc_u32 v0, s8, v0
	s_delay_alu instid0(VALU_DEP_1) | instskip(NEXT) | instid1(VALU_DEP_1)
	v_lshlrev_b64 v[0:1], 4, v[0:1]
	v_add_co_u32 v0, vcc_lo, s4, v0
	s_delay_alu instid0(VALU_DEP_2)
	v_add_co_ci_u32_e32 v1, vcc_lo, s5, v1, vcc_lo
	global_store_b128 v[0:1], v[15:18], off
.LBB219_283:
	s_nop 0
	s_sendmsg sendmsg(MSG_DEALLOC_VGPRS)
	s_endpgm
	.section	.rodata,"a",@progbits
	.p2align	6, 0x0
	.amdhsa_kernel _ZN2at6native29vectorized_elementwise_kernelILi8EZZZNS0_16sqrt_kernel_cudaERNS_18TensorIteratorBaseEENKUlvE_clEvENKUlvE_clEvEUlN3c107complexIdEEE_St5arrayIPcLm2EEEEviT0_T1_
		.amdhsa_group_segment_fixed_size 0
		.amdhsa_private_segment_fixed_size 0
		.amdhsa_kernarg_size 24
		.amdhsa_user_sgpr_count 15
		.amdhsa_user_sgpr_dispatch_ptr 0
		.amdhsa_user_sgpr_queue_ptr 0
		.amdhsa_user_sgpr_kernarg_segment_ptr 1
		.amdhsa_user_sgpr_dispatch_id 0
		.amdhsa_user_sgpr_private_segment_size 0
		.amdhsa_wavefront_size32 1
		.amdhsa_uses_dynamic_stack 0
		.amdhsa_enable_private_segment 0
		.amdhsa_system_sgpr_workgroup_id_x 1
		.amdhsa_system_sgpr_workgroup_id_y 0
		.amdhsa_system_sgpr_workgroup_id_z 0
		.amdhsa_system_sgpr_workgroup_info 0
		.amdhsa_system_vgpr_workitem_id 0
		.amdhsa_next_free_vgpr 32
		.amdhsa_next_free_sgpr 17
		.amdhsa_reserve_vcc 1
		.amdhsa_float_round_mode_32 0
		.amdhsa_float_round_mode_16_64 0
		.amdhsa_float_denorm_mode_32 3
		.amdhsa_float_denorm_mode_16_64 3
		.amdhsa_dx10_clamp 1
		.amdhsa_ieee_mode 1
		.amdhsa_fp16_overflow 0
		.amdhsa_workgroup_processor_mode 1
		.amdhsa_memory_ordered 1
		.amdhsa_forward_progress 0
		.amdhsa_shared_vgpr_count 0
		.amdhsa_exception_fp_ieee_invalid_op 0
		.amdhsa_exception_fp_denorm_src 0
		.amdhsa_exception_fp_ieee_div_zero 0
		.amdhsa_exception_fp_ieee_overflow 0
		.amdhsa_exception_fp_ieee_underflow 0
		.amdhsa_exception_fp_ieee_inexact 0
		.amdhsa_exception_int_div_zero 0
	.end_amdhsa_kernel
	.section	.text._ZN2at6native29vectorized_elementwise_kernelILi8EZZZNS0_16sqrt_kernel_cudaERNS_18TensorIteratorBaseEENKUlvE_clEvENKUlvE_clEvEUlN3c107complexIdEEE_St5arrayIPcLm2EEEEviT0_T1_,"axG",@progbits,_ZN2at6native29vectorized_elementwise_kernelILi8EZZZNS0_16sqrt_kernel_cudaERNS_18TensorIteratorBaseEENKUlvE_clEvENKUlvE_clEvEUlN3c107complexIdEEE_St5arrayIPcLm2EEEEviT0_T1_,comdat
.Lfunc_end219:
	.size	_ZN2at6native29vectorized_elementwise_kernelILi8EZZZNS0_16sqrt_kernel_cudaERNS_18TensorIteratorBaseEENKUlvE_clEvENKUlvE_clEvEUlN3c107complexIdEEE_St5arrayIPcLm2EEEEviT0_T1_, .Lfunc_end219-_ZN2at6native29vectorized_elementwise_kernelILi8EZZZNS0_16sqrt_kernel_cudaERNS_18TensorIteratorBaseEENKUlvE_clEvENKUlvE_clEvEUlN3c107complexIdEEE_St5arrayIPcLm2EEEEviT0_T1_
                                        ; -- End function
	.section	.AMDGPU.csdata,"",@progbits
; Kernel info:
; codeLenInByte = 13824
; NumSgprs: 19
; NumVgprs: 32
; ScratchSize: 0
; MemoryBound: 1
; FloatMode: 240
; IeeeMode: 1
; LDSByteSize: 0 bytes/workgroup (compile time only)
; SGPRBlocks: 2
; VGPRBlocks: 3
; NumSGPRsForWavesPerEU: 19
; NumVGPRsForWavesPerEU: 32
; Occupancy: 16
; WaveLimiterHint : 0
; COMPUTE_PGM_RSRC2:SCRATCH_EN: 0
; COMPUTE_PGM_RSRC2:USER_SGPR: 15
; COMPUTE_PGM_RSRC2:TRAP_HANDLER: 0
; COMPUTE_PGM_RSRC2:TGID_X_EN: 1
; COMPUTE_PGM_RSRC2:TGID_Y_EN: 0
; COMPUTE_PGM_RSRC2:TGID_Z_EN: 0
; COMPUTE_PGM_RSRC2:TIDIG_COMP_CNT: 0
	.section	.text._ZN2at6native29vectorized_elementwise_kernelILi4EZZZNS0_16sqrt_kernel_cudaERNS_18TensorIteratorBaseEENKUlvE_clEvENKUlvE_clEvEUlN3c107complexIdEEE_St5arrayIPcLm2EEEEviT0_T1_,"axG",@progbits,_ZN2at6native29vectorized_elementwise_kernelILi4EZZZNS0_16sqrt_kernel_cudaERNS_18TensorIteratorBaseEENKUlvE_clEvENKUlvE_clEvEUlN3c107complexIdEEE_St5arrayIPcLm2EEEEviT0_T1_,comdat
	.globl	_ZN2at6native29vectorized_elementwise_kernelILi4EZZZNS0_16sqrt_kernel_cudaERNS_18TensorIteratorBaseEENKUlvE_clEvENKUlvE_clEvEUlN3c107complexIdEEE_St5arrayIPcLm2EEEEviT0_T1_ ; -- Begin function _ZN2at6native29vectorized_elementwise_kernelILi4EZZZNS0_16sqrt_kernel_cudaERNS_18TensorIteratorBaseEENKUlvE_clEvENKUlvE_clEvEUlN3c107complexIdEEE_St5arrayIPcLm2EEEEviT0_T1_
	.p2align	8
	.type	_ZN2at6native29vectorized_elementwise_kernelILi4EZZZNS0_16sqrt_kernel_cudaERNS_18TensorIteratorBaseEENKUlvE_clEvENKUlvE_clEvEUlN3c107complexIdEEE_St5arrayIPcLm2EEEEviT0_T1_,@function
_ZN2at6native29vectorized_elementwise_kernelILi4EZZZNS0_16sqrt_kernel_cudaERNS_18TensorIteratorBaseEENKUlvE_clEvENKUlvE_clEvEUlN3c107complexIdEEE_St5arrayIPcLm2EEEEviT0_T1_: ; @_ZN2at6native29vectorized_elementwise_kernelILi4EZZZNS0_16sqrt_kernel_cudaERNS_18TensorIteratorBaseEENKUlvE_clEvENKUlvE_clEvEUlN3c107complexIdEEE_St5arrayIPcLm2EEEEviT0_T1_
; %bb.0:
	s_clause 0x1
	s_load_b32 s2, s[0:1], 0x0
	s_load_b128 s[4:7], s[0:1], 0x8
	s_lshl_b32 s8, s15, 10
	s_mov_b32 s0, -1
	s_waitcnt lgkmcnt(0)
	s_sub_i32 s10, s2, s8
	s_delay_alu instid0(SALU_CYCLE_1)
	s_cmpk_gt_i32 s10, 0x3ff
	s_cbranch_scc0 .LBB220_130
; %bb.1:
	s_ashr_i32 s9, s8, 31
	v_lshlrev_b32_e32 v25, 6, v0
	s_lshl_b64 s[2:3], s[8:9], 4
	v_mov_b32_e32 v17, 0
	v_mov_b32_e32 v18, 0
	s_add_u32 s0, s6, s2
	s_addc_u32 s1, s7, s3
	s_clause 0x3
	global_load_b128 v[13:16], v25, s[0:1]
	global_load_b128 v[9:12], v25, s[0:1] offset:16
	global_load_b128 v[1:4], v25, s[0:1] offset:48
	;; [unrolled: 1-line block ×3, first 2 shown]
	v_dual_mov_b32 v22, v18 :: v_dual_mov_b32 v21, v17
	s_waitcnt vmcnt(3)
	v_cmp_neq_f64_e32 vcc_lo, 0, v[13:14]
	v_cmp_neq_f64_e64 s0, 0, v[15:16]
	s_delay_alu instid0(VALU_DEP_1) | instskip(NEXT) | instid1(SALU_CYCLE_1)
	s_or_b32 s0, vcc_lo, s0
	s_and_saveexec_b32 s9, s0
	s_cbranch_execz .LBB220_33
; %bb.2:
	s_mov_b32 s0, 0
	s_mov_b32 s1, 0x7ff00000
	v_mov_b32_e32 v21, s0
	v_mov_b32_e32 v22, s1
	s_mov_b32 s11, exec_lo
	v_cmpx_neq_f64_e64 0x7ff00000, |v[15:16]|
	s_cbranch_execz .LBB220_32
; %bb.3:
	s_mov_b32 s0, exec_lo
	v_cmpx_o_f64_e32 v[13:14], v[13:14]
	s_xor_b32 s12, exec_lo, s0
	s_cbranch_execz .LBB220_29
; %bb.4:
	s_mov_b32 s1, exec_lo
	v_cmpx_neq_f64_e64 0x7ff00000, |v[13:14]|
	s_xor_b32 s13, exec_lo, s1
	s_cbranch_execz .LBB220_22
; %bb.5:
	v_max_f64 v[19:20], |v[15:16]|, |v[15:16]|
	v_max_f64 v[21:22], |v[13:14]|, |v[13:14]|
	s_mov_b32 s0, 0x99fcef32
	s_mov_b32 s1, 0x7fda8279
                                        ; implicit-def: $sgpr14
	s_delay_alu instid0(VALU_DEP_1) | instskip(NEXT) | instid1(VALU_DEP_1)
	v_max_f64 v[19:20], v[21:22], v[19:20]
	v_cmp_nle_f64_e64 s0, s[0:1], v[19:20]
	s_delay_alu instid0(VALU_DEP_1) | instskip(NEXT) | instid1(SALU_CYCLE_1)
	s_and_saveexec_b32 s1, s0
	s_xor_b32 s1, exec_lo, s1
	s_cbranch_execz .LBB220_9
; %bb.6:
	v_cmp_ge_f64_e64 s14, 0x200000, |v[13:14]|
	v_cmp_ge_f64_e64 s15, 0x200000, |v[15:16]|
	s_delay_alu instid0(VALU_DEP_1)
	s_and_b32 s16, s14, s15
	s_mov_b32 s14, 0
	s_and_saveexec_b32 s15, s16
; %bb.7:
	v_mul_f64 v[13:14], v[13:14], 4.0
	v_mul_f64 v[15:16], v[15:16], 4.0
	s_mov_b32 s14, exec_lo
; %bb.8:
	s_or_b32 exec_lo, exec_lo, s15
	s_delay_alu instid0(SALU_CYCLE_1)
	s_and_b32 s14, s14, exec_lo
.LBB220_9:
	s_and_not1_saveexec_b32 s1, s1
; %bb.10:
	s_delay_alu instid0(VALU_DEP_2) | instskip(NEXT) | instid1(VALU_DEP_2)
	v_ldexp_f64 v[13:14], v[13:14], -2
	v_ldexp_f64 v[15:16], v[15:16], -2
	s_and_not1_b32 s14, s14, exec_lo
; %bb.11:
	s_or_b32 exec_lo, exec_lo, s1
	s_delay_alu instid0(VALU_DEP_1) | instskip(NEXT) | instid1(VALU_DEP_3)
	v_max_f64 v[19:20], |v[15:16]|, |v[15:16]|
	v_max_f64 v[21:22], |v[13:14]|, |v[13:14]|
	v_cmp_class_f64_e64 s15, v[13:14], 0x204
	v_cmp_class_f64_e64 s16, v[15:16], 0x204
	v_cmp_le_f64_e64 s1, 0, v[13:14]
	s_delay_alu instid0(VALU_DEP_4) | instskip(NEXT) | instid1(VALU_DEP_3)
	v_max_f64 v[19:20], v[21:22], v[19:20]
	s_or_b32 s15, s16, s15
	s_delay_alu instid0(VALU_DEP_1) | instskip(NEXT) | instid1(VALU_DEP_1)
	v_frexp_exp_i32_f64_e32 v28, v[19:20]
	v_sub_nc_u32_e32 v21, 0, v28
	s_delay_alu instid0(VALU_DEP_1) | instskip(SKIP_1) | instid1(VALU_DEP_2)
	v_ldexp_f64 v[19:20], |v[15:16]|, v21
	v_ldexp_f64 v[21:22], |v[13:14]|, v21
	v_mul_f64 v[19:20], v[19:20], v[19:20]
	s_delay_alu instid0(VALU_DEP_1) | instskip(NEXT) | instid1(VALU_DEP_1)
	v_fma_f64 v[19:20], v[21:22], v[21:22], v[19:20]
	v_rsq_f64_e32 v[21:22], v[19:20]
	v_cmp_eq_f64_e32 vcc_lo, 0, v[19:20]
	s_waitcnt_depctr 0xfff
	v_mul_f64 v[23:24], v[19:20], v[21:22]
	v_mul_f64 v[21:22], v[21:22], 0.5
	s_delay_alu instid0(VALU_DEP_1) | instskip(NEXT) | instid1(VALU_DEP_1)
	v_fma_f64 v[26:27], -v[21:22], v[23:24], 0.5
	v_fma_f64 v[23:24], v[23:24], v[26:27], v[23:24]
	v_fma_f64 v[21:22], v[21:22], v[26:27], v[21:22]
	s_delay_alu instid0(VALU_DEP_2) | instskip(NEXT) | instid1(VALU_DEP_1)
	v_fma_f64 v[26:27], -v[23:24], v[23:24], v[19:20]
	v_fma_f64 v[21:22], v[26:27], v[21:22], v[23:24]
	s_delay_alu instid0(VALU_DEP_1) | instskip(SKIP_1) | instid1(VALU_DEP_2)
	v_dual_cndmask_b32 v20, v22, v20 :: v_dual_cndmask_b32 v19, v21, v19
	v_cmp_o_f64_e32 vcc_lo, v[15:16], v[15:16]
	v_ldexp_f64 v[19:20], v[19:20], v28
	s_delay_alu instid0(VALU_DEP_1) | instskip(NEXT) | instid1(VALU_DEP_2)
	v_cndmask_b32_e32 v19, 0, v19, vcc_lo
	v_cndmask_b32_e32 v20, 0x7ff80000, v20, vcc_lo
	s_delay_alu instid0(VALU_DEP_2) | instskip(NEXT) | instid1(VALU_DEP_2)
	v_cndmask_b32_e64 v19, v19, 0, s15
	v_cndmask_b32_e64 v20, v20, 0x7ff00000, s15
	s_and_saveexec_b32 s15, s1
	s_delay_alu instid0(SALU_CYCLE_1)
	s_xor_b32 s1, exec_lo, s15
	s_cbranch_execz .LBB220_17
; %bb.12:
	s_delay_alu instid0(VALU_DEP_1) | instskip(NEXT) | instid1(VALU_DEP_1)
	v_add_f64 v[13:14], v[13:14], v[19:20]
	v_mul_f64 v[13:14], v[13:14], 0.5
	s_delay_alu instid0(VALU_DEP_1) | instskip(SKIP_1) | instid1(VALU_DEP_1)
	v_cmp_gt_f64_e32 vcc_lo, 0x10000000, v[13:14]
	v_cndmask_b32_e64 v19, 0, 1, vcc_lo
	v_lshlrev_b32_e32 v19, 8, v19
	s_delay_alu instid0(VALU_DEP_1) | instskip(NEXT) | instid1(VALU_DEP_1)
	v_ldexp_f64 v[13:14], v[13:14], v19
	v_rsq_f64_e32 v[19:20], v[13:14]
	s_waitcnt_depctr 0xfff
	v_mul_f64 v[21:22], v[13:14], v[19:20]
	v_mul_f64 v[19:20], v[19:20], 0.5
	s_delay_alu instid0(VALU_DEP_1) | instskip(NEXT) | instid1(VALU_DEP_1)
	v_fma_f64 v[23:24], -v[19:20], v[21:22], 0.5
	v_fma_f64 v[21:22], v[21:22], v[23:24], v[21:22]
	v_fma_f64 v[19:20], v[19:20], v[23:24], v[19:20]
	s_delay_alu instid0(VALU_DEP_2) | instskip(NEXT) | instid1(VALU_DEP_1)
	v_fma_f64 v[23:24], -v[21:22], v[21:22], v[13:14]
	v_fma_f64 v[21:22], v[23:24], v[19:20], v[21:22]
	s_delay_alu instid0(VALU_DEP_1) | instskip(NEXT) | instid1(VALU_DEP_1)
	v_fma_f64 v[23:24], -v[21:22], v[21:22], v[13:14]
	v_fma_f64 v[19:20], v[23:24], v[19:20], v[21:22]
	v_cndmask_b32_e64 v21, 0, 0xffffff80, vcc_lo
	v_cmp_class_f64_e64 vcc_lo, v[13:14], 0x260
	s_delay_alu instid0(VALU_DEP_2) | instskip(NEXT) | instid1(VALU_DEP_1)
	v_ldexp_f64 v[19:20], v[19:20], v21
	v_dual_cndmask_b32 v14, v20, v14 :: v_dual_cndmask_b32 v13, v19, v13
	s_delay_alu instid0(VALU_DEP_1) | instskip(NEXT) | instid1(VALU_DEP_1)
	v_add_f64 v[19:20], v[13:14], v[13:14]
	v_div_scale_f64 v[21:22], null, v[19:20], v[19:20], v[15:16]
	s_delay_alu instid0(VALU_DEP_1) | instskip(SKIP_2) | instid1(VALU_DEP_1)
	v_rcp_f64_e32 v[23:24], v[21:22]
	s_waitcnt_depctr 0xfff
	v_fma_f64 v[26:27], -v[21:22], v[23:24], 1.0
	v_fma_f64 v[23:24], v[23:24], v[26:27], v[23:24]
	s_delay_alu instid0(VALU_DEP_1) | instskip(NEXT) | instid1(VALU_DEP_1)
	v_fma_f64 v[26:27], -v[21:22], v[23:24], 1.0
	v_fma_f64 v[23:24], v[23:24], v[26:27], v[23:24]
	v_div_scale_f64 v[26:27], vcc_lo, v[15:16], v[19:20], v[15:16]
	s_delay_alu instid0(VALU_DEP_1) | instskip(NEXT) | instid1(VALU_DEP_1)
	v_mul_f64 v[28:29], v[26:27], v[23:24]
	v_fma_f64 v[21:22], -v[21:22], v[28:29], v[26:27]
	s_delay_alu instid0(VALU_DEP_1) | instskip(NEXT) | instid1(VALU_DEP_1)
	v_div_fmas_f64 v[21:22], v[21:22], v[23:24], v[28:29]
	v_div_fixup_f64 v[15:16], v[21:22], v[19:20], v[15:16]
                                        ; implicit-def: $vgpr19_vgpr20
	s_and_not1_saveexec_b32 s1, s1
	s_cbranch_execnz .LBB220_18
.LBB220_13:
	s_or_b32 exec_lo, exec_lo, s1
	s_and_saveexec_b32 s1, s0
	s_delay_alu instid0(SALU_CYCLE_1)
	s_xor_b32 s0, exec_lo, s1
	s_cbranch_execz .LBB220_19
.LBB220_14:
	s_and_saveexec_b32 s1, s14
; %bb.15:
	s_delay_alu instid0(VALU_DEP_2) | instskip(NEXT) | instid1(VALU_DEP_2)
	v_mul_f64 v[13:14], v[13:14], 0.5
	v_mul_f64 v[15:16], v[15:16], 0.5
; %bb.16:
	s_or_b32 exec_lo, exec_lo, s1
	s_and_not1_saveexec_b32 s0, s0
	s_cbranch_execnz .LBB220_20
	s_branch .LBB220_21
.LBB220_17:
	s_and_not1_saveexec_b32 s1, s1
	s_cbranch_execz .LBB220_13
.LBB220_18:
	v_add_f64 v[13:14], v[19:20], -v[13:14]
	s_delay_alu instid0(VALU_DEP_1) | instskip(NEXT) | instid1(VALU_DEP_1)
	v_mul_f64 v[13:14], v[13:14], 0.5
	v_cmp_gt_f64_e32 vcc_lo, 0x10000000, v[13:14]
	v_cndmask_b32_e64 v19, 0, 1, vcc_lo
	s_delay_alu instid0(VALU_DEP_1) | instskip(NEXT) | instid1(VALU_DEP_1)
	v_lshlrev_b32_e32 v19, 8, v19
	v_ldexp_f64 v[13:14], v[13:14], v19
	s_delay_alu instid0(VALU_DEP_1) | instskip(SKIP_3) | instid1(VALU_DEP_1)
	v_rsq_f64_e32 v[19:20], v[13:14]
	s_waitcnt_depctr 0xfff
	v_mul_f64 v[21:22], v[13:14], v[19:20]
	v_mul_f64 v[19:20], v[19:20], 0.5
	v_fma_f64 v[23:24], -v[19:20], v[21:22], 0.5
	s_delay_alu instid0(VALU_DEP_1) | instskip(SKIP_1) | instid1(VALU_DEP_2)
	v_fma_f64 v[21:22], v[21:22], v[23:24], v[21:22]
	v_fma_f64 v[19:20], v[19:20], v[23:24], v[19:20]
	v_fma_f64 v[23:24], -v[21:22], v[21:22], v[13:14]
	s_delay_alu instid0(VALU_DEP_1) | instskip(NEXT) | instid1(VALU_DEP_1)
	v_fma_f64 v[21:22], v[23:24], v[19:20], v[21:22]
	v_fma_f64 v[23:24], -v[21:22], v[21:22], v[13:14]
	s_delay_alu instid0(VALU_DEP_1) | instskip(SKIP_3) | instid1(VALU_DEP_3)
	v_fma_f64 v[19:20], v[23:24], v[19:20], v[21:22]
	v_cndmask_b32_e64 v21, 0, 0xffffff80, vcc_lo
	v_cmp_class_f64_e64 vcc_lo, v[13:14], 0x260
	v_and_b32_e32 v22, 0x7fffffff, v16
	v_ldexp_f64 v[19:20], v[19:20], v21
	s_delay_alu instid0(VALU_DEP_1) | instskip(NEXT) | instid1(VALU_DEP_1)
	v_dual_cndmask_b32 v20, v20, v14 :: v_dual_cndmask_b32 v19, v19, v13
	v_add_f64 v[13:14], v[19:20], v[19:20]
	v_bfi_b32 v20, 0x7fffffff, v20, v16
	v_mov_b32_e32 v21, v15
	s_delay_alu instid0(VALU_DEP_1) | instskip(SKIP_1) | instid1(VALU_DEP_2)
	v_div_scale_f64 v[23:24], null, v[13:14], v[13:14], v[21:22]
	v_div_scale_f64 v[21:22], vcc_lo, v[21:22], v[13:14], v[21:22]
	v_rcp_f64_e32 v[26:27], v[23:24]
	s_waitcnt_depctr 0xfff
	v_fma_f64 v[28:29], -v[23:24], v[26:27], 1.0
	s_delay_alu instid0(VALU_DEP_1) | instskip(NEXT) | instid1(VALU_DEP_1)
	v_fma_f64 v[26:27], v[26:27], v[28:29], v[26:27]
	v_fma_f64 v[28:29], -v[23:24], v[26:27], 1.0
	s_delay_alu instid0(VALU_DEP_1) | instskip(NEXT) | instid1(VALU_DEP_1)
	v_fma_f64 v[26:27], v[26:27], v[28:29], v[26:27]
	v_mul_f64 v[28:29], v[21:22], v[26:27]
	s_delay_alu instid0(VALU_DEP_1) | instskip(NEXT) | instid1(VALU_DEP_1)
	v_fma_f64 v[21:22], -v[23:24], v[28:29], v[21:22]
	v_div_fmas_f64 v[21:22], v[21:22], v[26:27], v[28:29]
	s_delay_alu instid0(VALU_DEP_1) | instskip(SKIP_3) | instid1(SALU_CYCLE_1)
	v_div_fixup_f64 v[13:14], v[21:22], v[13:14], |v[15:16]|
	v_dual_mov_b32 v15, v19 :: v_dual_mov_b32 v16, v20
	s_or_b32 exec_lo, exec_lo, s1
	s_and_saveexec_b32 s1, s0
	s_xor_b32 s0, exec_lo, s1
	s_cbranch_execnz .LBB220_14
.LBB220_19:
	s_and_not1_saveexec_b32 s0, s0
.LBB220_20:
	s_delay_alu instid0(VALU_DEP_2) | instskip(NEXT) | instid1(VALU_DEP_2)
	v_add_f64 v[13:14], v[13:14], v[13:14]
	v_add_f64 v[15:16], v[15:16], v[15:16]
.LBB220_21:
	s_or_b32 exec_lo, exec_lo, s0
.LBB220_22:
	s_and_not1_saveexec_b32 s0, s13
	s_cbranch_execz .LBB220_28
; %bb.23:
	s_delay_alu instid0(VALU_DEP_1) | instskip(SKIP_1) | instid1(VALU_DEP_3)
	v_add_f64 v[19:20], v[15:16], -v[15:16]
	s_mov_b32 s1, exec_lo
	v_cmpx_lt_i64_e32 -1, v[13:14]
	s_xor_b32 s1, exec_lo, s1
; %bb.24:
	s_delay_alu instid0(VALU_DEP_2) | instskip(NEXT) | instid1(VALU_DEP_1)
	v_bfi_b32 v20, 0x7fffffff, v20, v16
	v_dual_mov_b32 v15, v19 :: v_dual_mov_b32 v16, v20
                                        ; implicit-def: $vgpr19_vgpr20
; %bb.25:
	s_and_not1_saveexec_b32 s1, s1
; %bb.26:
	s_delay_alu instid0(VALU_DEP_1) | instskip(SKIP_1) | instid1(VALU_DEP_2)
	v_bfi_b32 v14, 0x7fffffff, v14, v16
	v_and_b32_e32 v20, 0x7fffffff, v20
	v_dual_mov_b32 v16, v14 :: v_dual_mov_b32 v15, v13
	s_delay_alu instid0(VALU_DEP_2)
	v_dual_mov_b32 v13, v19 :: v_dual_mov_b32 v14, v20
; %bb.27:
	s_or_b32 exec_lo, exec_lo, s1
.LBB220_28:
	s_delay_alu instid0(SALU_CYCLE_1)
	s_or_b32 exec_lo, exec_lo, s0
.LBB220_29:
	s_and_not1_saveexec_b32 s0, s12
; %bb.30:
	s_delay_alu instid0(VALU_DEP_1) | instskip(NEXT) | instid1(VALU_DEP_1)
	v_add_f64 v[15:16], v[15:16], -v[15:16]
	v_div_scale_f64 v[19:20], vcc_lo, v[15:16], v[15:16], v[15:16]
	s_delay_alu instid0(VALU_DEP_1) | instskip(SKIP_2) | instid1(VALU_DEP_1)
	v_rcp_f64_e32 v[21:22], v[19:20]
	s_waitcnt_depctr 0xfff
	v_fma_f64 v[23:24], -v[19:20], v[21:22], 1.0
	v_fma_f64 v[21:22], v[21:22], v[23:24], v[21:22]
	s_delay_alu instid0(VALU_DEP_1) | instskip(NEXT) | instid1(VALU_DEP_1)
	v_fma_f64 v[23:24], -v[19:20], v[21:22], 1.0
	v_fma_f64 v[21:22], v[21:22], v[23:24], v[21:22]
	s_delay_alu instid0(VALU_DEP_1) | instskip(NEXT) | instid1(VALU_DEP_1)
	v_mul_f64 v[23:24], v[19:20], v[21:22]
	v_fma_f64 v[19:20], -v[19:20], v[23:24], v[19:20]
	s_delay_alu instid0(VALU_DEP_1) | instskip(NEXT) | instid1(VALU_DEP_1)
	v_div_fmas_f64 v[19:20], v[19:20], v[21:22], v[23:24]
	v_div_fixup_f64 v[15:16], v[19:20], v[15:16], v[15:16]
; %bb.31:
	s_or_b32 exec_lo, exec_lo, s0
	v_dual_mov_b32 v22, v14 :: v_dual_mov_b32 v21, v13
.LBB220_32:
	s_or_b32 exec_lo, exec_lo, s11
.LBB220_33:
	s_delay_alu instid0(SALU_CYCLE_1) | instskip(SKIP_3) | instid1(VALU_DEP_1)
	s_or_b32 exec_lo, exec_lo, s9
	s_waitcnt vmcnt(2)
	v_cmp_neq_f64_e32 vcc_lo, 0, v[9:10]
	v_cmp_neq_f64_e64 s0, 0, v[11:12]
	s_or_b32 s0, vcc_lo, s0
	s_delay_alu instid0(SALU_CYCLE_1)
	s_and_saveexec_b32 s9, s0
	s_cbranch_execz .LBB220_65
; %bb.34:
	s_mov_b32 s0, 0
	s_mov_b32 s1, 0x7ff00000
	v_mov_b32_e32 v17, s0
	v_mov_b32_e32 v18, s1
	s_mov_b32 s11, exec_lo
	v_cmpx_neq_f64_e64 0x7ff00000, |v[11:12]|
	s_cbranch_execz .LBB220_64
; %bb.35:
	s_mov_b32 s0, exec_lo
	v_cmpx_o_f64_e32 v[9:10], v[9:10]
	s_xor_b32 s12, exec_lo, s0
	s_cbranch_execz .LBB220_61
; %bb.36:
	s_mov_b32 s1, exec_lo
	v_cmpx_neq_f64_e64 0x7ff00000, |v[9:10]|
	s_xor_b32 s13, exec_lo, s1
	s_cbranch_execz .LBB220_54
; %bb.37:
	v_max_f64 v[13:14], |v[11:12]|, |v[11:12]|
	v_max_f64 v[17:18], |v[9:10]|, |v[9:10]|
	s_mov_b32 s0, 0x99fcef32
	s_mov_b32 s1, 0x7fda8279
                                        ; implicit-def: $sgpr14
	s_delay_alu instid0(VALU_DEP_1) | instskip(NEXT) | instid1(VALU_DEP_1)
	v_max_f64 v[13:14], v[17:18], v[13:14]
	v_cmp_nle_f64_e64 s0, s[0:1], v[13:14]
	s_delay_alu instid0(VALU_DEP_1) | instskip(NEXT) | instid1(SALU_CYCLE_1)
	s_and_saveexec_b32 s1, s0
	s_xor_b32 s1, exec_lo, s1
	s_cbranch_execz .LBB220_41
; %bb.38:
	v_cmp_ge_f64_e64 s14, 0x200000, |v[9:10]|
	v_cmp_ge_f64_e64 s15, 0x200000, |v[11:12]|
	s_delay_alu instid0(VALU_DEP_1)
	s_and_b32 s16, s14, s15
	s_mov_b32 s14, 0
	s_and_saveexec_b32 s15, s16
; %bb.39:
	v_mul_f64 v[9:10], v[9:10], 4.0
	v_mul_f64 v[11:12], v[11:12], 4.0
	s_mov_b32 s14, exec_lo
; %bb.40:
	s_or_b32 exec_lo, exec_lo, s15
	s_delay_alu instid0(SALU_CYCLE_1)
	s_and_b32 s14, s14, exec_lo
.LBB220_41:
	s_and_not1_saveexec_b32 s1, s1
; %bb.42:
	s_delay_alu instid0(VALU_DEP_2) | instskip(NEXT) | instid1(VALU_DEP_2)
	v_ldexp_f64 v[9:10], v[9:10], -2
	v_ldexp_f64 v[11:12], v[11:12], -2
	s_and_not1_b32 s14, s14, exec_lo
; %bb.43:
	s_or_b32 exec_lo, exec_lo, s1
	s_delay_alu instid0(VALU_DEP_1) | instskip(NEXT) | instid1(VALU_DEP_3)
	v_max_f64 v[13:14], |v[11:12]|, |v[11:12]|
	v_max_f64 v[17:18], |v[9:10]|, |v[9:10]|
	v_cmp_class_f64_e64 s15, v[9:10], 0x204
	v_cmp_class_f64_e64 s16, v[11:12], 0x204
	v_cmp_le_f64_e64 s1, 0, v[9:10]
	s_delay_alu instid0(VALU_DEP_4) | instskip(NEXT) | instid1(VALU_DEP_3)
	v_max_f64 v[13:14], v[17:18], v[13:14]
	s_or_b32 s15, s16, s15
	s_delay_alu instid0(VALU_DEP_1) | instskip(NEXT) | instid1(VALU_DEP_1)
	v_frexp_exp_i32_f64_e32 v26, v[13:14]
	v_sub_nc_u32_e32 v17, 0, v26
	s_delay_alu instid0(VALU_DEP_1) | instskip(SKIP_1) | instid1(VALU_DEP_2)
	v_ldexp_f64 v[13:14], |v[11:12]|, v17
	v_ldexp_f64 v[17:18], |v[9:10]|, v17
	v_mul_f64 v[13:14], v[13:14], v[13:14]
	s_delay_alu instid0(VALU_DEP_1) | instskip(NEXT) | instid1(VALU_DEP_1)
	v_fma_f64 v[13:14], v[17:18], v[17:18], v[13:14]
	v_rsq_f64_e32 v[17:18], v[13:14]
	v_cmp_eq_f64_e32 vcc_lo, 0, v[13:14]
	s_waitcnt_depctr 0xfff
	v_mul_f64 v[19:20], v[13:14], v[17:18]
	v_mul_f64 v[17:18], v[17:18], 0.5
	s_delay_alu instid0(VALU_DEP_1) | instskip(NEXT) | instid1(VALU_DEP_1)
	v_fma_f64 v[23:24], -v[17:18], v[19:20], 0.5
	v_fma_f64 v[19:20], v[19:20], v[23:24], v[19:20]
	v_fma_f64 v[17:18], v[17:18], v[23:24], v[17:18]
	s_delay_alu instid0(VALU_DEP_2) | instskip(NEXT) | instid1(VALU_DEP_1)
	v_fma_f64 v[23:24], -v[19:20], v[19:20], v[13:14]
	v_fma_f64 v[17:18], v[23:24], v[17:18], v[19:20]
	s_delay_alu instid0(VALU_DEP_1) | instskip(SKIP_1) | instid1(VALU_DEP_2)
	v_dual_cndmask_b32 v14, v18, v14 :: v_dual_cndmask_b32 v13, v17, v13
	v_cmp_o_f64_e32 vcc_lo, v[11:12], v[11:12]
	v_ldexp_f64 v[13:14], v[13:14], v26
	s_delay_alu instid0(VALU_DEP_1) | instskip(NEXT) | instid1(VALU_DEP_2)
	v_cndmask_b32_e32 v13, 0, v13, vcc_lo
	v_cndmask_b32_e32 v14, 0x7ff80000, v14, vcc_lo
	s_delay_alu instid0(VALU_DEP_2) | instskip(NEXT) | instid1(VALU_DEP_2)
	v_cndmask_b32_e64 v13, v13, 0, s15
	v_cndmask_b32_e64 v14, v14, 0x7ff00000, s15
	s_and_saveexec_b32 s15, s1
	s_delay_alu instid0(SALU_CYCLE_1)
	s_xor_b32 s1, exec_lo, s15
	s_cbranch_execz .LBB220_49
; %bb.44:
	s_delay_alu instid0(VALU_DEP_1) | instskip(NEXT) | instid1(VALU_DEP_1)
	v_add_f64 v[9:10], v[9:10], v[13:14]
	v_mul_f64 v[9:10], v[9:10], 0.5
	s_delay_alu instid0(VALU_DEP_1) | instskip(SKIP_1) | instid1(VALU_DEP_1)
	v_cmp_gt_f64_e32 vcc_lo, 0x10000000, v[9:10]
	v_cndmask_b32_e64 v13, 0, 1, vcc_lo
	v_lshlrev_b32_e32 v13, 8, v13
	s_delay_alu instid0(VALU_DEP_1) | instskip(NEXT) | instid1(VALU_DEP_1)
	v_ldexp_f64 v[9:10], v[9:10], v13
	v_rsq_f64_e32 v[13:14], v[9:10]
	s_waitcnt_depctr 0xfff
	v_mul_f64 v[17:18], v[9:10], v[13:14]
	v_mul_f64 v[13:14], v[13:14], 0.5
	s_delay_alu instid0(VALU_DEP_1) | instskip(NEXT) | instid1(VALU_DEP_1)
	v_fma_f64 v[19:20], -v[13:14], v[17:18], 0.5
	v_fma_f64 v[17:18], v[17:18], v[19:20], v[17:18]
	v_fma_f64 v[13:14], v[13:14], v[19:20], v[13:14]
	s_delay_alu instid0(VALU_DEP_2) | instskip(NEXT) | instid1(VALU_DEP_1)
	v_fma_f64 v[19:20], -v[17:18], v[17:18], v[9:10]
	v_fma_f64 v[17:18], v[19:20], v[13:14], v[17:18]
	s_delay_alu instid0(VALU_DEP_1) | instskip(NEXT) | instid1(VALU_DEP_1)
	v_fma_f64 v[19:20], -v[17:18], v[17:18], v[9:10]
	v_fma_f64 v[13:14], v[19:20], v[13:14], v[17:18]
	v_cndmask_b32_e64 v17, 0, 0xffffff80, vcc_lo
	v_cmp_class_f64_e64 vcc_lo, v[9:10], 0x260
	s_delay_alu instid0(VALU_DEP_2) | instskip(NEXT) | instid1(VALU_DEP_1)
	v_ldexp_f64 v[13:14], v[13:14], v17
	v_dual_cndmask_b32 v10, v14, v10 :: v_dual_cndmask_b32 v9, v13, v9
	s_delay_alu instid0(VALU_DEP_1) | instskip(NEXT) | instid1(VALU_DEP_1)
	v_add_f64 v[13:14], v[9:10], v[9:10]
	v_div_scale_f64 v[17:18], null, v[13:14], v[13:14], v[11:12]
	s_delay_alu instid0(VALU_DEP_1) | instskip(SKIP_2) | instid1(VALU_DEP_1)
	v_rcp_f64_e32 v[19:20], v[17:18]
	s_waitcnt_depctr 0xfff
	v_fma_f64 v[23:24], -v[17:18], v[19:20], 1.0
	v_fma_f64 v[19:20], v[19:20], v[23:24], v[19:20]
	s_delay_alu instid0(VALU_DEP_1) | instskip(NEXT) | instid1(VALU_DEP_1)
	v_fma_f64 v[23:24], -v[17:18], v[19:20], 1.0
	v_fma_f64 v[19:20], v[19:20], v[23:24], v[19:20]
	v_div_scale_f64 v[23:24], vcc_lo, v[11:12], v[13:14], v[11:12]
	s_delay_alu instid0(VALU_DEP_1) | instskip(NEXT) | instid1(VALU_DEP_1)
	v_mul_f64 v[26:27], v[23:24], v[19:20]
	v_fma_f64 v[17:18], -v[17:18], v[26:27], v[23:24]
	s_delay_alu instid0(VALU_DEP_1) | instskip(NEXT) | instid1(VALU_DEP_1)
	v_div_fmas_f64 v[17:18], v[17:18], v[19:20], v[26:27]
	v_div_fixup_f64 v[11:12], v[17:18], v[13:14], v[11:12]
                                        ; implicit-def: $vgpr13_vgpr14
	s_and_not1_saveexec_b32 s1, s1
	s_cbranch_execnz .LBB220_50
.LBB220_45:
	s_or_b32 exec_lo, exec_lo, s1
	s_and_saveexec_b32 s1, s0
	s_delay_alu instid0(SALU_CYCLE_1)
	s_xor_b32 s0, exec_lo, s1
	s_cbranch_execz .LBB220_51
.LBB220_46:
	s_and_saveexec_b32 s1, s14
; %bb.47:
	s_delay_alu instid0(VALU_DEP_2) | instskip(NEXT) | instid1(VALU_DEP_2)
	v_mul_f64 v[9:10], v[9:10], 0.5
	v_mul_f64 v[11:12], v[11:12], 0.5
; %bb.48:
	s_or_b32 exec_lo, exec_lo, s1
	s_and_not1_saveexec_b32 s0, s0
	s_cbranch_execnz .LBB220_52
	s_branch .LBB220_53
.LBB220_49:
	s_and_not1_saveexec_b32 s1, s1
	s_cbranch_execz .LBB220_45
.LBB220_50:
	v_add_f64 v[9:10], v[13:14], -v[9:10]
	s_delay_alu instid0(VALU_DEP_1) | instskip(NEXT) | instid1(VALU_DEP_1)
	v_mul_f64 v[9:10], v[9:10], 0.5
	v_cmp_gt_f64_e32 vcc_lo, 0x10000000, v[9:10]
	v_cndmask_b32_e64 v13, 0, 1, vcc_lo
	s_delay_alu instid0(VALU_DEP_1) | instskip(NEXT) | instid1(VALU_DEP_1)
	v_lshlrev_b32_e32 v13, 8, v13
	v_ldexp_f64 v[9:10], v[9:10], v13
	s_delay_alu instid0(VALU_DEP_1) | instskip(SKIP_3) | instid1(VALU_DEP_1)
	v_rsq_f64_e32 v[13:14], v[9:10]
	s_waitcnt_depctr 0xfff
	v_mul_f64 v[17:18], v[9:10], v[13:14]
	v_mul_f64 v[13:14], v[13:14], 0.5
	v_fma_f64 v[19:20], -v[13:14], v[17:18], 0.5
	s_delay_alu instid0(VALU_DEP_1) | instskip(SKIP_1) | instid1(VALU_DEP_2)
	v_fma_f64 v[17:18], v[17:18], v[19:20], v[17:18]
	v_fma_f64 v[13:14], v[13:14], v[19:20], v[13:14]
	v_fma_f64 v[19:20], -v[17:18], v[17:18], v[9:10]
	s_delay_alu instid0(VALU_DEP_1) | instskip(NEXT) | instid1(VALU_DEP_1)
	v_fma_f64 v[17:18], v[19:20], v[13:14], v[17:18]
	v_fma_f64 v[19:20], -v[17:18], v[17:18], v[9:10]
	s_delay_alu instid0(VALU_DEP_1) | instskip(SKIP_3) | instid1(VALU_DEP_3)
	v_fma_f64 v[13:14], v[19:20], v[13:14], v[17:18]
	v_cndmask_b32_e64 v17, 0, 0xffffff80, vcc_lo
	v_cmp_class_f64_e64 vcc_lo, v[9:10], 0x260
	v_and_b32_e32 v18, 0x7fffffff, v12
	v_ldexp_f64 v[13:14], v[13:14], v17
	s_delay_alu instid0(VALU_DEP_1) | instskip(NEXT) | instid1(VALU_DEP_1)
	v_dual_cndmask_b32 v14, v14, v10 :: v_dual_cndmask_b32 v13, v13, v9
	v_add_f64 v[9:10], v[13:14], v[13:14]
	v_bfi_b32 v14, 0x7fffffff, v14, v12
	v_mov_b32_e32 v17, v11
	s_delay_alu instid0(VALU_DEP_1) | instskip(SKIP_1) | instid1(VALU_DEP_2)
	v_div_scale_f64 v[19:20], null, v[9:10], v[9:10], v[17:18]
	v_div_scale_f64 v[17:18], vcc_lo, v[17:18], v[9:10], v[17:18]
	v_rcp_f64_e32 v[23:24], v[19:20]
	s_waitcnt_depctr 0xfff
	v_fma_f64 v[26:27], -v[19:20], v[23:24], 1.0
	s_delay_alu instid0(VALU_DEP_1) | instskip(NEXT) | instid1(VALU_DEP_1)
	v_fma_f64 v[23:24], v[23:24], v[26:27], v[23:24]
	v_fma_f64 v[26:27], -v[19:20], v[23:24], 1.0
	s_delay_alu instid0(VALU_DEP_1) | instskip(NEXT) | instid1(VALU_DEP_1)
	v_fma_f64 v[23:24], v[23:24], v[26:27], v[23:24]
	v_mul_f64 v[26:27], v[17:18], v[23:24]
	s_delay_alu instid0(VALU_DEP_1) | instskip(NEXT) | instid1(VALU_DEP_1)
	v_fma_f64 v[17:18], -v[19:20], v[26:27], v[17:18]
	v_div_fmas_f64 v[17:18], v[17:18], v[23:24], v[26:27]
	s_delay_alu instid0(VALU_DEP_1) | instskip(SKIP_3) | instid1(SALU_CYCLE_1)
	v_div_fixup_f64 v[9:10], v[17:18], v[9:10], |v[11:12]|
	v_dual_mov_b32 v11, v13 :: v_dual_mov_b32 v12, v14
	s_or_b32 exec_lo, exec_lo, s1
	s_and_saveexec_b32 s1, s0
	s_xor_b32 s0, exec_lo, s1
	s_cbranch_execnz .LBB220_46
.LBB220_51:
	s_and_not1_saveexec_b32 s0, s0
.LBB220_52:
	s_delay_alu instid0(VALU_DEP_2) | instskip(NEXT) | instid1(VALU_DEP_2)
	v_add_f64 v[9:10], v[9:10], v[9:10]
	v_add_f64 v[11:12], v[11:12], v[11:12]
.LBB220_53:
	s_or_b32 exec_lo, exec_lo, s0
.LBB220_54:
	s_and_not1_saveexec_b32 s0, s13
	s_cbranch_execz .LBB220_60
; %bb.55:
	s_delay_alu instid0(VALU_DEP_1) | instskip(SKIP_1) | instid1(VALU_DEP_3)
	v_add_f64 v[13:14], v[11:12], -v[11:12]
	s_mov_b32 s1, exec_lo
	v_cmpx_lt_i64_e32 -1, v[9:10]
	s_xor_b32 s1, exec_lo, s1
; %bb.56:
	s_delay_alu instid0(VALU_DEP_2) | instskip(NEXT) | instid1(VALU_DEP_1)
	v_bfi_b32 v14, 0x7fffffff, v14, v12
	v_dual_mov_b32 v11, v13 :: v_dual_mov_b32 v12, v14
                                        ; implicit-def: $vgpr13_vgpr14
; %bb.57:
	s_and_not1_saveexec_b32 s1, s1
; %bb.58:
	s_delay_alu instid0(VALU_DEP_1) | instskip(SKIP_1) | instid1(VALU_DEP_2)
	v_bfi_b32 v10, 0x7fffffff, v10, v12
	v_and_b32_e32 v14, 0x7fffffff, v14
	v_dual_mov_b32 v12, v10 :: v_dual_mov_b32 v11, v9
	s_delay_alu instid0(VALU_DEP_2)
	v_dual_mov_b32 v9, v13 :: v_dual_mov_b32 v10, v14
; %bb.59:
	s_or_b32 exec_lo, exec_lo, s1
.LBB220_60:
	s_delay_alu instid0(SALU_CYCLE_1)
	s_or_b32 exec_lo, exec_lo, s0
.LBB220_61:
	s_and_not1_saveexec_b32 s0, s12
; %bb.62:
	s_delay_alu instid0(VALU_DEP_1) | instskip(NEXT) | instid1(VALU_DEP_1)
	v_add_f64 v[11:12], v[11:12], -v[11:12]
	v_div_scale_f64 v[13:14], vcc_lo, v[11:12], v[11:12], v[11:12]
	s_delay_alu instid0(VALU_DEP_1) | instskip(SKIP_2) | instid1(VALU_DEP_1)
	v_rcp_f64_e32 v[17:18], v[13:14]
	s_waitcnt_depctr 0xfff
	v_fma_f64 v[19:20], -v[13:14], v[17:18], 1.0
	v_fma_f64 v[17:18], v[17:18], v[19:20], v[17:18]
	s_delay_alu instid0(VALU_DEP_1) | instskip(NEXT) | instid1(VALU_DEP_1)
	v_fma_f64 v[19:20], -v[13:14], v[17:18], 1.0
	v_fma_f64 v[17:18], v[17:18], v[19:20], v[17:18]
	s_delay_alu instid0(VALU_DEP_1) | instskip(NEXT) | instid1(VALU_DEP_1)
	v_mul_f64 v[19:20], v[13:14], v[17:18]
	v_fma_f64 v[13:14], -v[13:14], v[19:20], v[13:14]
	s_delay_alu instid0(VALU_DEP_1) | instskip(NEXT) | instid1(VALU_DEP_1)
	v_div_fmas_f64 v[13:14], v[13:14], v[17:18], v[19:20]
	v_div_fixup_f64 v[11:12], v[13:14], v[11:12], v[11:12]
; %bb.63:
	s_or_b32 exec_lo, exec_lo, s0
	v_dual_mov_b32 v18, v10 :: v_dual_mov_b32 v17, v9
.LBB220_64:
	s_or_b32 exec_lo, exec_lo, s11
.LBB220_65:
	s_delay_alu instid0(SALU_CYCLE_1)
	s_or_b32 exec_lo, exec_lo, s9
	s_waitcnt vmcnt(0)
	v_cmp_neq_f64_e32 vcc_lo, 0, v[5:6]
	v_cmp_neq_f64_e64 s0, 0, v[7:8]
	v_mov_b32_e32 v9, 0
	v_mov_b32_e32 v10, 0
	s_delay_alu instid0(VALU_DEP_1) | instskip(NEXT) | instid1(VALU_DEP_4)
	v_dual_mov_b32 v14, v10 :: v_dual_mov_b32 v13, v9
	s_or_b32 s0, vcc_lo, s0
	s_delay_alu instid0(SALU_CYCLE_1)
	s_and_saveexec_b32 s9, s0
	s_cbranch_execz .LBB220_97
; %bb.66:
	s_mov_b32 s0, 0
	s_mov_b32 s1, 0x7ff00000
	v_mov_b32_e32 v13, s0
	v_mov_b32_e32 v14, s1
	s_mov_b32 s11, exec_lo
	v_cmpx_neq_f64_e64 0x7ff00000, |v[7:8]|
	s_cbranch_execz .LBB220_96
; %bb.67:
	s_mov_b32 s0, exec_lo
	v_cmpx_o_f64_e32 v[5:6], v[5:6]
	s_xor_b32 s12, exec_lo, s0
	s_cbranch_execz .LBB220_93
; %bb.68:
	s_mov_b32 s1, exec_lo
	v_cmpx_neq_f64_e64 0x7ff00000, |v[5:6]|
	s_xor_b32 s13, exec_lo, s1
	s_cbranch_execz .LBB220_86
; %bb.69:
	v_max_f64 v[13:14], |v[7:8]|, |v[7:8]|
	v_max_f64 v[19:20], |v[5:6]|, |v[5:6]|
	s_mov_b32 s0, 0x99fcef32
	s_mov_b32 s1, 0x7fda8279
                                        ; implicit-def: $sgpr14
	s_delay_alu instid0(VALU_DEP_1) | instskip(NEXT) | instid1(VALU_DEP_1)
	v_max_f64 v[13:14], v[19:20], v[13:14]
	v_cmp_nle_f64_e64 s0, s[0:1], v[13:14]
	s_delay_alu instid0(VALU_DEP_1) | instskip(NEXT) | instid1(SALU_CYCLE_1)
	s_and_saveexec_b32 s1, s0
	s_xor_b32 s1, exec_lo, s1
	s_cbranch_execz .LBB220_73
; %bb.70:
	v_cmp_ge_f64_e64 s14, 0x200000, |v[5:6]|
	v_cmp_ge_f64_e64 s15, 0x200000, |v[7:8]|
	s_delay_alu instid0(VALU_DEP_1)
	s_and_b32 s16, s14, s15
	s_mov_b32 s14, 0
	s_and_saveexec_b32 s15, s16
; %bb.71:
	v_mul_f64 v[5:6], v[5:6], 4.0
	v_mul_f64 v[7:8], v[7:8], 4.0
	s_mov_b32 s14, exec_lo
; %bb.72:
	s_or_b32 exec_lo, exec_lo, s15
	s_delay_alu instid0(SALU_CYCLE_1)
	s_and_b32 s14, s14, exec_lo
.LBB220_73:
	s_and_not1_saveexec_b32 s1, s1
; %bb.74:
	s_delay_alu instid0(VALU_DEP_2) | instskip(NEXT) | instid1(VALU_DEP_2)
	v_ldexp_f64 v[5:6], v[5:6], -2
	v_ldexp_f64 v[7:8], v[7:8], -2
	s_and_not1_b32 s14, s14, exec_lo
; %bb.75:
	s_or_b32 exec_lo, exec_lo, s1
	s_delay_alu instid0(VALU_DEP_1) | instskip(NEXT) | instid1(VALU_DEP_3)
	v_max_f64 v[13:14], |v[7:8]|, |v[7:8]|
	v_max_f64 v[19:20], |v[5:6]|, |v[5:6]|
	v_cmp_class_f64_e64 s15, v[5:6], 0x204
	v_cmp_class_f64_e64 s16, v[7:8], 0x204
	v_cmp_le_f64_e64 s1, 0, v[5:6]
	s_delay_alu instid0(VALU_DEP_4) | instskip(NEXT) | instid1(VALU_DEP_3)
	v_max_f64 v[13:14], v[19:20], v[13:14]
	s_or_b32 s15, s16, s15
	s_delay_alu instid0(VALU_DEP_1) | instskip(NEXT) | instid1(VALU_DEP_1)
	v_frexp_exp_i32_f64_e32 v28, v[13:14]
	v_sub_nc_u32_e32 v19, 0, v28
	s_delay_alu instid0(VALU_DEP_1) | instskip(SKIP_1) | instid1(VALU_DEP_2)
	v_ldexp_f64 v[13:14], |v[7:8]|, v19
	v_ldexp_f64 v[19:20], |v[5:6]|, v19
	v_mul_f64 v[13:14], v[13:14], v[13:14]
	s_delay_alu instid0(VALU_DEP_1) | instskip(NEXT) | instid1(VALU_DEP_1)
	v_fma_f64 v[13:14], v[19:20], v[19:20], v[13:14]
	v_rsq_f64_e32 v[19:20], v[13:14]
	v_cmp_eq_f64_e32 vcc_lo, 0, v[13:14]
	s_waitcnt_depctr 0xfff
	v_mul_f64 v[23:24], v[13:14], v[19:20]
	v_mul_f64 v[19:20], v[19:20], 0.5
	s_delay_alu instid0(VALU_DEP_1) | instskip(NEXT) | instid1(VALU_DEP_1)
	v_fma_f64 v[26:27], -v[19:20], v[23:24], 0.5
	v_fma_f64 v[23:24], v[23:24], v[26:27], v[23:24]
	v_fma_f64 v[19:20], v[19:20], v[26:27], v[19:20]
	s_delay_alu instid0(VALU_DEP_2) | instskip(NEXT) | instid1(VALU_DEP_1)
	v_fma_f64 v[26:27], -v[23:24], v[23:24], v[13:14]
	v_fma_f64 v[19:20], v[26:27], v[19:20], v[23:24]
	s_delay_alu instid0(VALU_DEP_1) | instskip(SKIP_1) | instid1(VALU_DEP_2)
	v_dual_cndmask_b32 v14, v20, v14 :: v_dual_cndmask_b32 v13, v19, v13
	v_cmp_o_f64_e32 vcc_lo, v[7:8], v[7:8]
	v_ldexp_f64 v[13:14], v[13:14], v28
	s_delay_alu instid0(VALU_DEP_1) | instskip(NEXT) | instid1(VALU_DEP_2)
	v_cndmask_b32_e32 v13, 0, v13, vcc_lo
	v_cndmask_b32_e32 v14, 0x7ff80000, v14, vcc_lo
	s_delay_alu instid0(VALU_DEP_2) | instskip(NEXT) | instid1(VALU_DEP_2)
	v_cndmask_b32_e64 v13, v13, 0, s15
	v_cndmask_b32_e64 v14, v14, 0x7ff00000, s15
	s_and_saveexec_b32 s15, s1
	s_delay_alu instid0(SALU_CYCLE_1)
	s_xor_b32 s1, exec_lo, s15
	s_cbranch_execz .LBB220_81
; %bb.76:
	s_delay_alu instid0(VALU_DEP_1) | instskip(NEXT) | instid1(VALU_DEP_1)
	v_add_f64 v[5:6], v[5:6], v[13:14]
	v_mul_f64 v[5:6], v[5:6], 0.5
	s_delay_alu instid0(VALU_DEP_1) | instskip(SKIP_1) | instid1(VALU_DEP_1)
	v_cmp_gt_f64_e32 vcc_lo, 0x10000000, v[5:6]
	v_cndmask_b32_e64 v13, 0, 1, vcc_lo
	v_lshlrev_b32_e32 v13, 8, v13
	s_delay_alu instid0(VALU_DEP_1) | instskip(NEXT) | instid1(VALU_DEP_1)
	v_ldexp_f64 v[5:6], v[5:6], v13
	v_rsq_f64_e32 v[13:14], v[5:6]
	s_waitcnt_depctr 0xfff
	v_mul_f64 v[19:20], v[5:6], v[13:14]
	v_mul_f64 v[13:14], v[13:14], 0.5
	s_delay_alu instid0(VALU_DEP_1) | instskip(NEXT) | instid1(VALU_DEP_1)
	v_fma_f64 v[23:24], -v[13:14], v[19:20], 0.5
	v_fma_f64 v[19:20], v[19:20], v[23:24], v[19:20]
	v_fma_f64 v[13:14], v[13:14], v[23:24], v[13:14]
	s_delay_alu instid0(VALU_DEP_2) | instskip(NEXT) | instid1(VALU_DEP_1)
	v_fma_f64 v[23:24], -v[19:20], v[19:20], v[5:6]
	v_fma_f64 v[19:20], v[23:24], v[13:14], v[19:20]
	s_delay_alu instid0(VALU_DEP_1) | instskip(NEXT) | instid1(VALU_DEP_1)
	v_fma_f64 v[23:24], -v[19:20], v[19:20], v[5:6]
	v_fma_f64 v[13:14], v[23:24], v[13:14], v[19:20]
	v_cndmask_b32_e64 v19, 0, 0xffffff80, vcc_lo
	v_cmp_class_f64_e64 vcc_lo, v[5:6], 0x260
	s_delay_alu instid0(VALU_DEP_2) | instskip(NEXT) | instid1(VALU_DEP_1)
	v_ldexp_f64 v[13:14], v[13:14], v19
	v_dual_cndmask_b32 v6, v14, v6 :: v_dual_cndmask_b32 v5, v13, v5
	s_delay_alu instid0(VALU_DEP_1) | instskip(NEXT) | instid1(VALU_DEP_1)
	v_add_f64 v[13:14], v[5:6], v[5:6]
	v_div_scale_f64 v[19:20], null, v[13:14], v[13:14], v[7:8]
	s_delay_alu instid0(VALU_DEP_1) | instskip(SKIP_2) | instid1(VALU_DEP_1)
	v_rcp_f64_e32 v[23:24], v[19:20]
	s_waitcnt_depctr 0xfff
	v_fma_f64 v[26:27], -v[19:20], v[23:24], 1.0
	v_fma_f64 v[23:24], v[23:24], v[26:27], v[23:24]
	s_delay_alu instid0(VALU_DEP_1) | instskip(NEXT) | instid1(VALU_DEP_1)
	v_fma_f64 v[26:27], -v[19:20], v[23:24], 1.0
	v_fma_f64 v[23:24], v[23:24], v[26:27], v[23:24]
	v_div_scale_f64 v[26:27], vcc_lo, v[7:8], v[13:14], v[7:8]
	s_delay_alu instid0(VALU_DEP_1) | instskip(NEXT) | instid1(VALU_DEP_1)
	v_mul_f64 v[28:29], v[26:27], v[23:24]
	v_fma_f64 v[19:20], -v[19:20], v[28:29], v[26:27]
	s_delay_alu instid0(VALU_DEP_1) | instskip(NEXT) | instid1(VALU_DEP_1)
	v_div_fmas_f64 v[19:20], v[19:20], v[23:24], v[28:29]
	v_div_fixup_f64 v[7:8], v[19:20], v[13:14], v[7:8]
                                        ; implicit-def: $vgpr13_vgpr14
	s_and_not1_saveexec_b32 s1, s1
	s_cbranch_execnz .LBB220_82
.LBB220_77:
	s_or_b32 exec_lo, exec_lo, s1
	s_and_saveexec_b32 s1, s0
	s_delay_alu instid0(SALU_CYCLE_1)
	s_xor_b32 s0, exec_lo, s1
	s_cbranch_execz .LBB220_83
.LBB220_78:
	s_and_saveexec_b32 s1, s14
; %bb.79:
	s_delay_alu instid0(VALU_DEP_2) | instskip(NEXT) | instid1(VALU_DEP_2)
	v_mul_f64 v[5:6], v[5:6], 0.5
	v_mul_f64 v[7:8], v[7:8], 0.5
; %bb.80:
	s_or_b32 exec_lo, exec_lo, s1
	s_and_not1_saveexec_b32 s0, s0
	s_cbranch_execnz .LBB220_84
	s_branch .LBB220_85
.LBB220_81:
	s_and_not1_saveexec_b32 s1, s1
	s_cbranch_execz .LBB220_77
.LBB220_82:
	v_add_f64 v[5:6], v[13:14], -v[5:6]
	s_delay_alu instid0(VALU_DEP_1) | instskip(NEXT) | instid1(VALU_DEP_1)
	v_mul_f64 v[5:6], v[5:6], 0.5
	v_cmp_gt_f64_e32 vcc_lo, 0x10000000, v[5:6]
	v_cndmask_b32_e64 v13, 0, 1, vcc_lo
	s_delay_alu instid0(VALU_DEP_1) | instskip(NEXT) | instid1(VALU_DEP_1)
	v_lshlrev_b32_e32 v13, 8, v13
	v_ldexp_f64 v[5:6], v[5:6], v13
	s_delay_alu instid0(VALU_DEP_1) | instskip(SKIP_3) | instid1(VALU_DEP_1)
	v_rsq_f64_e32 v[13:14], v[5:6]
	s_waitcnt_depctr 0xfff
	v_mul_f64 v[19:20], v[5:6], v[13:14]
	v_mul_f64 v[13:14], v[13:14], 0.5
	v_fma_f64 v[23:24], -v[13:14], v[19:20], 0.5
	s_delay_alu instid0(VALU_DEP_1) | instskip(SKIP_1) | instid1(VALU_DEP_2)
	v_fma_f64 v[19:20], v[19:20], v[23:24], v[19:20]
	v_fma_f64 v[13:14], v[13:14], v[23:24], v[13:14]
	v_fma_f64 v[23:24], -v[19:20], v[19:20], v[5:6]
	s_delay_alu instid0(VALU_DEP_1) | instskip(NEXT) | instid1(VALU_DEP_1)
	v_fma_f64 v[19:20], v[23:24], v[13:14], v[19:20]
	v_fma_f64 v[23:24], -v[19:20], v[19:20], v[5:6]
	s_delay_alu instid0(VALU_DEP_1) | instskip(SKIP_3) | instid1(VALU_DEP_3)
	v_fma_f64 v[13:14], v[23:24], v[13:14], v[19:20]
	v_cndmask_b32_e64 v19, 0, 0xffffff80, vcc_lo
	v_cmp_class_f64_e64 vcc_lo, v[5:6], 0x260
	v_and_b32_e32 v20, 0x7fffffff, v8
	v_ldexp_f64 v[13:14], v[13:14], v19
	s_delay_alu instid0(VALU_DEP_1) | instskip(NEXT) | instid1(VALU_DEP_1)
	v_dual_cndmask_b32 v14, v14, v6 :: v_dual_cndmask_b32 v13, v13, v5
	v_add_f64 v[5:6], v[13:14], v[13:14]
	v_bfi_b32 v14, 0x7fffffff, v14, v8
	v_mov_b32_e32 v19, v7
	s_delay_alu instid0(VALU_DEP_1) | instskip(SKIP_1) | instid1(VALU_DEP_2)
	v_div_scale_f64 v[23:24], null, v[5:6], v[5:6], v[19:20]
	v_div_scale_f64 v[19:20], vcc_lo, v[19:20], v[5:6], v[19:20]
	v_rcp_f64_e32 v[26:27], v[23:24]
	s_waitcnt_depctr 0xfff
	v_fma_f64 v[28:29], -v[23:24], v[26:27], 1.0
	s_delay_alu instid0(VALU_DEP_1) | instskip(NEXT) | instid1(VALU_DEP_1)
	v_fma_f64 v[26:27], v[26:27], v[28:29], v[26:27]
	v_fma_f64 v[28:29], -v[23:24], v[26:27], 1.0
	s_delay_alu instid0(VALU_DEP_1) | instskip(NEXT) | instid1(VALU_DEP_1)
	v_fma_f64 v[26:27], v[26:27], v[28:29], v[26:27]
	v_mul_f64 v[28:29], v[19:20], v[26:27]
	s_delay_alu instid0(VALU_DEP_1) | instskip(NEXT) | instid1(VALU_DEP_1)
	v_fma_f64 v[19:20], -v[23:24], v[28:29], v[19:20]
	v_div_fmas_f64 v[19:20], v[19:20], v[26:27], v[28:29]
	s_delay_alu instid0(VALU_DEP_1) | instskip(SKIP_3) | instid1(SALU_CYCLE_1)
	v_div_fixup_f64 v[5:6], v[19:20], v[5:6], |v[7:8]|
	v_dual_mov_b32 v7, v13 :: v_dual_mov_b32 v8, v14
	s_or_b32 exec_lo, exec_lo, s1
	s_and_saveexec_b32 s1, s0
	s_xor_b32 s0, exec_lo, s1
	s_cbranch_execnz .LBB220_78
.LBB220_83:
	s_and_not1_saveexec_b32 s0, s0
.LBB220_84:
	s_delay_alu instid0(VALU_DEP_2) | instskip(NEXT) | instid1(VALU_DEP_2)
	v_add_f64 v[5:6], v[5:6], v[5:6]
	v_add_f64 v[7:8], v[7:8], v[7:8]
.LBB220_85:
	s_or_b32 exec_lo, exec_lo, s0
.LBB220_86:
	s_and_not1_saveexec_b32 s0, s13
	s_cbranch_execz .LBB220_92
; %bb.87:
	s_delay_alu instid0(VALU_DEP_1) | instskip(SKIP_1) | instid1(VALU_DEP_3)
	v_add_f64 v[13:14], v[7:8], -v[7:8]
	s_mov_b32 s1, exec_lo
	v_cmpx_lt_i64_e32 -1, v[5:6]
	s_xor_b32 s1, exec_lo, s1
; %bb.88:
	s_delay_alu instid0(VALU_DEP_2) | instskip(NEXT) | instid1(VALU_DEP_1)
	v_bfi_b32 v14, 0x7fffffff, v14, v8
	v_dual_mov_b32 v7, v13 :: v_dual_mov_b32 v8, v14
                                        ; implicit-def: $vgpr13_vgpr14
; %bb.89:
	s_and_not1_saveexec_b32 s1, s1
; %bb.90:
	s_delay_alu instid0(VALU_DEP_1) | instskip(SKIP_1) | instid1(VALU_DEP_2)
	v_bfi_b32 v6, 0x7fffffff, v6, v8
	v_and_b32_e32 v14, 0x7fffffff, v14
	v_dual_mov_b32 v8, v6 :: v_dual_mov_b32 v7, v5
	s_delay_alu instid0(VALU_DEP_2)
	v_dual_mov_b32 v5, v13 :: v_dual_mov_b32 v6, v14
; %bb.91:
	s_or_b32 exec_lo, exec_lo, s1
.LBB220_92:
	s_delay_alu instid0(SALU_CYCLE_1)
	s_or_b32 exec_lo, exec_lo, s0
.LBB220_93:
	s_and_not1_saveexec_b32 s0, s12
; %bb.94:
	s_delay_alu instid0(VALU_DEP_1) | instskip(NEXT) | instid1(VALU_DEP_1)
	v_add_f64 v[7:8], v[7:8], -v[7:8]
	v_div_scale_f64 v[13:14], vcc_lo, v[7:8], v[7:8], v[7:8]
	s_delay_alu instid0(VALU_DEP_1) | instskip(SKIP_2) | instid1(VALU_DEP_1)
	v_rcp_f64_e32 v[19:20], v[13:14]
	s_waitcnt_depctr 0xfff
	v_fma_f64 v[23:24], -v[13:14], v[19:20], 1.0
	v_fma_f64 v[19:20], v[19:20], v[23:24], v[19:20]
	s_delay_alu instid0(VALU_DEP_1) | instskip(NEXT) | instid1(VALU_DEP_1)
	v_fma_f64 v[23:24], -v[13:14], v[19:20], 1.0
	v_fma_f64 v[19:20], v[19:20], v[23:24], v[19:20]
	s_delay_alu instid0(VALU_DEP_1) | instskip(NEXT) | instid1(VALU_DEP_1)
	v_mul_f64 v[23:24], v[13:14], v[19:20]
	v_fma_f64 v[13:14], -v[13:14], v[23:24], v[13:14]
	s_delay_alu instid0(VALU_DEP_1) | instskip(NEXT) | instid1(VALU_DEP_1)
	v_div_fmas_f64 v[13:14], v[13:14], v[19:20], v[23:24]
	v_div_fixup_f64 v[7:8], v[13:14], v[7:8], v[7:8]
; %bb.95:
	s_or_b32 exec_lo, exec_lo, s0
	v_dual_mov_b32 v14, v6 :: v_dual_mov_b32 v13, v5
.LBB220_96:
	s_or_b32 exec_lo, exec_lo, s11
.LBB220_97:
	s_delay_alu instid0(SALU_CYCLE_1) | instskip(SKIP_2) | instid1(VALU_DEP_1)
	s_or_b32 exec_lo, exec_lo, s9
	v_cmp_neq_f64_e32 vcc_lo, 0, v[1:2]
	v_cmp_neq_f64_e64 s0, 0, v[3:4]
	s_or_b32 s0, vcc_lo, s0
	s_delay_alu instid0(SALU_CYCLE_1)
	s_and_saveexec_b32 s9, s0
	s_cbranch_execz .LBB220_129
; %bb.98:
	s_mov_b32 s0, 0
	s_mov_b32 s1, 0x7ff00000
	v_mov_b32_e32 v9, s0
	v_mov_b32_e32 v10, s1
	s_mov_b32 s11, exec_lo
	v_cmpx_neq_f64_e64 0x7ff00000, |v[3:4]|
	s_cbranch_execz .LBB220_128
; %bb.99:
	s_mov_b32 s0, exec_lo
	v_cmpx_o_f64_e32 v[1:2], v[1:2]
	s_xor_b32 s12, exec_lo, s0
	s_cbranch_execz .LBB220_125
; %bb.100:
	s_mov_b32 s1, exec_lo
	v_cmpx_neq_f64_e64 0x7ff00000, |v[1:2]|
	s_xor_b32 s13, exec_lo, s1
	s_cbranch_execz .LBB220_118
; %bb.101:
	v_max_f64 v[5:6], |v[3:4]|, |v[3:4]|
	v_max_f64 v[9:10], |v[1:2]|, |v[1:2]|
	s_mov_b32 s0, 0x99fcef32
	s_mov_b32 s1, 0x7fda8279
                                        ; implicit-def: $sgpr14
	s_delay_alu instid0(VALU_DEP_1) | instskip(NEXT) | instid1(VALU_DEP_1)
	v_max_f64 v[5:6], v[9:10], v[5:6]
	v_cmp_nle_f64_e64 s0, s[0:1], v[5:6]
	s_delay_alu instid0(VALU_DEP_1) | instskip(NEXT) | instid1(SALU_CYCLE_1)
	s_and_saveexec_b32 s1, s0
	s_xor_b32 s1, exec_lo, s1
	s_cbranch_execz .LBB220_105
; %bb.102:
	v_cmp_ge_f64_e64 s14, 0x200000, |v[1:2]|
	v_cmp_ge_f64_e64 s15, 0x200000, |v[3:4]|
	s_delay_alu instid0(VALU_DEP_1)
	s_and_b32 s16, s14, s15
	s_mov_b32 s14, 0
	s_and_saveexec_b32 s15, s16
; %bb.103:
	v_mul_f64 v[1:2], v[1:2], 4.0
	v_mul_f64 v[3:4], v[3:4], 4.0
	s_mov_b32 s14, exec_lo
; %bb.104:
	s_or_b32 exec_lo, exec_lo, s15
	s_delay_alu instid0(SALU_CYCLE_1)
	s_and_b32 s14, s14, exec_lo
.LBB220_105:
	s_and_not1_saveexec_b32 s1, s1
; %bb.106:
	s_delay_alu instid0(VALU_DEP_2) | instskip(NEXT) | instid1(VALU_DEP_2)
	v_ldexp_f64 v[1:2], v[1:2], -2
	v_ldexp_f64 v[3:4], v[3:4], -2
	s_and_not1_b32 s14, s14, exec_lo
; %bb.107:
	s_or_b32 exec_lo, exec_lo, s1
	s_delay_alu instid0(VALU_DEP_1) | instskip(NEXT) | instid1(VALU_DEP_3)
	v_max_f64 v[5:6], |v[3:4]|, |v[3:4]|
	v_max_f64 v[9:10], |v[1:2]|, |v[1:2]|
	v_cmp_class_f64_e64 s15, v[1:2], 0x204
	v_cmp_class_f64_e64 s16, v[3:4], 0x204
	v_cmp_le_f64_e64 s1, 0, v[1:2]
	s_delay_alu instid0(VALU_DEP_4) | instskip(NEXT) | instid1(VALU_DEP_3)
	v_max_f64 v[5:6], v[9:10], v[5:6]
	s_or_b32 s15, s16, s15
	s_delay_alu instid0(VALU_DEP_1) | instskip(NEXT) | instid1(VALU_DEP_1)
	v_frexp_exp_i32_f64_e32 v26, v[5:6]
	v_sub_nc_u32_e32 v9, 0, v26
	s_delay_alu instid0(VALU_DEP_1) | instskip(SKIP_1) | instid1(VALU_DEP_2)
	v_ldexp_f64 v[5:6], |v[3:4]|, v9
	v_ldexp_f64 v[9:10], |v[1:2]|, v9
	v_mul_f64 v[5:6], v[5:6], v[5:6]
	s_delay_alu instid0(VALU_DEP_1) | instskip(NEXT) | instid1(VALU_DEP_1)
	v_fma_f64 v[5:6], v[9:10], v[9:10], v[5:6]
	v_rsq_f64_e32 v[9:10], v[5:6]
	v_cmp_eq_f64_e32 vcc_lo, 0, v[5:6]
	s_waitcnt_depctr 0xfff
	v_mul_f64 v[19:20], v[5:6], v[9:10]
	v_mul_f64 v[9:10], v[9:10], 0.5
	s_delay_alu instid0(VALU_DEP_1) | instskip(NEXT) | instid1(VALU_DEP_1)
	v_fma_f64 v[23:24], -v[9:10], v[19:20], 0.5
	v_fma_f64 v[19:20], v[19:20], v[23:24], v[19:20]
	v_fma_f64 v[9:10], v[9:10], v[23:24], v[9:10]
	s_delay_alu instid0(VALU_DEP_2) | instskip(NEXT) | instid1(VALU_DEP_1)
	v_fma_f64 v[23:24], -v[19:20], v[19:20], v[5:6]
	v_fma_f64 v[9:10], v[23:24], v[9:10], v[19:20]
	s_delay_alu instid0(VALU_DEP_1) | instskip(SKIP_1) | instid1(VALU_DEP_2)
	v_dual_cndmask_b32 v6, v10, v6 :: v_dual_cndmask_b32 v5, v9, v5
	v_cmp_o_f64_e32 vcc_lo, v[3:4], v[3:4]
	v_ldexp_f64 v[5:6], v[5:6], v26
	s_delay_alu instid0(VALU_DEP_1) | instskip(NEXT) | instid1(VALU_DEP_2)
	v_cndmask_b32_e32 v5, 0, v5, vcc_lo
	v_cndmask_b32_e32 v6, 0x7ff80000, v6, vcc_lo
	s_delay_alu instid0(VALU_DEP_2) | instskip(NEXT) | instid1(VALU_DEP_2)
	v_cndmask_b32_e64 v5, v5, 0, s15
	v_cndmask_b32_e64 v6, v6, 0x7ff00000, s15
	s_and_saveexec_b32 s15, s1
	s_delay_alu instid0(SALU_CYCLE_1)
	s_xor_b32 s1, exec_lo, s15
	s_cbranch_execz .LBB220_113
; %bb.108:
	s_delay_alu instid0(VALU_DEP_1) | instskip(NEXT) | instid1(VALU_DEP_1)
	v_add_f64 v[1:2], v[1:2], v[5:6]
	v_mul_f64 v[1:2], v[1:2], 0.5
	s_delay_alu instid0(VALU_DEP_1) | instskip(SKIP_1) | instid1(VALU_DEP_1)
	v_cmp_gt_f64_e32 vcc_lo, 0x10000000, v[1:2]
	v_cndmask_b32_e64 v5, 0, 1, vcc_lo
	v_lshlrev_b32_e32 v5, 8, v5
	s_delay_alu instid0(VALU_DEP_1) | instskip(NEXT) | instid1(VALU_DEP_1)
	v_ldexp_f64 v[1:2], v[1:2], v5
	v_rsq_f64_e32 v[5:6], v[1:2]
	s_waitcnt_depctr 0xfff
	v_mul_f64 v[9:10], v[1:2], v[5:6]
	v_mul_f64 v[5:6], v[5:6], 0.5
	s_delay_alu instid0(VALU_DEP_1) | instskip(NEXT) | instid1(VALU_DEP_1)
	v_fma_f64 v[19:20], -v[5:6], v[9:10], 0.5
	v_fma_f64 v[9:10], v[9:10], v[19:20], v[9:10]
	v_fma_f64 v[5:6], v[5:6], v[19:20], v[5:6]
	s_delay_alu instid0(VALU_DEP_2) | instskip(NEXT) | instid1(VALU_DEP_1)
	v_fma_f64 v[19:20], -v[9:10], v[9:10], v[1:2]
	v_fma_f64 v[9:10], v[19:20], v[5:6], v[9:10]
	s_delay_alu instid0(VALU_DEP_1) | instskip(NEXT) | instid1(VALU_DEP_1)
	v_fma_f64 v[19:20], -v[9:10], v[9:10], v[1:2]
	v_fma_f64 v[5:6], v[19:20], v[5:6], v[9:10]
	v_cndmask_b32_e64 v9, 0, 0xffffff80, vcc_lo
	v_cmp_class_f64_e64 vcc_lo, v[1:2], 0x260
	s_delay_alu instid0(VALU_DEP_2) | instskip(NEXT) | instid1(VALU_DEP_1)
	v_ldexp_f64 v[5:6], v[5:6], v9
	v_dual_cndmask_b32 v2, v6, v2 :: v_dual_cndmask_b32 v1, v5, v1
	s_delay_alu instid0(VALU_DEP_1) | instskip(NEXT) | instid1(VALU_DEP_1)
	v_add_f64 v[5:6], v[1:2], v[1:2]
	v_div_scale_f64 v[9:10], null, v[5:6], v[5:6], v[3:4]
	s_delay_alu instid0(VALU_DEP_1) | instskip(SKIP_2) | instid1(VALU_DEP_1)
	v_rcp_f64_e32 v[19:20], v[9:10]
	s_waitcnt_depctr 0xfff
	v_fma_f64 v[23:24], -v[9:10], v[19:20], 1.0
	v_fma_f64 v[19:20], v[19:20], v[23:24], v[19:20]
	s_delay_alu instid0(VALU_DEP_1) | instskip(NEXT) | instid1(VALU_DEP_1)
	v_fma_f64 v[23:24], -v[9:10], v[19:20], 1.0
	v_fma_f64 v[19:20], v[19:20], v[23:24], v[19:20]
	v_div_scale_f64 v[23:24], vcc_lo, v[3:4], v[5:6], v[3:4]
	s_delay_alu instid0(VALU_DEP_1) | instskip(NEXT) | instid1(VALU_DEP_1)
	v_mul_f64 v[26:27], v[23:24], v[19:20]
	v_fma_f64 v[9:10], -v[9:10], v[26:27], v[23:24]
	s_delay_alu instid0(VALU_DEP_1) | instskip(NEXT) | instid1(VALU_DEP_1)
	v_div_fmas_f64 v[9:10], v[9:10], v[19:20], v[26:27]
	v_div_fixup_f64 v[3:4], v[9:10], v[5:6], v[3:4]
                                        ; implicit-def: $vgpr5_vgpr6
	s_and_not1_saveexec_b32 s1, s1
	s_cbranch_execnz .LBB220_114
.LBB220_109:
	s_or_b32 exec_lo, exec_lo, s1
	s_and_saveexec_b32 s1, s0
	s_delay_alu instid0(SALU_CYCLE_1)
	s_xor_b32 s0, exec_lo, s1
	s_cbranch_execz .LBB220_115
.LBB220_110:
	s_and_saveexec_b32 s1, s14
; %bb.111:
	s_delay_alu instid0(VALU_DEP_2) | instskip(NEXT) | instid1(VALU_DEP_2)
	v_mul_f64 v[1:2], v[1:2], 0.5
	v_mul_f64 v[3:4], v[3:4], 0.5
; %bb.112:
	s_or_b32 exec_lo, exec_lo, s1
	s_and_not1_saveexec_b32 s0, s0
	s_cbranch_execnz .LBB220_116
	s_branch .LBB220_117
.LBB220_113:
	s_and_not1_saveexec_b32 s1, s1
	s_cbranch_execz .LBB220_109
.LBB220_114:
	v_add_f64 v[1:2], v[5:6], -v[1:2]
	s_delay_alu instid0(VALU_DEP_1) | instskip(NEXT) | instid1(VALU_DEP_1)
	v_mul_f64 v[1:2], v[1:2], 0.5
	v_cmp_gt_f64_e32 vcc_lo, 0x10000000, v[1:2]
	v_cndmask_b32_e64 v5, 0, 1, vcc_lo
	s_delay_alu instid0(VALU_DEP_1) | instskip(NEXT) | instid1(VALU_DEP_1)
	v_lshlrev_b32_e32 v5, 8, v5
	v_ldexp_f64 v[1:2], v[1:2], v5
	s_delay_alu instid0(VALU_DEP_1) | instskip(SKIP_3) | instid1(VALU_DEP_1)
	v_rsq_f64_e32 v[5:6], v[1:2]
	s_waitcnt_depctr 0xfff
	v_mul_f64 v[9:10], v[1:2], v[5:6]
	v_mul_f64 v[5:6], v[5:6], 0.5
	v_fma_f64 v[19:20], -v[5:6], v[9:10], 0.5
	s_delay_alu instid0(VALU_DEP_1) | instskip(SKIP_1) | instid1(VALU_DEP_2)
	v_fma_f64 v[9:10], v[9:10], v[19:20], v[9:10]
	v_fma_f64 v[5:6], v[5:6], v[19:20], v[5:6]
	v_fma_f64 v[19:20], -v[9:10], v[9:10], v[1:2]
	s_delay_alu instid0(VALU_DEP_1) | instskip(NEXT) | instid1(VALU_DEP_1)
	v_fma_f64 v[9:10], v[19:20], v[5:6], v[9:10]
	v_fma_f64 v[19:20], -v[9:10], v[9:10], v[1:2]
	s_delay_alu instid0(VALU_DEP_1) | instskip(SKIP_3) | instid1(VALU_DEP_3)
	v_fma_f64 v[5:6], v[19:20], v[5:6], v[9:10]
	v_cndmask_b32_e64 v9, 0, 0xffffff80, vcc_lo
	v_cmp_class_f64_e64 vcc_lo, v[1:2], 0x260
	v_and_b32_e32 v10, 0x7fffffff, v4
	v_ldexp_f64 v[5:6], v[5:6], v9
	s_delay_alu instid0(VALU_DEP_1) | instskip(NEXT) | instid1(VALU_DEP_1)
	v_dual_cndmask_b32 v6, v6, v2 :: v_dual_cndmask_b32 v5, v5, v1
	v_add_f64 v[1:2], v[5:6], v[5:6]
	v_bfi_b32 v6, 0x7fffffff, v6, v4
	v_mov_b32_e32 v9, v3
	s_delay_alu instid0(VALU_DEP_1) | instskip(SKIP_1) | instid1(VALU_DEP_2)
	v_div_scale_f64 v[19:20], null, v[1:2], v[1:2], v[9:10]
	v_div_scale_f64 v[9:10], vcc_lo, v[9:10], v[1:2], v[9:10]
	v_rcp_f64_e32 v[23:24], v[19:20]
	s_waitcnt_depctr 0xfff
	v_fma_f64 v[26:27], -v[19:20], v[23:24], 1.0
	s_delay_alu instid0(VALU_DEP_1) | instskip(NEXT) | instid1(VALU_DEP_1)
	v_fma_f64 v[23:24], v[23:24], v[26:27], v[23:24]
	v_fma_f64 v[26:27], -v[19:20], v[23:24], 1.0
	s_delay_alu instid0(VALU_DEP_1) | instskip(NEXT) | instid1(VALU_DEP_1)
	v_fma_f64 v[23:24], v[23:24], v[26:27], v[23:24]
	v_mul_f64 v[26:27], v[9:10], v[23:24]
	s_delay_alu instid0(VALU_DEP_1) | instskip(NEXT) | instid1(VALU_DEP_1)
	v_fma_f64 v[9:10], -v[19:20], v[26:27], v[9:10]
	v_div_fmas_f64 v[9:10], v[9:10], v[23:24], v[26:27]
	s_delay_alu instid0(VALU_DEP_1) | instskip(SKIP_3) | instid1(SALU_CYCLE_1)
	v_div_fixup_f64 v[1:2], v[9:10], v[1:2], |v[3:4]|
	v_dual_mov_b32 v3, v5 :: v_dual_mov_b32 v4, v6
	s_or_b32 exec_lo, exec_lo, s1
	s_and_saveexec_b32 s1, s0
	s_xor_b32 s0, exec_lo, s1
	s_cbranch_execnz .LBB220_110
.LBB220_115:
	s_and_not1_saveexec_b32 s0, s0
.LBB220_116:
	s_delay_alu instid0(VALU_DEP_2) | instskip(NEXT) | instid1(VALU_DEP_2)
	v_add_f64 v[1:2], v[1:2], v[1:2]
	v_add_f64 v[3:4], v[3:4], v[3:4]
.LBB220_117:
	s_or_b32 exec_lo, exec_lo, s0
.LBB220_118:
	s_and_not1_saveexec_b32 s0, s13
	s_cbranch_execz .LBB220_124
; %bb.119:
	s_delay_alu instid0(VALU_DEP_1) | instskip(SKIP_1) | instid1(VALU_DEP_3)
	v_add_f64 v[5:6], v[3:4], -v[3:4]
	s_mov_b32 s1, exec_lo
	v_cmpx_lt_i64_e32 -1, v[1:2]
	s_xor_b32 s1, exec_lo, s1
; %bb.120:
	s_delay_alu instid0(VALU_DEP_2) | instskip(NEXT) | instid1(VALU_DEP_1)
	v_bfi_b32 v6, 0x7fffffff, v6, v4
	v_dual_mov_b32 v3, v5 :: v_dual_mov_b32 v4, v6
                                        ; implicit-def: $vgpr5_vgpr6
; %bb.121:
	s_and_not1_saveexec_b32 s1, s1
; %bb.122:
	s_delay_alu instid0(VALU_DEP_1) | instskip(SKIP_1) | instid1(VALU_DEP_2)
	v_bfi_b32 v2, 0x7fffffff, v2, v4
	v_and_b32_e32 v6, 0x7fffffff, v6
	v_dual_mov_b32 v4, v2 :: v_dual_mov_b32 v3, v1
	s_delay_alu instid0(VALU_DEP_2)
	v_dual_mov_b32 v1, v5 :: v_dual_mov_b32 v2, v6
; %bb.123:
	s_or_b32 exec_lo, exec_lo, s1
.LBB220_124:
	s_delay_alu instid0(SALU_CYCLE_1)
	s_or_b32 exec_lo, exec_lo, s0
.LBB220_125:
	s_and_not1_saveexec_b32 s0, s12
; %bb.126:
	s_delay_alu instid0(VALU_DEP_1) | instskip(NEXT) | instid1(VALU_DEP_1)
	v_add_f64 v[3:4], v[3:4], -v[3:4]
	v_div_scale_f64 v[5:6], vcc_lo, v[3:4], v[3:4], v[3:4]
	s_delay_alu instid0(VALU_DEP_1) | instskip(SKIP_2) | instid1(VALU_DEP_1)
	v_rcp_f64_e32 v[9:10], v[5:6]
	s_waitcnt_depctr 0xfff
	v_fma_f64 v[19:20], -v[5:6], v[9:10], 1.0
	v_fma_f64 v[9:10], v[9:10], v[19:20], v[9:10]
	s_delay_alu instid0(VALU_DEP_1) | instskip(NEXT) | instid1(VALU_DEP_1)
	v_fma_f64 v[19:20], -v[5:6], v[9:10], 1.0
	v_fma_f64 v[9:10], v[9:10], v[19:20], v[9:10]
	s_delay_alu instid0(VALU_DEP_1) | instskip(NEXT) | instid1(VALU_DEP_1)
	v_mul_f64 v[19:20], v[5:6], v[9:10]
	v_fma_f64 v[5:6], -v[5:6], v[19:20], v[5:6]
	s_delay_alu instid0(VALU_DEP_1) | instskip(NEXT) | instid1(VALU_DEP_1)
	v_div_fmas_f64 v[5:6], v[5:6], v[9:10], v[19:20]
	v_div_fixup_f64 v[3:4], v[5:6], v[3:4], v[3:4]
; %bb.127:
	s_or_b32 exec_lo, exec_lo, s0
	v_dual_mov_b32 v10, v2 :: v_dual_mov_b32 v9, v1
.LBB220_128:
	s_or_b32 exec_lo, exec_lo, s11
.LBB220_129:
	s_delay_alu instid0(SALU_CYCLE_1)
	s_or_b32 exec_lo, exec_lo, s9
	v_dual_mov_b32 v23, v15 :: v_dual_mov_b32 v24, v16
	v_dual_mov_b32 v15, v7 :: v_dual_mov_b32 v16, v8
	;; [unrolled: 1-line block ×4, first 2 shown]
	s_add_u32 s2, s4, s2
	s_addc_u32 s3, s5, s3
	s_mov_b32 s0, 0
	s_clause 0x3
	global_store_b128 v25, v[21:24], s[2:3]
	global_store_b128 v25, v[17:20], s[2:3] offset:16
	global_store_b128 v25, v[13:16], s[2:3] offset:32
	;; [unrolled: 1-line block ×3, first 2 shown]
.LBB220_130:
	s_and_b32 vcc_lo, exec_lo, s0
	s_cbranch_vccz .LBB220_283
; %bb.131:
	v_mov_b32_e32 v17, 0
	v_dual_mov_b32 v18, 0 :: v_dual_mov_b32 v5, v0
	v_cmp_gt_i32_e64 s0, s10, v0
	v_or_b32_e32 v25, s8, v0
	v_or_b32_e32 v27, 0x100, v0
	s_delay_alu instid0(VALU_DEP_4)
	v_dual_mov_b32 v22, v18 :: v_dual_mov_b32 v21, v17
	v_dual_mov_b32 v24, v18 :: v_dual_mov_b32 v23, v17
	s_and_saveexec_b32 s1, s0
	s_cbranch_execz .LBB220_133
; %bb.132:
	v_mov_b32_e32 v26, 0
	v_or_b32_e32 v5, 0x100, v0
	s_delay_alu instid0(VALU_DEP_2) | instskip(NEXT) | instid1(VALU_DEP_1)
	v_lshlrev_b64 v[1:2], 4, v[25:26]
	v_add_co_u32 v1, vcc_lo, s6, v1
	s_delay_alu instid0(VALU_DEP_2)
	v_add_co_ci_u32_e32 v2, vcc_lo, s7, v2, vcc_lo
	global_load_b128 v[21:24], v[1:2], off
.LBB220_133:
	s_or_b32 exec_lo, exec_lo, s1
	v_dual_mov_b32 v20, v18 :: v_dual_mov_b32 v19, v17
	s_mov_b32 s1, exec_lo
	v_cmpx_gt_i32_e64 s10, v5
	s_cbranch_execz .LBB220_135
; %bb.134:
	v_dual_mov_b32 v2, 0 :: v_dual_add_nc_u32 v1, s8, v5
	v_add_nc_u32_e32 v5, 0x100, v5
	s_delay_alu instid0(VALU_DEP_2) | instskip(NEXT) | instid1(VALU_DEP_1)
	v_lshlrev_b64 v[1:2], 4, v[1:2]
	v_add_co_u32 v1, vcc_lo, s6, v1
	s_delay_alu instid0(VALU_DEP_2)
	v_add_co_ci_u32_e32 v2, vcc_lo, s7, v2, vcc_lo
	global_load_b128 v[17:20], v[1:2], off
.LBB220_135:
	s_or_b32 exec_lo, exec_lo, s1
	v_mov_b32_e32 v1, 0
	v_mov_b32_e32 v2, 0
	s_mov_b32 s1, exec_lo
	s_delay_alu instid0(VALU_DEP_1)
	v_dual_mov_b32 v14, v2 :: v_dual_mov_b32 v13, v1
	v_dual_mov_b32 v16, v2 :: v_dual_mov_b32 v15, v1
	v_cmpx_gt_i32_e64 s10, v5
	s_cbranch_execz .LBB220_137
; %bb.136:
	v_dual_mov_b32 v4, 0 :: v_dual_add_nc_u32 v3, s8, v5
	v_add_nc_u32_e32 v5, 0x100, v5
	s_delay_alu instid0(VALU_DEP_2) | instskip(NEXT) | instid1(VALU_DEP_1)
	v_lshlrev_b64 v[3:4], 4, v[3:4]
	v_add_co_u32 v3, vcc_lo, s6, v3
	s_delay_alu instid0(VALU_DEP_2)
	v_add_co_ci_u32_e32 v4, vcc_lo, s7, v4, vcc_lo
	global_load_b128 v[13:16], v[3:4], off
.LBB220_137:
	s_or_b32 exec_lo, exec_lo, s1
	v_dual_mov_b32 v4, v2 :: v_dual_mov_b32 v3, v1
	s_mov_b32 s1, exec_lo
	v_cmpx_gt_i32_e64 s10, v5
	s_cbranch_execz .LBB220_139
; %bb.138:
	v_dual_mov_b32 v2, 0 :: v_dual_add_nc_u32 v1, s8, v5
	s_delay_alu instid0(VALU_DEP_1) | instskip(NEXT) | instid1(VALU_DEP_1)
	v_lshlrev_b64 v[1:2], 4, v[1:2]
	v_add_co_u32 v1, vcc_lo, s6, v1
	s_delay_alu instid0(VALU_DEP_2)
	v_add_co_ci_u32_e32 v2, vcc_lo, s7, v2, vcc_lo
	global_load_b128 v[1:4], v[1:2], off
.LBB220_139:
	s_or_b32 exec_lo, exec_lo, s1
	v_mov_b32_e32 v7, 0
	v_mov_b32_e32 v8, 0
	s_delay_alu instid0(VALU_DEP_1)
	v_dual_mov_b32 v12, v8 :: v_dual_mov_b32 v11, v7
	v_dual_mov_b32 v10, v8 :: v_dual_mov_b32 v9, v7
	s_and_saveexec_b32 s3, s0
	s_cbranch_execz .LBB220_173
; %bb.140:
	s_waitcnt vmcnt(0)
	v_cmp_neq_f64_e32 vcc_lo, 0, v[21:22]
	v_cmp_neq_f64_e64 s1, 0, v[23:24]
	v_mov_b32_e32 v9, 0
	v_mov_b32_e32 v10, 0
	s_delay_alu instid0(VALU_DEP_3) | instskip(NEXT) | instid1(SALU_CYCLE_1)
	s_or_b32 s1, vcc_lo, s1
	s_and_saveexec_b32 s6, s1
	s_cbranch_execz .LBB220_172
; %bb.141:
	s_mov_b32 s12, 0
	s_mov_b32 s13, 0x7ff00000
	v_mov_b32_e32 v9, s12
	v_mov_b32_e32 v10, s13
	s_mov_b32 s7, exec_lo
	v_cmpx_neq_f64_e64 0x7ff00000, |v[23:24]|
	s_cbranch_execz .LBB220_171
; %bb.142:
	s_mov_b32 s1, exec_lo
	v_cmpx_o_f64_e32 v[21:22], v[21:22]
	s_xor_b32 s9, exec_lo, s1
	s_cbranch_execz .LBB220_168
; %bb.143:
	s_mov_b32 s2, exec_lo
	v_cmpx_neq_f64_e64 0x7ff00000, |v[21:22]|
	s_xor_b32 s11, exec_lo, s2
	s_cbranch_execz .LBB220_161
; %bb.144:
	v_max_f64 v[5:6], |v[23:24]|, |v[23:24]|
	v_max_f64 v[9:10], |v[21:22]|, |v[21:22]|
	s_mov_b32 s12, 0x99fcef32
	s_mov_b32 s13, 0x7fda8279
	s_delay_alu instid0(VALU_DEP_1) | instskip(NEXT) | instid1(VALU_DEP_1)
	v_max_f64 v[5:6], v[9:10], v[5:6]
	v_cmp_nle_f64_e64 s1, s[12:13], v[5:6]
                                        ; implicit-def: $sgpr12
	s_delay_alu instid0(VALU_DEP_1) | instskip(NEXT) | instid1(SALU_CYCLE_1)
	s_and_saveexec_b32 s2, s1
	s_xor_b32 s2, exec_lo, s2
	s_cbranch_execz .LBB220_148
; %bb.145:
	v_cmp_ge_f64_e64 s12, 0x200000, |v[21:22]|
	v_cmp_ge_f64_e64 s13, 0x200000, |v[23:24]|
	s_delay_alu instid0(VALU_DEP_1)
	s_and_b32 s14, s12, s13
	s_mov_b32 s12, 0
	s_and_saveexec_b32 s13, s14
; %bb.146:
	v_mul_f64 v[21:22], v[21:22], 4.0
	v_mul_f64 v[23:24], v[23:24], 4.0
	s_mov_b32 s12, exec_lo
; %bb.147:
	s_or_b32 exec_lo, exec_lo, s13
	s_delay_alu instid0(SALU_CYCLE_1)
	s_and_b32 s12, s12, exec_lo
.LBB220_148:
	s_and_not1_saveexec_b32 s2, s2
; %bb.149:
	s_delay_alu instid0(VALU_DEP_2) | instskip(NEXT) | instid1(VALU_DEP_2)
	v_ldexp_f64 v[21:22], v[21:22], -2
	v_ldexp_f64 v[23:24], v[23:24], -2
	s_and_not1_b32 s12, s12, exec_lo
; %bb.150:
	s_or_b32 exec_lo, exec_lo, s2
	s_delay_alu instid0(VALU_DEP_1) | instskip(NEXT) | instid1(VALU_DEP_3)
	v_max_f64 v[5:6], |v[23:24]|, |v[23:24]|
	v_max_f64 v[9:10], |v[21:22]|, |v[21:22]|
	v_cmp_class_f64_e64 s13, v[21:22], 0x204
	v_cmp_class_f64_e64 s14, v[23:24], 0x204
	v_cmp_le_f64_e64 s2, 0, v[21:22]
	s_delay_alu instid0(VALU_DEP_4) | instskip(NEXT) | instid1(VALU_DEP_3)
	v_max_f64 v[5:6], v[9:10], v[5:6]
	s_or_b32 s13, s14, s13
	s_delay_alu instid0(VALU_DEP_1) | instskip(NEXT) | instid1(VALU_DEP_1)
	v_frexp_exp_i32_f64_e32 v26, v[5:6]
	v_sub_nc_u32_e32 v9, 0, v26
	s_delay_alu instid0(VALU_DEP_1) | instskip(SKIP_1) | instid1(VALU_DEP_2)
	v_ldexp_f64 v[5:6], |v[23:24]|, v9
	v_ldexp_f64 v[9:10], |v[21:22]|, v9
	v_mul_f64 v[5:6], v[5:6], v[5:6]
	s_delay_alu instid0(VALU_DEP_1) | instskip(NEXT) | instid1(VALU_DEP_1)
	v_fma_f64 v[5:6], v[9:10], v[9:10], v[5:6]
	v_rsq_f64_e32 v[9:10], v[5:6]
	v_cmp_eq_f64_e32 vcc_lo, 0, v[5:6]
	s_waitcnt_depctr 0xfff
	v_mul_f64 v[11:12], v[5:6], v[9:10]
	v_mul_f64 v[9:10], v[9:10], 0.5
	s_delay_alu instid0(VALU_DEP_1) | instskip(NEXT) | instid1(VALU_DEP_1)
	v_fma_f64 v[28:29], -v[9:10], v[11:12], 0.5
	v_fma_f64 v[11:12], v[11:12], v[28:29], v[11:12]
	v_fma_f64 v[9:10], v[9:10], v[28:29], v[9:10]
	s_delay_alu instid0(VALU_DEP_2) | instskip(NEXT) | instid1(VALU_DEP_1)
	v_fma_f64 v[28:29], -v[11:12], v[11:12], v[5:6]
	v_fma_f64 v[9:10], v[28:29], v[9:10], v[11:12]
	s_delay_alu instid0(VALU_DEP_1) | instskip(SKIP_1) | instid1(VALU_DEP_2)
	v_dual_cndmask_b32 v6, v10, v6 :: v_dual_cndmask_b32 v5, v9, v5
	v_cmp_o_f64_e32 vcc_lo, v[23:24], v[23:24]
	v_ldexp_f64 v[5:6], v[5:6], v26
	s_delay_alu instid0(VALU_DEP_1) | instskip(NEXT) | instid1(VALU_DEP_2)
	v_cndmask_b32_e32 v5, 0, v5, vcc_lo
	v_cndmask_b32_e32 v6, 0x7ff80000, v6, vcc_lo
	s_delay_alu instid0(VALU_DEP_2) | instskip(NEXT) | instid1(VALU_DEP_2)
	v_cndmask_b32_e64 v5, v5, 0, s13
	v_cndmask_b32_e64 v6, v6, 0x7ff00000, s13
	s_and_saveexec_b32 s13, s2
	s_delay_alu instid0(SALU_CYCLE_1)
	s_xor_b32 s2, exec_lo, s13
	s_cbranch_execz .LBB220_156
; %bb.151:
	s_delay_alu instid0(VALU_DEP_1) | instskip(NEXT) | instid1(VALU_DEP_1)
	v_add_f64 v[5:6], v[21:22], v[5:6]
	v_mul_f64 v[5:6], v[5:6], 0.5
	s_delay_alu instid0(VALU_DEP_1) | instskip(SKIP_1) | instid1(VALU_DEP_1)
	v_cmp_gt_f64_e32 vcc_lo, 0x10000000, v[5:6]
	v_cndmask_b32_e64 v9, 0, 1, vcc_lo
	v_lshlrev_b32_e32 v9, 8, v9
	s_delay_alu instid0(VALU_DEP_1) | instskip(NEXT) | instid1(VALU_DEP_1)
	v_ldexp_f64 v[5:6], v[5:6], v9
	v_rsq_f64_e32 v[9:10], v[5:6]
	s_waitcnt_depctr 0xfff
	v_mul_f64 v[11:12], v[5:6], v[9:10]
	v_mul_f64 v[9:10], v[9:10], 0.5
	s_delay_alu instid0(VALU_DEP_1) | instskip(NEXT) | instid1(VALU_DEP_1)
	v_fma_f64 v[21:22], -v[9:10], v[11:12], 0.5
	v_fma_f64 v[11:12], v[11:12], v[21:22], v[11:12]
	v_fma_f64 v[9:10], v[9:10], v[21:22], v[9:10]
	s_delay_alu instid0(VALU_DEP_2) | instskip(NEXT) | instid1(VALU_DEP_1)
	v_fma_f64 v[21:22], -v[11:12], v[11:12], v[5:6]
	v_fma_f64 v[11:12], v[21:22], v[9:10], v[11:12]
	s_delay_alu instid0(VALU_DEP_1) | instskip(NEXT) | instid1(VALU_DEP_1)
	v_fma_f64 v[21:22], -v[11:12], v[11:12], v[5:6]
	v_fma_f64 v[9:10], v[21:22], v[9:10], v[11:12]
	v_cndmask_b32_e64 v11, 0, 0xffffff80, vcc_lo
	v_cmp_class_f64_e64 vcc_lo, v[5:6], 0x260
	s_delay_alu instid0(VALU_DEP_2) | instskip(NEXT) | instid1(VALU_DEP_1)
	v_ldexp_f64 v[9:10], v[9:10], v11
	v_dual_cndmask_b32 v22, v10, v6 :: v_dual_cndmask_b32 v21, v9, v5
	s_delay_alu instid0(VALU_DEP_1) | instskip(NEXT) | instid1(VALU_DEP_1)
	v_add_f64 v[5:6], v[21:22], v[21:22]
	v_div_scale_f64 v[9:10], null, v[5:6], v[5:6], v[23:24]
	s_delay_alu instid0(VALU_DEP_1) | instskip(SKIP_2) | instid1(VALU_DEP_1)
	v_rcp_f64_e32 v[11:12], v[9:10]
	s_waitcnt_depctr 0xfff
	v_fma_f64 v[28:29], -v[9:10], v[11:12], 1.0
	v_fma_f64 v[11:12], v[11:12], v[28:29], v[11:12]
	s_delay_alu instid0(VALU_DEP_1) | instskip(NEXT) | instid1(VALU_DEP_1)
	v_fma_f64 v[28:29], -v[9:10], v[11:12], 1.0
	v_fma_f64 v[11:12], v[11:12], v[28:29], v[11:12]
	v_div_scale_f64 v[28:29], vcc_lo, v[23:24], v[5:6], v[23:24]
	s_delay_alu instid0(VALU_DEP_1) | instskip(NEXT) | instid1(VALU_DEP_1)
	v_mul_f64 v[30:31], v[28:29], v[11:12]
	v_fma_f64 v[9:10], -v[9:10], v[30:31], v[28:29]
	s_delay_alu instid0(VALU_DEP_1) | instskip(NEXT) | instid1(VALU_DEP_1)
	v_div_fmas_f64 v[9:10], v[9:10], v[11:12], v[30:31]
	v_div_fixup_f64 v[23:24], v[9:10], v[5:6], v[23:24]
                                        ; implicit-def: $vgpr5_vgpr6
	s_and_not1_saveexec_b32 s2, s2
	s_cbranch_execnz .LBB220_157
.LBB220_152:
	s_or_b32 exec_lo, exec_lo, s2
	s_and_saveexec_b32 s2, s1
	s_delay_alu instid0(SALU_CYCLE_1)
	s_xor_b32 s1, exec_lo, s2
	s_cbranch_execz .LBB220_158
.LBB220_153:
	s_and_saveexec_b32 s2, s12
; %bb.154:
	s_delay_alu instid0(VALU_DEP_2) | instskip(NEXT) | instid1(VALU_DEP_2)
	v_mul_f64 v[21:22], v[21:22], 0.5
	v_mul_f64 v[23:24], v[23:24], 0.5
; %bb.155:
	s_or_b32 exec_lo, exec_lo, s2
	s_and_not1_saveexec_b32 s1, s1
	s_cbranch_execnz .LBB220_159
	s_branch .LBB220_160
.LBB220_156:
	s_and_not1_saveexec_b32 s2, s2
	s_cbranch_execz .LBB220_152
.LBB220_157:
	v_add_f64 v[5:6], v[5:6], -v[21:22]
	s_delay_alu instid0(VALU_DEP_1) | instskip(NEXT) | instid1(VALU_DEP_1)
	v_mul_f64 v[5:6], v[5:6], 0.5
	v_cmp_gt_f64_e32 vcc_lo, 0x10000000, v[5:6]
	v_cndmask_b32_e64 v9, 0, 1, vcc_lo
	s_delay_alu instid0(VALU_DEP_1) | instskip(NEXT) | instid1(VALU_DEP_1)
	v_lshlrev_b32_e32 v9, 8, v9
	v_ldexp_f64 v[5:6], v[5:6], v9
	s_delay_alu instid0(VALU_DEP_1) | instskip(SKIP_3) | instid1(VALU_DEP_1)
	v_rsq_f64_e32 v[9:10], v[5:6]
	s_waitcnt_depctr 0xfff
	v_mul_f64 v[11:12], v[5:6], v[9:10]
	v_mul_f64 v[9:10], v[9:10], 0.5
	v_fma_f64 v[21:22], -v[9:10], v[11:12], 0.5
	s_delay_alu instid0(VALU_DEP_1) | instskip(SKIP_1) | instid1(VALU_DEP_2)
	v_fma_f64 v[11:12], v[11:12], v[21:22], v[11:12]
	v_fma_f64 v[9:10], v[9:10], v[21:22], v[9:10]
	v_fma_f64 v[21:22], -v[11:12], v[11:12], v[5:6]
	s_delay_alu instid0(VALU_DEP_1) | instskip(NEXT) | instid1(VALU_DEP_1)
	v_fma_f64 v[11:12], v[21:22], v[9:10], v[11:12]
	v_fma_f64 v[21:22], -v[11:12], v[11:12], v[5:6]
	s_delay_alu instid0(VALU_DEP_1) | instskip(SKIP_3) | instid1(VALU_DEP_3)
	v_fma_f64 v[9:10], v[21:22], v[9:10], v[11:12]
	v_cndmask_b32_e64 v11, 0, 0xffffff80, vcc_lo
	v_cmp_class_f64_e64 vcc_lo, v[5:6], 0x260
	v_and_b32_e32 v12, 0x7fffffff, v24
	v_ldexp_f64 v[9:10], v[9:10], v11
	s_delay_alu instid0(VALU_DEP_1) | instskip(NEXT) | instid1(VALU_DEP_1)
	v_dual_cndmask_b32 v6, v10, v6 :: v_dual_cndmask_b32 v5, v9, v5
	v_add_f64 v[9:10], v[5:6], v[5:6]
	v_bfi_b32 v6, 0x7fffffff, v6, v24
	v_mov_b32_e32 v11, v23
	s_delay_alu instid0(VALU_DEP_1) | instskip(SKIP_1) | instid1(VALU_DEP_2)
	v_div_scale_f64 v[21:22], null, v[9:10], v[9:10], v[11:12]
	v_div_scale_f64 v[11:12], vcc_lo, v[11:12], v[9:10], v[11:12]
	v_rcp_f64_e32 v[28:29], v[21:22]
	s_waitcnt_depctr 0xfff
	v_fma_f64 v[30:31], -v[21:22], v[28:29], 1.0
	s_delay_alu instid0(VALU_DEP_1) | instskip(NEXT) | instid1(VALU_DEP_1)
	v_fma_f64 v[28:29], v[28:29], v[30:31], v[28:29]
	v_fma_f64 v[30:31], -v[21:22], v[28:29], 1.0
	s_delay_alu instid0(VALU_DEP_1) | instskip(NEXT) | instid1(VALU_DEP_1)
	v_fma_f64 v[28:29], v[28:29], v[30:31], v[28:29]
	v_mul_f64 v[30:31], v[11:12], v[28:29]
	s_delay_alu instid0(VALU_DEP_1) | instskip(NEXT) | instid1(VALU_DEP_1)
	v_fma_f64 v[11:12], -v[21:22], v[30:31], v[11:12]
	v_div_fmas_f64 v[11:12], v[11:12], v[28:29], v[30:31]
	s_delay_alu instid0(VALU_DEP_1) | instskip(SKIP_3) | instid1(SALU_CYCLE_1)
	v_div_fixup_f64 v[21:22], v[11:12], v[9:10], |v[23:24]|
	v_dual_mov_b32 v24, v6 :: v_dual_mov_b32 v23, v5
	s_or_b32 exec_lo, exec_lo, s2
	s_and_saveexec_b32 s2, s1
	s_xor_b32 s1, exec_lo, s2
	s_cbranch_execnz .LBB220_153
.LBB220_158:
	s_and_not1_saveexec_b32 s1, s1
.LBB220_159:
	s_delay_alu instid0(VALU_DEP_2) | instskip(NEXT) | instid1(VALU_DEP_2)
	v_add_f64 v[21:22], v[21:22], v[21:22]
	v_add_f64 v[23:24], v[23:24], v[23:24]
.LBB220_160:
	s_or_b32 exec_lo, exec_lo, s1
.LBB220_161:
	s_and_not1_saveexec_b32 s1, s11
	s_cbranch_execz .LBB220_167
; %bb.162:
	s_delay_alu instid0(VALU_DEP_1) | instskip(SKIP_1) | instid1(VALU_DEP_3)
	v_add_f64 v[5:6], v[23:24], -v[23:24]
	s_mov_b32 s2, exec_lo
	v_cmpx_lt_i64_e32 -1, v[21:22]
	s_xor_b32 s2, exec_lo, s2
; %bb.163:
	s_delay_alu instid0(VALU_DEP_2) | instskip(NEXT) | instid1(VALU_DEP_1)
	v_bfi_b32 v6, 0x7fffffff, v6, v24
	v_dual_mov_b32 v24, v6 :: v_dual_mov_b32 v23, v5
                                        ; implicit-def: $vgpr5_vgpr6
; %bb.164:
	s_and_not1_saveexec_b32 s2, s2
; %bb.165:
	s_delay_alu instid0(VALU_DEP_1) | instskip(SKIP_1) | instid1(VALU_DEP_2)
	v_bfi_b32 v22, 0x7fffffff, v22, v24
	v_and_b32_e32 v6, 0x7fffffff, v6
	v_dual_mov_b32 v24, v22 :: v_dual_mov_b32 v23, v21
	s_delay_alu instid0(VALU_DEP_2)
	v_dual_mov_b32 v22, v6 :: v_dual_mov_b32 v21, v5
; %bb.166:
	s_or_b32 exec_lo, exec_lo, s2
.LBB220_167:
	s_delay_alu instid0(SALU_CYCLE_1)
	s_or_b32 exec_lo, exec_lo, s1
.LBB220_168:
	s_and_not1_saveexec_b32 s1, s9
; %bb.169:
	s_delay_alu instid0(VALU_DEP_1) | instskip(NEXT) | instid1(VALU_DEP_1)
	v_add_f64 v[5:6], v[23:24], -v[23:24]
	v_div_scale_f64 v[9:10], vcc_lo, v[5:6], v[5:6], v[5:6]
	s_delay_alu instid0(VALU_DEP_1) | instskip(SKIP_2) | instid1(VALU_DEP_1)
	v_rcp_f64_e32 v[11:12], v[9:10]
	s_waitcnt_depctr 0xfff
	v_fma_f64 v[23:24], -v[9:10], v[11:12], 1.0
	v_fma_f64 v[11:12], v[11:12], v[23:24], v[11:12]
	s_delay_alu instid0(VALU_DEP_1) | instskip(NEXT) | instid1(VALU_DEP_1)
	v_fma_f64 v[23:24], -v[9:10], v[11:12], 1.0
	v_fma_f64 v[11:12], v[11:12], v[23:24], v[11:12]
	s_delay_alu instid0(VALU_DEP_1) | instskip(NEXT) | instid1(VALU_DEP_1)
	v_mul_f64 v[23:24], v[9:10], v[11:12]
	v_fma_f64 v[9:10], -v[9:10], v[23:24], v[9:10]
	s_delay_alu instid0(VALU_DEP_1) | instskip(NEXT) | instid1(VALU_DEP_1)
	v_div_fmas_f64 v[9:10], v[9:10], v[11:12], v[23:24]
	v_div_fixup_f64 v[23:24], v[9:10], v[5:6], v[5:6]
; %bb.170:
	s_or_b32 exec_lo, exec_lo, s1
	v_dual_mov_b32 v9, v21 :: v_dual_mov_b32 v10, v22
.LBB220_171:
	s_or_b32 exec_lo, exec_lo, s7
.LBB220_172:
	s_delay_alu instid0(SALU_CYCLE_1) | instskip(NEXT) | instid1(VALU_DEP_2)
	s_or_b32 exec_lo, exec_lo, s6
	v_dual_mov_b32 v11, v23 :: v_dual_mov_b32 v12, v24
.LBB220_173:
	s_or_b32 exec_lo, exec_lo, s3
	v_dual_mov_b32 v5, v7 :: v_dual_mov_b32 v6, v8
	s_mov_b32 s3, exec_lo
	v_cmpx_gt_i32_e64 s10, v27
	s_cbranch_execz .LBB220_207
; %bb.174:
	s_waitcnt vmcnt(0)
	v_cmp_neq_f64_e32 vcc_lo, 0, v[17:18]
	v_cmp_neq_f64_e64 s1, 0, v[19:20]
	v_mov_b32_e32 v5, 0
	v_mov_b32_e32 v6, 0
	s_delay_alu instid0(VALU_DEP_3) | instskip(NEXT) | instid1(SALU_CYCLE_1)
	s_or_b32 s1, vcc_lo, s1
	s_and_saveexec_b32 s6, s1
	s_cbranch_execz .LBB220_206
; %bb.175:
	s_mov_b32 s12, 0
	s_mov_b32 s13, 0x7ff00000
	v_mov_b32_e32 v5, s12
	v_mov_b32_e32 v6, s13
	s_mov_b32 s7, exec_lo
	v_cmpx_neq_f64_e64 0x7ff00000, |v[19:20]|
	s_cbranch_execz .LBB220_205
; %bb.176:
	s_mov_b32 s1, exec_lo
	v_cmpx_o_f64_e32 v[17:18], v[17:18]
	s_xor_b32 s9, exec_lo, s1
	s_cbranch_execz .LBB220_202
; %bb.177:
	s_mov_b32 s2, exec_lo
	v_cmpx_neq_f64_e64 0x7ff00000, |v[17:18]|
	s_xor_b32 s11, exec_lo, s2
	s_cbranch_execz .LBB220_195
; %bb.178:
	v_max_f64 v[5:6], |v[19:20]|, |v[19:20]|
	v_max_f64 v[7:8], |v[17:18]|, |v[17:18]|
	s_mov_b32 s12, 0x99fcef32
	s_mov_b32 s13, 0x7fda8279
	s_delay_alu instid0(VALU_DEP_1) | instskip(NEXT) | instid1(VALU_DEP_1)
	v_max_f64 v[5:6], v[7:8], v[5:6]
	v_cmp_nle_f64_e64 s1, s[12:13], v[5:6]
                                        ; implicit-def: $sgpr12
	s_delay_alu instid0(VALU_DEP_1) | instskip(NEXT) | instid1(SALU_CYCLE_1)
	s_and_saveexec_b32 s2, s1
	s_xor_b32 s2, exec_lo, s2
	s_cbranch_execz .LBB220_182
; %bb.179:
	v_cmp_ge_f64_e64 s12, 0x200000, |v[17:18]|
	v_cmp_ge_f64_e64 s13, 0x200000, |v[19:20]|
	s_delay_alu instid0(VALU_DEP_1)
	s_and_b32 s14, s12, s13
	s_mov_b32 s12, 0
	s_and_saveexec_b32 s13, s14
; %bb.180:
	v_mul_f64 v[17:18], v[17:18], 4.0
	v_mul_f64 v[19:20], v[19:20], 4.0
	s_mov_b32 s12, exec_lo
; %bb.181:
	s_or_b32 exec_lo, exec_lo, s13
	s_delay_alu instid0(SALU_CYCLE_1)
	s_and_b32 s12, s12, exec_lo
.LBB220_182:
	s_and_not1_saveexec_b32 s2, s2
; %bb.183:
	s_delay_alu instid0(VALU_DEP_2) | instskip(NEXT) | instid1(VALU_DEP_2)
	v_ldexp_f64 v[17:18], v[17:18], -2
	v_ldexp_f64 v[19:20], v[19:20], -2
	s_and_not1_b32 s12, s12, exec_lo
; %bb.184:
	s_or_b32 exec_lo, exec_lo, s2
	s_delay_alu instid0(VALU_DEP_1) | instskip(NEXT) | instid1(VALU_DEP_3)
	v_max_f64 v[5:6], |v[19:20]|, |v[19:20]|
	v_max_f64 v[7:8], |v[17:18]|, |v[17:18]|
	v_cmp_class_f64_e64 s13, v[17:18], 0x204
	v_cmp_class_f64_e64 s14, v[19:20], 0x204
	v_cmp_le_f64_e64 s2, 0, v[17:18]
	s_delay_alu instid0(VALU_DEP_4) | instskip(NEXT) | instid1(VALU_DEP_3)
	v_max_f64 v[5:6], v[7:8], v[5:6]
	s_or_b32 s13, s14, s13
	s_delay_alu instid0(VALU_DEP_1) | instskip(NEXT) | instid1(VALU_DEP_1)
	v_frexp_exp_i32_f64_e32 v26, v[5:6]
	v_sub_nc_u32_e32 v7, 0, v26
	s_delay_alu instid0(VALU_DEP_1) | instskip(SKIP_1) | instid1(VALU_DEP_2)
	v_ldexp_f64 v[5:6], |v[19:20]|, v7
	v_ldexp_f64 v[7:8], |v[17:18]|, v7
	v_mul_f64 v[5:6], v[5:6], v[5:6]
	s_delay_alu instid0(VALU_DEP_1) | instskip(NEXT) | instid1(VALU_DEP_1)
	v_fma_f64 v[5:6], v[7:8], v[7:8], v[5:6]
	v_rsq_f64_e32 v[7:8], v[5:6]
	v_cmp_eq_f64_e32 vcc_lo, 0, v[5:6]
	s_waitcnt_depctr 0xfff
	v_mul_f64 v[21:22], v[5:6], v[7:8]
	v_mul_f64 v[7:8], v[7:8], 0.5
	s_delay_alu instid0(VALU_DEP_1) | instskip(NEXT) | instid1(VALU_DEP_1)
	v_fma_f64 v[23:24], -v[7:8], v[21:22], 0.5
	v_fma_f64 v[21:22], v[21:22], v[23:24], v[21:22]
	v_fma_f64 v[7:8], v[7:8], v[23:24], v[7:8]
	s_delay_alu instid0(VALU_DEP_2) | instskip(NEXT) | instid1(VALU_DEP_1)
	v_fma_f64 v[23:24], -v[21:22], v[21:22], v[5:6]
	v_fma_f64 v[7:8], v[23:24], v[7:8], v[21:22]
	s_delay_alu instid0(VALU_DEP_1) | instskip(SKIP_1) | instid1(VALU_DEP_2)
	v_dual_cndmask_b32 v6, v8, v6 :: v_dual_cndmask_b32 v5, v7, v5
	v_cmp_o_f64_e32 vcc_lo, v[19:20], v[19:20]
	v_ldexp_f64 v[5:6], v[5:6], v26
	s_delay_alu instid0(VALU_DEP_1) | instskip(NEXT) | instid1(VALU_DEP_2)
	v_cndmask_b32_e32 v5, 0, v5, vcc_lo
	v_cndmask_b32_e32 v6, 0x7ff80000, v6, vcc_lo
	s_delay_alu instid0(VALU_DEP_2) | instskip(NEXT) | instid1(VALU_DEP_2)
	v_cndmask_b32_e64 v5, v5, 0, s13
	v_cndmask_b32_e64 v6, v6, 0x7ff00000, s13
	s_and_saveexec_b32 s13, s2
	s_delay_alu instid0(SALU_CYCLE_1)
	s_xor_b32 s2, exec_lo, s13
	s_cbranch_execz .LBB220_190
; %bb.185:
	s_delay_alu instid0(VALU_DEP_1) | instskip(NEXT) | instid1(VALU_DEP_1)
	v_add_f64 v[5:6], v[17:18], v[5:6]
	v_mul_f64 v[5:6], v[5:6], 0.5
	s_delay_alu instid0(VALU_DEP_1) | instskip(SKIP_1) | instid1(VALU_DEP_1)
	v_cmp_gt_f64_e32 vcc_lo, 0x10000000, v[5:6]
	v_cndmask_b32_e64 v7, 0, 1, vcc_lo
	v_lshlrev_b32_e32 v7, 8, v7
	s_delay_alu instid0(VALU_DEP_1) | instskip(NEXT) | instid1(VALU_DEP_1)
	v_ldexp_f64 v[5:6], v[5:6], v7
	v_rsq_f64_e32 v[7:8], v[5:6]
	s_waitcnt_depctr 0xfff
	v_mul_f64 v[17:18], v[5:6], v[7:8]
	v_mul_f64 v[7:8], v[7:8], 0.5
	s_delay_alu instid0(VALU_DEP_1) | instskip(NEXT) | instid1(VALU_DEP_1)
	v_fma_f64 v[21:22], -v[7:8], v[17:18], 0.5
	v_fma_f64 v[17:18], v[17:18], v[21:22], v[17:18]
	v_fma_f64 v[7:8], v[7:8], v[21:22], v[7:8]
	s_delay_alu instid0(VALU_DEP_2) | instskip(NEXT) | instid1(VALU_DEP_1)
	v_fma_f64 v[21:22], -v[17:18], v[17:18], v[5:6]
	v_fma_f64 v[17:18], v[21:22], v[7:8], v[17:18]
	s_delay_alu instid0(VALU_DEP_1) | instskip(NEXT) | instid1(VALU_DEP_1)
	v_fma_f64 v[21:22], -v[17:18], v[17:18], v[5:6]
	v_fma_f64 v[7:8], v[21:22], v[7:8], v[17:18]
	v_cndmask_b32_e64 v17, 0, 0xffffff80, vcc_lo
	v_cmp_class_f64_e64 vcc_lo, v[5:6], 0x260
	s_delay_alu instid0(VALU_DEP_2) | instskip(NEXT) | instid1(VALU_DEP_1)
	v_ldexp_f64 v[7:8], v[7:8], v17
	v_dual_cndmask_b32 v18, v8, v6 :: v_dual_cndmask_b32 v17, v7, v5
	s_delay_alu instid0(VALU_DEP_1) | instskip(NEXT) | instid1(VALU_DEP_1)
	v_add_f64 v[5:6], v[17:18], v[17:18]
	v_div_scale_f64 v[7:8], null, v[5:6], v[5:6], v[19:20]
	s_delay_alu instid0(VALU_DEP_1) | instskip(SKIP_2) | instid1(VALU_DEP_1)
	v_rcp_f64_e32 v[21:22], v[7:8]
	s_waitcnt_depctr 0xfff
	v_fma_f64 v[23:24], -v[7:8], v[21:22], 1.0
	v_fma_f64 v[21:22], v[21:22], v[23:24], v[21:22]
	s_delay_alu instid0(VALU_DEP_1) | instskip(NEXT) | instid1(VALU_DEP_1)
	v_fma_f64 v[23:24], -v[7:8], v[21:22], 1.0
	v_fma_f64 v[21:22], v[21:22], v[23:24], v[21:22]
	v_div_scale_f64 v[23:24], vcc_lo, v[19:20], v[5:6], v[19:20]
	s_delay_alu instid0(VALU_DEP_1) | instskip(NEXT) | instid1(VALU_DEP_1)
	v_mul_f64 v[28:29], v[23:24], v[21:22]
	v_fma_f64 v[7:8], -v[7:8], v[28:29], v[23:24]
	s_delay_alu instid0(VALU_DEP_1) | instskip(NEXT) | instid1(VALU_DEP_1)
	v_div_fmas_f64 v[7:8], v[7:8], v[21:22], v[28:29]
	v_div_fixup_f64 v[19:20], v[7:8], v[5:6], v[19:20]
                                        ; implicit-def: $vgpr5_vgpr6
	s_and_not1_saveexec_b32 s2, s2
	s_cbranch_execnz .LBB220_191
.LBB220_186:
	s_or_b32 exec_lo, exec_lo, s2
	s_and_saveexec_b32 s2, s1
	s_delay_alu instid0(SALU_CYCLE_1)
	s_xor_b32 s1, exec_lo, s2
	s_cbranch_execz .LBB220_192
.LBB220_187:
	s_and_saveexec_b32 s2, s12
; %bb.188:
	s_delay_alu instid0(VALU_DEP_2) | instskip(NEXT) | instid1(VALU_DEP_2)
	v_mul_f64 v[17:18], v[17:18], 0.5
	v_mul_f64 v[19:20], v[19:20], 0.5
; %bb.189:
	s_or_b32 exec_lo, exec_lo, s2
	s_and_not1_saveexec_b32 s1, s1
	s_cbranch_execnz .LBB220_193
	s_branch .LBB220_194
.LBB220_190:
	s_and_not1_saveexec_b32 s2, s2
	s_cbranch_execz .LBB220_186
.LBB220_191:
	v_add_f64 v[5:6], v[5:6], -v[17:18]
	s_delay_alu instid0(VALU_DEP_1) | instskip(NEXT) | instid1(VALU_DEP_1)
	v_mul_f64 v[5:6], v[5:6], 0.5
	v_cmp_gt_f64_e32 vcc_lo, 0x10000000, v[5:6]
	v_cndmask_b32_e64 v7, 0, 1, vcc_lo
	s_delay_alu instid0(VALU_DEP_1) | instskip(NEXT) | instid1(VALU_DEP_1)
	v_lshlrev_b32_e32 v7, 8, v7
	v_ldexp_f64 v[5:6], v[5:6], v7
	s_delay_alu instid0(VALU_DEP_1) | instskip(SKIP_3) | instid1(VALU_DEP_1)
	v_rsq_f64_e32 v[7:8], v[5:6]
	s_waitcnt_depctr 0xfff
	v_mul_f64 v[17:18], v[5:6], v[7:8]
	v_mul_f64 v[7:8], v[7:8], 0.5
	v_fma_f64 v[21:22], -v[7:8], v[17:18], 0.5
	s_delay_alu instid0(VALU_DEP_1) | instskip(SKIP_1) | instid1(VALU_DEP_2)
	v_fma_f64 v[17:18], v[17:18], v[21:22], v[17:18]
	v_fma_f64 v[7:8], v[7:8], v[21:22], v[7:8]
	v_fma_f64 v[21:22], -v[17:18], v[17:18], v[5:6]
	s_delay_alu instid0(VALU_DEP_1) | instskip(NEXT) | instid1(VALU_DEP_1)
	v_fma_f64 v[17:18], v[21:22], v[7:8], v[17:18]
	v_fma_f64 v[21:22], -v[17:18], v[17:18], v[5:6]
	s_delay_alu instid0(VALU_DEP_1) | instskip(SKIP_3) | instid1(VALU_DEP_3)
	v_fma_f64 v[7:8], v[21:22], v[7:8], v[17:18]
	v_cndmask_b32_e64 v17, 0, 0xffffff80, vcc_lo
	v_cmp_class_f64_e64 vcc_lo, v[5:6], 0x260
	v_and_b32_e32 v18, 0x7fffffff, v20
	v_ldexp_f64 v[7:8], v[7:8], v17
	s_delay_alu instid0(VALU_DEP_1) | instskip(NEXT) | instid1(VALU_DEP_1)
	v_dual_cndmask_b32 v6, v8, v6 :: v_dual_cndmask_b32 v5, v7, v5
	v_add_f64 v[7:8], v[5:6], v[5:6]
	v_bfi_b32 v6, 0x7fffffff, v6, v20
	v_mov_b32_e32 v17, v19
	s_delay_alu instid0(VALU_DEP_1) | instskip(SKIP_1) | instid1(VALU_DEP_2)
	v_div_scale_f64 v[21:22], null, v[7:8], v[7:8], v[17:18]
	v_div_scale_f64 v[17:18], vcc_lo, v[17:18], v[7:8], v[17:18]
	v_rcp_f64_e32 v[23:24], v[21:22]
	s_waitcnt_depctr 0xfff
	v_fma_f64 v[28:29], -v[21:22], v[23:24], 1.0
	s_delay_alu instid0(VALU_DEP_1) | instskip(NEXT) | instid1(VALU_DEP_1)
	v_fma_f64 v[23:24], v[23:24], v[28:29], v[23:24]
	v_fma_f64 v[28:29], -v[21:22], v[23:24], 1.0
	s_delay_alu instid0(VALU_DEP_1) | instskip(NEXT) | instid1(VALU_DEP_1)
	v_fma_f64 v[23:24], v[23:24], v[28:29], v[23:24]
	v_mul_f64 v[28:29], v[17:18], v[23:24]
	s_delay_alu instid0(VALU_DEP_1) | instskip(NEXT) | instid1(VALU_DEP_1)
	v_fma_f64 v[17:18], -v[21:22], v[28:29], v[17:18]
	v_div_fmas_f64 v[17:18], v[17:18], v[23:24], v[28:29]
	s_delay_alu instid0(VALU_DEP_1) | instskip(SKIP_3) | instid1(SALU_CYCLE_1)
	v_div_fixup_f64 v[17:18], v[17:18], v[7:8], |v[19:20]|
	v_dual_mov_b32 v20, v6 :: v_dual_mov_b32 v19, v5
	s_or_b32 exec_lo, exec_lo, s2
	s_and_saveexec_b32 s2, s1
	s_xor_b32 s1, exec_lo, s2
	s_cbranch_execnz .LBB220_187
.LBB220_192:
	s_and_not1_saveexec_b32 s1, s1
.LBB220_193:
	s_delay_alu instid0(VALU_DEP_2) | instskip(NEXT) | instid1(VALU_DEP_2)
	v_add_f64 v[17:18], v[17:18], v[17:18]
	v_add_f64 v[19:20], v[19:20], v[19:20]
.LBB220_194:
	s_or_b32 exec_lo, exec_lo, s1
.LBB220_195:
	s_and_not1_saveexec_b32 s1, s11
	s_cbranch_execz .LBB220_201
; %bb.196:
	s_delay_alu instid0(VALU_DEP_1) | instskip(SKIP_1) | instid1(VALU_DEP_3)
	v_add_f64 v[5:6], v[19:20], -v[19:20]
	s_mov_b32 s2, exec_lo
	v_cmpx_lt_i64_e32 -1, v[17:18]
	s_xor_b32 s2, exec_lo, s2
; %bb.197:
	s_delay_alu instid0(VALU_DEP_2) | instskip(NEXT) | instid1(VALU_DEP_1)
	v_bfi_b32 v6, 0x7fffffff, v6, v20
	v_dual_mov_b32 v20, v6 :: v_dual_mov_b32 v19, v5
                                        ; implicit-def: $vgpr5_vgpr6
; %bb.198:
	s_and_not1_saveexec_b32 s2, s2
; %bb.199:
	s_delay_alu instid0(VALU_DEP_1) | instskip(SKIP_1) | instid1(VALU_DEP_2)
	v_bfi_b32 v18, 0x7fffffff, v18, v20
	v_and_b32_e32 v6, 0x7fffffff, v6
	v_dual_mov_b32 v20, v18 :: v_dual_mov_b32 v19, v17
	s_delay_alu instid0(VALU_DEP_2)
	v_dual_mov_b32 v18, v6 :: v_dual_mov_b32 v17, v5
; %bb.200:
	s_or_b32 exec_lo, exec_lo, s2
.LBB220_201:
	s_delay_alu instid0(SALU_CYCLE_1)
	s_or_b32 exec_lo, exec_lo, s1
.LBB220_202:
	s_and_not1_saveexec_b32 s1, s9
; %bb.203:
	s_delay_alu instid0(VALU_DEP_1) | instskip(NEXT) | instid1(VALU_DEP_1)
	v_add_f64 v[5:6], v[19:20], -v[19:20]
	v_div_scale_f64 v[7:8], vcc_lo, v[5:6], v[5:6], v[5:6]
	s_delay_alu instid0(VALU_DEP_1) | instskip(SKIP_2) | instid1(VALU_DEP_1)
	v_rcp_f64_e32 v[19:20], v[7:8]
	s_waitcnt_depctr 0xfff
	v_fma_f64 v[21:22], -v[7:8], v[19:20], 1.0
	v_fma_f64 v[19:20], v[19:20], v[21:22], v[19:20]
	s_delay_alu instid0(VALU_DEP_1) | instskip(NEXT) | instid1(VALU_DEP_1)
	v_fma_f64 v[21:22], -v[7:8], v[19:20], 1.0
	v_fma_f64 v[19:20], v[19:20], v[21:22], v[19:20]
	s_delay_alu instid0(VALU_DEP_1) | instskip(NEXT) | instid1(VALU_DEP_1)
	v_mul_f64 v[21:22], v[7:8], v[19:20]
	v_fma_f64 v[7:8], -v[7:8], v[21:22], v[7:8]
	s_delay_alu instid0(VALU_DEP_1) | instskip(NEXT) | instid1(VALU_DEP_1)
	v_div_fmas_f64 v[7:8], v[7:8], v[19:20], v[21:22]
	v_div_fixup_f64 v[19:20], v[7:8], v[5:6], v[5:6]
; %bb.204:
	s_or_b32 exec_lo, exec_lo, s1
	v_dual_mov_b32 v5, v17 :: v_dual_mov_b32 v6, v18
.LBB220_205:
	s_or_b32 exec_lo, exec_lo, s7
.LBB220_206:
	s_delay_alu instid0(SALU_CYCLE_1) | instskip(NEXT) | instid1(VALU_DEP_2)
	s_or_b32 exec_lo, exec_lo, s6
	v_dual_mov_b32 v7, v19 :: v_dual_mov_b32 v8, v20
.LBB220_207:
	s_or_b32 exec_lo, exec_lo, s3
	s_waitcnt vmcnt(0)
	v_mov_b32_e32 v17, 0
	v_mov_b32_e32 v18, 0
	v_or_b32_e32 v19, 0x200, v0
	s_delay_alu instid0(VALU_DEP_2) | instskip(NEXT) | instid1(VALU_DEP_2)
	v_dual_mov_b32 v22, v18 :: v_dual_mov_b32 v21, v17
	v_cmp_gt_i32_e32 vcc_lo, s10, v19
	v_dual_mov_b32 v20, v18 :: v_dual_mov_b32 v19, v17
	s_and_saveexec_b32 s3, vcc_lo
	s_cbranch_execz .LBB220_241
; %bb.208:
	v_cmp_neq_f64_e32 vcc_lo, 0, v[13:14]
	v_cmp_neq_f64_e64 s1, 0, v[15:16]
	v_mov_b32_e32 v19, 0
	v_mov_b32_e32 v20, 0
	s_delay_alu instid0(VALU_DEP_3) | instskip(NEXT) | instid1(SALU_CYCLE_1)
	s_or_b32 s1, vcc_lo, s1
	s_and_saveexec_b32 s6, s1
	s_cbranch_execz .LBB220_240
; %bb.209:
	s_mov_b32 s12, 0
	s_mov_b32 s13, 0x7ff00000
	v_mov_b32_e32 v19, s12
	v_mov_b32_e32 v20, s13
	s_mov_b32 s7, exec_lo
	v_cmpx_neq_f64_e64 0x7ff00000, |v[15:16]|
	s_cbranch_execz .LBB220_239
; %bb.210:
	s_mov_b32 s1, exec_lo
	v_cmpx_o_f64_e32 v[13:14], v[13:14]
	s_xor_b32 s9, exec_lo, s1
	s_cbranch_execz .LBB220_236
; %bb.211:
	s_mov_b32 s2, exec_lo
	v_cmpx_neq_f64_e64 0x7ff00000, |v[13:14]|
	s_xor_b32 s11, exec_lo, s2
	s_cbranch_execz .LBB220_229
; %bb.212:
	v_max_f64 v[19:20], |v[15:16]|, |v[15:16]|
	v_max_f64 v[21:22], |v[13:14]|, |v[13:14]|
	s_mov_b32 s12, 0x99fcef32
	s_mov_b32 s13, 0x7fda8279
	s_delay_alu instid0(VALU_DEP_1) | instskip(NEXT) | instid1(VALU_DEP_1)
	v_max_f64 v[19:20], v[21:22], v[19:20]
	v_cmp_nle_f64_e64 s1, s[12:13], v[19:20]
                                        ; implicit-def: $sgpr12
	s_delay_alu instid0(VALU_DEP_1) | instskip(NEXT) | instid1(SALU_CYCLE_1)
	s_and_saveexec_b32 s2, s1
	s_xor_b32 s2, exec_lo, s2
	s_cbranch_execz .LBB220_216
; %bb.213:
	v_cmp_ge_f64_e64 s12, 0x200000, |v[13:14]|
	v_cmp_ge_f64_e64 s13, 0x200000, |v[15:16]|
	s_delay_alu instid0(VALU_DEP_1)
	s_and_b32 s14, s12, s13
	s_mov_b32 s12, 0
	s_and_saveexec_b32 s13, s14
; %bb.214:
	v_mul_f64 v[13:14], v[13:14], 4.0
	v_mul_f64 v[15:16], v[15:16], 4.0
	s_mov_b32 s12, exec_lo
; %bb.215:
	s_or_b32 exec_lo, exec_lo, s13
	s_delay_alu instid0(SALU_CYCLE_1)
	s_and_b32 s12, s12, exec_lo
.LBB220_216:
	s_and_not1_saveexec_b32 s2, s2
; %bb.217:
	s_delay_alu instid0(VALU_DEP_2) | instskip(NEXT) | instid1(VALU_DEP_2)
	v_ldexp_f64 v[13:14], v[13:14], -2
	v_ldexp_f64 v[15:16], v[15:16], -2
	s_and_not1_b32 s12, s12, exec_lo
; %bb.218:
	s_or_b32 exec_lo, exec_lo, s2
	s_delay_alu instid0(VALU_DEP_1) | instskip(NEXT) | instid1(VALU_DEP_3)
	v_max_f64 v[19:20], |v[15:16]|, |v[15:16]|
	v_max_f64 v[21:22], |v[13:14]|, |v[13:14]|
	v_cmp_class_f64_e64 s13, v[13:14], 0x204
	v_cmp_class_f64_e64 s14, v[15:16], 0x204
	v_cmp_le_f64_e64 s2, 0, v[13:14]
	s_delay_alu instid0(VALU_DEP_4) | instskip(NEXT) | instid1(VALU_DEP_3)
	v_max_f64 v[19:20], v[21:22], v[19:20]
	s_or_b32 s13, s14, s13
	s_delay_alu instid0(VALU_DEP_1) | instskip(NEXT) | instid1(VALU_DEP_1)
	v_frexp_exp_i32_f64_e32 v26, v[19:20]
	v_sub_nc_u32_e32 v21, 0, v26
	s_delay_alu instid0(VALU_DEP_1) | instskip(SKIP_1) | instid1(VALU_DEP_2)
	v_ldexp_f64 v[19:20], |v[15:16]|, v21
	v_ldexp_f64 v[21:22], |v[13:14]|, v21
	v_mul_f64 v[19:20], v[19:20], v[19:20]
	s_delay_alu instid0(VALU_DEP_1) | instskip(NEXT) | instid1(VALU_DEP_1)
	v_fma_f64 v[19:20], v[21:22], v[21:22], v[19:20]
	v_rsq_f64_e32 v[21:22], v[19:20]
	v_cmp_eq_f64_e32 vcc_lo, 0, v[19:20]
	s_waitcnt_depctr 0xfff
	v_mul_f64 v[23:24], v[19:20], v[21:22]
	v_mul_f64 v[21:22], v[21:22], 0.5
	s_delay_alu instid0(VALU_DEP_1) | instskip(NEXT) | instid1(VALU_DEP_1)
	v_fma_f64 v[28:29], -v[21:22], v[23:24], 0.5
	v_fma_f64 v[23:24], v[23:24], v[28:29], v[23:24]
	v_fma_f64 v[21:22], v[21:22], v[28:29], v[21:22]
	s_delay_alu instid0(VALU_DEP_2) | instskip(NEXT) | instid1(VALU_DEP_1)
	v_fma_f64 v[28:29], -v[23:24], v[23:24], v[19:20]
	v_fma_f64 v[21:22], v[28:29], v[21:22], v[23:24]
	s_delay_alu instid0(VALU_DEP_1) | instskip(SKIP_1) | instid1(VALU_DEP_2)
	v_dual_cndmask_b32 v20, v22, v20 :: v_dual_cndmask_b32 v19, v21, v19
	v_cmp_o_f64_e32 vcc_lo, v[15:16], v[15:16]
	v_ldexp_f64 v[19:20], v[19:20], v26
	s_delay_alu instid0(VALU_DEP_1) | instskip(NEXT) | instid1(VALU_DEP_2)
	v_cndmask_b32_e32 v19, 0, v19, vcc_lo
	v_cndmask_b32_e32 v20, 0x7ff80000, v20, vcc_lo
	s_delay_alu instid0(VALU_DEP_2) | instskip(NEXT) | instid1(VALU_DEP_2)
	v_cndmask_b32_e64 v19, v19, 0, s13
	v_cndmask_b32_e64 v20, v20, 0x7ff00000, s13
	s_and_saveexec_b32 s13, s2
	s_delay_alu instid0(SALU_CYCLE_1)
	s_xor_b32 s2, exec_lo, s13
	s_cbranch_execz .LBB220_224
; %bb.219:
	s_delay_alu instid0(VALU_DEP_1) | instskip(NEXT) | instid1(VALU_DEP_1)
	v_add_f64 v[13:14], v[13:14], v[19:20]
	v_mul_f64 v[13:14], v[13:14], 0.5
	s_delay_alu instid0(VALU_DEP_1) | instskip(SKIP_1) | instid1(VALU_DEP_1)
	v_cmp_gt_f64_e32 vcc_lo, 0x10000000, v[13:14]
	v_cndmask_b32_e64 v19, 0, 1, vcc_lo
	v_lshlrev_b32_e32 v19, 8, v19
	s_delay_alu instid0(VALU_DEP_1) | instskip(NEXT) | instid1(VALU_DEP_1)
	v_ldexp_f64 v[13:14], v[13:14], v19
	v_rsq_f64_e32 v[19:20], v[13:14]
	s_waitcnt_depctr 0xfff
	v_mul_f64 v[21:22], v[13:14], v[19:20]
	v_mul_f64 v[19:20], v[19:20], 0.5
	s_delay_alu instid0(VALU_DEP_1) | instskip(NEXT) | instid1(VALU_DEP_1)
	v_fma_f64 v[23:24], -v[19:20], v[21:22], 0.5
	v_fma_f64 v[21:22], v[21:22], v[23:24], v[21:22]
	v_fma_f64 v[19:20], v[19:20], v[23:24], v[19:20]
	s_delay_alu instid0(VALU_DEP_2) | instskip(NEXT) | instid1(VALU_DEP_1)
	v_fma_f64 v[23:24], -v[21:22], v[21:22], v[13:14]
	v_fma_f64 v[21:22], v[23:24], v[19:20], v[21:22]
	s_delay_alu instid0(VALU_DEP_1) | instskip(NEXT) | instid1(VALU_DEP_1)
	v_fma_f64 v[23:24], -v[21:22], v[21:22], v[13:14]
	v_fma_f64 v[19:20], v[23:24], v[19:20], v[21:22]
	v_cndmask_b32_e64 v21, 0, 0xffffff80, vcc_lo
	v_cmp_class_f64_e64 vcc_lo, v[13:14], 0x260
	s_delay_alu instid0(VALU_DEP_2) | instskip(NEXT) | instid1(VALU_DEP_1)
	v_ldexp_f64 v[19:20], v[19:20], v21
	v_dual_cndmask_b32 v14, v20, v14 :: v_dual_cndmask_b32 v13, v19, v13
	s_delay_alu instid0(VALU_DEP_1) | instskip(NEXT) | instid1(VALU_DEP_1)
	v_add_f64 v[19:20], v[13:14], v[13:14]
	v_div_scale_f64 v[21:22], null, v[19:20], v[19:20], v[15:16]
	s_delay_alu instid0(VALU_DEP_1) | instskip(SKIP_2) | instid1(VALU_DEP_1)
	v_rcp_f64_e32 v[23:24], v[21:22]
	s_waitcnt_depctr 0xfff
	v_fma_f64 v[28:29], -v[21:22], v[23:24], 1.0
	v_fma_f64 v[23:24], v[23:24], v[28:29], v[23:24]
	s_delay_alu instid0(VALU_DEP_1) | instskip(NEXT) | instid1(VALU_DEP_1)
	v_fma_f64 v[28:29], -v[21:22], v[23:24], 1.0
	v_fma_f64 v[23:24], v[23:24], v[28:29], v[23:24]
	v_div_scale_f64 v[28:29], vcc_lo, v[15:16], v[19:20], v[15:16]
	s_delay_alu instid0(VALU_DEP_1) | instskip(NEXT) | instid1(VALU_DEP_1)
	v_mul_f64 v[30:31], v[28:29], v[23:24]
	v_fma_f64 v[21:22], -v[21:22], v[30:31], v[28:29]
	s_delay_alu instid0(VALU_DEP_1) | instskip(NEXT) | instid1(VALU_DEP_1)
	v_div_fmas_f64 v[21:22], v[21:22], v[23:24], v[30:31]
	v_div_fixup_f64 v[15:16], v[21:22], v[19:20], v[15:16]
                                        ; implicit-def: $vgpr19_vgpr20
	s_and_not1_saveexec_b32 s2, s2
	s_cbranch_execnz .LBB220_225
.LBB220_220:
	s_or_b32 exec_lo, exec_lo, s2
	s_and_saveexec_b32 s2, s1
	s_delay_alu instid0(SALU_CYCLE_1)
	s_xor_b32 s1, exec_lo, s2
	s_cbranch_execz .LBB220_226
.LBB220_221:
	s_and_saveexec_b32 s2, s12
; %bb.222:
	s_delay_alu instid0(VALU_DEP_2) | instskip(NEXT) | instid1(VALU_DEP_2)
	v_mul_f64 v[13:14], v[13:14], 0.5
	v_mul_f64 v[15:16], v[15:16], 0.5
; %bb.223:
	s_or_b32 exec_lo, exec_lo, s2
	s_and_not1_saveexec_b32 s1, s1
	s_cbranch_execnz .LBB220_227
	s_branch .LBB220_228
.LBB220_224:
	s_and_not1_saveexec_b32 s2, s2
	s_cbranch_execz .LBB220_220
.LBB220_225:
	v_add_f64 v[13:14], v[19:20], -v[13:14]
	s_delay_alu instid0(VALU_DEP_1) | instskip(NEXT) | instid1(VALU_DEP_1)
	v_mul_f64 v[13:14], v[13:14], 0.5
	v_cmp_gt_f64_e32 vcc_lo, 0x10000000, v[13:14]
	v_cndmask_b32_e64 v19, 0, 1, vcc_lo
	s_delay_alu instid0(VALU_DEP_1) | instskip(NEXT) | instid1(VALU_DEP_1)
	v_lshlrev_b32_e32 v19, 8, v19
	v_ldexp_f64 v[13:14], v[13:14], v19
	s_delay_alu instid0(VALU_DEP_1) | instskip(SKIP_3) | instid1(VALU_DEP_1)
	v_rsq_f64_e32 v[19:20], v[13:14]
	s_waitcnt_depctr 0xfff
	v_mul_f64 v[21:22], v[13:14], v[19:20]
	v_mul_f64 v[19:20], v[19:20], 0.5
	v_fma_f64 v[23:24], -v[19:20], v[21:22], 0.5
	s_delay_alu instid0(VALU_DEP_1) | instskip(SKIP_1) | instid1(VALU_DEP_2)
	v_fma_f64 v[21:22], v[21:22], v[23:24], v[21:22]
	v_fma_f64 v[19:20], v[19:20], v[23:24], v[19:20]
	v_fma_f64 v[23:24], -v[21:22], v[21:22], v[13:14]
	s_delay_alu instid0(VALU_DEP_1) | instskip(NEXT) | instid1(VALU_DEP_1)
	v_fma_f64 v[21:22], v[23:24], v[19:20], v[21:22]
	v_fma_f64 v[23:24], -v[21:22], v[21:22], v[13:14]
	s_delay_alu instid0(VALU_DEP_1) | instskip(SKIP_3) | instid1(VALU_DEP_3)
	v_fma_f64 v[19:20], v[23:24], v[19:20], v[21:22]
	v_cndmask_b32_e64 v21, 0, 0xffffff80, vcc_lo
	v_cmp_class_f64_e64 vcc_lo, v[13:14], 0x260
	v_and_b32_e32 v22, 0x7fffffff, v16
	v_ldexp_f64 v[19:20], v[19:20], v21
	s_delay_alu instid0(VALU_DEP_1) | instskip(NEXT) | instid1(VALU_DEP_1)
	v_dual_cndmask_b32 v20, v20, v14 :: v_dual_cndmask_b32 v19, v19, v13
	v_add_f64 v[13:14], v[19:20], v[19:20]
	v_bfi_b32 v20, 0x7fffffff, v20, v16
	v_mov_b32_e32 v21, v15
	s_delay_alu instid0(VALU_DEP_1) | instskip(SKIP_1) | instid1(VALU_DEP_2)
	v_div_scale_f64 v[23:24], null, v[13:14], v[13:14], v[21:22]
	v_div_scale_f64 v[21:22], vcc_lo, v[21:22], v[13:14], v[21:22]
	v_rcp_f64_e32 v[28:29], v[23:24]
	s_waitcnt_depctr 0xfff
	v_fma_f64 v[30:31], -v[23:24], v[28:29], 1.0
	s_delay_alu instid0(VALU_DEP_1) | instskip(NEXT) | instid1(VALU_DEP_1)
	v_fma_f64 v[28:29], v[28:29], v[30:31], v[28:29]
	v_fma_f64 v[30:31], -v[23:24], v[28:29], 1.0
	s_delay_alu instid0(VALU_DEP_1) | instskip(NEXT) | instid1(VALU_DEP_1)
	v_fma_f64 v[28:29], v[28:29], v[30:31], v[28:29]
	v_mul_f64 v[30:31], v[21:22], v[28:29]
	s_delay_alu instid0(VALU_DEP_1) | instskip(NEXT) | instid1(VALU_DEP_1)
	v_fma_f64 v[21:22], -v[23:24], v[30:31], v[21:22]
	v_div_fmas_f64 v[21:22], v[21:22], v[28:29], v[30:31]
	s_delay_alu instid0(VALU_DEP_1) | instskip(SKIP_3) | instid1(SALU_CYCLE_1)
	v_div_fixup_f64 v[13:14], v[21:22], v[13:14], |v[15:16]|
	v_dual_mov_b32 v15, v19 :: v_dual_mov_b32 v16, v20
	s_or_b32 exec_lo, exec_lo, s2
	s_and_saveexec_b32 s2, s1
	s_xor_b32 s1, exec_lo, s2
	s_cbranch_execnz .LBB220_221
.LBB220_226:
	s_and_not1_saveexec_b32 s1, s1
.LBB220_227:
	s_delay_alu instid0(VALU_DEP_2) | instskip(NEXT) | instid1(VALU_DEP_2)
	v_add_f64 v[13:14], v[13:14], v[13:14]
	v_add_f64 v[15:16], v[15:16], v[15:16]
.LBB220_228:
	s_or_b32 exec_lo, exec_lo, s1
.LBB220_229:
	s_and_not1_saveexec_b32 s1, s11
	s_cbranch_execz .LBB220_235
; %bb.230:
	s_delay_alu instid0(VALU_DEP_1) | instskip(SKIP_1) | instid1(VALU_DEP_3)
	v_add_f64 v[19:20], v[15:16], -v[15:16]
	s_mov_b32 s2, exec_lo
	v_cmpx_lt_i64_e32 -1, v[13:14]
	s_xor_b32 s2, exec_lo, s2
; %bb.231:
	s_delay_alu instid0(VALU_DEP_2) | instskip(NEXT) | instid1(VALU_DEP_1)
	v_bfi_b32 v20, 0x7fffffff, v20, v16
	v_dual_mov_b32 v15, v19 :: v_dual_mov_b32 v16, v20
                                        ; implicit-def: $vgpr19_vgpr20
; %bb.232:
	s_and_not1_saveexec_b32 s2, s2
; %bb.233:
	s_delay_alu instid0(VALU_DEP_1) | instskip(SKIP_1) | instid1(VALU_DEP_2)
	v_bfi_b32 v14, 0x7fffffff, v14, v16
	v_and_b32_e32 v20, 0x7fffffff, v20
	v_dual_mov_b32 v16, v14 :: v_dual_mov_b32 v15, v13
	s_delay_alu instid0(VALU_DEP_2)
	v_dual_mov_b32 v13, v19 :: v_dual_mov_b32 v14, v20
; %bb.234:
	s_or_b32 exec_lo, exec_lo, s2
.LBB220_235:
	s_delay_alu instid0(SALU_CYCLE_1)
	s_or_b32 exec_lo, exec_lo, s1
.LBB220_236:
	s_and_not1_saveexec_b32 s1, s9
; %bb.237:
	s_delay_alu instid0(VALU_DEP_1) | instskip(NEXT) | instid1(VALU_DEP_1)
	v_add_f64 v[15:16], v[15:16], -v[15:16]
	v_div_scale_f64 v[19:20], vcc_lo, v[15:16], v[15:16], v[15:16]
	s_delay_alu instid0(VALU_DEP_1) | instskip(SKIP_2) | instid1(VALU_DEP_1)
	v_rcp_f64_e32 v[21:22], v[19:20]
	s_waitcnt_depctr 0xfff
	v_fma_f64 v[23:24], -v[19:20], v[21:22], 1.0
	v_fma_f64 v[21:22], v[21:22], v[23:24], v[21:22]
	s_delay_alu instid0(VALU_DEP_1) | instskip(NEXT) | instid1(VALU_DEP_1)
	v_fma_f64 v[23:24], -v[19:20], v[21:22], 1.0
	v_fma_f64 v[21:22], v[21:22], v[23:24], v[21:22]
	s_delay_alu instid0(VALU_DEP_1) | instskip(NEXT) | instid1(VALU_DEP_1)
	v_mul_f64 v[23:24], v[19:20], v[21:22]
	v_fma_f64 v[19:20], -v[19:20], v[23:24], v[19:20]
	s_delay_alu instid0(VALU_DEP_1) | instskip(NEXT) | instid1(VALU_DEP_1)
	v_div_fmas_f64 v[19:20], v[19:20], v[21:22], v[23:24]
	v_div_fixup_f64 v[15:16], v[19:20], v[15:16], v[15:16]
; %bb.238:
	s_or_b32 exec_lo, exec_lo, s1
	v_dual_mov_b32 v20, v14 :: v_dual_mov_b32 v19, v13
.LBB220_239:
	s_or_b32 exec_lo, exec_lo, s7
.LBB220_240:
	s_delay_alu instid0(SALU_CYCLE_1) | instskip(NEXT) | instid1(VALU_DEP_2)
	s_or_b32 exec_lo, exec_lo, s6
	v_dual_mov_b32 v22, v16 :: v_dual_mov_b32 v21, v15
.LBB220_241:
	s_or_b32 exec_lo, exec_lo, s3
	v_or_b32_e32 v13, 0x300, v0
	v_dual_mov_b32 v15, v17 :: v_dual_mov_b32 v16, v18
	s_mov_b32 s3, exec_lo
	s_delay_alu instid0(VALU_DEP_2)
	v_cmpx_gt_i32_e64 s10, v13
	s_cbranch_execz .LBB220_258
; %bb.242:
	v_cmp_neq_f64_e32 vcc_lo, 0, v[1:2]
	v_cmp_neq_f64_e64 s1, 0, v[3:4]
	v_mov_b32_e32 v15, 0
	v_mov_b32_e32 v16, 0
	s_delay_alu instid0(VALU_DEP_3) | instskip(NEXT) | instid1(SALU_CYCLE_1)
	s_or_b32 s1, vcc_lo, s1
	s_and_saveexec_b32 s6, s1
	s_cbranch_execz .LBB220_278
; %bb.243:
	s_mov_b32 s12, 0
	s_mov_b32 s13, 0x7ff00000
	v_mov_b32_e32 v15, s12
	v_mov_b32_e32 v16, s13
	s_mov_b32 s7, exec_lo
	v_cmpx_neq_f64_e64 0x7ff00000, |v[3:4]|
	s_cbranch_execz .LBB220_277
; %bb.244:
	s_mov_b32 s1, exec_lo
	v_cmpx_o_f64_e32 v[1:2], v[1:2]
	s_xor_b32 s9, exec_lo, s1
	s_cbranch_execz .LBB220_274
; %bb.245:
	s_mov_b32 s2, exec_lo
	v_cmpx_neq_f64_e64 0x7ff00000, |v[1:2]|
	s_xor_b32 s11, exec_lo, s2
	s_cbranch_execz .LBB220_267
; %bb.246:
	v_max_f64 v[13:14], |v[3:4]|, |v[3:4]|
	v_max_f64 v[15:16], |v[1:2]|, |v[1:2]|
	s_mov_b32 s12, 0x99fcef32
	s_mov_b32 s13, 0x7fda8279
	s_delay_alu instid0(VALU_DEP_1) | instskip(NEXT) | instid1(VALU_DEP_1)
	v_max_f64 v[13:14], v[15:16], v[13:14]
	v_cmp_nle_f64_e64 s1, s[12:13], v[13:14]
                                        ; implicit-def: $sgpr12
	s_delay_alu instid0(VALU_DEP_1) | instskip(NEXT) | instid1(SALU_CYCLE_1)
	s_and_saveexec_b32 s2, s1
	s_xor_b32 s2, exec_lo, s2
	s_cbranch_execz .LBB220_250
; %bb.247:
	v_cmp_ge_f64_e64 s12, 0x200000, |v[1:2]|
	v_cmp_ge_f64_e64 s13, 0x200000, |v[3:4]|
	s_delay_alu instid0(VALU_DEP_1)
	s_and_b32 s14, s12, s13
	s_mov_b32 s12, 0
	s_and_saveexec_b32 s13, s14
; %bb.248:
	v_mul_f64 v[1:2], v[1:2], 4.0
	v_mul_f64 v[3:4], v[3:4], 4.0
	s_mov_b32 s12, exec_lo
; %bb.249:
	s_or_b32 exec_lo, exec_lo, s13
	s_delay_alu instid0(SALU_CYCLE_1)
	s_and_b32 s12, s12, exec_lo
.LBB220_250:
	s_and_not1_saveexec_b32 s2, s2
; %bb.251:
	s_delay_alu instid0(VALU_DEP_2) | instskip(NEXT) | instid1(VALU_DEP_2)
	v_ldexp_f64 v[1:2], v[1:2], -2
	v_ldexp_f64 v[3:4], v[3:4], -2
	s_and_not1_b32 s12, s12, exec_lo
; %bb.252:
	s_or_b32 exec_lo, exec_lo, s2
	s_delay_alu instid0(VALU_DEP_1) | instskip(NEXT) | instid1(VALU_DEP_3)
	v_max_f64 v[13:14], |v[3:4]|, |v[3:4]|
	v_max_f64 v[15:16], |v[1:2]|, |v[1:2]|
	v_cmp_class_f64_e64 s13, v[1:2], 0x204
	v_cmp_class_f64_e64 s14, v[3:4], 0x204
	v_cmp_le_f64_e64 s2, 0, v[1:2]
	s_delay_alu instid0(VALU_DEP_4) | instskip(NEXT) | instid1(VALU_DEP_3)
	v_max_f64 v[13:14], v[15:16], v[13:14]
	s_or_b32 s13, s14, s13
	s_delay_alu instid0(VALU_DEP_1) | instskip(NEXT) | instid1(VALU_DEP_1)
	v_frexp_exp_i32_f64_e32 v26, v[13:14]
	v_sub_nc_u32_e32 v15, 0, v26
	s_delay_alu instid0(VALU_DEP_1) | instskip(SKIP_1) | instid1(VALU_DEP_2)
	v_ldexp_f64 v[13:14], |v[3:4]|, v15
	v_ldexp_f64 v[15:16], |v[1:2]|, v15
	v_mul_f64 v[13:14], v[13:14], v[13:14]
	s_delay_alu instid0(VALU_DEP_1) | instskip(NEXT) | instid1(VALU_DEP_1)
	v_fma_f64 v[13:14], v[15:16], v[15:16], v[13:14]
	v_rsq_f64_e32 v[15:16], v[13:14]
	v_cmp_eq_f64_e32 vcc_lo, 0, v[13:14]
	s_waitcnt_depctr 0xfff
	v_mul_f64 v[17:18], v[13:14], v[15:16]
	v_mul_f64 v[15:16], v[15:16], 0.5
	s_delay_alu instid0(VALU_DEP_1) | instskip(NEXT) | instid1(VALU_DEP_1)
	v_fma_f64 v[23:24], -v[15:16], v[17:18], 0.5
	v_fma_f64 v[17:18], v[17:18], v[23:24], v[17:18]
	v_fma_f64 v[15:16], v[15:16], v[23:24], v[15:16]
	s_delay_alu instid0(VALU_DEP_2) | instskip(NEXT) | instid1(VALU_DEP_1)
	v_fma_f64 v[23:24], -v[17:18], v[17:18], v[13:14]
	v_fma_f64 v[15:16], v[23:24], v[15:16], v[17:18]
	s_delay_alu instid0(VALU_DEP_1) | instskip(SKIP_1) | instid1(VALU_DEP_2)
	v_dual_cndmask_b32 v14, v16, v14 :: v_dual_cndmask_b32 v13, v15, v13
	v_cmp_o_f64_e32 vcc_lo, v[3:4], v[3:4]
	v_ldexp_f64 v[13:14], v[13:14], v26
	s_delay_alu instid0(VALU_DEP_1) | instskip(NEXT) | instid1(VALU_DEP_2)
	v_cndmask_b32_e32 v13, 0, v13, vcc_lo
	v_cndmask_b32_e32 v14, 0x7ff80000, v14, vcc_lo
	s_delay_alu instid0(VALU_DEP_2) | instskip(NEXT) | instid1(VALU_DEP_2)
	v_cndmask_b32_e64 v13, v13, 0, s13
	v_cndmask_b32_e64 v14, v14, 0x7ff00000, s13
	s_and_saveexec_b32 s13, s2
	s_delay_alu instid0(SALU_CYCLE_1)
	s_xor_b32 s2, exec_lo, s13
	s_cbranch_execz .LBB220_262
; %bb.253:
	s_delay_alu instid0(VALU_DEP_1) | instskip(NEXT) | instid1(VALU_DEP_1)
	v_add_f64 v[1:2], v[1:2], v[13:14]
	v_mul_f64 v[1:2], v[1:2], 0.5
	s_delay_alu instid0(VALU_DEP_1) | instskip(SKIP_1) | instid1(VALU_DEP_1)
	v_cmp_gt_f64_e32 vcc_lo, 0x10000000, v[1:2]
	v_cndmask_b32_e64 v13, 0, 1, vcc_lo
	v_lshlrev_b32_e32 v13, 8, v13
	s_delay_alu instid0(VALU_DEP_1) | instskip(NEXT) | instid1(VALU_DEP_1)
	v_ldexp_f64 v[1:2], v[1:2], v13
	v_rsq_f64_e32 v[13:14], v[1:2]
	s_waitcnt_depctr 0xfff
	v_mul_f64 v[15:16], v[1:2], v[13:14]
	v_mul_f64 v[13:14], v[13:14], 0.5
	s_delay_alu instid0(VALU_DEP_1) | instskip(NEXT) | instid1(VALU_DEP_1)
	v_fma_f64 v[17:18], -v[13:14], v[15:16], 0.5
	v_fma_f64 v[15:16], v[15:16], v[17:18], v[15:16]
	v_fma_f64 v[13:14], v[13:14], v[17:18], v[13:14]
	s_delay_alu instid0(VALU_DEP_2) | instskip(NEXT) | instid1(VALU_DEP_1)
	v_fma_f64 v[17:18], -v[15:16], v[15:16], v[1:2]
	v_fma_f64 v[15:16], v[17:18], v[13:14], v[15:16]
	s_delay_alu instid0(VALU_DEP_1) | instskip(NEXT) | instid1(VALU_DEP_1)
	v_fma_f64 v[17:18], -v[15:16], v[15:16], v[1:2]
	v_fma_f64 v[13:14], v[17:18], v[13:14], v[15:16]
	v_cndmask_b32_e64 v15, 0, 0xffffff80, vcc_lo
	v_cmp_class_f64_e64 vcc_lo, v[1:2], 0x260
	s_delay_alu instid0(VALU_DEP_2) | instskip(NEXT) | instid1(VALU_DEP_1)
	v_ldexp_f64 v[13:14], v[13:14], v15
	v_dual_cndmask_b32 v2, v14, v2 :: v_dual_cndmask_b32 v1, v13, v1
	s_delay_alu instid0(VALU_DEP_1) | instskip(NEXT) | instid1(VALU_DEP_1)
	v_add_f64 v[13:14], v[1:2], v[1:2]
	v_div_scale_f64 v[15:16], null, v[13:14], v[13:14], v[3:4]
	s_delay_alu instid0(VALU_DEP_1) | instskip(SKIP_2) | instid1(VALU_DEP_1)
	v_rcp_f64_e32 v[17:18], v[15:16]
	s_waitcnt_depctr 0xfff
	v_fma_f64 v[23:24], -v[15:16], v[17:18], 1.0
	v_fma_f64 v[17:18], v[17:18], v[23:24], v[17:18]
	s_delay_alu instid0(VALU_DEP_1) | instskip(NEXT) | instid1(VALU_DEP_1)
	v_fma_f64 v[23:24], -v[15:16], v[17:18], 1.0
	v_fma_f64 v[17:18], v[17:18], v[23:24], v[17:18]
	v_div_scale_f64 v[23:24], vcc_lo, v[3:4], v[13:14], v[3:4]
	s_delay_alu instid0(VALU_DEP_1) | instskip(NEXT) | instid1(VALU_DEP_1)
	v_mul_f64 v[28:29], v[23:24], v[17:18]
	v_fma_f64 v[15:16], -v[15:16], v[28:29], v[23:24]
	s_delay_alu instid0(VALU_DEP_1) | instskip(NEXT) | instid1(VALU_DEP_1)
	v_div_fmas_f64 v[15:16], v[15:16], v[17:18], v[28:29]
	v_div_fixup_f64 v[3:4], v[15:16], v[13:14], v[3:4]
                                        ; implicit-def: $vgpr13_vgpr14
	s_and_not1_saveexec_b32 s2, s2
	s_cbranch_execnz .LBB220_263
.LBB220_254:
	s_or_b32 exec_lo, exec_lo, s2
	s_and_saveexec_b32 s2, s1
	s_delay_alu instid0(SALU_CYCLE_1)
	s_xor_b32 s1, exec_lo, s2
	s_cbranch_execz .LBB220_264
.LBB220_255:
	s_and_saveexec_b32 s2, s12
; %bb.256:
	s_delay_alu instid0(VALU_DEP_2) | instskip(NEXT) | instid1(VALU_DEP_2)
	v_mul_f64 v[1:2], v[1:2], 0.5
	v_mul_f64 v[3:4], v[3:4], 0.5
; %bb.257:
	s_or_b32 exec_lo, exec_lo, s2
	s_and_not1_saveexec_b32 s1, s1
	s_cbranch_execnz .LBB220_265
	s_branch .LBB220_266
.LBB220_258:
	s_or_b32 exec_lo, exec_lo, s3
	s_and_saveexec_b32 s1, s0
	s_delay_alu instid0(SALU_CYCLE_1)
	s_xor_b32 s0, exec_lo, s1
	s_cbranch_execz .LBB220_279
.LBB220_259:
	v_mov_b32_e32 v26, 0
	s_delay_alu instid0(VALU_DEP_1) | instskip(NEXT) | instid1(VALU_DEP_1)
	v_lshlrev_b64 v[0:1], 4, v[25:26]
	v_add_co_u32 v2, vcc_lo, s4, v0
	s_delay_alu instid0(VALU_DEP_2) | instskip(SKIP_3) | instid1(SALU_CYCLE_1)
	v_add_co_ci_u32_e32 v3, vcc_lo, s5, v1, vcc_lo
	v_mov_b32_e32 v0, v27
	global_store_b128 v[2:3], v[9:12], off
	s_or_b32 exec_lo, exec_lo, s0
	s_mov_b32 s0, exec_lo
	v_cmpx_gt_i32_e64 s10, v0
	s_cbranch_execnz .LBB220_280
.LBB220_260:
	s_or_b32 exec_lo, exec_lo, s0
	s_delay_alu instid0(SALU_CYCLE_1)
	s_mov_b32 s0, exec_lo
	v_cmpx_gt_i32_e64 s10, v0
	s_cbranch_execz .LBB220_281
.LBB220_261:
	v_dual_mov_b32 v2, 0 :: v_dual_add_nc_u32 v1, s8, v0
	v_add_nc_u32_e32 v0, 0x100, v0
	s_delay_alu instid0(VALU_DEP_2) | instskip(NEXT) | instid1(VALU_DEP_1)
	v_lshlrev_b64 v[1:2], 4, v[1:2]
	v_add_co_u32 v1, vcc_lo, s4, v1
	s_delay_alu instid0(VALU_DEP_2) | instskip(SKIP_2) | instid1(SALU_CYCLE_1)
	v_add_co_ci_u32_e32 v2, vcc_lo, s5, v2, vcc_lo
	global_store_b128 v[1:2], v[19:22], off
	s_or_b32 exec_lo, exec_lo, s0
	s_mov_b32 s0, exec_lo
	v_cmpx_gt_i32_e64 s10, v0
	s_cbranch_execnz .LBB220_282
	s_branch .LBB220_283
.LBB220_262:
	s_and_not1_saveexec_b32 s2, s2
	s_cbranch_execz .LBB220_254
.LBB220_263:
	v_add_f64 v[1:2], v[13:14], -v[1:2]
	s_delay_alu instid0(VALU_DEP_1) | instskip(NEXT) | instid1(VALU_DEP_1)
	v_mul_f64 v[1:2], v[1:2], 0.5
	v_cmp_gt_f64_e32 vcc_lo, 0x10000000, v[1:2]
	v_cndmask_b32_e64 v13, 0, 1, vcc_lo
	s_delay_alu instid0(VALU_DEP_1) | instskip(NEXT) | instid1(VALU_DEP_1)
	v_lshlrev_b32_e32 v13, 8, v13
	v_ldexp_f64 v[1:2], v[1:2], v13
	s_delay_alu instid0(VALU_DEP_1) | instskip(SKIP_3) | instid1(VALU_DEP_1)
	v_rsq_f64_e32 v[13:14], v[1:2]
	s_waitcnt_depctr 0xfff
	v_mul_f64 v[15:16], v[1:2], v[13:14]
	v_mul_f64 v[13:14], v[13:14], 0.5
	v_fma_f64 v[17:18], -v[13:14], v[15:16], 0.5
	s_delay_alu instid0(VALU_DEP_1) | instskip(SKIP_1) | instid1(VALU_DEP_2)
	v_fma_f64 v[15:16], v[15:16], v[17:18], v[15:16]
	v_fma_f64 v[13:14], v[13:14], v[17:18], v[13:14]
	v_fma_f64 v[17:18], -v[15:16], v[15:16], v[1:2]
	s_delay_alu instid0(VALU_DEP_1) | instskip(NEXT) | instid1(VALU_DEP_1)
	v_fma_f64 v[15:16], v[17:18], v[13:14], v[15:16]
	v_fma_f64 v[17:18], -v[15:16], v[15:16], v[1:2]
	s_delay_alu instid0(VALU_DEP_1) | instskip(SKIP_3) | instid1(VALU_DEP_3)
	v_fma_f64 v[13:14], v[17:18], v[13:14], v[15:16]
	v_cndmask_b32_e64 v15, 0, 0xffffff80, vcc_lo
	v_cmp_class_f64_e64 vcc_lo, v[1:2], 0x260
	v_and_b32_e32 v16, 0x7fffffff, v4
	v_ldexp_f64 v[13:14], v[13:14], v15
	s_delay_alu instid0(VALU_DEP_1) | instskip(NEXT) | instid1(VALU_DEP_1)
	v_dual_cndmask_b32 v14, v14, v2 :: v_dual_cndmask_b32 v13, v13, v1
	v_add_f64 v[1:2], v[13:14], v[13:14]
	v_bfi_b32 v14, 0x7fffffff, v14, v4
	v_mov_b32_e32 v15, v3
	s_delay_alu instid0(VALU_DEP_1) | instskip(SKIP_1) | instid1(VALU_DEP_2)
	v_div_scale_f64 v[17:18], null, v[1:2], v[1:2], v[15:16]
	v_div_scale_f64 v[15:16], vcc_lo, v[15:16], v[1:2], v[15:16]
	v_rcp_f64_e32 v[23:24], v[17:18]
	s_waitcnt_depctr 0xfff
	v_fma_f64 v[28:29], -v[17:18], v[23:24], 1.0
	s_delay_alu instid0(VALU_DEP_1) | instskip(NEXT) | instid1(VALU_DEP_1)
	v_fma_f64 v[23:24], v[23:24], v[28:29], v[23:24]
	v_fma_f64 v[28:29], -v[17:18], v[23:24], 1.0
	s_delay_alu instid0(VALU_DEP_1) | instskip(NEXT) | instid1(VALU_DEP_1)
	v_fma_f64 v[23:24], v[23:24], v[28:29], v[23:24]
	v_mul_f64 v[28:29], v[15:16], v[23:24]
	s_delay_alu instid0(VALU_DEP_1) | instskip(NEXT) | instid1(VALU_DEP_1)
	v_fma_f64 v[15:16], -v[17:18], v[28:29], v[15:16]
	v_div_fmas_f64 v[15:16], v[15:16], v[23:24], v[28:29]
	s_delay_alu instid0(VALU_DEP_1) | instskip(SKIP_3) | instid1(SALU_CYCLE_1)
	v_div_fixup_f64 v[1:2], v[15:16], v[1:2], |v[3:4]|
	v_dual_mov_b32 v3, v13 :: v_dual_mov_b32 v4, v14
	s_or_b32 exec_lo, exec_lo, s2
	s_and_saveexec_b32 s2, s1
	s_xor_b32 s1, exec_lo, s2
	s_cbranch_execnz .LBB220_255
.LBB220_264:
	s_and_not1_saveexec_b32 s1, s1
.LBB220_265:
	s_delay_alu instid0(VALU_DEP_2) | instskip(NEXT) | instid1(VALU_DEP_2)
	v_add_f64 v[1:2], v[1:2], v[1:2]
	v_add_f64 v[3:4], v[3:4], v[3:4]
.LBB220_266:
	s_or_b32 exec_lo, exec_lo, s1
.LBB220_267:
	s_and_not1_saveexec_b32 s1, s11
	s_cbranch_execz .LBB220_273
; %bb.268:
	s_delay_alu instid0(VALU_DEP_1) | instskip(SKIP_1) | instid1(VALU_DEP_3)
	v_add_f64 v[13:14], v[3:4], -v[3:4]
	s_mov_b32 s2, exec_lo
	v_cmpx_lt_i64_e32 -1, v[1:2]
	s_xor_b32 s2, exec_lo, s2
; %bb.269:
	s_delay_alu instid0(VALU_DEP_2) | instskip(NEXT) | instid1(VALU_DEP_1)
	v_bfi_b32 v14, 0x7fffffff, v14, v4
	v_dual_mov_b32 v3, v13 :: v_dual_mov_b32 v4, v14
                                        ; implicit-def: $vgpr13_vgpr14
; %bb.270:
	s_and_not1_saveexec_b32 s2, s2
; %bb.271:
	s_delay_alu instid0(VALU_DEP_1) | instskip(SKIP_1) | instid1(VALU_DEP_2)
	v_bfi_b32 v2, 0x7fffffff, v2, v4
	v_and_b32_e32 v14, 0x7fffffff, v14
	v_dual_mov_b32 v4, v2 :: v_dual_mov_b32 v3, v1
	s_delay_alu instid0(VALU_DEP_2)
	v_dual_mov_b32 v1, v13 :: v_dual_mov_b32 v2, v14
; %bb.272:
	s_or_b32 exec_lo, exec_lo, s2
.LBB220_273:
	s_delay_alu instid0(SALU_CYCLE_1)
	s_or_b32 exec_lo, exec_lo, s1
.LBB220_274:
	s_and_not1_saveexec_b32 s1, s9
; %bb.275:
	s_delay_alu instid0(VALU_DEP_1) | instskip(NEXT) | instid1(VALU_DEP_1)
	v_add_f64 v[3:4], v[3:4], -v[3:4]
	v_div_scale_f64 v[13:14], vcc_lo, v[3:4], v[3:4], v[3:4]
	s_delay_alu instid0(VALU_DEP_1) | instskip(SKIP_2) | instid1(VALU_DEP_1)
	v_rcp_f64_e32 v[15:16], v[13:14]
	s_waitcnt_depctr 0xfff
	v_fma_f64 v[17:18], -v[13:14], v[15:16], 1.0
	v_fma_f64 v[15:16], v[15:16], v[17:18], v[15:16]
	s_delay_alu instid0(VALU_DEP_1) | instskip(NEXT) | instid1(VALU_DEP_1)
	v_fma_f64 v[17:18], -v[13:14], v[15:16], 1.0
	v_fma_f64 v[15:16], v[15:16], v[17:18], v[15:16]
	s_delay_alu instid0(VALU_DEP_1) | instskip(NEXT) | instid1(VALU_DEP_1)
	v_mul_f64 v[17:18], v[13:14], v[15:16]
	v_fma_f64 v[13:14], -v[13:14], v[17:18], v[13:14]
	s_delay_alu instid0(VALU_DEP_1) | instskip(NEXT) | instid1(VALU_DEP_1)
	v_div_fmas_f64 v[13:14], v[13:14], v[15:16], v[17:18]
	v_div_fixup_f64 v[3:4], v[13:14], v[3:4], v[3:4]
; %bb.276:
	s_or_b32 exec_lo, exec_lo, s1
	v_dual_mov_b32 v16, v2 :: v_dual_mov_b32 v15, v1
.LBB220_277:
	s_or_b32 exec_lo, exec_lo, s7
.LBB220_278:
	s_delay_alu instid0(SALU_CYCLE_1) | instskip(NEXT) | instid1(VALU_DEP_2)
	s_or_b32 exec_lo, exec_lo, s6
	v_dual_mov_b32 v18, v4 :: v_dual_mov_b32 v17, v3
	s_or_b32 exec_lo, exec_lo, s3
	s_and_saveexec_b32 s1, s0
	s_delay_alu instid0(SALU_CYCLE_1)
	s_xor_b32 s0, exec_lo, s1
	s_cbranch_execnz .LBB220_259
.LBB220_279:
	s_or_b32 exec_lo, exec_lo, s0
	s_delay_alu instid0(SALU_CYCLE_1)
	s_mov_b32 s0, exec_lo
	v_cmpx_gt_i32_e64 s10, v0
	s_cbranch_execz .LBB220_260
.LBB220_280:
	v_dual_mov_b32 v2, 0 :: v_dual_add_nc_u32 v1, s8, v0
	v_add_nc_u32_e32 v0, 0x100, v0
	s_delay_alu instid0(VALU_DEP_2) | instskip(NEXT) | instid1(VALU_DEP_1)
	v_lshlrev_b64 v[1:2], 4, v[1:2]
	v_add_co_u32 v1, vcc_lo, s4, v1
	s_delay_alu instid0(VALU_DEP_2) | instskip(SKIP_2) | instid1(SALU_CYCLE_1)
	v_add_co_ci_u32_e32 v2, vcc_lo, s5, v2, vcc_lo
	global_store_b128 v[1:2], v[5:8], off
	s_or_b32 exec_lo, exec_lo, s0
	s_mov_b32 s0, exec_lo
	v_cmpx_gt_i32_e64 s10, v0
	s_cbranch_execnz .LBB220_261
.LBB220_281:
	s_or_b32 exec_lo, exec_lo, s0
	s_delay_alu instid0(SALU_CYCLE_1)
	s_mov_b32 s0, exec_lo
	v_cmpx_gt_i32_e64 s10, v0
	s_cbranch_execz .LBB220_283
.LBB220_282:
	v_dual_mov_b32 v1, 0 :: v_dual_add_nc_u32 v0, s8, v0
	s_delay_alu instid0(VALU_DEP_1) | instskip(NEXT) | instid1(VALU_DEP_1)
	v_lshlrev_b64 v[0:1], 4, v[0:1]
	v_add_co_u32 v0, vcc_lo, s4, v0
	s_delay_alu instid0(VALU_DEP_2)
	v_add_co_ci_u32_e32 v1, vcc_lo, s5, v1, vcc_lo
	global_store_b128 v[0:1], v[15:18], off
.LBB220_283:
	s_nop 0
	s_sendmsg sendmsg(MSG_DEALLOC_VGPRS)
	s_endpgm
	.section	.rodata,"a",@progbits
	.p2align	6, 0x0
	.amdhsa_kernel _ZN2at6native29vectorized_elementwise_kernelILi4EZZZNS0_16sqrt_kernel_cudaERNS_18TensorIteratorBaseEENKUlvE_clEvENKUlvE_clEvEUlN3c107complexIdEEE_St5arrayIPcLm2EEEEviT0_T1_
		.amdhsa_group_segment_fixed_size 0
		.amdhsa_private_segment_fixed_size 0
		.amdhsa_kernarg_size 24
		.amdhsa_user_sgpr_count 15
		.amdhsa_user_sgpr_dispatch_ptr 0
		.amdhsa_user_sgpr_queue_ptr 0
		.amdhsa_user_sgpr_kernarg_segment_ptr 1
		.amdhsa_user_sgpr_dispatch_id 0
		.amdhsa_user_sgpr_private_segment_size 0
		.amdhsa_wavefront_size32 1
		.amdhsa_uses_dynamic_stack 0
		.amdhsa_enable_private_segment 0
		.amdhsa_system_sgpr_workgroup_id_x 1
		.amdhsa_system_sgpr_workgroup_id_y 0
		.amdhsa_system_sgpr_workgroup_id_z 0
		.amdhsa_system_sgpr_workgroup_info 0
		.amdhsa_system_vgpr_workitem_id 0
		.amdhsa_next_free_vgpr 32
		.amdhsa_next_free_sgpr 17
		.amdhsa_reserve_vcc 1
		.amdhsa_float_round_mode_32 0
		.amdhsa_float_round_mode_16_64 0
		.amdhsa_float_denorm_mode_32 3
		.amdhsa_float_denorm_mode_16_64 3
		.amdhsa_dx10_clamp 1
		.amdhsa_ieee_mode 1
		.amdhsa_fp16_overflow 0
		.amdhsa_workgroup_processor_mode 1
		.amdhsa_memory_ordered 1
		.amdhsa_forward_progress 0
		.amdhsa_shared_vgpr_count 0
		.amdhsa_exception_fp_ieee_invalid_op 0
		.amdhsa_exception_fp_denorm_src 0
		.amdhsa_exception_fp_ieee_div_zero 0
		.amdhsa_exception_fp_ieee_overflow 0
		.amdhsa_exception_fp_ieee_underflow 0
		.amdhsa_exception_fp_ieee_inexact 0
		.amdhsa_exception_int_div_zero 0
	.end_amdhsa_kernel
	.section	.text._ZN2at6native29vectorized_elementwise_kernelILi4EZZZNS0_16sqrt_kernel_cudaERNS_18TensorIteratorBaseEENKUlvE_clEvENKUlvE_clEvEUlN3c107complexIdEEE_St5arrayIPcLm2EEEEviT0_T1_,"axG",@progbits,_ZN2at6native29vectorized_elementwise_kernelILi4EZZZNS0_16sqrt_kernel_cudaERNS_18TensorIteratorBaseEENKUlvE_clEvENKUlvE_clEvEUlN3c107complexIdEEE_St5arrayIPcLm2EEEEviT0_T1_,comdat
.Lfunc_end220:
	.size	_ZN2at6native29vectorized_elementwise_kernelILi4EZZZNS0_16sqrt_kernel_cudaERNS_18TensorIteratorBaseEENKUlvE_clEvENKUlvE_clEvEUlN3c107complexIdEEE_St5arrayIPcLm2EEEEviT0_T1_, .Lfunc_end220-_ZN2at6native29vectorized_elementwise_kernelILi4EZZZNS0_16sqrt_kernel_cudaERNS_18TensorIteratorBaseEENKUlvE_clEvENKUlvE_clEvEUlN3c107complexIdEEE_St5arrayIPcLm2EEEEviT0_T1_
                                        ; -- End function
	.section	.AMDGPU.csdata,"",@progbits
; Kernel info:
; codeLenInByte = 13824
; NumSgprs: 19
; NumVgprs: 32
; ScratchSize: 0
; MemoryBound: 1
; FloatMode: 240
; IeeeMode: 1
; LDSByteSize: 0 bytes/workgroup (compile time only)
; SGPRBlocks: 2
; VGPRBlocks: 3
; NumSGPRsForWavesPerEU: 19
; NumVGPRsForWavesPerEU: 32
; Occupancy: 16
; WaveLimiterHint : 0
; COMPUTE_PGM_RSRC2:SCRATCH_EN: 0
; COMPUTE_PGM_RSRC2:USER_SGPR: 15
; COMPUTE_PGM_RSRC2:TRAP_HANDLER: 0
; COMPUTE_PGM_RSRC2:TGID_X_EN: 1
; COMPUTE_PGM_RSRC2:TGID_Y_EN: 0
; COMPUTE_PGM_RSRC2:TGID_Z_EN: 0
; COMPUTE_PGM_RSRC2:TIDIG_COMP_CNT: 0
	.section	.text._ZN2at6native29vectorized_elementwise_kernelILi2EZZZNS0_16sqrt_kernel_cudaERNS_18TensorIteratorBaseEENKUlvE_clEvENKUlvE_clEvEUlN3c107complexIdEEE_St5arrayIPcLm2EEEEviT0_T1_,"axG",@progbits,_ZN2at6native29vectorized_elementwise_kernelILi2EZZZNS0_16sqrt_kernel_cudaERNS_18TensorIteratorBaseEENKUlvE_clEvENKUlvE_clEvEUlN3c107complexIdEEE_St5arrayIPcLm2EEEEviT0_T1_,comdat
	.globl	_ZN2at6native29vectorized_elementwise_kernelILi2EZZZNS0_16sqrt_kernel_cudaERNS_18TensorIteratorBaseEENKUlvE_clEvENKUlvE_clEvEUlN3c107complexIdEEE_St5arrayIPcLm2EEEEviT0_T1_ ; -- Begin function _ZN2at6native29vectorized_elementwise_kernelILi2EZZZNS0_16sqrt_kernel_cudaERNS_18TensorIteratorBaseEENKUlvE_clEvENKUlvE_clEvEUlN3c107complexIdEEE_St5arrayIPcLm2EEEEviT0_T1_
	.p2align	8
	.type	_ZN2at6native29vectorized_elementwise_kernelILi2EZZZNS0_16sqrt_kernel_cudaERNS_18TensorIteratorBaseEENKUlvE_clEvENKUlvE_clEvEUlN3c107complexIdEEE_St5arrayIPcLm2EEEEviT0_T1_,@function
_ZN2at6native29vectorized_elementwise_kernelILi2EZZZNS0_16sqrt_kernel_cudaERNS_18TensorIteratorBaseEENKUlvE_clEvENKUlvE_clEvEUlN3c107complexIdEEE_St5arrayIPcLm2EEEEviT0_T1_: ; @_ZN2at6native29vectorized_elementwise_kernelILi2EZZZNS0_16sqrt_kernel_cudaERNS_18TensorIteratorBaseEENKUlvE_clEvENKUlvE_clEvEUlN3c107complexIdEEE_St5arrayIPcLm2EEEEviT0_T1_
; %bb.0:
	s_clause 0x1
	s_load_b32 s2, s[0:1], 0x0
	s_load_b128 s[4:7], s[0:1], 0x8
	s_lshl_b32 s8, s15, 10
	s_mov_b32 s0, -1
	s_waitcnt lgkmcnt(0)
	s_sub_i32 s10, s2, s8
	s_delay_alu instid0(SALU_CYCLE_1)
	s_cmpk_gt_i32 s10, 0x3ff
	s_cbranch_scc0 .LBB221_130
; %bb.1:
	s_ashr_i32 s9, s8, 31
	v_lshlrev_b32_e32 v25, 5, v0
	s_lshl_b64 s[2:3], s[8:9], 4
	v_mov_b32_e32 v17, 0
	v_mov_b32_e32 v18, 0
	s_add_u32 s0, s6, s2
	s_addc_u32 s1, s7, s3
	v_add_co_u32 v1, s9, s0, v25
	global_load_b128 v[9:12], v25, s[0:1]
	v_add_co_ci_u32_e64 v2, null, s1, 0, s9
	v_add_co_u32 v1, vcc_lo, 0x2000, v1
	v_dual_mov_b32 v22, v18 :: v_dual_mov_b32 v21, v17
	s_delay_alu instid0(VALU_DEP_3)
	v_add_co_ci_u32_e32 v2, vcc_lo, 0, v2, vcc_lo
	s_clause 0x2
	global_load_b128 v[13:16], v25, s[0:1] offset:16
	global_load_b128 v[5:8], v[1:2], off
	global_load_b128 v[1:4], v[1:2], off offset:16
	s_waitcnt vmcnt(3)
	v_cmp_neq_f64_e32 vcc_lo, 0, v[9:10]
	v_cmp_neq_f64_e64 s0, 0, v[11:12]
	s_delay_alu instid0(VALU_DEP_1) | instskip(NEXT) | instid1(SALU_CYCLE_1)
	s_or_b32 s0, vcc_lo, s0
	s_and_saveexec_b32 s9, s0
	s_cbranch_execz .LBB221_33
; %bb.2:
	s_mov_b32 s0, 0
	s_mov_b32 s1, 0x7ff00000
	v_mov_b32_e32 v21, s0
	v_mov_b32_e32 v22, s1
	s_mov_b32 s11, exec_lo
	v_cmpx_neq_f64_e64 0x7ff00000, |v[11:12]|
	s_cbranch_execz .LBB221_32
; %bb.3:
	s_mov_b32 s0, exec_lo
	v_cmpx_o_f64_e32 v[9:10], v[9:10]
	s_xor_b32 s12, exec_lo, s0
	s_cbranch_execz .LBB221_29
; %bb.4:
	s_mov_b32 s1, exec_lo
	v_cmpx_neq_f64_e64 0x7ff00000, |v[9:10]|
	s_xor_b32 s13, exec_lo, s1
	s_cbranch_execz .LBB221_22
; %bb.5:
	v_max_f64 v[19:20], |v[11:12]|, |v[11:12]|
	v_max_f64 v[21:22], |v[9:10]|, |v[9:10]|
	s_mov_b32 s0, 0x99fcef32
	s_mov_b32 s1, 0x7fda8279
                                        ; implicit-def: $sgpr14
	s_delay_alu instid0(VALU_DEP_1) | instskip(NEXT) | instid1(VALU_DEP_1)
	v_max_f64 v[19:20], v[21:22], v[19:20]
	v_cmp_nle_f64_e64 s0, s[0:1], v[19:20]
	s_delay_alu instid0(VALU_DEP_1) | instskip(NEXT) | instid1(SALU_CYCLE_1)
	s_and_saveexec_b32 s1, s0
	s_xor_b32 s1, exec_lo, s1
	s_cbranch_execz .LBB221_9
; %bb.6:
	v_cmp_ge_f64_e64 s14, 0x200000, |v[9:10]|
	v_cmp_ge_f64_e64 s15, 0x200000, |v[11:12]|
	s_delay_alu instid0(VALU_DEP_1)
	s_and_b32 s16, s14, s15
	s_mov_b32 s14, 0
	s_and_saveexec_b32 s15, s16
; %bb.7:
	v_mul_f64 v[9:10], v[9:10], 4.0
	v_mul_f64 v[11:12], v[11:12], 4.0
	s_mov_b32 s14, exec_lo
; %bb.8:
	s_or_b32 exec_lo, exec_lo, s15
	s_delay_alu instid0(SALU_CYCLE_1)
	s_and_b32 s14, s14, exec_lo
.LBB221_9:
	s_and_not1_saveexec_b32 s1, s1
; %bb.10:
	s_delay_alu instid0(VALU_DEP_2) | instskip(NEXT) | instid1(VALU_DEP_2)
	v_ldexp_f64 v[9:10], v[9:10], -2
	v_ldexp_f64 v[11:12], v[11:12], -2
	s_and_not1_b32 s14, s14, exec_lo
; %bb.11:
	s_or_b32 exec_lo, exec_lo, s1
	s_delay_alu instid0(VALU_DEP_1) | instskip(NEXT) | instid1(VALU_DEP_3)
	v_max_f64 v[19:20], |v[11:12]|, |v[11:12]|
	v_max_f64 v[21:22], |v[9:10]|, |v[9:10]|
	v_cmp_class_f64_e64 s15, v[9:10], 0x204
	v_cmp_class_f64_e64 s16, v[11:12], 0x204
	v_cmp_le_f64_e64 s1, 0, v[9:10]
	s_delay_alu instid0(VALU_DEP_4) | instskip(NEXT) | instid1(VALU_DEP_3)
	v_max_f64 v[19:20], v[21:22], v[19:20]
	s_or_b32 s15, s16, s15
	s_delay_alu instid0(VALU_DEP_1) | instskip(NEXT) | instid1(VALU_DEP_1)
	v_frexp_exp_i32_f64_e32 v28, v[19:20]
	v_sub_nc_u32_e32 v21, 0, v28
	s_delay_alu instid0(VALU_DEP_1) | instskip(SKIP_1) | instid1(VALU_DEP_2)
	v_ldexp_f64 v[19:20], |v[11:12]|, v21
	v_ldexp_f64 v[21:22], |v[9:10]|, v21
	v_mul_f64 v[19:20], v[19:20], v[19:20]
	s_delay_alu instid0(VALU_DEP_1) | instskip(NEXT) | instid1(VALU_DEP_1)
	v_fma_f64 v[19:20], v[21:22], v[21:22], v[19:20]
	v_rsq_f64_e32 v[21:22], v[19:20]
	v_cmp_eq_f64_e32 vcc_lo, 0, v[19:20]
	s_waitcnt_depctr 0xfff
	v_mul_f64 v[23:24], v[19:20], v[21:22]
	v_mul_f64 v[21:22], v[21:22], 0.5
	s_delay_alu instid0(VALU_DEP_1) | instskip(NEXT) | instid1(VALU_DEP_1)
	v_fma_f64 v[26:27], -v[21:22], v[23:24], 0.5
	v_fma_f64 v[23:24], v[23:24], v[26:27], v[23:24]
	v_fma_f64 v[21:22], v[21:22], v[26:27], v[21:22]
	s_delay_alu instid0(VALU_DEP_2) | instskip(NEXT) | instid1(VALU_DEP_1)
	v_fma_f64 v[26:27], -v[23:24], v[23:24], v[19:20]
	v_fma_f64 v[21:22], v[26:27], v[21:22], v[23:24]
	s_delay_alu instid0(VALU_DEP_1) | instskip(SKIP_1) | instid1(VALU_DEP_2)
	v_dual_cndmask_b32 v20, v22, v20 :: v_dual_cndmask_b32 v19, v21, v19
	v_cmp_o_f64_e32 vcc_lo, v[11:12], v[11:12]
	v_ldexp_f64 v[19:20], v[19:20], v28
	s_delay_alu instid0(VALU_DEP_1) | instskip(NEXT) | instid1(VALU_DEP_2)
	v_cndmask_b32_e32 v19, 0, v19, vcc_lo
	v_cndmask_b32_e32 v20, 0x7ff80000, v20, vcc_lo
	s_delay_alu instid0(VALU_DEP_2) | instskip(NEXT) | instid1(VALU_DEP_2)
	v_cndmask_b32_e64 v19, v19, 0, s15
	v_cndmask_b32_e64 v20, v20, 0x7ff00000, s15
	s_and_saveexec_b32 s15, s1
	s_delay_alu instid0(SALU_CYCLE_1)
	s_xor_b32 s1, exec_lo, s15
	s_cbranch_execz .LBB221_17
; %bb.12:
	s_delay_alu instid0(VALU_DEP_1) | instskip(NEXT) | instid1(VALU_DEP_1)
	v_add_f64 v[9:10], v[9:10], v[19:20]
	v_mul_f64 v[9:10], v[9:10], 0.5
	s_delay_alu instid0(VALU_DEP_1) | instskip(SKIP_1) | instid1(VALU_DEP_1)
	v_cmp_gt_f64_e32 vcc_lo, 0x10000000, v[9:10]
	v_cndmask_b32_e64 v19, 0, 1, vcc_lo
	v_lshlrev_b32_e32 v19, 8, v19
	s_delay_alu instid0(VALU_DEP_1) | instskip(NEXT) | instid1(VALU_DEP_1)
	v_ldexp_f64 v[9:10], v[9:10], v19
	v_rsq_f64_e32 v[19:20], v[9:10]
	s_waitcnt_depctr 0xfff
	v_mul_f64 v[21:22], v[9:10], v[19:20]
	v_mul_f64 v[19:20], v[19:20], 0.5
	s_delay_alu instid0(VALU_DEP_1) | instskip(NEXT) | instid1(VALU_DEP_1)
	v_fma_f64 v[23:24], -v[19:20], v[21:22], 0.5
	v_fma_f64 v[21:22], v[21:22], v[23:24], v[21:22]
	v_fma_f64 v[19:20], v[19:20], v[23:24], v[19:20]
	s_delay_alu instid0(VALU_DEP_2) | instskip(NEXT) | instid1(VALU_DEP_1)
	v_fma_f64 v[23:24], -v[21:22], v[21:22], v[9:10]
	v_fma_f64 v[21:22], v[23:24], v[19:20], v[21:22]
	s_delay_alu instid0(VALU_DEP_1) | instskip(NEXT) | instid1(VALU_DEP_1)
	v_fma_f64 v[23:24], -v[21:22], v[21:22], v[9:10]
	v_fma_f64 v[19:20], v[23:24], v[19:20], v[21:22]
	v_cndmask_b32_e64 v21, 0, 0xffffff80, vcc_lo
	v_cmp_class_f64_e64 vcc_lo, v[9:10], 0x260
	s_delay_alu instid0(VALU_DEP_2) | instskip(NEXT) | instid1(VALU_DEP_1)
	v_ldexp_f64 v[19:20], v[19:20], v21
	v_dual_cndmask_b32 v10, v20, v10 :: v_dual_cndmask_b32 v9, v19, v9
	s_delay_alu instid0(VALU_DEP_1) | instskip(NEXT) | instid1(VALU_DEP_1)
	v_add_f64 v[19:20], v[9:10], v[9:10]
	v_div_scale_f64 v[21:22], null, v[19:20], v[19:20], v[11:12]
	s_delay_alu instid0(VALU_DEP_1) | instskip(SKIP_2) | instid1(VALU_DEP_1)
	v_rcp_f64_e32 v[23:24], v[21:22]
	s_waitcnt_depctr 0xfff
	v_fma_f64 v[26:27], -v[21:22], v[23:24], 1.0
	v_fma_f64 v[23:24], v[23:24], v[26:27], v[23:24]
	s_delay_alu instid0(VALU_DEP_1) | instskip(NEXT) | instid1(VALU_DEP_1)
	v_fma_f64 v[26:27], -v[21:22], v[23:24], 1.0
	v_fma_f64 v[23:24], v[23:24], v[26:27], v[23:24]
	v_div_scale_f64 v[26:27], vcc_lo, v[11:12], v[19:20], v[11:12]
	s_delay_alu instid0(VALU_DEP_1) | instskip(NEXT) | instid1(VALU_DEP_1)
	v_mul_f64 v[28:29], v[26:27], v[23:24]
	v_fma_f64 v[21:22], -v[21:22], v[28:29], v[26:27]
	s_delay_alu instid0(VALU_DEP_1) | instskip(NEXT) | instid1(VALU_DEP_1)
	v_div_fmas_f64 v[21:22], v[21:22], v[23:24], v[28:29]
	v_div_fixup_f64 v[11:12], v[21:22], v[19:20], v[11:12]
                                        ; implicit-def: $vgpr19_vgpr20
	s_and_not1_saveexec_b32 s1, s1
	s_cbranch_execnz .LBB221_18
.LBB221_13:
	s_or_b32 exec_lo, exec_lo, s1
	s_and_saveexec_b32 s1, s0
	s_delay_alu instid0(SALU_CYCLE_1)
	s_xor_b32 s0, exec_lo, s1
	s_cbranch_execz .LBB221_19
.LBB221_14:
	s_and_saveexec_b32 s1, s14
; %bb.15:
	s_delay_alu instid0(VALU_DEP_2) | instskip(NEXT) | instid1(VALU_DEP_2)
	v_mul_f64 v[9:10], v[9:10], 0.5
	v_mul_f64 v[11:12], v[11:12], 0.5
; %bb.16:
	s_or_b32 exec_lo, exec_lo, s1
	s_and_not1_saveexec_b32 s0, s0
	s_cbranch_execnz .LBB221_20
	s_branch .LBB221_21
.LBB221_17:
	s_and_not1_saveexec_b32 s1, s1
	s_cbranch_execz .LBB221_13
.LBB221_18:
	v_add_f64 v[9:10], v[19:20], -v[9:10]
	s_delay_alu instid0(VALU_DEP_1) | instskip(NEXT) | instid1(VALU_DEP_1)
	v_mul_f64 v[9:10], v[9:10], 0.5
	v_cmp_gt_f64_e32 vcc_lo, 0x10000000, v[9:10]
	v_cndmask_b32_e64 v19, 0, 1, vcc_lo
	s_delay_alu instid0(VALU_DEP_1) | instskip(NEXT) | instid1(VALU_DEP_1)
	v_lshlrev_b32_e32 v19, 8, v19
	v_ldexp_f64 v[9:10], v[9:10], v19
	s_delay_alu instid0(VALU_DEP_1) | instskip(SKIP_3) | instid1(VALU_DEP_1)
	v_rsq_f64_e32 v[19:20], v[9:10]
	s_waitcnt_depctr 0xfff
	v_mul_f64 v[21:22], v[9:10], v[19:20]
	v_mul_f64 v[19:20], v[19:20], 0.5
	v_fma_f64 v[23:24], -v[19:20], v[21:22], 0.5
	s_delay_alu instid0(VALU_DEP_1) | instskip(SKIP_1) | instid1(VALU_DEP_2)
	v_fma_f64 v[21:22], v[21:22], v[23:24], v[21:22]
	v_fma_f64 v[19:20], v[19:20], v[23:24], v[19:20]
	v_fma_f64 v[23:24], -v[21:22], v[21:22], v[9:10]
	s_delay_alu instid0(VALU_DEP_1) | instskip(NEXT) | instid1(VALU_DEP_1)
	v_fma_f64 v[21:22], v[23:24], v[19:20], v[21:22]
	v_fma_f64 v[23:24], -v[21:22], v[21:22], v[9:10]
	s_delay_alu instid0(VALU_DEP_1) | instskip(SKIP_3) | instid1(VALU_DEP_3)
	v_fma_f64 v[19:20], v[23:24], v[19:20], v[21:22]
	v_cndmask_b32_e64 v21, 0, 0xffffff80, vcc_lo
	v_cmp_class_f64_e64 vcc_lo, v[9:10], 0x260
	v_and_b32_e32 v22, 0x7fffffff, v12
	v_ldexp_f64 v[19:20], v[19:20], v21
	s_delay_alu instid0(VALU_DEP_1) | instskip(NEXT) | instid1(VALU_DEP_1)
	v_dual_cndmask_b32 v20, v20, v10 :: v_dual_cndmask_b32 v19, v19, v9
	v_add_f64 v[9:10], v[19:20], v[19:20]
	v_bfi_b32 v20, 0x7fffffff, v20, v12
	v_mov_b32_e32 v21, v11
	s_delay_alu instid0(VALU_DEP_1) | instskip(SKIP_1) | instid1(VALU_DEP_2)
	v_div_scale_f64 v[23:24], null, v[9:10], v[9:10], v[21:22]
	v_div_scale_f64 v[21:22], vcc_lo, v[21:22], v[9:10], v[21:22]
	v_rcp_f64_e32 v[26:27], v[23:24]
	s_waitcnt_depctr 0xfff
	v_fma_f64 v[28:29], -v[23:24], v[26:27], 1.0
	s_delay_alu instid0(VALU_DEP_1) | instskip(NEXT) | instid1(VALU_DEP_1)
	v_fma_f64 v[26:27], v[26:27], v[28:29], v[26:27]
	v_fma_f64 v[28:29], -v[23:24], v[26:27], 1.0
	s_delay_alu instid0(VALU_DEP_1) | instskip(NEXT) | instid1(VALU_DEP_1)
	v_fma_f64 v[26:27], v[26:27], v[28:29], v[26:27]
	v_mul_f64 v[28:29], v[21:22], v[26:27]
	s_delay_alu instid0(VALU_DEP_1) | instskip(NEXT) | instid1(VALU_DEP_1)
	v_fma_f64 v[21:22], -v[23:24], v[28:29], v[21:22]
	v_div_fmas_f64 v[21:22], v[21:22], v[26:27], v[28:29]
	s_delay_alu instid0(VALU_DEP_1) | instskip(SKIP_3) | instid1(SALU_CYCLE_1)
	v_div_fixup_f64 v[9:10], v[21:22], v[9:10], |v[11:12]|
	v_dual_mov_b32 v11, v19 :: v_dual_mov_b32 v12, v20
	s_or_b32 exec_lo, exec_lo, s1
	s_and_saveexec_b32 s1, s0
	s_xor_b32 s0, exec_lo, s1
	s_cbranch_execnz .LBB221_14
.LBB221_19:
	s_and_not1_saveexec_b32 s0, s0
.LBB221_20:
	s_delay_alu instid0(VALU_DEP_2) | instskip(NEXT) | instid1(VALU_DEP_2)
	v_add_f64 v[9:10], v[9:10], v[9:10]
	v_add_f64 v[11:12], v[11:12], v[11:12]
.LBB221_21:
	s_or_b32 exec_lo, exec_lo, s0
.LBB221_22:
	s_and_not1_saveexec_b32 s0, s13
	s_cbranch_execz .LBB221_28
; %bb.23:
	s_delay_alu instid0(VALU_DEP_1) | instskip(SKIP_1) | instid1(VALU_DEP_3)
	v_add_f64 v[19:20], v[11:12], -v[11:12]
	s_mov_b32 s1, exec_lo
	v_cmpx_lt_i64_e32 -1, v[9:10]
	s_xor_b32 s1, exec_lo, s1
; %bb.24:
	s_delay_alu instid0(VALU_DEP_2) | instskip(NEXT) | instid1(VALU_DEP_1)
	v_bfi_b32 v20, 0x7fffffff, v20, v12
	v_dual_mov_b32 v11, v19 :: v_dual_mov_b32 v12, v20
                                        ; implicit-def: $vgpr19_vgpr20
; %bb.25:
	s_and_not1_saveexec_b32 s1, s1
; %bb.26:
	s_delay_alu instid0(VALU_DEP_1) | instskip(SKIP_1) | instid1(VALU_DEP_2)
	v_bfi_b32 v10, 0x7fffffff, v10, v12
	v_and_b32_e32 v20, 0x7fffffff, v20
	v_dual_mov_b32 v12, v10 :: v_dual_mov_b32 v11, v9
	s_delay_alu instid0(VALU_DEP_2)
	v_dual_mov_b32 v9, v19 :: v_dual_mov_b32 v10, v20
; %bb.27:
	s_or_b32 exec_lo, exec_lo, s1
.LBB221_28:
	s_delay_alu instid0(SALU_CYCLE_1)
	s_or_b32 exec_lo, exec_lo, s0
.LBB221_29:
	s_and_not1_saveexec_b32 s0, s12
; %bb.30:
	s_delay_alu instid0(VALU_DEP_1) | instskip(NEXT) | instid1(VALU_DEP_1)
	v_add_f64 v[11:12], v[11:12], -v[11:12]
	v_div_scale_f64 v[19:20], vcc_lo, v[11:12], v[11:12], v[11:12]
	s_delay_alu instid0(VALU_DEP_1) | instskip(SKIP_2) | instid1(VALU_DEP_1)
	v_rcp_f64_e32 v[21:22], v[19:20]
	s_waitcnt_depctr 0xfff
	v_fma_f64 v[23:24], -v[19:20], v[21:22], 1.0
	v_fma_f64 v[21:22], v[21:22], v[23:24], v[21:22]
	s_delay_alu instid0(VALU_DEP_1) | instskip(NEXT) | instid1(VALU_DEP_1)
	v_fma_f64 v[23:24], -v[19:20], v[21:22], 1.0
	v_fma_f64 v[21:22], v[21:22], v[23:24], v[21:22]
	s_delay_alu instid0(VALU_DEP_1) | instskip(NEXT) | instid1(VALU_DEP_1)
	v_mul_f64 v[23:24], v[19:20], v[21:22]
	v_fma_f64 v[19:20], -v[19:20], v[23:24], v[19:20]
	s_delay_alu instid0(VALU_DEP_1) | instskip(NEXT) | instid1(VALU_DEP_1)
	v_div_fmas_f64 v[19:20], v[19:20], v[21:22], v[23:24]
	v_div_fixup_f64 v[11:12], v[19:20], v[11:12], v[11:12]
; %bb.31:
	s_or_b32 exec_lo, exec_lo, s0
	v_dual_mov_b32 v22, v10 :: v_dual_mov_b32 v21, v9
.LBB221_32:
	s_or_b32 exec_lo, exec_lo, s11
.LBB221_33:
	s_delay_alu instid0(SALU_CYCLE_1) | instskip(SKIP_3) | instid1(VALU_DEP_1)
	s_or_b32 exec_lo, exec_lo, s9
	s_waitcnt vmcnt(2)
	v_cmp_neq_f64_e32 vcc_lo, 0, v[13:14]
	v_cmp_neq_f64_e64 s0, 0, v[15:16]
	s_or_b32 s0, vcc_lo, s0
	s_delay_alu instid0(SALU_CYCLE_1)
	s_and_saveexec_b32 s9, s0
	s_cbranch_execz .LBB221_65
; %bb.34:
	s_mov_b32 s0, 0
	s_mov_b32 s1, 0x7ff00000
	v_mov_b32_e32 v17, s0
	v_mov_b32_e32 v18, s1
	s_mov_b32 s11, exec_lo
	v_cmpx_neq_f64_e64 0x7ff00000, |v[15:16]|
	s_cbranch_execz .LBB221_64
; %bb.35:
	s_mov_b32 s0, exec_lo
	v_cmpx_o_f64_e32 v[13:14], v[13:14]
	s_xor_b32 s12, exec_lo, s0
	s_cbranch_execz .LBB221_61
; %bb.36:
	s_mov_b32 s1, exec_lo
	v_cmpx_neq_f64_e64 0x7ff00000, |v[13:14]|
	s_xor_b32 s13, exec_lo, s1
	s_cbranch_execz .LBB221_54
; %bb.37:
	v_max_f64 v[9:10], |v[15:16]|, |v[15:16]|
	v_max_f64 v[17:18], |v[13:14]|, |v[13:14]|
	s_mov_b32 s0, 0x99fcef32
	s_mov_b32 s1, 0x7fda8279
                                        ; implicit-def: $sgpr14
	s_delay_alu instid0(VALU_DEP_1) | instskip(NEXT) | instid1(VALU_DEP_1)
	v_max_f64 v[9:10], v[17:18], v[9:10]
	v_cmp_nle_f64_e64 s0, s[0:1], v[9:10]
	s_delay_alu instid0(VALU_DEP_1) | instskip(NEXT) | instid1(SALU_CYCLE_1)
	s_and_saveexec_b32 s1, s0
	s_xor_b32 s1, exec_lo, s1
	s_cbranch_execz .LBB221_41
; %bb.38:
	v_cmp_ge_f64_e64 s14, 0x200000, |v[13:14]|
	v_cmp_ge_f64_e64 s15, 0x200000, |v[15:16]|
	s_delay_alu instid0(VALU_DEP_1)
	s_and_b32 s16, s14, s15
	s_mov_b32 s14, 0
	s_and_saveexec_b32 s15, s16
; %bb.39:
	v_mul_f64 v[13:14], v[13:14], 4.0
	v_mul_f64 v[15:16], v[15:16], 4.0
	s_mov_b32 s14, exec_lo
; %bb.40:
	s_or_b32 exec_lo, exec_lo, s15
	s_delay_alu instid0(SALU_CYCLE_1)
	s_and_b32 s14, s14, exec_lo
.LBB221_41:
	s_and_not1_saveexec_b32 s1, s1
; %bb.42:
	s_delay_alu instid0(VALU_DEP_2) | instskip(NEXT) | instid1(VALU_DEP_2)
	v_ldexp_f64 v[13:14], v[13:14], -2
	v_ldexp_f64 v[15:16], v[15:16], -2
	s_and_not1_b32 s14, s14, exec_lo
; %bb.43:
	s_or_b32 exec_lo, exec_lo, s1
	s_delay_alu instid0(VALU_DEP_1) | instskip(NEXT) | instid1(VALU_DEP_3)
	v_max_f64 v[9:10], |v[15:16]|, |v[15:16]|
	v_max_f64 v[17:18], |v[13:14]|, |v[13:14]|
	v_cmp_class_f64_e64 s15, v[13:14], 0x204
	v_cmp_class_f64_e64 s16, v[15:16], 0x204
	v_cmp_le_f64_e64 s1, 0, v[13:14]
	s_delay_alu instid0(VALU_DEP_4) | instskip(NEXT) | instid1(VALU_DEP_3)
	v_max_f64 v[9:10], v[17:18], v[9:10]
	s_or_b32 s15, s16, s15
	s_delay_alu instid0(VALU_DEP_1) | instskip(NEXT) | instid1(VALU_DEP_1)
	v_frexp_exp_i32_f64_e32 v26, v[9:10]
	v_sub_nc_u32_e32 v17, 0, v26
	s_delay_alu instid0(VALU_DEP_1) | instskip(SKIP_1) | instid1(VALU_DEP_2)
	v_ldexp_f64 v[9:10], |v[15:16]|, v17
	v_ldexp_f64 v[17:18], |v[13:14]|, v17
	v_mul_f64 v[9:10], v[9:10], v[9:10]
	s_delay_alu instid0(VALU_DEP_1) | instskip(NEXT) | instid1(VALU_DEP_1)
	v_fma_f64 v[9:10], v[17:18], v[17:18], v[9:10]
	v_rsq_f64_e32 v[17:18], v[9:10]
	v_cmp_eq_f64_e32 vcc_lo, 0, v[9:10]
	s_waitcnt_depctr 0xfff
	v_mul_f64 v[19:20], v[9:10], v[17:18]
	v_mul_f64 v[17:18], v[17:18], 0.5
	s_delay_alu instid0(VALU_DEP_1) | instskip(NEXT) | instid1(VALU_DEP_1)
	v_fma_f64 v[23:24], -v[17:18], v[19:20], 0.5
	v_fma_f64 v[19:20], v[19:20], v[23:24], v[19:20]
	v_fma_f64 v[17:18], v[17:18], v[23:24], v[17:18]
	s_delay_alu instid0(VALU_DEP_2) | instskip(NEXT) | instid1(VALU_DEP_1)
	v_fma_f64 v[23:24], -v[19:20], v[19:20], v[9:10]
	v_fma_f64 v[17:18], v[23:24], v[17:18], v[19:20]
	s_delay_alu instid0(VALU_DEP_1) | instskip(SKIP_1) | instid1(VALU_DEP_2)
	v_dual_cndmask_b32 v10, v18, v10 :: v_dual_cndmask_b32 v9, v17, v9
	v_cmp_o_f64_e32 vcc_lo, v[15:16], v[15:16]
	v_ldexp_f64 v[9:10], v[9:10], v26
	s_delay_alu instid0(VALU_DEP_1) | instskip(NEXT) | instid1(VALU_DEP_2)
	v_cndmask_b32_e32 v9, 0, v9, vcc_lo
	v_cndmask_b32_e32 v10, 0x7ff80000, v10, vcc_lo
	s_delay_alu instid0(VALU_DEP_2) | instskip(NEXT) | instid1(VALU_DEP_2)
	v_cndmask_b32_e64 v9, v9, 0, s15
	v_cndmask_b32_e64 v10, v10, 0x7ff00000, s15
	s_and_saveexec_b32 s15, s1
	s_delay_alu instid0(SALU_CYCLE_1)
	s_xor_b32 s1, exec_lo, s15
	s_cbranch_execz .LBB221_49
; %bb.44:
	s_delay_alu instid0(VALU_DEP_1) | instskip(NEXT) | instid1(VALU_DEP_1)
	v_add_f64 v[9:10], v[13:14], v[9:10]
	v_mul_f64 v[9:10], v[9:10], 0.5
	s_delay_alu instid0(VALU_DEP_1) | instskip(SKIP_1) | instid1(VALU_DEP_1)
	v_cmp_gt_f64_e32 vcc_lo, 0x10000000, v[9:10]
	v_cndmask_b32_e64 v13, 0, 1, vcc_lo
	v_lshlrev_b32_e32 v13, 8, v13
	s_delay_alu instid0(VALU_DEP_1) | instskip(NEXT) | instid1(VALU_DEP_1)
	v_ldexp_f64 v[9:10], v[9:10], v13
	v_rsq_f64_e32 v[13:14], v[9:10]
	s_waitcnt_depctr 0xfff
	v_mul_f64 v[17:18], v[9:10], v[13:14]
	v_mul_f64 v[13:14], v[13:14], 0.5
	s_delay_alu instid0(VALU_DEP_1) | instskip(NEXT) | instid1(VALU_DEP_1)
	v_fma_f64 v[19:20], -v[13:14], v[17:18], 0.5
	v_fma_f64 v[17:18], v[17:18], v[19:20], v[17:18]
	v_fma_f64 v[13:14], v[13:14], v[19:20], v[13:14]
	s_delay_alu instid0(VALU_DEP_2) | instskip(NEXT) | instid1(VALU_DEP_1)
	v_fma_f64 v[19:20], -v[17:18], v[17:18], v[9:10]
	v_fma_f64 v[17:18], v[19:20], v[13:14], v[17:18]
	s_delay_alu instid0(VALU_DEP_1) | instskip(NEXT) | instid1(VALU_DEP_1)
	v_fma_f64 v[19:20], -v[17:18], v[17:18], v[9:10]
	v_fma_f64 v[13:14], v[19:20], v[13:14], v[17:18]
	v_cndmask_b32_e64 v17, 0, 0xffffff80, vcc_lo
	v_cmp_class_f64_e64 vcc_lo, v[9:10], 0x260
	s_delay_alu instid0(VALU_DEP_2) | instskip(NEXT) | instid1(VALU_DEP_1)
	v_ldexp_f64 v[13:14], v[13:14], v17
	v_dual_cndmask_b32 v14, v14, v10 :: v_dual_cndmask_b32 v13, v13, v9
	s_delay_alu instid0(VALU_DEP_1) | instskip(NEXT) | instid1(VALU_DEP_1)
	v_add_f64 v[9:10], v[13:14], v[13:14]
	v_div_scale_f64 v[17:18], null, v[9:10], v[9:10], v[15:16]
	s_delay_alu instid0(VALU_DEP_1) | instskip(SKIP_2) | instid1(VALU_DEP_1)
	v_rcp_f64_e32 v[19:20], v[17:18]
	s_waitcnt_depctr 0xfff
	v_fma_f64 v[23:24], -v[17:18], v[19:20], 1.0
	v_fma_f64 v[19:20], v[19:20], v[23:24], v[19:20]
	s_delay_alu instid0(VALU_DEP_1) | instskip(NEXT) | instid1(VALU_DEP_1)
	v_fma_f64 v[23:24], -v[17:18], v[19:20], 1.0
	v_fma_f64 v[19:20], v[19:20], v[23:24], v[19:20]
	v_div_scale_f64 v[23:24], vcc_lo, v[15:16], v[9:10], v[15:16]
	s_delay_alu instid0(VALU_DEP_1) | instskip(NEXT) | instid1(VALU_DEP_1)
	v_mul_f64 v[26:27], v[23:24], v[19:20]
	v_fma_f64 v[17:18], -v[17:18], v[26:27], v[23:24]
	s_delay_alu instid0(VALU_DEP_1) | instskip(NEXT) | instid1(VALU_DEP_1)
	v_div_fmas_f64 v[17:18], v[17:18], v[19:20], v[26:27]
	v_div_fixup_f64 v[15:16], v[17:18], v[9:10], v[15:16]
                                        ; implicit-def: $vgpr9_vgpr10
	s_and_not1_saveexec_b32 s1, s1
	s_cbranch_execnz .LBB221_50
.LBB221_45:
	s_or_b32 exec_lo, exec_lo, s1
	s_and_saveexec_b32 s1, s0
	s_delay_alu instid0(SALU_CYCLE_1)
	s_xor_b32 s0, exec_lo, s1
	s_cbranch_execz .LBB221_51
.LBB221_46:
	s_and_saveexec_b32 s1, s14
; %bb.47:
	s_delay_alu instid0(VALU_DEP_2) | instskip(NEXT) | instid1(VALU_DEP_2)
	v_mul_f64 v[13:14], v[13:14], 0.5
	v_mul_f64 v[15:16], v[15:16], 0.5
; %bb.48:
	s_or_b32 exec_lo, exec_lo, s1
	s_and_not1_saveexec_b32 s0, s0
	s_cbranch_execnz .LBB221_52
	s_branch .LBB221_53
.LBB221_49:
	s_and_not1_saveexec_b32 s1, s1
	s_cbranch_execz .LBB221_45
.LBB221_50:
	v_add_f64 v[9:10], v[9:10], -v[13:14]
	s_delay_alu instid0(VALU_DEP_1) | instskip(NEXT) | instid1(VALU_DEP_1)
	v_mul_f64 v[9:10], v[9:10], 0.5
	v_cmp_gt_f64_e32 vcc_lo, 0x10000000, v[9:10]
	v_cndmask_b32_e64 v13, 0, 1, vcc_lo
	s_delay_alu instid0(VALU_DEP_1) | instskip(NEXT) | instid1(VALU_DEP_1)
	v_lshlrev_b32_e32 v13, 8, v13
	v_ldexp_f64 v[9:10], v[9:10], v13
	s_delay_alu instid0(VALU_DEP_1) | instskip(SKIP_3) | instid1(VALU_DEP_1)
	v_rsq_f64_e32 v[13:14], v[9:10]
	s_waitcnt_depctr 0xfff
	v_mul_f64 v[17:18], v[9:10], v[13:14]
	v_mul_f64 v[13:14], v[13:14], 0.5
	v_fma_f64 v[19:20], -v[13:14], v[17:18], 0.5
	s_delay_alu instid0(VALU_DEP_1) | instskip(SKIP_1) | instid1(VALU_DEP_2)
	v_fma_f64 v[17:18], v[17:18], v[19:20], v[17:18]
	v_fma_f64 v[13:14], v[13:14], v[19:20], v[13:14]
	v_fma_f64 v[19:20], -v[17:18], v[17:18], v[9:10]
	s_delay_alu instid0(VALU_DEP_1) | instskip(NEXT) | instid1(VALU_DEP_1)
	v_fma_f64 v[17:18], v[19:20], v[13:14], v[17:18]
	v_fma_f64 v[19:20], -v[17:18], v[17:18], v[9:10]
	s_delay_alu instid0(VALU_DEP_1) | instskip(SKIP_3) | instid1(VALU_DEP_3)
	v_fma_f64 v[13:14], v[19:20], v[13:14], v[17:18]
	v_cndmask_b32_e64 v17, 0, 0xffffff80, vcc_lo
	v_cmp_class_f64_e64 vcc_lo, v[9:10], 0x260
	v_and_b32_e32 v18, 0x7fffffff, v16
	v_ldexp_f64 v[13:14], v[13:14], v17
	s_delay_alu instid0(VALU_DEP_1) | instskip(NEXT) | instid1(VALU_DEP_1)
	v_dual_cndmask_b32 v10, v14, v10 :: v_dual_cndmask_b32 v9, v13, v9
	v_add_f64 v[13:14], v[9:10], v[9:10]
	v_bfi_b32 v10, 0x7fffffff, v10, v16
	v_mov_b32_e32 v17, v15
	s_delay_alu instid0(VALU_DEP_1) | instskip(SKIP_1) | instid1(VALU_DEP_2)
	v_div_scale_f64 v[19:20], null, v[13:14], v[13:14], v[17:18]
	v_div_scale_f64 v[17:18], vcc_lo, v[17:18], v[13:14], v[17:18]
	v_rcp_f64_e32 v[23:24], v[19:20]
	s_waitcnt_depctr 0xfff
	v_fma_f64 v[26:27], -v[19:20], v[23:24], 1.0
	s_delay_alu instid0(VALU_DEP_1) | instskip(NEXT) | instid1(VALU_DEP_1)
	v_fma_f64 v[23:24], v[23:24], v[26:27], v[23:24]
	v_fma_f64 v[26:27], -v[19:20], v[23:24], 1.0
	s_delay_alu instid0(VALU_DEP_1) | instskip(NEXT) | instid1(VALU_DEP_1)
	v_fma_f64 v[23:24], v[23:24], v[26:27], v[23:24]
	v_mul_f64 v[26:27], v[17:18], v[23:24]
	s_delay_alu instid0(VALU_DEP_1) | instskip(NEXT) | instid1(VALU_DEP_1)
	v_fma_f64 v[17:18], -v[19:20], v[26:27], v[17:18]
	v_div_fmas_f64 v[17:18], v[17:18], v[23:24], v[26:27]
	s_delay_alu instid0(VALU_DEP_1) | instskip(SKIP_3) | instid1(SALU_CYCLE_1)
	v_div_fixup_f64 v[13:14], v[17:18], v[13:14], |v[15:16]|
	v_dual_mov_b32 v16, v10 :: v_dual_mov_b32 v15, v9
	s_or_b32 exec_lo, exec_lo, s1
	s_and_saveexec_b32 s1, s0
	s_xor_b32 s0, exec_lo, s1
	s_cbranch_execnz .LBB221_46
.LBB221_51:
	s_and_not1_saveexec_b32 s0, s0
.LBB221_52:
	s_delay_alu instid0(VALU_DEP_2) | instskip(NEXT) | instid1(VALU_DEP_2)
	v_add_f64 v[13:14], v[13:14], v[13:14]
	v_add_f64 v[15:16], v[15:16], v[15:16]
.LBB221_53:
	s_or_b32 exec_lo, exec_lo, s0
.LBB221_54:
	s_and_not1_saveexec_b32 s0, s13
	s_cbranch_execz .LBB221_60
; %bb.55:
	s_delay_alu instid0(VALU_DEP_1) | instskip(SKIP_1) | instid1(VALU_DEP_3)
	v_add_f64 v[9:10], v[15:16], -v[15:16]
	s_mov_b32 s1, exec_lo
	v_cmpx_lt_i64_e32 -1, v[13:14]
	s_xor_b32 s1, exec_lo, s1
; %bb.56:
	s_delay_alu instid0(VALU_DEP_2) | instskip(NEXT) | instid1(VALU_DEP_1)
	v_bfi_b32 v10, 0x7fffffff, v10, v16
	v_dual_mov_b32 v16, v10 :: v_dual_mov_b32 v15, v9
                                        ; implicit-def: $vgpr9_vgpr10
; %bb.57:
	s_and_not1_saveexec_b32 s1, s1
; %bb.58:
	s_delay_alu instid0(VALU_DEP_1) | instskip(SKIP_1) | instid1(VALU_DEP_2)
	v_bfi_b32 v14, 0x7fffffff, v14, v16
	v_and_b32_e32 v10, 0x7fffffff, v10
	v_dual_mov_b32 v16, v14 :: v_dual_mov_b32 v15, v13
	s_delay_alu instid0(VALU_DEP_2)
	v_dual_mov_b32 v14, v10 :: v_dual_mov_b32 v13, v9
; %bb.59:
	s_or_b32 exec_lo, exec_lo, s1
.LBB221_60:
	s_delay_alu instid0(SALU_CYCLE_1)
	s_or_b32 exec_lo, exec_lo, s0
.LBB221_61:
	s_and_not1_saveexec_b32 s0, s12
; %bb.62:
	s_delay_alu instid0(VALU_DEP_1) | instskip(NEXT) | instid1(VALU_DEP_1)
	v_add_f64 v[9:10], v[15:16], -v[15:16]
	v_div_scale_f64 v[15:16], vcc_lo, v[9:10], v[9:10], v[9:10]
	s_delay_alu instid0(VALU_DEP_1) | instskip(SKIP_2) | instid1(VALU_DEP_1)
	v_rcp_f64_e32 v[17:18], v[15:16]
	s_waitcnt_depctr 0xfff
	v_fma_f64 v[19:20], -v[15:16], v[17:18], 1.0
	v_fma_f64 v[17:18], v[17:18], v[19:20], v[17:18]
	s_delay_alu instid0(VALU_DEP_1) | instskip(NEXT) | instid1(VALU_DEP_1)
	v_fma_f64 v[19:20], -v[15:16], v[17:18], 1.0
	v_fma_f64 v[17:18], v[17:18], v[19:20], v[17:18]
	s_delay_alu instid0(VALU_DEP_1) | instskip(NEXT) | instid1(VALU_DEP_1)
	v_mul_f64 v[19:20], v[15:16], v[17:18]
	v_fma_f64 v[15:16], -v[15:16], v[19:20], v[15:16]
	s_delay_alu instid0(VALU_DEP_1) | instskip(NEXT) | instid1(VALU_DEP_1)
	v_div_fmas_f64 v[15:16], v[15:16], v[17:18], v[19:20]
	v_div_fixup_f64 v[15:16], v[15:16], v[9:10], v[9:10]
; %bb.63:
	s_or_b32 exec_lo, exec_lo, s0
	v_dual_mov_b32 v18, v14 :: v_dual_mov_b32 v17, v13
.LBB221_64:
	s_or_b32 exec_lo, exec_lo, s11
.LBB221_65:
	s_delay_alu instid0(SALU_CYCLE_1)
	s_or_b32 exec_lo, exec_lo, s9
	s_waitcnt vmcnt(1)
	v_cmp_neq_f64_e32 vcc_lo, 0, v[5:6]
	v_cmp_neq_f64_e64 s0, 0, v[7:8]
	v_mov_b32_e32 v9, 0
	v_mov_b32_e32 v10, 0
	s_delay_alu instid0(VALU_DEP_1) | instskip(NEXT) | instid1(VALU_DEP_4)
	v_dual_mov_b32 v14, v10 :: v_dual_mov_b32 v13, v9
	s_or_b32 s0, vcc_lo, s0
	s_delay_alu instid0(SALU_CYCLE_1)
	s_and_saveexec_b32 s9, s0
	s_cbranch_execz .LBB221_97
; %bb.66:
	s_mov_b32 s0, 0
	s_mov_b32 s1, 0x7ff00000
	v_mov_b32_e32 v13, s0
	v_mov_b32_e32 v14, s1
	s_mov_b32 s11, exec_lo
	v_cmpx_neq_f64_e64 0x7ff00000, |v[7:8]|
	s_cbranch_execz .LBB221_96
; %bb.67:
	s_mov_b32 s0, exec_lo
	v_cmpx_o_f64_e32 v[5:6], v[5:6]
	s_xor_b32 s12, exec_lo, s0
	s_cbranch_execz .LBB221_93
; %bb.68:
	s_mov_b32 s1, exec_lo
	v_cmpx_neq_f64_e64 0x7ff00000, |v[5:6]|
	s_xor_b32 s13, exec_lo, s1
	s_cbranch_execz .LBB221_86
; %bb.69:
	v_max_f64 v[13:14], |v[7:8]|, |v[7:8]|
	v_max_f64 v[19:20], |v[5:6]|, |v[5:6]|
	s_mov_b32 s0, 0x99fcef32
	s_mov_b32 s1, 0x7fda8279
                                        ; implicit-def: $sgpr14
	s_delay_alu instid0(VALU_DEP_1) | instskip(NEXT) | instid1(VALU_DEP_1)
	v_max_f64 v[13:14], v[19:20], v[13:14]
	v_cmp_nle_f64_e64 s0, s[0:1], v[13:14]
	s_delay_alu instid0(VALU_DEP_1) | instskip(NEXT) | instid1(SALU_CYCLE_1)
	s_and_saveexec_b32 s1, s0
	s_xor_b32 s1, exec_lo, s1
	s_cbranch_execz .LBB221_73
; %bb.70:
	v_cmp_ge_f64_e64 s14, 0x200000, |v[5:6]|
	v_cmp_ge_f64_e64 s15, 0x200000, |v[7:8]|
	s_delay_alu instid0(VALU_DEP_1)
	s_and_b32 s16, s14, s15
	s_mov_b32 s14, 0
	s_and_saveexec_b32 s15, s16
; %bb.71:
	v_mul_f64 v[5:6], v[5:6], 4.0
	v_mul_f64 v[7:8], v[7:8], 4.0
	s_mov_b32 s14, exec_lo
; %bb.72:
	s_or_b32 exec_lo, exec_lo, s15
	s_delay_alu instid0(SALU_CYCLE_1)
	s_and_b32 s14, s14, exec_lo
.LBB221_73:
	s_and_not1_saveexec_b32 s1, s1
; %bb.74:
	s_delay_alu instid0(VALU_DEP_2) | instskip(NEXT) | instid1(VALU_DEP_2)
	v_ldexp_f64 v[5:6], v[5:6], -2
	v_ldexp_f64 v[7:8], v[7:8], -2
	s_and_not1_b32 s14, s14, exec_lo
; %bb.75:
	s_or_b32 exec_lo, exec_lo, s1
	s_delay_alu instid0(VALU_DEP_1) | instskip(NEXT) | instid1(VALU_DEP_3)
	v_max_f64 v[13:14], |v[7:8]|, |v[7:8]|
	v_max_f64 v[19:20], |v[5:6]|, |v[5:6]|
	v_cmp_class_f64_e64 s15, v[5:6], 0x204
	v_cmp_class_f64_e64 s16, v[7:8], 0x204
	v_cmp_le_f64_e64 s1, 0, v[5:6]
	s_delay_alu instid0(VALU_DEP_4) | instskip(NEXT) | instid1(VALU_DEP_3)
	v_max_f64 v[13:14], v[19:20], v[13:14]
	s_or_b32 s15, s16, s15
	s_delay_alu instid0(VALU_DEP_1) | instskip(NEXT) | instid1(VALU_DEP_1)
	v_frexp_exp_i32_f64_e32 v28, v[13:14]
	v_sub_nc_u32_e32 v19, 0, v28
	s_delay_alu instid0(VALU_DEP_1) | instskip(SKIP_1) | instid1(VALU_DEP_2)
	v_ldexp_f64 v[13:14], |v[7:8]|, v19
	v_ldexp_f64 v[19:20], |v[5:6]|, v19
	v_mul_f64 v[13:14], v[13:14], v[13:14]
	s_delay_alu instid0(VALU_DEP_1) | instskip(NEXT) | instid1(VALU_DEP_1)
	v_fma_f64 v[13:14], v[19:20], v[19:20], v[13:14]
	v_rsq_f64_e32 v[19:20], v[13:14]
	v_cmp_eq_f64_e32 vcc_lo, 0, v[13:14]
	s_waitcnt_depctr 0xfff
	v_mul_f64 v[23:24], v[13:14], v[19:20]
	v_mul_f64 v[19:20], v[19:20], 0.5
	s_delay_alu instid0(VALU_DEP_1) | instskip(NEXT) | instid1(VALU_DEP_1)
	v_fma_f64 v[26:27], -v[19:20], v[23:24], 0.5
	v_fma_f64 v[23:24], v[23:24], v[26:27], v[23:24]
	v_fma_f64 v[19:20], v[19:20], v[26:27], v[19:20]
	s_delay_alu instid0(VALU_DEP_2) | instskip(NEXT) | instid1(VALU_DEP_1)
	v_fma_f64 v[26:27], -v[23:24], v[23:24], v[13:14]
	v_fma_f64 v[19:20], v[26:27], v[19:20], v[23:24]
	s_delay_alu instid0(VALU_DEP_1) | instskip(SKIP_1) | instid1(VALU_DEP_2)
	v_dual_cndmask_b32 v14, v20, v14 :: v_dual_cndmask_b32 v13, v19, v13
	v_cmp_o_f64_e32 vcc_lo, v[7:8], v[7:8]
	v_ldexp_f64 v[13:14], v[13:14], v28
	s_delay_alu instid0(VALU_DEP_1) | instskip(NEXT) | instid1(VALU_DEP_2)
	v_cndmask_b32_e32 v13, 0, v13, vcc_lo
	v_cndmask_b32_e32 v14, 0x7ff80000, v14, vcc_lo
	s_delay_alu instid0(VALU_DEP_2) | instskip(NEXT) | instid1(VALU_DEP_2)
	v_cndmask_b32_e64 v13, v13, 0, s15
	v_cndmask_b32_e64 v14, v14, 0x7ff00000, s15
	s_and_saveexec_b32 s15, s1
	s_delay_alu instid0(SALU_CYCLE_1)
	s_xor_b32 s1, exec_lo, s15
	s_cbranch_execz .LBB221_81
; %bb.76:
	s_delay_alu instid0(VALU_DEP_1) | instskip(NEXT) | instid1(VALU_DEP_1)
	v_add_f64 v[5:6], v[5:6], v[13:14]
	v_mul_f64 v[5:6], v[5:6], 0.5
	s_delay_alu instid0(VALU_DEP_1) | instskip(SKIP_1) | instid1(VALU_DEP_1)
	v_cmp_gt_f64_e32 vcc_lo, 0x10000000, v[5:6]
	v_cndmask_b32_e64 v13, 0, 1, vcc_lo
	v_lshlrev_b32_e32 v13, 8, v13
	s_delay_alu instid0(VALU_DEP_1) | instskip(NEXT) | instid1(VALU_DEP_1)
	v_ldexp_f64 v[5:6], v[5:6], v13
	v_rsq_f64_e32 v[13:14], v[5:6]
	s_waitcnt_depctr 0xfff
	v_mul_f64 v[19:20], v[5:6], v[13:14]
	v_mul_f64 v[13:14], v[13:14], 0.5
	s_delay_alu instid0(VALU_DEP_1) | instskip(NEXT) | instid1(VALU_DEP_1)
	v_fma_f64 v[23:24], -v[13:14], v[19:20], 0.5
	v_fma_f64 v[19:20], v[19:20], v[23:24], v[19:20]
	v_fma_f64 v[13:14], v[13:14], v[23:24], v[13:14]
	s_delay_alu instid0(VALU_DEP_2) | instskip(NEXT) | instid1(VALU_DEP_1)
	v_fma_f64 v[23:24], -v[19:20], v[19:20], v[5:6]
	v_fma_f64 v[19:20], v[23:24], v[13:14], v[19:20]
	s_delay_alu instid0(VALU_DEP_1) | instskip(NEXT) | instid1(VALU_DEP_1)
	v_fma_f64 v[23:24], -v[19:20], v[19:20], v[5:6]
	v_fma_f64 v[13:14], v[23:24], v[13:14], v[19:20]
	v_cndmask_b32_e64 v19, 0, 0xffffff80, vcc_lo
	v_cmp_class_f64_e64 vcc_lo, v[5:6], 0x260
	s_delay_alu instid0(VALU_DEP_2) | instskip(NEXT) | instid1(VALU_DEP_1)
	v_ldexp_f64 v[13:14], v[13:14], v19
	v_dual_cndmask_b32 v6, v14, v6 :: v_dual_cndmask_b32 v5, v13, v5
	s_delay_alu instid0(VALU_DEP_1) | instskip(NEXT) | instid1(VALU_DEP_1)
	v_add_f64 v[13:14], v[5:6], v[5:6]
	v_div_scale_f64 v[19:20], null, v[13:14], v[13:14], v[7:8]
	s_delay_alu instid0(VALU_DEP_1) | instskip(SKIP_2) | instid1(VALU_DEP_1)
	v_rcp_f64_e32 v[23:24], v[19:20]
	s_waitcnt_depctr 0xfff
	v_fma_f64 v[26:27], -v[19:20], v[23:24], 1.0
	v_fma_f64 v[23:24], v[23:24], v[26:27], v[23:24]
	s_delay_alu instid0(VALU_DEP_1) | instskip(NEXT) | instid1(VALU_DEP_1)
	v_fma_f64 v[26:27], -v[19:20], v[23:24], 1.0
	v_fma_f64 v[23:24], v[23:24], v[26:27], v[23:24]
	v_div_scale_f64 v[26:27], vcc_lo, v[7:8], v[13:14], v[7:8]
	s_delay_alu instid0(VALU_DEP_1) | instskip(NEXT) | instid1(VALU_DEP_1)
	v_mul_f64 v[28:29], v[26:27], v[23:24]
	v_fma_f64 v[19:20], -v[19:20], v[28:29], v[26:27]
	s_delay_alu instid0(VALU_DEP_1) | instskip(NEXT) | instid1(VALU_DEP_1)
	v_div_fmas_f64 v[19:20], v[19:20], v[23:24], v[28:29]
	v_div_fixup_f64 v[7:8], v[19:20], v[13:14], v[7:8]
                                        ; implicit-def: $vgpr13_vgpr14
	s_and_not1_saveexec_b32 s1, s1
	s_cbranch_execnz .LBB221_82
.LBB221_77:
	s_or_b32 exec_lo, exec_lo, s1
	s_and_saveexec_b32 s1, s0
	s_delay_alu instid0(SALU_CYCLE_1)
	s_xor_b32 s0, exec_lo, s1
	s_cbranch_execz .LBB221_83
.LBB221_78:
	s_and_saveexec_b32 s1, s14
; %bb.79:
	s_delay_alu instid0(VALU_DEP_2) | instskip(NEXT) | instid1(VALU_DEP_2)
	v_mul_f64 v[5:6], v[5:6], 0.5
	v_mul_f64 v[7:8], v[7:8], 0.5
; %bb.80:
	s_or_b32 exec_lo, exec_lo, s1
	s_and_not1_saveexec_b32 s0, s0
	s_cbranch_execnz .LBB221_84
	s_branch .LBB221_85
.LBB221_81:
	s_and_not1_saveexec_b32 s1, s1
	s_cbranch_execz .LBB221_77
.LBB221_82:
	v_add_f64 v[5:6], v[13:14], -v[5:6]
	s_delay_alu instid0(VALU_DEP_1) | instskip(NEXT) | instid1(VALU_DEP_1)
	v_mul_f64 v[5:6], v[5:6], 0.5
	v_cmp_gt_f64_e32 vcc_lo, 0x10000000, v[5:6]
	v_cndmask_b32_e64 v13, 0, 1, vcc_lo
	s_delay_alu instid0(VALU_DEP_1) | instskip(NEXT) | instid1(VALU_DEP_1)
	v_lshlrev_b32_e32 v13, 8, v13
	v_ldexp_f64 v[5:6], v[5:6], v13
	s_delay_alu instid0(VALU_DEP_1) | instskip(SKIP_3) | instid1(VALU_DEP_1)
	v_rsq_f64_e32 v[13:14], v[5:6]
	s_waitcnt_depctr 0xfff
	v_mul_f64 v[19:20], v[5:6], v[13:14]
	v_mul_f64 v[13:14], v[13:14], 0.5
	v_fma_f64 v[23:24], -v[13:14], v[19:20], 0.5
	s_delay_alu instid0(VALU_DEP_1) | instskip(SKIP_1) | instid1(VALU_DEP_2)
	v_fma_f64 v[19:20], v[19:20], v[23:24], v[19:20]
	v_fma_f64 v[13:14], v[13:14], v[23:24], v[13:14]
	v_fma_f64 v[23:24], -v[19:20], v[19:20], v[5:6]
	s_delay_alu instid0(VALU_DEP_1) | instskip(NEXT) | instid1(VALU_DEP_1)
	v_fma_f64 v[19:20], v[23:24], v[13:14], v[19:20]
	v_fma_f64 v[23:24], -v[19:20], v[19:20], v[5:6]
	s_delay_alu instid0(VALU_DEP_1) | instskip(SKIP_3) | instid1(VALU_DEP_3)
	v_fma_f64 v[13:14], v[23:24], v[13:14], v[19:20]
	v_cndmask_b32_e64 v19, 0, 0xffffff80, vcc_lo
	v_cmp_class_f64_e64 vcc_lo, v[5:6], 0x260
	v_and_b32_e32 v20, 0x7fffffff, v8
	v_ldexp_f64 v[13:14], v[13:14], v19
	s_delay_alu instid0(VALU_DEP_1) | instskip(NEXT) | instid1(VALU_DEP_1)
	v_dual_cndmask_b32 v14, v14, v6 :: v_dual_cndmask_b32 v13, v13, v5
	v_add_f64 v[5:6], v[13:14], v[13:14]
	v_bfi_b32 v14, 0x7fffffff, v14, v8
	v_mov_b32_e32 v19, v7
	s_delay_alu instid0(VALU_DEP_1) | instskip(SKIP_1) | instid1(VALU_DEP_2)
	v_div_scale_f64 v[23:24], null, v[5:6], v[5:6], v[19:20]
	v_div_scale_f64 v[19:20], vcc_lo, v[19:20], v[5:6], v[19:20]
	v_rcp_f64_e32 v[26:27], v[23:24]
	s_waitcnt_depctr 0xfff
	v_fma_f64 v[28:29], -v[23:24], v[26:27], 1.0
	s_delay_alu instid0(VALU_DEP_1) | instskip(NEXT) | instid1(VALU_DEP_1)
	v_fma_f64 v[26:27], v[26:27], v[28:29], v[26:27]
	v_fma_f64 v[28:29], -v[23:24], v[26:27], 1.0
	s_delay_alu instid0(VALU_DEP_1) | instskip(NEXT) | instid1(VALU_DEP_1)
	v_fma_f64 v[26:27], v[26:27], v[28:29], v[26:27]
	v_mul_f64 v[28:29], v[19:20], v[26:27]
	s_delay_alu instid0(VALU_DEP_1) | instskip(NEXT) | instid1(VALU_DEP_1)
	v_fma_f64 v[19:20], -v[23:24], v[28:29], v[19:20]
	v_div_fmas_f64 v[19:20], v[19:20], v[26:27], v[28:29]
	s_delay_alu instid0(VALU_DEP_1) | instskip(SKIP_3) | instid1(SALU_CYCLE_1)
	v_div_fixup_f64 v[5:6], v[19:20], v[5:6], |v[7:8]|
	v_dual_mov_b32 v7, v13 :: v_dual_mov_b32 v8, v14
	s_or_b32 exec_lo, exec_lo, s1
	s_and_saveexec_b32 s1, s0
	s_xor_b32 s0, exec_lo, s1
	s_cbranch_execnz .LBB221_78
.LBB221_83:
	s_and_not1_saveexec_b32 s0, s0
.LBB221_84:
	s_delay_alu instid0(VALU_DEP_2) | instskip(NEXT) | instid1(VALU_DEP_2)
	v_add_f64 v[5:6], v[5:6], v[5:6]
	v_add_f64 v[7:8], v[7:8], v[7:8]
.LBB221_85:
	s_or_b32 exec_lo, exec_lo, s0
.LBB221_86:
	s_and_not1_saveexec_b32 s0, s13
	s_cbranch_execz .LBB221_92
; %bb.87:
	s_delay_alu instid0(VALU_DEP_1) | instskip(SKIP_1) | instid1(VALU_DEP_3)
	v_add_f64 v[13:14], v[7:8], -v[7:8]
	s_mov_b32 s1, exec_lo
	v_cmpx_lt_i64_e32 -1, v[5:6]
	s_xor_b32 s1, exec_lo, s1
; %bb.88:
	s_delay_alu instid0(VALU_DEP_2) | instskip(NEXT) | instid1(VALU_DEP_1)
	v_bfi_b32 v14, 0x7fffffff, v14, v8
	v_dual_mov_b32 v7, v13 :: v_dual_mov_b32 v8, v14
                                        ; implicit-def: $vgpr13_vgpr14
; %bb.89:
	s_and_not1_saveexec_b32 s1, s1
; %bb.90:
	s_delay_alu instid0(VALU_DEP_1) | instskip(SKIP_1) | instid1(VALU_DEP_2)
	v_bfi_b32 v6, 0x7fffffff, v6, v8
	v_and_b32_e32 v14, 0x7fffffff, v14
	v_dual_mov_b32 v8, v6 :: v_dual_mov_b32 v7, v5
	s_delay_alu instid0(VALU_DEP_2)
	v_dual_mov_b32 v5, v13 :: v_dual_mov_b32 v6, v14
; %bb.91:
	s_or_b32 exec_lo, exec_lo, s1
.LBB221_92:
	s_delay_alu instid0(SALU_CYCLE_1)
	s_or_b32 exec_lo, exec_lo, s0
.LBB221_93:
	s_and_not1_saveexec_b32 s0, s12
; %bb.94:
	s_delay_alu instid0(VALU_DEP_1) | instskip(NEXT) | instid1(VALU_DEP_1)
	v_add_f64 v[7:8], v[7:8], -v[7:8]
	v_div_scale_f64 v[13:14], vcc_lo, v[7:8], v[7:8], v[7:8]
	s_delay_alu instid0(VALU_DEP_1) | instskip(SKIP_2) | instid1(VALU_DEP_1)
	v_rcp_f64_e32 v[19:20], v[13:14]
	s_waitcnt_depctr 0xfff
	v_fma_f64 v[23:24], -v[13:14], v[19:20], 1.0
	v_fma_f64 v[19:20], v[19:20], v[23:24], v[19:20]
	s_delay_alu instid0(VALU_DEP_1) | instskip(NEXT) | instid1(VALU_DEP_1)
	v_fma_f64 v[23:24], -v[13:14], v[19:20], 1.0
	v_fma_f64 v[19:20], v[19:20], v[23:24], v[19:20]
	s_delay_alu instid0(VALU_DEP_1) | instskip(NEXT) | instid1(VALU_DEP_1)
	v_mul_f64 v[23:24], v[13:14], v[19:20]
	v_fma_f64 v[13:14], -v[13:14], v[23:24], v[13:14]
	s_delay_alu instid0(VALU_DEP_1) | instskip(NEXT) | instid1(VALU_DEP_1)
	v_div_fmas_f64 v[13:14], v[13:14], v[19:20], v[23:24]
	v_div_fixup_f64 v[7:8], v[13:14], v[7:8], v[7:8]
; %bb.95:
	s_or_b32 exec_lo, exec_lo, s0
	v_dual_mov_b32 v14, v6 :: v_dual_mov_b32 v13, v5
.LBB221_96:
	s_or_b32 exec_lo, exec_lo, s11
.LBB221_97:
	s_delay_alu instid0(SALU_CYCLE_1) | instskip(SKIP_3) | instid1(VALU_DEP_1)
	s_or_b32 exec_lo, exec_lo, s9
	s_waitcnt vmcnt(0)
	v_cmp_neq_f64_e32 vcc_lo, 0, v[1:2]
	v_cmp_neq_f64_e64 s0, 0, v[3:4]
	s_or_b32 s0, vcc_lo, s0
	s_delay_alu instid0(SALU_CYCLE_1)
	s_and_saveexec_b32 s9, s0
	s_cbranch_execz .LBB221_129
; %bb.98:
	s_mov_b32 s0, 0
	s_mov_b32 s1, 0x7ff00000
	v_mov_b32_e32 v9, s0
	v_mov_b32_e32 v10, s1
	s_mov_b32 s11, exec_lo
	v_cmpx_neq_f64_e64 0x7ff00000, |v[3:4]|
	s_cbranch_execz .LBB221_128
; %bb.99:
	s_mov_b32 s0, exec_lo
	v_cmpx_o_f64_e32 v[1:2], v[1:2]
	s_xor_b32 s12, exec_lo, s0
	s_cbranch_execz .LBB221_125
; %bb.100:
	s_mov_b32 s1, exec_lo
	v_cmpx_neq_f64_e64 0x7ff00000, |v[1:2]|
	s_xor_b32 s13, exec_lo, s1
	s_cbranch_execz .LBB221_118
; %bb.101:
	v_max_f64 v[5:6], |v[3:4]|, |v[3:4]|
	v_max_f64 v[9:10], |v[1:2]|, |v[1:2]|
	s_mov_b32 s0, 0x99fcef32
	s_mov_b32 s1, 0x7fda8279
                                        ; implicit-def: $sgpr14
	s_delay_alu instid0(VALU_DEP_1) | instskip(NEXT) | instid1(VALU_DEP_1)
	v_max_f64 v[5:6], v[9:10], v[5:6]
	v_cmp_nle_f64_e64 s0, s[0:1], v[5:6]
	s_delay_alu instid0(VALU_DEP_1) | instskip(NEXT) | instid1(SALU_CYCLE_1)
	s_and_saveexec_b32 s1, s0
	s_xor_b32 s1, exec_lo, s1
	s_cbranch_execz .LBB221_105
; %bb.102:
	v_cmp_ge_f64_e64 s14, 0x200000, |v[1:2]|
	v_cmp_ge_f64_e64 s15, 0x200000, |v[3:4]|
	s_delay_alu instid0(VALU_DEP_1)
	s_and_b32 s16, s14, s15
	s_mov_b32 s14, 0
	s_and_saveexec_b32 s15, s16
; %bb.103:
	v_mul_f64 v[1:2], v[1:2], 4.0
	v_mul_f64 v[3:4], v[3:4], 4.0
	s_mov_b32 s14, exec_lo
; %bb.104:
	s_or_b32 exec_lo, exec_lo, s15
	s_delay_alu instid0(SALU_CYCLE_1)
	s_and_b32 s14, s14, exec_lo
.LBB221_105:
	s_and_not1_saveexec_b32 s1, s1
; %bb.106:
	s_delay_alu instid0(VALU_DEP_2) | instskip(NEXT) | instid1(VALU_DEP_2)
	v_ldexp_f64 v[1:2], v[1:2], -2
	v_ldexp_f64 v[3:4], v[3:4], -2
	s_and_not1_b32 s14, s14, exec_lo
; %bb.107:
	s_or_b32 exec_lo, exec_lo, s1
	s_delay_alu instid0(VALU_DEP_1) | instskip(NEXT) | instid1(VALU_DEP_3)
	v_max_f64 v[5:6], |v[3:4]|, |v[3:4]|
	v_max_f64 v[9:10], |v[1:2]|, |v[1:2]|
	v_cmp_class_f64_e64 s15, v[1:2], 0x204
	v_cmp_class_f64_e64 s16, v[3:4], 0x204
	v_cmp_le_f64_e64 s1, 0, v[1:2]
	s_delay_alu instid0(VALU_DEP_4) | instskip(NEXT) | instid1(VALU_DEP_3)
	v_max_f64 v[5:6], v[9:10], v[5:6]
	s_or_b32 s15, s16, s15
	s_delay_alu instid0(VALU_DEP_1) | instskip(NEXT) | instid1(VALU_DEP_1)
	v_frexp_exp_i32_f64_e32 v26, v[5:6]
	v_sub_nc_u32_e32 v9, 0, v26
	s_delay_alu instid0(VALU_DEP_1) | instskip(SKIP_1) | instid1(VALU_DEP_2)
	v_ldexp_f64 v[5:6], |v[3:4]|, v9
	v_ldexp_f64 v[9:10], |v[1:2]|, v9
	v_mul_f64 v[5:6], v[5:6], v[5:6]
	s_delay_alu instid0(VALU_DEP_1) | instskip(NEXT) | instid1(VALU_DEP_1)
	v_fma_f64 v[5:6], v[9:10], v[9:10], v[5:6]
	v_rsq_f64_e32 v[9:10], v[5:6]
	v_cmp_eq_f64_e32 vcc_lo, 0, v[5:6]
	s_waitcnt_depctr 0xfff
	v_mul_f64 v[19:20], v[5:6], v[9:10]
	v_mul_f64 v[9:10], v[9:10], 0.5
	s_delay_alu instid0(VALU_DEP_1) | instskip(NEXT) | instid1(VALU_DEP_1)
	v_fma_f64 v[23:24], -v[9:10], v[19:20], 0.5
	v_fma_f64 v[19:20], v[19:20], v[23:24], v[19:20]
	v_fma_f64 v[9:10], v[9:10], v[23:24], v[9:10]
	s_delay_alu instid0(VALU_DEP_2) | instskip(NEXT) | instid1(VALU_DEP_1)
	v_fma_f64 v[23:24], -v[19:20], v[19:20], v[5:6]
	v_fma_f64 v[9:10], v[23:24], v[9:10], v[19:20]
	s_delay_alu instid0(VALU_DEP_1) | instskip(SKIP_1) | instid1(VALU_DEP_2)
	v_dual_cndmask_b32 v6, v10, v6 :: v_dual_cndmask_b32 v5, v9, v5
	v_cmp_o_f64_e32 vcc_lo, v[3:4], v[3:4]
	v_ldexp_f64 v[5:6], v[5:6], v26
	s_delay_alu instid0(VALU_DEP_1) | instskip(NEXT) | instid1(VALU_DEP_2)
	v_cndmask_b32_e32 v5, 0, v5, vcc_lo
	v_cndmask_b32_e32 v6, 0x7ff80000, v6, vcc_lo
	s_delay_alu instid0(VALU_DEP_2) | instskip(NEXT) | instid1(VALU_DEP_2)
	v_cndmask_b32_e64 v5, v5, 0, s15
	v_cndmask_b32_e64 v6, v6, 0x7ff00000, s15
	s_and_saveexec_b32 s15, s1
	s_delay_alu instid0(SALU_CYCLE_1)
	s_xor_b32 s1, exec_lo, s15
	s_cbranch_execz .LBB221_113
; %bb.108:
	s_delay_alu instid0(VALU_DEP_1) | instskip(NEXT) | instid1(VALU_DEP_1)
	v_add_f64 v[1:2], v[1:2], v[5:6]
	v_mul_f64 v[1:2], v[1:2], 0.5
	s_delay_alu instid0(VALU_DEP_1) | instskip(SKIP_1) | instid1(VALU_DEP_1)
	v_cmp_gt_f64_e32 vcc_lo, 0x10000000, v[1:2]
	v_cndmask_b32_e64 v5, 0, 1, vcc_lo
	v_lshlrev_b32_e32 v5, 8, v5
	s_delay_alu instid0(VALU_DEP_1) | instskip(NEXT) | instid1(VALU_DEP_1)
	v_ldexp_f64 v[1:2], v[1:2], v5
	v_rsq_f64_e32 v[5:6], v[1:2]
	s_waitcnt_depctr 0xfff
	v_mul_f64 v[9:10], v[1:2], v[5:6]
	v_mul_f64 v[5:6], v[5:6], 0.5
	s_delay_alu instid0(VALU_DEP_1) | instskip(NEXT) | instid1(VALU_DEP_1)
	v_fma_f64 v[19:20], -v[5:6], v[9:10], 0.5
	v_fma_f64 v[9:10], v[9:10], v[19:20], v[9:10]
	v_fma_f64 v[5:6], v[5:6], v[19:20], v[5:6]
	s_delay_alu instid0(VALU_DEP_2) | instskip(NEXT) | instid1(VALU_DEP_1)
	v_fma_f64 v[19:20], -v[9:10], v[9:10], v[1:2]
	v_fma_f64 v[9:10], v[19:20], v[5:6], v[9:10]
	s_delay_alu instid0(VALU_DEP_1) | instskip(NEXT) | instid1(VALU_DEP_1)
	v_fma_f64 v[19:20], -v[9:10], v[9:10], v[1:2]
	v_fma_f64 v[5:6], v[19:20], v[5:6], v[9:10]
	v_cndmask_b32_e64 v9, 0, 0xffffff80, vcc_lo
	v_cmp_class_f64_e64 vcc_lo, v[1:2], 0x260
	s_delay_alu instid0(VALU_DEP_2) | instskip(NEXT) | instid1(VALU_DEP_1)
	v_ldexp_f64 v[5:6], v[5:6], v9
	v_dual_cndmask_b32 v2, v6, v2 :: v_dual_cndmask_b32 v1, v5, v1
	s_delay_alu instid0(VALU_DEP_1) | instskip(NEXT) | instid1(VALU_DEP_1)
	v_add_f64 v[5:6], v[1:2], v[1:2]
	v_div_scale_f64 v[9:10], null, v[5:6], v[5:6], v[3:4]
	s_delay_alu instid0(VALU_DEP_1) | instskip(SKIP_2) | instid1(VALU_DEP_1)
	v_rcp_f64_e32 v[19:20], v[9:10]
	s_waitcnt_depctr 0xfff
	v_fma_f64 v[23:24], -v[9:10], v[19:20], 1.0
	v_fma_f64 v[19:20], v[19:20], v[23:24], v[19:20]
	s_delay_alu instid0(VALU_DEP_1) | instskip(NEXT) | instid1(VALU_DEP_1)
	v_fma_f64 v[23:24], -v[9:10], v[19:20], 1.0
	v_fma_f64 v[19:20], v[19:20], v[23:24], v[19:20]
	v_div_scale_f64 v[23:24], vcc_lo, v[3:4], v[5:6], v[3:4]
	s_delay_alu instid0(VALU_DEP_1) | instskip(NEXT) | instid1(VALU_DEP_1)
	v_mul_f64 v[26:27], v[23:24], v[19:20]
	v_fma_f64 v[9:10], -v[9:10], v[26:27], v[23:24]
	s_delay_alu instid0(VALU_DEP_1) | instskip(NEXT) | instid1(VALU_DEP_1)
	v_div_fmas_f64 v[9:10], v[9:10], v[19:20], v[26:27]
	v_div_fixup_f64 v[3:4], v[9:10], v[5:6], v[3:4]
                                        ; implicit-def: $vgpr5_vgpr6
	s_and_not1_saveexec_b32 s1, s1
	s_cbranch_execnz .LBB221_114
.LBB221_109:
	s_or_b32 exec_lo, exec_lo, s1
	s_and_saveexec_b32 s1, s0
	s_delay_alu instid0(SALU_CYCLE_1)
	s_xor_b32 s0, exec_lo, s1
	s_cbranch_execz .LBB221_115
.LBB221_110:
	s_and_saveexec_b32 s1, s14
; %bb.111:
	s_delay_alu instid0(VALU_DEP_2) | instskip(NEXT) | instid1(VALU_DEP_2)
	v_mul_f64 v[1:2], v[1:2], 0.5
	v_mul_f64 v[3:4], v[3:4], 0.5
; %bb.112:
	s_or_b32 exec_lo, exec_lo, s1
	s_and_not1_saveexec_b32 s0, s0
	s_cbranch_execnz .LBB221_116
	s_branch .LBB221_117
.LBB221_113:
	s_and_not1_saveexec_b32 s1, s1
	s_cbranch_execz .LBB221_109
.LBB221_114:
	v_add_f64 v[1:2], v[5:6], -v[1:2]
	s_delay_alu instid0(VALU_DEP_1) | instskip(NEXT) | instid1(VALU_DEP_1)
	v_mul_f64 v[1:2], v[1:2], 0.5
	v_cmp_gt_f64_e32 vcc_lo, 0x10000000, v[1:2]
	v_cndmask_b32_e64 v5, 0, 1, vcc_lo
	s_delay_alu instid0(VALU_DEP_1) | instskip(NEXT) | instid1(VALU_DEP_1)
	v_lshlrev_b32_e32 v5, 8, v5
	v_ldexp_f64 v[1:2], v[1:2], v5
	s_delay_alu instid0(VALU_DEP_1) | instskip(SKIP_3) | instid1(VALU_DEP_1)
	v_rsq_f64_e32 v[5:6], v[1:2]
	s_waitcnt_depctr 0xfff
	v_mul_f64 v[9:10], v[1:2], v[5:6]
	v_mul_f64 v[5:6], v[5:6], 0.5
	v_fma_f64 v[19:20], -v[5:6], v[9:10], 0.5
	s_delay_alu instid0(VALU_DEP_1) | instskip(SKIP_1) | instid1(VALU_DEP_2)
	v_fma_f64 v[9:10], v[9:10], v[19:20], v[9:10]
	v_fma_f64 v[5:6], v[5:6], v[19:20], v[5:6]
	v_fma_f64 v[19:20], -v[9:10], v[9:10], v[1:2]
	s_delay_alu instid0(VALU_DEP_1) | instskip(NEXT) | instid1(VALU_DEP_1)
	v_fma_f64 v[9:10], v[19:20], v[5:6], v[9:10]
	v_fma_f64 v[19:20], -v[9:10], v[9:10], v[1:2]
	s_delay_alu instid0(VALU_DEP_1) | instskip(SKIP_3) | instid1(VALU_DEP_3)
	v_fma_f64 v[5:6], v[19:20], v[5:6], v[9:10]
	v_cndmask_b32_e64 v9, 0, 0xffffff80, vcc_lo
	v_cmp_class_f64_e64 vcc_lo, v[1:2], 0x260
	v_and_b32_e32 v10, 0x7fffffff, v4
	v_ldexp_f64 v[5:6], v[5:6], v9
	s_delay_alu instid0(VALU_DEP_1) | instskip(NEXT) | instid1(VALU_DEP_1)
	v_dual_cndmask_b32 v6, v6, v2 :: v_dual_cndmask_b32 v5, v5, v1
	v_add_f64 v[1:2], v[5:6], v[5:6]
	v_bfi_b32 v6, 0x7fffffff, v6, v4
	v_mov_b32_e32 v9, v3
	s_delay_alu instid0(VALU_DEP_1) | instskip(SKIP_1) | instid1(VALU_DEP_2)
	v_div_scale_f64 v[19:20], null, v[1:2], v[1:2], v[9:10]
	v_div_scale_f64 v[9:10], vcc_lo, v[9:10], v[1:2], v[9:10]
	v_rcp_f64_e32 v[23:24], v[19:20]
	s_waitcnt_depctr 0xfff
	v_fma_f64 v[26:27], -v[19:20], v[23:24], 1.0
	s_delay_alu instid0(VALU_DEP_1) | instskip(NEXT) | instid1(VALU_DEP_1)
	v_fma_f64 v[23:24], v[23:24], v[26:27], v[23:24]
	v_fma_f64 v[26:27], -v[19:20], v[23:24], 1.0
	s_delay_alu instid0(VALU_DEP_1) | instskip(NEXT) | instid1(VALU_DEP_1)
	v_fma_f64 v[23:24], v[23:24], v[26:27], v[23:24]
	v_mul_f64 v[26:27], v[9:10], v[23:24]
	s_delay_alu instid0(VALU_DEP_1) | instskip(NEXT) | instid1(VALU_DEP_1)
	v_fma_f64 v[9:10], -v[19:20], v[26:27], v[9:10]
	v_div_fmas_f64 v[9:10], v[9:10], v[23:24], v[26:27]
	s_delay_alu instid0(VALU_DEP_1) | instskip(SKIP_3) | instid1(SALU_CYCLE_1)
	v_div_fixup_f64 v[1:2], v[9:10], v[1:2], |v[3:4]|
	v_dual_mov_b32 v3, v5 :: v_dual_mov_b32 v4, v6
	s_or_b32 exec_lo, exec_lo, s1
	s_and_saveexec_b32 s1, s0
	s_xor_b32 s0, exec_lo, s1
	s_cbranch_execnz .LBB221_110
.LBB221_115:
	s_and_not1_saveexec_b32 s0, s0
.LBB221_116:
	s_delay_alu instid0(VALU_DEP_2) | instskip(NEXT) | instid1(VALU_DEP_2)
	v_add_f64 v[1:2], v[1:2], v[1:2]
	v_add_f64 v[3:4], v[3:4], v[3:4]
.LBB221_117:
	s_or_b32 exec_lo, exec_lo, s0
.LBB221_118:
	s_and_not1_saveexec_b32 s0, s13
	s_cbranch_execz .LBB221_124
; %bb.119:
	s_delay_alu instid0(VALU_DEP_1) | instskip(SKIP_1) | instid1(VALU_DEP_3)
	v_add_f64 v[5:6], v[3:4], -v[3:4]
	s_mov_b32 s1, exec_lo
	v_cmpx_lt_i64_e32 -1, v[1:2]
	s_xor_b32 s1, exec_lo, s1
; %bb.120:
	s_delay_alu instid0(VALU_DEP_2) | instskip(NEXT) | instid1(VALU_DEP_1)
	v_bfi_b32 v6, 0x7fffffff, v6, v4
	v_dual_mov_b32 v3, v5 :: v_dual_mov_b32 v4, v6
                                        ; implicit-def: $vgpr5_vgpr6
; %bb.121:
	s_and_not1_saveexec_b32 s1, s1
; %bb.122:
	s_delay_alu instid0(VALU_DEP_1) | instskip(SKIP_1) | instid1(VALU_DEP_2)
	v_bfi_b32 v2, 0x7fffffff, v2, v4
	v_and_b32_e32 v6, 0x7fffffff, v6
	v_dual_mov_b32 v4, v2 :: v_dual_mov_b32 v3, v1
	s_delay_alu instid0(VALU_DEP_2)
	v_dual_mov_b32 v1, v5 :: v_dual_mov_b32 v2, v6
; %bb.123:
	s_or_b32 exec_lo, exec_lo, s1
.LBB221_124:
	s_delay_alu instid0(SALU_CYCLE_1)
	s_or_b32 exec_lo, exec_lo, s0
.LBB221_125:
	s_and_not1_saveexec_b32 s0, s12
; %bb.126:
	s_delay_alu instid0(VALU_DEP_1) | instskip(NEXT) | instid1(VALU_DEP_1)
	v_add_f64 v[3:4], v[3:4], -v[3:4]
	v_div_scale_f64 v[5:6], vcc_lo, v[3:4], v[3:4], v[3:4]
	s_delay_alu instid0(VALU_DEP_1) | instskip(SKIP_2) | instid1(VALU_DEP_1)
	v_rcp_f64_e32 v[9:10], v[5:6]
	s_waitcnt_depctr 0xfff
	v_fma_f64 v[19:20], -v[5:6], v[9:10], 1.0
	v_fma_f64 v[9:10], v[9:10], v[19:20], v[9:10]
	s_delay_alu instid0(VALU_DEP_1) | instskip(NEXT) | instid1(VALU_DEP_1)
	v_fma_f64 v[19:20], -v[5:6], v[9:10], 1.0
	v_fma_f64 v[9:10], v[9:10], v[19:20], v[9:10]
	s_delay_alu instid0(VALU_DEP_1) | instskip(NEXT) | instid1(VALU_DEP_1)
	v_mul_f64 v[19:20], v[5:6], v[9:10]
	v_fma_f64 v[5:6], -v[5:6], v[19:20], v[5:6]
	s_delay_alu instid0(VALU_DEP_1) | instskip(NEXT) | instid1(VALU_DEP_1)
	v_div_fmas_f64 v[5:6], v[5:6], v[9:10], v[19:20]
	v_div_fixup_f64 v[3:4], v[5:6], v[3:4], v[3:4]
; %bb.127:
	s_or_b32 exec_lo, exec_lo, s0
	v_dual_mov_b32 v10, v2 :: v_dual_mov_b32 v9, v1
.LBB221_128:
	s_or_b32 exec_lo, exec_lo, s11
.LBB221_129:
	s_delay_alu instid0(SALU_CYCLE_1) | instskip(SKIP_3) | instid1(VALU_DEP_1)
	s_or_b32 exec_lo, exec_lo, s9
	s_add_u32 s2, s4, s2
	s_addc_u32 s3, s5, s3
	v_add_co_u32 v1, s0, s2, v25
	v_add_co_ci_u32_e64 v2, null, s3, 0, s0
	v_dual_mov_b32 v23, v11 :: v_dual_mov_b32 v24, v12
	s_delay_alu instid0(VALU_DEP_3)
	v_add_co_u32 v1, vcc_lo, 0x2000, v1
	v_dual_mov_b32 v19, v15 :: v_dual_mov_b32 v20, v16
	v_dual_mov_b32 v15, v7 :: v_dual_mov_b32 v16, v8
	v_add_co_ci_u32_e32 v2, vcc_lo, 0, v2, vcc_lo
	v_dual_mov_b32 v11, v3 :: v_dual_mov_b32 v12, v4
	s_mov_b32 s0, 0
	s_clause 0x3
	global_store_b128 v25, v[21:24], s[2:3]
	global_store_b128 v25, v[17:20], s[2:3] offset:16
	global_store_b128 v[1:2], v[13:16], off
	global_store_b128 v[1:2], v[9:12], off offset:16
.LBB221_130:
	s_and_b32 vcc_lo, exec_lo, s0
	s_cbranch_vccz .LBB221_283
; %bb.131:
	v_mov_b32_e32 v17, 0
	v_dual_mov_b32 v18, 0 :: v_dual_mov_b32 v5, v0
	v_cmp_gt_i32_e64 s0, s10, v0
	v_or_b32_e32 v25, s8, v0
	v_or_b32_e32 v27, 0x100, v0
	s_delay_alu instid0(VALU_DEP_4)
	v_dual_mov_b32 v22, v18 :: v_dual_mov_b32 v21, v17
	v_dual_mov_b32 v24, v18 :: v_dual_mov_b32 v23, v17
	s_and_saveexec_b32 s1, s0
	s_cbranch_execz .LBB221_133
; %bb.132:
	v_mov_b32_e32 v26, 0
	v_or_b32_e32 v5, 0x100, v0
	s_delay_alu instid0(VALU_DEP_2) | instskip(NEXT) | instid1(VALU_DEP_1)
	v_lshlrev_b64 v[1:2], 4, v[25:26]
	v_add_co_u32 v1, vcc_lo, s6, v1
	s_delay_alu instid0(VALU_DEP_2)
	v_add_co_ci_u32_e32 v2, vcc_lo, s7, v2, vcc_lo
	global_load_b128 v[21:24], v[1:2], off
.LBB221_133:
	s_or_b32 exec_lo, exec_lo, s1
	v_dual_mov_b32 v20, v18 :: v_dual_mov_b32 v19, v17
	s_mov_b32 s1, exec_lo
	v_cmpx_gt_i32_e64 s10, v5
	s_cbranch_execz .LBB221_135
; %bb.134:
	v_dual_mov_b32 v2, 0 :: v_dual_add_nc_u32 v1, s8, v5
	v_add_nc_u32_e32 v5, 0x100, v5
	s_delay_alu instid0(VALU_DEP_2) | instskip(NEXT) | instid1(VALU_DEP_1)
	v_lshlrev_b64 v[1:2], 4, v[1:2]
	v_add_co_u32 v1, vcc_lo, s6, v1
	s_delay_alu instid0(VALU_DEP_2)
	v_add_co_ci_u32_e32 v2, vcc_lo, s7, v2, vcc_lo
	global_load_b128 v[17:20], v[1:2], off
.LBB221_135:
	s_or_b32 exec_lo, exec_lo, s1
	v_mov_b32_e32 v1, 0
	v_mov_b32_e32 v2, 0
	s_mov_b32 s1, exec_lo
	s_delay_alu instid0(VALU_DEP_1)
	v_dual_mov_b32 v14, v2 :: v_dual_mov_b32 v13, v1
	v_dual_mov_b32 v16, v2 :: v_dual_mov_b32 v15, v1
	v_cmpx_gt_i32_e64 s10, v5
	s_cbranch_execz .LBB221_137
; %bb.136:
	v_dual_mov_b32 v4, 0 :: v_dual_add_nc_u32 v3, s8, v5
	v_add_nc_u32_e32 v5, 0x100, v5
	s_delay_alu instid0(VALU_DEP_2) | instskip(NEXT) | instid1(VALU_DEP_1)
	v_lshlrev_b64 v[3:4], 4, v[3:4]
	v_add_co_u32 v3, vcc_lo, s6, v3
	s_delay_alu instid0(VALU_DEP_2)
	v_add_co_ci_u32_e32 v4, vcc_lo, s7, v4, vcc_lo
	global_load_b128 v[13:16], v[3:4], off
.LBB221_137:
	s_or_b32 exec_lo, exec_lo, s1
	v_dual_mov_b32 v4, v2 :: v_dual_mov_b32 v3, v1
	s_mov_b32 s1, exec_lo
	v_cmpx_gt_i32_e64 s10, v5
	s_cbranch_execz .LBB221_139
; %bb.138:
	v_dual_mov_b32 v2, 0 :: v_dual_add_nc_u32 v1, s8, v5
	s_delay_alu instid0(VALU_DEP_1) | instskip(NEXT) | instid1(VALU_DEP_1)
	v_lshlrev_b64 v[1:2], 4, v[1:2]
	v_add_co_u32 v1, vcc_lo, s6, v1
	s_delay_alu instid0(VALU_DEP_2)
	v_add_co_ci_u32_e32 v2, vcc_lo, s7, v2, vcc_lo
	global_load_b128 v[1:4], v[1:2], off
.LBB221_139:
	s_or_b32 exec_lo, exec_lo, s1
	v_mov_b32_e32 v7, 0
	v_mov_b32_e32 v8, 0
	s_delay_alu instid0(VALU_DEP_1)
	v_dual_mov_b32 v12, v8 :: v_dual_mov_b32 v11, v7
	v_dual_mov_b32 v10, v8 :: v_dual_mov_b32 v9, v7
	s_and_saveexec_b32 s3, s0
	s_cbranch_execz .LBB221_173
; %bb.140:
	s_waitcnt vmcnt(0)
	v_cmp_neq_f64_e32 vcc_lo, 0, v[21:22]
	v_cmp_neq_f64_e64 s1, 0, v[23:24]
	v_mov_b32_e32 v9, 0
	v_mov_b32_e32 v10, 0
	s_delay_alu instid0(VALU_DEP_3) | instskip(NEXT) | instid1(SALU_CYCLE_1)
	s_or_b32 s1, vcc_lo, s1
	s_and_saveexec_b32 s6, s1
	s_cbranch_execz .LBB221_172
; %bb.141:
	s_mov_b32 s12, 0
	s_mov_b32 s13, 0x7ff00000
	v_mov_b32_e32 v9, s12
	v_mov_b32_e32 v10, s13
	s_mov_b32 s7, exec_lo
	v_cmpx_neq_f64_e64 0x7ff00000, |v[23:24]|
	s_cbranch_execz .LBB221_171
; %bb.142:
	s_mov_b32 s1, exec_lo
	v_cmpx_o_f64_e32 v[21:22], v[21:22]
	s_xor_b32 s9, exec_lo, s1
	s_cbranch_execz .LBB221_168
; %bb.143:
	s_mov_b32 s2, exec_lo
	v_cmpx_neq_f64_e64 0x7ff00000, |v[21:22]|
	s_xor_b32 s11, exec_lo, s2
	s_cbranch_execz .LBB221_161
; %bb.144:
	v_max_f64 v[5:6], |v[23:24]|, |v[23:24]|
	v_max_f64 v[9:10], |v[21:22]|, |v[21:22]|
	s_mov_b32 s12, 0x99fcef32
	s_mov_b32 s13, 0x7fda8279
	s_delay_alu instid0(VALU_DEP_1) | instskip(NEXT) | instid1(VALU_DEP_1)
	v_max_f64 v[5:6], v[9:10], v[5:6]
	v_cmp_nle_f64_e64 s1, s[12:13], v[5:6]
                                        ; implicit-def: $sgpr12
	s_delay_alu instid0(VALU_DEP_1) | instskip(NEXT) | instid1(SALU_CYCLE_1)
	s_and_saveexec_b32 s2, s1
	s_xor_b32 s2, exec_lo, s2
	s_cbranch_execz .LBB221_148
; %bb.145:
	v_cmp_ge_f64_e64 s12, 0x200000, |v[21:22]|
	v_cmp_ge_f64_e64 s13, 0x200000, |v[23:24]|
	s_delay_alu instid0(VALU_DEP_1)
	s_and_b32 s14, s12, s13
	s_mov_b32 s12, 0
	s_and_saveexec_b32 s13, s14
; %bb.146:
	v_mul_f64 v[21:22], v[21:22], 4.0
	v_mul_f64 v[23:24], v[23:24], 4.0
	s_mov_b32 s12, exec_lo
; %bb.147:
	s_or_b32 exec_lo, exec_lo, s13
	s_delay_alu instid0(SALU_CYCLE_1)
	s_and_b32 s12, s12, exec_lo
.LBB221_148:
	s_and_not1_saveexec_b32 s2, s2
; %bb.149:
	s_delay_alu instid0(VALU_DEP_2) | instskip(NEXT) | instid1(VALU_DEP_2)
	v_ldexp_f64 v[21:22], v[21:22], -2
	v_ldexp_f64 v[23:24], v[23:24], -2
	s_and_not1_b32 s12, s12, exec_lo
; %bb.150:
	s_or_b32 exec_lo, exec_lo, s2
	s_delay_alu instid0(VALU_DEP_1) | instskip(NEXT) | instid1(VALU_DEP_3)
	v_max_f64 v[5:6], |v[23:24]|, |v[23:24]|
	v_max_f64 v[9:10], |v[21:22]|, |v[21:22]|
	v_cmp_class_f64_e64 s13, v[21:22], 0x204
	v_cmp_class_f64_e64 s14, v[23:24], 0x204
	v_cmp_le_f64_e64 s2, 0, v[21:22]
	s_delay_alu instid0(VALU_DEP_4) | instskip(NEXT) | instid1(VALU_DEP_3)
	v_max_f64 v[5:6], v[9:10], v[5:6]
	s_or_b32 s13, s14, s13
	s_delay_alu instid0(VALU_DEP_1) | instskip(NEXT) | instid1(VALU_DEP_1)
	v_frexp_exp_i32_f64_e32 v26, v[5:6]
	v_sub_nc_u32_e32 v9, 0, v26
	s_delay_alu instid0(VALU_DEP_1) | instskip(SKIP_1) | instid1(VALU_DEP_2)
	v_ldexp_f64 v[5:6], |v[23:24]|, v9
	v_ldexp_f64 v[9:10], |v[21:22]|, v9
	v_mul_f64 v[5:6], v[5:6], v[5:6]
	s_delay_alu instid0(VALU_DEP_1) | instskip(NEXT) | instid1(VALU_DEP_1)
	v_fma_f64 v[5:6], v[9:10], v[9:10], v[5:6]
	v_rsq_f64_e32 v[9:10], v[5:6]
	v_cmp_eq_f64_e32 vcc_lo, 0, v[5:6]
	s_waitcnt_depctr 0xfff
	v_mul_f64 v[11:12], v[5:6], v[9:10]
	v_mul_f64 v[9:10], v[9:10], 0.5
	s_delay_alu instid0(VALU_DEP_1) | instskip(NEXT) | instid1(VALU_DEP_1)
	v_fma_f64 v[28:29], -v[9:10], v[11:12], 0.5
	v_fma_f64 v[11:12], v[11:12], v[28:29], v[11:12]
	v_fma_f64 v[9:10], v[9:10], v[28:29], v[9:10]
	s_delay_alu instid0(VALU_DEP_2) | instskip(NEXT) | instid1(VALU_DEP_1)
	v_fma_f64 v[28:29], -v[11:12], v[11:12], v[5:6]
	v_fma_f64 v[9:10], v[28:29], v[9:10], v[11:12]
	s_delay_alu instid0(VALU_DEP_1) | instskip(SKIP_1) | instid1(VALU_DEP_2)
	v_dual_cndmask_b32 v6, v10, v6 :: v_dual_cndmask_b32 v5, v9, v5
	v_cmp_o_f64_e32 vcc_lo, v[23:24], v[23:24]
	v_ldexp_f64 v[5:6], v[5:6], v26
	s_delay_alu instid0(VALU_DEP_1) | instskip(NEXT) | instid1(VALU_DEP_2)
	v_cndmask_b32_e32 v5, 0, v5, vcc_lo
	v_cndmask_b32_e32 v6, 0x7ff80000, v6, vcc_lo
	s_delay_alu instid0(VALU_DEP_2) | instskip(NEXT) | instid1(VALU_DEP_2)
	v_cndmask_b32_e64 v5, v5, 0, s13
	v_cndmask_b32_e64 v6, v6, 0x7ff00000, s13
	s_and_saveexec_b32 s13, s2
	s_delay_alu instid0(SALU_CYCLE_1)
	s_xor_b32 s2, exec_lo, s13
	s_cbranch_execz .LBB221_156
; %bb.151:
	s_delay_alu instid0(VALU_DEP_1) | instskip(NEXT) | instid1(VALU_DEP_1)
	v_add_f64 v[5:6], v[21:22], v[5:6]
	v_mul_f64 v[5:6], v[5:6], 0.5
	s_delay_alu instid0(VALU_DEP_1) | instskip(SKIP_1) | instid1(VALU_DEP_1)
	v_cmp_gt_f64_e32 vcc_lo, 0x10000000, v[5:6]
	v_cndmask_b32_e64 v9, 0, 1, vcc_lo
	v_lshlrev_b32_e32 v9, 8, v9
	s_delay_alu instid0(VALU_DEP_1) | instskip(NEXT) | instid1(VALU_DEP_1)
	v_ldexp_f64 v[5:6], v[5:6], v9
	v_rsq_f64_e32 v[9:10], v[5:6]
	s_waitcnt_depctr 0xfff
	v_mul_f64 v[11:12], v[5:6], v[9:10]
	v_mul_f64 v[9:10], v[9:10], 0.5
	s_delay_alu instid0(VALU_DEP_1) | instskip(NEXT) | instid1(VALU_DEP_1)
	v_fma_f64 v[21:22], -v[9:10], v[11:12], 0.5
	v_fma_f64 v[11:12], v[11:12], v[21:22], v[11:12]
	v_fma_f64 v[9:10], v[9:10], v[21:22], v[9:10]
	s_delay_alu instid0(VALU_DEP_2) | instskip(NEXT) | instid1(VALU_DEP_1)
	v_fma_f64 v[21:22], -v[11:12], v[11:12], v[5:6]
	v_fma_f64 v[11:12], v[21:22], v[9:10], v[11:12]
	s_delay_alu instid0(VALU_DEP_1) | instskip(NEXT) | instid1(VALU_DEP_1)
	v_fma_f64 v[21:22], -v[11:12], v[11:12], v[5:6]
	v_fma_f64 v[9:10], v[21:22], v[9:10], v[11:12]
	v_cndmask_b32_e64 v11, 0, 0xffffff80, vcc_lo
	v_cmp_class_f64_e64 vcc_lo, v[5:6], 0x260
	s_delay_alu instid0(VALU_DEP_2) | instskip(NEXT) | instid1(VALU_DEP_1)
	v_ldexp_f64 v[9:10], v[9:10], v11
	v_dual_cndmask_b32 v22, v10, v6 :: v_dual_cndmask_b32 v21, v9, v5
	s_delay_alu instid0(VALU_DEP_1) | instskip(NEXT) | instid1(VALU_DEP_1)
	v_add_f64 v[5:6], v[21:22], v[21:22]
	v_div_scale_f64 v[9:10], null, v[5:6], v[5:6], v[23:24]
	s_delay_alu instid0(VALU_DEP_1) | instskip(SKIP_2) | instid1(VALU_DEP_1)
	v_rcp_f64_e32 v[11:12], v[9:10]
	s_waitcnt_depctr 0xfff
	v_fma_f64 v[28:29], -v[9:10], v[11:12], 1.0
	v_fma_f64 v[11:12], v[11:12], v[28:29], v[11:12]
	s_delay_alu instid0(VALU_DEP_1) | instskip(NEXT) | instid1(VALU_DEP_1)
	v_fma_f64 v[28:29], -v[9:10], v[11:12], 1.0
	v_fma_f64 v[11:12], v[11:12], v[28:29], v[11:12]
	v_div_scale_f64 v[28:29], vcc_lo, v[23:24], v[5:6], v[23:24]
	s_delay_alu instid0(VALU_DEP_1) | instskip(NEXT) | instid1(VALU_DEP_1)
	v_mul_f64 v[30:31], v[28:29], v[11:12]
	v_fma_f64 v[9:10], -v[9:10], v[30:31], v[28:29]
	s_delay_alu instid0(VALU_DEP_1) | instskip(NEXT) | instid1(VALU_DEP_1)
	v_div_fmas_f64 v[9:10], v[9:10], v[11:12], v[30:31]
	v_div_fixup_f64 v[23:24], v[9:10], v[5:6], v[23:24]
                                        ; implicit-def: $vgpr5_vgpr6
	s_and_not1_saveexec_b32 s2, s2
	s_cbranch_execnz .LBB221_157
.LBB221_152:
	s_or_b32 exec_lo, exec_lo, s2
	s_and_saveexec_b32 s2, s1
	s_delay_alu instid0(SALU_CYCLE_1)
	s_xor_b32 s1, exec_lo, s2
	s_cbranch_execz .LBB221_158
.LBB221_153:
	s_and_saveexec_b32 s2, s12
; %bb.154:
	s_delay_alu instid0(VALU_DEP_2) | instskip(NEXT) | instid1(VALU_DEP_2)
	v_mul_f64 v[21:22], v[21:22], 0.5
	v_mul_f64 v[23:24], v[23:24], 0.5
; %bb.155:
	s_or_b32 exec_lo, exec_lo, s2
	s_and_not1_saveexec_b32 s1, s1
	s_cbranch_execnz .LBB221_159
	s_branch .LBB221_160
.LBB221_156:
	s_and_not1_saveexec_b32 s2, s2
	s_cbranch_execz .LBB221_152
.LBB221_157:
	v_add_f64 v[5:6], v[5:6], -v[21:22]
	s_delay_alu instid0(VALU_DEP_1) | instskip(NEXT) | instid1(VALU_DEP_1)
	v_mul_f64 v[5:6], v[5:6], 0.5
	v_cmp_gt_f64_e32 vcc_lo, 0x10000000, v[5:6]
	v_cndmask_b32_e64 v9, 0, 1, vcc_lo
	s_delay_alu instid0(VALU_DEP_1) | instskip(NEXT) | instid1(VALU_DEP_1)
	v_lshlrev_b32_e32 v9, 8, v9
	v_ldexp_f64 v[5:6], v[5:6], v9
	s_delay_alu instid0(VALU_DEP_1) | instskip(SKIP_3) | instid1(VALU_DEP_1)
	v_rsq_f64_e32 v[9:10], v[5:6]
	s_waitcnt_depctr 0xfff
	v_mul_f64 v[11:12], v[5:6], v[9:10]
	v_mul_f64 v[9:10], v[9:10], 0.5
	v_fma_f64 v[21:22], -v[9:10], v[11:12], 0.5
	s_delay_alu instid0(VALU_DEP_1) | instskip(SKIP_1) | instid1(VALU_DEP_2)
	v_fma_f64 v[11:12], v[11:12], v[21:22], v[11:12]
	v_fma_f64 v[9:10], v[9:10], v[21:22], v[9:10]
	v_fma_f64 v[21:22], -v[11:12], v[11:12], v[5:6]
	s_delay_alu instid0(VALU_DEP_1) | instskip(NEXT) | instid1(VALU_DEP_1)
	v_fma_f64 v[11:12], v[21:22], v[9:10], v[11:12]
	v_fma_f64 v[21:22], -v[11:12], v[11:12], v[5:6]
	s_delay_alu instid0(VALU_DEP_1) | instskip(SKIP_3) | instid1(VALU_DEP_3)
	v_fma_f64 v[9:10], v[21:22], v[9:10], v[11:12]
	v_cndmask_b32_e64 v11, 0, 0xffffff80, vcc_lo
	v_cmp_class_f64_e64 vcc_lo, v[5:6], 0x260
	v_and_b32_e32 v12, 0x7fffffff, v24
	v_ldexp_f64 v[9:10], v[9:10], v11
	s_delay_alu instid0(VALU_DEP_1) | instskip(NEXT) | instid1(VALU_DEP_1)
	v_dual_cndmask_b32 v6, v10, v6 :: v_dual_cndmask_b32 v5, v9, v5
	v_add_f64 v[9:10], v[5:6], v[5:6]
	v_bfi_b32 v6, 0x7fffffff, v6, v24
	v_mov_b32_e32 v11, v23
	s_delay_alu instid0(VALU_DEP_1) | instskip(SKIP_1) | instid1(VALU_DEP_2)
	v_div_scale_f64 v[21:22], null, v[9:10], v[9:10], v[11:12]
	v_div_scale_f64 v[11:12], vcc_lo, v[11:12], v[9:10], v[11:12]
	v_rcp_f64_e32 v[28:29], v[21:22]
	s_waitcnt_depctr 0xfff
	v_fma_f64 v[30:31], -v[21:22], v[28:29], 1.0
	s_delay_alu instid0(VALU_DEP_1) | instskip(NEXT) | instid1(VALU_DEP_1)
	v_fma_f64 v[28:29], v[28:29], v[30:31], v[28:29]
	v_fma_f64 v[30:31], -v[21:22], v[28:29], 1.0
	s_delay_alu instid0(VALU_DEP_1) | instskip(NEXT) | instid1(VALU_DEP_1)
	v_fma_f64 v[28:29], v[28:29], v[30:31], v[28:29]
	v_mul_f64 v[30:31], v[11:12], v[28:29]
	s_delay_alu instid0(VALU_DEP_1) | instskip(NEXT) | instid1(VALU_DEP_1)
	v_fma_f64 v[11:12], -v[21:22], v[30:31], v[11:12]
	v_div_fmas_f64 v[11:12], v[11:12], v[28:29], v[30:31]
	s_delay_alu instid0(VALU_DEP_1) | instskip(SKIP_3) | instid1(SALU_CYCLE_1)
	v_div_fixup_f64 v[21:22], v[11:12], v[9:10], |v[23:24]|
	v_dual_mov_b32 v24, v6 :: v_dual_mov_b32 v23, v5
	s_or_b32 exec_lo, exec_lo, s2
	s_and_saveexec_b32 s2, s1
	s_xor_b32 s1, exec_lo, s2
	s_cbranch_execnz .LBB221_153
.LBB221_158:
	s_and_not1_saveexec_b32 s1, s1
.LBB221_159:
	s_delay_alu instid0(VALU_DEP_2) | instskip(NEXT) | instid1(VALU_DEP_2)
	v_add_f64 v[21:22], v[21:22], v[21:22]
	v_add_f64 v[23:24], v[23:24], v[23:24]
.LBB221_160:
	s_or_b32 exec_lo, exec_lo, s1
.LBB221_161:
	s_and_not1_saveexec_b32 s1, s11
	s_cbranch_execz .LBB221_167
; %bb.162:
	s_delay_alu instid0(VALU_DEP_1) | instskip(SKIP_1) | instid1(VALU_DEP_3)
	v_add_f64 v[5:6], v[23:24], -v[23:24]
	s_mov_b32 s2, exec_lo
	v_cmpx_lt_i64_e32 -1, v[21:22]
	s_xor_b32 s2, exec_lo, s2
; %bb.163:
	s_delay_alu instid0(VALU_DEP_2) | instskip(NEXT) | instid1(VALU_DEP_1)
	v_bfi_b32 v6, 0x7fffffff, v6, v24
	v_dual_mov_b32 v24, v6 :: v_dual_mov_b32 v23, v5
                                        ; implicit-def: $vgpr5_vgpr6
; %bb.164:
	s_and_not1_saveexec_b32 s2, s2
; %bb.165:
	s_delay_alu instid0(VALU_DEP_1) | instskip(SKIP_1) | instid1(VALU_DEP_2)
	v_bfi_b32 v22, 0x7fffffff, v22, v24
	v_and_b32_e32 v6, 0x7fffffff, v6
	v_dual_mov_b32 v24, v22 :: v_dual_mov_b32 v23, v21
	s_delay_alu instid0(VALU_DEP_2)
	v_dual_mov_b32 v22, v6 :: v_dual_mov_b32 v21, v5
; %bb.166:
	s_or_b32 exec_lo, exec_lo, s2
.LBB221_167:
	s_delay_alu instid0(SALU_CYCLE_1)
	s_or_b32 exec_lo, exec_lo, s1
.LBB221_168:
	s_and_not1_saveexec_b32 s1, s9
; %bb.169:
	s_delay_alu instid0(VALU_DEP_1) | instskip(NEXT) | instid1(VALU_DEP_1)
	v_add_f64 v[5:6], v[23:24], -v[23:24]
	v_div_scale_f64 v[9:10], vcc_lo, v[5:6], v[5:6], v[5:6]
	s_delay_alu instid0(VALU_DEP_1) | instskip(SKIP_2) | instid1(VALU_DEP_1)
	v_rcp_f64_e32 v[11:12], v[9:10]
	s_waitcnt_depctr 0xfff
	v_fma_f64 v[23:24], -v[9:10], v[11:12], 1.0
	v_fma_f64 v[11:12], v[11:12], v[23:24], v[11:12]
	s_delay_alu instid0(VALU_DEP_1) | instskip(NEXT) | instid1(VALU_DEP_1)
	v_fma_f64 v[23:24], -v[9:10], v[11:12], 1.0
	v_fma_f64 v[11:12], v[11:12], v[23:24], v[11:12]
	s_delay_alu instid0(VALU_DEP_1) | instskip(NEXT) | instid1(VALU_DEP_1)
	v_mul_f64 v[23:24], v[9:10], v[11:12]
	v_fma_f64 v[9:10], -v[9:10], v[23:24], v[9:10]
	s_delay_alu instid0(VALU_DEP_1) | instskip(NEXT) | instid1(VALU_DEP_1)
	v_div_fmas_f64 v[9:10], v[9:10], v[11:12], v[23:24]
	v_div_fixup_f64 v[23:24], v[9:10], v[5:6], v[5:6]
; %bb.170:
	s_or_b32 exec_lo, exec_lo, s1
	v_dual_mov_b32 v9, v21 :: v_dual_mov_b32 v10, v22
.LBB221_171:
	s_or_b32 exec_lo, exec_lo, s7
.LBB221_172:
	s_delay_alu instid0(SALU_CYCLE_1) | instskip(NEXT) | instid1(VALU_DEP_2)
	s_or_b32 exec_lo, exec_lo, s6
	v_dual_mov_b32 v11, v23 :: v_dual_mov_b32 v12, v24
.LBB221_173:
	s_or_b32 exec_lo, exec_lo, s3
	v_dual_mov_b32 v5, v7 :: v_dual_mov_b32 v6, v8
	s_mov_b32 s3, exec_lo
	v_cmpx_gt_i32_e64 s10, v27
	s_cbranch_execz .LBB221_207
; %bb.174:
	s_waitcnt vmcnt(0)
	v_cmp_neq_f64_e32 vcc_lo, 0, v[17:18]
	v_cmp_neq_f64_e64 s1, 0, v[19:20]
	v_mov_b32_e32 v5, 0
	v_mov_b32_e32 v6, 0
	s_delay_alu instid0(VALU_DEP_3) | instskip(NEXT) | instid1(SALU_CYCLE_1)
	s_or_b32 s1, vcc_lo, s1
	s_and_saveexec_b32 s6, s1
	s_cbranch_execz .LBB221_206
; %bb.175:
	s_mov_b32 s12, 0
	s_mov_b32 s13, 0x7ff00000
	v_mov_b32_e32 v5, s12
	v_mov_b32_e32 v6, s13
	s_mov_b32 s7, exec_lo
	v_cmpx_neq_f64_e64 0x7ff00000, |v[19:20]|
	s_cbranch_execz .LBB221_205
; %bb.176:
	s_mov_b32 s1, exec_lo
	v_cmpx_o_f64_e32 v[17:18], v[17:18]
	s_xor_b32 s9, exec_lo, s1
	s_cbranch_execz .LBB221_202
; %bb.177:
	s_mov_b32 s2, exec_lo
	v_cmpx_neq_f64_e64 0x7ff00000, |v[17:18]|
	s_xor_b32 s11, exec_lo, s2
	s_cbranch_execz .LBB221_195
; %bb.178:
	v_max_f64 v[5:6], |v[19:20]|, |v[19:20]|
	v_max_f64 v[7:8], |v[17:18]|, |v[17:18]|
	s_mov_b32 s12, 0x99fcef32
	s_mov_b32 s13, 0x7fda8279
	s_delay_alu instid0(VALU_DEP_1) | instskip(NEXT) | instid1(VALU_DEP_1)
	v_max_f64 v[5:6], v[7:8], v[5:6]
	v_cmp_nle_f64_e64 s1, s[12:13], v[5:6]
                                        ; implicit-def: $sgpr12
	s_delay_alu instid0(VALU_DEP_1) | instskip(NEXT) | instid1(SALU_CYCLE_1)
	s_and_saveexec_b32 s2, s1
	s_xor_b32 s2, exec_lo, s2
	s_cbranch_execz .LBB221_182
; %bb.179:
	v_cmp_ge_f64_e64 s12, 0x200000, |v[17:18]|
	v_cmp_ge_f64_e64 s13, 0x200000, |v[19:20]|
	s_delay_alu instid0(VALU_DEP_1)
	s_and_b32 s14, s12, s13
	s_mov_b32 s12, 0
	s_and_saveexec_b32 s13, s14
; %bb.180:
	v_mul_f64 v[17:18], v[17:18], 4.0
	v_mul_f64 v[19:20], v[19:20], 4.0
	s_mov_b32 s12, exec_lo
; %bb.181:
	s_or_b32 exec_lo, exec_lo, s13
	s_delay_alu instid0(SALU_CYCLE_1)
	s_and_b32 s12, s12, exec_lo
.LBB221_182:
	s_and_not1_saveexec_b32 s2, s2
; %bb.183:
	s_delay_alu instid0(VALU_DEP_2) | instskip(NEXT) | instid1(VALU_DEP_2)
	v_ldexp_f64 v[17:18], v[17:18], -2
	v_ldexp_f64 v[19:20], v[19:20], -2
	s_and_not1_b32 s12, s12, exec_lo
; %bb.184:
	s_or_b32 exec_lo, exec_lo, s2
	s_delay_alu instid0(VALU_DEP_1) | instskip(NEXT) | instid1(VALU_DEP_3)
	v_max_f64 v[5:6], |v[19:20]|, |v[19:20]|
	v_max_f64 v[7:8], |v[17:18]|, |v[17:18]|
	v_cmp_class_f64_e64 s13, v[17:18], 0x204
	v_cmp_class_f64_e64 s14, v[19:20], 0x204
	v_cmp_le_f64_e64 s2, 0, v[17:18]
	s_delay_alu instid0(VALU_DEP_4) | instskip(NEXT) | instid1(VALU_DEP_3)
	v_max_f64 v[5:6], v[7:8], v[5:6]
	s_or_b32 s13, s14, s13
	s_delay_alu instid0(VALU_DEP_1) | instskip(NEXT) | instid1(VALU_DEP_1)
	v_frexp_exp_i32_f64_e32 v26, v[5:6]
	v_sub_nc_u32_e32 v7, 0, v26
	s_delay_alu instid0(VALU_DEP_1) | instskip(SKIP_1) | instid1(VALU_DEP_2)
	v_ldexp_f64 v[5:6], |v[19:20]|, v7
	v_ldexp_f64 v[7:8], |v[17:18]|, v7
	v_mul_f64 v[5:6], v[5:6], v[5:6]
	s_delay_alu instid0(VALU_DEP_1) | instskip(NEXT) | instid1(VALU_DEP_1)
	v_fma_f64 v[5:6], v[7:8], v[7:8], v[5:6]
	v_rsq_f64_e32 v[7:8], v[5:6]
	v_cmp_eq_f64_e32 vcc_lo, 0, v[5:6]
	s_waitcnt_depctr 0xfff
	v_mul_f64 v[21:22], v[5:6], v[7:8]
	v_mul_f64 v[7:8], v[7:8], 0.5
	s_delay_alu instid0(VALU_DEP_1) | instskip(NEXT) | instid1(VALU_DEP_1)
	v_fma_f64 v[23:24], -v[7:8], v[21:22], 0.5
	v_fma_f64 v[21:22], v[21:22], v[23:24], v[21:22]
	v_fma_f64 v[7:8], v[7:8], v[23:24], v[7:8]
	s_delay_alu instid0(VALU_DEP_2) | instskip(NEXT) | instid1(VALU_DEP_1)
	v_fma_f64 v[23:24], -v[21:22], v[21:22], v[5:6]
	v_fma_f64 v[7:8], v[23:24], v[7:8], v[21:22]
	s_delay_alu instid0(VALU_DEP_1) | instskip(SKIP_1) | instid1(VALU_DEP_2)
	v_dual_cndmask_b32 v6, v8, v6 :: v_dual_cndmask_b32 v5, v7, v5
	v_cmp_o_f64_e32 vcc_lo, v[19:20], v[19:20]
	v_ldexp_f64 v[5:6], v[5:6], v26
	s_delay_alu instid0(VALU_DEP_1) | instskip(NEXT) | instid1(VALU_DEP_2)
	v_cndmask_b32_e32 v5, 0, v5, vcc_lo
	v_cndmask_b32_e32 v6, 0x7ff80000, v6, vcc_lo
	s_delay_alu instid0(VALU_DEP_2) | instskip(NEXT) | instid1(VALU_DEP_2)
	v_cndmask_b32_e64 v5, v5, 0, s13
	v_cndmask_b32_e64 v6, v6, 0x7ff00000, s13
	s_and_saveexec_b32 s13, s2
	s_delay_alu instid0(SALU_CYCLE_1)
	s_xor_b32 s2, exec_lo, s13
	s_cbranch_execz .LBB221_190
; %bb.185:
	s_delay_alu instid0(VALU_DEP_1) | instskip(NEXT) | instid1(VALU_DEP_1)
	v_add_f64 v[5:6], v[17:18], v[5:6]
	v_mul_f64 v[5:6], v[5:6], 0.5
	s_delay_alu instid0(VALU_DEP_1) | instskip(SKIP_1) | instid1(VALU_DEP_1)
	v_cmp_gt_f64_e32 vcc_lo, 0x10000000, v[5:6]
	v_cndmask_b32_e64 v7, 0, 1, vcc_lo
	v_lshlrev_b32_e32 v7, 8, v7
	s_delay_alu instid0(VALU_DEP_1) | instskip(NEXT) | instid1(VALU_DEP_1)
	v_ldexp_f64 v[5:6], v[5:6], v7
	v_rsq_f64_e32 v[7:8], v[5:6]
	s_waitcnt_depctr 0xfff
	v_mul_f64 v[17:18], v[5:6], v[7:8]
	v_mul_f64 v[7:8], v[7:8], 0.5
	s_delay_alu instid0(VALU_DEP_1) | instskip(NEXT) | instid1(VALU_DEP_1)
	v_fma_f64 v[21:22], -v[7:8], v[17:18], 0.5
	v_fma_f64 v[17:18], v[17:18], v[21:22], v[17:18]
	v_fma_f64 v[7:8], v[7:8], v[21:22], v[7:8]
	s_delay_alu instid0(VALU_DEP_2) | instskip(NEXT) | instid1(VALU_DEP_1)
	v_fma_f64 v[21:22], -v[17:18], v[17:18], v[5:6]
	v_fma_f64 v[17:18], v[21:22], v[7:8], v[17:18]
	s_delay_alu instid0(VALU_DEP_1) | instskip(NEXT) | instid1(VALU_DEP_1)
	v_fma_f64 v[21:22], -v[17:18], v[17:18], v[5:6]
	v_fma_f64 v[7:8], v[21:22], v[7:8], v[17:18]
	v_cndmask_b32_e64 v17, 0, 0xffffff80, vcc_lo
	v_cmp_class_f64_e64 vcc_lo, v[5:6], 0x260
	s_delay_alu instid0(VALU_DEP_2) | instskip(NEXT) | instid1(VALU_DEP_1)
	v_ldexp_f64 v[7:8], v[7:8], v17
	v_dual_cndmask_b32 v18, v8, v6 :: v_dual_cndmask_b32 v17, v7, v5
	s_delay_alu instid0(VALU_DEP_1) | instskip(NEXT) | instid1(VALU_DEP_1)
	v_add_f64 v[5:6], v[17:18], v[17:18]
	v_div_scale_f64 v[7:8], null, v[5:6], v[5:6], v[19:20]
	s_delay_alu instid0(VALU_DEP_1) | instskip(SKIP_2) | instid1(VALU_DEP_1)
	v_rcp_f64_e32 v[21:22], v[7:8]
	s_waitcnt_depctr 0xfff
	v_fma_f64 v[23:24], -v[7:8], v[21:22], 1.0
	v_fma_f64 v[21:22], v[21:22], v[23:24], v[21:22]
	s_delay_alu instid0(VALU_DEP_1) | instskip(NEXT) | instid1(VALU_DEP_1)
	v_fma_f64 v[23:24], -v[7:8], v[21:22], 1.0
	v_fma_f64 v[21:22], v[21:22], v[23:24], v[21:22]
	v_div_scale_f64 v[23:24], vcc_lo, v[19:20], v[5:6], v[19:20]
	s_delay_alu instid0(VALU_DEP_1) | instskip(NEXT) | instid1(VALU_DEP_1)
	v_mul_f64 v[28:29], v[23:24], v[21:22]
	v_fma_f64 v[7:8], -v[7:8], v[28:29], v[23:24]
	s_delay_alu instid0(VALU_DEP_1) | instskip(NEXT) | instid1(VALU_DEP_1)
	v_div_fmas_f64 v[7:8], v[7:8], v[21:22], v[28:29]
	v_div_fixup_f64 v[19:20], v[7:8], v[5:6], v[19:20]
                                        ; implicit-def: $vgpr5_vgpr6
	s_and_not1_saveexec_b32 s2, s2
	s_cbranch_execnz .LBB221_191
.LBB221_186:
	s_or_b32 exec_lo, exec_lo, s2
	s_and_saveexec_b32 s2, s1
	s_delay_alu instid0(SALU_CYCLE_1)
	s_xor_b32 s1, exec_lo, s2
	s_cbranch_execz .LBB221_192
.LBB221_187:
	s_and_saveexec_b32 s2, s12
; %bb.188:
	s_delay_alu instid0(VALU_DEP_2) | instskip(NEXT) | instid1(VALU_DEP_2)
	v_mul_f64 v[17:18], v[17:18], 0.5
	v_mul_f64 v[19:20], v[19:20], 0.5
; %bb.189:
	s_or_b32 exec_lo, exec_lo, s2
	s_and_not1_saveexec_b32 s1, s1
	s_cbranch_execnz .LBB221_193
	s_branch .LBB221_194
.LBB221_190:
	s_and_not1_saveexec_b32 s2, s2
	s_cbranch_execz .LBB221_186
.LBB221_191:
	v_add_f64 v[5:6], v[5:6], -v[17:18]
	s_delay_alu instid0(VALU_DEP_1) | instskip(NEXT) | instid1(VALU_DEP_1)
	v_mul_f64 v[5:6], v[5:6], 0.5
	v_cmp_gt_f64_e32 vcc_lo, 0x10000000, v[5:6]
	v_cndmask_b32_e64 v7, 0, 1, vcc_lo
	s_delay_alu instid0(VALU_DEP_1) | instskip(NEXT) | instid1(VALU_DEP_1)
	v_lshlrev_b32_e32 v7, 8, v7
	v_ldexp_f64 v[5:6], v[5:6], v7
	s_delay_alu instid0(VALU_DEP_1) | instskip(SKIP_3) | instid1(VALU_DEP_1)
	v_rsq_f64_e32 v[7:8], v[5:6]
	s_waitcnt_depctr 0xfff
	v_mul_f64 v[17:18], v[5:6], v[7:8]
	v_mul_f64 v[7:8], v[7:8], 0.5
	v_fma_f64 v[21:22], -v[7:8], v[17:18], 0.5
	s_delay_alu instid0(VALU_DEP_1) | instskip(SKIP_1) | instid1(VALU_DEP_2)
	v_fma_f64 v[17:18], v[17:18], v[21:22], v[17:18]
	v_fma_f64 v[7:8], v[7:8], v[21:22], v[7:8]
	v_fma_f64 v[21:22], -v[17:18], v[17:18], v[5:6]
	s_delay_alu instid0(VALU_DEP_1) | instskip(NEXT) | instid1(VALU_DEP_1)
	v_fma_f64 v[17:18], v[21:22], v[7:8], v[17:18]
	v_fma_f64 v[21:22], -v[17:18], v[17:18], v[5:6]
	s_delay_alu instid0(VALU_DEP_1) | instskip(SKIP_3) | instid1(VALU_DEP_3)
	v_fma_f64 v[7:8], v[21:22], v[7:8], v[17:18]
	v_cndmask_b32_e64 v17, 0, 0xffffff80, vcc_lo
	v_cmp_class_f64_e64 vcc_lo, v[5:6], 0x260
	v_and_b32_e32 v18, 0x7fffffff, v20
	v_ldexp_f64 v[7:8], v[7:8], v17
	s_delay_alu instid0(VALU_DEP_1) | instskip(NEXT) | instid1(VALU_DEP_1)
	v_dual_cndmask_b32 v6, v8, v6 :: v_dual_cndmask_b32 v5, v7, v5
	v_add_f64 v[7:8], v[5:6], v[5:6]
	v_bfi_b32 v6, 0x7fffffff, v6, v20
	v_mov_b32_e32 v17, v19
	s_delay_alu instid0(VALU_DEP_1) | instskip(SKIP_1) | instid1(VALU_DEP_2)
	v_div_scale_f64 v[21:22], null, v[7:8], v[7:8], v[17:18]
	v_div_scale_f64 v[17:18], vcc_lo, v[17:18], v[7:8], v[17:18]
	v_rcp_f64_e32 v[23:24], v[21:22]
	s_waitcnt_depctr 0xfff
	v_fma_f64 v[28:29], -v[21:22], v[23:24], 1.0
	s_delay_alu instid0(VALU_DEP_1) | instskip(NEXT) | instid1(VALU_DEP_1)
	v_fma_f64 v[23:24], v[23:24], v[28:29], v[23:24]
	v_fma_f64 v[28:29], -v[21:22], v[23:24], 1.0
	s_delay_alu instid0(VALU_DEP_1) | instskip(NEXT) | instid1(VALU_DEP_1)
	v_fma_f64 v[23:24], v[23:24], v[28:29], v[23:24]
	v_mul_f64 v[28:29], v[17:18], v[23:24]
	s_delay_alu instid0(VALU_DEP_1) | instskip(NEXT) | instid1(VALU_DEP_1)
	v_fma_f64 v[17:18], -v[21:22], v[28:29], v[17:18]
	v_div_fmas_f64 v[17:18], v[17:18], v[23:24], v[28:29]
	s_delay_alu instid0(VALU_DEP_1) | instskip(SKIP_3) | instid1(SALU_CYCLE_1)
	v_div_fixup_f64 v[17:18], v[17:18], v[7:8], |v[19:20]|
	v_dual_mov_b32 v20, v6 :: v_dual_mov_b32 v19, v5
	s_or_b32 exec_lo, exec_lo, s2
	s_and_saveexec_b32 s2, s1
	s_xor_b32 s1, exec_lo, s2
	s_cbranch_execnz .LBB221_187
.LBB221_192:
	s_and_not1_saveexec_b32 s1, s1
.LBB221_193:
	s_delay_alu instid0(VALU_DEP_2) | instskip(NEXT) | instid1(VALU_DEP_2)
	v_add_f64 v[17:18], v[17:18], v[17:18]
	v_add_f64 v[19:20], v[19:20], v[19:20]
.LBB221_194:
	s_or_b32 exec_lo, exec_lo, s1
.LBB221_195:
	s_and_not1_saveexec_b32 s1, s11
	s_cbranch_execz .LBB221_201
; %bb.196:
	s_delay_alu instid0(VALU_DEP_1) | instskip(SKIP_1) | instid1(VALU_DEP_3)
	v_add_f64 v[5:6], v[19:20], -v[19:20]
	s_mov_b32 s2, exec_lo
	v_cmpx_lt_i64_e32 -1, v[17:18]
	s_xor_b32 s2, exec_lo, s2
; %bb.197:
	s_delay_alu instid0(VALU_DEP_2) | instskip(NEXT) | instid1(VALU_DEP_1)
	v_bfi_b32 v6, 0x7fffffff, v6, v20
	v_dual_mov_b32 v20, v6 :: v_dual_mov_b32 v19, v5
                                        ; implicit-def: $vgpr5_vgpr6
; %bb.198:
	s_and_not1_saveexec_b32 s2, s2
; %bb.199:
	s_delay_alu instid0(VALU_DEP_1) | instskip(SKIP_1) | instid1(VALU_DEP_2)
	v_bfi_b32 v18, 0x7fffffff, v18, v20
	v_and_b32_e32 v6, 0x7fffffff, v6
	v_dual_mov_b32 v20, v18 :: v_dual_mov_b32 v19, v17
	s_delay_alu instid0(VALU_DEP_2)
	v_dual_mov_b32 v18, v6 :: v_dual_mov_b32 v17, v5
; %bb.200:
	s_or_b32 exec_lo, exec_lo, s2
.LBB221_201:
	s_delay_alu instid0(SALU_CYCLE_1)
	s_or_b32 exec_lo, exec_lo, s1
.LBB221_202:
	s_and_not1_saveexec_b32 s1, s9
; %bb.203:
	s_delay_alu instid0(VALU_DEP_1) | instskip(NEXT) | instid1(VALU_DEP_1)
	v_add_f64 v[5:6], v[19:20], -v[19:20]
	v_div_scale_f64 v[7:8], vcc_lo, v[5:6], v[5:6], v[5:6]
	s_delay_alu instid0(VALU_DEP_1) | instskip(SKIP_2) | instid1(VALU_DEP_1)
	v_rcp_f64_e32 v[19:20], v[7:8]
	s_waitcnt_depctr 0xfff
	v_fma_f64 v[21:22], -v[7:8], v[19:20], 1.0
	v_fma_f64 v[19:20], v[19:20], v[21:22], v[19:20]
	s_delay_alu instid0(VALU_DEP_1) | instskip(NEXT) | instid1(VALU_DEP_1)
	v_fma_f64 v[21:22], -v[7:8], v[19:20], 1.0
	v_fma_f64 v[19:20], v[19:20], v[21:22], v[19:20]
	s_delay_alu instid0(VALU_DEP_1) | instskip(NEXT) | instid1(VALU_DEP_1)
	v_mul_f64 v[21:22], v[7:8], v[19:20]
	v_fma_f64 v[7:8], -v[7:8], v[21:22], v[7:8]
	s_delay_alu instid0(VALU_DEP_1) | instskip(NEXT) | instid1(VALU_DEP_1)
	v_div_fmas_f64 v[7:8], v[7:8], v[19:20], v[21:22]
	v_div_fixup_f64 v[19:20], v[7:8], v[5:6], v[5:6]
; %bb.204:
	s_or_b32 exec_lo, exec_lo, s1
	v_dual_mov_b32 v5, v17 :: v_dual_mov_b32 v6, v18
.LBB221_205:
	s_or_b32 exec_lo, exec_lo, s7
.LBB221_206:
	s_delay_alu instid0(SALU_CYCLE_1) | instskip(NEXT) | instid1(VALU_DEP_2)
	s_or_b32 exec_lo, exec_lo, s6
	v_dual_mov_b32 v7, v19 :: v_dual_mov_b32 v8, v20
.LBB221_207:
	s_or_b32 exec_lo, exec_lo, s3
	s_waitcnt vmcnt(0)
	v_mov_b32_e32 v17, 0
	v_mov_b32_e32 v18, 0
	v_or_b32_e32 v19, 0x200, v0
	s_delay_alu instid0(VALU_DEP_2) | instskip(NEXT) | instid1(VALU_DEP_2)
	v_dual_mov_b32 v22, v18 :: v_dual_mov_b32 v21, v17
	v_cmp_gt_i32_e32 vcc_lo, s10, v19
	v_dual_mov_b32 v20, v18 :: v_dual_mov_b32 v19, v17
	s_and_saveexec_b32 s3, vcc_lo
	s_cbranch_execz .LBB221_241
; %bb.208:
	v_cmp_neq_f64_e32 vcc_lo, 0, v[13:14]
	v_cmp_neq_f64_e64 s1, 0, v[15:16]
	v_mov_b32_e32 v19, 0
	v_mov_b32_e32 v20, 0
	s_delay_alu instid0(VALU_DEP_3) | instskip(NEXT) | instid1(SALU_CYCLE_1)
	s_or_b32 s1, vcc_lo, s1
	s_and_saveexec_b32 s6, s1
	s_cbranch_execz .LBB221_240
; %bb.209:
	s_mov_b32 s12, 0
	s_mov_b32 s13, 0x7ff00000
	v_mov_b32_e32 v19, s12
	v_mov_b32_e32 v20, s13
	s_mov_b32 s7, exec_lo
	v_cmpx_neq_f64_e64 0x7ff00000, |v[15:16]|
	s_cbranch_execz .LBB221_239
; %bb.210:
	s_mov_b32 s1, exec_lo
	v_cmpx_o_f64_e32 v[13:14], v[13:14]
	s_xor_b32 s9, exec_lo, s1
	s_cbranch_execz .LBB221_236
; %bb.211:
	s_mov_b32 s2, exec_lo
	v_cmpx_neq_f64_e64 0x7ff00000, |v[13:14]|
	s_xor_b32 s11, exec_lo, s2
	s_cbranch_execz .LBB221_229
; %bb.212:
	v_max_f64 v[19:20], |v[15:16]|, |v[15:16]|
	v_max_f64 v[21:22], |v[13:14]|, |v[13:14]|
	s_mov_b32 s12, 0x99fcef32
	s_mov_b32 s13, 0x7fda8279
	s_delay_alu instid0(VALU_DEP_1) | instskip(NEXT) | instid1(VALU_DEP_1)
	v_max_f64 v[19:20], v[21:22], v[19:20]
	v_cmp_nle_f64_e64 s1, s[12:13], v[19:20]
                                        ; implicit-def: $sgpr12
	s_delay_alu instid0(VALU_DEP_1) | instskip(NEXT) | instid1(SALU_CYCLE_1)
	s_and_saveexec_b32 s2, s1
	s_xor_b32 s2, exec_lo, s2
	s_cbranch_execz .LBB221_216
; %bb.213:
	v_cmp_ge_f64_e64 s12, 0x200000, |v[13:14]|
	v_cmp_ge_f64_e64 s13, 0x200000, |v[15:16]|
	s_delay_alu instid0(VALU_DEP_1)
	s_and_b32 s14, s12, s13
	s_mov_b32 s12, 0
	s_and_saveexec_b32 s13, s14
; %bb.214:
	v_mul_f64 v[13:14], v[13:14], 4.0
	v_mul_f64 v[15:16], v[15:16], 4.0
	s_mov_b32 s12, exec_lo
; %bb.215:
	s_or_b32 exec_lo, exec_lo, s13
	s_delay_alu instid0(SALU_CYCLE_1)
	s_and_b32 s12, s12, exec_lo
.LBB221_216:
	s_and_not1_saveexec_b32 s2, s2
; %bb.217:
	s_delay_alu instid0(VALU_DEP_2) | instskip(NEXT) | instid1(VALU_DEP_2)
	v_ldexp_f64 v[13:14], v[13:14], -2
	v_ldexp_f64 v[15:16], v[15:16], -2
	s_and_not1_b32 s12, s12, exec_lo
; %bb.218:
	s_or_b32 exec_lo, exec_lo, s2
	s_delay_alu instid0(VALU_DEP_1) | instskip(NEXT) | instid1(VALU_DEP_3)
	v_max_f64 v[19:20], |v[15:16]|, |v[15:16]|
	v_max_f64 v[21:22], |v[13:14]|, |v[13:14]|
	v_cmp_class_f64_e64 s13, v[13:14], 0x204
	v_cmp_class_f64_e64 s14, v[15:16], 0x204
	v_cmp_le_f64_e64 s2, 0, v[13:14]
	s_delay_alu instid0(VALU_DEP_4) | instskip(NEXT) | instid1(VALU_DEP_3)
	v_max_f64 v[19:20], v[21:22], v[19:20]
	s_or_b32 s13, s14, s13
	s_delay_alu instid0(VALU_DEP_1) | instskip(NEXT) | instid1(VALU_DEP_1)
	v_frexp_exp_i32_f64_e32 v26, v[19:20]
	v_sub_nc_u32_e32 v21, 0, v26
	s_delay_alu instid0(VALU_DEP_1) | instskip(SKIP_1) | instid1(VALU_DEP_2)
	v_ldexp_f64 v[19:20], |v[15:16]|, v21
	v_ldexp_f64 v[21:22], |v[13:14]|, v21
	v_mul_f64 v[19:20], v[19:20], v[19:20]
	s_delay_alu instid0(VALU_DEP_1) | instskip(NEXT) | instid1(VALU_DEP_1)
	v_fma_f64 v[19:20], v[21:22], v[21:22], v[19:20]
	v_rsq_f64_e32 v[21:22], v[19:20]
	v_cmp_eq_f64_e32 vcc_lo, 0, v[19:20]
	s_waitcnt_depctr 0xfff
	v_mul_f64 v[23:24], v[19:20], v[21:22]
	v_mul_f64 v[21:22], v[21:22], 0.5
	s_delay_alu instid0(VALU_DEP_1) | instskip(NEXT) | instid1(VALU_DEP_1)
	v_fma_f64 v[28:29], -v[21:22], v[23:24], 0.5
	v_fma_f64 v[23:24], v[23:24], v[28:29], v[23:24]
	v_fma_f64 v[21:22], v[21:22], v[28:29], v[21:22]
	s_delay_alu instid0(VALU_DEP_2) | instskip(NEXT) | instid1(VALU_DEP_1)
	v_fma_f64 v[28:29], -v[23:24], v[23:24], v[19:20]
	v_fma_f64 v[21:22], v[28:29], v[21:22], v[23:24]
	s_delay_alu instid0(VALU_DEP_1) | instskip(SKIP_1) | instid1(VALU_DEP_2)
	v_dual_cndmask_b32 v20, v22, v20 :: v_dual_cndmask_b32 v19, v21, v19
	v_cmp_o_f64_e32 vcc_lo, v[15:16], v[15:16]
	v_ldexp_f64 v[19:20], v[19:20], v26
	s_delay_alu instid0(VALU_DEP_1) | instskip(NEXT) | instid1(VALU_DEP_2)
	v_cndmask_b32_e32 v19, 0, v19, vcc_lo
	v_cndmask_b32_e32 v20, 0x7ff80000, v20, vcc_lo
	s_delay_alu instid0(VALU_DEP_2) | instskip(NEXT) | instid1(VALU_DEP_2)
	v_cndmask_b32_e64 v19, v19, 0, s13
	v_cndmask_b32_e64 v20, v20, 0x7ff00000, s13
	s_and_saveexec_b32 s13, s2
	s_delay_alu instid0(SALU_CYCLE_1)
	s_xor_b32 s2, exec_lo, s13
	s_cbranch_execz .LBB221_224
; %bb.219:
	s_delay_alu instid0(VALU_DEP_1) | instskip(NEXT) | instid1(VALU_DEP_1)
	v_add_f64 v[13:14], v[13:14], v[19:20]
	v_mul_f64 v[13:14], v[13:14], 0.5
	s_delay_alu instid0(VALU_DEP_1) | instskip(SKIP_1) | instid1(VALU_DEP_1)
	v_cmp_gt_f64_e32 vcc_lo, 0x10000000, v[13:14]
	v_cndmask_b32_e64 v19, 0, 1, vcc_lo
	v_lshlrev_b32_e32 v19, 8, v19
	s_delay_alu instid0(VALU_DEP_1) | instskip(NEXT) | instid1(VALU_DEP_1)
	v_ldexp_f64 v[13:14], v[13:14], v19
	v_rsq_f64_e32 v[19:20], v[13:14]
	s_waitcnt_depctr 0xfff
	v_mul_f64 v[21:22], v[13:14], v[19:20]
	v_mul_f64 v[19:20], v[19:20], 0.5
	s_delay_alu instid0(VALU_DEP_1) | instskip(NEXT) | instid1(VALU_DEP_1)
	v_fma_f64 v[23:24], -v[19:20], v[21:22], 0.5
	v_fma_f64 v[21:22], v[21:22], v[23:24], v[21:22]
	v_fma_f64 v[19:20], v[19:20], v[23:24], v[19:20]
	s_delay_alu instid0(VALU_DEP_2) | instskip(NEXT) | instid1(VALU_DEP_1)
	v_fma_f64 v[23:24], -v[21:22], v[21:22], v[13:14]
	v_fma_f64 v[21:22], v[23:24], v[19:20], v[21:22]
	s_delay_alu instid0(VALU_DEP_1) | instskip(NEXT) | instid1(VALU_DEP_1)
	v_fma_f64 v[23:24], -v[21:22], v[21:22], v[13:14]
	v_fma_f64 v[19:20], v[23:24], v[19:20], v[21:22]
	v_cndmask_b32_e64 v21, 0, 0xffffff80, vcc_lo
	v_cmp_class_f64_e64 vcc_lo, v[13:14], 0x260
	s_delay_alu instid0(VALU_DEP_2) | instskip(NEXT) | instid1(VALU_DEP_1)
	v_ldexp_f64 v[19:20], v[19:20], v21
	v_dual_cndmask_b32 v14, v20, v14 :: v_dual_cndmask_b32 v13, v19, v13
	s_delay_alu instid0(VALU_DEP_1) | instskip(NEXT) | instid1(VALU_DEP_1)
	v_add_f64 v[19:20], v[13:14], v[13:14]
	v_div_scale_f64 v[21:22], null, v[19:20], v[19:20], v[15:16]
	s_delay_alu instid0(VALU_DEP_1) | instskip(SKIP_2) | instid1(VALU_DEP_1)
	v_rcp_f64_e32 v[23:24], v[21:22]
	s_waitcnt_depctr 0xfff
	v_fma_f64 v[28:29], -v[21:22], v[23:24], 1.0
	v_fma_f64 v[23:24], v[23:24], v[28:29], v[23:24]
	s_delay_alu instid0(VALU_DEP_1) | instskip(NEXT) | instid1(VALU_DEP_1)
	v_fma_f64 v[28:29], -v[21:22], v[23:24], 1.0
	v_fma_f64 v[23:24], v[23:24], v[28:29], v[23:24]
	v_div_scale_f64 v[28:29], vcc_lo, v[15:16], v[19:20], v[15:16]
	s_delay_alu instid0(VALU_DEP_1) | instskip(NEXT) | instid1(VALU_DEP_1)
	v_mul_f64 v[30:31], v[28:29], v[23:24]
	v_fma_f64 v[21:22], -v[21:22], v[30:31], v[28:29]
	s_delay_alu instid0(VALU_DEP_1) | instskip(NEXT) | instid1(VALU_DEP_1)
	v_div_fmas_f64 v[21:22], v[21:22], v[23:24], v[30:31]
	v_div_fixup_f64 v[15:16], v[21:22], v[19:20], v[15:16]
                                        ; implicit-def: $vgpr19_vgpr20
	s_and_not1_saveexec_b32 s2, s2
	s_cbranch_execnz .LBB221_225
.LBB221_220:
	s_or_b32 exec_lo, exec_lo, s2
	s_and_saveexec_b32 s2, s1
	s_delay_alu instid0(SALU_CYCLE_1)
	s_xor_b32 s1, exec_lo, s2
	s_cbranch_execz .LBB221_226
.LBB221_221:
	s_and_saveexec_b32 s2, s12
; %bb.222:
	s_delay_alu instid0(VALU_DEP_2) | instskip(NEXT) | instid1(VALU_DEP_2)
	v_mul_f64 v[13:14], v[13:14], 0.5
	v_mul_f64 v[15:16], v[15:16], 0.5
; %bb.223:
	s_or_b32 exec_lo, exec_lo, s2
	s_and_not1_saveexec_b32 s1, s1
	s_cbranch_execnz .LBB221_227
	s_branch .LBB221_228
.LBB221_224:
	s_and_not1_saveexec_b32 s2, s2
	s_cbranch_execz .LBB221_220
.LBB221_225:
	v_add_f64 v[13:14], v[19:20], -v[13:14]
	s_delay_alu instid0(VALU_DEP_1) | instskip(NEXT) | instid1(VALU_DEP_1)
	v_mul_f64 v[13:14], v[13:14], 0.5
	v_cmp_gt_f64_e32 vcc_lo, 0x10000000, v[13:14]
	v_cndmask_b32_e64 v19, 0, 1, vcc_lo
	s_delay_alu instid0(VALU_DEP_1) | instskip(NEXT) | instid1(VALU_DEP_1)
	v_lshlrev_b32_e32 v19, 8, v19
	v_ldexp_f64 v[13:14], v[13:14], v19
	s_delay_alu instid0(VALU_DEP_1) | instskip(SKIP_3) | instid1(VALU_DEP_1)
	v_rsq_f64_e32 v[19:20], v[13:14]
	s_waitcnt_depctr 0xfff
	v_mul_f64 v[21:22], v[13:14], v[19:20]
	v_mul_f64 v[19:20], v[19:20], 0.5
	v_fma_f64 v[23:24], -v[19:20], v[21:22], 0.5
	s_delay_alu instid0(VALU_DEP_1) | instskip(SKIP_1) | instid1(VALU_DEP_2)
	v_fma_f64 v[21:22], v[21:22], v[23:24], v[21:22]
	v_fma_f64 v[19:20], v[19:20], v[23:24], v[19:20]
	v_fma_f64 v[23:24], -v[21:22], v[21:22], v[13:14]
	s_delay_alu instid0(VALU_DEP_1) | instskip(NEXT) | instid1(VALU_DEP_1)
	v_fma_f64 v[21:22], v[23:24], v[19:20], v[21:22]
	v_fma_f64 v[23:24], -v[21:22], v[21:22], v[13:14]
	s_delay_alu instid0(VALU_DEP_1) | instskip(SKIP_3) | instid1(VALU_DEP_3)
	v_fma_f64 v[19:20], v[23:24], v[19:20], v[21:22]
	v_cndmask_b32_e64 v21, 0, 0xffffff80, vcc_lo
	v_cmp_class_f64_e64 vcc_lo, v[13:14], 0x260
	v_and_b32_e32 v22, 0x7fffffff, v16
	v_ldexp_f64 v[19:20], v[19:20], v21
	s_delay_alu instid0(VALU_DEP_1) | instskip(NEXT) | instid1(VALU_DEP_1)
	v_dual_cndmask_b32 v20, v20, v14 :: v_dual_cndmask_b32 v19, v19, v13
	v_add_f64 v[13:14], v[19:20], v[19:20]
	v_bfi_b32 v20, 0x7fffffff, v20, v16
	v_mov_b32_e32 v21, v15
	s_delay_alu instid0(VALU_DEP_1) | instskip(SKIP_1) | instid1(VALU_DEP_2)
	v_div_scale_f64 v[23:24], null, v[13:14], v[13:14], v[21:22]
	v_div_scale_f64 v[21:22], vcc_lo, v[21:22], v[13:14], v[21:22]
	v_rcp_f64_e32 v[28:29], v[23:24]
	s_waitcnt_depctr 0xfff
	v_fma_f64 v[30:31], -v[23:24], v[28:29], 1.0
	s_delay_alu instid0(VALU_DEP_1) | instskip(NEXT) | instid1(VALU_DEP_1)
	v_fma_f64 v[28:29], v[28:29], v[30:31], v[28:29]
	v_fma_f64 v[30:31], -v[23:24], v[28:29], 1.0
	s_delay_alu instid0(VALU_DEP_1) | instskip(NEXT) | instid1(VALU_DEP_1)
	v_fma_f64 v[28:29], v[28:29], v[30:31], v[28:29]
	v_mul_f64 v[30:31], v[21:22], v[28:29]
	s_delay_alu instid0(VALU_DEP_1) | instskip(NEXT) | instid1(VALU_DEP_1)
	v_fma_f64 v[21:22], -v[23:24], v[30:31], v[21:22]
	v_div_fmas_f64 v[21:22], v[21:22], v[28:29], v[30:31]
	s_delay_alu instid0(VALU_DEP_1) | instskip(SKIP_3) | instid1(SALU_CYCLE_1)
	v_div_fixup_f64 v[13:14], v[21:22], v[13:14], |v[15:16]|
	v_dual_mov_b32 v15, v19 :: v_dual_mov_b32 v16, v20
	s_or_b32 exec_lo, exec_lo, s2
	s_and_saveexec_b32 s2, s1
	s_xor_b32 s1, exec_lo, s2
	s_cbranch_execnz .LBB221_221
.LBB221_226:
	s_and_not1_saveexec_b32 s1, s1
.LBB221_227:
	s_delay_alu instid0(VALU_DEP_2) | instskip(NEXT) | instid1(VALU_DEP_2)
	v_add_f64 v[13:14], v[13:14], v[13:14]
	v_add_f64 v[15:16], v[15:16], v[15:16]
.LBB221_228:
	s_or_b32 exec_lo, exec_lo, s1
.LBB221_229:
	s_and_not1_saveexec_b32 s1, s11
	s_cbranch_execz .LBB221_235
; %bb.230:
	s_delay_alu instid0(VALU_DEP_1) | instskip(SKIP_1) | instid1(VALU_DEP_3)
	v_add_f64 v[19:20], v[15:16], -v[15:16]
	s_mov_b32 s2, exec_lo
	v_cmpx_lt_i64_e32 -1, v[13:14]
	s_xor_b32 s2, exec_lo, s2
; %bb.231:
	s_delay_alu instid0(VALU_DEP_2) | instskip(NEXT) | instid1(VALU_DEP_1)
	v_bfi_b32 v20, 0x7fffffff, v20, v16
	v_dual_mov_b32 v15, v19 :: v_dual_mov_b32 v16, v20
                                        ; implicit-def: $vgpr19_vgpr20
; %bb.232:
	s_and_not1_saveexec_b32 s2, s2
; %bb.233:
	s_delay_alu instid0(VALU_DEP_1) | instskip(SKIP_1) | instid1(VALU_DEP_2)
	v_bfi_b32 v14, 0x7fffffff, v14, v16
	v_and_b32_e32 v20, 0x7fffffff, v20
	v_dual_mov_b32 v16, v14 :: v_dual_mov_b32 v15, v13
	s_delay_alu instid0(VALU_DEP_2)
	v_dual_mov_b32 v13, v19 :: v_dual_mov_b32 v14, v20
; %bb.234:
	s_or_b32 exec_lo, exec_lo, s2
.LBB221_235:
	s_delay_alu instid0(SALU_CYCLE_1)
	s_or_b32 exec_lo, exec_lo, s1
.LBB221_236:
	s_and_not1_saveexec_b32 s1, s9
; %bb.237:
	s_delay_alu instid0(VALU_DEP_1) | instskip(NEXT) | instid1(VALU_DEP_1)
	v_add_f64 v[15:16], v[15:16], -v[15:16]
	v_div_scale_f64 v[19:20], vcc_lo, v[15:16], v[15:16], v[15:16]
	s_delay_alu instid0(VALU_DEP_1) | instskip(SKIP_2) | instid1(VALU_DEP_1)
	v_rcp_f64_e32 v[21:22], v[19:20]
	s_waitcnt_depctr 0xfff
	v_fma_f64 v[23:24], -v[19:20], v[21:22], 1.0
	v_fma_f64 v[21:22], v[21:22], v[23:24], v[21:22]
	s_delay_alu instid0(VALU_DEP_1) | instskip(NEXT) | instid1(VALU_DEP_1)
	v_fma_f64 v[23:24], -v[19:20], v[21:22], 1.0
	v_fma_f64 v[21:22], v[21:22], v[23:24], v[21:22]
	s_delay_alu instid0(VALU_DEP_1) | instskip(NEXT) | instid1(VALU_DEP_1)
	v_mul_f64 v[23:24], v[19:20], v[21:22]
	v_fma_f64 v[19:20], -v[19:20], v[23:24], v[19:20]
	s_delay_alu instid0(VALU_DEP_1) | instskip(NEXT) | instid1(VALU_DEP_1)
	v_div_fmas_f64 v[19:20], v[19:20], v[21:22], v[23:24]
	v_div_fixup_f64 v[15:16], v[19:20], v[15:16], v[15:16]
; %bb.238:
	s_or_b32 exec_lo, exec_lo, s1
	v_dual_mov_b32 v20, v14 :: v_dual_mov_b32 v19, v13
.LBB221_239:
	s_or_b32 exec_lo, exec_lo, s7
.LBB221_240:
	s_delay_alu instid0(SALU_CYCLE_1) | instskip(NEXT) | instid1(VALU_DEP_2)
	s_or_b32 exec_lo, exec_lo, s6
	v_dual_mov_b32 v22, v16 :: v_dual_mov_b32 v21, v15
.LBB221_241:
	s_or_b32 exec_lo, exec_lo, s3
	v_or_b32_e32 v13, 0x300, v0
	v_dual_mov_b32 v15, v17 :: v_dual_mov_b32 v16, v18
	s_mov_b32 s3, exec_lo
	s_delay_alu instid0(VALU_DEP_2)
	v_cmpx_gt_i32_e64 s10, v13
	s_cbranch_execz .LBB221_258
; %bb.242:
	v_cmp_neq_f64_e32 vcc_lo, 0, v[1:2]
	v_cmp_neq_f64_e64 s1, 0, v[3:4]
	v_mov_b32_e32 v15, 0
	v_mov_b32_e32 v16, 0
	s_delay_alu instid0(VALU_DEP_3) | instskip(NEXT) | instid1(SALU_CYCLE_1)
	s_or_b32 s1, vcc_lo, s1
	s_and_saveexec_b32 s6, s1
	s_cbranch_execz .LBB221_278
; %bb.243:
	s_mov_b32 s12, 0
	s_mov_b32 s13, 0x7ff00000
	v_mov_b32_e32 v15, s12
	v_mov_b32_e32 v16, s13
	s_mov_b32 s7, exec_lo
	v_cmpx_neq_f64_e64 0x7ff00000, |v[3:4]|
	s_cbranch_execz .LBB221_277
; %bb.244:
	s_mov_b32 s1, exec_lo
	v_cmpx_o_f64_e32 v[1:2], v[1:2]
	s_xor_b32 s9, exec_lo, s1
	s_cbranch_execz .LBB221_274
; %bb.245:
	s_mov_b32 s2, exec_lo
	v_cmpx_neq_f64_e64 0x7ff00000, |v[1:2]|
	s_xor_b32 s11, exec_lo, s2
	s_cbranch_execz .LBB221_267
; %bb.246:
	v_max_f64 v[13:14], |v[3:4]|, |v[3:4]|
	v_max_f64 v[15:16], |v[1:2]|, |v[1:2]|
	s_mov_b32 s12, 0x99fcef32
	s_mov_b32 s13, 0x7fda8279
	s_delay_alu instid0(VALU_DEP_1) | instskip(NEXT) | instid1(VALU_DEP_1)
	v_max_f64 v[13:14], v[15:16], v[13:14]
	v_cmp_nle_f64_e64 s1, s[12:13], v[13:14]
                                        ; implicit-def: $sgpr12
	s_delay_alu instid0(VALU_DEP_1) | instskip(NEXT) | instid1(SALU_CYCLE_1)
	s_and_saveexec_b32 s2, s1
	s_xor_b32 s2, exec_lo, s2
	s_cbranch_execz .LBB221_250
; %bb.247:
	v_cmp_ge_f64_e64 s12, 0x200000, |v[1:2]|
	v_cmp_ge_f64_e64 s13, 0x200000, |v[3:4]|
	s_delay_alu instid0(VALU_DEP_1)
	s_and_b32 s14, s12, s13
	s_mov_b32 s12, 0
	s_and_saveexec_b32 s13, s14
; %bb.248:
	v_mul_f64 v[1:2], v[1:2], 4.0
	v_mul_f64 v[3:4], v[3:4], 4.0
	s_mov_b32 s12, exec_lo
; %bb.249:
	s_or_b32 exec_lo, exec_lo, s13
	s_delay_alu instid0(SALU_CYCLE_1)
	s_and_b32 s12, s12, exec_lo
.LBB221_250:
	s_and_not1_saveexec_b32 s2, s2
; %bb.251:
	s_delay_alu instid0(VALU_DEP_2) | instskip(NEXT) | instid1(VALU_DEP_2)
	v_ldexp_f64 v[1:2], v[1:2], -2
	v_ldexp_f64 v[3:4], v[3:4], -2
	s_and_not1_b32 s12, s12, exec_lo
; %bb.252:
	s_or_b32 exec_lo, exec_lo, s2
	s_delay_alu instid0(VALU_DEP_1) | instskip(NEXT) | instid1(VALU_DEP_3)
	v_max_f64 v[13:14], |v[3:4]|, |v[3:4]|
	v_max_f64 v[15:16], |v[1:2]|, |v[1:2]|
	v_cmp_class_f64_e64 s13, v[1:2], 0x204
	v_cmp_class_f64_e64 s14, v[3:4], 0x204
	v_cmp_le_f64_e64 s2, 0, v[1:2]
	s_delay_alu instid0(VALU_DEP_4) | instskip(NEXT) | instid1(VALU_DEP_3)
	v_max_f64 v[13:14], v[15:16], v[13:14]
	s_or_b32 s13, s14, s13
	s_delay_alu instid0(VALU_DEP_1) | instskip(NEXT) | instid1(VALU_DEP_1)
	v_frexp_exp_i32_f64_e32 v26, v[13:14]
	v_sub_nc_u32_e32 v15, 0, v26
	s_delay_alu instid0(VALU_DEP_1) | instskip(SKIP_1) | instid1(VALU_DEP_2)
	v_ldexp_f64 v[13:14], |v[3:4]|, v15
	v_ldexp_f64 v[15:16], |v[1:2]|, v15
	v_mul_f64 v[13:14], v[13:14], v[13:14]
	s_delay_alu instid0(VALU_DEP_1) | instskip(NEXT) | instid1(VALU_DEP_1)
	v_fma_f64 v[13:14], v[15:16], v[15:16], v[13:14]
	v_rsq_f64_e32 v[15:16], v[13:14]
	v_cmp_eq_f64_e32 vcc_lo, 0, v[13:14]
	s_waitcnt_depctr 0xfff
	v_mul_f64 v[17:18], v[13:14], v[15:16]
	v_mul_f64 v[15:16], v[15:16], 0.5
	s_delay_alu instid0(VALU_DEP_1) | instskip(NEXT) | instid1(VALU_DEP_1)
	v_fma_f64 v[23:24], -v[15:16], v[17:18], 0.5
	v_fma_f64 v[17:18], v[17:18], v[23:24], v[17:18]
	v_fma_f64 v[15:16], v[15:16], v[23:24], v[15:16]
	s_delay_alu instid0(VALU_DEP_2) | instskip(NEXT) | instid1(VALU_DEP_1)
	v_fma_f64 v[23:24], -v[17:18], v[17:18], v[13:14]
	v_fma_f64 v[15:16], v[23:24], v[15:16], v[17:18]
	s_delay_alu instid0(VALU_DEP_1) | instskip(SKIP_1) | instid1(VALU_DEP_2)
	v_dual_cndmask_b32 v14, v16, v14 :: v_dual_cndmask_b32 v13, v15, v13
	v_cmp_o_f64_e32 vcc_lo, v[3:4], v[3:4]
	v_ldexp_f64 v[13:14], v[13:14], v26
	s_delay_alu instid0(VALU_DEP_1) | instskip(NEXT) | instid1(VALU_DEP_2)
	v_cndmask_b32_e32 v13, 0, v13, vcc_lo
	v_cndmask_b32_e32 v14, 0x7ff80000, v14, vcc_lo
	s_delay_alu instid0(VALU_DEP_2) | instskip(NEXT) | instid1(VALU_DEP_2)
	v_cndmask_b32_e64 v13, v13, 0, s13
	v_cndmask_b32_e64 v14, v14, 0x7ff00000, s13
	s_and_saveexec_b32 s13, s2
	s_delay_alu instid0(SALU_CYCLE_1)
	s_xor_b32 s2, exec_lo, s13
	s_cbranch_execz .LBB221_262
; %bb.253:
	s_delay_alu instid0(VALU_DEP_1) | instskip(NEXT) | instid1(VALU_DEP_1)
	v_add_f64 v[1:2], v[1:2], v[13:14]
	v_mul_f64 v[1:2], v[1:2], 0.5
	s_delay_alu instid0(VALU_DEP_1) | instskip(SKIP_1) | instid1(VALU_DEP_1)
	v_cmp_gt_f64_e32 vcc_lo, 0x10000000, v[1:2]
	v_cndmask_b32_e64 v13, 0, 1, vcc_lo
	v_lshlrev_b32_e32 v13, 8, v13
	s_delay_alu instid0(VALU_DEP_1) | instskip(NEXT) | instid1(VALU_DEP_1)
	v_ldexp_f64 v[1:2], v[1:2], v13
	v_rsq_f64_e32 v[13:14], v[1:2]
	s_waitcnt_depctr 0xfff
	v_mul_f64 v[15:16], v[1:2], v[13:14]
	v_mul_f64 v[13:14], v[13:14], 0.5
	s_delay_alu instid0(VALU_DEP_1) | instskip(NEXT) | instid1(VALU_DEP_1)
	v_fma_f64 v[17:18], -v[13:14], v[15:16], 0.5
	v_fma_f64 v[15:16], v[15:16], v[17:18], v[15:16]
	v_fma_f64 v[13:14], v[13:14], v[17:18], v[13:14]
	s_delay_alu instid0(VALU_DEP_2) | instskip(NEXT) | instid1(VALU_DEP_1)
	v_fma_f64 v[17:18], -v[15:16], v[15:16], v[1:2]
	v_fma_f64 v[15:16], v[17:18], v[13:14], v[15:16]
	s_delay_alu instid0(VALU_DEP_1) | instskip(NEXT) | instid1(VALU_DEP_1)
	v_fma_f64 v[17:18], -v[15:16], v[15:16], v[1:2]
	v_fma_f64 v[13:14], v[17:18], v[13:14], v[15:16]
	v_cndmask_b32_e64 v15, 0, 0xffffff80, vcc_lo
	v_cmp_class_f64_e64 vcc_lo, v[1:2], 0x260
	s_delay_alu instid0(VALU_DEP_2) | instskip(NEXT) | instid1(VALU_DEP_1)
	v_ldexp_f64 v[13:14], v[13:14], v15
	v_dual_cndmask_b32 v2, v14, v2 :: v_dual_cndmask_b32 v1, v13, v1
	s_delay_alu instid0(VALU_DEP_1) | instskip(NEXT) | instid1(VALU_DEP_1)
	v_add_f64 v[13:14], v[1:2], v[1:2]
	v_div_scale_f64 v[15:16], null, v[13:14], v[13:14], v[3:4]
	s_delay_alu instid0(VALU_DEP_1) | instskip(SKIP_2) | instid1(VALU_DEP_1)
	v_rcp_f64_e32 v[17:18], v[15:16]
	s_waitcnt_depctr 0xfff
	v_fma_f64 v[23:24], -v[15:16], v[17:18], 1.0
	v_fma_f64 v[17:18], v[17:18], v[23:24], v[17:18]
	s_delay_alu instid0(VALU_DEP_1) | instskip(NEXT) | instid1(VALU_DEP_1)
	v_fma_f64 v[23:24], -v[15:16], v[17:18], 1.0
	v_fma_f64 v[17:18], v[17:18], v[23:24], v[17:18]
	v_div_scale_f64 v[23:24], vcc_lo, v[3:4], v[13:14], v[3:4]
	s_delay_alu instid0(VALU_DEP_1) | instskip(NEXT) | instid1(VALU_DEP_1)
	v_mul_f64 v[28:29], v[23:24], v[17:18]
	v_fma_f64 v[15:16], -v[15:16], v[28:29], v[23:24]
	s_delay_alu instid0(VALU_DEP_1) | instskip(NEXT) | instid1(VALU_DEP_1)
	v_div_fmas_f64 v[15:16], v[15:16], v[17:18], v[28:29]
	v_div_fixup_f64 v[3:4], v[15:16], v[13:14], v[3:4]
                                        ; implicit-def: $vgpr13_vgpr14
	s_and_not1_saveexec_b32 s2, s2
	s_cbranch_execnz .LBB221_263
.LBB221_254:
	s_or_b32 exec_lo, exec_lo, s2
	s_and_saveexec_b32 s2, s1
	s_delay_alu instid0(SALU_CYCLE_1)
	s_xor_b32 s1, exec_lo, s2
	s_cbranch_execz .LBB221_264
.LBB221_255:
	s_and_saveexec_b32 s2, s12
; %bb.256:
	s_delay_alu instid0(VALU_DEP_2) | instskip(NEXT) | instid1(VALU_DEP_2)
	v_mul_f64 v[1:2], v[1:2], 0.5
	v_mul_f64 v[3:4], v[3:4], 0.5
; %bb.257:
	s_or_b32 exec_lo, exec_lo, s2
	s_and_not1_saveexec_b32 s1, s1
	s_cbranch_execnz .LBB221_265
	s_branch .LBB221_266
.LBB221_258:
	s_or_b32 exec_lo, exec_lo, s3
	s_and_saveexec_b32 s1, s0
	s_delay_alu instid0(SALU_CYCLE_1)
	s_xor_b32 s0, exec_lo, s1
	s_cbranch_execz .LBB221_279
.LBB221_259:
	v_mov_b32_e32 v26, 0
	s_delay_alu instid0(VALU_DEP_1) | instskip(NEXT) | instid1(VALU_DEP_1)
	v_lshlrev_b64 v[0:1], 4, v[25:26]
	v_add_co_u32 v2, vcc_lo, s4, v0
	s_delay_alu instid0(VALU_DEP_2) | instskip(SKIP_3) | instid1(SALU_CYCLE_1)
	v_add_co_ci_u32_e32 v3, vcc_lo, s5, v1, vcc_lo
	v_mov_b32_e32 v0, v27
	global_store_b128 v[2:3], v[9:12], off
	s_or_b32 exec_lo, exec_lo, s0
	s_mov_b32 s0, exec_lo
	v_cmpx_gt_i32_e64 s10, v0
	s_cbranch_execnz .LBB221_280
.LBB221_260:
	s_or_b32 exec_lo, exec_lo, s0
	s_delay_alu instid0(SALU_CYCLE_1)
	s_mov_b32 s0, exec_lo
	v_cmpx_gt_i32_e64 s10, v0
	s_cbranch_execz .LBB221_281
.LBB221_261:
	v_dual_mov_b32 v2, 0 :: v_dual_add_nc_u32 v1, s8, v0
	v_add_nc_u32_e32 v0, 0x100, v0
	s_delay_alu instid0(VALU_DEP_2) | instskip(NEXT) | instid1(VALU_DEP_1)
	v_lshlrev_b64 v[1:2], 4, v[1:2]
	v_add_co_u32 v1, vcc_lo, s4, v1
	s_delay_alu instid0(VALU_DEP_2) | instskip(SKIP_2) | instid1(SALU_CYCLE_1)
	v_add_co_ci_u32_e32 v2, vcc_lo, s5, v2, vcc_lo
	global_store_b128 v[1:2], v[19:22], off
	s_or_b32 exec_lo, exec_lo, s0
	s_mov_b32 s0, exec_lo
	v_cmpx_gt_i32_e64 s10, v0
	s_cbranch_execnz .LBB221_282
	s_branch .LBB221_283
.LBB221_262:
	s_and_not1_saveexec_b32 s2, s2
	s_cbranch_execz .LBB221_254
.LBB221_263:
	v_add_f64 v[1:2], v[13:14], -v[1:2]
	s_delay_alu instid0(VALU_DEP_1) | instskip(NEXT) | instid1(VALU_DEP_1)
	v_mul_f64 v[1:2], v[1:2], 0.5
	v_cmp_gt_f64_e32 vcc_lo, 0x10000000, v[1:2]
	v_cndmask_b32_e64 v13, 0, 1, vcc_lo
	s_delay_alu instid0(VALU_DEP_1) | instskip(NEXT) | instid1(VALU_DEP_1)
	v_lshlrev_b32_e32 v13, 8, v13
	v_ldexp_f64 v[1:2], v[1:2], v13
	s_delay_alu instid0(VALU_DEP_1) | instskip(SKIP_3) | instid1(VALU_DEP_1)
	v_rsq_f64_e32 v[13:14], v[1:2]
	s_waitcnt_depctr 0xfff
	v_mul_f64 v[15:16], v[1:2], v[13:14]
	v_mul_f64 v[13:14], v[13:14], 0.5
	v_fma_f64 v[17:18], -v[13:14], v[15:16], 0.5
	s_delay_alu instid0(VALU_DEP_1) | instskip(SKIP_1) | instid1(VALU_DEP_2)
	v_fma_f64 v[15:16], v[15:16], v[17:18], v[15:16]
	v_fma_f64 v[13:14], v[13:14], v[17:18], v[13:14]
	v_fma_f64 v[17:18], -v[15:16], v[15:16], v[1:2]
	s_delay_alu instid0(VALU_DEP_1) | instskip(NEXT) | instid1(VALU_DEP_1)
	v_fma_f64 v[15:16], v[17:18], v[13:14], v[15:16]
	v_fma_f64 v[17:18], -v[15:16], v[15:16], v[1:2]
	s_delay_alu instid0(VALU_DEP_1) | instskip(SKIP_3) | instid1(VALU_DEP_3)
	v_fma_f64 v[13:14], v[17:18], v[13:14], v[15:16]
	v_cndmask_b32_e64 v15, 0, 0xffffff80, vcc_lo
	v_cmp_class_f64_e64 vcc_lo, v[1:2], 0x260
	v_and_b32_e32 v16, 0x7fffffff, v4
	v_ldexp_f64 v[13:14], v[13:14], v15
	s_delay_alu instid0(VALU_DEP_1) | instskip(NEXT) | instid1(VALU_DEP_1)
	v_dual_cndmask_b32 v14, v14, v2 :: v_dual_cndmask_b32 v13, v13, v1
	v_add_f64 v[1:2], v[13:14], v[13:14]
	v_bfi_b32 v14, 0x7fffffff, v14, v4
	v_mov_b32_e32 v15, v3
	s_delay_alu instid0(VALU_DEP_1) | instskip(SKIP_1) | instid1(VALU_DEP_2)
	v_div_scale_f64 v[17:18], null, v[1:2], v[1:2], v[15:16]
	v_div_scale_f64 v[15:16], vcc_lo, v[15:16], v[1:2], v[15:16]
	v_rcp_f64_e32 v[23:24], v[17:18]
	s_waitcnt_depctr 0xfff
	v_fma_f64 v[28:29], -v[17:18], v[23:24], 1.0
	s_delay_alu instid0(VALU_DEP_1) | instskip(NEXT) | instid1(VALU_DEP_1)
	v_fma_f64 v[23:24], v[23:24], v[28:29], v[23:24]
	v_fma_f64 v[28:29], -v[17:18], v[23:24], 1.0
	s_delay_alu instid0(VALU_DEP_1) | instskip(NEXT) | instid1(VALU_DEP_1)
	v_fma_f64 v[23:24], v[23:24], v[28:29], v[23:24]
	v_mul_f64 v[28:29], v[15:16], v[23:24]
	s_delay_alu instid0(VALU_DEP_1) | instskip(NEXT) | instid1(VALU_DEP_1)
	v_fma_f64 v[15:16], -v[17:18], v[28:29], v[15:16]
	v_div_fmas_f64 v[15:16], v[15:16], v[23:24], v[28:29]
	s_delay_alu instid0(VALU_DEP_1) | instskip(SKIP_3) | instid1(SALU_CYCLE_1)
	v_div_fixup_f64 v[1:2], v[15:16], v[1:2], |v[3:4]|
	v_dual_mov_b32 v3, v13 :: v_dual_mov_b32 v4, v14
	s_or_b32 exec_lo, exec_lo, s2
	s_and_saveexec_b32 s2, s1
	s_xor_b32 s1, exec_lo, s2
	s_cbranch_execnz .LBB221_255
.LBB221_264:
	s_and_not1_saveexec_b32 s1, s1
.LBB221_265:
	s_delay_alu instid0(VALU_DEP_2) | instskip(NEXT) | instid1(VALU_DEP_2)
	v_add_f64 v[1:2], v[1:2], v[1:2]
	v_add_f64 v[3:4], v[3:4], v[3:4]
.LBB221_266:
	s_or_b32 exec_lo, exec_lo, s1
.LBB221_267:
	s_and_not1_saveexec_b32 s1, s11
	s_cbranch_execz .LBB221_273
; %bb.268:
	s_delay_alu instid0(VALU_DEP_1) | instskip(SKIP_1) | instid1(VALU_DEP_3)
	v_add_f64 v[13:14], v[3:4], -v[3:4]
	s_mov_b32 s2, exec_lo
	v_cmpx_lt_i64_e32 -1, v[1:2]
	s_xor_b32 s2, exec_lo, s2
; %bb.269:
	s_delay_alu instid0(VALU_DEP_2) | instskip(NEXT) | instid1(VALU_DEP_1)
	v_bfi_b32 v14, 0x7fffffff, v14, v4
	v_dual_mov_b32 v3, v13 :: v_dual_mov_b32 v4, v14
                                        ; implicit-def: $vgpr13_vgpr14
; %bb.270:
	s_and_not1_saveexec_b32 s2, s2
; %bb.271:
	s_delay_alu instid0(VALU_DEP_1) | instskip(SKIP_1) | instid1(VALU_DEP_2)
	v_bfi_b32 v2, 0x7fffffff, v2, v4
	v_and_b32_e32 v14, 0x7fffffff, v14
	v_dual_mov_b32 v4, v2 :: v_dual_mov_b32 v3, v1
	s_delay_alu instid0(VALU_DEP_2)
	v_dual_mov_b32 v1, v13 :: v_dual_mov_b32 v2, v14
; %bb.272:
	s_or_b32 exec_lo, exec_lo, s2
.LBB221_273:
	s_delay_alu instid0(SALU_CYCLE_1)
	s_or_b32 exec_lo, exec_lo, s1
.LBB221_274:
	s_and_not1_saveexec_b32 s1, s9
; %bb.275:
	s_delay_alu instid0(VALU_DEP_1) | instskip(NEXT) | instid1(VALU_DEP_1)
	v_add_f64 v[3:4], v[3:4], -v[3:4]
	v_div_scale_f64 v[13:14], vcc_lo, v[3:4], v[3:4], v[3:4]
	s_delay_alu instid0(VALU_DEP_1) | instskip(SKIP_2) | instid1(VALU_DEP_1)
	v_rcp_f64_e32 v[15:16], v[13:14]
	s_waitcnt_depctr 0xfff
	v_fma_f64 v[17:18], -v[13:14], v[15:16], 1.0
	v_fma_f64 v[15:16], v[15:16], v[17:18], v[15:16]
	s_delay_alu instid0(VALU_DEP_1) | instskip(NEXT) | instid1(VALU_DEP_1)
	v_fma_f64 v[17:18], -v[13:14], v[15:16], 1.0
	v_fma_f64 v[15:16], v[15:16], v[17:18], v[15:16]
	s_delay_alu instid0(VALU_DEP_1) | instskip(NEXT) | instid1(VALU_DEP_1)
	v_mul_f64 v[17:18], v[13:14], v[15:16]
	v_fma_f64 v[13:14], -v[13:14], v[17:18], v[13:14]
	s_delay_alu instid0(VALU_DEP_1) | instskip(NEXT) | instid1(VALU_DEP_1)
	v_div_fmas_f64 v[13:14], v[13:14], v[15:16], v[17:18]
	v_div_fixup_f64 v[3:4], v[13:14], v[3:4], v[3:4]
; %bb.276:
	s_or_b32 exec_lo, exec_lo, s1
	v_dual_mov_b32 v16, v2 :: v_dual_mov_b32 v15, v1
.LBB221_277:
	s_or_b32 exec_lo, exec_lo, s7
.LBB221_278:
	s_delay_alu instid0(SALU_CYCLE_1) | instskip(NEXT) | instid1(VALU_DEP_2)
	s_or_b32 exec_lo, exec_lo, s6
	v_dual_mov_b32 v18, v4 :: v_dual_mov_b32 v17, v3
	s_or_b32 exec_lo, exec_lo, s3
	s_and_saveexec_b32 s1, s0
	s_delay_alu instid0(SALU_CYCLE_1)
	s_xor_b32 s0, exec_lo, s1
	s_cbranch_execnz .LBB221_259
.LBB221_279:
	s_or_b32 exec_lo, exec_lo, s0
	s_delay_alu instid0(SALU_CYCLE_1)
	s_mov_b32 s0, exec_lo
	v_cmpx_gt_i32_e64 s10, v0
	s_cbranch_execz .LBB221_260
.LBB221_280:
	v_dual_mov_b32 v2, 0 :: v_dual_add_nc_u32 v1, s8, v0
	v_add_nc_u32_e32 v0, 0x100, v0
	s_delay_alu instid0(VALU_DEP_2) | instskip(NEXT) | instid1(VALU_DEP_1)
	v_lshlrev_b64 v[1:2], 4, v[1:2]
	v_add_co_u32 v1, vcc_lo, s4, v1
	s_delay_alu instid0(VALU_DEP_2) | instskip(SKIP_2) | instid1(SALU_CYCLE_1)
	v_add_co_ci_u32_e32 v2, vcc_lo, s5, v2, vcc_lo
	global_store_b128 v[1:2], v[5:8], off
	s_or_b32 exec_lo, exec_lo, s0
	s_mov_b32 s0, exec_lo
	v_cmpx_gt_i32_e64 s10, v0
	s_cbranch_execnz .LBB221_261
.LBB221_281:
	s_or_b32 exec_lo, exec_lo, s0
	s_delay_alu instid0(SALU_CYCLE_1)
	s_mov_b32 s0, exec_lo
	v_cmpx_gt_i32_e64 s10, v0
	s_cbranch_execz .LBB221_283
.LBB221_282:
	v_dual_mov_b32 v1, 0 :: v_dual_add_nc_u32 v0, s8, v0
	s_delay_alu instid0(VALU_DEP_1) | instskip(NEXT) | instid1(VALU_DEP_1)
	v_lshlrev_b64 v[0:1], 4, v[0:1]
	v_add_co_u32 v0, vcc_lo, s4, v0
	s_delay_alu instid0(VALU_DEP_2)
	v_add_co_ci_u32_e32 v1, vcc_lo, s5, v1, vcc_lo
	global_store_b128 v[0:1], v[15:18], off
.LBB221_283:
	s_nop 0
	s_sendmsg sendmsg(MSG_DEALLOC_VGPRS)
	s_endpgm
	.section	.rodata,"a",@progbits
	.p2align	6, 0x0
	.amdhsa_kernel _ZN2at6native29vectorized_elementwise_kernelILi2EZZZNS0_16sqrt_kernel_cudaERNS_18TensorIteratorBaseEENKUlvE_clEvENKUlvE_clEvEUlN3c107complexIdEEE_St5arrayIPcLm2EEEEviT0_T1_
		.amdhsa_group_segment_fixed_size 0
		.amdhsa_private_segment_fixed_size 0
		.amdhsa_kernarg_size 24
		.amdhsa_user_sgpr_count 15
		.amdhsa_user_sgpr_dispatch_ptr 0
		.amdhsa_user_sgpr_queue_ptr 0
		.amdhsa_user_sgpr_kernarg_segment_ptr 1
		.amdhsa_user_sgpr_dispatch_id 0
		.amdhsa_user_sgpr_private_segment_size 0
		.amdhsa_wavefront_size32 1
		.amdhsa_uses_dynamic_stack 0
		.amdhsa_enable_private_segment 0
		.amdhsa_system_sgpr_workgroup_id_x 1
		.amdhsa_system_sgpr_workgroup_id_y 0
		.amdhsa_system_sgpr_workgroup_id_z 0
		.amdhsa_system_sgpr_workgroup_info 0
		.amdhsa_system_vgpr_workitem_id 0
		.amdhsa_next_free_vgpr 32
		.amdhsa_next_free_sgpr 17
		.amdhsa_reserve_vcc 1
		.amdhsa_float_round_mode_32 0
		.amdhsa_float_round_mode_16_64 0
		.amdhsa_float_denorm_mode_32 3
		.amdhsa_float_denorm_mode_16_64 3
		.amdhsa_dx10_clamp 1
		.amdhsa_ieee_mode 1
		.amdhsa_fp16_overflow 0
		.amdhsa_workgroup_processor_mode 1
		.amdhsa_memory_ordered 1
		.amdhsa_forward_progress 0
		.amdhsa_shared_vgpr_count 0
		.amdhsa_exception_fp_ieee_invalid_op 0
		.amdhsa_exception_fp_denorm_src 0
		.amdhsa_exception_fp_ieee_div_zero 0
		.amdhsa_exception_fp_ieee_overflow 0
		.amdhsa_exception_fp_ieee_underflow 0
		.amdhsa_exception_fp_ieee_inexact 0
		.amdhsa_exception_int_div_zero 0
	.end_amdhsa_kernel
	.section	.text._ZN2at6native29vectorized_elementwise_kernelILi2EZZZNS0_16sqrt_kernel_cudaERNS_18TensorIteratorBaseEENKUlvE_clEvENKUlvE_clEvEUlN3c107complexIdEEE_St5arrayIPcLm2EEEEviT0_T1_,"axG",@progbits,_ZN2at6native29vectorized_elementwise_kernelILi2EZZZNS0_16sqrt_kernel_cudaERNS_18TensorIteratorBaseEENKUlvE_clEvENKUlvE_clEvEUlN3c107complexIdEEE_St5arrayIPcLm2EEEEviT0_T1_,comdat
.Lfunc_end221:
	.size	_ZN2at6native29vectorized_elementwise_kernelILi2EZZZNS0_16sqrt_kernel_cudaERNS_18TensorIteratorBaseEENKUlvE_clEvENKUlvE_clEvEUlN3c107complexIdEEE_St5arrayIPcLm2EEEEviT0_T1_, .Lfunc_end221-_ZN2at6native29vectorized_elementwise_kernelILi2EZZZNS0_16sqrt_kernel_cudaERNS_18TensorIteratorBaseEENKUlvE_clEvENKUlvE_clEvEUlN3c107complexIdEEE_St5arrayIPcLm2EEEEviT0_T1_
                                        ; -- End function
	.section	.AMDGPU.csdata,"",@progbits
; Kernel info:
; codeLenInByte = 13900
; NumSgprs: 19
; NumVgprs: 32
; ScratchSize: 0
; MemoryBound: 0
; FloatMode: 240
; IeeeMode: 1
; LDSByteSize: 0 bytes/workgroup (compile time only)
; SGPRBlocks: 2
; VGPRBlocks: 3
; NumSGPRsForWavesPerEU: 19
; NumVGPRsForWavesPerEU: 32
; Occupancy: 16
; WaveLimiterHint : 1
; COMPUTE_PGM_RSRC2:SCRATCH_EN: 0
; COMPUTE_PGM_RSRC2:USER_SGPR: 15
; COMPUTE_PGM_RSRC2:TRAP_HANDLER: 0
; COMPUTE_PGM_RSRC2:TGID_X_EN: 1
; COMPUTE_PGM_RSRC2:TGID_Y_EN: 0
; COMPUTE_PGM_RSRC2:TGID_Z_EN: 0
; COMPUTE_PGM_RSRC2:TIDIG_COMP_CNT: 0
	.section	.text._ZN2at6native27unrolled_elementwise_kernelIZZZNS0_16sqrt_kernel_cudaERNS_18TensorIteratorBaseEENKUlvE_clEvENKUlvE_clEvEUlN3c107complexIdEEE_St5arrayIPcLm2EELi4E23TrivialOffsetCalculatorILi1EjESE_NS0_6memory15LoadWithoutCastENSF_16StoreWithoutCastEEEviT_T0_T2_T3_T4_T5_,"axG",@progbits,_ZN2at6native27unrolled_elementwise_kernelIZZZNS0_16sqrt_kernel_cudaERNS_18TensorIteratorBaseEENKUlvE_clEvENKUlvE_clEvEUlN3c107complexIdEEE_St5arrayIPcLm2EELi4E23TrivialOffsetCalculatorILi1EjESE_NS0_6memory15LoadWithoutCastENSF_16StoreWithoutCastEEEviT_T0_T2_T3_T4_T5_,comdat
	.globl	_ZN2at6native27unrolled_elementwise_kernelIZZZNS0_16sqrt_kernel_cudaERNS_18TensorIteratorBaseEENKUlvE_clEvENKUlvE_clEvEUlN3c107complexIdEEE_St5arrayIPcLm2EELi4E23TrivialOffsetCalculatorILi1EjESE_NS0_6memory15LoadWithoutCastENSF_16StoreWithoutCastEEEviT_T0_T2_T3_T4_T5_ ; -- Begin function _ZN2at6native27unrolled_elementwise_kernelIZZZNS0_16sqrt_kernel_cudaERNS_18TensorIteratorBaseEENKUlvE_clEvENKUlvE_clEvEUlN3c107complexIdEEE_St5arrayIPcLm2EELi4E23TrivialOffsetCalculatorILi1EjESE_NS0_6memory15LoadWithoutCastENSF_16StoreWithoutCastEEEviT_T0_T2_T3_T4_T5_
	.p2align	8
	.type	_ZN2at6native27unrolled_elementwise_kernelIZZZNS0_16sqrt_kernel_cudaERNS_18TensorIteratorBaseEENKUlvE_clEvENKUlvE_clEvEUlN3c107complexIdEEE_St5arrayIPcLm2EELi4E23TrivialOffsetCalculatorILi1EjESE_NS0_6memory15LoadWithoutCastENSF_16StoreWithoutCastEEEviT_T0_T2_T3_T4_T5_,@function
_ZN2at6native27unrolled_elementwise_kernelIZZZNS0_16sqrt_kernel_cudaERNS_18TensorIteratorBaseEENKUlvE_clEvENKUlvE_clEvEUlN3c107complexIdEEE_St5arrayIPcLm2EELi4E23TrivialOffsetCalculatorILi1EjESE_NS0_6memory15LoadWithoutCastENSF_16StoreWithoutCastEEEviT_T0_T2_T3_T4_T5_: ; @_ZN2at6native27unrolled_elementwise_kernelIZZZNS0_16sqrt_kernel_cudaERNS_18TensorIteratorBaseEENKUlvE_clEvENKUlvE_clEvEUlN3c107complexIdEEE_St5arrayIPcLm2EELi4E23TrivialOffsetCalculatorILi1EjESE_NS0_6memory15LoadWithoutCastENSF_16StoreWithoutCastEEEviT_T0_T2_T3_T4_T5_
; %bb.0:
	s_clause 0x1
	s_load_b32 s2, s[0:1], 0x0
	s_load_b128 s[4:7], s[0:1], 0x8
	v_mov_b32_e32 v17, 0
	v_dual_mov_b32 v18, 0 :: v_dual_mov_b32 v5, v0
	s_lshl_b32 s3, s15, 10
	v_or_b32_e32 v27, 0x100, v0
	v_or_b32_e32 v25, s3, v0
	s_delay_alu instid0(VALU_DEP_3) | instskip(SKIP_3) | instid1(SALU_CYCLE_1)
	v_dual_mov_b32 v22, v18 :: v_dual_mov_b32 v21, v17
	v_dual_mov_b32 v24, v18 :: v_dual_mov_b32 v23, v17
	s_waitcnt lgkmcnt(0)
	s_sub_i32 s8, s2, s3
	v_cmp_gt_i32_e64 s0, s8, v0
	s_delay_alu instid0(VALU_DEP_1)
	s_and_saveexec_b32 s1, s0
	s_cbranch_execz .LBB222_2
; %bb.1:
	v_mov_b32_e32 v26, 0
	v_or_b32_e32 v5, 0x100, v0
	s_delay_alu instid0(VALU_DEP_2) | instskip(NEXT) | instid1(VALU_DEP_1)
	v_lshlrev_b64 v[1:2], 4, v[25:26]
	v_add_co_u32 v1, vcc_lo, s6, v1
	s_delay_alu instid0(VALU_DEP_2)
	v_add_co_ci_u32_e32 v2, vcc_lo, s7, v2, vcc_lo
	global_load_b128 v[21:24], v[1:2], off
.LBB222_2:
	s_or_b32 exec_lo, exec_lo, s1
	v_dual_mov_b32 v20, v18 :: v_dual_mov_b32 v19, v17
	s_mov_b32 s1, exec_lo
	v_cmpx_gt_i32_e64 s8, v5
	s_cbranch_execz .LBB222_4
; %bb.3:
	v_dual_mov_b32 v2, 0 :: v_dual_add_nc_u32 v1, s3, v5
	v_add_nc_u32_e32 v5, 0x100, v5
	s_delay_alu instid0(VALU_DEP_2) | instskip(NEXT) | instid1(VALU_DEP_1)
	v_lshlrev_b64 v[1:2], 4, v[1:2]
	v_add_co_u32 v1, vcc_lo, s6, v1
	s_delay_alu instid0(VALU_DEP_2)
	v_add_co_ci_u32_e32 v2, vcc_lo, s7, v2, vcc_lo
	global_load_b128 v[17:20], v[1:2], off
.LBB222_4:
	s_or_b32 exec_lo, exec_lo, s1
	v_mov_b32_e32 v1, 0
	v_mov_b32_e32 v2, 0
	s_mov_b32 s1, exec_lo
	s_delay_alu instid0(VALU_DEP_1)
	v_dual_mov_b32 v14, v2 :: v_dual_mov_b32 v13, v1
	v_dual_mov_b32 v16, v2 :: v_dual_mov_b32 v15, v1
	v_cmpx_gt_i32_e64 s8, v5
	s_cbranch_execz .LBB222_6
; %bb.5:
	v_dual_mov_b32 v4, 0 :: v_dual_add_nc_u32 v3, s3, v5
	v_add_nc_u32_e32 v5, 0x100, v5
	s_delay_alu instid0(VALU_DEP_2) | instskip(NEXT) | instid1(VALU_DEP_1)
	v_lshlrev_b64 v[3:4], 4, v[3:4]
	v_add_co_u32 v3, vcc_lo, s6, v3
	s_delay_alu instid0(VALU_DEP_2)
	v_add_co_ci_u32_e32 v4, vcc_lo, s7, v4, vcc_lo
	global_load_b128 v[13:16], v[3:4], off
.LBB222_6:
	s_or_b32 exec_lo, exec_lo, s1
	v_dual_mov_b32 v4, v2 :: v_dual_mov_b32 v3, v1
	s_mov_b32 s1, exec_lo
	v_cmpx_gt_i32_e64 s8, v5
	s_cbranch_execz .LBB222_8
; %bb.7:
	v_dual_mov_b32 v2, 0 :: v_dual_add_nc_u32 v1, s3, v5
	s_delay_alu instid0(VALU_DEP_1) | instskip(NEXT) | instid1(VALU_DEP_1)
	v_lshlrev_b64 v[1:2], 4, v[1:2]
	v_add_co_u32 v1, vcc_lo, s6, v1
	s_delay_alu instid0(VALU_DEP_2)
	v_add_co_ci_u32_e32 v2, vcc_lo, s7, v2, vcc_lo
	global_load_b128 v[1:4], v[1:2], off
.LBB222_8:
	s_or_b32 exec_lo, exec_lo, s1
	v_mov_b32_e32 v7, 0
	v_mov_b32_e32 v8, 0
	s_delay_alu instid0(VALU_DEP_1)
	v_dual_mov_b32 v12, v8 :: v_dual_mov_b32 v11, v7
	v_dual_mov_b32 v10, v8 :: v_dual_mov_b32 v9, v7
	s_and_saveexec_b32 s6, s0
	s_cbranch_execz .LBB222_42
; %bb.9:
	s_waitcnt vmcnt(0)
	v_cmp_neq_f64_e32 vcc_lo, 0, v[21:22]
	v_cmp_neq_f64_e64 s1, 0, v[23:24]
	v_mov_b32_e32 v9, 0
	v_mov_b32_e32 v10, 0
	s_delay_alu instid0(VALU_DEP_3) | instskip(NEXT) | instid1(SALU_CYCLE_1)
	s_or_b32 s1, vcc_lo, s1
	s_and_saveexec_b32 s7, s1
	s_cbranch_execz .LBB222_41
; %bb.10:
	s_mov_b32 s10, 0
	s_mov_b32 s11, 0x7ff00000
	v_mov_b32_e32 v9, s10
	v_mov_b32_e32 v10, s11
	s_mov_b32 s9, exec_lo
	v_cmpx_neq_f64_e64 0x7ff00000, |v[23:24]|
	s_cbranch_execz .LBB222_40
; %bb.11:
	s_mov_b32 s1, exec_lo
	v_cmpx_o_f64_e32 v[21:22], v[21:22]
	s_xor_b32 s10, exec_lo, s1
	s_cbranch_execz .LBB222_37
; %bb.12:
	s_mov_b32 s2, exec_lo
	v_cmpx_neq_f64_e64 0x7ff00000, |v[21:22]|
	s_xor_b32 s11, exec_lo, s2
	s_cbranch_execz .LBB222_30
; %bb.13:
	v_max_f64 v[5:6], |v[23:24]|, |v[23:24]|
	v_max_f64 v[9:10], |v[21:22]|, |v[21:22]|
	s_mov_b32 s12, 0x99fcef32
	s_mov_b32 s13, 0x7fda8279
	s_delay_alu instid0(VALU_DEP_1) | instskip(NEXT) | instid1(VALU_DEP_1)
	v_max_f64 v[5:6], v[9:10], v[5:6]
	v_cmp_nle_f64_e64 s1, s[12:13], v[5:6]
                                        ; implicit-def: $sgpr12
	s_delay_alu instid0(VALU_DEP_1) | instskip(NEXT) | instid1(SALU_CYCLE_1)
	s_and_saveexec_b32 s2, s1
	s_xor_b32 s2, exec_lo, s2
	s_cbranch_execz .LBB222_17
; %bb.14:
	v_cmp_ge_f64_e64 s12, 0x200000, |v[21:22]|
	v_cmp_ge_f64_e64 s13, 0x200000, |v[23:24]|
	s_delay_alu instid0(VALU_DEP_1)
	s_and_b32 s14, s12, s13
	s_mov_b32 s12, 0
	s_and_saveexec_b32 s13, s14
; %bb.15:
	v_mul_f64 v[21:22], v[21:22], 4.0
	v_mul_f64 v[23:24], v[23:24], 4.0
	s_mov_b32 s12, exec_lo
; %bb.16:
	s_or_b32 exec_lo, exec_lo, s13
	s_delay_alu instid0(SALU_CYCLE_1)
	s_and_b32 s12, s12, exec_lo
.LBB222_17:
	s_and_not1_saveexec_b32 s2, s2
; %bb.18:
	s_delay_alu instid0(VALU_DEP_2) | instskip(NEXT) | instid1(VALU_DEP_2)
	v_ldexp_f64 v[21:22], v[21:22], -2
	v_ldexp_f64 v[23:24], v[23:24], -2
	s_and_not1_b32 s12, s12, exec_lo
; %bb.19:
	s_or_b32 exec_lo, exec_lo, s2
	s_delay_alu instid0(VALU_DEP_1) | instskip(NEXT) | instid1(VALU_DEP_3)
	v_max_f64 v[5:6], |v[23:24]|, |v[23:24]|
	v_max_f64 v[9:10], |v[21:22]|, |v[21:22]|
	v_cmp_class_f64_e64 s13, v[21:22], 0x204
	v_cmp_class_f64_e64 s14, v[23:24], 0x204
	v_cmp_le_f64_e64 s2, 0, v[21:22]
	s_delay_alu instid0(VALU_DEP_4) | instskip(NEXT) | instid1(VALU_DEP_3)
	v_max_f64 v[5:6], v[9:10], v[5:6]
	s_or_b32 s13, s14, s13
	s_delay_alu instid0(VALU_DEP_1) | instskip(NEXT) | instid1(VALU_DEP_1)
	v_frexp_exp_i32_f64_e32 v26, v[5:6]
	v_sub_nc_u32_e32 v9, 0, v26
	s_delay_alu instid0(VALU_DEP_1) | instskip(SKIP_1) | instid1(VALU_DEP_2)
	v_ldexp_f64 v[5:6], |v[23:24]|, v9
	v_ldexp_f64 v[9:10], |v[21:22]|, v9
	v_mul_f64 v[5:6], v[5:6], v[5:6]
	s_delay_alu instid0(VALU_DEP_1) | instskip(NEXT) | instid1(VALU_DEP_1)
	v_fma_f64 v[5:6], v[9:10], v[9:10], v[5:6]
	v_rsq_f64_e32 v[9:10], v[5:6]
	v_cmp_eq_f64_e32 vcc_lo, 0, v[5:6]
	s_waitcnt_depctr 0xfff
	v_mul_f64 v[11:12], v[5:6], v[9:10]
	v_mul_f64 v[9:10], v[9:10], 0.5
	s_delay_alu instid0(VALU_DEP_1) | instskip(NEXT) | instid1(VALU_DEP_1)
	v_fma_f64 v[28:29], -v[9:10], v[11:12], 0.5
	v_fma_f64 v[11:12], v[11:12], v[28:29], v[11:12]
	v_fma_f64 v[9:10], v[9:10], v[28:29], v[9:10]
	s_delay_alu instid0(VALU_DEP_2) | instskip(NEXT) | instid1(VALU_DEP_1)
	v_fma_f64 v[28:29], -v[11:12], v[11:12], v[5:6]
	v_fma_f64 v[9:10], v[28:29], v[9:10], v[11:12]
	s_delay_alu instid0(VALU_DEP_1) | instskip(SKIP_1) | instid1(VALU_DEP_2)
	v_dual_cndmask_b32 v6, v10, v6 :: v_dual_cndmask_b32 v5, v9, v5
	v_cmp_o_f64_e32 vcc_lo, v[23:24], v[23:24]
	v_ldexp_f64 v[5:6], v[5:6], v26
	s_delay_alu instid0(VALU_DEP_1) | instskip(NEXT) | instid1(VALU_DEP_2)
	v_cndmask_b32_e32 v5, 0, v5, vcc_lo
	v_cndmask_b32_e32 v6, 0x7ff80000, v6, vcc_lo
	s_delay_alu instid0(VALU_DEP_2) | instskip(NEXT) | instid1(VALU_DEP_2)
	v_cndmask_b32_e64 v5, v5, 0, s13
	v_cndmask_b32_e64 v6, v6, 0x7ff00000, s13
	s_and_saveexec_b32 s13, s2
	s_delay_alu instid0(SALU_CYCLE_1)
	s_xor_b32 s2, exec_lo, s13
	s_cbranch_execz .LBB222_25
; %bb.20:
	s_delay_alu instid0(VALU_DEP_1) | instskip(NEXT) | instid1(VALU_DEP_1)
	v_add_f64 v[5:6], v[21:22], v[5:6]
	v_mul_f64 v[5:6], v[5:6], 0.5
	s_delay_alu instid0(VALU_DEP_1) | instskip(SKIP_1) | instid1(VALU_DEP_1)
	v_cmp_gt_f64_e32 vcc_lo, 0x10000000, v[5:6]
	v_cndmask_b32_e64 v9, 0, 1, vcc_lo
	v_lshlrev_b32_e32 v9, 8, v9
	s_delay_alu instid0(VALU_DEP_1) | instskip(NEXT) | instid1(VALU_DEP_1)
	v_ldexp_f64 v[5:6], v[5:6], v9
	v_rsq_f64_e32 v[9:10], v[5:6]
	s_waitcnt_depctr 0xfff
	v_mul_f64 v[11:12], v[5:6], v[9:10]
	v_mul_f64 v[9:10], v[9:10], 0.5
	s_delay_alu instid0(VALU_DEP_1) | instskip(NEXT) | instid1(VALU_DEP_1)
	v_fma_f64 v[21:22], -v[9:10], v[11:12], 0.5
	v_fma_f64 v[11:12], v[11:12], v[21:22], v[11:12]
	v_fma_f64 v[9:10], v[9:10], v[21:22], v[9:10]
	s_delay_alu instid0(VALU_DEP_2) | instskip(NEXT) | instid1(VALU_DEP_1)
	v_fma_f64 v[21:22], -v[11:12], v[11:12], v[5:6]
	v_fma_f64 v[11:12], v[21:22], v[9:10], v[11:12]
	s_delay_alu instid0(VALU_DEP_1) | instskip(NEXT) | instid1(VALU_DEP_1)
	v_fma_f64 v[21:22], -v[11:12], v[11:12], v[5:6]
	v_fma_f64 v[9:10], v[21:22], v[9:10], v[11:12]
	v_cndmask_b32_e64 v11, 0, 0xffffff80, vcc_lo
	v_cmp_class_f64_e64 vcc_lo, v[5:6], 0x260
	s_delay_alu instid0(VALU_DEP_2) | instskip(NEXT) | instid1(VALU_DEP_1)
	v_ldexp_f64 v[9:10], v[9:10], v11
	v_dual_cndmask_b32 v22, v10, v6 :: v_dual_cndmask_b32 v21, v9, v5
	s_delay_alu instid0(VALU_DEP_1) | instskip(NEXT) | instid1(VALU_DEP_1)
	v_add_f64 v[5:6], v[21:22], v[21:22]
	v_div_scale_f64 v[9:10], null, v[5:6], v[5:6], v[23:24]
	s_delay_alu instid0(VALU_DEP_1) | instskip(SKIP_2) | instid1(VALU_DEP_1)
	v_rcp_f64_e32 v[11:12], v[9:10]
	s_waitcnt_depctr 0xfff
	v_fma_f64 v[28:29], -v[9:10], v[11:12], 1.0
	v_fma_f64 v[11:12], v[11:12], v[28:29], v[11:12]
	s_delay_alu instid0(VALU_DEP_1) | instskip(NEXT) | instid1(VALU_DEP_1)
	v_fma_f64 v[28:29], -v[9:10], v[11:12], 1.0
	v_fma_f64 v[11:12], v[11:12], v[28:29], v[11:12]
	v_div_scale_f64 v[28:29], vcc_lo, v[23:24], v[5:6], v[23:24]
	s_delay_alu instid0(VALU_DEP_1) | instskip(NEXT) | instid1(VALU_DEP_1)
	v_mul_f64 v[30:31], v[28:29], v[11:12]
	v_fma_f64 v[9:10], -v[9:10], v[30:31], v[28:29]
	s_delay_alu instid0(VALU_DEP_1) | instskip(NEXT) | instid1(VALU_DEP_1)
	v_div_fmas_f64 v[9:10], v[9:10], v[11:12], v[30:31]
	v_div_fixup_f64 v[23:24], v[9:10], v[5:6], v[23:24]
                                        ; implicit-def: $vgpr5_vgpr6
	s_and_not1_saveexec_b32 s2, s2
	s_cbranch_execnz .LBB222_26
.LBB222_21:
	s_or_b32 exec_lo, exec_lo, s2
	s_and_saveexec_b32 s2, s1
	s_delay_alu instid0(SALU_CYCLE_1)
	s_xor_b32 s1, exec_lo, s2
	s_cbranch_execz .LBB222_27
.LBB222_22:
	s_and_saveexec_b32 s2, s12
; %bb.23:
	s_delay_alu instid0(VALU_DEP_2) | instskip(NEXT) | instid1(VALU_DEP_2)
	v_mul_f64 v[21:22], v[21:22], 0.5
	v_mul_f64 v[23:24], v[23:24], 0.5
; %bb.24:
	s_or_b32 exec_lo, exec_lo, s2
	s_and_not1_saveexec_b32 s1, s1
	s_cbranch_execnz .LBB222_28
	s_branch .LBB222_29
.LBB222_25:
	s_and_not1_saveexec_b32 s2, s2
	s_cbranch_execz .LBB222_21
.LBB222_26:
	v_add_f64 v[5:6], v[5:6], -v[21:22]
	s_delay_alu instid0(VALU_DEP_1) | instskip(NEXT) | instid1(VALU_DEP_1)
	v_mul_f64 v[5:6], v[5:6], 0.5
	v_cmp_gt_f64_e32 vcc_lo, 0x10000000, v[5:6]
	v_cndmask_b32_e64 v9, 0, 1, vcc_lo
	s_delay_alu instid0(VALU_DEP_1) | instskip(NEXT) | instid1(VALU_DEP_1)
	v_lshlrev_b32_e32 v9, 8, v9
	v_ldexp_f64 v[5:6], v[5:6], v9
	s_delay_alu instid0(VALU_DEP_1) | instskip(SKIP_3) | instid1(VALU_DEP_1)
	v_rsq_f64_e32 v[9:10], v[5:6]
	s_waitcnt_depctr 0xfff
	v_mul_f64 v[11:12], v[5:6], v[9:10]
	v_mul_f64 v[9:10], v[9:10], 0.5
	v_fma_f64 v[21:22], -v[9:10], v[11:12], 0.5
	s_delay_alu instid0(VALU_DEP_1) | instskip(SKIP_1) | instid1(VALU_DEP_2)
	v_fma_f64 v[11:12], v[11:12], v[21:22], v[11:12]
	v_fma_f64 v[9:10], v[9:10], v[21:22], v[9:10]
	v_fma_f64 v[21:22], -v[11:12], v[11:12], v[5:6]
	s_delay_alu instid0(VALU_DEP_1) | instskip(NEXT) | instid1(VALU_DEP_1)
	v_fma_f64 v[11:12], v[21:22], v[9:10], v[11:12]
	v_fma_f64 v[21:22], -v[11:12], v[11:12], v[5:6]
	s_delay_alu instid0(VALU_DEP_1) | instskip(SKIP_3) | instid1(VALU_DEP_3)
	v_fma_f64 v[9:10], v[21:22], v[9:10], v[11:12]
	v_cndmask_b32_e64 v11, 0, 0xffffff80, vcc_lo
	v_cmp_class_f64_e64 vcc_lo, v[5:6], 0x260
	v_and_b32_e32 v12, 0x7fffffff, v24
	v_ldexp_f64 v[9:10], v[9:10], v11
	s_delay_alu instid0(VALU_DEP_1) | instskip(NEXT) | instid1(VALU_DEP_1)
	v_dual_cndmask_b32 v6, v10, v6 :: v_dual_cndmask_b32 v5, v9, v5
	v_add_f64 v[9:10], v[5:6], v[5:6]
	v_bfi_b32 v6, 0x7fffffff, v6, v24
	v_mov_b32_e32 v11, v23
	s_delay_alu instid0(VALU_DEP_1) | instskip(SKIP_1) | instid1(VALU_DEP_2)
	v_div_scale_f64 v[21:22], null, v[9:10], v[9:10], v[11:12]
	v_div_scale_f64 v[11:12], vcc_lo, v[11:12], v[9:10], v[11:12]
	v_rcp_f64_e32 v[28:29], v[21:22]
	s_waitcnt_depctr 0xfff
	v_fma_f64 v[30:31], -v[21:22], v[28:29], 1.0
	s_delay_alu instid0(VALU_DEP_1) | instskip(NEXT) | instid1(VALU_DEP_1)
	v_fma_f64 v[28:29], v[28:29], v[30:31], v[28:29]
	v_fma_f64 v[30:31], -v[21:22], v[28:29], 1.0
	s_delay_alu instid0(VALU_DEP_1) | instskip(NEXT) | instid1(VALU_DEP_1)
	v_fma_f64 v[28:29], v[28:29], v[30:31], v[28:29]
	v_mul_f64 v[30:31], v[11:12], v[28:29]
	s_delay_alu instid0(VALU_DEP_1) | instskip(NEXT) | instid1(VALU_DEP_1)
	v_fma_f64 v[11:12], -v[21:22], v[30:31], v[11:12]
	v_div_fmas_f64 v[11:12], v[11:12], v[28:29], v[30:31]
	s_delay_alu instid0(VALU_DEP_1) | instskip(SKIP_3) | instid1(SALU_CYCLE_1)
	v_div_fixup_f64 v[21:22], v[11:12], v[9:10], |v[23:24]|
	v_dual_mov_b32 v24, v6 :: v_dual_mov_b32 v23, v5
	s_or_b32 exec_lo, exec_lo, s2
	s_and_saveexec_b32 s2, s1
	s_xor_b32 s1, exec_lo, s2
	s_cbranch_execnz .LBB222_22
.LBB222_27:
	s_and_not1_saveexec_b32 s1, s1
.LBB222_28:
	s_delay_alu instid0(VALU_DEP_2) | instskip(NEXT) | instid1(VALU_DEP_2)
	v_add_f64 v[21:22], v[21:22], v[21:22]
	v_add_f64 v[23:24], v[23:24], v[23:24]
.LBB222_29:
	s_or_b32 exec_lo, exec_lo, s1
.LBB222_30:
	s_and_not1_saveexec_b32 s1, s11
	s_cbranch_execz .LBB222_36
; %bb.31:
	s_delay_alu instid0(VALU_DEP_1) | instskip(SKIP_1) | instid1(VALU_DEP_3)
	v_add_f64 v[5:6], v[23:24], -v[23:24]
	s_mov_b32 s2, exec_lo
	v_cmpx_lt_i64_e32 -1, v[21:22]
	s_xor_b32 s2, exec_lo, s2
; %bb.32:
	s_delay_alu instid0(VALU_DEP_2) | instskip(NEXT) | instid1(VALU_DEP_1)
	v_bfi_b32 v6, 0x7fffffff, v6, v24
	v_dual_mov_b32 v24, v6 :: v_dual_mov_b32 v23, v5
                                        ; implicit-def: $vgpr5_vgpr6
; %bb.33:
	s_and_not1_saveexec_b32 s2, s2
; %bb.34:
	s_delay_alu instid0(VALU_DEP_1) | instskip(SKIP_1) | instid1(VALU_DEP_2)
	v_bfi_b32 v22, 0x7fffffff, v22, v24
	v_and_b32_e32 v6, 0x7fffffff, v6
	v_dual_mov_b32 v24, v22 :: v_dual_mov_b32 v23, v21
	s_delay_alu instid0(VALU_DEP_2)
	v_dual_mov_b32 v22, v6 :: v_dual_mov_b32 v21, v5
; %bb.35:
	s_or_b32 exec_lo, exec_lo, s2
.LBB222_36:
	s_delay_alu instid0(SALU_CYCLE_1)
	s_or_b32 exec_lo, exec_lo, s1
.LBB222_37:
	s_and_not1_saveexec_b32 s1, s10
; %bb.38:
	s_delay_alu instid0(VALU_DEP_1) | instskip(NEXT) | instid1(VALU_DEP_1)
	v_add_f64 v[5:6], v[23:24], -v[23:24]
	v_div_scale_f64 v[9:10], vcc_lo, v[5:6], v[5:6], v[5:6]
	s_delay_alu instid0(VALU_DEP_1) | instskip(SKIP_2) | instid1(VALU_DEP_1)
	v_rcp_f64_e32 v[11:12], v[9:10]
	s_waitcnt_depctr 0xfff
	v_fma_f64 v[23:24], -v[9:10], v[11:12], 1.0
	v_fma_f64 v[11:12], v[11:12], v[23:24], v[11:12]
	s_delay_alu instid0(VALU_DEP_1) | instskip(NEXT) | instid1(VALU_DEP_1)
	v_fma_f64 v[23:24], -v[9:10], v[11:12], 1.0
	v_fma_f64 v[11:12], v[11:12], v[23:24], v[11:12]
	s_delay_alu instid0(VALU_DEP_1) | instskip(NEXT) | instid1(VALU_DEP_1)
	v_mul_f64 v[23:24], v[9:10], v[11:12]
	v_fma_f64 v[9:10], -v[9:10], v[23:24], v[9:10]
	s_delay_alu instid0(VALU_DEP_1) | instskip(NEXT) | instid1(VALU_DEP_1)
	v_div_fmas_f64 v[9:10], v[9:10], v[11:12], v[23:24]
	v_div_fixup_f64 v[23:24], v[9:10], v[5:6], v[5:6]
; %bb.39:
	s_or_b32 exec_lo, exec_lo, s1
	v_dual_mov_b32 v9, v21 :: v_dual_mov_b32 v10, v22
.LBB222_40:
	s_or_b32 exec_lo, exec_lo, s9
.LBB222_41:
	s_delay_alu instid0(SALU_CYCLE_1) | instskip(NEXT) | instid1(VALU_DEP_2)
	s_or_b32 exec_lo, exec_lo, s7
	v_dual_mov_b32 v11, v23 :: v_dual_mov_b32 v12, v24
.LBB222_42:
	s_or_b32 exec_lo, exec_lo, s6
	v_dual_mov_b32 v5, v7 :: v_dual_mov_b32 v6, v8
	s_mov_b32 s6, exec_lo
	v_cmpx_gt_i32_e64 s8, v27
	s_cbranch_execz .LBB222_76
; %bb.43:
	s_waitcnt vmcnt(0)
	v_cmp_neq_f64_e32 vcc_lo, 0, v[17:18]
	v_cmp_neq_f64_e64 s1, 0, v[19:20]
	v_mov_b32_e32 v5, 0
	v_mov_b32_e32 v6, 0
	s_delay_alu instid0(VALU_DEP_3) | instskip(NEXT) | instid1(SALU_CYCLE_1)
	s_or_b32 s1, vcc_lo, s1
	s_and_saveexec_b32 s7, s1
	s_cbranch_execz .LBB222_75
; %bb.44:
	s_mov_b32 s10, 0
	s_mov_b32 s11, 0x7ff00000
	v_mov_b32_e32 v5, s10
	v_mov_b32_e32 v6, s11
	s_mov_b32 s9, exec_lo
	v_cmpx_neq_f64_e64 0x7ff00000, |v[19:20]|
	s_cbranch_execz .LBB222_74
; %bb.45:
	s_mov_b32 s1, exec_lo
	v_cmpx_o_f64_e32 v[17:18], v[17:18]
	s_xor_b32 s10, exec_lo, s1
	s_cbranch_execz .LBB222_71
; %bb.46:
	s_mov_b32 s2, exec_lo
	v_cmpx_neq_f64_e64 0x7ff00000, |v[17:18]|
	s_xor_b32 s11, exec_lo, s2
	s_cbranch_execz .LBB222_64
; %bb.47:
	v_max_f64 v[5:6], |v[19:20]|, |v[19:20]|
	v_max_f64 v[7:8], |v[17:18]|, |v[17:18]|
	s_mov_b32 s12, 0x99fcef32
	s_mov_b32 s13, 0x7fda8279
	s_delay_alu instid0(VALU_DEP_1) | instskip(NEXT) | instid1(VALU_DEP_1)
	v_max_f64 v[5:6], v[7:8], v[5:6]
	v_cmp_nle_f64_e64 s1, s[12:13], v[5:6]
                                        ; implicit-def: $sgpr12
	s_delay_alu instid0(VALU_DEP_1) | instskip(NEXT) | instid1(SALU_CYCLE_1)
	s_and_saveexec_b32 s2, s1
	s_xor_b32 s2, exec_lo, s2
	s_cbranch_execz .LBB222_51
; %bb.48:
	v_cmp_ge_f64_e64 s12, 0x200000, |v[17:18]|
	v_cmp_ge_f64_e64 s13, 0x200000, |v[19:20]|
	s_delay_alu instid0(VALU_DEP_1)
	s_and_b32 s14, s12, s13
	s_mov_b32 s12, 0
	s_and_saveexec_b32 s13, s14
; %bb.49:
	v_mul_f64 v[17:18], v[17:18], 4.0
	v_mul_f64 v[19:20], v[19:20], 4.0
	s_mov_b32 s12, exec_lo
; %bb.50:
	s_or_b32 exec_lo, exec_lo, s13
	s_delay_alu instid0(SALU_CYCLE_1)
	s_and_b32 s12, s12, exec_lo
.LBB222_51:
	s_and_not1_saveexec_b32 s2, s2
; %bb.52:
	s_delay_alu instid0(VALU_DEP_2) | instskip(NEXT) | instid1(VALU_DEP_2)
	v_ldexp_f64 v[17:18], v[17:18], -2
	v_ldexp_f64 v[19:20], v[19:20], -2
	s_and_not1_b32 s12, s12, exec_lo
; %bb.53:
	s_or_b32 exec_lo, exec_lo, s2
	s_delay_alu instid0(VALU_DEP_1) | instskip(NEXT) | instid1(VALU_DEP_3)
	v_max_f64 v[5:6], |v[19:20]|, |v[19:20]|
	v_max_f64 v[7:8], |v[17:18]|, |v[17:18]|
	v_cmp_class_f64_e64 s13, v[17:18], 0x204
	v_cmp_class_f64_e64 s14, v[19:20], 0x204
	v_cmp_le_f64_e64 s2, 0, v[17:18]
	s_delay_alu instid0(VALU_DEP_4) | instskip(NEXT) | instid1(VALU_DEP_3)
	v_max_f64 v[5:6], v[7:8], v[5:6]
	s_or_b32 s13, s14, s13
	s_delay_alu instid0(VALU_DEP_1) | instskip(NEXT) | instid1(VALU_DEP_1)
	v_frexp_exp_i32_f64_e32 v26, v[5:6]
	v_sub_nc_u32_e32 v7, 0, v26
	s_delay_alu instid0(VALU_DEP_1) | instskip(SKIP_1) | instid1(VALU_DEP_2)
	v_ldexp_f64 v[5:6], |v[19:20]|, v7
	v_ldexp_f64 v[7:8], |v[17:18]|, v7
	v_mul_f64 v[5:6], v[5:6], v[5:6]
	s_delay_alu instid0(VALU_DEP_1) | instskip(NEXT) | instid1(VALU_DEP_1)
	v_fma_f64 v[5:6], v[7:8], v[7:8], v[5:6]
	v_rsq_f64_e32 v[7:8], v[5:6]
	v_cmp_eq_f64_e32 vcc_lo, 0, v[5:6]
	s_waitcnt_depctr 0xfff
	v_mul_f64 v[21:22], v[5:6], v[7:8]
	v_mul_f64 v[7:8], v[7:8], 0.5
	s_delay_alu instid0(VALU_DEP_1) | instskip(NEXT) | instid1(VALU_DEP_1)
	v_fma_f64 v[23:24], -v[7:8], v[21:22], 0.5
	v_fma_f64 v[21:22], v[21:22], v[23:24], v[21:22]
	v_fma_f64 v[7:8], v[7:8], v[23:24], v[7:8]
	s_delay_alu instid0(VALU_DEP_2) | instskip(NEXT) | instid1(VALU_DEP_1)
	v_fma_f64 v[23:24], -v[21:22], v[21:22], v[5:6]
	v_fma_f64 v[7:8], v[23:24], v[7:8], v[21:22]
	s_delay_alu instid0(VALU_DEP_1) | instskip(SKIP_1) | instid1(VALU_DEP_2)
	v_dual_cndmask_b32 v6, v8, v6 :: v_dual_cndmask_b32 v5, v7, v5
	v_cmp_o_f64_e32 vcc_lo, v[19:20], v[19:20]
	v_ldexp_f64 v[5:6], v[5:6], v26
	s_delay_alu instid0(VALU_DEP_1) | instskip(NEXT) | instid1(VALU_DEP_2)
	v_cndmask_b32_e32 v5, 0, v5, vcc_lo
	v_cndmask_b32_e32 v6, 0x7ff80000, v6, vcc_lo
	s_delay_alu instid0(VALU_DEP_2) | instskip(NEXT) | instid1(VALU_DEP_2)
	v_cndmask_b32_e64 v5, v5, 0, s13
	v_cndmask_b32_e64 v6, v6, 0x7ff00000, s13
	s_and_saveexec_b32 s13, s2
	s_delay_alu instid0(SALU_CYCLE_1)
	s_xor_b32 s2, exec_lo, s13
	s_cbranch_execz .LBB222_59
; %bb.54:
	s_delay_alu instid0(VALU_DEP_1) | instskip(NEXT) | instid1(VALU_DEP_1)
	v_add_f64 v[5:6], v[17:18], v[5:6]
	v_mul_f64 v[5:6], v[5:6], 0.5
	s_delay_alu instid0(VALU_DEP_1) | instskip(SKIP_1) | instid1(VALU_DEP_1)
	v_cmp_gt_f64_e32 vcc_lo, 0x10000000, v[5:6]
	v_cndmask_b32_e64 v7, 0, 1, vcc_lo
	v_lshlrev_b32_e32 v7, 8, v7
	s_delay_alu instid0(VALU_DEP_1) | instskip(NEXT) | instid1(VALU_DEP_1)
	v_ldexp_f64 v[5:6], v[5:6], v7
	v_rsq_f64_e32 v[7:8], v[5:6]
	s_waitcnt_depctr 0xfff
	v_mul_f64 v[17:18], v[5:6], v[7:8]
	v_mul_f64 v[7:8], v[7:8], 0.5
	s_delay_alu instid0(VALU_DEP_1) | instskip(NEXT) | instid1(VALU_DEP_1)
	v_fma_f64 v[21:22], -v[7:8], v[17:18], 0.5
	v_fma_f64 v[17:18], v[17:18], v[21:22], v[17:18]
	v_fma_f64 v[7:8], v[7:8], v[21:22], v[7:8]
	s_delay_alu instid0(VALU_DEP_2) | instskip(NEXT) | instid1(VALU_DEP_1)
	v_fma_f64 v[21:22], -v[17:18], v[17:18], v[5:6]
	v_fma_f64 v[17:18], v[21:22], v[7:8], v[17:18]
	s_delay_alu instid0(VALU_DEP_1) | instskip(NEXT) | instid1(VALU_DEP_1)
	v_fma_f64 v[21:22], -v[17:18], v[17:18], v[5:6]
	v_fma_f64 v[7:8], v[21:22], v[7:8], v[17:18]
	v_cndmask_b32_e64 v17, 0, 0xffffff80, vcc_lo
	v_cmp_class_f64_e64 vcc_lo, v[5:6], 0x260
	s_delay_alu instid0(VALU_DEP_2) | instskip(NEXT) | instid1(VALU_DEP_1)
	v_ldexp_f64 v[7:8], v[7:8], v17
	v_dual_cndmask_b32 v18, v8, v6 :: v_dual_cndmask_b32 v17, v7, v5
	s_delay_alu instid0(VALU_DEP_1) | instskip(NEXT) | instid1(VALU_DEP_1)
	v_add_f64 v[5:6], v[17:18], v[17:18]
	v_div_scale_f64 v[7:8], null, v[5:6], v[5:6], v[19:20]
	s_delay_alu instid0(VALU_DEP_1) | instskip(SKIP_2) | instid1(VALU_DEP_1)
	v_rcp_f64_e32 v[21:22], v[7:8]
	s_waitcnt_depctr 0xfff
	v_fma_f64 v[23:24], -v[7:8], v[21:22], 1.0
	v_fma_f64 v[21:22], v[21:22], v[23:24], v[21:22]
	s_delay_alu instid0(VALU_DEP_1) | instskip(NEXT) | instid1(VALU_DEP_1)
	v_fma_f64 v[23:24], -v[7:8], v[21:22], 1.0
	v_fma_f64 v[21:22], v[21:22], v[23:24], v[21:22]
	v_div_scale_f64 v[23:24], vcc_lo, v[19:20], v[5:6], v[19:20]
	s_delay_alu instid0(VALU_DEP_1) | instskip(NEXT) | instid1(VALU_DEP_1)
	v_mul_f64 v[28:29], v[23:24], v[21:22]
	v_fma_f64 v[7:8], -v[7:8], v[28:29], v[23:24]
	s_delay_alu instid0(VALU_DEP_1) | instskip(NEXT) | instid1(VALU_DEP_1)
	v_div_fmas_f64 v[7:8], v[7:8], v[21:22], v[28:29]
	v_div_fixup_f64 v[19:20], v[7:8], v[5:6], v[19:20]
                                        ; implicit-def: $vgpr5_vgpr6
	s_and_not1_saveexec_b32 s2, s2
	s_cbranch_execnz .LBB222_60
.LBB222_55:
	s_or_b32 exec_lo, exec_lo, s2
	s_and_saveexec_b32 s2, s1
	s_delay_alu instid0(SALU_CYCLE_1)
	s_xor_b32 s1, exec_lo, s2
	s_cbranch_execz .LBB222_61
.LBB222_56:
	s_and_saveexec_b32 s2, s12
; %bb.57:
	s_delay_alu instid0(VALU_DEP_2) | instskip(NEXT) | instid1(VALU_DEP_2)
	v_mul_f64 v[17:18], v[17:18], 0.5
	v_mul_f64 v[19:20], v[19:20], 0.5
; %bb.58:
	s_or_b32 exec_lo, exec_lo, s2
	s_and_not1_saveexec_b32 s1, s1
	s_cbranch_execnz .LBB222_62
	s_branch .LBB222_63
.LBB222_59:
	s_and_not1_saveexec_b32 s2, s2
	s_cbranch_execz .LBB222_55
.LBB222_60:
	v_add_f64 v[5:6], v[5:6], -v[17:18]
	s_delay_alu instid0(VALU_DEP_1) | instskip(NEXT) | instid1(VALU_DEP_1)
	v_mul_f64 v[5:6], v[5:6], 0.5
	v_cmp_gt_f64_e32 vcc_lo, 0x10000000, v[5:6]
	v_cndmask_b32_e64 v7, 0, 1, vcc_lo
	s_delay_alu instid0(VALU_DEP_1) | instskip(NEXT) | instid1(VALU_DEP_1)
	v_lshlrev_b32_e32 v7, 8, v7
	v_ldexp_f64 v[5:6], v[5:6], v7
	s_delay_alu instid0(VALU_DEP_1) | instskip(SKIP_3) | instid1(VALU_DEP_1)
	v_rsq_f64_e32 v[7:8], v[5:6]
	s_waitcnt_depctr 0xfff
	v_mul_f64 v[17:18], v[5:6], v[7:8]
	v_mul_f64 v[7:8], v[7:8], 0.5
	v_fma_f64 v[21:22], -v[7:8], v[17:18], 0.5
	s_delay_alu instid0(VALU_DEP_1) | instskip(SKIP_1) | instid1(VALU_DEP_2)
	v_fma_f64 v[17:18], v[17:18], v[21:22], v[17:18]
	v_fma_f64 v[7:8], v[7:8], v[21:22], v[7:8]
	v_fma_f64 v[21:22], -v[17:18], v[17:18], v[5:6]
	s_delay_alu instid0(VALU_DEP_1) | instskip(NEXT) | instid1(VALU_DEP_1)
	v_fma_f64 v[17:18], v[21:22], v[7:8], v[17:18]
	v_fma_f64 v[21:22], -v[17:18], v[17:18], v[5:6]
	s_delay_alu instid0(VALU_DEP_1) | instskip(SKIP_3) | instid1(VALU_DEP_3)
	v_fma_f64 v[7:8], v[21:22], v[7:8], v[17:18]
	v_cndmask_b32_e64 v17, 0, 0xffffff80, vcc_lo
	v_cmp_class_f64_e64 vcc_lo, v[5:6], 0x260
	v_and_b32_e32 v18, 0x7fffffff, v20
	v_ldexp_f64 v[7:8], v[7:8], v17
	s_delay_alu instid0(VALU_DEP_1) | instskip(NEXT) | instid1(VALU_DEP_1)
	v_dual_cndmask_b32 v6, v8, v6 :: v_dual_cndmask_b32 v5, v7, v5
	v_add_f64 v[7:8], v[5:6], v[5:6]
	v_bfi_b32 v6, 0x7fffffff, v6, v20
	v_mov_b32_e32 v17, v19
	s_delay_alu instid0(VALU_DEP_1) | instskip(SKIP_1) | instid1(VALU_DEP_2)
	v_div_scale_f64 v[21:22], null, v[7:8], v[7:8], v[17:18]
	v_div_scale_f64 v[17:18], vcc_lo, v[17:18], v[7:8], v[17:18]
	v_rcp_f64_e32 v[23:24], v[21:22]
	s_waitcnt_depctr 0xfff
	v_fma_f64 v[28:29], -v[21:22], v[23:24], 1.0
	s_delay_alu instid0(VALU_DEP_1) | instskip(NEXT) | instid1(VALU_DEP_1)
	v_fma_f64 v[23:24], v[23:24], v[28:29], v[23:24]
	v_fma_f64 v[28:29], -v[21:22], v[23:24], 1.0
	s_delay_alu instid0(VALU_DEP_1) | instskip(NEXT) | instid1(VALU_DEP_1)
	v_fma_f64 v[23:24], v[23:24], v[28:29], v[23:24]
	v_mul_f64 v[28:29], v[17:18], v[23:24]
	s_delay_alu instid0(VALU_DEP_1) | instskip(NEXT) | instid1(VALU_DEP_1)
	v_fma_f64 v[17:18], -v[21:22], v[28:29], v[17:18]
	v_div_fmas_f64 v[17:18], v[17:18], v[23:24], v[28:29]
	s_delay_alu instid0(VALU_DEP_1) | instskip(SKIP_3) | instid1(SALU_CYCLE_1)
	v_div_fixup_f64 v[17:18], v[17:18], v[7:8], |v[19:20]|
	v_dual_mov_b32 v20, v6 :: v_dual_mov_b32 v19, v5
	s_or_b32 exec_lo, exec_lo, s2
	s_and_saveexec_b32 s2, s1
	s_xor_b32 s1, exec_lo, s2
	s_cbranch_execnz .LBB222_56
.LBB222_61:
	s_and_not1_saveexec_b32 s1, s1
.LBB222_62:
	s_delay_alu instid0(VALU_DEP_2) | instskip(NEXT) | instid1(VALU_DEP_2)
	v_add_f64 v[17:18], v[17:18], v[17:18]
	v_add_f64 v[19:20], v[19:20], v[19:20]
.LBB222_63:
	s_or_b32 exec_lo, exec_lo, s1
.LBB222_64:
	s_and_not1_saveexec_b32 s1, s11
	s_cbranch_execz .LBB222_70
; %bb.65:
	s_delay_alu instid0(VALU_DEP_1) | instskip(SKIP_1) | instid1(VALU_DEP_3)
	v_add_f64 v[5:6], v[19:20], -v[19:20]
	s_mov_b32 s2, exec_lo
	v_cmpx_lt_i64_e32 -1, v[17:18]
	s_xor_b32 s2, exec_lo, s2
; %bb.66:
	s_delay_alu instid0(VALU_DEP_2) | instskip(NEXT) | instid1(VALU_DEP_1)
	v_bfi_b32 v6, 0x7fffffff, v6, v20
	v_dual_mov_b32 v20, v6 :: v_dual_mov_b32 v19, v5
                                        ; implicit-def: $vgpr5_vgpr6
; %bb.67:
	s_and_not1_saveexec_b32 s2, s2
; %bb.68:
	s_delay_alu instid0(VALU_DEP_1) | instskip(SKIP_1) | instid1(VALU_DEP_2)
	v_bfi_b32 v18, 0x7fffffff, v18, v20
	v_and_b32_e32 v6, 0x7fffffff, v6
	v_dual_mov_b32 v20, v18 :: v_dual_mov_b32 v19, v17
	s_delay_alu instid0(VALU_DEP_2)
	v_dual_mov_b32 v18, v6 :: v_dual_mov_b32 v17, v5
; %bb.69:
	s_or_b32 exec_lo, exec_lo, s2
.LBB222_70:
	s_delay_alu instid0(SALU_CYCLE_1)
	s_or_b32 exec_lo, exec_lo, s1
.LBB222_71:
	s_and_not1_saveexec_b32 s1, s10
; %bb.72:
	s_delay_alu instid0(VALU_DEP_1) | instskip(NEXT) | instid1(VALU_DEP_1)
	v_add_f64 v[5:6], v[19:20], -v[19:20]
	v_div_scale_f64 v[7:8], vcc_lo, v[5:6], v[5:6], v[5:6]
	s_delay_alu instid0(VALU_DEP_1) | instskip(SKIP_2) | instid1(VALU_DEP_1)
	v_rcp_f64_e32 v[19:20], v[7:8]
	s_waitcnt_depctr 0xfff
	v_fma_f64 v[21:22], -v[7:8], v[19:20], 1.0
	v_fma_f64 v[19:20], v[19:20], v[21:22], v[19:20]
	s_delay_alu instid0(VALU_DEP_1) | instskip(NEXT) | instid1(VALU_DEP_1)
	v_fma_f64 v[21:22], -v[7:8], v[19:20], 1.0
	v_fma_f64 v[19:20], v[19:20], v[21:22], v[19:20]
	s_delay_alu instid0(VALU_DEP_1) | instskip(NEXT) | instid1(VALU_DEP_1)
	v_mul_f64 v[21:22], v[7:8], v[19:20]
	v_fma_f64 v[7:8], -v[7:8], v[21:22], v[7:8]
	s_delay_alu instid0(VALU_DEP_1) | instskip(NEXT) | instid1(VALU_DEP_1)
	v_div_fmas_f64 v[7:8], v[7:8], v[19:20], v[21:22]
	v_div_fixup_f64 v[19:20], v[7:8], v[5:6], v[5:6]
; %bb.73:
	s_or_b32 exec_lo, exec_lo, s1
	v_dual_mov_b32 v5, v17 :: v_dual_mov_b32 v6, v18
.LBB222_74:
	s_or_b32 exec_lo, exec_lo, s9
.LBB222_75:
	s_delay_alu instid0(SALU_CYCLE_1) | instskip(NEXT) | instid1(VALU_DEP_2)
	s_or_b32 exec_lo, exec_lo, s7
	v_dual_mov_b32 v7, v19 :: v_dual_mov_b32 v8, v20
.LBB222_76:
	s_or_b32 exec_lo, exec_lo, s6
	s_waitcnt vmcnt(0)
	v_mov_b32_e32 v17, 0
	v_mov_b32_e32 v18, 0
	v_or_b32_e32 v19, 0x200, v0
	s_delay_alu instid0(VALU_DEP_2) | instskip(NEXT) | instid1(VALU_DEP_2)
	v_dual_mov_b32 v22, v18 :: v_dual_mov_b32 v21, v17
	v_cmp_gt_i32_e32 vcc_lo, s8, v19
	v_dual_mov_b32 v20, v18 :: v_dual_mov_b32 v19, v17
	s_and_saveexec_b32 s6, vcc_lo
	s_cbranch_execz .LBB222_110
; %bb.77:
	v_cmp_neq_f64_e32 vcc_lo, 0, v[13:14]
	v_cmp_neq_f64_e64 s1, 0, v[15:16]
	v_mov_b32_e32 v19, 0
	v_mov_b32_e32 v20, 0
	s_delay_alu instid0(VALU_DEP_3) | instskip(NEXT) | instid1(SALU_CYCLE_1)
	s_or_b32 s1, vcc_lo, s1
	s_and_saveexec_b32 s7, s1
	s_cbranch_execz .LBB222_109
; %bb.78:
	s_mov_b32 s10, 0
	s_mov_b32 s11, 0x7ff00000
	v_mov_b32_e32 v19, s10
	v_mov_b32_e32 v20, s11
	s_mov_b32 s9, exec_lo
	v_cmpx_neq_f64_e64 0x7ff00000, |v[15:16]|
	s_cbranch_execz .LBB222_108
; %bb.79:
	s_mov_b32 s1, exec_lo
	v_cmpx_o_f64_e32 v[13:14], v[13:14]
	s_xor_b32 s10, exec_lo, s1
	s_cbranch_execz .LBB222_105
; %bb.80:
	s_mov_b32 s2, exec_lo
	v_cmpx_neq_f64_e64 0x7ff00000, |v[13:14]|
	s_xor_b32 s11, exec_lo, s2
	s_cbranch_execz .LBB222_98
; %bb.81:
	v_max_f64 v[19:20], |v[15:16]|, |v[15:16]|
	v_max_f64 v[21:22], |v[13:14]|, |v[13:14]|
	s_mov_b32 s12, 0x99fcef32
	s_mov_b32 s13, 0x7fda8279
	s_delay_alu instid0(VALU_DEP_1) | instskip(NEXT) | instid1(VALU_DEP_1)
	v_max_f64 v[19:20], v[21:22], v[19:20]
	v_cmp_nle_f64_e64 s1, s[12:13], v[19:20]
                                        ; implicit-def: $sgpr12
	s_delay_alu instid0(VALU_DEP_1) | instskip(NEXT) | instid1(SALU_CYCLE_1)
	s_and_saveexec_b32 s2, s1
	s_xor_b32 s2, exec_lo, s2
	s_cbranch_execz .LBB222_85
; %bb.82:
	v_cmp_ge_f64_e64 s12, 0x200000, |v[13:14]|
	v_cmp_ge_f64_e64 s13, 0x200000, |v[15:16]|
	s_delay_alu instid0(VALU_DEP_1)
	s_and_b32 s14, s12, s13
	s_mov_b32 s12, 0
	s_and_saveexec_b32 s13, s14
; %bb.83:
	v_mul_f64 v[13:14], v[13:14], 4.0
	v_mul_f64 v[15:16], v[15:16], 4.0
	s_mov_b32 s12, exec_lo
; %bb.84:
	s_or_b32 exec_lo, exec_lo, s13
	s_delay_alu instid0(SALU_CYCLE_1)
	s_and_b32 s12, s12, exec_lo
.LBB222_85:
	s_and_not1_saveexec_b32 s2, s2
; %bb.86:
	s_delay_alu instid0(VALU_DEP_2) | instskip(NEXT) | instid1(VALU_DEP_2)
	v_ldexp_f64 v[13:14], v[13:14], -2
	v_ldexp_f64 v[15:16], v[15:16], -2
	s_and_not1_b32 s12, s12, exec_lo
; %bb.87:
	s_or_b32 exec_lo, exec_lo, s2
	s_delay_alu instid0(VALU_DEP_1) | instskip(NEXT) | instid1(VALU_DEP_3)
	v_max_f64 v[19:20], |v[15:16]|, |v[15:16]|
	v_max_f64 v[21:22], |v[13:14]|, |v[13:14]|
	v_cmp_class_f64_e64 s13, v[13:14], 0x204
	v_cmp_class_f64_e64 s14, v[15:16], 0x204
	v_cmp_le_f64_e64 s2, 0, v[13:14]
	s_delay_alu instid0(VALU_DEP_4) | instskip(NEXT) | instid1(VALU_DEP_3)
	v_max_f64 v[19:20], v[21:22], v[19:20]
	s_or_b32 s13, s14, s13
	s_delay_alu instid0(VALU_DEP_1) | instskip(NEXT) | instid1(VALU_DEP_1)
	v_frexp_exp_i32_f64_e32 v26, v[19:20]
	v_sub_nc_u32_e32 v21, 0, v26
	s_delay_alu instid0(VALU_DEP_1) | instskip(SKIP_1) | instid1(VALU_DEP_2)
	v_ldexp_f64 v[19:20], |v[15:16]|, v21
	v_ldexp_f64 v[21:22], |v[13:14]|, v21
	v_mul_f64 v[19:20], v[19:20], v[19:20]
	s_delay_alu instid0(VALU_DEP_1) | instskip(NEXT) | instid1(VALU_DEP_1)
	v_fma_f64 v[19:20], v[21:22], v[21:22], v[19:20]
	v_rsq_f64_e32 v[21:22], v[19:20]
	v_cmp_eq_f64_e32 vcc_lo, 0, v[19:20]
	s_waitcnt_depctr 0xfff
	v_mul_f64 v[23:24], v[19:20], v[21:22]
	v_mul_f64 v[21:22], v[21:22], 0.5
	s_delay_alu instid0(VALU_DEP_1) | instskip(NEXT) | instid1(VALU_DEP_1)
	v_fma_f64 v[28:29], -v[21:22], v[23:24], 0.5
	v_fma_f64 v[23:24], v[23:24], v[28:29], v[23:24]
	v_fma_f64 v[21:22], v[21:22], v[28:29], v[21:22]
	s_delay_alu instid0(VALU_DEP_2) | instskip(NEXT) | instid1(VALU_DEP_1)
	v_fma_f64 v[28:29], -v[23:24], v[23:24], v[19:20]
	v_fma_f64 v[21:22], v[28:29], v[21:22], v[23:24]
	s_delay_alu instid0(VALU_DEP_1) | instskip(SKIP_1) | instid1(VALU_DEP_2)
	v_dual_cndmask_b32 v20, v22, v20 :: v_dual_cndmask_b32 v19, v21, v19
	v_cmp_o_f64_e32 vcc_lo, v[15:16], v[15:16]
	v_ldexp_f64 v[19:20], v[19:20], v26
	s_delay_alu instid0(VALU_DEP_1) | instskip(NEXT) | instid1(VALU_DEP_2)
	v_cndmask_b32_e32 v19, 0, v19, vcc_lo
	v_cndmask_b32_e32 v20, 0x7ff80000, v20, vcc_lo
	s_delay_alu instid0(VALU_DEP_2) | instskip(NEXT) | instid1(VALU_DEP_2)
	v_cndmask_b32_e64 v19, v19, 0, s13
	v_cndmask_b32_e64 v20, v20, 0x7ff00000, s13
	s_and_saveexec_b32 s13, s2
	s_delay_alu instid0(SALU_CYCLE_1)
	s_xor_b32 s2, exec_lo, s13
	s_cbranch_execz .LBB222_93
; %bb.88:
	s_delay_alu instid0(VALU_DEP_1) | instskip(NEXT) | instid1(VALU_DEP_1)
	v_add_f64 v[13:14], v[13:14], v[19:20]
	v_mul_f64 v[13:14], v[13:14], 0.5
	s_delay_alu instid0(VALU_DEP_1) | instskip(SKIP_1) | instid1(VALU_DEP_1)
	v_cmp_gt_f64_e32 vcc_lo, 0x10000000, v[13:14]
	v_cndmask_b32_e64 v19, 0, 1, vcc_lo
	v_lshlrev_b32_e32 v19, 8, v19
	s_delay_alu instid0(VALU_DEP_1) | instskip(NEXT) | instid1(VALU_DEP_1)
	v_ldexp_f64 v[13:14], v[13:14], v19
	v_rsq_f64_e32 v[19:20], v[13:14]
	s_waitcnt_depctr 0xfff
	v_mul_f64 v[21:22], v[13:14], v[19:20]
	v_mul_f64 v[19:20], v[19:20], 0.5
	s_delay_alu instid0(VALU_DEP_1) | instskip(NEXT) | instid1(VALU_DEP_1)
	v_fma_f64 v[23:24], -v[19:20], v[21:22], 0.5
	v_fma_f64 v[21:22], v[21:22], v[23:24], v[21:22]
	v_fma_f64 v[19:20], v[19:20], v[23:24], v[19:20]
	s_delay_alu instid0(VALU_DEP_2) | instskip(NEXT) | instid1(VALU_DEP_1)
	v_fma_f64 v[23:24], -v[21:22], v[21:22], v[13:14]
	v_fma_f64 v[21:22], v[23:24], v[19:20], v[21:22]
	s_delay_alu instid0(VALU_DEP_1) | instskip(NEXT) | instid1(VALU_DEP_1)
	v_fma_f64 v[23:24], -v[21:22], v[21:22], v[13:14]
	v_fma_f64 v[19:20], v[23:24], v[19:20], v[21:22]
	v_cndmask_b32_e64 v21, 0, 0xffffff80, vcc_lo
	v_cmp_class_f64_e64 vcc_lo, v[13:14], 0x260
	s_delay_alu instid0(VALU_DEP_2) | instskip(NEXT) | instid1(VALU_DEP_1)
	v_ldexp_f64 v[19:20], v[19:20], v21
	v_dual_cndmask_b32 v14, v20, v14 :: v_dual_cndmask_b32 v13, v19, v13
	s_delay_alu instid0(VALU_DEP_1) | instskip(NEXT) | instid1(VALU_DEP_1)
	v_add_f64 v[19:20], v[13:14], v[13:14]
	v_div_scale_f64 v[21:22], null, v[19:20], v[19:20], v[15:16]
	s_delay_alu instid0(VALU_DEP_1) | instskip(SKIP_2) | instid1(VALU_DEP_1)
	v_rcp_f64_e32 v[23:24], v[21:22]
	s_waitcnt_depctr 0xfff
	v_fma_f64 v[28:29], -v[21:22], v[23:24], 1.0
	v_fma_f64 v[23:24], v[23:24], v[28:29], v[23:24]
	s_delay_alu instid0(VALU_DEP_1) | instskip(NEXT) | instid1(VALU_DEP_1)
	v_fma_f64 v[28:29], -v[21:22], v[23:24], 1.0
	v_fma_f64 v[23:24], v[23:24], v[28:29], v[23:24]
	v_div_scale_f64 v[28:29], vcc_lo, v[15:16], v[19:20], v[15:16]
	s_delay_alu instid0(VALU_DEP_1) | instskip(NEXT) | instid1(VALU_DEP_1)
	v_mul_f64 v[30:31], v[28:29], v[23:24]
	v_fma_f64 v[21:22], -v[21:22], v[30:31], v[28:29]
	s_delay_alu instid0(VALU_DEP_1) | instskip(NEXT) | instid1(VALU_DEP_1)
	v_div_fmas_f64 v[21:22], v[21:22], v[23:24], v[30:31]
	v_div_fixup_f64 v[15:16], v[21:22], v[19:20], v[15:16]
                                        ; implicit-def: $vgpr19_vgpr20
	s_and_not1_saveexec_b32 s2, s2
	s_cbranch_execnz .LBB222_94
.LBB222_89:
	s_or_b32 exec_lo, exec_lo, s2
	s_and_saveexec_b32 s2, s1
	s_delay_alu instid0(SALU_CYCLE_1)
	s_xor_b32 s1, exec_lo, s2
	s_cbranch_execz .LBB222_95
.LBB222_90:
	s_and_saveexec_b32 s2, s12
; %bb.91:
	s_delay_alu instid0(VALU_DEP_2) | instskip(NEXT) | instid1(VALU_DEP_2)
	v_mul_f64 v[13:14], v[13:14], 0.5
	v_mul_f64 v[15:16], v[15:16], 0.5
; %bb.92:
	s_or_b32 exec_lo, exec_lo, s2
	s_and_not1_saveexec_b32 s1, s1
	s_cbranch_execnz .LBB222_96
	s_branch .LBB222_97
.LBB222_93:
	s_and_not1_saveexec_b32 s2, s2
	s_cbranch_execz .LBB222_89
.LBB222_94:
	v_add_f64 v[13:14], v[19:20], -v[13:14]
	s_delay_alu instid0(VALU_DEP_1) | instskip(NEXT) | instid1(VALU_DEP_1)
	v_mul_f64 v[13:14], v[13:14], 0.5
	v_cmp_gt_f64_e32 vcc_lo, 0x10000000, v[13:14]
	v_cndmask_b32_e64 v19, 0, 1, vcc_lo
	s_delay_alu instid0(VALU_DEP_1) | instskip(NEXT) | instid1(VALU_DEP_1)
	v_lshlrev_b32_e32 v19, 8, v19
	v_ldexp_f64 v[13:14], v[13:14], v19
	s_delay_alu instid0(VALU_DEP_1) | instskip(SKIP_3) | instid1(VALU_DEP_1)
	v_rsq_f64_e32 v[19:20], v[13:14]
	s_waitcnt_depctr 0xfff
	v_mul_f64 v[21:22], v[13:14], v[19:20]
	v_mul_f64 v[19:20], v[19:20], 0.5
	v_fma_f64 v[23:24], -v[19:20], v[21:22], 0.5
	s_delay_alu instid0(VALU_DEP_1) | instskip(SKIP_1) | instid1(VALU_DEP_2)
	v_fma_f64 v[21:22], v[21:22], v[23:24], v[21:22]
	v_fma_f64 v[19:20], v[19:20], v[23:24], v[19:20]
	v_fma_f64 v[23:24], -v[21:22], v[21:22], v[13:14]
	s_delay_alu instid0(VALU_DEP_1) | instskip(NEXT) | instid1(VALU_DEP_1)
	v_fma_f64 v[21:22], v[23:24], v[19:20], v[21:22]
	v_fma_f64 v[23:24], -v[21:22], v[21:22], v[13:14]
	s_delay_alu instid0(VALU_DEP_1) | instskip(SKIP_3) | instid1(VALU_DEP_3)
	v_fma_f64 v[19:20], v[23:24], v[19:20], v[21:22]
	v_cndmask_b32_e64 v21, 0, 0xffffff80, vcc_lo
	v_cmp_class_f64_e64 vcc_lo, v[13:14], 0x260
	v_and_b32_e32 v22, 0x7fffffff, v16
	v_ldexp_f64 v[19:20], v[19:20], v21
	s_delay_alu instid0(VALU_DEP_1) | instskip(NEXT) | instid1(VALU_DEP_1)
	v_dual_cndmask_b32 v20, v20, v14 :: v_dual_cndmask_b32 v19, v19, v13
	v_add_f64 v[13:14], v[19:20], v[19:20]
	v_bfi_b32 v20, 0x7fffffff, v20, v16
	v_mov_b32_e32 v21, v15
	s_delay_alu instid0(VALU_DEP_1) | instskip(SKIP_1) | instid1(VALU_DEP_2)
	v_div_scale_f64 v[23:24], null, v[13:14], v[13:14], v[21:22]
	v_div_scale_f64 v[21:22], vcc_lo, v[21:22], v[13:14], v[21:22]
	v_rcp_f64_e32 v[28:29], v[23:24]
	s_waitcnt_depctr 0xfff
	v_fma_f64 v[30:31], -v[23:24], v[28:29], 1.0
	s_delay_alu instid0(VALU_DEP_1) | instskip(NEXT) | instid1(VALU_DEP_1)
	v_fma_f64 v[28:29], v[28:29], v[30:31], v[28:29]
	v_fma_f64 v[30:31], -v[23:24], v[28:29], 1.0
	s_delay_alu instid0(VALU_DEP_1) | instskip(NEXT) | instid1(VALU_DEP_1)
	v_fma_f64 v[28:29], v[28:29], v[30:31], v[28:29]
	v_mul_f64 v[30:31], v[21:22], v[28:29]
	s_delay_alu instid0(VALU_DEP_1) | instskip(NEXT) | instid1(VALU_DEP_1)
	v_fma_f64 v[21:22], -v[23:24], v[30:31], v[21:22]
	v_div_fmas_f64 v[21:22], v[21:22], v[28:29], v[30:31]
	s_delay_alu instid0(VALU_DEP_1) | instskip(SKIP_3) | instid1(SALU_CYCLE_1)
	v_div_fixup_f64 v[13:14], v[21:22], v[13:14], |v[15:16]|
	v_dual_mov_b32 v15, v19 :: v_dual_mov_b32 v16, v20
	s_or_b32 exec_lo, exec_lo, s2
	s_and_saveexec_b32 s2, s1
	s_xor_b32 s1, exec_lo, s2
	s_cbranch_execnz .LBB222_90
.LBB222_95:
	s_and_not1_saveexec_b32 s1, s1
.LBB222_96:
	s_delay_alu instid0(VALU_DEP_2) | instskip(NEXT) | instid1(VALU_DEP_2)
	v_add_f64 v[13:14], v[13:14], v[13:14]
	v_add_f64 v[15:16], v[15:16], v[15:16]
.LBB222_97:
	s_or_b32 exec_lo, exec_lo, s1
.LBB222_98:
	s_and_not1_saveexec_b32 s1, s11
	s_cbranch_execz .LBB222_104
; %bb.99:
	s_delay_alu instid0(VALU_DEP_1) | instskip(SKIP_1) | instid1(VALU_DEP_3)
	v_add_f64 v[19:20], v[15:16], -v[15:16]
	s_mov_b32 s2, exec_lo
	v_cmpx_lt_i64_e32 -1, v[13:14]
	s_xor_b32 s2, exec_lo, s2
; %bb.100:
	s_delay_alu instid0(VALU_DEP_2) | instskip(NEXT) | instid1(VALU_DEP_1)
	v_bfi_b32 v20, 0x7fffffff, v20, v16
	v_dual_mov_b32 v15, v19 :: v_dual_mov_b32 v16, v20
                                        ; implicit-def: $vgpr19_vgpr20
; %bb.101:
	s_and_not1_saveexec_b32 s2, s2
; %bb.102:
	s_delay_alu instid0(VALU_DEP_1) | instskip(SKIP_1) | instid1(VALU_DEP_2)
	v_bfi_b32 v14, 0x7fffffff, v14, v16
	v_and_b32_e32 v20, 0x7fffffff, v20
	v_dual_mov_b32 v16, v14 :: v_dual_mov_b32 v15, v13
	s_delay_alu instid0(VALU_DEP_2)
	v_dual_mov_b32 v13, v19 :: v_dual_mov_b32 v14, v20
; %bb.103:
	s_or_b32 exec_lo, exec_lo, s2
.LBB222_104:
	s_delay_alu instid0(SALU_CYCLE_1)
	s_or_b32 exec_lo, exec_lo, s1
.LBB222_105:
	s_and_not1_saveexec_b32 s1, s10
; %bb.106:
	s_delay_alu instid0(VALU_DEP_1) | instskip(NEXT) | instid1(VALU_DEP_1)
	v_add_f64 v[15:16], v[15:16], -v[15:16]
	v_div_scale_f64 v[19:20], vcc_lo, v[15:16], v[15:16], v[15:16]
	s_delay_alu instid0(VALU_DEP_1) | instskip(SKIP_2) | instid1(VALU_DEP_1)
	v_rcp_f64_e32 v[21:22], v[19:20]
	s_waitcnt_depctr 0xfff
	v_fma_f64 v[23:24], -v[19:20], v[21:22], 1.0
	v_fma_f64 v[21:22], v[21:22], v[23:24], v[21:22]
	s_delay_alu instid0(VALU_DEP_1) | instskip(NEXT) | instid1(VALU_DEP_1)
	v_fma_f64 v[23:24], -v[19:20], v[21:22], 1.0
	v_fma_f64 v[21:22], v[21:22], v[23:24], v[21:22]
	s_delay_alu instid0(VALU_DEP_1) | instskip(NEXT) | instid1(VALU_DEP_1)
	v_mul_f64 v[23:24], v[19:20], v[21:22]
	v_fma_f64 v[19:20], -v[19:20], v[23:24], v[19:20]
	s_delay_alu instid0(VALU_DEP_1) | instskip(NEXT) | instid1(VALU_DEP_1)
	v_div_fmas_f64 v[19:20], v[19:20], v[21:22], v[23:24]
	v_div_fixup_f64 v[15:16], v[19:20], v[15:16], v[15:16]
; %bb.107:
	s_or_b32 exec_lo, exec_lo, s1
	v_dual_mov_b32 v20, v14 :: v_dual_mov_b32 v19, v13
.LBB222_108:
	s_or_b32 exec_lo, exec_lo, s9
.LBB222_109:
	s_delay_alu instid0(SALU_CYCLE_1) | instskip(NEXT) | instid1(VALU_DEP_2)
	s_or_b32 exec_lo, exec_lo, s7
	v_dual_mov_b32 v22, v16 :: v_dual_mov_b32 v21, v15
.LBB222_110:
	s_or_b32 exec_lo, exec_lo, s6
	v_or_b32_e32 v13, 0x300, v0
	v_dual_mov_b32 v15, v17 :: v_dual_mov_b32 v16, v18
	s_mov_b32 s6, exec_lo
	s_delay_alu instid0(VALU_DEP_2)
	v_cmpx_gt_i32_e64 s8, v13
	s_cbranch_execz .LBB222_127
; %bb.111:
	v_cmp_neq_f64_e32 vcc_lo, 0, v[1:2]
	v_cmp_neq_f64_e64 s1, 0, v[3:4]
	v_mov_b32_e32 v15, 0
	v_mov_b32_e32 v16, 0
	s_delay_alu instid0(VALU_DEP_3) | instskip(NEXT) | instid1(SALU_CYCLE_1)
	s_or_b32 s1, vcc_lo, s1
	s_and_saveexec_b32 s7, s1
	s_cbranch_execz .LBB222_148
; %bb.112:
	s_mov_b32 s10, 0
	s_mov_b32 s11, 0x7ff00000
	v_mov_b32_e32 v15, s10
	v_mov_b32_e32 v16, s11
	s_mov_b32 s9, exec_lo
	v_cmpx_neq_f64_e64 0x7ff00000, |v[3:4]|
	s_cbranch_execz .LBB222_147
; %bb.113:
	s_mov_b32 s1, exec_lo
	v_cmpx_o_f64_e32 v[1:2], v[1:2]
	s_xor_b32 s10, exec_lo, s1
	s_cbranch_execz .LBB222_144
; %bb.114:
	s_mov_b32 s2, exec_lo
	v_cmpx_neq_f64_e64 0x7ff00000, |v[1:2]|
	s_xor_b32 s11, exec_lo, s2
	s_cbranch_execz .LBB222_137
; %bb.115:
	v_max_f64 v[13:14], |v[3:4]|, |v[3:4]|
	v_max_f64 v[15:16], |v[1:2]|, |v[1:2]|
	s_mov_b32 s12, 0x99fcef32
	s_mov_b32 s13, 0x7fda8279
	s_delay_alu instid0(VALU_DEP_1) | instskip(NEXT) | instid1(VALU_DEP_1)
	v_max_f64 v[13:14], v[15:16], v[13:14]
	v_cmp_nle_f64_e64 s1, s[12:13], v[13:14]
                                        ; implicit-def: $sgpr12
	s_delay_alu instid0(VALU_DEP_1) | instskip(NEXT) | instid1(SALU_CYCLE_1)
	s_and_saveexec_b32 s2, s1
	s_xor_b32 s2, exec_lo, s2
	s_cbranch_execz .LBB222_119
; %bb.116:
	v_cmp_ge_f64_e64 s12, 0x200000, |v[1:2]|
	v_cmp_ge_f64_e64 s13, 0x200000, |v[3:4]|
	s_delay_alu instid0(VALU_DEP_1)
	s_and_b32 s14, s12, s13
	s_mov_b32 s12, 0
	s_and_saveexec_b32 s13, s14
; %bb.117:
	v_mul_f64 v[1:2], v[1:2], 4.0
	v_mul_f64 v[3:4], v[3:4], 4.0
	s_mov_b32 s12, exec_lo
; %bb.118:
	s_or_b32 exec_lo, exec_lo, s13
	s_delay_alu instid0(SALU_CYCLE_1)
	s_and_b32 s12, s12, exec_lo
.LBB222_119:
	s_and_not1_saveexec_b32 s2, s2
; %bb.120:
	s_delay_alu instid0(VALU_DEP_2) | instskip(NEXT) | instid1(VALU_DEP_2)
	v_ldexp_f64 v[1:2], v[1:2], -2
	v_ldexp_f64 v[3:4], v[3:4], -2
	s_and_not1_b32 s12, s12, exec_lo
; %bb.121:
	s_or_b32 exec_lo, exec_lo, s2
	s_delay_alu instid0(VALU_DEP_1) | instskip(NEXT) | instid1(VALU_DEP_3)
	v_max_f64 v[13:14], |v[3:4]|, |v[3:4]|
	v_max_f64 v[15:16], |v[1:2]|, |v[1:2]|
	v_cmp_class_f64_e64 s13, v[1:2], 0x204
	v_cmp_class_f64_e64 s14, v[3:4], 0x204
	v_cmp_le_f64_e64 s2, 0, v[1:2]
	s_delay_alu instid0(VALU_DEP_4) | instskip(NEXT) | instid1(VALU_DEP_3)
	v_max_f64 v[13:14], v[15:16], v[13:14]
	s_or_b32 s13, s14, s13
	s_delay_alu instid0(VALU_DEP_1) | instskip(NEXT) | instid1(VALU_DEP_1)
	v_frexp_exp_i32_f64_e32 v26, v[13:14]
	v_sub_nc_u32_e32 v15, 0, v26
	s_delay_alu instid0(VALU_DEP_1) | instskip(SKIP_1) | instid1(VALU_DEP_2)
	v_ldexp_f64 v[13:14], |v[3:4]|, v15
	v_ldexp_f64 v[15:16], |v[1:2]|, v15
	v_mul_f64 v[13:14], v[13:14], v[13:14]
	s_delay_alu instid0(VALU_DEP_1) | instskip(NEXT) | instid1(VALU_DEP_1)
	v_fma_f64 v[13:14], v[15:16], v[15:16], v[13:14]
	v_rsq_f64_e32 v[15:16], v[13:14]
	v_cmp_eq_f64_e32 vcc_lo, 0, v[13:14]
	s_waitcnt_depctr 0xfff
	v_mul_f64 v[17:18], v[13:14], v[15:16]
	v_mul_f64 v[15:16], v[15:16], 0.5
	s_delay_alu instid0(VALU_DEP_1) | instskip(NEXT) | instid1(VALU_DEP_1)
	v_fma_f64 v[23:24], -v[15:16], v[17:18], 0.5
	v_fma_f64 v[17:18], v[17:18], v[23:24], v[17:18]
	v_fma_f64 v[15:16], v[15:16], v[23:24], v[15:16]
	s_delay_alu instid0(VALU_DEP_2) | instskip(NEXT) | instid1(VALU_DEP_1)
	v_fma_f64 v[23:24], -v[17:18], v[17:18], v[13:14]
	v_fma_f64 v[15:16], v[23:24], v[15:16], v[17:18]
	s_delay_alu instid0(VALU_DEP_1) | instskip(SKIP_1) | instid1(VALU_DEP_2)
	v_dual_cndmask_b32 v14, v16, v14 :: v_dual_cndmask_b32 v13, v15, v13
	v_cmp_o_f64_e32 vcc_lo, v[3:4], v[3:4]
	v_ldexp_f64 v[13:14], v[13:14], v26
	s_delay_alu instid0(VALU_DEP_1) | instskip(NEXT) | instid1(VALU_DEP_2)
	v_cndmask_b32_e32 v13, 0, v13, vcc_lo
	v_cndmask_b32_e32 v14, 0x7ff80000, v14, vcc_lo
	s_delay_alu instid0(VALU_DEP_2) | instskip(NEXT) | instid1(VALU_DEP_2)
	v_cndmask_b32_e64 v13, v13, 0, s13
	v_cndmask_b32_e64 v14, v14, 0x7ff00000, s13
	s_and_saveexec_b32 s13, s2
	s_delay_alu instid0(SALU_CYCLE_1)
	s_xor_b32 s2, exec_lo, s13
	s_cbranch_execz .LBB222_132
; %bb.122:
	s_delay_alu instid0(VALU_DEP_1) | instskip(NEXT) | instid1(VALU_DEP_1)
	v_add_f64 v[1:2], v[1:2], v[13:14]
	v_mul_f64 v[1:2], v[1:2], 0.5
	s_delay_alu instid0(VALU_DEP_1) | instskip(SKIP_1) | instid1(VALU_DEP_1)
	v_cmp_gt_f64_e32 vcc_lo, 0x10000000, v[1:2]
	v_cndmask_b32_e64 v13, 0, 1, vcc_lo
	v_lshlrev_b32_e32 v13, 8, v13
	s_delay_alu instid0(VALU_DEP_1) | instskip(NEXT) | instid1(VALU_DEP_1)
	v_ldexp_f64 v[1:2], v[1:2], v13
	v_rsq_f64_e32 v[13:14], v[1:2]
	s_waitcnt_depctr 0xfff
	v_mul_f64 v[15:16], v[1:2], v[13:14]
	v_mul_f64 v[13:14], v[13:14], 0.5
	s_delay_alu instid0(VALU_DEP_1) | instskip(NEXT) | instid1(VALU_DEP_1)
	v_fma_f64 v[17:18], -v[13:14], v[15:16], 0.5
	v_fma_f64 v[15:16], v[15:16], v[17:18], v[15:16]
	v_fma_f64 v[13:14], v[13:14], v[17:18], v[13:14]
	s_delay_alu instid0(VALU_DEP_2) | instskip(NEXT) | instid1(VALU_DEP_1)
	v_fma_f64 v[17:18], -v[15:16], v[15:16], v[1:2]
	v_fma_f64 v[15:16], v[17:18], v[13:14], v[15:16]
	s_delay_alu instid0(VALU_DEP_1) | instskip(NEXT) | instid1(VALU_DEP_1)
	v_fma_f64 v[17:18], -v[15:16], v[15:16], v[1:2]
	v_fma_f64 v[13:14], v[17:18], v[13:14], v[15:16]
	v_cndmask_b32_e64 v15, 0, 0xffffff80, vcc_lo
	v_cmp_class_f64_e64 vcc_lo, v[1:2], 0x260
	s_delay_alu instid0(VALU_DEP_2) | instskip(NEXT) | instid1(VALU_DEP_1)
	v_ldexp_f64 v[13:14], v[13:14], v15
	v_dual_cndmask_b32 v2, v14, v2 :: v_dual_cndmask_b32 v1, v13, v1
	s_delay_alu instid0(VALU_DEP_1) | instskip(NEXT) | instid1(VALU_DEP_1)
	v_add_f64 v[13:14], v[1:2], v[1:2]
	v_div_scale_f64 v[15:16], null, v[13:14], v[13:14], v[3:4]
	s_delay_alu instid0(VALU_DEP_1) | instskip(SKIP_2) | instid1(VALU_DEP_1)
	v_rcp_f64_e32 v[17:18], v[15:16]
	s_waitcnt_depctr 0xfff
	v_fma_f64 v[23:24], -v[15:16], v[17:18], 1.0
	v_fma_f64 v[17:18], v[17:18], v[23:24], v[17:18]
	s_delay_alu instid0(VALU_DEP_1) | instskip(NEXT) | instid1(VALU_DEP_1)
	v_fma_f64 v[23:24], -v[15:16], v[17:18], 1.0
	v_fma_f64 v[17:18], v[17:18], v[23:24], v[17:18]
	v_div_scale_f64 v[23:24], vcc_lo, v[3:4], v[13:14], v[3:4]
	s_delay_alu instid0(VALU_DEP_1) | instskip(NEXT) | instid1(VALU_DEP_1)
	v_mul_f64 v[28:29], v[23:24], v[17:18]
	v_fma_f64 v[15:16], -v[15:16], v[28:29], v[23:24]
	s_delay_alu instid0(VALU_DEP_1) | instskip(NEXT) | instid1(VALU_DEP_1)
	v_div_fmas_f64 v[15:16], v[15:16], v[17:18], v[28:29]
	v_div_fixup_f64 v[3:4], v[15:16], v[13:14], v[3:4]
                                        ; implicit-def: $vgpr13_vgpr14
	s_and_not1_saveexec_b32 s2, s2
	s_cbranch_execnz .LBB222_133
.LBB222_123:
	s_or_b32 exec_lo, exec_lo, s2
	s_and_saveexec_b32 s2, s1
	s_delay_alu instid0(SALU_CYCLE_1)
	s_xor_b32 s1, exec_lo, s2
	s_cbranch_execz .LBB222_134
.LBB222_124:
	s_and_saveexec_b32 s2, s12
; %bb.125:
	s_delay_alu instid0(VALU_DEP_2) | instskip(NEXT) | instid1(VALU_DEP_2)
	v_mul_f64 v[1:2], v[1:2], 0.5
	v_mul_f64 v[3:4], v[3:4], 0.5
; %bb.126:
	s_or_b32 exec_lo, exec_lo, s2
	s_and_not1_saveexec_b32 s1, s1
	s_cbranch_execnz .LBB222_135
	s_branch .LBB222_136
.LBB222_127:
	s_or_b32 exec_lo, exec_lo, s6
	s_and_saveexec_b32 s1, s0
	s_delay_alu instid0(SALU_CYCLE_1)
	s_xor_b32 s0, exec_lo, s1
	s_cbranch_execz .LBB222_149
.LBB222_128:
	v_mov_b32_e32 v26, 0
	s_delay_alu instid0(VALU_DEP_1) | instskip(NEXT) | instid1(VALU_DEP_1)
	v_lshlrev_b64 v[0:1], 4, v[25:26]
	v_add_co_u32 v2, vcc_lo, s4, v0
	s_delay_alu instid0(VALU_DEP_2) | instskip(SKIP_3) | instid1(SALU_CYCLE_1)
	v_add_co_ci_u32_e32 v3, vcc_lo, s5, v1, vcc_lo
	v_mov_b32_e32 v0, v27
	global_store_b128 v[2:3], v[9:12], off
	s_or_b32 exec_lo, exec_lo, s0
	s_mov_b32 s0, exec_lo
	v_cmpx_gt_i32_e64 s8, v0
	s_cbranch_execnz .LBB222_150
.LBB222_129:
	s_or_b32 exec_lo, exec_lo, s0
	s_delay_alu instid0(SALU_CYCLE_1)
	s_mov_b32 s0, exec_lo
	v_cmpx_gt_i32_e64 s8, v0
	s_cbranch_execz .LBB222_151
.LBB222_130:
	v_dual_mov_b32 v2, 0 :: v_dual_add_nc_u32 v1, s3, v0
	v_add_nc_u32_e32 v0, 0x100, v0
	s_delay_alu instid0(VALU_DEP_2) | instskip(NEXT) | instid1(VALU_DEP_1)
	v_lshlrev_b64 v[1:2], 4, v[1:2]
	v_add_co_u32 v1, vcc_lo, s4, v1
	s_delay_alu instid0(VALU_DEP_2) | instskip(SKIP_2) | instid1(SALU_CYCLE_1)
	v_add_co_ci_u32_e32 v2, vcc_lo, s5, v2, vcc_lo
	global_store_b128 v[1:2], v[19:22], off
	s_or_b32 exec_lo, exec_lo, s0
	s_mov_b32 s0, exec_lo
	v_cmpx_gt_i32_e64 s8, v0
	s_cbranch_execnz .LBB222_152
.LBB222_131:
	s_nop 0
	s_sendmsg sendmsg(MSG_DEALLOC_VGPRS)
	s_endpgm
.LBB222_132:
	s_and_not1_saveexec_b32 s2, s2
	s_cbranch_execz .LBB222_123
.LBB222_133:
	v_add_f64 v[1:2], v[13:14], -v[1:2]
	s_delay_alu instid0(VALU_DEP_1) | instskip(NEXT) | instid1(VALU_DEP_1)
	v_mul_f64 v[1:2], v[1:2], 0.5
	v_cmp_gt_f64_e32 vcc_lo, 0x10000000, v[1:2]
	v_cndmask_b32_e64 v13, 0, 1, vcc_lo
	s_delay_alu instid0(VALU_DEP_1) | instskip(NEXT) | instid1(VALU_DEP_1)
	v_lshlrev_b32_e32 v13, 8, v13
	v_ldexp_f64 v[1:2], v[1:2], v13
	s_delay_alu instid0(VALU_DEP_1) | instskip(SKIP_3) | instid1(VALU_DEP_1)
	v_rsq_f64_e32 v[13:14], v[1:2]
	s_waitcnt_depctr 0xfff
	v_mul_f64 v[15:16], v[1:2], v[13:14]
	v_mul_f64 v[13:14], v[13:14], 0.5
	v_fma_f64 v[17:18], -v[13:14], v[15:16], 0.5
	s_delay_alu instid0(VALU_DEP_1) | instskip(SKIP_1) | instid1(VALU_DEP_2)
	v_fma_f64 v[15:16], v[15:16], v[17:18], v[15:16]
	v_fma_f64 v[13:14], v[13:14], v[17:18], v[13:14]
	v_fma_f64 v[17:18], -v[15:16], v[15:16], v[1:2]
	s_delay_alu instid0(VALU_DEP_1) | instskip(NEXT) | instid1(VALU_DEP_1)
	v_fma_f64 v[15:16], v[17:18], v[13:14], v[15:16]
	v_fma_f64 v[17:18], -v[15:16], v[15:16], v[1:2]
	s_delay_alu instid0(VALU_DEP_1) | instskip(SKIP_3) | instid1(VALU_DEP_3)
	v_fma_f64 v[13:14], v[17:18], v[13:14], v[15:16]
	v_cndmask_b32_e64 v15, 0, 0xffffff80, vcc_lo
	v_cmp_class_f64_e64 vcc_lo, v[1:2], 0x260
	v_and_b32_e32 v16, 0x7fffffff, v4
	v_ldexp_f64 v[13:14], v[13:14], v15
	s_delay_alu instid0(VALU_DEP_1) | instskip(NEXT) | instid1(VALU_DEP_1)
	v_dual_cndmask_b32 v14, v14, v2 :: v_dual_cndmask_b32 v13, v13, v1
	v_add_f64 v[1:2], v[13:14], v[13:14]
	v_bfi_b32 v14, 0x7fffffff, v14, v4
	v_mov_b32_e32 v15, v3
	s_delay_alu instid0(VALU_DEP_1) | instskip(SKIP_1) | instid1(VALU_DEP_2)
	v_div_scale_f64 v[17:18], null, v[1:2], v[1:2], v[15:16]
	v_div_scale_f64 v[15:16], vcc_lo, v[15:16], v[1:2], v[15:16]
	v_rcp_f64_e32 v[23:24], v[17:18]
	s_waitcnt_depctr 0xfff
	v_fma_f64 v[28:29], -v[17:18], v[23:24], 1.0
	s_delay_alu instid0(VALU_DEP_1) | instskip(NEXT) | instid1(VALU_DEP_1)
	v_fma_f64 v[23:24], v[23:24], v[28:29], v[23:24]
	v_fma_f64 v[28:29], -v[17:18], v[23:24], 1.0
	s_delay_alu instid0(VALU_DEP_1) | instskip(NEXT) | instid1(VALU_DEP_1)
	v_fma_f64 v[23:24], v[23:24], v[28:29], v[23:24]
	v_mul_f64 v[28:29], v[15:16], v[23:24]
	s_delay_alu instid0(VALU_DEP_1) | instskip(NEXT) | instid1(VALU_DEP_1)
	v_fma_f64 v[15:16], -v[17:18], v[28:29], v[15:16]
	v_div_fmas_f64 v[15:16], v[15:16], v[23:24], v[28:29]
	s_delay_alu instid0(VALU_DEP_1) | instskip(SKIP_3) | instid1(SALU_CYCLE_1)
	v_div_fixup_f64 v[1:2], v[15:16], v[1:2], |v[3:4]|
	v_dual_mov_b32 v3, v13 :: v_dual_mov_b32 v4, v14
	s_or_b32 exec_lo, exec_lo, s2
	s_and_saveexec_b32 s2, s1
	s_xor_b32 s1, exec_lo, s2
	s_cbranch_execnz .LBB222_124
.LBB222_134:
	s_and_not1_saveexec_b32 s1, s1
.LBB222_135:
	s_delay_alu instid0(VALU_DEP_2) | instskip(NEXT) | instid1(VALU_DEP_2)
	v_add_f64 v[1:2], v[1:2], v[1:2]
	v_add_f64 v[3:4], v[3:4], v[3:4]
.LBB222_136:
	s_or_b32 exec_lo, exec_lo, s1
.LBB222_137:
	s_and_not1_saveexec_b32 s1, s11
	s_cbranch_execz .LBB222_143
; %bb.138:
	s_delay_alu instid0(VALU_DEP_1) | instskip(SKIP_1) | instid1(VALU_DEP_3)
	v_add_f64 v[13:14], v[3:4], -v[3:4]
	s_mov_b32 s2, exec_lo
	v_cmpx_lt_i64_e32 -1, v[1:2]
	s_xor_b32 s2, exec_lo, s2
; %bb.139:
	s_delay_alu instid0(VALU_DEP_2) | instskip(NEXT) | instid1(VALU_DEP_1)
	v_bfi_b32 v14, 0x7fffffff, v14, v4
	v_dual_mov_b32 v3, v13 :: v_dual_mov_b32 v4, v14
                                        ; implicit-def: $vgpr13_vgpr14
; %bb.140:
	s_and_not1_saveexec_b32 s2, s2
; %bb.141:
	s_delay_alu instid0(VALU_DEP_1) | instskip(SKIP_1) | instid1(VALU_DEP_2)
	v_bfi_b32 v2, 0x7fffffff, v2, v4
	v_and_b32_e32 v14, 0x7fffffff, v14
	v_dual_mov_b32 v4, v2 :: v_dual_mov_b32 v3, v1
	s_delay_alu instid0(VALU_DEP_2)
	v_dual_mov_b32 v1, v13 :: v_dual_mov_b32 v2, v14
; %bb.142:
	s_or_b32 exec_lo, exec_lo, s2
.LBB222_143:
	s_delay_alu instid0(SALU_CYCLE_1)
	s_or_b32 exec_lo, exec_lo, s1
.LBB222_144:
	s_and_not1_saveexec_b32 s1, s10
; %bb.145:
	s_delay_alu instid0(VALU_DEP_1) | instskip(NEXT) | instid1(VALU_DEP_1)
	v_add_f64 v[3:4], v[3:4], -v[3:4]
	v_div_scale_f64 v[13:14], vcc_lo, v[3:4], v[3:4], v[3:4]
	s_delay_alu instid0(VALU_DEP_1) | instskip(SKIP_2) | instid1(VALU_DEP_1)
	v_rcp_f64_e32 v[15:16], v[13:14]
	s_waitcnt_depctr 0xfff
	v_fma_f64 v[17:18], -v[13:14], v[15:16], 1.0
	v_fma_f64 v[15:16], v[15:16], v[17:18], v[15:16]
	s_delay_alu instid0(VALU_DEP_1) | instskip(NEXT) | instid1(VALU_DEP_1)
	v_fma_f64 v[17:18], -v[13:14], v[15:16], 1.0
	v_fma_f64 v[15:16], v[15:16], v[17:18], v[15:16]
	s_delay_alu instid0(VALU_DEP_1) | instskip(NEXT) | instid1(VALU_DEP_1)
	v_mul_f64 v[17:18], v[13:14], v[15:16]
	v_fma_f64 v[13:14], -v[13:14], v[17:18], v[13:14]
	s_delay_alu instid0(VALU_DEP_1) | instskip(NEXT) | instid1(VALU_DEP_1)
	v_div_fmas_f64 v[13:14], v[13:14], v[15:16], v[17:18]
	v_div_fixup_f64 v[3:4], v[13:14], v[3:4], v[3:4]
; %bb.146:
	s_or_b32 exec_lo, exec_lo, s1
	v_dual_mov_b32 v16, v2 :: v_dual_mov_b32 v15, v1
.LBB222_147:
	s_or_b32 exec_lo, exec_lo, s9
.LBB222_148:
	s_delay_alu instid0(SALU_CYCLE_1) | instskip(NEXT) | instid1(VALU_DEP_2)
	s_or_b32 exec_lo, exec_lo, s7
	v_dual_mov_b32 v18, v4 :: v_dual_mov_b32 v17, v3
	s_or_b32 exec_lo, exec_lo, s6
	s_and_saveexec_b32 s1, s0
	s_delay_alu instid0(SALU_CYCLE_1)
	s_xor_b32 s0, exec_lo, s1
	s_cbranch_execnz .LBB222_128
.LBB222_149:
	s_or_b32 exec_lo, exec_lo, s0
	s_delay_alu instid0(SALU_CYCLE_1)
	s_mov_b32 s0, exec_lo
	v_cmpx_gt_i32_e64 s8, v0
	s_cbranch_execz .LBB222_129
.LBB222_150:
	v_dual_mov_b32 v2, 0 :: v_dual_add_nc_u32 v1, s3, v0
	v_add_nc_u32_e32 v0, 0x100, v0
	s_delay_alu instid0(VALU_DEP_2) | instskip(NEXT) | instid1(VALU_DEP_1)
	v_lshlrev_b64 v[1:2], 4, v[1:2]
	v_add_co_u32 v1, vcc_lo, s4, v1
	s_delay_alu instid0(VALU_DEP_2) | instskip(SKIP_2) | instid1(SALU_CYCLE_1)
	v_add_co_ci_u32_e32 v2, vcc_lo, s5, v2, vcc_lo
	global_store_b128 v[1:2], v[5:8], off
	s_or_b32 exec_lo, exec_lo, s0
	s_mov_b32 s0, exec_lo
	v_cmpx_gt_i32_e64 s8, v0
	s_cbranch_execnz .LBB222_130
.LBB222_151:
	s_or_b32 exec_lo, exec_lo, s0
	s_delay_alu instid0(SALU_CYCLE_1)
	s_mov_b32 s0, exec_lo
	v_cmpx_gt_i32_e64 s8, v0
	s_cbranch_execz .LBB222_131
.LBB222_152:
	v_dual_mov_b32 v1, 0 :: v_dual_add_nc_u32 v0, s3, v0
	s_delay_alu instid0(VALU_DEP_1) | instskip(NEXT) | instid1(VALU_DEP_1)
	v_lshlrev_b64 v[0:1], 4, v[0:1]
	v_add_co_u32 v0, vcc_lo, s4, v0
	s_delay_alu instid0(VALU_DEP_2)
	v_add_co_ci_u32_e32 v1, vcc_lo, s5, v1, vcc_lo
	global_store_b128 v[0:1], v[15:18], off
	s_nop 0
	s_sendmsg sendmsg(MSG_DEALLOC_VGPRS)
	s_endpgm
	.section	.rodata,"a",@progbits
	.p2align	6, 0x0
	.amdhsa_kernel _ZN2at6native27unrolled_elementwise_kernelIZZZNS0_16sqrt_kernel_cudaERNS_18TensorIteratorBaseEENKUlvE_clEvENKUlvE_clEvEUlN3c107complexIdEEE_St5arrayIPcLm2EELi4E23TrivialOffsetCalculatorILi1EjESE_NS0_6memory15LoadWithoutCastENSF_16StoreWithoutCastEEEviT_T0_T2_T3_T4_T5_
		.amdhsa_group_segment_fixed_size 0
		.amdhsa_private_segment_fixed_size 0
		.amdhsa_kernarg_size 28
		.amdhsa_user_sgpr_count 15
		.amdhsa_user_sgpr_dispatch_ptr 0
		.amdhsa_user_sgpr_queue_ptr 0
		.amdhsa_user_sgpr_kernarg_segment_ptr 1
		.amdhsa_user_sgpr_dispatch_id 0
		.amdhsa_user_sgpr_private_segment_size 0
		.amdhsa_wavefront_size32 1
		.amdhsa_uses_dynamic_stack 0
		.amdhsa_enable_private_segment 0
		.amdhsa_system_sgpr_workgroup_id_x 1
		.amdhsa_system_sgpr_workgroup_id_y 0
		.amdhsa_system_sgpr_workgroup_id_z 0
		.amdhsa_system_sgpr_workgroup_info 0
		.amdhsa_system_vgpr_workitem_id 0
		.amdhsa_next_free_vgpr 32
		.amdhsa_next_free_sgpr 16
		.amdhsa_reserve_vcc 1
		.amdhsa_float_round_mode_32 0
		.amdhsa_float_round_mode_16_64 0
		.amdhsa_float_denorm_mode_32 3
		.amdhsa_float_denorm_mode_16_64 3
		.amdhsa_dx10_clamp 1
		.amdhsa_ieee_mode 1
		.amdhsa_fp16_overflow 0
		.amdhsa_workgroup_processor_mode 1
		.amdhsa_memory_ordered 1
		.amdhsa_forward_progress 0
		.amdhsa_shared_vgpr_count 0
		.amdhsa_exception_fp_ieee_invalid_op 0
		.amdhsa_exception_fp_denorm_src 0
		.amdhsa_exception_fp_ieee_div_zero 0
		.amdhsa_exception_fp_ieee_overflow 0
		.amdhsa_exception_fp_ieee_underflow 0
		.amdhsa_exception_fp_ieee_inexact 0
		.amdhsa_exception_int_div_zero 0
	.end_amdhsa_kernel
	.section	.text._ZN2at6native27unrolled_elementwise_kernelIZZZNS0_16sqrt_kernel_cudaERNS_18TensorIteratorBaseEENKUlvE_clEvENKUlvE_clEvEUlN3c107complexIdEEE_St5arrayIPcLm2EELi4E23TrivialOffsetCalculatorILi1EjESE_NS0_6memory15LoadWithoutCastENSF_16StoreWithoutCastEEEviT_T0_T2_T3_T4_T5_,"axG",@progbits,_ZN2at6native27unrolled_elementwise_kernelIZZZNS0_16sqrt_kernel_cudaERNS_18TensorIteratorBaseEENKUlvE_clEvENKUlvE_clEvEUlN3c107complexIdEEE_St5arrayIPcLm2EELi4E23TrivialOffsetCalculatorILi1EjESE_NS0_6memory15LoadWithoutCastENSF_16StoreWithoutCastEEEviT_T0_T2_T3_T4_T5_,comdat
.Lfunc_end222:
	.size	_ZN2at6native27unrolled_elementwise_kernelIZZZNS0_16sqrt_kernel_cudaERNS_18TensorIteratorBaseEENKUlvE_clEvENKUlvE_clEvEUlN3c107complexIdEEE_St5arrayIPcLm2EELi4E23TrivialOffsetCalculatorILi1EjESE_NS0_6memory15LoadWithoutCastENSF_16StoreWithoutCastEEEviT_T0_T2_T3_T4_T5_, .Lfunc_end222-_ZN2at6native27unrolled_elementwise_kernelIZZZNS0_16sqrt_kernel_cudaERNS_18TensorIteratorBaseEENKUlvE_clEvENKUlvE_clEvEUlN3c107complexIdEEE_St5arrayIPcLm2EELi4E23TrivialOffsetCalculatorILi1EjESE_NS0_6memory15LoadWithoutCastENSF_16StoreWithoutCastEEEviT_T0_T2_T3_T4_T5_
                                        ; -- End function
	.section	.AMDGPU.csdata,"",@progbits
; Kernel info:
; codeLenInByte = 7324
; NumSgprs: 18
; NumVgprs: 32
; ScratchSize: 0
; MemoryBound: 0
; FloatMode: 240
; IeeeMode: 1
; LDSByteSize: 0 bytes/workgroup (compile time only)
; SGPRBlocks: 2
; VGPRBlocks: 3
; NumSGPRsForWavesPerEU: 18
; NumVGPRsForWavesPerEU: 32
; Occupancy: 16
; WaveLimiterHint : 0
; COMPUTE_PGM_RSRC2:SCRATCH_EN: 0
; COMPUTE_PGM_RSRC2:USER_SGPR: 15
; COMPUTE_PGM_RSRC2:TRAP_HANDLER: 0
; COMPUTE_PGM_RSRC2:TGID_X_EN: 1
; COMPUTE_PGM_RSRC2:TGID_Y_EN: 0
; COMPUTE_PGM_RSRC2:TGID_Z_EN: 0
; COMPUTE_PGM_RSRC2:TIDIG_COMP_CNT: 0
	.section	.text._ZN2at6native32elementwise_kernel_manual_unrollILi128ELi4EZNS0_22gpu_kernel_impl_nocastIZZZNS0_16sqrt_kernel_cudaERNS_18TensorIteratorBaseEENKUlvE_clEvENKUlvE_clEvEUlN3c107complexIdEEE_EEvS4_RKT_EUlibE_EEviT1_,"axG",@progbits,_ZN2at6native32elementwise_kernel_manual_unrollILi128ELi4EZNS0_22gpu_kernel_impl_nocastIZZZNS0_16sqrt_kernel_cudaERNS_18TensorIteratorBaseEENKUlvE_clEvENKUlvE_clEvEUlN3c107complexIdEEE_EEvS4_RKT_EUlibE_EEviT1_,comdat
	.globl	_ZN2at6native32elementwise_kernel_manual_unrollILi128ELi4EZNS0_22gpu_kernel_impl_nocastIZZZNS0_16sqrt_kernel_cudaERNS_18TensorIteratorBaseEENKUlvE_clEvENKUlvE_clEvEUlN3c107complexIdEEE_EEvS4_RKT_EUlibE_EEviT1_ ; -- Begin function _ZN2at6native32elementwise_kernel_manual_unrollILi128ELi4EZNS0_22gpu_kernel_impl_nocastIZZZNS0_16sqrt_kernel_cudaERNS_18TensorIteratorBaseEENKUlvE_clEvENKUlvE_clEvEUlN3c107complexIdEEE_EEvS4_RKT_EUlibE_EEviT1_
	.p2align	8
	.type	_ZN2at6native32elementwise_kernel_manual_unrollILi128ELi4EZNS0_22gpu_kernel_impl_nocastIZZZNS0_16sqrt_kernel_cudaERNS_18TensorIteratorBaseEENKUlvE_clEvENKUlvE_clEvEUlN3c107complexIdEEE_EEvS4_RKT_EUlibE_EEviT1_,@function
_ZN2at6native32elementwise_kernel_manual_unrollILi128ELi4EZNS0_22gpu_kernel_impl_nocastIZZZNS0_16sqrt_kernel_cudaERNS_18TensorIteratorBaseEENKUlvE_clEvENKUlvE_clEvEUlN3c107complexIdEEE_EEvS4_RKT_EUlibE_EEviT1_: ; @_ZN2at6native32elementwise_kernel_manual_unrollILi128ELi4EZNS0_22gpu_kernel_impl_nocastIZZZNS0_16sqrt_kernel_cudaERNS_18TensorIteratorBaseEENKUlvE_clEvENKUlvE_clEvEUlN3c107complexIdEEE_EEvS4_RKT_EUlibE_EEviT1_
; %bb.0:
	s_clause 0x1
	s_load_b32 s22, s[0:1], 0x8
	s_load_b32 s27, s[0:1], 0x0
	v_lshl_or_b32 v9, s15, 9, v0
	s_or_b32 s0, s0, 8
	s_mov_b32 s8, 0
                                        ; implicit-def: $vgpr16_vgpr17
                                        ; implicit-def: $vgpr12_vgpr13
	s_mov_b32 s2, exec_lo
	s_delay_alu instid0(VALU_DEP_1) | instskip(SKIP_2) | instid1(SALU_CYCLE_1)
	v_or_b32_e32 v1, 0x180, v9
	s_waitcnt lgkmcnt(0)
	s_add_i32 s23, s22, -1
	s_cmp_gt_u32 s23, 1
	s_cselect_b32 s24, -1, 0
	v_cmpx_le_i32_e64 s27, v1
	s_xor_b32 s25, exec_lo, s2
	s_cbranch_execz .LBB223_7
; %bb.1:
	s_clause 0x3
	s_load_b128 s[12:15], s[0:1], 0x4
	s_load_b64 s[16:17], s[0:1], 0x14
	s_load_b128 s[8:11], s[0:1], 0xc4
	s_load_b128 s[4:7], s[0:1], 0x148
	s_cmp_lg_u32 s22, 0
	s_mov_b32 s30, exec_lo
	s_cselect_b32 s29, -1, 0
	s_add_u32 s18, s0, 0xc4
	s_addc_u32 s19, s1, 0
	s_min_u32 s28, s23, 15
	s_cmp_gt_u32 s22, 1
	s_cselect_b32 s26, -1, 0
	v_cmpx_gt_i32_e64 s27, v9
	s_cbranch_execz .LBB223_14
; %bb.2:
	s_and_not1_b32 vcc_lo, exec_lo, s24
	s_cbranch_vccnz .LBB223_21
; %bb.3:
	v_mov_b32_e32 v8, 0
	v_mov_b32_e32 v0, 0
	s_and_not1_b32 vcc_lo, exec_lo, s29
	s_mov_b32 s31, 0
	s_cbranch_vccnz .LBB223_88
; %bb.4:
	v_mov_b32_e32 v8, 0
	s_add_i32 s34, s28, 1
	s_cmp_eq_u32 s23, 2
	s_mov_b32 s33, 0
	s_cbranch_scc1 .LBB223_84
; %bb.5:
	v_dual_mov_b32 v0, 0 :: v_dual_mov_b32 v1, v9
	v_mov_b32_e32 v8, 0
	s_and_b32 s33, s34, 28
	s_mov_b32 s35, 0
	s_mov_b64 s[2:3], s[18:19]
	s_mov_b64 s[20:21], s[0:1]
.LBB223_6:                              ; =>This Inner Loop Header: Depth=1
	s_clause 0x1
	s_load_b256 s[36:43], s[20:21], 0x4
	s_load_b128 s[52:55], s[20:21], 0x24
	s_load_b256 s[44:51], s[2:3], 0x0
	s_add_u32 s20, s20, 48
	s_addc_u32 s21, s21, 0
	s_add_i32 s35, s35, 4
	s_add_u32 s2, s2, 32
	s_addc_u32 s3, s3, 0
	s_cmp_lg_u32 s33, s35
	s_waitcnt lgkmcnt(0)
	v_mul_hi_u32 v2, s37, v1
	s_delay_alu instid0(VALU_DEP_1) | instskip(NEXT) | instid1(VALU_DEP_1)
	v_add_nc_u32_e32 v2, v1, v2
	v_lshrrev_b32_e32 v2, s38, v2
	s_delay_alu instid0(VALU_DEP_1) | instskip(SKIP_1) | instid1(VALU_DEP_2)
	v_mul_hi_u32 v3, s40, v2
	v_mul_lo_u32 v5, v2, s36
	v_add_nc_u32_e32 v3, v2, v3
	s_delay_alu instid0(VALU_DEP_2) | instskip(NEXT) | instid1(VALU_DEP_2)
	v_sub_nc_u32_e32 v1, v1, v5
	v_lshrrev_b32_e32 v3, s41, v3
	s_delay_alu instid0(VALU_DEP_2) | instskip(SKIP_1) | instid1(VALU_DEP_3)
	v_mul_lo_u32 v5, v1, s44
	v_mul_lo_u32 v7, v1, s45
	v_mul_hi_u32 v4, s43, v3
	s_delay_alu instid0(VALU_DEP_1) | instskip(NEXT) | instid1(VALU_DEP_1)
	v_add_nc_u32_e32 v4, v3, v4
	v_lshrrev_b32_e32 v4, s52, v4
	s_delay_alu instid0(VALU_DEP_1) | instskip(SKIP_1) | instid1(VALU_DEP_2)
	v_mul_hi_u32 v6, s54, v4
	v_mul_lo_u32 v10, v4, s42
	v_add_nc_u32_e32 v1, v4, v6
	v_mul_lo_u32 v6, v3, s39
	s_delay_alu instid0(VALU_DEP_3) | instskip(NEXT) | instid1(VALU_DEP_3)
	v_sub_nc_u32_e32 v3, v3, v10
	v_lshrrev_b32_e32 v1, s55, v1
	s_delay_alu instid0(VALU_DEP_2) | instskip(SKIP_2) | instid1(VALU_DEP_4)
	v_mul_lo_u32 v10, v3, s48
	v_mul_lo_u32 v3, v3, s49
	v_sub_nc_u32_e32 v2, v2, v6
	v_mul_lo_u32 v11, v1, s53
	s_delay_alu instid0(VALU_DEP_2) | instskip(SKIP_1) | instid1(VALU_DEP_3)
	v_mul_lo_u32 v6, v2, s46
	v_mul_lo_u32 v2, v2, s47
	v_sub_nc_u32_e32 v4, v4, v11
	s_delay_alu instid0(VALU_DEP_3) | instskip(NEXT) | instid1(VALU_DEP_2)
	v_add3_u32 v5, v5, v8, v6
	v_mul_lo_u32 v11, v4, s50
	v_mul_lo_u32 v4, v4, s51
	v_add3_u32 v0, v7, v0, v2
	s_delay_alu instid0(VALU_DEP_3) | instskip(NEXT) | instid1(VALU_DEP_2)
	v_add3_u32 v8, v10, v5, v11
	v_add3_u32 v0, v3, v0, v4
	s_cbranch_scc1 .LBB223_6
	s_branch .LBB223_85
.LBB223_7:
	s_and_not1_saveexec_b32 s9, s25
	s_cbranch_execz .LBB223_373
.LBB223_8:
	v_cndmask_b32_e64 v2, 0, 1, s24
	s_and_not1_b32 vcc_lo, exec_lo, s24
	s_cbranch_vccnz .LBB223_20
; %bb.9:
	v_mov_b32_e32 v20, 0
	v_mov_b32_e32 v0, 0
	s_cmp_lg_u32 s22, 0
	s_mov_b32 s6, 0
	s_cbranch_scc0 .LBB223_26
; %bb.10:
	s_min_u32 s7, s23, 15
	v_mov_b32_e32 v20, 0
	s_add_i32 s7, s7, 1
	s_cmp_eq_u32 s23, 2
	s_mov_b32 s10, 0
	s_cbranch_scc1 .LBB223_23
; %bb.11:
	v_dual_mov_b32 v0, 0 :: v_dual_mov_b32 v3, v9
	v_mov_b32_e32 v20, 0
	s_add_u32 s2, s0, 0xc4
	s_addc_u32 s3, s1, 0
	s_and_b32 s10, s7, 28
	s_mov_b32 s11, 0
	s_mov_b64 s[4:5], s[0:1]
.LBB223_12:                             ; =>This Inner Loop Header: Depth=1
	s_clause 0x1
	s_load_b256 s[12:19], s[4:5], 0x4
	s_load_b128 s[36:39], s[4:5], 0x24
	s_load_b256 s[24:31], s[2:3], 0x0
	s_add_u32 s4, s4, 48
	s_addc_u32 s5, s5, 0
	s_add_i32 s11, s11, 4
	s_add_u32 s2, s2, 32
	s_addc_u32 s3, s3, 0
	s_cmp_lg_u32 s10, s11
	s_waitcnt lgkmcnt(0)
	v_mul_hi_u32 v4, s13, v3
	s_delay_alu instid0(VALU_DEP_1) | instskip(NEXT) | instid1(VALU_DEP_1)
	v_add_nc_u32_e32 v4, v3, v4
	v_lshrrev_b32_e32 v4, s14, v4
	s_delay_alu instid0(VALU_DEP_1) | instskip(SKIP_1) | instid1(VALU_DEP_2)
	v_mul_hi_u32 v5, s16, v4
	v_mul_lo_u32 v7, v4, s12
	v_add_nc_u32_e32 v5, v4, v5
	s_delay_alu instid0(VALU_DEP_2) | instskip(NEXT) | instid1(VALU_DEP_2)
	v_sub_nc_u32_e32 v3, v3, v7
	v_lshrrev_b32_e32 v5, s17, v5
	s_delay_alu instid0(VALU_DEP_2) | instskip(SKIP_1) | instid1(VALU_DEP_3)
	v_mul_lo_u32 v7, v3, s24
	v_mul_lo_u32 v10, v3, s25
	v_mul_hi_u32 v6, s19, v5
	s_delay_alu instid0(VALU_DEP_1) | instskip(NEXT) | instid1(VALU_DEP_1)
	v_add_nc_u32_e32 v6, v5, v6
	v_lshrrev_b32_e32 v6, s36, v6
	s_delay_alu instid0(VALU_DEP_1) | instskip(SKIP_1) | instid1(VALU_DEP_2)
	v_mul_hi_u32 v8, s38, v6
	v_mul_lo_u32 v11, v6, s18
	v_add_nc_u32_e32 v3, v6, v8
	v_mul_lo_u32 v8, v5, s15
	s_delay_alu instid0(VALU_DEP_3) | instskip(NEXT) | instid1(VALU_DEP_3)
	v_sub_nc_u32_e32 v5, v5, v11
	v_lshrrev_b32_e32 v3, s39, v3
	s_delay_alu instid0(VALU_DEP_2) | instskip(SKIP_2) | instid1(VALU_DEP_4)
	v_mul_lo_u32 v11, v5, s28
	v_mul_lo_u32 v5, v5, s29
	v_sub_nc_u32_e32 v4, v4, v8
	v_mul_lo_u32 v12, v3, s37
	s_delay_alu instid0(VALU_DEP_2) | instskip(SKIP_1) | instid1(VALU_DEP_3)
	v_mul_lo_u32 v8, v4, s26
	v_mul_lo_u32 v4, v4, s27
	v_sub_nc_u32_e32 v6, v6, v12
	s_delay_alu instid0(VALU_DEP_3) | instskip(NEXT) | instid1(VALU_DEP_2)
	v_add3_u32 v7, v7, v20, v8
	v_mul_lo_u32 v12, v6, s30
	v_mul_lo_u32 v6, v6, s31
	v_add3_u32 v0, v10, v0, v4
	s_delay_alu instid0(VALU_DEP_3) | instskip(NEXT) | instid1(VALU_DEP_2)
	v_add3_u32 v20, v11, v7, v12
	v_add3_u32 v0, v5, v0, v6
	s_cbranch_scc1 .LBB223_12
; %bb.13:
	s_and_b32 s7, s7, 3
	s_delay_alu instid0(SALU_CYCLE_1)
	s_cmp_eq_u32 s7, 0
	s_cbranch_scc0 .LBB223_24
	s_branch .LBB223_26
.LBB223_14:
	s_or_b32 exec_lo, exec_lo, s30
	s_delay_alu instid0(SALU_CYCLE_1)
	s_mov_b32 s30, exec_lo
	v_cmpx_gt_i32_e64 s27, v9
	s_cbranch_execz .LBB223_261
.LBB223_15:
	s_and_not1_b32 vcc_lo, exec_lo, s24
	s_cbranch_vccnz .LBB223_22
; %bb.16:
	v_mov_b32_e32 v8, 0
	v_mov_b32_e32 v0, 0
	s_and_not1_b32 vcc_lo, exec_lo, s29
	s_mov_b32 s31, 0
	s_cbranch_vccnz .LBB223_111
; %bb.17:
	v_mov_b32_e32 v8, 0
	s_add_i32 s34, s28, 1
	s_cmp_eq_u32 s23, 2
	s_mov_b32 s33, 0
	s_cbranch_scc1 .LBB223_107
; %bb.18:
	v_dual_mov_b32 v0, 0 :: v_dual_mov_b32 v1, v9
	v_mov_b32_e32 v8, 0
	s_and_b32 s33, s34, 28
	s_mov_b32 s35, 0
	s_mov_b64 s[2:3], s[18:19]
	s_mov_b64 s[20:21], s[0:1]
.LBB223_19:                             ; =>This Inner Loop Header: Depth=1
	s_clause 0x1
	s_load_b256 s[36:43], s[20:21], 0x4
	s_load_b128 s[52:55], s[20:21], 0x24
	s_load_b256 s[44:51], s[2:3], 0x0
	s_add_u32 s20, s20, 48
	s_addc_u32 s21, s21, 0
	s_add_i32 s35, s35, 4
	s_add_u32 s2, s2, 32
	s_addc_u32 s3, s3, 0
	s_cmp_eq_u32 s33, s35
	s_waitcnt lgkmcnt(0)
	v_mul_hi_u32 v2, s37, v1
	s_delay_alu instid0(VALU_DEP_1) | instskip(NEXT) | instid1(VALU_DEP_1)
	v_add_nc_u32_e32 v2, v1, v2
	v_lshrrev_b32_e32 v2, s38, v2
	s_delay_alu instid0(VALU_DEP_1) | instskip(SKIP_1) | instid1(VALU_DEP_2)
	v_mul_hi_u32 v3, s40, v2
	v_mul_lo_u32 v5, v2, s36
	v_add_nc_u32_e32 v3, v2, v3
	s_delay_alu instid0(VALU_DEP_2) | instskip(NEXT) | instid1(VALU_DEP_2)
	v_sub_nc_u32_e32 v1, v1, v5
	v_lshrrev_b32_e32 v3, s41, v3
	s_delay_alu instid0(VALU_DEP_2) | instskip(SKIP_1) | instid1(VALU_DEP_3)
	v_mul_lo_u32 v5, v1, s44
	v_mul_lo_u32 v7, v1, s45
	v_mul_hi_u32 v4, s43, v3
	s_delay_alu instid0(VALU_DEP_1) | instskip(NEXT) | instid1(VALU_DEP_1)
	v_add_nc_u32_e32 v4, v3, v4
	v_lshrrev_b32_e32 v4, s52, v4
	s_delay_alu instid0(VALU_DEP_1) | instskip(SKIP_1) | instid1(VALU_DEP_2)
	v_mul_hi_u32 v6, s54, v4
	v_mul_lo_u32 v10, v4, s42
	v_add_nc_u32_e32 v1, v4, v6
	v_mul_lo_u32 v6, v3, s39
	s_delay_alu instid0(VALU_DEP_3) | instskip(NEXT) | instid1(VALU_DEP_3)
	v_sub_nc_u32_e32 v3, v3, v10
	v_lshrrev_b32_e32 v1, s55, v1
	s_delay_alu instid0(VALU_DEP_2) | instskip(SKIP_2) | instid1(VALU_DEP_4)
	v_mul_lo_u32 v10, v3, s48
	v_mul_lo_u32 v3, v3, s49
	v_sub_nc_u32_e32 v2, v2, v6
	v_mul_lo_u32 v11, v1, s53
	s_delay_alu instid0(VALU_DEP_2) | instskip(SKIP_1) | instid1(VALU_DEP_3)
	v_mul_lo_u32 v6, v2, s46
	v_mul_lo_u32 v2, v2, s47
	v_sub_nc_u32_e32 v4, v4, v11
	s_delay_alu instid0(VALU_DEP_3) | instskip(NEXT) | instid1(VALU_DEP_2)
	v_add3_u32 v5, v5, v8, v6
	v_mul_lo_u32 v11, v4, s50
	v_mul_lo_u32 v4, v4, s51
	v_add3_u32 v0, v7, v0, v2
	s_delay_alu instid0(VALU_DEP_3) | instskip(NEXT) | instid1(VALU_DEP_2)
	v_add3_u32 v8, v10, v5, v11
	v_add3_u32 v0, v3, v0, v4
	s_cbranch_scc0 .LBB223_19
	s_branch .LBB223_108
.LBB223_20:
	s_mov_b32 s6, -1
                                        ; implicit-def: $vgpr20
                                        ; implicit-def: $vgpr0
	s_branch .LBB223_26
.LBB223_21:
	s_mov_b32 s31, -1
                                        ; implicit-def: $vgpr8
                                        ; implicit-def: $vgpr0
	s_branch .LBB223_88
.LBB223_22:
	s_mov_b32 s31, -1
                                        ; implicit-def: $vgpr8
                                        ; implicit-def: $vgpr0
	s_branch .LBB223_111
.LBB223_23:
	v_dual_mov_b32 v3, v9 :: v_dual_mov_b32 v0, 0
	s_and_b32 s7, s7, 3
	s_delay_alu instid0(SALU_CYCLE_1)
	s_cmp_eq_u32 s7, 0
	s_cbranch_scc1 .LBB223_26
.LBB223_24:
	s_lshl_b32 s2, s10, 3
	s_mul_i32 s4, s10, 12
	s_add_u32 s2, s2, s0
	s_addc_u32 s3, 0, s1
	s_add_u32 s2, s2, 0xc4
	s_addc_u32 s3, s3, 0
	;; [unrolled: 2-line block ×3, first 2 shown]
	.p2align	6
.LBB223_25:                             ; =>This Inner Loop Header: Depth=1
	s_clause 0x1
	s_load_b64 s[10:11], s[4:5], 0x4
	s_load_b32 s14, s[4:5], 0xc
	s_load_b64 s[12:13], s[2:3], 0x0
	s_add_u32 s4, s4, 12
	s_addc_u32 s5, s5, 0
	s_add_u32 s2, s2, 8
	s_addc_u32 s3, s3, 0
	s_add_i32 s7, s7, -1
	s_delay_alu instid0(SALU_CYCLE_1) | instskip(SKIP_2) | instid1(VALU_DEP_1)
	s_cmp_lg_u32 s7, 0
	s_waitcnt lgkmcnt(0)
	v_mul_hi_u32 v4, s11, v3
	v_add_nc_u32_e32 v4, v3, v4
	s_delay_alu instid0(VALU_DEP_1) | instskip(NEXT) | instid1(VALU_DEP_1)
	v_lshrrev_b32_e32 v7, s14, v4
	v_mul_lo_u32 v4, v7, s10
	s_delay_alu instid0(VALU_DEP_1) | instskip(NEXT) | instid1(VALU_DEP_1)
	v_sub_nc_u32_e32 v3, v3, v4
	v_mad_u64_u32 v[4:5], null, v3, s12, v[20:21]
	v_mad_u64_u32 v[5:6], null, v3, s13, v[0:1]
	s_delay_alu instid0(VALU_DEP_2) | instskip(NEXT) | instid1(VALU_DEP_2)
	v_dual_mov_b32 v3, v7 :: v_dual_mov_b32 v20, v4
	v_mov_b32_e32 v0, v5
	s_cbranch_scc1 .LBB223_25
.LBB223_26:
	s_and_not1_b32 vcc_lo, exec_lo, s6
	s_cbranch_vccnz .LBB223_29
; %bb.27:
	s_clause 0x1
	s_load_b128 s[4:7], s[0:1], 0x4
	s_load_b64 s[2:3], s[0:1], 0xc4
	s_cmp_lt_u32 s22, 2
	s_waitcnt lgkmcnt(0)
	v_mul_hi_u32 v0, s5, v9
	s_delay_alu instid0(VALU_DEP_1) | instskip(NEXT) | instid1(VALU_DEP_1)
	v_add_nc_u32_e32 v0, v9, v0
	v_lshrrev_b32_e32 v3, s6, v0
	s_delay_alu instid0(VALU_DEP_1) | instskip(NEXT) | instid1(VALU_DEP_1)
	v_mul_lo_u32 v0, v3, s4
	v_sub_nc_u32_e32 v0, v9, v0
	s_delay_alu instid0(VALU_DEP_1)
	v_mul_lo_u32 v20, v0, s2
	v_mul_lo_u32 v0, v0, s3
	s_cbranch_scc1 .LBB223_29
; %bb.28:
	s_clause 0x1
	s_load_b128 s[4:7], s[0:1], 0x10
	s_load_b64 s[2:3], s[0:1], 0xcc
	s_waitcnt lgkmcnt(0)
	v_mul_hi_u32 v4, s5, v3
	s_delay_alu instid0(VALU_DEP_1) | instskip(NEXT) | instid1(VALU_DEP_1)
	v_add_nc_u32_e32 v4, v3, v4
	v_lshrrev_b32_e32 v4, s6, v4
	s_delay_alu instid0(VALU_DEP_1) | instskip(NEXT) | instid1(VALU_DEP_1)
	v_mul_lo_u32 v4, v4, s4
	v_sub_nc_u32_e32 v6, v3, v4
	s_delay_alu instid0(VALU_DEP_1) | instskip(SKIP_1) | instid1(VALU_DEP_2)
	v_mad_u64_u32 v[3:4], null, v6, s2, v[20:21]
	v_mad_u64_u32 v[4:5], null, v6, s3, v[0:1]
	v_mov_b32_e32 v20, v3
	s_delay_alu instid0(VALU_DEP_2)
	v_mov_b32_e32 v0, v4
.LBB223_29:
	v_cmp_ne_u32_e32 vcc_lo, 1, v2
	v_add_nc_u32_e32 v3, 0x80, v9
	s_cbranch_vccnz .LBB223_35
; %bb.30:
	v_dual_mov_b32 v21, 0 :: v_dual_mov_b32 v10, 0
	s_cmp_lg_u32 s22, 0
	s_mov_b32 s6, 0
	s_cbranch_scc0 .LBB223_39
; %bb.31:
	s_min_u32 s7, s23, 15
	v_mov_b32_e32 v21, 0
	s_add_i32 s7, s7, 1
	s_cmp_eq_u32 s23, 2
	s_mov_b32 s10, 0
	s_cbranch_scc1 .LBB223_36
; %bb.32:
	v_dual_mov_b32 v10, 0 :: v_dual_mov_b32 v21, 0
	v_mov_b32_e32 v4, v3
	s_add_u32 s2, s0, 0xc4
	s_addc_u32 s3, s1, 0
	s_and_b32 s10, s7, 28
	s_mov_b32 s11, 0
	s_mov_b64 s[4:5], s[0:1]
.LBB223_33:                             ; =>This Inner Loop Header: Depth=1
	s_clause 0x1
	s_load_b256 s[12:19], s[4:5], 0x4
	s_load_b128 s[36:39], s[4:5], 0x24
	s_load_b256 s[24:31], s[2:3], 0x0
	s_add_u32 s4, s4, 48
	s_addc_u32 s5, s5, 0
	s_add_i32 s11, s11, 4
	s_add_u32 s2, s2, 32
	s_addc_u32 s3, s3, 0
	s_cmp_lg_u32 s10, s11
	s_waitcnt lgkmcnt(0)
	v_mul_hi_u32 v5, s13, v4
	s_delay_alu instid0(VALU_DEP_1) | instskip(NEXT) | instid1(VALU_DEP_1)
	v_add_nc_u32_e32 v5, v4, v5
	v_lshrrev_b32_e32 v5, s14, v5
	s_delay_alu instid0(VALU_DEP_1) | instskip(SKIP_1) | instid1(VALU_DEP_2)
	v_mul_hi_u32 v6, s16, v5
	v_mul_lo_u32 v8, v5, s12
	v_add_nc_u32_e32 v6, v5, v6
	s_delay_alu instid0(VALU_DEP_2) | instskip(NEXT) | instid1(VALU_DEP_2)
	v_sub_nc_u32_e32 v4, v4, v8
	v_lshrrev_b32_e32 v6, s17, v6
	s_delay_alu instid0(VALU_DEP_2) | instskip(SKIP_1) | instid1(VALU_DEP_3)
	v_mul_lo_u32 v8, v4, s24
	v_mul_lo_u32 v12, v4, s25
	v_mul_hi_u32 v7, s19, v6
	s_delay_alu instid0(VALU_DEP_1) | instskip(NEXT) | instid1(VALU_DEP_1)
	v_add_nc_u32_e32 v7, v6, v7
	v_lshrrev_b32_e32 v7, s36, v7
	s_delay_alu instid0(VALU_DEP_1) | instskip(SKIP_1) | instid1(VALU_DEP_2)
	v_mul_hi_u32 v11, s38, v7
	v_mul_lo_u32 v13, v7, s18
	v_add_nc_u32_e32 v4, v7, v11
	v_mul_lo_u32 v11, v6, s15
	s_delay_alu instid0(VALU_DEP_3) | instskip(NEXT) | instid1(VALU_DEP_3)
	v_sub_nc_u32_e32 v6, v6, v13
	v_lshrrev_b32_e32 v4, s39, v4
	s_delay_alu instid0(VALU_DEP_2) | instskip(SKIP_2) | instid1(VALU_DEP_4)
	v_mul_lo_u32 v13, v6, s28
	v_mul_lo_u32 v6, v6, s29
	v_sub_nc_u32_e32 v5, v5, v11
	v_mul_lo_u32 v14, v4, s37
	s_delay_alu instid0(VALU_DEP_2) | instskip(SKIP_1) | instid1(VALU_DEP_3)
	v_mul_lo_u32 v11, v5, s26
	v_mul_lo_u32 v5, v5, s27
	v_sub_nc_u32_e32 v7, v7, v14
	s_delay_alu instid0(VALU_DEP_3) | instskip(NEXT) | instid1(VALU_DEP_2)
	v_add3_u32 v8, v8, v21, v11
	v_mul_lo_u32 v14, v7, s30
	v_mul_lo_u32 v7, v7, s31
	v_add3_u32 v5, v12, v10, v5
	s_delay_alu instid0(VALU_DEP_3) | instskip(NEXT) | instid1(VALU_DEP_2)
	v_add3_u32 v21, v13, v8, v14
	v_add3_u32 v10, v6, v5, v7
	s_cbranch_scc1 .LBB223_33
; %bb.34:
	s_and_b32 s7, s7, 3
	s_delay_alu instid0(SALU_CYCLE_1)
	s_cmp_eq_u32 s7, 0
	s_cbranch_scc0 .LBB223_37
	s_branch .LBB223_39
.LBB223_35:
	s_mov_b32 s6, -1
                                        ; implicit-def: $vgpr21
                                        ; implicit-def: $vgpr10
	s_branch .LBB223_39
.LBB223_36:
	v_mov_b32_e32 v4, v3
	v_mov_b32_e32 v10, 0
	s_and_b32 s7, s7, 3
	s_delay_alu instid0(SALU_CYCLE_1)
	s_cmp_eq_u32 s7, 0
	s_cbranch_scc1 .LBB223_39
.LBB223_37:
	s_lshl_b32 s2, s10, 3
	s_mul_i32 s4, s10, 12
	s_add_u32 s2, s2, s0
	s_addc_u32 s3, 0, s1
	s_add_u32 s2, s2, 0xc4
	s_addc_u32 s3, s3, 0
	;; [unrolled: 2-line block ×3, first 2 shown]
	.p2align	6
.LBB223_38:                             ; =>This Inner Loop Header: Depth=1
	s_clause 0x1
	s_load_b64 s[10:11], s[4:5], 0x4
	s_load_b32 s14, s[4:5], 0xc
	s_load_b64 s[12:13], s[2:3], 0x0
	s_add_u32 s4, s4, 12
	s_addc_u32 s5, s5, 0
	s_add_u32 s2, s2, 8
	s_addc_u32 s3, s3, 0
	s_add_i32 s7, s7, -1
	s_delay_alu instid0(SALU_CYCLE_1) | instskip(SKIP_2) | instid1(VALU_DEP_1)
	s_cmp_lg_u32 s7, 0
	s_waitcnt lgkmcnt(0)
	v_mul_hi_u32 v5, s11, v4
	v_add_nc_u32_e32 v5, v4, v5
	s_delay_alu instid0(VALU_DEP_1) | instskip(NEXT) | instid1(VALU_DEP_1)
	v_lshrrev_b32_e32 v8, s14, v5
	v_mul_lo_u32 v5, v8, s10
	s_delay_alu instid0(VALU_DEP_1) | instskip(NEXT) | instid1(VALU_DEP_1)
	v_sub_nc_u32_e32 v4, v4, v5
	v_mad_u64_u32 v[5:6], null, v4, s12, v[21:22]
	v_mad_u64_u32 v[6:7], null, v4, s13, v[10:11]
	s_delay_alu instid0(VALU_DEP_2) | instskip(NEXT) | instid1(VALU_DEP_2)
	v_dual_mov_b32 v4, v8 :: v_dual_mov_b32 v21, v5
	v_mov_b32_e32 v10, v6
	s_cbranch_scc1 .LBB223_38
.LBB223_39:
	s_and_not1_b32 vcc_lo, exec_lo, s6
	s_cbranch_vccnz .LBB223_42
; %bb.40:
	s_clause 0x1
	s_load_b128 s[4:7], s[0:1], 0x4
	s_load_b64 s[2:3], s[0:1], 0xc4
	s_cmp_lt_u32 s22, 2
	s_waitcnt lgkmcnt(0)
	v_mul_hi_u32 v4, s5, v3
	s_delay_alu instid0(VALU_DEP_1) | instskip(NEXT) | instid1(VALU_DEP_1)
	v_add_nc_u32_e32 v4, v3, v4
	v_lshrrev_b32_e32 v4, s6, v4
	s_delay_alu instid0(VALU_DEP_1) | instskip(NEXT) | instid1(VALU_DEP_1)
	v_mul_lo_u32 v5, v4, s4
	v_sub_nc_u32_e32 v3, v3, v5
	s_delay_alu instid0(VALU_DEP_1)
	v_mul_lo_u32 v21, v3, s2
	v_mul_lo_u32 v10, v3, s3
	s_cbranch_scc1 .LBB223_42
; %bb.41:
	s_clause 0x1
	s_load_b128 s[4:7], s[0:1], 0x10
	s_load_b64 s[2:3], s[0:1], 0xcc
	s_waitcnt lgkmcnt(0)
	v_mul_hi_u32 v3, s5, v4
	s_delay_alu instid0(VALU_DEP_1) | instskip(NEXT) | instid1(VALU_DEP_1)
	v_add_nc_u32_e32 v3, v4, v3
	v_lshrrev_b32_e32 v3, s6, v3
	s_delay_alu instid0(VALU_DEP_1) | instskip(NEXT) | instid1(VALU_DEP_1)
	v_mul_lo_u32 v3, v3, s4
	v_sub_nc_u32_e32 v6, v4, v3
	s_delay_alu instid0(VALU_DEP_1) | instskip(SKIP_1) | instid1(VALU_DEP_1)
	v_mad_u64_u32 v[3:4], null, v6, s2, v[21:22]
	v_mad_u64_u32 v[4:5], null, v6, s3, v[10:11]
	v_dual_mov_b32 v21, v3 :: v_dual_mov_b32 v10, v4
.LBB223_42:
	v_cmp_ne_u32_e32 vcc_lo, 1, v2
	v_add_nc_u32_e32 v3, 0x100, v9
	s_cbranch_vccnz .LBB223_48
; %bb.43:
	v_dual_mov_b32 v22, 0 :: v_dual_mov_b32 v7, 0
	s_cmp_lg_u32 s22, 0
	s_mov_b32 s6, 0
	s_cbranch_scc0 .LBB223_52
; %bb.44:
	s_min_u32 s7, s23, 15
	v_mov_b32_e32 v22, 0
	s_add_i32 s7, s7, 1
	s_cmp_eq_u32 s23, 2
	s_mov_b32 s10, 0
	s_cbranch_scc1 .LBB223_49
; %bb.45:
	v_dual_mov_b32 v7, 0 :: v_dual_mov_b32 v22, 0
	v_mov_b32_e32 v4, v3
	s_add_u32 s2, s0, 0xc4
	s_addc_u32 s3, s1, 0
	s_and_b32 s10, s7, 28
	s_mov_b32 s11, 0
	s_mov_b64 s[4:5], s[0:1]
.LBB223_46:                             ; =>This Inner Loop Header: Depth=1
	s_clause 0x1
	s_load_b256 s[12:19], s[4:5], 0x4
	s_load_b128 s[36:39], s[4:5], 0x24
	s_load_b256 s[24:31], s[2:3], 0x0
	s_add_u32 s4, s4, 48
	s_addc_u32 s5, s5, 0
	s_add_i32 s11, s11, 4
	s_add_u32 s2, s2, 32
	s_addc_u32 s3, s3, 0
	s_cmp_lg_u32 s10, s11
	s_waitcnt lgkmcnt(0)
	v_mul_hi_u32 v5, s13, v4
	s_delay_alu instid0(VALU_DEP_1) | instskip(NEXT) | instid1(VALU_DEP_1)
	v_add_nc_u32_e32 v5, v4, v5
	v_lshrrev_b32_e32 v5, s14, v5
	s_delay_alu instid0(VALU_DEP_1) | instskip(SKIP_1) | instid1(VALU_DEP_2)
	v_mul_hi_u32 v6, s16, v5
	v_mul_lo_u32 v9, v5, s12
	v_add_nc_u32_e32 v6, v5, v6
	s_delay_alu instid0(VALU_DEP_2) | instskip(NEXT) | instid1(VALU_DEP_2)
	v_sub_nc_u32_e32 v4, v4, v9
	v_lshrrev_b32_e32 v6, s17, v6
	s_delay_alu instid0(VALU_DEP_2) | instskip(SKIP_1) | instid1(VALU_DEP_3)
	v_mul_lo_u32 v9, v4, s24
	v_mul_lo_u32 v12, v4, s25
	v_mul_hi_u32 v8, s19, v6
	s_delay_alu instid0(VALU_DEP_1) | instskip(NEXT) | instid1(VALU_DEP_1)
	v_add_nc_u32_e32 v8, v6, v8
	v_lshrrev_b32_e32 v8, s36, v8
	s_delay_alu instid0(VALU_DEP_1) | instskip(SKIP_1) | instid1(VALU_DEP_2)
	v_mul_hi_u32 v11, s38, v8
	v_mul_lo_u32 v13, v8, s18
	v_add_nc_u32_e32 v4, v8, v11
	v_mul_lo_u32 v11, v6, s15
	s_delay_alu instid0(VALU_DEP_3) | instskip(NEXT) | instid1(VALU_DEP_3)
	v_sub_nc_u32_e32 v6, v6, v13
	v_lshrrev_b32_e32 v4, s39, v4
	s_delay_alu instid0(VALU_DEP_2) | instskip(SKIP_2) | instid1(VALU_DEP_4)
	v_mul_lo_u32 v13, v6, s28
	v_mul_lo_u32 v6, v6, s29
	v_sub_nc_u32_e32 v5, v5, v11
	v_mul_lo_u32 v14, v4, s37
	s_delay_alu instid0(VALU_DEP_2) | instskip(SKIP_1) | instid1(VALU_DEP_3)
	v_mul_lo_u32 v11, v5, s26
	v_mul_lo_u32 v5, v5, s27
	v_sub_nc_u32_e32 v8, v8, v14
	s_delay_alu instid0(VALU_DEP_3) | instskip(NEXT) | instid1(VALU_DEP_2)
	v_add3_u32 v9, v9, v22, v11
	v_mul_lo_u32 v14, v8, s30
	v_mul_lo_u32 v8, v8, s31
	v_add3_u32 v5, v12, v7, v5
	s_delay_alu instid0(VALU_DEP_3) | instskip(NEXT) | instid1(VALU_DEP_2)
	v_add3_u32 v22, v13, v9, v14
	v_add3_u32 v7, v6, v5, v8
	s_cbranch_scc1 .LBB223_46
; %bb.47:
	s_and_b32 s7, s7, 3
	s_delay_alu instid0(SALU_CYCLE_1)
	s_cmp_eq_u32 s7, 0
	s_cbranch_scc0 .LBB223_50
	s_branch .LBB223_52
.LBB223_48:
	s_mov_b32 s6, -1
                                        ; implicit-def: $vgpr22
                                        ; implicit-def: $vgpr7
	s_branch .LBB223_52
.LBB223_49:
	v_dual_mov_b32 v4, v3 :: v_dual_mov_b32 v7, 0
	s_and_b32 s7, s7, 3
	s_delay_alu instid0(SALU_CYCLE_1)
	s_cmp_eq_u32 s7, 0
	s_cbranch_scc1 .LBB223_52
.LBB223_50:
	s_lshl_b32 s2, s10, 3
	s_mul_i32 s4, s10, 12
	s_add_u32 s2, s2, s0
	s_addc_u32 s3, 0, s1
	s_add_u32 s2, s2, 0xc4
	s_addc_u32 s3, s3, 0
	;; [unrolled: 2-line block ×3, first 2 shown]
	.p2align	6
.LBB223_51:                             ; =>This Inner Loop Header: Depth=1
	s_clause 0x1
	s_load_b64 s[10:11], s[4:5], 0x4
	s_load_b32 s14, s[4:5], 0xc
	s_load_b64 s[12:13], s[2:3], 0x0
	s_add_u32 s4, s4, 12
	s_addc_u32 s5, s5, 0
	s_add_u32 s2, s2, 8
	s_addc_u32 s3, s3, 0
	s_add_i32 s7, s7, -1
	s_delay_alu instid0(SALU_CYCLE_1) | instskip(SKIP_2) | instid1(VALU_DEP_1)
	s_cmp_lg_u32 s7, 0
	s_waitcnt lgkmcnt(0)
	v_mul_hi_u32 v5, s11, v4
	v_add_nc_u32_e32 v5, v4, v5
	s_delay_alu instid0(VALU_DEP_1) | instskip(NEXT) | instid1(VALU_DEP_1)
	v_lshrrev_b32_e32 v11, s14, v5
	v_mul_lo_u32 v5, v11, s10
	s_delay_alu instid0(VALU_DEP_1) | instskip(NEXT) | instid1(VALU_DEP_1)
	v_sub_nc_u32_e32 v4, v4, v5
	v_mad_u64_u32 v[5:6], null, v4, s12, v[22:23]
	v_mad_u64_u32 v[8:9], null, v4, s13, v[7:8]
	v_mov_b32_e32 v4, v11
	s_delay_alu instid0(VALU_DEP_2)
	v_dual_mov_b32 v22, v5 :: v_dual_mov_b32 v7, v8
	s_cbranch_scc1 .LBB223_51
.LBB223_52:
	s_and_not1_b32 vcc_lo, exec_lo, s6
	s_cbranch_vccnz .LBB223_55
; %bb.53:
	s_clause 0x1
	s_load_b128 s[4:7], s[0:1], 0x4
	s_load_b64 s[2:3], s[0:1], 0xc4
	s_cmp_lt_u32 s22, 2
	s_waitcnt lgkmcnt(0)
	v_mul_hi_u32 v4, s5, v3
	s_delay_alu instid0(VALU_DEP_1) | instskip(NEXT) | instid1(VALU_DEP_1)
	v_add_nc_u32_e32 v4, v3, v4
	v_lshrrev_b32_e32 v4, s6, v4
	s_delay_alu instid0(VALU_DEP_1) | instskip(NEXT) | instid1(VALU_DEP_1)
	v_mul_lo_u32 v5, v4, s4
	v_sub_nc_u32_e32 v3, v3, v5
	s_delay_alu instid0(VALU_DEP_1)
	v_mul_lo_u32 v22, v3, s2
	v_mul_lo_u32 v7, v3, s3
	s_cbranch_scc1 .LBB223_55
; %bb.54:
	s_clause 0x1
	s_load_b128 s[4:7], s[0:1], 0x10
	s_load_b64 s[2:3], s[0:1], 0xcc
	s_waitcnt lgkmcnt(0)
	v_mul_hi_u32 v3, s5, v4
	s_delay_alu instid0(VALU_DEP_1) | instskip(NEXT) | instid1(VALU_DEP_1)
	v_add_nc_u32_e32 v3, v4, v3
	v_lshrrev_b32_e32 v3, s6, v3
	s_delay_alu instid0(VALU_DEP_1) | instskip(NEXT) | instid1(VALU_DEP_1)
	v_mul_lo_u32 v3, v3, s4
	v_sub_nc_u32_e32 v6, v4, v3
	s_delay_alu instid0(VALU_DEP_1) | instskip(SKIP_1) | instid1(VALU_DEP_1)
	v_mad_u64_u32 v[3:4], null, v6, s2, v[22:23]
	v_mad_u64_u32 v[4:5], null, v6, s3, v[7:8]
	v_dual_mov_b32 v22, v3 :: v_dual_mov_b32 v7, v4
.LBB223_55:
	v_cmp_ne_u32_e32 vcc_lo, 1, v2
	s_cbranch_vccnz .LBB223_61
; %bb.56:
	v_dual_mov_b32 v23, 0 :: v_dual_mov_b32 v6, 0
	s_cmp_lg_u32 s22, 0
	s_mov_b32 s6, 0
	s_cbranch_scc0 .LBB223_65
; %bb.57:
	s_min_u32 s7, s23, 15
	v_mov_b32_e32 v23, 0
	s_add_i32 s7, s7, 1
	s_cmp_eq_u32 s23, 2
	s_mov_b32 s10, 0
	s_cbranch_scc1 .LBB223_62
; %bb.58:
	v_dual_mov_b32 v6, 0 :: v_dual_mov_b32 v23, 0
	v_mov_b32_e32 v2, v1
	s_add_u32 s2, s0, 0xc4
	s_addc_u32 s3, s1, 0
	s_and_b32 s10, s7, 28
	s_mov_b32 s11, 0
	s_mov_b64 s[4:5], s[0:1]
.LBB223_59:                             ; =>This Inner Loop Header: Depth=1
	s_clause 0x1
	s_load_b256 s[12:19], s[4:5], 0x4
	s_load_b128 s[36:39], s[4:5], 0x24
	s_load_b256 s[24:31], s[2:3], 0x0
	s_add_u32 s4, s4, 48
	s_addc_u32 s5, s5, 0
	s_add_i32 s11, s11, 4
	s_add_u32 s2, s2, 32
	s_addc_u32 s3, s3, 0
	s_cmp_lg_u32 s10, s11
	s_waitcnt lgkmcnt(0)
	v_mul_hi_u32 v3, s13, v2
	s_delay_alu instid0(VALU_DEP_1) | instskip(NEXT) | instid1(VALU_DEP_1)
	v_add_nc_u32_e32 v3, v2, v3
	v_lshrrev_b32_e32 v3, s14, v3
	s_delay_alu instid0(VALU_DEP_1) | instskip(SKIP_1) | instid1(VALU_DEP_2)
	v_mul_hi_u32 v4, s16, v3
	v_mul_lo_u32 v8, v3, s12
	v_add_nc_u32_e32 v4, v3, v4
	s_delay_alu instid0(VALU_DEP_2) | instskip(NEXT) | instid1(VALU_DEP_2)
	v_sub_nc_u32_e32 v2, v2, v8
	v_lshrrev_b32_e32 v4, s17, v4
	s_delay_alu instid0(VALU_DEP_2) | instskip(SKIP_1) | instid1(VALU_DEP_3)
	v_mul_lo_u32 v8, v2, s24
	v_mul_lo_u32 v11, v2, s25
	v_mul_hi_u32 v5, s19, v4
	s_delay_alu instid0(VALU_DEP_1) | instskip(NEXT) | instid1(VALU_DEP_1)
	v_add_nc_u32_e32 v5, v4, v5
	v_lshrrev_b32_e32 v5, s36, v5
	s_delay_alu instid0(VALU_DEP_1) | instskip(SKIP_1) | instid1(VALU_DEP_2)
	v_mul_hi_u32 v9, s38, v5
	v_mul_lo_u32 v12, v5, s18
	v_add_nc_u32_e32 v2, v5, v9
	v_mul_lo_u32 v9, v4, s15
	s_delay_alu instid0(VALU_DEP_3) | instskip(NEXT) | instid1(VALU_DEP_3)
	v_sub_nc_u32_e32 v4, v4, v12
	v_lshrrev_b32_e32 v2, s39, v2
	s_delay_alu instid0(VALU_DEP_2) | instskip(SKIP_2) | instid1(VALU_DEP_4)
	v_mul_lo_u32 v12, v4, s28
	v_mul_lo_u32 v4, v4, s29
	v_sub_nc_u32_e32 v3, v3, v9
	v_mul_lo_u32 v13, v2, s37
	s_delay_alu instid0(VALU_DEP_2) | instskip(SKIP_1) | instid1(VALU_DEP_3)
	v_mul_lo_u32 v9, v3, s26
	v_mul_lo_u32 v3, v3, s27
	v_sub_nc_u32_e32 v5, v5, v13
	s_delay_alu instid0(VALU_DEP_3) | instskip(NEXT) | instid1(VALU_DEP_2)
	v_add3_u32 v8, v8, v23, v9
	v_mul_lo_u32 v13, v5, s30
	v_mul_lo_u32 v5, v5, s31
	v_add3_u32 v3, v11, v6, v3
	s_delay_alu instid0(VALU_DEP_3) | instskip(NEXT) | instid1(VALU_DEP_2)
	v_add3_u32 v23, v12, v8, v13
	v_add3_u32 v6, v4, v3, v5
	s_cbranch_scc1 .LBB223_59
; %bb.60:
	s_and_b32 s7, s7, 3
	s_delay_alu instid0(SALU_CYCLE_1)
	s_cmp_eq_u32 s7, 0
	s_cbranch_scc0 .LBB223_63
	s_branch .LBB223_65
.LBB223_61:
	s_mov_b32 s6, -1
                                        ; implicit-def: $vgpr23
                                        ; implicit-def: $vgpr6
	s_branch .LBB223_65
.LBB223_62:
	v_mov_b32_e32 v2, v1
	v_mov_b32_e32 v6, 0
	s_and_b32 s7, s7, 3
	s_delay_alu instid0(SALU_CYCLE_1)
	s_cmp_eq_u32 s7, 0
	s_cbranch_scc1 .LBB223_65
.LBB223_63:
	s_lshl_b32 s2, s10, 3
	s_mul_i32 s4, s10, 12
	s_add_u32 s2, s2, s0
	s_addc_u32 s3, 0, s1
	s_add_u32 s2, s2, 0xc4
	s_addc_u32 s3, s3, 0
	s_add_u32 s4, s0, s4
	s_addc_u32 s5, 0, s1
	.p2align	6
.LBB223_64:                             ; =>This Inner Loop Header: Depth=1
	s_clause 0x1
	s_load_b64 s[10:11], s[4:5], 0x4
	s_load_b32 s14, s[4:5], 0xc
	s_load_b64 s[12:13], s[2:3], 0x0
	s_add_u32 s4, s4, 12
	s_addc_u32 s5, s5, 0
	s_add_u32 s2, s2, 8
	s_addc_u32 s3, s3, 0
	s_add_i32 s7, s7, -1
	s_delay_alu instid0(SALU_CYCLE_1) | instskip(SKIP_2) | instid1(VALU_DEP_1)
	s_cmp_lg_u32 s7, 0
	s_waitcnt lgkmcnt(0)
	v_mul_hi_u32 v3, s11, v2
	v_add_nc_u32_e32 v3, v2, v3
	s_delay_alu instid0(VALU_DEP_1) | instskip(NEXT) | instid1(VALU_DEP_1)
	v_lshrrev_b32_e32 v8, s14, v3
	v_mul_lo_u32 v3, v8, s10
	s_delay_alu instid0(VALU_DEP_1) | instskip(NEXT) | instid1(VALU_DEP_1)
	v_sub_nc_u32_e32 v2, v2, v3
	v_mad_u64_u32 v[3:4], null, v2, s12, v[23:24]
	v_mad_u64_u32 v[4:5], null, v2, s13, v[6:7]
	s_delay_alu instid0(VALU_DEP_2) | instskip(NEXT) | instid1(VALU_DEP_2)
	v_dual_mov_b32 v2, v8 :: v_dual_mov_b32 v23, v3
	v_mov_b32_e32 v6, v4
	s_cbranch_scc1 .LBB223_64
.LBB223_65:
	s_and_not1_b32 vcc_lo, exec_lo, s6
	s_cbranch_vccnz .LBB223_68
; %bb.66:
	s_clause 0x1
	s_load_b128 s[4:7], s[0:1], 0x4
	s_load_b64 s[2:3], s[0:1], 0xc4
	s_cmp_lt_u32 s22, 2
	s_waitcnt lgkmcnt(0)
	v_mul_hi_u32 v2, s5, v1
	s_delay_alu instid0(VALU_DEP_1) | instskip(NEXT) | instid1(VALU_DEP_1)
	v_add_nc_u32_e32 v2, v1, v2
	v_lshrrev_b32_e32 v2, s6, v2
	s_delay_alu instid0(VALU_DEP_1) | instskip(NEXT) | instid1(VALU_DEP_1)
	v_mul_lo_u32 v3, v2, s4
	v_sub_nc_u32_e32 v1, v1, v3
	s_delay_alu instid0(VALU_DEP_1)
	v_mul_lo_u32 v23, v1, s2
	v_mul_lo_u32 v6, v1, s3
	s_cbranch_scc1 .LBB223_68
; %bb.67:
	s_clause 0x1
	s_load_b128 s[4:7], s[0:1], 0x10
	s_load_b64 s[2:3], s[0:1], 0xcc
	s_waitcnt lgkmcnt(0)
	v_mul_hi_u32 v1, s5, v2
	s_delay_alu instid0(VALU_DEP_1) | instskip(NEXT) | instid1(VALU_DEP_1)
	v_add_nc_u32_e32 v1, v2, v1
	v_lshrrev_b32_e32 v1, s6, v1
	s_delay_alu instid0(VALU_DEP_1) | instskip(NEXT) | instid1(VALU_DEP_1)
	v_mul_lo_u32 v1, v1, s4
	v_sub_nc_u32_e32 v4, v2, v1
	s_delay_alu instid0(VALU_DEP_1) | instskip(SKIP_1) | instid1(VALU_DEP_1)
	v_mad_u64_u32 v[1:2], null, v4, s2, v[23:24]
	v_mad_u64_u32 v[2:3], null, v4, s3, v[6:7]
	v_dual_mov_b32 v23, v1 :: v_dual_mov_b32 v6, v2
.LBB223_68:
	s_load_b128 s[4:7], s[0:1], 0x148
	v_mov_b32_e32 v4, 0
	v_mov_b32_e32 v5, 0
	s_delay_alu instid0(VALU_DEP_1)
	v_dual_mov_b32 v9, v5 :: v_dual_mov_b32 v8, v4
	s_waitcnt lgkmcnt(0)
	global_load_b128 v[0:3], v0, s[6:7]
	s_waitcnt vmcnt(0)
	v_cmp_neq_f64_e32 vcc_lo, 0, v[0:1]
	v_cmp_neq_f64_e64 s0, 0, v[2:3]
	s_delay_alu instid0(VALU_DEP_1) | instskip(NEXT) | instid1(SALU_CYCLE_1)
	s_or_b32 s0, vcc_lo, s0
	s_and_saveexec_b32 s2, s0
	s_cbranch_execz .LBB223_146
; %bb.69:
	s_mov_b32 s0, 0
	s_mov_b32 s1, 0x7ff00000
	v_mov_b32_e32 v8, s0
	v_mov_b32_e32 v9, s1
	s_mov_b32 s3, exec_lo
	v_cmpx_neq_f64_e64 0x7ff00000, |v[2:3]|
	s_cbranch_execz .LBB223_145
; %bb.70:
	s_mov_b32 s0, exec_lo
	v_cmpx_o_f64_e32 v[0:1], v[0:1]
	s_xor_b32 s10, exec_lo, s0
	s_cbranch_execz .LBB223_142
; %bb.71:
	s_mov_b32 s1, exec_lo
	v_cmpx_neq_f64_e64 0x7ff00000, |v[0:1]|
	s_xor_b32 s11, exec_lo, s1
	s_cbranch_execz .LBB223_135
; %bb.72:
	v_max_f64 v[8:9], |v[2:3]|, |v[2:3]|
	v_max_f64 v[11:12], |v[0:1]|, |v[0:1]|
	s_mov_b32 s0, 0x99fcef32
	s_mov_b32 s1, 0x7fda8279
                                        ; implicit-def: $sgpr12
	s_delay_alu instid0(VALU_DEP_1) | instskip(NEXT) | instid1(VALU_DEP_1)
	v_max_f64 v[8:9], v[11:12], v[8:9]
	v_cmp_nle_f64_e64 s0, s[0:1], v[8:9]
	s_delay_alu instid0(VALU_DEP_1) | instskip(NEXT) | instid1(SALU_CYCLE_1)
	s_and_saveexec_b32 s1, s0
	s_xor_b32 s1, exec_lo, s1
	s_cbranch_execz .LBB223_76
; %bb.73:
	v_cmp_ge_f64_e64 s12, 0x200000, |v[0:1]|
	v_cmp_ge_f64_e64 s13, 0x200000, |v[2:3]|
	s_delay_alu instid0(VALU_DEP_1)
	s_and_b32 s14, s12, s13
	s_mov_b32 s12, 0
	s_and_saveexec_b32 s13, s14
; %bb.74:
	v_mul_f64 v[0:1], v[0:1], 4.0
	v_mul_f64 v[2:3], v[2:3], 4.0
	s_mov_b32 s12, exec_lo
; %bb.75:
	s_or_b32 exec_lo, exec_lo, s13
	s_delay_alu instid0(SALU_CYCLE_1)
	s_and_b32 s12, s12, exec_lo
.LBB223_76:
	s_and_not1_saveexec_b32 s1, s1
; %bb.77:
	s_delay_alu instid0(VALU_DEP_2) | instskip(NEXT) | instid1(VALU_DEP_2)
	v_ldexp_f64 v[0:1], v[0:1], -2
	v_ldexp_f64 v[2:3], v[2:3], -2
	s_and_not1_b32 s12, s12, exec_lo
; %bb.78:
	s_or_b32 exec_lo, exec_lo, s1
	s_delay_alu instid0(VALU_DEP_1) | instskip(NEXT) | instid1(VALU_DEP_3)
	v_max_f64 v[8:9], |v[2:3]|, |v[2:3]|
	v_max_f64 v[11:12], |v[0:1]|, |v[0:1]|
	v_cmp_class_f64_e64 s13, v[0:1], 0x204
	v_cmp_class_f64_e64 s14, v[2:3], 0x204
	v_cmp_le_f64_e64 s1, 0, v[0:1]
	s_delay_alu instid0(VALU_DEP_4) | instskip(NEXT) | instid1(VALU_DEP_3)
	v_max_f64 v[8:9], v[11:12], v[8:9]
	s_or_b32 s13, s14, s13
	s_delay_alu instid0(VALU_DEP_1) | instskip(NEXT) | instid1(VALU_DEP_1)
	v_frexp_exp_i32_f64_e32 v17, v[8:9]
	v_sub_nc_u32_e32 v11, 0, v17
	s_delay_alu instid0(VALU_DEP_1) | instskip(SKIP_1) | instid1(VALU_DEP_2)
	v_ldexp_f64 v[8:9], |v[2:3]|, v11
	v_ldexp_f64 v[11:12], |v[0:1]|, v11
	v_mul_f64 v[8:9], v[8:9], v[8:9]
	s_delay_alu instid0(VALU_DEP_1) | instskip(NEXT) | instid1(VALU_DEP_1)
	v_fma_f64 v[8:9], v[11:12], v[11:12], v[8:9]
	v_rsq_f64_e32 v[11:12], v[8:9]
	v_cmp_eq_f64_e32 vcc_lo, 0, v[8:9]
	s_waitcnt_depctr 0xfff
	v_mul_f64 v[13:14], v[8:9], v[11:12]
	v_mul_f64 v[11:12], v[11:12], 0.5
	s_delay_alu instid0(VALU_DEP_1) | instskip(NEXT) | instid1(VALU_DEP_1)
	v_fma_f64 v[15:16], -v[11:12], v[13:14], 0.5
	v_fma_f64 v[13:14], v[13:14], v[15:16], v[13:14]
	v_fma_f64 v[11:12], v[11:12], v[15:16], v[11:12]
	s_delay_alu instid0(VALU_DEP_2) | instskip(NEXT) | instid1(VALU_DEP_1)
	v_fma_f64 v[15:16], -v[13:14], v[13:14], v[8:9]
	v_fma_f64 v[11:12], v[15:16], v[11:12], v[13:14]
	s_delay_alu instid0(VALU_DEP_1) | instskip(SKIP_1) | instid1(VALU_DEP_2)
	v_dual_cndmask_b32 v9, v12, v9 :: v_dual_cndmask_b32 v8, v11, v8
	v_cmp_o_f64_e32 vcc_lo, v[2:3], v[2:3]
	v_ldexp_f64 v[8:9], v[8:9], v17
	s_delay_alu instid0(VALU_DEP_1) | instskip(NEXT) | instid1(VALU_DEP_2)
	v_cndmask_b32_e32 v8, 0, v8, vcc_lo
	v_cndmask_b32_e32 v9, 0x7ff80000, v9, vcc_lo
	s_delay_alu instid0(VALU_DEP_2) | instskip(NEXT) | instid1(VALU_DEP_2)
	v_cndmask_b32_e64 v8, v8, 0, s13
	v_cndmask_b32_e64 v9, v9, 0x7ff00000, s13
	s_and_saveexec_b32 s13, s1
	s_delay_alu instid0(SALU_CYCLE_1)
	s_xor_b32 s1, exec_lo, s13
	s_cbranch_execz .LBB223_130
; %bb.79:
	s_delay_alu instid0(VALU_DEP_1) | instskip(NEXT) | instid1(VALU_DEP_1)
	v_add_f64 v[0:1], v[0:1], v[8:9]
	v_mul_f64 v[0:1], v[0:1], 0.5
	s_delay_alu instid0(VALU_DEP_1) | instskip(SKIP_1) | instid1(VALU_DEP_1)
	v_cmp_gt_f64_e32 vcc_lo, 0x10000000, v[0:1]
	v_cndmask_b32_e64 v8, 0, 1, vcc_lo
	v_lshlrev_b32_e32 v8, 8, v8
	s_delay_alu instid0(VALU_DEP_1) | instskip(NEXT) | instid1(VALU_DEP_1)
	v_ldexp_f64 v[0:1], v[0:1], v8
	v_rsq_f64_e32 v[8:9], v[0:1]
	s_waitcnt_depctr 0xfff
	v_mul_f64 v[11:12], v[0:1], v[8:9]
	v_mul_f64 v[8:9], v[8:9], 0.5
	s_delay_alu instid0(VALU_DEP_1) | instskip(NEXT) | instid1(VALU_DEP_1)
	v_fma_f64 v[13:14], -v[8:9], v[11:12], 0.5
	v_fma_f64 v[11:12], v[11:12], v[13:14], v[11:12]
	v_fma_f64 v[8:9], v[8:9], v[13:14], v[8:9]
	s_delay_alu instid0(VALU_DEP_2) | instskip(NEXT) | instid1(VALU_DEP_1)
	v_fma_f64 v[13:14], -v[11:12], v[11:12], v[0:1]
	v_fma_f64 v[11:12], v[13:14], v[8:9], v[11:12]
	s_delay_alu instid0(VALU_DEP_1) | instskip(NEXT) | instid1(VALU_DEP_1)
	v_fma_f64 v[13:14], -v[11:12], v[11:12], v[0:1]
	v_fma_f64 v[8:9], v[13:14], v[8:9], v[11:12]
	v_cndmask_b32_e64 v11, 0, 0xffffff80, vcc_lo
	v_cmp_class_f64_e64 vcc_lo, v[0:1], 0x260
	s_delay_alu instid0(VALU_DEP_2) | instskip(NEXT) | instid1(VALU_DEP_1)
	v_ldexp_f64 v[8:9], v[8:9], v11
	v_dual_cndmask_b32 v1, v9, v1 :: v_dual_cndmask_b32 v0, v8, v0
	s_delay_alu instid0(VALU_DEP_1) | instskip(NEXT) | instid1(VALU_DEP_1)
	v_add_f64 v[8:9], v[0:1], v[0:1]
	v_div_scale_f64 v[11:12], null, v[8:9], v[8:9], v[2:3]
	s_delay_alu instid0(VALU_DEP_1) | instskip(SKIP_2) | instid1(VALU_DEP_1)
	v_rcp_f64_e32 v[13:14], v[11:12]
	s_waitcnt_depctr 0xfff
	v_fma_f64 v[15:16], -v[11:12], v[13:14], 1.0
	v_fma_f64 v[13:14], v[13:14], v[15:16], v[13:14]
	s_delay_alu instid0(VALU_DEP_1) | instskip(NEXT) | instid1(VALU_DEP_1)
	v_fma_f64 v[15:16], -v[11:12], v[13:14], 1.0
	v_fma_f64 v[13:14], v[13:14], v[15:16], v[13:14]
	v_div_scale_f64 v[15:16], vcc_lo, v[2:3], v[8:9], v[2:3]
	s_delay_alu instid0(VALU_DEP_1) | instskip(NEXT) | instid1(VALU_DEP_1)
	v_mul_f64 v[17:18], v[15:16], v[13:14]
	v_fma_f64 v[11:12], -v[11:12], v[17:18], v[15:16]
	s_delay_alu instid0(VALU_DEP_1) | instskip(NEXT) | instid1(VALU_DEP_1)
	v_div_fmas_f64 v[11:12], v[11:12], v[13:14], v[17:18]
	v_div_fixup_f64 v[2:3], v[11:12], v[8:9], v[2:3]
                                        ; implicit-def: $vgpr8_vgpr9
	s_and_not1_saveexec_b32 s1, s1
	s_cbranch_execnz .LBB223_131
.LBB223_80:
	s_or_b32 exec_lo, exec_lo, s1
	s_and_saveexec_b32 s1, s0
	s_delay_alu instid0(SALU_CYCLE_1)
	s_xor_b32 s0, exec_lo, s1
	s_cbranch_execz .LBB223_132
.LBB223_81:
	s_and_saveexec_b32 s1, s12
; %bb.82:
	s_delay_alu instid0(VALU_DEP_2) | instskip(NEXT) | instid1(VALU_DEP_2)
	v_mul_f64 v[0:1], v[0:1], 0.5
	v_mul_f64 v[2:3], v[2:3], 0.5
; %bb.83:
	s_or_b32 exec_lo, exec_lo, s1
	s_and_not1_saveexec_b32 s0, s0
	s_cbranch_execnz .LBB223_133
	s_branch .LBB223_134
.LBB223_84:
	v_dual_mov_b32 v1, v9 :: v_dual_mov_b32 v0, 0
.LBB223_85:
	s_and_b32 s34, s34, 3
	s_delay_alu instid0(SALU_CYCLE_1)
	s_cmp_eq_u32 s34, 0
	s_cbranch_scc1 .LBB223_88
; %bb.86:
	s_lshl_b32 s2, s33, 3
	s_mul_i32 s20, s33, 12
	s_add_u32 s2, s2, s0
	s_addc_u32 s3, s1, 0
	s_add_u32 s2, s2, 0xc4
	s_addc_u32 s3, s3, 0
	;; [unrolled: 2-line block ×3, first 2 shown]
	.p2align	6
.LBB223_87:                             ; =>This Inner Loop Header: Depth=1
	s_clause 0x1
	s_load_b64 s[36:37], s[20:21], 0x4
	s_load_b32 s33, s[20:21], 0xc
	s_load_b64 s[38:39], s[2:3], 0x0
	s_add_u32 s20, s20, 12
	s_addc_u32 s21, s21, 0
	s_add_u32 s2, s2, 8
	s_addc_u32 s3, s3, 0
	s_add_i32 s34, s34, -1
	s_delay_alu instid0(SALU_CYCLE_1) | instskip(SKIP_2) | instid1(VALU_DEP_1)
	s_cmp_lg_u32 s34, 0
	s_waitcnt lgkmcnt(0)
	v_mul_hi_u32 v2, s37, v1
	v_add_nc_u32_e32 v2, v1, v2
	s_delay_alu instid0(VALU_DEP_1) | instskip(NEXT) | instid1(VALU_DEP_1)
	v_lshrrev_b32_e32 v5, s33, v2
	v_mul_lo_u32 v2, v5, s36
	s_delay_alu instid0(VALU_DEP_1) | instskip(NEXT) | instid1(VALU_DEP_1)
	v_sub_nc_u32_e32 v1, v1, v2
	v_mad_u64_u32 v[2:3], null, v1, s38, v[8:9]
	v_mad_u64_u32 v[3:4], null, v1, s39, v[0:1]
	s_delay_alu instid0(VALU_DEP_2) | instskip(NEXT) | instid1(VALU_DEP_2)
	v_dual_mov_b32 v1, v5 :: v_dual_mov_b32 v8, v2
	v_mov_b32_e32 v0, v3
	s_cbranch_scc1 .LBB223_87
.LBB223_88:
	s_and_not1_b32 vcc_lo, exec_lo, s31
	s_cbranch_vccnz .LBB223_91
; %bb.89:
	s_waitcnt lgkmcnt(0)
	v_mul_hi_u32 v0, s13, v9
	s_and_not1_b32 vcc_lo, exec_lo, s26
	s_delay_alu instid0(VALU_DEP_1) | instskip(NEXT) | instid1(VALU_DEP_1)
	v_add_nc_u32_e32 v0, v9, v0
	v_lshrrev_b32_e32 v1, s14, v0
	s_delay_alu instid0(VALU_DEP_1) | instskip(NEXT) | instid1(VALU_DEP_1)
	v_mul_lo_u32 v0, v1, s12
	v_sub_nc_u32_e32 v0, v9, v0
	s_delay_alu instid0(VALU_DEP_1)
	v_mul_lo_u32 v8, v0, s8
	v_mul_lo_u32 v0, v0, s9
	s_cbranch_vccnz .LBB223_91
; %bb.90:
	v_mul_hi_u32 v2, s16, v1
	s_delay_alu instid0(VALU_DEP_1) | instskip(NEXT) | instid1(VALU_DEP_1)
	v_add_nc_u32_e32 v2, v1, v2
	v_lshrrev_b32_e32 v2, s17, v2
	s_delay_alu instid0(VALU_DEP_1) | instskip(NEXT) | instid1(VALU_DEP_1)
	v_mul_lo_u32 v2, v2, s15
	v_sub_nc_u32_e32 v4, v1, v2
	s_delay_alu instid0(VALU_DEP_1) | instskip(NEXT) | instid1(VALU_DEP_1)
	v_mad_u64_u32 v[1:2], null, v4, s10, v[8:9]
	v_mad_u64_u32 v[2:3], null, v4, s11, v[0:1]
	v_mov_b32_e32 v8, v1
	s_delay_alu instid0(VALU_DEP_2)
	v_mov_b32_e32 v0, v2
.LBB223_91:
	s_waitcnt lgkmcnt(0)
	global_load_b128 v[0:3], v0, s[6:7]
	v_mov_b32_e32 v4, 0
	v_mov_b32_e32 v5, 0
	s_waitcnt vmcnt(0)
	v_cmp_neq_f64_e32 vcc_lo, 0, v[0:1]
	v_cmp_neq_f64_e64 s2, 0, v[2:3]
	s_delay_alu instid0(VALU_DEP_1) | instskip(NEXT) | instid1(SALU_CYCLE_1)
	s_or_b32 s2, vcc_lo, s2
	s_and_saveexec_b32 s20, s2
	s_cbranch_execz .LBB223_260
; %bb.92:
	s_mov_b32 s2, 0
	s_mov_b32 s3, 0x7ff00000
	v_mov_b32_e32 v4, s2
	v_mov_b32_e32 v5, s3
	s_mov_b32 s21, exec_lo
	v_cmpx_neq_f64_e64 0x7ff00000, |v[2:3]|
	s_cbranch_execz .LBB223_259
; %bb.93:
	s_mov_b32 s2, exec_lo
	v_cmpx_o_f64_e32 v[0:1], v[0:1]
	s_xor_b32 s31, exec_lo, s2
	s_cbranch_execz .LBB223_256
; %bb.94:
	s_mov_b32 s3, exec_lo
	v_cmpx_neq_f64_e64 0x7ff00000, |v[0:1]|
	s_xor_b32 s33, exec_lo, s3
	s_cbranch_execz .LBB223_249
; %bb.95:
	v_max_f64 v[4:5], |v[2:3]|, |v[2:3]|
	v_max_f64 v[6:7], |v[0:1]|, |v[0:1]|
	s_mov_b32 s2, 0x99fcef32
	s_mov_b32 s3, 0x7fda8279
                                        ; implicit-def: $sgpr34
	s_delay_alu instid0(VALU_DEP_1) | instskip(NEXT) | instid1(VALU_DEP_1)
	v_max_f64 v[4:5], v[6:7], v[4:5]
	v_cmp_nle_f64_e64 s2, s[2:3], v[4:5]
	s_delay_alu instid0(VALU_DEP_1) | instskip(NEXT) | instid1(SALU_CYCLE_1)
	s_and_saveexec_b32 s3, s2
	s_xor_b32 s3, exec_lo, s3
	s_cbranch_execz .LBB223_99
; %bb.96:
	v_cmp_ge_f64_e64 s34, 0x200000, |v[0:1]|
	v_cmp_ge_f64_e64 s35, 0x200000, |v[2:3]|
	s_delay_alu instid0(VALU_DEP_1)
	s_and_b32 s36, s34, s35
	s_mov_b32 s34, 0
	s_and_saveexec_b32 s35, s36
; %bb.97:
	v_mul_f64 v[0:1], v[0:1], 4.0
	v_mul_f64 v[2:3], v[2:3], 4.0
	s_mov_b32 s34, exec_lo
; %bb.98:
	s_or_b32 exec_lo, exec_lo, s35
	s_delay_alu instid0(SALU_CYCLE_1)
	s_and_b32 s34, s34, exec_lo
.LBB223_99:
	s_and_not1_saveexec_b32 s3, s3
; %bb.100:
	s_delay_alu instid0(VALU_DEP_2) | instskip(NEXT) | instid1(VALU_DEP_2)
	v_ldexp_f64 v[0:1], v[0:1], -2
	v_ldexp_f64 v[2:3], v[2:3], -2
	s_and_not1_b32 s34, s34, exec_lo
; %bb.101:
	s_or_b32 exec_lo, exec_lo, s3
	s_delay_alu instid0(VALU_DEP_1) | instskip(NEXT) | instid1(VALU_DEP_3)
	v_max_f64 v[4:5], |v[2:3]|, |v[2:3]|
	v_max_f64 v[6:7], |v[0:1]|, |v[0:1]|
	v_cmp_class_f64_e64 s35, v[0:1], 0x204
	v_cmp_class_f64_e64 s36, v[2:3], 0x204
	v_cmp_le_f64_e64 s3, 0, v[0:1]
	s_delay_alu instid0(VALU_DEP_4) | instskip(NEXT) | instid1(VALU_DEP_3)
	v_max_f64 v[4:5], v[6:7], v[4:5]
	s_or_b32 s35, s36, s35
	s_delay_alu instid0(VALU_DEP_1) | instskip(NEXT) | instid1(VALU_DEP_1)
	v_frexp_exp_i32_f64_e32 v14, v[4:5]
	v_sub_nc_u32_e32 v6, 0, v14
	s_delay_alu instid0(VALU_DEP_1) | instskip(SKIP_1) | instid1(VALU_DEP_2)
	v_ldexp_f64 v[4:5], |v[2:3]|, v6
	v_ldexp_f64 v[6:7], |v[0:1]|, v6
	v_mul_f64 v[4:5], v[4:5], v[4:5]
	s_delay_alu instid0(VALU_DEP_1) | instskip(NEXT) | instid1(VALU_DEP_1)
	v_fma_f64 v[4:5], v[6:7], v[6:7], v[4:5]
	v_rsq_f64_e32 v[6:7], v[4:5]
	v_cmp_eq_f64_e32 vcc_lo, 0, v[4:5]
	s_waitcnt_depctr 0xfff
	v_mul_f64 v[10:11], v[4:5], v[6:7]
	v_mul_f64 v[6:7], v[6:7], 0.5
	s_delay_alu instid0(VALU_DEP_1) | instskip(NEXT) | instid1(VALU_DEP_1)
	v_fma_f64 v[12:13], -v[6:7], v[10:11], 0.5
	v_fma_f64 v[10:11], v[10:11], v[12:13], v[10:11]
	v_fma_f64 v[6:7], v[6:7], v[12:13], v[6:7]
	s_delay_alu instid0(VALU_DEP_2) | instskip(NEXT) | instid1(VALU_DEP_1)
	v_fma_f64 v[12:13], -v[10:11], v[10:11], v[4:5]
	v_fma_f64 v[6:7], v[12:13], v[6:7], v[10:11]
	s_delay_alu instid0(VALU_DEP_1) | instskip(SKIP_1) | instid1(VALU_DEP_2)
	v_dual_cndmask_b32 v5, v7, v5 :: v_dual_cndmask_b32 v4, v6, v4
	v_cmp_o_f64_e32 vcc_lo, v[2:3], v[2:3]
	v_ldexp_f64 v[4:5], v[4:5], v14
	s_delay_alu instid0(VALU_DEP_1) | instskip(NEXT) | instid1(VALU_DEP_2)
	v_cndmask_b32_e32 v4, 0, v4, vcc_lo
	v_cndmask_b32_e32 v5, 0x7ff80000, v5, vcc_lo
	s_delay_alu instid0(VALU_DEP_2) | instskip(NEXT) | instid1(VALU_DEP_2)
	v_cndmask_b32_e64 v4, v4, 0, s35
	v_cndmask_b32_e64 v5, v5, 0x7ff00000, s35
	s_and_saveexec_b32 s35, s3
	s_delay_alu instid0(SALU_CYCLE_1)
	s_xor_b32 s3, exec_lo, s35
	s_cbranch_execz .LBB223_244
; %bb.102:
	s_delay_alu instid0(VALU_DEP_1) | instskip(NEXT) | instid1(VALU_DEP_1)
	v_add_f64 v[0:1], v[0:1], v[4:5]
	v_mul_f64 v[0:1], v[0:1], 0.5
	s_delay_alu instid0(VALU_DEP_1) | instskip(SKIP_1) | instid1(VALU_DEP_1)
	v_cmp_gt_f64_e32 vcc_lo, 0x10000000, v[0:1]
	v_cndmask_b32_e64 v4, 0, 1, vcc_lo
	v_lshlrev_b32_e32 v4, 8, v4
	s_delay_alu instid0(VALU_DEP_1) | instskip(NEXT) | instid1(VALU_DEP_1)
	v_ldexp_f64 v[0:1], v[0:1], v4
	v_rsq_f64_e32 v[4:5], v[0:1]
	s_waitcnt_depctr 0xfff
	v_mul_f64 v[6:7], v[0:1], v[4:5]
	v_mul_f64 v[4:5], v[4:5], 0.5
	s_delay_alu instid0(VALU_DEP_1) | instskip(NEXT) | instid1(VALU_DEP_1)
	v_fma_f64 v[10:11], -v[4:5], v[6:7], 0.5
	v_fma_f64 v[6:7], v[6:7], v[10:11], v[6:7]
	v_fma_f64 v[4:5], v[4:5], v[10:11], v[4:5]
	s_delay_alu instid0(VALU_DEP_2) | instskip(NEXT) | instid1(VALU_DEP_1)
	v_fma_f64 v[10:11], -v[6:7], v[6:7], v[0:1]
	v_fma_f64 v[6:7], v[10:11], v[4:5], v[6:7]
	s_delay_alu instid0(VALU_DEP_1) | instskip(NEXT) | instid1(VALU_DEP_1)
	v_fma_f64 v[10:11], -v[6:7], v[6:7], v[0:1]
	v_fma_f64 v[4:5], v[10:11], v[4:5], v[6:7]
	v_cndmask_b32_e64 v6, 0, 0xffffff80, vcc_lo
	v_cmp_class_f64_e64 vcc_lo, v[0:1], 0x260
	s_delay_alu instid0(VALU_DEP_2) | instskip(NEXT) | instid1(VALU_DEP_1)
	v_ldexp_f64 v[4:5], v[4:5], v6
	v_dual_cndmask_b32 v1, v5, v1 :: v_dual_cndmask_b32 v0, v4, v0
	s_delay_alu instid0(VALU_DEP_1) | instskip(NEXT) | instid1(VALU_DEP_1)
	v_add_f64 v[4:5], v[0:1], v[0:1]
	v_div_scale_f64 v[6:7], null, v[4:5], v[4:5], v[2:3]
	s_delay_alu instid0(VALU_DEP_1) | instskip(SKIP_2) | instid1(VALU_DEP_1)
	v_rcp_f64_e32 v[10:11], v[6:7]
	s_waitcnt_depctr 0xfff
	v_fma_f64 v[12:13], -v[6:7], v[10:11], 1.0
	v_fma_f64 v[10:11], v[10:11], v[12:13], v[10:11]
	s_delay_alu instid0(VALU_DEP_1) | instskip(NEXT) | instid1(VALU_DEP_1)
	v_fma_f64 v[12:13], -v[6:7], v[10:11], 1.0
	v_fma_f64 v[10:11], v[10:11], v[12:13], v[10:11]
	v_div_scale_f64 v[12:13], vcc_lo, v[2:3], v[4:5], v[2:3]
	s_delay_alu instid0(VALU_DEP_1) | instskip(NEXT) | instid1(VALU_DEP_1)
	v_mul_f64 v[14:15], v[12:13], v[10:11]
	v_fma_f64 v[6:7], -v[6:7], v[14:15], v[12:13]
	s_delay_alu instid0(VALU_DEP_1) | instskip(NEXT) | instid1(VALU_DEP_1)
	v_div_fmas_f64 v[6:7], v[6:7], v[10:11], v[14:15]
	v_div_fixup_f64 v[2:3], v[6:7], v[4:5], v[2:3]
                                        ; implicit-def: $vgpr4_vgpr5
	s_and_not1_saveexec_b32 s3, s3
	s_cbranch_execnz .LBB223_245
.LBB223_103:
	s_or_b32 exec_lo, exec_lo, s3
	s_and_saveexec_b32 s3, s2
	s_delay_alu instid0(SALU_CYCLE_1)
	s_xor_b32 s2, exec_lo, s3
	s_cbranch_execz .LBB223_246
.LBB223_104:
	s_and_saveexec_b32 s3, s34
; %bb.105:
	s_delay_alu instid0(VALU_DEP_2) | instskip(NEXT) | instid1(VALU_DEP_2)
	v_mul_f64 v[0:1], v[0:1], 0.5
	v_mul_f64 v[2:3], v[2:3], 0.5
; %bb.106:
	s_or_b32 exec_lo, exec_lo, s3
	s_and_not1_saveexec_b32 s2, s2
	s_cbranch_execnz .LBB223_247
	s_branch .LBB223_248
.LBB223_107:
	v_dual_mov_b32 v1, v9 :: v_dual_mov_b32 v0, 0
.LBB223_108:
	s_and_b32 s34, s34, 3
	s_delay_alu instid0(SALU_CYCLE_1)
	s_cmp_eq_u32 s34, 0
	s_cbranch_scc1 .LBB223_111
; %bb.109:
	s_lshl_b32 s2, s33, 3
	s_mul_i32 s20, s33, 12
	s_add_u32 s2, s2, s0
	s_addc_u32 s3, s1, 0
	s_add_u32 s2, s2, 0xc4
	s_addc_u32 s3, s3, 0
	;; [unrolled: 2-line block ×3, first 2 shown]
	.p2align	6
.LBB223_110:                            ; =>This Inner Loop Header: Depth=1
	s_clause 0x1
	s_load_b64 s[36:37], s[20:21], 0x4
	s_load_b32 s33, s[20:21], 0xc
	s_load_b64 s[38:39], s[2:3], 0x0
	s_add_u32 s20, s20, 12
	s_addc_u32 s21, s21, 0
	s_add_u32 s2, s2, 8
	s_addc_u32 s3, s3, 0
	s_add_i32 s34, s34, -1
	s_delay_alu instid0(SALU_CYCLE_1) | instskip(SKIP_2) | instid1(VALU_DEP_1)
	s_cmp_lg_u32 s34, 0
	s_waitcnt lgkmcnt(0)
	v_mul_hi_u32 v2, s37, v1
	v_add_nc_u32_e32 v2, v1, v2
	s_delay_alu instid0(VALU_DEP_1) | instskip(NEXT) | instid1(VALU_DEP_1)
	v_lshrrev_b32_e32 v5, s33, v2
	v_mul_lo_u32 v2, v5, s36
	s_delay_alu instid0(VALU_DEP_1) | instskip(NEXT) | instid1(VALU_DEP_1)
	v_sub_nc_u32_e32 v1, v1, v2
	v_mad_u64_u32 v[2:3], null, v1, s38, v[8:9]
	v_mad_u64_u32 v[3:4], null, v1, s39, v[0:1]
	s_delay_alu instid0(VALU_DEP_2) | instskip(NEXT) | instid1(VALU_DEP_2)
	v_dual_mov_b32 v1, v5 :: v_dual_mov_b32 v8, v2
	v_mov_b32_e32 v0, v3
	s_cbranch_scc1 .LBB223_110
.LBB223_111:
	s_and_not1_b32 vcc_lo, exec_lo, s31
	s_cbranch_vccnz .LBB223_114
; %bb.112:
	s_waitcnt lgkmcnt(0)
	v_mul_hi_u32 v0, s13, v9
	s_and_not1_b32 vcc_lo, exec_lo, s26
	s_delay_alu instid0(VALU_DEP_1) | instskip(NEXT) | instid1(VALU_DEP_1)
	v_add_nc_u32_e32 v0, v9, v0
	v_lshrrev_b32_e32 v1, s14, v0
	s_delay_alu instid0(VALU_DEP_1) | instskip(NEXT) | instid1(VALU_DEP_1)
	v_mul_lo_u32 v0, v1, s12
	v_sub_nc_u32_e32 v0, v9, v0
	s_delay_alu instid0(VALU_DEP_1)
	v_mul_lo_u32 v8, v0, s8
	v_mul_lo_u32 v0, v0, s9
	s_cbranch_vccnz .LBB223_114
; %bb.113:
	v_mul_hi_u32 v2, s16, v1
	s_delay_alu instid0(VALU_DEP_1) | instskip(NEXT) | instid1(VALU_DEP_1)
	v_add_nc_u32_e32 v2, v1, v2
	v_lshrrev_b32_e32 v2, s17, v2
	s_delay_alu instid0(VALU_DEP_1) | instskip(NEXT) | instid1(VALU_DEP_1)
	v_mul_lo_u32 v2, v2, s15
	v_sub_nc_u32_e32 v4, v1, v2
	s_delay_alu instid0(VALU_DEP_1) | instskip(NEXT) | instid1(VALU_DEP_1)
	v_mad_u64_u32 v[1:2], null, v4, s10, v[8:9]
	v_mad_u64_u32 v[2:3], null, v4, s11, v[0:1]
	v_mov_b32_e32 v8, v1
	s_delay_alu instid0(VALU_DEP_2)
	v_mov_b32_e32 v0, v2
.LBB223_114:
	s_waitcnt lgkmcnt(0)
	global_load_b128 v[0:3], v0, s[6:7]
	v_mov_b32_e32 v4, 0
	v_mov_b32_e32 v5, 0
	s_waitcnt vmcnt(0)
	v_cmp_neq_f64_e32 vcc_lo, 0, v[0:1]
	v_cmp_neq_f64_e64 s2, 0, v[2:3]
	s_delay_alu instid0(VALU_DEP_1) | instskip(NEXT) | instid1(SALU_CYCLE_1)
	s_or_b32 s2, vcc_lo, s2
	s_and_saveexec_b32 s20, s2
	s_cbranch_execz .LBB223_278
; %bb.115:
	s_mov_b32 s2, 0
	s_mov_b32 s3, 0x7ff00000
	v_mov_b32_e32 v4, s2
	v_mov_b32_e32 v5, s3
	s_mov_b32 s21, exec_lo
	v_cmpx_neq_f64_e64 0x7ff00000, |v[2:3]|
	s_cbranch_execz .LBB223_277
; %bb.116:
	s_mov_b32 s2, exec_lo
	v_cmpx_o_f64_e32 v[0:1], v[0:1]
	s_xor_b32 s31, exec_lo, s2
	s_cbranch_execz .LBB223_274
; %bb.117:
	s_mov_b32 s3, exec_lo
	v_cmpx_neq_f64_e64 0x7ff00000, |v[0:1]|
	s_xor_b32 s33, exec_lo, s3
	s_cbranch_execz .LBB223_267
; %bb.118:
	v_max_f64 v[4:5], |v[2:3]|, |v[2:3]|
	v_max_f64 v[6:7], |v[0:1]|, |v[0:1]|
	s_mov_b32 s2, 0x99fcef32
	s_mov_b32 s3, 0x7fda8279
                                        ; implicit-def: $sgpr34
	s_delay_alu instid0(VALU_DEP_1) | instskip(NEXT) | instid1(VALU_DEP_1)
	v_max_f64 v[4:5], v[6:7], v[4:5]
	v_cmp_nle_f64_e64 s2, s[2:3], v[4:5]
	s_delay_alu instid0(VALU_DEP_1) | instskip(NEXT) | instid1(SALU_CYCLE_1)
	s_and_saveexec_b32 s3, s2
	s_xor_b32 s3, exec_lo, s3
	s_cbranch_execz .LBB223_122
; %bb.119:
	v_cmp_ge_f64_e64 s34, 0x200000, |v[0:1]|
	v_cmp_ge_f64_e64 s35, 0x200000, |v[2:3]|
	s_delay_alu instid0(VALU_DEP_1)
	s_and_b32 s36, s34, s35
	s_mov_b32 s34, 0
	s_and_saveexec_b32 s35, s36
; %bb.120:
	v_mul_f64 v[0:1], v[0:1], 4.0
	v_mul_f64 v[2:3], v[2:3], 4.0
	s_mov_b32 s34, exec_lo
; %bb.121:
	s_or_b32 exec_lo, exec_lo, s35
	s_delay_alu instid0(SALU_CYCLE_1)
	s_and_b32 s34, s34, exec_lo
.LBB223_122:
	s_and_not1_saveexec_b32 s3, s3
; %bb.123:
	s_delay_alu instid0(VALU_DEP_2) | instskip(NEXT) | instid1(VALU_DEP_2)
	v_ldexp_f64 v[0:1], v[0:1], -2
	v_ldexp_f64 v[2:3], v[2:3], -2
	s_and_not1_b32 s34, s34, exec_lo
; %bb.124:
	s_or_b32 exec_lo, exec_lo, s3
	s_delay_alu instid0(VALU_DEP_1) | instskip(NEXT) | instid1(VALU_DEP_3)
	v_max_f64 v[4:5], |v[2:3]|, |v[2:3]|
	v_max_f64 v[6:7], |v[0:1]|, |v[0:1]|
	v_cmp_class_f64_e64 s35, v[0:1], 0x204
	v_cmp_class_f64_e64 s36, v[2:3], 0x204
	v_cmp_le_f64_e64 s3, 0, v[0:1]
	s_delay_alu instid0(VALU_DEP_4) | instskip(NEXT) | instid1(VALU_DEP_3)
	v_max_f64 v[4:5], v[6:7], v[4:5]
	s_or_b32 s35, s36, s35
	s_delay_alu instid0(VALU_DEP_1) | instskip(NEXT) | instid1(VALU_DEP_1)
	v_frexp_exp_i32_f64_e32 v14, v[4:5]
	v_sub_nc_u32_e32 v6, 0, v14
	s_delay_alu instid0(VALU_DEP_1) | instskip(SKIP_1) | instid1(VALU_DEP_2)
	v_ldexp_f64 v[4:5], |v[2:3]|, v6
	v_ldexp_f64 v[6:7], |v[0:1]|, v6
	v_mul_f64 v[4:5], v[4:5], v[4:5]
	s_delay_alu instid0(VALU_DEP_1) | instskip(NEXT) | instid1(VALU_DEP_1)
	v_fma_f64 v[4:5], v[6:7], v[6:7], v[4:5]
	v_rsq_f64_e32 v[6:7], v[4:5]
	v_cmp_eq_f64_e32 vcc_lo, 0, v[4:5]
	s_waitcnt_depctr 0xfff
	v_mul_f64 v[10:11], v[4:5], v[6:7]
	v_mul_f64 v[6:7], v[6:7], 0.5
	s_delay_alu instid0(VALU_DEP_1) | instskip(NEXT) | instid1(VALU_DEP_1)
	v_fma_f64 v[12:13], -v[6:7], v[10:11], 0.5
	v_fma_f64 v[10:11], v[10:11], v[12:13], v[10:11]
	v_fma_f64 v[6:7], v[6:7], v[12:13], v[6:7]
	s_delay_alu instid0(VALU_DEP_2) | instskip(NEXT) | instid1(VALU_DEP_1)
	v_fma_f64 v[12:13], -v[10:11], v[10:11], v[4:5]
	v_fma_f64 v[6:7], v[12:13], v[6:7], v[10:11]
	s_delay_alu instid0(VALU_DEP_1) | instskip(SKIP_1) | instid1(VALU_DEP_2)
	v_dual_cndmask_b32 v5, v7, v5 :: v_dual_cndmask_b32 v4, v6, v4
	v_cmp_o_f64_e32 vcc_lo, v[2:3], v[2:3]
	v_ldexp_f64 v[4:5], v[4:5], v14
	s_delay_alu instid0(VALU_DEP_1) | instskip(NEXT) | instid1(VALU_DEP_2)
	v_cndmask_b32_e32 v4, 0, v4, vcc_lo
	v_cndmask_b32_e32 v5, 0x7ff80000, v5, vcc_lo
	s_delay_alu instid0(VALU_DEP_2) | instskip(NEXT) | instid1(VALU_DEP_2)
	v_cndmask_b32_e64 v4, v4, 0, s35
	v_cndmask_b32_e64 v5, v5, 0x7ff00000, s35
	s_and_saveexec_b32 s35, s3
	s_delay_alu instid0(SALU_CYCLE_1)
	s_xor_b32 s3, exec_lo, s35
	s_cbranch_execz .LBB223_262
; %bb.125:
	s_delay_alu instid0(VALU_DEP_1) | instskip(NEXT) | instid1(VALU_DEP_1)
	v_add_f64 v[0:1], v[0:1], v[4:5]
	v_mul_f64 v[0:1], v[0:1], 0.5
	s_delay_alu instid0(VALU_DEP_1) | instskip(SKIP_1) | instid1(VALU_DEP_1)
	v_cmp_gt_f64_e32 vcc_lo, 0x10000000, v[0:1]
	v_cndmask_b32_e64 v4, 0, 1, vcc_lo
	v_lshlrev_b32_e32 v4, 8, v4
	s_delay_alu instid0(VALU_DEP_1) | instskip(NEXT) | instid1(VALU_DEP_1)
	v_ldexp_f64 v[0:1], v[0:1], v4
	v_rsq_f64_e32 v[4:5], v[0:1]
	s_waitcnt_depctr 0xfff
	v_mul_f64 v[6:7], v[0:1], v[4:5]
	v_mul_f64 v[4:5], v[4:5], 0.5
	s_delay_alu instid0(VALU_DEP_1) | instskip(NEXT) | instid1(VALU_DEP_1)
	v_fma_f64 v[10:11], -v[4:5], v[6:7], 0.5
	v_fma_f64 v[6:7], v[6:7], v[10:11], v[6:7]
	v_fma_f64 v[4:5], v[4:5], v[10:11], v[4:5]
	s_delay_alu instid0(VALU_DEP_2) | instskip(NEXT) | instid1(VALU_DEP_1)
	v_fma_f64 v[10:11], -v[6:7], v[6:7], v[0:1]
	v_fma_f64 v[6:7], v[10:11], v[4:5], v[6:7]
	s_delay_alu instid0(VALU_DEP_1) | instskip(NEXT) | instid1(VALU_DEP_1)
	v_fma_f64 v[10:11], -v[6:7], v[6:7], v[0:1]
	v_fma_f64 v[4:5], v[10:11], v[4:5], v[6:7]
	v_cndmask_b32_e64 v6, 0, 0xffffff80, vcc_lo
	v_cmp_class_f64_e64 vcc_lo, v[0:1], 0x260
	s_delay_alu instid0(VALU_DEP_2) | instskip(NEXT) | instid1(VALU_DEP_1)
	v_ldexp_f64 v[4:5], v[4:5], v6
	v_dual_cndmask_b32 v1, v5, v1 :: v_dual_cndmask_b32 v0, v4, v0
	s_delay_alu instid0(VALU_DEP_1) | instskip(NEXT) | instid1(VALU_DEP_1)
	v_add_f64 v[4:5], v[0:1], v[0:1]
	v_div_scale_f64 v[6:7], null, v[4:5], v[4:5], v[2:3]
	s_delay_alu instid0(VALU_DEP_1) | instskip(SKIP_2) | instid1(VALU_DEP_1)
	v_rcp_f64_e32 v[10:11], v[6:7]
	s_waitcnt_depctr 0xfff
	v_fma_f64 v[12:13], -v[6:7], v[10:11], 1.0
	v_fma_f64 v[10:11], v[10:11], v[12:13], v[10:11]
	s_delay_alu instid0(VALU_DEP_1) | instskip(NEXT) | instid1(VALU_DEP_1)
	v_fma_f64 v[12:13], -v[6:7], v[10:11], 1.0
	v_fma_f64 v[10:11], v[10:11], v[12:13], v[10:11]
	v_div_scale_f64 v[12:13], vcc_lo, v[2:3], v[4:5], v[2:3]
	s_delay_alu instid0(VALU_DEP_1) | instskip(NEXT) | instid1(VALU_DEP_1)
	v_mul_f64 v[14:15], v[12:13], v[10:11]
	v_fma_f64 v[6:7], -v[6:7], v[14:15], v[12:13]
	s_delay_alu instid0(VALU_DEP_1) | instskip(NEXT) | instid1(VALU_DEP_1)
	v_div_fmas_f64 v[6:7], v[6:7], v[10:11], v[14:15]
	v_div_fixup_f64 v[2:3], v[6:7], v[4:5], v[2:3]
                                        ; implicit-def: $vgpr4_vgpr5
	s_and_not1_saveexec_b32 s3, s3
	s_cbranch_execnz .LBB223_263
.LBB223_126:
	s_or_b32 exec_lo, exec_lo, s3
	s_and_saveexec_b32 s3, s2
	s_delay_alu instid0(SALU_CYCLE_1)
	s_xor_b32 s2, exec_lo, s3
	s_cbranch_execz .LBB223_264
.LBB223_127:
	s_and_saveexec_b32 s3, s34
; %bb.128:
	s_delay_alu instid0(VALU_DEP_2) | instskip(NEXT) | instid1(VALU_DEP_2)
	v_mul_f64 v[0:1], v[0:1], 0.5
	v_mul_f64 v[2:3], v[2:3], 0.5
; %bb.129:
	s_or_b32 exec_lo, exec_lo, s3
	s_and_not1_saveexec_b32 s2, s2
	s_cbranch_execnz .LBB223_265
	s_branch .LBB223_266
.LBB223_130:
	s_and_not1_saveexec_b32 s1, s1
	s_cbranch_execz .LBB223_80
.LBB223_131:
	v_add_f64 v[0:1], v[8:9], -v[0:1]
	s_delay_alu instid0(VALU_DEP_1) | instskip(NEXT) | instid1(VALU_DEP_1)
	v_mul_f64 v[0:1], v[0:1], 0.5
	v_cmp_gt_f64_e32 vcc_lo, 0x10000000, v[0:1]
	v_cndmask_b32_e64 v8, 0, 1, vcc_lo
	s_delay_alu instid0(VALU_DEP_1) | instskip(NEXT) | instid1(VALU_DEP_1)
	v_lshlrev_b32_e32 v8, 8, v8
	v_ldexp_f64 v[0:1], v[0:1], v8
	s_delay_alu instid0(VALU_DEP_1) | instskip(SKIP_3) | instid1(VALU_DEP_1)
	v_rsq_f64_e32 v[8:9], v[0:1]
	s_waitcnt_depctr 0xfff
	v_mul_f64 v[11:12], v[0:1], v[8:9]
	v_mul_f64 v[8:9], v[8:9], 0.5
	v_fma_f64 v[13:14], -v[8:9], v[11:12], 0.5
	s_delay_alu instid0(VALU_DEP_1) | instskip(SKIP_1) | instid1(VALU_DEP_2)
	v_fma_f64 v[11:12], v[11:12], v[13:14], v[11:12]
	v_fma_f64 v[8:9], v[8:9], v[13:14], v[8:9]
	v_fma_f64 v[13:14], -v[11:12], v[11:12], v[0:1]
	s_delay_alu instid0(VALU_DEP_1) | instskip(NEXT) | instid1(VALU_DEP_1)
	v_fma_f64 v[11:12], v[13:14], v[8:9], v[11:12]
	v_fma_f64 v[13:14], -v[11:12], v[11:12], v[0:1]
	s_delay_alu instid0(VALU_DEP_1) | instskip(SKIP_2) | instid1(VALU_DEP_2)
	v_fma_f64 v[8:9], v[13:14], v[8:9], v[11:12]
	v_cndmask_b32_e64 v11, 0, 0xffffff80, vcc_lo
	v_cmp_class_f64_e64 vcc_lo, v[0:1], 0x260
	v_ldexp_f64 v[8:9], v[8:9], v11
	v_mov_b32_e32 v11, v2
	s_delay_alu instid0(VALU_DEP_2) | instskip(NEXT) | instid1(VALU_DEP_1)
	v_dual_cndmask_b32 v9, v9, v1 :: v_dual_cndmask_b32 v8, v8, v0
	v_add_f64 v[0:1], v[8:9], v[8:9]
	v_bfi_b32 v9, 0x7fffffff, v9, v3
	v_and_b32_e32 v12, 0x7fffffff, v3
	s_delay_alu instid0(VALU_DEP_1) | instskip(SKIP_1) | instid1(VALU_DEP_2)
	v_div_scale_f64 v[13:14], null, v[0:1], v[0:1], v[11:12]
	v_div_scale_f64 v[11:12], vcc_lo, v[11:12], v[0:1], v[11:12]
	v_rcp_f64_e32 v[15:16], v[13:14]
	s_waitcnt_depctr 0xfff
	v_fma_f64 v[17:18], -v[13:14], v[15:16], 1.0
	s_delay_alu instid0(VALU_DEP_1) | instskip(NEXT) | instid1(VALU_DEP_1)
	v_fma_f64 v[15:16], v[15:16], v[17:18], v[15:16]
	v_fma_f64 v[17:18], -v[13:14], v[15:16], 1.0
	s_delay_alu instid0(VALU_DEP_1) | instskip(NEXT) | instid1(VALU_DEP_1)
	v_fma_f64 v[15:16], v[15:16], v[17:18], v[15:16]
	v_mul_f64 v[17:18], v[11:12], v[15:16]
	s_delay_alu instid0(VALU_DEP_1) | instskip(NEXT) | instid1(VALU_DEP_1)
	v_fma_f64 v[11:12], -v[13:14], v[17:18], v[11:12]
	v_div_fmas_f64 v[11:12], v[11:12], v[15:16], v[17:18]
	s_delay_alu instid0(VALU_DEP_1) | instskip(SKIP_3) | instid1(SALU_CYCLE_1)
	v_div_fixup_f64 v[0:1], v[11:12], v[0:1], |v[2:3]|
	v_dual_mov_b32 v2, v8 :: v_dual_mov_b32 v3, v9
	s_or_b32 exec_lo, exec_lo, s1
	s_and_saveexec_b32 s1, s0
	s_xor_b32 s0, exec_lo, s1
	s_cbranch_execnz .LBB223_81
.LBB223_132:
	s_and_not1_saveexec_b32 s0, s0
.LBB223_133:
	s_delay_alu instid0(VALU_DEP_2) | instskip(NEXT) | instid1(VALU_DEP_2)
	v_add_f64 v[0:1], v[0:1], v[0:1]
	v_add_f64 v[2:3], v[2:3], v[2:3]
.LBB223_134:
	s_or_b32 exec_lo, exec_lo, s0
.LBB223_135:
	s_and_not1_saveexec_b32 s0, s11
	s_cbranch_execz .LBB223_141
; %bb.136:
	s_delay_alu instid0(VALU_DEP_1) | instskip(SKIP_1) | instid1(VALU_DEP_3)
	v_add_f64 v[8:9], v[2:3], -v[2:3]
	s_mov_b32 s1, exec_lo
	v_cmpx_lt_i64_e32 -1, v[0:1]
	s_xor_b32 s1, exec_lo, s1
; %bb.137:
	s_delay_alu instid0(VALU_DEP_2) | instskip(NEXT) | instid1(VALU_DEP_1)
	v_bfi_b32 v9, 0x7fffffff, v9, v3
	v_dual_mov_b32 v2, v8 :: v_dual_mov_b32 v3, v9
                                        ; implicit-def: $vgpr8_vgpr9
; %bb.138:
	s_and_not1_saveexec_b32 s1, s1
; %bb.139:
	s_delay_alu instid0(VALU_DEP_1) | instskip(SKIP_1) | instid1(VALU_DEP_2)
	v_bfi_b32 v1, 0x7fffffff, v1, v3
	v_and_b32_e32 v9, 0x7fffffff, v9
	v_dual_mov_b32 v3, v1 :: v_dual_mov_b32 v2, v0
	s_delay_alu instid0(VALU_DEP_2)
	v_dual_mov_b32 v0, v8 :: v_dual_mov_b32 v1, v9
; %bb.140:
	s_or_b32 exec_lo, exec_lo, s1
.LBB223_141:
	s_delay_alu instid0(SALU_CYCLE_1)
	s_or_b32 exec_lo, exec_lo, s0
.LBB223_142:
	s_and_not1_saveexec_b32 s0, s10
; %bb.143:
	s_delay_alu instid0(VALU_DEP_1) | instskip(NEXT) | instid1(VALU_DEP_1)
	v_add_f64 v[2:3], v[2:3], -v[2:3]
	v_div_scale_f64 v[8:9], vcc_lo, v[2:3], v[2:3], v[2:3]
	s_delay_alu instid0(VALU_DEP_1) | instskip(SKIP_2) | instid1(VALU_DEP_1)
	v_rcp_f64_e32 v[11:12], v[8:9]
	s_waitcnt_depctr 0xfff
	v_fma_f64 v[13:14], -v[8:9], v[11:12], 1.0
	v_fma_f64 v[11:12], v[11:12], v[13:14], v[11:12]
	s_delay_alu instid0(VALU_DEP_1) | instskip(NEXT) | instid1(VALU_DEP_1)
	v_fma_f64 v[13:14], -v[8:9], v[11:12], 1.0
	v_fma_f64 v[11:12], v[11:12], v[13:14], v[11:12]
	s_delay_alu instid0(VALU_DEP_1) | instskip(NEXT) | instid1(VALU_DEP_1)
	v_mul_f64 v[13:14], v[8:9], v[11:12]
	v_fma_f64 v[8:9], -v[8:9], v[13:14], v[8:9]
	s_delay_alu instid0(VALU_DEP_1) | instskip(NEXT) | instid1(VALU_DEP_1)
	v_div_fmas_f64 v[8:9], v[8:9], v[11:12], v[13:14]
	v_div_fixup_f64 v[2:3], v[8:9], v[2:3], v[2:3]
; %bb.144:
	s_or_b32 exec_lo, exec_lo, s0
	v_dual_mov_b32 v9, v1 :: v_dual_mov_b32 v8, v0
.LBB223_145:
	s_or_b32 exec_lo, exec_lo, s3
.LBB223_146:
	s_delay_alu instid0(SALU_CYCLE_1) | instskip(SKIP_4) | instid1(VALU_DEP_1)
	s_or_b32 exec_lo, exec_lo, s2
	global_load_b128 v[10:13], v10, s[6:7]
	s_waitcnt vmcnt(0)
	v_cmp_neq_f64_e32 vcc_lo, 0, v[10:11]
	v_cmp_neq_f64_e64 s0, 0, v[12:13]
	s_or_b32 s0, vcc_lo, s0
	s_delay_alu instid0(SALU_CYCLE_1)
	s_and_saveexec_b32 s2, s0
	s_cbranch_execz .LBB223_178
; %bb.147:
	s_mov_b32 s0, 0
	s_mov_b32 s1, 0x7ff00000
	v_mov_b32_e32 v4, s0
	v_mov_b32_e32 v5, s1
	s_mov_b32 s3, exec_lo
	v_cmpx_neq_f64_e64 0x7ff00000, |v[12:13]|
	s_cbranch_execz .LBB223_177
; %bb.148:
	s_mov_b32 s0, exec_lo
	v_cmpx_o_f64_e32 v[10:11], v[10:11]
	s_xor_b32 s10, exec_lo, s0
	s_cbranch_execz .LBB223_174
; %bb.149:
	s_mov_b32 s1, exec_lo
	v_cmpx_neq_f64_e64 0x7ff00000, |v[10:11]|
	s_xor_b32 s11, exec_lo, s1
	s_cbranch_execz .LBB223_167
; %bb.150:
	v_max_f64 v[0:1], |v[12:13]|, |v[12:13]|
	v_max_f64 v[4:5], |v[10:11]|, |v[10:11]|
	s_mov_b32 s0, 0x99fcef32
	s_mov_b32 s1, 0x7fda8279
                                        ; implicit-def: $sgpr12
	s_delay_alu instid0(VALU_DEP_1) | instskip(NEXT) | instid1(VALU_DEP_1)
	v_max_f64 v[0:1], v[4:5], v[0:1]
	v_cmp_nle_f64_e64 s0, s[0:1], v[0:1]
	s_delay_alu instid0(VALU_DEP_1) | instskip(NEXT) | instid1(SALU_CYCLE_1)
	s_and_saveexec_b32 s1, s0
	s_xor_b32 s1, exec_lo, s1
	s_cbranch_execz .LBB223_154
; %bb.151:
	v_cmp_ge_f64_e64 s12, 0x200000, |v[10:11]|
	v_cmp_ge_f64_e64 s13, 0x200000, |v[12:13]|
	s_delay_alu instid0(VALU_DEP_1)
	s_and_b32 s14, s12, s13
	s_mov_b32 s12, 0
	s_and_saveexec_b32 s13, s14
; %bb.152:
	v_mul_f64 v[10:11], v[10:11], 4.0
	v_mul_f64 v[12:13], v[12:13], 4.0
	s_mov_b32 s12, exec_lo
; %bb.153:
	s_or_b32 exec_lo, exec_lo, s13
	s_delay_alu instid0(SALU_CYCLE_1)
	s_and_b32 s12, s12, exec_lo
.LBB223_154:
	s_and_not1_saveexec_b32 s1, s1
; %bb.155:
	s_delay_alu instid0(VALU_DEP_2) | instskip(NEXT) | instid1(VALU_DEP_2)
	v_ldexp_f64 v[10:11], v[10:11], -2
	v_ldexp_f64 v[12:13], v[12:13], -2
	s_and_not1_b32 s12, s12, exec_lo
; %bb.156:
	s_or_b32 exec_lo, exec_lo, s1
	s_delay_alu instid0(VALU_DEP_1) | instskip(NEXT) | instid1(VALU_DEP_3)
	v_max_f64 v[0:1], |v[12:13]|, |v[12:13]|
	v_max_f64 v[4:5], |v[10:11]|, |v[10:11]|
	v_cmp_class_f64_e64 s13, v[10:11], 0x204
	v_cmp_class_f64_e64 s14, v[12:13], 0x204
	v_cmp_le_f64_e64 s1, 0, v[10:11]
	s_delay_alu instid0(VALU_DEP_4) | instskip(NEXT) | instid1(VALU_DEP_3)
	v_max_f64 v[0:1], v[4:5], v[0:1]
	s_or_b32 s13, s14, s13
	s_delay_alu instid0(VALU_DEP_1) | instskip(NEXT) | instid1(VALU_DEP_1)
	v_frexp_exp_i32_f64_e32 v18, v[0:1]
	v_sub_nc_u32_e32 v4, 0, v18
	s_delay_alu instid0(VALU_DEP_1) | instskip(SKIP_1) | instid1(VALU_DEP_2)
	v_ldexp_f64 v[0:1], |v[12:13]|, v4
	v_ldexp_f64 v[4:5], |v[10:11]|, v4
	v_mul_f64 v[0:1], v[0:1], v[0:1]
	s_delay_alu instid0(VALU_DEP_1) | instskip(NEXT) | instid1(VALU_DEP_1)
	v_fma_f64 v[0:1], v[4:5], v[4:5], v[0:1]
	v_rsq_f64_e32 v[4:5], v[0:1]
	v_cmp_eq_f64_e32 vcc_lo, 0, v[0:1]
	s_waitcnt_depctr 0xfff
	v_mul_f64 v[14:15], v[0:1], v[4:5]
	v_mul_f64 v[4:5], v[4:5], 0.5
	s_delay_alu instid0(VALU_DEP_1) | instskip(NEXT) | instid1(VALU_DEP_1)
	v_fma_f64 v[16:17], -v[4:5], v[14:15], 0.5
	v_fma_f64 v[14:15], v[14:15], v[16:17], v[14:15]
	v_fma_f64 v[4:5], v[4:5], v[16:17], v[4:5]
	s_delay_alu instid0(VALU_DEP_2) | instskip(NEXT) | instid1(VALU_DEP_1)
	v_fma_f64 v[16:17], -v[14:15], v[14:15], v[0:1]
	v_fma_f64 v[4:5], v[16:17], v[4:5], v[14:15]
	s_delay_alu instid0(VALU_DEP_1) | instskip(SKIP_1) | instid1(VALU_DEP_2)
	v_dual_cndmask_b32 v1, v5, v1 :: v_dual_cndmask_b32 v0, v4, v0
	v_cmp_o_f64_e32 vcc_lo, v[12:13], v[12:13]
	v_ldexp_f64 v[0:1], v[0:1], v18
	s_delay_alu instid0(VALU_DEP_1) | instskip(NEXT) | instid1(VALU_DEP_2)
	v_cndmask_b32_e32 v0, 0, v0, vcc_lo
	v_cndmask_b32_e32 v1, 0x7ff80000, v1, vcc_lo
	s_delay_alu instid0(VALU_DEP_2) | instskip(NEXT) | instid1(VALU_DEP_2)
	v_cndmask_b32_e64 v0, v0, 0, s13
	v_cndmask_b32_e64 v1, v1, 0x7ff00000, s13
	s_and_saveexec_b32 s13, s1
	s_delay_alu instid0(SALU_CYCLE_1)
	s_xor_b32 s1, exec_lo, s13
	s_cbranch_execz .LBB223_162
; %bb.157:
	s_delay_alu instid0(VALU_DEP_1) | instskip(NEXT) | instid1(VALU_DEP_1)
	v_add_f64 v[0:1], v[10:11], v[0:1]
	v_mul_f64 v[0:1], v[0:1], 0.5
	s_delay_alu instid0(VALU_DEP_1) | instskip(SKIP_1) | instid1(VALU_DEP_1)
	v_cmp_gt_f64_e32 vcc_lo, 0x10000000, v[0:1]
	v_cndmask_b32_e64 v4, 0, 1, vcc_lo
	v_lshlrev_b32_e32 v4, 8, v4
	s_delay_alu instid0(VALU_DEP_1) | instskip(NEXT) | instid1(VALU_DEP_1)
	v_ldexp_f64 v[0:1], v[0:1], v4
	v_rsq_f64_e32 v[4:5], v[0:1]
	s_waitcnt_depctr 0xfff
	v_mul_f64 v[10:11], v[0:1], v[4:5]
	v_mul_f64 v[4:5], v[4:5], 0.5
	s_delay_alu instid0(VALU_DEP_1) | instskip(NEXT) | instid1(VALU_DEP_1)
	v_fma_f64 v[14:15], -v[4:5], v[10:11], 0.5
	v_fma_f64 v[10:11], v[10:11], v[14:15], v[10:11]
	v_fma_f64 v[4:5], v[4:5], v[14:15], v[4:5]
	s_delay_alu instid0(VALU_DEP_2) | instskip(NEXT) | instid1(VALU_DEP_1)
	v_fma_f64 v[14:15], -v[10:11], v[10:11], v[0:1]
	v_fma_f64 v[10:11], v[14:15], v[4:5], v[10:11]
	s_delay_alu instid0(VALU_DEP_1) | instskip(NEXT) | instid1(VALU_DEP_1)
	v_fma_f64 v[14:15], -v[10:11], v[10:11], v[0:1]
	v_fma_f64 v[4:5], v[14:15], v[4:5], v[10:11]
	v_cndmask_b32_e64 v10, 0, 0xffffff80, vcc_lo
	v_cmp_class_f64_e64 vcc_lo, v[0:1], 0x260
	s_delay_alu instid0(VALU_DEP_2) | instskip(NEXT) | instid1(VALU_DEP_1)
	v_ldexp_f64 v[4:5], v[4:5], v10
	v_dual_cndmask_b32 v11, v5, v1 :: v_dual_cndmask_b32 v10, v4, v0
	s_delay_alu instid0(VALU_DEP_1) | instskip(NEXT) | instid1(VALU_DEP_1)
	v_add_f64 v[0:1], v[10:11], v[10:11]
	v_div_scale_f64 v[4:5], null, v[0:1], v[0:1], v[12:13]
	s_delay_alu instid0(VALU_DEP_1) | instskip(SKIP_2) | instid1(VALU_DEP_1)
	v_rcp_f64_e32 v[14:15], v[4:5]
	s_waitcnt_depctr 0xfff
	v_fma_f64 v[16:17], -v[4:5], v[14:15], 1.0
	v_fma_f64 v[14:15], v[14:15], v[16:17], v[14:15]
	s_delay_alu instid0(VALU_DEP_1) | instskip(NEXT) | instid1(VALU_DEP_1)
	v_fma_f64 v[16:17], -v[4:5], v[14:15], 1.0
	v_fma_f64 v[14:15], v[14:15], v[16:17], v[14:15]
	v_div_scale_f64 v[16:17], vcc_lo, v[12:13], v[0:1], v[12:13]
	s_delay_alu instid0(VALU_DEP_1) | instskip(NEXT) | instid1(VALU_DEP_1)
	v_mul_f64 v[18:19], v[16:17], v[14:15]
	v_fma_f64 v[4:5], -v[4:5], v[18:19], v[16:17]
	s_delay_alu instid0(VALU_DEP_1) | instskip(NEXT) | instid1(VALU_DEP_1)
	v_div_fmas_f64 v[4:5], v[4:5], v[14:15], v[18:19]
	v_div_fixup_f64 v[12:13], v[4:5], v[0:1], v[12:13]
                                        ; implicit-def: $vgpr0_vgpr1
	s_and_not1_saveexec_b32 s1, s1
	s_cbranch_execnz .LBB223_163
.LBB223_158:
	s_or_b32 exec_lo, exec_lo, s1
	s_and_saveexec_b32 s1, s0
	s_delay_alu instid0(SALU_CYCLE_1)
	s_xor_b32 s0, exec_lo, s1
	s_cbranch_execz .LBB223_164
.LBB223_159:
	s_and_saveexec_b32 s1, s12
; %bb.160:
	s_delay_alu instid0(VALU_DEP_2) | instskip(NEXT) | instid1(VALU_DEP_2)
	v_mul_f64 v[10:11], v[10:11], 0.5
	v_mul_f64 v[12:13], v[12:13], 0.5
; %bb.161:
	s_or_b32 exec_lo, exec_lo, s1
	s_and_not1_saveexec_b32 s0, s0
	s_cbranch_execnz .LBB223_165
	s_branch .LBB223_166
.LBB223_162:
	s_and_not1_saveexec_b32 s1, s1
	s_cbranch_execz .LBB223_158
.LBB223_163:
	v_add_f64 v[0:1], v[0:1], -v[10:11]
	s_delay_alu instid0(VALU_DEP_1) | instskip(NEXT) | instid1(VALU_DEP_1)
	v_mul_f64 v[0:1], v[0:1], 0.5
	v_cmp_gt_f64_e32 vcc_lo, 0x10000000, v[0:1]
	v_cndmask_b32_e64 v4, 0, 1, vcc_lo
	s_delay_alu instid0(VALU_DEP_1) | instskip(NEXT) | instid1(VALU_DEP_1)
	v_lshlrev_b32_e32 v4, 8, v4
	v_ldexp_f64 v[0:1], v[0:1], v4
	s_delay_alu instid0(VALU_DEP_1) | instskip(SKIP_3) | instid1(VALU_DEP_1)
	v_rsq_f64_e32 v[4:5], v[0:1]
	s_waitcnt_depctr 0xfff
	v_mul_f64 v[10:11], v[0:1], v[4:5]
	v_mul_f64 v[4:5], v[4:5], 0.5
	v_fma_f64 v[14:15], -v[4:5], v[10:11], 0.5
	s_delay_alu instid0(VALU_DEP_1) | instskip(SKIP_1) | instid1(VALU_DEP_2)
	v_fma_f64 v[10:11], v[10:11], v[14:15], v[10:11]
	v_fma_f64 v[4:5], v[4:5], v[14:15], v[4:5]
	v_fma_f64 v[14:15], -v[10:11], v[10:11], v[0:1]
	s_delay_alu instid0(VALU_DEP_1) | instskip(NEXT) | instid1(VALU_DEP_1)
	v_fma_f64 v[10:11], v[14:15], v[4:5], v[10:11]
	v_fma_f64 v[14:15], -v[10:11], v[10:11], v[0:1]
	s_delay_alu instid0(VALU_DEP_1) | instskip(SKIP_3) | instid1(VALU_DEP_3)
	v_fma_f64 v[4:5], v[14:15], v[4:5], v[10:11]
	v_cndmask_b32_e64 v10, 0, 0xffffff80, vcc_lo
	v_cmp_class_f64_e64 vcc_lo, v[0:1], 0x260
	v_and_b32_e32 v11, 0x7fffffff, v13
	v_ldexp_f64 v[4:5], v[4:5], v10
	s_delay_alu instid0(VALU_DEP_1) | instskip(NEXT) | instid1(VALU_DEP_1)
	v_dual_cndmask_b32 v1, v5, v1 :: v_dual_cndmask_b32 v0, v4, v0
	v_add_f64 v[4:5], v[0:1], v[0:1]
	v_bfi_b32 v1, 0x7fffffff, v1, v13
	v_mov_b32_e32 v10, v12
	s_delay_alu instid0(VALU_DEP_1) | instskip(SKIP_1) | instid1(VALU_DEP_2)
	v_div_scale_f64 v[14:15], null, v[4:5], v[4:5], v[10:11]
	v_div_scale_f64 v[10:11], vcc_lo, v[10:11], v[4:5], v[10:11]
	v_rcp_f64_e32 v[16:17], v[14:15]
	s_waitcnt_depctr 0xfff
	v_fma_f64 v[18:19], -v[14:15], v[16:17], 1.0
	s_delay_alu instid0(VALU_DEP_1) | instskip(NEXT) | instid1(VALU_DEP_1)
	v_fma_f64 v[16:17], v[16:17], v[18:19], v[16:17]
	v_fma_f64 v[18:19], -v[14:15], v[16:17], 1.0
	s_delay_alu instid0(VALU_DEP_1) | instskip(NEXT) | instid1(VALU_DEP_1)
	v_fma_f64 v[16:17], v[16:17], v[18:19], v[16:17]
	v_mul_f64 v[18:19], v[10:11], v[16:17]
	s_delay_alu instid0(VALU_DEP_1) | instskip(NEXT) | instid1(VALU_DEP_1)
	v_fma_f64 v[10:11], -v[14:15], v[18:19], v[10:11]
	v_div_fmas_f64 v[10:11], v[10:11], v[16:17], v[18:19]
	s_delay_alu instid0(VALU_DEP_1) | instskip(SKIP_3) | instid1(SALU_CYCLE_1)
	v_div_fixup_f64 v[10:11], v[10:11], v[4:5], |v[12:13]|
	v_dual_mov_b32 v13, v1 :: v_dual_mov_b32 v12, v0
	s_or_b32 exec_lo, exec_lo, s1
	s_and_saveexec_b32 s1, s0
	s_xor_b32 s0, exec_lo, s1
	s_cbranch_execnz .LBB223_159
.LBB223_164:
	s_and_not1_saveexec_b32 s0, s0
.LBB223_165:
	s_delay_alu instid0(VALU_DEP_2) | instskip(NEXT) | instid1(VALU_DEP_2)
	v_add_f64 v[10:11], v[10:11], v[10:11]
	v_add_f64 v[12:13], v[12:13], v[12:13]
.LBB223_166:
	s_or_b32 exec_lo, exec_lo, s0
.LBB223_167:
	s_and_not1_saveexec_b32 s0, s11
	s_cbranch_execz .LBB223_173
; %bb.168:
	s_delay_alu instid0(VALU_DEP_1) | instskip(SKIP_1) | instid1(VALU_DEP_3)
	v_add_f64 v[0:1], v[12:13], -v[12:13]
	s_mov_b32 s1, exec_lo
	v_cmpx_lt_i64_e32 -1, v[10:11]
	s_xor_b32 s1, exec_lo, s1
; %bb.169:
	s_delay_alu instid0(VALU_DEP_2) | instskip(NEXT) | instid1(VALU_DEP_1)
	v_bfi_b32 v1, 0x7fffffff, v1, v13
	v_dual_mov_b32 v13, v1 :: v_dual_mov_b32 v12, v0
                                        ; implicit-def: $vgpr0_vgpr1
; %bb.170:
	s_and_not1_saveexec_b32 s1, s1
; %bb.171:
	s_delay_alu instid0(VALU_DEP_1) | instskip(SKIP_1) | instid1(VALU_DEP_2)
	v_bfi_b32 v11, 0x7fffffff, v11, v13
	v_and_b32_e32 v1, 0x7fffffff, v1
	v_dual_mov_b32 v13, v11 :: v_dual_mov_b32 v12, v10
	s_delay_alu instid0(VALU_DEP_2)
	v_dual_mov_b32 v11, v1 :: v_dual_mov_b32 v10, v0
; %bb.172:
	s_or_b32 exec_lo, exec_lo, s1
.LBB223_173:
	s_delay_alu instid0(SALU_CYCLE_1)
	s_or_b32 exec_lo, exec_lo, s0
.LBB223_174:
	s_and_not1_saveexec_b32 s0, s10
; %bb.175:
	s_delay_alu instid0(VALU_DEP_1) | instskip(NEXT) | instid1(VALU_DEP_1)
	v_add_f64 v[0:1], v[12:13], -v[12:13]
	v_div_scale_f64 v[4:5], vcc_lo, v[0:1], v[0:1], v[0:1]
	s_delay_alu instid0(VALU_DEP_1) | instskip(SKIP_2) | instid1(VALU_DEP_1)
	v_rcp_f64_e32 v[12:13], v[4:5]
	s_waitcnt_depctr 0xfff
	v_fma_f64 v[14:15], -v[4:5], v[12:13], 1.0
	v_fma_f64 v[12:13], v[12:13], v[14:15], v[12:13]
	s_delay_alu instid0(VALU_DEP_1) | instskip(NEXT) | instid1(VALU_DEP_1)
	v_fma_f64 v[14:15], -v[4:5], v[12:13], 1.0
	v_fma_f64 v[12:13], v[12:13], v[14:15], v[12:13]
	s_delay_alu instid0(VALU_DEP_1) | instskip(NEXT) | instid1(VALU_DEP_1)
	v_mul_f64 v[14:15], v[4:5], v[12:13]
	v_fma_f64 v[4:5], -v[4:5], v[14:15], v[4:5]
	s_delay_alu instid0(VALU_DEP_1) | instskip(NEXT) | instid1(VALU_DEP_1)
	v_div_fmas_f64 v[4:5], v[4:5], v[12:13], v[14:15]
	v_div_fixup_f64 v[12:13], v[4:5], v[0:1], v[0:1]
; %bb.176:
	s_or_b32 exec_lo, exec_lo, s0
	v_dual_mov_b32 v4, v10 :: v_dual_mov_b32 v5, v11
.LBB223_177:
	s_or_b32 exec_lo, exec_lo, s3
.LBB223_178:
	s_delay_alu instid0(SALU_CYCLE_1) | instskip(SKIP_3) | instid1(VALU_DEP_1)
	s_or_b32 exec_lo, exec_lo, s2
	global_load_b128 v[16:19], v7, s[6:7]
	v_mov_b32_e32 v24, 0
	v_mov_b32_e32 v25, 0
	v_dual_mov_b32 v0, v24 :: v_dual_mov_b32 v1, v25
	s_waitcnt vmcnt(0)
	v_cmp_neq_f64_e32 vcc_lo, 0, v[16:17]
	v_cmp_neq_f64_e64 s0, 0, v[18:19]
	s_delay_alu instid0(VALU_DEP_1) | instskip(NEXT) | instid1(SALU_CYCLE_1)
	s_or_b32 s0, vcc_lo, s0
	s_and_saveexec_b32 s2, s0
	s_cbranch_execz .LBB223_210
; %bb.179:
	s_mov_b32 s0, 0
	s_mov_b32 s1, 0x7ff00000
	v_mov_b32_e32 v0, s0
	v_mov_b32_e32 v1, s1
	s_mov_b32 s3, exec_lo
	v_cmpx_neq_f64_e64 0x7ff00000, |v[18:19]|
	s_cbranch_execz .LBB223_209
; %bb.180:
	s_mov_b32 s0, exec_lo
	v_cmpx_o_f64_e32 v[16:17], v[16:17]
	s_xor_b32 s10, exec_lo, s0
	s_cbranch_execz .LBB223_206
; %bb.181:
	s_mov_b32 s1, exec_lo
	v_cmpx_neq_f64_e64 0x7ff00000, |v[16:17]|
	s_xor_b32 s11, exec_lo, s1
	s_cbranch_execz .LBB223_199
; %bb.182:
	v_max_f64 v[0:1], |v[18:19]|, |v[18:19]|
	v_max_f64 v[10:11], |v[16:17]|, |v[16:17]|
	s_mov_b32 s0, 0x99fcef32
	s_mov_b32 s1, 0x7fda8279
                                        ; implicit-def: $sgpr12
	s_delay_alu instid0(VALU_DEP_1) | instskip(NEXT) | instid1(VALU_DEP_1)
	v_max_f64 v[0:1], v[10:11], v[0:1]
	v_cmp_nle_f64_e64 s0, s[0:1], v[0:1]
	s_delay_alu instid0(VALU_DEP_1) | instskip(NEXT) | instid1(SALU_CYCLE_1)
	s_and_saveexec_b32 s1, s0
	s_xor_b32 s1, exec_lo, s1
	s_cbranch_execz .LBB223_186
; %bb.183:
	v_cmp_ge_f64_e64 s12, 0x200000, |v[16:17]|
	v_cmp_ge_f64_e64 s13, 0x200000, |v[18:19]|
	s_delay_alu instid0(VALU_DEP_1)
	s_and_b32 s14, s12, s13
	s_mov_b32 s12, 0
	s_and_saveexec_b32 s13, s14
; %bb.184:
	v_mul_f64 v[16:17], v[16:17], 4.0
	v_mul_f64 v[18:19], v[18:19], 4.0
	s_mov_b32 s12, exec_lo
; %bb.185:
	s_or_b32 exec_lo, exec_lo, s13
	s_delay_alu instid0(SALU_CYCLE_1)
	s_and_b32 s12, s12, exec_lo
.LBB223_186:
	s_and_not1_saveexec_b32 s1, s1
; %bb.187:
	s_delay_alu instid0(VALU_DEP_2) | instskip(NEXT) | instid1(VALU_DEP_2)
	v_ldexp_f64 v[16:17], v[16:17], -2
	v_ldexp_f64 v[18:19], v[18:19], -2
	s_and_not1_b32 s12, s12, exec_lo
; %bb.188:
	s_or_b32 exec_lo, exec_lo, s1
	s_delay_alu instid0(VALU_DEP_1) | instskip(NEXT) | instid1(VALU_DEP_3)
	v_max_f64 v[0:1], |v[18:19]|, |v[18:19]|
	v_max_f64 v[10:11], |v[16:17]|, |v[16:17]|
	v_cmp_class_f64_e64 s13, v[16:17], 0x204
	v_cmp_class_f64_e64 s14, v[18:19], 0x204
	v_cmp_le_f64_e64 s1, 0, v[16:17]
	s_delay_alu instid0(VALU_DEP_4) | instskip(NEXT) | instid1(VALU_DEP_3)
	v_max_f64 v[0:1], v[10:11], v[0:1]
	s_or_b32 s13, s14, s13
	s_delay_alu instid0(VALU_DEP_1) | instskip(NEXT) | instid1(VALU_DEP_1)
	v_frexp_exp_i32_f64_e32 v7, v[0:1]
	v_sub_nc_u32_e32 v10, 0, v7
	s_delay_alu instid0(VALU_DEP_1) | instskip(SKIP_1) | instid1(VALU_DEP_2)
	v_ldexp_f64 v[0:1], |v[18:19]|, v10
	v_ldexp_f64 v[10:11], |v[16:17]|, v10
	v_mul_f64 v[0:1], v[0:1], v[0:1]
	s_delay_alu instid0(VALU_DEP_1) | instskip(NEXT) | instid1(VALU_DEP_1)
	v_fma_f64 v[0:1], v[10:11], v[10:11], v[0:1]
	v_rsq_f64_e32 v[10:11], v[0:1]
	v_cmp_eq_f64_e32 vcc_lo, 0, v[0:1]
	s_waitcnt_depctr 0xfff
	v_mul_f64 v[14:15], v[0:1], v[10:11]
	v_mul_f64 v[10:11], v[10:11], 0.5
	s_delay_alu instid0(VALU_DEP_1) | instskip(NEXT) | instid1(VALU_DEP_1)
	v_fma_f64 v[26:27], -v[10:11], v[14:15], 0.5
	v_fma_f64 v[14:15], v[14:15], v[26:27], v[14:15]
	v_fma_f64 v[10:11], v[10:11], v[26:27], v[10:11]
	s_delay_alu instid0(VALU_DEP_2) | instskip(NEXT) | instid1(VALU_DEP_1)
	v_fma_f64 v[26:27], -v[14:15], v[14:15], v[0:1]
	v_fma_f64 v[10:11], v[26:27], v[10:11], v[14:15]
	s_delay_alu instid0(VALU_DEP_1) | instskip(SKIP_1) | instid1(VALU_DEP_2)
	v_dual_cndmask_b32 v1, v11, v1 :: v_dual_cndmask_b32 v0, v10, v0
	v_cmp_o_f64_e32 vcc_lo, v[18:19], v[18:19]
	v_ldexp_f64 v[0:1], v[0:1], v7
	s_delay_alu instid0(VALU_DEP_1) | instskip(NEXT) | instid1(VALU_DEP_2)
	v_cndmask_b32_e32 v0, 0, v0, vcc_lo
	v_cndmask_b32_e32 v1, 0x7ff80000, v1, vcc_lo
	s_delay_alu instid0(VALU_DEP_2) | instskip(NEXT) | instid1(VALU_DEP_2)
	v_cndmask_b32_e64 v0, v0, 0, s13
	v_cndmask_b32_e64 v1, v1, 0x7ff00000, s13
	s_and_saveexec_b32 s13, s1
	s_delay_alu instid0(SALU_CYCLE_1)
	s_xor_b32 s1, exec_lo, s13
	s_cbranch_execz .LBB223_194
; %bb.189:
	s_delay_alu instid0(VALU_DEP_1) | instskip(NEXT) | instid1(VALU_DEP_1)
	v_add_f64 v[0:1], v[16:17], v[0:1]
	v_mul_f64 v[0:1], v[0:1], 0.5
	s_delay_alu instid0(VALU_DEP_1) | instskip(SKIP_1) | instid1(VALU_DEP_1)
	v_cmp_gt_f64_e32 vcc_lo, 0x10000000, v[0:1]
	v_cndmask_b32_e64 v7, 0, 1, vcc_lo
	v_lshlrev_b32_e32 v7, 8, v7
	s_delay_alu instid0(VALU_DEP_1) | instskip(SKIP_1) | instid1(VALU_DEP_2)
	v_ldexp_f64 v[0:1], v[0:1], v7
	v_cndmask_b32_e64 v7, 0, 0xffffff80, vcc_lo
	v_rsq_f64_e32 v[10:11], v[0:1]
	v_cmp_class_f64_e64 vcc_lo, v[0:1], 0x260
	s_waitcnt_depctr 0xfff
	v_mul_f64 v[14:15], v[0:1], v[10:11]
	v_mul_f64 v[10:11], v[10:11], 0.5
	s_delay_alu instid0(VALU_DEP_1) | instskip(NEXT) | instid1(VALU_DEP_1)
	v_fma_f64 v[16:17], -v[10:11], v[14:15], 0.5
	v_fma_f64 v[14:15], v[14:15], v[16:17], v[14:15]
	v_fma_f64 v[10:11], v[10:11], v[16:17], v[10:11]
	s_delay_alu instid0(VALU_DEP_2) | instskip(NEXT) | instid1(VALU_DEP_1)
	v_fma_f64 v[16:17], -v[14:15], v[14:15], v[0:1]
	v_fma_f64 v[14:15], v[16:17], v[10:11], v[14:15]
	s_delay_alu instid0(VALU_DEP_1) | instskip(NEXT) | instid1(VALU_DEP_1)
	v_fma_f64 v[16:17], -v[14:15], v[14:15], v[0:1]
	v_fma_f64 v[10:11], v[16:17], v[10:11], v[14:15]
	s_delay_alu instid0(VALU_DEP_1) | instskip(NEXT) | instid1(VALU_DEP_1)
	v_ldexp_f64 v[10:11], v[10:11], v7
	v_dual_cndmask_b32 v16, v10, v0 :: v_dual_cndmask_b32 v17, v11, v1
	s_delay_alu instid0(VALU_DEP_1) | instskip(NEXT) | instid1(VALU_DEP_1)
	v_add_f64 v[0:1], v[16:17], v[16:17]
	v_div_scale_f64 v[10:11], null, v[0:1], v[0:1], v[18:19]
	s_delay_alu instid0(VALU_DEP_1) | instskip(SKIP_2) | instid1(VALU_DEP_1)
	v_rcp_f64_e32 v[14:15], v[10:11]
	s_waitcnt_depctr 0xfff
	v_fma_f64 v[26:27], -v[10:11], v[14:15], 1.0
	v_fma_f64 v[14:15], v[14:15], v[26:27], v[14:15]
	s_delay_alu instid0(VALU_DEP_1) | instskip(NEXT) | instid1(VALU_DEP_1)
	v_fma_f64 v[26:27], -v[10:11], v[14:15], 1.0
	v_fma_f64 v[14:15], v[14:15], v[26:27], v[14:15]
	v_div_scale_f64 v[26:27], vcc_lo, v[18:19], v[0:1], v[18:19]
	s_delay_alu instid0(VALU_DEP_1) | instskip(NEXT) | instid1(VALU_DEP_1)
	v_mul_f64 v[28:29], v[26:27], v[14:15]
	v_fma_f64 v[10:11], -v[10:11], v[28:29], v[26:27]
	s_delay_alu instid0(VALU_DEP_1) | instskip(NEXT) | instid1(VALU_DEP_1)
	v_div_fmas_f64 v[10:11], v[10:11], v[14:15], v[28:29]
	v_div_fixup_f64 v[18:19], v[10:11], v[0:1], v[18:19]
                                        ; implicit-def: $vgpr0_vgpr1
	s_and_not1_saveexec_b32 s1, s1
	s_cbranch_execnz .LBB223_195
.LBB223_190:
	s_or_b32 exec_lo, exec_lo, s1
	s_and_saveexec_b32 s1, s0
	s_delay_alu instid0(SALU_CYCLE_1)
	s_xor_b32 s0, exec_lo, s1
	s_cbranch_execz .LBB223_196
.LBB223_191:
	s_and_saveexec_b32 s1, s12
; %bb.192:
	s_delay_alu instid0(VALU_DEP_2) | instskip(NEXT) | instid1(VALU_DEP_2)
	v_mul_f64 v[16:17], v[16:17], 0.5
	v_mul_f64 v[18:19], v[18:19], 0.5
; %bb.193:
	s_or_b32 exec_lo, exec_lo, s1
	s_and_not1_saveexec_b32 s0, s0
	s_cbranch_execnz .LBB223_197
	s_branch .LBB223_198
.LBB223_194:
	s_and_not1_saveexec_b32 s1, s1
	s_cbranch_execz .LBB223_190
.LBB223_195:
	v_add_f64 v[0:1], v[0:1], -v[16:17]
	s_delay_alu instid0(VALU_DEP_1) | instskip(NEXT) | instid1(VALU_DEP_1)
	v_mul_f64 v[0:1], v[0:1], 0.5
	v_cmp_gt_f64_e32 vcc_lo, 0x10000000, v[0:1]
	v_cndmask_b32_e64 v7, 0, 1, vcc_lo
	s_delay_alu instid0(VALU_DEP_1) | instskip(NEXT) | instid1(VALU_DEP_1)
	v_lshlrev_b32_e32 v7, 8, v7
	v_ldexp_f64 v[0:1], v[0:1], v7
	v_cndmask_b32_e64 v7, 0, 0xffffff80, vcc_lo
	s_delay_alu instid0(VALU_DEP_2) | instskip(SKIP_4) | instid1(VALU_DEP_1)
	v_rsq_f64_e32 v[10:11], v[0:1]
	v_cmp_class_f64_e64 vcc_lo, v[0:1], 0x260
	s_waitcnt_depctr 0xfff
	v_mul_f64 v[14:15], v[0:1], v[10:11]
	v_mul_f64 v[10:11], v[10:11], 0.5
	v_fma_f64 v[16:17], -v[10:11], v[14:15], 0.5
	s_delay_alu instid0(VALU_DEP_1) | instskip(SKIP_1) | instid1(VALU_DEP_2)
	v_fma_f64 v[14:15], v[14:15], v[16:17], v[14:15]
	v_fma_f64 v[10:11], v[10:11], v[16:17], v[10:11]
	v_fma_f64 v[16:17], -v[14:15], v[14:15], v[0:1]
	s_delay_alu instid0(VALU_DEP_1) | instskip(NEXT) | instid1(VALU_DEP_1)
	v_fma_f64 v[14:15], v[16:17], v[10:11], v[14:15]
	v_fma_f64 v[16:17], -v[14:15], v[14:15], v[0:1]
	s_delay_alu instid0(VALU_DEP_1) | instskip(SKIP_1) | instid1(VALU_DEP_2)
	v_fma_f64 v[10:11], v[16:17], v[10:11], v[14:15]
	v_mov_b32_e32 v14, v18
	v_ldexp_f64 v[10:11], v[10:11], v7
	s_delay_alu instid0(VALU_DEP_1) | instskip(NEXT) | instid1(VALU_DEP_1)
	v_dual_cndmask_b32 v0, v10, v0 :: v_dual_cndmask_b32 v1, v11, v1
	v_add_f64 v[10:11], v[0:1], v[0:1]
	v_bfi_b32 v1, 0x7fffffff, v1, v19
	v_and_b32_e32 v15, 0x7fffffff, v19
	s_delay_alu instid0(VALU_DEP_1) | instskip(SKIP_1) | instid1(VALU_DEP_2)
	v_div_scale_f64 v[16:17], null, v[10:11], v[10:11], v[14:15]
	v_div_scale_f64 v[14:15], vcc_lo, v[14:15], v[10:11], v[14:15]
	v_rcp_f64_e32 v[26:27], v[16:17]
	s_waitcnt_depctr 0xfff
	v_fma_f64 v[28:29], -v[16:17], v[26:27], 1.0
	s_delay_alu instid0(VALU_DEP_1) | instskip(NEXT) | instid1(VALU_DEP_1)
	v_fma_f64 v[26:27], v[26:27], v[28:29], v[26:27]
	v_fma_f64 v[28:29], -v[16:17], v[26:27], 1.0
	s_delay_alu instid0(VALU_DEP_1) | instskip(NEXT) | instid1(VALU_DEP_1)
	v_fma_f64 v[26:27], v[26:27], v[28:29], v[26:27]
	v_mul_f64 v[28:29], v[14:15], v[26:27]
	s_delay_alu instid0(VALU_DEP_1) | instskip(NEXT) | instid1(VALU_DEP_1)
	v_fma_f64 v[14:15], -v[16:17], v[28:29], v[14:15]
	v_div_fmas_f64 v[14:15], v[14:15], v[26:27], v[28:29]
	s_delay_alu instid0(VALU_DEP_1) | instskip(SKIP_3) | instid1(SALU_CYCLE_1)
	v_div_fixup_f64 v[16:17], v[14:15], v[10:11], |v[18:19]|
	v_dual_mov_b32 v19, v1 :: v_dual_mov_b32 v18, v0
	s_or_b32 exec_lo, exec_lo, s1
	s_and_saveexec_b32 s1, s0
	s_xor_b32 s0, exec_lo, s1
	s_cbranch_execnz .LBB223_191
.LBB223_196:
	s_and_not1_saveexec_b32 s0, s0
.LBB223_197:
	s_delay_alu instid0(VALU_DEP_2) | instskip(NEXT) | instid1(VALU_DEP_2)
	v_add_f64 v[16:17], v[16:17], v[16:17]
	v_add_f64 v[18:19], v[18:19], v[18:19]
.LBB223_198:
	s_or_b32 exec_lo, exec_lo, s0
.LBB223_199:
	s_and_not1_saveexec_b32 s0, s11
	s_cbranch_execz .LBB223_205
; %bb.200:
	s_delay_alu instid0(VALU_DEP_1) | instskip(SKIP_1) | instid1(VALU_DEP_3)
	v_add_f64 v[0:1], v[18:19], -v[18:19]
	s_mov_b32 s1, exec_lo
	v_cmpx_lt_i64_e32 -1, v[16:17]
	s_xor_b32 s1, exec_lo, s1
; %bb.201:
	s_delay_alu instid0(VALU_DEP_2) | instskip(NEXT) | instid1(VALU_DEP_1)
	v_bfi_b32 v1, 0x7fffffff, v1, v19
	v_dual_mov_b32 v19, v1 :: v_dual_mov_b32 v18, v0
                                        ; implicit-def: $vgpr0_vgpr1
; %bb.202:
	s_and_not1_saveexec_b32 s1, s1
; %bb.203:
	s_delay_alu instid0(VALU_DEP_1) | instskip(SKIP_1) | instid1(VALU_DEP_2)
	v_bfi_b32 v17, 0x7fffffff, v17, v19
	v_and_b32_e32 v1, 0x7fffffff, v1
	v_dual_mov_b32 v19, v17 :: v_dual_mov_b32 v18, v16
	s_delay_alu instid0(VALU_DEP_2)
	v_dual_mov_b32 v17, v1 :: v_dual_mov_b32 v16, v0
; %bb.204:
	s_or_b32 exec_lo, exec_lo, s1
.LBB223_205:
	s_delay_alu instid0(SALU_CYCLE_1)
	s_or_b32 exec_lo, exec_lo, s0
.LBB223_206:
	s_and_not1_saveexec_b32 s0, s10
; %bb.207:
	s_delay_alu instid0(VALU_DEP_1) | instskip(NEXT) | instid1(VALU_DEP_1)
	v_add_f64 v[0:1], v[18:19], -v[18:19]
	v_div_scale_f64 v[10:11], vcc_lo, v[0:1], v[0:1], v[0:1]
	s_delay_alu instid0(VALU_DEP_1) | instskip(SKIP_2) | instid1(VALU_DEP_1)
	v_rcp_f64_e32 v[14:15], v[10:11]
	s_waitcnt_depctr 0xfff
	v_fma_f64 v[18:19], -v[10:11], v[14:15], 1.0
	v_fma_f64 v[14:15], v[14:15], v[18:19], v[14:15]
	s_delay_alu instid0(VALU_DEP_1) | instskip(NEXT) | instid1(VALU_DEP_1)
	v_fma_f64 v[18:19], -v[10:11], v[14:15], 1.0
	v_fma_f64 v[14:15], v[14:15], v[18:19], v[14:15]
	s_delay_alu instid0(VALU_DEP_1) | instskip(NEXT) | instid1(VALU_DEP_1)
	v_mul_f64 v[18:19], v[10:11], v[14:15]
	v_fma_f64 v[10:11], -v[10:11], v[18:19], v[10:11]
	s_delay_alu instid0(VALU_DEP_1) | instskip(NEXT) | instid1(VALU_DEP_1)
	v_div_fmas_f64 v[10:11], v[10:11], v[14:15], v[18:19]
	v_div_fixup_f64 v[18:19], v[10:11], v[0:1], v[0:1]
; %bb.208:
	s_or_b32 exec_lo, exec_lo, s0
	v_dual_mov_b32 v0, v16 :: v_dual_mov_b32 v1, v17
.LBB223_209:
	s_or_b32 exec_lo, exec_lo, s3
.LBB223_210:
	s_delay_alu instid0(SALU_CYCLE_1) | instskip(SKIP_4) | instid1(VALU_DEP_1)
	s_or_b32 exec_lo, exec_lo, s2
	global_load_b128 v[14:17], v6, s[6:7]
	s_waitcnt vmcnt(0)
	v_cmp_neq_f64_e32 vcc_lo, 0, v[14:15]
	v_cmp_neq_f64_e64 s0, 0, v[16:17]
	s_or_b32 s0, vcc_lo, s0
	s_delay_alu instid0(SALU_CYCLE_1)
	s_and_saveexec_b32 s2, s0
	s_cbranch_execz .LBB223_242
; %bb.211:
	s_mov_b32 s0, 0
	s_mov_b32 s1, 0x7ff00000
	v_mov_b32_e32 v24, s0
	v_mov_b32_e32 v25, s1
	s_mov_b32 s3, exec_lo
	v_cmpx_neq_f64_e64 0x7ff00000, |v[16:17]|
	s_cbranch_execz .LBB223_241
; %bb.212:
	s_mov_b32 s0, exec_lo
	v_cmpx_o_f64_e32 v[14:15], v[14:15]
	s_xor_b32 s6, exec_lo, s0
	s_cbranch_execz .LBB223_238
; %bb.213:
	s_mov_b32 s1, exec_lo
	v_cmpx_neq_f64_e64 0x7ff00000, |v[14:15]|
	s_xor_b32 s7, exec_lo, s1
	s_cbranch_execz .LBB223_231
; %bb.214:
	v_max_f64 v[6:7], |v[16:17]|, |v[16:17]|
	v_max_f64 v[10:11], |v[14:15]|, |v[14:15]|
	s_mov_b32 s0, 0x99fcef32
	s_mov_b32 s1, 0x7fda8279
                                        ; implicit-def: $sgpr10
	s_delay_alu instid0(VALU_DEP_1) | instskip(NEXT) | instid1(VALU_DEP_1)
	v_max_f64 v[6:7], v[10:11], v[6:7]
	v_cmp_nle_f64_e64 s0, s[0:1], v[6:7]
	s_delay_alu instid0(VALU_DEP_1) | instskip(NEXT) | instid1(SALU_CYCLE_1)
	s_and_saveexec_b32 s1, s0
	s_xor_b32 s1, exec_lo, s1
	s_cbranch_execz .LBB223_218
; %bb.215:
	v_cmp_ge_f64_e64 s10, 0x200000, |v[14:15]|
	v_cmp_ge_f64_e64 s11, 0x200000, |v[16:17]|
	s_delay_alu instid0(VALU_DEP_1)
	s_and_b32 s12, s10, s11
	s_mov_b32 s10, 0
	s_and_saveexec_b32 s11, s12
; %bb.216:
	v_mul_f64 v[14:15], v[14:15], 4.0
	v_mul_f64 v[16:17], v[16:17], 4.0
	s_mov_b32 s10, exec_lo
; %bb.217:
	s_or_b32 exec_lo, exec_lo, s11
	s_delay_alu instid0(SALU_CYCLE_1)
	s_and_b32 s10, s10, exec_lo
.LBB223_218:
	s_and_not1_saveexec_b32 s1, s1
; %bb.219:
	s_delay_alu instid0(VALU_DEP_2) | instskip(NEXT) | instid1(VALU_DEP_2)
	v_ldexp_f64 v[14:15], v[14:15], -2
	v_ldexp_f64 v[16:17], v[16:17], -2
	s_and_not1_b32 s10, s10, exec_lo
; %bb.220:
	s_or_b32 exec_lo, exec_lo, s1
	s_delay_alu instid0(VALU_DEP_1) | instskip(NEXT) | instid1(VALU_DEP_3)
	v_max_f64 v[6:7], |v[16:17]|, |v[16:17]|
	v_max_f64 v[10:11], |v[14:15]|, |v[14:15]|
	v_cmp_class_f64_e64 s11, v[14:15], 0x204
	v_cmp_class_f64_e64 s12, v[16:17], 0x204
	v_cmp_le_f64_e64 s1, 0, v[14:15]
	s_delay_alu instid0(VALU_DEP_4) | instskip(NEXT) | instid1(VALU_DEP_3)
	v_max_f64 v[6:7], v[10:11], v[6:7]
	s_or_b32 s11, s12, s11
	s_delay_alu instid0(VALU_DEP_1) | instskip(NEXT) | instid1(VALU_DEP_1)
	v_frexp_exp_i32_f64_e32 v28, v[6:7]
	v_sub_nc_u32_e32 v10, 0, v28
	s_delay_alu instid0(VALU_DEP_1) | instskip(SKIP_1) | instid1(VALU_DEP_2)
	v_ldexp_f64 v[6:7], |v[16:17]|, v10
	v_ldexp_f64 v[10:11], |v[14:15]|, v10
	v_mul_f64 v[6:7], v[6:7], v[6:7]
	s_delay_alu instid0(VALU_DEP_1) | instskip(NEXT) | instid1(VALU_DEP_1)
	v_fma_f64 v[6:7], v[10:11], v[10:11], v[6:7]
	v_rsq_f64_e32 v[10:11], v[6:7]
	v_cmp_eq_f64_e32 vcc_lo, 0, v[6:7]
	s_waitcnt_depctr 0xfff
	v_mul_f64 v[24:25], v[6:7], v[10:11]
	v_mul_f64 v[10:11], v[10:11], 0.5
	s_delay_alu instid0(VALU_DEP_1) | instskip(NEXT) | instid1(VALU_DEP_1)
	v_fma_f64 v[26:27], -v[10:11], v[24:25], 0.5
	v_fma_f64 v[24:25], v[24:25], v[26:27], v[24:25]
	v_fma_f64 v[10:11], v[10:11], v[26:27], v[10:11]
	s_delay_alu instid0(VALU_DEP_2) | instskip(NEXT) | instid1(VALU_DEP_1)
	v_fma_f64 v[26:27], -v[24:25], v[24:25], v[6:7]
	v_fma_f64 v[10:11], v[26:27], v[10:11], v[24:25]
	s_delay_alu instid0(VALU_DEP_1) | instskip(SKIP_1) | instid1(VALU_DEP_2)
	v_dual_cndmask_b32 v7, v11, v7 :: v_dual_cndmask_b32 v6, v10, v6
	v_cmp_o_f64_e32 vcc_lo, v[16:17], v[16:17]
	v_ldexp_f64 v[6:7], v[6:7], v28
	s_delay_alu instid0(VALU_DEP_1) | instskip(NEXT) | instid1(VALU_DEP_2)
	v_cndmask_b32_e32 v6, 0, v6, vcc_lo
	v_cndmask_b32_e32 v7, 0x7ff80000, v7, vcc_lo
	s_delay_alu instid0(VALU_DEP_2) | instskip(NEXT) | instid1(VALU_DEP_2)
	v_cndmask_b32_e64 v6, v6, 0, s11
	v_cndmask_b32_e64 v7, v7, 0x7ff00000, s11
	s_and_saveexec_b32 s11, s1
	s_delay_alu instid0(SALU_CYCLE_1)
	s_xor_b32 s1, exec_lo, s11
	s_cbranch_execz .LBB223_226
; %bb.221:
	s_delay_alu instid0(VALU_DEP_1) | instskip(NEXT) | instid1(VALU_DEP_1)
	v_add_f64 v[6:7], v[14:15], v[6:7]
	v_mul_f64 v[6:7], v[6:7], 0.5
	s_delay_alu instid0(VALU_DEP_1) | instskip(SKIP_1) | instid1(VALU_DEP_1)
	v_cmp_gt_f64_e32 vcc_lo, 0x10000000, v[6:7]
	v_cndmask_b32_e64 v10, 0, 1, vcc_lo
	v_lshlrev_b32_e32 v10, 8, v10
	s_delay_alu instid0(VALU_DEP_1) | instskip(NEXT) | instid1(VALU_DEP_1)
	v_ldexp_f64 v[6:7], v[6:7], v10
	v_rsq_f64_e32 v[10:11], v[6:7]
	s_waitcnt_depctr 0xfff
	v_mul_f64 v[14:15], v[6:7], v[10:11]
	v_mul_f64 v[10:11], v[10:11], 0.5
	s_delay_alu instid0(VALU_DEP_1) | instskip(NEXT) | instid1(VALU_DEP_1)
	v_fma_f64 v[24:25], -v[10:11], v[14:15], 0.5
	v_fma_f64 v[14:15], v[14:15], v[24:25], v[14:15]
	v_fma_f64 v[10:11], v[10:11], v[24:25], v[10:11]
	s_delay_alu instid0(VALU_DEP_2) | instskip(NEXT) | instid1(VALU_DEP_1)
	v_fma_f64 v[24:25], -v[14:15], v[14:15], v[6:7]
	v_fma_f64 v[14:15], v[24:25], v[10:11], v[14:15]
	s_delay_alu instid0(VALU_DEP_1) | instskip(NEXT) | instid1(VALU_DEP_1)
	v_fma_f64 v[24:25], -v[14:15], v[14:15], v[6:7]
	v_fma_f64 v[10:11], v[24:25], v[10:11], v[14:15]
	v_cndmask_b32_e64 v14, 0, 0xffffff80, vcc_lo
	v_cmp_class_f64_e64 vcc_lo, v[6:7], 0x260
	s_delay_alu instid0(VALU_DEP_2) | instskip(NEXT) | instid1(VALU_DEP_1)
	v_ldexp_f64 v[10:11], v[10:11], v14
	v_dual_cndmask_b32 v15, v11, v7 :: v_dual_cndmask_b32 v14, v10, v6
	s_delay_alu instid0(VALU_DEP_1) | instskip(NEXT) | instid1(VALU_DEP_1)
	v_add_f64 v[6:7], v[14:15], v[14:15]
	v_div_scale_f64 v[10:11], null, v[6:7], v[6:7], v[16:17]
	s_delay_alu instid0(VALU_DEP_1) | instskip(SKIP_2) | instid1(VALU_DEP_1)
	v_rcp_f64_e32 v[24:25], v[10:11]
	s_waitcnt_depctr 0xfff
	v_fma_f64 v[26:27], -v[10:11], v[24:25], 1.0
	v_fma_f64 v[24:25], v[24:25], v[26:27], v[24:25]
	s_delay_alu instid0(VALU_DEP_1) | instskip(NEXT) | instid1(VALU_DEP_1)
	v_fma_f64 v[26:27], -v[10:11], v[24:25], 1.0
	v_fma_f64 v[24:25], v[24:25], v[26:27], v[24:25]
	v_div_scale_f64 v[26:27], vcc_lo, v[16:17], v[6:7], v[16:17]
	s_delay_alu instid0(VALU_DEP_1) | instskip(NEXT) | instid1(VALU_DEP_1)
	v_mul_f64 v[28:29], v[26:27], v[24:25]
	v_fma_f64 v[10:11], -v[10:11], v[28:29], v[26:27]
	s_delay_alu instid0(VALU_DEP_1) | instskip(NEXT) | instid1(VALU_DEP_1)
	v_div_fmas_f64 v[10:11], v[10:11], v[24:25], v[28:29]
	v_div_fixup_f64 v[16:17], v[10:11], v[6:7], v[16:17]
                                        ; implicit-def: $vgpr6_vgpr7
	s_and_not1_saveexec_b32 s1, s1
	s_cbranch_execnz .LBB223_227
.LBB223_222:
	s_or_b32 exec_lo, exec_lo, s1
	s_and_saveexec_b32 s1, s0
	s_delay_alu instid0(SALU_CYCLE_1)
	s_xor_b32 s0, exec_lo, s1
	s_cbranch_execz .LBB223_228
.LBB223_223:
	s_and_saveexec_b32 s1, s10
; %bb.224:
	s_delay_alu instid0(VALU_DEP_2) | instskip(NEXT) | instid1(VALU_DEP_2)
	v_mul_f64 v[14:15], v[14:15], 0.5
	v_mul_f64 v[16:17], v[16:17], 0.5
; %bb.225:
	s_or_b32 exec_lo, exec_lo, s1
	s_and_not1_saveexec_b32 s0, s0
	s_cbranch_execnz .LBB223_229
	s_branch .LBB223_230
.LBB223_226:
	s_and_not1_saveexec_b32 s1, s1
	s_cbranch_execz .LBB223_222
.LBB223_227:
	v_add_f64 v[6:7], v[6:7], -v[14:15]
	s_delay_alu instid0(VALU_DEP_1) | instskip(NEXT) | instid1(VALU_DEP_1)
	v_mul_f64 v[6:7], v[6:7], 0.5
	v_cmp_gt_f64_e32 vcc_lo, 0x10000000, v[6:7]
	v_cndmask_b32_e64 v10, 0, 1, vcc_lo
	s_delay_alu instid0(VALU_DEP_1) | instskip(NEXT) | instid1(VALU_DEP_1)
	v_lshlrev_b32_e32 v10, 8, v10
	v_ldexp_f64 v[6:7], v[6:7], v10
	s_delay_alu instid0(VALU_DEP_1) | instskip(SKIP_3) | instid1(VALU_DEP_1)
	v_rsq_f64_e32 v[10:11], v[6:7]
	s_waitcnt_depctr 0xfff
	v_mul_f64 v[14:15], v[6:7], v[10:11]
	v_mul_f64 v[10:11], v[10:11], 0.5
	v_fma_f64 v[24:25], -v[10:11], v[14:15], 0.5
	s_delay_alu instid0(VALU_DEP_1) | instskip(SKIP_1) | instid1(VALU_DEP_2)
	v_fma_f64 v[14:15], v[14:15], v[24:25], v[14:15]
	v_fma_f64 v[10:11], v[10:11], v[24:25], v[10:11]
	v_fma_f64 v[24:25], -v[14:15], v[14:15], v[6:7]
	s_delay_alu instid0(VALU_DEP_1) | instskip(NEXT) | instid1(VALU_DEP_1)
	v_fma_f64 v[14:15], v[24:25], v[10:11], v[14:15]
	v_fma_f64 v[24:25], -v[14:15], v[14:15], v[6:7]
	s_delay_alu instid0(VALU_DEP_1) | instskip(SKIP_3) | instid1(VALU_DEP_3)
	v_fma_f64 v[10:11], v[24:25], v[10:11], v[14:15]
	v_cndmask_b32_e64 v14, 0, 0xffffff80, vcc_lo
	v_cmp_class_f64_e64 vcc_lo, v[6:7], 0x260
	v_and_b32_e32 v15, 0x7fffffff, v17
	v_ldexp_f64 v[10:11], v[10:11], v14
	s_delay_alu instid0(VALU_DEP_1) | instskip(NEXT) | instid1(VALU_DEP_1)
	v_dual_cndmask_b32 v7, v11, v7 :: v_dual_cndmask_b32 v6, v10, v6
	v_add_f64 v[10:11], v[6:7], v[6:7]
	v_bfi_b32 v7, 0x7fffffff, v7, v17
	v_mov_b32_e32 v14, v16
	s_delay_alu instid0(VALU_DEP_1) | instskip(SKIP_1) | instid1(VALU_DEP_2)
	v_div_scale_f64 v[24:25], null, v[10:11], v[10:11], v[14:15]
	v_div_scale_f64 v[14:15], vcc_lo, v[14:15], v[10:11], v[14:15]
	v_rcp_f64_e32 v[26:27], v[24:25]
	s_waitcnt_depctr 0xfff
	v_fma_f64 v[28:29], -v[24:25], v[26:27], 1.0
	s_delay_alu instid0(VALU_DEP_1) | instskip(NEXT) | instid1(VALU_DEP_1)
	v_fma_f64 v[26:27], v[26:27], v[28:29], v[26:27]
	v_fma_f64 v[28:29], -v[24:25], v[26:27], 1.0
	s_delay_alu instid0(VALU_DEP_1) | instskip(NEXT) | instid1(VALU_DEP_1)
	v_fma_f64 v[26:27], v[26:27], v[28:29], v[26:27]
	v_mul_f64 v[28:29], v[14:15], v[26:27]
	s_delay_alu instid0(VALU_DEP_1) | instskip(NEXT) | instid1(VALU_DEP_1)
	v_fma_f64 v[14:15], -v[24:25], v[28:29], v[14:15]
	v_div_fmas_f64 v[14:15], v[14:15], v[26:27], v[28:29]
	s_delay_alu instid0(VALU_DEP_1) | instskip(SKIP_3) | instid1(SALU_CYCLE_1)
	v_div_fixup_f64 v[14:15], v[14:15], v[10:11], |v[16:17]|
	v_dual_mov_b32 v17, v7 :: v_dual_mov_b32 v16, v6
	s_or_b32 exec_lo, exec_lo, s1
	s_and_saveexec_b32 s1, s0
	s_xor_b32 s0, exec_lo, s1
	s_cbranch_execnz .LBB223_223
.LBB223_228:
	s_and_not1_saveexec_b32 s0, s0
.LBB223_229:
	s_delay_alu instid0(VALU_DEP_2) | instskip(NEXT) | instid1(VALU_DEP_2)
	v_add_f64 v[14:15], v[14:15], v[14:15]
	v_add_f64 v[16:17], v[16:17], v[16:17]
.LBB223_230:
	s_or_b32 exec_lo, exec_lo, s0
.LBB223_231:
	s_and_not1_saveexec_b32 s0, s7
	s_cbranch_execz .LBB223_237
; %bb.232:
	s_delay_alu instid0(VALU_DEP_1) | instskip(SKIP_1) | instid1(VALU_DEP_3)
	v_add_f64 v[6:7], v[16:17], -v[16:17]
	s_mov_b32 s1, exec_lo
	v_cmpx_lt_i64_e32 -1, v[14:15]
	s_xor_b32 s1, exec_lo, s1
; %bb.233:
	s_delay_alu instid0(VALU_DEP_2) | instskip(NEXT) | instid1(VALU_DEP_1)
	v_bfi_b32 v7, 0x7fffffff, v7, v17
	v_dual_mov_b32 v17, v7 :: v_dual_mov_b32 v16, v6
                                        ; implicit-def: $vgpr6_vgpr7
; %bb.234:
	s_and_not1_saveexec_b32 s1, s1
; %bb.235:
	s_delay_alu instid0(VALU_DEP_1) | instskip(SKIP_1) | instid1(VALU_DEP_2)
	v_bfi_b32 v15, 0x7fffffff, v15, v17
	v_and_b32_e32 v7, 0x7fffffff, v7
	v_dual_mov_b32 v17, v15 :: v_dual_mov_b32 v16, v14
	s_delay_alu instid0(VALU_DEP_2)
	v_dual_mov_b32 v15, v7 :: v_dual_mov_b32 v14, v6
; %bb.236:
	s_or_b32 exec_lo, exec_lo, s1
.LBB223_237:
	s_delay_alu instid0(SALU_CYCLE_1)
	s_or_b32 exec_lo, exec_lo, s0
.LBB223_238:
	s_and_not1_saveexec_b32 s0, s6
; %bb.239:
	s_delay_alu instid0(VALU_DEP_1) | instskip(NEXT) | instid1(VALU_DEP_1)
	v_add_f64 v[6:7], v[16:17], -v[16:17]
	v_div_scale_f64 v[10:11], vcc_lo, v[6:7], v[6:7], v[6:7]
	s_delay_alu instid0(VALU_DEP_1) | instskip(SKIP_2) | instid1(VALU_DEP_1)
	v_rcp_f64_e32 v[16:17], v[10:11]
	s_waitcnt_depctr 0xfff
	v_fma_f64 v[24:25], -v[10:11], v[16:17], 1.0
	v_fma_f64 v[16:17], v[16:17], v[24:25], v[16:17]
	s_delay_alu instid0(VALU_DEP_1) | instskip(NEXT) | instid1(VALU_DEP_1)
	v_fma_f64 v[24:25], -v[10:11], v[16:17], 1.0
	v_fma_f64 v[16:17], v[16:17], v[24:25], v[16:17]
	s_delay_alu instid0(VALU_DEP_1) | instskip(NEXT) | instid1(VALU_DEP_1)
	v_mul_f64 v[24:25], v[10:11], v[16:17]
	v_fma_f64 v[10:11], -v[10:11], v[24:25], v[10:11]
	s_delay_alu instid0(VALU_DEP_1) | instskip(NEXT) | instid1(VALU_DEP_1)
	v_div_fmas_f64 v[10:11], v[10:11], v[16:17], v[24:25]
	v_div_fixup_f64 v[16:17], v[10:11], v[6:7], v[6:7]
; %bb.240:
	s_or_b32 exec_lo, exec_lo, s0
	v_dual_mov_b32 v25, v15 :: v_dual_mov_b32 v24, v14
.LBB223_241:
	s_or_b32 exec_lo, exec_lo, s3
.LBB223_242:
	s_delay_alu instid0(SALU_CYCLE_1)
	s_or_b32 exec_lo, exec_lo, s2
	v_dual_mov_b32 v6, v12 :: v_dual_mov_b32 v7, v13
	v_add_co_u32 v12, s0, s4, v23
	v_dual_mov_b32 v10, v2 :: v_dual_mov_b32 v11, v3
	v_add_co_ci_u32_e64 v13, null, s5, 0, s0
	v_dual_mov_b32 v2, v18 :: v_dual_mov_b32 v3, v19
	s_or_b32 s8, s8, exec_lo
	s_clause 0x3
	global_store_b128 v20, v[8:11], s[4:5]
	global_store_b128 v21, v[4:7], s[4:5]
	;; [unrolled: 1-line block ×3, first 2 shown]
	global_store_b64 v23, v[24:25], s[4:5]
	s_or_b32 exec_lo, exec_lo, s9
	s_and_saveexec_b32 s0, s8
	s_cbranch_execnz .LBB223_374
.LBB223_243:
	s_nop 0
	s_sendmsg sendmsg(MSG_DEALLOC_VGPRS)
	s_endpgm
.LBB223_244:
	s_and_not1_saveexec_b32 s3, s3
	s_cbranch_execz .LBB223_103
.LBB223_245:
	v_add_f64 v[0:1], v[4:5], -v[0:1]
	s_delay_alu instid0(VALU_DEP_1) | instskip(NEXT) | instid1(VALU_DEP_1)
	v_mul_f64 v[0:1], v[0:1], 0.5
	v_cmp_gt_f64_e32 vcc_lo, 0x10000000, v[0:1]
	v_cndmask_b32_e64 v4, 0, 1, vcc_lo
	s_delay_alu instid0(VALU_DEP_1) | instskip(NEXT) | instid1(VALU_DEP_1)
	v_lshlrev_b32_e32 v4, 8, v4
	v_ldexp_f64 v[0:1], v[0:1], v4
	s_delay_alu instid0(VALU_DEP_1) | instskip(SKIP_3) | instid1(VALU_DEP_1)
	v_rsq_f64_e32 v[4:5], v[0:1]
	s_waitcnt_depctr 0xfff
	v_mul_f64 v[6:7], v[0:1], v[4:5]
	v_mul_f64 v[4:5], v[4:5], 0.5
	v_fma_f64 v[10:11], -v[4:5], v[6:7], 0.5
	s_delay_alu instid0(VALU_DEP_1) | instskip(SKIP_1) | instid1(VALU_DEP_2)
	v_fma_f64 v[6:7], v[6:7], v[10:11], v[6:7]
	v_fma_f64 v[4:5], v[4:5], v[10:11], v[4:5]
	v_fma_f64 v[10:11], -v[6:7], v[6:7], v[0:1]
	s_delay_alu instid0(VALU_DEP_1) | instskip(NEXT) | instid1(VALU_DEP_1)
	v_fma_f64 v[6:7], v[10:11], v[4:5], v[6:7]
	v_fma_f64 v[10:11], -v[6:7], v[6:7], v[0:1]
	s_delay_alu instid0(VALU_DEP_1) | instskip(SKIP_3) | instid1(VALU_DEP_3)
	v_fma_f64 v[4:5], v[10:11], v[4:5], v[6:7]
	v_cndmask_b32_e64 v6, 0, 0xffffff80, vcc_lo
	v_cmp_class_f64_e64 vcc_lo, v[0:1], 0x260
	v_and_b32_e32 v7, 0x7fffffff, v3
	v_ldexp_f64 v[4:5], v[4:5], v6
	s_delay_alu instid0(VALU_DEP_1) | instskip(NEXT) | instid1(VALU_DEP_1)
	v_dual_cndmask_b32 v5, v5, v1 :: v_dual_cndmask_b32 v4, v4, v0
	v_add_f64 v[0:1], v[4:5], v[4:5]
	v_bfi_b32 v5, 0x7fffffff, v5, v3
	v_mov_b32_e32 v6, v2
	s_delay_alu instid0(VALU_DEP_1) | instskip(SKIP_1) | instid1(VALU_DEP_2)
	v_div_scale_f64 v[10:11], null, v[0:1], v[0:1], v[6:7]
	v_div_scale_f64 v[6:7], vcc_lo, v[6:7], v[0:1], v[6:7]
	v_rcp_f64_e32 v[12:13], v[10:11]
	s_waitcnt_depctr 0xfff
	v_fma_f64 v[14:15], -v[10:11], v[12:13], 1.0
	s_delay_alu instid0(VALU_DEP_1) | instskip(NEXT) | instid1(VALU_DEP_1)
	v_fma_f64 v[12:13], v[12:13], v[14:15], v[12:13]
	v_fma_f64 v[14:15], -v[10:11], v[12:13], 1.0
	s_delay_alu instid0(VALU_DEP_1) | instskip(NEXT) | instid1(VALU_DEP_1)
	v_fma_f64 v[12:13], v[12:13], v[14:15], v[12:13]
	v_mul_f64 v[14:15], v[6:7], v[12:13]
	s_delay_alu instid0(VALU_DEP_1) | instskip(NEXT) | instid1(VALU_DEP_1)
	v_fma_f64 v[6:7], -v[10:11], v[14:15], v[6:7]
	v_div_fmas_f64 v[6:7], v[6:7], v[12:13], v[14:15]
	s_delay_alu instid0(VALU_DEP_1) | instskip(SKIP_3) | instid1(SALU_CYCLE_1)
	v_div_fixup_f64 v[0:1], v[6:7], v[0:1], |v[2:3]|
	v_dual_mov_b32 v2, v4 :: v_dual_mov_b32 v3, v5
	s_or_b32 exec_lo, exec_lo, s3
	s_and_saveexec_b32 s3, s2
	s_xor_b32 s2, exec_lo, s3
	s_cbranch_execnz .LBB223_104
.LBB223_246:
	s_and_not1_saveexec_b32 s2, s2
.LBB223_247:
	s_delay_alu instid0(VALU_DEP_2) | instskip(NEXT) | instid1(VALU_DEP_2)
	v_add_f64 v[0:1], v[0:1], v[0:1]
	v_add_f64 v[2:3], v[2:3], v[2:3]
.LBB223_248:
	s_or_b32 exec_lo, exec_lo, s2
.LBB223_249:
	s_and_not1_saveexec_b32 s2, s33
	s_cbranch_execz .LBB223_255
; %bb.250:
	s_delay_alu instid0(VALU_DEP_1) | instskip(SKIP_1) | instid1(VALU_DEP_3)
	v_add_f64 v[4:5], v[2:3], -v[2:3]
	s_mov_b32 s3, exec_lo
	v_cmpx_lt_i64_e32 -1, v[0:1]
	s_xor_b32 s3, exec_lo, s3
; %bb.251:
	s_delay_alu instid0(VALU_DEP_2) | instskip(NEXT) | instid1(VALU_DEP_1)
	v_bfi_b32 v5, 0x7fffffff, v5, v3
	v_dual_mov_b32 v2, v4 :: v_dual_mov_b32 v3, v5
                                        ; implicit-def: $vgpr4_vgpr5
; %bb.252:
	s_and_not1_saveexec_b32 s3, s3
; %bb.253:
	s_delay_alu instid0(VALU_DEP_1) | instskip(SKIP_1) | instid1(VALU_DEP_2)
	v_bfi_b32 v1, 0x7fffffff, v1, v3
	v_and_b32_e32 v5, 0x7fffffff, v5
	v_dual_mov_b32 v3, v1 :: v_dual_mov_b32 v2, v0
	s_delay_alu instid0(VALU_DEP_2)
	v_dual_mov_b32 v0, v4 :: v_dual_mov_b32 v1, v5
; %bb.254:
	s_or_b32 exec_lo, exec_lo, s3
.LBB223_255:
	s_delay_alu instid0(SALU_CYCLE_1)
	s_or_b32 exec_lo, exec_lo, s2
.LBB223_256:
	s_and_not1_saveexec_b32 s2, s31
; %bb.257:
	s_delay_alu instid0(VALU_DEP_1) | instskip(NEXT) | instid1(VALU_DEP_1)
	v_add_f64 v[2:3], v[2:3], -v[2:3]
	v_div_scale_f64 v[4:5], vcc_lo, v[2:3], v[2:3], v[2:3]
	s_delay_alu instid0(VALU_DEP_1) | instskip(SKIP_2) | instid1(VALU_DEP_1)
	v_rcp_f64_e32 v[6:7], v[4:5]
	s_waitcnt_depctr 0xfff
	v_fma_f64 v[10:11], -v[4:5], v[6:7], 1.0
	v_fma_f64 v[6:7], v[6:7], v[10:11], v[6:7]
	s_delay_alu instid0(VALU_DEP_1) | instskip(NEXT) | instid1(VALU_DEP_1)
	v_fma_f64 v[10:11], -v[4:5], v[6:7], 1.0
	v_fma_f64 v[6:7], v[6:7], v[10:11], v[6:7]
	s_delay_alu instid0(VALU_DEP_1) | instskip(NEXT) | instid1(VALU_DEP_1)
	v_mul_f64 v[10:11], v[4:5], v[6:7]
	v_fma_f64 v[4:5], -v[4:5], v[10:11], v[4:5]
	s_delay_alu instid0(VALU_DEP_1) | instskip(NEXT) | instid1(VALU_DEP_1)
	v_div_fmas_f64 v[4:5], v[4:5], v[6:7], v[10:11]
	v_div_fixup_f64 v[2:3], v[4:5], v[2:3], v[2:3]
; %bb.258:
	s_or_b32 exec_lo, exec_lo, s2
	v_dual_mov_b32 v5, v1 :: v_dual_mov_b32 v4, v0
.LBB223_259:
	s_or_b32 exec_lo, exec_lo, s21
.LBB223_260:
	s_delay_alu instid0(SALU_CYCLE_1) | instskip(NEXT) | instid1(VALU_DEP_2)
	s_or_b32 exec_lo, exec_lo, s20
	v_dual_mov_b32 v6, v2 :: v_dual_mov_b32 v7, v3
	v_add_nc_u32_e32 v9, 0x80, v9
	global_store_b128 v8, v[4:7], s[4:5]
	s_or_b32 exec_lo, exec_lo, s30
	s_delay_alu instid0(SALU_CYCLE_1)
	s_mov_b32 s30, exec_lo
	v_cmpx_gt_i32_e64 s27, v9
	s_cbranch_execnz .LBB223_15
.LBB223_261:
	s_or_b32 exec_lo, exec_lo, s30
	s_delay_alu instid0(SALU_CYCLE_1)
	s_mov_b32 s30, exec_lo
	v_cmpx_gt_i32_e64 s27, v9
	s_cbranch_execnz .LBB223_279
	s_branch .LBB223_325
.LBB223_262:
	s_and_not1_saveexec_b32 s3, s3
	s_cbranch_execz .LBB223_126
.LBB223_263:
	v_add_f64 v[0:1], v[4:5], -v[0:1]
	s_delay_alu instid0(VALU_DEP_1) | instskip(NEXT) | instid1(VALU_DEP_1)
	v_mul_f64 v[0:1], v[0:1], 0.5
	v_cmp_gt_f64_e32 vcc_lo, 0x10000000, v[0:1]
	v_cndmask_b32_e64 v4, 0, 1, vcc_lo
	s_delay_alu instid0(VALU_DEP_1) | instskip(NEXT) | instid1(VALU_DEP_1)
	v_lshlrev_b32_e32 v4, 8, v4
	v_ldexp_f64 v[0:1], v[0:1], v4
	s_delay_alu instid0(VALU_DEP_1) | instskip(SKIP_3) | instid1(VALU_DEP_1)
	v_rsq_f64_e32 v[4:5], v[0:1]
	s_waitcnt_depctr 0xfff
	v_mul_f64 v[6:7], v[0:1], v[4:5]
	v_mul_f64 v[4:5], v[4:5], 0.5
	v_fma_f64 v[10:11], -v[4:5], v[6:7], 0.5
	s_delay_alu instid0(VALU_DEP_1) | instskip(SKIP_1) | instid1(VALU_DEP_2)
	v_fma_f64 v[6:7], v[6:7], v[10:11], v[6:7]
	v_fma_f64 v[4:5], v[4:5], v[10:11], v[4:5]
	v_fma_f64 v[10:11], -v[6:7], v[6:7], v[0:1]
	s_delay_alu instid0(VALU_DEP_1) | instskip(NEXT) | instid1(VALU_DEP_1)
	v_fma_f64 v[6:7], v[10:11], v[4:5], v[6:7]
	v_fma_f64 v[10:11], -v[6:7], v[6:7], v[0:1]
	s_delay_alu instid0(VALU_DEP_1) | instskip(SKIP_3) | instid1(VALU_DEP_3)
	v_fma_f64 v[4:5], v[10:11], v[4:5], v[6:7]
	v_cndmask_b32_e64 v6, 0, 0xffffff80, vcc_lo
	v_cmp_class_f64_e64 vcc_lo, v[0:1], 0x260
	v_and_b32_e32 v7, 0x7fffffff, v3
	v_ldexp_f64 v[4:5], v[4:5], v6
	s_delay_alu instid0(VALU_DEP_1) | instskip(NEXT) | instid1(VALU_DEP_1)
	v_dual_cndmask_b32 v5, v5, v1 :: v_dual_cndmask_b32 v4, v4, v0
	v_add_f64 v[0:1], v[4:5], v[4:5]
	v_bfi_b32 v5, 0x7fffffff, v5, v3
	v_mov_b32_e32 v6, v2
	s_delay_alu instid0(VALU_DEP_1) | instskip(SKIP_1) | instid1(VALU_DEP_2)
	v_div_scale_f64 v[10:11], null, v[0:1], v[0:1], v[6:7]
	v_div_scale_f64 v[6:7], vcc_lo, v[6:7], v[0:1], v[6:7]
	v_rcp_f64_e32 v[12:13], v[10:11]
	s_waitcnt_depctr 0xfff
	v_fma_f64 v[14:15], -v[10:11], v[12:13], 1.0
	s_delay_alu instid0(VALU_DEP_1) | instskip(NEXT) | instid1(VALU_DEP_1)
	v_fma_f64 v[12:13], v[12:13], v[14:15], v[12:13]
	v_fma_f64 v[14:15], -v[10:11], v[12:13], 1.0
	s_delay_alu instid0(VALU_DEP_1) | instskip(NEXT) | instid1(VALU_DEP_1)
	v_fma_f64 v[12:13], v[12:13], v[14:15], v[12:13]
	v_mul_f64 v[14:15], v[6:7], v[12:13]
	s_delay_alu instid0(VALU_DEP_1) | instskip(NEXT) | instid1(VALU_DEP_1)
	v_fma_f64 v[6:7], -v[10:11], v[14:15], v[6:7]
	v_div_fmas_f64 v[6:7], v[6:7], v[12:13], v[14:15]
	s_delay_alu instid0(VALU_DEP_1) | instskip(SKIP_3) | instid1(SALU_CYCLE_1)
	v_div_fixup_f64 v[0:1], v[6:7], v[0:1], |v[2:3]|
	v_dual_mov_b32 v2, v4 :: v_dual_mov_b32 v3, v5
	s_or_b32 exec_lo, exec_lo, s3
	s_and_saveexec_b32 s3, s2
	s_xor_b32 s2, exec_lo, s3
	s_cbranch_execnz .LBB223_127
.LBB223_264:
	s_and_not1_saveexec_b32 s2, s2
.LBB223_265:
	s_delay_alu instid0(VALU_DEP_2) | instskip(NEXT) | instid1(VALU_DEP_2)
	v_add_f64 v[0:1], v[0:1], v[0:1]
	v_add_f64 v[2:3], v[2:3], v[2:3]
.LBB223_266:
	s_or_b32 exec_lo, exec_lo, s2
.LBB223_267:
	s_and_not1_saveexec_b32 s2, s33
	s_cbranch_execz .LBB223_273
; %bb.268:
	s_delay_alu instid0(VALU_DEP_1) | instskip(SKIP_1) | instid1(VALU_DEP_3)
	v_add_f64 v[4:5], v[2:3], -v[2:3]
	s_mov_b32 s3, exec_lo
	v_cmpx_lt_i64_e32 -1, v[0:1]
	s_xor_b32 s3, exec_lo, s3
; %bb.269:
	s_delay_alu instid0(VALU_DEP_2) | instskip(NEXT) | instid1(VALU_DEP_1)
	v_bfi_b32 v5, 0x7fffffff, v5, v3
	v_dual_mov_b32 v2, v4 :: v_dual_mov_b32 v3, v5
                                        ; implicit-def: $vgpr4_vgpr5
; %bb.270:
	s_and_not1_saveexec_b32 s3, s3
; %bb.271:
	s_delay_alu instid0(VALU_DEP_1) | instskip(SKIP_1) | instid1(VALU_DEP_2)
	v_bfi_b32 v1, 0x7fffffff, v1, v3
	v_and_b32_e32 v5, 0x7fffffff, v5
	v_dual_mov_b32 v3, v1 :: v_dual_mov_b32 v2, v0
	s_delay_alu instid0(VALU_DEP_2)
	v_dual_mov_b32 v0, v4 :: v_dual_mov_b32 v1, v5
; %bb.272:
	s_or_b32 exec_lo, exec_lo, s3
.LBB223_273:
	s_delay_alu instid0(SALU_CYCLE_1)
	s_or_b32 exec_lo, exec_lo, s2
.LBB223_274:
	s_and_not1_saveexec_b32 s2, s31
; %bb.275:
	s_delay_alu instid0(VALU_DEP_1) | instskip(NEXT) | instid1(VALU_DEP_1)
	v_add_f64 v[2:3], v[2:3], -v[2:3]
	v_div_scale_f64 v[4:5], vcc_lo, v[2:3], v[2:3], v[2:3]
	s_delay_alu instid0(VALU_DEP_1) | instskip(SKIP_2) | instid1(VALU_DEP_1)
	v_rcp_f64_e32 v[6:7], v[4:5]
	s_waitcnt_depctr 0xfff
	v_fma_f64 v[10:11], -v[4:5], v[6:7], 1.0
	v_fma_f64 v[6:7], v[6:7], v[10:11], v[6:7]
	s_delay_alu instid0(VALU_DEP_1) | instskip(NEXT) | instid1(VALU_DEP_1)
	v_fma_f64 v[10:11], -v[4:5], v[6:7], 1.0
	v_fma_f64 v[6:7], v[6:7], v[10:11], v[6:7]
	s_delay_alu instid0(VALU_DEP_1) | instskip(NEXT) | instid1(VALU_DEP_1)
	v_mul_f64 v[10:11], v[4:5], v[6:7]
	v_fma_f64 v[4:5], -v[4:5], v[10:11], v[4:5]
	s_delay_alu instid0(VALU_DEP_1) | instskip(NEXT) | instid1(VALU_DEP_1)
	v_div_fmas_f64 v[4:5], v[4:5], v[6:7], v[10:11]
	v_div_fixup_f64 v[2:3], v[4:5], v[2:3], v[2:3]
; %bb.276:
	s_or_b32 exec_lo, exec_lo, s2
	v_dual_mov_b32 v5, v1 :: v_dual_mov_b32 v4, v0
.LBB223_277:
	s_or_b32 exec_lo, exec_lo, s21
.LBB223_278:
	s_delay_alu instid0(SALU_CYCLE_1) | instskip(NEXT) | instid1(VALU_DEP_2)
	s_or_b32 exec_lo, exec_lo, s20
	v_dual_mov_b32 v6, v2 :: v_dual_mov_b32 v7, v3
	v_add_nc_u32_e32 v9, 0x80, v9
	global_store_b128 v8, v[4:7], s[4:5]
	s_or_b32 exec_lo, exec_lo, s30
	s_delay_alu instid0(SALU_CYCLE_1)
	s_mov_b32 s30, exec_lo
	v_cmpx_gt_i32_e64 s27, v9
	s_cbranch_execz .LBB223_325
.LBB223_279:
	s_and_not1_b32 vcc_lo, exec_lo, s24
	s_cbranch_vccnz .LBB223_284
; %bb.280:
	v_mov_b32_e32 v8, 0
	v_mov_b32_e32 v0, 0
	s_and_not1_b32 vcc_lo, exec_lo, s29
	s_mov_b32 s31, 0
	s_cbranch_vccnz .LBB223_289
; %bb.281:
	v_mov_b32_e32 v8, 0
	s_add_i32 s34, s28, 1
	s_cmp_eq_u32 s23, 2
	s_mov_b32 s33, 0
	s_cbranch_scc1 .LBB223_285
; %bb.282:
	v_dual_mov_b32 v0, 0 :: v_dual_mov_b32 v1, v9
	v_mov_b32_e32 v8, 0
	s_and_b32 s33, s34, 28
	s_mov_b32 s35, 0
	s_mov_b64 s[2:3], s[18:19]
	s_mov_b64 s[20:21], s[0:1]
.LBB223_283:                            ; =>This Inner Loop Header: Depth=1
	s_clause 0x1
	s_load_b256 s[36:43], s[20:21], 0x4
	s_load_b128 s[52:55], s[20:21], 0x24
	s_load_b256 s[44:51], s[2:3], 0x0
	s_add_u32 s20, s20, 48
	s_addc_u32 s21, s21, 0
	s_add_i32 s35, s35, 4
	s_add_u32 s2, s2, 32
	s_addc_u32 s3, s3, 0
	s_cmp_eq_u32 s33, s35
	s_waitcnt lgkmcnt(0)
	v_mul_hi_u32 v2, s37, v1
	s_delay_alu instid0(VALU_DEP_1) | instskip(NEXT) | instid1(VALU_DEP_1)
	v_add_nc_u32_e32 v2, v1, v2
	v_lshrrev_b32_e32 v2, s38, v2
	s_delay_alu instid0(VALU_DEP_1) | instskip(SKIP_1) | instid1(VALU_DEP_2)
	v_mul_hi_u32 v3, s40, v2
	v_mul_lo_u32 v5, v2, s36
	v_add_nc_u32_e32 v3, v2, v3
	s_delay_alu instid0(VALU_DEP_2) | instskip(NEXT) | instid1(VALU_DEP_2)
	v_sub_nc_u32_e32 v1, v1, v5
	v_lshrrev_b32_e32 v3, s41, v3
	s_delay_alu instid0(VALU_DEP_2) | instskip(SKIP_1) | instid1(VALU_DEP_3)
	v_mul_lo_u32 v5, v1, s44
	v_mul_lo_u32 v7, v1, s45
	v_mul_hi_u32 v4, s43, v3
	s_delay_alu instid0(VALU_DEP_1) | instskip(NEXT) | instid1(VALU_DEP_1)
	v_add_nc_u32_e32 v4, v3, v4
	v_lshrrev_b32_e32 v4, s52, v4
	s_delay_alu instid0(VALU_DEP_1) | instskip(SKIP_1) | instid1(VALU_DEP_2)
	v_mul_hi_u32 v6, s54, v4
	v_mul_lo_u32 v10, v4, s42
	v_add_nc_u32_e32 v1, v4, v6
	v_mul_lo_u32 v6, v3, s39
	s_delay_alu instid0(VALU_DEP_3) | instskip(NEXT) | instid1(VALU_DEP_3)
	v_sub_nc_u32_e32 v3, v3, v10
	v_lshrrev_b32_e32 v1, s55, v1
	s_delay_alu instid0(VALU_DEP_2) | instskip(SKIP_2) | instid1(VALU_DEP_4)
	v_mul_lo_u32 v10, v3, s48
	v_mul_lo_u32 v3, v3, s49
	v_sub_nc_u32_e32 v2, v2, v6
	v_mul_lo_u32 v11, v1, s53
	s_delay_alu instid0(VALU_DEP_2) | instskip(SKIP_1) | instid1(VALU_DEP_3)
	v_mul_lo_u32 v6, v2, s46
	v_mul_lo_u32 v2, v2, s47
	v_sub_nc_u32_e32 v4, v4, v11
	s_delay_alu instid0(VALU_DEP_3) | instskip(NEXT) | instid1(VALU_DEP_2)
	v_add3_u32 v5, v5, v8, v6
	v_mul_lo_u32 v11, v4, s50
	v_mul_lo_u32 v4, v4, s51
	v_add3_u32 v0, v7, v0, v2
	s_delay_alu instid0(VALU_DEP_3) | instskip(NEXT) | instid1(VALU_DEP_2)
	v_add3_u32 v8, v10, v5, v11
	v_add3_u32 v0, v3, v0, v4
	s_cbranch_scc0 .LBB223_283
	s_branch .LBB223_286
.LBB223_284:
	s_mov_b32 s31, -1
                                        ; implicit-def: $vgpr8
                                        ; implicit-def: $vgpr0
	s_branch .LBB223_289
.LBB223_285:
	v_dual_mov_b32 v1, v9 :: v_dual_mov_b32 v0, 0
.LBB223_286:
	s_and_b32 s34, s34, 3
	s_delay_alu instid0(SALU_CYCLE_1)
	s_cmp_eq_u32 s34, 0
	s_cbranch_scc1 .LBB223_289
; %bb.287:
	s_lshl_b32 s2, s33, 3
	s_mul_i32 s20, s33, 12
	s_add_u32 s2, s2, s0
	s_addc_u32 s3, s1, 0
	s_add_u32 s2, s2, 0xc4
	s_addc_u32 s3, s3, 0
	;; [unrolled: 2-line block ×3, first 2 shown]
	.p2align	6
.LBB223_288:                            ; =>This Inner Loop Header: Depth=1
	s_clause 0x1
	s_load_b64 s[36:37], s[20:21], 0x4
	s_load_b32 s33, s[20:21], 0xc
	s_load_b64 s[38:39], s[2:3], 0x0
	s_add_u32 s20, s20, 12
	s_addc_u32 s21, s21, 0
	s_add_u32 s2, s2, 8
	s_addc_u32 s3, s3, 0
	s_add_i32 s34, s34, -1
	s_delay_alu instid0(SALU_CYCLE_1) | instskip(SKIP_2) | instid1(VALU_DEP_1)
	s_cmp_lg_u32 s34, 0
	s_waitcnt lgkmcnt(0)
	v_mul_hi_u32 v2, s37, v1
	v_add_nc_u32_e32 v2, v1, v2
	s_delay_alu instid0(VALU_DEP_1) | instskip(NEXT) | instid1(VALU_DEP_1)
	v_lshrrev_b32_e32 v5, s33, v2
	v_mul_lo_u32 v2, v5, s36
	s_delay_alu instid0(VALU_DEP_1) | instskip(NEXT) | instid1(VALU_DEP_1)
	v_sub_nc_u32_e32 v1, v1, v2
	v_mad_u64_u32 v[2:3], null, v1, s38, v[8:9]
	v_mad_u64_u32 v[3:4], null, v1, s39, v[0:1]
	s_delay_alu instid0(VALU_DEP_2) | instskip(NEXT) | instid1(VALU_DEP_2)
	v_dual_mov_b32 v1, v5 :: v_dual_mov_b32 v8, v2
	v_mov_b32_e32 v0, v3
	s_cbranch_scc1 .LBB223_288
.LBB223_289:
	s_and_not1_b32 vcc_lo, exec_lo, s31
	s_cbranch_vccnz .LBB223_292
; %bb.290:
	s_waitcnt lgkmcnt(0)
	v_mul_hi_u32 v0, s13, v9
	s_and_not1_b32 vcc_lo, exec_lo, s26
	s_delay_alu instid0(VALU_DEP_1) | instskip(NEXT) | instid1(VALU_DEP_1)
	v_add_nc_u32_e32 v0, v9, v0
	v_lshrrev_b32_e32 v1, s14, v0
	s_delay_alu instid0(VALU_DEP_1) | instskip(NEXT) | instid1(VALU_DEP_1)
	v_mul_lo_u32 v0, v1, s12
	v_sub_nc_u32_e32 v0, v9, v0
	s_delay_alu instid0(VALU_DEP_1)
	v_mul_lo_u32 v8, v0, s8
	v_mul_lo_u32 v0, v0, s9
	s_cbranch_vccnz .LBB223_292
; %bb.291:
	v_mul_hi_u32 v2, s16, v1
	s_delay_alu instid0(VALU_DEP_1) | instskip(NEXT) | instid1(VALU_DEP_1)
	v_add_nc_u32_e32 v2, v1, v2
	v_lshrrev_b32_e32 v2, s17, v2
	s_delay_alu instid0(VALU_DEP_1) | instskip(NEXT) | instid1(VALU_DEP_1)
	v_mul_lo_u32 v2, v2, s15
	v_sub_nc_u32_e32 v4, v1, v2
	s_delay_alu instid0(VALU_DEP_1) | instskip(NEXT) | instid1(VALU_DEP_1)
	v_mad_u64_u32 v[1:2], null, v4, s10, v[8:9]
	v_mad_u64_u32 v[2:3], null, v4, s11, v[0:1]
	v_mov_b32_e32 v8, v1
	s_delay_alu instid0(VALU_DEP_2)
	v_mov_b32_e32 v0, v2
.LBB223_292:
	s_waitcnt lgkmcnt(0)
	global_load_b128 v[0:3], v0, s[6:7]
	v_mov_b32_e32 v4, 0
	v_mov_b32_e32 v5, 0
	s_waitcnt vmcnt(0)
	v_cmp_neq_f64_e32 vcc_lo, 0, v[0:1]
	v_cmp_neq_f64_e64 s2, 0, v[2:3]
	s_delay_alu instid0(VALU_DEP_1) | instskip(NEXT) | instid1(SALU_CYCLE_1)
	s_or_b32 s2, vcc_lo, s2
	s_and_saveexec_b32 s20, s2
	s_cbranch_execz .LBB223_324
; %bb.293:
	s_mov_b32 s2, 0
	s_mov_b32 s3, 0x7ff00000
	v_mov_b32_e32 v4, s2
	v_mov_b32_e32 v5, s3
	s_mov_b32 s21, exec_lo
	v_cmpx_neq_f64_e64 0x7ff00000, |v[2:3]|
	s_cbranch_execz .LBB223_323
; %bb.294:
	s_mov_b32 s2, exec_lo
	v_cmpx_o_f64_e32 v[0:1], v[0:1]
	s_xor_b32 s31, exec_lo, s2
	s_cbranch_execz .LBB223_320
; %bb.295:
	s_mov_b32 s3, exec_lo
	v_cmpx_neq_f64_e64 0x7ff00000, |v[0:1]|
	s_xor_b32 s33, exec_lo, s3
	s_cbranch_execz .LBB223_313
; %bb.296:
	v_max_f64 v[4:5], |v[2:3]|, |v[2:3]|
	v_max_f64 v[6:7], |v[0:1]|, |v[0:1]|
	s_mov_b32 s2, 0x99fcef32
	s_mov_b32 s3, 0x7fda8279
                                        ; implicit-def: $sgpr34
	s_delay_alu instid0(VALU_DEP_1) | instskip(NEXT) | instid1(VALU_DEP_1)
	v_max_f64 v[4:5], v[6:7], v[4:5]
	v_cmp_nle_f64_e64 s2, s[2:3], v[4:5]
	s_delay_alu instid0(VALU_DEP_1) | instskip(NEXT) | instid1(SALU_CYCLE_1)
	s_and_saveexec_b32 s3, s2
	s_xor_b32 s3, exec_lo, s3
	s_cbranch_execz .LBB223_300
; %bb.297:
	v_cmp_ge_f64_e64 s34, 0x200000, |v[0:1]|
	v_cmp_ge_f64_e64 s35, 0x200000, |v[2:3]|
	s_delay_alu instid0(VALU_DEP_1)
	s_and_b32 s36, s34, s35
	s_mov_b32 s34, 0
	s_and_saveexec_b32 s35, s36
; %bb.298:
	v_mul_f64 v[0:1], v[0:1], 4.0
	v_mul_f64 v[2:3], v[2:3], 4.0
	s_mov_b32 s34, exec_lo
; %bb.299:
	s_or_b32 exec_lo, exec_lo, s35
	s_delay_alu instid0(SALU_CYCLE_1)
	s_and_b32 s34, s34, exec_lo
.LBB223_300:
	s_and_not1_saveexec_b32 s3, s3
; %bb.301:
	s_delay_alu instid0(VALU_DEP_2) | instskip(NEXT) | instid1(VALU_DEP_2)
	v_ldexp_f64 v[0:1], v[0:1], -2
	v_ldexp_f64 v[2:3], v[2:3], -2
	s_and_not1_b32 s34, s34, exec_lo
; %bb.302:
	s_or_b32 exec_lo, exec_lo, s3
	s_delay_alu instid0(VALU_DEP_1) | instskip(NEXT) | instid1(VALU_DEP_3)
	v_max_f64 v[4:5], |v[2:3]|, |v[2:3]|
	v_max_f64 v[6:7], |v[0:1]|, |v[0:1]|
	v_cmp_class_f64_e64 s35, v[0:1], 0x204
	v_cmp_class_f64_e64 s36, v[2:3], 0x204
	v_cmp_le_f64_e64 s3, 0, v[0:1]
	s_delay_alu instid0(VALU_DEP_4) | instskip(NEXT) | instid1(VALU_DEP_3)
	v_max_f64 v[4:5], v[6:7], v[4:5]
	s_or_b32 s35, s36, s35
	s_delay_alu instid0(VALU_DEP_1) | instskip(NEXT) | instid1(VALU_DEP_1)
	v_frexp_exp_i32_f64_e32 v14, v[4:5]
	v_sub_nc_u32_e32 v6, 0, v14
	s_delay_alu instid0(VALU_DEP_1) | instskip(SKIP_1) | instid1(VALU_DEP_2)
	v_ldexp_f64 v[4:5], |v[2:3]|, v6
	v_ldexp_f64 v[6:7], |v[0:1]|, v6
	v_mul_f64 v[4:5], v[4:5], v[4:5]
	s_delay_alu instid0(VALU_DEP_1) | instskip(NEXT) | instid1(VALU_DEP_1)
	v_fma_f64 v[4:5], v[6:7], v[6:7], v[4:5]
	v_rsq_f64_e32 v[6:7], v[4:5]
	v_cmp_eq_f64_e32 vcc_lo, 0, v[4:5]
	s_waitcnt_depctr 0xfff
	v_mul_f64 v[10:11], v[4:5], v[6:7]
	v_mul_f64 v[6:7], v[6:7], 0.5
	s_delay_alu instid0(VALU_DEP_1) | instskip(NEXT) | instid1(VALU_DEP_1)
	v_fma_f64 v[12:13], -v[6:7], v[10:11], 0.5
	v_fma_f64 v[10:11], v[10:11], v[12:13], v[10:11]
	v_fma_f64 v[6:7], v[6:7], v[12:13], v[6:7]
	s_delay_alu instid0(VALU_DEP_2) | instskip(NEXT) | instid1(VALU_DEP_1)
	v_fma_f64 v[12:13], -v[10:11], v[10:11], v[4:5]
	v_fma_f64 v[6:7], v[12:13], v[6:7], v[10:11]
	s_delay_alu instid0(VALU_DEP_1) | instskip(SKIP_1) | instid1(VALU_DEP_2)
	v_dual_cndmask_b32 v5, v7, v5 :: v_dual_cndmask_b32 v4, v6, v4
	v_cmp_o_f64_e32 vcc_lo, v[2:3], v[2:3]
	v_ldexp_f64 v[4:5], v[4:5], v14
	s_delay_alu instid0(VALU_DEP_1) | instskip(NEXT) | instid1(VALU_DEP_2)
	v_cndmask_b32_e32 v4, 0, v4, vcc_lo
	v_cndmask_b32_e32 v5, 0x7ff80000, v5, vcc_lo
	s_delay_alu instid0(VALU_DEP_2) | instskip(NEXT) | instid1(VALU_DEP_2)
	v_cndmask_b32_e64 v4, v4, 0, s35
	v_cndmask_b32_e64 v5, v5, 0x7ff00000, s35
	s_and_saveexec_b32 s35, s3
	s_delay_alu instid0(SALU_CYCLE_1)
	s_xor_b32 s3, exec_lo, s35
	s_cbranch_execz .LBB223_308
; %bb.303:
	s_delay_alu instid0(VALU_DEP_1) | instskip(NEXT) | instid1(VALU_DEP_1)
	v_add_f64 v[0:1], v[0:1], v[4:5]
	v_mul_f64 v[0:1], v[0:1], 0.5
	s_delay_alu instid0(VALU_DEP_1) | instskip(SKIP_1) | instid1(VALU_DEP_1)
	v_cmp_gt_f64_e32 vcc_lo, 0x10000000, v[0:1]
	v_cndmask_b32_e64 v4, 0, 1, vcc_lo
	v_lshlrev_b32_e32 v4, 8, v4
	s_delay_alu instid0(VALU_DEP_1) | instskip(NEXT) | instid1(VALU_DEP_1)
	v_ldexp_f64 v[0:1], v[0:1], v4
	v_rsq_f64_e32 v[4:5], v[0:1]
	s_waitcnt_depctr 0xfff
	v_mul_f64 v[6:7], v[0:1], v[4:5]
	v_mul_f64 v[4:5], v[4:5], 0.5
	s_delay_alu instid0(VALU_DEP_1) | instskip(NEXT) | instid1(VALU_DEP_1)
	v_fma_f64 v[10:11], -v[4:5], v[6:7], 0.5
	v_fma_f64 v[6:7], v[6:7], v[10:11], v[6:7]
	v_fma_f64 v[4:5], v[4:5], v[10:11], v[4:5]
	s_delay_alu instid0(VALU_DEP_2) | instskip(NEXT) | instid1(VALU_DEP_1)
	v_fma_f64 v[10:11], -v[6:7], v[6:7], v[0:1]
	v_fma_f64 v[6:7], v[10:11], v[4:5], v[6:7]
	s_delay_alu instid0(VALU_DEP_1) | instskip(NEXT) | instid1(VALU_DEP_1)
	v_fma_f64 v[10:11], -v[6:7], v[6:7], v[0:1]
	v_fma_f64 v[4:5], v[10:11], v[4:5], v[6:7]
	v_cndmask_b32_e64 v6, 0, 0xffffff80, vcc_lo
	v_cmp_class_f64_e64 vcc_lo, v[0:1], 0x260
	s_delay_alu instid0(VALU_DEP_2) | instskip(NEXT) | instid1(VALU_DEP_1)
	v_ldexp_f64 v[4:5], v[4:5], v6
	v_dual_cndmask_b32 v1, v5, v1 :: v_dual_cndmask_b32 v0, v4, v0
	s_delay_alu instid0(VALU_DEP_1) | instskip(NEXT) | instid1(VALU_DEP_1)
	v_add_f64 v[4:5], v[0:1], v[0:1]
	v_div_scale_f64 v[6:7], null, v[4:5], v[4:5], v[2:3]
	s_delay_alu instid0(VALU_DEP_1) | instskip(SKIP_2) | instid1(VALU_DEP_1)
	v_rcp_f64_e32 v[10:11], v[6:7]
	s_waitcnt_depctr 0xfff
	v_fma_f64 v[12:13], -v[6:7], v[10:11], 1.0
	v_fma_f64 v[10:11], v[10:11], v[12:13], v[10:11]
	s_delay_alu instid0(VALU_DEP_1) | instskip(NEXT) | instid1(VALU_DEP_1)
	v_fma_f64 v[12:13], -v[6:7], v[10:11], 1.0
	v_fma_f64 v[10:11], v[10:11], v[12:13], v[10:11]
	v_div_scale_f64 v[12:13], vcc_lo, v[2:3], v[4:5], v[2:3]
	s_delay_alu instid0(VALU_DEP_1) | instskip(NEXT) | instid1(VALU_DEP_1)
	v_mul_f64 v[14:15], v[12:13], v[10:11]
	v_fma_f64 v[6:7], -v[6:7], v[14:15], v[12:13]
	s_delay_alu instid0(VALU_DEP_1) | instskip(NEXT) | instid1(VALU_DEP_1)
	v_div_fmas_f64 v[6:7], v[6:7], v[10:11], v[14:15]
	v_div_fixup_f64 v[2:3], v[6:7], v[4:5], v[2:3]
                                        ; implicit-def: $vgpr4_vgpr5
	s_and_not1_saveexec_b32 s3, s3
	s_cbranch_execnz .LBB223_309
.LBB223_304:
	s_or_b32 exec_lo, exec_lo, s3
	s_and_saveexec_b32 s3, s2
	s_delay_alu instid0(SALU_CYCLE_1)
	s_xor_b32 s2, exec_lo, s3
	s_cbranch_execz .LBB223_310
.LBB223_305:
	s_and_saveexec_b32 s3, s34
; %bb.306:
	s_delay_alu instid0(VALU_DEP_2) | instskip(NEXT) | instid1(VALU_DEP_2)
	v_mul_f64 v[0:1], v[0:1], 0.5
	v_mul_f64 v[2:3], v[2:3], 0.5
; %bb.307:
	s_or_b32 exec_lo, exec_lo, s3
	s_and_not1_saveexec_b32 s2, s2
	s_cbranch_execnz .LBB223_311
	s_branch .LBB223_312
.LBB223_308:
	s_and_not1_saveexec_b32 s3, s3
	s_cbranch_execz .LBB223_304
.LBB223_309:
	v_add_f64 v[0:1], v[4:5], -v[0:1]
	s_delay_alu instid0(VALU_DEP_1) | instskip(NEXT) | instid1(VALU_DEP_1)
	v_mul_f64 v[0:1], v[0:1], 0.5
	v_cmp_gt_f64_e32 vcc_lo, 0x10000000, v[0:1]
	v_cndmask_b32_e64 v4, 0, 1, vcc_lo
	s_delay_alu instid0(VALU_DEP_1) | instskip(NEXT) | instid1(VALU_DEP_1)
	v_lshlrev_b32_e32 v4, 8, v4
	v_ldexp_f64 v[0:1], v[0:1], v4
	s_delay_alu instid0(VALU_DEP_1) | instskip(SKIP_3) | instid1(VALU_DEP_1)
	v_rsq_f64_e32 v[4:5], v[0:1]
	s_waitcnt_depctr 0xfff
	v_mul_f64 v[6:7], v[0:1], v[4:5]
	v_mul_f64 v[4:5], v[4:5], 0.5
	v_fma_f64 v[10:11], -v[4:5], v[6:7], 0.5
	s_delay_alu instid0(VALU_DEP_1) | instskip(SKIP_1) | instid1(VALU_DEP_2)
	v_fma_f64 v[6:7], v[6:7], v[10:11], v[6:7]
	v_fma_f64 v[4:5], v[4:5], v[10:11], v[4:5]
	v_fma_f64 v[10:11], -v[6:7], v[6:7], v[0:1]
	s_delay_alu instid0(VALU_DEP_1) | instskip(NEXT) | instid1(VALU_DEP_1)
	v_fma_f64 v[6:7], v[10:11], v[4:5], v[6:7]
	v_fma_f64 v[10:11], -v[6:7], v[6:7], v[0:1]
	s_delay_alu instid0(VALU_DEP_1) | instskip(SKIP_3) | instid1(VALU_DEP_3)
	v_fma_f64 v[4:5], v[10:11], v[4:5], v[6:7]
	v_cndmask_b32_e64 v6, 0, 0xffffff80, vcc_lo
	v_cmp_class_f64_e64 vcc_lo, v[0:1], 0x260
	v_and_b32_e32 v7, 0x7fffffff, v3
	v_ldexp_f64 v[4:5], v[4:5], v6
	s_delay_alu instid0(VALU_DEP_1) | instskip(NEXT) | instid1(VALU_DEP_1)
	v_dual_cndmask_b32 v5, v5, v1 :: v_dual_cndmask_b32 v4, v4, v0
	v_add_f64 v[0:1], v[4:5], v[4:5]
	v_bfi_b32 v5, 0x7fffffff, v5, v3
	v_mov_b32_e32 v6, v2
	s_delay_alu instid0(VALU_DEP_1) | instskip(SKIP_1) | instid1(VALU_DEP_2)
	v_div_scale_f64 v[10:11], null, v[0:1], v[0:1], v[6:7]
	v_div_scale_f64 v[6:7], vcc_lo, v[6:7], v[0:1], v[6:7]
	v_rcp_f64_e32 v[12:13], v[10:11]
	s_waitcnt_depctr 0xfff
	v_fma_f64 v[14:15], -v[10:11], v[12:13], 1.0
	s_delay_alu instid0(VALU_DEP_1) | instskip(NEXT) | instid1(VALU_DEP_1)
	v_fma_f64 v[12:13], v[12:13], v[14:15], v[12:13]
	v_fma_f64 v[14:15], -v[10:11], v[12:13], 1.0
	s_delay_alu instid0(VALU_DEP_1) | instskip(NEXT) | instid1(VALU_DEP_1)
	v_fma_f64 v[12:13], v[12:13], v[14:15], v[12:13]
	v_mul_f64 v[14:15], v[6:7], v[12:13]
	s_delay_alu instid0(VALU_DEP_1) | instskip(NEXT) | instid1(VALU_DEP_1)
	v_fma_f64 v[6:7], -v[10:11], v[14:15], v[6:7]
	v_div_fmas_f64 v[6:7], v[6:7], v[12:13], v[14:15]
	s_delay_alu instid0(VALU_DEP_1) | instskip(SKIP_3) | instid1(SALU_CYCLE_1)
	v_div_fixup_f64 v[0:1], v[6:7], v[0:1], |v[2:3]|
	v_dual_mov_b32 v2, v4 :: v_dual_mov_b32 v3, v5
	s_or_b32 exec_lo, exec_lo, s3
	s_and_saveexec_b32 s3, s2
	s_xor_b32 s2, exec_lo, s3
	s_cbranch_execnz .LBB223_305
.LBB223_310:
	s_and_not1_saveexec_b32 s2, s2
.LBB223_311:
	s_delay_alu instid0(VALU_DEP_2) | instskip(NEXT) | instid1(VALU_DEP_2)
	v_add_f64 v[0:1], v[0:1], v[0:1]
	v_add_f64 v[2:3], v[2:3], v[2:3]
.LBB223_312:
	s_or_b32 exec_lo, exec_lo, s2
.LBB223_313:
	s_and_not1_saveexec_b32 s2, s33
	s_cbranch_execz .LBB223_319
; %bb.314:
	s_delay_alu instid0(VALU_DEP_1) | instskip(SKIP_1) | instid1(VALU_DEP_3)
	v_add_f64 v[4:5], v[2:3], -v[2:3]
	s_mov_b32 s3, exec_lo
	v_cmpx_lt_i64_e32 -1, v[0:1]
	s_xor_b32 s3, exec_lo, s3
; %bb.315:
	s_delay_alu instid0(VALU_DEP_2) | instskip(NEXT) | instid1(VALU_DEP_1)
	v_bfi_b32 v5, 0x7fffffff, v5, v3
	v_dual_mov_b32 v2, v4 :: v_dual_mov_b32 v3, v5
                                        ; implicit-def: $vgpr4_vgpr5
; %bb.316:
	s_and_not1_saveexec_b32 s3, s3
; %bb.317:
	s_delay_alu instid0(VALU_DEP_1) | instskip(SKIP_1) | instid1(VALU_DEP_2)
	v_bfi_b32 v1, 0x7fffffff, v1, v3
	v_and_b32_e32 v5, 0x7fffffff, v5
	v_dual_mov_b32 v3, v1 :: v_dual_mov_b32 v2, v0
	s_delay_alu instid0(VALU_DEP_2)
	v_dual_mov_b32 v0, v4 :: v_dual_mov_b32 v1, v5
; %bb.318:
	s_or_b32 exec_lo, exec_lo, s3
.LBB223_319:
	s_delay_alu instid0(SALU_CYCLE_1)
	s_or_b32 exec_lo, exec_lo, s2
.LBB223_320:
	s_and_not1_saveexec_b32 s2, s31
; %bb.321:
	s_delay_alu instid0(VALU_DEP_1) | instskip(NEXT) | instid1(VALU_DEP_1)
	v_add_f64 v[2:3], v[2:3], -v[2:3]
	v_div_scale_f64 v[4:5], vcc_lo, v[2:3], v[2:3], v[2:3]
	s_delay_alu instid0(VALU_DEP_1) | instskip(SKIP_2) | instid1(VALU_DEP_1)
	v_rcp_f64_e32 v[6:7], v[4:5]
	s_waitcnt_depctr 0xfff
	v_fma_f64 v[10:11], -v[4:5], v[6:7], 1.0
	v_fma_f64 v[6:7], v[6:7], v[10:11], v[6:7]
	s_delay_alu instid0(VALU_DEP_1) | instskip(NEXT) | instid1(VALU_DEP_1)
	v_fma_f64 v[10:11], -v[4:5], v[6:7], 1.0
	v_fma_f64 v[6:7], v[6:7], v[10:11], v[6:7]
	s_delay_alu instid0(VALU_DEP_1) | instskip(NEXT) | instid1(VALU_DEP_1)
	v_mul_f64 v[10:11], v[4:5], v[6:7]
	v_fma_f64 v[4:5], -v[4:5], v[10:11], v[4:5]
	s_delay_alu instid0(VALU_DEP_1) | instskip(NEXT) | instid1(VALU_DEP_1)
	v_div_fmas_f64 v[4:5], v[4:5], v[6:7], v[10:11]
	v_div_fixup_f64 v[2:3], v[4:5], v[2:3], v[2:3]
; %bb.322:
	s_or_b32 exec_lo, exec_lo, s2
	v_dual_mov_b32 v5, v1 :: v_dual_mov_b32 v4, v0
.LBB223_323:
	s_or_b32 exec_lo, exec_lo, s21
.LBB223_324:
	s_delay_alu instid0(SALU_CYCLE_1) | instskip(NEXT) | instid1(VALU_DEP_2)
	s_or_b32 exec_lo, exec_lo, s20
	v_dual_mov_b32 v6, v2 :: v_dual_mov_b32 v7, v3
	v_add_nc_u32_e32 v9, 0x80, v9
	global_store_b128 v8, v[4:7], s[4:5]
.LBB223_325:
	s_or_b32 exec_lo, exec_lo, s30
	s_mov_b32 s2, 0
	s_mov_b32 s20, exec_lo
                                        ; implicit-def: $vgpr16_vgpr17
                                        ; implicit-def: $vgpr12_vgpr13
	v_cmpx_gt_i32_e64 s27, v9
	s_cbranch_execz .LBB223_372
; %bb.326:
	s_and_not1_b32 vcc_lo, exec_lo, s24
	s_cbranch_vccnz .LBB223_331
; %bb.327:
	v_dual_mov_b32 v0, 0 :: v_dual_mov_b32 v1, 0
	s_and_not1_b32 vcc_lo, exec_lo, s29
	s_mov_b32 s21, 0
	s_cbranch_vccnz .LBB223_336
; %bb.328:
	v_mov_b32_e32 v0, 0
	s_add_i32 s28, s28, 1
	s_cmp_eq_u32 s23, 2
	s_mov_b32 s27, 0
	s_cbranch_scc1 .LBB223_332
; %bb.329:
	v_dual_mov_b32 v1, 0 :: v_dual_mov_b32 v0, 0
	v_mov_b32_e32 v2, v9
	s_and_b32 s27, s28, 28
	s_mov_b32 s29, 0
	s_mov_b64 s[2:3], s[0:1]
.LBB223_330:                            ; =>This Inner Loop Header: Depth=1
	s_clause 0x1
	s_load_b256 s[36:43], s[2:3], 0x4
	s_load_b128 s[52:55], s[2:3], 0x24
	s_load_b256 s[44:51], s[18:19], 0x0
	s_add_u32 s2, s2, 48
	s_addc_u32 s3, s3, 0
	s_add_i32 s29, s29, 4
	s_add_u32 s18, s18, 32
	s_addc_u32 s19, s19, 0
	s_cmp_eq_u32 s27, s29
	s_waitcnt lgkmcnt(0)
	v_mul_hi_u32 v3, s37, v2
	s_delay_alu instid0(VALU_DEP_1) | instskip(NEXT) | instid1(VALU_DEP_1)
	v_add_nc_u32_e32 v3, v2, v3
	v_lshrrev_b32_e32 v3, s38, v3
	s_delay_alu instid0(VALU_DEP_1) | instskip(SKIP_1) | instid1(VALU_DEP_2)
	v_mul_hi_u32 v4, s40, v3
	v_mul_lo_u32 v6, v3, s36
	v_add_nc_u32_e32 v4, v3, v4
	s_delay_alu instid0(VALU_DEP_2) | instskip(NEXT) | instid1(VALU_DEP_2)
	v_sub_nc_u32_e32 v2, v2, v6
	v_lshrrev_b32_e32 v4, s41, v4
	s_delay_alu instid0(VALU_DEP_2) | instskip(SKIP_1) | instid1(VALU_DEP_3)
	v_mul_lo_u32 v6, v2, s44
	v_mul_lo_u32 v8, v2, s45
	v_mul_hi_u32 v5, s43, v4
	s_delay_alu instid0(VALU_DEP_1) | instskip(NEXT) | instid1(VALU_DEP_1)
	v_add_nc_u32_e32 v5, v4, v5
	v_lshrrev_b32_e32 v5, s52, v5
	s_delay_alu instid0(VALU_DEP_1) | instskip(SKIP_1) | instid1(VALU_DEP_2)
	v_mul_hi_u32 v7, s54, v5
	v_mul_lo_u32 v10, v5, s42
	v_add_nc_u32_e32 v2, v5, v7
	v_mul_lo_u32 v7, v4, s39
	s_delay_alu instid0(VALU_DEP_3) | instskip(NEXT) | instid1(VALU_DEP_3)
	v_sub_nc_u32_e32 v4, v4, v10
	v_lshrrev_b32_e32 v2, s55, v2
	s_delay_alu instid0(VALU_DEP_2) | instskip(SKIP_2) | instid1(VALU_DEP_4)
	v_mul_lo_u32 v10, v4, s48
	v_mul_lo_u32 v4, v4, s49
	v_sub_nc_u32_e32 v3, v3, v7
	v_mul_lo_u32 v11, v2, s53
	s_delay_alu instid0(VALU_DEP_2) | instskip(SKIP_1) | instid1(VALU_DEP_3)
	v_mul_lo_u32 v7, v3, s46
	v_mul_lo_u32 v3, v3, s47
	v_sub_nc_u32_e32 v5, v5, v11
	s_delay_alu instid0(VALU_DEP_3) | instskip(NEXT) | instid1(VALU_DEP_2)
	v_add3_u32 v0, v6, v0, v7
	v_mul_lo_u32 v11, v5, s50
	v_mul_lo_u32 v5, v5, s51
	v_add3_u32 v1, v8, v1, v3
	s_delay_alu instid0(VALU_DEP_3) | instskip(NEXT) | instid1(VALU_DEP_2)
	v_add3_u32 v0, v10, v0, v11
	v_add3_u32 v1, v4, v1, v5
	s_cbranch_scc0 .LBB223_330
	s_branch .LBB223_333
.LBB223_331:
	s_mov_b32 s21, -1
                                        ; implicit-def: $vgpr0
                                        ; implicit-def: $vgpr1
	s_branch .LBB223_336
.LBB223_332:
	v_dual_mov_b32 v2, v9 :: v_dual_mov_b32 v1, 0
.LBB223_333:
	s_and_b32 s28, s28, 3
	s_delay_alu instid0(SALU_CYCLE_1)
	s_cmp_eq_u32 s28, 0
	s_cbranch_scc1 .LBB223_336
; %bb.334:
	s_lshl_b32 s2, s27, 3
	s_mul_i32 s18, s27, 12
	s_add_u32 s2, s2, s0
	s_addc_u32 s3, s1, 0
	s_add_u32 s2, s2, 0xc4
	s_addc_u32 s3, s3, 0
	;; [unrolled: 2-line block ×3, first 2 shown]
	.p2align	6
.LBB223_335:                            ; =>This Inner Loop Header: Depth=1
	s_clause 0x1
	s_load_b64 s[30:31], s[18:19], 0x4
	s_load_b32 s27, s[18:19], 0xc
	s_load_b64 s[34:35], s[2:3], 0x0
	s_add_u32 s18, s18, 12
	s_addc_u32 s19, s19, 0
	s_add_u32 s2, s2, 8
	s_addc_u32 s3, s3, 0
	s_add_i32 s28, s28, -1
	s_delay_alu instid0(SALU_CYCLE_1) | instskip(SKIP_2) | instid1(VALU_DEP_1)
	s_cmp_lg_u32 s28, 0
	s_waitcnt lgkmcnt(0)
	v_mul_hi_u32 v3, s31, v2
	v_add_nc_u32_e32 v3, v2, v3
	s_delay_alu instid0(VALU_DEP_1) | instskip(NEXT) | instid1(VALU_DEP_1)
	v_lshrrev_b32_e32 v6, s27, v3
	v_mul_lo_u32 v3, v6, s30
	s_delay_alu instid0(VALU_DEP_1) | instskip(NEXT) | instid1(VALU_DEP_1)
	v_sub_nc_u32_e32 v2, v2, v3
	v_mad_u64_u32 v[3:4], null, v2, s34, v[0:1]
	v_mad_u64_u32 v[4:5], null, v2, s35, v[1:2]
	v_mov_b32_e32 v2, v6
	s_delay_alu instid0(VALU_DEP_2)
	v_dual_mov_b32 v0, v3 :: v_dual_mov_b32 v1, v4
	s_cbranch_scc1 .LBB223_335
.LBB223_336:
	s_and_not1_b32 vcc_lo, exec_lo, s21
	s_cbranch_vccnz .LBB223_339
; %bb.337:
	s_waitcnt lgkmcnt(0)
	v_mul_hi_u32 v0, s13, v9
	s_and_not1_b32 vcc_lo, exec_lo, s26
	s_delay_alu instid0(VALU_DEP_1) | instskip(NEXT) | instid1(VALU_DEP_1)
	v_add_nc_u32_e32 v0, v9, v0
	v_lshrrev_b32_e32 v2, s14, v0
	s_delay_alu instid0(VALU_DEP_1) | instskip(NEXT) | instid1(VALU_DEP_1)
	v_mul_lo_u32 v0, v2, s12
	v_sub_nc_u32_e32 v1, v9, v0
	s_delay_alu instid0(VALU_DEP_1)
	v_mul_lo_u32 v0, v1, s8
	v_mul_lo_u32 v1, v1, s9
	s_cbranch_vccnz .LBB223_339
; %bb.338:
	v_mul_hi_u32 v3, s16, v2
	s_delay_alu instid0(VALU_DEP_1) | instskip(NEXT) | instid1(VALU_DEP_1)
	v_add_nc_u32_e32 v3, v2, v3
	v_lshrrev_b32_e32 v3, s17, v3
	s_delay_alu instid0(VALU_DEP_1) | instskip(NEXT) | instid1(VALU_DEP_1)
	v_mul_lo_u32 v3, v3, s15
	v_sub_nc_u32_e32 v5, v2, v3
	s_delay_alu instid0(VALU_DEP_1) | instskip(NEXT) | instid1(VALU_DEP_1)
	v_mad_u64_u32 v[2:3], null, v5, s10, v[0:1]
	v_mad_u64_u32 v[3:4], null, v5, s11, v[1:2]
	s_delay_alu instid0(VALU_DEP_1)
	v_dual_mov_b32 v0, v2 :: v_dual_mov_b32 v1, v3
.LBB223_339:
	s_waitcnt lgkmcnt(0)
	global_load_b128 v[14:17], v1, s[6:7]
	v_mov_b32_e32 v1, 0
	v_mov_b32_e32 v2, 0
	s_waitcnt vmcnt(0)
	v_cmp_neq_f64_e32 vcc_lo, 0, v[14:15]
	v_cmp_neq_f64_e64 s2, 0, v[16:17]
	s_delay_alu instid0(VALU_DEP_1) | instskip(NEXT) | instid1(SALU_CYCLE_1)
	s_or_b32 s2, vcc_lo, s2
	s_and_saveexec_b32 s6, s2
	s_cbranch_execz .LBB223_371
; %bb.340:
	s_mov_b32 s2, 0
	s_mov_b32 s3, 0x7ff00000
	v_mov_b32_e32 v1, s2
	v_mov_b32_e32 v2, s3
	s_mov_b32 s7, exec_lo
	v_cmpx_neq_f64_e64 0x7ff00000, |v[16:17]|
	s_cbranch_execz .LBB223_370
; %bb.341:
	s_mov_b32 s2, exec_lo
	v_cmpx_o_f64_e32 v[14:15], v[14:15]
	s_xor_b32 s8, exec_lo, s2
	s_cbranch_execz .LBB223_367
; %bb.342:
	s_mov_b32 s3, exec_lo
	v_cmpx_neq_f64_e64 0x7ff00000, |v[14:15]|
	s_xor_b32 s9, exec_lo, s3
	s_cbranch_execz .LBB223_360
; %bb.343:
	v_max_f64 v[1:2], |v[16:17]|, |v[16:17]|
	v_max_f64 v[3:4], |v[14:15]|, |v[14:15]|
	s_mov_b32 s2, 0x99fcef32
	s_mov_b32 s3, 0x7fda8279
                                        ; implicit-def: $sgpr10
	s_delay_alu instid0(VALU_DEP_1) | instskip(NEXT) | instid1(VALU_DEP_1)
	v_max_f64 v[1:2], v[3:4], v[1:2]
	v_cmp_nle_f64_e64 s2, s[2:3], v[1:2]
	s_delay_alu instid0(VALU_DEP_1) | instskip(NEXT) | instid1(SALU_CYCLE_1)
	s_and_saveexec_b32 s3, s2
	s_xor_b32 s3, exec_lo, s3
	s_cbranch_execz .LBB223_347
; %bb.344:
	v_cmp_ge_f64_e64 s10, 0x200000, |v[14:15]|
	v_cmp_ge_f64_e64 s11, 0x200000, |v[16:17]|
	s_delay_alu instid0(VALU_DEP_1)
	s_and_b32 s12, s10, s11
	s_mov_b32 s10, 0
	s_and_saveexec_b32 s11, s12
; %bb.345:
	v_mul_f64 v[14:15], v[14:15], 4.0
	v_mul_f64 v[16:17], v[16:17], 4.0
	s_mov_b32 s10, exec_lo
; %bb.346:
	s_or_b32 exec_lo, exec_lo, s11
	s_delay_alu instid0(SALU_CYCLE_1)
	s_and_b32 s10, s10, exec_lo
.LBB223_347:
	s_and_not1_saveexec_b32 s3, s3
; %bb.348:
	s_delay_alu instid0(VALU_DEP_2) | instskip(NEXT) | instid1(VALU_DEP_2)
	v_ldexp_f64 v[14:15], v[14:15], -2
	v_ldexp_f64 v[16:17], v[16:17], -2
	s_and_not1_b32 s10, s10, exec_lo
; %bb.349:
	s_or_b32 exec_lo, exec_lo, s3
	s_delay_alu instid0(VALU_DEP_1) | instskip(NEXT) | instid1(VALU_DEP_3)
	v_max_f64 v[1:2], |v[16:17]|, |v[16:17]|
	v_max_f64 v[3:4], |v[14:15]|, |v[14:15]|
	v_cmp_class_f64_e64 s11, v[14:15], 0x204
	v_cmp_class_f64_e64 s12, v[16:17], 0x204
	v_cmp_le_f64_e64 s3, 0, v[14:15]
	s_delay_alu instid0(VALU_DEP_4) | instskip(NEXT) | instid1(VALU_DEP_3)
	v_max_f64 v[1:2], v[3:4], v[1:2]
	s_or_b32 s11, s12, s11
	s_delay_alu instid0(VALU_DEP_1) | instskip(NEXT) | instid1(VALU_DEP_1)
	v_frexp_exp_i32_f64_e32 v9, v[1:2]
	v_sub_nc_u32_e32 v3, 0, v9
	s_delay_alu instid0(VALU_DEP_1) | instskip(SKIP_1) | instid1(VALU_DEP_2)
	v_ldexp_f64 v[1:2], |v[16:17]|, v3
	v_ldexp_f64 v[3:4], |v[14:15]|, v3
	v_mul_f64 v[1:2], v[1:2], v[1:2]
	s_delay_alu instid0(VALU_DEP_1) | instskip(NEXT) | instid1(VALU_DEP_1)
	v_fma_f64 v[1:2], v[3:4], v[3:4], v[1:2]
	v_rsq_f64_e32 v[3:4], v[1:2]
	v_cmp_eq_f64_e32 vcc_lo, 0, v[1:2]
	s_waitcnt_depctr 0xfff
	v_mul_f64 v[5:6], v[1:2], v[3:4]
	v_mul_f64 v[3:4], v[3:4], 0.5
	s_delay_alu instid0(VALU_DEP_1) | instskip(NEXT) | instid1(VALU_DEP_1)
	v_fma_f64 v[7:8], -v[3:4], v[5:6], 0.5
	v_fma_f64 v[5:6], v[5:6], v[7:8], v[5:6]
	v_fma_f64 v[3:4], v[3:4], v[7:8], v[3:4]
	s_delay_alu instid0(VALU_DEP_2) | instskip(NEXT) | instid1(VALU_DEP_1)
	v_fma_f64 v[7:8], -v[5:6], v[5:6], v[1:2]
	v_fma_f64 v[3:4], v[7:8], v[3:4], v[5:6]
	s_delay_alu instid0(VALU_DEP_1) | instskip(SKIP_1) | instid1(VALU_DEP_2)
	v_dual_cndmask_b32 v2, v4, v2 :: v_dual_cndmask_b32 v1, v3, v1
	v_cmp_o_f64_e32 vcc_lo, v[16:17], v[16:17]
	v_ldexp_f64 v[1:2], v[1:2], v9
	s_delay_alu instid0(VALU_DEP_1) | instskip(NEXT) | instid1(VALU_DEP_2)
	v_cndmask_b32_e32 v1, 0, v1, vcc_lo
	v_cndmask_b32_e32 v2, 0x7ff80000, v2, vcc_lo
	s_delay_alu instid0(VALU_DEP_2) | instskip(NEXT) | instid1(VALU_DEP_2)
	v_cndmask_b32_e64 v1, v1, 0, s11
	v_cndmask_b32_e64 v2, v2, 0x7ff00000, s11
	s_and_saveexec_b32 s11, s3
	s_delay_alu instid0(SALU_CYCLE_1)
	s_xor_b32 s3, exec_lo, s11
	s_cbranch_execz .LBB223_355
; %bb.350:
	s_delay_alu instid0(VALU_DEP_1) | instskip(NEXT) | instid1(VALU_DEP_1)
	v_add_f64 v[1:2], v[14:15], v[1:2]
	v_mul_f64 v[1:2], v[1:2], 0.5
	s_delay_alu instid0(VALU_DEP_1) | instskip(SKIP_1) | instid1(VALU_DEP_1)
	v_cmp_gt_f64_e32 vcc_lo, 0x10000000, v[1:2]
	v_cndmask_b32_e64 v3, 0, 1, vcc_lo
	v_lshlrev_b32_e32 v3, 8, v3
	s_delay_alu instid0(VALU_DEP_1) | instskip(NEXT) | instid1(VALU_DEP_1)
	v_ldexp_f64 v[1:2], v[1:2], v3
	v_rsq_f64_e32 v[3:4], v[1:2]
	s_waitcnt_depctr 0xfff
	v_mul_f64 v[5:6], v[1:2], v[3:4]
	v_mul_f64 v[3:4], v[3:4], 0.5
	s_delay_alu instid0(VALU_DEP_1) | instskip(NEXT) | instid1(VALU_DEP_1)
	v_fma_f64 v[7:8], -v[3:4], v[5:6], 0.5
	v_fma_f64 v[5:6], v[5:6], v[7:8], v[5:6]
	v_fma_f64 v[3:4], v[3:4], v[7:8], v[3:4]
	s_delay_alu instid0(VALU_DEP_2) | instskip(NEXT) | instid1(VALU_DEP_1)
	v_fma_f64 v[7:8], -v[5:6], v[5:6], v[1:2]
	v_fma_f64 v[5:6], v[7:8], v[3:4], v[5:6]
	s_delay_alu instid0(VALU_DEP_1) | instskip(NEXT) | instid1(VALU_DEP_1)
	v_fma_f64 v[7:8], -v[5:6], v[5:6], v[1:2]
	v_fma_f64 v[3:4], v[7:8], v[3:4], v[5:6]
	v_cndmask_b32_e64 v5, 0, 0xffffff80, vcc_lo
	v_cmp_class_f64_e64 vcc_lo, v[1:2], 0x260
	s_delay_alu instid0(VALU_DEP_2) | instskip(NEXT) | instid1(VALU_DEP_1)
	v_ldexp_f64 v[3:4], v[3:4], v5
	v_dual_cndmask_b32 v15, v4, v2 :: v_dual_cndmask_b32 v14, v3, v1
	s_delay_alu instid0(VALU_DEP_1) | instskip(NEXT) | instid1(VALU_DEP_1)
	v_add_f64 v[1:2], v[14:15], v[14:15]
	v_div_scale_f64 v[3:4], null, v[1:2], v[1:2], v[16:17]
	s_delay_alu instid0(VALU_DEP_1) | instskip(SKIP_2) | instid1(VALU_DEP_1)
	v_rcp_f64_e32 v[5:6], v[3:4]
	s_waitcnt_depctr 0xfff
	v_fma_f64 v[7:8], -v[3:4], v[5:6], 1.0
	v_fma_f64 v[5:6], v[5:6], v[7:8], v[5:6]
	s_delay_alu instid0(VALU_DEP_1) | instskip(NEXT) | instid1(VALU_DEP_1)
	v_fma_f64 v[7:8], -v[3:4], v[5:6], 1.0
	v_fma_f64 v[5:6], v[5:6], v[7:8], v[5:6]
	v_div_scale_f64 v[7:8], vcc_lo, v[16:17], v[1:2], v[16:17]
	s_delay_alu instid0(VALU_DEP_1) | instskip(NEXT) | instid1(VALU_DEP_1)
	v_mul_f64 v[9:10], v[7:8], v[5:6]
	v_fma_f64 v[3:4], -v[3:4], v[9:10], v[7:8]
	s_delay_alu instid0(VALU_DEP_1) | instskip(NEXT) | instid1(VALU_DEP_1)
	v_div_fmas_f64 v[3:4], v[3:4], v[5:6], v[9:10]
	v_div_fixup_f64 v[16:17], v[3:4], v[1:2], v[16:17]
                                        ; implicit-def: $vgpr1_vgpr2
	s_and_not1_saveexec_b32 s3, s3
	s_cbranch_execnz .LBB223_356
.LBB223_351:
	s_or_b32 exec_lo, exec_lo, s3
	s_and_saveexec_b32 s3, s2
	s_delay_alu instid0(SALU_CYCLE_1)
	s_xor_b32 s2, exec_lo, s3
	s_cbranch_execz .LBB223_357
.LBB223_352:
	s_and_saveexec_b32 s3, s10
; %bb.353:
	s_delay_alu instid0(VALU_DEP_2) | instskip(NEXT) | instid1(VALU_DEP_2)
	v_mul_f64 v[14:15], v[14:15], 0.5
	v_mul_f64 v[16:17], v[16:17], 0.5
; %bb.354:
	s_or_b32 exec_lo, exec_lo, s3
	s_and_not1_saveexec_b32 s2, s2
	s_cbranch_execnz .LBB223_358
	s_branch .LBB223_359
.LBB223_355:
	s_and_not1_saveexec_b32 s3, s3
	s_cbranch_execz .LBB223_351
.LBB223_356:
	v_add_f64 v[1:2], v[1:2], -v[14:15]
	s_delay_alu instid0(VALU_DEP_1) | instskip(NEXT) | instid1(VALU_DEP_1)
	v_mul_f64 v[1:2], v[1:2], 0.5
	v_cmp_gt_f64_e32 vcc_lo, 0x10000000, v[1:2]
	v_cndmask_b32_e64 v3, 0, 1, vcc_lo
	s_delay_alu instid0(VALU_DEP_1) | instskip(NEXT) | instid1(VALU_DEP_1)
	v_lshlrev_b32_e32 v3, 8, v3
	v_ldexp_f64 v[1:2], v[1:2], v3
	s_delay_alu instid0(VALU_DEP_1) | instskip(SKIP_3) | instid1(VALU_DEP_1)
	v_rsq_f64_e32 v[3:4], v[1:2]
	s_waitcnt_depctr 0xfff
	v_mul_f64 v[5:6], v[1:2], v[3:4]
	v_mul_f64 v[3:4], v[3:4], 0.5
	v_fma_f64 v[7:8], -v[3:4], v[5:6], 0.5
	s_delay_alu instid0(VALU_DEP_1) | instskip(SKIP_1) | instid1(VALU_DEP_2)
	v_fma_f64 v[5:6], v[5:6], v[7:8], v[5:6]
	v_fma_f64 v[3:4], v[3:4], v[7:8], v[3:4]
	v_fma_f64 v[7:8], -v[5:6], v[5:6], v[1:2]
	s_delay_alu instid0(VALU_DEP_1) | instskip(NEXT) | instid1(VALU_DEP_1)
	v_fma_f64 v[5:6], v[7:8], v[3:4], v[5:6]
	v_fma_f64 v[7:8], -v[5:6], v[5:6], v[1:2]
	s_delay_alu instid0(VALU_DEP_1) | instskip(SKIP_3) | instid1(VALU_DEP_3)
	v_fma_f64 v[3:4], v[7:8], v[3:4], v[5:6]
	v_cndmask_b32_e64 v5, 0, 0xffffff80, vcc_lo
	v_cmp_class_f64_e64 vcc_lo, v[1:2], 0x260
	v_and_b32_e32 v6, 0x7fffffff, v17
	v_ldexp_f64 v[3:4], v[3:4], v5
	v_mov_b32_e32 v5, v16
	s_delay_alu instid0(VALU_DEP_2) | instskip(NEXT) | instid1(VALU_DEP_1)
	v_dual_cndmask_b32 v2, v4, v2 :: v_dual_cndmask_b32 v1, v3, v1
	v_add_f64 v[3:4], v[1:2], v[1:2]
	v_bfi_b32 v2, 0x7fffffff, v2, v17
	s_delay_alu instid0(VALU_DEP_2) | instskip(SKIP_1) | instid1(VALU_DEP_2)
	v_div_scale_f64 v[7:8], null, v[3:4], v[3:4], v[5:6]
	v_div_scale_f64 v[5:6], vcc_lo, v[5:6], v[3:4], v[5:6]
	v_rcp_f64_e32 v[9:10], v[7:8]
	s_waitcnt_depctr 0xfff
	v_fma_f64 v[11:12], -v[7:8], v[9:10], 1.0
	s_delay_alu instid0(VALU_DEP_1) | instskip(NEXT) | instid1(VALU_DEP_1)
	v_fma_f64 v[9:10], v[9:10], v[11:12], v[9:10]
	v_fma_f64 v[11:12], -v[7:8], v[9:10], 1.0
	s_delay_alu instid0(VALU_DEP_1) | instskip(NEXT) | instid1(VALU_DEP_1)
	v_fma_f64 v[9:10], v[9:10], v[11:12], v[9:10]
	v_mul_f64 v[11:12], v[5:6], v[9:10]
	s_delay_alu instid0(VALU_DEP_1) | instskip(NEXT) | instid1(VALU_DEP_1)
	v_fma_f64 v[5:6], -v[7:8], v[11:12], v[5:6]
	v_div_fmas_f64 v[5:6], v[5:6], v[9:10], v[11:12]
	s_delay_alu instid0(VALU_DEP_1) | instskip(SKIP_3) | instid1(SALU_CYCLE_1)
	v_div_fixup_f64 v[14:15], v[5:6], v[3:4], |v[16:17]|
	v_dual_mov_b32 v17, v2 :: v_dual_mov_b32 v16, v1
	s_or_b32 exec_lo, exec_lo, s3
	s_and_saveexec_b32 s3, s2
	s_xor_b32 s2, exec_lo, s3
	s_cbranch_execnz .LBB223_352
.LBB223_357:
	s_and_not1_saveexec_b32 s2, s2
.LBB223_358:
	s_delay_alu instid0(VALU_DEP_2) | instskip(NEXT) | instid1(VALU_DEP_2)
	v_add_f64 v[14:15], v[14:15], v[14:15]
	v_add_f64 v[16:17], v[16:17], v[16:17]
.LBB223_359:
	s_or_b32 exec_lo, exec_lo, s2
.LBB223_360:
	s_and_not1_saveexec_b32 s2, s9
	s_cbranch_execz .LBB223_366
; %bb.361:
	s_delay_alu instid0(VALU_DEP_1) | instskip(SKIP_1) | instid1(VALU_DEP_3)
	v_add_f64 v[1:2], v[16:17], -v[16:17]
	s_mov_b32 s3, exec_lo
	v_cmpx_lt_i64_e32 -1, v[14:15]
	s_xor_b32 s3, exec_lo, s3
; %bb.362:
	s_delay_alu instid0(VALU_DEP_2) | instskip(NEXT) | instid1(VALU_DEP_1)
	v_bfi_b32 v2, 0x7fffffff, v2, v17
	v_dual_mov_b32 v17, v2 :: v_dual_mov_b32 v16, v1
                                        ; implicit-def: $vgpr1_vgpr2
; %bb.363:
	s_and_not1_saveexec_b32 s3, s3
; %bb.364:
	s_delay_alu instid0(VALU_DEP_1) | instskip(NEXT) | instid1(VALU_DEP_1)
	v_bfi_b32 v15, 0x7fffffff, v15, v17
	v_dual_mov_b32 v17, v15 :: v_dual_and_b32 v2, 0x7fffffff, v2
	v_mov_b32_e32 v16, v14
	s_delay_alu instid0(VALU_DEP_2)
	v_dual_mov_b32 v15, v2 :: v_dual_mov_b32 v14, v1
; %bb.365:
	s_or_b32 exec_lo, exec_lo, s3
.LBB223_366:
	s_delay_alu instid0(SALU_CYCLE_1)
	s_or_b32 exec_lo, exec_lo, s2
.LBB223_367:
	s_and_not1_saveexec_b32 s2, s8
; %bb.368:
	s_delay_alu instid0(VALU_DEP_1) | instskip(NEXT) | instid1(VALU_DEP_1)
	v_add_f64 v[1:2], v[16:17], -v[16:17]
	v_div_scale_f64 v[3:4], vcc_lo, v[1:2], v[1:2], v[1:2]
	s_delay_alu instid0(VALU_DEP_1) | instskip(SKIP_2) | instid1(VALU_DEP_1)
	v_rcp_f64_e32 v[5:6], v[3:4]
	s_waitcnt_depctr 0xfff
	v_fma_f64 v[7:8], -v[3:4], v[5:6], 1.0
	v_fma_f64 v[5:6], v[5:6], v[7:8], v[5:6]
	s_delay_alu instid0(VALU_DEP_1) | instskip(NEXT) | instid1(VALU_DEP_1)
	v_fma_f64 v[7:8], -v[3:4], v[5:6], 1.0
	v_fma_f64 v[5:6], v[5:6], v[7:8], v[5:6]
	s_delay_alu instid0(VALU_DEP_1) | instskip(NEXT) | instid1(VALU_DEP_1)
	v_mul_f64 v[7:8], v[3:4], v[5:6]
	v_fma_f64 v[3:4], -v[3:4], v[7:8], v[3:4]
	s_delay_alu instid0(VALU_DEP_1) | instskip(NEXT) | instid1(VALU_DEP_1)
	v_div_fmas_f64 v[3:4], v[3:4], v[5:6], v[7:8]
	v_div_fixup_f64 v[16:17], v[3:4], v[1:2], v[1:2]
; %bb.369:
	s_or_b32 exec_lo, exec_lo, s2
	v_dual_mov_b32 v1, v14 :: v_dual_mov_b32 v2, v15
.LBB223_370:
	s_or_b32 exec_lo, exec_lo, s7
.LBB223_371:
	s_delay_alu instid0(SALU_CYCLE_1) | instskip(SKIP_1) | instid1(VALU_DEP_1)
	s_or_b32 exec_lo, exec_lo, s6
	v_add_co_u32 v12, s3, s4, v0
	v_add_co_ci_u32_e64 v13, null, s5, 0, s3
	s_mov_b32 s2, exec_lo
	global_store_b64 v0, v[1:2], s[4:5]
.LBB223_372:
	s_or_b32 exec_lo, exec_lo, s20
	s_waitcnt lgkmcnt(0)
	s_and_b32 s8, s2, exec_lo
                                        ; implicit-def: $vgpr1
                                        ; implicit-def: $vgpr9
	s_and_not1_saveexec_b32 s9, s25
	s_cbranch_execnz .LBB223_8
.LBB223_373:
	s_or_b32 exec_lo, exec_lo, s9
	s_and_saveexec_b32 s0, s8
	s_cbranch_execz .LBB223_243
.LBB223_374:
	global_store_b64 v[12:13], v[16:17], off offset:8
	s_nop 0
	s_sendmsg sendmsg(MSG_DEALLOC_VGPRS)
	s_endpgm
	.section	.rodata,"a",@progbits
	.p2align	6, 0x0
	.amdhsa_kernel _ZN2at6native32elementwise_kernel_manual_unrollILi128ELi4EZNS0_22gpu_kernel_impl_nocastIZZZNS0_16sqrt_kernel_cudaERNS_18TensorIteratorBaseEENKUlvE_clEvENKUlvE_clEvEUlN3c107complexIdEEE_EEvS4_RKT_EUlibE_EEviT1_
		.amdhsa_group_segment_fixed_size 0
		.amdhsa_private_segment_fixed_size 0
		.amdhsa_kernarg_size 360
		.amdhsa_user_sgpr_count 15
		.amdhsa_user_sgpr_dispatch_ptr 0
		.amdhsa_user_sgpr_queue_ptr 0
		.amdhsa_user_sgpr_kernarg_segment_ptr 1
		.amdhsa_user_sgpr_dispatch_id 0
		.amdhsa_user_sgpr_private_segment_size 0
		.amdhsa_wavefront_size32 1
		.amdhsa_uses_dynamic_stack 0
		.amdhsa_enable_private_segment 0
		.amdhsa_system_sgpr_workgroup_id_x 1
		.amdhsa_system_sgpr_workgroup_id_y 0
		.amdhsa_system_sgpr_workgroup_id_z 0
		.amdhsa_system_sgpr_workgroup_info 0
		.amdhsa_system_vgpr_workitem_id 0
		.amdhsa_next_free_vgpr 30
		.amdhsa_next_free_sgpr 56
		.amdhsa_reserve_vcc 1
		.amdhsa_float_round_mode_32 0
		.amdhsa_float_round_mode_16_64 0
		.amdhsa_float_denorm_mode_32 3
		.amdhsa_float_denorm_mode_16_64 3
		.amdhsa_dx10_clamp 1
		.amdhsa_ieee_mode 1
		.amdhsa_fp16_overflow 0
		.amdhsa_workgroup_processor_mode 1
		.amdhsa_memory_ordered 1
		.amdhsa_forward_progress 0
		.amdhsa_shared_vgpr_count 0
		.amdhsa_exception_fp_ieee_invalid_op 0
		.amdhsa_exception_fp_denorm_src 0
		.amdhsa_exception_fp_ieee_div_zero 0
		.amdhsa_exception_fp_ieee_overflow 0
		.amdhsa_exception_fp_ieee_underflow 0
		.amdhsa_exception_fp_ieee_inexact 0
		.amdhsa_exception_int_div_zero 0
	.end_amdhsa_kernel
	.section	.text._ZN2at6native32elementwise_kernel_manual_unrollILi128ELi4EZNS0_22gpu_kernel_impl_nocastIZZZNS0_16sqrt_kernel_cudaERNS_18TensorIteratorBaseEENKUlvE_clEvENKUlvE_clEvEUlN3c107complexIdEEE_EEvS4_RKT_EUlibE_EEviT1_,"axG",@progbits,_ZN2at6native32elementwise_kernel_manual_unrollILi128ELi4EZNS0_22gpu_kernel_impl_nocastIZZZNS0_16sqrt_kernel_cudaERNS_18TensorIteratorBaseEENKUlvE_clEvENKUlvE_clEvEUlN3c107complexIdEEE_EEvS4_RKT_EUlibE_EEviT1_,comdat
.Lfunc_end223:
	.size	_ZN2at6native32elementwise_kernel_manual_unrollILi128ELi4EZNS0_22gpu_kernel_impl_nocastIZZZNS0_16sqrt_kernel_cudaERNS_18TensorIteratorBaseEENKUlvE_clEvENKUlvE_clEvEUlN3c107complexIdEEE_EEvS4_RKT_EUlibE_EEviT1_, .Lfunc_end223-_ZN2at6native32elementwise_kernel_manual_unrollILi128ELi4EZNS0_22gpu_kernel_impl_nocastIZZZNS0_16sqrt_kernel_cudaERNS_18TensorIteratorBaseEENKUlvE_clEvENKUlvE_clEvEUlN3c107complexIdEEE_EEvS4_RKT_EUlibE_EEviT1_
                                        ; -- End function
	.section	.AMDGPU.csdata,"",@progbits
; Kernel info:
; codeLenInByte = 19540
; NumSgprs: 58
; NumVgprs: 30
; ScratchSize: 0
; MemoryBound: 0
; FloatMode: 240
; IeeeMode: 1
; LDSByteSize: 0 bytes/workgroup (compile time only)
; SGPRBlocks: 7
; VGPRBlocks: 3
; NumSGPRsForWavesPerEU: 58
; NumVGPRsForWavesPerEU: 30
; Occupancy: 16
; WaveLimiterHint : 1
; COMPUTE_PGM_RSRC2:SCRATCH_EN: 0
; COMPUTE_PGM_RSRC2:USER_SGPR: 15
; COMPUTE_PGM_RSRC2:TRAP_HANDLER: 0
; COMPUTE_PGM_RSRC2:TGID_X_EN: 1
; COMPUTE_PGM_RSRC2:TGID_Y_EN: 0
; COMPUTE_PGM_RSRC2:TGID_Z_EN: 0
; COMPUTE_PGM_RSRC2:TIDIG_COMP_CNT: 0
	.section	.text._ZN2at6native32elementwise_kernel_manual_unrollILi128ELi4EZNS0_15gpu_kernel_implIZZZNS0_16sqrt_kernel_cudaERNS_18TensorIteratorBaseEENKUlvE_clEvENKUlvE_clEvEUlN3c107complexIdEEE_EEvS4_RKT_EUlibE_EEviT1_,"axG",@progbits,_ZN2at6native32elementwise_kernel_manual_unrollILi128ELi4EZNS0_15gpu_kernel_implIZZZNS0_16sqrt_kernel_cudaERNS_18TensorIteratorBaseEENKUlvE_clEvENKUlvE_clEvEUlN3c107complexIdEEE_EEvS4_RKT_EUlibE_EEviT1_,comdat
	.globl	_ZN2at6native32elementwise_kernel_manual_unrollILi128ELi4EZNS0_15gpu_kernel_implIZZZNS0_16sqrt_kernel_cudaERNS_18TensorIteratorBaseEENKUlvE_clEvENKUlvE_clEvEUlN3c107complexIdEEE_EEvS4_RKT_EUlibE_EEviT1_ ; -- Begin function _ZN2at6native32elementwise_kernel_manual_unrollILi128ELi4EZNS0_15gpu_kernel_implIZZZNS0_16sqrt_kernel_cudaERNS_18TensorIteratorBaseEENKUlvE_clEvENKUlvE_clEvEUlN3c107complexIdEEE_EEvS4_RKT_EUlibE_EEviT1_
	.p2align	8
	.type	_ZN2at6native32elementwise_kernel_manual_unrollILi128ELi4EZNS0_15gpu_kernel_implIZZZNS0_16sqrt_kernel_cudaERNS_18TensorIteratorBaseEENKUlvE_clEvENKUlvE_clEvEUlN3c107complexIdEEE_EEvS4_RKT_EUlibE_EEviT1_,@function
_ZN2at6native32elementwise_kernel_manual_unrollILi128ELi4EZNS0_15gpu_kernel_implIZZZNS0_16sqrt_kernel_cudaERNS_18TensorIteratorBaseEENKUlvE_clEvENKUlvE_clEvEUlN3c107complexIdEEE_EEvS4_RKT_EUlibE_EEviT1_: ; @_ZN2at6native32elementwise_kernel_manual_unrollILi128ELi4EZNS0_15gpu_kernel_implIZZZNS0_16sqrt_kernel_cudaERNS_18TensorIteratorBaseEENKUlvE_clEvENKUlvE_clEvEUlN3c107complexIdEEE_EEvS4_RKT_EUlibE_EEviT1_
; %bb.0:
	v_mov_b32_e32 v1, 0
	s_clause 0x2
	s_load_b32 s13, s[0:1], 0x0
	s_load_b64 s[2:3], s[0:1], 0x18
	s_load_b128 s[4:7], s[0:1], 0x8
	v_lshl_or_b32 v21, s15, 9, v0
	s_mov_b32 s10, 0
	s_mov_b32 s12, 0
	global_load_u16 v20, v1, s[0:1] offset:33
	s_mov_b32 s0, exec_lo
	v_or_b32_e32 v0, 0x180, v21
	s_waitcnt vmcnt(0)
	v_lshrrev_b16 v22, 8, v20
	s_waitcnt lgkmcnt(0)
	s_delay_alu instid0(VALU_DEP_2)
	v_cmpx_le_i32_e64 s13, v0
	s_xor_b32 s11, exec_lo, s0
	s_cbranch_execz .LBB224_1181
; %bb.1:
	s_mov_b32 s1, -1
	s_mov_b32 s16, 0
	s_mov_b32 s14, 0
	s_mov_b32 s15, exec_lo
	v_cmpx_gt_i32_e64 s13, v21
	s_cbranch_execz .LBB224_289
; %bb.2:
	v_mul_lo_u32 v0, v21, s3
	v_cmp_gt_i16_e32 vcc_lo, 11, v22
	s_delay_alu instid0(VALU_DEP_2) | instskip(SKIP_1) | instid1(VALU_DEP_1)
	v_ashrrev_i32_e32 v1, 31, v0
	v_add_co_u32 v4, s0, s6, v0
	v_add_co_ci_u32_e64 v5, s0, s7, v1, s0
	s_cbranch_vccnz .LBB224_9
; %bb.3:
	v_cmp_lt_i16_e32 vcc_lo, 25, v22
	s_cbranch_vccz .LBB224_27
; %bb.4:
	v_cmp_lt_i16_e32 vcc_lo, 28, v22
	s_cbranch_vccz .LBB224_28
; %bb.5:
	v_cmp_lt_i16_e32 vcc_lo, 43, v22
	s_cbranch_vccz .LBB224_29
; %bb.6:
	v_cmp_lt_i16_e32 vcc_lo, 45, v22
	s_cbranch_vccz .LBB224_30
; %bb.7:
	v_cmp_eq_u16_e32 vcc_lo, 46, v22
	s_mov_b32 s0, 0
	s_cbranch_vccz .LBB224_59
; %bb.8:
	global_load_b32 v0, v[4:5], off
	s_mov_b32 s8, -1
	s_waitcnt vmcnt(0)
	v_lshlrev_b32_e32 v1, 16, v0
	v_and_b32_e32 v2, 0xffff0000, v0
	s_delay_alu instid0(VALU_DEP_2) | instskip(NEXT) | instid1(VALU_DEP_2)
	v_cvt_f64_f32_e32 v[0:1], v1
	v_cvt_f64_f32_e32 v[2:3], v2
	s_branch .LBB224_61
.LBB224_9:
	s_mov_b32 s8, 0
                                        ; implicit-def: $vgpr2_vgpr3
	s_cbranch_execnz .LBB224_237
.LBB224_10:
	s_and_not1_b32 vcc_lo, exec_lo, s8
	s_cbranch_vccnz .LBB224_286
.LBB224_11:
	s_waitcnt vmcnt(0)
	s_delay_alu instid0(VALU_DEP_1) | instskip(NEXT) | instid1(VALU_DEP_2)
	v_cmp_neq_f64_e32 vcc_lo, 0, v[0:1]
	v_cmp_neq_f64_e64 s0, 0, v[2:3]
	v_mov_b32_e32 v4, 0
	v_mov_b32_e32 v5, 0
	s_delay_alu instid0(VALU_DEP_3) | instskip(NEXT) | instid1(SALU_CYCLE_1)
	s_or_b32 s0, vcc_lo, s0
	s_and_saveexec_b32 s8, s0
	s_cbranch_execz .LBB224_47
; %bb.12:
	s_mov_b32 s0, 0
	s_mov_b32 s1, 0x7ff00000
	v_mov_b32_e32 v4, s0
	v_mov_b32_e32 v5, s1
	s_mov_b32 s9, exec_lo
	v_cmpx_neq_f64_e64 0x7ff00000, |v[2:3]|
	s_cbranch_execz .LBB224_46
; %bb.13:
	s_mov_b32 s0, exec_lo
	v_cmpx_o_f64_e32 v[0:1], v[0:1]
	s_xor_b32 s12, exec_lo, s0
	s_cbranch_execz .LBB224_43
; %bb.14:
	s_mov_b32 s1, exec_lo
	v_cmpx_neq_f64_e64 0x7ff00000, |v[0:1]|
	s_xor_b32 s17, exec_lo, s1
	s_cbranch_execz .LBB224_36
; %bb.15:
	v_max_f64 v[4:5], |v[2:3]|, |v[2:3]|
	v_max_f64 v[6:7], |v[0:1]|, |v[0:1]|
	s_mov_b32 s0, 0x99fcef32
	s_mov_b32 s1, 0x7fda8279
                                        ; implicit-def: $sgpr18
	s_delay_alu instid0(VALU_DEP_1) | instskip(NEXT) | instid1(VALU_DEP_1)
	v_max_f64 v[4:5], v[6:7], v[4:5]
	v_cmp_nle_f64_e64 s0, s[0:1], v[4:5]
	s_delay_alu instid0(VALU_DEP_1) | instskip(NEXT) | instid1(SALU_CYCLE_1)
	s_and_saveexec_b32 s1, s0
	s_xor_b32 s1, exec_lo, s1
	s_cbranch_execz .LBB224_19
; %bb.16:
	v_cmp_ge_f64_e64 s18, 0x200000, |v[0:1]|
	v_cmp_ge_f64_e64 s19, 0x200000, |v[2:3]|
	s_delay_alu instid0(VALU_DEP_1)
	s_and_b32 s20, s18, s19
	s_mov_b32 s18, 0
	s_and_saveexec_b32 s19, s20
; %bb.17:
	v_mul_f64 v[0:1], v[0:1], 4.0
	v_mul_f64 v[2:3], v[2:3], 4.0
	s_mov_b32 s18, exec_lo
; %bb.18:
	s_or_b32 exec_lo, exec_lo, s19
	s_delay_alu instid0(SALU_CYCLE_1)
	s_and_b32 s18, s18, exec_lo
.LBB224_19:
	s_and_not1_saveexec_b32 s1, s1
; %bb.20:
	s_delay_alu instid0(VALU_DEP_2) | instskip(NEXT) | instid1(VALU_DEP_2)
	v_ldexp_f64 v[0:1], v[0:1], -2
	v_ldexp_f64 v[2:3], v[2:3], -2
	s_and_not1_b32 s18, s18, exec_lo
; %bb.21:
	s_or_b32 exec_lo, exec_lo, s1
	s_delay_alu instid0(VALU_DEP_1) | instskip(NEXT) | instid1(VALU_DEP_3)
	v_max_f64 v[4:5], |v[2:3]|, |v[2:3]|
	v_max_f64 v[6:7], |v[0:1]|, |v[0:1]|
	v_cmp_class_f64_e64 s19, v[0:1], 0x204
	v_cmp_class_f64_e64 s20, v[2:3], 0x204
	v_cmp_le_f64_e64 s1, 0, v[0:1]
	s_delay_alu instid0(VALU_DEP_4) | instskip(NEXT) | instid1(VALU_DEP_3)
	v_max_f64 v[4:5], v[6:7], v[4:5]
	s_or_b32 s19, s20, s19
	s_delay_alu instid0(VALU_DEP_1) | instskip(NEXT) | instid1(VALU_DEP_1)
	v_frexp_exp_i32_f64_e32 v12, v[4:5]
	v_sub_nc_u32_e32 v6, 0, v12
	s_delay_alu instid0(VALU_DEP_1) | instskip(SKIP_1) | instid1(VALU_DEP_2)
	v_ldexp_f64 v[4:5], |v[2:3]|, v6
	v_ldexp_f64 v[6:7], |v[0:1]|, v6
	v_mul_f64 v[4:5], v[4:5], v[4:5]
	s_delay_alu instid0(VALU_DEP_1) | instskip(NEXT) | instid1(VALU_DEP_1)
	v_fma_f64 v[4:5], v[6:7], v[6:7], v[4:5]
	v_rsq_f64_e32 v[6:7], v[4:5]
	v_cmp_eq_f64_e32 vcc_lo, 0, v[4:5]
	s_waitcnt_depctr 0xfff
	v_mul_f64 v[8:9], v[4:5], v[6:7]
	v_mul_f64 v[6:7], v[6:7], 0.5
	s_delay_alu instid0(VALU_DEP_1) | instskip(NEXT) | instid1(VALU_DEP_1)
	v_fma_f64 v[10:11], -v[6:7], v[8:9], 0.5
	v_fma_f64 v[8:9], v[8:9], v[10:11], v[8:9]
	v_fma_f64 v[6:7], v[6:7], v[10:11], v[6:7]
	s_delay_alu instid0(VALU_DEP_2) | instskip(NEXT) | instid1(VALU_DEP_1)
	v_fma_f64 v[10:11], -v[8:9], v[8:9], v[4:5]
	v_fma_f64 v[6:7], v[10:11], v[6:7], v[8:9]
	s_delay_alu instid0(VALU_DEP_1) | instskip(SKIP_1) | instid1(VALU_DEP_2)
	v_dual_cndmask_b32 v5, v7, v5 :: v_dual_cndmask_b32 v4, v6, v4
	v_cmp_o_f64_e32 vcc_lo, v[2:3], v[2:3]
	v_ldexp_f64 v[4:5], v[4:5], v12
	s_delay_alu instid0(VALU_DEP_1) | instskip(NEXT) | instid1(VALU_DEP_2)
	v_cndmask_b32_e32 v4, 0, v4, vcc_lo
	v_cndmask_b32_e32 v5, 0x7ff80000, v5, vcc_lo
	s_delay_alu instid0(VALU_DEP_2) | instskip(NEXT) | instid1(VALU_DEP_2)
	v_cndmask_b32_e64 v4, v4, 0, s19
	v_cndmask_b32_e64 v5, v5, 0x7ff00000, s19
	s_and_saveexec_b32 s19, s1
	s_delay_alu instid0(SALU_CYCLE_1)
	s_xor_b32 s1, exec_lo, s19
	s_cbranch_execz .LBB224_31
; %bb.22:
	s_delay_alu instid0(VALU_DEP_1) | instskip(NEXT) | instid1(VALU_DEP_1)
	v_add_f64 v[0:1], v[0:1], v[4:5]
	v_mul_f64 v[0:1], v[0:1], 0.5
	s_delay_alu instid0(VALU_DEP_1) | instskip(SKIP_1) | instid1(VALU_DEP_1)
	v_cmp_gt_f64_e32 vcc_lo, 0x10000000, v[0:1]
	v_cndmask_b32_e64 v4, 0, 1, vcc_lo
	v_lshlrev_b32_e32 v4, 8, v4
	s_delay_alu instid0(VALU_DEP_1) | instskip(NEXT) | instid1(VALU_DEP_1)
	v_ldexp_f64 v[0:1], v[0:1], v4
	v_rsq_f64_e32 v[4:5], v[0:1]
	s_waitcnt_depctr 0xfff
	v_mul_f64 v[6:7], v[0:1], v[4:5]
	v_mul_f64 v[4:5], v[4:5], 0.5
	s_delay_alu instid0(VALU_DEP_1) | instskip(NEXT) | instid1(VALU_DEP_1)
	v_fma_f64 v[8:9], -v[4:5], v[6:7], 0.5
	v_fma_f64 v[6:7], v[6:7], v[8:9], v[6:7]
	v_fma_f64 v[4:5], v[4:5], v[8:9], v[4:5]
	s_delay_alu instid0(VALU_DEP_2) | instskip(NEXT) | instid1(VALU_DEP_1)
	v_fma_f64 v[8:9], -v[6:7], v[6:7], v[0:1]
	v_fma_f64 v[6:7], v[8:9], v[4:5], v[6:7]
	s_delay_alu instid0(VALU_DEP_1) | instskip(NEXT) | instid1(VALU_DEP_1)
	v_fma_f64 v[8:9], -v[6:7], v[6:7], v[0:1]
	v_fma_f64 v[4:5], v[8:9], v[4:5], v[6:7]
	v_cndmask_b32_e64 v6, 0, 0xffffff80, vcc_lo
	v_cmp_class_f64_e64 vcc_lo, v[0:1], 0x260
	s_delay_alu instid0(VALU_DEP_2) | instskip(NEXT) | instid1(VALU_DEP_1)
	v_ldexp_f64 v[4:5], v[4:5], v6
	v_dual_cndmask_b32 v1, v5, v1 :: v_dual_cndmask_b32 v0, v4, v0
	s_delay_alu instid0(VALU_DEP_1) | instskip(NEXT) | instid1(VALU_DEP_1)
	v_add_f64 v[4:5], v[0:1], v[0:1]
	v_div_scale_f64 v[6:7], null, v[4:5], v[4:5], v[2:3]
	s_delay_alu instid0(VALU_DEP_1) | instskip(SKIP_2) | instid1(VALU_DEP_1)
	v_rcp_f64_e32 v[8:9], v[6:7]
	s_waitcnt_depctr 0xfff
	v_fma_f64 v[10:11], -v[6:7], v[8:9], 1.0
	v_fma_f64 v[8:9], v[8:9], v[10:11], v[8:9]
	s_delay_alu instid0(VALU_DEP_1) | instskip(NEXT) | instid1(VALU_DEP_1)
	v_fma_f64 v[10:11], -v[6:7], v[8:9], 1.0
	v_fma_f64 v[8:9], v[8:9], v[10:11], v[8:9]
	v_div_scale_f64 v[10:11], vcc_lo, v[2:3], v[4:5], v[2:3]
	s_delay_alu instid0(VALU_DEP_1) | instskip(NEXT) | instid1(VALU_DEP_1)
	v_mul_f64 v[12:13], v[10:11], v[8:9]
	v_fma_f64 v[6:7], -v[6:7], v[12:13], v[10:11]
	s_delay_alu instid0(VALU_DEP_1) | instskip(NEXT) | instid1(VALU_DEP_1)
	v_div_fmas_f64 v[6:7], v[6:7], v[8:9], v[12:13]
	v_div_fixup_f64 v[2:3], v[6:7], v[4:5], v[2:3]
                                        ; implicit-def: $vgpr4_vgpr5
	s_and_not1_saveexec_b32 s1, s1
	s_cbranch_execnz .LBB224_32
.LBB224_23:
	s_or_b32 exec_lo, exec_lo, s1
	s_and_saveexec_b32 s1, s0
	s_delay_alu instid0(SALU_CYCLE_1)
	s_xor_b32 s0, exec_lo, s1
	s_cbranch_execz .LBB224_33
.LBB224_24:
	s_and_saveexec_b32 s1, s18
; %bb.25:
	s_delay_alu instid0(VALU_DEP_2) | instskip(NEXT) | instid1(VALU_DEP_2)
	v_mul_f64 v[0:1], v[0:1], 0.5
	v_mul_f64 v[2:3], v[2:3], 0.5
; %bb.26:
	s_or_b32 exec_lo, exec_lo, s1
	s_and_not1_saveexec_b32 s0, s0
	s_cbranch_execnz .LBB224_34
	s_branch .LBB224_35
.LBB224_27:
	s_mov_b32 s8, 0
                                        ; implicit-def: $vgpr2_vgpr3
	s_cbranch_execnz .LBB224_203
	s_branch .LBB224_236
.LBB224_28:
	s_mov_b32 s0, -1
	s_mov_b32 s8, 0
                                        ; implicit-def: $vgpr2_vgpr3
	s_branch .LBB224_182
.LBB224_29:
	s_mov_b32 s0, -1
	s_mov_b32 s8, 0
                                        ; implicit-def: $vgpr2_vgpr3
	s_branch .LBB224_176
.LBB224_30:
	s_mov_b32 s0, -1
	s_branch .LBB224_60
.LBB224_31:
	s_and_not1_saveexec_b32 s1, s1
	s_cbranch_execz .LBB224_23
.LBB224_32:
	v_add_f64 v[0:1], v[4:5], -v[0:1]
	s_delay_alu instid0(VALU_DEP_1) | instskip(NEXT) | instid1(VALU_DEP_1)
	v_mul_f64 v[0:1], v[0:1], 0.5
	v_cmp_gt_f64_e32 vcc_lo, 0x10000000, v[0:1]
	v_cndmask_b32_e64 v4, 0, 1, vcc_lo
	s_delay_alu instid0(VALU_DEP_1) | instskip(NEXT) | instid1(VALU_DEP_1)
	v_lshlrev_b32_e32 v4, 8, v4
	v_ldexp_f64 v[0:1], v[0:1], v4
	s_delay_alu instid0(VALU_DEP_1) | instskip(SKIP_3) | instid1(VALU_DEP_1)
	v_rsq_f64_e32 v[4:5], v[0:1]
	s_waitcnt_depctr 0xfff
	v_mul_f64 v[6:7], v[0:1], v[4:5]
	v_mul_f64 v[4:5], v[4:5], 0.5
	v_fma_f64 v[8:9], -v[4:5], v[6:7], 0.5
	s_delay_alu instid0(VALU_DEP_1) | instskip(SKIP_1) | instid1(VALU_DEP_2)
	v_fma_f64 v[6:7], v[6:7], v[8:9], v[6:7]
	v_fma_f64 v[4:5], v[4:5], v[8:9], v[4:5]
	v_fma_f64 v[8:9], -v[6:7], v[6:7], v[0:1]
	s_delay_alu instid0(VALU_DEP_1) | instskip(NEXT) | instid1(VALU_DEP_1)
	v_fma_f64 v[6:7], v[8:9], v[4:5], v[6:7]
	v_fma_f64 v[8:9], -v[6:7], v[6:7], v[0:1]
	s_delay_alu instid0(VALU_DEP_1) | instskip(SKIP_3) | instid1(VALU_DEP_3)
	v_fma_f64 v[4:5], v[8:9], v[4:5], v[6:7]
	v_cndmask_b32_e64 v6, 0, 0xffffff80, vcc_lo
	v_cmp_class_f64_e64 vcc_lo, v[0:1], 0x260
	v_and_b32_e32 v7, 0x7fffffff, v3
	v_ldexp_f64 v[4:5], v[4:5], v6
	s_delay_alu instid0(VALU_DEP_1) | instskip(NEXT) | instid1(VALU_DEP_1)
	v_dual_cndmask_b32 v5, v5, v1 :: v_dual_cndmask_b32 v4, v4, v0
	v_add_f64 v[0:1], v[4:5], v[4:5]
	v_bfi_b32 v5, 0x7fffffff, v5, v3
	v_mov_b32_e32 v6, v2
	s_delay_alu instid0(VALU_DEP_1) | instskip(SKIP_1) | instid1(VALU_DEP_2)
	v_div_scale_f64 v[8:9], null, v[0:1], v[0:1], v[6:7]
	v_div_scale_f64 v[6:7], vcc_lo, v[6:7], v[0:1], v[6:7]
	v_rcp_f64_e32 v[10:11], v[8:9]
	s_waitcnt_depctr 0xfff
	v_fma_f64 v[12:13], -v[8:9], v[10:11], 1.0
	s_delay_alu instid0(VALU_DEP_1) | instskip(NEXT) | instid1(VALU_DEP_1)
	v_fma_f64 v[10:11], v[10:11], v[12:13], v[10:11]
	v_fma_f64 v[12:13], -v[8:9], v[10:11], 1.0
	s_delay_alu instid0(VALU_DEP_1) | instskip(NEXT) | instid1(VALU_DEP_1)
	v_fma_f64 v[10:11], v[10:11], v[12:13], v[10:11]
	v_mul_f64 v[12:13], v[6:7], v[10:11]
	s_delay_alu instid0(VALU_DEP_1) | instskip(NEXT) | instid1(VALU_DEP_1)
	v_fma_f64 v[6:7], -v[8:9], v[12:13], v[6:7]
	v_div_fmas_f64 v[6:7], v[6:7], v[10:11], v[12:13]
	s_delay_alu instid0(VALU_DEP_1) | instskip(SKIP_3) | instid1(SALU_CYCLE_1)
	v_div_fixup_f64 v[0:1], v[6:7], v[0:1], |v[2:3]|
	v_dual_mov_b32 v2, v4 :: v_dual_mov_b32 v3, v5
	s_or_b32 exec_lo, exec_lo, s1
	s_and_saveexec_b32 s1, s0
	s_xor_b32 s0, exec_lo, s1
	s_cbranch_execnz .LBB224_24
.LBB224_33:
	s_and_not1_saveexec_b32 s0, s0
.LBB224_34:
	s_delay_alu instid0(VALU_DEP_2) | instskip(NEXT) | instid1(VALU_DEP_2)
	v_add_f64 v[0:1], v[0:1], v[0:1]
	v_add_f64 v[2:3], v[2:3], v[2:3]
.LBB224_35:
	s_or_b32 exec_lo, exec_lo, s0
.LBB224_36:
	s_and_not1_saveexec_b32 s0, s17
	s_cbranch_execz .LBB224_42
; %bb.37:
	s_delay_alu instid0(VALU_DEP_1) | instskip(SKIP_1) | instid1(VALU_DEP_3)
	v_add_f64 v[4:5], v[2:3], -v[2:3]
	s_mov_b32 s1, exec_lo
	v_cmpx_lt_i64_e32 -1, v[0:1]
	s_xor_b32 s1, exec_lo, s1
; %bb.38:
	s_delay_alu instid0(VALU_DEP_2) | instskip(NEXT) | instid1(VALU_DEP_1)
	v_bfi_b32 v5, 0x7fffffff, v5, v3
	v_dual_mov_b32 v2, v4 :: v_dual_mov_b32 v3, v5
                                        ; implicit-def: $vgpr4_vgpr5
; %bb.39:
	s_and_not1_saveexec_b32 s1, s1
; %bb.40:
	s_delay_alu instid0(VALU_DEP_1) | instskip(SKIP_1) | instid1(VALU_DEP_2)
	v_bfi_b32 v1, 0x7fffffff, v1, v3
	v_and_b32_e32 v5, 0x7fffffff, v5
	v_dual_mov_b32 v3, v1 :: v_dual_mov_b32 v2, v0
	s_delay_alu instid0(VALU_DEP_2)
	v_dual_mov_b32 v0, v4 :: v_dual_mov_b32 v1, v5
; %bb.41:
	s_or_b32 exec_lo, exec_lo, s1
.LBB224_42:
	s_delay_alu instid0(SALU_CYCLE_1)
	s_or_b32 exec_lo, exec_lo, s0
.LBB224_43:
	s_and_not1_saveexec_b32 s0, s12
; %bb.44:
	s_delay_alu instid0(VALU_DEP_1) | instskip(NEXT) | instid1(VALU_DEP_1)
	v_add_f64 v[2:3], v[2:3], -v[2:3]
	v_div_scale_f64 v[4:5], vcc_lo, v[2:3], v[2:3], v[2:3]
	s_delay_alu instid0(VALU_DEP_1) | instskip(SKIP_2) | instid1(VALU_DEP_1)
	v_rcp_f64_e32 v[6:7], v[4:5]
	s_waitcnt_depctr 0xfff
	v_fma_f64 v[8:9], -v[4:5], v[6:7], 1.0
	v_fma_f64 v[6:7], v[6:7], v[8:9], v[6:7]
	s_delay_alu instid0(VALU_DEP_1) | instskip(NEXT) | instid1(VALU_DEP_1)
	v_fma_f64 v[8:9], -v[4:5], v[6:7], 1.0
	v_fma_f64 v[6:7], v[6:7], v[8:9], v[6:7]
	s_delay_alu instid0(VALU_DEP_1) | instskip(NEXT) | instid1(VALU_DEP_1)
	v_mul_f64 v[8:9], v[4:5], v[6:7]
	v_fma_f64 v[4:5], -v[4:5], v[8:9], v[4:5]
	s_delay_alu instid0(VALU_DEP_1) | instskip(NEXT) | instid1(VALU_DEP_1)
	v_div_fmas_f64 v[4:5], v[4:5], v[6:7], v[8:9]
	v_div_fixup_f64 v[2:3], v[4:5], v[2:3], v[2:3]
; %bb.45:
	s_or_b32 exec_lo, exec_lo, s0
	v_dual_mov_b32 v5, v1 :: v_dual_mov_b32 v4, v0
.LBB224_46:
	s_or_b32 exec_lo, exec_lo, s9
.LBB224_47:
	s_delay_alu instid0(SALU_CYCLE_1) | instskip(SKIP_2) | instid1(VALU_DEP_1)
	s_or_b32 exec_lo, exec_lo, s8
	v_mul_lo_u32 v0, v21, s2
	v_and_b32_e32 v8, 0xff, v20
	v_cmp_gt_i16_e32 vcc_lo, 11, v8
	s_delay_alu instid0(VALU_DEP_3) | instskip(SKIP_1) | instid1(VALU_DEP_1)
	v_ashrrev_i32_e32 v1, 31, v0
	v_add_co_u32 v0, s0, s4, v0
	v_add_co_ci_u32_e64 v1, s0, s5, v1, s0
	s_cbranch_vccnz .LBB224_54
; %bb.48:
	v_cmp_lt_i16_e32 vcc_lo, 25, v8
	s_cbranch_vccz .LBB224_56
; %bb.49:
	v_cmp_lt_i16_e32 vcc_lo, 28, v8
	s_cbranch_vccz .LBB224_57
	;; [unrolled: 3-line block ×4, first 2 shown]
; %bb.52:
	v_cmp_eq_u16_e32 vcc_lo, 46, v8
	s_mov_b32 s8, 0
	s_mov_b32 s0, -1
	s_mov_b32 s1, 0
	s_cbranch_vccz .LBB224_65
; %bb.53:
	v_cvt_f32_f64_e32 v6, v[2:3]
	v_cvt_f32_f64_e32 v7, v[4:5]
	s_mov_b32 s1, -1
	s_mov_b32 s0, 0
	s_delay_alu instid0(VALU_DEP_2) | instskip(NEXT) | instid1(VALU_DEP_2)
	v_bfe_u32 v9, v6, 16, 1
	v_bfe_u32 v10, v7, 16, 1
	v_cmp_o_f32_e32 vcc_lo, v6, v6
	s_delay_alu instid0(VALU_DEP_3) | instskip(NEXT) | instid1(VALU_DEP_3)
	v_add3_u32 v9, v6, v9, 0x7fff
	v_add3_u32 v10, v7, v10, 0x7fff
	s_delay_alu instid0(VALU_DEP_2) | instskip(NEXT) | instid1(VALU_DEP_2)
	v_and_b32_e32 v9, 0xffff0000, v9
	v_lshrrev_b32_e32 v10, 16, v10
	s_delay_alu instid0(VALU_DEP_2) | instskip(SKIP_1) | instid1(VALU_DEP_3)
	v_cndmask_b32_e32 v6, 0x7fc00000, v9, vcc_lo
	v_cmp_o_f32_e32 vcc_lo, v7, v7
	v_cndmask_b32_e32 v7, 0x7fc0, v10, vcc_lo
	s_delay_alu instid0(VALU_DEP_1)
	v_or_b32_e32 v6, v6, v7
	global_store_b32 v[0:1], v6, off
	s_branch .LBB224_65
.LBB224_54:
	s_mov_b32 s0, 0
	s_mov_b32 s1, 0
	s_cbranch_execnz .LBB224_134
.LBB224_55:
	s_and_not1_b32 vcc_lo, exec_lo, s1
	s_cbranch_vccnz .LBB224_287
	s_branch .LBB224_172
.LBB224_56:
	s_mov_b32 s8, -1
	s_mov_b32 s0, 0
	s_mov_b32 s1, 0
	s_branch .LBB224_92
.LBB224_57:
	s_mov_b32 s8, -1
	s_mov_b32 s0, 0
	s_mov_b32 s1, 0
	s_branch .LBB224_75
.LBB224_58:
	s_mov_b32 s8, -1
	s_mov_b32 s0, 0
	s_mov_b32 s1, 0
	s_branch .LBB224_71
.LBB224_59:
	s_mov_b32 s14, -1
.LBB224_60:
	s_mov_b32 s8, 0
                                        ; implicit-def: $vgpr2_vgpr3
.LBB224_61:
	s_and_b32 vcc_lo, exec_lo, s0
	s_cbranch_vccz .LBB224_175
; %bb.62:
	v_cmp_eq_u16_e32 vcc_lo, 44, v22
	s_cbranch_vccz .LBB224_173
; %bb.63:
	global_load_u8 v2, v[4:5], off
	s_mov_b32 s14, 0
	s_mov_b32 s8, -1
	s_mov_b64 s[0:1], 0
	s_waitcnt vmcnt(0)
	v_cmp_ne_u32_e32 vcc_lo, 0xff, v2
	v_lshlrev_b32_e32 v0, 23, v2
	s_delay_alu instid0(VALU_DEP_1) | instskip(NEXT) | instid1(VALU_DEP_1)
	v_cvt_f64_f32_e32 v[0:1], v0
	v_cndmask_b32_e32 v1, 0x7ff80000, v1, vcc_lo
	s_delay_alu instid0(VALU_DEP_2) | instskip(SKIP_1) | instid1(VALU_DEP_3)
	v_cndmask_b32_e32 v0, 0x20000000, v0, vcc_lo
	v_cmp_ne_u32_e32 vcc_lo, 0, v2
	v_cndmask_b32_e32 v1, 0x38000000, v1, vcc_lo
	s_delay_alu instid0(VALU_DEP_3)
	v_cndmask_b32_e32 v0, 0, v0, vcc_lo
	s_branch .LBB224_174
.LBB224_64:
	s_mov_b32 s8, -1
	s_mov_b32 s0, 0
	s_mov_b32 s1, 0
.LBB224_65:
	s_and_b32 vcc_lo, exec_lo, s8
	s_cbranch_vccz .LBB224_70
; %bb.66:
	v_cmp_eq_u16_e32 vcc_lo, 44, v8
	s_mov_b32 s0, -1
	s_cbranch_vccz .LBB224_70
; %bb.67:
	v_cvt_f32_f64_e32 v6, v[4:5]
	v_mov_b32_e32 v7, 0xff
	s_mov_b32 s1, exec_lo
	s_delay_alu instid0(VALU_DEP_2) | instskip(NEXT) | instid1(VALU_DEP_1)
	v_bfe_u32 v9, v6, 23, 8
	v_cmpx_ne_u32_e32 0xff, v9
; %bb.68:
	v_and_b32_e32 v7, 0x400000, v6
	v_and_or_b32 v9, 0x3fffff, v6, v9
	v_lshrrev_b32_e32 v6, 23, v6
	s_delay_alu instid0(VALU_DEP_3) | instskip(NEXT) | instid1(VALU_DEP_3)
	v_cmp_ne_u32_e32 vcc_lo, 0, v7
	v_cmp_ne_u32_e64 s0, 0, v9
	s_delay_alu instid0(VALU_DEP_1) | instskip(NEXT) | instid1(SALU_CYCLE_1)
	s_and_b32 s0, vcc_lo, s0
	v_cndmask_b32_e64 v7, 0, 1, s0
	s_delay_alu instid0(VALU_DEP_1)
	v_add_nc_u32_e32 v7, v6, v7
; %bb.69:
	s_or_b32 exec_lo, exec_lo, s1
	s_mov_b32 s1, -1
	s_mov_b32 s0, 0
	global_store_b8 v[0:1], v7, off
.LBB224_70:
	s_mov_b32 s8, 0
.LBB224_71:
	s_delay_alu instid0(SALU_CYCLE_1)
	s_and_b32 vcc_lo, exec_lo, s8
	s_cbranch_vccz .LBB224_74
; %bb.72:
	v_cmp_eq_u16_e32 vcc_lo, 29, v8
	s_mov_b32 s0, -1
	s_cbranch_vccz .LBB224_74
; %bb.73:
	v_trunc_f64_e32 v[6:7], v[4:5]
	s_mov_b32 s1, -1
	s_mov_b32 s0, 0
	s_mov_b32 s8, 0
	s_delay_alu instid0(VALU_DEP_1) | instskip(NEXT) | instid1(VALU_DEP_1)
	v_ldexp_f64 v[9:10], v[6:7], 0xffffffe0
	v_floor_f64_e32 v[9:10], v[9:10]
	s_delay_alu instid0(VALU_DEP_1) | instskip(SKIP_1) | instid1(VALU_DEP_2)
	v_fma_f64 v[6:7], 0xc1f00000, v[9:10], v[6:7]
	v_cvt_u32_f64_e32 v10, v[9:10]
	v_cvt_u32_f64_e32 v9, v[6:7]
	global_store_b64 v[0:1], v[9:10], off
	s_branch .LBB224_75
.LBB224_74:
	s_mov_b32 s8, 0
.LBB224_75:
	s_delay_alu instid0(SALU_CYCLE_1)
	s_and_b32 vcc_lo, exec_lo, s8
	s_cbranch_vccz .LBB224_91
; %bb.76:
	v_cmp_gt_i16_e32 vcc_lo, 27, v8
	s_mov_b32 s1, -1
	s_cbranch_vccnz .LBB224_82
; %bb.77:
	v_cmp_lt_i16_e32 vcc_lo, 27, v8
	s_cbranch_vccz .LBB224_79
; %bb.78:
	v_cvt_u32_f64_e32 v6, v[4:5]
	s_mov_b32 s1, 0
	global_store_b32 v[0:1], v6, off
.LBB224_79:
	s_and_not1_b32 vcc_lo, exec_lo, s1
	s_cbranch_vccnz .LBB224_81
; %bb.80:
	v_cvt_u32_f64_e32 v6, v[4:5]
	global_store_b16 v[0:1], v6, off
.LBB224_81:
	s_mov_b32 s1, 0
.LBB224_82:
	s_delay_alu instid0(SALU_CYCLE_1)
	s_and_not1_b32 vcc_lo, exec_lo, s1
	s_cbranch_vccnz .LBB224_90
; %bb.83:
	v_cvt_f32_f64_e32 v6, v[4:5]
	v_mov_b32_e32 v9, 0x80
	s_mov_b32 s1, exec_lo
	s_delay_alu instid0(VALU_DEP_2) | instskip(NEXT) | instid1(VALU_DEP_1)
	v_and_b32_e32 v7, 0x7fffffff, v6
	v_cmpx_gt_u32_e32 0x43800000, v7
	s_cbranch_execz .LBB224_89
; %bb.84:
	v_cmp_lt_u32_e32 vcc_lo, 0x3bffffff, v7
	s_mov_b32 s8, 0
                                        ; implicit-def: $vgpr7
	s_and_saveexec_b32 s9, vcc_lo
	s_delay_alu instid0(SALU_CYCLE_1)
	s_xor_b32 s9, exec_lo, s9
	s_cbranch_execz .LBB224_319
; %bb.85:
	v_bfe_u32 v7, v6, 20, 1
	s_mov_b32 s8, exec_lo
	s_delay_alu instid0(VALU_DEP_1) | instskip(NEXT) | instid1(VALU_DEP_1)
	v_add3_u32 v7, v6, v7, 0x487ffff
	v_lshrrev_b32_e32 v7, 20, v7
	s_or_saveexec_b32 s9, s9
                                        ; implicit-def: $sgpr12
	s_delay_alu instid0(SALU_CYCLE_1)
	s_xor_b32 exec_lo, exec_lo, s9
	s_cbranch_execnz .LBB224_320
.LBB224_86:
	s_or_b32 exec_lo, exec_lo, s9
	v_mov_b32_e32 v9, s12
	s_and_saveexec_b32 s9, s8
.LBB224_87:
	v_lshrrev_b32_e32 v6, 24, v6
	s_delay_alu instid0(VALU_DEP_1)
	v_and_or_b32 v9, 0x80, v6, v7
.LBB224_88:
	s_or_b32 exec_lo, exec_lo, s9
.LBB224_89:
	s_delay_alu instid0(SALU_CYCLE_1)
	s_or_b32 exec_lo, exec_lo, s1
	global_store_b8 v[0:1], v9, off
.LBB224_90:
	s_mov_b32 s1, -1
.LBB224_91:
	s_mov_b32 s8, 0
.LBB224_92:
	s_delay_alu instid0(SALU_CYCLE_1)
	s_and_b32 vcc_lo, exec_lo, s8
	s_cbranch_vccz .LBB224_133
; %bb.93:
	v_cmp_lt_i16_e32 vcc_lo, 22, v8
	s_mov_b32 s8, -1
	s_cbranch_vccz .LBB224_125
; %bb.94:
	v_cmp_gt_i16_e32 vcc_lo, 24, v8
	s_mov_b32 s1, -1
	s_cbranch_vccnz .LBB224_114
; %bb.95:
	v_cmp_lt_i16_e32 vcc_lo, 24, v8
	s_cbranch_vccz .LBB224_103
; %bb.96:
	v_cvt_f32_f64_e32 v6, v[4:5]
	v_mov_b32_e32 v9, 0x80
	s_mov_b32 s1, exec_lo
	s_delay_alu instid0(VALU_DEP_2) | instskip(NEXT) | instid1(VALU_DEP_1)
	v_and_b32_e32 v7, 0x7fffffff, v6
	v_cmpx_gt_u32_e32 0x47800000, v7
	s_cbranch_execz .LBB224_102
; %bb.97:
	v_cmp_lt_u32_e32 vcc_lo, 0x37ffffff, v7
	s_mov_b32 s8, 0
                                        ; implicit-def: $vgpr7
	s_and_saveexec_b32 s9, vcc_lo
	s_delay_alu instid0(SALU_CYCLE_1)
	s_xor_b32 s9, exec_lo, s9
	s_cbranch_execz .LBB224_349
; %bb.98:
	v_bfe_u32 v7, v6, 21, 1
	s_mov_b32 s8, exec_lo
	s_delay_alu instid0(VALU_DEP_1) | instskip(NEXT) | instid1(VALU_DEP_1)
	v_add3_u32 v7, v6, v7, 0x88fffff
	v_lshrrev_b32_e32 v7, 21, v7
	s_or_saveexec_b32 s9, s9
                                        ; implicit-def: $sgpr12
	s_delay_alu instid0(SALU_CYCLE_1)
	s_xor_b32 exec_lo, exec_lo, s9
	s_cbranch_execnz .LBB224_350
.LBB224_99:
	s_or_b32 exec_lo, exec_lo, s9
	v_mov_b32_e32 v9, s12
	s_and_saveexec_b32 s9, s8
.LBB224_100:
	v_lshrrev_b32_e32 v6, 24, v6
	s_delay_alu instid0(VALU_DEP_1)
	v_and_or_b32 v9, 0x80, v6, v7
.LBB224_101:
	s_or_b32 exec_lo, exec_lo, s9
.LBB224_102:
	s_delay_alu instid0(SALU_CYCLE_1)
	s_or_b32 exec_lo, exec_lo, s1
	s_mov_b32 s1, 0
	global_store_b8 v[0:1], v9, off
.LBB224_103:
	s_and_b32 vcc_lo, exec_lo, s1
	s_cbranch_vccz .LBB224_113
; %bb.104:
	v_cvt_f32_f64_e32 v6, v[4:5]
	s_mov_b32 s1, exec_lo
                                        ; implicit-def: $vgpr7
	s_delay_alu instid0(VALU_DEP_1) | instskip(NEXT) | instid1(VALU_DEP_1)
	v_and_b32_e32 v9, 0x7fffffff, v6
	v_cmpx_gt_u32_e32 0x43f00000, v9
	s_xor_b32 s1, exec_lo, s1
	s_cbranch_execz .LBB224_110
; %bb.105:
	s_mov_b32 s8, exec_lo
                                        ; implicit-def: $vgpr7
	v_cmpx_lt_u32_e32 0x3c7fffff, v9
	s_xor_b32 s8, exec_lo, s8
; %bb.106:
	v_bfe_u32 v7, v6, 20, 1
	s_delay_alu instid0(VALU_DEP_1) | instskip(NEXT) | instid1(VALU_DEP_1)
	v_add3_u32 v7, v6, v7, 0x407ffff
	v_and_b32_e32 v9, 0xff00000, v7
	v_lshrrev_b32_e32 v7, 20, v7
	s_delay_alu instid0(VALU_DEP_2) | instskip(NEXT) | instid1(VALU_DEP_2)
	v_cmp_ne_u32_e32 vcc_lo, 0x7f00000, v9
	v_cndmask_b32_e32 v7, 0x7e, v7, vcc_lo
; %bb.107:
	s_and_not1_saveexec_b32 s8, s8
; %bb.108:
	v_add_f32_e64 v7, 0x46800000, |v6|
; %bb.109:
	s_or_b32 exec_lo, exec_lo, s8
                                        ; implicit-def: $vgpr9
.LBB224_110:
	s_and_not1_saveexec_b32 s1, s1
; %bb.111:
	v_mov_b32_e32 v7, 0x7f
	v_cmp_lt_u32_e32 vcc_lo, 0x7f800000, v9
	s_delay_alu instid0(VALU_DEP_2)
	v_cndmask_b32_e32 v7, 0x7e, v7, vcc_lo
; %bb.112:
	s_or_b32 exec_lo, exec_lo, s1
	v_lshrrev_b32_e32 v6, 24, v6
	s_delay_alu instid0(VALU_DEP_1)
	v_and_or_b32 v6, 0x80, v6, v7
	global_store_b8 v[0:1], v6, off
.LBB224_113:
	s_mov_b32 s1, 0
.LBB224_114:
	s_delay_alu instid0(SALU_CYCLE_1)
	s_and_not1_b32 vcc_lo, exec_lo, s1
	s_cbranch_vccnz .LBB224_124
; %bb.115:
	v_cvt_f32_f64_e32 v6, v[4:5]
	s_mov_b32 s1, exec_lo
                                        ; implicit-def: $vgpr7
	s_delay_alu instid0(VALU_DEP_1) | instskip(NEXT) | instid1(VALU_DEP_1)
	v_and_b32_e32 v9, 0x7fffffff, v6
	v_cmpx_gt_u32_e32 0x47800000, v9
	s_xor_b32 s1, exec_lo, s1
	s_cbranch_execz .LBB224_121
; %bb.116:
	s_mov_b32 s8, exec_lo
                                        ; implicit-def: $vgpr7
	v_cmpx_lt_u32_e32 0x387fffff, v9
	s_xor_b32 s8, exec_lo, s8
; %bb.117:
	v_bfe_u32 v7, v6, 21, 1
	s_delay_alu instid0(VALU_DEP_1) | instskip(NEXT) | instid1(VALU_DEP_1)
	v_add3_u32 v7, v6, v7, 0x80fffff
	v_lshrrev_b32_e32 v7, 21, v7
; %bb.118:
	s_and_not1_saveexec_b32 s8, s8
; %bb.119:
	v_add_f32_e64 v7, 0x43000000, |v6|
; %bb.120:
	s_or_b32 exec_lo, exec_lo, s8
                                        ; implicit-def: $vgpr9
.LBB224_121:
	s_and_not1_saveexec_b32 s1, s1
; %bb.122:
	v_mov_b32_e32 v7, 0x7f
	v_cmp_lt_u32_e32 vcc_lo, 0x7f800000, v9
	s_delay_alu instid0(VALU_DEP_2)
	v_cndmask_b32_e32 v7, 0x7c, v7, vcc_lo
; %bb.123:
	s_or_b32 exec_lo, exec_lo, s1
	v_lshrrev_b32_e32 v6, 24, v6
	s_delay_alu instid0(VALU_DEP_1)
	v_and_or_b32 v6, 0x80, v6, v7
	global_store_b8 v[0:1], v6, off
.LBB224_124:
	s_mov_b32 s8, 0
	s_mov_b32 s1, -1
.LBB224_125:
	s_and_not1_b32 vcc_lo, exec_lo, s8
	s_cbranch_vccnz .LBB224_133
; %bb.126:
	v_cmp_lt_i16_e32 vcc_lo, 14, v8
	s_mov_b32 s8, -1
	s_cbranch_vccz .LBB224_130
; %bb.127:
	v_cmp_eq_u16_e32 vcc_lo, 15, v8
	s_mov_b32 s0, -1
	s_cbranch_vccz .LBB224_129
; %bb.128:
	v_cvt_f32_f64_e32 v6, v[4:5]
	s_mov_b32 s1, -1
	s_mov_b32 s0, 0
	s_delay_alu instid0(VALU_DEP_1) | instskip(SKIP_1) | instid1(VALU_DEP_2)
	v_bfe_u32 v7, v6, 16, 1
	v_cmp_o_f32_e32 vcc_lo, v6, v6
	v_add3_u32 v7, v6, v7, 0x7fff
	s_delay_alu instid0(VALU_DEP_1) | instskip(NEXT) | instid1(VALU_DEP_1)
	v_lshrrev_b32_e32 v7, 16, v7
	v_cndmask_b32_e32 v6, 0x7fc0, v7, vcc_lo
	global_store_b16 v[0:1], v6, off
.LBB224_129:
	s_mov_b32 s8, 0
.LBB224_130:
	s_delay_alu instid0(SALU_CYCLE_1)
	s_and_b32 vcc_lo, exec_lo, s8
	s_cbranch_vccz .LBB224_133
; %bb.131:
	v_cmp_eq_u16_e32 vcc_lo, 11, v8
	s_mov_b32 s0, -1
	s_cbranch_vccz .LBB224_133
; %bb.132:
	v_cmp_neq_f64_e32 vcc_lo, 0, v[4:5]
	v_cmp_neq_f64_e64 s0, 0, v[2:3]
	s_mov_b32 s1, -1
	s_delay_alu instid0(VALU_DEP_1) | instskip(NEXT) | instid1(SALU_CYCLE_1)
	s_or_b32 s0, vcc_lo, s0
	v_cndmask_b32_e64 v6, 0, 1, s0
	s_mov_b32 s0, 0
	global_store_b8 v[0:1], v6, off
.LBB224_133:
	s_branch .LBB224_55
.LBB224_134:
	v_cmp_gt_i16_e32 vcc_lo, 5, v8
	s_mov_b32 s1, -1
	s_cbranch_vccnz .LBB224_155
; %bb.135:
	v_cmp_gt_i16_e32 vcc_lo, 8, v8
	s_cbranch_vccnz .LBB224_145
; %bb.136:
	v_cmp_gt_i16_e32 vcc_lo, 9, v8
	s_cbranch_vccnz .LBB224_142
; %bb.137:
	v_cmp_lt_i16_e32 vcc_lo, 9, v8
	s_cbranch_vccz .LBB224_139
; %bb.138:
	v_dual_mov_b32 v6, v2 :: v_dual_mov_b32 v7, v3
	s_mov_b32 s1, 0
	global_store_b128 v[0:1], v[4:7], off
.LBB224_139:
	s_and_not1_b32 vcc_lo, exec_lo, s1
	s_cbranch_vccnz .LBB224_141
; %bb.140:
	v_cvt_f32_f64_e32 v6, v[4:5]
	v_cvt_f32_f64_e32 v7, v[2:3]
	global_store_b64 v[0:1], v[6:7], off
.LBB224_141:
	s_mov_b32 s1, 0
.LBB224_142:
	s_delay_alu instid0(SALU_CYCLE_1)
	s_and_not1_b32 vcc_lo, exec_lo, s1
	s_cbranch_vccnz .LBB224_144
; %bb.143:
	v_cvt_f32_f64_e32 v2, v[2:3]
	v_cvt_f32_f64_e32 v3, v[4:5]
	s_delay_alu instid0(VALU_DEP_2) | instskip(NEXT) | instid1(VALU_DEP_2)
	v_cvt_f16_f32_e32 v2, v2
	v_cvt_f16_f32_e32 v3, v3
	s_delay_alu instid0(VALU_DEP_2) | instskip(NEXT) | instid1(VALU_DEP_2)
	v_lshlrev_b32_e32 v2, 16, v2
	v_and_b32_e32 v3, 0xffff, v3
	s_delay_alu instid0(VALU_DEP_1)
	v_or_b32_e32 v2, v2, v3
	global_store_b32 v[0:1], v2, off
.LBB224_144:
	s_mov_b32 s1, 0
.LBB224_145:
	s_delay_alu instid0(SALU_CYCLE_1)
	s_and_not1_b32 vcc_lo, exec_lo, s1
	s_cbranch_vccnz .LBB224_154
; %bb.146:
	v_cmp_gt_i16_e32 vcc_lo, 6, v8
	s_mov_b32 s1, -1
	s_cbranch_vccnz .LBB224_152
; %bb.147:
	v_cmp_lt_i16_e32 vcc_lo, 6, v8
	s_cbranch_vccz .LBB224_149
; %bb.148:
	s_mov_b32 s1, 0
	global_store_b64 v[0:1], v[4:5], off
.LBB224_149:
	s_and_not1_b32 vcc_lo, exec_lo, s1
	s_cbranch_vccnz .LBB224_151
; %bb.150:
	v_cvt_f32_f64_e32 v2, v[4:5]
	global_store_b32 v[0:1], v2, off
.LBB224_151:
	s_mov_b32 s1, 0
.LBB224_152:
	s_delay_alu instid0(SALU_CYCLE_1)
	s_and_not1_b32 vcc_lo, exec_lo, s1
	s_cbranch_vccnz .LBB224_154
; %bb.153:
	v_cvt_f32_f64_e32 v2, v[4:5]
	s_delay_alu instid0(VALU_DEP_1)
	v_cvt_f16_f32_e32 v2, v2
	global_store_b16 v[0:1], v2, off
.LBB224_154:
	s_mov_b32 s1, 0
.LBB224_155:
	s_delay_alu instid0(SALU_CYCLE_1)
	s_and_not1_b32 vcc_lo, exec_lo, s1
	s_cbranch_vccnz .LBB224_171
; %bb.156:
	v_cmp_gt_i16_e32 vcc_lo, 2, v8
	s_mov_b32 s1, -1
	s_cbranch_vccnz .LBB224_166
; %bb.157:
	v_cmp_gt_i16_e32 vcc_lo, 3, v8
	s_cbranch_vccnz .LBB224_163
; %bb.158:
	v_cmp_lt_i16_e32 vcc_lo, 3, v8
	s_cbranch_vccz .LBB224_160
; %bb.159:
	v_trunc_f64_e32 v[2:3], v[4:5]
	s_mov_b32 s1, 0
	s_delay_alu instid0(VALU_DEP_1) | instskip(NEXT) | instid1(VALU_DEP_1)
	v_ldexp_f64 v[6:7], v[2:3], 0xffffffe0
	v_floor_f64_e32 v[6:7], v[6:7]
	s_delay_alu instid0(VALU_DEP_1) | instskip(SKIP_1) | instid1(VALU_DEP_2)
	v_fma_f64 v[2:3], 0xc1f00000, v[6:7], v[2:3]
	v_cvt_i32_f64_e32 v7, v[6:7]
	v_cvt_u32_f64_e32 v6, v[2:3]
	global_store_b64 v[0:1], v[6:7], off
.LBB224_160:
	s_and_not1_b32 vcc_lo, exec_lo, s1
	s_cbranch_vccnz .LBB224_162
; %bb.161:
	v_cvt_i32_f64_e32 v2, v[4:5]
	global_store_b32 v[0:1], v2, off
.LBB224_162:
	s_mov_b32 s1, 0
.LBB224_163:
	s_delay_alu instid0(SALU_CYCLE_1)
	s_and_not1_b32 vcc_lo, exec_lo, s1
	s_cbranch_vccnz .LBB224_165
; %bb.164:
	v_cvt_i32_f64_e32 v2, v[4:5]
	global_store_b16 v[0:1], v2, off
.LBB224_165:
	s_mov_b32 s1, 0
.LBB224_166:
	s_delay_alu instid0(SALU_CYCLE_1)
	s_and_not1_b32 vcc_lo, exec_lo, s1
	s_cbranch_vccnz .LBB224_171
; %bb.167:
	v_cmp_lt_i16_e32 vcc_lo, 0, v8
	s_mov_b32 s1, -1
	s_cbranch_vccz .LBB224_169
; %bb.168:
	v_cvt_i32_f64_e32 v2, v[4:5]
	s_mov_b32 s1, 0
	global_store_b8 v[0:1], v2, off
.LBB224_169:
	s_and_not1_b32 vcc_lo, exec_lo, s1
	s_cbranch_vccnz .LBB224_171
; %bb.170:
	v_trunc_f64_e32 v[2:3], v[4:5]
	s_delay_alu instid0(VALU_DEP_1) | instskip(NEXT) | instid1(VALU_DEP_1)
	v_ldexp_f64 v[4:5], v[2:3], 0xffffffe0
	v_floor_f64_e32 v[4:5], v[4:5]
	s_delay_alu instid0(VALU_DEP_1) | instskip(NEXT) | instid1(VALU_DEP_1)
	v_fma_f64 v[2:3], 0xc1f00000, v[4:5], v[2:3]
	v_cvt_u32_f64_e32 v2, v[2:3]
	global_store_b8 v[0:1], v2, off
.LBB224_171:
.LBB224_172:
	v_add_nc_u32_e32 v21, 0x80, v21
	s_mov_b32 s1, -1
	s_branch .LBB224_288
.LBB224_173:
	s_mov_b32 s14, -1
                                        ; implicit-def: $sgpr0_sgpr1
                                        ; implicit-def: $vgpr0_vgpr1
.LBB224_174:
	v_dual_mov_b32 v3, s1 :: v_dual_mov_b32 v2, s0
.LBB224_175:
	s_mov_b32 s0, 0
.LBB224_176:
	s_delay_alu instid0(SALU_CYCLE_1)
	s_and_b32 vcc_lo, exec_lo, s0
	s_cbranch_vccz .LBB224_181
; %bb.177:
	v_cmp_eq_u16_e32 vcc_lo, 29, v22
	s_cbranch_vccz .LBB224_179
; %bb.178:
	global_load_b64 v[0:1], v[4:5], off
	s_mov_b32 s8, -1
	s_mov_b32 s14, 0
	s_mov_b64 s[0:1], 0
	s_waitcnt vmcnt(0)
	v_cvt_f64_u32_e32 v[1:2], v1
	v_cvt_f64_u32_e32 v[6:7], v0
	s_delay_alu instid0(VALU_DEP_2) | instskip(NEXT) | instid1(VALU_DEP_1)
	v_ldexp_f64 v[1:2], v[1:2], 32
	v_add_f64 v[0:1], v[1:2], v[6:7]
	s_branch .LBB224_180
.LBB224_179:
	s_mov_b32 s14, -1
                                        ; implicit-def: $sgpr0_sgpr1
                                        ; implicit-def: $vgpr0_vgpr1
.LBB224_180:
	v_dual_mov_b32 v3, s1 :: v_dual_mov_b32 v2, s0
.LBB224_181:
	s_mov_b32 s0, 0
.LBB224_182:
	s_delay_alu instid0(SALU_CYCLE_1)
	s_and_b32 vcc_lo, exec_lo, s0
	s_cbranch_vccz .LBB224_202
; %bb.183:
	v_cmp_gt_i16_e32 vcc_lo, 27, v22
	s_cbranch_vccnz .LBB224_186
; %bb.184:
	v_cmp_lt_i16_e32 vcc_lo, 27, v22
	s_cbranch_vccz .LBB224_187
; %bb.185:
	global_load_b32 v0, v[4:5], off
	s_mov_b32 s8, 0
	s_mov_b64 s[0:1], 0
	s_waitcnt vmcnt(0)
	v_cvt_f64_u32_e32 v[0:1], v0
	s_branch .LBB224_188
.LBB224_186:
	s_mov_b32 s8, -1
                                        ; implicit-def: $sgpr0_sgpr1
                                        ; implicit-def: $vgpr0_vgpr1
	s_branch .LBB224_191
.LBB224_187:
	s_mov_b32 s8, -1
                                        ; implicit-def: $sgpr0_sgpr1
                                        ; implicit-def: $vgpr0_vgpr1
.LBB224_188:
	s_delay_alu instid0(SALU_CYCLE_1)
	s_and_not1_b32 vcc_lo, exec_lo, s8
	s_cbranch_vccnz .LBB224_190
; %bb.189:
	global_load_u16 v0, v[4:5], off
	s_mov_b64 s[0:1], 0
	s_waitcnt vmcnt(0)
	v_cvt_f64_u32_e32 v[0:1], v0
.LBB224_190:
	s_mov_b32 s8, 0
.LBB224_191:
	v_dual_mov_b32 v3, s1 :: v_dual_mov_b32 v2, s0
	s_and_not1_b32 vcc_lo, exec_lo, s8
	s_cbranch_vccnz .LBB224_201
; %bb.192:
	global_load_u8 v6, v[4:5], off
	s_mov_b32 s17, exec_lo
                                        ; implicit-def: $sgpr0_sgpr1
                                        ; implicit-def: $sgpr8_sgpr9
	s_waitcnt vmcnt(0)
	v_cmpx_lt_i16_e32 0x7f, v6
	s_xor_b32 s17, exec_lo, s17
	s_cbranch_execz .LBB224_196
; %bb.193:
	s_mov_b32 s12, -1
	s_mov_b32 s18, exec_lo
                                        ; implicit-def: $sgpr0_sgpr1
                                        ; implicit-def: $sgpr8_sgpr9
	v_cmpx_eq_u16_e32 0x80, v6
; %bb.194:
	s_mov_b64 s[0:1], 0
	s_mov_b32 s9, 0x7ff80000
	s_brev_b32 s8, 4
	s_xor_b32 s12, exec_lo, -1
; %bb.195:
	s_or_b32 exec_lo, exec_lo, s18
	s_delay_alu instid0(SALU_CYCLE_1)
	s_and_b32 s12, s12, exec_lo
.LBB224_196:
	s_or_saveexec_b32 s17, s17
	v_dual_mov_b32 v3, s1 :: v_dual_mov_b32 v2, s0
	v_dual_mov_b32 v0, s8 :: v_dual_mov_b32 v1, s9
	s_xor_b32 exec_lo, exec_lo, s17
; %bb.197:
	v_mov_b32_e32 v2, 0
	v_mov_b32_e32 v3, 0
	v_cmp_ne_u16_e32 vcc_lo, 0, v6
	s_delay_alu instid0(VALU_DEP_3) | instskip(SKIP_1) | instid1(VALU_DEP_3)
	v_mov_b32_e32 v0, v2
	s_and_not1_b32 s0, s12, exec_lo
	v_mov_b32_e32 v1, v3
	s_and_b32 s1, vcc_lo, exec_lo
	s_delay_alu instid0(SALU_CYCLE_1)
	s_or_b32 s12, s0, s1
; %bb.198:
	s_or_b32 exec_lo, exec_lo, s17
	s_and_saveexec_b32 s0, s12
	s_cbranch_execz .LBB224_200
; %bb.199:
	v_and_b32_e32 v0, 0xffff, v6
	v_lshlrev_b32_e32 v6, 24, v6
	s_delay_alu instid0(VALU_DEP_2) | instskip(NEXT) | instid1(VALU_DEP_1)
	v_and_b32_e32 v1, 7, v0
	v_clz_i32_u32_e32 v2, v1
	s_delay_alu instid0(VALU_DEP_1) | instskip(NEXT) | instid1(VALU_DEP_1)
	v_min_u32_e32 v2, 32, v2
	v_subrev_nc_u32_e32 v3, 28, v2
	v_sub_nc_u32_e32 v2, 29, v2
	s_delay_alu instid0(VALU_DEP_2) | instskip(SKIP_1) | instid1(VALU_DEP_2)
	v_lshlrev_b32_e32 v3, v3, v0
	v_bfe_u32 v0, v0, 3, 4
	v_and_b32_e32 v3, 7, v3
	s_delay_alu instid0(VALU_DEP_2) | instskip(NEXT) | instid1(VALU_DEP_2)
	v_cmp_eq_u32_e32 vcc_lo, 0, v0
	v_dual_cndmask_b32 v0, v0, v2 :: v_dual_cndmask_b32 v1, v1, v3
	v_and_b32_e32 v2, 0x80000000, v6
	s_delay_alu instid0(VALU_DEP_2) | instskip(NEXT) | instid1(VALU_DEP_3)
	v_lshl_add_u32 v0, v0, 23, 0x3b800000
	v_lshlrev_b32_e32 v1, 20, v1
	s_delay_alu instid0(VALU_DEP_1) | instskip(SKIP_2) | instid1(VALU_DEP_3)
	v_or3_b32 v0, v2, v0, v1
	v_mov_b32_e32 v2, 0
	v_mov_b32_e32 v3, 0
	v_cvt_f64_f32_e32 v[0:1], v0
.LBB224_200:
	s_or_b32 exec_lo, exec_lo, s0
.LBB224_201:
	s_mov_b32 s8, -1
.LBB224_202:
	s_branch .LBB224_236
.LBB224_203:
	v_cmp_lt_i16_e32 vcc_lo, 22, v22
	s_cbranch_vccz .LBB224_215
; %bb.204:
	v_cmp_gt_i16_e32 vcc_lo, 24, v22
	s_cbranch_vccnz .LBB224_216
; %bb.205:
	v_cmp_lt_i16_e32 vcc_lo, 24, v22
	s_cbranch_vccz .LBB224_217
; %bb.206:
	global_load_u8 v6, v[4:5], off
	s_mov_b32 s12, 0
	s_mov_b32 s17, exec_lo
                                        ; implicit-def: $sgpr0_sgpr1
                                        ; implicit-def: $sgpr8_sgpr9
	s_waitcnt vmcnt(0)
	v_cmpx_lt_i16_e32 0x7f, v6
	s_xor_b32 s17, exec_lo, s17
	s_cbranch_execz .LBB224_210
; %bb.207:
	s_mov_b32 s12, -1
	s_mov_b32 s18, exec_lo
                                        ; implicit-def: $sgpr0_sgpr1
                                        ; implicit-def: $sgpr8_sgpr9
	v_cmpx_eq_u16_e32 0x80, v6
; %bb.208:
	s_mov_b64 s[0:1], 0
	s_mov_b32 s9, 0x7ff80000
	s_brev_b32 s8, 4
	s_xor_b32 s12, exec_lo, -1
; %bb.209:
	s_or_b32 exec_lo, exec_lo, s18
	s_delay_alu instid0(SALU_CYCLE_1)
	s_and_b32 s12, s12, exec_lo
.LBB224_210:
	s_or_saveexec_b32 s17, s17
	v_dual_mov_b32 v3, s1 :: v_dual_mov_b32 v2, s0
	v_dual_mov_b32 v0, s8 :: v_dual_mov_b32 v1, s9
	s_xor_b32 exec_lo, exec_lo, s17
; %bb.211:
	v_mov_b32_e32 v2, 0
	v_mov_b32_e32 v3, 0
	v_cmp_ne_u16_e32 vcc_lo, 0, v6
	s_delay_alu instid0(VALU_DEP_3) | instskip(SKIP_1) | instid1(VALU_DEP_3)
	v_mov_b32_e32 v0, v2
	s_and_not1_b32 s0, s12, exec_lo
	v_mov_b32_e32 v1, v3
	s_and_b32 s1, vcc_lo, exec_lo
	s_delay_alu instid0(SALU_CYCLE_1)
	s_or_b32 s12, s0, s1
; %bb.212:
	s_or_b32 exec_lo, exec_lo, s17
	s_and_saveexec_b32 s0, s12
	s_cbranch_execz .LBB224_214
; %bb.213:
	v_and_b32_e32 v0, 0xffff, v6
	v_lshlrev_b32_e32 v6, 24, v6
	s_delay_alu instid0(VALU_DEP_2) | instskip(NEXT) | instid1(VALU_DEP_1)
	v_and_b32_e32 v1, 3, v0
	v_clz_i32_u32_e32 v2, v1
	s_delay_alu instid0(VALU_DEP_1) | instskip(NEXT) | instid1(VALU_DEP_1)
	v_min_u32_e32 v2, 32, v2
	v_subrev_nc_u32_e32 v3, 29, v2
	v_sub_nc_u32_e32 v2, 30, v2
	s_delay_alu instid0(VALU_DEP_2) | instskip(SKIP_1) | instid1(VALU_DEP_2)
	v_lshlrev_b32_e32 v3, v3, v0
	v_bfe_u32 v0, v0, 2, 5
	v_and_b32_e32 v3, 3, v3
	s_delay_alu instid0(VALU_DEP_2) | instskip(NEXT) | instid1(VALU_DEP_2)
	v_cmp_eq_u32_e32 vcc_lo, 0, v0
	v_dual_cndmask_b32 v0, v0, v2 :: v_dual_cndmask_b32 v1, v1, v3
	v_and_b32_e32 v2, 0x80000000, v6
	s_delay_alu instid0(VALU_DEP_2) | instskip(NEXT) | instid1(VALU_DEP_3)
	v_lshl_add_u32 v0, v0, 23, 0x37800000
	v_lshlrev_b32_e32 v1, 21, v1
	s_delay_alu instid0(VALU_DEP_1) | instskip(SKIP_2) | instid1(VALU_DEP_3)
	v_or3_b32 v0, v2, v0, v1
	v_mov_b32_e32 v2, 0
	v_mov_b32_e32 v3, 0
	v_cvt_f64_f32_e32 v[0:1], v0
.LBB224_214:
	s_or_b32 exec_lo, exec_lo, s0
	s_mov_b32 s0, 0
	s_branch .LBB224_218
.LBB224_215:
	s_mov_b32 s0, -1
                                        ; implicit-def: $vgpr2_vgpr3
	s_branch .LBB224_224
.LBB224_216:
	s_mov_b32 s0, -1
                                        ; implicit-def: $vgpr2_vgpr3
	s_branch .LBB224_221
.LBB224_217:
	s_mov_b32 s0, -1
                                        ; implicit-def: $vgpr2_vgpr3
.LBB224_218:
	s_delay_alu instid0(SALU_CYCLE_1)
	s_and_b32 vcc_lo, exec_lo, s0
	s_cbranch_vccz .LBB224_220
; %bb.219:
	global_load_u8 v0, v[4:5], off
	s_waitcnt vmcnt(0)
	v_lshlrev_b32_e32 v0, 24, v0
	s_delay_alu instid0(VALU_DEP_1) | instskip(NEXT) | instid1(VALU_DEP_1)
	v_and_b32_e32 v1, 0x7f000000, v0
	v_clz_i32_u32_e32 v2, v1
	v_add_nc_u32_e32 v6, 0x1000000, v1
	v_cmp_ne_u32_e32 vcc_lo, 0, v1
	s_delay_alu instid0(VALU_DEP_3) | instskip(NEXT) | instid1(VALU_DEP_1)
	v_min_u32_e32 v2, 32, v2
	v_sub_nc_u32_e64 v2, v2, 4 clamp
	s_delay_alu instid0(VALU_DEP_1) | instskip(SKIP_1) | instid1(VALU_DEP_2)
	v_lshlrev_b32_e32 v3, v2, v1
	v_lshlrev_b32_e32 v2, 23, v2
	v_lshrrev_b32_e32 v3, 4, v3
	s_delay_alu instid0(VALU_DEP_1) | instskip(SKIP_1) | instid1(VALU_DEP_2)
	v_sub_nc_u32_e32 v2, v3, v2
	v_ashrrev_i32_e32 v3, 8, v6
	v_add_nc_u32_e32 v2, 0x3c000000, v2
	s_delay_alu instid0(VALU_DEP_1) | instskip(NEXT) | instid1(VALU_DEP_1)
	v_and_or_b32 v2, 0x7f800000, v3, v2
	v_dual_cndmask_b32 v1, 0, v2 :: v_dual_mov_b32 v2, 0
	v_mov_b32_e32 v3, 0
	s_delay_alu instid0(VALU_DEP_2) | instskip(NEXT) | instid1(VALU_DEP_1)
	v_and_or_b32 v0, 0x80000000, v0, v1
	v_cvt_f64_f32_e32 v[0:1], v0
.LBB224_220:
	s_mov_b32 s0, 0
.LBB224_221:
	s_delay_alu instid0(SALU_CYCLE_1)
	s_and_not1_b32 vcc_lo, exec_lo, s0
	s_cbranch_vccnz .LBB224_223
; %bb.222:
	global_load_u8 v0, v[4:5], off
	s_waitcnt vmcnt(0)
	v_lshlrev_b32_e32 v1, 25, v0
	v_lshlrev_b16 v0, 8, v0
	s_delay_alu instid0(VALU_DEP_2) | instskip(NEXT) | instid1(VALU_DEP_2)
	v_lshrrev_b32_e32 v2, 4, v1
	v_and_or_b32 v3, 0x7f00, v0, 0.5
	v_bfe_i32 v0, v0, 0, 16
	s_delay_alu instid0(VALU_DEP_3) | instskip(NEXT) | instid1(VALU_DEP_1)
	v_or_b32_e32 v2, 0x70000000, v2
	v_dual_add_f32 v3, -0.5, v3 :: v_dual_mul_f32 v2, 0x7800000, v2
	v_cmp_gt_u32_e32 vcc_lo, 0x8000000, v1
	s_delay_alu instid0(VALU_DEP_2) | instskip(SKIP_1) | instid1(VALU_DEP_2)
	v_dual_cndmask_b32 v1, v2, v3 :: v_dual_mov_b32 v2, 0
	v_mov_b32_e32 v3, 0
	v_and_or_b32 v0, 0x80000000, v0, v1
	s_delay_alu instid0(VALU_DEP_1)
	v_cvt_f64_f32_e32 v[0:1], v0
.LBB224_223:
	s_mov_b32 s0, 0
	s_mov_b32 s8, -1
.LBB224_224:
	s_and_not1_b32 vcc_lo, exec_lo, s0
	s_cbranch_vccnz .LBB224_236
; %bb.225:
	v_cmp_lt_i16_e32 vcc_lo, 14, v22
	s_cbranch_vccz .LBB224_228
; %bb.226:
	v_cmp_eq_u16_e32 vcc_lo, 15, v22
	s_cbranch_vccz .LBB224_229
; %bb.227:
	global_load_u16 v0, v[4:5], off
	s_mov_b32 s8, -1
	s_mov_b32 s14, 0
	s_mov_b64 s[0:1], 0
	s_waitcnt vmcnt(0)
	v_lshlrev_b32_e32 v0, 16, v0
	s_delay_alu instid0(VALU_DEP_1)
	v_cvt_f64_f32_e32 v[0:1], v0
	s_branch .LBB224_230
.LBB224_228:
	s_mov_b32 s9, -1
                                        ; implicit-def: $sgpr0_sgpr1
                                        ; implicit-def: $vgpr0_vgpr1
	s_branch .LBB224_231
.LBB224_229:
	s_mov_b32 s14, -1
                                        ; implicit-def: $sgpr0_sgpr1
                                        ; implicit-def: $vgpr0_vgpr1
.LBB224_230:
	s_mov_b32 s9, 0
.LBB224_231:
	s_delay_alu instid0(SALU_CYCLE_1)
	s_and_b32 vcc_lo, exec_lo, s9
	s_cbranch_vccz .LBB224_235
; %bb.232:
	v_cmp_eq_u16_e32 vcc_lo, 11, v22
	s_cbranch_vccz .LBB224_234
; %bb.233:
	global_load_u8 v0, v[4:5], off
	s_mov_b32 s14, 0
	s_mov_b32 s8, -1
	s_mov_b64 s[0:1], 0
	s_waitcnt vmcnt(0)
	v_cmp_ne_u16_e32 vcc_lo, 0, v0
	v_mov_b32_e32 v0, 0
	v_cndmask_b32_e64 v1, 0, 0x3ff00000, vcc_lo
	s_branch .LBB224_235
.LBB224_234:
	s_mov_b32 s14, -1
                                        ; implicit-def: $sgpr0_sgpr1
                                        ; implicit-def: $vgpr0_vgpr1
.LBB224_235:
	v_dual_mov_b32 v3, s1 :: v_dual_mov_b32 v2, s0
.LBB224_236:
	s_branch .LBB224_10
.LBB224_237:
	v_cmp_gt_i16_e32 vcc_lo, 5, v22
	s_cbranch_vccnz .LBB224_242
; %bb.238:
	v_cmp_gt_i16_e32 vcc_lo, 8, v22
	s_cbranch_vccnz .LBB224_243
; %bb.239:
	;; [unrolled: 3-line block ×3, first 2 shown]
	v_cmp_lt_i16_e32 vcc_lo, 9, v22
	s_cbranch_vccz .LBB224_245
; %bb.241:
	global_load_b128 v[0:3], v[4:5], off
	s_mov_b32 s0, 0
	s_branch .LBB224_246
.LBB224_242:
                                        ; implicit-def: $vgpr2_vgpr3
	s_branch .LBB224_265
.LBB224_243:
	s_mov_b32 s0, -1
                                        ; implicit-def: $vgpr2_vgpr3
	s_branch .LBB224_252
.LBB224_244:
	s_mov_b32 s0, -1
                                        ; implicit-def: $vgpr2_vgpr3
	s_branch .LBB224_249
.LBB224_245:
	s_mov_b32 s0, -1
                                        ; implicit-def: $vgpr2_vgpr3
.LBB224_246:
	s_delay_alu instid0(SALU_CYCLE_1)
	s_and_not1_b32 vcc_lo, exec_lo, s0
	s_cbranch_vccnz .LBB224_248
; %bb.247:
	global_load_b64 v[1:2], v[4:5], off
	s_waitcnt vmcnt(0)
	v_cvt_f64_f32_e32 v[0:1], v1
	v_cvt_f64_f32_e32 v[2:3], v2
.LBB224_248:
	s_mov_b32 s0, 0
.LBB224_249:
	s_delay_alu instid0(SALU_CYCLE_1)
	s_and_not1_b32 vcc_lo, exec_lo, s0
	s_cbranch_vccnz .LBB224_251
; %bb.250:
	global_load_b32 v0, v[4:5], off
	s_waitcnt vmcnt(0)
	v_lshrrev_b32_e32 v1, 16, v0
	v_cvt_f32_f16_e32 v0, v0
	s_delay_alu instid0(VALU_DEP_2) | instskip(NEXT) | instid1(VALU_DEP_2)
	v_cvt_f32_f16_e32 v2, v1
	v_cvt_f64_f32_e32 v[0:1], v0
	s_delay_alu instid0(VALU_DEP_2)
	v_cvt_f64_f32_e32 v[2:3], v2
.LBB224_251:
	s_mov_b32 s0, 0
.LBB224_252:
	s_delay_alu instid0(SALU_CYCLE_1)
	s_and_not1_b32 vcc_lo, exec_lo, s0
	s_cbranch_vccnz .LBB224_264
; %bb.253:
	v_cmp_gt_i16_e32 vcc_lo, 6, v22
	s_cbranch_vccnz .LBB224_256
; %bb.254:
	v_cmp_lt_i16_e32 vcc_lo, 6, v22
	s_cbranch_vccz .LBB224_257
; %bb.255:
	global_load_b64 v[0:1], v[4:5], off
	s_mov_b32 s8, 0
	s_mov_b64 s[0:1], 0
	s_branch .LBB224_258
.LBB224_256:
	s_mov_b32 s8, -1
                                        ; implicit-def: $sgpr0_sgpr1
                                        ; implicit-def: $vgpr0_vgpr1
	s_branch .LBB224_261
.LBB224_257:
	s_mov_b32 s8, -1
                                        ; implicit-def: $sgpr0_sgpr1
                                        ; implicit-def: $vgpr0_vgpr1
.LBB224_258:
	s_delay_alu instid0(SALU_CYCLE_1)
	s_and_not1_b32 vcc_lo, exec_lo, s8
	s_cbranch_vccnz .LBB224_260
; %bb.259:
	global_load_b32 v0, v[4:5], off
	s_mov_b64 s[0:1], 0
	s_waitcnt vmcnt(0)
	v_cvt_f64_f32_e32 v[0:1], v0
.LBB224_260:
	s_mov_b32 s8, 0
.LBB224_261:
	s_delay_alu instid0(SALU_CYCLE_1)
	s_and_not1_b32 vcc_lo, exec_lo, s8
	s_cbranch_vccnz .LBB224_263
; %bb.262:
	global_load_u16 v0, v[4:5], off
	s_mov_b64 s[0:1], 0
	s_waitcnt vmcnt(0)
	v_cvt_f32_f16_e32 v0, v0
	s_delay_alu instid0(VALU_DEP_1)
	v_cvt_f64_f32_e32 v[0:1], v0
.LBB224_263:
	s_waitcnt vmcnt(0)
	v_dual_mov_b32 v3, s1 :: v_dual_mov_b32 v2, s0
.LBB224_264:
	s_cbranch_execnz .LBB224_285
.LBB224_265:
	v_cmp_gt_i16_e32 vcc_lo, 2, v22
	s_cbranch_vccnz .LBB224_269
; %bb.266:
	v_cmp_gt_i16_e32 vcc_lo, 3, v22
	s_cbranch_vccnz .LBB224_270
; %bb.267:
	v_cmp_lt_i16_e32 vcc_lo, 3, v22
	s_cbranch_vccz .LBB224_271
; %bb.268:
	global_load_b64 v[0:1], v[4:5], off
	s_mov_b32 s8, 0
	s_mov_b64 s[0:1], 0
	s_waitcnt vmcnt(0)
	v_cvt_f64_i32_e32 v[1:2], v1
	v_cvt_f64_u32_e32 v[6:7], v0
	s_delay_alu instid0(VALU_DEP_2) | instskip(NEXT) | instid1(VALU_DEP_1)
	v_ldexp_f64 v[1:2], v[1:2], 32
	v_add_f64 v[0:1], v[1:2], v[6:7]
	s_branch .LBB224_272
.LBB224_269:
	s_mov_b32 s8, -1
                                        ; implicit-def: $sgpr0_sgpr1
                                        ; implicit-def: $vgpr0_vgpr1
	s_branch .LBB224_278
.LBB224_270:
	s_mov_b32 s8, -1
                                        ; implicit-def: $sgpr0_sgpr1
                                        ; implicit-def: $vgpr0_vgpr1
	s_branch .LBB224_275
.LBB224_271:
	s_mov_b32 s8, -1
                                        ; implicit-def: $sgpr0_sgpr1
                                        ; implicit-def: $vgpr0_vgpr1
.LBB224_272:
	s_delay_alu instid0(SALU_CYCLE_1)
	s_and_not1_b32 vcc_lo, exec_lo, s8
	s_cbranch_vccnz .LBB224_274
; %bb.273:
	global_load_b32 v0, v[4:5], off
	s_mov_b64 s[0:1], 0
	s_waitcnt vmcnt(0)
	v_cvt_f64_i32_e32 v[0:1], v0
.LBB224_274:
	s_mov_b32 s8, 0
.LBB224_275:
	s_delay_alu instid0(SALU_CYCLE_1)
	s_and_not1_b32 vcc_lo, exec_lo, s8
	s_cbranch_vccnz .LBB224_277
; %bb.276:
	global_load_i16 v0, v[4:5], off
	s_mov_b64 s[0:1], 0
	s_waitcnt vmcnt(0)
	v_cvt_f64_i32_e32 v[0:1], v0
.LBB224_277:
	s_mov_b32 s8, 0
.LBB224_278:
	s_delay_alu instid0(SALU_CYCLE_1)
	s_and_not1_b32 vcc_lo, exec_lo, s8
	s_cbranch_vccnz .LBB224_284
; %bb.279:
	v_cmp_lt_i16_e32 vcc_lo, 0, v22
	s_mov_b32 s8, 0
	s_cbranch_vccz .LBB224_281
; %bb.280:
	global_load_i8 v0, v[4:5], off
	s_mov_b64 s[0:1], 0
	s_waitcnt vmcnt(0)
	v_cvt_f64_i32_e32 v[0:1], v0
	s_branch .LBB224_282
.LBB224_281:
	s_mov_b32 s8, -1
                                        ; implicit-def: $sgpr0_sgpr1
                                        ; implicit-def: $vgpr0_vgpr1
.LBB224_282:
	s_delay_alu instid0(SALU_CYCLE_1)
	s_and_not1_b32 vcc_lo, exec_lo, s8
	s_cbranch_vccnz .LBB224_284
; %bb.283:
	global_load_u8 v0, v[4:5], off
	s_mov_b64 s[0:1], 0
	s_waitcnt vmcnt(0)
	v_cvt_f64_u32_e32 v[0:1], v0
.LBB224_284:
	s_waitcnt vmcnt(0)
	v_dual_mov_b32 v3, s1 :: v_dual_mov_b32 v2, s0
.LBB224_285:
	s_branch .LBB224_11
.LBB224_286:
	s_mov_b32 s0, 0
.LBB224_287:
	s_mov_b32 s1, 0
                                        ; implicit-def: $vgpr21
.LBB224_288:
	s_and_b32 s12, s0, exec_lo
	s_and_b32 s14, s14, exec_lo
	s_or_not1_b32 s1, s1, exec_lo
.LBB224_289:
	s_or_b32 exec_lo, exec_lo, s15
	s_mov_b32 s0, 0
	s_mov_b32 s17, 0
                                        ; implicit-def: $vgpr4_vgpr5
                                        ; implicit-def: $vgpr2_vgpr3
	s_and_saveexec_b32 s15, s1
	s_cbranch_execz .LBB224_974
; %bb.290:
	s_mov_b32 s9, -1
	s_mov_b32 s16, s14
	s_mov_b32 s17, s12
	s_mov_b32 s18, exec_lo
	v_cmpx_gt_i32_e64 s13, v21
	s_cbranch_execz .LBB224_586
; %bb.291:
	s_waitcnt vmcnt(0)
	v_mul_lo_u32 v0, v21, s3
	v_cmp_gt_i16_e32 vcc_lo, 11, v22
	s_delay_alu instid0(VALU_DEP_2) | instskip(SKIP_1) | instid1(VALU_DEP_1)
	v_ashrrev_i32_e32 v1, 31, v0
	v_add_co_u32 v4, s0, s6, v0
	v_add_co_ci_u32_e64 v5, s0, s7, v1, s0
	s_cbranch_vccnz .LBB224_298
; %bb.292:
	v_cmp_lt_i16_e32 vcc_lo, 25, v22
	s_cbranch_vccz .LBB224_316
; %bb.293:
	v_cmp_lt_i16_e32 vcc_lo, 28, v22
	s_cbranch_vccz .LBB224_317
; %bb.294:
	v_cmp_lt_i16_e32 vcc_lo, 43, v22
	s_cbranch_vccz .LBB224_318
; %bb.295:
	v_cmp_lt_i16_e32 vcc_lo, 45, v22
	s_cbranch_vccz .LBB224_321
; %bb.296:
	v_cmp_eq_u16_e32 vcc_lo, 46, v22
	s_mov_b32 s0, 0
	s_cbranch_vccz .LBB224_351
; %bb.297:
	global_load_b32 v0, v[4:5], off
	s_mov_b32 s8, -1
	s_mov_b32 s16, 0
	s_waitcnt vmcnt(0)
	v_lshlrev_b32_e32 v1, 16, v0
	v_and_b32_e32 v2, 0xffff0000, v0
	s_delay_alu instid0(VALU_DEP_2) | instskip(NEXT) | instid1(VALU_DEP_2)
	v_cvt_f64_f32_e32 v[0:1], v1
	v_cvt_f64_f32_e32 v[2:3], v2
	s_branch .LBB224_353
.LBB224_298:
	s_mov_b32 s8, 0
	s_mov_b32 s16, s14
                                        ; implicit-def: $vgpr2_vgpr3
	s_cbranch_execnz .LBB224_533
.LBB224_299:
	s_and_not1_b32 vcc_lo, exec_lo, s8
	s_cbranch_vccnz .LBB224_583
.LBB224_300:
	s_waitcnt vmcnt(0)
	s_delay_alu instid0(VALU_DEP_1) | instskip(NEXT) | instid1(VALU_DEP_2)
	v_cmp_neq_f64_e32 vcc_lo, 0, v[0:1]
	v_cmp_neq_f64_e64 s0, 0, v[2:3]
	v_mov_b32_e32 v4, 0
	v_mov_b32_e32 v5, 0
	s_delay_alu instid0(VALU_DEP_3) | instskip(NEXT) | instid1(SALU_CYCLE_1)
	s_or_b32 s0, vcc_lo, s0
	s_and_saveexec_b32 s8, s0
	s_cbranch_execz .LBB224_338
; %bb.301:
	s_mov_b32 s0, 0
	s_mov_b32 s1, 0x7ff00000
	v_mov_b32_e32 v4, s0
	v_mov_b32_e32 v5, s1
	s_mov_b32 s9, exec_lo
	v_cmpx_neq_f64_e64 0x7ff00000, |v[2:3]|
	s_cbranch_execz .LBB224_337
; %bb.302:
	s_mov_b32 s0, exec_lo
	v_cmpx_o_f64_e32 v[0:1], v[0:1]
	s_xor_b32 s17, exec_lo, s0
	s_cbranch_execz .LBB224_334
; %bb.303:
	s_mov_b32 s1, exec_lo
	v_cmpx_neq_f64_e64 0x7ff00000, |v[0:1]|
	s_xor_b32 s19, exec_lo, s1
	s_cbranch_execz .LBB224_327
; %bb.304:
	v_max_f64 v[4:5], |v[2:3]|, |v[2:3]|
	v_max_f64 v[6:7], |v[0:1]|, |v[0:1]|
	s_mov_b32 s0, 0x99fcef32
	s_mov_b32 s1, 0x7fda8279
                                        ; implicit-def: $sgpr20
	s_delay_alu instid0(VALU_DEP_1) | instskip(NEXT) | instid1(VALU_DEP_1)
	v_max_f64 v[4:5], v[6:7], v[4:5]
	v_cmp_nle_f64_e64 s0, s[0:1], v[4:5]
	s_delay_alu instid0(VALU_DEP_1) | instskip(NEXT) | instid1(SALU_CYCLE_1)
	s_and_saveexec_b32 s1, s0
	s_xor_b32 s1, exec_lo, s1
	s_cbranch_execz .LBB224_308
; %bb.305:
	v_cmp_ge_f64_e64 s20, 0x200000, |v[0:1]|
	v_cmp_ge_f64_e64 s21, 0x200000, |v[2:3]|
	s_delay_alu instid0(VALU_DEP_1)
	s_and_b32 s22, s20, s21
	s_mov_b32 s20, 0
	s_and_saveexec_b32 s21, s22
; %bb.306:
	v_mul_f64 v[0:1], v[0:1], 4.0
	v_mul_f64 v[2:3], v[2:3], 4.0
	s_mov_b32 s20, exec_lo
; %bb.307:
	s_or_b32 exec_lo, exec_lo, s21
	s_delay_alu instid0(SALU_CYCLE_1)
	s_and_b32 s20, s20, exec_lo
.LBB224_308:
	s_and_not1_saveexec_b32 s1, s1
; %bb.309:
	s_delay_alu instid0(VALU_DEP_2) | instskip(NEXT) | instid1(VALU_DEP_2)
	v_ldexp_f64 v[0:1], v[0:1], -2
	v_ldexp_f64 v[2:3], v[2:3], -2
	s_and_not1_b32 s20, s20, exec_lo
; %bb.310:
	s_or_b32 exec_lo, exec_lo, s1
	s_delay_alu instid0(VALU_DEP_1) | instskip(NEXT) | instid1(VALU_DEP_3)
	v_max_f64 v[4:5], |v[2:3]|, |v[2:3]|
	v_max_f64 v[6:7], |v[0:1]|, |v[0:1]|
	v_cmp_class_f64_e64 s21, v[0:1], 0x204
	v_cmp_class_f64_e64 s22, v[2:3], 0x204
	v_cmp_le_f64_e64 s1, 0, v[0:1]
	s_delay_alu instid0(VALU_DEP_4) | instskip(NEXT) | instid1(VALU_DEP_3)
	v_max_f64 v[4:5], v[6:7], v[4:5]
	s_or_b32 s21, s22, s21
	s_delay_alu instid0(VALU_DEP_1) | instskip(NEXT) | instid1(VALU_DEP_1)
	v_frexp_exp_i32_f64_e32 v12, v[4:5]
	v_sub_nc_u32_e32 v6, 0, v12
	s_delay_alu instid0(VALU_DEP_1) | instskip(SKIP_1) | instid1(VALU_DEP_2)
	v_ldexp_f64 v[4:5], |v[2:3]|, v6
	v_ldexp_f64 v[6:7], |v[0:1]|, v6
	v_mul_f64 v[4:5], v[4:5], v[4:5]
	s_delay_alu instid0(VALU_DEP_1) | instskip(NEXT) | instid1(VALU_DEP_1)
	v_fma_f64 v[4:5], v[6:7], v[6:7], v[4:5]
	v_rsq_f64_e32 v[6:7], v[4:5]
	v_cmp_eq_f64_e32 vcc_lo, 0, v[4:5]
	s_waitcnt_depctr 0xfff
	v_mul_f64 v[8:9], v[4:5], v[6:7]
	v_mul_f64 v[6:7], v[6:7], 0.5
	s_delay_alu instid0(VALU_DEP_1) | instskip(NEXT) | instid1(VALU_DEP_1)
	v_fma_f64 v[10:11], -v[6:7], v[8:9], 0.5
	v_fma_f64 v[8:9], v[8:9], v[10:11], v[8:9]
	v_fma_f64 v[6:7], v[6:7], v[10:11], v[6:7]
	s_delay_alu instid0(VALU_DEP_2) | instskip(NEXT) | instid1(VALU_DEP_1)
	v_fma_f64 v[10:11], -v[8:9], v[8:9], v[4:5]
	v_fma_f64 v[6:7], v[10:11], v[6:7], v[8:9]
	s_delay_alu instid0(VALU_DEP_1) | instskip(SKIP_1) | instid1(VALU_DEP_2)
	v_dual_cndmask_b32 v5, v7, v5 :: v_dual_cndmask_b32 v4, v6, v4
	v_cmp_o_f64_e32 vcc_lo, v[2:3], v[2:3]
	v_ldexp_f64 v[4:5], v[4:5], v12
	s_delay_alu instid0(VALU_DEP_1) | instskip(NEXT) | instid1(VALU_DEP_2)
	v_cndmask_b32_e32 v4, 0, v4, vcc_lo
	v_cndmask_b32_e32 v5, 0x7ff80000, v5, vcc_lo
	s_delay_alu instid0(VALU_DEP_2) | instskip(NEXT) | instid1(VALU_DEP_2)
	v_cndmask_b32_e64 v4, v4, 0, s21
	v_cndmask_b32_e64 v5, v5, 0x7ff00000, s21
	s_and_saveexec_b32 s21, s1
	s_delay_alu instid0(SALU_CYCLE_1)
	s_xor_b32 s1, exec_lo, s21
	s_cbranch_execz .LBB224_322
; %bb.311:
	s_delay_alu instid0(VALU_DEP_1) | instskip(NEXT) | instid1(VALU_DEP_1)
	v_add_f64 v[0:1], v[0:1], v[4:5]
	v_mul_f64 v[0:1], v[0:1], 0.5
	s_delay_alu instid0(VALU_DEP_1) | instskip(SKIP_1) | instid1(VALU_DEP_1)
	v_cmp_gt_f64_e32 vcc_lo, 0x10000000, v[0:1]
	v_cndmask_b32_e64 v4, 0, 1, vcc_lo
	v_lshlrev_b32_e32 v4, 8, v4
	s_delay_alu instid0(VALU_DEP_1) | instskip(NEXT) | instid1(VALU_DEP_1)
	v_ldexp_f64 v[0:1], v[0:1], v4
	v_rsq_f64_e32 v[4:5], v[0:1]
	s_waitcnt_depctr 0xfff
	v_mul_f64 v[6:7], v[0:1], v[4:5]
	v_mul_f64 v[4:5], v[4:5], 0.5
	s_delay_alu instid0(VALU_DEP_1) | instskip(NEXT) | instid1(VALU_DEP_1)
	v_fma_f64 v[8:9], -v[4:5], v[6:7], 0.5
	v_fma_f64 v[6:7], v[6:7], v[8:9], v[6:7]
	v_fma_f64 v[4:5], v[4:5], v[8:9], v[4:5]
	s_delay_alu instid0(VALU_DEP_2) | instskip(NEXT) | instid1(VALU_DEP_1)
	v_fma_f64 v[8:9], -v[6:7], v[6:7], v[0:1]
	v_fma_f64 v[6:7], v[8:9], v[4:5], v[6:7]
	s_delay_alu instid0(VALU_DEP_1) | instskip(NEXT) | instid1(VALU_DEP_1)
	v_fma_f64 v[8:9], -v[6:7], v[6:7], v[0:1]
	v_fma_f64 v[4:5], v[8:9], v[4:5], v[6:7]
	v_cndmask_b32_e64 v6, 0, 0xffffff80, vcc_lo
	v_cmp_class_f64_e64 vcc_lo, v[0:1], 0x260
	s_delay_alu instid0(VALU_DEP_2) | instskip(NEXT) | instid1(VALU_DEP_1)
	v_ldexp_f64 v[4:5], v[4:5], v6
	v_dual_cndmask_b32 v1, v5, v1 :: v_dual_cndmask_b32 v0, v4, v0
	s_delay_alu instid0(VALU_DEP_1) | instskip(NEXT) | instid1(VALU_DEP_1)
	v_add_f64 v[4:5], v[0:1], v[0:1]
	v_div_scale_f64 v[6:7], null, v[4:5], v[4:5], v[2:3]
	s_delay_alu instid0(VALU_DEP_1) | instskip(SKIP_2) | instid1(VALU_DEP_1)
	v_rcp_f64_e32 v[8:9], v[6:7]
	s_waitcnt_depctr 0xfff
	v_fma_f64 v[10:11], -v[6:7], v[8:9], 1.0
	v_fma_f64 v[8:9], v[8:9], v[10:11], v[8:9]
	s_delay_alu instid0(VALU_DEP_1) | instskip(NEXT) | instid1(VALU_DEP_1)
	v_fma_f64 v[10:11], -v[6:7], v[8:9], 1.0
	v_fma_f64 v[8:9], v[8:9], v[10:11], v[8:9]
	v_div_scale_f64 v[10:11], vcc_lo, v[2:3], v[4:5], v[2:3]
	s_delay_alu instid0(VALU_DEP_1) | instskip(NEXT) | instid1(VALU_DEP_1)
	v_mul_f64 v[12:13], v[10:11], v[8:9]
	v_fma_f64 v[6:7], -v[6:7], v[12:13], v[10:11]
	s_delay_alu instid0(VALU_DEP_1) | instskip(NEXT) | instid1(VALU_DEP_1)
	v_div_fmas_f64 v[6:7], v[6:7], v[8:9], v[12:13]
	v_div_fixup_f64 v[2:3], v[6:7], v[4:5], v[2:3]
                                        ; implicit-def: $vgpr4_vgpr5
	s_and_not1_saveexec_b32 s1, s1
	s_cbranch_execnz .LBB224_323
.LBB224_312:
	s_or_b32 exec_lo, exec_lo, s1
	s_and_saveexec_b32 s1, s0
	s_delay_alu instid0(SALU_CYCLE_1)
	s_xor_b32 s0, exec_lo, s1
	s_cbranch_execz .LBB224_324
.LBB224_313:
	s_and_saveexec_b32 s1, s20
; %bb.314:
	s_delay_alu instid0(VALU_DEP_2) | instskip(NEXT) | instid1(VALU_DEP_2)
	v_mul_f64 v[0:1], v[0:1], 0.5
	v_mul_f64 v[2:3], v[2:3], 0.5
; %bb.315:
	s_or_b32 exec_lo, exec_lo, s1
	s_and_not1_saveexec_b32 s0, s0
	s_cbranch_execnz .LBB224_325
	s_branch .LBB224_326
.LBB224_316:
	s_mov_b32 s0, -1
	s_mov_b32 s8, 0
	s_mov_b32 s16, s14
                                        ; implicit-def: $vgpr2_vgpr3
	s_branch .LBB224_498
.LBB224_317:
	s_mov_b32 s0, -1
	s_mov_b32 s8, 0
	s_mov_b32 s16, s14
                                        ; implicit-def: $vgpr2_vgpr3
	s_branch .LBB224_477
.LBB224_318:
	s_mov_b32 s0, -1
	s_mov_b32 s8, 0
	s_mov_b32 s16, s14
                                        ; implicit-def: $vgpr2_vgpr3
	s_branch .LBB224_471
.LBB224_319:
	s_or_saveexec_b32 s9, s9
                                        ; implicit-def: $sgpr12
	s_delay_alu instid0(SALU_CYCLE_1)
	s_xor_b32 exec_lo, exec_lo, s9
	s_cbranch_execz .LBB224_86
.LBB224_320:
	v_add_f32_e64 v7, 0x46000000, |v6|
	s_and_not1_b32 s8, s8, exec_lo
	s_mov_b32 s12, 0
	s_delay_alu instid0(VALU_DEP_1) | instskip(NEXT) | instid1(VALU_DEP_1)
	v_and_b32_e32 v7, 0xff, v7
	v_cmp_ne_u32_e32 vcc_lo, 0, v7
	s_and_b32 s17, vcc_lo, exec_lo
	s_delay_alu instid0(SALU_CYCLE_1)
	s_or_b32 s8, s8, s17
	s_or_b32 exec_lo, exec_lo, s9
	v_mov_b32_e32 v9, s12
	s_and_saveexec_b32 s9, s8
	s_cbranch_execnz .LBB224_87
	s_branch .LBB224_88
.LBB224_321:
	s_mov_b32 s0, -1
	s_mov_b32 s8, 0
	s_mov_b32 s16, s14
	s_branch .LBB224_352
.LBB224_322:
	s_and_not1_saveexec_b32 s1, s1
	s_cbranch_execz .LBB224_312
.LBB224_323:
	v_add_f64 v[0:1], v[4:5], -v[0:1]
	s_delay_alu instid0(VALU_DEP_1) | instskip(NEXT) | instid1(VALU_DEP_1)
	v_mul_f64 v[0:1], v[0:1], 0.5
	v_cmp_gt_f64_e32 vcc_lo, 0x10000000, v[0:1]
	v_cndmask_b32_e64 v4, 0, 1, vcc_lo
	s_delay_alu instid0(VALU_DEP_1) | instskip(NEXT) | instid1(VALU_DEP_1)
	v_lshlrev_b32_e32 v4, 8, v4
	v_ldexp_f64 v[0:1], v[0:1], v4
	s_delay_alu instid0(VALU_DEP_1) | instskip(SKIP_3) | instid1(VALU_DEP_1)
	v_rsq_f64_e32 v[4:5], v[0:1]
	s_waitcnt_depctr 0xfff
	v_mul_f64 v[6:7], v[0:1], v[4:5]
	v_mul_f64 v[4:5], v[4:5], 0.5
	v_fma_f64 v[8:9], -v[4:5], v[6:7], 0.5
	s_delay_alu instid0(VALU_DEP_1) | instskip(SKIP_1) | instid1(VALU_DEP_2)
	v_fma_f64 v[6:7], v[6:7], v[8:9], v[6:7]
	v_fma_f64 v[4:5], v[4:5], v[8:9], v[4:5]
	v_fma_f64 v[8:9], -v[6:7], v[6:7], v[0:1]
	s_delay_alu instid0(VALU_DEP_1) | instskip(NEXT) | instid1(VALU_DEP_1)
	v_fma_f64 v[6:7], v[8:9], v[4:5], v[6:7]
	v_fma_f64 v[8:9], -v[6:7], v[6:7], v[0:1]
	s_delay_alu instid0(VALU_DEP_1) | instskip(SKIP_3) | instid1(VALU_DEP_3)
	v_fma_f64 v[4:5], v[8:9], v[4:5], v[6:7]
	v_cndmask_b32_e64 v6, 0, 0xffffff80, vcc_lo
	v_cmp_class_f64_e64 vcc_lo, v[0:1], 0x260
	v_and_b32_e32 v7, 0x7fffffff, v3
	v_ldexp_f64 v[4:5], v[4:5], v6
	s_delay_alu instid0(VALU_DEP_1) | instskip(NEXT) | instid1(VALU_DEP_1)
	v_dual_cndmask_b32 v5, v5, v1 :: v_dual_cndmask_b32 v4, v4, v0
	v_add_f64 v[0:1], v[4:5], v[4:5]
	v_bfi_b32 v5, 0x7fffffff, v5, v3
	v_mov_b32_e32 v6, v2
	s_delay_alu instid0(VALU_DEP_1) | instskip(SKIP_1) | instid1(VALU_DEP_2)
	v_div_scale_f64 v[8:9], null, v[0:1], v[0:1], v[6:7]
	v_div_scale_f64 v[6:7], vcc_lo, v[6:7], v[0:1], v[6:7]
	v_rcp_f64_e32 v[10:11], v[8:9]
	s_waitcnt_depctr 0xfff
	v_fma_f64 v[12:13], -v[8:9], v[10:11], 1.0
	s_delay_alu instid0(VALU_DEP_1) | instskip(NEXT) | instid1(VALU_DEP_1)
	v_fma_f64 v[10:11], v[10:11], v[12:13], v[10:11]
	v_fma_f64 v[12:13], -v[8:9], v[10:11], 1.0
	s_delay_alu instid0(VALU_DEP_1) | instskip(NEXT) | instid1(VALU_DEP_1)
	v_fma_f64 v[10:11], v[10:11], v[12:13], v[10:11]
	v_mul_f64 v[12:13], v[6:7], v[10:11]
	s_delay_alu instid0(VALU_DEP_1) | instskip(NEXT) | instid1(VALU_DEP_1)
	v_fma_f64 v[6:7], -v[8:9], v[12:13], v[6:7]
	v_div_fmas_f64 v[6:7], v[6:7], v[10:11], v[12:13]
	s_delay_alu instid0(VALU_DEP_1) | instskip(SKIP_3) | instid1(SALU_CYCLE_1)
	v_div_fixup_f64 v[0:1], v[6:7], v[0:1], |v[2:3]|
	v_dual_mov_b32 v2, v4 :: v_dual_mov_b32 v3, v5
	s_or_b32 exec_lo, exec_lo, s1
	s_and_saveexec_b32 s1, s0
	s_xor_b32 s0, exec_lo, s1
	s_cbranch_execnz .LBB224_313
.LBB224_324:
	s_and_not1_saveexec_b32 s0, s0
.LBB224_325:
	s_delay_alu instid0(VALU_DEP_2) | instskip(NEXT) | instid1(VALU_DEP_2)
	v_add_f64 v[0:1], v[0:1], v[0:1]
	v_add_f64 v[2:3], v[2:3], v[2:3]
.LBB224_326:
	s_or_b32 exec_lo, exec_lo, s0
.LBB224_327:
	s_and_not1_saveexec_b32 s0, s19
	s_cbranch_execz .LBB224_333
; %bb.328:
	s_delay_alu instid0(VALU_DEP_1) | instskip(SKIP_1) | instid1(VALU_DEP_3)
	v_add_f64 v[4:5], v[2:3], -v[2:3]
	s_mov_b32 s1, exec_lo
	v_cmpx_lt_i64_e32 -1, v[0:1]
	s_xor_b32 s1, exec_lo, s1
; %bb.329:
	s_delay_alu instid0(VALU_DEP_2) | instskip(NEXT) | instid1(VALU_DEP_1)
	v_bfi_b32 v5, 0x7fffffff, v5, v3
	v_dual_mov_b32 v2, v4 :: v_dual_mov_b32 v3, v5
                                        ; implicit-def: $vgpr4_vgpr5
; %bb.330:
	s_and_not1_saveexec_b32 s1, s1
; %bb.331:
	s_delay_alu instid0(VALU_DEP_1) | instskip(SKIP_1) | instid1(VALU_DEP_2)
	v_bfi_b32 v1, 0x7fffffff, v1, v3
	v_and_b32_e32 v5, 0x7fffffff, v5
	v_dual_mov_b32 v3, v1 :: v_dual_mov_b32 v2, v0
	s_delay_alu instid0(VALU_DEP_2)
	v_dual_mov_b32 v0, v4 :: v_dual_mov_b32 v1, v5
; %bb.332:
	s_or_b32 exec_lo, exec_lo, s1
.LBB224_333:
	s_delay_alu instid0(SALU_CYCLE_1)
	s_or_b32 exec_lo, exec_lo, s0
.LBB224_334:
	s_and_not1_saveexec_b32 s0, s17
; %bb.335:
	s_delay_alu instid0(VALU_DEP_1) | instskip(NEXT) | instid1(VALU_DEP_1)
	v_add_f64 v[2:3], v[2:3], -v[2:3]
	v_div_scale_f64 v[4:5], vcc_lo, v[2:3], v[2:3], v[2:3]
	s_delay_alu instid0(VALU_DEP_1) | instskip(SKIP_2) | instid1(VALU_DEP_1)
	v_rcp_f64_e32 v[6:7], v[4:5]
	s_waitcnt_depctr 0xfff
	v_fma_f64 v[8:9], -v[4:5], v[6:7], 1.0
	v_fma_f64 v[6:7], v[6:7], v[8:9], v[6:7]
	s_delay_alu instid0(VALU_DEP_1) | instskip(NEXT) | instid1(VALU_DEP_1)
	v_fma_f64 v[8:9], -v[4:5], v[6:7], 1.0
	v_fma_f64 v[6:7], v[6:7], v[8:9], v[6:7]
	s_delay_alu instid0(VALU_DEP_1) | instskip(NEXT) | instid1(VALU_DEP_1)
	v_mul_f64 v[8:9], v[4:5], v[6:7]
	v_fma_f64 v[4:5], -v[4:5], v[8:9], v[4:5]
	s_delay_alu instid0(VALU_DEP_1) | instskip(NEXT) | instid1(VALU_DEP_1)
	v_div_fmas_f64 v[4:5], v[4:5], v[6:7], v[8:9]
	v_div_fixup_f64 v[2:3], v[4:5], v[2:3], v[2:3]
; %bb.336:
	s_or_b32 exec_lo, exec_lo, s0
	v_dual_mov_b32 v5, v1 :: v_dual_mov_b32 v4, v0
.LBB224_337:
	s_or_b32 exec_lo, exec_lo, s9
.LBB224_338:
	s_delay_alu instid0(SALU_CYCLE_1) | instskip(SKIP_2) | instid1(VALU_DEP_1)
	s_or_b32 exec_lo, exec_lo, s8
	v_mul_lo_u32 v0, v21, s2
	v_and_b32_e32 v8, 0xff, v20
	v_cmp_gt_i16_e32 vcc_lo, 11, v8
	s_delay_alu instid0(VALU_DEP_3) | instskip(SKIP_1) | instid1(VALU_DEP_1)
	v_ashrrev_i32_e32 v1, 31, v0
	v_add_co_u32 v0, s0, s4, v0
	v_add_co_ci_u32_e64 v1, s0, s5, v1, s0
	s_cbranch_vccnz .LBB224_345
; %bb.339:
	v_cmp_lt_i16_e32 vcc_lo, 25, v8
	s_cbranch_vccz .LBB224_346
; %bb.340:
	v_cmp_lt_i16_e32 vcc_lo, 28, v8
	s_cbranch_vccz .LBB224_347
; %bb.341:
	v_cmp_lt_i16_e32 vcc_lo, 43, v8
	s_cbranch_vccz .LBB224_348
; %bb.342:
	v_cmp_lt_i16_e32 vcc_lo, 45, v8
	s_cbranch_vccz .LBB224_356
; %bb.343:
	v_cmp_eq_u16_e32 vcc_lo, 46, v8
	s_mov_b32 s8, 0
	s_mov_b32 s0, -1
	s_mov_b32 s1, 0
	s_cbranch_vccz .LBB224_357
; %bb.344:
	v_cvt_f32_f64_e32 v6, v[2:3]
	v_cvt_f32_f64_e32 v7, v[4:5]
	s_mov_b32 s1, -1
	s_mov_b32 s0, 0
	s_delay_alu instid0(VALU_DEP_2) | instskip(NEXT) | instid1(VALU_DEP_2)
	v_bfe_u32 v9, v6, 16, 1
	v_bfe_u32 v10, v7, 16, 1
	v_cmp_o_f32_e32 vcc_lo, v6, v6
	s_delay_alu instid0(VALU_DEP_3) | instskip(NEXT) | instid1(VALU_DEP_3)
	v_add3_u32 v9, v6, v9, 0x7fff
	v_add3_u32 v10, v7, v10, 0x7fff
	s_delay_alu instid0(VALU_DEP_2) | instskip(NEXT) | instid1(VALU_DEP_2)
	v_and_b32_e32 v9, 0xffff0000, v9
	v_lshrrev_b32_e32 v10, 16, v10
	s_delay_alu instid0(VALU_DEP_2) | instskip(SKIP_1) | instid1(VALU_DEP_3)
	v_cndmask_b32_e32 v6, 0x7fc00000, v9, vcc_lo
	v_cmp_o_f32_e32 vcc_lo, v7, v7
	v_cndmask_b32_e32 v7, 0x7fc0, v10, vcc_lo
	s_delay_alu instid0(VALU_DEP_1)
	v_or_b32_e32 v6, v6, v7
	global_store_b32 v[0:1], v6, off
	s_branch .LBB224_357
.LBB224_345:
	s_mov_b32 s8, -1
	s_mov_b32 s1, 0
	s_mov_b32 s0, s12
	s_branch .LBB224_426
.LBB224_346:
	s_mov_b32 s8, -1
	s_mov_b32 s1, 0
	s_mov_b32 s0, s12
	s_branch .LBB224_384
.LBB224_347:
	s_mov_b32 s8, -1
	s_mov_b32 s1, 0
	s_mov_b32 s0, s12
	s_branch .LBB224_367
.LBB224_348:
	s_mov_b32 s8, -1
	s_mov_b32 s1, 0
	s_mov_b32 s0, s12
	s_branch .LBB224_363
.LBB224_349:
	s_or_saveexec_b32 s9, s9
                                        ; implicit-def: $sgpr12
	s_delay_alu instid0(SALU_CYCLE_1)
	s_xor_b32 exec_lo, exec_lo, s9
	s_cbranch_execz .LBB224_99
.LBB224_350:
	v_add_f32_e64 v7, 0x42800000, |v6|
	s_and_not1_b32 s8, s8, exec_lo
	s_mov_b32 s12, 0
	s_delay_alu instid0(VALU_DEP_1) | instskip(NEXT) | instid1(VALU_DEP_1)
	v_and_b32_e32 v7, 0xff, v7
	v_cmp_ne_u32_e32 vcc_lo, 0, v7
	s_and_b32 s17, vcc_lo, exec_lo
	s_delay_alu instid0(SALU_CYCLE_1)
	s_or_b32 s8, s8, s17
	s_or_b32 exec_lo, exec_lo, s9
	v_mov_b32_e32 v9, s12
	s_and_saveexec_b32 s9, s8
	s_cbranch_execnz .LBB224_100
	s_branch .LBB224_101
.LBB224_351:
	s_mov_b32 s16, -1
	s_mov_b32 s8, 0
.LBB224_352:
                                        ; implicit-def: $vgpr2_vgpr3
.LBB224_353:
	s_and_b32 vcc_lo, exec_lo, s0
	s_cbranch_vccz .LBB224_470
; %bb.354:
	v_cmp_eq_u16_e32 vcc_lo, 44, v22
	s_cbranch_vccz .LBB224_468
; %bb.355:
	global_load_u8 v2, v[4:5], off
	s_mov_b32 s16, 0
	s_mov_b32 s8, -1
	s_mov_b64 s[0:1], 0
	s_waitcnt vmcnt(0)
	v_cmp_ne_u32_e32 vcc_lo, 0xff, v2
	v_lshlrev_b32_e32 v0, 23, v2
	s_delay_alu instid0(VALU_DEP_1) | instskip(NEXT) | instid1(VALU_DEP_1)
	v_cvt_f64_f32_e32 v[0:1], v0
	v_cndmask_b32_e32 v1, 0x7ff80000, v1, vcc_lo
	s_delay_alu instid0(VALU_DEP_2) | instskip(SKIP_1) | instid1(VALU_DEP_3)
	v_cndmask_b32_e32 v0, 0x20000000, v0, vcc_lo
	v_cmp_ne_u32_e32 vcc_lo, 0, v2
	v_cndmask_b32_e32 v1, 0x38000000, v1, vcc_lo
	s_delay_alu instid0(VALU_DEP_3)
	v_cndmask_b32_e32 v0, 0, v0, vcc_lo
	s_branch .LBB224_469
.LBB224_356:
	s_mov_b32 s8, -1
	s_mov_b32 s1, 0
	s_mov_b32 s0, s12
.LBB224_357:
	s_and_b32 vcc_lo, exec_lo, s8
	s_cbranch_vccz .LBB224_362
; %bb.358:
	v_cmp_eq_u16_e32 vcc_lo, 44, v8
	s_mov_b32 s0, -1
	s_cbranch_vccz .LBB224_362
; %bb.359:
	v_cvt_f32_f64_e32 v6, v[4:5]
	v_mov_b32_e32 v7, 0xff
	s_mov_b32 s1, exec_lo
	s_delay_alu instid0(VALU_DEP_2) | instskip(NEXT) | instid1(VALU_DEP_1)
	v_bfe_u32 v9, v6, 23, 8
	v_cmpx_ne_u32_e32 0xff, v9
; %bb.360:
	v_and_b32_e32 v7, 0x400000, v6
	v_and_or_b32 v9, 0x3fffff, v6, v9
	v_lshrrev_b32_e32 v6, 23, v6
	s_delay_alu instid0(VALU_DEP_3) | instskip(NEXT) | instid1(VALU_DEP_3)
	v_cmp_ne_u32_e32 vcc_lo, 0, v7
	v_cmp_ne_u32_e64 s0, 0, v9
	s_delay_alu instid0(VALU_DEP_1) | instskip(NEXT) | instid1(SALU_CYCLE_1)
	s_and_b32 s0, vcc_lo, s0
	v_cndmask_b32_e64 v7, 0, 1, s0
	s_delay_alu instid0(VALU_DEP_1)
	v_add_nc_u32_e32 v7, v6, v7
; %bb.361:
	s_or_b32 exec_lo, exec_lo, s1
	s_mov_b32 s1, -1
	s_mov_b32 s0, 0
	global_store_b8 v[0:1], v7, off
.LBB224_362:
	s_mov_b32 s8, 0
.LBB224_363:
	s_delay_alu instid0(SALU_CYCLE_1)
	s_and_b32 vcc_lo, exec_lo, s8
	s_cbranch_vccz .LBB224_366
; %bb.364:
	v_cmp_eq_u16_e32 vcc_lo, 29, v8
	s_mov_b32 s0, -1
	s_cbranch_vccz .LBB224_366
; %bb.365:
	v_trunc_f64_e32 v[6:7], v[4:5]
	s_mov_b32 s1, -1
	s_mov_b32 s0, 0
	s_mov_b32 s8, 0
	s_delay_alu instid0(VALU_DEP_1) | instskip(NEXT) | instid1(VALU_DEP_1)
	v_ldexp_f64 v[9:10], v[6:7], 0xffffffe0
	v_floor_f64_e32 v[9:10], v[9:10]
	s_delay_alu instid0(VALU_DEP_1) | instskip(SKIP_1) | instid1(VALU_DEP_2)
	v_fma_f64 v[6:7], 0xc1f00000, v[9:10], v[6:7]
	v_cvt_u32_f64_e32 v10, v[9:10]
	v_cvt_u32_f64_e32 v9, v[6:7]
	global_store_b64 v[0:1], v[9:10], off
	s_branch .LBB224_367
.LBB224_366:
	s_mov_b32 s8, 0
.LBB224_367:
	s_delay_alu instid0(SALU_CYCLE_1)
	s_and_b32 vcc_lo, exec_lo, s8
	s_cbranch_vccz .LBB224_383
; %bb.368:
	v_cmp_gt_i16_e32 vcc_lo, 27, v8
	s_mov_b32 s1, -1
	s_cbranch_vccnz .LBB224_374
; %bb.369:
	v_cmp_lt_i16_e32 vcc_lo, 27, v8
	s_cbranch_vccz .LBB224_371
; %bb.370:
	v_cvt_u32_f64_e32 v6, v[4:5]
	s_mov_b32 s1, 0
	global_store_b32 v[0:1], v6, off
.LBB224_371:
	s_and_not1_b32 vcc_lo, exec_lo, s1
	s_cbranch_vccnz .LBB224_373
; %bb.372:
	v_cvt_u32_f64_e32 v6, v[4:5]
	global_store_b16 v[0:1], v6, off
.LBB224_373:
	s_mov_b32 s1, 0
.LBB224_374:
	s_delay_alu instid0(SALU_CYCLE_1)
	s_and_not1_b32 vcc_lo, exec_lo, s1
	s_cbranch_vccnz .LBB224_382
; %bb.375:
	v_cvt_f32_f64_e32 v6, v[4:5]
	v_mov_b32_e32 v9, 0x80
	s_mov_b32 s1, exec_lo
	s_delay_alu instid0(VALU_DEP_2) | instskip(NEXT) | instid1(VALU_DEP_1)
	v_and_b32_e32 v7, 0x7fffffff, v6
	v_cmpx_gt_u32_e32 0x43800000, v7
	s_cbranch_execz .LBB224_381
; %bb.376:
	v_cmp_lt_u32_e32 vcc_lo, 0x3bffffff, v7
	s_mov_b32 s8, 0
                                        ; implicit-def: $vgpr7
	s_and_saveexec_b32 s9, vcc_lo
	s_delay_alu instid0(SALU_CYCLE_1)
	s_xor_b32 s9, exec_lo, s9
	s_cbranch_execz .LBB224_599
; %bb.377:
	v_bfe_u32 v7, v6, 20, 1
	s_mov_b32 s8, exec_lo
	s_delay_alu instid0(VALU_DEP_1) | instskip(NEXT) | instid1(VALU_DEP_1)
	v_add3_u32 v7, v6, v7, 0x487ffff
	v_lshrrev_b32_e32 v7, 20, v7
	s_or_saveexec_b32 s9, s9
                                        ; implicit-def: $sgpr17
	s_delay_alu instid0(SALU_CYCLE_1)
	s_xor_b32 exec_lo, exec_lo, s9
	s_cbranch_execnz .LBB224_600
.LBB224_378:
	s_or_b32 exec_lo, exec_lo, s9
	v_mov_b32_e32 v9, s17
	s_and_saveexec_b32 s9, s8
.LBB224_379:
	v_lshrrev_b32_e32 v6, 24, v6
	s_delay_alu instid0(VALU_DEP_1)
	v_and_or_b32 v9, 0x80, v6, v7
.LBB224_380:
	s_or_b32 exec_lo, exec_lo, s9
.LBB224_381:
	s_delay_alu instid0(SALU_CYCLE_1)
	s_or_b32 exec_lo, exec_lo, s1
	global_store_b8 v[0:1], v9, off
.LBB224_382:
	s_mov_b32 s1, -1
.LBB224_383:
	s_mov_b32 s8, 0
.LBB224_384:
	s_delay_alu instid0(SALU_CYCLE_1)
	s_and_b32 vcc_lo, exec_lo, s8
	s_cbranch_vccz .LBB224_425
; %bb.385:
	v_cmp_lt_i16_e32 vcc_lo, 22, v8
	s_mov_b32 s8, -1
	s_cbranch_vccz .LBB224_417
; %bb.386:
	v_cmp_gt_i16_e32 vcc_lo, 24, v8
	s_mov_b32 s1, -1
	s_cbranch_vccnz .LBB224_406
; %bb.387:
	v_cmp_lt_i16_e32 vcc_lo, 24, v8
	s_cbranch_vccz .LBB224_395
; %bb.388:
	v_cvt_f32_f64_e32 v6, v[4:5]
	v_mov_b32_e32 v9, 0x80
	s_mov_b32 s1, exec_lo
	s_delay_alu instid0(VALU_DEP_2) | instskip(NEXT) | instid1(VALU_DEP_1)
	v_and_b32_e32 v7, 0x7fffffff, v6
	v_cmpx_gt_u32_e32 0x47800000, v7
	s_cbranch_execz .LBB224_394
; %bb.389:
	v_cmp_lt_u32_e32 vcc_lo, 0x37ffffff, v7
	s_mov_b32 s8, 0
                                        ; implicit-def: $vgpr7
	s_and_saveexec_b32 s9, vcc_lo
	s_delay_alu instid0(SALU_CYCLE_1)
	s_xor_b32 s9, exec_lo, s9
	s_cbranch_execz .LBB224_602
; %bb.390:
	v_bfe_u32 v7, v6, 21, 1
	s_mov_b32 s8, exec_lo
	s_delay_alu instid0(VALU_DEP_1) | instskip(NEXT) | instid1(VALU_DEP_1)
	v_add3_u32 v7, v6, v7, 0x88fffff
	v_lshrrev_b32_e32 v7, 21, v7
	s_or_saveexec_b32 s9, s9
                                        ; implicit-def: $sgpr17
	s_delay_alu instid0(SALU_CYCLE_1)
	s_xor_b32 exec_lo, exec_lo, s9
	s_cbranch_execnz .LBB224_603
.LBB224_391:
	s_or_b32 exec_lo, exec_lo, s9
	v_mov_b32_e32 v9, s17
	s_and_saveexec_b32 s9, s8
.LBB224_392:
	v_lshrrev_b32_e32 v6, 24, v6
	s_delay_alu instid0(VALU_DEP_1)
	v_and_or_b32 v9, 0x80, v6, v7
.LBB224_393:
	s_or_b32 exec_lo, exec_lo, s9
.LBB224_394:
	s_delay_alu instid0(SALU_CYCLE_1)
	s_or_b32 exec_lo, exec_lo, s1
	s_mov_b32 s1, 0
	global_store_b8 v[0:1], v9, off
.LBB224_395:
	s_and_b32 vcc_lo, exec_lo, s1
	s_cbranch_vccz .LBB224_405
; %bb.396:
	v_cvt_f32_f64_e32 v6, v[4:5]
	s_mov_b32 s1, exec_lo
                                        ; implicit-def: $vgpr7
	s_delay_alu instid0(VALU_DEP_1) | instskip(NEXT) | instid1(VALU_DEP_1)
	v_and_b32_e32 v9, 0x7fffffff, v6
	v_cmpx_gt_u32_e32 0x43f00000, v9
	s_xor_b32 s1, exec_lo, s1
	s_cbranch_execz .LBB224_402
; %bb.397:
	s_mov_b32 s8, exec_lo
                                        ; implicit-def: $vgpr7
	v_cmpx_lt_u32_e32 0x3c7fffff, v9
	s_xor_b32 s8, exec_lo, s8
; %bb.398:
	v_bfe_u32 v7, v6, 20, 1
	s_delay_alu instid0(VALU_DEP_1) | instskip(NEXT) | instid1(VALU_DEP_1)
	v_add3_u32 v7, v6, v7, 0x407ffff
	v_and_b32_e32 v9, 0xff00000, v7
	v_lshrrev_b32_e32 v7, 20, v7
	s_delay_alu instid0(VALU_DEP_2) | instskip(NEXT) | instid1(VALU_DEP_2)
	v_cmp_ne_u32_e32 vcc_lo, 0x7f00000, v9
	v_cndmask_b32_e32 v7, 0x7e, v7, vcc_lo
; %bb.399:
	s_and_not1_saveexec_b32 s8, s8
; %bb.400:
	v_add_f32_e64 v7, 0x46800000, |v6|
; %bb.401:
	s_or_b32 exec_lo, exec_lo, s8
                                        ; implicit-def: $vgpr9
.LBB224_402:
	s_and_not1_saveexec_b32 s1, s1
; %bb.403:
	v_mov_b32_e32 v7, 0x7f
	v_cmp_lt_u32_e32 vcc_lo, 0x7f800000, v9
	s_delay_alu instid0(VALU_DEP_2)
	v_cndmask_b32_e32 v7, 0x7e, v7, vcc_lo
; %bb.404:
	s_or_b32 exec_lo, exec_lo, s1
	v_lshrrev_b32_e32 v6, 24, v6
	s_delay_alu instid0(VALU_DEP_1)
	v_and_or_b32 v6, 0x80, v6, v7
	global_store_b8 v[0:1], v6, off
.LBB224_405:
	s_mov_b32 s1, 0
.LBB224_406:
	s_delay_alu instid0(SALU_CYCLE_1)
	s_and_not1_b32 vcc_lo, exec_lo, s1
	s_cbranch_vccnz .LBB224_416
; %bb.407:
	v_cvt_f32_f64_e32 v6, v[4:5]
	s_mov_b32 s1, exec_lo
                                        ; implicit-def: $vgpr7
	s_delay_alu instid0(VALU_DEP_1) | instskip(NEXT) | instid1(VALU_DEP_1)
	v_and_b32_e32 v9, 0x7fffffff, v6
	v_cmpx_gt_u32_e32 0x47800000, v9
	s_xor_b32 s1, exec_lo, s1
	s_cbranch_execz .LBB224_413
; %bb.408:
	s_mov_b32 s8, exec_lo
                                        ; implicit-def: $vgpr7
	v_cmpx_lt_u32_e32 0x387fffff, v9
	s_xor_b32 s8, exec_lo, s8
; %bb.409:
	v_bfe_u32 v7, v6, 21, 1
	s_delay_alu instid0(VALU_DEP_1) | instskip(NEXT) | instid1(VALU_DEP_1)
	v_add3_u32 v7, v6, v7, 0x80fffff
	v_lshrrev_b32_e32 v7, 21, v7
; %bb.410:
	s_and_not1_saveexec_b32 s8, s8
; %bb.411:
	v_add_f32_e64 v7, 0x43000000, |v6|
; %bb.412:
	s_or_b32 exec_lo, exec_lo, s8
                                        ; implicit-def: $vgpr9
.LBB224_413:
	s_and_not1_saveexec_b32 s1, s1
; %bb.414:
	v_mov_b32_e32 v7, 0x7f
	v_cmp_lt_u32_e32 vcc_lo, 0x7f800000, v9
	s_delay_alu instid0(VALU_DEP_2)
	v_cndmask_b32_e32 v7, 0x7c, v7, vcc_lo
; %bb.415:
	s_or_b32 exec_lo, exec_lo, s1
	v_lshrrev_b32_e32 v6, 24, v6
	s_delay_alu instid0(VALU_DEP_1)
	v_and_or_b32 v6, 0x80, v6, v7
	global_store_b8 v[0:1], v6, off
.LBB224_416:
	s_mov_b32 s8, 0
	s_mov_b32 s1, -1
.LBB224_417:
	s_and_not1_b32 vcc_lo, exec_lo, s8
	s_cbranch_vccnz .LBB224_425
; %bb.418:
	v_cmp_lt_i16_e32 vcc_lo, 14, v8
	s_mov_b32 s8, -1
	s_cbranch_vccz .LBB224_422
; %bb.419:
	v_cmp_eq_u16_e32 vcc_lo, 15, v8
	s_mov_b32 s0, -1
	s_cbranch_vccz .LBB224_421
; %bb.420:
	v_cvt_f32_f64_e32 v6, v[4:5]
	s_mov_b32 s1, -1
	s_mov_b32 s0, 0
	s_delay_alu instid0(VALU_DEP_1) | instskip(SKIP_1) | instid1(VALU_DEP_2)
	v_bfe_u32 v7, v6, 16, 1
	v_cmp_o_f32_e32 vcc_lo, v6, v6
	v_add3_u32 v7, v6, v7, 0x7fff
	s_delay_alu instid0(VALU_DEP_1) | instskip(NEXT) | instid1(VALU_DEP_1)
	v_lshrrev_b32_e32 v7, 16, v7
	v_cndmask_b32_e32 v6, 0x7fc0, v7, vcc_lo
	global_store_b16 v[0:1], v6, off
.LBB224_421:
	s_mov_b32 s8, 0
.LBB224_422:
	s_delay_alu instid0(SALU_CYCLE_1)
	s_and_b32 vcc_lo, exec_lo, s8
	s_cbranch_vccz .LBB224_425
; %bb.423:
	v_cmp_eq_u16_e32 vcc_lo, 11, v8
	s_mov_b32 s0, -1
	s_cbranch_vccz .LBB224_425
; %bb.424:
	v_cmp_neq_f64_e32 vcc_lo, 0, v[4:5]
	v_cmp_neq_f64_e64 s0, 0, v[2:3]
	s_mov_b32 s1, -1
	s_delay_alu instid0(VALU_DEP_1) | instskip(NEXT) | instid1(SALU_CYCLE_1)
	s_or_b32 s0, vcc_lo, s0
	v_cndmask_b32_e64 v6, 0, 1, s0
	s_mov_b32 s0, 0
	global_store_b8 v[0:1], v6, off
.LBB224_425:
	s_mov_b32 s8, 0
.LBB224_426:
	s_delay_alu instid0(SALU_CYCLE_1)
	s_and_b32 vcc_lo, exec_lo, s8
	s_cbranch_vccz .LBB224_465
; %bb.427:
	v_cmp_gt_i16_e32 vcc_lo, 5, v8
	s_mov_b32 s1, -1
	s_cbranch_vccnz .LBB224_448
; %bb.428:
	v_cmp_gt_i16_e32 vcc_lo, 8, v8
	s_cbranch_vccnz .LBB224_438
; %bb.429:
	v_cmp_gt_i16_e32 vcc_lo, 9, v8
	s_cbranch_vccnz .LBB224_435
; %bb.430:
	v_cmp_lt_i16_e32 vcc_lo, 9, v8
	s_cbranch_vccz .LBB224_432
; %bb.431:
	v_dual_mov_b32 v6, v2 :: v_dual_mov_b32 v7, v3
	s_mov_b32 s1, 0
	global_store_b128 v[0:1], v[4:7], off
.LBB224_432:
	s_and_not1_b32 vcc_lo, exec_lo, s1
	s_cbranch_vccnz .LBB224_434
; %bb.433:
	v_cvt_f32_f64_e32 v6, v[4:5]
	v_cvt_f32_f64_e32 v7, v[2:3]
	global_store_b64 v[0:1], v[6:7], off
.LBB224_434:
	s_mov_b32 s1, 0
.LBB224_435:
	s_delay_alu instid0(SALU_CYCLE_1)
	s_and_not1_b32 vcc_lo, exec_lo, s1
	s_cbranch_vccnz .LBB224_437
; %bb.436:
	v_cvt_f32_f64_e32 v2, v[2:3]
	v_cvt_f32_f64_e32 v3, v[4:5]
	s_delay_alu instid0(VALU_DEP_2) | instskip(NEXT) | instid1(VALU_DEP_2)
	v_cvt_f16_f32_e32 v2, v2
	v_cvt_f16_f32_e32 v3, v3
	s_delay_alu instid0(VALU_DEP_2) | instskip(NEXT) | instid1(VALU_DEP_2)
	v_lshlrev_b32_e32 v2, 16, v2
	v_and_b32_e32 v3, 0xffff, v3
	s_delay_alu instid0(VALU_DEP_1)
	v_or_b32_e32 v2, v2, v3
	global_store_b32 v[0:1], v2, off
.LBB224_437:
	s_mov_b32 s1, 0
.LBB224_438:
	s_delay_alu instid0(SALU_CYCLE_1)
	s_and_not1_b32 vcc_lo, exec_lo, s1
	s_cbranch_vccnz .LBB224_447
; %bb.439:
	v_cmp_gt_i16_e32 vcc_lo, 6, v8
	s_mov_b32 s1, -1
	s_cbranch_vccnz .LBB224_445
; %bb.440:
	v_cmp_lt_i16_e32 vcc_lo, 6, v8
	s_cbranch_vccz .LBB224_442
; %bb.441:
	s_mov_b32 s1, 0
	global_store_b64 v[0:1], v[4:5], off
.LBB224_442:
	s_and_not1_b32 vcc_lo, exec_lo, s1
	s_cbranch_vccnz .LBB224_444
; %bb.443:
	v_cvt_f32_f64_e32 v2, v[4:5]
	global_store_b32 v[0:1], v2, off
.LBB224_444:
	s_mov_b32 s1, 0
.LBB224_445:
	s_delay_alu instid0(SALU_CYCLE_1)
	s_and_not1_b32 vcc_lo, exec_lo, s1
	s_cbranch_vccnz .LBB224_447
; %bb.446:
	v_cvt_f32_f64_e32 v2, v[4:5]
	s_delay_alu instid0(VALU_DEP_1)
	v_cvt_f16_f32_e32 v2, v2
	global_store_b16 v[0:1], v2, off
.LBB224_447:
	s_mov_b32 s1, 0
.LBB224_448:
	s_delay_alu instid0(SALU_CYCLE_1)
	s_and_not1_b32 vcc_lo, exec_lo, s1
	s_cbranch_vccnz .LBB224_464
; %bb.449:
	v_cmp_gt_i16_e32 vcc_lo, 2, v8
	s_mov_b32 s1, -1
	s_cbranch_vccnz .LBB224_459
; %bb.450:
	v_cmp_gt_i16_e32 vcc_lo, 3, v8
	s_cbranch_vccnz .LBB224_456
; %bb.451:
	v_cmp_lt_i16_e32 vcc_lo, 3, v8
	s_cbranch_vccz .LBB224_453
; %bb.452:
	v_trunc_f64_e32 v[2:3], v[4:5]
	s_mov_b32 s1, 0
	s_delay_alu instid0(VALU_DEP_1) | instskip(NEXT) | instid1(VALU_DEP_1)
	v_ldexp_f64 v[6:7], v[2:3], 0xffffffe0
	v_floor_f64_e32 v[6:7], v[6:7]
	s_delay_alu instid0(VALU_DEP_1) | instskip(SKIP_1) | instid1(VALU_DEP_2)
	v_fma_f64 v[2:3], 0xc1f00000, v[6:7], v[2:3]
	v_cvt_i32_f64_e32 v7, v[6:7]
	v_cvt_u32_f64_e32 v6, v[2:3]
	global_store_b64 v[0:1], v[6:7], off
.LBB224_453:
	s_and_not1_b32 vcc_lo, exec_lo, s1
	s_cbranch_vccnz .LBB224_455
; %bb.454:
	v_cvt_i32_f64_e32 v2, v[4:5]
	global_store_b32 v[0:1], v2, off
.LBB224_455:
	s_mov_b32 s1, 0
.LBB224_456:
	s_delay_alu instid0(SALU_CYCLE_1)
	s_and_not1_b32 vcc_lo, exec_lo, s1
	s_cbranch_vccnz .LBB224_458
; %bb.457:
	v_cvt_i32_f64_e32 v2, v[4:5]
	global_store_b16 v[0:1], v2, off
.LBB224_458:
	s_mov_b32 s1, 0
.LBB224_459:
	s_delay_alu instid0(SALU_CYCLE_1)
	s_and_not1_b32 vcc_lo, exec_lo, s1
	s_cbranch_vccnz .LBB224_464
; %bb.460:
	v_cmp_lt_i16_e32 vcc_lo, 0, v8
	s_mov_b32 s1, -1
	s_cbranch_vccz .LBB224_462
; %bb.461:
	v_cvt_i32_f64_e32 v2, v[4:5]
	s_mov_b32 s1, 0
	global_store_b8 v[0:1], v2, off
.LBB224_462:
	s_and_not1_b32 vcc_lo, exec_lo, s1
	s_cbranch_vccnz .LBB224_464
; %bb.463:
	v_trunc_f64_e32 v[2:3], v[4:5]
	s_delay_alu instid0(VALU_DEP_1) | instskip(NEXT) | instid1(VALU_DEP_1)
	v_ldexp_f64 v[4:5], v[2:3], 0xffffffe0
	v_floor_f64_e32 v[4:5], v[4:5]
	s_delay_alu instid0(VALU_DEP_1) | instskip(NEXT) | instid1(VALU_DEP_1)
	v_fma_f64 v[2:3], 0xc1f00000, v[4:5], v[2:3]
	v_cvt_u32_f64_e32 v2, v[2:3]
	global_store_b8 v[0:1], v2, off
.LBB224_464:
	s_mov_b32 s1, -1
.LBB224_465:
	s_delay_alu instid0(SALU_CYCLE_1)
	s_and_not1_b32 vcc_lo, exec_lo, s1
	s_cbranch_vccnz .LBB224_467
; %bb.466:
	v_add_nc_u32_e32 v21, 0x80, v21
	s_mov_b32 s1, -1
	s_branch .LBB224_585
.LBB224_467:
	s_mov_b32 s1, 0
	s_branch .LBB224_584
.LBB224_468:
	s_mov_b32 s16, -1
                                        ; implicit-def: $sgpr0_sgpr1
                                        ; implicit-def: $vgpr0_vgpr1
.LBB224_469:
	v_dual_mov_b32 v3, s1 :: v_dual_mov_b32 v2, s0
.LBB224_470:
	s_mov_b32 s0, 0
.LBB224_471:
	s_delay_alu instid0(SALU_CYCLE_1)
	s_and_b32 vcc_lo, exec_lo, s0
	s_cbranch_vccz .LBB224_476
; %bb.472:
	v_cmp_eq_u16_e32 vcc_lo, 29, v22
	s_cbranch_vccz .LBB224_474
; %bb.473:
	global_load_b64 v[0:1], v[4:5], off
	s_mov_b32 s8, -1
	s_mov_b32 s16, 0
	s_mov_b64 s[0:1], 0
	s_waitcnt vmcnt(0)
	v_cvt_f64_u32_e32 v[1:2], v1
	v_cvt_f64_u32_e32 v[6:7], v0
	s_delay_alu instid0(VALU_DEP_2) | instskip(NEXT) | instid1(VALU_DEP_1)
	v_ldexp_f64 v[1:2], v[1:2], 32
	v_add_f64 v[0:1], v[1:2], v[6:7]
	s_branch .LBB224_475
.LBB224_474:
	s_mov_b32 s16, -1
                                        ; implicit-def: $sgpr0_sgpr1
                                        ; implicit-def: $vgpr0_vgpr1
.LBB224_475:
	v_dual_mov_b32 v3, s1 :: v_dual_mov_b32 v2, s0
.LBB224_476:
	s_mov_b32 s0, 0
.LBB224_477:
	s_delay_alu instid0(SALU_CYCLE_1)
	s_and_b32 vcc_lo, exec_lo, s0
	s_cbranch_vccz .LBB224_497
; %bb.478:
	v_cmp_gt_i16_e32 vcc_lo, 27, v22
	s_cbranch_vccnz .LBB224_481
; %bb.479:
	v_cmp_lt_i16_e32 vcc_lo, 27, v22
	s_cbranch_vccz .LBB224_482
; %bb.480:
	global_load_b32 v0, v[4:5], off
	s_mov_b32 s8, 0
	s_mov_b64 s[0:1], 0
	s_waitcnt vmcnt(0)
	v_cvt_f64_u32_e32 v[0:1], v0
	s_branch .LBB224_483
.LBB224_481:
	s_mov_b32 s8, -1
                                        ; implicit-def: $sgpr0_sgpr1
                                        ; implicit-def: $vgpr0_vgpr1
	s_branch .LBB224_486
.LBB224_482:
	s_mov_b32 s8, -1
                                        ; implicit-def: $sgpr0_sgpr1
                                        ; implicit-def: $vgpr0_vgpr1
.LBB224_483:
	s_delay_alu instid0(SALU_CYCLE_1)
	s_and_not1_b32 vcc_lo, exec_lo, s8
	s_cbranch_vccnz .LBB224_485
; %bb.484:
	global_load_u16 v0, v[4:5], off
	s_mov_b64 s[0:1], 0
	s_waitcnt vmcnt(0)
	v_cvt_f64_u32_e32 v[0:1], v0
.LBB224_485:
	s_mov_b32 s8, 0
.LBB224_486:
	v_dual_mov_b32 v3, s1 :: v_dual_mov_b32 v2, s0
	s_and_not1_b32 vcc_lo, exec_lo, s8
	s_cbranch_vccnz .LBB224_496
; %bb.487:
	global_load_u8 v6, v[4:5], off
	s_mov_b32 s17, 0
	s_mov_b32 s19, exec_lo
                                        ; implicit-def: $sgpr0_sgpr1
                                        ; implicit-def: $sgpr8_sgpr9
	s_waitcnt vmcnt(0)
	v_cmpx_lt_i16_e32 0x7f, v6
	s_xor_b32 s19, exec_lo, s19
	s_cbranch_execz .LBB224_491
; %bb.488:
	s_mov_b32 s17, -1
	s_mov_b32 s20, exec_lo
                                        ; implicit-def: $sgpr0_sgpr1
                                        ; implicit-def: $sgpr8_sgpr9
	v_cmpx_eq_u16_e32 0x80, v6
; %bb.489:
	s_mov_b64 s[0:1], 0
	s_mov_b32 s9, 0x7ff80000
	s_brev_b32 s8, 4
	s_xor_b32 s17, exec_lo, -1
; %bb.490:
	s_or_b32 exec_lo, exec_lo, s20
	s_delay_alu instid0(SALU_CYCLE_1)
	s_and_b32 s17, s17, exec_lo
.LBB224_491:
	s_or_saveexec_b32 s19, s19
	v_dual_mov_b32 v3, s1 :: v_dual_mov_b32 v2, s0
	v_dual_mov_b32 v0, s8 :: v_dual_mov_b32 v1, s9
	s_xor_b32 exec_lo, exec_lo, s19
; %bb.492:
	v_mov_b32_e32 v2, 0
	v_mov_b32_e32 v3, 0
	v_cmp_ne_u16_e32 vcc_lo, 0, v6
	s_delay_alu instid0(VALU_DEP_3) | instskip(SKIP_1) | instid1(VALU_DEP_3)
	v_mov_b32_e32 v0, v2
	s_and_not1_b32 s0, s17, exec_lo
	v_mov_b32_e32 v1, v3
	s_and_b32 s1, vcc_lo, exec_lo
	s_delay_alu instid0(SALU_CYCLE_1)
	s_or_b32 s17, s0, s1
; %bb.493:
	s_or_b32 exec_lo, exec_lo, s19
	s_and_saveexec_b32 s0, s17
	s_cbranch_execz .LBB224_495
; %bb.494:
	v_and_b32_e32 v0, 0xffff, v6
	v_lshlrev_b32_e32 v6, 24, v6
	s_delay_alu instid0(VALU_DEP_2) | instskip(NEXT) | instid1(VALU_DEP_1)
	v_and_b32_e32 v1, 7, v0
	v_clz_i32_u32_e32 v2, v1
	s_delay_alu instid0(VALU_DEP_1) | instskip(NEXT) | instid1(VALU_DEP_1)
	v_min_u32_e32 v2, 32, v2
	v_subrev_nc_u32_e32 v3, 28, v2
	v_sub_nc_u32_e32 v2, 29, v2
	s_delay_alu instid0(VALU_DEP_2) | instskip(SKIP_1) | instid1(VALU_DEP_2)
	v_lshlrev_b32_e32 v3, v3, v0
	v_bfe_u32 v0, v0, 3, 4
	v_and_b32_e32 v3, 7, v3
	s_delay_alu instid0(VALU_DEP_2) | instskip(NEXT) | instid1(VALU_DEP_2)
	v_cmp_eq_u32_e32 vcc_lo, 0, v0
	v_dual_cndmask_b32 v0, v0, v2 :: v_dual_cndmask_b32 v1, v1, v3
	v_and_b32_e32 v2, 0x80000000, v6
	s_delay_alu instid0(VALU_DEP_2) | instskip(NEXT) | instid1(VALU_DEP_3)
	v_lshl_add_u32 v0, v0, 23, 0x3b800000
	v_lshlrev_b32_e32 v1, 20, v1
	s_delay_alu instid0(VALU_DEP_1) | instskip(SKIP_2) | instid1(VALU_DEP_3)
	v_or3_b32 v0, v2, v0, v1
	v_mov_b32_e32 v2, 0
	v_mov_b32_e32 v3, 0
	v_cvt_f64_f32_e32 v[0:1], v0
.LBB224_495:
	s_or_b32 exec_lo, exec_lo, s0
.LBB224_496:
	s_mov_b32 s8, -1
.LBB224_497:
	s_mov_b32 s0, 0
.LBB224_498:
	s_delay_alu instid0(SALU_CYCLE_1)
	s_and_b32 vcc_lo, exec_lo, s0
	s_cbranch_vccz .LBB224_532
; %bb.499:
	v_cmp_lt_i16_e32 vcc_lo, 22, v22
	s_cbranch_vccz .LBB224_511
; %bb.500:
	v_cmp_gt_i16_e32 vcc_lo, 24, v22
	s_cbranch_vccnz .LBB224_512
; %bb.501:
	v_cmp_lt_i16_e32 vcc_lo, 24, v22
	s_cbranch_vccz .LBB224_513
; %bb.502:
	global_load_u8 v6, v[4:5], off
	s_mov_b32 s17, 0
	s_mov_b32 s19, exec_lo
                                        ; implicit-def: $sgpr0_sgpr1
                                        ; implicit-def: $sgpr8_sgpr9
	s_waitcnt vmcnt(0)
	v_cmpx_lt_i16_e32 0x7f, v6
	s_xor_b32 s19, exec_lo, s19
	s_cbranch_execz .LBB224_506
; %bb.503:
	s_mov_b32 s17, -1
	s_mov_b32 s20, exec_lo
                                        ; implicit-def: $sgpr0_sgpr1
                                        ; implicit-def: $sgpr8_sgpr9
	v_cmpx_eq_u16_e32 0x80, v6
; %bb.504:
	s_mov_b64 s[0:1], 0
	s_mov_b32 s9, 0x7ff80000
	s_brev_b32 s8, 4
	s_xor_b32 s17, exec_lo, -1
; %bb.505:
	s_or_b32 exec_lo, exec_lo, s20
	s_delay_alu instid0(SALU_CYCLE_1)
	s_and_b32 s17, s17, exec_lo
.LBB224_506:
	s_or_saveexec_b32 s19, s19
	v_dual_mov_b32 v3, s1 :: v_dual_mov_b32 v2, s0
	v_dual_mov_b32 v0, s8 :: v_dual_mov_b32 v1, s9
	s_xor_b32 exec_lo, exec_lo, s19
; %bb.507:
	v_mov_b32_e32 v2, 0
	v_mov_b32_e32 v3, 0
	v_cmp_ne_u16_e32 vcc_lo, 0, v6
	s_delay_alu instid0(VALU_DEP_3) | instskip(SKIP_1) | instid1(VALU_DEP_3)
	v_mov_b32_e32 v0, v2
	s_and_not1_b32 s0, s17, exec_lo
	v_mov_b32_e32 v1, v3
	s_and_b32 s1, vcc_lo, exec_lo
	s_delay_alu instid0(SALU_CYCLE_1)
	s_or_b32 s17, s0, s1
; %bb.508:
	s_or_b32 exec_lo, exec_lo, s19
	s_and_saveexec_b32 s0, s17
	s_cbranch_execz .LBB224_510
; %bb.509:
	v_and_b32_e32 v0, 0xffff, v6
	v_lshlrev_b32_e32 v6, 24, v6
	s_delay_alu instid0(VALU_DEP_2) | instskip(NEXT) | instid1(VALU_DEP_1)
	v_and_b32_e32 v1, 3, v0
	v_clz_i32_u32_e32 v2, v1
	s_delay_alu instid0(VALU_DEP_1) | instskip(NEXT) | instid1(VALU_DEP_1)
	v_min_u32_e32 v2, 32, v2
	v_subrev_nc_u32_e32 v3, 29, v2
	v_sub_nc_u32_e32 v2, 30, v2
	s_delay_alu instid0(VALU_DEP_2) | instskip(SKIP_1) | instid1(VALU_DEP_2)
	v_lshlrev_b32_e32 v3, v3, v0
	v_bfe_u32 v0, v0, 2, 5
	v_and_b32_e32 v3, 3, v3
	s_delay_alu instid0(VALU_DEP_2) | instskip(NEXT) | instid1(VALU_DEP_2)
	v_cmp_eq_u32_e32 vcc_lo, 0, v0
	v_dual_cndmask_b32 v0, v0, v2 :: v_dual_cndmask_b32 v1, v1, v3
	v_and_b32_e32 v2, 0x80000000, v6
	s_delay_alu instid0(VALU_DEP_2) | instskip(NEXT) | instid1(VALU_DEP_3)
	v_lshl_add_u32 v0, v0, 23, 0x37800000
	v_lshlrev_b32_e32 v1, 21, v1
	s_delay_alu instid0(VALU_DEP_1) | instskip(SKIP_2) | instid1(VALU_DEP_3)
	v_or3_b32 v0, v2, v0, v1
	v_mov_b32_e32 v2, 0
	v_mov_b32_e32 v3, 0
	v_cvt_f64_f32_e32 v[0:1], v0
.LBB224_510:
	s_or_b32 exec_lo, exec_lo, s0
	s_mov_b32 s0, 0
	s_branch .LBB224_514
.LBB224_511:
	s_mov_b32 s0, -1
                                        ; implicit-def: $vgpr2_vgpr3
	s_branch .LBB224_520
.LBB224_512:
	s_mov_b32 s0, -1
                                        ; implicit-def: $vgpr2_vgpr3
	s_branch .LBB224_517
.LBB224_513:
	s_mov_b32 s0, -1
                                        ; implicit-def: $vgpr2_vgpr3
.LBB224_514:
	s_delay_alu instid0(SALU_CYCLE_1)
	s_and_b32 vcc_lo, exec_lo, s0
	s_cbranch_vccz .LBB224_516
; %bb.515:
	global_load_u8 v0, v[4:5], off
	s_waitcnt vmcnt(0)
	v_lshlrev_b32_e32 v0, 24, v0
	s_delay_alu instid0(VALU_DEP_1) | instskip(NEXT) | instid1(VALU_DEP_1)
	v_and_b32_e32 v1, 0x7f000000, v0
	v_clz_i32_u32_e32 v2, v1
	v_add_nc_u32_e32 v6, 0x1000000, v1
	v_cmp_ne_u32_e32 vcc_lo, 0, v1
	s_delay_alu instid0(VALU_DEP_3) | instskip(NEXT) | instid1(VALU_DEP_1)
	v_min_u32_e32 v2, 32, v2
	v_sub_nc_u32_e64 v2, v2, 4 clamp
	s_delay_alu instid0(VALU_DEP_1) | instskip(SKIP_1) | instid1(VALU_DEP_2)
	v_lshlrev_b32_e32 v3, v2, v1
	v_lshlrev_b32_e32 v2, 23, v2
	v_lshrrev_b32_e32 v3, 4, v3
	s_delay_alu instid0(VALU_DEP_1) | instskip(SKIP_1) | instid1(VALU_DEP_2)
	v_sub_nc_u32_e32 v2, v3, v2
	v_ashrrev_i32_e32 v3, 8, v6
	v_add_nc_u32_e32 v2, 0x3c000000, v2
	s_delay_alu instid0(VALU_DEP_1) | instskip(NEXT) | instid1(VALU_DEP_1)
	v_and_or_b32 v2, 0x7f800000, v3, v2
	v_dual_cndmask_b32 v1, 0, v2 :: v_dual_mov_b32 v2, 0
	v_mov_b32_e32 v3, 0
	s_delay_alu instid0(VALU_DEP_2) | instskip(NEXT) | instid1(VALU_DEP_1)
	v_and_or_b32 v0, 0x80000000, v0, v1
	v_cvt_f64_f32_e32 v[0:1], v0
.LBB224_516:
	s_mov_b32 s0, 0
.LBB224_517:
	s_delay_alu instid0(SALU_CYCLE_1)
	s_and_not1_b32 vcc_lo, exec_lo, s0
	s_cbranch_vccnz .LBB224_519
; %bb.518:
	global_load_u8 v0, v[4:5], off
	s_waitcnt vmcnt(0)
	v_lshlrev_b32_e32 v1, 25, v0
	v_lshlrev_b16 v0, 8, v0
	s_delay_alu instid0(VALU_DEP_2) | instskip(NEXT) | instid1(VALU_DEP_2)
	v_lshrrev_b32_e32 v2, 4, v1
	v_and_or_b32 v3, 0x7f00, v0, 0.5
	v_bfe_i32 v0, v0, 0, 16
	s_delay_alu instid0(VALU_DEP_3) | instskip(NEXT) | instid1(VALU_DEP_1)
	v_or_b32_e32 v2, 0x70000000, v2
	v_dual_add_f32 v3, -0.5, v3 :: v_dual_mul_f32 v2, 0x7800000, v2
	v_cmp_gt_u32_e32 vcc_lo, 0x8000000, v1
	s_delay_alu instid0(VALU_DEP_2) | instskip(SKIP_1) | instid1(VALU_DEP_2)
	v_dual_cndmask_b32 v1, v2, v3 :: v_dual_mov_b32 v2, 0
	v_mov_b32_e32 v3, 0
	v_and_or_b32 v0, 0x80000000, v0, v1
	s_delay_alu instid0(VALU_DEP_1)
	v_cvt_f64_f32_e32 v[0:1], v0
.LBB224_519:
	s_mov_b32 s0, 0
	s_mov_b32 s8, -1
.LBB224_520:
	s_and_not1_b32 vcc_lo, exec_lo, s0
	s_cbranch_vccnz .LBB224_532
; %bb.521:
	v_cmp_lt_i16_e32 vcc_lo, 14, v22
	s_cbranch_vccz .LBB224_524
; %bb.522:
	v_cmp_eq_u16_e32 vcc_lo, 15, v22
	s_cbranch_vccz .LBB224_525
; %bb.523:
	global_load_u16 v0, v[4:5], off
	s_mov_b32 s8, -1
	s_mov_b32 s16, 0
	s_mov_b64 s[0:1], 0
	s_waitcnt vmcnt(0)
	v_lshlrev_b32_e32 v0, 16, v0
	s_delay_alu instid0(VALU_DEP_1)
	v_cvt_f64_f32_e32 v[0:1], v0
	s_branch .LBB224_526
.LBB224_524:
	s_mov_b32 s9, -1
                                        ; implicit-def: $sgpr0_sgpr1
                                        ; implicit-def: $vgpr0_vgpr1
	s_branch .LBB224_527
.LBB224_525:
	s_mov_b32 s16, -1
                                        ; implicit-def: $sgpr0_sgpr1
                                        ; implicit-def: $vgpr0_vgpr1
.LBB224_526:
	s_mov_b32 s9, 0
.LBB224_527:
	s_delay_alu instid0(SALU_CYCLE_1)
	s_and_b32 vcc_lo, exec_lo, s9
	s_cbranch_vccz .LBB224_531
; %bb.528:
	v_cmp_eq_u16_e32 vcc_lo, 11, v22
	s_cbranch_vccz .LBB224_530
; %bb.529:
	global_load_u8 v0, v[4:5], off
	s_mov_b32 s16, 0
	s_mov_b32 s8, -1
	s_mov_b64 s[0:1], 0
	s_waitcnt vmcnt(0)
	v_cmp_ne_u16_e32 vcc_lo, 0, v0
	v_mov_b32_e32 v0, 0
	v_cndmask_b32_e64 v1, 0, 0x3ff00000, vcc_lo
	s_branch .LBB224_531
.LBB224_530:
	s_mov_b32 s16, -1
                                        ; implicit-def: $sgpr0_sgpr1
                                        ; implicit-def: $vgpr0_vgpr1
.LBB224_531:
	v_dual_mov_b32 v3, s1 :: v_dual_mov_b32 v2, s0
.LBB224_532:
	s_branch .LBB224_299
.LBB224_533:
	v_cmp_gt_i16_e32 vcc_lo, 5, v22
	s_cbranch_vccnz .LBB224_538
; %bb.534:
	v_cmp_gt_i16_e32 vcc_lo, 8, v22
	s_cbranch_vccnz .LBB224_539
; %bb.535:
	;; [unrolled: 3-line block ×3, first 2 shown]
	v_cmp_lt_i16_e32 vcc_lo, 9, v22
	s_cbranch_vccz .LBB224_541
; %bb.537:
	global_load_b128 v[0:3], v[4:5], off
	s_mov_b32 s0, 0
	s_branch .LBB224_542
.LBB224_538:
	s_mov_b32 s0, -1
                                        ; implicit-def: $vgpr2_vgpr3
	s_branch .LBB224_561
.LBB224_539:
	s_mov_b32 s0, -1
                                        ; implicit-def: $vgpr2_vgpr3
	s_branch .LBB224_548
.LBB224_540:
	s_mov_b32 s0, -1
                                        ; implicit-def: $vgpr2_vgpr3
	s_branch .LBB224_545
.LBB224_541:
	s_mov_b32 s0, -1
                                        ; implicit-def: $vgpr2_vgpr3
.LBB224_542:
	s_delay_alu instid0(SALU_CYCLE_1)
	s_and_not1_b32 vcc_lo, exec_lo, s0
	s_cbranch_vccnz .LBB224_544
; %bb.543:
	global_load_b64 v[1:2], v[4:5], off
	s_waitcnt vmcnt(0)
	v_cvt_f64_f32_e32 v[0:1], v1
	v_cvt_f64_f32_e32 v[2:3], v2
.LBB224_544:
	s_mov_b32 s0, 0
.LBB224_545:
	s_delay_alu instid0(SALU_CYCLE_1)
	s_and_not1_b32 vcc_lo, exec_lo, s0
	s_cbranch_vccnz .LBB224_547
; %bb.546:
	global_load_b32 v0, v[4:5], off
	s_waitcnt vmcnt(0)
	v_lshrrev_b32_e32 v1, 16, v0
	v_cvt_f32_f16_e32 v0, v0
	s_delay_alu instid0(VALU_DEP_2) | instskip(NEXT) | instid1(VALU_DEP_2)
	v_cvt_f32_f16_e32 v2, v1
	v_cvt_f64_f32_e32 v[0:1], v0
	s_delay_alu instid0(VALU_DEP_2)
	v_cvt_f64_f32_e32 v[2:3], v2
.LBB224_547:
	s_mov_b32 s0, 0
.LBB224_548:
	s_delay_alu instid0(SALU_CYCLE_1)
	s_and_not1_b32 vcc_lo, exec_lo, s0
	s_cbranch_vccnz .LBB224_560
; %bb.549:
	v_cmp_gt_i16_e32 vcc_lo, 6, v22
	s_cbranch_vccnz .LBB224_552
; %bb.550:
	v_cmp_lt_i16_e32 vcc_lo, 6, v22
	s_cbranch_vccz .LBB224_553
; %bb.551:
	global_load_b64 v[0:1], v[4:5], off
	s_mov_b32 s8, 0
	s_mov_b64 s[0:1], 0
	s_branch .LBB224_554
.LBB224_552:
	s_mov_b32 s8, -1
                                        ; implicit-def: $sgpr0_sgpr1
                                        ; implicit-def: $vgpr0_vgpr1
	s_branch .LBB224_557
.LBB224_553:
	s_mov_b32 s8, -1
                                        ; implicit-def: $sgpr0_sgpr1
                                        ; implicit-def: $vgpr0_vgpr1
.LBB224_554:
	s_delay_alu instid0(SALU_CYCLE_1)
	s_and_not1_b32 vcc_lo, exec_lo, s8
	s_cbranch_vccnz .LBB224_556
; %bb.555:
	global_load_b32 v0, v[4:5], off
	s_mov_b64 s[0:1], 0
	s_waitcnt vmcnt(0)
	v_cvt_f64_f32_e32 v[0:1], v0
.LBB224_556:
	s_mov_b32 s8, 0
.LBB224_557:
	s_delay_alu instid0(SALU_CYCLE_1)
	s_and_not1_b32 vcc_lo, exec_lo, s8
	s_cbranch_vccnz .LBB224_559
; %bb.558:
	global_load_u16 v0, v[4:5], off
	s_mov_b64 s[0:1], 0
	s_waitcnt vmcnt(0)
	v_cvt_f32_f16_e32 v0, v0
	s_delay_alu instid0(VALU_DEP_1)
	v_cvt_f64_f32_e32 v[0:1], v0
.LBB224_559:
	s_waitcnt vmcnt(0)
	v_dual_mov_b32 v3, s1 :: v_dual_mov_b32 v2, s0
.LBB224_560:
	s_mov_b32 s0, 0
.LBB224_561:
	s_delay_alu instid0(SALU_CYCLE_1)
	s_and_not1_b32 vcc_lo, exec_lo, s0
	s_cbranch_vccnz .LBB224_582
; %bb.562:
	v_cmp_gt_i16_e32 vcc_lo, 2, v22
	s_cbranch_vccnz .LBB224_566
; %bb.563:
	v_cmp_gt_i16_e32 vcc_lo, 3, v22
	s_cbranch_vccnz .LBB224_567
; %bb.564:
	v_cmp_lt_i16_e32 vcc_lo, 3, v22
	s_cbranch_vccz .LBB224_568
; %bb.565:
	global_load_b64 v[0:1], v[4:5], off
	s_mov_b32 s8, 0
	s_mov_b64 s[0:1], 0
	s_waitcnt vmcnt(0)
	v_cvt_f64_i32_e32 v[1:2], v1
	v_cvt_f64_u32_e32 v[6:7], v0
	s_delay_alu instid0(VALU_DEP_2) | instskip(NEXT) | instid1(VALU_DEP_1)
	v_ldexp_f64 v[1:2], v[1:2], 32
	v_add_f64 v[0:1], v[1:2], v[6:7]
	s_branch .LBB224_569
.LBB224_566:
	s_mov_b32 s8, -1
                                        ; implicit-def: $sgpr0_sgpr1
                                        ; implicit-def: $vgpr0_vgpr1
	s_branch .LBB224_575
.LBB224_567:
	s_mov_b32 s8, -1
                                        ; implicit-def: $sgpr0_sgpr1
                                        ; implicit-def: $vgpr0_vgpr1
	s_branch .LBB224_572
.LBB224_568:
	s_mov_b32 s8, -1
                                        ; implicit-def: $sgpr0_sgpr1
                                        ; implicit-def: $vgpr0_vgpr1
.LBB224_569:
	s_delay_alu instid0(SALU_CYCLE_1)
	s_and_not1_b32 vcc_lo, exec_lo, s8
	s_cbranch_vccnz .LBB224_571
; %bb.570:
	global_load_b32 v0, v[4:5], off
	s_mov_b64 s[0:1], 0
	s_waitcnt vmcnt(0)
	v_cvt_f64_i32_e32 v[0:1], v0
.LBB224_571:
	s_mov_b32 s8, 0
.LBB224_572:
	s_delay_alu instid0(SALU_CYCLE_1)
	s_and_not1_b32 vcc_lo, exec_lo, s8
	s_cbranch_vccnz .LBB224_574
; %bb.573:
	global_load_i16 v0, v[4:5], off
	s_mov_b64 s[0:1], 0
	s_waitcnt vmcnt(0)
	v_cvt_f64_i32_e32 v[0:1], v0
.LBB224_574:
	s_mov_b32 s8, 0
.LBB224_575:
	s_delay_alu instid0(SALU_CYCLE_1)
	s_and_not1_b32 vcc_lo, exec_lo, s8
	s_cbranch_vccnz .LBB224_581
; %bb.576:
	v_cmp_lt_i16_e32 vcc_lo, 0, v22
	s_mov_b32 s8, 0
	s_cbranch_vccz .LBB224_578
; %bb.577:
	global_load_i8 v0, v[4:5], off
	s_mov_b64 s[0:1], 0
	s_waitcnt vmcnt(0)
	v_cvt_f64_i32_e32 v[0:1], v0
	s_branch .LBB224_579
.LBB224_578:
	s_mov_b32 s8, -1
                                        ; implicit-def: $sgpr0_sgpr1
                                        ; implicit-def: $vgpr0_vgpr1
.LBB224_579:
	s_delay_alu instid0(SALU_CYCLE_1)
	s_and_not1_b32 vcc_lo, exec_lo, s8
	s_cbranch_vccnz .LBB224_581
; %bb.580:
	global_load_u8 v0, v[4:5], off
	s_mov_b64 s[0:1], 0
	s_waitcnt vmcnt(0)
	v_cvt_f64_u32_e32 v[0:1], v0
.LBB224_581:
	s_waitcnt vmcnt(0)
	v_dual_mov_b32 v3, s1 :: v_dual_mov_b32 v2, s0
.LBB224_582:
	s_branch .LBB224_300
.LBB224_583:
	s_mov_b32 s1, 0
	s_mov_b32 s0, s12
.LBB224_584:
                                        ; implicit-def: $vgpr21
.LBB224_585:
	s_and_not1_b32 s8, s12, exec_lo
	s_and_b32 s0, s0, exec_lo
	s_and_not1_b32 s9, s14, exec_lo
	s_and_b32 s16, s16, exec_lo
	s_or_b32 s17, s8, s0
	s_or_b32 s16, s9, s16
	s_or_not1_b32 s9, s1, exec_lo
.LBB224_586:
	s_or_b32 exec_lo, exec_lo, s18
	s_mov_b32 s1, 0
	s_mov_b32 s0, 0
	;; [unrolled: 1-line block ×3, first 2 shown]
                                        ; implicit-def: $vgpr4_vgpr5
                                        ; implicit-def: $vgpr2_vgpr3
	s_and_saveexec_b32 s18, s9
	s_cbranch_execz .LBB224_973
; %bb.587:
	s_mov_b32 s9, -1
	s_mov_b32 s20, s16
	s_mov_b32 s21, s17
	s_mov_b32 s19, exec_lo
	v_cmpx_gt_i32_e64 s13, v21
	s_cbranch_execz .LBB224_884
; %bb.588:
	s_waitcnt vmcnt(0)
	v_mul_lo_u32 v0, v21, s3
	v_cmp_gt_i16_e32 vcc_lo, 11, v22
	s_delay_alu instid0(VALU_DEP_2) | instskip(SKIP_1) | instid1(VALU_DEP_1)
	v_ashrrev_i32_e32 v1, 31, v0
	v_add_co_u32 v4, s0, s6, v0
	v_add_co_ci_u32_e64 v5, s0, s7, v1, s0
	s_cbranch_vccnz .LBB224_595
; %bb.589:
	v_cmp_lt_i16_e32 vcc_lo, 25, v22
	s_cbranch_vccz .LBB224_596
; %bb.590:
	v_cmp_lt_i16_e32 vcc_lo, 28, v22
	s_cbranch_vccz .LBB224_597
	;; [unrolled: 3-line block ×4, first 2 shown]
; %bb.593:
	v_cmp_eq_u16_e32 vcc_lo, 46, v22
	s_mov_b32 s0, 0
	s_cbranch_vccz .LBB224_604
; %bb.594:
	global_load_b32 v0, v[4:5], off
	s_mov_b32 s8, -1
	s_mov_b32 s20, 0
	s_waitcnt vmcnt(0)
	v_lshlrev_b32_e32 v1, 16, v0
	v_and_b32_e32 v2, 0xffff0000, v0
	s_delay_alu instid0(VALU_DEP_2) | instskip(NEXT) | instid1(VALU_DEP_2)
	v_cvt_f64_f32_e32 v[0:1], v1
	v_cvt_f64_f32_e32 v[2:3], v2
	s_branch .LBB224_606
.LBB224_595:
	s_mov_b32 s0, -1
	s_mov_b32 s20, s16
                                        ; implicit-def: $vgpr2_vgpr3
	s_branch .LBB224_674
.LBB224_596:
	s_mov_b32 s0, -1
	s_mov_b32 s20, s16
                                        ; implicit-def: $vgpr2_vgpr3
	s_branch .LBB224_639
.LBB224_597:
	s_mov_b32 s0, -1
	s_mov_b32 s20, s16
                                        ; implicit-def: $vgpr2_vgpr3
	s_branch .LBB224_618
.LBB224_598:
	s_mov_b32 s0, -1
	s_mov_b32 s20, s16
                                        ; implicit-def: $vgpr2_vgpr3
	s_branch .LBB224_612
.LBB224_599:
	s_or_saveexec_b32 s9, s9
                                        ; implicit-def: $sgpr17
	s_delay_alu instid0(SALU_CYCLE_1)
	s_xor_b32 exec_lo, exec_lo, s9
	s_cbranch_execz .LBB224_378
.LBB224_600:
	v_add_f32_e64 v7, 0x46000000, |v6|
	s_and_not1_b32 s8, s8, exec_lo
	s_mov_b32 s17, 0
	s_delay_alu instid0(VALU_DEP_1) | instskip(NEXT) | instid1(VALU_DEP_1)
	v_and_b32_e32 v7, 0xff, v7
	v_cmp_ne_u32_e32 vcc_lo, 0, v7
	s_and_b32 s19, vcc_lo, exec_lo
	s_delay_alu instid0(SALU_CYCLE_1)
	s_or_b32 s8, s8, s19
	s_or_b32 exec_lo, exec_lo, s9
	v_mov_b32_e32 v9, s17
	s_and_saveexec_b32 s9, s8
	s_cbranch_execnz .LBB224_379
	s_branch .LBB224_380
.LBB224_601:
	s_mov_b32 s0, -1
	s_mov_b32 s20, s16
	s_branch .LBB224_605
.LBB224_602:
	s_or_saveexec_b32 s9, s9
                                        ; implicit-def: $sgpr17
	s_delay_alu instid0(SALU_CYCLE_1)
	s_xor_b32 exec_lo, exec_lo, s9
	s_cbranch_execz .LBB224_391
.LBB224_603:
	v_add_f32_e64 v7, 0x42800000, |v6|
	s_and_not1_b32 s8, s8, exec_lo
	s_mov_b32 s17, 0
	s_delay_alu instid0(VALU_DEP_1) | instskip(NEXT) | instid1(VALU_DEP_1)
	v_and_b32_e32 v7, 0xff, v7
	v_cmp_ne_u32_e32 vcc_lo, 0, v7
	s_and_b32 s19, vcc_lo, exec_lo
	s_delay_alu instid0(SALU_CYCLE_1)
	s_or_b32 s8, s8, s19
	s_or_b32 exec_lo, exec_lo, s9
	v_mov_b32_e32 v9, s17
	s_and_saveexec_b32 s9, s8
	s_cbranch_execnz .LBB224_392
	s_branch .LBB224_393
.LBB224_604:
	s_mov_b32 s20, -1
.LBB224_605:
                                        ; implicit-def: $vgpr2_vgpr3
.LBB224_606:
	s_and_b32 vcc_lo, exec_lo, s0
	s_cbranch_vccz .LBB224_611
; %bb.607:
	v_cmp_eq_u16_e32 vcc_lo, 44, v22
	s_cbranch_vccz .LBB224_609
; %bb.608:
	global_load_u8 v2, v[4:5], off
	s_mov_b32 s20, 0
	s_mov_b32 s8, -1
	s_mov_b64 s[0:1], 0
	s_waitcnt vmcnt(0)
	v_cmp_ne_u32_e32 vcc_lo, 0xff, v2
	v_lshlrev_b32_e32 v0, 23, v2
	s_delay_alu instid0(VALU_DEP_1) | instskip(NEXT) | instid1(VALU_DEP_1)
	v_cvt_f64_f32_e32 v[0:1], v0
	v_cndmask_b32_e32 v1, 0x7ff80000, v1, vcc_lo
	s_delay_alu instid0(VALU_DEP_2) | instskip(SKIP_1) | instid1(VALU_DEP_3)
	v_cndmask_b32_e32 v0, 0x20000000, v0, vcc_lo
	v_cmp_ne_u32_e32 vcc_lo, 0, v2
	v_cndmask_b32_e32 v1, 0x38000000, v1, vcc_lo
	s_delay_alu instid0(VALU_DEP_3)
	v_cndmask_b32_e32 v0, 0, v0, vcc_lo
	s_branch .LBB224_610
.LBB224_609:
	s_mov_b32 s20, -1
                                        ; implicit-def: $sgpr0_sgpr1
                                        ; implicit-def: $vgpr0_vgpr1
.LBB224_610:
	v_dual_mov_b32 v3, s1 :: v_dual_mov_b32 v2, s0
.LBB224_611:
	s_mov_b32 s0, 0
.LBB224_612:
	s_delay_alu instid0(SALU_CYCLE_1)
	s_and_b32 vcc_lo, exec_lo, s0
	s_cbranch_vccz .LBB224_617
; %bb.613:
	v_cmp_eq_u16_e32 vcc_lo, 29, v22
	s_cbranch_vccz .LBB224_615
; %bb.614:
	global_load_b64 v[0:1], v[4:5], off
	s_mov_b32 s8, -1
	s_mov_b32 s20, 0
	s_mov_b64 s[0:1], 0
	s_waitcnt vmcnt(0)
	v_cvt_f64_u32_e32 v[1:2], v1
	v_cvt_f64_u32_e32 v[6:7], v0
	s_delay_alu instid0(VALU_DEP_2) | instskip(NEXT) | instid1(VALU_DEP_1)
	v_ldexp_f64 v[1:2], v[1:2], 32
	v_add_f64 v[0:1], v[1:2], v[6:7]
	s_branch .LBB224_616
.LBB224_615:
	s_mov_b32 s20, -1
                                        ; implicit-def: $sgpr0_sgpr1
                                        ; implicit-def: $vgpr0_vgpr1
.LBB224_616:
	v_dual_mov_b32 v3, s1 :: v_dual_mov_b32 v2, s0
.LBB224_617:
	s_mov_b32 s0, 0
.LBB224_618:
	s_delay_alu instid0(SALU_CYCLE_1)
	s_and_b32 vcc_lo, exec_lo, s0
	s_cbranch_vccz .LBB224_638
; %bb.619:
	v_cmp_gt_i16_e32 vcc_lo, 27, v22
	s_cbranch_vccnz .LBB224_622
; %bb.620:
	v_cmp_lt_i16_e32 vcc_lo, 27, v22
	s_cbranch_vccz .LBB224_623
; %bb.621:
	global_load_b32 v0, v[4:5], off
	s_mov_b32 s8, 0
	s_mov_b64 s[0:1], 0
	s_waitcnt vmcnt(0)
	v_cvt_f64_u32_e32 v[0:1], v0
	s_branch .LBB224_624
.LBB224_622:
	s_mov_b32 s8, -1
                                        ; implicit-def: $sgpr0_sgpr1
                                        ; implicit-def: $vgpr0_vgpr1
	s_branch .LBB224_627
.LBB224_623:
	s_mov_b32 s8, -1
                                        ; implicit-def: $sgpr0_sgpr1
                                        ; implicit-def: $vgpr0_vgpr1
.LBB224_624:
	s_delay_alu instid0(SALU_CYCLE_1)
	s_and_not1_b32 vcc_lo, exec_lo, s8
	s_cbranch_vccnz .LBB224_626
; %bb.625:
	global_load_u16 v0, v[4:5], off
	s_mov_b64 s[0:1], 0
	s_waitcnt vmcnt(0)
	v_cvt_f64_u32_e32 v[0:1], v0
.LBB224_626:
	s_mov_b32 s8, 0
.LBB224_627:
	v_dual_mov_b32 v3, s1 :: v_dual_mov_b32 v2, s0
	s_and_not1_b32 vcc_lo, exec_lo, s8
	s_cbranch_vccnz .LBB224_637
; %bb.628:
	global_load_u8 v6, v[4:5], off
	s_mov_b32 s21, 0
	s_mov_b32 s22, exec_lo
                                        ; implicit-def: $sgpr0_sgpr1
                                        ; implicit-def: $sgpr8_sgpr9
	s_waitcnt vmcnt(0)
	v_cmpx_lt_i16_e32 0x7f, v6
	s_xor_b32 s22, exec_lo, s22
	s_cbranch_execz .LBB224_632
; %bb.629:
	s_mov_b32 s21, -1
	s_mov_b32 s23, exec_lo
                                        ; implicit-def: $sgpr0_sgpr1
                                        ; implicit-def: $sgpr8_sgpr9
	v_cmpx_eq_u16_e32 0x80, v6
; %bb.630:
	s_mov_b64 s[0:1], 0
	s_mov_b32 s9, 0x7ff80000
	s_brev_b32 s8, 4
	s_xor_b32 s21, exec_lo, -1
; %bb.631:
	s_or_b32 exec_lo, exec_lo, s23
	s_delay_alu instid0(SALU_CYCLE_1)
	s_and_b32 s21, s21, exec_lo
.LBB224_632:
	s_or_saveexec_b32 s22, s22
	v_dual_mov_b32 v3, s1 :: v_dual_mov_b32 v2, s0
	v_dual_mov_b32 v0, s8 :: v_dual_mov_b32 v1, s9
	s_xor_b32 exec_lo, exec_lo, s22
; %bb.633:
	v_mov_b32_e32 v2, 0
	v_mov_b32_e32 v3, 0
	v_cmp_ne_u16_e32 vcc_lo, 0, v6
	s_delay_alu instid0(VALU_DEP_3) | instskip(SKIP_1) | instid1(VALU_DEP_3)
	v_mov_b32_e32 v0, v2
	s_and_not1_b32 s0, s21, exec_lo
	v_mov_b32_e32 v1, v3
	s_and_b32 s1, vcc_lo, exec_lo
	s_delay_alu instid0(SALU_CYCLE_1)
	s_or_b32 s21, s0, s1
; %bb.634:
	s_or_b32 exec_lo, exec_lo, s22
	s_and_saveexec_b32 s0, s21
	s_cbranch_execz .LBB224_636
; %bb.635:
	v_and_b32_e32 v0, 0xffff, v6
	v_lshlrev_b32_e32 v6, 24, v6
	s_delay_alu instid0(VALU_DEP_2) | instskip(NEXT) | instid1(VALU_DEP_1)
	v_and_b32_e32 v1, 7, v0
	v_clz_i32_u32_e32 v2, v1
	s_delay_alu instid0(VALU_DEP_1) | instskip(NEXT) | instid1(VALU_DEP_1)
	v_min_u32_e32 v2, 32, v2
	v_subrev_nc_u32_e32 v3, 28, v2
	v_sub_nc_u32_e32 v2, 29, v2
	s_delay_alu instid0(VALU_DEP_2) | instskip(SKIP_1) | instid1(VALU_DEP_2)
	v_lshlrev_b32_e32 v3, v3, v0
	v_bfe_u32 v0, v0, 3, 4
	v_and_b32_e32 v3, 7, v3
	s_delay_alu instid0(VALU_DEP_2) | instskip(NEXT) | instid1(VALU_DEP_2)
	v_cmp_eq_u32_e32 vcc_lo, 0, v0
	v_dual_cndmask_b32 v0, v0, v2 :: v_dual_cndmask_b32 v1, v1, v3
	v_and_b32_e32 v2, 0x80000000, v6
	s_delay_alu instid0(VALU_DEP_2) | instskip(NEXT) | instid1(VALU_DEP_3)
	v_lshl_add_u32 v0, v0, 23, 0x3b800000
	v_lshlrev_b32_e32 v1, 20, v1
	s_delay_alu instid0(VALU_DEP_1) | instskip(SKIP_2) | instid1(VALU_DEP_3)
	v_or3_b32 v0, v2, v0, v1
	v_mov_b32_e32 v2, 0
	v_mov_b32_e32 v3, 0
	v_cvt_f64_f32_e32 v[0:1], v0
.LBB224_636:
	s_or_b32 exec_lo, exec_lo, s0
.LBB224_637:
	s_mov_b32 s8, -1
.LBB224_638:
	s_mov_b32 s0, 0
.LBB224_639:
	s_delay_alu instid0(SALU_CYCLE_1)
	s_and_b32 vcc_lo, exec_lo, s0
	s_cbranch_vccz .LBB224_673
; %bb.640:
	v_cmp_lt_i16_e32 vcc_lo, 22, v22
	s_cbranch_vccz .LBB224_652
; %bb.641:
	v_cmp_gt_i16_e32 vcc_lo, 24, v22
	s_cbranch_vccnz .LBB224_653
; %bb.642:
	v_cmp_lt_i16_e32 vcc_lo, 24, v22
	s_cbranch_vccz .LBB224_654
; %bb.643:
	global_load_u8 v6, v[4:5], off
	s_mov_b32 s21, 0
	s_mov_b32 s22, exec_lo
                                        ; implicit-def: $sgpr0_sgpr1
                                        ; implicit-def: $sgpr8_sgpr9
	s_waitcnt vmcnt(0)
	v_cmpx_lt_i16_e32 0x7f, v6
	s_xor_b32 s22, exec_lo, s22
	s_cbranch_execz .LBB224_647
; %bb.644:
	s_mov_b32 s21, -1
	s_mov_b32 s23, exec_lo
                                        ; implicit-def: $sgpr0_sgpr1
                                        ; implicit-def: $sgpr8_sgpr9
	v_cmpx_eq_u16_e32 0x80, v6
; %bb.645:
	s_mov_b64 s[0:1], 0
	s_mov_b32 s9, 0x7ff80000
	s_brev_b32 s8, 4
	s_xor_b32 s21, exec_lo, -1
; %bb.646:
	s_or_b32 exec_lo, exec_lo, s23
	s_delay_alu instid0(SALU_CYCLE_1)
	s_and_b32 s21, s21, exec_lo
.LBB224_647:
	s_or_saveexec_b32 s22, s22
	v_dual_mov_b32 v3, s1 :: v_dual_mov_b32 v2, s0
	v_dual_mov_b32 v0, s8 :: v_dual_mov_b32 v1, s9
	s_xor_b32 exec_lo, exec_lo, s22
; %bb.648:
	v_mov_b32_e32 v2, 0
	v_mov_b32_e32 v3, 0
	v_cmp_ne_u16_e32 vcc_lo, 0, v6
	s_delay_alu instid0(VALU_DEP_3) | instskip(SKIP_1) | instid1(VALU_DEP_3)
	v_mov_b32_e32 v0, v2
	s_and_not1_b32 s0, s21, exec_lo
	v_mov_b32_e32 v1, v3
	s_and_b32 s1, vcc_lo, exec_lo
	s_delay_alu instid0(SALU_CYCLE_1)
	s_or_b32 s21, s0, s1
; %bb.649:
	s_or_b32 exec_lo, exec_lo, s22
	s_and_saveexec_b32 s0, s21
	s_cbranch_execz .LBB224_651
; %bb.650:
	v_and_b32_e32 v0, 0xffff, v6
	v_lshlrev_b32_e32 v6, 24, v6
	s_delay_alu instid0(VALU_DEP_2) | instskip(NEXT) | instid1(VALU_DEP_1)
	v_and_b32_e32 v1, 3, v0
	v_clz_i32_u32_e32 v2, v1
	s_delay_alu instid0(VALU_DEP_1) | instskip(NEXT) | instid1(VALU_DEP_1)
	v_min_u32_e32 v2, 32, v2
	v_subrev_nc_u32_e32 v3, 29, v2
	v_sub_nc_u32_e32 v2, 30, v2
	s_delay_alu instid0(VALU_DEP_2) | instskip(SKIP_1) | instid1(VALU_DEP_2)
	v_lshlrev_b32_e32 v3, v3, v0
	v_bfe_u32 v0, v0, 2, 5
	v_and_b32_e32 v3, 3, v3
	s_delay_alu instid0(VALU_DEP_2) | instskip(NEXT) | instid1(VALU_DEP_2)
	v_cmp_eq_u32_e32 vcc_lo, 0, v0
	v_dual_cndmask_b32 v0, v0, v2 :: v_dual_cndmask_b32 v1, v1, v3
	v_and_b32_e32 v2, 0x80000000, v6
	s_delay_alu instid0(VALU_DEP_2) | instskip(NEXT) | instid1(VALU_DEP_3)
	v_lshl_add_u32 v0, v0, 23, 0x37800000
	v_lshlrev_b32_e32 v1, 21, v1
	s_delay_alu instid0(VALU_DEP_1) | instskip(SKIP_2) | instid1(VALU_DEP_3)
	v_or3_b32 v0, v2, v0, v1
	v_mov_b32_e32 v2, 0
	v_mov_b32_e32 v3, 0
	v_cvt_f64_f32_e32 v[0:1], v0
.LBB224_651:
	s_or_b32 exec_lo, exec_lo, s0
	s_mov_b32 s0, 0
	s_branch .LBB224_655
.LBB224_652:
	s_mov_b32 s0, -1
                                        ; implicit-def: $vgpr2_vgpr3
	s_branch .LBB224_661
.LBB224_653:
	s_mov_b32 s0, -1
                                        ; implicit-def: $vgpr2_vgpr3
	s_branch .LBB224_658
.LBB224_654:
	s_mov_b32 s0, -1
                                        ; implicit-def: $vgpr2_vgpr3
.LBB224_655:
	s_delay_alu instid0(SALU_CYCLE_1)
	s_and_b32 vcc_lo, exec_lo, s0
	s_cbranch_vccz .LBB224_657
; %bb.656:
	global_load_u8 v0, v[4:5], off
	s_waitcnt vmcnt(0)
	v_lshlrev_b32_e32 v0, 24, v0
	s_delay_alu instid0(VALU_DEP_1) | instskip(NEXT) | instid1(VALU_DEP_1)
	v_and_b32_e32 v1, 0x7f000000, v0
	v_clz_i32_u32_e32 v2, v1
	v_add_nc_u32_e32 v6, 0x1000000, v1
	v_cmp_ne_u32_e32 vcc_lo, 0, v1
	s_delay_alu instid0(VALU_DEP_3) | instskip(NEXT) | instid1(VALU_DEP_1)
	v_min_u32_e32 v2, 32, v2
	v_sub_nc_u32_e64 v2, v2, 4 clamp
	s_delay_alu instid0(VALU_DEP_1) | instskip(SKIP_1) | instid1(VALU_DEP_2)
	v_lshlrev_b32_e32 v3, v2, v1
	v_lshlrev_b32_e32 v2, 23, v2
	v_lshrrev_b32_e32 v3, 4, v3
	s_delay_alu instid0(VALU_DEP_1) | instskip(SKIP_1) | instid1(VALU_DEP_2)
	v_sub_nc_u32_e32 v2, v3, v2
	v_ashrrev_i32_e32 v3, 8, v6
	v_add_nc_u32_e32 v2, 0x3c000000, v2
	s_delay_alu instid0(VALU_DEP_1) | instskip(NEXT) | instid1(VALU_DEP_1)
	v_and_or_b32 v2, 0x7f800000, v3, v2
	v_dual_cndmask_b32 v1, 0, v2 :: v_dual_mov_b32 v2, 0
	v_mov_b32_e32 v3, 0
	s_delay_alu instid0(VALU_DEP_2) | instskip(NEXT) | instid1(VALU_DEP_1)
	v_and_or_b32 v0, 0x80000000, v0, v1
	v_cvt_f64_f32_e32 v[0:1], v0
.LBB224_657:
	s_mov_b32 s0, 0
.LBB224_658:
	s_delay_alu instid0(SALU_CYCLE_1)
	s_and_not1_b32 vcc_lo, exec_lo, s0
	s_cbranch_vccnz .LBB224_660
; %bb.659:
	global_load_u8 v0, v[4:5], off
	s_waitcnt vmcnt(0)
	v_lshlrev_b32_e32 v1, 25, v0
	v_lshlrev_b16 v0, 8, v0
	s_delay_alu instid0(VALU_DEP_2) | instskip(NEXT) | instid1(VALU_DEP_2)
	v_lshrrev_b32_e32 v2, 4, v1
	v_and_or_b32 v3, 0x7f00, v0, 0.5
	v_bfe_i32 v0, v0, 0, 16
	s_delay_alu instid0(VALU_DEP_3) | instskip(NEXT) | instid1(VALU_DEP_1)
	v_or_b32_e32 v2, 0x70000000, v2
	v_dual_add_f32 v3, -0.5, v3 :: v_dual_mul_f32 v2, 0x7800000, v2
	v_cmp_gt_u32_e32 vcc_lo, 0x8000000, v1
	s_delay_alu instid0(VALU_DEP_2) | instskip(SKIP_1) | instid1(VALU_DEP_2)
	v_dual_cndmask_b32 v1, v2, v3 :: v_dual_mov_b32 v2, 0
	v_mov_b32_e32 v3, 0
	v_and_or_b32 v0, 0x80000000, v0, v1
	s_delay_alu instid0(VALU_DEP_1)
	v_cvt_f64_f32_e32 v[0:1], v0
.LBB224_660:
	s_mov_b32 s0, 0
	s_mov_b32 s8, -1
.LBB224_661:
	s_and_not1_b32 vcc_lo, exec_lo, s0
	s_cbranch_vccnz .LBB224_673
; %bb.662:
	v_cmp_lt_i16_e32 vcc_lo, 14, v22
	s_cbranch_vccz .LBB224_665
; %bb.663:
	v_cmp_eq_u16_e32 vcc_lo, 15, v22
	s_cbranch_vccz .LBB224_666
; %bb.664:
	global_load_u16 v0, v[4:5], off
	s_mov_b32 s8, -1
	s_mov_b32 s20, 0
	s_mov_b64 s[0:1], 0
	s_waitcnt vmcnt(0)
	v_lshlrev_b32_e32 v0, 16, v0
	s_delay_alu instid0(VALU_DEP_1)
	v_cvt_f64_f32_e32 v[0:1], v0
	s_branch .LBB224_667
.LBB224_665:
	s_mov_b32 s9, -1
                                        ; implicit-def: $sgpr0_sgpr1
                                        ; implicit-def: $vgpr0_vgpr1
	s_branch .LBB224_668
.LBB224_666:
	s_mov_b32 s20, -1
                                        ; implicit-def: $sgpr0_sgpr1
                                        ; implicit-def: $vgpr0_vgpr1
.LBB224_667:
	s_mov_b32 s9, 0
.LBB224_668:
	s_delay_alu instid0(SALU_CYCLE_1)
	s_and_b32 vcc_lo, exec_lo, s9
	s_cbranch_vccz .LBB224_672
; %bb.669:
	v_cmp_eq_u16_e32 vcc_lo, 11, v22
	s_cbranch_vccz .LBB224_671
; %bb.670:
	global_load_u8 v0, v[4:5], off
	s_mov_b32 s20, 0
	s_mov_b32 s8, -1
	s_mov_b64 s[0:1], 0
	s_waitcnt vmcnt(0)
	v_cmp_ne_u16_e32 vcc_lo, 0, v0
	v_mov_b32_e32 v0, 0
	v_cndmask_b32_e64 v1, 0, 0x3ff00000, vcc_lo
	s_branch .LBB224_672
.LBB224_671:
	s_mov_b32 s20, -1
                                        ; implicit-def: $sgpr0_sgpr1
                                        ; implicit-def: $vgpr0_vgpr1
.LBB224_672:
	v_dual_mov_b32 v3, s1 :: v_dual_mov_b32 v2, s0
.LBB224_673:
	s_mov_b32 s0, 0
.LBB224_674:
	s_delay_alu instid0(SALU_CYCLE_1)
	s_and_b32 vcc_lo, exec_lo, s0
	s_cbranch_vccz .LBB224_725
; %bb.675:
	v_cmp_gt_i16_e32 vcc_lo, 5, v22
	s_cbranch_vccnz .LBB224_680
; %bb.676:
	v_cmp_gt_i16_e32 vcc_lo, 8, v22
	s_cbranch_vccnz .LBB224_681
	;; [unrolled: 3-line block ×3, first 2 shown]
; %bb.678:
	v_cmp_lt_i16_e32 vcc_lo, 9, v22
	s_cbranch_vccz .LBB224_683
; %bb.679:
	global_load_b128 v[0:3], v[4:5], off
	s_mov_b32 s0, 0
	s_branch .LBB224_684
.LBB224_680:
	s_mov_b32 s0, -1
                                        ; implicit-def: $vgpr2_vgpr3
	s_branch .LBB224_703
.LBB224_681:
	s_mov_b32 s0, -1
                                        ; implicit-def: $vgpr2_vgpr3
	s_branch .LBB224_690
.LBB224_682:
	s_mov_b32 s0, -1
                                        ; implicit-def: $vgpr2_vgpr3
	s_branch .LBB224_687
.LBB224_683:
	s_mov_b32 s0, -1
                                        ; implicit-def: $vgpr2_vgpr3
.LBB224_684:
	s_delay_alu instid0(SALU_CYCLE_1)
	s_and_not1_b32 vcc_lo, exec_lo, s0
	s_cbranch_vccnz .LBB224_686
; %bb.685:
	global_load_b64 v[1:2], v[4:5], off
	s_waitcnt vmcnt(0)
	v_cvt_f64_f32_e32 v[0:1], v1
	v_cvt_f64_f32_e32 v[2:3], v2
.LBB224_686:
	s_mov_b32 s0, 0
.LBB224_687:
	s_delay_alu instid0(SALU_CYCLE_1)
	s_and_not1_b32 vcc_lo, exec_lo, s0
	s_cbranch_vccnz .LBB224_689
; %bb.688:
	global_load_b32 v0, v[4:5], off
	s_waitcnt vmcnt(0)
	v_lshrrev_b32_e32 v1, 16, v0
	v_cvt_f32_f16_e32 v0, v0
	s_delay_alu instid0(VALU_DEP_2) | instskip(NEXT) | instid1(VALU_DEP_2)
	v_cvt_f32_f16_e32 v2, v1
	v_cvt_f64_f32_e32 v[0:1], v0
	s_delay_alu instid0(VALU_DEP_2)
	v_cvt_f64_f32_e32 v[2:3], v2
.LBB224_689:
	s_mov_b32 s0, 0
.LBB224_690:
	s_delay_alu instid0(SALU_CYCLE_1)
	s_and_not1_b32 vcc_lo, exec_lo, s0
	s_cbranch_vccnz .LBB224_702
; %bb.691:
	v_cmp_gt_i16_e32 vcc_lo, 6, v22
	s_cbranch_vccnz .LBB224_694
; %bb.692:
	v_cmp_lt_i16_e32 vcc_lo, 6, v22
	s_cbranch_vccz .LBB224_695
; %bb.693:
	global_load_b64 v[0:1], v[4:5], off
	s_mov_b32 s8, 0
	s_mov_b64 s[0:1], 0
	s_branch .LBB224_696
.LBB224_694:
	s_mov_b32 s8, -1
                                        ; implicit-def: $sgpr0_sgpr1
                                        ; implicit-def: $vgpr0_vgpr1
	s_branch .LBB224_699
.LBB224_695:
	s_mov_b32 s8, -1
                                        ; implicit-def: $sgpr0_sgpr1
                                        ; implicit-def: $vgpr0_vgpr1
.LBB224_696:
	s_delay_alu instid0(SALU_CYCLE_1)
	s_and_not1_b32 vcc_lo, exec_lo, s8
	s_cbranch_vccnz .LBB224_698
; %bb.697:
	global_load_b32 v0, v[4:5], off
	s_mov_b64 s[0:1], 0
	s_waitcnt vmcnt(0)
	v_cvt_f64_f32_e32 v[0:1], v0
.LBB224_698:
	s_mov_b32 s8, 0
.LBB224_699:
	s_delay_alu instid0(SALU_CYCLE_1)
	s_and_not1_b32 vcc_lo, exec_lo, s8
	s_cbranch_vccnz .LBB224_701
; %bb.700:
	global_load_u16 v0, v[4:5], off
	s_mov_b64 s[0:1], 0
	s_waitcnt vmcnt(0)
	v_cvt_f32_f16_e32 v0, v0
	s_delay_alu instid0(VALU_DEP_1)
	v_cvt_f64_f32_e32 v[0:1], v0
.LBB224_701:
	s_waitcnt vmcnt(0)
	v_dual_mov_b32 v3, s1 :: v_dual_mov_b32 v2, s0
.LBB224_702:
	s_mov_b32 s0, 0
.LBB224_703:
	s_delay_alu instid0(SALU_CYCLE_1)
	s_and_not1_b32 vcc_lo, exec_lo, s0
	s_cbranch_vccnz .LBB224_724
; %bb.704:
	v_cmp_gt_i16_e32 vcc_lo, 2, v22
	s_cbranch_vccnz .LBB224_708
; %bb.705:
	v_cmp_gt_i16_e32 vcc_lo, 3, v22
	s_cbranch_vccnz .LBB224_709
; %bb.706:
	v_cmp_lt_i16_e32 vcc_lo, 3, v22
	s_cbranch_vccz .LBB224_710
; %bb.707:
	global_load_b64 v[0:1], v[4:5], off
	s_mov_b32 s8, 0
	s_mov_b64 s[0:1], 0
	s_waitcnt vmcnt(0)
	v_cvt_f64_i32_e32 v[1:2], v1
	v_cvt_f64_u32_e32 v[6:7], v0
	s_delay_alu instid0(VALU_DEP_2) | instskip(NEXT) | instid1(VALU_DEP_1)
	v_ldexp_f64 v[1:2], v[1:2], 32
	v_add_f64 v[0:1], v[1:2], v[6:7]
	s_branch .LBB224_711
.LBB224_708:
	s_mov_b32 s8, -1
                                        ; implicit-def: $sgpr0_sgpr1
                                        ; implicit-def: $vgpr0_vgpr1
	s_branch .LBB224_717
.LBB224_709:
	s_mov_b32 s8, -1
                                        ; implicit-def: $sgpr0_sgpr1
                                        ; implicit-def: $vgpr0_vgpr1
	s_branch .LBB224_714
.LBB224_710:
	s_mov_b32 s8, -1
                                        ; implicit-def: $sgpr0_sgpr1
                                        ; implicit-def: $vgpr0_vgpr1
.LBB224_711:
	s_delay_alu instid0(SALU_CYCLE_1)
	s_and_not1_b32 vcc_lo, exec_lo, s8
	s_cbranch_vccnz .LBB224_713
; %bb.712:
	global_load_b32 v0, v[4:5], off
	s_mov_b64 s[0:1], 0
	s_waitcnt vmcnt(0)
	v_cvt_f64_i32_e32 v[0:1], v0
.LBB224_713:
	s_mov_b32 s8, 0
.LBB224_714:
	s_delay_alu instid0(SALU_CYCLE_1)
	s_and_not1_b32 vcc_lo, exec_lo, s8
	s_cbranch_vccnz .LBB224_716
; %bb.715:
	global_load_i16 v0, v[4:5], off
	s_mov_b64 s[0:1], 0
	s_waitcnt vmcnt(0)
	v_cvt_f64_i32_e32 v[0:1], v0
.LBB224_716:
	s_mov_b32 s8, 0
.LBB224_717:
	s_delay_alu instid0(SALU_CYCLE_1)
	s_and_not1_b32 vcc_lo, exec_lo, s8
	s_cbranch_vccnz .LBB224_723
; %bb.718:
	v_cmp_lt_i16_e32 vcc_lo, 0, v22
	s_mov_b32 s8, 0
	s_cbranch_vccz .LBB224_720
; %bb.719:
	global_load_i8 v0, v[4:5], off
	s_mov_b64 s[0:1], 0
	s_waitcnt vmcnt(0)
	v_cvt_f64_i32_e32 v[0:1], v0
	s_branch .LBB224_721
.LBB224_720:
	s_mov_b32 s8, -1
                                        ; implicit-def: $sgpr0_sgpr1
                                        ; implicit-def: $vgpr0_vgpr1
.LBB224_721:
	s_delay_alu instid0(SALU_CYCLE_1)
	s_and_not1_b32 vcc_lo, exec_lo, s8
	s_cbranch_vccnz .LBB224_723
; %bb.722:
	global_load_u8 v0, v[4:5], off
	s_mov_b64 s[0:1], 0
	s_waitcnt vmcnt(0)
	v_cvt_f64_u32_e32 v[0:1], v0
.LBB224_723:
	s_waitcnt vmcnt(0)
	v_dual_mov_b32 v3, s1 :: v_dual_mov_b32 v2, s0
.LBB224_724:
	s_mov_b32 s8, -1
.LBB224_725:
	s_delay_alu instid0(SALU_CYCLE_1)
	s_and_not1_b32 vcc_lo, exec_lo, s8
	s_cbranch_vccnz .LBB224_742
; %bb.726:
	s_waitcnt vmcnt(0)
	s_delay_alu instid0(VALU_DEP_1) | instskip(NEXT) | instid1(VALU_DEP_2)
	v_cmp_neq_f64_e32 vcc_lo, 0, v[0:1]
	v_cmp_neq_f64_e64 s0, 0, v[2:3]
	v_mov_b32_e32 v4, 0
	v_mov_b32_e32 v5, 0
	s_delay_alu instid0(VALU_DEP_3) | instskip(NEXT) | instid1(SALU_CYCLE_1)
	s_or_b32 s0, vcc_lo, s0
	s_and_saveexec_b32 s8, s0
	s_cbranch_execz .LBB224_759
; %bb.727:
	s_mov_b32 s0, 0
	s_mov_b32 s1, 0x7ff00000
	v_mov_b32_e32 v4, s0
	v_mov_b32_e32 v5, s1
	s_mov_b32 s9, exec_lo
	v_cmpx_neq_f64_e64 0x7ff00000, |v[2:3]|
	s_cbranch_execz .LBB224_758
; %bb.728:
	s_mov_b32 s0, exec_lo
	v_cmpx_o_f64_e32 v[0:1], v[0:1]
	s_xor_b32 s21, exec_lo, s0
	s_cbranch_execz .LBB224_755
; %bb.729:
	s_mov_b32 s1, exec_lo
	v_cmpx_neq_f64_e64 0x7ff00000, |v[0:1]|
	s_xor_b32 s22, exec_lo, s1
	s_cbranch_execz .LBB224_748
; %bb.730:
	v_max_f64 v[4:5], |v[2:3]|, |v[2:3]|
	v_max_f64 v[6:7], |v[0:1]|, |v[0:1]|
	s_mov_b32 s0, 0x99fcef32
	s_mov_b32 s1, 0x7fda8279
                                        ; implicit-def: $sgpr23
	s_delay_alu instid0(VALU_DEP_1) | instskip(NEXT) | instid1(VALU_DEP_1)
	v_max_f64 v[4:5], v[6:7], v[4:5]
	v_cmp_nle_f64_e64 s0, s[0:1], v[4:5]
	s_delay_alu instid0(VALU_DEP_1) | instskip(NEXT) | instid1(SALU_CYCLE_1)
	s_and_saveexec_b32 s1, s0
	s_xor_b32 s1, exec_lo, s1
	s_cbranch_execz .LBB224_734
; %bb.731:
	v_cmp_ge_f64_e64 s23, 0x200000, |v[0:1]|
	v_cmp_ge_f64_e64 s24, 0x200000, |v[2:3]|
	s_delay_alu instid0(VALU_DEP_1)
	s_and_b32 s25, s23, s24
	s_mov_b32 s23, 0
	s_and_saveexec_b32 s24, s25
; %bb.732:
	v_mul_f64 v[0:1], v[0:1], 4.0
	v_mul_f64 v[2:3], v[2:3], 4.0
	s_mov_b32 s23, exec_lo
; %bb.733:
	s_or_b32 exec_lo, exec_lo, s24
	s_delay_alu instid0(SALU_CYCLE_1)
	s_and_b32 s23, s23, exec_lo
.LBB224_734:
	s_and_not1_saveexec_b32 s1, s1
; %bb.735:
	s_delay_alu instid0(VALU_DEP_2) | instskip(NEXT) | instid1(VALU_DEP_2)
	v_ldexp_f64 v[0:1], v[0:1], -2
	v_ldexp_f64 v[2:3], v[2:3], -2
	s_and_not1_b32 s23, s23, exec_lo
; %bb.736:
	s_or_b32 exec_lo, exec_lo, s1
	s_delay_alu instid0(VALU_DEP_1) | instskip(NEXT) | instid1(VALU_DEP_3)
	v_max_f64 v[4:5], |v[2:3]|, |v[2:3]|
	v_max_f64 v[6:7], |v[0:1]|, |v[0:1]|
	v_cmp_class_f64_e64 s24, v[0:1], 0x204
	v_cmp_class_f64_e64 s25, v[2:3], 0x204
	v_cmp_le_f64_e64 s1, 0, v[0:1]
	s_delay_alu instid0(VALU_DEP_4) | instskip(NEXT) | instid1(VALU_DEP_3)
	v_max_f64 v[4:5], v[6:7], v[4:5]
	s_or_b32 s24, s25, s24
	s_delay_alu instid0(VALU_DEP_1) | instskip(NEXT) | instid1(VALU_DEP_1)
	v_frexp_exp_i32_f64_e32 v12, v[4:5]
	v_sub_nc_u32_e32 v6, 0, v12
	s_delay_alu instid0(VALU_DEP_1) | instskip(SKIP_1) | instid1(VALU_DEP_2)
	v_ldexp_f64 v[4:5], |v[2:3]|, v6
	v_ldexp_f64 v[6:7], |v[0:1]|, v6
	v_mul_f64 v[4:5], v[4:5], v[4:5]
	s_delay_alu instid0(VALU_DEP_1) | instskip(NEXT) | instid1(VALU_DEP_1)
	v_fma_f64 v[4:5], v[6:7], v[6:7], v[4:5]
	v_rsq_f64_e32 v[6:7], v[4:5]
	v_cmp_eq_f64_e32 vcc_lo, 0, v[4:5]
	s_waitcnt_depctr 0xfff
	v_mul_f64 v[8:9], v[4:5], v[6:7]
	v_mul_f64 v[6:7], v[6:7], 0.5
	s_delay_alu instid0(VALU_DEP_1) | instskip(NEXT) | instid1(VALU_DEP_1)
	v_fma_f64 v[10:11], -v[6:7], v[8:9], 0.5
	v_fma_f64 v[8:9], v[8:9], v[10:11], v[8:9]
	v_fma_f64 v[6:7], v[6:7], v[10:11], v[6:7]
	s_delay_alu instid0(VALU_DEP_2) | instskip(NEXT) | instid1(VALU_DEP_1)
	v_fma_f64 v[10:11], -v[8:9], v[8:9], v[4:5]
	v_fma_f64 v[6:7], v[10:11], v[6:7], v[8:9]
	s_delay_alu instid0(VALU_DEP_1) | instskip(SKIP_1) | instid1(VALU_DEP_2)
	v_dual_cndmask_b32 v5, v7, v5 :: v_dual_cndmask_b32 v4, v6, v4
	v_cmp_o_f64_e32 vcc_lo, v[2:3], v[2:3]
	v_ldexp_f64 v[4:5], v[4:5], v12
	s_delay_alu instid0(VALU_DEP_1) | instskip(NEXT) | instid1(VALU_DEP_2)
	v_cndmask_b32_e32 v4, 0, v4, vcc_lo
	v_cndmask_b32_e32 v5, 0x7ff80000, v5, vcc_lo
	s_delay_alu instid0(VALU_DEP_2) | instskip(NEXT) | instid1(VALU_DEP_2)
	v_cndmask_b32_e64 v4, v4, 0, s24
	v_cndmask_b32_e64 v5, v5, 0x7ff00000, s24
	s_and_saveexec_b32 s24, s1
	s_delay_alu instid0(SALU_CYCLE_1)
	s_xor_b32 s1, exec_lo, s24
	s_cbranch_execz .LBB224_743
; %bb.737:
	s_delay_alu instid0(VALU_DEP_1) | instskip(NEXT) | instid1(VALU_DEP_1)
	v_add_f64 v[0:1], v[0:1], v[4:5]
	v_mul_f64 v[0:1], v[0:1], 0.5
	s_delay_alu instid0(VALU_DEP_1) | instskip(SKIP_1) | instid1(VALU_DEP_1)
	v_cmp_gt_f64_e32 vcc_lo, 0x10000000, v[0:1]
	v_cndmask_b32_e64 v4, 0, 1, vcc_lo
	v_lshlrev_b32_e32 v4, 8, v4
	s_delay_alu instid0(VALU_DEP_1) | instskip(NEXT) | instid1(VALU_DEP_1)
	v_ldexp_f64 v[0:1], v[0:1], v4
	v_rsq_f64_e32 v[4:5], v[0:1]
	s_waitcnt_depctr 0xfff
	v_mul_f64 v[6:7], v[0:1], v[4:5]
	v_mul_f64 v[4:5], v[4:5], 0.5
	s_delay_alu instid0(VALU_DEP_1) | instskip(NEXT) | instid1(VALU_DEP_1)
	v_fma_f64 v[8:9], -v[4:5], v[6:7], 0.5
	v_fma_f64 v[6:7], v[6:7], v[8:9], v[6:7]
	v_fma_f64 v[4:5], v[4:5], v[8:9], v[4:5]
	s_delay_alu instid0(VALU_DEP_2) | instskip(NEXT) | instid1(VALU_DEP_1)
	v_fma_f64 v[8:9], -v[6:7], v[6:7], v[0:1]
	v_fma_f64 v[6:7], v[8:9], v[4:5], v[6:7]
	s_delay_alu instid0(VALU_DEP_1) | instskip(NEXT) | instid1(VALU_DEP_1)
	v_fma_f64 v[8:9], -v[6:7], v[6:7], v[0:1]
	v_fma_f64 v[4:5], v[8:9], v[4:5], v[6:7]
	v_cndmask_b32_e64 v6, 0, 0xffffff80, vcc_lo
	v_cmp_class_f64_e64 vcc_lo, v[0:1], 0x260
	s_delay_alu instid0(VALU_DEP_2) | instskip(NEXT) | instid1(VALU_DEP_1)
	v_ldexp_f64 v[4:5], v[4:5], v6
	v_dual_cndmask_b32 v1, v5, v1 :: v_dual_cndmask_b32 v0, v4, v0
	s_delay_alu instid0(VALU_DEP_1) | instskip(NEXT) | instid1(VALU_DEP_1)
	v_add_f64 v[4:5], v[0:1], v[0:1]
	v_div_scale_f64 v[6:7], null, v[4:5], v[4:5], v[2:3]
	s_delay_alu instid0(VALU_DEP_1) | instskip(SKIP_2) | instid1(VALU_DEP_1)
	v_rcp_f64_e32 v[8:9], v[6:7]
	s_waitcnt_depctr 0xfff
	v_fma_f64 v[10:11], -v[6:7], v[8:9], 1.0
	v_fma_f64 v[8:9], v[8:9], v[10:11], v[8:9]
	s_delay_alu instid0(VALU_DEP_1) | instskip(NEXT) | instid1(VALU_DEP_1)
	v_fma_f64 v[10:11], -v[6:7], v[8:9], 1.0
	v_fma_f64 v[8:9], v[8:9], v[10:11], v[8:9]
	v_div_scale_f64 v[10:11], vcc_lo, v[2:3], v[4:5], v[2:3]
	s_delay_alu instid0(VALU_DEP_1) | instskip(NEXT) | instid1(VALU_DEP_1)
	v_mul_f64 v[12:13], v[10:11], v[8:9]
	v_fma_f64 v[6:7], -v[6:7], v[12:13], v[10:11]
	s_delay_alu instid0(VALU_DEP_1) | instskip(NEXT) | instid1(VALU_DEP_1)
	v_div_fmas_f64 v[6:7], v[6:7], v[8:9], v[12:13]
	v_div_fixup_f64 v[2:3], v[6:7], v[4:5], v[2:3]
                                        ; implicit-def: $vgpr4_vgpr5
	s_and_not1_saveexec_b32 s1, s1
	s_cbranch_execnz .LBB224_744
.LBB224_738:
	s_or_b32 exec_lo, exec_lo, s1
	s_and_saveexec_b32 s1, s0
	s_delay_alu instid0(SALU_CYCLE_1)
	s_xor_b32 s0, exec_lo, s1
	s_cbranch_execz .LBB224_745
.LBB224_739:
	s_and_saveexec_b32 s1, s23
; %bb.740:
	s_delay_alu instid0(VALU_DEP_2) | instskip(NEXT) | instid1(VALU_DEP_2)
	v_mul_f64 v[0:1], v[0:1], 0.5
	v_mul_f64 v[2:3], v[2:3], 0.5
; %bb.741:
	s_or_b32 exec_lo, exec_lo, s1
	s_and_not1_saveexec_b32 s0, s0
	s_cbranch_execnz .LBB224_746
	s_branch .LBB224_747
.LBB224_742:
	s_mov_b32 s1, 0
	s_mov_b32 s0, s17
	s_branch .LBB224_882
.LBB224_743:
	s_and_not1_saveexec_b32 s1, s1
	s_cbranch_execz .LBB224_738
.LBB224_744:
	v_add_f64 v[0:1], v[4:5], -v[0:1]
	s_delay_alu instid0(VALU_DEP_1) | instskip(NEXT) | instid1(VALU_DEP_1)
	v_mul_f64 v[0:1], v[0:1], 0.5
	v_cmp_gt_f64_e32 vcc_lo, 0x10000000, v[0:1]
	v_cndmask_b32_e64 v4, 0, 1, vcc_lo
	s_delay_alu instid0(VALU_DEP_1) | instskip(NEXT) | instid1(VALU_DEP_1)
	v_lshlrev_b32_e32 v4, 8, v4
	v_ldexp_f64 v[0:1], v[0:1], v4
	s_delay_alu instid0(VALU_DEP_1) | instskip(SKIP_3) | instid1(VALU_DEP_1)
	v_rsq_f64_e32 v[4:5], v[0:1]
	s_waitcnt_depctr 0xfff
	v_mul_f64 v[6:7], v[0:1], v[4:5]
	v_mul_f64 v[4:5], v[4:5], 0.5
	v_fma_f64 v[8:9], -v[4:5], v[6:7], 0.5
	s_delay_alu instid0(VALU_DEP_1) | instskip(SKIP_1) | instid1(VALU_DEP_2)
	v_fma_f64 v[6:7], v[6:7], v[8:9], v[6:7]
	v_fma_f64 v[4:5], v[4:5], v[8:9], v[4:5]
	v_fma_f64 v[8:9], -v[6:7], v[6:7], v[0:1]
	s_delay_alu instid0(VALU_DEP_1) | instskip(NEXT) | instid1(VALU_DEP_1)
	v_fma_f64 v[6:7], v[8:9], v[4:5], v[6:7]
	v_fma_f64 v[8:9], -v[6:7], v[6:7], v[0:1]
	s_delay_alu instid0(VALU_DEP_1) | instskip(SKIP_3) | instid1(VALU_DEP_3)
	v_fma_f64 v[4:5], v[8:9], v[4:5], v[6:7]
	v_cndmask_b32_e64 v6, 0, 0xffffff80, vcc_lo
	v_cmp_class_f64_e64 vcc_lo, v[0:1], 0x260
	v_and_b32_e32 v7, 0x7fffffff, v3
	v_ldexp_f64 v[4:5], v[4:5], v6
	s_delay_alu instid0(VALU_DEP_1) | instskip(NEXT) | instid1(VALU_DEP_1)
	v_dual_cndmask_b32 v5, v5, v1 :: v_dual_cndmask_b32 v4, v4, v0
	v_add_f64 v[0:1], v[4:5], v[4:5]
	v_bfi_b32 v5, 0x7fffffff, v5, v3
	v_mov_b32_e32 v6, v2
	s_delay_alu instid0(VALU_DEP_1) | instskip(SKIP_1) | instid1(VALU_DEP_2)
	v_div_scale_f64 v[8:9], null, v[0:1], v[0:1], v[6:7]
	v_div_scale_f64 v[6:7], vcc_lo, v[6:7], v[0:1], v[6:7]
	v_rcp_f64_e32 v[10:11], v[8:9]
	s_waitcnt_depctr 0xfff
	v_fma_f64 v[12:13], -v[8:9], v[10:11], 1.0
	s_delay_alu instid0(VALU_DEP_1) | instskip(NEXT) | instid1(VALU_DEP_1)
	v_fma_f64 v[10:11], v[10:11], v[12:13], v[10:11]
	v_fma_f64 v[12:13], -v[8:9], v[10:11], 1.0
	s_delay_alu instid0(VALU_DEP_1) | instskip(NEXT) | instid1(VALU_DEP_1)
	v_fma_f64 v[10:11], v[10:11], v[12:13], v[10:11]
	v_mul_f64 v[12:13], v[6:7], v[10:11]
	s_delay_alu instid0(VALU_DEP_1) | instskip(NEXT) | instid1(VALU_DEP_1)
	v_fma_f64 v[6:7], -v[8:9], v[12:13], v[6:7]
	v_div_fmas_f64 v[6:7], v[6:7], v[10:11], v[12:13]
	s_delay_alu instid0(VALU_DEP_1) | instskip(SKIP_3) | instid1(SALU_CYCLE_1)
	v_div_fixup_f64 v[0:1], v[6:7], v[0:1], |v[2:3]|
	v_dual_mov_b32 v2, v4 :: v_dual_mov_b32 v3, v5
	s_or_b32 exec_lo, exec_lo, s1
	s_and_saveexec_b32 s1, s0
	s_xor_b32 s0, exec_lo, s1
	s_cbranch_execnz .LBB224_739
.LBB224_745:
	s_and_not1_saveexec_b32 s0, s0
.LBB224_746:
	s_delay_alu instid0(VALU_DEP_2) | instskip(NEXT) | instid1(VALU_DEP_2)
	v_add_f64 v[0:1], v[0:1], v[0:1]
	v_add_f64 v[2:3], v[2:3], v[2:3]
.LBB224_747:
	s_or_b32 exec_lo, exec_lo, s0
.LBB224_748:
	s_and_not1_saveexec_b32 s0, s22
	s_cbranch_execz .LBB224_754
; %bb.749:
	s_delay_alu instid0(VALU_DEP_1) | instskip(SKIP_1) | instid1(VALU_DEP_3)
	v_add_f64 v[4:5], v[2:3], -v[2:3]
	s_mov_b32 s1, exec_lo
	v_cmpx_lt_i64_e32 -1, v[0:1]
	s_xor_b32 s1, exec_lo, s1
; %bb.750:
	s_delay_alu instid0(VALU_DEP_2) | instskip(NEXT) | instid1(VALU_DEP_1)
	v_bfi_b32 v5, 0x7fffffff, v5, v3
	v_dual_mov_b32 v2, v4 :: v_dual_mov_b32 v3, v5
                                        ; implicit-def: $vgpr4_vgpr5
; %bb.751:
	s_and_not1_saveexec_b32 s1, s1
; %bb.752:
	s_delay_alu instid0(VALU_DEP_1) | instskip(SKIP_1) | instid1(VALU_DEP_2)
	v_bfi_b32 v1, 0x7fffffff, v1, v3
	v_and_b32_e32 v5, 0x7fffffff, v5
	v_dual_mov_b32 v3, v1 :: v_dual_mov_b32 v2, v0
	s_delay_alu instid0(VALU_DEP_2)
	v_dual_mov_b32 v0, v4 :: v_dual_mov_b32 v1, v5
; %bb.753:
	s_or_b32 exec_lo, exec_lo, s1
.LBB224_754:
	s_delay_alu instid0(SALU_CYCLE_1)
	s_or_b32 exec_lo, exec_lo, s0
.LBB224_755:
	s_and_not1_saveexec_b32 s0, s21
; %bb.756:
	s_delay_alu instid0(VALU_DEP_1) | instskip(NEXT) | instid1(VALU_DEP_1)
	v_add_f64 v[2:3], v[2:3], -v[2:3]
	v_div_scale_f64 v[4:5], vcc_lo, v[2:3], v[2:3], v[2:3]
	s_delay_alu instid0(VALU_DEP_1) | instskip(SKIP_2) | instid1(VALU_DEP_1)
	v_rcp_f64_e32 v[6:7], v[4:5]
	s_waitcnt_depctr 0xfff
	v_fma_f64 v[8:9], -v[4:5], v[6:7], 1.0
	v_fma_f64 v[6:7], v[6:7], v[8:9], v[6:7]
	s_delay_alu instid0(VALU_DEP_1) | instskip(NEXT) | instid1(VALU_DEP_1)
	v_fma_f64 v[8:9], -v[4:5], v[6:7], 1.0
	v_fma_f64 v[6:7], v[6:7], v[8:9], v[6:7]
	s_delay_alu instid0(VALU_DEP_1) | instskip(NEXT) | instid1(VALU_DEP_1)
	v_mul_f64 v[8:9], v[4:5], v[6:7]
	v_fma_f64 v[4:5], -v[4:5], v[8:9], v[4:5]
	s_delay_alu instid0(VALU_DEP_1) | instskip(NEXT) | instid1(VALU_DEP_1)
	v_div_fmas_f64 v[4:5], v[4:5], v[6:7], v[8:9]
	v_div_fixup_f64 v[2:3], v[4:5], v[2:3], v[2:3]
; %bb.757:
	s_or_b32 exec_lo, exec_lo, s0
	v_dual_mov_b32 v5, v1 :: v_dual_mov_b32 v4, v0
.LBB224_758:
	s_or_b32 exec_lo, exec_lo, s9
.LBB224_759:
	s_delay_alu instid0(SALU_CYCLE_1) | instskip(SKIP_2) | instid1(VALU_DEP_1)
	s_or_b32 exec_lo, exec_lo, s8
	v_mul_lo_u32 v0, v21, s2
	v_and_b32_e32 v8, 0xff, v20
	v_cmp_gt_i16_e32 vcc_lo, 11, v8
	s_delay_alu instid0(VALU_DEP_3) | instskip(SKIP_1) | instid1(VALU_DEP_1)
	v_ashrrev_i32_e32 v1, 31, v0
	v_add_co_u32 v0, s0, s4, v0
	v_add_co_ci_u32_e64 v1, s0, s5, v1, s0
	s_cbranch_vccnz .LBB224_766
; %bb.760:
	v_cmp_lt_i16_e32 vcc_lo, 25, v8
	s_cbranch_vccz .LBB224_767
; %bb.761:
	v_cmp_lt_i16_e32 vcc_lo, 28, v8
	s_cbranch_vccz .LBB224_768
	;; [unrolled: 3-line block ×4, first 2 shown]
; %bb.764:
	v_cmp_eq_u16_e32 vcc_lo, 46, v8
	s_mov_b32 s8, 0
	s_mov_b32 s0, -1
	s_mov_b32 s1, 0
	s_cbranch_vccz .LBB224_771
; %bb.765:
	v_cvt_f32_f64_e32 v6, v[2:3]
	v_cvt_f32_f64_e32 v7, v[4:5]
	s_mov_b32 s1, -1
	s_mov_b32 s0, 0
	s_delay_alu instid0(VALU_DEP_2) | instskip(NEXT) | instid1(VALU_DEP_2)
	v_bfe_u32 v9, v6, 16, 1
	v_bfe_u32 v10, v7, 16, 1
	v_cmp_o_f32_e32 vcc_lo, v6, v6
	s_delay_alu instid0(VALU_DEP_3) | instskip(NEXT) | instid1(VALU_DEP_3)
	v_add3_u32 v9, v6, v9, 0x7fff
	v_add3_u32 v10, v7, v10, 0x7fff
	s_delay_alu instid0(VALU_DEP_2) | instskip(NEXT) | instid1(VALU_DEP_2)
	v_and_b32_e32 v9, 0xffff0000, v9
	v_lshrrev_b32_e32 v10, 16, v10
	s_delay_alu instid0(VALU_DEP_2) | instskip(SKIP_1) | instid1(VALU_DEP_3)
	v_cndmask_b32_e32 v6, 0x7fc00000, v9, vcc_lo
	v_cmp_o_f32_e32 vcc_lo, v7, v7
	v_cndmask_b32_e32 v7, 0x7fc0, v10, vcc_lo
	s_delay_alu instid0(VALU_DEP_1)
	v_or_b32_e32 v6, v6, v7
	global_store_b32 v[0:1], v6, off
	s_branch .LBB224_771
.LBB224_766:
	s_mov_b32 s8, -1
	s_mov_b32 s1, 0
	s_mov_b32 s0, s17
	s_branch .LBB224_840
.LBB224_767:
	s_mov_b32 s8, -1
	s_mov_b32 s1, 0
	s_mov_b32 s0, s17
	s_branch .LBB224_798
.LBB224_768:
	s_mov_b32 s8, -1
	s_mov_b32 s1, 0
	s_mov_b32 s0, s17
	s_branch .LBB224_781
.LBB224_769:
	s_mov_b32 s8, -1
	s_mov_b32 s1, 0
	s_mov_b32 s0, s17
	s_branch .LBB224_777
.LBB224_770:
	s_mov_b32 s8, -1
	s_mov_b32 s1, 0
	s_mov_b32 s0, s17
.LBB224_771:
	s_and_b32 vcc_lo, exec_lo, s8
	s_cbranch_vccz .LBB224_776
; %bb.772:
	v_cmp_eq_u16_e32 vcc_lo, 44, v8
	s_mov_b32 s0, -1
	s_cbranch_vccz .LBB224_776
; %bb.773:
	v_cvt_f32_f64_e32 v6, v[4:5]
	v_mov_b32_e32 v7, 0xff
	s_mov_b32 s1, exec_lo
	s_delay_alu instid0(VALU_DEP_2) | instskip(NEXT) | instid1(VALU_DEP_1)
	v_bfe_u32 v9, v6, 23, 8
	v_cmpx_ne_u32_e32 0xff, v9
; %bb.774:
	v_and_b32_e32 v7, 0x400000, v6
	v_and_or_b32 v9, 0x3fffff, v6, v9
	v_lshrrev_b32_e32 v6, 23, v6
	s_delay_alu instid0(VALU_DEP_3) | instskip(NEXT) | instid1(VALU_DEP_3)
	v_cmp_ne_u32_e32 vcc_lo, 0, v7
	v_cmp_ne_u32_e64 s0, 0, v9
	s_delay_alu instid0(VALU_DEP_1) | instskip(NEXT) | instid1(SALU_CYCLE_1)
	s_and_b32 s0, vcc_lo, s0
	v_cndmask_b32_e64 v7, 0, 1, s0
	s_delay_alu instid0(VALU_DEP_1)
	v_add_nc_u32_e32 v7, v6, v7
; %bb.775:
	s_or_b32 exec_lo, exec_lo, s1
	s_mov_b32 s1, -1
	s_mov_b32 s0, 0
	global_store_b8 v[0:1], v7, off
.LBB224_776:
	s_mov_b32 s8, 0
.LBB224_777:
	s_delay_alu instid0(SALU_CYCLE_1)
	s_and_b32 vcc_lo, exec_lo, s8
	s_cbranch_vccz .LBB224_780
; %bb.778:
	v_cmp_eq_u16_e32 vcc_lo, 29, v8
	s_mov_b32 s0, -1
	s_cbranch_vccz .LBB224_780
; %bb.779:
	v_trunc_f64_e32 v[6:7], v[4:5]
	s_mov_b32 s1, -1
	s_mov_b32 s0, 0
	s_mov_b32 s8, 0
	s_delay_alu instid0(VALU_DEP_1) | instskip(NEXT) | instid1(VALU_DEP_1)
	v_ldexp_f64 v[9:10], v[6:7], 0xffffffe0
	v_floor_f64_e32 v[9:10], v[9:10]
	s_delay_alu instid0(VALU_DEP_1) | instskip(SKIP_1) | instid1(VALU_DEP_2)
	v_fma_f64 v[6:7], 0xc1f00000, v[9:10], v[6:7]
	v_cvt_u32_f64_e32 v10, v[9:10]
	v_cvt_u32_f64_e32 v9, v[6:7]
	global_store_b64 v[0:1], v[9:10], off
	s_branch .LBB224_781
.LBB224_780:
	s_mov_b32 s8, 0
.LBB224_781:
	s_delay_alu instid0(SALU_CYCLE_1)
	s_and_b32 vcc_lo, exec_lo, s8
	s_cbranch_vccz .LBB224_797
; %bb.782:
	v_cmp_gt_i16_e32 vcc_lo, 27, v8
	s_mov_b32 s1, -1
	s_cbranch_vccnz .LBB224_788
; %bb.783:
	v_cmp_lt_i16_e32 vcc_lo, 27, v8
	s_cbranch_vccz .LBB224_785
; %bb.784:
	v_cvt_u32_f64_e32 v6, v[4:5]
	s_mov_b32 s1, 0
	global_store_b32 v[0:1], v6, off
.LBB224_785:
	s_and_not1_b32 vcc_lo, exec_lo, s1
	s_cbranch_vccnz .LBB224_787
; %bb.786:
	v_cvt_u32_f64_e32 v6, v[4:5]
	global_store_b16 v[0:1], v6, off
.LBB224_787:
	s_mov_b32 s1, 0
.LBB224_788:
	s_delay_alu instid0(SALU_CYCLE_1)
	s_and_not1_b32 vcc_lo, exec_lo, s1
	s_cbranch_vccnz .LBB224_796
; %bb.789:
	v_cvt_f32_f64_e32 v6, v[4:5]
	v_mov_b32_e32 v9, 0x80
	s_mov_b32 s1, exec_lo
	s_delay_alu instid0(VALU_DEP_2) | instskip(NEXT) | instid1(VALU_DEP_1)
	v_and_b32_e32 v7, 0x7fffffff, v6
	v_cmpx_gt_u32_e32 0x43800000, v7
	s_cbranch_execz .LBB224_795
; %bb.790:
	v_cmp_lt_u32_e32 vcc_lo, 0x3bffffff, v7
	s_mov_b32 s8, 0
                                        ; implicit-def: $vgpr7
	s_and_saveexec_b32 s9, vcc_lo
	s_delay_alu instid0(SALU_CYCLE_1)
	s_xor_b32 s9, exec_lo, s9
	s_cbranch_execz .LBB224_897
; %bb.791:
	v_bfe_u32 v7, v6, 20, 1
	s_mov_b32 s8, exec_lo
	s_delay_alu instid0(VALU_DEP_1) | instskip(NEXT) | instid1(VALU_DEP_1)
	v_add3_u32 v7, v6, v7, 0x487ffff
	v_lshrrev_b32_e32 v7, 20, v7
	s_or_saveexec_b32 s9, s9
                                        ; implicit-def: $sgpr21
	s_delay_alu instid0(SALU_CYCLE_1)
	s_xor_b32 exec_lo, exec_lo, s9
	s_cbranch_execnz .LBB224_898
.LBB224_792:
	s_or_b32 exec_lo, exec_lo, s9
	v_mov_b32_e32 v9, s21
	s_and_saveexec_b32 s9, s8
.LBB224_793:
	v_lshrrev_b32_e32 v6, 24, v6
	s_delay_alu instid0(VALU_DEP_1)
	v_and_or_b32 v9, 0x80, v6, v7
.LBB224_794:
	s_or_b32 exec_lo, exec_lo, s9
.LBB224_795:
	s_delay_alu instid0(SALU_CYCLE_1)
	s_or_b32 exec_lo, exec_lo, s1
	global_store_b8 v[0:1], v9, off
.LBB224_796:
	s_mov_b32 s1, -1
.LBB224_797:
	s_mov_b32 s8, 0
.LBB224_798:
	s_delay_alu instid0(SALU_CYCLE_1)
	s_and_b32 vcc_lo, exec_lo, s8
	s_cbranch_vccz .LBB224_839
; %bb.799:
	v_cmp_lt_i16_e32 vcc_lo, 22, v8
	s_mov_b32 s8, -1
	s_cbranch_vccz .LBB224_831
; %bb.800:
	v_cmp_gt_i16_e32 vcc_lo, 24, v8
	s_mov_b32 s1, -1
	s_cbranch_vccnz .LBB224_820
; %bb.801:
	v_cmp_lt_i16_e32 vcc_lo, 24, v8
	s_cbranch_vccz .LBB224_809
; %bb.802:
	v_cvt_f32_f64_e32 v6, v[4:5]
	v_mov_b32_e32 v9, 0x80
	s_mov_b32 s1, exec_lo
	s_delay_alu instid0(VALU_DEP_2) | instskip(NEXT) | instid1(VALU_DEP_1)
	v_and_b32_e32 v7, 0x7fffffff, v6
	v_cmpx_gt_u32_e32 0x47800000, v7
	s_cbranch_execz .LBB224_808
; %bb.803:
	v_cmp_lt_u32_e32 vcc_lo, 0x37ffffff, v7
	s_mov_b32 s8, 0
                                        ; implicit-def: $vgpr7
	s_and_saveexec_b32 s9, vcc_lo
	s_delay_alu instid0(SALU_CYCLE_1)
	s_xor_b32 s9, exec_lo, s9
	s_cbranch_execz .LBB224_900
; %bb.804:
	v_bfe_u32 v7, v6, 21, 1
	s_mov_b32 s8, exec_lo
	s_delay_alu instid0(VALU_DEP_1) | instskip(NEXT) | instid1(VALU_DEP_1)
	v_add3_u32 v7, v6, v7, 0x88fffff
	v_lshrrev_b32_e32 v7, 21, v7
	s_or_saveexec_b32 s9, s9
                                        ; implicit-def: $sgpr21
	s_delay_alu instid0(SALU_CYCLE_1)
	s_xor_b32 exec_lo, exec_lo, s9
	s_cbranch_execnz .LBB224_901
.LBB224_805:
	s_or_b32 exec_lo, exec_lo, s9
	v_mov_b32_e32 v9, s21
	s_and_saveexec_b32 s9, s8
.LBB224_806:
	v_lshrrev_b32_e32 v6, 24, v6
	s_delay_alu instid0(VALU_DEP_1)
	v_and_or_b32 v9, 0x80, v6, v7
.LBB224_807:
	s_or_b32 exec_lo, exec_lo, s9
.LBB224_808:
	s_delay_alu instid0(SALU_CYCLE_1)
	s_or_b32 exec_lo, exec_lo, s1
	s_mov_b32 s1, 0
	global_store_b8 v[0:1], v9, off
.LBB224_809:
	s_and_b32 vcc_lo, exec_lo, s1
	s_cbranch_vccz .LBB224_819
; %bb.810:
	v_cvt_f32_f64_e32 v6, v[4:5]
	s_mov_b32 s1, exec_lo
                                        ; implicit-def: $vgpr7
	s_delay_alu instid0(VALU_DEP_1) | instskip(NEXT) | instid1(VALU_DEP_1)
	v_and_b32_e32 v9, 0x7fffffff, v6
	v_cmpx_gt_u32_e32 0x43f00000, v9
	s_xor_b32 s1, exec_lo, s1
	s_cbranch_execz .LBB224_816
; %bb.811:
	s_mov_b32 s8, exec_lo
                                        ; implicit-def: $vgpr7
	v_cmpx_lt_u32_e32 0x3c7fffff, v9
	s_xor_b32 s8, exec_lo, s8
; %bb.812:
	v_bfe_u32 v7, v6, 20, 1
	s_delay_alu instid0(VALU_DEP_1) | instskip(NEXT) | instid1(VALU_DEP_1)
	v_add3_u32 v7, v6, v7, 0x407ffff
	v_and_b32_e32 v9, 0xff00000, v7
	v_lshrrev_b32_e32 v7, 20, v7
	s_delay_alu instid0(VALU_DEP_2) | instskip(NEXT) | instid1(VALU_DEP_2)
	v_cmp_ne_u32_e32 vcc_lo, 0x7f00000, v9
	v_cndmask_b32_e32 v7, 0x7e, v7, vcc_lo
; %bb.813:
	s_and_not1_saveexec_b32 s8, s8
; %bb.814:
	v_add_f32_e64 v7, 0x46800000, |v6|
; %bb.815:
	s_or_b32 exec_lo, exec_lo, s8
                                        ; implicit-def: $vgpr9
.LBB224_816:
	s_and_not1_saveexec_b32 s1, s1
; %bb.817:
	v_mov_b32_e32 v7, 0x7f
	v_cmp_lt_u32_e32 vcc_lo, 0x7f800000, v9
	s_delay_alu instid0(VALU_DEP_2)
	v_cndmask_b32_e32 v7, 0x7e, v7, vcc_lo
; %bb.818:
	s_or_b32 exec_lo, exec_lo, s1
	v_lshrrev_b32_e32 v6, 24, v6
	s_delay_alu instid0(VALU_DEP_1)
	v_and_or_b32 v6, 0x80, v6, v7
	global_store_b8 v[0:1], v6, off
.LBB224_819:
	s_mov_b32 s1, 0
.LBB224_820:
	s_delay_alu instid0(SALU_CYCLE_1)
	s_and_not1_b32 vcc_lo, exec_lo, s1
	s_cbranch_vccnz .LBB224_830
; %bb.821:
	v_cvt_f32_f64_e32 v6, v[4:5]
	s_mov_b32 s1, exec_lo
                                        ; implicit-def: $vgpr7
	s_delay_alu instid0(VALU_DEP_1) | instskip(NEXT) | instid1(VALU_DEP_1)
	v_and_b32_e32 v9, 0x7fffffff, v6
	v_cmpx_gt_u32_e32 0x47800000, v9
	s_xor_b32 s1, exec_lo, s1
	s_cbranch_execz .LBB224_827
; %bb.822:
	s_mov_b32 s8, exec_lo
                                        ; implicit-def: $vgpr7
	v_cmpx_lt_u32_e32 0x387fffff, v9
	s_xor_b32 s8, exec_lo, s8
; %bb.823:
	v_bfe_u32 v7, v6, 21, 1
	s_delay_alu instid0(VALU_DEP_1) | instskip(NEXT) | instid1(VALU_DEP_1)
	v_add3_u32 v7, v6, v7, 0x80fffff
	v_lshrrev_b32_e32 v7, 21, v7
; %bb.824:
	s_and_not1_saveexec_b32 s8, s8
; %bb.825:
	v_add_f32_e64 v7, 0x43000000, |v6|
; %bb.826:
	s_or_b32 exec_lo, exec_lo, s8
                                        ; implicit-def: $vgpr9
.LBB224_827:
	s_and_not1_saveexec_b32 s1, s1
; %bb.828:
	v_mov_b32_e32 v7, 0x7f
	v_cmp_lt_u32_e32 vcc_lo, 0x7f800000, v9
	s_delay_alu instid0(VALU_DEP_2)
	v_cndmask_b32_e32 v7, 0x7c, v7, vcc_lo
; %bb.829:
	s_or_b32 exec_lo, exec_lo, s1
	v_lshrrev_b32_e32 v6, 24, v6
	s_delay_alu instid0(VALU_DEP_1)
	v_and_or_b32 v6, 0x80, v6, v7
	global_store_b8 v[0:1], v6, off
.LBB224_830:
	s_mov_b32 s8, 0
	s_mov_b32 s1, -1
.LBB224_831:
	s_and_not1_b32 vcc_lo, exec_lo, s8
	s_cbranch_vccnz .LBB224_839
; %bb.832:
	v_cmp_lt_i16_e32 vcc_lo, 14, v8
	s_mov_b32 s8, -1
	s_cbranch_vccz .LBB224_836
; %bb.833:
	v_cmp_eq_u16_e32 vcc_lo, 15, v8
	s_mov_b32 s0, -1
	s_cbranch_vccz .LBB224_835
; %bb.834:
	v_cvt_f32_f64_e32 v6, v[4:5]
	s_mov_b32 s1, -1
	s_mov_b32 s0, 0
	s_delay_alu instid0(VALU_DEP_1) | instskip(SKIP_1) | instid1(VALU_DEP_2)
	v_bfe_u32 v7, v6, 16, 1
	v_cmp_o_f32_e32 vcc_lo, v6, v6
	v_add3_u32 v7, v6, v7, 0x7fff
	s_delay_alu instid0(VALU_DEP_1) | instskip(NEXT) | instid1(VALU_DEP_1)
	v_lshrrev_b32_e32 v7, 16, v7
	v_cndmask_b32_e32 v6, 0x7fc0, v7, vcc_lo
	global_store_b16 v[0:1], v6, off
.LBB224_835:
	s_mov_b32 s8, 0
.LBB224_836:
	s_delay_alu instid0(SALU_CYCLE_1)
	s_and_b32 vcc_lo, exec_lo, s8
	s_cbranch_vccz .LBB224_839
; %bb.837:
	v_cmp_eq_u16_e32 vcc_lo, 11, v8
	s_mov_b32 s0, -1
	s_cbranch_vccz .LBB224_839
; %bb.838:
	v_cmp_neq_f64_e32 vcc_lo, 0, v[4:5]
	v_cmp_neq_f64_e64 s0, 0, v[2:3]
	s_mov_b32 s1, -1
	s_delay_alu instid0(VALU_DEP_1) | instskip(NEXT) | instid1(SALU_CYCLE_1)
	s_or_b32 s0, vcc_lo, s0
	v_cndmask_b32_e64 v6, 0, 1, s0
	s_mov_b32 s0, 0
	global_store_b8 v[0:1], v6, off
.LBB224_839:
	s_mov_b32 s8, 0
.LBB224_840:
	s_delay_alu instid0(SALU_CYCLE_1)
	s_and_b32 vcc_lo, exec_lo, s8
	s_cbranch_vccz .LBB224_879
; %bb.841:
	v_cmp_gt_i16_e32 vcc_lo, 5, v8
	s_mov_b32 s1, -1
	s_cbranch_vccnz .LBB224_862
; %bb.842:
	v_cmp_gt_i16_e32 vcc_lo, 8, v8
	s_cbranch_vccnz .LBB224_852
; %bb.843:
	v_cmp_gt_i16_e32 vcc_lo, 9, v8
	s_cbranch_vccnz .LBB224_849
; %bb.844:
	v_cmp_lt_i16_e32 vcc_lo, 9, v8
	s_cbranch_vccz .LBB224_846
; %bb.845:
	v_dual_mov_b32 v6, v2 :: v_dual_mov_b32 v7, v3
	s_mov_b32 s1, 0
	global_store_b128 v[0:1], v[4:7], off
.LBB224_846:
	s_and_not1_b32 vcc_lo, exec_lo, s1
	s_cbranch_vccnz .LBB224_848
; %bb.847:
	v_cvt_f32_f64_e32 v6, v[4:5]
	v_cvt_f32_f64_e32 v7, v[2:3]
	global_store_b64 v[0:1], v[6:7], off
.LBB224_848:
	s_mov_b32 s1, 0
.LBB224_849:
	s_delay_alu instid0(SALU_CYCLE_1)
	s_and_not1_b32 vcc_lo, exec_lo, s1
	s_cbranch_vccnz .LBB224_851
; %bb.850:
	v_cvt_f32_f64_e32 v2, v[2:3]
	v_cvt_f32_f64_e32 v3, v[4:5]
	s_delay_alu instid0(VALU_DEP_2) | instskip(NEXT) | instid1(VALU_DEP_2)
	v_cvt_f16_f32_e32 v2, v2
	v_cvt_f16_f32_e32 v3, v3
	s_delay_alu instid0(VALU_DEP_2) | instskip(NEXT) | instid1(VALU_DEP_2)
	v_lshlrev_b32_e32 v2, 16, v2
	v_and_b32_e32 v3, 0xffff, v3
	s_delay_alu instid0(VALU_DEP_1)
	v_or_b32_e32 v2, v2, v3
	global_store_b32 v[0:1], v2, off
.LBB224_851:
	s_mov_b32 s1, 0
.LBB224_852:
	s_delay_alu instid0(SALU_CYCLE_1)
	s_and_not1_b32 vcc_lo, exec_lo, s1
	s_cbranch_vccnz .LBB224_861
; %bb.853:
	v_cmp_gt_i16_e32 vcc_lo, 6, v8
	s_mov_b32 s1, -1
	s_cbranch_vccnz .LBB224_859
; %bb.854:
	v_cmp_lt_i16_e32 vcc_lo, 6, v8
	s_cbranch_vccz .LBB224_856
; %bb.855:
	s_mov_b32 s1, 0
	global_store_b64 v[0:1], v[4:5], off
.LBB224_856:
	s_and_not1_b32 vcc_lo, exec_lo, s1
	s_cbranch_vccnz .LBB224_858
; %bb.857:
	v_cvt_f32_f64_e32 v2, v[4:5]
	global_store_b32 v[0:1], v2, off
.LBB224_858:
	s_mov_b32 s1, 0
.LBB224_859:
	s_delay_alu instid0(SALU_CYCLE_1)
	s_and_not1_b32 vcc_lo, exec_lo, s1
	s_cbranch_vccnz .LBB224_861
; %bb.860:
	v_cvt_f32_f64_e32 v2, v[4:5]
	s_delay_alu instid0(VALU_DEP_1)
	v_cvt_f16_f32_e32 v2, v2
	global_store_b16 v[0:1], v2, off
.LBB224_861:
	s_mov_b32 s1, 0
.LBB224_862:
	s_delay_alu instid0(SALU_CYCLE_1)
	s_and_not1_b32 vcc_lo, exec_lo, s1
	s_cbranch_vccnz .LBB224_878
; %bb.863:
	v_cmp_gt_i16_e32 vcc_lo, 2, v8
	s_mov_b32 s1, -1
	s_cbranch_vccnz .LBB224_873
; %bb.864:
	v_cmp_gt_i16_e32 vcc_lo, 3, v8
	s_cbranch_vccnz .LBB224_870
; %bb.865:
	v_cmp_lt_i16_e32 vcc_lo, 3, v8
	s_cbranch_vccz .LBB224_867
; %bb.866:
	v_trunc_f64_e32 v[2:3], v[4:5]
	s_mov_b32 s1, 0
	s_delay_alu instid0(VALU_DEP_1) | instskip(NEXT) | instid1(VALU_DEP_1)
	v_ldexp_f64 v[6:7], v[2:3], 0xffffffe0
	v_floor_f64_e32 v[6:7], v[6:7]
	s_delay_alu instid0(VALU_DEP_1) | instskip(SKIP_1) | instid1(VALU_DEP_2)
	v_fma_f64 v[2:3], 0xc1f00000, v[6:7], v[2:3]
	v_cvt_i32_f64_e32 v7, v[6:7]
	v_cvt_u32_f64_e32 v6, v[2:3]
	global_store_b64 v[0:1], v[6:7], off
.LBB224_867:
	s_and_not1_b32 vcc_lo, exec_lo, s1
	s_cbranch_vccnz .LBB224_869
; %bb.868:
	v_cvt_i32_f64_e32 v2, v[4:5]
	global_store_b32 v[0:1], v2, off
.LBB224_869:
	s_mov_b32 s1, 0
.LBB224_870:
	s_delay_alu instid0(SALU_CYCLE_1)
	s_and_not1_b32 vcc_lo, exec_lo, s1
	s_cbranch_vccnz .LBB224_872
; %bb.871:
	v_cvt_i32_f64_e32 v2, v[4:5]
	global_store_b16 v[0:1], v2, off
.LBB224_872:
	s_mov_b32 s1, 0
.LBB224_873:
	s_delay_alu instid0(SALU_CYCLE_1)
	s_and_not1_b32 vcc_lo, exec_lo, s1
	s_cbranch_vccnz .LBB224_878
; %bb.874:
	v_cmp_lt_i16_e32 vcc_lo, 0, v8
	s_mov_b32 s1, -1
	s_cbranch_vccz .LBB224_876
; %bb.875:
	v_cvt_i32_f64_e32 v2, v[4:5]
	s_mov_b32 s1, 0
	global_store_b8 v[0:1], v2, off
.LBB224_876:
	s_and_not1_b32 vcc_lo, exec_lo, s1
	s_cbranch_vccnz .LBB224_878
; %bb.877:
	v_trunc_f64_e32 v[2:3], v[4:5]
	s_delay_alu instid0(VALU_DEP_1) | instskip(NEXT) | instid1(VALU_DEP_1)
	v_ldexp_f64 v[4:5], v[2:3], 0xffffffe0
	v_floor_f64_e32 v[4:5], v[4:5]
	s_delay_alu instid0(VALU_DEP_1) | instskip(NEXT) | instid1(VALU_DEP_1)
	v_fma_f64 v[2:3], 0xc1f00000, v[4:5], v[2:3]
	v_cvt_u32_f64_e32 v2, v[2:3]
	global_store_b8 v[0:1], v2, off
.LBB224_878:
	s_mov_b32 s1, -1
.LBB224_879:
	s_delay_alu instid0(SALU_CYCLE_1)
	s_and_not1_b32 vcc_lo, exec_lo, s1
	s_cbranch_vccnz .LBB224_881
; %bb.880:
	v_add_nc_u32_e32 v21, 0x80, v21
	s_mov_b32 s1, -1
	s_branch .LBB224_883
.LBB224_881:
	s_mov_b32 s1, 0
.LBB224_882:
                                        ; implicit-def: $vgpr21
.LBB224_883:
	s_and_not1_b32 s8, s17, exec_lo
	s_and_b32 s0, s0, exec_lo
	s_and_not1_b32 s9, s16, exec_lo
	s_and_b32 s20, s20, exec_lo
	s_or_b32 s21, s8, s0
	s_or_b32 s20, s9, s20
	s_or_not1_b32 s9, s1, exec_lo
.LBB224_884:
	s_or_b32 exec_lo, exec_lo, s19
	s_mov_b32 s1, 0
	s_mov_b32 s0, 0
	;; [unrolled: 1-line block ×3, first 2 shown]
                                        ; implicit-def: $vgpr4_vgpr5
                                        ; implicit-def: $vgpr2_vgpr3
	s_and_saveexec_b32 s19, s9
	s_cbranch_execz .LBB224_972
; %bb.885:
	v_cmp_gt_i32_e32 vcc_lo, s13, v21
	s_mov_b32 s9, s20
                                        ; implicit-def: $vgpr4_vgpr5
                                        ; implicit-def: $vgpr2_vgpr3
	s_and_saveexec_b32 s13, vcc_lo
	s_cbranch_execz .LBB224_971
; %bb.886:
	s_waitcnt vmcnt(0)
	v_mul_lo_u32 v0, v21, s3
	v_cmp_gt_i16_e32 vcc_lo, 11, v22
	s_delay_alu instid0(VALU_DEP_2) | instskip(SKIP_1) | instid1(VALU_DEP_1)
	v_ashrrev_i32_e32 v1, 31, v0
	v_add_co_u32 v4, s0, s6, v0
	v_add_co_ci_u32_e64 v5, s0, s7, v1, s0
	s_cbranch_vccnz .LBB224_893
; %bb.887:
	v_cmp_lt_i16_e32 vcc_lo, 25, v22
	s_mov_b32 s23, 0
	s_cbranch_vccz .LBB224_894
; %bb.888:
	v_cmp_lt_i16_e32 vcc_lo, 28, v22
	s_cbranch_vccz .LBB224_895
; %bb.889:
	v_cmp_lt_i16_e32 vcc_lo, 43, v22
	;; [unrolled: 3-line block ×3, first 2 shown]
	s_cbranch_vccz .LBB224_899
; %bb.891:
	v_cmp_eq_u16_e32 vcc_lo, 46, v22
	s_mov_b32 s0, 0
	s_cbranch_vccz .LBB224_902
; %bb.892:
	global_load_b32 v0, v[4:5], off
	s_mov_b32 s22, 0
	s_mov_b32 s8, -1
	s_waitcnt vmcnt(0)
	v_lshlrev_b32_e32 v1, 16, v0
	v_and_b32_e32 v2, 0xffff0000, v0
	s_delay_alu instid0(VALU_DEP_2) | instskip(NEXT) | instid1(VALU_DEP_2)
	v_cvt_f64_f32_e32 v[0:1], v1
	v_cvt_f64_f32_e32 v[2:3], v2
	s_branch .LBB224_904
.LBB224_893:
	s_mov_b32 s0, -1
	s_mov_b32 s23, 0
	s_mov_b32 s22, s20
                                        ; implicit-def: $vgpr2_vgpr3
	s_branch .LBB224_970
.LBB224_894:
	s_mov_b32 s0, -1
	s_mov_b32 s22, s20
                                        ; implicit-def: $vgpr2_vgpr3
	s_branch .LBB224_937
.LBB224_895:
	s_mov_b32 s0, -1
	s_mov_b32 s22, s20
                                        ; implicit-def: $vgpr2_vgpr3
	s_branch .LBB224_916
.LBB224_896:
	s_mov_b32 s0, -1
	s_mov_b32 s22, s20
                                        ; implicit-def: $vgpr2_vgpr3
	s_branch .LBB224_910
.LBB224_897:
	s_or_saveexec_b32 s9, s9
                                        ; implicit-def: $sgpr21
	s_delay_alu instid0(SALU_CYCLE_1)
	s_xor_b32 exec_lo, exec_lo, s9
	s_cbranch_execz .LBB224_792
.LBB224_898:
	v_add_f32_e64 v7, 0x46000000, |v6|
	s_and_not1_b32 s8, s8, exec_lo
	s_mov_b32 s21, 0
	s_delay_alu instid0(VALU_DEP_1) | instskip(NEXT) | instid1(VALU_DEP_1)
	v_and_b32_e32 v7, 0xff, v7
	v_cmp_ne_u32_e32 vcc_lo, 0, v7
	s_and_b32 s22, vcc_lo, exec_lo
	s_delay_alu instid0(SALU_CYCLE_1)
	s_or_b32 s8, s8, s22
	s_or_b32 exec_lo, exec_lo, s9
	v_mov_b32_e32 v9, s21
	s_and_saveexec_b32 s9, s8
	s_cbranch_execnz .LBB224_793
	s_branch .LBB224_794
.LBB224_899:
	s_mov_b32 s0, -1
	s_mov_b32 s22, s20
	s_branch .LBB224_903
.LBB224_900:
	s_or_saveexec_b32 s9, s9
                                        ; implicit-def: $sgpr21
	s_delay_alu instid0(SALU_CYCLE_1)
	s_xor_b32 exec_lo, exec_lo, s9
	s_cbranch_execz .LBB224_805
.LBB224_901:
	v_add_f32_e64 v7, 0x42800000, |v6|
	s_and_not1_b32 s8, s8, exec_lo
	s_mov_b32 s21, 0
	s_delay_alu instid0(VALU_DEP_1) | instskip(NEXT) | instid1(VALU_DEP_1)
	v_and_b32_e32 v7, 0xff, v7
	v_cmp_ne_u32_e32 vcc_lo, 0, v7
	s_and_b32 s22, vcc_lo, exec_lo
	s_delay_alu instid0(SALU_CYCLE_1)
	s_or_b32 s8, s8, s22
	s_or_b32 exec_lo, exec_lo, s9
	v_mov_b32_e32 v9, s21
	s_and_saveexec_b32 s9, s8
	s_cbranch_execnz .LBB224_806
	s_branch .LBB224_807
.LBB224_902:
	s_mov_b32 s22, -1
.LBB224_903:
                                        ; implicit-def: $vgpr2_vgpr3
.LBB224_904:
	s_and_b32 vcc_lo, exec_lo, s0
	s_cbranch_vccz .LBB224_909
; %bb.905:
	v_cmp_eq_u16_e32 vcc_lo, 44, v22
	s_cbranch_vccz .LBB224_907
; %bb.906:
	global_load_u8 v2, v[4:5], off
	s_mov_b32 s22, 0
	s_mov_b32 s8, -1
	s_mov_b64 s[0:1], 0
	s_waitcnt vmcnt(0)
	v_cmp_ne_u32_e32 vcc_lo, 0xff, v2
	v_lshlrev_b32_e32 v0, 23, v2
	s_delay_alu instid0(VALU_DEP_1) | instskip(NEXT) | instid1(VALU_DEP_1)
	v_cvt_f64_f32_e32 v[0:1], v0
	v_cndmask_b32_e32 v1, 0x7ff80000, v1, vcc_lo
	s_delay_alu instid0(VALU_DEP_2) | instskip(SKIP_1) | instid1(VALU_DEP_3)
	v_cndmask_b32_e32 v0, 0x20000000, v0, vcc_lo
	v_cmp_ne_u32_e32 vcc_lo, 0, v2
	v_cndmask_b32_e32 v1, 0x38000000, v1, vcc_lo
	s_delay_alu instid0(VALU_DEP_3)
	v_cndmask_b32_e32 v0, 0, v0, vcc_lo
	s_branch .LBB224_908
.LBB224_907:
	s_mov_b32 s22, -1
                                        ; implicit-def: $sgpr0_sgpr1
                                        ; implicit-def: $vgpr0_vgpr1
.LBB224_908:
	v_dual_mov_b32 v3, s1 :: v_dual_mov_b32 v2, s0
.LBB224_909:
	s_mov_b32 s0, 0
.LBB224_910:
	s_delay_alu instid0(SALU_CYCLE_1)
	s_and_b32 vcc_lo, exec_lo, s0
	s_cbranch_vccz .LBB224_915
; %bb.911:
	v_cmp_eq_u16_e32 vcc_lo, 29, v22
	s_cbranch_vccz .LBB224_913
; %bb.912:
	global_load_b64 v[0:1], v[4:5], off
	s_mov_b32 s22, 0
	s_mov_b32 s8, -1
	s_mov_b64 s[0:1], 0
	s_waitcnt vmcnt(0)
	v_cvt_f64_u32_e32 v[1:2], v1
	v_cvt_f64_u32_e32 v[6:7], v0
	s_delay_alu instid0(VALU_DEP_2) | instskip(NEXT) | instid1(VALU_DEP_1)
	v_ldexp_f64 v[1:2], v[1:2], 32
	v_add_f64 v[0:1], v[1:2], v[6:7]
	s_branch .LBB224_914
.LBB224_913:
	s_mov_b32 s22, -1
                                        ; implicit-def: $sgpr0_sgpr1
                                        ; implicit-def: $vgpr0_vgpr1
.LBB224_914:
	v_dual_mov_b32 v3, s1 :: v_dual_mov_b32 v2, s0
.LBB224_915:
	s_mov_b32 s0, 0
.LBB224_916:
	s_delay_alu instid0(SALU_CYCLE_1)
	s_and_b32 vcc_lo, exec_lo, s0
	s_cbranch_vccz .LBB224_936
; %bb.917:
	v_cmp_gt_i16_e32 vcc_lo, 27, v22
	s_cbranch_vccnz .LBB224_920
; %bb.918:
	v_cmp_lt_i16_e32 vcc_lo, 27, v22
	s_cbranch_vccz .LBB224_921
; %bb.919:
	global_load_b32 v0, v[4:5], off
	s_mov_b32 s8, 0
	s_mov_b64 s[0:1], 0
	s_waitcnt vmcnt(0)
	v_cvt_f64_u32_e32 v[0:1], v0
	s_branch .LBB224_922
.LBB224_920:
	s_mov_b32 s8, -1
                                        ; implicit-def: $sgpr0_sgpr1
                                        ; implicit-def: $vgpr0_vgpr1
	s_branch .LBB224_925
.LBB224_921:
	s_mov_b32 s8, -1
                                        ; implicit-def: $sgpr0_sgpr1
                                        ; implicit-def: $vgpr0_vgpr1
.LBB224_922:
	s_delay_alu instid0(SALU_CYCLE_1)
	s_and_not1_b32 vcc_lo, exec_lo, s8
	s_cbranch_vccnz .LBB224_924
; %bb.923:
	global_load_u16 v0, v[4:5], off
	s_mov_b64 s[0:1], 0
	s_waitcnt vmcnt(0)
	v_cvt_f64_u32_e32 v[0:1], v0
.LBB224_924:
	s_mov_b32 s8, 0
.LBB224_925:
	v_dual_mov_b32 v3, s1 :: v_dual_mov_b32 v2, s0
	s_and_not1_b32 vcc_lo, exec_lo, s8
	s_cbranch_vccnz .LBB224_935
; %bb.926:
	global_load_u8 v6, v[4:5], off
	s_mov_b32 s24, 0
	s_mov_b32 s25, exec_lo
                                        ; implicit-def: $sgpr0_sgpr1
                                        ; implicit-def: $sgpr8_sgpr9
	s_waitcnt vmcnt(0)
	v_cmpx_lt_i16_e32 0x7f, v6
	s_xor_b32 s25, exec_lo, s25
	s_cbranch_execz .LBB224_930
; %bb.927:
	s_mov_b32 s24, -1
	s_mov_b32 s26, exec_lo
                                        ; implicit-def: $sgpr0_sgpr1
                                        ; implicit-def: $sgpr8_sgpr9
	v_cmpx_eq_u16_e32 0x80, v6
; %bb.928:
	s_mov_b64 s[0:1], 0
	s_mov_b32 s9, 0x7ff80000
	s_brev_b32 s8, 4
	s_xor_b32 s24, exec_lo, -1
; %bb.929:
	s_or_b32 exec_lo, exec_lo, s26
	s_delay_alu instid0(SALU_CYCLE_1)
	s_and_b32 s24, s24, exec_lo
.LBB224_930:
	s_or_saveexec_b32 s25, s25
	v_dual_mov_b32 v3, s1 :: v_dual_mov_b32 v2, s0
	v_dual_mov_b32 v0, s8 :: v_dual_mov_b32 v1, s9
	s_xor_b32 exec_lo, exec_lo, s25
; %bb.931:
	v_mov_b32_e32 v2, 0
	v_mov_b32_e32 v3, 0
	v_cmp_ne_u16_e32 vcc_lo, 0, v6
	s_delay_alu instid0(VALU_DEP_3) | instskip(SKIP_1) | instid1(VALU_DEP_3)
	v_mov_b32_e32 v0, v2
	s_and_not1_b32 s0, s24, exec_lo
	v_mov_b32_e32 v1, v3
	s_and_b32 s1, vcc_lo, exec_lo
	s_delay_alu instid0(SALU_CYCLE_1)
	s_or_b32 s24, s0, s1
; %bb.932:
	s_or_b32 exec_lo, exec_lo, s25
	s_and_saveexec_b32 s0, s24
	s_cbranch_execz .LBB224_934
; %bb.933:
	v_and_b32_e32 v0, 0xffff, v6
	v_lshlrev_b32_e32 v6, 24, v6
	s_delay_alu instid0(VALU_DEP_2) | instskip(NEXT) | instid1(VALU_DEP_1)
	v_and_b32_e32 v1, 7, v0
	v_clz_i32_u32_e32 v2, v1
	s_delay_alu instid0(VALU_DEP_1) | instskip(NEXT) | instid1(VALU_DEP_1)
	v_min_u32_e32 v2, 32, v2
	v_subrev_nc_u32_e32 v3, 28, v2
	v_sub_nc_u32_e32 v2, 29, v2
	s_delay_alu instid0(VALU_DEP_2) | instskip(SKIP_1) | instid1(VALU_DEP_2)
	v_lshlrev_b32_e32 v3, v3, v0
	v_bfe_u32 v0, v0, 3, 4
	v_and_b32_e32 v3, 7, v3
	s_delay_alu instid0(VALU_DEP_2) | instskip(NEXT) | instid1(VALU_DEP_2)
	v_cmp_eq_u32_e32 vcc_lo, 0, v0
	v_dual_cndmask_b32 v0, v0, v2 :: v_dual_cndmask_b32 v1, v1, v3
	v_and_b32_e32 v2, 0x80000000, v6
	s_delay_alu instid0(VALU_DEP_2) | instskip(NEXT) | instid1(VALU_DEP_3)
	v_lshl_add_u32 v0, v0, 23, 0x3b800000
	v_lshlrev_b32_e32 v1, 20, v1
	s_delay_alu instid0(VALU_DEP_1) | instskip(SKIP_2) | instid1(VALU_DEP_3)
	v_or3_b32 v0, v2, v0, v1
	v_mov_b32_e32 v2, 0
	v_mov_b32_e32 v3, 0
	v_cvt_f64_f32_e32 v[0:1], v0
.LBB224_934:
	s_or_b32 exec_lo, exec_lo, s0
.LBB224_935:
	s_mov_b32 s8, -1
.LBB224_936:
	s_mov_b32 s0, 0
.LBB224_937:
	s_delay_alu instid0(SALU_CYCLE_1)
	s_and_b32 vcc_lo, exec_lo, s0
	s_cbranch_vccz .LBB224_969
; %bb.938:
	v_cmp_lt_i16_e32 vcc_lo, 22, v22
	s_cbranch_vccz .LBB224_950
; %bb.939:
	v_cmp_gt_i16_e32 vcc_lo, 24, v22
	s_cbranch_vccnz .LBB224_951
; %bb.940:
	v_cmp_lt_i16_e32 vcc_lo, 24, v22
	s_cbranch_vccz .LBB224_952
; %bb.941:
	global_load_u8 v6, v[4:5], off
	s_mov_b32 s24, exec_lo
                                        ; implicit-def: $sgpr0_sgpr1
                                        ; implicit-def: $sgpr8_sgpr9
	s_waitcnt vmcnt(0)
	v_cmpx_lt_i16_e32 0x7f, v6
	s_xor_b32 s24, exec_lo, s24
	s_cbranch_execz .LBB224_945
; %bb.942:
	s_mov_b32 s23, -1
	s_mov_b32 s25, exec_lo
                                        ; implicit-def: $sgpr0_sgpr1
                                        ; implicit-def: $sgpr8_sgpr9
	v_cmpx_eq_u16_e32 0x80, v6
; %bb.943:
	s_mov_b64 s[0:1], 0
	s_mov_b32 s9, 0x7ff80000
	s_brev_b32 s8, 4
	s_xor_b32 s23, exec_lo, -1
; %bb.944:
	s_or_b32 exec_lo, exec_lo, s25
	s_delay_alu instid0(SALU_CYCLE_1)
	s_and_b32 s23, s23, exec_lo
.LBB224_945:
	s_or_saveexec_b32 s24, s24
	v_dual_mov_b32 v3, s1 :: v_dual_mov_b32 v2, s0
	v_dual_mov_b32 v0, s8 :: v_dual_mov_b32 v1, s9
	s_xor_b32 exec_lo, exec_lo, s24
; %bb.946:
	v_mov_b32_e32 v2, 0
	v_mov_b32_e32 v3, 0
	v_cmp_ne_u16_e32 vcc_lo, 0, v6
	s_delay_alu instid0(VALU_DEP_3) | instskip(SKIP_1) | instid1(VALU_DEP_3)
	v_mov_b32_e32 v0, v2
	s_and_not1_b32 s0, s23, exec_lo
	v_mov_b32_e32 v1, v3
	s_and_b32 s1, vcc_lo, exec_lo
	s_delay_alu instid0(SALU_CYCLE_1)
	s_or_b32 s23, s0, s1
; %bb.947:
	s_or_b32 exec_lo, exec_lo, s24
	s_and_saveexec_b32 s0, s23
	s_cbranch_execz .LBB224_949
; %bb.948:
	v_and_b32_e32 v0, 0xffff, v6
	v_lshlrev_b32_e32 v6, 24, v6
	s_delay_alu instid0(VALU_DEP_2) | instskip(NEXT) | instid1(VALU_DEP_1)
	v_and_b32_e32 v1, 3, v0
	v_clz_i32_u32_e32 v2, v1
	s_delay_alu instid0(VALU_DEP_1) | instskip(NEXT) | instid1(VALU_DEP_1)
	v_min_u32_e32 v2, 32, v2
	v_subrev_nc_u32_e32 v3, 29, v2
	v_sub_nc_u32_e32 v2, 30, v2
	s_delay_alu instid0(VALU_DEP_2) | instskip(SKIP_1) | instid1(VALU_DEP_2)
	v_lshlrev_b32_e32 v3, v3, v0
	v_bfe_u32 v0, v0, 2, 5
	v_and_b32_e32 v3, 3, v3
	s_delay_alu instid0(VALU_DEP_2) | instskip(NEXT) | instid1(VALU_DEP_2)
	v_cmp_eq_u32_e32 vcc_lo, 0, v0
	v_dual_cndmask_b32 v0, v0, v2 :: v_dual_cndmask_b32 v1, v1, v3
	v_and_b32_e32 v2, 0x80000000, v6
	s_delay_alu instid0(VALU_DEP_2) | instskip(NEXT) | instid1(VALU_DEP_3)
	v_lshl_add_u32 v0, v0, 23, 0x37800000
	v_lshlrev_b32_e32 v1, 21, v1
	s_delay_alu instid0(VALU_DEP_1) | instskip(SKIP_2) | instid1(VALU_DEP_3)
	v_or3_b32 v0, v2, v0, v1
	v_mov_b32_e32 v2, 0
	v_mov_b32_e32 v3, 0
	v_cvt_f64_f32_e32 v[0:1], v0
.LBB224_949:
	s_or_b32 exec_lo, exec_lo, s0
	s_mov_b32 s0, 0
	s_branch .LBB224_953
.LBB224_950:
	s_mov_b32 s0, -1
                                        ; implicit-def: $vgpr2_vgpr3
	s_branch .LBB224_959
.LBB224_951:
	s_mov_b32 s0, -1
                                        ; implicit-def: $vgpr2_vgpr3
	s_branch .LBB224_956
.LBB224_952:
	s_mov_b32 s0, -1
                                        ; implicit-def: $vgpr2_vgpr3
.LBB224_953:
	s_delay_alu instid0(SALU_CYCLE_1)
	s_and_b32 vcc_lo, exec_lo, s0
	s_cbranch_vccz .LBB224_955
; %bb.954:
	global_load_u8 v0, v[4:5], off
	s_waitcnt vmcnt(0)
	v_lshlrev_b32_e32 v0, 24, v0
	s_delay_alu instid0(VALU_DEP_1) | instskip(NEXT) | instid1(VALU_DEP_1)
	v_and_b32_e32 v1, 0x7f000000, v0
	v_clz_i32_u32_e32 v2, v1
	v_add_nc_u32_e32 v6, 0x1000000, v1
	v_cmp_ne_u32_e32 vcc_lo, 0, v1
	s_delay_alu instid0(VALU_DEP_3) | instskip(NEXT) | instid1(VALU_DEP_1)
	v_min_u32_e32 v2, 32, v2
	v_sub_nc_u32_e64 v2, v2, 4 clamp
	s_delay_alu instid0(VALU_DEP_1) | instskip(SKIP_1) | instid1(VALU_DEP_2)
	v_lshlrev_b32_e32 v3, v2, v1
	v_lshlrev_b32_e32 v2, 23, v2
	v_lshrrev_b32_e32 v3, 4, v3
	s_delay_alu instid0(VALU_DEP_1) | instskip(SKIP_1) | instid1(VALU_DEP_2)
	v_sub_nc_u32_e32 v2, v3, v2
	v_ashrrev_i32_e32 v3, 8, v6
	v_add_nc_u32_e32 v2, 0x3c000000, v2
	s_delay_alu instid0(VALU_DEP_1) | instskip(NEXT) | instid1(VALU_DEP_1)
	v_and_or_b32 v2, 0x7f800000, v3, v2
	v_dual_cndmask_b32 v1, 0, v2 :: v_dual_mov_b32 v2, 0
	v_mov_b32_e32 v3, 0
	s_delay_alu instid0(VALU_DEP_2) | instskip(NEXT) | instid1(VALU_DEP_1)
	v_and_or_b32 v0, 0x80000000, v0, v1
	v_cvt_f64_f32_e32 v[0:1], v0
.LBB224_955:
	s_mov_b32 s0, 0
.LBB224_956:
	s_delay_alu instid0(SALU_CYCLE_1)
	s_and_not1_b32 vcc_lo, exec_lo, s0
	s_cbranch_vccnz .LBB224_958
; %bb.957:
	global_load_u8 v0, v[4:5], off
	s_waitcnt vmcnt(0)
	v_lshlrev_b32_e32 v1, 25, v0
	v_lshlrev_b16 v0, 8, v0
	s_delay_alu instid0(VALU_DEP_2) | instskip(NEXT) | instid1(VALU_DEP_2)
	v_lshrrev_b32_e32 v2, 4, v1
	v_and_or_b32 v3, 0x7f00, v0, 0.5
	v_bfe_i32 v0, v0, 0, 16
	s_delay_alu instid0(VALU_DEP_3) | instskip(NEXT) | instid1(VALU_DEP_1)
	v_or_b32_e32 v2, 0x70000000, v2
	v_dual_add_f32 v3, -0.5, v3 :: v_dual_mul_f32 v2, 0x7800000, v2
	v_cmp_gt_u32_e32 vcc_lo, 0x8000000, v1
	s_delay_alu instid0(VALU_DEP_2) | instskip(SKIP_1) | instid1(VALU_DEP_2)
	v_dual_cndmask_b32 v1, v2, v3 :: v_dual_mov_b32 v2, 0
	v_mov_b32_e32 v3, 0
	v_and_or_b32 v0, 0x80000000, v0, v1
	s_delay_alu instid0(VALU_DEP_1)
	v_cvt_f64_f32_e32 v[0:1], v0
.LBB224_958:
	s_mov_b32 s0, 0
	s_mov_b32 s8, -1
.LBB224_959:
	s_and_not1_b32 vcc_lo, exec_lo, s0
	s_mov_b32 s23, 0
	s_cbranch_vccnz .LBB224_969
; %bb.960:
	v_cmp_lt_i16_e32 vcc_lo, 14, v22
	s_cbranch_vccz .LBB224_963
; %bb.961:
	v_cmp_eq_u16_e32 vcc_lo, 15, v22
	s_cbranch_vccz .LBB224_964
; %bb.962:
	global_load_u16 v0, v[4:5], off
	s_mov_b32 s22, 0
	s_mov_b32 s8, -1
	s_mov_b64 s[0:1], 0
	s_waitcnt vmcnt(0)
	v_lshlrev_b32_e32 v0, 16, v0
	s_delay_alu instid0(VALU_DEP_1)
	v_cvt_f64_f32_e32 v[0:1], v0
	s_branch .LBB224_965
.LBB224_963:
	s_mov_b32 s9, -1
                                        ; implicit-def: $sgpr0_sgpr1
                                        ; implicit-def: $vgpr0_vgpr1
	s_branch .LBB224_966
.LBB224_964:
	s_mov_b32 s22, -1
                                        ; implicit-def: $sgpr0_sgpr1
                                        ; implicit-def: $vgpr0_vgpr1
.LBB224_965:
	s_mov_b32 s9, 0
.LBB224_966:
	s_delay_alu instid0(SALU_CYCLE_1)
	s_and_b32 vcc_lo, exec_lo, s9
	s_cbranch_vccz .LBB224_968
; %bb.967:
	v_cmp_ne_u16_e32 vcc_lo, 11, v22
	s_and_not1_b32 s0, s22, exec_lo
	s_mov_b32 s23, -1
                                        ; implicit-def: $vgpr0_vgpr1
	s_and_b32 s1, vcc_lo, exec_lo
	s_delay_alu instid0(SALU_CYCLE_1)
	s_or_b32 s22, s0, s1
                                        ; implicit-def: $sgpr0_sgpr1
.LBB224_968:
	v_dual_mov_b32 v3, s1 :: v_dual_mov_b32 v2, s0
.LBB224_969:
	s_mov_b32 s0, 0
.LBB224_970:
	s_and_not1_b32 s9, s20, exec_lo
	s_and_b32 s22, s22, exec_lo
	s_and_b32 s8, s8, exec_lo
	;; [unrolled: 1-line block ×4, first 2 shown]
	s_or_b32 s9, s9, s22
.LBB224_971:
	s_or_b32 exec_lo, exec_lo, s13
	s_delay_alu instid0(SALU_CYCLE_1)
	s_and_not1_b32 s13, s20, exec_lo
	s_and_b32 s9, s9, exec_lo
	s_and_b32 s8, s8, exec_lo
	;; [unrolled: 1-line block ×4, first 2 shown]
	s_or_b32 s20, s13, s9
.LBB224_972:
	s_or_b32 exec_lo, exec_lo, s19
	s_delay_alu instid0(SALU_CYCLE_1)
	s_and_not1_b32 s9, s17, exec_lo
	s_and_b32 s13, s21, exec_lo
	s_and_b32 s8, s8, exec_lo
	s_or_b32 s17, s9, s13
	s_and_not1_b32 s9, s16, exec_lo
	s_and_b32 s13, s20, exec_lo
	s_and_b32 s0, s0, exec_lo
	;; [unrolled: 1-line block ×3, first 2 shown]
	s_or_b32 s16, s9, s13
.LBB224_973:
	s_or_b32 exec_lo, exec_lo, s18
	s_delay_alu instid0(SALU_CYCLE_1)
	s_and_not1_b32 s9, s12, exec_lo
	s_and_b32 s12, s17, exec_lo
	s_and_b32 s17, s8, exec_lo
	s_or_b32 s12, s9, s12
	s_and_not1_b32 s8, s14, exec_lo
	s_and_b32 s9, s16, exec_lo
	s_and_b32 s0, s0, exec_lo
	;; [unrolled: 1-line block ×3, first 2 shown]
	s_or_b32 s14, s8, s9
.LBB224_974:
	s_or_b32 exec_lo, exec_lo, s15
	s_mov_b32 s8, 0
	s_and_saveexec_b32 s1, s14
	s_cbranch_execnz .LBB224_986
; %bb.975:
	s_or_b32 exec_lo, exec_lo, s1
	s_and_saveexec_b32 s1, s16
	s_delay_alu instid0(SALU_CYCLE_1)
	s_xor_b32 s1, exec_lo, s1
	s_cbranch_execz .LBB224_977
.LBB224_976:
	global_load_u8 v0, v[4:5], off
	s_waitcnt vmcnt(1)
	v_mov_b32_e32 v2, 0
	v_mov_b32_e32 v3, 0
	s_or_b32 s17, s17, exec_lo
	s_waitcnt vmcnt(0)
	v_cmp_ne_u16_e32 vcc_lo, 0, v0
	v_mov_b32_e32 v0, 0
	v_cndmask_b32_e64 v1, 0, 0x3ff00000, vcc_lo
.LBB224_977:
	s_or_b32 exec_lo, exec_lo, s1
	s_and_saveexec_b32 s9, s0
	s_cbranch_execz .LBB224_1027
; %bb.978:
	v_cmp_gt_i16_e32 vcc_lo, 5, v22
	s_cbranch_vccnz .LBB224_983
; %bb.979:
	v_cmp_gt_i16_e32 vcc_lo, 8, v22
	s_cbranch_vccnz .LBB224_984
	;; [unrolled: 3-line block ×3, first 2 shown]
; %bb.981:
	v_cmp_lt_i16_e32 vcc_lo, 9, v22
	s_cbranch_vccz .LBB224_988
; %bb.982:
	global_load_b128 v[0:3], v[4:5], off
	s_mov_b32 s0, 0
	s_branch .LBB224_989
.LBB224_983:
                                        ; implicit-def: $vgpr2_vgpr3
	s_branch .LBB224_1007
.LBB224_984:
                                        ; implicit-def: $vgpr2_vgpr3
	s_branch .LBB224_995
.LBB224_985:
	s_mov_b32 s0, -1
                                        ; implicit-def: $vgpr2_vgpr3
	s_branch .LBB224_992
.LBB224_986:
	s_cbranch_execnz .LBB224_1068
; %bb.987:
	s_mov_b32 s8, exec_lo
	s_and_not1_b32 s16, s16, exec_lo
                                        ; implicit-def: $vgpr2_vgpr3
	s_or_b32 exec_lo, exec_lo, s1
	s_and_saveexec_b32 s1, s16
	s_delay_alu instid0(SALU_CYCLE_1)
	s_xor_b32 s1, exec_lo, s1
	s_cbranch_execnz .LBB224_976
	s_branch .LBB224_977
.LBB224_988:
	s_mov_b32 s0, -1
                                        ; implicit-def: $vgpr2_vgpr3
.LBB224_989:
	s_delay_alu instid0(SALU_CYCLE_1)
	s_and_not1_b32 vcc_lo, exec_lo, s0
	s_cbranch_vccnz .LBB224_991
; %bb.990:
	global_load_b64 v[1:2], v[4:5], off
	s_waitcnt vmcnt(0)
	v_cvt_f64_f32_e32 v[0:1], v1
	v_cvt_f64_f32_e32 v[2:3], v2
.LBB224_991:
	s_mov_b32 s0, 0
.LBB224_992:
	s_delay_alu instid0(SALU_CYCLE_1)
	s_and_not1_b32 vcc_lo, exec_lo, s0
	s_cbranch_vccnz .LBB224_994
; %bb.993:
	global_load_b32 v0, v[4:5], off
	s_waitcnt vmcnt(0)
	v_lshrrev_b32_e32 v1, 16, v0
	v_cvt_f32_f16_e32 v0, v0
	s_delay_alu instid0(VALU_DEP_2) | instskip(NEXT) | instid1(VALU_DEP_2)
	v_cvt_f32_f16_e32 v2, v1
	v_cvt_f64_f32_e32 v[0:1], v0
	s_delay_alu instid0(VALU_DEP_2)
	v_cvt_f64_f32_e32 v[2:3], v2
.LBB224_994:
	s_cbranch_execnz .LBB224_1006
.LBB224_995:
	v_cmp_gt_i16_e32 vcc_lo, 6, v22
	s_cbranch_vccnz .LBB224_998
; %bb.996:
	v_cmp_lt_i16_e32 vcc_lo, 6, v22
	s_cbranch_vccz .LBB224_999
; %bb.997:
	global_load_b64 v[0:1], v[4:5], off
	s_mov_b32 s13, 0
	s_mov_b64 s[0:1], 0
	s_branch .LBB224_1000
.LBB224_998:
	s_mov_b32 s13, -1
                                        ; implicit-def: $sgpr0_sgpr1
                                        ; implicit-def: $vgpr0_vgpr1
	s_branch .LBB224_1003
.LBB224_999:
	s_mov_b32 s13, -1
                                        ; implicit-def: $sgpr0_sgpr1
                                        ; implicit-def: $vgpr0_vgpr1
.LBB224_1000:
	s_delay_alu instid0(SALU_CYCLE_1)
	s_and_not1_b32 vcc_lo, exec_lo, s13
	s_cbranch_vccnz .LBB224_1002
; %bb.1001:
	global_load_b32 v0, v[4:5], off
	s_mov_b64 s[0:1], 0
	s_waitcnt vmcnt(0)
	v_cvt_f64_f32_e32 v[0:1], v0
.LBB224_1002:
	s_mov_b32 s13, 0
.LBB224_1003:
	s_delay_alu instid0(SALU_CYCLE_1)
	s_and_not1_b32 vcc_lo, exec_lo, s13
	s_cbranch_vccnz .LBB224_1005
; %bb.1004:
	global_load_u16 v0, v[4:5], off
	s_mov_b64 s[0:1], 0
	s_waitcnt vmcnt(0)
	v_cvt_f32_f16_e32 v0, v0
	s_delay_alu instid0(VALU_DEP_1)
	v_cvt_f64_f32_e32 v[0:1], v0
.LBB224_1005:
	s_waitcnt vmcnt(0)
	v_dual_mov_b32 v3, s1 :: v_dual_mov_b32 v2, s0
.LBB224_1006:
	s_cbranch_execnz .LBB224_1026
.LBB224_1007:
	v_cmp_gt_i16_e32 vcc_lo, 2, v22
	s_cbranch_vccnz .LBB224_1011
; %bb.1008:
	v_cmp_gt_i16_e32 vcc_lo, 3, v22
	s_cbranch_vccnz .LBB224_1012
; %bb.1009:
	v_cmp_lt_i16_e32 vcc_lo, 3, v22
	s_cbranch_vccz .LBB224_1013
; %bb.1010:
	global_load_b64 v[0:1], v[4:5], off
	s_mov_b32 s13, 0
	s_mov_b64 s[0:1], 0
	s_waitcnt vmcnt(0)
	v_cvt_f64_i32_e32 v[1:2], v1
	v_cvt_f64_u32_e32 v[6:7], v0
	s_delay_alu instid0(VALU_DEP_2) | instskip(NEXT) | instid1(VALU_DEP_1)
	v_ldexp_f64 v[1:2], v[1:2], 32
	v_add_f64 v[0:1], v[1:2], v[6:7]
	s_branch .LBB224_1014
.LBB224_1011:
                                        ; implicit-def: $sgpr0_sgpr1
                                        ; implicit-def: $vgpr0_vgpr1
	s_branch .LBB224_1020
.LBB224_1012:
	s_mov_b32 s13, -1
                                        ; implicit-def: $sgpr0_sgpr1
                                        ; implicit-def: $vgpr0_vgpr1
	s_branch .LBB224_1017
.LBB224_1013:
	s_mov_b32 s13, -1
                                        ; implicit-def: $sgpr0_sgpr1
                                        ; implicit-def: $vgpr0_vgpr1
.LBB224_1014:
	s_delay_alu instid0(SALU_CYCLE_1)
	s_and_not1_b32 vcc_lo, exec_lo, s13
	s_cbranch_vccnz .LBB224_1016
; %bb.1015:
	global_load_b32 v0, v[4:5], off
	s_mov_b64 s[0:1], 0
	s_waitcnt vmcnt(0)
	v_cvt_f64_i32_e32 v[0:1], v0
.LBB224_1016:
	s_mov_b32 s13, 0
.LBB224_1017:
	s_delay_alu instid0(SALU_CYCLE_1)
	s_and_not1_b32 vcc_lo, exec_lo, s13
	s_cbranch_vccnz .LBB224_1019
; %bb.1018:
	global_load_i16 v0, v[4:5], off
	s_mov_b64 s[0:1], 0
	s_waitcnt vmcnt(0)
	v_cvt_f64_i32_e32 v[0:1], v0
.LBB224_1019:
	s_cbranch_execnz .LBB224_1025
.LBB224_1020:
	v_cmp_lt_i16_e32 vcc_lo, 0, v22
	s_mov_b32 s13, 0
	s_cbranch_vccz .LBB224_1022
; %bb.1021:
	global_load_i8 v0, v[4:5], off
	s_mov_b64 s[0:1], 0
	s_waitcnt vmcnt(0)
	v_cvt_f64_i32_e32 v[0:1], v0
	s_branch .LBB224_1023
.LBB224_1022:
	s_mov_b32 s13, -1
                                        ; implicit-def: $sgpr0_sgpr1
                                        ; implicit-def: $vgpr0_vgpr1
.LBB224_1023:
	s_delay_alu instid0(SALU_CYCLE_1)
	s_and_not1_b32 vcc_lo, exec_lo, s13
	s_cbranch_vccnz .LBB224_1025
; %bb.1024:
	global_load_u8 v0, v[4:5], off
	s_mov_b64 s[0:1], 0
	s_waitcnt vmcnt(0)
	v_cvt_f64_u32_e32 v[0:1], v0
.LBB224_1025:
	s_waitcnt vmcnt(0)
	v_dual_mov_b32 v3, s1 :: v_dual_mov_b32 v2, s0
.LBB224_1026:
	s_or_b32 s17, s17, exec_lo
.LBB224_1027:
	s_or_b32 exec_lo, exec_lo, s9
	s_mov_b32 s0, 0
	s_mov_b32 s1, 0
                                        ; implicit-def: $vgpr10
                                        ; implicit-def: $vgpr8_vgpr9
                                        ; implicit-def: $vgpr4_vgpr5
	s_and_saveexec_b32 s9, s17
	s_cbranch_execz .LBB224_1139
; %bb.1028:
	s_waitcnt vmcnt(0)
	s_delay_alu instid0(VALU_DEP_1) | instskip(NEXT) | instid1(VALU_DEP_2)
	v_cmp_neq_f64_e32 vcc_lo, 0, v[0:1]
	v_cmp_neq_f64_e64 s0, 0, v[2:3]
	v_mov_b32_e32 v4, 0
	v_mov_b32_e32 v5, 0
	s_delay_alu instid0(VALU_DEP_3) | instskip(NEXT) | instid1(SALU_CYCLE_1)
	s_or_b32 s0, vcc_lo, s0
	s_and_saveexec_b32 s13, s0
	s_cbranch_execz .LBB224_1060
; %bb.1029:
	s_mov_b32 s0, 0
	s_mov_b32 s1, 0x7ff00000
	v_mov_b32_e32 v4, s0
	v_mov_b32_e32 v5, s1
	s_mov_b32 s14, exec_lo
	v_cmpx_neq_f64_e64 0x7ff00000, |v[2:3]|
	s_cbranch_execz .LBB224_1059
; %bb.1030:
	s_mov_b32 s0, exec_lo
	v_cmpx_o_f64_e32 v[0:1], v[0:1]
	s_xor_b32 s15, exec_lo, s0
	s_cbranch_execz .LBB224_1056
; %bb.1031:
	s_mov_b32 s1, exec_lo
	v_cmpx_neq_f64_e64 0x7ff00000, |v[0:1]|
	s_xor_b32 s16, exec_lo, s1
	s_cbranch_execz .LBB224_1049
; %bb.1032:
	v_max_f64 v[4:5], |v[2:3]|, |v[2:3]|
	v_max_f64 v[6:7], |v[0:1]|, |v[0:1]|
	s_mov_b32 s0, 0x99fcef32
	s_mov_b32 s1, 0x7fda8279
                                        ; implicit-def: $sgpr17
	s_delay_alu instid0(VALU_DEP_1) | instskip(NEXT) | instid1(VALU_DEP_1)
	v_max_f64 v[4:5], v[6:7], v[4:5]
	v_cmp_nle_f64_e64 s0, s[0:1], v[4:5]
	s_delay_alu instid0(VALU_DEP_1) | instskip(NEXT) | instid1(SALU_CYCLE_1)
	s_and_saveexec_b32 s1, s0
	s_xor_b32 s1, exec_lo, s1
	s_cbranch_execz .LBB224_1036
; %bb.1033:
	v_cmp_ge_f64_e64 s17, 0x200000, |v[0:1]|
	v_cmp_ge_f64_e64 s18, 0x200000, |v[2:3]|
	s_delay_alu instid0(VALU_DEP_1)
	s_and_b32 s19, s17, s18
	s_mov_b32 s17, 0
	s_and_saveexec_b32 s18, s19
; %bb.1034:
	v_mul_f64 v[0:1], v[0:1], 4.0
	v_mul_f64 v[2:3], v[2:3], 4.0
	s_mov_b32 s17, exec_lo
; %bb.1035:
	s_or_b32 exec_lo, exec_lo, s18
	s_delay_alu instid0(SALU_CYCLE_1)
	s_and_b32 s17, s17, exec_lo
.LBB224_1036:
	s_and_not1_saveexec_b32 s1, s1
; %bb.1037:
	s_delay_alu instid0(VALU_DEP_2) | instskip(NEXT) | instid1(VALU_DEP_2)
	v_ldexp_f64 v[0:1], v[0:1], -2
	v_ldexp_f64 v[2:3], v[2:3], -2
	s_and_not1_b32 s17, s17, exec_lo
; %bb.1038:
	s_or_b32 exec_lo, exec_lo, s1
	s_delay_alu instid0(VALU_DEP_1) | instskip(NEXT) | instid1(VALU_DEP_3)
	v_max_f64 v[4:5], |v[2:3]|, |v[2:3]|
	v_max_f64 v[6:7], |v[0:1]|, |v[0:1]|
	v_cmp_class_f64_e64 s18, v[0:1], 0x204
	v_cmp_class_f64_e64 s19, v[2:3], 0x204
	v_cmp_le_f64_e64 s1, 0, v[0:1]
	s_delay_alu instid0(VALU_DEP_4) | instskip(NEXT) | instid1(VALU_DEP_3)
	v_max_f64 v[4:5], v[6:7], v[4:5]
	s_or_b32 s18, s19, s18
	s_delay_alu instid0(VALU_DEP_1) | instskip(NEXT) | instid1(VALU_DEP_1)
	v_frexp_exp_i32_f64_e32 v12, v[4:5]
	v_sub_nc_u32_e32 v6, 0, v12
	s_delay_alu instid0(VALU_DEP_1) | instskip(SKIP_1) | instid1(VALU_DEP_2)
	v_ldexp_f64 v[4:5], |v[2:3]|, v6
	v_ldexp_f64 v[6:7], |v[0:1]|, v6
	v_mul_f64 v[4:5], v[4:5], v[4:5]
	s_delay_alu instid0(VALU_DEP_1) | instskip(NEXT) | instid1(VALU_DEP_1)
	v_fma_f64 v[4:5], v[6:7], v[6:7], v[4:5]
	v_rsq_f64_e32 v[6:7], v[4:5]
	v_cmp_eq_f64_e32 vcc_lo, 0, v[4:5]
	s_waitcnt_depctr 0xfff
	v_mul_f64 v[8:9], v[4:5], v[6:7]
	v_mul_f64 v[6:7], v[6:7], 0.5
	s_delay_alu instid0(VALU_DEP_1) | instskip(NEXT) | instid1(VALU_DEP_1)
	v_fma_f64 v[10:11], -v[6:7], v[8:9], 0.5
	v_fma_f64 v[8:9], v[8:9], v[10:11], v[8:9]
	v_fma_f64 v[6:7], v[6:7], v[10:11], v[6:7]
	s_delay_alu instid0(VALU_DEP_2) | instskip(NEXT) | instid1(VALU_DEP_1)
	v_fma_f64 v[10:11], -v[8:9], v[8:9], v[4:5]
	v_fma_f64 v[6:7], v[10:11], v[6:7], v[8:9]
	s_delay_alu instid0(VALU_DEP_1) | instskip(SKIP_1) | instid1(VALU_DEP_2)
	v_dual_cndmask_b32 v5, v7, v5 :: v_dual_cndmask_b32 v4, v6, v4
	v_cmp_o_f64_e32 vcc_lo, v[2:3], v[2:3]
	v_ldexp_f64 v[4:5], v[4:5], v12
	s_delay_alu instid0(VALU_DEP_1) | instskip(NEXT) | instid1(VALU_DEP_2)
	v_cndmask_b32_e32 v4, 0, v4, vcc_lo
	v_cndmask_b32_e32 v5, 0x7ff80000, v5, vcc_lo
	s_delay_alu instid0(VALU_DEP_2) | instskip(NEXT) | instid1(VALU_DEP_2)
	v_cndmask_b32_e64 v4, v4, 0, s18
	v_cndmask_b32_e64 v5, v5, 0x7ff00000, s18
	s_and_saveexec_b32 s18, s1
	s_delay_alu instid0(SALU_CYCLE_1)
	s_xor_b32 s1, exec_lo, s18
	s_cbranch_execz .LBB224_1044
; %bb.1039:
	s_delay_alu instid0(VALU_DEP_1) | instskip(NEXT) | instid1(VALU_DEP_1)
	v_add_f64 v[0:1], v[0:1], v[4:5]
	v_mul_f64 v[0:1], v[0:1], 0.5
	s_delay_alu instid0(VALU_DEP_1) | instskip(SKIP_1) | instid1(VALU_DEP_1)
	v_cmp_gt_f64_e32 vcc_lo, 0x10000000, v[0:1]
	v_cndmask_b32_e64 v4, 0, 1, vcc_lo
	v_lshlrev_b32_e32 v4, 8, v4
	s_delay_alu instid0(VALU_DEP_1) | instskip(NEXT) | instid1(VALU_DEP_1)
	v_ldexp_f64 v[0:1], v[0:1], v4
	v_rsq_f64_e32 v[4:5], v[0:1]
	s_waitcnt_depctr 0xfff
	v_mul_f64 v[6:7], v[0:1], v[4:5]
	v_mul_f64 v[4:5], v[4:5], 0.5
	s_delay_alu instid0(VALU_DEP_1) | instskip(NEXT) | instid1(VALU_DEP_1)
	v_fma_f64 v[8:9], -v[4:5], v[6:7], 0.5
	v_fma_f64 v[6:7], v[6:7], v[8:9], v[6:7]
	v_fma_f64 v[4:5], v[4:5], v[8:9], v[4:5]
	s_delay_alu instid0(VALU_DEP_2) | instskip(NEXT) | instid1(VALU_DEP_1)
	v_fma_f64 v[8:9], -v[6:7], v[6:7], v[0:1]
	v_fma_f64 v[6:7], v[8:9], v[4:5], v[6:7]
	s_delay_alu instid0(VALU_DEP_1) | instskip(NEXT) | instid1(VALU_DEP_1)
	v_fma_f64 v[8:9], -v[6:7], v[6:7], v[0:1]
	v_fma_f64 v[4:5], v[8:9], v[4:5], v[6:7]
	v_cndmask_b32_e64 v6, 0, 0xffffff80, vcc_lo
	v_cmp_class_f64_e64 vcc_lo, v[0:1], 0x260
	s_delay_alu instid0(VALU_DEP_2) | instskip(NEXT) | instid1(VALU_DEP_1)
	v_ldexp_f64 v[4:5], v[4:5], v6
	v_dual_cndmask_b32 v1, v5, v1 :: v_dual_cndmask_b32 v0, v4, v0
	s_delay_alu instid0(VALU_DEP_1) | instskip(NEXT) | instid1(VALU_DEP_1)
	v_add_f64 v[4:5], v[0:1], v[0:1]
	v_div_scale_f64 v[6:7], null, v[4:5], v[4:5], v[2:3]
	s_delay_alu instid0(VALU_DEP_1) | instskip(SKIP_2) | instid1(VALU_DEP_1)
	v_rcp_f64_e32 v[8:9], v[6:7]
	s_waitcnt_depctr 0xfff
	v_fma_f64 v[10:11], -v[6:7], v[8:9], 1.0
	v_fma_f64 v[8:9], v[8:9], v[10:11], v[8:9]
	s_delay_alu instid0(VALU_DEP_1) | instskip(NEXT) | instid1(VALU_DEP_1)
	v_fma_f64 v[10:11], -v[6:7], v[8:9], 1.0
	v_fma_f64 v[8:9], v[8:9], v[10:11], v[8:9]
	v_div_scale_f64 v[10:11], vcc_lo, v[2:3], v[4:5], v[2:3]
	s_delay_alu instid0(VALU_DEP_1) | instskip(NEXT) | instid1(VALU_DEP_1)
	v_mul_f64 v[12:13], v[10:11], v[8:9]
	v_fma_f64 v[6:7], -v[6:7], v[12:13], v[10:11]
	s_delay_alu instid0(VALU_DEP_1) | instskip(NEXT) | instid1(VALU_DEP_1)
	v_div_fmas_f64 v[6:7], v[6:7], v[8:9], v[12:13]
	v_div_fixup_f64 v[2:3], v[6:7], v[4:5], v[2:3]
                                        ; implicit-def: $vgpr4_vgpr5
	s_and_not1_saveexec_b32 s1, s1
	s_cbranch_execnz .LBB224_1045
.LBB224_1040:
	s_or_b32 exec_lo, exec_lo, s1
	s_and_saveexec_b32 s1, s0
	s_delay_alu instid0(SALU_CYCLE_1)
	s_xor_b32 s0, exec_lo, s1
	s_cbranch_execz .LBB224_1046
.LBB224_1041:
	s_and_saveexec_b32 s1, s17
; %bb.1042:
	s_delay_alu instid0(VALU_DEP_2) | instskip(NEXT) | instid1(VALU_DEP_2)
	v_mul_f64 v[0:1], v[0:1], 0.5
	v_mul_f64 v[2:3], v[2:3], 0.5
; %bb.1043:
	s_or_b32 exec_lo, exec_lo, s1
	s_and_not1_saveexec_b32 s0, s0
	s_cbranch_execnz .LBB224_1047
	s_branch .LBB224_1048
.LBB224_1044:
	s_and_not1_saveexec_b32 s1, s1
	s_cbranch_execz .LBB224_1040
.LBB224_1045:
	v_add_f64 v[0:1], v[4:5], -v[0:1]
	s_delay_alu instid0(VALU_DEP_1) | instskip(NEXT) | instid1(VALU_DEP_1)
	v_mul_f64 v[0:1], v[0:1], 0.5
	v_cmp_gt_f64_e32 vcc_lo, 0x10000000, v[0:1]
	v_cndmask_b32_e64 v4, 0, 1, vcc_lo
	s_delay_alu instid0(VALU_DEP_1) | instskip(NEXT) | instid1(VALU_DEP_1)
	v_lshlrev_b32_e32 v4, 8, v4
	v_ldexp_f64 v[0:1], v[0:1], v4
	s_delay_alu instid0(VALU_DEP_1) | instskip(SKIP_3) | instid1(VALU_DEP_1)
	v_rsq_f64_e32 v[4:5], v[0:1]
	s_waitcnt_depctr 0xfff
	v_mul_f64 v[6:7], v[0:1], v[4:5]
	v_mul_f64 v[4:5], v[4:5], 0.5
	v_fma_f64 v[8:9], -v[4:5], v[6:7], 0.5
	s_delay_alu instid0(VALU_DEP_1) | instskip(SKIP_1) | instid1(VALU_DEP_2)
	v_fma_f64 v[6:7], v[6:7], v[8:9], v[6:7]
	v_fma_f64 v[4:5], v[4:5], v[8:9], v[4:5]
	v_fma_f64 v[8:9], -v[6:7], v[6:7], v[0:1]
	s_delay_alu instid0(VALU_DEP_1) | instskip(NEXT) | instid1(VALU_DEP_1)
	v_fma_f64 v[6:7], v[8:9], v[4:5], v[6:7]
	v_fma_f64 v[8:9], -v[6:7], v[6:7], v[0:1]
	s_delay_alu instid0(VALU_DEP_1) | instskip(SKIP_3) | instid1(VALU_DEP_3)
	v_fma_f64 v[4:5], v[8:9], v[4:5], v[6:7]
	v_cndmask_b32_e64 v6, 0, 0xffffff80, vcc_lo
	v_cmp_class_f64_e64 vcc_lo, v[0:1], 0x260
	v_and_b32_e32 v7, 0x7fffffff, v3
	v_ldexp_f64 v[4:5], v[4:5], v6
	s_delay_alu instid0(VALU_DEP_1) | instskip(NEXT) | instid1(VALU_DEP_1)
	v_dual_cndmask_b32 v5, v5, v1 :: v_dual_cndmask_b32 v4, v4, v0
	v_add_f64 v[0:1], v[4:5], v[4:5]
	v_bfi_b32 v5, 0x7fffffff, v5, v3
	v_mov_b32_e32 v6, v2
	s_delay_alu instid0(VALU_DEP_1) | instskip(SKIP_1) | instid1(VALU_DEP_2)
	v_div_scale_f64 v[8:9], null, v[0:1], v[0:1], v[6:7]
	v_div_scale_f64 v[6:7], vcc_lo, v[6:7], v[0:1], v[6:7]
	v_rcp_f64_e32 v[10:11], v[8:9]
	s_waitcnt_depctr 0xfff
	v_fma_f64 v[12:13], -v[8:9], v[10:11], 1.0
	s_delay_alu instid0(VALU_DEP_1) | instskip(NEXT) | instid1(VALU_DEP_1)
	v_fma_f64 v[10:11], v[10:11], v[12:13], v[10:11]
	v_fma_f64 v[12:13], -v[8:9], v[10:11], 1.0
	s_delay_alu instid0(VALU_DEP_1) | instskip(NEXT) | instid1(VALU_DEP_1)
	v_fma_f64 v[10:11], v[10:11], v[12:13], v[10:11]
	v_mul_f64 v[12:13], v[6:7], v[10:11]
	s_delay_alu instid0(VALU_DEP_1) | instskip(NEXT) | instid1(VALU_DEP_1)
	v_fma_f64 v[6:7], -v[8:9], v[12:13], v[6:7]
	v_div_fmas_f64 v[6:7], v[6:7], v[10:11], v[12:13]
	s_delay_alu instid0(VALU_DEP_1) | instskip(SKIP_3) | instid1(SALU_CYCLE_1)
	v_div_fixup_f64 v[0:1], v[6:7], v[0:1], |v[2:3]|
	v_dual_mov_b32 v2, v4 :: v_dual_mov_b32 v3, v5
	s_or_b32 exec_lo, exec_lo, s1
	s_and_saveexec_b32 s1, s0
	s_xor_b32 s0, exec_lo, s1
	s_cbranch_execnz .LBB224_1041
.LBB224_1046:
	s_and_not1_saveexec_b32 s0, s0
.LBB224_1047:
	s_delay_alu instid0(VALU_DEP_2) | instskip(NEXT) | instid1(VALU_DEP_2)
	v_add_f64 v[0:1], v[0:1], v[0:1]
	v_add_f64 v[2:3], v[2:3], v[2:3]
.LBB224_1048:
	s_or_b32 exec_lo, exec_lo, s0
.LBB224_1049:
	s_and_not1_saveexec_b32 s0, s16
	s_cbranch_execz .LBB224_1055
; %bb.1050:
	s_delay_alu instid0(VALU_DEP_1) | instskip(SKIP_1) | instid1(VALU_DEP_3)
	v_add_f64 v[4:5], v[2:3], -v[2:3]
	s_mov_b32 s1, exec_lo
	v_cmpx_lt_i64_e32 -1, v[0:1]
	s_xor_b32 s1, exec_lo, s1
; %bb.1051:
	s_delay_alu instid0(VALU_DEP_2) | instskip(NEXT) | instid1(VALU_DEP_1)
	v_bfi_b32 v5, 0x7fffffff, v5, v3
	v_dual_mov_b32 v2, v4 :: v_dual_mov_b32 v3, v5
                                        ; implicit-def: $vgpr4_vgpr5
; %bb.1052:
	s_and_not1_saveexec_b32 s1, s1
; %bb.1053:
	s_delay_alu instid0(VALU_DEP_1) | instskip(SKIP_1) | instid1(VALU_DEP_2)
	v_bfi_b32 v1, 0x7fffffff, v1, v3
	v_and_b32_e32 v5, 0x7fffffff, v5
	v_dual_mov_b32 v3, v1 :: v_dual_mov_b32 v2, v0
	s_delay_alu instid0(VALU_DEP_2)
	v_dual_mov_b32 v0, v4 :: v_dual_mov_b32 v1, v5
; %bb.1054:
	s_or_b32 exec_lo, exec_lo, s1
.LBB224_1055:
	s_delay_alu instid0(SALU_CYCLE_1)
	s_or_b32 exec_lo, exec_lo, s0
.LBB224_1056:
	s_and_not1_saveexec_b32 s0, s15
; %bb.1057:
	s_delay_alu instid0(VALU_DEP_1) | instskip(NEXT) | instid1(VALU_DEP_1)
	v_add_f64 v[2:3], v[2:3], -v[2:3]
	v_div_scale_f64 v[4:5], vcc_lo, v[2:3], v[2:3], v[2:3]
	s_delay_alu instid0(VALU_DEP_1) | instskip(SKIP_2) | instid1(VALU_DEP_1)
	v_rcp_f64_e32 v[6:7], v[4:5]
	s_waitcnt_depctr 0xfff
	v_fma_f64 v[8:9], -v[4:5], v[6:7], 1.0
	v_fma_f64 v[6:7], v[6:7], v[8:9], v[6:7]
	s_delay_alu instid0(VALU_DEP_1) | instskip(NEXT) | instid1(VALU_DEP_1)
	v_fma_f64 v[8:9], -v[4:5], v[6:7], 1.0
	v_fma_f64 v[6:7], v[6:7], v[8:9], v[6:7]
	s_delay_alu instid0(VALU_DEP_1) | instskip(NEXT) | instid1(VALU_DEP_1)
	v_mul_f64 v[8:9], v[4:5], v[6:7]
	v_fma_f64 v[4:5], -v[4:5], v[8:9], v[4:5]
	s_delay_alu instid0(VALU_DEP_1) | instskip(NEXT) | instid1(VALU_DEP_1)
	v_div_fmas_f64 v[4:5], v[4:5], v[6:7], v[8:9]
	v_div_fixup_f64 v[2:3], v[4:5], v[2:3], v[2:3]
; %bb.1058:
	s_or_b32 exec_lo, exec_lo, s0
	v_dual_mov_b32 v5, v1 :: v_dual_mov_b32 v4, v0
.LBB224_1059:
	s_or_b32 exec_lo, exec_lo, s14
.LBB224_1060:
	s_delay_alu instid0(SALU_CYCLE_1) | instskip(SKIP_2) | instid1(VALU_DEP_1)
	s_or_b32 exec_lo, exec_lo, s13
	v_mul_lo_u32 v0, v21, s2
	v_and_b32_e32 v10, 0xff, v20
	v_cmp_gt_i16_e32 vcc_lo, 11, v10
	s_delay_alu instid0(VALU_DEP_3) | instskip(SKIP_1) | instid1(VALU_DEP_1)
	v_ashrrev_i32_e32 v1, 31, v0
	v_add_co_u32 v8, s0, s4, v0
	v_add_co_ci_u32_e64 v9, s0, s5, v1, s0
	s_cbranch_vccnz .LBB224_1067
; %bb.1061:
	v_cmp_lt_i16_e32 vcc_lo, 25, v10
	s_mov_b32 s1, -1
	s_mov_b32 s0, s12
	s_cbranch_vccz .LBB224_1097
; %bb.1062:
	v_cmp_lt_i16_e32 vcc_lo, 28, v10
	s_mov_b32 s0, s12
	s_cbranch_vccz .LBB224_1081
; %bb.1063:
	v_cmp_lt_i16_e32 vcc_lo, 43, v10
	;; [unrolled: 4-line block ×3, first 2 shown]
	s_mov_b32 s0, s12
	s_cbranch_vccz .LBB224_1071
; %bb.1065:
	v_cmp_eq_u16_e32 vcc_lo, 46, v10
	s_mov_b32 s0, -1
	s_cbranch_vccz .LBB224_1070
; %bb.1066:
	v_cvt_f32_f64_e32 v0, v[2:3]
	v_cvt_f32_f64_e32 v1, v[4:5]
	s_mov_b32 s0, 0
	s_mov_b32 s1, 0
	s_delay_alu instid0(VALU_DEP_2) | instskip(NEXT) | instid1(VALU_DEP_2)
	v_bfe_u32 v6, v0, 16, 1
	v_bfe_u32 v7, v1, 16, 1
	v_cmp_o_f32_e32 vcc_lo, v0, v0
	s_delay_alu instid0(VALU_DEP_3) | instskip(NEXT) | instid1(VALU_DEP_3)
	v_add3_u32 v6, v0, v6, 0x7fff
	v_add3_u32 v7, v1, v7, 0x7fff
	s_delay_alu instid0(VALU_DEP_2) | instskip(NEXT) | instid1(VALU_DEP_2)
	v_and_b32_e32 v6, 0xffff0000, v6
	v_lshrrev_b32_e32 v7, 16, v7
	s_delay_alu instid0(VALU_DEP_2) | instskip(SKIP_1) | instid1(VALU_DEP_3)
	v_cndmask_b32_e32 v0, 0x7fc00000, v6, vcc_lo
	v_cmp_o_f32_e32 vcc_lo, v1, v1
	v_cndmask_b32_e32 v1, 0x7fc0, v7, vcc_lo
	s_delay_alu instid0(VALU_DEP_1)
	v_or_b32_e32 v0, v0, v1
	global_store_b32 v[8:9], v0, off
	s_branch .LBB224_1071
.LBB224_1067:
	s_mov_b32 s13, 0
	s_mov_b32 s1, -1
	s_mov_b32 s0, s12
	s_branch .LBB224_1138
.LBB224_1068:
	s_trap 2
	s_sendmsg_rtn_b32 s0, sendmsg(MSG_RTN_GET_DOORBELL)
	s_mov_b32 ttmp2, m0
	s_waitcnt lgkmcnt(0)
	s_and_b32 s0, s0, 0x3ff
	s_delay_alu instid0(SALU_CYCLE_1) | instskip(NEXT) | instid1(SALU_CYCLE_1)
	s_bitset1_b32 s0, 10
	s_mov_b32 m0, s0
	s_sendmsg sendmsg(MSG_INTERRUPT)
	s_mov_b32 m0, ttmp2
.LBB224_1069:                           ; =>This Inner Loop Header: Depth=1
	s_sethalt 5
	s_branch .LBB224_1069
.LBB224_1070:
	s_mov_b32 s1, 0
.LBB224_1071:
	s_delay_alu instid0(SALU_CYCLE_1)
	s_and_b32 vcc_lo, exec_lo, s1
	s_cbranch_vccz .LBB224_1076
; %bb.1072:
	v_cmp_eq_u16_e32 vcc_lo, 44, v10
	s_mov_b32 s0, -1
	s_cbranch_vccz .LBB224_1076
; %bb.1073:
	v_cvt_f32_f64_e32 v0, v[4:5]
	v_mov_b32_e32 v1, 0xff
	s_mov_b32 s1, exec_lo
	s_delay_alu instid0(VALU_DEP_2) | instskip(NEXT) | instid1(VALU_DEP_1)
	v_bfe_u32 v6, v0, 23, 8
	v_cmpx_ne_u32_e32 0xff, v6
; %bb.1074:
	v_and_b32_e32 v1, 0x400000, v0
	v_and_or_b32 v6, 0x3fffff, v0, v6
	v_lshrrev_b32_e32 v0, 23, v0
	s_delay_alu instid0(VALU_DEP_3) | instskip(NEXT) | instid1(VALU_DEP_3)
	v_cmp_ne_u32_e32 vcc_lo, 0, v1
	v_cmp_ne_u32_e64 s0, 0, v6
	s_delay_alu instid0(VALU_DEP_1) | instskip(NEXT) | instid1(SALU_CYCLE_1)
	s_and_b32 s0, vcc_lo, s0
	v_cndmask_b32_e64 v1, 0, 1, s0
	s_delay_alu instid0(VALU_DEP_1)
	v_add_nc_u32_e32 v1, v0, v1
; %bb.1075:
	s_or_b32 exec_lo, exec_lo, s1
	s_mov_b32 s0, 0
	global_store_b8 v[8:9], v1, off
.LBB224_1076:
	s_mov_b32 s1, 0
.LBB224_1077:
	s_delay_alu instid0(SALU_CYCLE_1)
	s_and_b32 vcc_lo, exec_lo, s1
	s_cbranch_vccz .LBB224_1080
; %bb.1078:
	v_cmp_eq_u16_e32 vcc_lo, 29, v10
	s_mov_b32 s0, -1
	s_cbranch_vccz .LBB224_1080
; %bb.1079:
	v_trunc_f64_e32 v[0:1], v[4:5]
	s_mov_b32 s0, 0
	s_mov_b32 s1, 0
	s_delay_alu instid0(VALU_DEP_1) | instskip(NEXT) | instid1(VALU_DEP_1)
	v_ldexp_f64 v[6:7], v[0:1], 0xffffffe0
	v_floor_f64_e32 v[6:7], v[6:7]
	s_delay_alu instid0(VALU_DEP_1) | instskip(SKIP_1) | instid1(VALU_DEP_2)
	v_fma_f64 v[0:1], 0xc1f00000, v[6:7], v[0:1]
	v_cvt_u32_f64_e32 v7, v[6:7]
	v_cvt_u32_f64_e32 v6, v[0:1]
	global_store_b64 v[8:9], v[6:7], off
	s_branch .LBB224_1081
.LBB224_1080:
	s_mov_b32 s1, 0
.LBB224_1081:
	s_delay_alu instid0(SALU_CYCLE_1)
	s_and_b32 vcc_lo, exec_lo, s1
	s_cbranch_vccz .LBB224_1096
; %bb.1082:
	v_cmp_gt_i16_e32 vcc_lo, 27, v10
	s_mov_b32 s1, -1
	s_cbranch_vccnz .LBB224_1088
; %bb.1083:
	v_cvt_u32_f64_e32 v0, v[4:5]
	v_cmp_lt_i16_e32 vcc_lo, 27, v10
	s_cbranch_vccz .LBB224_1085
; %bb.1084:
	s_mov_b32 s1, 0
	global_store_b32 v[8:9], v0, off
.LBB224_1085:
	s_and_not1_b32 vcc_lo, exec_lo, s1
	s_cbranch_vccnz .LBB224_1087
; %bb.1086:
	global_store_b16 v[8:9], v0, off
.LBB224_1087:
	s_mov_b32 s1, 0
.LBB224_1088:
	s_delay_alu instid0(SALU_CYCLE_1)
	s_and_not1_b32 vcc_lo, exec_lo, s1
	s_cbranch_vccnz .LBB224_1096
; %bb.1089:
	v_cvt_f32_f64_e32 v0, v[4:5]
	v_mov_b32_e32 v6, 0x80
	s_mov_b32 s1, exec_lo
	s_delay_alu instid0(VALU_DEP_2) | instskip(NEXT) | instid1(VALU_DEP_1)
	v_and_b32_e32 v1, 0x7fffffff, v0
	v_cmpx_gt_u32_e32 0x43800000, v1
	s_cbranch_execz .LBB224_1095
; %bb.1090:
	v_cmp_lt_u32_e32 vcc_lo, 0x3bffffff, v1
	s_mov_b32 s13, 0
                                        ; implicit-def: $vgpr1
	s_and_saveexec_b32 s14, vcc_lo
	s_delay_alu instid0(SALU_CYCLE_1)
	s_xor_b32 s14, exec_lo, s14
	s_cbranch_execz .LBB224_1368
; %bb.1091:
	v_bfe_u32 v1, v0, 20, 1
	s_mov_b32 s13, exec_lo
	s_delay_alu instid0(VALU_DEP_1) | instskip(NEXT) | instid1(VALU_DEP_1)
	v_add3_u32 v1, v0, v1, 0x487ffff
	v_lshrrev_b32_e32 v1, 20, v1
	s_or_saveexec_b32 s14, s14
                                        ; implicit-def: $sgpr15
	s_delay_alu instid0(SALU_CYCLE_1)
	s_xor_b32 exec_lo, exec_lo, s14
	s_cbranch_execnz .LBB224_1369
.LBB224_1092:
	s_or_b32 exec_lo, exec_lo, s14
	v_mov_b32_e32 v6, s15
	s_and_saveexec_b32 s14, s13
.LBB224_1093:
	v_lshrrev_b32_e32 v0, 24, v0
	s_delay_alu instid0(VALU_DEP_1)
	v_and_or_b32 v6, 0x80, v0, v1
.LBB224_1094:
	s_or_b32 exec_lo, exec_lo, s14
.LBB224_1095:
	s_delay_alu instid0(SALU_CYCLE_1)
	s_or_b32 exec_lo, exec_lo, s1
	global_store_b8 v[8:9], v6, off
.LBB224_1096:
	s_mov_b32 s1, 0
.LBB224_1097:
	s_delay_alu instid0(SALU_CYCLE_1)
	s_and_b32 vcc_lo, exec_lo, s1
	s_mov_b32 s1, 0
	s_cbranch_vccz .LBB224_1137
; %bb.1098:
	v_cmp_lt_i16_e32 vcc_lo, 22, v10
	s_mov_b32 s13, -1
	s_cbranch_vccz .LBB224_1130
; %bb.1099:
	v_cmp_gt_i16_e32 vcc_lo, 24, v10
	s_cbranch_vccnz .LBB224_1119
; %bb.1100:
	v_cmp_lt_i16_e32 vcc_lo, 24, v10
	s_cbranch_vccz .LBB224_1108
; %bb.1101:
	v_cvt_f32_f64_e32 v0, v[4:5]
	v_mov_b32_e32 v6, 0x80
	s_mov_b32 s13, exec_lo
	s_delay_alu instid0(VALU_DEP_2) | instskip(NEXT) | instid1(VALU_DEP_1)
	v_and_b32_e32 v1, 0x7fffffff, v0
	v_cmpx_gt_u32_e32 0x47800000, v1
	s_cbranch_execz .LBB224_1107
; %bb.1102:
	v_cmp_lt_u32_e32 vcc_lo, 0x37ffffff, v1
	s_mov_b32 s14, 0
                                        ; implicit-def: $vgpr1
	s_and_saveexec_b32 s15, vcc_lo
	s_delay_alu instid0(SALU_CYCLE_1)
	s_xor_b32 s15, exec_lo, s15
	s_cbranch_execz .LBB224_1413
; %bb.1103:
	v_bfe_u32 v1, v0, 21, 1
	s_mov_b32 s14, exec_lo
	s_delay_alu instid0(VALU_DEP_1) | instskip(NEXT) | instid1(VALU_DEP_1)
	v_add3_u32 v1, v0, v1, 0x88fffff
	v_lshrrev_b32_e32 v1, 21, v1
	s_or_saveexec_b32 s15, s15
                                        ; implicit-def: $sgpr16
	s_delay_alu instid0(SALU_CYCLE_1)
	s_xor_b32 exec_lo, exec_lo, s15
	s_cbranch_execnz .LBB224_1414
.LBB224_1104:
	s_or_b32 exec_lo, exec_lo, s15
	v_mov_b32_e32 v6, s16
	s_and_saveexec_b32 s15, s14
.LBB224_1105:
	v_lshrrev_b32_e32 v0, 24, v0
	s_delay_alu instid0(VALU_DEP_1)
	v_and_or_b32 v6, 0x80, v0, v1
.LBB224_1106:
	s_or_b32 exec_lo, exec_lo, s15
.LBB224_1107:
	s_delay_alu instid0(SALU_CYCLE_1)
	s_or_b32 exec_lo, exec_lo, s13
	s_mov_b32 s13, 0
	global_store_b8 v[8:9], v6, off
.LBB224_1108:
	s_and_b32 vcc_lo, exec_lo, s13
	s_cbranch_vccz .LBB224_1118
; %bb.1109:
	v_cvt_f32_f64_e32 v0, v[4:5]
	s_mov_b32 s13, exec_lo
                                        ; implicit-def: $vgpr1
	s_delay_alu instid0(VALU_DEP_1) | instskip(NEXT) | instid1(VALU_DEP_1)
	v_and_b32_e32 v6, 0x7fffffff, v0
	v_cmpx_gt_u32_e32 0x43f00000, v6
	s_xor_b32 s13, exec_lo, s13
	s_cbranch_execz .LBB224_1115
; %bb.1110:
	s_mov_b32 s14, exec_lo
                                        ; implicit-def: $vgpr1
	v_cmpx_lt_u32_e32 0x3c7fffff, v6
	s_xor_b32 s14, exec_lo, s14
; %bb.1111:
	v_bfe_u32 v1, v0, 20, 1
	s_delay_alu instid0(VALU_DEP_1) | instskip(NEXT) | instid1(VALU_DEP_1)
	v_add3_u32 v1, v0, v1, 0x407ffff
	v_and_b32_e32 v6, 0xff00000, v1
	v_lshrrev_b32_e32 v1, 20, v1
	s_delay_alu instid0(VALU_DEP_2) | instskip(NEXT) | instid1(VALU_DEP_2)
	v_cmp_ne_u32_e32 vcc_lo, 0x7f00000, v6
	v_cndmask_b32_e32 v1, 0x7e, v1, vcc_lo
; %bb.1112:
	s_and_not1_saveexec_b32 s14, s14
; %bb.1113:
	v_add_f32_e64 v1, 0x46800000, |v0|
; %bb.1114:
	s_or_b32 exec_lo, exec_lo, s14
                                        ; implicit-def: $vgpr6
.LBB224_1115:
	s_and_not1_saveexec_b32 s13, s13
; %bb.1116:
	v_mov_b32_e32 v1, 0x7f
	v_cmp_lt_u32_e32 vcc_lo, 0x7f800000, v6
	s_delay_alu instid0(VALU_DEP_2)
	v_cndmask_b32_e32 v1, 0x7e, v1, vcc_lo
; %bb.1117:
	s_or_b32 exec_lo, exec_lo, s13
	v_lshrrev_b32_e32 v0, 24, v0
	s_delay_alu instid0(VALU_DEP_1)
	v_and_or_b32 v0, 0x80, v0, v1
	global_store_b8 v[8:9], v0, off
.LBB224_1118:
	s_mov_b32 s13, 0
.LBB224_1119:
	s_delay_alu instid0(SALU_CYCLE_1)
	s_and_not1_b32 vcc_lo, exec_lo, s13
	s_cbranch_vccnz .LBB224_1129
; %bb.1120:
	v_cvt_f32_f64_e32 v0, v[4:5]
	s_mov_b32 s13, exec_lo
                                        ; implicit-def: $vgpr1
	s_delay_alu instid0(VALU_DEP_1) | instskip(NEXT) | instid1(VALU_DEP_1)
	v_and_b32_e32 v6, 0x7fffffff, v0
	v_cmpx_gt_u32_e32 0x47800000, v6
	s_xor_b32 s13, exec_lo, s13
	s_cbranch_execz .LBB224_1126
; %bb.1121:
	s_mov_b32 s14, exec_lo
                                        ; implicit-def: $vgpr1
	v_cmpx_lt_u32_e32 0x387fffff, v6
	s_xor_b32 s14, exec_lo, s14
; %bb.1122:
	v_bfe_u32 v1, v0, 21, 1
	s_delay_alu instid0(VALU_DEP_1) | instskip(NEXT) | instid1(VALU_DEP_1)
	v_add3_u32 v1, v0, v1, 0x80fffff
	v_lshrrev_b32_e32 v1, 21, v1
; %bb.1123:
	s_and_not1_saveexec_b32 s14, s14
; %bb.1124:
	v_add_f32_e64 v1, 0x43000000, |v0|
; %bb.1125:
	s_or_b32 exec_lo, exec_lo, s14
                                        ; implicit-def: $vgpr6
.LBB224_1126:
	s_and_not1_saveexec_b32 s13, s13
; %bb.1127:
	v_mov_b32_e32 v1, 0x7f
	v_cmp_lt_u32_e32 vcc_lo, 0x7f800000, v6
	s_delay_alu instid0(VALU_DEP_2)
	v_cndmask_b32_e32 v1, 0x7c, v1, vcc_lo
; %bb.1128:
	s_or_b32 exec_lo, exec_lo, s13
	v_lshrrev_b32_e32 v0, 24, v0
	s_delay_alu instid0(VALU_DEP_1)
	v_and_or_b32 v0, 0x80, v0, v1
	global_store_b8 v[8:9], v0, off
.LBB224_1129:
	s_mov_b32 s13, 0
.LBB224_1130:
	s_delay_alu instid0(SALU_CYCLE_1)
	s_and_not1_b32 vcc_lo, exec_lo, s13
	s_mov_b32 s13, 0
	s_cbranch_vccnz .LBB224_1138
; %bb.1131:
	v_cmp_lt_i16_e32 vcc_lo, 14, v10
	s_mov_b32 s13, -1
	s_cbranch_vccz .LBB224_1135
; %bb.1132:
	v_cmp_eq_u16_e32 vcc_lo, 15, v10
	s_mov_b32 s0, -1
	s_cbranch_vccz .LBB224_1134
; %bb.1133:
	v_cvt_f32_f64_e32 v0, v[4:5]
	s_mov_b32 s0, 0
	s_delay_alu instid0(VALU_DEP_1) | instskip(SKIP_1) | instid1(VALU_DEP_2)
	v_bfe_u32 v1, v0, 16, 1
	v_cmp_o_f32_e32 vcc_lo, v0, v0
	v_add3_u32 v1, v0, v1, 0x7fff
	s_delay_alu instid0(VALU_DEP_1) | instskip(NEXT) | instid1(VALU_DEP_1)
	v_lshrrev_b32_e32 v1, 16, v1
	v_cndmask_b32_e32 v0, 0x7fc0, v1, vcc_lo
	global_store_b16 v[8:9], v0, off
.LBB224_1134:
	s_mov_b32 s13, 0
.LBB224_1135:
	s_delay_alu instid0(SALU_CYCLE_1)
	s_and_b32 vcc_lo, exec_lo, s13
	s_mov_b32 s13, 0
	s_cbranch_vccz .LBB224_1138
; %bb.1136:
	v_cmp_ne_u16_e32 vcc_lo, 11, v10
	s_and_not1_b32 s0, s0, exec_lo
	s_mov_b32 s13, -1
	s_and_b32 s14, vcc_lo, exec_lo
	s_delay_alu instid0(SALU_CYCLE_1)
	s_or_b32 s0, s0, s14
	s_branch .LBB224_1138
.LBB224_1137:
	s_mov_b32 s13, 0
.LBB224_1138:
	s_and_not1_b32 s12, s12, exec_lo
	s_and_b32 s14, s0, exec_lo
	s_and_b32 s1, s1, exec_lo
	;; [unrolled: 1-line block ×3, first 2 shown]
	s_or_b32 s12, s12, s14
.LBB224_1139:
	s_or_b32 exec_lo, exec_lo, s9
	s_and_saveexec_b32 s9, s12
	s_cbranch_execnz .LBB224_1202
; %bb.1140:
	s_or_b32 exec_lo, exec_lo, s9
	s_and_saveexec_b32 s9, s0
	s_delay_alu instid0(SALU_CYCLE_1)
	s_xor_b32 s9, exec_lo, s9
	s_cbranch_execz .LBB224_1142
.LBB224_1141:
	v_cmp_neq_f64_e32 vcc_lo, 0, v[4:5]
	s_waitcnt vmcnt(0)
	s_delay_alu instid0(VALU_DEP_2) | instskip(NEXT) | instid1(VALU_DEP_1)
	v_cmp_neq_f64_e64 s0, 0, v[2:3]
	s_or_b32 s0, vcc_lo, s0
	s_delay_alu instid0(SALU_CYCLE_1)
	v_cndmask_b32_e64 v0, 0, 1, s0
	global_store_b8 v[8:9], v0, off
.LBB224_1142:
	s_or_b32 exec_lo, exec_lo, s9
	s_and_saveexec_b32 s0, s1
	s_delay_alu instid0(SALU_CYCLE_1)
	s_xor_b32 s0, exec_lo, s0
	s_cbranch_execz .LBB224_1180
; %bb.1143:
	v_cmp_gt_i16_e32 vcc_lo, 5, v10
	s_mov_b32 s1, -1
	s_cbranch_vccnz .LBB224_1164
; %bb.1144:
	v_cmp_gt_i16_e32 vcc_lo, 8, v10
	s_cbranch_vccnz .LBB224_1154
; %bb.1145:
	v_cmp_gt_i16_e32 vcc_lo, 9, v10
	s_cbranch_vccnz .LBB224_1151
; %bb.1146:
	v_cmp_lt_i16_e32 vcc_lo, 9, v10
	s_cbranch_vccz .LBB224_1148
; %bb.1147:
	s_waitcnt vmcnt(0)
	v_dual_mov_b32 v6, v2 :: v_dual_mov_b32 v7, v3
	s_mov_b32 s1, 0
	global_store_b128 v[8:9], v[4:7], off
.LBB224_1148:
	s_and_not1_b32 vcc_lo, exec_lo, s1
	s_cbranch_vccnz .LBB224_1150
; %bb.1149:
	s_waitcnt vmcnt(0)
	v_cvt_f32_f64_e32 v0, v[4:5]
	v_cvt_f32_f64_e32 v1, v[2:3]
	global_store_b64 v[8:9], v[0:1], off
.LBB224_1150:
	s_mov_b32 s1, 0
.LBB224_1151:
	s_delay_alu instid0(SALU_CYCLE_1)
	s_and_not1_b32 vcc_lo, exec_lo, s1
	s_cbranch_vccnz .LBB224_1153
; %bb.1152:
	s_waitcnt vmcnt(0)
	s_delay_alu instid0(VALU_DEP_4) | instskip(SKIP_1) | instid1(VALU_DEP_2)
	v_cvt_f32_f64_e32 v0, v[2:3]
	v_cvt_f32_f64_e32 v1, v[4:5]
	v_cvt_f16_f32_e32 v0, v0
	s_delay_alu instid0(VALU_DEP_2) | instskip(NEXT) | instid1(VALU_DEP_2)
	v_cvt_f16_f32_e32 v1, v1
	v_lshlrev_b32_e32 v0, 16, v0
	s_delay_alu instid0(VALU_DEP_2) | instskip(NEXT) | instid1(VALU_DEP_1)
	v_and_b32_e32 v1, 0xffff, v1
	v_or_b32_e32 v0, v0, v1
	global_store_b32 v[8:9], v0, off
.LBB224_1153:
	s_mov_b32 s1, 0
.LBB224_1154:
	s_delay_alu instid0(SALU_CYCLE_1)
	s_and_not1_b32 vcc_lo, exec_lo, s1
	s_cbranch_vccnz .LBB224_1163
; %bb.1155:
	v_cmp_gt_i16_e32 vcc_lo, 6, v10
	s_mov_b32 s1, -1
	s_cbranch_vccnz .LBB224_1161
; %bb.1156:
	v_cmp_lt_i16_e32 vcc_lo, 6, v10
	s_cbranch_vccz .LBB224_1158
; %bb.1157:
	s_mov_b32 s1, 0
	global_store_b64 v[8:9], v[4:5], off
.LBB224_1158:
	s_and_not1_b32 vcc_lo, exec_lo, s1
	s_cbranch_vccnz .LBB224_1160
; %bb.1159:
	s_waitcnt vmcnt(0)
	v_cvt_f32_f64_e32 v0, v[4:5]
	global_store_b32 v[8:9], v0, off
.LBB224_1160:
	s_mov_b32 s1, 0
.LBB224_1161:
	s_delay_alu instid0(SALU_CYCLE_1)
	s_and_not1_b32 vcc_lo, exec_lo, s1
	s_cbranch_vccnz .LBB224_1163
; %bb.1162:
	s_waitcnt vmcnt(0)
	v_cvt_f32_f64_e32 v0, v[4:5]
	s_delay_alu instid0(VALU_DEP_1)
	v_cvt_f16_f32_e32 v0, v0
	global_store_b16 v[8:9], v0, off
.LBB224_1163:
	s_mov_b32 s1, 0
.LBB224_1164:
	s_delay_alu instid0(SALU_CYCLE_1)
	s_and_not1_b32 vcc_lo, exec_lo, s1
	s_cbranch_vccnz .LBB224_1180
; %bb.1165:
	v_cmp_gt_i16_e32 vcc_lo, 2, v10
	s_mov_b32 s1, -1
	s_cbranch_vccnz .LBB224_1175
; %bb.1166:
	v_cmp_gt_i16_e32 vcc_lo, 3, v10
	s_cbranch_vccnz .LBB224_1172
; %bb.1167:
	v_cmp_lt_i16_e32 vcc_lo, 3, v10
	s_cbranch_vccz .LBB224_1169
; %bb.1168:
	s_waitcnt vmcnt(0)
	v_trunc_f64_e32 v[0:1], v[4:5]
	s_mov_b32 s1, 0
	s_delay_alu instid0(VALU_DEP_1) | instskip(NEXT) | instid1(VALU_DEP_1)
	v_ldexp_f64 v[2:3], v[0:1], 0xffffffe0
	v_floor_f64_e32 v[2:3], v[2:3]
	s_delay_alu instid0(VALU_DEP_1) | instskip(SKIP_1) | instid1(VALU_DEP_2)
	v_fma_f64 v[0:1], 0xc1f00000, v[2:3], v[0:1]
	v_cvt_i32_f64_e32 v2, v[2:3]
	v_cvt_u32_f64_e32 v1, v[0:1]
	global_store_b64 v[8:9], v[1:2], off
.LBB224_1169:
	s_and_not1_b32 vcc_lo, exec_lo, s1
	s_cbranch_vccnz .LBB224_1171
; %bb.1170:
	s_waitcnt vmcnt(0)
	v_cvt_i32_f64_e32 v0, v[4:5]
	global_store_b32 v[8:9], v0, off
.LBB224_1171:
	s_mov_b32 s1, 0
.LBB224_1172:
	s_delay_alu instid0(SALU_CYCLE_1)
	s_and_not1_b32 vcc_lo, exec_lo, s1
	s_cbranch_vccnz .LBB224_1174
; %bb.1173:
	s_waitcnt vmcnt(0)
	v_cvt_i32_f64_e32 v0, v[4:5]
	global_store_b16 v[8:9], v0, off
.LBB224_1174:
	s_mov_b32 s1, 0
.LBB224_1175:
	s_delay_alu instid0(SALU_CYCLE_1)
	s_and_not1_b32 vcc_lo, exec_lo, s1
	s_cbranch_vccnz .LBB224_1180
; %bb.1176:
	v_cmp_lt_i16_e32 vcc_lo, 0, v10
	s_mov_b32 s1, -1
	s_cbranch_vccz .LBB224_1178
; %bb.1177:
	s_waitcnt vmcnt(0)
	v_cvt_i32_f64_e32 v0, v[4:5]
	s_mov_b32 s1, 0
	global_store_b8 v[8:9], v0, off
.LBB224_1178:
	s_and_not1_b32 vcc_lo, exec_lo, s1
	s_cbranch_vccnz .LBB224_1180
; %bb.1179:
	s_waitcnt vmcnt(0)
	v_trunc_f64_e32 v[0:1], v[4:5]
	s_delay_alu instid0(VALU_DEP_1) | instskip(NEXT) | instid1(VALU_DEP_1)
	v_ldexp_f64 v[2:3], v[0:1], 0xffffffe0
	v_floor_f64_e32 v[2:3], v[2:3]
	s_delay_alu instid0(VALU_DEP_1) | instskip(NEXT) | instid1(VALU_DEP_1)
	v_fma_f64 v[0:1], 0xc1f00000, v[2:3], v[0:1]
	v_cvt_u32_f64_e32 v0, v[0:1]
	global_store_b8 v[8:9], v0, off
.LBB224_1180:
	s_or_b32 exec_lo, exec_lo, s0
	s_delay_alu instid0(SALU_CYCLE_1)
	s_and_b32 s12, s8, exec_lo
                                        ; implicit-def: $vgpr21
                                        ; implicit-def: $vgpr22
                                        ; implicit-def: $vgpr20
.LBB224_1181:
	s_or_saveexec_b32 s11, s11
	s_mov_b32 s8, 0
                                        ; implicit-def: $vgpr23
                                        ; implicit-def: $vgpr0_vgpr1
                                        ; implicit-def: $vgpr16_vgpr17
                                        ; implicit-def: $vgpr18_vgpr19
	s_xor_b32 exec_lo, exec_lo, s11
	s_cbranch_execz .LBB224_1845
; %bb.1182:
	v_mul_lo_u32 v6, s3, v21
	v_cmp_gt_i16_e32 vcc_lo, 11, v22
	s_and_b32 vcc_lo, exec_lo, vcc_lo
	s_waitcnt vmcnt(0)
	s_delay_alu instid0(VALU_DEP_2) | instskip(SKIP_1) | instid1(VALU_DEP_1)
	v_ashrrev_i32_e32 v0, 31, v6
	v_add_co_u32 v4, s0, s6, v6
	v_add_co_ci_u32_e64 v5, s0, s7, v0, s0
	s_cbranch_vccnz .LBB224_1189
; %bb.1183:
	v_cmp_lt_i16_e32 vcc_lo, 25, v22
	s_mov_b32 s13, 0
	s_cbranch_vccz .LBB224_1195
; %bb.1184:
	v_cmp_lt_i16_e32 vcc_lo, 28, v22
	s_cbranch_vccz .LBB224_1198
; %bb.1185:
	v_cmp_lt_i16_e32 vcc_lo, 43, v22
	;; [unrolled: 3-line block ×3, first 2 shown]
	s_cbranch_vccz .LBB224_1204
; %bb.1187:
	v_cmp_eq_u16_e32 vcc_lo, 46, v22
	s_mov_b32 s0, 0
	s_cbranch_vccz .LBB224_1245
; %bb.1188:
	global_load_b32 v0, v[4:5], off
	s_mov_b32 s8, -1
	s_waitcnt vmcnt(0)
	v_lshlrev_b32_e32 v1, 16, v0
	v_and_b32_e32 v2, 0xffff0000, v0
	s_delay_alu instid0(VALU_DEP_2) | instskip(NEXT) | instid1(VALU_DEP_2)
	v_cvt_f64_f32_e32 v[0:1], v1
	v_cvt_f64_f32_e32 v[2:3], v2
	s_branch .LBB224_1247
.LBB224_1189:
	s_mov_b32 s10, s12
                                        ; implicit-def: $vgpr2_vgpr3
	s_cbranch_execz .LBB224_1313
; %bb.1190:
	v_cmp_gt_i16_e32 vcc_lo, 5, v22
	s_cbranch_vccnz .LBB224_1196
; %bb.1191:
	v_cmp_gt_i16_e32 vcc_lo, 8, v22
	s_cbranch_vccnz .LBB224_1199
; %bb.1192:
	v_cmp_gt_i16_e32 vcc_lo, 9, v22
	s_cbranch_vccnz .LBB224_1201
; %bb.1193:
	v_cmp_lt_i16_e32 vcc_lo, 9, v22
	s_cbranch_vccz .LBB224_1205
; %bb.1194:
	global_load_b128 v[0:3], v[4:5], off
	s_mov_b32 s0, 0
	s_branch .LBB224_1206
.LBB224_1195:
                                        ; implicit-def: $vgpr2_vgpr3
	s_cbranch_execnz .LBB224_1279
	s_branch .LBB224_1309
.LBB224_1196:
                                        ; implicit-def: $vgpr2_vgpr3
	s_branch .LBB224_1224
.LBB224_1197:
                                        ; implicit-def: $vgpr14_vgpr15
	s_branch .LBB224_1314
.LBB224_1198:
                                        ; implicit-def: $vgpr2_vgpr3
	s_cbranch_execnz .LBB224_1259
	s_branch .LBB224_1278
.LBB224_1199:
                                        ; implicit-def: $vgpr2_vgpr3
	s_branch .LBB224_1212
.LBB224_1200:
	s_mov_b32 s0, -1
                                        ; implicit-def: $vgpr2_vgpr3
	s_branch .LBB224_1253
.LBB224_1201:
	s_mov_b32 s0, -1
                                        ; implicit-def: $vgpr2_vgpr3
	s_branch .LBB224_1209
.LBB224_1202:
	s_cbranch_execnz .LBB224_1243
; %bb.1203:
	s_or_b32 s8, s8, exec_lo
	s_and_not1_b32 s0, s0, exec_lo
	s_or_b32 exec_lo, exec_lo, s9
	s_and_saveexec_b32 s9, s0
	s_delay_alu instid0(SALU_CYCLE_1)
	s_xor_b32 s9, exec_lo, s9
	s_cbranch_execnz .LBB224_1141
	s_branch .LBB224_1142
.LBB224_1204:
	s_mov_b32 s0, -1
	s_branch .LBB224_1246
.LBB224_1205:
	s_mov_b32 s0, -1
                                        ; implicit-def: $vgpr2_vgpr3
.LBB224_1206:
	s_delay_alu instid0(SALU_CYCLE_1)
	s_and_not1_b32 vcc_lo, exec_lo, s0
	s_cbranch_vccnz .LBB224_1208
; %bb.1207:
	global_load_b64 v[1:2], v[4:5], off
	s_waitcnt vmcnt(0)
	v_cvt_f64_f32_e32 v[0:1], v1
	v_cvt_f64_f32_e32 v[2:3], v2
.LBB224_1208:
	s_mov_b32 s0, 0
.LBB224_1209:
	s_delay_alu instid0(SALU_CYCLE_1)
	s_and_not1_b32 vcc_lo, exec_lo, s0
	s_cbranch_vccnz .LBB224_1211
; %bb.1210:
	global_load_b32 v0, v[4:5], off
	s_waitcnt vmcnt(0)
	v_lshrrev_b32_e32 v1, 16, v0
	v_cvt_f32_f16_e32 v0, v0
	s_delay_alu instid0(VALU_DEP_2) | instskip(NEXT) | instid1(VALU_DEP_2)
	v_cvt_f32_f16_e32 v2, v1
	v_cvt_f64_f32_e32 v[0:1], v0
	s_delay_alu instid0(VALU_DEP_2)
	v_cvt_f64_f32_e32 v[2:3], v2
.LBB224_1211:
	s_cbranch_execnz .LBB224_1223
.LBB224_1212:
	v_cmp_gt_i16_e32 vcc_lo, 6, v22
	s_cbranch_vccnz .LBB224_1215
; %bb.1213:
	v_cmp_lt_i16_e32 vcc_lo, 6, v22
	s_cbranch_vccz .LBB224_1216
; %bb.1214:
	global_load_b64 v[0:1], v[4:5], off
	s_mov_b32 s8, 0
	s_mov_b64 s[0:1], 0
	s_branch .LBB224_1217
.LBB224_1215:
	s_mov_b32 s8, -1
                                        ; implicit-def: $sgpr0_sgpr1
                                        ; implicit-def: $vgpr0_vgpr1
	s_branch .LBB224_1220
.LBB224_1216:
	s_mov_b32 s8, -1
                                        ; implicit-def: $sgpr0_sgpr1
                                        ; implicit-def: $vgpr0_vgpr1
.LBB224_1217:
	s_delay_alu instid0(SALU_CYCLE_1)
	s_and_not1_b32 vcc_lo, exec_lo, s8
	s_cbranch_vccnz .LBB224_1219
; %bb.1218:
	global_load_b32 v0, v[4:5], off
	s_mov_b64 s[0:1], 0
	s_waitcnt vmcnt(0)
	v_cvt_f64_f32_e32 v[0:1], v0
.LBB224_1219:
	s_mov_b32 s8, 0
.LBB224_1220:
	s_delay_alu instid0(SALU_CYCLE_1)
	s_and_not1_b32 vcc_lo, exec_lo, s8
	s_cbranch_vccnz .LBB224_1222
; %bb.1221:
	global_load_u16 v0, v[4:5], off
	s_mov_b64 s[0:1], 0
	s_waitcnt vmcnt(0)
	v_cvt_f32_f16_e32 v0, v0
	s_delay_alu instid0(VALU_DEP_1)
	v_cvt_f64_f32_e32 v[0:1], v0
.LBB224_1222:
	s_waitcnt vmcnt(0)
	v_dual_mov_b32 v3, s1 :: v_dual_mov_b32 v2, s0
.LBB224_1223:
	s_cbranch_execnz .LBB224_1197
.LBB224_1224:
	v_cmp_gt_i16_e32 vcc_lo, 2, v22
	s_cbranch_vccnz .LBB224_1228
; %bb.1225:
	v_cmp_gt_i16_e32 vcc_lo, 3, v22
	s_cbranch_vccnz .LBB224_1229
; %bb.1226:
	v_cmp_lt_i16_e32 vcc_lo, 3, v22
	s_cbranch_vccz .LBB224_1230
; %bb.1227:
	global_load_b64 v[0:1], v[4:5], off
	s_mov_b32 s8, 0
	s_mov_b64 s[0:1], 0
	s_waitcnt vmcnt(0)
	v_cvt_f64_i32_e32 v[1:2], v1
	v_cvt_f64_u32_e32 v[7:8], v0
	s_delay_alu instid0(VALU_DEP_2) | instskip(NEXT) | instid1(VALU_DEP_1)
	v_ldexp_f64 v[1:2], v[1:2], 32
	v_add_f64 v[0:1], v[1:2], v[7:8]
	s_branch .LBB224_1231
.LBB224_1228:
                                        ; implicit-def: $sgpr0_sgpr1
                                        ; implicit-def: $vgpr0_vgpr1
	s_branch .LBB224_1237
.LBB224_1229:
	s_mov_b32 s8, -1
                                        ; implicit-def: $sgpr0_sgpr1
                                        ; implicit-def: $vgpr0_vgpr1
	s_branch .LBB224_1234
.LBB224_1230:
	s_mov_b32 s8, -1
                                        ; implicit-def: $sgpr0_sgpr1
                                        ; implicit-def: $vgpr0_vgpr1
.LBB224_1231:
	s_delay_alu instid0(SALU_CYCLE_1)
	s_and_not1_b32 vcc_lo, exec_lo, s8
	s_cbranch_vccnz .LBB224_1233
; %bb.1232:
	global_load_b32 v0, v[4:5], off
	s_mov_b64 s[0:1], 0
	s_waitcnt vmcnt(0)
	v_cvt_f64_i32_e32 v[0:1], v0
.LBB224_1233:
	s_mov_b32 s8, 0
.LBB224_1234:
	s_delay_alu instid0(SALU_CYCLE_1)
	s_and_not1_b32 vcc_lo, exec_lo, s8
	s_cbranch_vccnz .LBB224_1236
; %bb.1235:
	global_load_i16 v0, v[4:5], off
	s_mov_b64 s[0:1], 0
	s_waitcnt vmcnt(0)
	v_cvt_f64_i32_e32 v[0:1], v0
.LBB224_1236:
	s_cbranch_execnz .LBB224_1242
.LBB224_1237:
	v_cmp_lt_i16_e32 vcc_lo, 0, v22
	s_mov_b32 s8, 0
	s_cbranch_vccz .LBB224_1239
; %bb.1238:
	global_load_i8 v0, v[4:5], off
	s_mov_b64 s[0:1], 0
	s_waitcnt vmcnt(0)
	v_cvt_f64_i32_e32 v[0:1], v0
	s_branch .LBB224_1240
.LBB224_1239:
	s_mov_b32 s8, -1
                                        ; implicit-def: $sgpr0_sgpr1
                                        ; implicit-def: $vgpr0_vgpr1
.LBB224_1240:
	s_delay_alu instid0(SALU_CYCLE_1)
	s_and_not1_b32 vcc_lo, exec_lo, s8
	s_cbranch_vccnz .LBB224_1242
; %bb.1241:
	global_load_u8 v0, v[4:5], off
	s_mov_b64 s[0:1], 0
	s_waitcnt vmcnt(0)
	v_cvt_f64_u32_e32 v[0:1], v0
.LBB224_1242:
	s_waitcnt vmcnt(0)
	v_dual_mov_b32 v3, s1 :: v_dual_mov_b32 v2, s0
                                        ; implicit-def: $vgpr14_vgpr15
	s_branch .LBB224_1314
.LBB224_1243:
	s_trap 2
	s_sendmsg_rtn_b32 s0, sendmsg(MSG_RTN_GET_DOORBELL)
	s_mov_b32 ttmp2, m0
	s_waitcnt lgkmcnt(0)
	s_and_b32 s0, s0, 0x3ff
	s_delay_alu instid0(SALU_CYCLE_1) | instskip(NEXT) | instid1(SALU_CYCLE_1)
	s_bitset1_b32 s0, 10
	s_mov_b32 m0, s0
	s_sendmsg sendmsg(MSG_INTERRUPT)
	s_mov_b32 m0, ttmp2
.LBB224_1244:                           ; =>This Inner Loop Header: Depth=1
	s_sethalt 5
	s_branch .LBB224_1244
.LBB224_1245:
	s_mov_b32 s10, -1
.LBB224_1246:
                                        ; implicit-def: $vgpr2_vgpr3
.LBB224_1247:
	s_and_b32 vcc_lo, exec_lo, s0
	s_cbranch_vccz .LBB224_1252
; %bb.1248:
	v_cmp_eq_u16_e32 vcc_lo, 44, v22
	s_cbranch_vccz .LBB224_1250
; %bb.1249:
	global_load_u8 v2, v[4:5], off
	s_mov_b32 s10, 0
	s_mov_b32 s8, -1
	s_mov_b64 s[0:1], 0
	s_waitcnt vmcnt(0)
	v_cmp_ne_u32_e32 vcc_lo, 0xff, v2
	v_lshlrev_b32_e32 v0, 23, v2
	s_delay_alu instid0(VALU_DEP_1) | instskip(NEXT) | instid1(VALU_DEP_1)
	v_cvt_f64_f32_e32 v[0:1], v0
	v_cndmask_b32_e32 v1, 0x7ff80000, v1, vcc_lo
	s_delay_alu instid0(VALU_DEP_2) | instskip(SKIP_1) | instid1(VALU_DEP_3)
	v_cndmask_b32_e32 v0, 0x20000000, v0, vcc_lo
	v_cmp_ne_u32_e32 vcc_lo, 0, v2
	v_cndmask_b32_e32 v1, 0x38000000, v1, vcc_lo
	s_delay_alu instid0(VALU_DEP_3)
	v_cndmask_b32_e32 v0, 0, v0, vcc_lo
	s_branch .LBB224_1251
.LBB224_1250:
	s_mov_b32 s10, -1
                                        ; implicit-def: $sgpr0_sgpr1
                                        ; implicit-def: $vgpr0_vgpr1
.LBB224_1251:
	v_dual_mov_b32 v3, s1 :: v_dual_mov_b32 v2, s0
.LBB224_1252:
	s_mov_b32 s0, 0
.LBB224_1253:
	s_delay_alu instid0(SALU_CYCLE_1)
	s_and_b32 vcc_lo, exec_lo, s0
	s_cbranch_vccz .LBB224_1258
; %bb.1254:
	v_cmp_eq_u16_e32 vcc_lo, 29, v22
	s_cbranch_vccz .LBB224_1256
; %bb.1255:
	global_load_b64 v[0:1], v[4:5], off
	s_mov_b32 s10, 0
	s_mov_b32 s8, -1
	s_mov_b64 s[0:1], 0
	s_waitcnt vmcnt(0)
	v_cvt_f64_u32_e32 v[1:2], v1
	v_cvt_f64_u32_e32 v[7:8], v0
	s_delay_alu instid0(VALU_DEP_2) | instskip(NEXT) | instid1(VALU_DEP_1)
	v_ldexp_f64 v[1:2], v[1:2], 32
	v_add_f64 v[0:1], v[1:2], v[7:8]
	s_branch .LBB224_1257
.LBB224_1256:
	s_mov_b32 s10, -1
                                        ; implicit-def: $sgpr0_sgpr1
                                        ; implicit-def: $vgpr0_vgpr1
.LBB224_1257:
	v_dual_mov_b32 v3, s1 :: v_dual_mov_b32 v2, s0
.LBB224_1258:
	s_branch .LBB224_1278
.LBB224_1259:
	v_cmp_gt_i16_e32 vcc_lo, 27, v22
	s_cbranch_vccnz .LBB224_1262
; %bb.1260:
	v_cmp_lt_i16_e32 vcc_lo, 27, v22
	s_cbranch_vccz .LBB224_1263
; %bb.1261:
	global_load_b32 v0, v[4:5], off
	s_mov_b32 s8, 0
	s_mov_b64 s[0:1], 0
	s_waitcnt vmcnt(0)
	v_cvt_f64_u32_e32 v[0:1], v0
	s_branch .LBB224_1264
.LBB224_1262:
	s_mov_b32 s8, -1
                                        ; implicit-def: $sgpr0_sgpr1
                                        ; implicit-def: $vgpr0_vgpr1
	s_branch .LBB224_1267
.LBB224_1263:
	s_mov_b32 s8, -1
                                        ; implicit-def: $sgpr0_sgpr1
                                        ; implicit-def: $vgpr0_vgpr1
.LBB224_1264:
	s_delay_alu instid0(SALU_CYCLE_1)
	s_and_not1_b32 vcc_lo, exec_lo, s8
	s_cbranch_vccnz .LBB224_1266
; %bb.1265:
	global_load_u16 v0, v[4:5], off
	s_mov_b64 s[0:1], 0
	s_waitcnt vmcnt(0)
	v_cvt_f64_u32_e32 v[0:1], v0
.LBB224_1266:
	s_mov_b32 s8, 0
.LBB224_1267:
	v_dual_mov_b32 v3, s1 :: v_dual_mov_b32 v2, s0
	s_and_not1_b32 vcc_lo, exec_lo, s8
	s_cbranch_vccnz .LBB224_1277
; %bb.1268:
	global_load_u8 v7, v[4:5], off
	s_mov_b32 s14, 0
	s_mov_b32 s15, exec_lo
                                        ; implicit-def: $sgpr0_sgpr1
                                        ; implicit-def: $sgpr8_sgpr9
	s_waitcnt vmcnt(0)
	v_cmpx_lt_i16_e32 0x7f, v7
	s_xor_b32 s15, exec_lo, s15
	s_cbranch_execz .LBB224_1272
; %bb.1269:
	s_mov_b32 s14, -1
	s_mov_b32 s16, exec_lo
                                        ; implicit-def: $sgpr0_sgpr1
                                        ; implicit-def: $sgpr8_sgpr9
	v_cmpx_eq_u16_e32 0x80, v7
; %bb.1270:
	s_mov_b64 s[0:1], 0
	s_mov_b32 s9, 0x7ff80000
	s_brev_b32 s8, 4
	s_xor_b32 s14, exec_lo, -1
; %bb.1271:
	s_or_b32 exec_lo, exec_lo, s16
	s_delay_alu instid0(SALU_CYCLE_1)
	s_and_b32 s14, s14, exec_lo
.LBB224_1272:
	s_or_saveexec_b32 s15, s15
	v_dual_mov_b32 v3, s1 :: v_dual_mov_b32 v2, s0
	v_dual_mov_b32 v0, s8 :: v_dual_mov_b32 v1, s9
	s_xor_b32 exec_lo, exec_lo, s15
; %bb.1273:
	v_mov_b32_e32 v2, 0
	v_mov_b32_e32 v3, 0
	v_cmp_ne_u16_e32 vcc_lo, 0, v7
	s_delay_alu instid0(VALU_DEP_3) | instskip(SKIP_1) | instid1(VALU_DEP_3)
	v_mov_b32_e32 v0, v2
	s_and_not1_b32 s0, s14, exec_lo
	v_mov_b32_e32 v1, v3
	s_and_b32 s1, vcc_lo, exec_lo
	s_delay_alu instid0(SALU_CYCLE_1)
	s_or_b32 s14, s0, s1
; %bb.1274:
	s_or_b32 exec_lo, exec_lo, s15
	s_and_saveexec_b32 s0, s14
	s_cbranch_execz .LBB224_1276
; %bb.1275:
	v_and_b32_e32 v0, 0xffff, v7
	v_lshlrev_b32_e32 v7, 24, v7
	s_delay_alu instid0(VALU_DEP_2) | instskip(NEXT) | instid1(VALU_DEP_1)
	v_and_b32_e32 v1, 7, v0
	v_clz_i32_u32_e32 v2, v1
	s_delay_alu instid0(VALU_DEP_1) | instskip(NEXT) | instid1(VALU_DEP_1)
	v_min_u32_e32 v2, 32, v2
	v_subrev_nc_u32_e32 v3, 28, v2
	v_sub_nc_u32_e32 v2, 29, v2
	s_delay_alu instid0(VALU_DEP_2) | instskip(SKIP_1) | instid1(VALU_DEP_2)
	v_lshlrev_b32_e32 v3, v3, v0
	v_bfe_u32 v0, v0, 3, 4
	v_and_b32_e32 v3, 7, v3
	s_delay_alu instid0(VALU_DEP_2) | instskip(NEXT) | instid1(VALU_DEP_2)
	v_cmp_eq_u32_e32 vcc_lo, 0, v0
	v_dual_cndmask_b32 v0, v0, v2 :: v_dual_cndmask_b32 v1, v1, v3
	v_and_b32_e32 v2, 0x80000000, v7
	s_delay_alu instid0(VALU_DEP_2) | instskip(NEXT) | instid1(VALU_DEP_3)
	v_lshl_add_u32 v0, v0, 23, 0x3b800000
	v_lshlrev_b32_e32 v1, 20, v1
	s_delay_alu instid0(VALU_DEP_1) | instskip(SKIP_2) | instid1(VALU_DEP_3)
	v_or3_b32 v0, v2, v0, v1
	v_mov_b32_e32 v2, 0
	v_mov_b32_e32 v3, 0
	v_cvt_f64_f32_e32 v[0:1], v0
.LBB224_1276:
	s_or_b32 exec_lo, exec_lo, s0
.LBB224_1277:
	s_mov_b32 s8, -1
.LBB224_1278:
	s_branch .LBB224_1309
.LBB224_1279:
	v_cmp_lt_i16_e32 vcc_lo, 22, v22
	s_cbranch_vccz .LBB224_1291
; %bb.1280:
	v_cmp_gt_i16_e32 vcc_lo, 24, v22
	s_cbranch_vccnz .LBB224_1292
; %bb.1281:
	v_cmp_lt_i16_e32 vcc_lo, 24, v22
	s_cbranch_vccz .LBB224_1293
; %bb.1282:
	global_load_u8 v7, v[4:5], off
	s_mov_b32 s14, exec_lo
                                        ; implicit-def: $sgpr0_sgpr1
                                        ; implicit-def: $sgpr8_sgpr9
	s_waitcnt vmcnt(0)
	v_cmpx_lt_i16_e32 0x7f, v7
	s_xor_b32 s14, exec_lo, s14
	s_cbranch_execz .LBB224_1286
; %bb.1283:
	s_mov_b32 s13, -1
	s_mov_b32 s15, exec_lo
                                        ; implicit-def: $sgpr0_sgpr1
                                        ; implicit-def: $sgpr8_sgpr9
	v_cmpx_eq_u16_e32 0x80, v7
; %bb.1284:
	s_mov_b64 s[0:1], 0
	s_mov_b32 s9, 0x7ff80000
	s_brev_b32 s8, 4
	s_xor_b32 s13, exec_lo, -1
; %bb.1285:
	s_or_b32 exec_lo, exec_lo, s15
	s_delay_alu instid0(SALU_CYCLE_1)
	s_and_b32 s13, s13, exec_lo
.LBB224_1286:
	s_or_saveexec_b32 s14, s14
	v_dual_mov_b32 v3, s1 :: v_dual_mov_b32 v2, s0
	v_dual_mov_b32 v0, s8 :: v_dual_mov_b32 v1, s9
	s_xor_b32 exec_lo, exec_lo, s14
; %bb.1287:
	v_mov_b32_e32 v2, 0
	v_mov_b32_e32 v3, 0
	v_cmp_ne_u16_e32 vcc_lo, 0, v7
	s_delay_alu instid0(VALU_DEP_3) | instskip(SKIP_1) | instid1(VALU_DEP_3)
	v_mov_b32_e32 v0, v2
	s_and_not1_b32 s0, s13, exec_lo
	v_mov_b32_e32 v1, v3
	s_and_b32 s1, vcc_lo, exec_lo
	s_delay_alu instid0(SALU_CYCLE_1)
	s_or_b32 s13, s0, s1
; %bb.1288:
	s_or_b32 exec_lo, exec_lo, s14
	s_and_saveexec_b32 s0, s13
	s_cbranch_execz .LBB224_1290
; %bb.1289:
	v_and_b32_e32 v0, 0xffff, v7
	v_lshlrev_b32_e32 v7, 24, v7
	s_delay_alu instid0(VALU_DEP_2) | instskip(NEXT) | instid1(VALU_DEP_1)
	v_and_b32_e32 v1, 3, v0
	v_clz_i32_u32_e32 v2, v1
	s_delay_alu instid0(VALU_DEP_1) | instskip(NEXT) | instid1(VALU_DEP_1)
	v_min_u32_e32 v2, 32, v2
	v_subrev_nc_u32_e32 v3, 29, v2
	v_sub_nc_u32_e32 v2, 30, v2
	s_delay_alu instid0(VALU_DEP_2) | instskip(SKIP_1) | instid1(VALU_DEP_2)
	v_lshlrev_b32_e32 v3, v3, v0
	v_bfe_u32 v0, v0, 2, 5
	v_and_b32_e32 v3, 3, v3
	s_delay_alu instid0(VALU_DEP_2) | instskip(NEXT) | instid1(VALU_DEP_2)
	v_cmp_eq_u32_e32 vcc_lo, 0, v0
	v_dual_cndmask_b32 v0, v0, v2 :: v_dual_cndmask_b32 v1, v1, v3
	v_and_b32_e32 v2, 0x80000000, v7
	s_delay_alu instid0(VALU_DEP_2) | instskip(NEXT) | instid1(VALU_DEP_3)
	v_lshl_add_u32 v0, v0, 23, 0x37800000
	v_lshlrev_b32_e32 v1, 21, v1
	s_delay_alu instid0(VALU_DEP_1) | instskip(SKIP_2) | instid1(VALU_DEP_3)
	v_or3_b32 v0, v2, v0, v1
	v_mov_b32_e32 v2, 0
	v_mov_b32_e32 v3, 0
	v_cvt_f64_f32_e32 v[0:1], v0
.LBB224_1290:
	s_or_b32 exec_lo, exec_lo, s0
	s_mov_b32 s0, 0
	s_branch .LBB224_1294
.LBB224_1291:
                                        ; implicit-def: $vgpr2_vgpr3
	s_mov_b32 s13, 0
	s_branch .LBB224_1300
.LBB224_1292:
	s_mov_b32 s0, -1
                                        ; implicit-def: $vgpr2_vgpr3
	s_branch .LBB224_1297
.LBB224_1293:
	s_mov_b32 s0, -1
                                        ; implicit-def: $vgpr2_vgpr3
.LBB224_1294:
	s_delay_alu instid0(SALU_CYCLE_1)
	s_and_b32 vcc_lo, exec_lo, s0
	s_cbranch_vccz .LBB224_1296
; %bb.1295:
	global_load_u8 v0, v[4:5], off
	s_waitcnt vmcnt(0)
	v_lshlrev_b32_e32 v0, 24, v0
	s_delay_alu instid0(VALU_DEP_1) | instskip(NEXT) | instid1(VALU_DEP_1)
	v_and_b32_e32 v1, 0x7f000000, v0
	v_clz_i32_u32_e32 v2, v1
	v_add_nc_u32_e32 v7, 0x1000000, v1
	v_cmp_ne_u32_e32 vcc_lo, 0, v1
	s_delay_alu instid0(VALU_DEP_3) | instskip(NEXT) | instid1(VALU_DEP_1)
	v_min_u32_e32 v2, 32, v2
	v_sub_nc_u32_e64 v2, v2, 4 clamp
	s_delay_alu instid0(VALU_DEP_1) | instskip(SKIP_1) | instid1(VALU_DEP_2)
	v_lshlrev_b32_e32 v3, v2, v1
	v_lshlrev_b32_e32 v2, 23, v2
	v_lshrrev_b32_e32 v3, 4, v3
	s_delay_alu instid0(VALU_DEP_1) | instskip(SKIP_1) | instid1(VALU_DEP_2)
	v_sub_nc_u32_e32 v2, v3, v2
	v_ashrrev_i32_e32 v3, 8, v7
	v_add_nc_u32_e32 v2, 0x3c000000, v2
	s_delay_alu instid0(VALU_DEP_1) | instskip(NEXT) | instid1(VALU_DEP_1)
	v_and_or_b32 v2, 0x7f800000, v3, v2
	v_dual_cndmask_b32 v1, 0, v2 :: v_dual_mov_b32 v2, 0
	v_mov_b32_e32 v3, 0
	s_delay_alu instid0(VALU_DEP_2) | instskip(NEXT) | instid1(VALU_DEP_1)
	v_and_or_b32 v0, 0x80000000, v0, v1
	v_cvt_f64_f32_e32 v[0:1], v0
.LBB224_1296:
	s_mov_b32 s0, 0
.LBB224_1297:
	s_delay_alu instid0(SALU_CYCLE_1)
	s_and_not1_b32 vcc_lo, exec_lo, s0
	s_cbranch_vccnz .LBB224_1299
; %bb.1298:
	global_load_u8 v0, v[4:5], off
	s_waitcnt vmcnt(0)
	v_lshlrev_b32_e32 v1, 25, v0
	v_lshlrev_b16 v0, 8, v0
	s_delay_alu instid0(VALU_DEP_2) | instskip(NEXT) | instid1(VALU_DEP_2)
	v_lshrrev_b32_e32 v2, 4, v1
	v_and_or_b32 v3, 0x7f00, v0, 0.5
	v_bfe_i32 v0, v0, 0, 16
	s_delay_alu instid0(VALU_DEP_3) | instskip(NEXT) | instid1(VALU_DEP_1)
	v_or_b32_e32 v2, 0x70000000, v2
	v_dual_add_f32 v3, -0.5, v3 :: v_dual_mul_f32 v2, 0x7800000, v2
	v_cmp_gt_u32_e32 vcc_lo, 0x8000000, v1
	s_delay_alu instid0(VALU_DEP_2) | instskip(SKIP_1) | instid1(VALU_DEP_2)
	v_dual_cndmask_b32 v1, v2, v3 :: v_dual_mov_b32 v2, 0
	v_mov_b32_e32 v3, 0
	v_and_or_b32 v0, 0x80000000, v0, v1
	s_delay_alu instid0(VALU_DEP_1)
	v_cvt_f64_f32_e32 v[0:1], v0
.LBB224_1299:
	s_mov_b32 s8, -1
	s_mov_b32 s13, 0
	s_cbranch_execnz .LBB224_1309
.LBB224_1300:
	v_cmp_lt_i16_e32 vcc_lo, 14, v22
	s_cbranch_vccz .LBB224_1303
; %bb.1301:
	v_cmp_eq_u16_e32 vcc_lo, 15, v22
	s_cbranch_vccz .LBB224_1304
; %bb.1302:
	global_load_u16 v0, v[4:5], off
	s_mov_b32 s10, 0
	s_mov_b32 s8, -1
	s_mov_b64 s[0:1], 0
	s_waitcnt vmcnt(0)
	v_lshlrev_b32_e32 v0, 16, v0
	s_delay_alu instid0(VALU_DEP_1)
	v_cvt_f64_f32_e32 v[0:1], v0
	s_branch .LBB224_1305
.LBB224_1303:
	s_mov_b32 s9, -1
                                        ; implicit-def: $sgpr0_sgpr1
                                        ; implicit-def: $vgpr0_vgpr1
	s_branch .LBB224_1306
.LBB224_1304:
	s_mov_b32 s10, -1
                                        ; implicit-def: $sgpr0_sgpr1
                                        ; implicit-def: $vgpr0_vgpr1
.LBB224_1305:
	s_mov_b32 s9, 0
.LBB224_1306:
	s_delay_alu instid0(SALU_CYCLE_1)
	s_and_b32 vcc_lo, exec_lo, s9
	s_cbranch_vccz .LBB224_1308
; %bb.1307:
	v_cmp_ne_u16_e64 s10, 11, v22
	s_mov_b32 s13, -1
                                        ; implicit-def: $sgpr0_sgpr1
                                        ; implicit-def: $vgpr0_vgpr1
.LBB224_1308:
	v_dual_mov_b32 v3, s1 :: v_dual_mov_b32 v2, s0
.LBB224_1309:
	s_delay_alu instid0(VALU_DEP_2)
	s_and_b32 vcc_lo, exec_lo, s10
	s_mov_b32 s10, s12
	s_cbranch_vccnz .LBB224_1366
; %bb.1310:
	s_and_not1_b32 vcc_lo, exec_lo, s13
	s_cbranch_vccnz .LBB224_1312
.LBB224_1311:
	global_load_u8 v0, v[4:5], off
	v_mov_b32_e32 v2, 0
	v_mov_b32_e32 v3, 0
	s_mov_b32 s8, -1
	s_waitcnt vmcnt(0)
	v_cmp_ne_u16_e32 vcc_lo, 0, v0
	v_mov_b32_e32 v0, 0
	v_cndmask_b32_e64 v1, 0, 0x3ff00000, vcc_lo
.LBB224_1312:
.LBB224_1313:
	s_and_not1_b32 vcc_lo, exec_lo, s8
                                        ; implicit-def: $vgpr14_vgpr15
	s_cbranch_vccnz .LBB224_1843
.LBB224_1314:
	s_waitcnt vmcnt(0)
	s_delay_alu instid0(VALU_DEP_1) | instskip(NEXT) | instid1(VALU_DEP_2)
	v_cmp_neq_f64_e32 vcc_lo, 0, v[0:1]
	v_cmp_neq_f64_e64 s0, 0, v[2:3]
	v_mov_b32_e32 v8, 0
	v_mov_b32_e32 v9, 0
	s_delay_alu instid0(VALU_DEP_3) | instskip(NEXT) | instid1(SALU_CYCLE_1)
	s_or_b32 s0, vcc_lo, s0
	s_and_saveexec_b32 s8, s0
	s_cbranch_execz .LBB224_1346
; %bb.1315:
	s_mov_b32 s0, 0
	s_mov_b32 s1, 0x7ff00000
	v_mov_b32_e32 v8, s0
	v_mov_b32_e32 v9, s1
	s_mov_b32 s9, exec_lo
	v_cmpx_neq_f64_e64 0x7ff00000, |v[2:3]|
	s_cbranch_execz .LBB224_1345
; %bb.1316:
	s_mov_b32 s0, exec_lo
	v_cmpx_o_f64_e32 v[0:1], v[0:1]
	s_xor_b32 s13, exec_lo, s0
	s_cbranch_execz .LBB224_1342
; %bb.1317:
	s_mov_b32 s1, exec_lo
	v_cmpx_neq_f64_e64 0x7ff00000, |v[0:1]|
	s_xor_b32 s14, exec_lo, s1
	s_cbranch_execz .LBB224_1335
; %bb.1318:
	v_max_f64 v[4:5], |v[2:3]|, |v[2:3]|
	v_max_f64 v[7:8], |v[0:1]|, |v[0:1]|
	s_mov_b32 s0, 0x99fcef32
	s_mov_b32 s1, 0x7fda8279
                                        ; implicit-def: $sgpr15
	s_delay_alu instid0(VALU_DEP_1) | instskip(NEXT) | instid1(VALU_DEP_1)
	v_max_f64 v[4:5], v[7:8], v[4:5]
	v_cmp_nle_f64_e64 s0, s[0:1], v[4:5]
	s_delay_alu instid0(VALU_DEP_1) | instskip(NEXT) | instid1(SALU_CYCLE_1)
	s_and_saveexec_b32 s1, s0
	s_xor_b32 s1, exec_lo, s1
	s_cbranch_execz .LBB224_1322
; %bb.1319:
	v_cmp_ge_f64_e64 s15, 0x200000, |v[0:1]|
	v_cmp_ge_f64_e64 s16, 0x200000, |v[2:3]|
	s_delay_alu instid0(VALU_DEP_1)
	s_and_b32 s17, s15, s16
	s_mov_b32 s15, 0
	s_and_saveexec_b32 s16, s17
; %bb.1320:
	v_mul_f64 v[0:1], v[0:1], 4.0
	v_mul_f64 v[2:3], v[2:3], 4.0
	s_mov_b32 s15, exec_lo
; %bb.1321:
	s_or_b32 exec_lo, exec_lo, s16
	s_delay_alu instid0(SALU_CYCLE_1)
	s_and_b32 s15, s15, exec_lo
.LBB224_1322:
	s_and_not1_saveexec_b32 s1, s1
; %bb.1323:
	s_delay_alu instid0(VALU_DEP_2) | instskip(NEXT) | instid1(VALU_DEP_2)
	v_ldexp_f64 v[0:1], v[0:1], -2
	v_ldexp_f64 v[2:3], v[2:3], -2
	s_and_not1_b32 s15, s15, exec_lo
; %bb.1324:
	s_or_b32 exec_lo, exec_lo, s1
	s_delay_alu instid0(VALU_DEP_1) | instskip(NEXT) | instid1(VALU_DEP_3)
	v_max_f64 v[4:5], |v[2:3]|, |v[2:3]|
	v_max_f64 v[7:8], |v[0:1]|, |v[0:1]|
	v_cmp_class_f64_e64 s16, v[0:1], 0x204
	v_cmp_class_f64_e64 s17, v[2:3], 0x204
	v_cmp_le_f64_e64 s1, 0, v[0:1]
	s_delay_alu instid0(VALU_DEP_4) | instskip(NEXT) | instid1(VALU_DEP_3)
	v_max_f64 v[4:5], v[7:8], v[4:5]
	s_or_b32 s16, s17, s16
	s_delay_alu instid0(VALU_DEP_1) | instskip(NEXT) | instid1(VALU_DEP_1)
	v_frexp_exp_i32_f64_e32 v13, v[4:5]
	v_sub_nc_u32_e32 v7, 0, v13
	s_delay_alu instid0(VALU_DEP_1) | instskip(SKIP_1) | instid1(VALU_DEP_2)
	v_ldexp_f64 v[4:5], |v[2:3]|, v7
	v_ldexp_f64 v[7:8], |v[0:1]|, v7
	v_mul_f64 v[4:5], v[4:5], v[4:5]
	s_delay_alu instid0(VALU_DEP_1) | instskip(NEXT) | instid1(VALU_DEP_1)
	v_fma_f64 v[4:5], v[7:8], v[7:8], v[4:5]
	v_rsq_f64_e32 v[7:8], v[4:5]
	v_cmp_eq_f64_e32 vcc_lo, 0, v[4:5]
	s_waitcnt_depctr 0xfff
	v_mul_f64 v[9:10], v[4:5], v[7:8]
	v_mul_f64 v[7:8], v[7:8], 0.5
	s_delay_alu instid0(VALU_DEP_1) | instskip(NEXT) | instid1(VALU_DEP_1)
	v_fma_f64 v[11:12], -v[7:8], v[9:10], 0.5
	v_fma_f64 v[9:10], v[9:10], v[11:12], v[9:10]
	v_fma_f64 v[7:8], v[7:8], v[11:12], v[7:8]
	s_delay_alu instid0(VALU_DEP_2) | instskip(NEXT) | instid1(VALU_DEP_1)
	v_fma_f64 v[11:12], -v[9:10], v[9:10], v[4:5]
	v_fma_f64 v[7:8], v[11:12], v[7:8], v[9:10]
	s_delay_alu instid0(VALU_DEP_1) | instskip(SKIP_1) | instid1(VALU_DEP_2)
	v_dual_cndmask_b32 v5, v8, v5 :: v_dual_cndmask_b32 v4, v7, v4
	v_cmp_o_f64_e32 vcc_lo, v[2:3], v[2:3]
	v_ldexp_f64 v[4:5], v[4:5], v13
	s_delay_alu instid0(VALU_DEP_1) | instskip(NEXT) | instid1(VALU_DEP_2)
	v_cndmask_b32_e32 v4, 0, v4, vcc_lo
	v_cndmask_b32_e32 v5, 0x7ff80000, v5, vcc_lo
	s_delay_alu instid0(VALU_DEP_2) | instskip(NEXT) | instid1(VALU_DEP_2)
	v_cndmask_b32_e64 v4, v4, 0, s16
	v_cndmask_b32_e64 v5, v5, 0x7ff00000, s16
	s_and_saveexec_b32 s16, s1
	s_delay_alu instid0(SALU_CYCLE_1)
	s_xor_b32 s1, exec_lo, s16
	s_cbranch_execz .LBB224_1330
; %bb.1325:
	s_delay_alu instid0(VALU_DEP_1) | instskip(NEXT) | instid1(VALU_DEP_1)
	v_add_f64 v[0:1], v[0:1], v[4:5]
	v_mul_f64 v[0:1], v[0:1], 0.5
	s_delay_alu instid0(VALU_DEP_1) | instskip(SKIP_1) | instid1(VALU_DEP_1)
	v_cmp_gt_f64_e32 vcc_lo, 0x10000000, v[0:1]
	v_cndmask_b32_e64 v4, 0, 1, vcc_lo
	v_lshlrev_b32_e32 v4, 8, v4
	s_delay_alu instid0(VALU_DEP_1) | instskip(NEXT) | instid1(VALU_DEP_1)
	v_ldexp_f64 v[0:1], v[0:1], v4
	v_rsq_f64_e32 v[4:5], v[0:1]
	s_waitcnt_depctr 0xfff
	v_mul_f64 v[7:8], v[0:1], v[4:5]
	v_mul_f64 v[4:5], v[4:5], 0.5
	s_delay_alu instid0(VALU_DEP_1) | instskip(NEXT) | instid1(VALU_DEP_1)
	v_fma_f64 v[9:10], -v[4:5], v[7:8], 0.5
	v_fma_f64 v[7:8], v[7:8], v[9:10], v[7:8]
	v_fma_f64 v[4:5], v[4:5], v[9:10], v[4:5]
	s_delay_alu instid0(VALU_DEP_2) | instskip(NEXT) | instid1(VALU_DEP_1)
	v_fma_f64 v[9:10], -v[7:8], v[7:8], v[0:1]
	v_fma_f64 v[7:8], v[9:10], v[4:5], v[7:8]
	s_delay_alu instid0(VALU_DEP_1) | instskip(NEXT) | instid1(VALU_DEP_1)
	v_fma_f64 v[9:10], -v[7:8], v[7:8], v[0:1]
	v_fma_f64 v[4:5], v[9:10], v[4:5], v[7:8]
	v_cndmask_b32_e64 v7, 0, 0xffffff80, vcc_lo
	v_cmp_class_f64_e64 vcc_lo, v[0:1], 0x260
	s_delay_alu instid0(VALU_DEP_2) | instskip(NEXT) | instid1(VALU_DEP_1)
	v_ldexp_f64 v[4:5], v[4:5], v7
	v_dual_cndmask_b32 v1, v5, v1 :: v_dual_cndmask_b32 v0, v4, v0
	s_delay_alu instid0(VALU_DEP_1) | instskip(NEXT) | instid1(VALU_DEP_1)
	v_add_f64 v[4:5], v[0:1], v[0:1]
	v_div_scale_f64 v[7:8], null, v[4:5], v[4:5], v[2:3]
	s_delay_alu instid0(VALU_DEP_1) | instskip(SKIP_2) | instid1(VALU_DEP_1)
	v_rcp_f64_e32 v[9:10], v[7:8]
	s_waitcnt_depctr 0xfff
	v_fma_f64 v[11:12], -v[7:8], v[9:10], 1.0
	v_fma_f64 v[9:10], v[9:10], v[11:12], v[9:10]
	s_delay_alu instid0(VALU_DEP_1) | instskip(NEXT) | instid1(VALU_DEP_1)
	v_fma_f64 v[11:12], -v[7:8], v[9:10], 1.0
	v_fma_f64 v[9:10], v[9:10], v[11:12], v[9:10]
	v_div_scale_f64 v[11:12], vcc_lo, v[2:3], v[4:5], v[2:3]
	s_delay_alu instid0(VALU_DEP_1) | instskip(NEXT) | instid1(VALU_DEP_1)
	v_mul_f64 v[13:14], v[11:12], v[9:10]
	v_fma_f64 v[7:8], -v[7:8], v[13:14], v[11:12]
	s_delay_alu instid0(VALU_DEP_1) | instskip(NEXT) | instid1(VALU_DEP_1)
	v_div_fmas_f64 v[7:8], v[7:8], v[9:10], v[13:14]
	v_div_fixup_f64 v[2:3], v[7:8], v[4:5], v[2:3]
                                        ; implicit-def: $vgpr4_vgpr5
	s_and_not1_saveexec_b32 s1, s1
	s_cbranch_execnz .LBB224_1331
.LBB224_1326:
	s_or_b32 exec_lo, exec_lo, s1
	s_and_saveexec_b32 s1, s0
	s_delay_alu instid0(SALU_CYCLE_1)
	s_xor_b32 s0, exec_lo, s1
	s_cbranch_execz .LBB224_1332
.LBB224_1327:
	s_and_saveexec_b32 s1, s15
; %bb.1328:
	s_delay_alu instid0(VALU_DEP_2) | instskip(NEXT) | instid1(VALU_DEP_2)
	v_mul_f64 v[0:1], v[0:1], 0.5
	v_mul_f64 v[2:3], v[2:3], 0.5
; %bb.1329:
	s_or_b32 exec_lo, exec_lo, s1
	s_and_not1_saveexec_b32 s0, s0
	s_cbranch_execnz .LBB224_1333
	s_branch .LBB224_1334
.LBB224_1330:
	s_and_not1_saveexec_b32 s1, s1
	s_cbranch_execz .LBB224_1326
.LBB224_1331:
	v_add_f64 v[0:1], v[4:5], -v[0:1]
	s_delay_alu instid0(VALU_DEP_1) | instskip(NEXT) | instid1(VALU_DEP_1)
	v_mul_f64 v[0:1], v[0:1], 0.5
	v_cmp_gt_f64_e32 vcc_lo, 0x10000000, v[0:1]
	v_cndmask_b32_e64 v4, 0, 1, vcc_lo
	s_delay_alu instid0(VALU_DEP_1) | instskip(NEXT) | instid1(VALU_DEP_1)
	v_lshlrev_b32_e32 v4, 8, v4
	v_ldexp_f64 v[0:1], v[0:1], v4
	s_delay_alu instid0(VALU_DEP_1) | instskip(SKIP_3) | instid1(VALU_DEP_1)
	v_rsq_f64_e32 v[4:5], v[0:1]
	s_waitcnt_depctr 0xfff
	v_mul_f64 v[7:8], v[0:1], v[4:5]
	v_mul_f64 v[4:5], v[4:5], 0.5
	v_fma_f64 v[9:10], -v[4:5], v[7:8], 0.5
	s_delay_alu instid0(VALU_DEP_1) | instskip(SKIP_1) | instid1(VALU_DEP_2)
	v_fma_f64 v[7:8], v[7:8], v[9:10], v[7:8]
	v_fma_f64 v[4:5], v[4:5], v[9:10], v[4:5]
	v_fma_f64 v[9:10], -v[7:8], v[7:8], v[0:1]
	s_delay_alu instid0(VALU_DEP_1) | instskip(NEXT) | instid1(VALU_DEP_1)
	v_fma_f64 v[7:8], v[9:10], v[4:5], v[7:8]
	v_fma_f64 v[9:10], -v[7:8], v[7:8], v[0:1]
	s_delay_alu instid0(VALU_DEP_1) | instskip(SKIP_2) | instid1(VALU_DEP_2)
	v_fma_f64 v[4:5], v[9:10], v[4:5], v[7:8]
	v_cndmask_b32_e64 v7, 0, 0xffffff80, vcc_lo
	v_cmp_class_f64_e64 vcc_lo, v[0:1], 0x260
	v_ldexp_f64 v[4:5], v[4:5], v7
	v_mov_b32_e32 v7, v2
	s_delay_alu instid0(VALU_DEP_2) | instskip(NEXT) | instid1(VALU_DEP_1)
	v_dual_cndmask_b32 v5, v5, v1 :: v_dual_cndmask_b32 v4, v4, v0
	v_add_f64 v[0:1], v[4:5], v[4:5]
	v_bfi_b32 v5, 0x7fffffff, v5, v3
	v_and_b32_e32 v8, 0x7fffffff, v3
	s_delay_alu instid0(VALU_DEP_1) | instskip(SKIP_1) | instid1(VALU_DEP_2)
	v_div_scale_f64 v[9:10], null, v[0:1], v[0:1], v[7:8]
	v_div_scale_f64 v[7:8], vcc_lo, v[7:8], v[0:1], v[7:8]
	v_rcp_f64_e32 v[11:12], v[9:10]
	s_waitcnt_depctr 0xfff
	v_fma_f64 v[13:14], -v[9:10], v[11:12], 1.0
	s_delay_alu instid0(VALU_DEP_1) | instskip(NEXT) | instid1(VALU_DEP_1)
	v_fma_f64 v[11:12], v[11:12], v[13:14], v[11:12]
	v_fma_f64 v[13:14], -v[9:10], v[11:12], 1.0
	s_delay_alu instid0(VALU_DEP_1) | instskip(NEXT) | instid1(VALU_DEP_1)
	v_fma_f64 v[11:12], v[11:12], v[13:14], v[11:12]
	v_mul_f64 v[13:14], v[7:8], v[11:12]
	s_delay_alu instid0(VALU_DEP_1) | instskip(NEXT) | instid1(VALU_DEP_1)
	v_fma_f64 v[7:8], -v[9:10], v[13:14], v[7:8]
	v_div_fmas_f64 v[7:8], v[7:8], v[11:12], v[13:14]
	s_delay_alu instid0(VALU_DEP_1) | instskip(SKIP_3) | instid1(SALU_CYCLE_1)
	v_div_fixup_f64 v[0:1], v[7:8], v[0:1], |v[2:3]|
	v_dual_mov_b32 v2, v4 :: v_dual_mov_b32 v3, v5
	s_or_b32 exec_lo, exec_lo, s1
	s_and_saveexec_b32 s1, s0
	s_xor_b32 s0, exec_lo, s1
	s_cbranch_execnz .LBB224_1327
.LBB224_1332:
	s_and_not1_saveexec_b32 s0, s0
.LBB224_1333:
	s_delay_alu instid0(VALU_DEP_2) | instskip(NEXT) | instid1(VALU_DEP_2)
	v_add_f64 v[0:1], v[0:1], v[0:1]
	v_add_f64 v[2:3], v[2:3], v[2:3]
.LBB224_1334:
	s_or_b32 exec_lo, exec_lo, s0
.LBB224_1335:
	s_and_not1_saveexec_b32 s0, s14
	s_cbranch_execz .LBB224_1341
; %bb.1336:
	s_delay_alu instid0(VALU_DEP_1) | instskip(SKIP_1) | instid1(VALU_DEP_3)
	v_add_f64 v[4:5], v[2:3], -v[2:3]
	s_mov_b32 s1, exec_lo
	v_cmpx_lt_i64_e32 -1, v[0:1]
	s_xor_b32 s1, exec_lo, s1
; %bb.1337:
	s_delay_alu instid0(VALU_DEP_2) | instskip(NEXT) | instid1(VALU_DEP_1)
	v_bfi_b32 v5, 0x7fffffff, v5, v3
	v_dual_mov_b32 v2, v4 :: v_dual_mov_b32 v3, v5
                                        ; implicit-def: $vgpr4_vgpr5
; %bb.1338:
	s_and_not1_saveexec_b32 s1, s1
; %bb.1339:
	s_delay_alu instid0(VALU_DEP_1) | instskip(SKIP_1) | instid1(VALU_DEP_2)
	v_bfi_b32 v1, 0x7fffffff, v1, v3
	v_and_b32_e32 v5, 0x7fffffff, v5
	v_dual_mov_b32 v3, v1 :: v_dual_mov_b32 v2, v0
	s_delay_alu instid0(VALU_DEP_2)
	v_dual_mov_b32 v0, v4 :: v_dual_mov_b32 v1, v5
; %bb.1340:
	s_or_b32 exec_lo, exec_lo, s1
.LBB224_1341:
	s_delay_alu instid0(SALU_CYCLE_1)
	s_or_b32 exec_lo, exec_lo, s0
.LBB224_1342:
	s_and_not1_saveexec_b32 s0, s13
; %bb.1343:
	s_delay_alu instid0(VALU_DEP_1) | instskip(NEXT) | instid1(VALU_DEP_1)
	v_add_f64 v[2:3], v[2:3], -v[2:3]
	v_div_scale_f64 v[4:5], vcc_lo, v[2:3], v[2:3], v[2:3]
	s_delay_alu instid0(VALU_DEP_1) | instskip(SKIP_2) | instid1(VALU_DEP_1)
	v_rcp_f64_e32 v[7:8], v[4:5]
	s_waitcnt_depctr 0xfff
	v_fma_f64 v[9:10], -v[4:5], v[7:8], 1.0
	v_fma_f64 v[7:8], v[7:8], v[9:10], v[7:8]
	s_delay_alu instid0(VALU_DEP_1) | instskip(NEXT) | instid1(VALU_DEP_1)
	v_fma_f64 v[9:10], -v[4:5], v[7:8], 1.0
	v_fma_f64 v[7:8], v[7:8], v[9:10], v[7:8]
	s_delay_alu instid0(VALU_DEP_1) | instskip(NEXT) | instid1(VALU_DEP_1)
	v_mul_f64 v[9:10], v[4:5], v[7:8]
	v_fma_f64 v[4:5], -v[4:5], v[9:10], v[4:5]
	s_delay_alu instid0(VALU_DEP_1) | instskip(NEXT) | instid1(VALU_DEP_1)
	v_div_fmas_f64 v[4:5], v[4:5], v[7:8], v[9:10]
	v_div_fixup_f64 v[2:3], v[4:5], v[2:3], v[2:3]
; %bb.1344:
	s_or_b32 exec_lo, exec_lo, s0
	v_dual_mov_b32 v9, v1 :: v_dual_mov_b32 v8, v0
.LBB224_1345:
	s_or_b32 exec_lo, exec_lo, s9
.LBB224_1346:
	s_delay_alu instid0(SALU_CYCLE_1) | instskip(SKIP_3) | instid1(VALU_DEP_1)
	s_or_b32 exec_lo, exec_lo, s8
	s_lshl_b32 s3, s3, 7
	v_cmp_gt_i16_e32 vcc_lo, 11, v22
	v_add_nc_u32_e32 v10, s3, v6
	v_ashrrev_i32_e32 v1, 31, v10
	v_add_co_u32 v0, s0, s6, v10
	s_delay_alu instid0(VALU_DEP_1)
	v_add_co_ci_u32_e64 v1, s0, s7, v1, s0
	s_cbranch_vccnz .LBB224_1353
; %bb.1347:
	v_cmp_lt_i16_e32 vcc_lo, 25, v22
	s_mov_b32 s14, 0
	s_cbranch_vccz .LBB224_1359
; %bb.1348:
	v_cmp_lt_i16_e32 vcc_lo, 28, v22
	s_cbranch_vccz .LBB224_1362
; %bb.1349:
	v_cmp_lt_i16_e32 vcc_lo, 43, v22
	;; [unrolled: 3-line block ×3, first 2 shown]
	s_cbranch_vccz .LBB224_1370
; %bb.1351:
	v_cmp_eq_u16_e32 vcc_lo, 46, v22
	s_mov_b32 s0, 0
	s_cbranch_vccz .LBB224_1415
; %bb.1352:
	global_load_b32 v4, v[0:1], off
	s_mov_b32 s13, 0
	s_mov_b32 s8, -1
	s_waitcnt vmcnt(0)
	v_lshlrev_b32_e32 v5, 16, v4
	v_and_b32_e32 v6, 0xffff0000, v4
	s_delay_alu instid0(VALU_DEP_2) | instskip(NEXT) | instid1(VALU_DEP_2)
	v_cvt_f64_f32_e32 v[4:5], v5
	v_cvt_f64_f32_e32 v[6:7], v6
	s_branch .LBB224_1417
.LBB224_1353:
	s_mov_b32 s8, 0
                                        ; implicit-def: $vgpr6_vgpr7
	s_cbranch_execz .LBB224_1485
; %bb.1354:
	v_cmp_gt_i16_e32 vcc_lo, 5, v22
	s_cbranch_vccnz .LBB224_1360
; %bb.1355:
	v_cmp_gt_i16_e32 vcc_lo, 8, v22
	s_cbranch_vccnz .LBB224_1363
; %bb.1356:
	v_cmp_gt_i16_e32 vcc_lo, 9, v22
	s_cbranch_vccnz .LBB224_1365
; %bb.1357:
	v_cmp_lt_i16_e32 vcc_lo, 9, v22
	s_cbranch_vccz .LBB224_1371
; %bb.1358:
	global_load_b128 v[4:7], v[0:1], off
	s_mov_b32 s0, 0
	s_branch .LBB224_1372
.LBB224_1359:
	s_mov_b32 s8, 0
	s_mov_b32 s13, 0
                                        ; implicit-def: $vgpr6_vgpr7
	s_cbranch_execnz .LBB224_1450
	s_branch .LBB224_1481
.LBB224_1360:
                                        ; implicit-def: $vgpr6_vgpr7
	s_branch .LBB224_1391
.LBB224_1361:
	s_branch .LBB224_1486
.LBB224_1362:
	s_mov_b32 s0, -1
	s_mov_b32 s8, 0
	s_mov_b32 s13, 0
                                        ; implicit-def: $vgpr6_vgpr7
	s_branch .LBB224_1429
.LBB224_1363:
	s_mov_b32 s0, -1
                                        ; implicit-def: $vgpr6_vgpr7
	s_branch .LBB224_1378
.LBB224_1364:
	s_mov_b32 s0, -1
	s_mov_b32 s8, 0
	s_mov_b32 s13, 0
                                        ; implicit-def: $vgpr6_vgpr7
	s_branch .LBB224_1423
.LBB224_1365:
	s_mov_b32 s0, -1
                                        ; implicit-def: $vgpr6_vgpr7
	s_branch .LBB224_1375
.LBB224_1366:
	s_cbranch_execnz .LBB224_1411
; %bb.1367:
	s_or_b32 s10, s12, exec_lo
                                        ; implicit-def: $vgpr2_vgpr3
	s_cbranch_execz .LBB224_1311
	s_branch .LBB224_1312
.LBB224_1368:
	s_or_saveexec_b32 s14, s14
                                        ; implicit-def: $sgpr15
	s_delay_alu instid0(SALU_CYCLE_1)
	s_xor_b32 exec_lo, exec_lo, s14
	s_cbranch_execz .LBB224_1092
.LBB224_1369:
	v_add_f32_e64 v1, 0x46000000, |v0|
	s_and_not1_b32 s13, s13, exec_lo
	s_mov_b32 s15, 0
	s_delay_alu instid0(VALU_DEP_1) | instskip(NEXT) | instid1(VALU_DEP_1)
	v_and_b32_e32 v1, 0xff, v1
	v_cmp_ne_u32_e32 vcc_lo, 0, v1
	s_and_b32 s16, vcc_lo, exec_lo
	s_delay_alu instid0(SALU_CYCLE_1)
	s_or_b32 s13, s13, s16
	s_or_b32 exec_lo, exec_lo, s14
	v_mov_b32_e32 v6, s15
	s_and_saveexec_b32 s14, s13
	s_cbranch_execnz .LBB224_1093
	s_branch .LBB224_1094
.LBB224_1370:
	s_mov_b32 s0, -1
	s_mov_b32 s8, 0
	s_mov_b32 s13, 0
	s_branch .LBB224_1416
.LBB224_1371:
	s_mov_b32 s0, -1
                                        ; implicit-def: $vgpr6_vgpr7
.LBB224_1372:
	s_delay_alu instid0(SALU_CYCLE_1)
	s_and_not1_b32 vcc_lo, exec_lo, s0
	s_cbranch_vccnz .LBB224_1374
; %bb.1373:
	global_load_b64 v[5:6], v[0:1], off
	s_waitcnt vmcnt(0)
	v_cvt_f64_f32_e32 v[4:5], v5
	v_cvt_f64_f32_e32 v[6:7], v6
.LBB224_1374:
	s_mov_b32 s0, 0
.LBB224_1375:
	s_delay_alu instid0(SALU_CYCLE_1)
	s_and_not1_b32 vcc_lo, exec_lo, s0
	s_cbranch_vccnz .LBB224_1377
; %bb.1376:
	global_load_b32 v4, v[0:1], off
	s_waitcnt vmcnt(0)
	v_lshrrev_b32_e32 v5, 16, v4
	v_cvt_f32_f16_e32 v4, v4
	s_delay_alu instid0(VALU_DEP_2) | instskip(NEXT) | instid1(VALU_DEP_2)
	v_cvt_f32_f16_e32 v6, v5
	v_cvt_f64_f32_e32 v[4:5], v4
	s_delay_alu instid0(VALU_DEP_2)
	v_cvt_f64_f32_e32 v[6:7], v6
.LBB224_1377:
	s_mov_b32 s0, 0
.LBB224_1378:
	s_delay_alu instid0(SALU_CYCLE_1)
	s_and_not1_b32 vcc_lo, exec_lo, s0
	s_cbranch_vccnz .LBB224_1390
; %bb.1379:
	v_cmp_gt_i16_e32 vcc_lo, 6, v22
	s_cbranch_vccnz .LBB224_1382
; %bb.1380:
	v_cmp_lt_i16_e32 vcc_lo, 6, v22
	s_cbranch_vccz .LBB224_1383
; %bb.1381:
	global_load_b64 v[4:5], v[0:1], off
	s_mov_b32 s8, 0
	s_mov_b64 s[0:1], 0
	s_branch .LBB224_1384
.LBB224_1382:
	s_mov_b32 s8, -1
                                        ; implicit-def: $sgpr0_sgpr1
                                        ; implicit-def: $vgpr4_vgpr5
	s_branch .LBB224_1387
.LBB224_1383:
	s_mov_b32 s8, -1
                                        ; implicit-def: $sgpr0_sgpr1
                                        ; implicit-def: $vgpr4_vgpr5
.LBB224_1384:
	s_delay_alu instid0(SALU_CYCLE_1)
	s_and_not1_b32 vcc_lo, exec_lo, s8
	s_cbranch_vccnz .LBB224_1386
; %bb.1385:
	global_load_b32 v4, v[0:1], off
	s_mov_b64 s[0:1], 0
	s_waitcnt vmcnt(0)
	v_cvt_f64_f32_e32 v[4:5], v4
.LBB224_1386:
	s_mov_b32 s8, 0
.LBB224_1387:
	s_delay_alu instid0(SALU_CYCLE_1)
	s_and_not1_b32 vcc_lo, exec_lo, s8
	s_cbranch_vccnz .LBB224_1389
; %bb.1388:
	global_load_u16 v4, v[0:1], off
	s_mov_b64 s[0:1], 0
	s_waitcnt vmcnt(0)
	v_cvt_f32_f16_e32 v4, v4
	s_delay_alu instid0(VALU_DEP_1)
	v_cvt_f64_f32_e32 v[4:5], v4
.LBB224_1389:
	s_waitcnt vmcnt(0)
	v_dual_mov_b32 v7, s1 :: v_dual_mov_b32 v6, s0
.LBB224_1390:
	s_cbranch_execnz .LBB224_1361
.LBB224_1391:
	v_cmp_gt_i16_e32 vcc_lo, 2, v22
	s_cbranch_vccnz .LBB224_1395
; %bb.1392:
	v_cmp_gt_i16_e32 vcc_lo, 3, v22
	s_cbranch_vccnz .LBB224_1396
; %bb.1393:
	v_cmp_lt_i16_e32 vcc_lo, 3, v22
	s_cbranch_vccz .LBB224_1397
; %bb.1394:
	global_load_b64 v[4:5], v[0:1], off
	s_mov_b32 s8, 0
	s_mov_b64 s[0:1], 0
	s_waitcnt vmcnt(0)
	v_cvt_f64_i32_e32 v[5:6], v5
	v_cvt_f64_u32_e32 v[11:12], v4
	s_delay_alu instid0(VALU_DEP_2) | instskip(NEXT) | instid1(VALU_DEP_1)
	v_ldexp_f64 v[5:6], v[5:6], 32
	v_add_f64 v[4:5], v[5:6], v[11:12]
	s_branch .LBB224_1398
.LBB224_1395:
	s_mov_b32 s8, -1
                                        ; implicit-def: $sgpr0_sgpr1
                                        ; implicit-def: $vgpr4_vgpr5
	s_branch .LBB224_1404
.LBB224_1396:
	s_mov_b32 s8, -1
                                        ; implicit-def: $sgpr0_sgpr1
                                        ; implicit-def: $vgpr4_vgpr5
	s_branch .LBB224_1401
.LBB224_1397:
	s_mov_b32 s8, -1
                                        ; implicit-def: $sgpr0_sgpr1
                                        ; implicit-def: $vgpr4_vgpr5
.LBB224_1398:
	s_delay_alu instid0(SALU_CYCLE_1)
	s_and_not1_b32 vcc_lo, exec_lo, s8
	s_cbranch_vccnz .LBB224_1400
; %bb.1399:
	global_load_b32 v4, v[0:1], off
	s_mov_b64 s[0:1], 0
	s_waitcnt vmcnt(0)
	v_cvt_f64_i32_e32 v[4:5], v4
.LBB224_1400:
	s_mov_b32 s8, 0
.LBB224_1401:
	s_delay_alu instid0(SALU_CYCLE_1)
	s_and_not1_b32 vcc_lo, exec_lo, s8
	s_cbranch_vccnz .LBB224_1403
; %bb.1402:
	global_load_i16 v4, v[0:1], off
	s_mov_b64 s[0:1], 0
	s_waitcnt vmcnt(0)
	v_cvt_f64_i32_e32 v[4:5], v4
.LBB224_1403:
	s_mov_b32 s8, 0
.LBB224_1404:
	s_delay_alu instid0(SALU_CYCLE_1)
	s_and_not1_b32 vcc_lo, exec_lo, s8
	s_cbranch_vccnz .LBB224_1410
; %bb.1405:
	v_cmp_lt_i16_e32 vcc_lo, 0, v22
	s_mov_b32 s8, 0
	s_cbranch_vccz .LBB224_1407
; %bb.1406:
	global_load_i8 v4, v[0:1], off
	s_mov_b64 s[0:1], 0
	s_waitcnt vmcnt(0)
	v_cvt_f64_i32_e32 v[4:5], v4
	s_branch .LBB224_1408
.LBB224_1407:
	s_mov_b32 s8, -1
                                        ; implicit-def: $sgpr0_sgpr1
                                        ; implicit-def: $vgpr4_vgpr5
.LBB224_1408:
	s_delay_alu instid0(SALU_CYCLE_1)
	s_and_not1_b32 vcc_lo, exec_lo, s8
	s_cbranch_vccnz .LBB224_1410
; %bb.1409:
	global_load_u8 v0, v[0:1], off
	s_mov_b64 s[0:1], 0
	s_waitcnt vmcnt(0)
	v_cvt_f64_u32_e32 v[4:5], v0
.LBB224_1410:
	s_waitcnt vmcnt(0)
	v_dual_mov_b32 v7, s1 :: v_dual_mov_b32 v6, s0
	s_branch .LBB224_1486
.LBB224_1411:
	s_trap 2
	s_sendmsg_rtn_b32 s0, sendmsg(MSG_RTN_GET_DOORBELL)
	s_mov_b32 ttmp2, m0
	s_waitcnt lgkmcnt(0)
	s_and_b32 s0, s0, 0x3ff
	s_delay_alu instid0(SALU_CYCLE_1) | instskip(NEXT) | instid1(SALU_CYCLE_1)
	s_bitset1_b32 s0, 10
	s_mov_b32 m0, s0
	s_sendmsg sendmsg(MSG_INTERRUPT)
	s_mov_b32 m0, ttmp2
.LBB224_1412:                           ; =>This Inner Loop Header: Depth=1
	s_sethalt 5
	s_branch .LBB224_1412
.LBB224_1413:
	s_or_saveexec_b32 s15, s15
                                        ; implicit-def: $sgpr16
	s_delay_alu instid0(SALU_CYCLE_1)
	s_xor_b32 exec_lo, exec_lo, s15
	s_cbranch_execz .LBB224_1104
.LBB224_1414:
	v_add_f32_e64 v1, 0x42800000, |v0|
	s_and_not1_b32 s14, s14, exec_lo
	s_mov_b32 s16, 0
	s_delay_alu instid0(VALU_DEP_1) | instskip(NEXT) | instid1(VALU_DEP_1)
	v_and_b32_e32 v1, 0xff, v1
	v_cmp_ne_u32_e32 vcc_lo, 0, v1
	s_and_b32 s17, vcc_lo, exec_lo
	s_delay_alu instid0(SALU_CYCLE_1)
	s_or_b32 s14, s14, s17
	s_or_b32 exec_lo, exec_lo, s15
	v_mov_b32_e32 v6, s16
	s_and_saveexec_b32 s15, s14
	s_cbranch_execnz .LBB224_1105
	s_branch .LBB224_1106
.LBB224_1415:
	s_mov_b32 s13, -1
	s_mov_b32 s8, 0
.LBB224_1416:
                                        ; implicit-def: $vgpr6_vgpr7
.LBB224_1417:
	s_and_b32 vcc_lo, exec_lo, s0
	s_cbranch_vccz .LBB224_1422
; %bb.1418:
	v_cmp_eq_u16_e32 vcc_lo, 44, v22
	s_cbranch_vccz .LBB224_1420
; %bb.1419:
	global_load_u8 v6, v[0:1], off
	s_mov_b32 s13, 0
	s_mov_b32 s8, -1
	s_mov_b64 s[0:1], 0
	s_waitcnt vmcnt(0)
	v_cmp_ne_u32_e32 vcc_lo, 0xff, v6
	v_lshlrev_b32_e32 v4, 23, v6
	s_delay_alu instid0(VALU_DEP_1) | instskip(NEXT) | instid1(VALU_DEP_1)
	v_cvt_f64_f32_e32 v[4:5], v4
	v_cndmask_b32_e32 v5, 0x7ff80000, v5, vcc_lo
	s_delay_alu instid0(VALU_DEP_2) | instskip(SKIP_1) | instid1(VALU_DEP_3)
	v_cndmask_b32_e32 v4, 0x20000000, v4, vcc_lo
	v_cmp_ne_u32_e32 vcc_lo, 0, v6
	v_cndmask_b32_e32 v5, 0x38000000, v5, vcc_lo
	s_delay_alu instid0(VALU_DEP_3)
	v_cndmask_b32_e32 v4, 0, v4, vcc_lo
	s_branch .LBB224_1421
.LBB224_1420:
	s_mov_b32 s13, -1
                                        ; implicit-def: $sgpr0_sgpr1
                                        ; implicit-def: $vgpr4_vgpr5
.LBB224_1421:
	v_dual_mov_b32 v7, s1 :: v_dual_mov_b32 v6, s0
.LBB224_1422:
	s_mov_b32 s0, 0
.LBB224_1423:
	s_delay_alu instid0(SALU_CYCLE_1)
	s_and_b32 vcc_lo, exec_lo, s0
	s_cbranch_vccz .LBB224_1428
; %bb.1424:
	v_cmp_eq_u16_e32 vcc_lo, 29, v22
	s_cbranch_vccz .LBB224_1426
; %bb.1425:
	global_load_b64 v[4:5], v[0:1], off
	s_mov_b32 s13, 0
	s_mov_b32 s8, -1
	s_mov_b64 s[0:1], 0
	s_waitcnt vmcnt(0)
	v_cvt_f64_u32_e32 v[5:6], v5
	v_cvt_f64_u32_e32 v[11:12], v4
	s_delay_alu instid0(VALU_DEP_2) | instskip(NEXT) | instid1(VALU_DEP_1)
	v_ldexp_f64 v[5:6], v[5:6], 32
	v_add_f64 v[4:5], v[5:6], v[11:12]
	s_branch .LBB224_1427
.LBB224_1426:
	s_mov_b32 s13, -1
                                        ; implicit-def: $sgpr0_sgpr1
                                        ; implicit-def: $vgpr4_vgpr5
.LBB224_1427:
	v_dual_mov_b32 v7, s1 :: v_dual_mov_b32 v6, s0
.LBB224_1428:
	s_mov_b32 s0, 0
.LBB224_1429:
	s_delay_alu instid0(SALU_CYCLE_1)
	s_and_b32 vcc_lo, exec_lo, s0
	s_cbranch_vccz .LBB224_1449
; %bb.1430:
	v_cmp_gt_i16_e32 vcc_lo, 27, v22
	s_cbranch_vccnz .LBB224_1433
; %bb.1431:
	v_cmp_lt_i16_e32 vcc_lo, 27, v22
	s_cbranch_vccz .LBB224_1434
; %bb.1432:
	global_load_b32 v4, v[0:1], off
	s_mov_b32 s8, 0
	s_mov_b64 s[0:1], 0
	s_waitcnt vmcnt(0)
	v_cvt_f64_u32_e32 v[4:5], v4
	s_branch .LBB224_1435
.LBB224_1433:
	s_mov_b32 s8, -1
                                        ; implicit-def: $sgpr0_sgpr1
                                        ; implicit-def: $vgpr4_vgpr5
	s_branch .LBB224_1438
.LBB224_1434:
	s_mov_b32 s8, -1
                                        ; implicit-def: $sgpr0_sgpr1
                                        ; implicit-def: $vgpr4_vgpr5
.LBB224_1435:
	s_delay_alu instid0(SALU_CYCLE_1)
	s_and_not1_b32 vcc_lo, exec_lo, s8
	s_cbranch_vccnz .LBB224_1437
; %bb.1436:
	global_load_u16 v4, v[0:1], off
	s_mov_b64 s[0:1], 0
	s_waitcnt vmcnt(0)
	v_cvt_f64_u32_e32 v[4:5], v4
.LBB224_1437:
	s_mov_b32 s8, 0
.LBB224_1438:
	v_dual_mov_b32 v7, s1 :: v_dual_mov_b32 v6, s0
	s_and_not1_b32 vcc_lo, exec_lo, s8
	s_cbranch_vccnz .LBB224_1448
; %bb.1439:
	global_load_u8 v11, v[0:1], off
	s_mov_b32 s15, 0
	s_mov_b32 s16, exec_lo
                                        ; implicit-def: $sgpr0_sgpr1
                                        ; implicit-def: $sgpr8_sgpr9
	s_waitcnt vmcnt(0)
	v_cmpx_lt_i16_e32 0x7f, v11
	s_xor_b32 s16, exec_lo, s16
	s_cbranch_execz .LBB224_1443
; %bb.1440:
	s_mov_b32 s15, -1
	s_mov_b32 s17, exec_lo
                                        ; implicit-def: $sgpr0_sgpr1
                                        ; implicit-def: $sgpr8_sgpr9
	v_cmpx_eq_u16_e32 0x80, v11
; %bb.1441:
	s_mov_b64 s[0:1], 0
	s_mov_b32 s9, 0x7ff80000
	s_brev_b32 s8, 4
	s_xor_b32 s15, exec_lo, -1
; %bb.1442:
	s_or_b32 exec_lo, exec_lo, s17
	s_delay_alu instid0(SALU_CYCLE_1)
	s_and_b32 s15, s15, exec_lo
.LBB224_1443:
	s_or_saveexec_b32 s16, s16
	v_dual_mov_b32 v7, s1 :: v_dual_mov_b32 v6, s0
	v_dual_mov_b32 v4, s8 :: v_dual_mov_b32 v5, s9
	s_xor_b32 exec_lo, exec_lo, s16
; %bb.1444:
	v_mov_b32_e32 v6, 0
	v_mov_b32_e32 v7, 0
	v_cmp_ne_u16_e32 vcc_lo, 0, v11
	s_delay_alu instid0(VALU_DEP_3) | instskip(SKIP_1) | instid1(VALU_DEP_3)
	v_mov_b32_e32 v4, v6
	s_and_not1_b32 s0, s15, exec_lo
	v_mov_b32_e32 v5, v7
	s_and_b32 s1, vcc_lo, exec_lo
	s_delay_alu instid0(SALU_CYCLE_1)
	s_or_b32 s15, s0, s1
; %bb.1445:
	s_or_b32 exec_lo, exec_lo, s16
	s_and_saveexec_b32 s0, s15
	s_cbranch_execz .LBB224_1447
; %bb.1446:
	v_and_b32_e32 v4, 0xffff, v11
	v_lshlrev_b32_e32 v11, 24, v11
	s_delay_alu instid0(VALU_DEP_2) | instskip(NEXT) | instid1(VALU_DEP_1)
	v_and_b32_e32 v5, 7, v4
	v_clz_i32_u32_e32 v6, v5
	s_delay_alu instid0(VALU_DEP_1) | instskip(NEXT) | instid1(VALU_DEP_1)
	v_min_u32_e32 v6, 32, v6
	v_subrev_nc_u32_e32 v7, 28, v6
	v_sub_nc_u32_e32 v6, 29, v6
	s_delay_alu instid0(VALU_DEP_2) | instskip(SKIP_1) | instid1(VALU_DEP_2)
	v_lshlrev_b32_e32 v7, v7, v4
	v_bfe_u32 v4, v4, 3, 4
	v_and_b32_e32 v7, 7, v7
	s_delay_alu instid0(VALU_DEP_2) | instskip(NEXT) | instid1(VALU_DEP_2)
	v_cmp_eq_u32_e32 vcc_lo, 0, v4
	v_dual_cndmask_b32 v4, v4, v6 :: v_dual_cndmask_b32 v5, v5, v7
	v_and_b32_e32 v6, 0x80000000, v11
	s_delay_alu instid0(VALU_DEP_2) | instskip(NEXT) | instid1(VALU_DEP_3)
	v_lshl_add_u32 v4, v4, 23, 0x3b800000
	v_lshlrev_b32_e32 v5, 20, v5
	s_delay_alu instid0(VALU_DEP_1) | instskip(SKIP_2) | instid1(VALU_DEP_3)
	v_or3_b32 v4, v6, v4, v5
	v_mov_b32_e32 v6, 0
	v_mov_b32_e32 v7, 0
	v_cvt_f64_f32_e32 v[4:5], v4
.LBB224_1447:
	s_or_b32 exec_lo, exec_lo, s0
.LBB224_1448:
	s_mov_b32 s8, -1
.LBB224_1449:
	s_branch .LBB224_1481
.LBB224_1450:
	v_cmp_lt_i16_e32 vcc_lo, 22, v22
	s_cbranch_vccz .LBB224_1462
; %bb.1451:
	v_cmp_gt_i16_e32 vcc_lo, 24, v22
	s_cbranch_vccnz .LBB224_1463
; %bb.1452:
	v_cmp_lt_i16_e32 vcc_lo, 24, v22
	s_cbranch_vccz .LBB224_1464
; %bb.1453:
	global_load_u8 v11, v[0:1], off
	s_mov_b32 s15, exec_lo
                                        ; implicit-def: $sgpr0_sgpr1
                                        ; implicit-def: $sgpr8_sgpr9
	s_waitcnt vmcnt(0)
	v_cmpx_lt_i16_e32 0x7f, v11
	s_xor_b32 s15, exec_lo, s15
	s_cbranch_execz .LBB224_1457
; %bb.1454:
	s_mov_b32 s14, -1
	s_mov_b32 s16, exec_lo
                                        ; implicit-def: $sgpr0_sgpr1
                                        ; implicit-def: $sgpr8_sgpr9
	v_cmpx_eq_u16_e32 0x80, v11
; %bb.1455:
	s_mov_b64 s[0:1], 0
	s_mov_b32 s9, 0x7ff80000
	s_brev_b32 s8, 4
	s_xor_b32 s14, exec_lo, -1
; %bb.1456:
	s_or_b32 exec_lo, exec_lo, s16
	s_delay_alu instid0(SALU_CYCLE_1)
	s_and_b32 s14, s14, exec_lo
.LBB224_1457:
	s_or_saveexec_b32 s15, s15
	v_dual_mov_b32 v7, s1 :: v_dual_mov_b32 v6, s0
	v_dual_mov_b32 v4, s8 :: v_dual_mov_b32 v5, s9
	s_xor_b32 exec_lo, exec_lo, s15
; %bb.1458:
	v_mov_b32_e32 v6, 0
	v_mov_b32_e32 v7, 0
	v_cmp_ne_u16_e32 vcc_lo, 0, v11
	s_delay_alu instid0(VALU_DEP_3) | instskip(SKIP_1) | instid1(VALU_DEP_3)
	v_mov_b32_e32 v4, v6
	s_and_not1_b32 s0, s14, exec_lo
	v_mov_b32_e32 v5, v7
	s_and_b32 s1, vcc_lo, exec_lo
	s_delay_alu instid0(SALU_CYCLE_1)
	s_or_b32 s14, s0, s1
; %bb.1459:
	s_or_b32 exec_lo, exec_lo, s15
	s_and_saveexec_b32 s0, s14
	s_cbranch_execz .LBB224_1461
; %bb.1460:
	v_and_b32_e32 v4, 0xffff, v11
	v_lshlrev_b32_e32 v11, 24, v11
	s_delay_alu instid0(VALU_DEP_2) | instskip(NEXT) | instid1(VALU_DEP_1)
	v_and_b32_e32 v5, 3, v4
	v_clz_i32_u32_e32 v6, v5
	s_delay_alu instid0(VALU_DEP_1) | instskip(NEXT) | instid1(VALU_DEP_1)
	v_min_u32_e32 v6, 32, v6
	v_subrev_nc_u32_e32 v7, 29, v6
	v_sub_nc_u32_e32 v6, 30, v6
	s_delay_alu instid0(VALU_DEP_2) | instskip(SKIP_1) | instid1(VALU_DEP_2)
	v_lshlrev_b32_e32 v7, v7, v4
	v_bfe_u32 v4, v4, 2, 5
	v_and_b32_e32 v7, 3, v7
	s_delay_alu instid0(VALU_DEP_2) | instskip(NEXT) | instid1(VALU_DEP_2)
	v_cmp_eq_u32_e32 vcc_lo, 0, v4
	v_dual_cndmask_b32 v4, v4, v6 :: v_dual_cndmask_b32 v5, v5, v7
	v_and_b32_e32 v6, 0x80000000, v11
	s_delay_alu instid0(VALU_DEP_2) | instskip(NEXT) | instid1(VALU_DEP_3)
	v_lshl_add_u32 v4, v4, 23, 0x37800000
	v_lshlrev_b32_e32 v5, 21, v5
	s_delay_alu instid0(VALU_DEP_1) | instskip(SKIP_2) | instid1(VALU_DEP_3)
	v_or3_b32 v4, v6, v4, v5
	v_mov_b32_e32 v6, 0
	v_mov_b32_e32 v7, 0
	v_cvt_f64_f32_e32 v[4:5], v4
.LBB224_1461:
	s_or_b32 exec_lo, exec_lo, s0
	s_mov_b32 s0, 0
	s_branch .LBB224_1465
.LBB224_1462:
	s_mov_b32 s0, -1
                                        ; implicit-def: $vgpr6_vgpr7
	s_branch .LBB224_1471
.LBB224_1463:
	s_mov_b32 s0, -1
                                        ; implicit-def: $vgpr6_vgpr7
	s_branch .LBB224_1468
.LBB224_1464:
	s_mov_b32 s0, -1
                                        ; implicit-def: $vgpr6_vgpr7
.LBB224_1465:
	s_delay_alu instid0(SALU_CYCLE_1)
	s_and_b32 vcc_lo, exec_lo, s0
	s_cbranch_vccz .LBB224_1467
; %bb.1466:
	global_load_u8 v4, v[0:1], off
	s_waitcnt vmcnt(0)
	v_lshlrev_b32_e32 v4, 24, v4
	s_delay_alu instid0(VALU_DEP_1) | instskip(NEXT) | instid1(VALU_DEP_1)
	v_and_b32_e32 v5, 0x7f000000, v4
	v_clz_i32_u32_e32 v6, v5
	v_add_nc_u32_e32 v11, 0x1000000, v5
	v_cmp_ne_u32_e32 vcc_lo, 0, v5
	s_delay_alu instid0(VALU_DEP_3) | instskip(NEXT) | instid1(VALU_DEP_1)
	v_min_u32_e32 v6, 32, v6
	v_sub_nc_u32_e64 v6, v6, 4 clamp
	s_delay_alu instid0(VALU_DEP_1) | instskip(SKIP_1) | instid1(VALU_DEP_2)
	v_lshlrev_b32_e32 v7, v6, v5
	v_lshlrev_b32_e32 v6, 23, v6
	v_lshrrev_b32_e32 v7, 4, v7
	s_delay_alu instid0(VALU_DEP_1) | instskip(SKIP_1) | instid1(VALU_DEP_2)
	v_sub_nc_u32_e32 v6, v7, v6
	v_ashrrev_i32_e32 v7, 8, v11
	v_add_nc_u32_e32 v6, 0x3c000000, v6
	s_delay_alu instid0(VALU_DEP_1) | instskip(NEXT) | instid1(VALU_DEP_1)
	v_and_or_b32 v6, 0x7f800000, v7, v6
	v_dual_cndmask_b32 v5, 0, v6 :: v_dual_mov_b32 v6, 0
	v_mov_b32_e32 v7, 0
	s_delay_alu instid0(VALU_DEP_2) | instskip(NEXT) | instid1(VALU_DEP_1)
	v_and_or_b32 v4, 0x80000000, v4, v5
	v_cvt_f64_f32_e32 v[4:5], v4
.LBB224_1467:
	s_mov_b32 s0, 0
.LBB224_1468:
	s_delay_alu instid0(SALU_CYCLE_1)
	s_and_not1_b32 vcc_lo, exec_lo, s0
	s_cbranch_vccnz .LBB224_1470
; %bb.1469:
	global_load_u8 v4, v[0:1], off
	s_waitcnt vmcnt(0)
	v_lshlrev_b32_e32 v5, 25, v4
	v_lshlrev_b16 v4, 8, v4
	s_delay_alu instid0(VALU_DEP_2) | instskip(NEXT) | instid1(VALU_DEP_2)
	v_lshrrev_b32_e32 v6, 4, v5
	v_and_or_b32 v7, 0x7f00, v4, 0.5
	v_bfe_i32 v4, v4, 0, 16
	s_delay_alu instid0(VALU_DEP_3) | instskip(NEXT) | instid1(VALU_DEP_1)
	v_or_b32_e32 v6, 0x70000000, v6
	v_dual_add_f32 v7, -0.5, v7 :: v_dual_mul_f32 v6, 0x7800000, v6
	v_cmp_gt_u32_e32 vcc_lo, 0x8000000, v5
	s_delay_alu instid0(VALU_DEP_2) | instskip(SKIP_1) | instid1(VALU_DEP_2)
	v_dual_cndmask_b32 v5, v6, v7 :: v_dual_mov_b32 v6, 0
	v_mov_b32_e32 v7, 0
	v_and_or_b32 v4, 0x80000000, v4, v5
	s_delay_alu instid0(VALU_DEP_1)
	v_cvt_f64_f32_e32 v[4:5], v4
.LBB224_1470:
	s_mov_b32 s0, 0
	s_mov_b32 s8, -1
.LBB224_1471:
	s_and_not1_b32 vcc_lo, exec_lo, s0
	s_mov_b32 s14, 0
	s_cbranch_vccnz .LBB224_1481
; %bb.1472:
	v_cmp_lt_i16_e32 vcc_lo, 14, v22
	s_cbranch_vccz .LBB224_1475
; %bb.1473:
	v_cmp_eq_u16_e32 vcc_lo, 15, v22
	s_cbranch_vccz .LBB224_1476
; %bb.1474:
	global_load_u16 v4, v[0:1], off
	s_mov_b32 s13, 0
	s_mov_b32 s8, -1
	s_mov_b64 s[0:1], 0
	s_waitcnt vmcnt(0)
	v_lshlrev_b32_e32 v4, 16, v4
	s_delay_alu instid0(VALU_DEP_1)
	v_cvt_f64_f32_e32 v[4:5], v4
	s_branch .LBB224_1477
.LBB224_1475:
	s_mov_b32 s9, -1
                                        ; implicit-def: $sgpr0_sgpr1
                                        ; implicit-def: $vgpr4_vgpr5
	s_branch .LBB224_1478
.LBB224_1476:
	s_mov_b32 s13, -1
                                        ; implicit-def: $sgpr0_sgpr1
                                        ; implicit-def: $vgpr4_vgpr5
.LBB224_1477:
	s_mov_b32 s9, 0
.LBB224_1478:
	s_delay_alu instid0(SALU_CYCLE_1)
	s_and_b32 vcc_lo, exec_lo, s9
	s_cbranch_vccz .LBB224_1480
; %bb.1479:
	v_cmp_ne_u16_e64 s13, 11, v22
	s_mov_b32 s14, -1
                                        ; implicit-def: $sgpr0_sgpr1
                                        ; implicit-def: $vgpr4_vgpr5
.LBB224_1480:
	v_dual_mov_b32 v7, s1 :: v_dual_mov_b32 v6, s0
.LBB224_1481:
	s_delay_alu instid0(VALU_DEP_2)
	s_and_b32 vcc_lo, exec_lo, s13
	s_cbranch_vccnz .LBB224_1537
; %bb.1482:
	s_and_not1_b32 vcc_lo, exec_lo, s14
	s_cbranch_vccnz .LBB224_1484
.LBB224_1483:
	global_load_u8 v4, v[0:1], off
	v_mov_b32_e32 v6, 0
	v_mov_b32_e32 v7, 0
	s_mov_b32 s8, -1
	s_waitcnt vmcnt(0)
	v_cmp_ne_u16_e32 vcc_lo, 0, v4
	v_mov_b32_e32 v4, 0
	v_cndmask_b32_e64 v5, 0, 0x3ff00000, vcc_lo
.LBB224_1484:
.LBB224_1485:
	s_and_not1_b32 vcc_lo, exec_lo, s8
	s_cbranch_vccnz .LBB224_1843
.LBB224_1486:
	s_waitcnt vmcnt(0)
	s_delay_alu instid0(VALU_DEP_1) | instskip(NEXT) | instid1(VALU_DEP_2)
	v_cmp_neq_f64_e32 vcc_lo, 0, v[4:5]
	v_cmp_neq_f64_e64 s0, 0, v[6:7]
	v_mov_b32_e32 v0, 0
	v_mov_b32_e32 v1, 0
	s_delay_alu instid0(VALU_DEP_3) | instskip(NEXT) | instid1(SALU_CYCLE_1)
	s_or_b32 s0, vcc_lo, s0
	s_and_saveexec_b32 s8, s0
	s_cbranch_execz .LBB224_1518
; %bb.1487:
	s_mov_b32 s0, 0
	s_mov_b32 s1, 0x7ff00000
	v_mov_b32_e32 v0, s0
	v_mov_b32_e32 v1, s1
	s_mov_b32 s9, exec_lo
	v_cmpx_neq_f64_e64 0x7ff00000, |v[6:7]|
	s_cbranch_execz .LBB224_1517
; %bb.1488:
	s_mov_b32 s0, exec_lo
	v_cmpx_o_f64_e32 v[4:5], v[4:5]
	s_xor_b32 s13, exec_lo, s0
	s_cbranch_execz .LBB224_1514
; %bb.1489:
	s_mov_b32 s1, exec_lo
	v_cmpx_neq_f64_e64 0x7ff00000, |v[4:5]|
	s_xor_b32 s14, exec_lo, s1
	s_cbranch_execz .LBB224_1507
; %bb.1490:
	v_max_f64 v[0:1], |v[6:7]|, |v[6:7]|
	v_max_f64 v[11:12], |v[4:5]|, |v[4:5]|
	s_mov_b32 s0, 0x99fcef32
	s_mov_b32 s1, 0x7fda8279
                                        ; implicit-def: $sgpr15
	s_delay_alu instid0(VALU_DEP_1) | instskip(NEXT) | instid1(VALU_DEP_1)
	v_max_f64 v[0:1], v[11:12], v[0:1]
	v_cmp_nle_f64_e64 s0, s[0:1], v[0:1]
	s_delay_alu instid0(VALU_DEP_1) | instskip(NEXT) | instid1(SALU_CYCLE_1)
	s_and_saveexec_b32 s1, s0
	s_xor_b32 s1, exec_lo, s1
	s_cbranch_execz .LBB224_1494
; %bb.1491:
	v_cmp_ge_f64_e64 s15, 0x200000, |v[4:5]|
	v_cmp_ge_f64_e64 s16, 0x200000, |v[6:7]|
	s_delay_alu instid0(VALU_DEP_1)
	s_and_b32 s17, s15, s16
	s_mov_b32 s15, 0
	s_and_saveexec_b32 s16, s17
; %bb.1492:
	v_mul_f64 v[4:5], v[4:5], 4.0
	v_mul_f64 v[6:7], v[6:7], 4.0
	s_mov_b32 s15, exec_lo
; %bb.1493:
	s_or_b32 exec_lo, exec_lo, s16
	s_delay_alu instid0(SALU_CYCLE_1)
	s_and_b32 s15, s15, exec_lo
.LBB224_1494:
	s_and_not1_saveexec_b32 s1, s1
; %bb.1495:
	s_delay_alu instid0(VALU_DEP_2) | instskip(NEXT) | instid1(VALU_DEP_2)
	v_ldexp_f64 v[4:5], v[4:5], -2
	v_ldexp_f64 v[6:7], v[6:7], -2
	s_and_not1_b32 s15, s15, exec_lo
; %bb.1496:
	s_or_b32 exec_lo, exec_lo, s1
	s_delay_alu instid0(VALU_DEP_1) | instskip(NEXT) | instid1(VALU_DEP_3)
	v_max_f64 v[0:1], |v[6:7]|, |v[6:7]|
	v_max_f64 v[11:12], |v[4:5]|, |v[4:5]|
	v_cmp_class_f64_e64 s16, v[4:5], 0x204
	v_cmp_class_f64_e64 s17, v[6:7], 0x204
	v_cmp_le_f64_e64 s1, 0, v[4:5]
	s_delay_alu instid0(VALU_DEP_4) | instskip(NEXT) | instid1(VALU_DEP_3)
	v_max_f64 v[0:1], v[11:12], v[0:1]
	s_or_b32 s16, s17, s16
	s_delay_alu instid0(VALU_DEP_1) | instskip(NEXT) | instid1(VALU_DEP_1)
	v_frexp_exp_i32_f64_e32 v17, v[0:1]
	v_sub_nc_u32_e32 v11, 0, v17
	s_delay_alu instid0(VALU_DEP_1) | instskip(SKIP_1) | instid1(VALU_DEP_2)
	v_ldexp_f64 v[0:1], |v[6:7]|, v11
	v_ldexp_f64 v[11:12], |v[4:5]|, v11
	v_mul_f64 v[0:1], v[0:1], v[0:1]
	s_delay_alu instid0(VALU_DEP_1) | instskip(NEXT) | instid1(VALU_DEP_1)
	v_fma_f64 v[0:1], v[11:12], v[11:12], v[0:1]
	v_rsq_f64_e32 v[11:12], v[0:1]
	v_cmp_eq_f64_e32 vcc_lo, 0, v[0:1]
	s_waitcnt_depctr 0xfff
	v_mul_f64 v[13:14], v[0:1], v[11:12]
	v_mul_f64 v[11:12], v[11:12], 0.5
	s_delay_alu instid0(VALU_DEP_1) | instskip(NEXT) | instid1(VALU_DEP_1)
	v_fma_f64 v[15:16], -v[11:12], v[13:14], 0.5
	v_fma_f64 v[13:14], v[13:14], v[15:16], v[13:14]
	v_fma_f64 v[11:12], v[11:12], v[15:16], v[11:12]
	s_delay_alu instid0(VALU_DEP_2) | instskip(NEXT) | instid1(VALU_DEP_1)
	v_fma_f64 v[15:16], -v[13:14], v[13:14], v[0:1]
	v_fma_f64 v[11:12], v[15:16], v[11:12], v[13:14]
	s_delay_alu instid0(VALU_DEP_1) | instskip(SKIP_1) | instid1(VALU_DEP_2)
	v_dual_cndmask_b32 v1, v12, v1 :: v_dual_cndmask_b32 v0, v11, v0
	v_cmp_o_f64_e32 vcc_lo, v[6:7], v[6:7]
	v_ldexp_f64 v[0:1], v[0:1], v17
	s_delay_alu instid0(VALU_DEP_1) | instskip(NEXT) | instid1(VALU_DEP_2)
	v_cndmask_b32_e32 v0, 0, v0, vcc_lo
	v_cndmask_b32_e32 v1, 0x7ff80000, v1, vcc_lo
	s_delay_alu instid0(VALU_DEP_2) | instskip(NEXT) | instid1(VALU_DEP_2)
	v_cndmask_b32_e64 v0, v0, 0, s16
	v_cndmask_b32_e64 v1, v1, 0x7ff00000, s16
	s_and_saveexec_b32 s16, s1
	s_delay_alu instid0(SALU_CYCLE_1)
	s_xor_b32 s1, exec_lo, s16
	s_cbranch_execz .LBB224_1502
; %bb.1497:
	s_delay_alu instid0(VALU_DEP_1) | instskip(NEXT) | instid1(VALU_DEP_1)
	v_add_f64 v[0:1], v[4:5], v[0:1]
	v_mul_f64 v[0:1], v[0:1], 0.5
	s_delay_alu instid0(VALU_DEP_1) | instskip(SKIP_1) | instid1(VALU_DEP_1)
	v_cmp_gt_f64_e32 vcc_lo, 0x10000000, v[0:1]
	v_cndmask_b32_e64 v4, 0, 1, vcc_lo
	v_lshlrev_b32_e32 v4, 8, v4
	s_delay_alu instid0(VALU_DEP_1) | instskip(NEXT) | instid1(VALU_DEP_1)
	v_ldexp_f64 v[0:1], v[0:1], v4
	v_rsq_f64_e32 v[4:5], v[0:1]
	s_waitcnt_depctr 0xfff
	v_mul_f64 v[11:12], v[0:1], v[4:5]
	v_mul_f64 v[4:5], v[4:5], 0.5
	s_delay_alu instid0(VALU_DEP_1) | instskip(NEXT) | instid1(VALU_DEP_1)
	v_fma_f64 v[13:14], -v[4:5], v[11:12], 0.5
	v_fma_f64 v[11:12], v[11:12], v[13:14], v[11:12]
	v_fma_f64 v[4:5], v[4:5], v[13:14], v[4:5]
	s_delay_alu instid0(VALU_DEP_2) | instskip(NEXT) | instid1(VALU_DEP_1)
	v_fma_f64 v[13:14], -v[11:12], v[11:12], v[0:1]
	v_fma_f64 v[11:12], v[13:14], v[4:5], v[11:12]
	s_delay_alu instid0(VALU_DEP_1) | instskip(NEXT) | instid1(VALU_DEP_1)
	v_fma_f64 v[13:14], -v[11:12], v[11:12], v[0:1]
	v_fma_f64 v[4:5], v[13:14], v[4:5], v[11:12]
	v_cndmask_b32_e64 v11, 0, 0xffffff80, vcc_lo
	v_cmp_class_f64_e64 vcc_lo, v[0:1], 0x260
	s_delay_alu instid0(VALU_DEP_2) | instskip(NEXT) | instid1(VALU_DEP_1)
	v_ldexp_f64 v[4:5], v[4:5], v11
	v_dual_cndmask_b32 v5, v5, v1 :: v_dual_cndmask_b32 v4, v4, v0
	s_delay_alu instid0(VALU_DEP_1) | instskip(NEXT) | instid1(VALU_DEP_1)
	v_add_f64 v[0:1], v[4:5], v[4:5]
	v_div_scale_f64 v[11:12], null, v[0:1], v[0:1], v[6:7]
	s_delay_alu instid0(VALU_DEP_1) | instskip(SKIP_2) | instid1(VALU_DEP_1)
	v_rcp_f64_e32 v[13:14], v[11:12]
	s_waitcnt_depctr 0xfff
	v_fma_f64 v[15:16], -v[11:12], v[13:14], 1.0
	v_fma_f64 v[13:14], v[13:14], v[15:16], v[13:14]
	s_delay_alu instid0(VALU_DEP_1) | instskip(NEXT) | instid1(VALU_DEP_1)
	v_fma_f64 v[15:16], -v[11:12], v[13:14], 1.0
	v_fma_f64 v[13:14], v[13:14], v[15:16], v[13:14]
	v_div_scale_f64 v[15:16], vcc_lo, v[6:7], v[0:1], v[6:7]
	s_delay_alu instid0(VALU_DEP_1) | instskip(NEXT) | instid1(VALU_DEP_1)
	v_mul_f64 v[17:18], v[15:16], v[13:14]
	v_fma_f64 v[11:12], -v[11:12], v[17:18], v[15:16]
	s_delay_alu instid0(VALU_DEP_1) | instskip(NEXT) | instid1(VALU_DEP_1)
	v_div_fmas_f64 v[11:12], v[11:12], v[13:14], v[17:18]
	v_div_fixup_f64 v[6:7], v[11:12], v[0:1], v[6:7]
                                        ; implicit-def: $vgpr0_vgpr1
	s_and_not1_saveexec_b32 s1, s1
	s_cbranch_execnz .LBB224_1503
.LBB224_1498:
	s_or_b32 exec_lo, exec_lo, s1
	s_and_saveexec_b32 s1, s0
	s_delay_alu instid0(SALU_CYCLE_1)
	s_xor_b32 s0, exec_lo, s1
	s_cbranch_execz .LBB224_1504
.LBB224_1499:
	s_and_saveexec_b32 s1, s15
; %bb.1500:
	s_delay_alu instid0(VALU_DEP_2) | instskip(NEXT) | instid1(VALU_DEP_2)
	v_mul_f64 v[4:5], v[4:5], 0.5
	v_mul_f64 v[6:7], v[6:7], 0.5
; %bb.1501:
	s_or_b32 exec_lo, exec_lo, s1
	s_and_not1_saveexec_b32 s0, s0
	s_cbranch_execnz .LBB224_1505
	s_branch .LBB224_1506
.LBB224_1502:
	s_and_not1_saveexec_b32 s1, s1
	s_cbranch_execz .LBB224_1498
.LBB224_1503:
	v_add_f64 v[0:1], v[0:1], -v[4:5]
	s_delay_alu instid0(VALU_DEP_1) | instskip(NEXT) | instid1(VALU_DEP_1)
	v_mul_f64 v[0:1], v[0:1], 0.5
	v_cmp_gt_f64_e32 vcc_lo, 0x10000000, v[0:1]
	v_cndmask_b32_e64 v4, 0, 1, vcc_lo
	s_delay_alu instid0(VALU_DEP_1) | instskip(NEXT) | instid1(VALU_DEP_1)
	v_lshlrev_b32_e32 v4, 8, v4
	v_ldexp_f64 v[0:1], v[0:1], v4
	s_delay_alu instid0(VALU_DEP_1) | instskip(SKIP_3) | instid1(VALU_DEP_1)
	v_rsq_f64_e32 v[4:5], v[0:1]
	s_waitcnt_depctr 0xfff
	v_mul_f64 v[11:12], v[0:1], v[4:5]
	v_mul_f64 v[4:5], v[4:5], 0.5
	v_fma_f64 v[13:14], -v[4:5], v[11:12], 0.5
	s_delay_alu instid0(VALU_DEP_1) | instskip(SKIP_1) | instid1(VALU_DEP_2)
	v_fma_f64 v[11:12], v[11:12], v[13:14], v[11:12]
	v_fma_f64 v[4:5], v[4:5], v[13:14], v[4:5]
	v_fma_f64 v[13:14], -v[11:12], v[11:12], v[0:1]
	s_delay_alu instid0(VALU_DEP_1) | instskip(NEXT) | instid1(VALU_DEP_1)
	v_fma_f64 v[11:12], v[13:14], v[4:5], v[11:12]
	v_fma_f64 v[13:14], -v[11:12], v[11:12], v[0:1]
	s_delay_alu instid0(VALU_DEP_1) | instskip(SKIP_2) | instid1(VALU_DEP_2)
	v_fma_f64 v[4:5], v[13:14], v[4:5], v[11:12]
	v_cndmask_b32_e64 v11, 0, 0xffffff80, vcc_lo
	v_cmp_class_f64_e64 vcc_lo, v[0:1], 0x260
	v_ldexp_f64 v[4:5], v[4:5], v11
	v_mov_b32_e32 v11, v6
	s_delay_alu instid0(VALU_DEP_2) | instskip(NEXT) | instid1(VALU_DEP_1)
	v_dual_cndmask_b32 v1, v5, v1 :: v_dual_cndmask_b32 v0, v4, v0
	v_add_f64 v[4:5], v[0:1], v[0:1]
	v_bfi_b32 v1, 0x7fffffff, v1, v7
	v_and_b32_e32 v12, 0x7fffffff, v7
	s_delay_alu instid0(VALU_DEP_1) | instskip(SKIP_1) | instid1(VALU_DEP_2)
	v_div_scale_f64 v[13:14], null, v[4:5], v[4:5], v[11:12]
	v_div_scale_f64 v[11:12], vcc_lo, v[11:12], v[4:5], v[11:12]
	v_rcp_f64_e32 v[15:16], v[13:14]
	s_waitcnt_depctr 0xfff
	v_fma_f64 v[17:18], -v[13:14], v[15:16], 1.0
	s_delay_alu instid0(VALU_DEP_1) | instskip(NEXT) | instid1(VALU_DEP_1)
	v_fma_f64 v[15:16], v[15:16], v[17:18], v[15:16]
	v_fma_f64 v[17:18], -v[13:14], v[15:16], 1.0
	s_delay_alu instid0(VALU_DEP_1) | instskip(NEXT) | instid1(VALU_DEP_1)
	v_fma_f64 v[15:16], v[15:16], v[17:18], v[15:16]
	v_mul_f64 v[17:18], v[11:12], v[15:16]
	s_delay_alu instid0(VALU_DEP_1) | instskip(NEXT) | instid1(VALU_DEP_1)
	v_fma_f64 v[11:12], -v[13:14], v[17:18], v[11:12]
	v_div_fmas_f64 v[11:12], v[11:12], v[15:16], v[17:18]
	s_delay_alu instid0(VALU_DEP_1) | instskip(SKIP_3) | instid1(SALU_CYCLE_1)
	v_div_fixup_f64 v[4:5], v[11:12], v[4:5], |v[6:7]|
	v_dual_mov_b32 v7, v1 :: v_dual_mov_b32 v6, v0
	s_or_b32 exec_lo, exec_lo, s1
	s_and_saveexec_b32 s1, s0
	s_xor_b32 s0, exec_lo, s1
	s_cbranch_execnz .LBB224_1499
.LBB224_1504:
	s_and_not1_saveexec_b32 s0, s0
.LBB224_1505:
	s_delay_alu instid0(VALU_DEP_2) | instskip(NEXT) | instid1(VALU_DEP_2)
	v_add_f64 v[4:5], v[4:5], v[4:5]
	v_add_f64 v[6:7], v[6:7], v[6:7]
.LBB224_1506:
	s_or_b32 exec_lo, exec_lo, s0
.LBB224_1507:
	s_and_not1_saveexec_b32 s0, s14
	s_cbranch_execz .LBB224_1513
; %bb.1508:
	s_delay_alu instid0(VALU_DEP_1) | instskip(SKIP_1) | instid1(VALU_DEP_3)
	v_add_f64 v[0:1], v[6:7], -v[6:7]
	s_mov_b32 s1, exec_lo
	v_cmpx_lt_i64_e32 -1, v[4:5]
	s_xor_b32 s1, exec_lo, s1
; %bb.1509:
	s_delay_alu instid0(VALU_DEP_2) | instskip(NEXT) | instid1(VALU_DEP_1)
	v_bfi_b32 v1, 0x7fffffff, v1, v7
	v_dual_mov_b32 v7, v1 :: v_dual_mov_b32 v6, v0
                                        ; implicit-def: $vgpr0_vgpr1
; %bb.1510:
	s_and_not1_saveexec_b32 s1, s1
; %bb.1511:
	s_delay_alu instid0(VALU_DEP_1) | instskip(SKIP_1) | instid1(VALU_DEP_2)
	v_bfi_b32 v5, 0x7fffffff, v5, v7
	v_and_b32_e32 v1, 0x7fffffff, v1
	v_dual_mov_b32 v7, v5 :: v_dual_mov_b32 v6, v4
	s_delay_alu instid0(VALU_DEP_2)
	v_dual_mov_b32 v5, v1 :: v_dual_mov_b32 v4, v0
; %bb.1512:
	s_or_b32 exec_lo, exec_lo, s1
.LBB224_1513:
	s_delay_alu instid0(SALU_CYCLE_1)
	s_or_b32 exec_lo, exec_lo, s0
.LBB224_1514:
	s_and_not1_saveexec_b32 s0, s13
; %bb.1515:
	s_delay_alu instid0(VALU_DEP_1) | instskip(NEXT) | instid1(VALU_DEP_1)
	v_add_f64 v[0:1], v[6:7], -v[6:7]
	v_div_scale_f64 v[6:7], vcc_lo, v[0:1], v[0:1], v[0:1]
	s_delay_alu instid0(VALU_DEP_1) | instskip(SKIP_2) | instid1(VALU_DEP_1)
	v_rcp_f64_e32 v[11:12], v[6:7]
	s_waitcnt_depctr 0xfff
	v_fma_f64 v[13:14], -v[6:7], v[11:12], 1.0
	v_fma_f64 v[11:12], v[11:12], v[13:14], v[11:12]
	s_delay_alu instid0(VALU_DEP_1) | instskip(NEXT) | instid1(VALU_DEP_1)
	v_fma_f64 v[13:14], -v[6:7], v[11:12], 1.0
	v_fma_f64 v[11:12], v[11:12], v[13:14], v[11:12]
	s_delay_alu instid0(VALU_DEP_1) | instskip(NEXT) | instid1(VALU_DEP_1)
	v_mul_f64 v[13:14], v[6:7], v[11:12]
	v_fma_f64 v[6:7], -v[6:7], v[13:14], v[6:7]
	s_delay_alu instid0(VALU_DEP_1) | instskip(NEXT) | instid1(VALU_DEP_1)
	v_div_fmas_f64 v[6:7], v[6:7], v[11:12], v[13:14]
	v_div_fixup_f64 v[6:7], v[6:7], v[0:1], v[0:1]
; %bb.1516:
	s_or_b32 exec_lo, exec_lo, s0
	v_dual_mov_b32 v0, v4 :: v_dual_mov_b32 v1, v5
.LBB224_1517:
	s_or_b32 exec_lo, exec_lo, s9
.LBB224_1518:
	s_delay_alu instid0(SALU_CYCLE_1) | instskip(SKIP_2) | instid1(VALU_DEP_2)
	s_or_b32 exec_lo, exec_lo, s8
	v_add_nc_u32_e32 v14, s3, v10
	v_cmp_gt_i16_e32 vcc_lo, 11, v22
	v_ashrrev_i32_e32 v5, 31, v14
	v_add_co_u32 v4, s0, s6, v14
	s_delay_alu instid0(VALU_DEP_1)
	v_add_co_ci_u32_e64 v5, s0, s7, v5, s0
	s_cbranch_vccnz .LBB224_1525
; %bb.1519:
	v_cmp_lt_i16_e32 vcc_lo, 25, v22
	s_mov_b32 s14, 0
	s_cbranch_vccz .LBB224_1531
; %bb.1520:
	v_cmp_lt_i16_e32 vcc_lo, 28, v22
	s_cbranch_vccz .LBB224_1533
; %bb.1521:
	v_cmp_lt_i16_e32 vcc_lo, 43, v22
	;; [unrolled: 3-line block ×3, first 2 shown]
	s_cbranch_vccz .LBB224_1539
; %bb.1523:
	v_cmp_eq_u16_e32 vcc_lo, 46, v22
	s_mov_b32 s0, 0
	s_cbranch_vccz .LBB224_1584
; %bb.1524:
	global_load_b32 v10, v[4:5], off
	s_mov_b32 s13, 0
	s_mov_b32 s8, -1
	s_waitcnt vmcnt(0)
	v_lshlrev_b32_e32 v11, 16, v10
	v_and_b32_e32 v12, 0xffff0000, v10
	s_delay_alu instid0(VALU_DEP_2) | instskip(NEXT) | instid1(VALU_DEP_2)
	v_cvt_f64_f32_e32 v[10:11], v11
	v_cvt_f64_f32_e32 v[12:13], v12
	s_branch .LBB224_1586
.LBB224_1525:
	s_mov_b32 s8, 0
                                        ; implicit-def: $vgpr12_vgpr13
	s_cbranch_execz .LBB224_1655
; %bb.1526:
	v_cmp_gt_i16_e32 vcc_lo, 5, v22
	s_cbranch_vccnz .LBB224_1532
; %bb.1527:
	v_cmp_gt_i16_e32 vcc_lo, 8, v22
	s_cbranch_vccnz .LBB224_1534
	;; [unrolled: 3-line block ×3, first 2 shown]
; %bb.1529:
	v_cmp_lt_i16_e32 vcc_lo, 9, v22
	s_cbranch_vccz .LBB224_1540
; %bb.1530:
	global_load_b128 v[10:13], v[4:5], off
	s_mov_b32 s0, 0
	s_branch .LBB224_1541
.LBB224_1531:
	s_mov_b32 s0, -1
	s_mov_b32 s8, 0
	s_mov_b32 s13, 0
                                        ; implicit-def: $vgpr12_vgpr13
	s_branch .LBB224_1619
.LBB224_1532:
	s_mov_b32 s0, -1
                                        ; implicit-def: $vgpr12_vgpr13
	s_branch .LBB224_1560
.LBB224_1533:
	s_mov_b32 s0, -1
	s_mov_b32 s8, 0
	s_mov_b32 s13, 0
                                        ; implicit-def: $vgpr12_vgpr13
	s_branch .LBB224_1598
.LBB224_1534:
	s_mov_b32 s0, -1
                                        ; implicit-def: $vgpr12_vgpr13
	s_branch .LBB224_1547
.LBB224_1535:
	s_mov_b32 s0, -1
	s_mov_b32 s8, 0
	s_mov_b32 s13, 0
                                        ; implicit-def: $vgpr12_vgpr13
	s_branch .LBB224_1592
.LBB224_1536:
	s_mov_b32 s0, -1
                                        ; implicit-def: $vgpr12_vgpr13
	s_branch .LBB224_1544
.LBB224_1537:
	s_cbranch_execnz .LBB224_1582
; %bb.1538:
	s_or_b32 s10, s10, exec_lo
                                        ; implicit-def: $vgpr6_vgpr7
	s_cbranch_execz .LBB224_1483
	s_branch .LBB224_1484
.LBB224_1539:
	s_mov_b32 s0, -1
	s_mov_b32 s8, 0
	s_mov_b32 s13, 0
	s_branch .LBB224_1585
.LBB224_1540:
	s_mov_b32 s0, -1
                                        ; implicit-def: $vgpr12_vgpr13
.LBB224_1541:
	s_delay_alu instid0(SALU_CYCLE_1)
	s_and_not1_b32 vcc_lo, exec_lo, s0
	s_cbranch_vccnz .LBB224_1543
; %bb.1542:
	global_load_b64 v[11:12], v[4:5], off
	s_waitcnt vmcnt(0)
	v_cvt_f64_f32_e32 v[10:11], v11
	v_cvt_f64_f32_e32 v[12:13], v12
.LBB224_1543:
	s_mov_b32 s0, 0
.LBB224_1544:
	s_delay_alu instid0(SALU_CYCLE_1)
	s_and_not1_b32 vcc_lo, exec_lo, s0
	s_cbranch_vccnz .LBB224_1546
; %bb.1545:
	global_load_b32 v10, v[4:5], off
	s_waitcnt vmcnt(0)
	v_lshrrev_b32_e32 v11, 16, v10
	v_cvt_f32_f16_e32 v10, v10
	s_delay_alu instid0(VALU_DEP_2) | instskip(NEXT) | instid1(VALU_DEP_2)
	v_cvt_f32_f16_e32 v12, v11
	v_cvt_f64_f32_e32 v[10:11], v10
	s_delay_alu instid0(VALU_DEP_2)
	v_cvt_f64_f32_e32 v[12:13], v12
.LBB224_1546:
	s_mov_b32 s0, 0
.LBB224_1547:
	s_delay_alu instid0(SALU_CYCLE_1)
	s_and_not1_b32 vcc_lo, exec_lo, s0
	s_cbranch_vccnz .LBB224_1559
; %bb.1548:
	v_cmp_gt_i16_e32 vcc_lo, 6, v22
	s_cbranch_vccnz .LBB224_1551
; %bb.1549:
	v_cmp_lt_i16_e32 vcc_lo, 6, v22
	s_cbranch_vccz .LBB224_1552
; %bb.1550:
	global_load_b64 v[10:11], v[4:5], off
	s_mov_b32 s8, 0
	s_mov_b64 s[0:1], 0
	s_branch .LBB224_1553
.LBB224_1551:
	s_mov_b32 s8, -1
                                        ; implicit-def: $sgpr0_sgpr1
                                        ; implicit-def: $vgpr10_vgpr11
	s_branch .LBB224_1556
.LBB224_1552:
	s_mov_b32 s8, -1
                                        ; implicit-def: $sgpr0_sgpr1
                                        ; implicit-def: $vgpr10_vgpr11
.LBB224_1553:
	s_delay_alu instid0(SALU_CYCLE_1)
	s_and_not1_b32 vcc_lo, exec_lo, s8
	s_cbranch_vccnz .LBB224_1555
; %bb.1554:
	global_load_b32 v10, v[4:5], off
	s_mov_b64 s[0:1], 0
	s_waitcnt vmcnt(0)
	v_cvt_f64_f32_e32 v[10:11], v10
.LBB224_1555:
	s_mov_b32 s8, 0
.LBB224_1556:
	s_delay_alu instid0(SALU_CYCLE_1)
	s_and_not1_b32 vcc_lo, exec_lo, s8
	s_cbranch_vccnz .LBB224_1558
; %bb.1557:
	global_load_u16 v10, v[4:5], off
	s_mov_b64 s[0:1], 0
	s_waitcnt vmcnt(0)
	v_cvt_f32_f16_e32 v10, v10
	s_delay_alu instid0(VALU_DEP_1)
	v_cvt_f64_f32_e32 v[10:11], v10
.LBB224_1558:
	s_waitcnt vmcnt(0)
	v_dual_mov_b32 v13, s1 :: v_dual_mov_b32 v12, s0
.LBB224_1559:
	s_mov_b32 s0, 0
.LBB224_1560:
	s_delay_alu instid0(SALU_CYCLE_1)
	s_and_not1_b32 vcc_lo, exec_lo, s0
	s_cbranch_vccnz .LBB224_1581
; %bb.1561:
	v_cmp_gt_i16_e32 vcc_lo, 2, v22
	s_cbranch_vccnz .LBB224_1565
; %bb.1562:
	v_cmp_gt_i16_e32 vcc_lo, 3, v22
	s_cbranch_vccnz .LBB224_1566
; %bb.1563:
	v_cmp_lt_i16_e32 vcc_lo, 3, v22
	s_cbranch_vccz .LBB224_1567
; %bb.1564:
	global_load_b64 v[10:11], v[4:5], off
	s_mov_b32 s8, 0
	s_mov_b64 s[0:1], 0
	s_waitcnt vmcnt(0)
	v_cvt_f64_i32_e32 v[11:12], v11
	v_cvt_f64_u32_e32 v[15:16], v10
	s_delay_alu instid0(VALU_DEP_2) | instskip(NEXT) | instid1(VALU_DEP_1)
	v_ldexp_f64 v[11:12], v[11:12], 32
	v_add_f64 v[10:11], v[11:12], v[15:16]
	s_branch .LBB224_1568
.LBB224_1565:
	s_mov_b32 s8, -1
                                        ; implicit-def: $sgpr0_sgpr1
                                        ; implicit-def: $vgpr10_vgpr11
	s_branch .LBB224_1574
.LBB224_1566:
	s_mov_b32 s8, -1
                                        ; implicit-def: $sgpr0_sgpr1
                                        ; implicit-def: $vgpr10_vgpr11
	s_branch .LBB224_1571
.LBB224_1567:
	s_mov_b32 s8, -1
                                        ; implicit-def: $sgpr0_sgpr1
                                        ; implicit-def: $vgpr10_vgpr11
.LBB224_1568:
	s_delay_alu instid0(SALU_CYCLE_1)
	s_and_not1_b32 vcc_lo, exec_lo, s8
	s_cbranch_vccnz .LBB224_1570
; %bb.1569:
	global_load_b32 v10, v[4:5], off
	s_mov_b64 s[0:1], 0
	s_waitcnt vmcnt(0)
	v_cvt_f64_i32_e32 v[10:11], v10
.LBB224_1570:
	s_mov_b32 s8, 0
.LBB224_1571:
	s_delay_alu instid0(SALU_CYCLE_1)
	s_and_not1_b32 vcc_lo, exec_lo, s8
	s_cbranch_vccnz .LBB224_1573
; %bb.1572:
	global_load_i16 v10, v[4:5], off
	s_mov_b64 s[0:1], 0
	s_waitcnt vmcnt(0)
	v_cvt_f64_i32_e32 v[10:11], v10
.LBB224_1573:
	s_mov_b32 s8, 0
.LBB224_1574:
	s_delay_alu instid0(SALU_CYCLE_1)
	s_and_not1_b32 vcc_lo, exec_lo, s8
	s_cbranch_vccnz .LBB224_1580
; %bb.1575:
	v_cmp_lt_i16_e32 vcc_lo, 0, v22
	s_mov_b32 s8, 0
	s_cbranch_vccz .LBB224_1577
; %bb.1576:
	global_load_i8 v10, v[4:5], off
	s_mov_b64 s[0:1], 0
	s_waitcnt vmcnt(0)
	v_cvt_f64_i32_e32 v[10:11], v10
	s_branch .LBB224_1578
.LBB224_1577:
	s_mov_b32 s8, -1
                                        ; implicit-def: $sgpr0_sgpr1
                                        ; implicit-def: $vgpr10_vgpr11
.LBB224_1578:
	s_delay_alu instid0(SALU_CYCLE_1)
	s_and_not1_b32 vcc_lo, exec_lo, s8
	s_cbranch_vccnz .LBB224_1580
; %bb.1579:
	global_load_u8 v4, v[4:5], off
	s_mov_b64 s[0:1], 0
	s_waitcnt vmcnt(0)
	v_cvt_f64_u32_e32 v[10:11], v4
.LBB224_1580:
	s_waitcnt vmcnt(0)
	v_dual_mov_b32 v13, s1 :: v_dual_mov_b32 v12, s0
.LBB224_1581:
	s_branch .LBB224_1656
.LBB224_1582:
	s_trap 2
	s_sendmsg_rtn_b32 s0, sendmsg(MSG_RTN_GET_DOORBELL)
	s_mov_b32 ttmp2, m0
	s_waitcnt lgkmcnt(0)
	s_and_b32 s0, s0, 0x3ff
	s_delay_alu instid0(SALU_CYCLE_1) | instskip(NEXT) | instid1(SALU_CYCLE_1)
	s_bitset1_b32 s0, 10
	s_mov_b32 m0, s0
	s_sendmsg sendmsg(MSG_INTERRUPT)
	s_mov_b32 m0, ttmp2
.LBB224_1583:                           ; =>This Inner Loop Header: Depth=1
	s_sethalt 5
	s_branch .LBB224_1583
.LBB224_1584:
	s_mov_b32 s13, -1
	s_mov_b32 s8, 0
.LBB224_1585:
                                        ; implicit-def: $vgpr12_vgpr13
.LBB224_1586:
	s_and_b32 vcc_lo, exec_lo, s0
	s_cbranch_vccz .LBB224_1591
; %bb.1587:
	v_cmp_eq_u16_e32 vcc_lo, 44, v22
	s_cbranch_vccz .LBB224_1589
; %bb.1588:
	global_load_u8 v12, v[4:5], off
	s_mov_b32 s13, 0
	s_mov_b32 s8, -1
	s_mov_b64 s[0:1], 0
	s_waitcnt vmcnt(0)
	v_cmp_ne_u32_e32 vcc_lo, 0xff, v12
	v_lshlrev_b32_e32 v10, 23, v12
	s_delay_alu instid0(VALU_DEP_1) | instskip(NEXT) | instid1(VALU_DEP_1)
	v_cvt_f64_f32_e32 v[10:11], v10
	v_cndmask_b32_e32 v11, 0x7ff80000, v11, vcc_lo
	s_delay_alu instid0(VALU_DEP_2) | instskip(SKIP_1) | instid1(VALU_DEP_3)
	v_cndmask_b32_e32 v10, 0x20000000, v10, vcc_lo
	v_cmp_ne_u32_e32 vcc_lo, 0, v12
	v_cndmask_b32_e32 v11, 0x38000000, v11, vcc_lo
	s_delay_alu instid0(VALU_DEP_3)
	v_cndmask_b32_e32 v10, 0, v10, vcc_lo
	s_branch .LBB224_1590
.LBB224_1589:
	s_mov_b32 s13, -1
                                        ; implicit-def: $sgpr0_sgpr1
                                        ; implicit-def: $vgpr10_vgpr11
.LBB224_1590:
	v_dual_mov_b32 v13, s1 :: v_dual_mov_b32 v12, s0
.LBB224_1591:
	s_mov_b32 s0, 0
.LBB224_1592:
	s_delay_alu instid0(SALU_CYCLE_1)
	s_and_b32 vcc_lo, exec_lo, s0
	s_cbranch_vccz .LBB224_1597
; %bb.1593:
	v_cmp_eq_u16_e32 vcc_lo, 29, v22
	s_cbranch_vccz .LBB224_1595
; %bb.1594:
	global_load_b64 v[10:11], v[4:5], off
	s_mov_b32 s13, 0
	s_mov_b32 s8, -1
	s_mov_b64 s[0:1], 0
	s_waitcnt vmcnt(0)
	v_cvt_f64_u32_e32 v[11:12], v11
	v_cvt_f64_u32_e32 v[15:16], v10
	s_delay_alu instid0(VALU_DEP_2) | instskip(NEXT) | instid1(VALU_DEP_1)
	v_ldexp_f64 v[11:12], v[11:12], 32
	v_add_f64 v[10:11], v[11:12], v[15:16]
	s_branch .LBB224_1596
.LBB224_1595:
	s_mov_b32 s13, -1
                                        ; implicit-def: $sgpr0_sgpr1
                                        ; implicit-def: $vgpr10_vgpr11
.LBB224_1596:
	v_dual_mov_b32 v13, s1 :: v_dual_mov_b32 v12, s0
.LBB224_1597:
	s_mov_b32 s0, 0
.LBB224_1598:
	s_delay_alu instid0(SALU_CYCLE_1)
	s_and_b32 vcc_lo, exec_lo, s0
	s_cbranch_vccz .LBB224_1618
; %bb.1599:
	v_cmp_gt_i16_e32 vcc_lo, 27, v22
	s_cbranch_vccnz .LBB224_1602
; %bb.1600:
	v_cmp_lt_i16_e32 vcc_lo, 27, v22
	s_cbranch_vccz .LBB224_1603
; %bb.1601:
	global_load_b32 v10, v[4:5], off
	s_mov_b32 s8, 0
	s_mov_b64 s[0:1], 0
	s_waitcnt vmcnt(0)
	v_cvt_f64_u32_e32 v[10:11], v10
	s_branch .LBB224_1604
.LBB224_1602:
	s_mov_b32 s8, -1
                                        ; implicit-def: $sgpr0_sgpr1
                                        ; implicit-def: $vgpr10_vgpr11
	s_branch .LBB224_1607
.LBB224_1603:
	s_mov_b32 s8, -1
                                        ; implicit-def: $sgpr0_sgpr1
                                        ; implicit-def: $vgpr10_vgpr11
.LBB224_1604:
	s_delay_alu instid0(SALU_CYCLE_1)
	s_and_not1_b32 vcc_lo, exec_lo, s8
	s_cbranch_vccnz .LBB224_1606
; %bb.1605:
	global_load_u16 v10, v[4:5], off
	s_mov_b64 s[0:1], 0
	s_waitcnt vmcnt(0)
	v_cvt_f64_u32_e32 v[10:11], v10
.LBB224_1606:
	s_mov_b32 s8, 0
.LBB224_1607:
	v_dual_mov_b32 v13, s1 :: v_dual_mov_b32 v12, s0
	s_and_not1_b32 vcc_lo, exec_lo, s8
	s_cbranch_vccnz .LBB224_1617
; %bb.1608:
	global_load_u8 v15, v[4:5], off
	s_mov_b32 s15, 0
	s_mov_b32 s16, exec_lo
                                        ; implicit-def: $sgpr0_sgpr1
                                        ; implicit-def: $sgpr8_sgpr9
	s_waitcnt vmcnt(0)
	v_cmpx_lt_i16_e32 0x7f, v15
	s_xor_b32 s16, exec_lo, s16
	s_cbranch_execz .LBB224_1612
; %bb.1609:
	s_mov_b32 s15, -1
	s_mov_b32 s17, exec_lo
                                        ; implicit-def: $sgpr0_sgpr1
                                        ; implicit-def: $sgpr8_sgpr9
	v_cmpx_eq_u16_e32 0x80, v15
; %bb.1610:
	s_mov_b64 s[0:1], 0
	s_mov_b32 s9, 0x7ff80000
	s_brev_b32 s8, 4
	s_xor_b32 s15, exec_lo, -1
; %bb.1611:
	s_or_b32 exec_lo, exec_lo, s17
	s_delay_alu instid0(SALU_CYCLE_1)
	s_and_b32 s15, s15, exec_lo
.LBB224_1612:
	s_or_saveexec_b32 s16, s16
	v_dual_mov_b32 v13, s1 :: v_dual_mov_b32 v12, s0
	v_dual_mov_b32 v11, s9 :: v_dual_mov_b32 v10, s8
	s_xor_b32 exec_lo, exec_lo, s16
; %bb.1613:
	v_mov_b32_e32 v12, 0
	v_mov_b32_e32 v13, 0
	v_cmp_ne_u16_e32 vcc_lo, 0, v15
	s_delay_alu instid0(VALU_DEP_3) | instskip(SKIP_1) | instid1(VALU_DEP_3)
	v_mov_b32_e32 v10, v12
	s_and_not1_b32 s0, s15, exec_lo
	v_mov_b32_e32 v11, v13
	s_and_b32 s1, vcc_lo, exec_lo
	s_delay_alu instid0(SALU_CYCLE_1)
	s_or_b32 s15, s0, s1
; %bb.1614:
	s_or_b32 exec_lo, exec_lo, s16
	s_and_saveexec_b32 s0, s15
	s_cbranch_execz .LBB224_1616
; %bb.1615:
	v_and_b32_e32 v10, 0xffff, v15
	v_lshlrev_b32_e32 v15, 24, v15
	s_delay_alu instid0(VALU_DEP_2) | instskip(NEXT) | instid1(VALU_DEP_1)
	v_and_b32_e32 v11, 7, v10
	v_clz_i32_u32_e32 v12, v11
	s_delay_alu instid0(VALU_DEP_1) | instskip(NEXT) | instid1(VALU_DEP_1)
	v_min_u32_e32 v12, 32, v12
	v_subrev_nc_u32_e32 v13, 28, v12
	v_sub_nc_u32_e32 v12, 29, v12
	s_delay_alu instid0(VALU_DEP_2) | instskip(SKIP_1) | instid1(VALU_DEP_2)
	v_lshlrev_b32_e32 v13, v13, v10
	v_bfe_u32 v10, v10, 3, 4
	v_and_b32_e32 v13, 7, v13
	s_delay_alu instid0(VALU_DEP_2) | instskip(NEXT) | instid1(VALU_DEP_2)
	v_cmp_eq_u32_e32 vcc_lo, 0, v10
	v_dual_cndmask_b32 v10, v10, v12 :: v_dual_cndmask_b32 v11, v11, v13
	v_and_b32_e32 v12, 0x80000000, v15
	s_delay_alu instid0(VALU_DEP_2) | instskip(NEXT) | instid1(VALU_DEP_3)
	v_lshl_add_u32 v10, v10, 23, 0x3b800000
	v_lshlrev_b32_e32 v11, 20, v11
	s_delay_alu instid0(VALU_DEP_1) | instskip(SKIP_2) | instid1(VALU_DEP_3)
	v_or3_b32 v10, v12, v10, v11
	v_mov_b32_e32 v12, 0
	v_mov_b32_e32 v13, 0
	v_cvt_f64_f32_e32 v[10:11], v10
.LBB224_1616:
	s_or_b32 exec_lo, exec_lo, s0
.LBB224_1617:
	s_mov_b32 s8, -1
.LBB224_1618:
	s_mov_b32 s0, 0
.LBB224_1619:
	s_delay_alu instid0(SALU_CYCLE_1)
	s_and_b32 vcc_lo, exec_lo, s0
	s_cbranch_vccz .LBB224_1651
; %bb.1620:
	v_cmp_lt_i16_e32 vcc_lo, 22, v22
	s_cbranch_vccz .LBB224_1632
; %bb.1621:
	v_cmp_gt_i16_e32 vcc_lo, 24, v22
	s_cbranch_vccnz .LBB224_1633
; %bb.1622:
	v_cmp_lt_i16_e32 vcc_lo, 24, v22
	s_cbranch_vccz .LBB224_1634
; %bb.1623:
	global_load_u8 v15, v[4:5], off
	s_mov_b32 s15, exec_lo
                                        ; implicit-def: $sgpr0_sgpr1
                                        ; implicit-def: $sgpr8_sgpr9
	s_waitcnt vmcnt(0)
	v_cmpx_lt_i16_e32 0x7f, v15
	s_xor_b32 s15, exec_lo, s15
	s_cbranch_execz .LBB224_1627
; %bb.1624:
	s_mov_b32 s14, -1
	s_mov_b32 s16, exec_lo
                                        ; implicit-def: $sgpr0_sgpr1
                                        ; implicit-def: $sgpr8_sgpr9
	v_cmpx_eq_u16_e32 0x80, v15
; %bb.1625:
	s_mov_b64 s[0:1], 0
	s_mov_b32 s9, 0x7ff80000
	s_brev_b32 s8, 4
	s_xor_b32 s14, exec_lo, -1
; %bb.1626:
	s_or_b32 exec_lo, exec_lo, s16
	s_delay_alu instid0(SALU_CYCLE_1)
	s_and_b32 s14, s14, exec_lo
.LBB224_1627:
	s_or_saveexec_b32 s15, s15
	v_dual_mov_b32 v13, s1 :: v_dual_mov_b32 v12, s0
	v_dual_mov_b32 v11, s9 :: v_dual_mov_b32 v10, s8
	s_xor_b32 exec_lo, exec_lo, s15
; %bb.1628:
	v_mov_b32_e32 v12, 0
	v_mov_b32_e32 v13, 0
	v_cmp_ne_u16_e32 vcc_lo, 0, v15
	s_delay_alu instid0(VALU_DEP_3) | instskip(SKIP_1) | instid1(VALU_DEP_3)
	v_mov_b32_e32 v10, v12
	s_and_not1_b32 s0, s14, exec_lo
	v_mov_b32_e32 v11, v13
	s_and_b32 s1, vcc_lo, exec_lo
	s_delay_alu instid0(SALU_CYCLE_1)
	s_or_b32 s14, s0, s1
; %bb.1629:
	s_or_b32 exec_lo, exec_lo, s15
	s_and_saveexec_b32 s0, s14
	s_cbranch_execz .LBB224_1631
; %bb.1630:
	v_and_b32_e32 v10, 0xffff, v15
	v_lshlrev_b32_e32 v15, 24, v15
	s_delay_alu instid0(VALU_DEP_2) | instskip(NEXT) | instid1(VALU_DEP_1)
	v_and_b32_e32 v11, 3, v10
	v_clz_i32_u32_e32 v12, v11
	s_delay_alu instid0(VALU_DEP_1) | instskip(NEXT) | instid1(VALU_DEP_1)
	v_min_u32_e32 v12, 32, v12
	v_subrev_nc_u32_e32 v13, 29, v12
	v_sub_nc_u32_e32 v12, 30, v12
	s_delay_alu instid0(VALU_DEP_2) | instskip(SKIP_1) | instid1(VALU_DEP_2)
	v_lshlrev_b32_e32 v13, v13, v10
	v_bfe_u32 v10, v10, 2, 5
	v_and_b32_e32 v13, 3, v13
	s_delay_alu instid0(VALU_DEP_2) | instskip(NEXT) | instid1(VALU_DEP_2)
	v_cmp_eq_u32_e32 vcc_lo, 0, v10
	v_dual_cndmask_b32 v10, v10, v12 :: v_dual_cndmask_b32 v11, v11, v13
	v_and_b32_e32 v12, 0x80000000, v15
	s_delay_alu instid0(VALU_DEP_2) | instskip(NEXT) | instid1(VALU_DEP_3)
	v_lshl_add_u32 v10, v10, 23, 0x37800000
	v_lshlrev_b32_e32 v11, 21, v11
	s_delay_alu instid0(VALU_DEP_1) | instskip(SKIP_2) | instid1(VALU_DEP_3)
	v_or3_b32 v10, v12, v10, v11
	v_mov_b32_e32 v12, 0
	v_mov_b32_e32 v13, 0
	v_cvt_f64_f32_e32 v[10:11], v10
.LBB224_1631:
	s_or_b32 exec_lo, exec_lo, s0
	s_mov_b32 s0, 0
	s_branch .LBB224_1635
.LBB224_1632:
	s_mov_b32 s0, -1
                                        ; implicit-def: $vgpr12_vgpr13
	s_branch .LBB224_1641
.LBB224_1633:
	s_mov_b32 s0, -1
                                        ; implicit-def: $vgpr12_vgpr13
	s_branch .LBB224_1638
.LBB224_1634:
	s_mov_b32 s0, -1
                                        ; implicit-def: $vgpr12_vgpr13
.LBB224_1635:
	s_delay_alu instid0(SALU_CYCLE_1)
	s_and_b32 vcc_lo, exec_lo, s0
	s_cbranch_vccz .LBB224_1637
; %bb.1636:
	global_load_u8 v10, v[4:5], off
	s_waitcnt vmcnt(0)
	v_lshlrev_b32_e32 v10, 24, v10
	s_delay_alu instid0(VALU_DEP_1) | instskip(NEXT) | instid1(VALU_DEP_1)
	v_and_b32_e32 v11, 0x7f000000, v10
	v_clz_i32_u32_e32 v12, v11
	v_add_nc_u32_e32 v15, 0x1000000, v11
	v_cmp_ne_u32_e32 vcc_lo, 0, v11
	s_delay_alu instid0(VALU_DEP_3) | instskip(NEXT) | instid1(VALU_DEP_1)
	v_min_u32_e32 v12, 32, v12
	v_sub_nc_u32_e64 v12, v12, 4 clamp
	s_delay_alu instid0(VALU_DEP_1) | instskip(SKIP_1) | instid1(VALU_DEP_2)
	v_lshlrev_b32_e32 v13, v12, v11
	v_lshlrev_b32_e32 v12, 23, v12
	v_lshrrev_b32_e32 v13, 4, v13
	s_delay_alu instid0(VALU_DEP_1) | instskip(SKIP_1) | instid1(VALU_DEP_2)
	v_sub_nc_u32_e32 v12, v13, v12
	v_ashrrev_i32_e32 v13, 8, v15
	v_add_nc_u32_e32 v12, 0x3c000000, v12
	s_delay_alu instid0(VALU_DEP_1) | instskip(NEXT) | instid1(VALU_DEP_1)
	v_and_or_b32 v12, 0x7f800000, v13, v12
	v_dual_cndmask_b32 v11, 0, v12 :: v_dual_mov_b32 v12, 0
	v_mov_b32_e32 v13, 0
	s_delay_alu instid0(VALU_DEP_2) | instskip(NEXT) | instid1(VALU_DEP_1)
	v_and_or_b32 v10, 0x80000000, v10, v11
	v_cvt_f64_f32_e32 v[10:11], v10
.LBB224_1637:
	s_mov_b32 s0, 0
.LBB224_1638:
	s_delay_alu instid0(SALU_CYCLE_1)
	s_and_not1_b32 vcc_lo, exec_lo, s0
	s_cbranch_vccnz .LBB224_1640
; %bb.1639:
	global_load_u8 v10, v[4:5], off
	s_waitcnt vmcnt(0)
	v_lshlrev_b32_e32 v11, 25, v10
	v_lshlrev_b16 v10, 8, v10
	s_delay_alu instid0(VALU_DEP_2) | instskip(NEXT) | instid1(VALU_DEP_2)
	v_lshrrev_b32_e32 v12, 4, v11
	v_and_or_b32 v13, 0x7f00, v10, 0.5
	v_bfe_i32 v10, v10, 0, 16
	s_delay_alu instid0(VALU_DEP_3) | instskip(NEXT) | instid1(VALU_DEP_1)
	v_or_b32_e32 v12, 0x70000000, v12
	v_dual_add_f32 v13, -0.5, v13 :: v_dual_mul_f32 v12, 0x7800000, v12
	v_cmp_gt_u32_e32 vcc_lo, 0x8000000, v11
	s_delay_alu instid0(VALU_DEP_2) | instskip(SKIP_1) | instid1(VALU_DEP_2)
	v_dual_cndmask_b32 v11, v12, v13 :: v_dual_mov_b32 v12, 0
	v_mov_b32_e32 v13, 0
	v_and_or_b32 v10, 0x80000000, v10, v11
	s_delay_alu instid0(VALU_DEP_1)
	v_cvt_f64_f32_e32 v[10:11], v10
.LBB224_1640:
	s_mov_b32 s0, 0
	s_mov_b32 s8, -1
.LBB224_1641:
	s_and_not1_b32 vcc_lo, exec_lo, s0
	s_mov_b32 s14, 0
	s_cbranch_vccnz .LBB224_1651
; %bb.1642:
	v_cmp_lt_i16_e32 vcc_lo, 14, v22
	s_cbranch_vccz .LBB224_1645
; %bb.1643:
	v_cmp_eq_u16_e32 vcc_lo, 15, v22
	s_cbranch_vccz .LBB224_1646
; %bb.1644:
	global_load_u16 v10, v[4:5], off
	s_mov_b32 s13, 0
	s_mov_b32 s8, -1
	s_mov_b64 s[0:1], 0
	s_waitcnt vmcnt(0)
	v_lshlrev_b32_e32 v10, 16, v10
	s_delay_alu instid0(VALU_DEP_1)
	v_cvt_f64_f32_e32 v[10:11], v10
	s_branch .LBB224_1647
.LBB224_1645:
	s_mov_b32 s9, -1
                                        ; implicit-def: $sgpr0_sgpr1
                                        ; implicit-def: $vgpr10_vgpr11
	s_branch .LBB224_1648
.LBB224_1646:
	s_mov_b32 s13, -1
                                        ; implicit-def: $sgpr0_sgpr1
                                        ; implicit-def: $vgpr10_vgpr11
.LBB224_1647:
	s_mov_b32 s9, 0
.LBB224_1648:
	s_delay_alu instid0(SALU_CYCLE_1)
	s_and_b32 vcc_lo, exec_lo, s9
	s_cbranch_vccz .LBB224_1650
; %bb.1649:
	v_cmp_ne_u16_e64 s13, 11, v22
	s_mov_b32 s14, -1
                                        ; implicit-def: $sgpr0_sgpr1
                                        ; implicit-def: $vgpr10_vgpr11
.LBB224_1650:
	v_dual_mov_b32 v13, s1 :: v_dual_mov_b32 v12, s0
.LBB224_1651:
	s_delay_alu instid0(VALU_DEP_2)
	s_and_b32 vcc_lo, exec_lo, s13
	s_cbranch_vccnz .LBB224_1699
; %bb.1652:
	s_and_not1_b32 vcc_lo, exec_lo, s14
	s_cbranch_vccnz .LBB224_1654
.LBB224_1653:
	global_load_u8 v10, v[4:5], off
	v_mov_b32_e32 v12, 0
	v_mov_b32_e32 v13, 0
	s_mov_b32 s8, -1
	s_waitcnt vmcnt(0)
	v_cmp_ne_u16_e32 vcc_lo, 0, v10
	v_mov_b32_e32 v10, 0
	v_cndmask_b32_e64 v11, 0, 0x3ff00000, vcc_lo
.LBB224_1654:
.LBB224_1655:
	s_and_not1_b32 vcc_lo, exec_lo, s8
	s_cbranch_vccnz .LBB224_1843
.LBB224_1656:
	s_waitcnt vmcnt(0)
	s_delay_alu instid0(VALU_DEP_1) | instskip(NEXT) | instid1(VALU_DEP_2)
	v_cmp_neq_f64_e32 vcc_lo, 0, v[10:11]
	v_cmp_neq_f64_e64 s0, 0, v[12:13]
	v_mov_b32_e32 v4, 0
	v_mov_b32_e32 v5, 0
	s_delay_alu instid0(VALU_DEP_3) | instskip(NEXT) | instid1(SALU_CYCLE_1)
	s_or_b32 s0, vcc_lo, s0
	s_and_saveexec_b32 s8, s0
	s_cbranch_execz .LBB224_1688
; %bb.1657:
	s_mov_b32 s0, 0
	s_mov_b32 s1, 0x7ff00000
	v_mov_b32_e32 v4, s0
	v_mov_b32_e32 v5, s1
	s_mov_b32 s9, exec_lo
	v_cmpx_neq_f64_e64 0x7ff00000, |v[12:13]|
	s_cbranch_execz .LBB224_1687
; %bb.1658:
	s_mov_b32 s0, exec_lo
	v_cmpx_o_f64_e32 v[10:11], v[10:11]
	s_xor_b32 s13, exec_lo, s0
	s_cbranch_execz .LBB224_1684
; %bb.1659:
	s_mov_b32 s1, exec_lo
	v_cmpx_neq_f64_e64 0x7ff00000, |v[10:11]|
	s_xor_b32 s14, exec_lo, s1
	s_cbranch_execz .LBB224_1677
; %bb.1660:
	v_max_f64 v[4:5], |v[12:13]|, |v[12:13]|
	v_max_f64 v[15:16], |v[10:11]|, |v[10:11]|
	s_mov_b32 s0, 0x99fcef32
	s_mov_b32 s1, 0x7fda8279
                                        ; implicit-def: $sgpr15
	s_delay_alu instid0(VALU_DEP_1) | instskip(NEXT) | instid1(VALU_DEP_1)
	v_max_f64 v[4:5], v[15:16], v[4:5]
	v_cmp_nle_f64_e64 s0, s[0:1], v[4:5]
	s_delay_alu instid0(VALU_DEP_1) | instskip(NEXT) | instid1(SALU_CYCLE_1)
	s_and_saveexec_b32 s1, s0
	s_xor_b32 s1, exec_lo, s1
	s_cbranch_execz .LBB224_1664
; %bb.1661:
	v_cmp_ge_f64_e64 s15, 0x200000, |v[10:11]|
	v_cmp_ge_f64_e64 s16, 0x200000, |v[12:13]|
	s_delay_alu instid0(VALU_DEP_1)
	s_and_b32 s17, s15, s16
	s_mov_b32 s15, 0
	s_and_saveexec_b32 s16, s17
; %bb.1662:
	v_mul_f64 v[10:11], v[10:11], 4.0
	v_mul_f64 v[12:13], v[12:13], 4.0
	s_mov_b32 s15, exec_lo
; %bb.1663:
	s_or_b32 exec_lo, exec_lo, s16
	s_delay_alu instid0(SALU_CYCLE_1)
	s_and_b32 s15, s15, exec_lo
.LBB224_1664:
	s_and_not1_saveexec_b32 s1, s1
; %bb.1665:
	s_delay_alu instid0(VALU_DEP_2) | instskip(NEXT) | instid1(VALU_DEP_2)
	v_ldexp_f64 v[10:11], v[10:11], -2
	v_ldexp_f64 v[12:13], v[12:13], -2
	s_and_not1_b32 s15, s15, exec_lo
; %bb.1666:
	s_or_b32 exec_lo, exec_lo, s1
	s_delay_alu instid0(VALU_DEP_1) | instskip(NEXT) | instid1(VALU_DEP_3)
	v_max_f64 v[4:5], |v[12:13]|, |v[12:13]|
	v_max_f64 v[15:16], |v[10:11]|, |v[10:11]|
	v_cmp_class_f64_e64 s16, v[10:11], 0x204
	v_cmp_class_f64_e64 s17, v[12:13], 0x204
	v_cmp_le_f64_e64 s1, 0, v[10:11]
	s_delay_alu instid0(VALU_DEP_4) | instskip(NEXT) | instid1(VALU_DEP_3)
	v_max_f64 v[4:5], v[15:16], v[4:5]
	s_or_b32 s16, s17, s16
	s_delay_alu instid0(VALU_DEP_1) | instskip(NEXT) | instid1(VALU_DEP_1)
	v_frexp_exp_i32_f64_e32 v19, v[4:5]
	v_sub_nc_u32_e32 v15, 0, v19
	s_delay_alu instid0(VALU_DEP_1) | instskip(SKIP_1) | instid1(VALU_DEP_2)
	v_ldexp_f64 v[4:5], |v[12:13]|, v15
	v_ldexp_f64 v[15:16], |v[10:11]|, v15
	v_mul_f64 v[4:5], v[4:5], v[4:5]
	s_delay_alu instid0(VALU_DEP_1) | instskip(NEXT) | instid1(VALU_DEP_1)
	v_fma_f64 v[4:5], v[15:16], v[15:16], v[4:5]
	v_rsq_f64_e32 v[15:16], v[4:5]
	v_cmp_eq_f64_e32 vcc_lo, 0, v[4:5]
	s_waitcnt_depctr 0xfff
	v_mul_f64 v[17:18], v[4:5], v[15:16]
	v_mul_f64 v[15:16], v[15:16], 0.5
	s_delay_alu instid0(VALU_DEP_1) | instskip(NEXT) | instid1(VALU_DEP_1)
	v_fma_f64 v[23:24], -v[15:16], v[17:18], 0.5
	v_fma_f64 v[17:18], v[17:18], v[23:24], v[17:18]
	v_fma_f64 v[15:16], v[15:16], v[23:24], v[15:16]
	s_delay_alu instid0(VALU_DEP_2) | instskip(NEXT) | instid1(VALU_DEP_1)
	v_fma_f64 v[23:24], -v[17:18], v[17:18], v[4:5]
	v_fma_f64 v[15:16], v[23:24], v[15:16], v[17:18]
	s_delay_alu instid0(VALU_DEP_1) | instskip(SKIP_1) | instid1(VALU_DEP_2)
	v_dual_cndmask_b32 v5, v16, v5 :: v_dual_cndmask_b32 v4, v15, v4
	v_cmp_o_f64_e32 vcc_lo, v[12:13], v[12:13]
	v_ldexp_f64 v[4:5], v[4:5], v19
	s_delay_alu instid0(VALU_DEP_1) | instskip(NEXT) | instid1(VALU_DEP_2)
	v_cndmask_b32_e32 v4, 0, v4, vcc_lo
	v_cndmask_b32_e32 v5, 0x7ff80000, v5, vcc_lo
	s_delay_alu instid0(VALU_DEP_2) | instskip(NEXT) | instid1(VALU_DEP_2)
	v_cndmask_b32_e64 v4, v4, 0, s16
	v_cndmask_b32_e64 v5, v5, 0x7ff00000, s16
	s_and_saveexec_b32 s16, s1
	s_delay_alu instid0(SALU_CYCLE_1)
	s_xor_b32 s1, exec_lo, s16
	s_cbranch_execz .LBB224_1672
; %bb.1667:
	s_delay_alu instid0(VALU_DEP_1) | instskip(NEXT) | instid1(VALU_DEP_1)
	v_add_f64 v[4:5], v[10:11], v[4:5]
	v_mul_f64 v[4:5], v[4:5], 0.5
	s_delay_alu instid0(VALU_DEP_1) | instskip(SKIP_1) | instid1(VALU_DEP_1)
	v_cmp_gt_f64_e32 vcc_lo, 0x10000000, v[4:5]
	v_cndmask_b32_e64 v10, 0, 1, vcc_lo
	v_lshlrev_b32_e32 v10, 8, v10
	s_delay_alu instid0(VALU_DEP_1) | instskip(NEXT) | instid1(VALU_DEP_1)
	v_ldexp_f64 v[4:5], v[4:5], v10
	v_rsq_f64_e32 v[10:11], v[4:5]
	s_waitcnt_depctr 0xfff
	v_mul_f64 v[15:16], v[4:5], v[10:11]
	v_mul_f64 v[10:11], v[10:11], 0.5
	s_delay_alu instid0(VALU_DEP_1) | instskip(NEXT) | instid1(VALU_DEP_1)
	v_fma_f64 v[17:18], -v[10:11], v[15:16], 0.5
	v_fma_f64 v[15:16], v[15:16], v[17:18], v[15:16]
	v_fma_f64 v[10:11], v[10:11], v[17:18], v[10:11]
	s_delay_alu instid0(VALU_DEP_2) | instskip(NEXT) | instid1(VALU_DEP_1)
	v_fma_f64 v[17:18], -v[15:16], v[15:16], v[4:5]
	v_fma_f64 v[15:16], v[17:18], v[10:11], v[15:16]
	s_delay_alu instid0(VALU_DEP_1) | instskip(NEXT) | instid1(VALU_DEP_1)
	v_fma_f64 v[17:18], -v[15:16], v[15:16], v[4:5]
	v_fma_f64 v[10:11], v[17:18], v[10:11], v[15:16]
	v_cndmask_b32_e64 v15, 0, 0xffffff80, vcc_lo
	v_cmp_class_f64_e64 vcc_lo, v[4:5], 0x260
	s_delay_alu instid0(VALU_DEP_2) | instskip(NEXT) | instid1(VALU_DEP_1)
	v_ldexp_f64 v[10:11], v[10:11], v15
	v_dual_cndmask_b32 v11, v11, v5 :: v_dual_cndmask_b32 v10, v10, v4
	s_delay_alu instid0(VALU_DEP_1) | instskip(NEXT) | instid1(VALU_DEP_1)
	v_add_f64 v[4:5], v[10:11], v[10:11]
	v_div_scale_f64 v[15:16], null, v[4:5], v[4:5], v[12:13]
	s_delay_alu instid0(VALU_DEP_1) | instskip(SKIP_2) | instid1(VALU_DEP_1)
	v_rcp_f64_e32 v[17:18], v[15:16]
	s_waitcnt_depctr 0xfff
	v_fma_f64 v[23:24], -v[15:16], v[17:18], 1.0
	v_fma_f64 v[17:18], v[17:18], v[23:24], v[17:18]
	s_delay_alu instid0(VALU_DEP_1) | instskip(NEXT) | instid1(VALU_DEP_1)
	v_fma_f64 v[23:24], -v[15:16], v[17:18], 1.0
	v_fma_f64 v[17:18], v[17:18], v[23:24], v[17:18]
	v_div_scale_f64 v[23:24], vcc_lo, v[12:13], v[4:5], v[12:13]
	s_delay_alu instid0(VALU_DEP_1) | instskip(NEXT) | instid1(VALU_DEP_1)
	v_mul_f64 v[25:26], v[23:24], v[17:18]
	v_fma_f64 v[15:16], -v[15:16], v[25:26], v[23:24]
	s_delay_alu instid0(VALU_DEP_1) | instskip(NEXT) | instid1(VALU_DEP_1)
	v_div_fmas_f64 v[15:16], v[15:16], v[17:18], v[25:26]
	v_div_fixup_f64 v[12:13], v[15:16], v[4:5], v[12:13]
                                        ; implicit-def: $vgpr4_vgpr5
	s_and_not1_saveexec_b32 s1, s1
	s_cbranch_execnz .LBB224_1673
.LBB224_1668:
	s_or_b32 exec_lo, exec_lo, s1
	s_and_saveexec_b32 s1, s0
	s_delay_alu instid0(SALU_CYCLE_1)
	s_xor_b32 s0, exec_lo, s1
	s_cbranch_execz .LBB224_1674
.LBB224_1669:
	s_and_saveexec_b32 s1, s15
; %bb.1670:
	s_delay_alu instid0(VALU_DEP_2) | instskip(NEXT) | instid1(VALU_DEP_2)
	v_mul_f64 v[10:11], v[10:11], 0.5
	v_mul_f64 v[12:13], v[12:13], 0.5
; %bb.1671:
	s_or_b32 exec_lo, exec_lo, s1
	s_and_not1_saveexec_b32 s0, s0
	s_cbranch_execnz .LBB224_1675
	s_branch .LBB224_1676
.LBB224_1672:
	s_and_not1_saveexec_b32 s1, s1
	s_cbranch_execz .LBB224_1668
.LBB224_1673:
	v_add_f64 v[4:5], v[4:5], -v[10:11]
	s_delay_alu instid0(VALU_DEP_1) | instskip(NEXT) | instid1(VALU_DEP_1)
	v_mul_f64 v[4:5], v[4:5], 0.5
	v_cmp_gt_f64_e32 vcc_lo, 0x10000000, v[4:5]
	v_cndmask_b32_e64 v10, 0, 1, vcc_lo
	s_delay_alu instid0(VALU_DEP_1) | instskip(NEXT) | instid1(VALU_DEP_1)
	v_lshlrev_b32_e32 v10, 8, v10
	v_ldexp_f64 v[4:5], v[4:5], v10
	s_delay_alu instid0(VALU_DEP_1) | instskip(SKIP_3) | instid1(VALU_DEP_1)
	v_rsq_f64_e32 v[10:11], v[4:5]
	s_waitcnt_depctr 0xfff
	v_mul_f64 v[15:16], v[4:5], v[10:11]
	v_mul_f64 v[10:11], v[10:11], 0.5
	v_fma_f64 v[17:18], -v[10:11], v[15:16], 0.5
	s_delay_alu instid0(VALU_DEP_1) | instskip(SKIP_1) | instid1(VALU_DEP_2)
	v_fma_f64 v[15:16], v[15:16], v[17:18], v[15:16]
	v_fma_f64 v[10:11], v[10:11], v[17:18], v[10:11]
	v_fma_f64 v[17:18], -v[15:16], v[15:16], v[4:5]
	s_delay_alu instid0(VALU_DEP_1) | instskip(NEXT) | instid1(VALU_DEP_1)
	v_fma_f64 v[15:16], v[17:18], v[10:11], v[15:16]
	v_fma_f64 v[17:18], -v[15:16], v[15:16], v[4:5]
	s_delay_alu instid0(VALU_DEP_1) | instskip(SKIP_2) | instid1(VALU_DEP_2)
	v_fma_f64 v[10:11], v[17:18], v[10:11], v[15:16]
	v_cndmask_b32_e64 v15, 0, 0xffffff80, vcc_lo
	v_cmp_class_f64_e64 vcc_lo, v[4:5], 0x260
	v_ldexp_f64 v[10:11], v[10:11], v15
	v_mov_b32_e32 v15, v12
	s_delay_alu instid0(VALU_DEP_2) | instskip(NEXT) | instid1(VALU_DEP_1)
	v_dual_cndmask_b32 v5, v11, v5 :: v_dual_cndmask_b32 v4, v10, v4
	v_add_f64 v[10:11], v[4:5], v[4:5]
	v_bfi_b32 v5, 0x7fffffff, v5, v13
	v_and_b32_e32 v16, 0x7fffffff, v13
	s_delay_alu instid0(VALU_DEP_1) | instskip(SKIP_1) | instid1(VALU_DEP_2)
	v_div_scale_f64 v[17:18], null, v[10:11], v[10:11], v[15:16]
	v_div_scale_f64 v[15:16], vcc_lo, v[15:16], v[10:11], v[15:16]
	v_rcp_f64_e32 v[23:24], v[17:18]
	s_waitcnt_depctr 0xfff
	v_fma_f64 v[25:26], -v[17:18], v[23:24], 1.0
	s_delay_alu instid0(VALU_DEP_1) | instskip(NEXT) | instid1(VALU_DEP_1)
	v_fma_f64 v[23:24], v[23:24], v[25:26], v[23:24]
	v_fma_f64 v[25:26], -v[17:18], v[23:24], 1.0
	s_delay_alu instid0(VALU_DEP_1) | instskip(NEXT) | instid1(VALU_DEP_1)
	v_fma_f64 v[23:24], v[23:24], v[25:26], v[23:24]
	v_mul_f64 v[25:26], v[15:16], v[23:24]
	s_delay_alu instid0(VALU_DEP_1) | instskip(NEXT) | instid1(VALU_DEP_1)
	v_fma_f64 v[15:16], -v[17:18], v[25:26], v[15:16]
	v_div_fmas_f64 v[15:16], v[15:16], v[23:24], v[25:26]
	s_delay_alu instid0(VALU_DEP_1) | instskip(SKIP_3) | instid1(SALU_CYCLE_1)
	v_div_fixup_f64 v[10:11], v[15:16], v[10:11], |v[12:13]|
	v_dual_mov_b32 v13, v5 :: v_dual_mov_b32 v12, v4
	s_or_b32 exec_lo, exec_lo, s1
	s_and_saveexec_b32 s1, s0
	s_xor_b32 s0, exec_lo, s1
	s_cbranch_execnz .LBB224_1669
.LBB224_1674:
	s_and_not1_saveexec_b32 s0, s0
.LBB224_1675:
	s_delay_alu instid0(VALU_DEP_2) | instskip(NEXT) | instid1(VALU_DEP_2)
	v_add_f64 v[10:11], v[10:11], v[10:11]
	v_add_f64 v[12:13], v[12:13], v[12:13]
.LBB224_1676:
	s_or_b32 exec_lo, exec_lo, s0
.LBB224_1677:
	s_and_not1_saveexec_b32 s0, s14
	s_cbranch_execz .LBB224_1683
; %bb.1678:
	s_delay_alu instid0(VALU_DEP_1) | instskip(SKIP_1) | instid1(VALU_DEP_3)
	v_add_f64 v[4:5], v[12:13], -v[12:13]
	s_mov_b32 s1, exec_lo
	v_cmpx_lt_i64_e32 -1, v[10:11]
	s_xor_b32 s1, exec_lo, s1
; %bb.1679:
	s_delay_alu instid0(VALU_DEP_2) | instskip(NEXT) | instid1(VALU_DEP_1)
	v_bfi_b32 v5, 0x7fffffff, v5, v13
	v_dual_mov_b32 v13, v5 :: v_dual_mov_b32 v12, v4
                                        ; implicit-def: $vgpr4_vgpr5
; %bb.1680:
	s_and_not1_saveexec_b32 s1, s1
; %bb.1681:
	s_delay_alu instid0(VALU_DEP_1) | instskip(SKIP_1) | instid1(VALU_DEP_2)
	v_bfi_b32 v11, 0x7fffffff, v11, v13
	v_and_b32_e32 v5, 0x7fffffff, v5
	v_dual_mov_b32 v13, v11 :: v_dual_mov_b32 v12, v10
	s_delay_alu instid0(VALU_DEP_2)
	v_dual_mov_b32 v11, v5 :: v_dual_mov_b32 v10, v4
; %bb.1682:
	s_or_b32 exec_lo, exec_lo, s1
.LBB224_1683:
	s_delay_alu instid0(SALU_CYCLE_1)
	s_or_b32 exec_lo, exec_lo, s0
.LBB224_1684:
	s_and_not1_saveexec_b32 s0, s13
; %bb.1685:
	s_delay_alu instid0(VALU_DEP_1) | instskip(NEXT) | instid1(VALU_DEP_1)
	v_add_f64 v[4:5], v[12:13], -v[12:13]
	v_div_scale_f64 v[12:13], vcc_lo, v[4:5], v[4:5], v[4:5]
	s_delay_alu instid0(VALU_DEP_1) | instskip(SKIP_2) | instid1(VALU_DEP_1)
	v_rcp_f64_e32 v[15:16], v[12:13]
	s_waitcnt_depctr 0xfff
	v_fma_f64 v[17:18], -v[12:13], v[15:16], 1.0
	v_fma_f64 v[15:16], v[15:16], v[17:18], v[15:16]
	s_delay_alu instid0(VALU_DEP_1) | instskip(NEXT) | instid1(VALU_DEP_1)
	v_fma_f64 v[17:18], -v[12:13], v[15:16], 1.0
	v_fma_f64 v[15:16], v[15:16], v[17:18], v[15:16]
	s_delay_alu instid0(VALU_DEP_1) | instskip(NEXT) | instid1(VALU_DEP_1)
	v_mul_f64 v[17:18], v[12:13], v[15:16]
	v_fma_f64 v[12:13], -v[12:13], v[17:18], v[12:13]
	s_delay_alu instid0(VALU_DEP_1) | instskip(NEXT) | instid1(VALU_DEP_1)
	v_div_fmas_f64 v[12:13], v[12:13], v[15:16], v[17:18]
	v_div_fixup_f64 v[12:13], v[12:13], v[4:5], v[4:5]
; %bb.1686:
	s_or_b32 exec_lo, exec_lo, s0
	v_dual_mov_b32 v4, v10 :: v_dual_mov_b32 v5, v11
.LBB224_1687:
	s_or_b32 exec_lo, exec_lo, s9
.LBB224_1688:
	s_delay_alu instid0(SALU_CYCLE_1) | instskip(SKIP_2) | instid1(VALU_DEP_2)
	s_or_b32 exec_lo, exec_lo, s8
	v_add_nc_u32_e32 v10, s3, v14
	v_cmp_gt_i16_e32 vcc_lo, 11, v22
	v_ashrrev_i32_e32 v11, 31, v10
	v_add_co_u32 v10, s0, s6, v10
	s_delay_alu instid0(VALU_DEP_1)
	v_add_co_ci_u32_e64 v11, s0, s7, v11, s0
	s_cbranch_vccnz .LBB224_1695
; %bb.1689:
	v_cmp_lt_i16_e32 vcc_lo, 25, v22
	s_mov_b32 s8, 0
	s_cbranch_vccz .LBB224_1696
; %bb.1690:
	v_cmp_lt_i16_e32 vcc_lo, 28, v22
	s_cbranch_vccz .LBB224_1697
; %bb.1691:
	v_cmp_lt_i16_e32 vcc_lo, 43, v22
	;; [unrolled: 3-line block ×3, first 2 shown]
	s_cbranch_vccz .LBB224_1701
; %bb.1693:
	v_cmp_eq_u16_e32 vcc_lo, 46, v22
	s_mov_b32 s0, 0
	s_cbranch_vccz .LBB224_1704
; %bb.1694:
	global_load_b32 v14, v[10:11], off
	s_mov_b32 s3, 0
	s_mov_b32 s6, -1
	s_waitcnt vmcnt(0)
	v_lshlrev_b32_e32 v15, 16, v14
	v_and_b32_e32 v16, 0xffff0000, v14
	s_delay_alu instid0(VALU_DEP_2) | instskip(NEXT) | instid1(VALU_DEP_2)
	v_cvt_f64_f32_e32 v[14:15], v15
	v_cvt_f64_f32_e32 v[16:17], v16
	s_branch .LBB224_1706
.LBB224_1695:
	s_mov_b32 s0, -1
	s_mov_b32 s6, 0
                                        ; implicit-def: $vgpr16_vgpr17
	s_branch .LBB224_1775
.LBB224_1696:
	s_mov_b32 s0, -1
	s_mov_b32 s6, 0
	s_mov_b32 s3, 0
                                        ; implicit-def: $vgpr16_vgpr17
	s_branch .LBB224_1739
.LBB224_1697:
	s_mov_b32 s0, -1
	s_mov_b32 s6, 0
	s_mov_b32 s3, 0
                                        ; implicit-def: $vgpr16_vgpr17
	s_branch .LBB224_1718
.LBB224_1698:
	s_mov_b32 s0, -1
	s_mov_b32 s6, 0
	s_mov_b32 s3, 0
                                        ; implicit-def: $vgpr16_vgpr17
	s_branch .LBB224_1712
.LBB224_1699:
	s_cbranch_execnz .LBB224_1702
; %bb.1700:
	s_or_b32 s10, s10, exec_lo
                                        ; implicit-def: $vgpr12_vgpr13
	s_cbranch_execz .LBB224_1653
	s_branch .LBB224_1654
.LBB224_1701:
	s_mov_b32 s0, -1
	s_mov_b32 s6, 0
	s_mov_b32 s3, 0
	s_branch .LBB224_1705
.LBB224_1702:
	s_trap 2
	s_sendmsg_rtn_b32 s0, sendmsg(MSG_RTN_GET_DOORBELL)
	s_mov_b32 ttmp2, m0
	s_waitcnt lgkmcnt(0)
	s_and_b32 s0, s0, 0x3ff
	s_delay_alu instid0(SALU_CYCLE_1) | instskip(NEXT) | instid1(SALU_CYCLE_1)
	s_bitset1_b32 s0, 10
	s_mov_b32 m0, s0
	s_sendmsg sendmsg(MSG_INTERRUPT)
	s_mov_b32 m0, ttmp2
.LBB224_1703:                           ; =>This Inner Loop Header: Depth=1
	s_sethalt 5
	s_branch .LBB224_1703
.LBB224_1704:
	s_mov_b32 s3, -1
	s_mov_b32 s6, 0
.LBB224_1705:
                                        ; implicit-def: $vgpr16_vgpr17
.LBB224_1706:
	s_and_b32 vcc_lo, exec_lo, s0
	s_cbranch_vccz .LBB224_1711
; %bb.1707:
	v_cmp_eq_u16_e32 vcc_lo, 44, v22
	s_cbranch_vccz .LBB224_1709
; %bb.1708:
	global_load_u8 v16, v[10:11], off
	s_mov_b32 s3, 0
	s_mov_b32 s6, -1
	s_mov_b64 s[0:1], 0
	s_waitcnt vmcnt(0)
	v_cmp_ne_u32_e32 vcc_lo, 0xff, v16
	v_lshlrev_b32_e32 v14, 23, v16
	s_delay_alu instid0(VALU_DEP_1) | instskip(NEXT) | instid1(VALU_DEP_1)
	v_cvt_f64_f32_e32 v[14:15], v14
	v_cndmask_b32_e32 v15, 0x7ff80000, v15, vcc_lo
	s_delay_alu instid0(VALU_DEP_2) | instskip(SKIP_1) | instid1(VALU_DEP_3)
	v_cndmask_b32_e32 v14, 0x20000000, v14, vcc_lo
	v_cmp_ne_u32_e32 vcc_lo, 0, v16
	v_cndmask_b32_e32 v15, 0x38000000, v15, vcc_lo
	s_delay_alu instid0(VALU_DEP_3)
	v_cndmask_b32_e32 v14, 0, v14, vcc_lo
	s_branch .LBB224_1710
.LBB224_1709:
	s_mov_b32 s3, -1
                                        ; implicit-def: $sgpr0_sgpr1
                                        ; implicit-def: $vgpr14_vgpr15
.LBB224_1710:
	v_dual_mov_b32 v17, s1 :: v_dual_mov_b32 v16, s0
.LBB224_1711:
	s_mov_b32 s0, 0
.LBB224_1712:
	s_delay_alu instid0(SALU_CYCLE_1)
	s_and_b32 vcc_lo, exec_lo, s0
	s_cbranch_vccz .LBB224_1717
; %bb.1713:
	v_cmp_eq_u16_e32 vcc_lo, 29, v22
	s_cbranch_vccz .LBB224_1715
; %bb.1714:
	global_load_b64 v[14:15], v[10:11], off
	s_mov_b32 s3, 0
	s_mov_b32 s6, -1
	s_mov_b64 s[0:1], 0
	s_waitcnt vmcnt(0)
	v_cvt_f64_u32_e32 v[15:16], v15
	v_cvt_f64_u32_e32 v[17:18], v14
	s_delay_alu instid0(VALU_DEP_2) | instskip(NEXT) | instid1(VALU_DEP_1)
	v_ldexp_f64 v[15:16], v[15:16], 32
	v_add_f64 v[14:15], v[15:16], v[17:18]
	s_branch .LBB224_1716
.LBB224_1715:
	s_mov_b32 s3, -1
                                        ; implicit-def: $sgpr0_sgpr1
                                        ; implicit-def: $vgpr14_vgpr15
.LBB224_1716:
	v_dual_mov_b32 v17, s1 :: v_dual_mov_b32 v16, s0
.LBB224_1717:
	s_mov_b32 s0, 0
.LBB224_1718:
	s_delay_alu instid0(SALU_CYCLE_1)
	s_and_b32 vcc_lo, exec_lo, s0
	s_cbranch_vccz .LBB224_1738
; %bb.1719:
	v_cmp_gt_i16_e32 vcc_lo, 27, v22
	s_cbranch_vccnz .LBB224_1722
; %bb.1720:
	v_cmp_lt_i16_e32 vcc_lo, 27, v22
	s_cbranch_vccz .LBB224_1723
; %bb.1721:
	global_load_b32 v14, v[10:11], off
	s_mov_b32 s6, 0
	s_mov_b64 s[0:1], 0
	s_waitcnt vmcnt(0)
	v_cvt_f64_u32_e32 v[14:15], v14
	s_branch .LBB224_1724
.LBB224_1722:
	s_mov_b32 s6, -1
                                        ; implicit-def: $sgpr0_sgpr1
                                        ; implicit-def: $vgpr14_vgpr15
	s_branch .LBB224_1727
.LBB224_1723:
	s_mov_b32 s6, -1
                                        ; implicit-def: $sgpr0_sgpr1
                                        ; implicit-def: $vgpr14_vgpr15
.LBB224_1724:
	s_delay_alu instid0(SALU_CYCLE_1)
	s_and_not1_b32 vcc_lo, exec_lo, s6
	s_cbranch_vccnz .LBB224_1726
; %bb.1725:
	global_load_u16 v14, v[10:11], off
	s_mov_b64 s[0:1], 0
	s_waitcnt vmcnt(0)
	v_cvt_f64_u32_e32 v[14:15], v14
.LBB224_1726:
	s_mov_b32 s6, 0
.LBB224_1727:
	v_dual_mov_b32 v17, s1 :: v_dual_mov_b32 v16, s0
	s_and_not1_b32 vcc_lo, exec_lo, s6
	s_cbranch_vccnz .LBB224_1737
; %bb.1728:
	global_load_u8 v18, v[10:11], off
	s_mov_b32 s9, 0
	s_mov_b32 s13, exec_lo
                                        ; implicit-def: $sgpr0_sgpr1
                                        ; implicit-def: $sgpr6_sgpr7
	s_waitcnt vmcnt(0)
	v_cmpx_lt_i16_e32 0x7f, v18
	s_xor_b32 s13, exec_lo, s13
	s_cbranch_execz .LBB224_1732
; %bb.1729:
	s_mov_b32 s9, -1
	s_mov_b32 s14, exec_lo
                                        ; implicit-def: $sgpr0_sgpr1
                                        ; implicit-def: $sgpr6_sgpr7
	v_cmpx_eq_u16_e32 0x80, v18
; %bb.1730:
	s_mov_b64 s[0:1], 0
	s_mov_b32 s7, 0x7ff80000
	s_brev_b32 s6, 4
	s_xor_b32 s9, exec_lo, -1
; %bb.1731:
	s_or_b32 exec_lo, exec_lo, s14
	s_delay_alu instid0(SALU_CYCLE_1)
	s_and_b32 s9, s9, exec_lo
.LBB224_1732:
	s_or_saveexec_b32 s13, s13
	v_dual_mov_b32 v17, s1 :: v_dual_mov_b32 v16, s0
	v_dual_mov_b32 v15, s7 :: v_dual_mov_b32 v14, s6
	s_xor_b32 exec_lo, exec_lo, s13
; %bb.1733:
	v_mov_b32_e32 v16, 0
	v_mov_b32_e32 v17, 0
	v_cmp_ne_u16_e32 vcc_lo, 0, v18
	s_delay_alu instid0(VALU_DEP_3) | instskip(SKIP_1) | instid1(VALU_DEP_3)
	v_mov_b32_e32 v14, v16
	s_and_not1_b32 s0, s9, exec_lo
	v_mov_b32_e32 v15, v17
	s_and_b32 s1, vcc_lo, exec_lo
	s_delay_alu instid0(SALU_CYCLE_1)
	s_or_b32 s9, s0, s1
; %bb.1734:
	s_or_b32 exec_lo, exec_lo, s13
	s_and_saveexec_b32 s0, s9
	s_cbranch_execz .LBB224_1736
; %bb.1735:
	v_and_b32_e32 v14, 0xffff, v18
	v_lshlrev_b32_e32 v18, 24, v18
	s_delay_alu instid0(VALU_DEP_2) | instskip(NEXT) | instid1(VALU_DEP_1)
	v_and_b32_e32 v15, 7, v14
	v_clz_i32_u32_e32 v16, v15
	s_delay_alu instid0(VALU_DEP_1) | instskip(NEXT) | instid1(VALU_DEP_1)
	v_min_u32_e32 v16, 32, v16
	v_subrev_nc_u32_e32 v17, 28, v16
	v_sub_nc_u32_e32 v16, 29, v16
	s_delay_alu instid0(VALU_DEP_2) | instskip(SKIP_1) | instid1(VALU_DEP_2)
	v_lshlrev_b32_e32 v17, v17, v14
	v_bfe_u32 v14, v14, 3, 4
	v_and_b32_e32 v17, 7, v17
	s_delay_alu instid0(VALU_DEP_2) | instskip(NEXT) | instid1(VALU_DEP_2)
	v_cmp_eq_u32_e32 vcc_lo, 0, v14
	v_dual_cndmask_b32 v14, v14, v16 :: v_dual_cndmask_b32 v15, v15, v17
	v_and_b32_e32 v16, 0x80000000, v18
	s_delay_alu instid0(VALU_DEP_2) | instskip(NEXT) | instid1(VALU_DEP_3)
	v_lshl_add_u32 v14, v14, 23, 0x3b800000
	v_lshlrev_b32_e32 v15, 20, v15
	s_delay_alu instid0(VALU_DEP_1) | instskip(SKIP_2) | instid1(VALU_DEP_3)
	v_or3_b32 v14, v16, v14, v15
	v_mov_b32_e32 v16, 0
	v_mov_b32_e32 v17, 0
	v_cvt_f64_f32_e32 v[14:15], v14
.LBB224_1736:
	s_or_b32 exec_lo, exec_lo, s0
.LBB224_1737:
	s_mov_b32 s6, -1
.LBB224_1738:
	s_mov_b32 s0, 0
.LBB224_1739:
	s_delay_alu instid0(SALU_CYCLE_1)
	s_and_b32 vcc_lo, exec_lo, s0
	s_cbranch_vccz .LBB224_1771
; %bb.1740:
	v_cmp_lt_i16_e32 vcc_lo, 22, v22
	s_cbranch_vccz .LBB224_1752
; %bb.1741:
	v_cmp_gt_i16_e32 vcc_lo, 24, v22
	s_cbranch_vccnz .LBB224_1753
; %bb.1742:
	v_cmp_lt_i16_e32 vcc_lo, 24, v22
	s_cbranch_vccz .LBB224_1754
; %bb.1743:
	global_load_u8 v18, v[10:11], off
	s_mov_b32 s9, exec_lo
                                        ; implicit-def: $sgpr0_sgpr1
                                        ; implicit-def: $sgpr6_sgpr7
	s_waitcnt vmcnt(0)
	v_cmpx_lt_i16_e32 0x7f, v18
	s_xor_b32 s9, exec_lo, s9
	s_cbranch_execz .LBB224_1747
; %bb.1744:
	s_mov_b32 s8, -1
	s_mov_b32 s13, exec_lo
                                        ; implicit-def: $sgpr0_sgpr1
                                        ; implicit-def: $sgpr6_sgpr7
	v_cmpx_eq_u16_e32 0x80, v18
; %bb.1745:
	s_mov_b64 s[0:1], 0
	s_mov_b32 s7, 0x7ff80000
	s_brev_b32 s6, 4
	s_xor_b32 s8, exec_lo, -1
; %bb.1746:
	s_or_b32 exec_lo, exec_lo, s13
	s_delay_alu instid0(SALU_CYCLE_1)
	s_and_b32 s8, s8, exec_lo
.LBB224_1747:
	s_or_saveexec_b32 s9, s9
	v_dual_mov_b32 v17, s1 :: v_dual_mov_b32 v16, s0
	v_dual_mov_b32 v15, s7 :: v_dual_mov_b32 v14, s6
	s_xor_b32 exec_lo, exec_lo, s9
; %bb.1748:
	v_mov_b32_e32 v16, 0
	v_mov_b32_e32 v17, 0
	v_cmp_ne_u16_e32 vcc_lo, 0, v18
	s_delay_alu instid0(VALU_DEP_3) | instskip(SKIP_1) | instid1(VALU_DEP_3)
	v_mov_b32_e32 v14, v16
	s_and_not1_b32 s0, s8, exec_lo
	v_mov_b32_e32 v15, v17
	s_and_b32 s1, vcc_lo, exec_lo
	s_delay_alu instid0(SALU_CYCLE_1)
	s_or_b32 s8, s0, s1
; %bb.1749:
	s_or_b32 exec_lo, exec_lo, s9
	s_and_saveexec_b32 s0, s8
	s_cbranch_execz .LBB224_1751
; %bb.1750:
	v_and_b32_e32 v14, 0xffff, v18
	v_lshlrev_b32_e32 v18, 24, v18
	s_delay_alu instid0(VALU_DEP_2) | instskip(NEXT) | instid1(VALU_DEP_1)
	v_and_b32_e32 v15, 3, v14
	v_clz_i32_u32_e32 v16, v15
	s_delay_alu instid0(VALU_DEP_1) | instskip(NEXT) | instid1(VALU_DEP_1)
	v_min_u32_e32 v16, 32, v16
	v_subrev_nc_u32_e32 v17, 29, v16
	v_sub_nc_u32_e32 v16, 30, v16
	s_delay_alu instid0(VALU_DEP_2) | instskip(SKIP_1) | instid1(VALU_DEP_2)
	v_lshlrev_b32_e32 v17, v17, v14
	v_bfe_u32 v14, v14, 2, 5
	v_and_b32_e32 v17, 3, v17
	s_delay_alu instid0(VALU_DEP_2) | instskip(NEXT) | instid1(VALU_DEP_2)
	v_cmp_eq_u32_e32 vcc_lo, 0, v14
	v_dual_cndmask_b32 v14, v14, v16 :: v_dual_cndmask_b32 v15, v15, v17
	v_and_b32_e32 v16, 0x80000000, v18
	s_delay_alu instid0(VALU_DEP_2) | instskip(NEXT) | instid1(VALU_DEP_3)
	v_lshl_add_u32 v14, v14, 23, 0x37800000
	v_lshlrev_b32_e32 v15, 21, v15
	s_delay_alu instid0(VALU_DEP_1) | instskip(SKIP_2) | instid1(VALU_DEP_3)
	v_or3_b32 v14, v16, v14, v15
	v_mov_b32_e32 v16, 0
	v_mov_b32_e32 v17, 0
	v_cvt_f64_f32_e32 v[14:15], v14
.LBB224_1751:
	s_or_b32 exec_lo, exec_lo, s0
	s_mov_b32 s0, 0
	s_branch .LBB224_1755
.LBB224_1752:
	s_mov_b32 s0, -1
                                        ; implicit-def: $vgpr16_vgpr17
	s_branch .LBB224_1761
.LBB224_1753:
	s_mov_b32 s0, -1
                                        ; implicit-def: $vgpr16_vgpr17
	s_branch .LBB224_1758
.LBB224_1754:
	s_mov_b32 s0, -1
                                        ; implicit-def: $vgpr16_vgpr17
.LBB224_1755:
	s_delay_alu instid0(SALU_CYCLE_1)
	s_and_b32 vcc_lo, exec_lo, s0
	s_cbranch_vccz .LBB224_1757
; %bb.1756:
	global_load_u8 v14, v[10:11], off
	s_waitcnt vmcnt(0)
	v_lshlrev_b32_e32 v14, 24, v14
	s_delay_alu instid0(VALU_DEP_1) | instskip(NEXT) | instid1(VALU_DEP_1)
	v_and_b32_e32 v15, 0x7f000000, v14
	v_clz_i32_u32_e32 v16, v15
	v_add_nc_u32_e32 v18, 0x1000000, v15
	v_cmp_ne_u32_e32 vcc_lo, 0, v15
	s_delay_alu instid0(VALU_DEP_3) | instskip(NEXT) | instid1(VALU_DEP_1)
	v_min_u32_e32 v16, 32, v16
	v_sub_nc_u32_e64 v16, v16, 4 clamp
	s_delay_alu instid0(VALU_DEP_1) | instskip(SKIP_1) | instid1(VALU_DEP_2)
	v_lshlrev_b32_e32 v17, v16, v15
	v_lshlrev_b32_e32 v16, 23, v16
	v_lshrrev_b32_e32 v17, 4, v17
	s_delay_alu instid0(VALU_DEP_1) | instskip(SKIP_1) | instid1(VALU_DEP_2)
	v_sub_nc_u32_e32 v16, v17, v16
	v_ashrrev_i32_e32 v17, 8, v18
	v_add_nc_u32_e32 v16, 0x3c000000, v16
	s_delay_alu instid0(VALU_DEP_1) | instskip(NEXT) | instid1(VALU_DEP_1)
	v_and_or_b32 v16, 0x7f800000, v17, v16
	v_dual_cndmask_b32 v15, 0, v16 :: v_dual_mov_b32 v16, 0
	v_mov_b32_e32 v17, 0
	s_delay_alu instid0(VALU_DEP_2) | instskip(NEXT) | instid1(VALU_DEP_1)
	v_and_or_b32 v14, 0x80000000, v14, v15
	v_cvt_f64_f32_e32 v[14:15], v14
.LBB224_1757:
	s_mov_b32 s0, 0
.LBB224_1758:
	s_delay_alu instid0(SALU_CYCLE_1)
	s_and_not1_b32 vcc_lo, exec_lo, s0
	s_cbranch_vccnz .LBB224_1760
; %bb.1759:
	global_load_u8 v14, v[10:11], off
	s_waitcnt vmcnt(0)
	v_lshlrev_b32_e32 v15, 25, v14
	v_lshlrev_b16 v14, 8, v14
	s_delay_alu instid0(VALU_DEP_2) | instskip(NEXT) | instid1(VALU_DEP_2)
	v_lshrrev_b32_e32 v16, 4, v15
	v_and_or_b32 v17, 0x7f00, v14, 0.5
	v_bfe_i32 v14, v14, 0, 16
	s_delay_alu instid0(VALU_DEP_3) | instskip(NEXT) | instid1(VALU_DEP_1)
	v_or_b32_e32 v16, 0x70000000, v16
	v_dual_add_f32 v17, -0.5, v17 :: v_dual_mul_f32 v16, 0x7800000, v16
	v_cmp_gt_u32_e32 vcc_lo, 0x8000000, v15
	s_delay_alu instid0(VALU_DEP_2) | instskip(SKIP_1) | instid1(VALU_DEP_2)
	v_dual_cndmask_b32 v15, v16, v17 :: v_dual_mov_b32 v16, 0
	v_mov_b32_e32 v17, 0
	v_and_or_b32 v14, 0x80000000, v14, v15
	s_delay_alu instid0(VALU_DEP_1)
	v_cvt_f64_f32_e32 v[14:15], v14
.LBB224_1760:
	s_mov_b32 s0, 0
	s_mov_b32 s6, -1
.LBB224_1761:
	s_and_not1_b32 vcc_lo, exec_lo, s0
	s_mov_b32 s8, 0
	s_cbranch_vccnz .LBB224_1771
; %bb.1762:
	v_cmp_lt_i16_e32 vcc_lo, 14, v22
	s_cbranch_vccz .LBB224_1765
; %bb.1763:
	v_cmp_eq_u16_e32 vcc_lo, 15, v22
	s_cbranch_vccz .LBB224_1766
; %bb.1764:
	global_load_u16 v14, v[10:11], off
	s_mov_b32 s3, 0
	s_mov_b32 s6, -1
	s_mov_b64 s[0:1], 0
	s_waitcnt vmcnt(0)
	v_lshlrev_b32_e32 v14, 16, v14
	s_delay_alu instid0(VALU_DEP_1)
	v_cvt_f64_f32_e32 v[14:15], v14
	s_branch .LBB224_1767
.LBB224_1765:
	s_mov_b32 s7, -1
                                        ; implicit-def: $sgpr0_sgpr1
                                        ; implicit-def: $vgpr14_vgpr15
	s_branch .LBB224_1768
.LBB224_1766:
	s_mov_b32 s3, -1
                                        ; implicit-def: $sgpr0_sgpr1
                                        ; implicit-def: $vgpr14_vgpr15
.LBB224_1767:
	s_mov_b32 s7, 0
.LBB224_1768:
	s_delay_alu instid0(SALU_CYCLE_1)
	s_and_b32 vcc_lo, exec_lo, s7
	s_cbranch_vccz .LBB224_1770
; %bb.1769:
	v_cmp_ne_u16_e64 s3, 11, v22
	s_mov_b32 s8, -1
                                        ; implicit-def: $sgpr0_sgpr1
                                        ; implicit-def: $vgpr14_vgpr15
.LBB224_1770:
	v_dual_mov_b32 v17, s1 :: v_dual_mov_b32 v16, s0
.LBB224_1771:
	s_delay_alu instid0(VALU_DEP_2)
	s_and_b32 vcc_lo, exec_lo, s3
	s_cbranch_vccnz .LBB224_2339
; %bb.1772:
	s_and_not1_b32 vcc_lo, exec_lo, s8
	s_cbranch_vccnz .LBB224_1774
.LBB224_1773:
	global_load_u8 v14, v[10:11], off
	v_mov_b32_e32 v16, 0
	v_mov_b32_e32 v17, 0
	s_mov_b32 s6, -1
	s_waitcnt vmcnt(0)
	v_cmp_ne_u16_e32 vcc_lo, 0, v14
	v_mov_b32_e32 v14, 0
	v_cndmask_b32_e64 v15, 0, 0x3ff00000, vcc_lo
.LBB224_1774:
	s_mov_b32 s0, 0
.LBB224_1775:
	s_delay_alu instid0(SALU_CYCLE_1)
	s_and_b32 vcc_lo, exec_lo, s0
	s_cbranch_vccz .LBB224_1826
; %bb.1776:
	v_cmp_gt_i16_e32 vcc_lo, 5, v22
	s_cbranch_vccnz .LBB224_1781
; %bb.1777:
	v_cmp_gt_i16_e32 vcc_lo, 8, v22
	s_cbranch_vccnz .LBB224_1782
	;; [unrolled: 3-line block ×3, first 2 shown]
; %bb.1779:
	v_cmp_lt_i16_e32 vcc_lo, 9, v22
	s_cbranch_vccz .LBB224_1784
; %bb.1780:
	global_load_b128 v[14:17], v[10:11], off
	s_mov_b32 s0, 0
	s_branch .LBB224_1785
.LBB224_1781:
	s_mov_b32 s0, -1
                                        ; implicit-def: $vgpr16_vgpr17
	s_branch .LBB224_1804
.LBB224_1782:
	s_mov_b32 s0, -1
                                        ; implicit-def: $vgpr16_vgpr17
	s_branch .LBB224_1791
.LBB224_1783:
	s_mov_b32 s0, -1
                                        ; implicit-def: $vgpr16_vgpr17
	s_branch .LBB224_1788
.LBB224_1784:
	s_mov_b32 s0, -1
                                        ; implicit-def: $vgpr16_vgpr17
.LBB224_1785:
	s_delay_alu instid0(SALU_CYCLE_1)
	s_and_not1_b32 vcc_lo, exec_lo, s0
	s_cbranch_vccnz .LBB224_1787
; %bb.1786:
	global_load_b64 v[15:16], v[10:11], off
	s_waitcnt vmcnt(0)
	v_cvt_f64_f32_e32 v[14:15], v15
	v_cvt_f64_f32_e32 v[16:17], v16
.LBB224_1787:
	s_mov_b32 s0, 0
.LBB224_1788:
	s_delay_alu instid0(SALU_CYCLE_1)
	s_and_not1_b32 vcc_lo, exec_lo, s0
	s_cbranch_vccnz .LBB224_1790
; %bb.1789:
	global_load_b32 v14, v[10:11], off
	s_waitcnt vmcnt(0)
	v_lshrrev_b32_e32 v15, 16, v14
	v_cvt_f32_f16_e32 v14, v14
	s_delay_alu instid0(VALU_DEP_2) | instskip(NEXT) | instid1(VALU_DEP_2)
	v_cvt_f32_f16_e32 v16, v15
	v_cvt_f64_f32_e32 v[14:15], v14
	s_delay_alu instid0(VALU_DEP_2)
	v_cvt_f64_f32_e32 v[16:17], v16
.LBB224_1790:
	s_mov_b32 s0, 0
.LBB224_1791:
	s_delay_alu instid0(SALU_CYCLE_1)
	s_and_not1_b32 vcc_lo, exec_lo, s0
	s_cbranch_vccnz .LBB224_1803
; %bb.1792:
	v_cmp_gt_i16_e32 vcc_lo, 6, v22
	s_cbranch_vccnz .LBB224_1795
; %bb.1793:
	v_cmp_lt_i16_e32 vcc_lo, 6, v22
	s_cbranch_vccz .LBB224_1796
; %bb.1794:
	global_load_b64 v[14:15], v[10:11], off
	s_mov_b32 s3, 0
	s_mov_b64 s[0:1], 0
	s_branch .LBB224_1797
.LBB224_1795:
	s_mov_b32 s3, -1
                                        ; implicit-def: $sgpr0_sgpr1
                                        ; implicit-def: $vgpr14_vgpr15
	s_branch .LBB224_1800
.LBB224_1796:
	s_mov_b32 s3, -1
                                        ; implicit-def: $sgpr0_sgpr1
                                        ; implicit-def: $vgpr14_vgpr15
.LBB224_1797:
	s_delay_alu instid0(SALU_CYCLE_1)
	s_and_not1_b32 vcc_lo, exec_lo, s3
	s_cbranch_vccnz .LBB224_1799
; %bb.1798:
	global_load_b32 v14, v[10:11], off
	s_mov_b64 s[0:1], 0
	s_waitcnt vmcnt(0)
	v_cvt_f64_f32_e32 v[14:15], v14
.LBB224_1799:
	s_mov_b32 s3, 0
.LBB224_1800:
	s_delay_alu instid0(SALU_CYCLE_1)
	s_and_not1_b32 vcc_lo, exec_lo, s3
	s_cbranch_vccnz .LBB224_1802
; %bb.1801:
	global_load_u16 v14, v[10:11], off
	s_mov_b64 s[0:1], 0
	s_waitcnt vmcnt(0)
	v_cvt_f32_f16_e32 v14, v14
	s_delay_alu instid0(VALU_DEP_1)
	v_cvt_f64_f32_e32 v[14:15], v14
.LBB224_1802:
	s_waitcnt vmcnt(0)
	v_dual_mov_b32 v17, s1 :: v_dual_mov_b32 v16, s0
.LBB224_1803:
	s_mov_b32 s0, 0
.LBB224_1804:
	s_delay_alu instid0(SALU_CYCLE_1)
	s_and_not1_b32 vcc_lo, exec_lo, s0
	s_cbranch_vccnz .LBB224_1825
; %bb.1805:
	v_cmp_gt_i16_e32 vcc_lo, 2, v22
	s_cbranch_vccnz .LBB224_1809
; %bb.1806:
	v_cmp_gt_i16_e32 vcc_lo, 3, v22
	s_cbranch_vccnz .LBB224_1810
; %bb.1807:
	v_cmp_lt_i16_e32 vcc_lo, 3, v22
	s_cbranch_vccz .LBB224_1811
; %bb.1808:
	global_load_b64 v[14:15], v[10:11], off
	s_mov_b32 s3, 0
	s_mov_b64 s[0:1], 0
	s_waitcnt vmcnt(0)
	v_cvt_f64_i32_e32 v[15:16], v15
	v_cvt_f64_u32_e32 v[17:18], v14
	s_delay_alu instid0(VALU_DEP_2) | instskip(NEXT) | instid1(VALU_DEP_1)
	v_ldexp_f64 v[15:16], v[15:16], 32
	v_add_f64 v[14:15], v[15:16], v[17:18]
	s_branch .LBB224_1812
.LBB224_1809:
	s_mov_b32 s3, -1
                                        ; implicit-def: $sgpr0_sgpr1
                                        ; implicit-def: $vgpr14_vgpr15
	s_branch .LBB224_1818
.LBB224_1810:
	s_mov_b32 s3, -1
                                        ; implicit-def: $sgpr0_sgpr1
                                        ; implicit-def: $vgpr14_vgpr15
	s_branch .LBB224_1815
.LBB224_1811:
	s_mov_b32 s3, -1
                                        ; implicit-def: $sgpr0_sgpr1
                                        ; implicit-def: $vgpr14_vgpr15
.LBB224_1812:
	s_delay_alu instid0(SALU_CYCLE_1)
	s_and_not1_b32 vcc_lo, exec_lo, s3
	s_cbranch_vccnz .LBB224_1814
; %bb.1813:
	global_load_b32 v14, v[10:11], off
	s_mov_b64 s[0:1], 0
	s_waitcnt vmcnt(0)
	v_cvt_f64_i32_e32 v[14:15], v14
.LBB224_1814:
	s_mov_b32 s3, 0
.LBB224_1815:
	s_delay_alu instid0(SALU_CYCLE_1)
	s_and_not1_b32 vcc_lo, exec_lo, s3
	s_cbranch_vccnz .LBB224_1817
; %bb.1816:
	global_load_i16 v14, v[10:11], off
	s_mov_b64 s[0:1], 0
	s_waitcnt vmcnt(0)
	v_cvt_f64_i32_e32 v[14:15], v14
.LBB224_1817:
	s_mov_b32 s3, 0
.LBB224_1818:
	s_delay_alu instid0(SALU_CYCLE_1)
	s_and_not1_b32 vcc_lo, exec_lo, s3
	s_cbranch_vccnz .LBB224_1824
; %bb.1819:
	v_cmp_lt_i16_e32 vcc_lo, 0, v22
	s_mov_b32 s3, 0
	s_cbranch_vccz .LBB224_1821
; %bb.1820:
	global_load_i8 v14, v[10:11], off
	s_mov_b64 s[0:1], 0
	s_waitcnt vmcnt(0)
	v_cvt_f64_i32_e32 v[14:15], v14
	s_branch .LBB224_1822
.LBB224_1821:
	s_mov_b32 s3, -1
                                        ; implicit-def: $sgpr0_sgpr1
                                        ; implicit-def: $vgpr14_vgpr15
.LBB224_1822:
	s_delay_alu instid0(SALU_CYCLE_1)
	s_and_not1_b32 vcc_lo, exec_lo, s3
	s_cbranch_vccnz .LBB224_1824
; %bb.1823:
	global_load_u8 v10, v[10:11], off
	s_mov_b64 s[0:1], 0
	s_waitcnt vmcnt(0)
	v_cvt_f64_u32_e32 v[14:15], v10
.LBB224_1824:
	s_waitcnt vmcnt(0)
	v_dual_mov_b32 v17, s1 :: v_dual_mov_b32 v16, s0
.LBB224_1825:
	s_mov_b32 s6, -1
.LBB224_1826:
	s_delay_alu instid0(SALU_CYCLE_1)
	s_and_not1_b32 vcc_lo, exec_lo, s6
	s_cbranch_vccnz .LBB224_1843
; %bb.1827:
	s_waitcnt vmcnt(0)
	s_delay_alu instid0(VALU_DEP_1) | instskip(NEXT) | instid1(VALU_DEP_2)
	v_cmp_neq_f64_e32 vcc_lo, 0, v[14:15]
	v_cmp_neq_f64_e64 s0, 0, v[16:17]
	v_mov_b32_e32 v18, 0
	v_mov_b32_e32 v19, 0
	s_delay_alu instid0(VALU_DEP_3) | instskip(NEXT) | instid1(SALU_CYCLE_1)
	s_or_b32 s0, vcc_lo, s0
	s_and_saveexec_b32 s3, s0
	s_cbranch_execz .LBB224_1904
; %bb.1828:
	s_mov_b32 s0, 0
	s_mov_b32 s1, 0x7ff00000
	v_mov_b32_e32 v18, s0
	v_mov_b32_e32 v19, s1
	s_mov_b32 s6, exec_lo
	v_cmpx_neq_f64_e64 0x7ff00000, |v[16:17]|
	s_cbranch_execz .LBB224_1903
; %bb.1829:
	s_mov_b32 s0, exec_lo
	v_cmpx_o_f64_e32 v[14:15], v[14:15]
	s_xor_b32 s7, exec_lo, s0
	s_cbranch_execz .LBB224_1900
; %bb.1830:
	s_mov_b32 s1, exec_lo
	v_cmpx_neq_f64_e64 0x7ff00000, |v[14:15]|
	s_xor_b32 s8, exec_lo, s1
	s_cbranch_execz .LBB224_1893
; %bb.1831:
	v_max_f64 v[10:11], |v[16:17]|, |v[16:17]|
	v_max_f64 v[18:19], |v[14:15]|, |v[14:15]|
	s_mov_b32 s0, 0x99fcef32
	s_mov_b32 s1, 0x7fda8279
                                        ; implicit-def: $sgpr9
	s_delay_alu instid0(VALU_DEP_1) | instskip(NEXT) | instid1(VALU_DEP_1)
	v_max_f64 v[10:11], v[18:19], v[10:11]
	v_cmp_nle_f64_e64 s0, s[0:1], v[10:11]
	s_delay_alu instid0(VALU_DEP_1) | instskip(NEXT) | instid1(SALU_CYCLE_1)
	s_and_saveexec_b32 s1, s0
	s_xor_b32 s1, exec_lo, s1
	s_cbranch_execz .LBB224_1835
; %bb.1832:
	v_cmp_ge_f64_e64 s9, 0x200000, |v[14:15]|
	v_cmp_ge_f64_e64 s13, 0x200000, |v[16:17]|
	s_delay_alu instid0(VALU_DEP_1)
	s_and_b32 s14, s9, s13
	s_mov_b32 s9, 0
	s_and_saveexec_b32 s13, s14
; %bb.1833:
	v_mul_f64 v[14:15], v[14:15], 4.0
	v_mul_f64 v[16:17], v[16:17], 4.0
	s_mov_b32 s9, exec_lo
; %bb.1834:
	s_or_b32 exec_lo, exec_lo, s13
	s_delay_alu instid0(SALU_CYCLE_1)
	s_and_b32 s9, s9, exec_lo
.LBB224_1835:
	s_and_not1_saveexec_b32 s1, s1
; %bb.1836:
	s_delay_alu instid0(VALU_DEP_2) | instskip(NEXT) | instid1(VALU_DEP_2)
	v_ldexp_f64 v[14:15], v[14:15], -2
	v_ldexp_f64 v[16:17], v[16:17], -2
	s_and_not1_b32 s9, s9, exec_lo
; %bb.1837:
	s_or_b32 exec_lo, exec_lo, s1
	s_delay_alu instid0(VALU_DEP_1) | instskip(NEXT) | instid1(VALU_DEP_3)
	v_max_f64 v[10:11], |v[16:17]|, |v[16:17]|
	v_max_f64 v[18:19], |v[14:15]|, |v[14:15]|
	v_cmp_class_f64_e64 s13, v[14:15], 0x204
	v_cmp_class_f64_e64 s14, v[16:17], 0x204
	v_cmp_le_f64_e64 s1, 0, v[14:15]
	s_delay_alu instid0(VALU_DEP_4) | instskip(NEXT) | instid1(VALU_DEP_3)
	v_max_f64 v[10:11], v[18:19], v[10:11]
	s_or_b32 s13, s14, s13
	s_delay_alu instid0(VALU_DEP_1) | instskip(NEXT) | instid1(VALU_DEP_1)
	v_frexp_exp_i32_f64_e32 v26, v[10:11]
	v_sub_nc_u32_e32 v18, 0, v26
	s_delay_alu instid0(VALU_DEP_1) | instskip(SKIP_1) | instid1(VALU_DEP_2)
	v_ldexp_f64 v[10:11], |v[16:17]|, v18
	v_ldexp_f64 v[18:19], |v[14:15]|, v18
	v_mul_f64 v[10:11], v[10:11], v[10:11]
	s_delay_alu instid0(VALU_DEP_1) | instskip(NEXT) | instid1(VALU_DEP_1)
	v_fma_f64 v[10:11], v[18:19], v[18:19], v[10:11]
	v_rsq_f64_e32 v[18:19], v[10:11]
	v_cmp_eq_f64_e32 vcc_lo, 0, v[10:11]
	s_waitcnt_depctr 0xfff
	v_mul_f64 v[22:23], v[10:11], v[18:19]
	v_mul_f64 v[18:19], v[18:19], 0.5
	s_delay_alu instid0(VALU_DEP_1) | instskip(NEXT) | instid1(VALU_DEP_1)
	v_fma_f64 v[24:25], -v[18:19], v[22:23], 0.5
	v_fma_f64 v[22:23], v[22:23], v[24:25], v[22:23]
	v_fma_f64 v[18:19], v[18:19], v[24:25], v[18:19]
	s_delay_alu instid0(VALU_DEP_2) | instskip(NEXT) | instid1(VALU_DEP_1)
	v_fma_f64 v[24:25], -v[22:23], v[22:23], v[10:11]
	v_fma_f64 v[18:19], v[24:25], v[18:19], v[22:23]
	s_delay_alu instid0(VALU_DEP_1) | instskip(SKIP_1) | instid1(VALU_DEP_2)
	v_dual_cndmask_b32 v11, v19, v11 :: v_dual_cndmask_b32 v10, v18, v10
	v_cmp_o_f64_e32 vcc_lo, v[16:17], v[16:17]
	v_ldexp_f64 v[10:11], v[10:11], v26
	s_delay_alu instid0(VALU_DEP_1) | instskip(NEXT) | instid1(VALU_DEP_2)
	v_cndmask_b32_e32 v10, 0, v10, vcc_lo
	v_cndmask_b32_e32 v11, 0x7ff80000, v11, vcc_lo
	s_delay_alu instid0(VALU_DEP_2) | instskip(NEXT) | instid1(VALU_DEP_2)
	v_cndmask_b32_e64 v10, v10, 0, s13
	v_cndmask_b32_e64 v11, v11, 0x7ff00000, s13
	s_and_saveexec_b32 s13, s1
	s_delay_alu instid0(SALU_CYCLE_1)
	s_xor_b32 s1, exec_lo, s13
	s_cbranch_execz .LBB224_1888
; %bb.1838:
	s_delay_alu instid0(VALU_DEP_1) | instskip(NEXT) | instid1(VALU_DEP_1)
	v_add_f64 v[10:11], v[14:15], v[10:11]
	v_mul_f64 v[10:11], v[10:11], 0.5
	s_delay_alu instid0(VALU_DEP_1) | instskip(SKIP_1) | instid1(VALU_DEP_1)
	v_cmp_gt_f64_e32 vcc_lo, 0x10000000, v[10:11]
	v_cndmask_b32_e64 v14, 0, 1, vcc_lo
	v_lshlrev_b32_e32 v14, 8, v14
	s_delay_alu instid0(VALU_DEP_1) | instskip(NEXT) | instid1(VALU_DEP_1)
	v_ldexp_f64 v[10:11], v[10:11], v14
	v_rsq_f64_e32 v[14:15], v[10:11]
	s_waitcnt_depctr 0xfff
	v_mul_f64 v[18:19], v[10:11], v[14:15]
	v_mul_f64 v[14:15], v[14:15], 0.5
	s_delay_alu instid0(VALU_DEP_1) | instskip(NEXT) | instid1(VALU_DEP_1)
	v_fma_f64 v[22:23], -v[14:15], v[18:19], 0.5
	v_fma_f64 v[18:19], v[18:19], v[22:23], v[18:19]
	v_fma_f64 v[14:15], v[14:15], v[22:23], v[14:15]
	s_delay_alu instid0(VALU_DEP_2) | instskip(NEXT) | instid1(VALU_DEP_1)
	v_fma_f64 v[22:23], -v[18:19], v[18:19], v[10:11]
	v_fma_f64 v[18:19], v[22:23], v[14:15], v[18:19]
	s_delay_alu instid0(VALU_DEP_1) | instskip(NEXT) | instid1(VALU_DEP_1)
	v_fma_f64 v[22:23], -v[18:19], v[18:19], v[10:11]
	v_fma_f64 v[14:15], v[22:23], v[14:15], v[18:19]
	v_cndmask_b32_e64 v18, 0, 0xffffff80, vcc_lo
	v_cmp_class_f64_e64 vcc_lo, v[10:11], 0x260
	s_delay_alu instid0(VALU_DEP_2) | instskip(NEXT) | instid1(VALU_DEP_1)
	v_ldexp_f64 v[14:15], v[14:15], v18
	v_dual_cndmask_b32 v15, v15, v11 :: v_dual_cndmask_b32 v14, v14, v10
	s_delay_alu instid0(VALU_DEP_1) | instskip(NEXT) | instid1(VALU_DEP_1)
	v_add_f64 v[10:11], v[14:15], v[14:15]
	v_div_scale_f64 v[18:19], null, v[10:11], v[10:11], v[16:17]
	s_delay_alu instid0(VALU_DEP_1) | instskip(SKIP_2) | instid1(VALU_DEP_1)
	v_rcp_f64_e32 v[22:23], v[18:19]
	s_waitcnt_depctr 0xfff
	v_fma_f64 v[24:25], -v[18:19], v[22:23], 1.0
	v_fma_f64 v[22:23], v[22:23], v[24:25], v[22:23]
	s_delay_alu instid0(VALU_DEP_1) | instskip(NEXT) | instid1(VALU_DEP_1)
	v_fma_f64 v[24:25], -v[18:19], v[22:23], 1.0
	v_fma_f64 v[22:23], v[22:23], v[24:25], v[22:23]
	v_div_scale_f64 v[24:25], vcc_lo, v[16:17], v[10:11], v[16:17]
	s_delay_alu instid0(VALU_DEP_1) | instskip(NEXT) | instid1(VALU_DEP_1)
	v_mul_f64 v[26:27], v[24:25], v[22:23]
	v_fma_f64 v[18:19], -v[18:19], v[26:27], v[24:25]
	s_delay_alu instid0(VALU_DEP_1) | instskip(NEXT) | instid1(VALU_DEP_1)
	v_div_fmas_f64 v[18:19], v[18:19], v[22:23], v[26:27]
	v_div_fixup_f64 v[16:17], v[18:19], v[10:11], v[16:17]
                                        ; implicit-def: $vgpr10_vgpr11
	s_and_not1_saveexec_b32 s1, s1
	s_cbranch_execnz .LBB224_1889
.LBB224_1839:
	s_or_b32 exec_lo, exec_lo, s1
	s_and_saveexec_b32 s1, s0
	s_delay_alu instid0(SALU_CYCLE_1)
	s_xor_b32 s0, exec_lo, s1
	s_cbranch_execz .LBB224_1890
.LBB224_1840:
	s_and_saveexec_b32 s1, s9
; %bb.1841:
	s_delay_alu instid0(VALU_DEP_2) | instskip(NEXT) | instid1(VALU_DEP_2)
	v_mul_f64 v[14:15], v[14:15], 0.5
	v_mul_f64 v[16:17], v[16:17], 0.5
; %bb.1842:
	s_or_b32 exec_lo, exec_lo, s1
	s_and_not1_saveexec_b32 s0, s0
	s_cbranch_execnz .LBB224_1891
	s_branch .LBB224_1892
.LBB224_1843:
	s_mov_b32 s0, 0
	s_mov_b32 s1, 0
                                        ; implicit-def: $vgpr23
                                        ; implicit-def: $vgpr0_vgpr1
                                        ; implicit-def: $vgpr16_vgpr17
                                        ; implicit-def: $vgpr18_vgpr19
.LBB224_1844:
	s_and_b32 s8, s0, exec_lo
	s_and_not1_b32 s0, s12, exec_lo
	s_and_b32 s2, s10, exec_lo
	s_and_b32 s10, s1, exec_lo
	s_or_b32 s12, s0, s2
.LBB224_1845:
	s_or_b32 exec_lo, exec_lo, s11
	s_and_saveexec_b32 s0, s12
	s_cbranch_execz .LBB224_1848
; %bb.1846:
	; divergent unreachable
	s_or_b32 exec_lo, exec_lo, s0
	s_and_saveexec_b32 s0, s10
	s_delay_alu instid0(SALU_CYCLE_1)
	s_xor_b32 s1, exec_lo, s0
	s_cbranch_execnz .LBB224_1849
.LBB224_1847:
	s_or_b32 exec_lo, exec_lo, s1
	s_and_saveexec_b32 s0, s8
	s_cbranch_execnz .LBB224_1850
	s_branch .LBB224_1887
.LBB224_1848:
	s_or_b32 exec_lo, exec_lo, s0
	s_and_saveexec_b32 s0, s10
	s_delay_alu instid0(SALU_CYCLE_1)
	s_xor_b32 s1, exec_lo, s0
	s_cbranch_execz .LBB224_1847
.LBB224_1849:
	v_cmp_neq_f64_e32 vcc_lo, 0, v[18:19]
	s_waitcnt vmcnt(0)
	s_delay_alu instid0(VALU_DEP_2) | instskip(NEXT) | instid1(VALU_DEP_1)
	v_cmp_neq_f64_e64 s0, 0, v[16:17]
	s_or_b32 s0, vcc_lo, s0
	s_delay_alu instid0(SALU_CYCLE_1)
	v_cndmask_b32_e64 v2, 0, 1, s0
	global_store_b8 v[0:1], v2, off
	s_or_b32 exec_lo, exec_lo, s1
	s_and_saveexec_b32 s0, s8
	s_cbranch_execz .LBB224_1887
.LBB224_1850:
	v_cmp_gt_i16_e32 vcc_lo, 5, v23
	s_mov_b32 s0, -1
	s_cbranch_vccnz .LBB224_1871
; %bb.1851:
	v_cmp_gt_i16_e32 vcc_lo, 8, v23
	s_cbranch_vccnz .LBB224_1861
; %bb.1852:
	v_cmp_gt_i16_e32 vcc_lo, 9, v23
	s_cbranch_vccnz .LBB224_1858
; %bb.1853:
	v_cmp_lt_i16_e32 vcc_lo, 9, v23
	s_cbranch_vccz .LBB224_1855
; %bb.1854:
	s_waitcnt vmcnt(0)
	v_dual_mov_b32 v20, v16 :: v_dual_mov_b32 v21, v17
	s_mov_b32 s0, 0
	global_store_b128 v[0:1], v[18:21], off
.LBB224_1855:
	s_and_not1_b32 vcc_lo, exec_lo, s0
	s_cbranch_vccnz .LBB224_1857
; %bb.1856:
	s_waitcnt vmcnt(0)
	v_cvt_f32_f64_e32 v2, v[18:19]
	v_cvt_f32_f64_e32 v3, v[16:17]
	global_store_b64 v[0:1], v[2:3], off
.LBB224_1857:
	s_mov_b32 s0, 0
.LBB224_1858:
	s_delay_alu instid0(SALU_CYCLE_1)
	s_and_not1_b32 vcc_lo, exec_lo, s0
	s_cbranch_vccnz .LBB224_1860
; %bb.1859:
	s_waitcnt vmcnt(0)
	v_cvt_f32_f64_e32 v2, v[16:17]
	v_cvt_f32_f64_e32 v3, v[18:19]
	s_delay_alu instid0(VALU_DEP_2) | instskip(NEXT) | instid1(VALU_DEP_2)
	v_cvt_f16_f32_e32 v2, v2
	v_cvt_f16_f32_e32 v3, v3
	s_delay_alu instid0(VALU_DEP_2) | instskip(NEXT) | instid1(VALU_DEP_2)
	v_lshlrev_b32_e32 v2, 16, v2
	v_and_b32_e32 v3, 0xffff, v3
	s_delay_alu instid0(VALU_DEP_1)
	v_or_b32_e32 v2, v2, v3
	global_store_b32 v[0:1], v2, off
.LBB224_1860:
	s_mov_b32 s0, 0
.LBB224_1861:
	s_delay_alu instid0(SALU_CYCLE_1)
	s_and_not1_b32 vcc_lo, exec_lo, s0
	s_cbranch_vccnz .LBB224_1870
; %bb.1862:
	v_cmp_gt_i16_e32 vcc_lo, 6, v23
	s_mov_b32 s0, -1
	s_cbranch_vccnz .LBB224_1868
; %bb.1863:
	v_cmp_lt_i16_e32 vcc_lo, 6, v23
	s_cbranch_vccz .LBB224_1865
; %bb.1864:
	s_mov_b32 s0, 0
	s_waitcnt vmcnt(0)
	global_store_b64 v[0:1], v[18:19], off
.LBB224_1865:
	s_and_not1_b32 vcc_lo, exec_lo, s0
	s_cbranch_vccnz .LBB224_1867
; %bb.1866:
	s_waitcnt vmcnt(0)
	v_cvt_f32_f64_e32 v2, v[18:19]
	global_store_b32 v[0:1], v2, off
.LBB224_1867:
	s_mov_b32 s0, 0
.LBB224_1868:
	s_delay_alu instid0(SALU_CYCLE_1)
	s_and_not1_b32 vcc_lo, exec_lo, s0
	s_cbranch_vccnz .LBB224_1870
; %bb.1869:
	s_waitcnt vmcnt(0)
	v_cvt_f32_f64_e32 v2, v[18:19]
	s_delay_alu instid0(VALU_DEP_1)
	v_cvt_f16_f32_e32 v2, v2
	global_store_b16 v[0:1], v2, off
.LBB224_1870:
	s_mov_b32 s0, 0
.LBB224_1871:
	s_delay_alu instid0(SALU_CYCLE_1)
	s_and_not1_b32 vcc_lo, exec_lo, s0
	s_cbranch_vccnz .LBB224_1887
; %bb.1872:
	v_cmp_gt_i16_e32 vcc_lo, 2, v23
	s_mov_b32 s0, -1
	s_cbranch_vccnz .LBB224_1882
; %bb.1873:
	v_cmp_gt_i16_e32 vcc_lo, 3, v23
	s_cbranch_vccnz .LBB224_1879
; %bb.1874:
	v_cmp_lt_i16_e32 vcc_lo, 3, v23
	s_cbranch_vccz .LBB224_1876
; %bb.1875:
	s_waitcnt vmcnt(0)
	v_trunc_f64_e32 v[2:3], v[18:19]
	s_mov_b32 s0, 0
	s_delay_alu instid0(VALU_DEP_1) | instskip(NEXT) | instid1(VALU_DEP_1)
	v_ldexp_f64 v[4:5], v[2:3], 0xffffffe0
	v_floor_f64_e32 v[4:5], v[4:5]
	s_delay_alu instid0(VALU_DEP_1) | instskip(SKIP_1) | instid1(VALU_DEP_2)
	v_fma_f64 v[2:3], 0xc1f00000, v[4:5], v[2:3]
	v_cvt_i32_f64_e32 v4, v[4:5]
	v_cvt_u32_f64_e32 v3, v[2:3]
	global_store_b64 v[0:1], v[3:4], off
.LBB224_1876:
	s_and_not1_b32 vcc_lo, exec_lo, s0
	s_cbranch_vccnz .LBB224_1878
; %bb.1877:
	s_waitcnt vmcnt(0)
	v_cvt_i32_f64_e32 v2, v[18:19]
	global_store_b32 v[0:1], v2, off
.LBB224_1878:
	s_mov_b32 s0, 0
.LBB224_1879:
	s_delay_alu instid0(SALU_CYCLE_1)
	s_and_not1_b32 vcc_lo, exec_lo, s0
	s_cbranch_vccnz .LBB224_1881
; %bb.1880:
	s_waitcnt vmcnt(0)
	v_cvt_i32_f64_e32 v2, v[18:19]
	global_store_b16 v[0:1], v2, off
.LBB224_1881:
	s_mov_b32 s0, 0
.LBB224_1882:
	s_delay_alu instid0(SALU_CYCLE_1)
	s_and_not1_b32 vcc_lo, exec_lo, s0
	s_cbranch_vccnz .LBB224_1887
; %bb.1883:
	v_cmp_lt_i16_e32 vcc_lo, 0, v23
	s_mov_b32 s0, -1
	s_cbranch_vccz .LBB224_1885
; %bb.1884:
	s_waitcnt vmcnt(0)
	v_cvt_i32_f64_e32 v2, v[18:19]
	s_mov_b32 s0, 0
	global_store_b8 v[0:1], v2, off
.LBB224_1885:
	s_and_not1_b32 vcc_lo, exec_lo, s0
	s_cbranch_vccnz .LBB224_1887
; %bb.1886:
	s_waitcnt vmcnt(0)
	v_trunc_f64_e32 v[2:3], v[18:19]
	s_delay_alu instid0(VALU_DEP_1) | instskip(NEXT) | instid1(VALU_DEP_1)
	v_ldexp_f64 v[4:5], v[2:3], 0xffffffe0
	v_floor_f64_e32 v[4:5], v[4:5]
	s_delay_alu instid0(VALU_DEP_1) | instskip(NEXT) | instid1(VALU_DEP_1)
	v_fma_f64 v[2:3], 0xc1f00000, v[4:5], v[2:3]
	v_cvt_u32_f64_e32 v2, v[2:3]
	global_store_b8 v[0:1], v2, off
	s_nop 0
	s_sendmsg sendmsg(MSG_DEALLOC_VGPRS)
	s_endpgm
.LBB224_1887:
	s_nop 0
	s_sendmsg sendmsg(MSG_DEALLOC_VGPRS)
	s_endpgm
.LBB224_1888:
	s_and_not1_saveexec_b32 s1, s1
	s_cbranch_execz .LBB224_1839
.LBB224_1889:
	v_add_f64 v[10:11], v[10:11], -v[14:15]
	s_delay_alu instid0(VALU_DEP_1) | instskip(NEXT) | instid1(VALU_DEP_1)
	v_mul_f64 v[10:11], v[10:11], 0.5
	v_cmp_gt_f64_e32 vcc_lo, 0x10000000, v[10:11]
	v_cndmask_b32_e64 v14, 0, 1, vcc_lo
	s_delay_alu instid0(VALU_DEP_1) | instskip(NEXT) | instid1(VALU_DEP_1)
	v_lshlrev_b32_e32 v14, 8, v14
	v_ldexp_f64 v[10:11], v[10:11], v14
	s_delay_alu instid0(VALU_DEP_1) | instskip(SKIP_3) | instid1(VALU_DEP_1)
	v_rsq_f64_e32 v[14:15], v[10:11]
	s_waitcnt_depctr 0xfff
	v_mul_f64 v[18:19], v[10:11], v[14:15]
	v_mul_f64 v[14:15], v[14:15], 0.5
	v_fma_f64 v[22:23], -v[14:15], v[18:19], 0.5
	s_delay_alu instid0(VALU_DEP_1) | instskip(SKIP_1) | instid1(VALU_DEP_2)
	v_fma_f64 v[18:19], v[18:19], v[22:23], v[18:19]
	v_fma_f64 v[14:15], v[14:15], v[22:23], v[14:15]
	v_fma_f64 v[22:23], -v[18:19], v[18:19], v[10:11]
	s_delay_alu instid0(VALU_DEP_1) | instskip(NEXT) | instid1(VALU_DEP_1)
	v_fma_f64 v[18:19], v[22:23], v[14:15], v[18:19]
	v_fma_f64 v[22:23], -v[18:19], v[18:19], v[10:11]
	s_delay_alu instid0(VALU_DEP_1) | instskip(SKIP_3) | instid1(VALU_DEP_3)
	v_fma_f64 v[14:15], v[22:23], v[14:15], v[18:19]
	v_cndmask_b32_e64 v18, 0, 0xffffff80, vcc_lo
	v_cmp_class_f64_e64 vcc_lo, v[10:11], 0x260
	v_and_b32_e32 v19, 0x7fffffff, v17
	v_ldexp_f64 v[14:15], v[14:15], v18
	s_delay_alu instid0(VALU_DEP_1) | instskip(NEXT) | instid1(VALU_DEP_1)
	v_dual_cndmask_b32 v11, v15, v11 :: v_dual_cndmask_b32 v10, v14, v10
	v_add_f64 v[14:15], v[10:11], v[10:11]
	v_bfi_b32 v11, 0x7fffffff, v11, v17
	v_mov_b32_e32 v18, v16
	s_delay_alu instid0(VALU_DEP_1) | instskip(SKIP_1) | instid1(VALU_DEP_2)
	v_div_scale_f64 v[22:23], null, v[14:15], v[14:15], v[18:19]
	v_div_scale_f64 v[18:19], vcc_lo, v[18:19], v[14:15], v[18:19]
	v_rcp_f64_e32 v[24:25], v[22:23]
	s_waitcnt_depctr 0xfff
	v_fma_f64 v[26:27], -v[22:23], v[24:25], 1.0
	s_delay_alu instid0(VALU_DEP_1) | instskip(NEXT) | instid1(VALU_DEP_1)
	v_fma_f64 v[24:25], v[24:25], v[26:27], v[24:25]
	v_fma_f64 v[26:27], -v[22:23], v[24:25], 1.0
	s_delay_alu instid0(VALU_DEP_1) | instskip(NEXT) | instid1(VALU_DEP_1)
	v_fma_f64 v[24:25], v[24:25], v[26:27], v[24:25]
	v_mul_f64 v[26:27], v[18:19], v[24:25]
	s_delay_alu instid0(VALU_DEP_1) | instskip(NEXT) | instid1(VALU_DEP_1)
	v_fma_f64 v[18:19], -v[22:23], v[26:27], v[18:19]
	v_div_fmas_f64 v[18:19], v[18:19], v[24:25], v[26:27]
	s_delay_alu instid0(VALU_DEP_1) | instskip(SKIP_3) | instid1(SALU_CYCLE_1)
	v_div_fixup_f64 v[14:15], v[18:19], v[14:15], |v[16:17]|
	v_dual_mov_b32 v17, v11 :: v_dual_mov_b32 v16, v10
	s_or_b32 exec_lo, exec_lo, s1
	s_and_saveexec_b32 s1, s0
	s_xor_b32 s0, exec_lo, s1
	s_cbranch_execnz .LBB224_1840
.LBB224_1890:
	s_and_not1_saveexec_b32 s0, s0
.LBB224_1891:
	s_delay_alu instid0(VALU_DEP_2) | instskip(NEXT) | instid1(VALU_DEP_2)
	v_add_f64 v[14:15], v[14:15], v[14:15]
	v_add_f64 v[16:17], v[16:17], v[16:17]
.LBB224_1892:
	s_or_b32 exec_lo, exec_lo, s0
.LBB224_1893:
	s_and_not1_saveexec_b32 s0, s8
	s_cbranch_execz .LBB224_1899
; %bb.1894:
	s_delay_alu instid0(VALU_DEP_1) | instskip(SKIP_1) | instid1(VALU_DEP_3)
	v_add_f64 v[10:11], v[16:17], -v[16:17]
	s_mov_b32 s1, exec_lo
	v_cmpx_lt_i64_e32 -1, v[14:15]
	s_xor_b32 s1, exec_lo, s1
; %bb.1895:
	s_delay_alu instid0(VALU_DEP_2) | instskip(NEXT) | instid1(VALU_DEP_1)
	v_bfi_b32 v11, 0x7fffffff, v11, v17
	v_dual_mov_b32 v17, v11 :: v_dual_mov_b32 v16, v10
                                        ; implicit-def: $vgpr10_vgpr11
; %bb.1896:
	s_and_not1_saveexec_b32 s1, s1
; %bb.1897:
	s_delay_alu instid0(VALU_DEP_1) | instskip(SKIP_1) | instid1(VALU_DEP_2)
	v_bfi_b32 v15, 0x7fffffff, v15, v17
	v_and_b32_e32 v11, 0x7fffffff, v11
	v_dual_mov_b32 v17, v15 :: v_dual_mov_b32 v16, v14
	s_delay_alu instid0(VALU_DEP_2)
	v_dual_mov_b32 v15, v11 :: v_dual_mov_b32 v14, v10
; %bb.1898:
	s_or_b32 exec_lo, exec_lo, s1
.LBB224_1899:
	s_delay_alu instid0(SALU_CYCLE_1)
	s_or_b32 exec_lo, exec_lo, s0
.LBB224_1900:
	s_and_not1_saveexec_b32 s0, s7
; %bb.1901:
	s_delay_alu instid0(VALU_DEP_1) | instskip(NEXT) | instid1(VALU_DEP_1)
	v_add_f64 v[10:11], v[16:17], -v[16:17]
	v_div_scale_f64 v[16:17], vcc_lo, v[10:11], v[10:11], v[10:11]
	s_delay_alu instid0(VALU_DEP_1) | instskip(SKIP_2) | instid1(VALU_DEP_1)
	v_rcp_f64_e32 v[18:19], v[16:17]
	s_waitcnt_depctr 0xfff
	v_fma_f64 v[22:23], -v[16:17], v[18:19], 1.0
	v_fma_f64 v[18:19], v[18:19], v[22:23], v[18:19]
	s_delay_alu instid0(VALU_DEP_1) | instskip(NEXT) | instid1(VALU_DEP_1)
	v_fma_f64 v[22:23], -v[16:17], v[18:19], 1.0
	v_fma_f64 v[18:19], v[18:19], v[22:23], v[18:19]
	s_delay_alu instid0(VALU_DEP_1) | instskip(NEXT) | instid1(VALU_DEP_1)
	v_mul_f64 v[22:23], v[16:17], v[18:19]
	v_fma_f64 v[16:17], -v[16:17], v[22:23], v[16:17]
	s_delay_alu instid0(VALU_DEP_1) | instskip(NEXT) | instid1(VALU_DEP_1)
	v_div_fmas_f64 v[16:17], v[16:17], v[18:19], v[22:23]
	v_div_fixup_f64 v[16:17], v[16:17], v[10:11], v[10:11]
; %bb.1902:
	s_or_b32 exec_lo, exec_lo, s0
	v_dual_mov_b32 v19, v15 :: v_dual_mov_b32 v18, v14
.LBB224_1903:
	s_or_b32 exec_lo, exec_lo, s6
.LBB224_1904:
	s_delay_alu instid0(SALU_CYCLE_1) | instskip(SKIP_2) | instid1(VALU_DEP_1)
	s_or_b32 exec_lo, exec_lo, s3
	v_mul_lo_u32 v21, s2, v21
	v_and_b32_e32 v23, 0xff, v20
	v_cmp_gt_i16_e32 vcc_lo, 11, v23
	s_delay_alu instid0(VALU_DEP_3) | instskip(SKIP_1) | instid1(VALU_DEP_1)
	v_ashrrev_i32_e32 v10, 31, v21
	v_add_co_u32 v14, s0, s4, v21
	v_add_co_ci_u32_e64 v15, s0, s5, v10, s0
	s_cbranch_vccnz .LBB224_1982
; %bb.1905:
	v_cmp_lt_i16_e32 vcc_lo, 25, v23
	s_mov_b32 s6, -1
	s_mov_b32 s1, 0
	s_mov_b32 s3, 0
	;; [unrolled: 1-line block ×3, first 2 shown]
	s_cbranch_vccz .LBB224_1938
; %bb.1906:
	v_cmp_lt_i16_e32 vcc_lo, 28, v23
	s_cbranch_vccz .LBB224_1921
; %bb.1907:
	v_cmp_lt_i16_e32 vcc_lo, 43, v23
	;; [unrolled: 3-line block ×3, first 2 shown]
	s_cbranch_vccz .LBB224_1911
; %bb.1909:
	v_cmp_eq_u16_e32 vcc_lo, 46, v23
	s_mov_b32 s0, -1
	s_mov_b32 s6, 0
	s_cbranch_vccz .LBB224_1911
; %bb.1910:
	v_cvt_f32_f64_e32 v10, v[2:3]
	v_cvt_f32_f64_e32 v11, v[8:9]
	s_mov_b32 s0, 0
	s_mov_b32 s3, -1
	s_delay_alu instid0(VALU_DEP_2) | instskip(NEXT) | instid1(VALU_DEP_2)
	v_bfe_u32 v20, v10, 16, 1
	v_bfe_u32 v22, v11, 16, 1
	v_cmp_o_f32_e32 vcc_lo, v10, v10
	s_delay_alu instid0(VALU_DEP_3) | instskip(NEXT) | instid1(VALU_DEP_3)
	v_add3_u32 v20, v10, v20, 0x7fff
	v_add3_u32 v22, v11, v22, 0x7fff
	s_delay_alu instid0(VALU_DEP_2) | instskip(NEXT) | instid1(VALU_DEP_2)
	v_and_b32_e32 v20, 0xffff0000, v20
	v_lshrrev_b32_e32 v22, 16, v22
	s_delay_alu instid0(VALU_DEP_2) | instskip(SKIP_1) | instid1(VALU_DEP_3)
	v_cndmask_b32_e32 v10, 0x7fc00000, v20, vcc_lo
	v_cmp_o_f32_e32 vcc_lo, v11, v11
	v_cndmask_b32_e32 v11, 0x7fc0, v22, vcc_lo
	s_delay_alu instid0(VALU_DEP_1)
	v_or_b32_e32 v10, v10, v11
	global_store_b32 v[14:15], v10, off
.LBB224_1911:
	s_and_b32 vcc_lo, exec_lo, s6
	s_cbranch_vccz .LBB224_1916
; %bb.1912:
	v_cmp_eq_u16_e32 vcc_lo, 44, v23
	s_mov_b32 s0, -1
	s_cbranch_vccz .LBB224_1916
; %bb.1913:
	v_cvt_f32_f64_e32 v10, v[8:9]
	v_mov_b32_e32 v11, 0xff
	s_mov_b32 s3, exec_lo
	s_delay_alu instid0(VALU_DEP_2) | instskip(NEXT) | instid1(VALU_DEP_1)
	v_bfe_u32 v20, v10, 23, 8
	v_cmpx_ne_u32_e32 0xff, v20
; %bb.1914:
	v_and_b32_e32 v11, 0x400000, v10
	v_and_or_b32 v20, 0x3fffff, v10, v20
	v_lshrrev_b32_e32 v10, 23, v10
	s_delay_alu instid0(VALU_DEP_3) | instskip(NEXT) | instid1(VALU_DEP_3)
	v_cmp_ne_u32_e32 vcc_lo, 0, v11
	v_cmp_ne_u32_e64 s0, 0, v20
	s_delay_alu instid0(VALU_DEP_1) | instskip(NEXT) | instid1(SALU_CYCLE_1)
	s_and_b32 s0, vcc_lo, s0
	v_cndmask_b32_e64 v11, 0, 1, s0
	s_delay_alu instid0(VALU_DEP_1)
	v_add_nc_u32_e32 v11, v10, v11
; %bb.1915:
	s_or_b32 exec_lo, exec_lo, s3
	s_mov_b32 s0, 0
	s_mov_b32 s3, -1
	global_store_b8 v[14:15], v11, off
.LBB224_1916:
	s_mov_b32 s6, 0
.LBB224_1917:
	s_delay_alu instid0(SALU_CYCLE_1)
	s_and_b32 vcc_lo, exec_lo, s6
	s_cbranch_vccz .LBB224_1920
; %bb.1918:
	v_cmp_eq_u16_e32 vcc_lo, 29, v23
	s_mov_b32 s0, -1
	s_cbranch_vccz .LBB224_1920
; %bb.1919:
	v_trunc_f64_e32 v[10:11], v[8:9]
	s_mov_b32 s0, 0
	s_mov_b32 s3, -1
	s_delay_alu instid0(VALU_DEP_1) | instskip(NEXT) | instid1(VALU_DEP_1)
	v_ldexp_f64 v[24:25], v[10:11], 0xffffffe0
	v_floor_f64_e32 v[24:25], v[24:25]
	s_delay_alu instid0(VALU_DEP_1) | instskip(SKIP_1) | instid1(VALU_DEP_2)
	v_fma_f64 v[10:11], 0xc1f00000, v[24:25], v[10:11]
	v_cvt_u32_f64_e32 v25, v[24:25]
	v_cvt_u32_f64_e32 v24, v[10:11]
	global_store_b64 v[14:15], v[24:25], off
.LBB224_1920:
	s_mov_b32 s6, 0
.LBB224_1921:
	s_delay_alu instid0(SALU_CYCLE_1)
	s_and_b32 vcc_lo, exec_lo, s6
	s_cbranch_vccz .LBB224_1937
; %bb.1922:
	v_cmp_gt_i16_e32 vcc_lo, 27, v23
	s_mov_b32 s3, -1
	s_cbranch_vccnz .LBB224_1928
; %bb.1923:
	v_cvt_u32_f64_e32 v10, v[8:9]
	v_cmp_lt_i16_e32 vcc_lo, 27, v23
	s_cbranch_vccz .LBB224_1925
; %bb.1924:
	s_mov_b32 s3, 0
	global_store_b32 v[14:15], v10, off
.LBB224_1925:
	s_and_not1_b32 vcc_lo, exec_lo, s3
	s_cbranch_vccnz .LBB224_1927
; %bb.1926:
	global_store_b16 v[14:15], v10, off
.LBB224_1927:
	s_mov_b32 s3, 0
.LBB224_1928:
	s_delay_alu instid0(SALU_CYCLE_1)
	s_and_not1_b32 vcc_lo, exec_lo, s3
	s_cbranch_vccnz .LBB224_1936
; %bb.1929:
	v_cvt_f32_f64_e32 v10, v[8:9]
	v_mov_b32_e32 v20, 0x80
	s_mov_b32 s3, exec_lo
	s_delay_alu instid0(VALU_DEP_2) | instskip(NEXT) | instid1(VALU_DEP_1)
	v_and_b32_e32 v11, 0x7fffffff, v10
	v_cmpx_gt_u32_e32 0x43800000, v11
	s_cbranch_execz .LBB224_1935
; %bb.1930:
	v_cmp_lt_u32_e32 vcc_lo, 0x3bffffff, v11
	s_mov_b32 s6, 0
                                        ; implicit-def: $vgpr11
	s_and_saveexec_b32 s7, vcc_lo
	s_delay_alu instid0(SALU_CYCLE_1)
	s_xor_b32 s7, exec_lo, s7
	s_cbranch_execz .LBB224_2341
; %bb.1931:
	v_bfe_u32 v11, v10, 20, 1
	s_mov_b32 s6, exec_lo
	s_delay_alu instid0(VALU_DEP_1) | instskip(NEXT) | instid1(VALU_DEP_1)
	v_add3_u32 v11, v10, v11, 0x487ffff
	v_lshrrev_b32_e32 v11, 20, v11
	s_or_saveexec_b32 s7, s7
                                        ; implicit-def: $sgpr8
	s_delay_alu instid0(SALU_CYCLE_1)
	s_xor_b32 exec_lo, exec_lo, s7
	s_cbranch_execnz .LBB224_2342
.LBB224_1932:
	s_or_b32 exec_lo, exec_lo, s7
	v_mov_b32_e32 v20, s8
	s_and_saveexec_b32 s7, s6
.LBB224_1933:
	v_lshrrev_b32_e32 v10, 24, v10
	s_delay_alu instid0(VALU_DEP_1)
	v_and_or_b32 v20, 0x80, v10, v11
.LBB224_1934:
	s_or_b32 exec_lo, exec_lo, s7
.LBB224_1935:
	s_delay_alu instid0(SALU_CYCLE_1)
	s_or_b32 exec_lo, exec_lo, s3
	global_store_b8 v[14:15], v20, off
.LBB224_1936:
	s_mov_b32 s3, -1
.LBB224_1937:
	s_mov_b32 s6, 0
.LBB224_1938:
	s_delay_alu instid0(SALU_CYCLE_1)
	s_and_b32 vcc_lo, exec_lo, s6
	s_cbranch_vccz .LBB224_1978
; %bb.1939:
	v_cmp_lt_i16_e32 vcc_lo, 22, v23
	s_mov_b32 s1, -1
	s_cbranch_vccz .LBB224_1971
; %bb.1940:
	v_cmp_gt_i16_e32 vcc_lo, 24, v23
	s_cbranch_vccnz .LBB224_1960
; %bb.1941:
	v_cmp_lt_i16_e32 vcc_lo, 24, v23
	s_cbranch_vccz .LBB224_1949
; %bb.1942:
	v_cvt_f32_f64_e32 v10, v[8:9]
	v_mov_b32_e32 v20, 0x80
	s_mov_b32 s1, exec_lo
	s_delay_alu instid0(VALU_DEP_2) | instskip(NEXT) | instid1(VALU_DEP_1)
	v_and_b32_e32 v11, 0x7fffffff, v10
	v_cmpx_gt_u32_e32 0x47800000, v11
	s_cbranch_execz .LBB224_1948
; %bb.1943:
	v_cmp_lt_u32_e32 vcc_lo, 0x37ffffff, v11
	s_mov_b32 s3, 0
                                        ; implicit-def: $vgpr11
	s_and_saveexec_b32 s6, vcc_lo
	s_delay_alu instid0(SALU_CYCLE_1)
	s_xor_b32 s6, exec_lo, s6
	s_cbranch_execz .LBB224_2347
; %bb.1944:
	v_bfe_u32 v11, v10, 21, 1
	s_mov_b32 s3, exec_lo
	s_delay_alu instid0(VALU_DEP_1) | instskip(NEXT) | instid1(VALU_DEP_1)
	v_add3_u32 v11, v10, v11, 0x88fffff
	v_lshrrev_b32_e32 v11, 21, v11
	s_or_saveexec_b32 s6, s6
                                        ; implicit-def: $sgpr7
	s_delay_alu instid0(SALU_CYCLE_1)
	s_xor_b32 exec_lo, exec_lo, s6
	s_cbranch_execnz .LBB224_2348
.LBB224_1945:
	s_or_b32 exec_lo, exec_lo, s6
	v_mov_b32_e32 v20, s7
	s_and_saveexec_b32 s6, s3
.LBB224_1946:
	v_lshrrev_b32_e32 v10, 24, v10
	s_delay_alu instid0(VALU_DEP_1)
	v_and_or_b32 v20, 0x80, v10, v11
.LBB224_1947:
	s_or_b32 exec_lo, exec_lo, s6
.LBB224_1948:
	s_delay_alu instid0(SALU_CYCLE_1)
	s_or_b32 exec_lo, exec_lo, s1
	s_mov_b32 s1, 0
	global_store_b8 v[14:15], v20, off
.LBB224_1949:
	s_and_b32 vcc_lo, exec_lo, s1
	s_cbranch_vccz .LBB224_1959
; %bb.1950:
	v_cvt_f32_f64_e32 v10, v[8:9]
	s_mov_b32 s1, exec_lo
                                        ; implicit-def: $vgpr11
	s_delay_alu instid0(VALU_DEP_1) | instskip(NEXT) | instid1(VALU_DEP_1)
	v_and_b32_e32 v20, 0x7fffffff, v10
	v_cmpx_gt_u32_e32 0x43f00000, v20
	s_xor_b32 s1, exec_lo, s1
	s_cbranch_execz .LBB224_1956
; %bb.1951:
	s_mov_b32 s3, exec_lo
                                        ; implicit-def: $vgpr11
	v_cmpx_lt_u32_e32 0x3c7fffff, v20
	s_xor_b32 s3, exec_lo, s3
; %bb.1952:
	v_bfe_u32 v11, v10, 20, 1
	s_delay_alu instid0(VALU_DEP_1) | instskip(NEXT) | instid1(VALU_DEP_1)
	v_add3_u32 v11, v10, v11, 0x407ffff
	v_and_b32_e32 v20, 0xff00000, v11
	v_lshrrev_b32_e32 v11, 20, v11
	s_delay_alu instid0(VALU_DEP_2) | instskip(NEXT) | instid1(VALU_DEP_2)
	v_cmp_ne_u32_e32 vcc_lo, 0x7f00000, v20
	v_cndmask_b32_e32 v11, 0x7e, v11, vcc_lo
; %bb.1953:
	s_and_not1_saveexec_b32 s3, s3
; %bb.1954:
	v_add_f32_e64 v11, 0x46800000, |v10|
; %bb.1955:
	s_or_b32 exec_lo, exec_lo, s3
                                        ; implicit-def: $vgpr20
.LBB224_1956:
	s_and_not1_saveexec_b32 s1, s1
; %bb.1957:
	v_mov_b32_e32 v11, 0x7f
	v_cmp_lt_u32_e32 vcc_lo, 0x7f800000, v20
	s_delay_alu instid0(VALU_DEP_2)
	v_cndmask_b32_e32 v11, 0x7e, v11, vcc_lo
; %bb.1958:
	s_or_b32 exec_lo, exec_lo, s1
	v_lshrrev_b32_e32 v10, 24, v10
	s_delay_alu instid0(VALU_DEP_1)
	v_and_or_b32 v10, 0x80, v10, v11
	global_store_b8 v[14:15], v10, off
.LBB224_1959:
	s_mov_b32 s1, 0
.LBB224_1960:
	s_delay_alu instid0(SALU_CYCLE_1)
	s_and_not1_b32 vcc_lo, exec_lo, s1
	s_cbranch_vccnz .LBB224_1970
; %bb.1961:
	v_cvt_f32_f64_e32 v10, v[8:9]
	s_mov_b32 s1, exec_lo
                                        ; implicit-def: $vgpr11
	s_delay_alu instid0(VALU_DEP_1) | instskip(NEXT) | instid1(VALU_DEP_1)
	v_and_b32_e32 v20, 0x7fffffff, v10
	v_cmpx_gt_u32_e32 0x47800000, v20
	s_xor_b32 s1, exec_lo, s1
	s_cbranch_execz .LBB224_1967
; %bb.1962:
	s_mov_b32 s3, exec_lo
                                        ; implicit-def: $vgpr11
	v_cmpx_lt_u32_e32 0x387fffff, v20
	s_xor_b32 s3, exec_lo, s3
; %bb.1963:
	v_bfe_u32 v11, v10, 21, 1
	s_delay_alu instid0(VALU_DEP_1) | instskip(NEXT) | instid1(VALU_DEP_1)
	v_add3_u32 v11, v10, v11, 0x80fffff
	v_lshrrev_b32_e32 v11, 21, v11
; %bb.1964:
	s_and_not1_saveexec_b32 s3, s3
; %bb.1965:
	v_add_f32_e64 v11, 0x43000000, |v10|
; %bb.1966:
	s_or_b32 exec_lo, exec_lo, s3
                                        ; implicit-def: $vgpr20
.LBB224_1967:
	s_and_not1_saveexec_b32 s1, s1
; %bb.1968:
	v_mov_b32_e32 v11, 0x7f
	v_cmp_lt_u32_e32 vcc_lo, 0x7f800000, v20
	s_delay_alu instid0(VALU_DEP_2)
	v_cndmask_b32_e32 v11, 0x7c, v11, vcc_lo
; %bb.1969:
	s_or_b32 exec_lo, exec_lo, s1
	v_lshrrev_b32_e32 v10, 24, v10
	s_delay_alu instid0(VALU_DEP_1)
	v_and_or_b32 v10, 0x80, v10, v11
	global_store_b8 v[14:15], v10, off
.LBB224_1970:
	s_mov_b32 s1, 0
	s_mov_b32 s3, -1
.LBB224_1971:
	s_and_not1_b32 vcc_lo, exec_lo, s1
	s_mov_b32 s1, 0
	s_cbranch_vccnz .LBB224_1978
; %bb.1972:
	v_cmp_lt_i16_e32 vcc_lo, 14, v23
	s_mov_b32 s1, -1
	s_cbranch_vccz .LBB224_1976
; %bb.1973:
	v_cmp_eq_u16_e32 vcc_lo, 15, v23
	s_mov_b32 s0, -1
	s_cbranch_vccz .LBB224_1975
; %bb.1974:
	v_cvt_f32_f64_e32 v10, v[8:9]
	s_mov_b32 s0, 0
	s_mov_b32 s3, -1
	s_delay_alu instid0(VALU_DEP_1) | instskip(SKIP_1) | instid1(VALU_DEP_2)
	v_bfe_u32 v11, v10, 16, 1
	v_cmp_o_f32_e32 vcc_lo, v10, v10
	v_add3_u32 v11, v10, v11, 0x7fff
	s_delay_alu instid0(VALU_DEP_1) | instskip(NEXT) | instid1(VALU_DEP_1)
	v_lshrrev_b32_e32 v11, 16, v11
	v_cndmask_b32_e32 v10, 0x7fc0, v11, vcc_lo
	global_store_b16 v[14:15], v10, off
.LBB224_1975:
	s_mov_b32 s1, 0
.LBB224_1976:
	s_delay_alu instid0(SALU_CYCLE_1)
	s_and_b32 vcc_lo, exec_lo, s1
	s_mov_b32 s1, 0
	s_cbranch_vccz .LBB224_1978
; %bb.1977:
	v_cmp_ne_u16_e64 s0, 11, v23
	s_mov_b32 s1, -1
.LBB224_1978:
	s_delay_alu instid0(VALU_DEP_1)
	s_and_b32 vcc_lo, exec_lo, s0
	s_cbranch_vccnz .LBB224_2345
; %bb.1979:
	s_and_not1_b32 vcc_lo, exec_lo, s1
	s_cbranch_vccnz .LBB224_1981
.LBB224_1980:
	v_cmp_neq_f64_e32 vcc_lo, 0, v[8:9]
	v_cmp_neq_f64_e64 s0, 0, v[2:3]
	s_mov_b32 s3, -1
	s_delay_alu instid0(VALU_DEP_1) | instskip(NEXT) | instid1(SALU_CYCLE_1)
	s_or_b32 s0, vcc_lo, s0
	v_cndmask_b32_e64 v10, 0, 1, s0
	global_store_b8 v[14:15], v10, off
.LBB224_1981:
	s_mov_b32 s0, 0
	s_branch .LBB224_1983
.LBB224_1982:
	s_mov_b32 s0, -1
	s_mov_b32 s3, 0
.LBB224_1983:
	s_and_b32 vcc_lo, exec_lo, s0
	s_cbranch_vccz .LBB224_2022
; %bb.1984:
	v_cmp_gt_i16_e32 vcc_lo, 5, v23
	s_mov_b32 s0, -1
	s_cbranch_vccnz .LBB224_2005
; %bb.1985:
	v_cmp_gt_i16_e32 vcc_lo, 8, v23
	s_cbranch_vccnz .LBB224_1995
; %bb.1986:
	v_cmp_gt_i16_e32 vcc_lo, 9, v23
	s_cbranch_vccnz .LBB224_1992
; %bb.1987:
	v_cmp_lt_i16_e32 vcc_lo, 9, v23
	s_cbranch_vccz .LBB224_1989
; %bb.1988:
	v_dual_mov_b32 v10, v2 :: v_dual_mov_b32 v11, v3
	s_mov_b32 s0, 0
	global_store_b128 v[14:15], v[8:11], off
.LBB224_1989:
	s_and_not1_b32 vcc_lo, exec_lo, s0
	s_cbranch_vccnz .LBB224_1991
; %bb.1990:
	v_cvt_f32_f64_e32 v10, v[8:9]
	v_cvt_f32_f64_e32 v11, v[2:3]
	global_store_b64 v[14:15], v[10:11], off
.LBB224_1991:
	s_mov_b32 s0, 0
.LBB224_1992:
	s_delay_alu instid0(SALU_CYCLE_1)
	s_and_not1_b32 vcc_lo, exec_lo, s0
	s_cbranch_vccnz .LBB224_1994
; %bb.1993:
	v_cvt_f32_f64_e32 v2, v[2:3]
	v_cvt_f32_f64_e32 v3, v[8:9]
	s_delay_alu instid0(VALU_DEP_2) | instskip(NEXT) | instid1(VALU_DEP_2)
	v_cvt_f16_f32_e32 v2, v2
	v_cvt_f16_f32_e32 v3, v3
	s_delay_alu instid0(VALU_DEP_2) | instskip(NEXT) | instid1(VALU_DEP_2)
	v_lshlrev_b32_e32 v2, 16, v2
	v_and_b32_e32 v3, 0xffff, v3
	s_delay_alu instid0(VALU_DEP_1)
	v_or_b32_e32 v2, v2, v3
	global_store_b32 v[14:15], v2, off
.LBB224_1994:
	s_mov_b32 s0, 0
.LBB224_1995:
	s_delay_alu instid0(SALU_CYCLE_1)
	s_and_not1_b32 vcc_lo, exec_lo, s0
	s_cbranch_vccnz .LBB224_2004
; %bb.1996:
	v_cmp_gt_i16_e32 vcc_lo, 6, v23
	s_mov_b32 s0, -1
	s_cbranch_vccnz .LBB224_2002
; %bb.1997:
	v_cmp_lt_i16_e32 vcc_lo, 6, v23
	s_cbranch_vccz .LBB224_1999
; %bb.1998:
	s_mov_b32 s0, 0
	global_store_b64 v[14:15], v[8:9], off
.LBB224_1999:
	s_and_not1_b32 vcc_lo, exec_lo, s0
	s_cbranch_vccnz .LBB224_2001
; %bb.2000:
	v_cvt_f32_f64_e32 v2, v[8:9]
	global_store_b32 v[14:15], v2, off
.LBB224_2001:
	s_mov_b32 s0, 0
.LBB224_2002:
	s_delay_alu instid0(SALU_CYCLE_1)
	s_and_not1_b32 vcc_lo, exec_lo, s0
	s_cbranch_vccnz .LBB224_2004
; %bb.2003:
	v_cvt_f32_f64_e32 v2, v[8:9]
	s_delay_alu instid0(VALU_DEP_1)
	v_cvt_f16_f32_e32 v2, v2
	global_store_b16 v[14:15], v2, off
.LBB224_2004:
	s_mov_b32 s0, 0
.LBB224_2005:
	s_delay_alu instid0(SALU_CYCLE_1)
	s_and_not1_b32 vcc_lo, exec_lo, s0
	s_cbranch_vccnz .LBB224_2021
; %bb.2006:
	v_cmp_gt_i16_e32 vcc_lo, 2, v23
	s_mov_b32 s0, -1
	s_cbranch_vccnz .LBB224_2016
; %bb.2007:
	v_cmp_gt_i16_e32 vcc_lo, 3, v23
	s_cbranch_vccnz .LBB224_2013
; %bb.2008:
	v_cmp_lt_i16_e32 vcc_lo, 3, v23
	s_cbranch_vccz .LBB224_2010
; %bb.2009:
	v_trunc_f64_e32 v[2:3], v[8:9]
	s_mov_b32 s0, 0
	s_delay_alu instid0(VALU_DEP_1) | instskip(NEXT) | instid1(VALU_DEP_1)
	v_ldexp_f64 v[10:11], v[2:3], 0xffffffe0
	v_floor_f64_e32 v[10:11], v[10:11]
	s_delay_alu instid0(VALU_DEP_1) | instskip(SKIP_1) | instid1(VALU_DEP_2)
	v_fma_f64 v[2:3], 0xc1f00000, v[10:11], v[2:3]
	v_cvt_i32_f64_e32 v11, v[10:11]
	v_cvt_u32_f64_e32 v10, v[2:3]
	global_store_b64 v[14:15], v[10:11], off
.LBB224_2010:
	s_and_not1_b32 vcc_lo, exec_lo, s0
	s_cbranch_vccnz .LBB224_2012
; %bb.2011:
	v_cvt_i32_f64_e32 v2, v[8:9]
	global_store_b32 v[14:15], v2, off
.LBB224_2012:
	s_mov_b32 s0, 0
.LBB224_2013:
	s_delay_alu instid0(SALU_CYCLE_1)
	s_and_not1_b32 vcc_lo, exec_lo, s0
	s_cbranch_vccnz .LBB224_2015
; %bb.2014:
	v_cvt_i32_f64_e32 v2, v[8:9]
	global_store_b16 v[14:15], v2, off
.LBB224_2015:
	s_mov_b32 s0, 0
.LBB224_2016:
	s_delay_alu instid0(SALU_CYCLE_1)
	s_and_not1_b32 vcc_lo, exec_lo, s0
	s_cbranch_vccnz .LBB224_2021
; %bb.2017:
	v_cmp_lt_i16_e32 vcc_lo, 0, v23
	s_mov_b32 s0, -1
	s_cbranch_vccz .LBB224_2019
; %bb.2018:
	v_cvt_i32_f64_e32 v2, v[8:9]
	s_mov_b32 s0, 0
	global_store_b8 v[14:15], v2, off
.LBB224_2019:
	s_and_not1_b32 vcc_lo, exec_lo, s0
	s_cbranch_vccnz .LBB224_2021
; %bb.2020:
	v_trunc_f64_e32 v[2:3], v[8:9]
	s_delay_alu instid0(VALU_DEP_1) | instskip(NEXT) | instid1(VALU_DEP_1)
	v_ldexp_f64 v[8:9], v[2:3], 0xffffffe0
	v_floor_f64_e32 v[8:9], v[8:9]
	s_delay_alu instid0(VALU_DEP_1) | instskip(NEXT) | instid1(VALU_DEP_1)
	v_fma_f64 v[2:3], 0xc1f00000, v[8:9], v[2:3]
	v_cvt_u32_f64_e32 v2, v[2:3]
	global_store_b8 v[14:15], v2, off
.LBB224_2021:
	s_mov_b32 s3, -1
.LBB224_2022:
	s_delay_alu instid0(SALU_CYCLE_1)
	s_and_not1_b32 vcc_lo, exec_lo, s3
	s_cbranch_vccnz .LBB224_2337
; %bb.2023:
	s_lshl_b32 s1, s2, 7
	v_cmp_gt_i16_e32 vcc_lo, 11, v23
	v_add_nc_u32_e32 v10, s1, v21
	s_delay_alu instid0(VALU_DEP_1) | instskip(SKIP_1) | instid1(VALU_DEP_1)
	v_ashrrev_i32_e32 v2, 31, v10
	v_add_co_u32 v8, s0, s4, v10
	v_add_co_ci_u32_e64 v9, s0, s5, v2, s0
	s_cbranch_vccnz .LBB224_2101
; %bb.2024:
	v_cmp_lt_i16_e32 vcc_lo, 25, v23
	s_mov_b32 s6, -1
	s_mov_b32 s2, 0
	s_mov_b32 s3, 0
	s_mov_b32 s0, 0
	s_cbranch_vccz .LBB224_2057
; %bb.2025:
	v_cmp_lt_i16_e32 vcc_lo, 28, v23
	s_cbranch_vccz .LBB224_2040
; %bb.2026:
	v_cmp_lt_i16_e32 vcc_lo, 43, v23
	;; [unrolled: 3-line block ×3, first 2 shown]
	s_cbranch_vccz .LBB224_2030
; %bb.2028:
	v_cmp_eq_u16_e32 vcc_lo, 46, v23
	s_mov_b32 s0, -1
	s_mov_b32 s6, 0
	s_cbranch_vccz .LBB224_2030
; %bb.2029:
	v_cvt_f32_f64_e32 v2, v[6:7]
	v_cvt_f32_f64_e32 v3, v[0:1]
	s_mov_b32 s0, 0
	s_mov_b32 s3, -1
	s_delay_alu instid0(VALU_DEP_2) | instskip(NEXT) | instid1(VALU_DEP_2)
	v_bfe_u32 v11, v2, 16, 1
	v_bfe_u32 v14, v3, 16, 1
	v_cmp_o_f32_e32 vcc_lo, v2, v2
	s_delay_alu instid0(VALU_DEP_3) | instskip(NEXT) | instid1(VALU_DEP_3)
	v_add3_u32 v11, v2, v11, 0x7fff
	v_add3_u32 v14, v3, v14, 0x7fff
	s_delay_alu instid0(VALU_DEP_2) | instskip(NEXT) | instid1(VALU_DEP_2)
	v_and_b32_e32 v11, 0xffff0000, v11
	v_lshrrev_b32_e32 v14, 16, v14
	s_delay_alu instid0(VALU_DEP_2) | instskip(SKIP_1) | instid1(VALU_DEP_3)
	v_cndmask_b32_e32 v2, 0x7fc00000, v11, vcc_lo
	v_cmp_o_f32_e32 vcc_lo, v3, v3
	v_cndmask_b32_e32 v3, 0x7fc0, v14, vcc_lo
	s_delay_alu instid0(VALU_DEP_1)
	v_or_b32_e32 v2, v2, v3
	global_store_b32 v[8:9], v2, off
.LBB224_2030:
	s_and_b32 vcc_lo, exec_lo, s6
	s_cbranch_vccz .LBB224_2035
; %bb.2031:
	v_cmp_eq_u16_e32 vcc_lo, 44, v23
	s_mov_b32 s0, -1
	s_cbranch_vccz .LBB224_2035
; %bb.2032:
	v_cvt_f32_f64_e32 v2, v[0:1]
	v_mov_b32_e32 v3, 0xff
	s_mov_b32 s3, exec_lo
	s_delay_alu instid0(VALU_DEP_2) | instskip(NEXT) | instid1(VALU_DEP_1)
	v_bfe_u32 v11, v2, 23, 8
	v_cmpx_ne_u32_e32 0xff, v11
; %bb.2033:
	v_and_b32_e32 v3, 0x400000, v2
	v_and_or_b32 v11, 0x3fffff, v2, v11
	v_lshrrev_b32_e32 v2, 23, v2
	s_delay_alu instid0(VALU_DEP_3) | instskip(NEXT) | instid1(VALU_DEP_3)
	v_cmp_ne_u32_e32 vcc_lo, 0, v3
	v_cmp_ne_u32_e64 s0, 0, v11
	s_delay_alu instid0(VALU_DEP_1) | instskip(NEXT) | instid1(SALU_CYCLE_1)
	s_and_b32 s0, vcc_lo, s0
	v_cndmask_b32_e64 v3, 0, 1, s0
	s_delay_alu instid0(VALU_DEP_1)
	v_add_nc_u32_e32 v3, v2, v3
; %bb.2034:
	s_or_b32 exec_lo, exec_lo, s3
	s_mov_b32 s0, 0
	s_mov_b32 s3, -1
	global_store_b8 v[8:9], v3, off
.LBB224_2035:
	s_mov_b32 s6, 0
.LBB224_2036:
	s_delay_alu instid0(SALU_CYCLE_1)
	s_and_b32 vcc_lo, exec_lo, s6
	s_cbranch_vccz .LBB224_2039
; %bb.2037:
	v_cmp_eq_u16_e32 vcc_lo, 29, v23
	s_mov_b32 s0, -1
	s_cbranch_vccz .LBB224_2039
; %bb.2038:
	v_trunc_f64_e32 v[2:3], v[0:1]
	s_mov_b32 s0, 0
	s_mov_b32 s3, -1
	s_delay_alu instid0(VALU_DEP_1) | instskip(NEXT) | instid1(VALU_DEP_1)
	v_ldexp_f64 v[14:15], v[2:3], 0xffffffe0
	v_floor_f64_e32 v[14:15], v[14:15]
	s_delay_alu instid0(VALU_DEP_1) | instskip(SKIP_1) | instid1(VALU_DEP_2)
	v_fma_f64 v[2:3], 0xc1f00000, v[14:15], v[2:3]
	v_cvt_u32_f64_e32 v15, v[14:15]
	v_cvt_u32_f64_e32 v14, v[2:3]
	global_store_b64 v[8:9], v[14:15], off
.LBB224_2039:
	s_mov_b32 s6, 0
.LBB224_2040:
	s_delay_alu instid0(SALU_CYCLE_1)
	s_and_b32 vcc_lo, exec_lo, s6
	s_cbranch_vccz .LBB224_2056
; %bb.2041:
	v_cmp_gt_i16_e32 vcc_lo, 27, v23
	s_mov_b32 s3, -1
	s_cbranch_vccnz .LBB224_2047
; %bb.2042:
	v_cvt_u32_f64_e32 v2, v[0:1]
	v_cmp_lt_i16_e32 vcc_lo, 27, v23
	s_cbranch_vccz .LBB224_2044
; %bb.2043:
	s_mov_b32 s3, 0
	global_store_b32 v[8:9], v2, off
.LBB224_2044:
	s_and_not1_b32 vcc_lo, exec_lo, s3
	s_cbranch_vccnz .LBB224_2046
; %bb.2045:
	global_store_b16 v[8:9], v2, off
.LBB224_2046:
	s_mov_b32 s3, 0
.LBB224_2047:
	s_delay_alu instid0(SALU_CYCLE_1)
	s_and_not1_b32 vcc_lo, exec_lo, s3
	s_cbranch_vccnz .LBB224_2055
; %bb.2048:
	v_cvt_f32_f64_e32 v2, v[0:1]
	v_mov_b32_e32 v11, 0x80
	s_mov_b32 s3, exec_lo
	s_delay_alu instid0(VALU_DEP_2) | instskip(NEXT) | instid1(VALU_DEP_1)
	v_and_b32_e32 v3, 0x7fffffff, v2
	v_cmpx_gt_u32_e32 0x43800000, v3
	s_cbranch_execz .LBB224_2054
; %bb.2049:
	v_cmp_lt_u32_e32 vcc_lo, 0x3bffffff, v3
	s_mov_b32 s6, 0
                                        ; implicit-def: $vgpr3
	s_and_saveexec_b32 s7, vcc_lo
	s_delay_alu instid0(SALU_CYCLE_1)
	s_xor_b32 s7, exec_lo, s7
	s_cbranch_execz .LBB224_2349
; %bb.2050:
	v_bfe_u32 v3, v2, 20, 1
	s_mov_b32 s6, exec_lo
	s_delay_alu instid0(VALU_DEP_1) | instskip(NEXT) | instid1(VALU_DEP_1)
	v_add3_u32 v3, v2, v3, 0x487ffff
	v_lshrrev_b32_e32 v3, 20, v3
	s_or_saveexec_b32 s7, s7
                                        ; implicit-def: $sgpr8
	s_delay_alu instid0(SALU_CYCLE_1)
	s_xor_b32 exec_lo, exec_lo, s7
	s_cbranch_execnz .LBB224_2350
.LBB224_2051:
	s_or_b32 exec_lo, exec_lo, s7
	v_mov_b32_e32 v11, s8
	s_and_saveexec_b32 s7, s6
.LBB224_2052:
	v_lshrrev_b32_e32 v2, 24, v2
	s_delay_alu instid0(VALU_DEP_1)
	v_and_or_b32 v11, 0x80, v2, v3
.LBB224_2053:
	s_or_b32 exec_lo, exec_lo, s7
.LBB224_2054:
	s_delay_alu instid0(SALU_CYCLE_1)
	s_or_b32 exec_lo, exec_lo, s3
	global_store_b8 v[8:9], v11, off
.LBB224_2055:
	s_mov_b32 s3, -1
.LBB224_2056:
	s_mov_b32 s6, 0
.LBB224_2057:
	s_delay_alu instid0(SALU_CYCLE_1)
	s_and_b32 vcc_lo, exec_lo, s6
	s_cbranch_vccz .LBB224_2097
; %bb.2058:
	v_cmp_lt_i16_e32 vcc_lo, 22, v23
	s_mov_b32 s2, -1
	s_cbranch_vccz .LBB224_2090
; %bb.2059:
	v_cmp_gt_i16_e32 vcc_lo, 24, v23
	s_cbranch_vccnz .LBB224_2079
; %bb.2060:
	v_cmp_lt_i16_e32 vcc_lo, 24, v23
	s_cbranch_vccz .LBB224_2068
; %bb.2061:
	v_cvt_f32_f64_e32 v2, v[0:1]
	v_mov_b32_e32 v11, 0x80
	s_mov_b32 s2, exec_lo
	s_delay_alu instid0(VALU_DEP_2) | instskip(NEXT) | instid1(VALU_DEP_1)
	v_and_b32_e32 v3, 0x7fffffff, v2
	v_cmpx_gt_u32_e32 0x47800000, v3
	s_cbranch_execz .LBB224_2067
; %bb.2062:
	v_cmp_lt_u32_e32 vcc_lo, 0x37ffffff, v3
	s_mov_b32 s3, 0
                                        ; implicit-def: $vgpr3
	s_and_saveexec_b32 s6, vcc_lo
	s_delay_alu instid0(SALU_CYCLE_1)
	s_xor_b32 s6, exec_lo, s6
	s_cbranch_execz .LBB224_2355
; %bb.2063:
	v_bfe_u32 v3, v2, 21, 1
	s_mov_b32 s3, exec_lo
	s_delay_alu instid0(VALU_DEP_1) | instskip(NEXT) | instid1(VALU_DEP_1)
	v_add3_u32 v3, v2, v3, 0x88fffff
	v_lshrrev_b32_e32 v3, 21, v3
	s_or_saveexec_b32 s6, s6
                                        ; implicit-def: $sgpr7
	s_delay_alu instid0(SALU_CYCLE_1)
	s_xor_b32 exec_lo, exec_lo, s6
	s_cbranch_execnz .LBB224_2356
.LBB224_2064:
	s_or_b32 exec_lo, exec_lo, s6
	v_mov_b32_e32 v11, s7
	s_and_saveexec_b32 s6, s3
.LBB224_2065:
	v_lshrrev_b32_e32 v2, 24, v2
	s_delay_alu instid0(VALU_DEP_1)
	v_and_or_b32 v11, 0x80, v2, v3
.LBB224_2066:
	s_or_b32 exec_lo, exec_lo, s6
.LBB224_2067:
	s_delay_alu instid0(SALU_CYCLE_1)
	s_or_b32 exec_lo, exec_lo, s2
	s_mov_b32 s2, 0
	global_store_b8 v[8:9], v11, off
.LBB224_2068:
	s_and_b32 vcc_lo, exec_lo, s2
	s_cbranch_vccz .LBB224_2078
; %bb.2069:
	v_cvt_f32_f64_e32 v2, v[0:1]
	s_mov_b32 s2, exec_lo
                                        ; implicit-def: $vgpr3
	s_delay_alu instid0(VALU_DEP_1) | instskip(NEXT) | instid1(VALU_DEP_1)
	v_and_b32_e32 v11, 0x7fffffff, v2
	v_cmpx_gt_u32_e32 0x43f00000, v11
	s_xor_b32 s2, exec_lo, s2
	s_cbranch_execz .LBB224_2075
; %bb.2070:
	s_mov_b32 s3, exec_lo
                                        ; implicit-def: $vgpr3
	v_cmpx_lt_u32_e32 0x3c7fffff, v11
	s_xor_b32 s3, exec_lo, s3
; %bb.2071:
	v_bfe_u32 v3, v2, 20, 1
	s_delay_alu instid0(VALU_DEP_1) | instskip(NEXT) | instid1(VALU_DEP_1)
	v_add3_u32 v3, v2, v3, 0x407ffff
	v_and_b32_e32 v11, 0xff00000, v3
	v_lshrrev_b32_e32 v3, 20, v3
	s_delay_alu instid0(VALU_DEP_2) | instskip(NEXT) | instid1(VALU_DEP_2)
	v_cmp_ne_u32_e32 vcc_lo, 0x7f00000, v11
	v_cndmask_b32_e32 v3, 0x7e, v3, vcc_lo
; %bb.2072:
	s_and_not1_saveexec_b32 s3, s3
; %bb.2073:
	v_add_f32_e64 v3, 0x46800000, |v2|
; %bb.2074:
	s_or_b32 exec_lo, exec_lo, s3
                                        ; implicit-def: $vgpr11
.LBB224_2075:
	s_and_not1_saveexec_b32 s2, s2
; %bb.2076:
	v_mov_b32_e32 v3, 0x7f
	v_cmp_lt_u32_e32 vcc_lo, 0x7f800000, v11
	s_delay_alu instid0(VALU_DEP_2)
	v_cndmask_b32_e32 v3, 0x7e, v3, vcc_lo
; %bb.2077:
	s_or_b32 exec_lo, exec_lo, s2
	v_lshrrev_b32_e32 v2, 24, v2
	s_delay_alu instid0(VALU_DEP_1)
	v_and_or_b32 v2, 0x80, v2, v3
	global_store_b8 v[8:9], v2, off
.LBB224_2078:
	s_mov_b32 s2, 0
.LBB224_2079:
	s_delay_alu instid0(SALU_CYCLE_1)
	s_and_not1_b32 vcc_lo, exec_lo, s2
	s_cbranch_vccnz .LBB224_2089
; %bb.2080:
	v_cvt_f32_f64_e32 v2, v[0:1]
	s_mov_b32 s2, exec_lo
                                        ; implicit-def: $vgpr3
	s_delay_alu instid0(VALU_DEP_1) | instskip(NEXT) | instid1(VALU_DEP_1)
	v_and_b32_e32 v11, 0x7fffffff, v2
	v_cmpx_gt_u32_e32 0x47800000, v11
	s_xor_b32 s2, exec_lo, s2
	s_cbranch_execz .LBB224_2086
; %bb.2081:
	s_mov_b32 s3, exec_lo
                                        ; implicit-def: $vgpr3
	v_cmpx_lt_u32_e32 0x387fffff, v11
	s_xor_b32 s3, exec_lo, s3
; %bb.2082:
	v_bfe_u32 v3, v2, 21, 1
	s_delay_alu instid0(VALU_DEP_1) | instskip(NEXT) | instid1(VALU_DEP_1)
	v_add3_u32 v3, v2, v3, 0x80fffff
	v_lshrrev_b32_e32 v3, 21, v3
; %bb.2083:
	s_and_not1_saveexec_b32 s3, s3
; %bb.2084:
	v_add_f32_e64 v3, 0x43000000, |v2|
; %bb.2085:
	s_or_b32 exec_lo, exec_lo, s3
                                        ; implicit-def: $vgpr11
.LBB224_2086:
	s_and_not1_saveexec_b32 s2, s2
; %bb.2087:
	v_mov_b32_e32 v3, 0x7f
	v_cmp_lt_u32_e32 vcc_lo, 0x7f800000, v11
	s_delay_alu instid0(VALU_DEP_2)
	v_cndmask_b32_e32 v3, 0x7c, v3, vcc_lo
; %bb.2088:
	s_or_b32 exec_lo, exec_lo, s2
	v_lshrrev_b32_e32 v2, 24, v2
	s_delay_alu instid0(VALU_DEP_1)
	v_and_or_b32 v2, 0x80, v2, v3
	global_store_b8 v[8:9], v2, off
.LBB224_2089:
	s_mov_b32 s2, 0
	s_mov_b32 s3, -1
.LBB224_2090:
	s_and_not1_b32 vcc_lo, exec_lo, s2
	s_mov_b32 s2, 0
	s_cbranch_vccnz .LBB224_2097
; %bb.2091:
	v_cmp_lt_i16_e32 vcc_lo, 14, v23
	s_mov_b32 s2, -1
	s_cbranch_vccz .LBB224_2095
; %bb.2092:
	v_cmp_eq_u16_e32 vcc_lo, 15, v23
	s_mov_b32 s0, -1
	s_cbranch_vccz .LBB224_2094
; %bb.2093:
	v_cvt_f32_f64_e32 v2, v[0:1]
	s_mov_b32 s0, 0
	s_mov_b32 s3, -1
	s_delay_alu instid0(VALU_DEP_1) | instskip(SKIP_1) | instid1(VALU_DEP_2)
	v_bfe_u32 v3, v2, 16, 1
	v_cmp_o_f32_e32 vcc_lo, v2, v2
	v_add3_u32 v3, v2, v3, 0x7fff
	s_delay_alu instid0(VALU_DEP_1) | instskip(NEXT) | instid1(VALU_DEP_1)
	v_lshrrev_b32_e32 v3, 16, v3
	v_cndmask_b32_e32 v2, 0x7fc0, v3, vcc_lo
	global_store_b16 v[8:9], v2, off
.LBB224_2094:
	s_mov_b32 s2, 0
.LBB224_2095:
	s_delay_alu instid0(SALU_CYCLE_1)
	s_and_b32 vcc_lo, exec_lo, s2
	s_mov_b32 s2, 0
	s_cbranch_vccz .LBB224_2097
; %bb.2096:
	v_cmp_ne_u16_e64 s0, 11, v23
	s_mov_b32 s2, -1
.LBB224_2097:
	s_delay_alu instid0(VALU_DEP_1)
	s_and_b32 vcc_lo, exec_lo, s0
	s_cbranch_vccnz .LBB224_2353
; %bb.2098:
	s_and_not1_b32 vcc_lo, exec_lo, s2
	s_cbranch_vccnz .LBB224_2100
.LBB224_2099:
	v_cmp_neq_f64_e32 vcc_lo, 0, v[0:1]
	v_cmp_neq_f64_e64 s0, 0, v[6:7]
	s_mov_b32 s3, -1
	s_delay_alu instid0(VALU_DEP_1) | instskip(NEXT) | instid1(SALU_CYCLE_1)
	s_or_b32 s0, vcc_lo, s0
	v_cndmask_b32_e64 v2, 0, 1, s0
	global_store_b8 v[8:9], v2, off
.LBB224_2100:
	s_mov_b32 s0, 0
	s_branch .LBB224_2102
.LBB224_2101:
	s_mov_b32 s0, -1
	s_mov_b32 s3, 0
.LBB224_2102:
	s_and_b32 vcc_lo, exec_lo, s0
	s_cbranch_vccz .LBB224_2141
; %bb.2103:
	v_cmp_gt_i16_e32 vcc_lo, 5, v23
	s_mov_b32 s0, -1
	s_cbranch_vccnz .LBB224_2124
; %bb.2104:
	v_cmp_gt_i16_e32 vcc_lo, 8, v23
	s_cbranch_vccnz .LBB224_2114
; %bb.2105:
	v_cmp_gt_i16_e32 vcc_lo, 9, v23
	s_cbranch_vccnz .LBB224_2111
; %bb.2106:
	v_cmp_lt_i16_e32 vcc_lo, 9, v23
	s_cbranch_vccz .LBB224_2108
; %bb.2107:
	v_dual_mov_b32 v2, v6 :: v_dual_mov_b32 v3, v7
	s_mov_b32 s0, 0
	global_store_b128 v[8:9], v[0:3], off
.LBB224_2108:
	s_and_not1_b32 vcc_lo, exec_lo, s0
	s_cbranch_vccnz .LBB224_2110
; %bb.2109:
	v_cvt_f32_f64_e32 v2, v[0:1]
	v_cvt_f32_f64_e32 v3, v[6:7]
	global_store_b64 v[8:9], v[2:3], off
.LBB224_2110:
	s_mov_b32 s0, 0
.LBB224_2111:
	s_delay_alu instid0(SALU_CYCLE_1)
	s_and_not1_b32 vcc_lo, exec_lo, s0
	s_cbranch_vccnz .LBB224_2113
; %bb.2112:
	v_cvt_f32_f64_e32 v2, v[6:7]
	v_cvt_f32_f64_e32 v3, v[0:1]
	s_delay_alu instid0(VALU_DEP_2) | instskip(NEXT) | instid1(VALU_DEP_2)
	v_cvt_f16_f32_e32 v2, v2
	v_cvt_f16_f32_e32 v3, v3
	s_delay_alu instid0(VALU_DEP_2) | instskip(NEXT) | instid1(VALU_DEP_2)
	v_lshlrev_b32_e32 v2, 16, v2
	v_and_b32_e32 v3, 0xffff, v3
	s_delay_alu instid0(VALU_DEP_1)
	v_or_b32_e32 v2, v2, v3
	global_store_b32 v[8:9], v2, off
.LBB224_2113:
	s_mov_b32 s0, 0
.LBB224_2114:
	s_delay_alu instid0(SALU_CYCLE_1)
	s_and_not1_b32 vcc_lo, exec_lo, s0
	s_cbranch_vccnz .LBB224_2123
; %bb.2115:
	v_cmp_gt_i16_e32 vcc_lo, 6, v23
	s_mov_b32 s0, -1
	s_cbranch_vccnz .LBB224_2121
; %bb.2116:
	v_cmp_lt_i16_e32 vcc_lo, 6, v23
	s_cbranch_vccz .LBB224_2118
; %bb.2117:
	s_mov_b32 s0, 0
	global_store_b64 v[8:9], v[0:1], off
.LBB224_2118:
	s_and_not1_b32 vcc_lo, exec_lo, s0
	s_cbranch_vccnz .LBB224_2120
; %bb.2119:
	v_cvt_f32_f64_e32 v2, v[0:1]
	global_store_b32 v[8:9], v2, off
.LBB224_2120:
	s_mov_b32 s0, 0
.LBB224_2121:
	s_delay_alu instid0(SALU_CYCLE_1)
	s_and_not1_b32 vcc_lo, exec_lo, s0
	s_cbranch_vccnz .LBB224_2123
; %bb.2122:
	v_cvt_f32_f64_e32 v2, v[0:1]
	s_delay_alu instid0(VALU_DEP_1)
	v_cvt_f16_f32_e32 v2, v2
	global_store_b16 v[8:9], v2, off
.LBB224_2123:
	s_mov_b32 s0, 0
.LBB224_2124:
	s_delay_alu instid0(SALU_CYCLE_1)
	s_and_not1_b32 vcc_lo, exec_lo, s0
	s_cbranch_vccnz .LBB224_2140
; %bb.2125:
	v_cmp_gt_i16_e32 vcc_lo, 2, v23
	s_mov_b32 s0, -1
	s_cbranch_vccnz .LBB224_2135
; %bb.2126:
	v_cmp_gt_i16_e32 vcc_lo, 3, v23
	s_cbranch_vccnz .LBB224_2132
; %bb.2127:
	v_cmp_lt_i16_e32 vcc_lo, 3, v23
	s_cbranch_vccz .LBB224_2129
; %bb.2128:
	v_trunc_f64_e32 v[2:3], v[0:1]
	s_mov_b32 s0, 0
	s_delay_alu instid0(VALU_DEP_1) | instskip(NEXT) | instid1(VALU_DEP_1)
	v_ldexp_f64 v[6:7], v[2:3], 0xffffffe0
	v_floor_f64_e32 v[6:7], v[6:7]
	s_delay_alu instid0(VALU_DEP_1) | instskip(SKIP_1) | instid1(VALU_DEP_2)
	v_fma_f64 v[2:3], 0xc1f00000, v[6:7], v[2:3]
	v_cvt_i32_f64_e32 v7, v[6:7]
	v_cvt_u32_f64_e32 v6, v[2:3]
	global_store_b64 v[8:9], v[6:7], off
.LBB224_2129:
	s_and_not1_b32 vcc_lo, exec_lo, s0
	s_cbranch_vccnz .LBB224_2131
; %bb.2130:
	v_cvt_i32_f64_e32 v2, v[0:1]
	global_store_b32 v[8:9], v2, off
.LBB224_2131:
	s_mov_b32 s0, 0
.LBB224_2132:
	s_delay_alu instid0(SALU_CYCLE_1)
	s_and_not1_b32 vcc_lo, exec_lo, s0
	s_cbranch_vccnz .LBB224_2134
; %bb.2133:
	v_cvt_i32_f64_e32 v2, v[0:1]
	global_store_b16 v[8:9], v2, off
.LBB224_2134:
	s_mov_b32 s0, 0
.LBB224_2135:
	s_delay_alu instid0(SALU_CYCLE_1)
	s_and_not1_b32 vcc_lo, exec_lo, s0
	s_cbranch_vccnz .LBB224_2140
; %bb.2136:
	v_cmp_lt_i16_e32 vcc_lo, 0, v23
	s_mov_b32 s0, -1
	s_cbranch_vccz .LBB224_2138
; %bb.2137:
	v_cvt_i32_f64_e32 v2, v[0:1]
	s_mov_b32 s0, 0
	global_store_b8 v[8:9], v2, off
.LBB224_2138:
	s_and_not1_b32 vcc_lo, exec_lo, s0
	s_cbranch_vccnz .LBB224_2140
; %bb.2139:
	v_trunc_f64_e32 v[0:1], v[0:1]
	s_delay_alu instid0(VALU_DEP_1) | instskip(NEXT) | instid1(VALU_DEP_1)
	v_ldexp_f64 v[2:3], v[0:1], 0xffffffe0
	v_floor_f64_e32 v[2:3], v[2:3]
	s_delay_alu instid0(VALU_DEP_1) | instskip(NEXT) | instid1(VALU_DEP_1)
	v_fma_f64 v[0:1], 0xc1f00000, v[2:3], v[0:1]
	v_cvt_u32_f64_e32 v0, v[0:1]
	global_store_b8 v[8:9], v0, off
.LBB224_2140:
	s_mov_b32 s3, -1
.LBB224_2141:
	s_delay_alu instid0(SALU_CYCLE_1)
	s_and_not1_b32 vcc_lo, exec_lo, s3
	s_cbranch_vccnz .LBB224_2337
; %bb.2142:
	v_add_nc_u32_e32 v2, s1, v10
	v_cmp_gt_i16_e32 vcc_lo, 11, v23
	s_delay_alu instid0(VALU_DEP_2) | instskip(SKIP_1) | instid1(VALU_DEP_1)
	v_ashrrev_i32_e32 v1, 31, v2
	v_add_co_u32 v0, s0, s4, v2
	v_add_co_ci_u32_e64 v1, s0, s5, v1, s0
	s_cbranch_vccnz .LBB224_2220
; %bb.2143:
	v_cmp_lt_i16_e32 vcc_lo, 25, v23
	s_mov_b32 s6, -1
	s_mov_b32 s2, 0
	s_mov_b32 s3, 0
	;; [unrolled: 1-line block ×3, first 2 shown]
	s_cbranch_vccz .LBB224_2176
; %bb.2144:
	v_cmp_lt_i16_e32 vcc_lo, 28, v23
	s_cbranch_vccz .LBB224_2159
; %bb.2145:
	v_cmp_lt_i16_e32 vcc_lo, 43, v23
	;; [unrolled: 3-line block ×3, first 2 shown]
	s_cbranch_vccz .LBB224_2149
; %bb.2147:
	v_cmp_eq_u16_e32 vcc_lo, 46, v23
	s_mov_b32 s0, -1
	s_mov_b32 s6, 0
	s_cbranch_vccz .LBB224_2149
; %bb.2148:
	v_cvt_f32_f64_e32 v3, v[12:13]
	v_cvt_f32_f64_e32 v6, v[4:5]
	s_mov_b32 s0, 0
	s_mov_b32 s3, -1
	s_delay_alu instid0(VALU_DEP_2) | instskip(NEXT) | instid1(VALU_DEP_2)
	v_bfe_u32 v7, v3, 16, 1
	v_bfe_u32 v8, v6, 16, 1
	v_cmp_o_f32_e32 vcc_lo, v3, v3
	s_delay_alu instid0(VALU_DEP_3) | instskip(NEXT) | instid1(VALU_DEP_3)
	v_add3_u32 v7, v3, v7, 0x7fff
	v_add3_u32 v8, v6, v8, 0x7fff
	s_delay_alu instid0(VALU_DEP_2) | instskip(NEXT) | instid1(VALU_DEP_2)
	v_and_b32_e32 v7, 0xffff0000, v7
	v_lshrrev_b32_e32 v8, 16, v8
	s_delay_alu instid0(VALU_DEP_2) | instskip(SKIP_1) | instid1(VALU_DEP_3)
	v_cndmask_b32_e32 v3, 0x7fc00000, v7, vcc_lo
	v_cmp_o_f32_e32 vcc_lo, v6, v6
	v_cndmask_b32_e32 v6, 0x7fc0, v8, vcc_lo
	s_delay_alu instid0(VALU_DEP_1)
	v_or_b32_e32 v3, v3, v6
	global_store_b32 v[0:1], v3, off
.LBB224_2149:
	s_and_b32 vcc_lo, exec_lo, s6
	s_cbranch_vccz .LBB224_2154
; %bb.2150:
	v_cmp_eq_u16_e32 vcc_lo, 44, v23
	s_mov_b32 s0, -1
	s_cbranch_vccz .LBB224_2154
; %bb.2151:
	v_cvt_f32_f64_e32 v3, v[4:5]
	v_mov_b32_e32 v6, 0xff
	s_mov_b32 s3, exec_lo
	s_delay_alu instid0(VALU_DEP_2) | instskip(NEXT) | instid1(VALU_DEP_1)
	v_bfe_u32 v7, v3, 23, 8
	v_cmpx_ne_u32_e32 0xff, v7
; %bb.2152:
	v_and_b32_e32 v6, 0x400000, v3
	v_and_or_b32 v7, 0x3fffff, v3, v7
	v_lshrrev_b32_e32 v3, 23, v3
	s_delay_alu instid0(VALU_DEP_3) | instskip(NEXT) | instid1(VALU_DEP_3)
	v_cmp_ne_u32_e32 vcc_lo, 0, v6
	v_cmp_ne_u32_e64 s0, 0, v7
	s_delay_alu instid0(VALU_DEP_1) | instskip(NEXT) | instid1(SALU_CYCLE_1)
	s_and_b32 s0, vcc_lo, s0
	v_cndmask_b32_e64 v6, 0, 1, s0
	s_delay_alu instid0(VALU_DEP_1)
	v_add_nc_u32_e32 v6, v3, v6
; %bb.2153:
	s_or_b32 exec_lo, exec_lo, s3
	s_mov_b32 s0, 0
	s_mov_b32 s3, -1
	global_store_b8 v[0:1], v6, off
.LBB224_2154:
	s_mov_b32 s6, 0
.LBB224_2155:
	s_delay_alu instid0(SALU_CYCLE_1)
	s_and_b32 vcc_lo, exec_lo, s6
	s_cbranch_vccz .LBB224_2158
; %bb.2156:
	v_cmp_eq_u16_e32 vcc_lo, 29, v23
	s_mov_b32 s0, -1
	s_cbranch_vccz .LBB224_2158
; %bb.2157:
	v_trunc_f64_e32 v[6:7], v[4:5]
	s_mov_b32 s0, 0
	s_mov_b32 s3, -1
	s_delay_alu instid0(VALU_DEP_1) | instskip(NEXT) | instid1(VALU_DEP_1)
	v_ldexp_f64 v[8:9], v[6:7], 0xffffffe0
	v_floor_f64_e32 v[8:9], v[8:9]
	s_delay_alu instid0(VALU_DEP_1) | instskip(SKIP_1) | instid1(VALU_DEP_2)
	v_fma_f64 v[6:7], 0xc1f00000, v[8:9], v[6:7]
	v_cvt_u32_f64_e32 v8, v[8:9]
	v_cvt_u32_f64_e32 v7, v[6:7]
	global_store_b64 v[0:1], v[7:8], off
.LBB224_2158:
	s_mov_b32 s6, 0
.LBB224_2159:
	s_delay_alu instid0(SALU_CYCLE_1)
	s_and_b32 vcc_lo, exec_lo, s6
	s_cbranch_vccz .LBB224_2175
; %bb.2160:
	v_cmp_gt_i16_e32 vcc_lo, 27, v23
	s_mov_b32 s3, -1
	s_cbranch_vccnz .LBB224_2166
; %bb.2161:
	v_cvt_u32_f64_e32 v3, v[4:5]
	v_cmp_lt_i16_e32 vcc_lo, 27, v23
	s_cbranch_vccz .LBB224_2163
; %bb.2162:
	s_mov_b32 s3, 0
	global_store_b32 v[0:1], v3, off
.LBB224_2163:
	s_and_not1_b32 vcc_lo, exec_lo, s3
	s_cbranch_vccnz .LBB224_2165
; %bb.2164:
	global_store_b16 v[0:1], v3, off
.LBB224_2165:
	s_mov_b32 s3, 0
.LBB224_2166:
	s_delay_alu instid0(SALU_CYCLE_1)
	s_and_not1_b32 vcc_lo, exec_lo, s3
	s_cbranch_vccnz .LBB224_2174
; %bb.2167:
	v_cvt_f32_f64_e32 v3, v[4:5]
	v_mov_b32_e32 v7, 0x80
	s_mov_b32 s3, exec_lo
	s_delay_alu instid0(VALU_DEP_2) | instskip(NEXT) | instid1(VALU_DEP_1)
	v_and_b32_e32 v6, 0x7fffffff, v3
	v_cmpx_gt_u32_e32 0x43800000, v6
	s_cbranch_execz .LBB224_2173
; %bb.2168:
	v_cmp_lt_u32_e32 vcc_lo, 0x3bffffff, v6
	s_mov_b32 s6, 0
                                        ; implicit-def: $vgpr6
	s_and_saveexec_b32 s7, vcc_lo
	s_delay_alu instid0(SALU_CYCLE_1)
	s_xor_b32 s7, exec_lo, s7
	s_cbranch_execz .LBB224_2357
; %bb.2169:
	v_bfe_u32 v6, v3, 20, 1
	s_mov_b32 s6, exec_lo
	s_delay_alu instid0(VALU_DEP_1) | instskip(NEXT) | instid1(VALU_DEP_1)
	v_add3_u32 v6, v3, v6, 0x487ffff
	v_lshrrev_b32_e32 v6, 20, v6
	s_or_saveexec_b32 s7, s7
                                        ; implicit-def: $sgpr8
	s_delay_alu instid0(SALU_CYCLE_1)
	s_xor_b32 exec_lo, exec_lo, s7
	s_cbranch_execnz .LBB224_2358
.LBB224_2170:
	s_or_b32 exec_lo, exec_lo, s7
	v_mov_b32_e32 v7, s8
	s_and_saveexec_b32 s7, s6
.LBB224_2171:
	v_lshrrev_b32_e32 v3, 24, v3
	s_delay_alu instid0(VALU_DEP_1)
	v_and_or_b32 v7, 0x80, v3, v6
.LBB224_2172:
	s_or_b32 exec_lo, exec_lo, s7
.LBB224_2173:
	s_delay_alu instid0(SALU_CYCLE_1)
	s_or_b32 exec_lo, exec_lo, s3
	global_store_b8 v[0:1], v7, off
.LBB224_2174:
	s_mov_b32 s3, -1
.LBB224_2175:
	s_mov_b32 s6, 0
.LBB224_2176:
	s_delay_alu instid0(SALU_CYCLE_1)
	s_and_b32 vcc_lo, exec_lo, s6
	s_cbranch_vccz .LBB224_2216
; %bb.2177:
	v_cmp_lt_i16_e32 vcc_lo, 22, v23
	s_mov_b32 s2, -1
	s_cbranch_vccz .LBB224_2209
; %bb.2178:
	v_cmp_gt_i16_e32 vcc_lo, 24, v23
	s_cbranch_vccnz .LBB224_2198
; %bb.2179:
	v_cmp_lt_i16_e32 vcc_lo, 24, v23
	s_cbranch_vccz .LBB224_2187
; %bb.2180:
	v_cvt_f32_f64_e32 v3, v[4:5]
	v_mov_b32_e32 v7, 0x80
	s_mov_b32 s2, exec_lo
	s_delay_alu instid0(VALU_DEP_2) | instskip(NEXT) | instid1(VALU_DEP_1)
	v_and_b32_e32 v6, 0x7fffffff, v3
	v_cmpx_gt_u32_e32 0x47800000, v6
	s_cbranch_execz .LBB224_2186
; %bb.2181:
	v_cmp_lt_u32_e32 vcc_lo, 0x37ffffff, v6
	s_mov_b32 s3, 0
                                        ; implicit-def: $vgpr6
	s_and_saveexec_b32 s6, vcc_lo
	s_delay_alu instid0(SALU_CYCLE_1)
	s_xor_b32 s6, exec_lo, s6
	s_cbranch_execz .LBB224_2363
; %bb.2182:
	v_bfe_u32 v6, v3, 21, 1
	s_mov_b32 s3, exec_lo
	s_delay_alu instid0(VALU_DEP_1) | instskip(NEXT) | instid1(VALU_DEP_1)
	v_add3_u32 v6, v3, v6, 0x88fffff
	v_lshrrev_b32_e32 v6, 21, v6
	s_or_saveexec_b32 s6, s6
                                        ; implicit-def: $sgpr7
	s_delay_alu instid0(SALU_CYCLE_1)
	s_xor_b32 exec_lo, exec_lo, s6
	s_cbranch_execnz .LBB224_2364
.LBB224_2183:
	s_or_b32 exec_lo, exec_lo, s6
	v_mov_b32_e32 v7, s7
	s_and_saveexec_b32 s6, s3
.LBB224_2184:
	v_lshrrev_b32_e32 v3, 24, v3
	s_delay_alu instid0(VALU_DEP_1)
	v_and_or_b32 v7, 0x80, v3, v6
.LBB224_2185:
	s_or_b32 exec_lo, exec_lo, s6
.LBB224_2186:
	s_delay_alu instid0(SALU_CYCLE_1)
	s_or_b32 exec_lo, exec_lo, s2
	s_mov_b32 s2, 0
	global_store_b8 v[0:1], v7, off
.LBB224_2187:
	s_and_b32 vcc_lo, exec_lo, s2
	s_cbranch_vccz .LBB224_2197
; %bb.2188:
	v_cvt_f32_f64_e32 v3, v[4:5]
	s_mov_b32 s2, exec_lo
                                        ; implicit-def: $vgpr6
	s_delay_alu instid0(VALU_DEP_1) | instskip(NEXT) | instid1(VALU_DEP_1)
	v_and_b32_e32 v7, 0x7fffffff, v3
	v_cmpx_gt_u32_e32 0x43f00000, v7
	s_xor_b32 s2, exec_lo, s2
	s_cbranch_execz .LBB224_2194
; %bb.2189:
	s_mov_b32 s3, exec_lo
                                        ; implicit-def: $vgpr6
	v_cmpx_lt_u32_e32 0x3c7fffff, v7
	s_xor_b32 s3, exec_lo, s3
; %bb.2190:
	v_bfe_u32 v6, v3, 20, 1
	s_delay_alu instid0(VALU_DEP_1) | instskip(NEXT) | instid1(VALU_DEP_1)
	v_add3_u32 v6, v3, v6, 0x407ffff
	v_and_b32_e32 v7, 0xff00000, v6
	v_lshrrev_b32_e32 v6, 20, v6
	s_delay_alu instid0(VALU_DEP_2) | instskip(NEXT) | instid1(VALU_DEP_2)
	v_cmp_ne_u32_e32 vcc_lo, 0x7f00000, v7
	v_cndmask_b32_e32 v6, 0x7e, v6, vcc_lo
; %bb.2191:
	s_and_not1_saveexec_b32 s3, s3
; %bb.2192:
	v_add_f32_e64 v6, 0x46800000, |v3|
; %bb.2193:
	s_or_b32 exec_lo, exec_lo, s3
                                        ; implicit-def: $vgpr7
.LBB224_2194:
	s_and_not1_saveexec_b32 s2, s2
; %bb.2195:
	v_mov_b32_e32 v6, 0x7f
	v_cmp_lt_u32_e32 vcc_lo, 0x7f800000, v7
	s_delay_alu instid0(VALU_DEP_2)
	v_cndmask_b32_e32 v6, 0x7e, v6, vcc_lo
; %bb.2196:
	s_or_b32 exec_lo, exec_lo, s2
	v_lshrrev_b32_e32 v3, 24, v3
	s_delay_alu instid0(VALU_DEP_1)
	v_and_or_b32 v3, 0x80, v3, v6
	global_store_b8 v[0:1], v3, off
.LBB224_2197:
	s_mov_b32 s2, 0
.LBB224_2198:
	s_delay_alu instid0(SALU_CYCLE_1)
	s_and_not1_b32 vcc_lo, exec_lo, s2
	s_cbranch_vccnz .LBB224_2208
; %bb.2199:
	v_cvt_f32_f64_e32 v3, v[4:5]
	s_mov_b32 s2, exec_lo
                                        ; implicit-def: $vgpr6
	s_delay_alu instid0(VALU_DEP_1) | instskip(NEXT) | instid1(VALU_DEP_1)
	v_and_b32_e32 v7, 0x7fffffff, v3
	v_cmpx_gt_u32_e32 0x47800000, v7
	s_xor_b32 s2, exec_lo, s2
	s_cbranch_execz .LBB224_2205
; %bb.2200:
	s_mov_b32 s3, exec_lo
                                        ; implicit-def: $vgpr6
	v_cmpx_lt_u32_e32 0x387fffff, v7
	s_xor_b32 s3, exec_lo, s3
; %bb.2201:
	v_bfe_u32 v6, v3, 21, 1
	s_delay_alu instid0(VALU_DEP_1) | instskip(NEXT) | instid1(VALU_DEP_1)
	v_add3_u32 v6, v3, v6, 0x80fffff
	v_lshrrev_b32_e32 v6, 21, v6
; %bb.2202:
	s_and_not1_saveexec_b32 s3, s3
; %bb.2203:
	v_add_f32_e64 v6, 0x43000000, |v3|
; %bb.2204:
	s_or_b32 exec_lo, exec_lo, s3
                                        ; implicit-def: $vgpr7
.LBB224_2205:
	s_and_not1_saveexec_b32 s2, s2
; %bb.2206:
	v_mov_b32_e32 v6, 0x7f
	v_cmp_lt_u32_e32 vcc_lo, 0x7f800000, v7
	s_delay_alu instid0(VALU_DEP_2)
	v_cndmask_b32_e32 v6, 0x7c, v6, vcc_lo
; %bb.2207:
	s_or_b32 exec_lo, exec_lo, s2
	v_lshrrev_b32_e32 v3, 24, v3
	s_delay_alu instid0(VALU_DEP_1)
	v_and_or_b32 v3, 0x80, v3, v6
	global_store_b8 v[0:1], v3, off
.LBB224_2208:
	s_mov_b32 s2, 0
	s_mov_b32 s3, -1
.LBB224_2209:
	s_and_not1_b32 vcc_lo, exec_lo, s2
	s_mov_b32 s2, 0
	s_cbranch_vccnz .LBB224_2216
; %bb.2210:
	v_cmp_lt_i16_e32 vcc_lo, 14, v23
	s_mov_b32 s2, -1
	s_cbranch_vccz .LBB224_2214
; %bb.2211:
	v_cmp_eq_u16_e32 vcc_lo, 15, v23
	s_mov_b32 s0, -1
	s_cbranch_vccz .LBB224_2213
; %bb.2212:
	v_cvt_f32_f64_e32 v3, v[4:5]
	s_mov_b32 s0, 0
	s_mov_b32 s3, -1
	s_delay_alu instid0(VALU_DEP_1) | instskip(SKIP_1) | instid1(VALU_DEP_2)
	v_bfe_u32 v6, v3, 16, 1
	v_cmp_o_f32_e32 vcc_lo, v3, v3
	v_add3_u32 v6, v3, v6, 0x7fff
	s_delay_alu instid0(VALU_DEP_1) | instskip(NEXT) | instid1(VALU_DEP_1)
	v_lshrrev_b32_e32 v6, 16, v6
	v_cndmask_b32_e32 v3, 0x7fc0, v6, vcc_lo
	global_store_b16 v[0:1], v3, off
.LBB224_2213:
	s_mov_b32 s2, 0
.LBB224_2214:
	s_delay_alu instid0(SALU_CYCLE_1)
	s_and_b32 vcc_lo, exec_lo, s2
	s_mov_b32 s2, 0
	s_cbranch_vccz .LBB224_2216
; %bb.2215:
	v_cmp_ne_u16_e64 s0, 11, v23
	s_mov_b32 s2, -1
.LBB224_2216:
	s_delay_alu instid0(VALU_DEP_1)
	s_and_b32 vcc_lo, exec_lo, s0
	s_cbranch_vccnz .LBB224_2361
; %bb.2217:
	s_and_not1_b32 vcc_lo, exec_lo, s2
	s_cbranch_vccnz .LBB224_2219
.LBB224_2218:
	v_cmp_neq_f64_e32 vcc_lo, 0, v[4:5]
	v_cmp_neq_f64_e64 s0, 0, v[12:13]
	s_mov_b32 s3, -1
	s_delay_alu instid0(VALU_DEP_1) | instskip(NEXT) | instid1(SALU_CYCLE_1)
	s_or_b32 s0, vcc_lo, s0
	v_cndmask_b32_e64 v3, 0, 1, s0
	global_store_b8 v[0:1], v3, off
.LBB224_2219:
	s_mov_b32 s0, 0
	s_branch .LBB224_2221
.LBB224_2220:
	s_mov_b32 s0, -1
	s_mov_b32 s3, 0
.LBB224_2221:
	s_and_b32 vcc_lo, exec_lo, s0
	s_cbranch_vccz .LBB224_2260
; %bb.2222:
	v_cmp_gt_i16_e32 vcc_lo, 5, v23
	s_mov_b32 s0, -1
	s_cbranch_vccnz .LBB224_2243
; %bb.2223:
	v_cmp_gt_i16_e32 vcc_lo, 8, v23
	s_cbranch_vccnz .LBB224_2233
; %bb.2224:
	v_cmp_gt_i16_e32 vcc_lo, 9, v23
	s_cbranch_vccnz .LBB224_2230
; %bb.2225:
	v_cmp_lt_i16_e32 vcc_lo, 9, v23
	s_cbranch_vccz .LBB224_2227
; %bb.2226:
	v_dual_mov_b32 v6, v12 :: v_dual_mov_b32 v7, v13
	s_mov_b32 s0, 0
	global_store_b128 v[0:1], v[4:7], off
.LBB224_2227:
	s_and_not1_b32 vcc_lo, exec_lo, s0
	s_cbranch_vccnz .LBB224_2229
; %bb.2228:
	v_cvt_f32_f64_e32 v6, v[4:5]
	v_cvt_f32_f64_e32 v7, v[12:13]
	global_store_b64 v[0:1], v[6:7], off
.LBB224_2229:
	s_mov_b32 s0, 0
.LBB224_2230:
	s_delay_alu instid0(SALU_CYCLE_1)
	s_and_not1_b32 vcc_lo, exec_lo, s0
	s_cbranch_vccnz .LBB224_2232
; %bb.2231:
	v_cvt_f32_f64_e32 v3, v[12:13]
	v_cvt_f32_f64_e32 v6, v[4:5]
	s_delay_alu instid0(VALU_DEP_2) | instskip(NEXT) | instid1(VALU_DEP_2)
	v_cvt_f16_f32_e32 v3, v3
	v_cvt_f16_f32_e32 v6, v6
	s_delay_alu instid0(VALU_DEP_2) | instskip(NEXT) | instid1(VALU_DEP_2)
	v_lshlrev_b32_e32 v3, 16, v3
	v_and_b32_e32 v6, 0xffff, v6
	s_delay_alu instid0(VALU_DEP_1)
	v_or_b32_e32 v3, v3, v6
	global_store_b32 v[0:1], v3, off
.LBB224_2232:
	s_mov_b32 s0, 0
.LBB224_2233:
	s_delay_alu instid0(SALU_CYCLE_1)
	s_and_not1_b32 vcc_lo, exec_lo, s0
	s_cbranch_vccnz .LBB224_2242
; %bb.2234:
	v_cmp_gt_i16_e32 vcc_lo, 6, v23
	s_mov_b32 s0, -1
	s_cbranch_vccnz .LBB224_2240
; %bb.2235:
	v_cmp_lt_i16_e32 vcc_lo, 6, v23
	s_cbranch_vccz .LBB224_2237
; %bb.2236:
	s_mov_b32 s0, 0
	global_store_b64 v[0:1], v[4:5], off
.LBB224_2237:
	s_and_not1_b32 vcc_lo, exec_lo, s0
	s_cbranch_vccnz .LBB224_2239
; %bb.2238:
	v_cvt_f32_f64_e32 v3, v[4:5]
	global_store_b32 v[0:1], v3, off
.LBB224_2239:
	s_mov_b32 s0, 0
.LBB224_2240:
	s_delay_alu instid0(SALU_CYCLE_1)
	s_and_not1_b32 vcc_lo, exec_lo, s0
	s_cbranch_vccnz .LBB224_2242
; %bb.2241:
	v_cvt_f32_f64_e32 v3, v[4:5]
	s_delay_alu instid0(VALU_DEP_1)
	v_cvt_f16_f32_e32 v3, v3
	global_store_b16 v[0:1], v3, off
.LBB224_2242:
	s_mov_b32 s0, 0
.LBB224_2243:
	s_delay_alu instid0(SALU_CYCLE_1)
	s_and_not1_b32 vcc_lo, exec_lo, s0
	s_cbranch_vccnz .LBB224_2259
; %bb.2244:
	v_cmp_gt_i16_e32 vcc_lo, 2, v23
	s_mov_b32 s0, -1
	s_cbranch_vccnz .LBB224_2254
; %bb.2245:
	v_cmp_gt_i16_e32 vcc_lo, 3, v23
	s_cbranch_vccnz .LBB224_2251
; %bb.2246:
	v_cmp_lt_i16_e32 vcc_lo, 3, v23
	s_cbranch_vccz .LBB224_2248
; %bb.2247:
	v_trunc_f64_e32 v[6:7], v[4:5]
	s_mov_b32 s0, 0
	s_delay_alu instid0(VALU_DEP_1) | instskip(NEXT) | instid1(VALU_DEP_1)
	v_ldexp_f64 v[8:9], v[6:7], 0xffffffe0
	v_floor_f64_e32 v[8:9], v[8:9]
	s_delay_alu instid0(VALU_DEP_1) | instskip(SKIP_1) | instid1(VALU_DEP_2)
	v_fma_f64 v[6:7], 0xc1f00000, v[8:9], v[6:7]
	v_cvt_i32_f64_e32 v8, v[8:9]
	v_cvt_u32_f64_e32 v7, v[6:7]
	global_store_b64 v[0:1], v[7:8], off
.LBB224_2248:
	s_and_not1_b32 vcc_lo, exec_lo, s0
	s_cbranch_vccnz .LBB224_2250
; %bb.2249:
	v_cvt_i32_f64_e32 v3, v[4:5]
	global_store_b32 v[0:1], v3, off
.LBB224_2250:
	s_mov_b32 s0, 0
.LBB224_2251:
	s_delay_alu instid0(SALU_CYCLE_1)
	s_and_not1_b32 vcc_lo, exec_lo, s0
	s_cbranch_vccnz .LBB224_2253
; %bb.2252:
	v_cvt_i32_f64_e32 v3, v[4:5]
	global_store_b16 v[0:1], v3, off
.LBB224_2253:
	s_mov_b32 s0, 0
.LBB224_2254:
	s_delay_alu instid0(SALU_CYCLE_1)
	s_and_not1_b32 vcc_lo, exec_lo, s0
	s_cbranch_vccnz .LBB224_2259
; %bb.2255:
	v_cmp_lt_i16_e32 vcc_lo, 0, v23
	s_mov_b32 s0, -1
	s_cbranch_vccz .LBB224_2257
; %bb.2256:
	v_cvt_i32_f64_e32 v3, v[4:5]
	s_mov_b32 s0, 0
	global_store_b8 v[0:1], v3, off
.LBB224_2257:
	s_and_not1_b32 vcc_lo, exec_lo, s0
	s_cbranch_vccnz .LBB224_2259
; %bb.2258:
	v_trunc_f64_e32 v[3:4], v[4:5]
	s_delay_alu instid0(VALU_DEP_1) | instskip(NEXT) | instid1(VALU_DEP_1)
	v_ldexp_f64 v[5:6], v[3:4], 0xffffffe0
	v_floor_f64_e32 v[5:6], v[5:6]
	s_delay_alu instid0(VALU_DEP_1) | instskip(NEXT) | instid1(VALU_DEP_1)
	v_fma_f64 v[3:4], 0xc1f00000, v[5:6], v[3:4]
	v_cvt_u32_f64_e32 v3, v[3:4]
	global_store_b8 v[0:1], v3, off
.LBB224_2259:
	s_mov_b32 s3, -1
.LBB224_2260:
	s_delay_alu instid0(SALU_CYCLE_1)
	s_and_not1_b32 vcc_lo, exec_lo, s3
	s_cbranch_vccnz .LBB224_2337
; %bb.2261:
	v_add_nc_u32_e32 v0, s1, v2
	v_cmp_gt_i16_e32 vcc_lo, 11, v23
	s_delay_alu instid0(VALU_DEP_2) | instskip(SKIP_1) | instid1(VALU_DEP_1)
	v_ashrrev_i32_e32 v1, 31, v0
	v_add_co_u32 v0, s0, s4, v0
	v_add_co_ci_u32_e64 v1, s0, s5, v1, s0
	s_cbranch_vccnz .LBB224_2338
; %bb.2262:
	v_cmp_lt_i16_e32 vcc_lo, 25, v23
	s_mov_b32 s2, -1
	s_mov_b32 s1, 0
	s_mov_b32 s0, 0
	s_cbranch_vccz .LBB224_2295
; %bb.2263:
	v_cmp_lt_i16_e32 vcc_lo, 28, v23
	s_cbranch_vccz .LBB224_2279
; %bb.2264:
	v_cmp_lt_i16_e32 vcc_lo, 43, v23
	;; [unrolled: 3-line block ×3, first 2 shown]
	s_cbranch_vccz .LBB224_2269
; %bb.2266:
	v_cmp_eq_u16_e32 vcc_lo, 46, v23
	s_mov_b32 s0, -1
	s_cbranch_vccz .LBB224_2268
; %bb.2267:
	v_cvt_f32_f64_e32 v2, v[16:17]
	v_cvt_f32_f64_e32 v3, v[18:19]
	s_mov_b32 s0, 0
	s_delay_alu instid0(VALU_DEP_2) | instskip(NEXT) | instid1(VALU_DEP_2)
	v_bfe_u32 v4, v2, 16, 1
	v_bfe_u32 v5, v3, 16, 1
	v_cmp_o_f32_e32 vcc_lo, v2, v2
	s_delay_alu instid0(VALU_DEP_3) | instskip(NEXT) | instid1(VALU_DEP_3)
	v_add3_u32 v4, v2, v4, 0x7fff
	v_add3_u32 v5, v3, v5, 0x7fff
	s_delay_alu instid0(VALU_DEP_2) | instskip(NEXT) | instid1(VALU_DEP_2)
	v_and_b32_e32 v4, 0xffff0000, v4
	v_lshrrev_b32_e32 v5, 16, v5
	s_delay_alu instid0(VALU_DEP_2) | instskip(SKIP_1) | instid1(VALU_DEP_3)
	v_cndmask_b32_e32 v2, 0x7fc00000, v4, vcc_lo
	v_cmp_o_f32_e32 vcc_lo, v3, v3
	v_cndmask_b32_e32 v3, 0x7fc0, v5, vcc_lo
	s_delay_alu instid0(VALU_DEP_1)
	v_or_b32_e32 v2, v2, v3
	global_store_b32 v[0:1], v2, off
.LBB224_2268:
	s_mov_b32 s2, 0
.LBB224_2269:
	s_delay_alu instid0(SALU_CYCLE_1)
	s_and_b32 vcc_lo, exec_lo, s2
	s_cbranch_vccz .LBB224_2274
; %bb.2270:
	v_cmp_eq_u16_e32 vcc_lo, 44, v23
	s_mov_b32 s0, -1
	s_cbranch_vccz .LBB224_2274
; %bb.2271:
	v_cvt_f32_f64_e32 v2, v[18:19]
	v_mov_b32_e32 v3, 0xff
	s_mov_b32 s2, exec_lo
	s_delay_alu instid0(VALU_DEP_2) | instskip(NEXT) | instid1(VALU_DEP_1)
	v_bfe_u32 v4, v2, 23, 8
	v_cmpx_ne_u32_e32 0xff, v4
; %bb.2272:
	v_and_b32_e32 v3, 0x400000, v2
	v_and_or_b32 v4, 0x3fffff, v2, v4
	v_lshrrev_b32_e32 v2, 23, v2
	s_delay_alu instid0(VALU_DEP_3) | instskip(NEXT) | instid1(VALU_DEP_3)
	v_cmp_ne_u32_e32 vcc_lo, 0, v3
	v_cmp_ne_u32_e64 s0, 0, v4
	s_delay_alu instid0(VALU_DEP_1) | instskip(NEXT) | instid1(SALU_CYCLE_1)
	s_and_b32 s0, vcc_lo, s0
	v_cndmask_b32_e64 v3, 0, 1, s0
	s_delay_alu instid0(VALU_DEP_1)
	v_add_nc_u32_e32 v3, v2, v3
; %bb.2273:
	s_or_b32 exec_lo, exec_lo, s2
	s_mov_b32 s0, 0
	global_store_b8 v[0:1], v3, off
.LBB224_2274:
	s_mov_b32 s2, 0
.LBB224_2275:
	s_delay_alu instid0(SALU_CYCLE_1)
	s_and_b32 vcc_lo, exec_lo, s2
	s_cbranch_vccz .LBB224_2278
; %bb.2276:
	v_cmp_eq_u16_e32 vcc_lo, 29, v23
	s_mov_b32 s0, -1
	s_cbranch_vccz .LBB224_2278
; %bb.2277:
	v_trunc_f64_e32 v[2:3], v[18:19]
	s_mov_b32 s0, 0
	s_delay_alu instid0(VALU_DEP_1) | instskip(NEXT) | instid1(VALU_DEP_1)
	v_ldexp_f64 v[4:5], v[2:3], 0xffffffe0
	v_floor_f64_e32 v[4:5], v[4:5]
	s_delay_alu instid0(VALU_DEP_1) | instskip(SKIP_1) | instid1(VALU_DEP_2)
	v_fma_f64 v[2:3], 0xc1f00000, v[4:5], v[2:3]
	v_cvt_u32_f64_e32 v4, v[4:5]
	v_cvt_u32_f64_e32 v3, v[2:3]
	global_store_b64 v[0:1], v[3:4], off
.LBB224_2278:
	s_mov_b32 s2, 0
.LBB224_2279:
	s_delay_alu instid0(SALU_CYCLE_1)
	s_and_b32 vcc_lo, exec_lo, s2
	s_cbranch_vccz .LBB224_2294
; %bb.2280:
	v_cmp_gt_i16_e32 vcc_lo, 27, v23
	s_mov_b32 s2, -1
	s_cbranch_vccnz .LBB224_2286
; %bb.2281:
	v_cvt_u32_f64_e32 v2, v[18:19]
	v_cmp_lt_i16_e32 vcc_lo, 27, v23
	s_cbranch_vccz .LBB224_2283
; %bb.2282:
	s_mov_b32 s2, 0
	global_store_b32 v[0:1], v2, off
.LBB224_2283:
	s_and_not1_b32 vcc_lo, exec_lo, s2
	s_cbranch_vccnz .LBB224_2285
; %bb.2284:
	global_store_b16 v[0:1], v2, off
.LBB224_2285:
	s_mov_b32 s2, 0
.LBB224_2286:
	s_delay_alu instid0(SALU_CYCLE_1)
	s_and_not1_b32 vcc_lo, exec_lo, s2
	s_cbranch_vccnz .LBB224_2294
; %bb.2287:
	v_cvt_f32_f64_e32 v2, v[18:19]
	v_mov_b32_e32 v4, 0x80
	s_mov_b32 s2, exec_lo
	s_delay_alu instid0(VALU_DEP_2) | instskip(NEXT) | instid1(VALU_DEP_1)
	v_and_b32_e32 v3, 0x7fffffff, v2
	v_cmpx_gt_u32_e32 0x43800000, v3
	s_cbranch_execz .LBB224_2293
; %bb.2288:
	v_cmp_lt_u32_e32 vcc_lo, 0x3bffffff, v3
	s_mov_b32 s3, 0
                                        ; implicit-def: $vgpr3
	s_and_saveexec_b32 s4, vcc_lo
	s_delay_alu instid0(SALU_CYCLE_1)
	s_xor_b32 s4, exec_lo, s4
	s_cbranch_execz .LBB224_2365
; %bb.2289:
	v_bfe_u32 v3, v2, 20, 1
	s_mov_b32 s3, exec_lo
	s_delay_alu instid0(VALU_DEP_1) | instskip(NEXT) | instid1(VALU_DEP_1)
	v_add3_u32 v3, v2, v3, 0x487ffff
	v_lshrrev_b32_e32 v3, 20, v3
	s_or_saveexec_b32 s4, s4
                                        ; implicit-def: $sgpr5
	s_delay_alu instid0(SALU_CYCLE_1)
	s_xor_b32 exec_lo, exec_lo, s4
	s_cbranch_execnz .LBB224_2366
.LBB224_2290:
	s_or_b32 exec_lo, exec_lo, s4
	v_mov_b32_e32 v4, s5
	s_and_saveexec_b32 s4, s3
.LBB224_2291:
	v_lshrrev_b32_e32 v2, 24, v2
	s_delay_alu instid0(VALU_DEP_1)
	v_and_or_b32 v4, 0x80, v2, v3
.LBB224_2292:
	s_or_b32 exec_lo, exec_lo, s4
.LBB224_2293:
	s_delay_alu instid0(SALU_CYCLE_1)
	s_or_b32 exec_lo, exec_lo, s2
	global_store_b8 v[0:1], v4, off
.LBB224_2294:
	s_mov_b32 s2, 0
.LBB224_2295:
	s_delay_alu instid0(SALU_CYCLE_1)
	s_and_b32 vcc_lo, exec_lo, s2
	s_cbranch_vccz .LBB224_2335
; %bb.2296:
	v_cmp_lt_i16_e32 vcc_lo, 22, v23
	s_mov_b32 s1, -1
	s_cbranch_vccz .LBB224_2328
; %bb.2297:
	v_cmp_gt_i16_e32 vcc_lo, 24, v23
	s_cbranch_vccnz .LBB224_2317
; %bb.2298:
	v_cmp_lt_i16_e32 vcc_lo, 24, v23
	s_cbranch_vccz .LBB224_2306
; %bb.2299:
	v_cvt_f32_f64_e32 v2, v[18:19]
	v_mov_b32_e32 v4, 0x80
	s_mov_b32 s1, exec_lo
	s_delay_alu instid0(VALU_DEP_2) | instskip(NEXT) | instid1(VALU_DEP_1)
	v_and_b32_e32 v3, 0x7fffffff, v2
	v_cmpx_gt_u32_e32 0x47800000, v3
	s_cbranch_execz .LBB224_2305
; %bb.2300:
	v_cmp_lt_u32_e32 vcc_lo, 0x37ffffff, v3
	s_mov_b32 s2, 0
                                        ; implicit-def: $vgpr3
	s_and_saveexec_b32 s3, vcc_lo
	s_delay_alu instid0(SALU_CYCLE_1)
	s_xor_b32 s3, exec_lo, s3
	s_cbranch_execz .LBB224_2371
; %bb.2301:
	v_bfe_u32 v3, v2, 21, 1
	s_mov_b32 s2, exec_lo
	s_delay_alu instid0(VALU_DEP_1) | instskip(NEXT) | instid1(VALU_DEP_1)
	v_add3_u32 v3, v2, v3, 0x88fffff
	v_lshrrev_b32_e32 v3, 21, v3
	s_or_saveexec_b32 s3, s3
                                        ; implicit-def: $sgpr4
	s_delay_alu instid0(SALU_CYCLE_1)
	s_xor_b32 exec_lo, exec_lo, s3
	s_cbranch_execnz .LBB224_2372
.LBB224_2302:
	s_or_b32 exec_lo, exec_lo, s3
	v_mov_b32_e32 v4, s4
	s_and_saveexec_b32 s3, s2
.LBB224_2303:
	v_lshrrev_b32_e32 v2, 24, v2
	s_delay_alu instid0(VALU_DEP_1)
	v_and_or_b32 v4, 0x80, v2, v3
.LBB224_2304:
	s_or_b32 exec_lo, exec_lo, s3
.LBB224_2305:
	s_delay_alu instid0(SALU_CYCLE_1)
	s_or_b32 exec_lo, exec_lo, s1
	s_mov_b32 s1, 0
	global_store_b8 v[0:1], v4, off
.LBB224_2306:
	s_and_b32 vcc_lo, exec_lo, s1
	s_cbranch_vccz .LBB224_2316
; %bb.2307:
	v_cvt_f32_f64_e32 v2, v[18:19]
	s_mov_b32 s1, exec_lo
                                        ; implicit-def: $vgpr3
	s_delay_alu instid0(VALU_DEP_1) | instskip(NEXT) | instid1(VALU_DEP_1)
	v_and_b32_e32 v4, 0x7fffffff, v2
	v_cmpx_gt_u32_e32 0x43f00000, v4
	s_xor_b32 s1, exec_lo, s1
	s_cbranch_execz .LBB224_2313
; %bb.2308:
	s_mov_b32 s2, exec_lo
                                        ; implicit-def: $vgpr3
	v_cmpx_lt_u32_e32 0x3c7fffff, v4
	s_xor_b32 s2, exec_lo, s2
; %bb.2309:
	v_bfe_u32 v3, v2, 20, 1
	s_delay_alu instid0(VALU_DEP_1) | instskip(NEXT) | instid1(VALU_DEP_1)
	v_add3_u32 v3, v2, v3, 0x407ffff
	v_and_b32_e32 v4, 0xff00000, v3
	v_lshrrev_b32_e32 v3, 20, v3
	s_delay_alu instid0(VALU_DEP_2) | instskip(NEXT) | instid1(VALU_DEP_2)
	v_cmp_ne_u32_e32 vcc_lo, 0x7f00000, v4
	v_cndmask_b32_e32 v3, 0x7e, v3, vcc_lo
; %bb.2310:
	s_and_not1_saveexec_b32 s2, s2
; %bb.2311:
	v_add_f32_e64 v3, 0x46800000, |v2|
; %bb.2312:
	s_or_b32 exec_lo, exec_lo, s2
                                        ; implicit-def: $vgpr4
.LBB224_2313:
	s_and_not1_saveexec_b32 s1, s1
; %bb.2314:
	v_mov_b32_e32 v3, 0x7f
	v_cmp_lt_u32_e32 vcc_lo, 0x7f800000, v4
	s_delay_alu instid0(VALU_DEP_2)
	v_cndmask_b32_e32 v3, 0x7e, v3, vcc_lo
; %bb.2315:
	s_or_b32 exec_lo, exec_lo, s1
	v_lshrrev_b32_e32 v2, 24, v2
	s_delay_alu instid0(VALU_DEP_1)
	v_and_or_b32 v2, 0x80, v2, v3
	global_store_b8 v[0:1], v2, off
.LBB224_2316:
	s_mov_b32 s1, 0
.LBB224_2317:
	s_delay_alu instid0(SALU_CYCLE_1)
	s_and_not1_b32 vcc_lo, exec_lo, s1
	s_cbranch_vccnz .LBB224_2327
; %bb.2318:
	v_cvt_f32_f64_e32 v2, v[18:19]
	s_mov_b32 s1, exec_lo
                                        ; implicit-def: $vgpr3
	s_delay_alu instid0(VALU_DEP_1) | instskip(NEXT) | instid1(VALU_DEP_1)
	v_and_b32_e32 v4, 0x7fffffff, v2
	v_cmpx_gt_u32_e32 0x47800000, v4
	s_xor_b32 s1, exec_lo, s1
	s_cbranch_execz .LBB224_2324
; %bb.2319:
	s_mov_b32 s2, exec_lo
                                        ; implicit-def: $vgpr3
	v_cmpx_lt_u32_e32 0x387fffff, v4
	s_xor_b32 s2, exec_lo, s2
; %bb.2320:
	v_bfe_u32 v3, v2, 21, 1
	s_delay_alu instid0(VALU_DEP_1) | instskip(NEXT) | instid1(VALU_DEP_1)
	v_add3_u32 v3, v2, v3, 0x80fffff
	v_lshrrev_b32_e32 v3, 21, v3
; %bb.2321:
	s_and_not1_saveexec_b32 s2, s2
; %bb.2322:
	v_add_f32_e64 v3, 0x43000000, |v2|
; %bb.2323:
	s_or_b32 exec_lo, exec_lo, s2
                                        ; implicit-def: $vgpr4
.LBB224_2324:
	s_and_not1_saveexec_b32 s1, s1
; %bb.2325:
	v_mov_b32_e32 v3, 0x7f
	v_cmp_lt_u32_e32 vcc_lo, 0x7f800000, v4
	s_delay_alu instid0(VALU_DEP_2)
	v_cndmask_b32_e32 v3, 0x7c, v3, vcc_lo
; %bb.2326:
	s_or_b32 exec_lo, exec_lo, s1
	v_lshrrev_b32_e32 v2, 24, v2
	s_delay_alu instid0(VALU_DEP_1)
	v_and_or_b32 v2, 0x80, v2, v3
	global_store_b8 v[0:1], v2, off
.LBB224_2327:
	s_mov_b32 s1, 0
.LBB224_2328:
	s_delay_alu instid0(SALU_CYCLE_1)
	s_and_not1_b32 vcc_lo, exec_lo, s1
	s_mov_b32 s1, 0
	s_cbranch_vccnz .LBB224_2335
; %bb.2329:
	v_cmp_lt_i16_e32 vcc_lo, 14, v23
	s_mov_b32 s1, -1
	s_cbranch_vccz .LBB224_2333
; %bb.2330:
	v_cmp_eq_u16_e32 vcc_lo, 15, v23
	s_mov_b32 s0, -1
	s_cbranch_vccz .LBB224_2332
; %bb.2331:
	v_cvt_f32_f64_e32 v2, v[18:19]
	s_mov_b32 s0, 0
	s_delay_alu instid0(VALU_DEP_1) | instskip(SKIP_1) | instid1(VALU_DEP_2)
	v_bfe_u32 v3, v2, 16, 1
	v_cmp_o_f32_e32 vcc_lo, v2, v2
	v_add3_u32 v3, v2, v3, 0x7fff
	s_delay_alu instid0(VALU_DEP_1) | instskip(NEXT) | instid1(VALU_DEP_1)
	v_lshrrev_b32_e32 v3, 16, v3
	v_cndmask_b32_e32 v2, 0x7fc0, v3, vcc_lo
	global_store_b16 v[0:1], v2, off
.LBB224_2332:
	s_mov_b32 s1, 0
.LBB224_2333:
	s_delay_alu instid0(SALU_CYCLE_1)
	s_and_b32 vcc_lo, exec_lo, s1
	s_mov_b32 s1, 0
	s_cbranch_vccz .LBB224_2335
; %bb.2334:
	v_cmp_ne_u16_e64 s0, 11, v23
	s_mov_b32 s1, -1
.LBB224_2335:
	s_delay_alu instid0(VALU_DEP_1)
	s_and_b32 vcc_lo, exec_lo, s0
	s_cbranch_vccnz .LBB224_2369
.LBB224_2336:
	s_mov_b32 s0, 0
	s_branch .LBB224_1844
.LBB224_2337:
	s_mov_b32 s0, 0
	s_mov_b32 s1, 0
                                        ; implicit-def: $vgpr23
                                        ; implicit-def: $vgpr0_vgpr1
	s_branch .LBB224_1844
.LBB224_2338:
	s_mov_b32 s1, 0
	s_mov_b32 s0, -1
	s_branch .LBB224_1844
.LBB224_2339:
	s_cbranch_execnz .LBB224_2343
; %bb.2340:
	s_or_b32 s10, s10, exec_lo
                                        ; implicit-def: $vgpr16_vgpr17
	s_cbranch_execz .LBB224_1773
	s_branch .LBB224_1774
.LBB224_2341:
	s_or_saveexec_b32 s7, s7
                                        ; implicit-def: $sgpr8
	s_delay_alu instid0(SALU_CYCLE_1)
	s_xor_b32 exec_lo, exec_lo, s7
	s_cbranch_execz .LBB224_1932
.LBB224_2342:
	v_add_f32_e64 v11, 0x46000000, |v10|
	s_and_not1_b32 s6, s6, exec_lo
	s_mov_b32 s8, 0
	s_delay_alu instid0(VALU_DEP_1) | instskip(NEXT) | instid1(VALU_DEP_1)
	v_and_b32_e32 v11, 0xff, v11
	v_cmp_ne_u32_e32 vcc_lo, 0, v11
	s_and_b32 s9, vcc_lo, exec_lo
	s_delay_alu instid0(SALU_CYCLE_1)
	s_or_b32 s6, s6, s9
	s_or_b32 exec_lo, exec_lo, s7
	v_mov_b32_e32 v20, s8
	s_and_saveexec_b32 s7, s6
	s_cbranch_execnz .LBB224_1933
	s_branch .LBB224_1934
.LBB224_2343:
	s_trap 2
	s_sendmsg_rtn_b32 s0, sendmsg(MSG_RTN_GET_DOORBELL)
	s_mov_b32 ttmp2, m0
	s_waitcnt lgkmcnt(0)
	s_and_b32 s0, s0, 0x3ff
	s_delay_alu instid0(SALU_CYCLE_1) | instskip(NEXT) | instid1(SALU_CYCLE_1)
	s_bitset1_b32 s0, 10
	s_mov_b32 m0, s0
	s_sendmsg sendmsg(MSG_INTERRUPT)
	s_mov_b32 m0, ttmp2
.LBB224_2344:                           ; =>This Inner Loop Header: Depth=1
	s_sethalt 5
	s_branch .LBB224_2344
.LBB224_2345:
	s_cbranch_execnz .LBB224_2351
; %bb.2346:
	s_or_b32 s10, s10, exec_lo
	s_cbranch_execz .LBB224_1980
	s_branch .LBB224_1981
.LBB224_2347:
	s_or_saveexec_b32 s6, s6
                                        ; implicit-def: $sgpr7
	s_delay_alu instid0(SALU_CYCLE_1)
	s_xor_b32 exec_lo, exec_lo, s6
	s_cbranch_execz .LBB224_1945
.LBB224_2348:
	v_add_f32_e64 v11, 0x42800000, |v10|
	s_and_not1_b32 s3, s3, exec_lo
	s_mov_b32 s7, 0
	s_delay_alu instid0(VALU_DEP_1) | instskip(NEXT) | instid1(VALU_DEP_1)
	v_and_b32_e32 v11, 0xff, v11
	v_cmp_ne_u32_e32 vcc_lo, 0, v11
	s_and_b32 s8, vcc_lo, exec_lo
	s_delay_alu instid0(SALU_CYCLE_1)
	s_or_b32 s3, s3, s8
	s_or_b32 exec_lo, exec_lo, s6
	v_mov_b32_e32 v20, s7
	s_and_saveexec_b32 s6, s3
	s_cbranch_execnz .LBB224_1946
	s_branch .LBB224_1947
.LBB224_2349:
	s_or_saveexec_b32 s7, s7
                                        ; implicit-def: $sgpr8
	s_delay_alu instid0(SALU_CYCLE_1)
	s_xor_b32 exec_lo, exec_lo, s7
	s_cbranch_execz .LBB224_2051
.LBB224_2350:
	v_add_f32_e64 v3, 0x46000000, |v2|
	s_and_not1_b32 s6, s6, exec_lo
	s_mov_b32 s8, 0
	s_delay_alu instid0(VALU_DEP_1) | instskip(NEXT) | instid1(VALU_DEP_1)
	v_and_b32_e32 v3, 0xff, v3
	v_cmp_ne_u32_e32 vcc_lo, 0, v3
	s_and_b32 s9, vcc_lo, exec_lo
	s_delay_alu instid0(SALU_CYCLE_1)
	s_or_b32 s6, s6, s9
	s_or_b32 exec_lo, exec_lo, s7
	v_mov_b32_e32 v11, s8
	s_and_saveexec_b32 s7, s6
	s_cbranch_execnz .LBB224_2052
	s_branch .LBB224_2053
.LBB224_2351:
	s_trap 2
	s_sendmsg_rtn_b32 s0, sendmsg(MSG_RTN_GET_DOORBELL)
	s_mov_b32 ttmp2, m0
	s_waitcnt lgkmcnt(0)
	s_and_b32 s0, s0, 0x3ff
	s_delay_alu instid0(SALU_CYCLE_1) | instskip(NEXT) | instid1(SALU_CYCLE_1)
	s_bitset1_b32 s0, 10
	s_mov_b32 m0, s0
	s_sendmsg sendmsg(MSG_INTERRUPT)
	s_mov_b32 m0, ttmp2
.LBB224_2352:                           ; =>This Inner Loop Header: Depth=1
	s_sethalt 5
	s_branch .LBB224_2352
.LBB224_2353:
	s_cbranch_execnz .LBB224_2359
; %bb.2354:
	s_or_b32 s10, s10, exec_lo
	s_cbranch_execz .LBB224_2099
	s_branch .LBB224_2100
.LBB224_2355:
	s_or_saveexec_b32 s6, s6
                                        ; implicit-def: $sgpr7
	s_delay_alu instid0(SALU_CYCLE_1)
	s_xor_b32 exec_lo, exec_lo, s6
	s_cbranch_execz .LBB224_2064
.LBB224_2356:
	v_add_f32_e64 v3, 0x42800000, |v2|
	s_and_not1_b32 s3, s3, exec_lo
	s_mov_b32 s7, 0
	s_delay_alu instid0(VALU_DEP_1) | instskip(NEXT) | instid1(VALU_DEP_1)
	v_and_b32_e32 v3, 0xff, v3
	v_cmp_ne_u32_e32 vcc_lo, 0, v3
	s_and_b32 s8, vcc_lo, exec_lo
	s_delay_alu instid0(SALU_CYCLE_1)
	s_or_b32 s3, s3, s8
	s_or_b32 exec_lo, exec_lo, s6
	v_mov_b32_e32 v11, s7
	s_and_saveexec_b32 s6, s3
	s_cbranch_execnz .LBB224_2065
	s_branch .LBB224_2066
.LBB224_2357:
	s_or_saveexec_b32 s7, s7
                                        ; implicit-def: $sgpr8
	s_delay_alu instid0(SALU_CYCLE_1)
	s_xor_b32 exec_lo, exec_lo, s7
	s_cbranch_execz .LBB224_2170
.LBB224_2358:
	v_add_f32_e64 v6, 0x46000000, |v3|
	s_and_not1_b32 s6, s6, exec_lo
	s_mov_b32 s8, 0
	s_delay_alu instid0(VALU_DEP_1) | instskip(NEXT) | instid1(VALU_DEP_1)
	v_and_b32_e32 v6, 0xff, v6
	v_cmp_ne_u32_e32 vcc_lo, 0, v6
	s_and_b32 s9, vcc_lo, exec_lo
	s_delay_alu instid0(SALU_CYCLE_1)
	s_or_b32 s6, s6, s9
	s_or_b32 exec_lo, exec_lo, s7
	v_mov_b32_e32 v7, s8
	s_and_saveexec_b32 s7, s6
	s_cbranch_execnz .LBB224_2171
	s_branch .LBB224_2172
.LBB224_2359:
	s_trap 2
	s_sendmsg_rtn_b32 s0, sendmsg(MSG_RTN_GET_DOORBELL)
	s_mov_b32 ttmp2, m0
	s_waitcnt lgkmcnt(0)
	s_and_b32 s0, s0, 0x3ff
	s_delay_alu instid0(SALU_CYCLE_1) | instskip(NEXT) | instid1(SALU_CYCLE_1)
	s_bitset1_b32 s0, 10
	s_mov_b32 m0, s0
	s_sendmsg sendmsg(MSG_INTERRUPT)
	s_mov_b32 m0, ttmp2
.LBB224_2360:                           ; =>This Inner Loop Header: Depth=1
	s_sethalt 5
	s_branch .LBB224_2360
.LBB224_2361:
	s_cbranch_execnz .LBB224_2367
; %bb.2362:
	s_or_b32 s10, s10, exec_lo
	s_cbranch_execz .LBB224_2218
	s_branch .LBB224_2219
.LBB224_2363:
	s_or_saveexec_b32 s6, s6
                                        ; implicit-def: $sgpr7
	s_delay_alu instid0(SALU_CYCLE_1)
	s_xor_b32 exec_lo, exec_lo, s6
	s_cbranch_execz .LBB224_2183
.LBB224_2364:
	v_add_f32_e64 v6, 0x42800000, |v3|
	s_and_not1_b32 s3, s3, exec_lo
	s_mov_b32 s7, 0
	s_delay_alu instid0(VALU_DEP_1) | instskip(NEXT) | instid1(VALU_DEP_1)
	v_and_b32_e32 v6, 0xff, v6
	v_cmp_ne_u32_e32 vcc_lo, 0, v6
	s_and_b32 s8, vcc_lo, exec_lo
	s_delay_alu instid0(SALU_CYCLE_1)
	s_or_b32 s3, s3, s8
	s_or_b32 exec_lo, exec_lo, s6
	v_mov_b32_e32 v7, s7
	s_and_saveexec_b32 s6, s3
	s_cbranch_execnz .LBB224_2184
	s_branch .LBB224_2185
.LBB224_2365:
	s_or_saveexec_b32 s4, s4
                                        ; implicit-def: $sgpr5
	s_delay_alu instid0(SALU_CYCLE_1)
	s_xor_b32 exec_lo, exec_lo, s4
	s_cbranch_execz .LBB224_2290
.LBB224_2366:
	v_add_f32_e64 v3, 0x46000000, |v2|
	s_and_not1_b32 s3, s3, exec_lo
	s_mov_b32 s5, 0
	s_delay_alu instid0(VALU_DEP_1) | instskip(NEXT) | instid1(VALU_DEP_1)
	v_and_b32_e32 v3, 0xff, v3
	v_cmp_ne_u32_e32 vcc_lo, 0, v3
	s_and_b32 s6, vcc_lo, exec_lo
	s_delay_alu instid0(SALU_CYCLE_1)
	s_or_b32 s3, s3, s6
	s_or_b32 exec_lo, exec_lo, s4
	v_mov_b32_e32 v4, s5
	s_and_saveexec_b32 s4, s3
	s_cbranch_execnz .LBB224_2291
	s_branch .LBB224_2292
.LBB224_2367:
	s_trap 2
	s_sendmsg_rtn_b32 s0, sendmsg(MSG_RTN_GET_DOORBELL)
	s_mov_b32 ttmp2, m0
	s_waitcnt lgkmcnt(0)
	s_and_b32 s0, s0, 0x3ff
	s_delay_alu instid0(SALU_CYCLE_1) | instskip(NEXT) | instid1(SALU_CYCLE_1)
	s_bitset1_b32 s0, 10
	s_mov_b32 m0, s0
	s_sendmsg sendmsg(MSG_INTERRUPT)
	s_mov_b32 m0, ttmp2
.LBB224_2368:                           ; =>This Inner Loop Header: Depth=1
	s_sethalt 5
	s_branch .LBB224_2368
.LBB224_2369:
	s_cbranch_execnz .LBB224_2373
; %bb.2370:
	s_mov_b32 s1, 0
	s_or_b32 s10, s10, exec_lo
	s_branch .LBB224_2336
.LBB224_2371:
	s_or_saveexec_b32 s3, s3
                                        ; implicit-def: $sgpr4
	s_delay_alu instid0(SALU_CYCLE_1)
	s_xor_b32 exec_lo, exec_lo, s3
	s_cbranch_execz .LBB224_2302
.LBB224_2372:
	v_add_f32_e64 v3, 0x42800000, |v2|
	s_and_not1_b32 s2, s2, exec_lo
	s_mov_b32 s4, 0
	s_delay_alu instid0(VALU_DEP_1) | instskip(NEXT) | instid1(VALU_DEP_1)
	v_and_b32_e32 v3, 0xff, v3
	v_cmp_ne_u32_e32 vcc_lo, 0, v3
	s_and_b32 s5, vcc_lo, exec_lo
	s_delay_alu instid0(SALU_CYCLE_1)
	s_or_b32 s2, s2, s5
	s_or_b32 exec_lo, exec_lo, s3
	v_mov_b32_e32 v4, s4
	s_and_saveexec_b32 s3, s2
	s_cbranch_execnz .LBB224_2303
	s_branch .LBB224_2304
.LBB224_2373:
	s_trap 2
	s_sendmsg_rtn_b32 s0, sendmsg(MSG_RTN_GET_DOORBELL)
	s_mov_b32 ttmp2, m0
	s_waitcnt lgkmcnt(0)
	s_and_b32 s0, s0, 0x3ff
	s_delay_alu instid0(SALU_CYCLE_1) | instskip(NEXT) | instid1(SALU_CYCLE_1)
	s_bitset1_b32 s0, 10
	s_mov_b32 m0, s0
	s_sendmsg sendmsg(MSG_INTERRUPT)
	s_mov_b32 m0, ttmp2
.LBB224_2374:                           ; =>This Inner Loop Header: Depth=1
	s_sethalt 5
	s_branch .LBB224_2374
	.section	.rodata,"a",@progbits
	.p2align	6, 0x0
	.amdhsa_kernel _ZN2at6native32elementwise_kernel_manual_unrollILi128ELi4EZNS0_15gpu_kernel_implIZZZNS0_16sqrt_kernel_cudaERNS_18TensorIteratorBaseEENKUlvE_clEvENKUlvE_clEvEUlN3c107complexIdEEE_EEvS4_RKT_EUlibE_EEviT1_
		.amdhsa_group_segment_fixed_size 0
		.amdhsa_private_segment_fixed_size 0
		.amdhsa_kernarg_size 40
		.amdhsa_user_sgpr_count 15
		.amdhsa_user_sgpr_dispatch_ptr 0
		.amdhsa_user_sgpr_queue_ptr 0
		.amdhsa_user_sgpr_kernarg_segment_ptr 1
		.amdhsa_user_sgpr_dispatch_id 0
		.amdhsa_user_sgpr_private_segment_size 0
		.amdhsa_wavefront_size32 1
		.amdhsa_uses_dynamic_stack 0
		.amdhsa_enable_private_segment 0
		.amdhsa_system_sgpr_workgroup_id_x 1
		.amdhsa_system_sgpr_workgroup_id_y 0
		.amdhsa_system_sgpr_workgroup_id_z 0
		.amdhsa_system_sgpr_workgroup_info 0
		.amdhsa_system_vgpr_workitem_id 0
		.amdhsa_next_free_vgpr 28
		.amdhsa_next_free_sgpr 27
		.amdhsa_reserve_vcc 1
		.amdhsa_float_round_mode_32 0
		.amdhsa_float_round_mode_16_64 0
		.amdhsa_float_denorm_mode_32 3
		.amdhsa_float_denorm_mode_16_64 3
		.amdhsa_dx10_clamp 1
		.amdhsa_ieee_mode 1
		.amdhsa_fp16_overflow 0
		.amdhsa_workgroup_processor_mode 1
		.amdhsa_memory_ordered 1
		.amdhsa_forward_progress 0
		.amdhsa_shared_vgpr_count 0
		.amdhsa_exception_fp_ieee_invalid_op 0
		.amdhsa_exception_fp_denorm_src 0
		.amdhsa_exception_fp_ieee_div_zero 0
		.amdhsa_exception_fp_ieee_overflow 0
		.amdhsa_exception_fp_ieee_underflow 0
		.amdhsa_exception_fp_ieee_inexact 0
		.amdhsa_exception_int_div_zero 0
	.end_amdhsa_kernel
	.section	.text._ZN2at6native32elementwise_kernel_manual_unrollILi128ELi4EZNS0_15gpu_kernel_implIZZZNS0_16sqrt_kernel_cudaERNS_18TensorIteratorBaseEENKUlvE_clEvENKUlvE_clEvEUlN3c107complexIdEEE_EEvS4_RKT_EUlibE_EEviT1_,"axG",@progbits,_ZN2at6native32elementwise_kernel_manual_unrollILi128ELi4EZNS0_15gpu_kernel_implIZZZNS0_16sqrt_kernel_cudaERNS_18TensorIteratorBaseEENKUlvE_clEvENKUlvE_clEvEUlN3c107complexIdEEE_EEvS4_RKT_EUlibE_EEviT1_,comdat
.Lfunc_end224:
	.size	_ZN2at6native32elementwise_kernel_manual_unrollILi128ELi4EZNS0_15gpu_kernel_implIZZZNS0_16sqrt_kernel_cudaERNS_18TensorIteratorBaseEENKUlvE_clEvENKUlvE_clEvEUlN3c107complexIdEEE_EEvS4_RKT_EUlibE_EEviT1_, .Lfunc_end224-_ZN2at6native32elementwise_kernel_manual_unrollILi128ELi4EZNS0_15gpu_kernel_implIZZZNS0_16sqrt_kernel_cudaERNS_18TensorIteratorBaseEENKUlvE_clEvENKUlvE_clEvEUlN3c107complexIdEEE_EEvS4_RKT_EUlibE_EEviT1_
                                        ; -- End function
	.section	.AMDGPU.csdata,"",@progbits
; Kernel info:
; codeLenInByte = 50396
; NumSgprs: 29
; NumVgprs: 28
; ScratchSize: 0
; MemoryBound: 1
; FloatMode: 240
; IeeeMode: 1
; LDSByteSize: 0 bytes/workgroup (compile time only)
; SGPRBlocks: 3
; VGPRBlocks: 3
; NumSGPRsForWavesPerEU: 29
; NumVGPRsForWavesPerEU: 28
; Occupancy: 16
; WaveLimiterHint : 0
; COMPUTE_PGM_RSRC2:SCRATCH_EN: 0
; COMPUTE_PGM_RSRC2:USER_SGPR: 15
; COMPUTE_PGM_RSRC2:TRAP_HANDLER: 0
; COMPUTE_PGM_RSRC2:TGID_X_EN: 1
; COMPUTE_PGM_RSRC2:TGID_Y_EN: 0
; COMPUTE_PGM_RSRC2:TGID_Z_EN: 0
; COMPUTE_PGM_RSRC2:TIDIG_COMP_CNT: 0
	.section	.text._ZN2at6native32elementwise_kernel_manual_unrollILi128ELi4EZNS0_15gpu_kernel_implIZZZNS0_16sqrt_kernel_cudaERNS_18TensorIteratorBaseEENKUlvE_clEvENKUlvE_clEvEUlN3c107complexIdEEE_EEvS4_RKT_EUlibE0_EEviT1_,"axG",@progbits,_ZN2at6native32elementwise_kernel_manual_unrollILi128ELi4EZNS0_15gpu_kernel_implIZZZNS0_16sqrt_kernel_cudaERNS_18TensorIteratorBaseEENKUlvE_clEvENKUlvE_clEvEUlN3c107complexIdEEE_EEvS4_RKT_EUlibE0_EEviT1_,comdat
	.globl	_ZN2at6native32elementwise_kernel_manual_unrollILi128ELi4EZNS0_15gpu_kernel_implIZZZNS0_16sqrt_kernel_cudaERNS_18TensorIteratorBaseEENKUlvE_clEvENKUlvE_clEvEUlN3c107complexIdEEE_EEvS4_RKT_EUlibE0_EEviT1_ ; -- Begin function _ZN2at6native32elementwise_kernel_manual_unrollILi128ELi4EZNS0_15gpu_kernel_implIZZZNS0_16sqrt_kernel_cudaERNS_18TensorIteratorBaseEENKUlvE_clEvENKUlvE_clEvEUlN3c107complexIdEEE_EEvS4_RKT_EUlibE0_EEviT1_
	.p2align	8
	.type	_ZN2at6native32elementwise_kernel_manual_unrollILi128ELi4EZNS0_15gpu_kernel_implIZZZNS0_16sqrt_kernel_cudaERNS_18TensorIteratorBaseEENKUlvE_clEvENKUlvE_clEvEUlN3c107complexIdEEE_EEvS4_RKT_EUlibE0_EEviT1_,@function
_ZN2at6native32elementwise_kernel_manual_unrollILi128ELi4EZNS0_15gpu_kernel_implIZZZNS0_16sqrt_kernel_cudaERNS_18TensorIteratorBaseEENKUlvE_clEvENKUlvE_clEvEUlN3c107complexIdEEE_EEvS4_RKT_EUlibE0_EEviT1_: ; @_ZN2at6native32elementwise_kernel_manual_unrollILi128ELi4EZNS0_15gpu_kernel_implIZZZNS0_16sqrt_kernel_cudaERNS_18TensorIteratorBaseEENKUlvE_clEvENKUlvE_clEvEUlN3c107complexIdEEE_EEvS4_RKT_EUlibE0_EEviT1_
; %bb.0:
	s_clause 0x1
	s_load_b32 s24, s[0:1], 0x8
	s_load_b32 s30, s[0:1], 0x0
	v_lshl_or_b32 v9, s15, 9, v0
	s_or_b32 s16, s0, 8
	s_mov_b32 s3, -1
	s_mov_b32 s26, 0
	s_mov_b32 s17, s1
	v_or_b32_e32 v2, 0x180, v9
	s_mov_b32 s8, 0
	s_mov_b32 s2, exec_lo
	s_waitcnt lgkmcnt(0)
	s_add_i32 s25, s24, -1
	s_delay_alu instid0(SALU_CYCLE_1)
	s_cmp_gt_u32 s25, 1
	s_cselect_b32 s27, -1, 0
	v_cmpx_le_i32_e64 s30, v2
	s_xor_b32 s28, exec_lo, s2
	s_cbranch_execz .LBB225_1224
; %bb.1:
	v_mov_b32_e32 v0, 0
	s_clause 0x3
	s_load_b128 s[12:15], s[16:17], 0x4
	s_load_b64 s[18:19], s[16:17], 0x14
	s_load_b128 s[8:11], s[16:17], 0xc4
	s_load_b128 s[4:7], s[16:17], 0x148
	s_cmp_lg_u32 s24, 0
	s_mov_b32 s37, 0
	s_cselect_b32 s33, -1, 0
	global_load_u16 v10, v0, s[16:17] offset:345
	s_add_u32 s20, s16, 0xc4
	s_addc_u32 s21, s17, 0
	s_min_u32 s31, s25, 15
	s_cmp_gt_u32 s24, 1
	s_mov_b32 s35, 0
	s_cselect_b32 s29, -1, 0
	s_mov_b32 s34, 0
	s_mov_b32 s36, exec_lo
	s_waitcnt vmcnt(0)
	v_lshrrev_b16 v8, 8, v10
	v_cmpx_gt_i32_e64 s30, v9
	s_cbranch_execz .LBB225_300
; %bb.2:
	s_and_not1_b32 vcc_lo, exec_lo, s27
	s_cbranch_vccnz .LBB225_7
; %bb.3:
	v_mov_b32_e32 v6, 0
	v_mov_b32_e32 v0, 0
	s_and_not1_b32 vcc_lo, exec_lo, s33
	s_cbranch_vccnz .LBB225_12
; %bb.4:
	v_mov_b32_e32 v6, 0
	s_add_i32 s38, s31, 1
	s_cmp_eq_u32 s25, 2
	s_cbranch_scc1 .LBB225_8
; %bb.5:
	v_dual_mov_b32 v0, 0 :: v_dual_mov_b32 v1, v9
	v_mov_b32_e32 v6, 0
	s_and_b32 s35, s38, 28
	s_mov_b32 s39, 0
	s_mov_b64 s[2:3], s[20:21]
	s_mov_b64 s[22:23], s[16:17]
.LBB225_6:                              ; =>This Inner Loop Header: Depth=1
	s_clause 0x1
	s_load_b256 s[40:47], s[22:23], 0x4
	s_load_b128 s[56:59], s[22:23], 0x24
	s_load_b256 s[48:55], s[2:3], 0x0
	s_add_u32 s22, s22, 48
	s_addc_u32 s23, s23, 0
	s_add_i32 s39, s39, 4
	s_add_u32 s2, s2, 32
	s_addc_u32 s3, s3, 0
	s_cmp_lg_u32 s35, s39
	s_waitcnt lgkmcnt(0)
	v_mul_hi_u32 v2, s41, v1
	s_delay_alu instid0(VALU_DEP_1) | instskip(NEXT) | instid1(VALU_DEP_1)
	v_add_nc_u32_e32 v2, v1, v2
	v_lshrrev_b32_e32 v2, s42, v2
	s_delay_alu instid0(VALU_DEP_1) | instskip(SKIP_1) | instid1(VALU_DEP_2)
	v_mul_hi_u32 v3, s44, v2
	v_mul_lo_u32 v5, v2, s40
	v_add_nc_u32_e32 v3, v2, v3
	s_delay_alu instid0(VALU_DEP_2) | instskip(NEXT) | instid1(VALU_DEP_2)
	v_sub_nc_u32_e32 v1, v1, v5
	v_lshrrev_b32_e32 v3, s45, v3
	s_delay_alu instid0(VALU_DEP_2) | instskip(SKIP_1) | instid1(VALU_DEP_3)
	v_mul_lo_u32 v5, v1, s48
	v_mul_lo_u32 v11, v1, s49
	v_mul_hi_u32 v4, s47, v3
	s_delay_alu instid0(VALU_DEP_1) | instskip(NEXT) | instid1(VALU_DEP_1)
	v_add_nc_u32_e32 v4, v3, v4
	v_lshrrev_b32_e32 v4, s56, v4
	s_delay_alu instid0(VALU_DEP_1) | instskip(SKIP_1) | instid1(VALU_DEP_2)
	v_mul_hi_u32 v7, s58, v4
	v_mul_lo_u32 v12, v4, s46
	v_add_nc_u32_e32 v1, v4, v7
	v_mul_lo_u32 v7, v3, s43
	s_delay_alu instid0(VALU_DEP_3) | instskip(NEXT) | instid1(VALU_DEP_3)
	v_sub_nc_u32_e32 v3, v3, v12
	v_lshrrev_b32_e32 v1, s59, v1
	s_delay_alu instid0(VALU_DEP_2) | instskip(SKIP_2) | instid1(VALU_DEP_4)
	v_mul_lo_u32 v12, v3, s52
	v_mul_lo_u32 v3, v3, s53
	v_sub_nc_u32_e32 v2, v2, v7
	v_mul_lo_u32 v13, v1, s57
	s_delay_alu instid0(VALU_DEP_2) | instskip(SKIP_1) | instid1(VALU_DEP_3)
	v_mul_lo_u32 v7, v2, s50
	v_mul_lo_u32 v2, v2, s51
	v_sub_nc_u32_e32 v4, v4, v13
	s_delay_alu instid0(VALU_DEP_3) | instskip(NEXT) | instid1(VALU_DEP_2)
	v_add3_u32 v5, v5, v6, v7
	v_mul_lo_u32 v13, v4, s54
	v_mul_lo_u32 v4, v4, s55
	v_add3_u32 v0, v11, v0, v2
	s_delay_alu instid0(VALU_DEP_3) | instskip(NEXT) | instid1(VALU_DEP_2)
	v_add3_u32 v6, v12, v5, v13
	v_add3_u32 v0, v3, v0, v4
	s_cbranch_scc1 .LBB225_6
	s_branch .LBB225_9
.LBB225_7:
	s_mov_b32 s34, -1
                                        ; implicit-def: $vgpr6
                                        ; implicit-def: $vgpr0
	s_branch .LBB225_12
.LBB225_8:
	v_dual_mov_b32 v1, v9 :: v_dual_mov_b32 v0, 0
.LBB225_9:
	s_and_b32 s38, s38, 3
	s_delay_alu instid0(SALU_CYCLE_1)
	s_cmp_eq_u32 s38, 0
	s_cbranch_scc1 .LBB225_12
; %bb.10:
	s_lshl_b32 s2, s35, 3
	s_mul_i32 s22, s35, 12
	s_add_u32 s2, s2, s16
	s_addc_u32 s3, s17, 0
	s_add_u32 s2, s2, 0xc4
	s_addc_u32 s3, s3, 0
	;; [unrolled: 2-line block ×3, first 2 shown]
	.p2align	6
.LBB225_11:                             ; =>This Inner Loop Header: Depth=1
	s_clause 0x1
	s_load_b64 s[40:41], s[22:23], 0x4
	s_load_b32 s35, s[22:23], 0xc
	s_load_b64 s[42:43], s[2:3], 0x0
	s_add_u32 s22, s22, 12
	s_addc_u32 s23, s23, 0
	s_add_u32 s2, s2, 8
	s_addc_u32 s3, s3, 0
	s_add_i32 s38, s38, -1
	s_delay_alu instid0(SALU_CYCLE_1) | instskip(SKIP_2) | instid1(VALU_DEP_1)
	s_cmp_lg_u32 s38, 0
	s_waitcnt lgkmcnt(0)
	v_mul_hi_u32 v2, s41, v1
	v_add_nc_u32_e32 v2, v1, v2
	s_delay_alu instid0(VALU_DEP_1) | instskip(NEXT) | instid1(VALU_DEP_1)
	v_lshrrev_b32_e32 v5, s35, v2
	v_mul_lo_u32 v2, v5, s40
	s_delay_alu instid0(VALU_DEP_1) | instskip(NEXT) | instid1(VALU_DEP_1)
	v_sub_nc_u32_e32 v1, v1, v2
	v_mad_u64_u32 v[2:3], null, v1, s42, v[6:7]
	v_mad_u64_u32 v[3:4], null, v1, s43, v[0:1]
	s_delay_alu instid0(VALU_DEP_2) | instskip(NEXT) | instid1(VALU_DEP_2)
	v_dual_mov_b32 v1, v5 :: v_dual_mov_b32 v6, v2
	v_mov_b32_e32 v0, v3
	s_cbranch_scc1 .LBB225_11
.LBB225_12:
	s_and_not1_b32 vcc_lo, exec_lo, s34
	s_cbranch_vccnz .LBB225_15
; %bb.13:
	s_waitcnt lgkmcnt(0)
	v_mul_hi_u32 v0, s13, v9
	s_and_not1_b32 vcc_lo, exec_lo, s29
	s_delay_alu instid0(VALU_DEP_1) | instskip(NEXT) | instid1(VALU_DEP_1)
	v_add_nc_u32_e32 v0, v9, v0
	v_lshrrev_b32_e32 v1, s14, v0
	s_delay_alu instid0(VALU_DEP_1) | instskip(NEXT) | instid1(VALU_DEP_1)
	v_mul_lo_u32 v0, v1, s12
	v_sub_nc_u32_e32 v0, v9, v0
	s_delay_alu instid0(VALU_DEP_1)
	v_mul_lo_u32 v6, v0, s8
	v_mul_lo_u32 v0, v0, s9
	s_cbranch_vccnz .LBB225_15
; %bb.14:
	v_mul_hi_u32 v2, s18, v1
	s_delay_alu instid0(VALU_DEP_1) | instskip(NEXT) | instid1(VALU_DEP_1)
	v_add_nc_u32_e32 v2, v1, v2
	v_lshrrev_b32_e32 v2, s19, v2
	s_delay_alu instid0(VALU_DEP_1) | instskip(NEXT) | instid1(VALU_DEP_1)
	v_mul_lo_u32 v2, v2, s15
	v_sub_nc_u32_e32 v4, v1, v2
	s_delay_alu instid0(VALU_DEP_1) | instskip(NEXT) | instid1(VALU_DEP_1)
	v_mad_u64_u32 v[1:2], null, v4, s10, v[6:7]
	v_mad_u64_u32 v[2:3], null, v4, s11, v[0:1]
	v_mov_b32_e32 v6, v1
	s_delay_alu instid0(VALU_DEP_2)
	v_mov_b32_e32 v0, v2
.LBB225_15:
	v_cmp_gt_i16_e32 vcc_lo, 11, v8
	s_waitcnt lgkmcnt(0)
	s_delay_alu instid0(VALU_DEP_2) | instskip(NEXT) | instid1(VALU_DEP_1)
	v_add_co_u32 v4, s2, s6, v0
	v_add_co_ci_u32_e64 v5, null, s7, 0, s2
	s_mov_b32 s35, 0
	s_cbranch_vccnz .LBB225_22
; %bb.16:
	v_cmp_lt_i16_e32 vcc_lo, 25, v8
	s_cbranch_vccz .LBB225_40
; %bb.17:
	v_cmp_lt_i16_e32 vcc_lo, 28, v8
	s_cbranch_vccz .LBB225_41
	;; [unrolled: 3-line block ×4, first 2 shown]
; %bb.20:
	v_cmp_eq_u16_e32 vcc_lo, 46, v8
	s_mov_b32 s2, 0
	s_cbranch_vccz .LBB225_177
; %bb.21:
	global_load_b32 v0, v[4:5], off
	s_mov_b32 s22, -1
	s_waitcnt vmcnt(0)
	v_lshlrev_b32_e32 v1, 16, v0
	v_and_b32_e32 v2, 0xffff0000, v0
	s_delay_alu instid0(VALU_DEP_2) | instskip(NEXT) | instid1(VALU_DEP_2)
	v_cvt_f64_f32_e32 v[0:1], v1
	v_cvt_f64_f32_e32 v[2:3], v2
	s_branch .LBB225_179
.LBB225_22:
	s_mov_b32 s22, 0
                                        ; implicit-def: $vgpr2_vgpr3
	s_cbranch_execnz .LBB225_248
.LBB225_23:
	s_and_not1_b32 vcc_lo, exec_lo, s22
	s_cbranch_vccnz .LBB225_297
.LBB225_24:
	s_waitcnt vmcnt(0)
	s_delay_alu instid0(VALU_DEP_1) | instskip(NEXT) | instid1(VALU_DEP_2)
	v_cmp_neq_f64_e32 vcc_lo, 0, v[0:1]
	v_cmp_neq_f64_e64 s2, 0, v[2:3]
	v_mov_b32_e32 v4, 0
	v_mov_b32_e32 v5, 0
	s_delay_alu instid0(VALU_DEP_3) | instskip(NEXT) | instid1(SALU_CYCLE_1)
	s_or_b32 s2, vcc_lo, s2
	s_and_saveexec_b32 s22, s2
	s_cbranch_execz .LBB225_60
; %bb.25:
	s_mov_b32 s2, 0
	s_mov_b32 s3, 0x7ff00000
	v_mov_b32_e32 v4, s2
	v_mov_b32_e32 v5, s3
	s_mov_b32 s23, exec_lo
	v_cmpx_neq_f64_e64 0x7ff00000, |v[2:3]|
	s_cbranch_execz .LBB225_59
; %bb.26:
	s_mov_b32 s2, exec_lo
	v_cmpx_o_f64_e32 v[0:1], v[0:1]
	s_xor_b32 s34, exec_lo, s2
	s_cbranch_execz .LBB225_56
; %bb.27:
	s_mov_b32 s3, exec_lo
	v_cmpx_neq_f64_e64 0x7ff00000, |v[0:1]|
	s_xor_b32 s38, exec_lo, s3
	s_cbranch_execz .LBB225_49
; %bb.28:
	v_max_f64 v[4:5], |v[2:3]|, |v[2:3]|
	v_max_f64 v[11:12], |v[0:1]|, |v[0:1]|
	s_mov_b32 s2, 0x99fcef32
	s_mov_b32 s3, 0x7fda8279
                                        ; implicit-def: $sgpr39
	s_delay_alu instid0(VALU_DEP_1) | instskip(NEXT) | instid1(VALU_DEP_1)
	v_max_f64 v[4:5], v[11:12], v[4:5]
	v_cmp_nle_f64_e64 s2, s[2:3], v[4:5]
	s_delay_alu instid0(VALU_DEP_1) | instskip(NEXT) | instid1(SALU_CYCLE_1)
	s_and_saveexec_b32 s3, s2
	s_xor_b32 s3, exec_lo, s3
	s_cbranch_execz .LBB225_32
; %bb.29:
	v_cmp_ge_f64_e64 s39, 0x200000, |v[0:1]|
	v_cmp_ge_f64_e64 s40, 0x200000, |v[2:3]|
	s_delay_alu instid0(VALU_DEP_1)
	s_and_b32 s41, s39, s40
	s_mov_b32 s39, 0
	s_and_saveexec_b32 s40, s41
; %bb.30:
	v_mul_f64 v[0:1], v[0:1], 4.0
	v_mul_f64 v[2:3], v[2:3], 4.0
	s_mov_b32 s39, exec_lo
; %bb.31:
	s_or_b32 exec_lo, exec_lo, s40
	s_delay_alu instid0(SALU_CYCLE_1)
	s_and_b32 s39, s39, exec_lo
.LBB225_32:
	s_and_not1_saveexec_b32 s3, s3
; %bb.33:
	s_delay_alu instid0(VALU_DEP_2) | instskip(NEXT) | instid1(VALU_DEP_2)
	v_ldexp_f64 v[0:1], v[0:1], -2
	v_ldexp_f64 v[2:3], v[2:3], -2
	s_and_not1_b32 s39, s39, exec_lo
; %bb.34:
	s_or_b32 exec_lo, exec_lo, s3
	s_delay_alu instid0(VALU_DEP_1) | instskip(NEXT) | instid1(VALU_DEP_3)
	v_max_f64 v[4:5], |v[2:3]|, |v[2:3]|
	v_max_f64 v[11:12], |v[0:1]|, |v[0:1]|
	v_cmp_class_f64_e64 s40, v[0:1], 0x204
	v_cmp_class_f64_e64 s41, v[2:3], 0x204
	v_cmp_le_f64_e64 s3, 0, v[0:1]
	s_delay_alu instid0(VALU_DEP_4) | instskip(NEXT) | instid1(VALU_DEP_3)
	v_max_f64 v[4:5], v[11:12], v[4:5]
	s_or_b32 s40, s41, s40
	s_delay_alu instid0(VALU_DEP_1) | instskip(NEXT) | instid1(VALU_DEP_1)
	v_frexp_exp_i32_f64_e32 v7, v[4:5]
	v_sub_nc_u32_e32 v11, 0, v7
	s_delay_alu instid0(VALU_DEP_1) | instskip(SKIP_1) | instid1(VALU_DEP_2)
	v_ldexp_f64 v[4:5], |v[2:3]|, v11
	v_ldexp_f64 v[11:12], |v[0:1]|, v11
	v_mul_f64 v[4:5], v[4:5], v[4:5]
	s_delay_alu instid0(VALU_DEP_1) | instskip(NEXT) | instid1(VALU_DEP_1)
	v_fma_f64 v[4:5], v[11:12], v[11:12], v[4:5]
	v_rsq_f64_e32 v[11:12], v[4:5]
	v_cmp_eq_f64_e32 vcc_lo, 0, v[4:5]
	s_waitcnt_depctr 0xfff
	v_mul_f64 v[13:14], v[4:5], v[11:12]
	v_mul_f64 v[11:12], v[11:12], 0.5
	s_delay_alu instid0(VALU_DEP_1) | instskip(NEXT) | instid1(VALU_DEP_1)
	v_fma_f64 v[15:16], -v[11:12], v[13:14], 0.5
	v_fma_f64 v[13:14], v[13:14], v[15:16], v[13:14]
	v_fma_f64 v[11:12], v[11:12], v[15:16], v[11:12]
	s_delay_alu instid0(VALU_DEP_2) | instskip(NEXT) | instid1(VALU_DEP_1)
	v_fma_f64 v[15:16], -v[13:14], v[13:14], v[4:5]
	v_fma_f64 v[11:12], v[15:16], v[11:12], v[13:14]
	s_delay_alu instid0(VALU_DEP_1) | instskip(SKIP_1) | instid1(VALU_DEP_2)
	v_dual_cndmask_b32 v5, v12, v5 :: v_dual_cndmask_b32 v4, v11, v4
	v_cmp_o_f64_e32 vcc_lo, v[2:3], v[2:3]
	v_ldexp_f64 v[4:5], v[4:5], v7
	s_delay_alu instid0(VALU_DEP_1) | instskip(NEXT) | instid1(VALU_DEP_2)
	v_cndmask_b32_e32 v4, 0, v4, vcc_lo
	v_cndmask_b32_e32 v5, 0x7ff80000, v5, vcc_lo
	s_delay_alu instid0(VALU_DEP_2) | instskip(NEXT) | instid1(VALU_DEP_2)
	v_cndmask_b32_e64 v4, v4, 0, s40
	v_cndmask_b32_e64 v5, v5, 0x7ff00000, s40
	s_and_saveexec_b32 s40, s3
	s_delay_alu instid0(SALU_CYCLE_1)
	s_xor_b32 s3, exec_lo, s40
	s_cbranch_execz .LBB225_44
; %bb.35:
	s_delay_alu instid0(VALU_DEP_1) | instskip(NEXT) | instid1(VALU_DEP_1)
	v_add_f64 v[0:1], v[0:1], v[4:5]
	v_mul_f64 v[0:1], v[0:1], 0.5
	s_delay_alu instid0(VALU_DEP_1) | instskip(SKIP_2) | instid1(VALU_DEP_2)
	v_cmp_gt_f64_e32 vcc_lo, 0x10000000, v[0:1]
	v_cndmask_b32_e64 v4, 0, 1, vcc_lo
	v_cndmask_b32_e64 v7, 0, 0xffffff80, vcc_lo
	v_lshlrev_b32_e32 v4, 8, v4
	s_delay_alu instid0(VALU_DEP_1) | instskip(NEXT) | instid1(VALU_DEP_1)
	v_ldexp_f64 v[0:1], v[0:1], v4
	v_rsq_f64_e32 v[4:5], v[0:1]
	v_cmp_class_f64_e64 vcc_lo, v[0:1], 0x260
	s_waitcnt_depctr 0xfff
	v_mul_f64 v[11:12], v[0:1], v[4:5]
	v_mul_f64 v[4:5], v[4:5], 0.5
	s_delay_alu instid0(VALU_DEP_1) | instskip(NEXT) | instid1(VALU_DEP_1)
	v_fma_f64 v[13:14], -v[4:5], v[11:12], 0.5
	v_fma_f64 v[11:12], v[11:12], v[13:14], v[11:12]
	v_fma_f64 v[4:5], v[4:5], v[13:14], v[4:5]
	s_delay_alu instid0(VALU_DEP_2) | instskip(NEXT) | instid1(VALU_DEP_1)
	v_fma_f64 v[13:14], -v[11:12], v[11:12], v[0:1]
	v_fma_f64 v[11:12], v[13:14], v[4:5], v[11:12]
	s_delay_alu instid0(VALU_DEP_1) | instskip(NEXT) | instid1(VALU_DEP_1)
	v_fma_f64 v[13:14], -v[11:12], v[11:12], v[0:1]
	v_fma_f64 v[4:5], v[13:14], v[4:5], v[11:12]
	s_delay_alu instid0(VALU_DEP_1) | instskip(NEXT) | instid1(VALU_DEP_1)
	v_ldexp_f64 v[4:5], v[4:5], v7
	v_dual_cndmask_b32 v1, v5, v1 :: v_dual_cndmask_b32 v0, v4, v0
	s_delay_alu instid0(VALU_DEP_1) | instskip(NEXT) | instid1(VALU_DEP_1)
	v_add_f64 v[4:5], v[0:1], v[0:1]
	v_div_scale_f64 v[11:12], null, v[4:5], v[4:5], v[2:3]
	s_delay_alu instid0(VALU_DEP_1) | instskip(SKIP_2) | instid1(VALU_DEP_1)
	v_rcp_f64_e32 v[13:14], v[11:12]
	s_waitcnt_depctr 0xfff
	v_fma_f64 v[15:16], -v[11:12], v[13:14], 1.0
	v_fma_f64 v[13:14], v[13:14], v[15:16], v[13:14]
	s_delay_alu instid0(VALU_DEP_1) | instskip(NEXT) | instid1(VALU_DEP_1)
	v_fma_f64 v[15:16], -v[11:12], v[13:14], 1.0
	v_fma_f64 v[13:14], v[13:14], v[15:16], v[13:14]
	v_div_scale_f64 v[15:16], vcc_lo, v[2:3], v[4:5], v[2:3]
	s_delay_alu instid0(VALU_DEP_1) | instskip(NEXT) | instid1(VALU_DEP_1)
	v_mul_f64 v[17:18], v[15:16], v[13:14]
	v_fma_f64 v[11:12], -v[11:12], v[17:18], v[15:16]
	s_delay_alu instid0(VALU_DEP_1) | instskip(NEXT) | instid1(VALU_DEP_1)
	v_div_fmas_f64 v[11:12], v[11:12], v[13:14], v[17:18]
	v_div_fixup_f64 v[2:3], v[11:12], v[4:5], v[2:3]
                                        ; implicit-def: $vgpr4_vgpr5
	s_and_not1_saveexec_b32 s3, s3
	s_cbranch_execnz .LBB225_45
.LBB225_36:
	s_or_b32 exec_lo, exec_lo, s3
	s_and_saveexec_b32 s3, s2
	s_delay_alu instid0(SALU_CYCLE_1)
	s_xor_b32 s2, exec_lo, s3
	s_cbranch_execz .LBB225_46
.LBB225_37:
	s_and_saveexec_b32 s3, s39
; %bb.38:
	s_delay_alu instid0(VALU_DEP_2) | instskip(NEXT) | instid1(VALU_DEP_2)
	v_mul_f64 v[0:1], v[0:1], 0.5
	v_mul_f64 v[2:3], v[2:3], 0.5
; %bb.39:
	s_or_b32 exec_lo, exec_lo, s3
	s_and_not1_saveexec_b32 s2, s2
	s_cbranch_execnz .LBB225_47
	s_branch .LBB225_48
.LBB225_40:
	s_mov_b32 s22, 0
                                        ; implicit-def: $vgpr2_vgpr3
	s_cbranch_execnz .LBB225_214
	s_branch .LBB225_247
.LBB225_41:
	s_mov_b32 s2, -1
	s_mov_b32 s22, 0
                                        ; implicit-def: $vgpr2_vgpr3
	s_branch .LBB225_193
.LBB225_42:
	s_mov_b32 s2, -1
	s_mov_b32 s22, 0
                                        ; implicit-def: $vgpr2_vgpr3
	s_branch .LBB225_187
.LBB225_43:
	s_mov_b32 s2, -1
	s_branch .LBB225_178
.LBB225_44:
	s_and_not1_saveexec_b32 s3, s3
	s_cbranch_execz .LBB225_36
.LBB225_45:
	v_add_f64 v[0:1], v[4:5], -v[0:1]
	s_delay_alu instid0(VALU_DEP_1) | instskip(NEXT) | instid1(VALU_DEP_1)
	v_mul_f64 v[0:1], v[0:1], 0.5
	v_cmp_gt_f64_e32 vcc_lo, 0x10000000, v[0:1]
	v_cndmask_b32_e64 v4, 0, 1, vcc_lo
	v_cndmask_b32_e64 v7, 0, 0xffffff80, vcc_lo
	s_delay_alu instid0(VALU_DEP_2) | instskip(NEXT) | instid1(VALU_DEP_1)
	v_lshlrev_b32_e32 v4, 8, v4
	v_ldexp_f64 v[0:1], v[0:1], v4
	s_delay_alu instid0(VALU_DEP_1) | instskip(SKIP_4) | instid1(VALU_DEP_1)
	v_rsq_f64_e32 v[4:5], v[0:1]
	v_cmp_class_f64_e64 vcc_lo, v[0:1], 0x260
	s_waitcnt_depctr 0xfff
	v_mul_f64 v[11:12], v[0:1], v[4:5]
	v_mul_f64 v[4:5], v[4:5], 0.5
	v_fma_f64 v[13:14], -v[4:5], v[11:12], 0.5
	s_delay_alu instid0(VALU_DEP_1) | instskip(SKIP_1) | instid1(VALU_DEP_2)
	v_fma_f64 v[11:12], v[11:12], v[13:14], v[11:12]
	v_fma_f64 v[4:5], v[4:5], v[13:14], v[4:5]
	v_fma_f64 v[13:14], -v[11:12], v[11:12], v[0:1]
	s_delay_alu instid0(VALU_DEP_1) | instskip(NEXT) | instid1(VALU_DEP_1)
	v_fma_f64 v[11:12], v[13:14], v[4:5], v[11:12]
	v_fma_f64 v[13:14], -v[11:12], v[11:12], v[0:1]
	s_delay_alu instid0(VALU_DEP_1) | instskip(SKIP_1) | instid1(VALU_DEP_2)
	v_fma_f64 v[4:5], v[13:14], v[4:5], v[11:12]
	v_mov_b32_e32 v11, v2
	v_ldexp_f64 v[4:5], v[4:5], v7
	s_delay_alu instid0(VALU_DEP_1) | instskip(NEXT) | instid1(VALU_DEP_1)
	v_dual_cndmask_b32 v5, v5, v1 :: v_dual_cndmask_b32 v4, v4, v0
	v_add_f64 v[0:1], v[4:5], v[4:5]
	v_bfi_b32 v5, 0x7fffffff, v5, v3
	v_and_b32_e32 v12, 0x7fffffff, v3
	s_delay_alu instid0(VALU_DEP_1) | instskip(SKIP_1) | instid1(VALU_DEP_2)
	v_div_scale_f64 v[13:14], null, v[0:1], v[0:1], v[11:12]
	v_div_scale_f64 v[11:12], vcc_lo, v[11:12], v[0:1], v[11:12]
	v_rcp_f64_e32 v[15:16], v[13:14]
	s_waitcnt_depctr 0xfff
	v_fma_f64 v[17:18], -v[13:14], v[15:16], 1.0
	s_delay_alu instid0(VALU_DEP_1) | instskip(NEXT) | instid1(VALU_DEP_1)
	v_fma_f64 v[15:16], v[15:16], v[17:18], v[15:16]
	v_fma_f64 v[17:18], -v[13:14], v[15:16], 1.0
	s_delay_alu instid0(VALU_DEP_1) | instskip(NEXT) | instid1(VALU_DEP_1)
	v_fma_f64 v[15:16], v[15:16], v[17:18], v[15:16]
	v_mul_f64 v[17:18], v[11:12], v[15:16]
	s_delay_alu instid0(VALU_DEP_1) | instskip(NEXT) | instid1(VALU_DEP_1)
	v_fma_f64 v[11:12], -v[13:14], v[17:18], v[11:12]
	v_div_fmas_f64 v[11:12], v[11:12], v[15:16], v[17:18]
	s_delay_alu instid0(VALU_DEP_1) | instskip(SKIP_3) | instid1(SALU_CYCLE_1)
	v_div_fixup_f64 v[0:1], v[11:12], v[0:1], |v[2:3]|
	v_dual_mov_b32 v2, v4 :: v_dual_mov_b32 v3, v5
	s_or_b32 exec_lo, exec_lo, s3
	s_and_saveexec_b32 s3, s2
	s_xor_b32 s2, exec_lo, s3
	s_cbranch_execnz .LBB225_37
.LBB225_46:
	s_and_not1_saveexec_b32 s2, s2
.LBB225_47:
	s_delay_alu instid0(VALU_DEP_2) | instskip(NEXT) | instid1(VALU_DEP_2)
	v_add_f64 v[0:1], v[0:1], v[0:1]
	v_add_f64 v[2:3], v[2:3], v[2:3]
.LBB225_48:
	s_or_b32 exec_lo, exec_lo, s2
.LBB225_49:
	s_and_not1_saveexec_b32 s2, s38
	s_cbranch_execz .LBB225_55
; %bb.50:
	s_delay_alu instid0(VALU_DEP_1) | instskip(SKIP_1) | instid1(VALU_DEP_3)
	v_add_f64 v[4:5], v[2:3], -v[2:3]
	s_mov_b32 s3, exec_lo
	v_cmpx_lt_i64_e32 -1, v[0:1]
	s_xor_b32 s3, exec_lo, s3
; %bb.51:
	s_delay_alu instid0(VALU_DEP_2) | instskip(NEXT) | instid1(VALU_DEP_1)
	v_bfi_b32 v5, 0x7fffffff, v5, v3
	v_dual_mov_b32 v2, v4 :: v_dual_mov_b32 v3, v5
                                        ; implicit-def: $vgpr4_vgpr5
; %bb.52:
	s_and_not1_saveexec_b32 s3, s3
; %bb.53:
	s_delay_alu instid0(VALU_DEP_1) | instskip(SKIP_1) | instid1(VALU_DEP_2)
	v_bfi_b32 v1, 0x7fffffff, v1, v3
	v_and_b32_e32 v5, 0x7fffffff, v5
	v_dual_mov_b32 v3, v1 :: v_dual_mov_b32 v2, v0
	s_delay_alu instid0(VALU_DEP_2)
	v_dual_mov_b32 v0, v4 :: v_dual_mov_b32 v1, v5
; %bb.54:
	s_or_b32 exec_lo, exec_lo, s3
.LBB225_55:
	s_delay_alu instid0(SALU_CYCLE_1)
	s_or_b32 exec_lo, exec_lo, s2
.LBB225_56:
	s_and_not1_saveexec_b32 s2, s34
; %bb.57:
	s_delay_alu instid0(VALU_DEP_1) | instskip(NEXT) | instid1(VALU_DEP_1)
	v_add_f64 v[2:3], v[2:3], -v[2:3]
	v_div_scale_f64 v[4:5], vcc_lo, v[2:3], v[2:3], v[2:3]
	s_delay_alu instid0(VALU_DEP_1) | instskip(SKIP_2) | instid1(VALU_DEP_1)
	v_rcp_f64_e32 v[11:12], v[4:5]
	s_waitcnt_depctr 0xfff
	v_fma_f64 v[13:14], -v[4:5], v[11:12], 1.0
	v_fma_f64 v[11:12], v[11:12], v[13:14], v[11:12]
	s_delay_alu instid0(VALU_DEP_1) | instskip(NEXT) | instid1(VALU_DEP_1)
	v_fma_f64 v[13:14], -v[4:5], v[11:12], 1.0
	v_fma_f64 v[11:12], v[11:12], v[13:14], v[11:12]
	s_delay_alu instid0(VALU_DEP_1) | instskip(NEXT) | instid1(VALU_DEP_1)
	v_mul_f64 v[13:14], v[4:5], v[11:12]
	v_fma_f64 v[4:5], -v[4:5], v[13:14], v[4:5]
	s_delay_alu instid0(VALU_DEP_1) | instskip(NEXT) | instid1(VALU_DEP_1)
	v_div_fmas_f64 v[4:5], v[4:5], v[11:12], v[13:14]
	v_div_fixup_f64 v[2:3], v[4:5], v[2:3], v[2:3]
; %bb.58:
	s_or_b32 exec_lo, exec_lo, s2
	v_dual_mov_b32 v5, v1 :: v_dual_mov_b32 v4, v0
.LBB225_59:
	s_or_b32 exec_lo, exec_lo, s23
.LBB225_60:
	s_delay_alu instid0(SALU_CYCLE_1) | instskip(SKIP_2) | instid1(VALU_DEP_1)
	s_or_b32 exec_lo, exec_lo, s22
	v_and_b32_e32 v11, 0xff, v10
	v_add_co_u32 v0, s3, s4, v6
	v_add_co_ci_u32_e64 v1, null, s5, 0, s3
	s_delay_alu instid0(VALU_DEP_3)
	v_cmp_gt_i16_e32 vcc_lo, 11, v11
	s_mov_b32 s2, 0
	s_mov_b32 s22, -1
	s_mov_b32 s3, 0
	s_cbranch_vccnz .LBB225_137
; %bb.61:
	v_cmp_lt_i16_e32 vcc_lo, 25, v11
	s_cbranch_vccz .LBB225_94
; %bb.62:
	v_cmp_lt_i16_e32 vcc_lo, 28, v11
	s_cbranch_vccz .LBB225_77
	;; [unrolled: 3-line block ×4, first 2 shown]
; %bb.65:
	v_cmp_eq_u16_e32 vcc_lo, 46, v11
	s_mov_b32 s22, 0
	s_mov_b32 s2, -1
	s_cbranch_vccz .LBB225_67
; %bb.66:
	v_cvt_f32_f64_e32 v6, v[2:3]
	v_cvt_f32_f64_e32 v7, v[4:5]
	s_mov_b32 s3, -1
	s_mov_b32 s2, 0
	s_delay_alu instid0(VALU_DEP_2) | instskip(NEXT) | instid1(VALU_DEP_2)
	v_bfe_u32 v12, v6, 16, 1
	v_bfe_u32 v13, v7, 16, 1
	v_cmp_o_f32_e32 vcc_lo, v6, v6
	s_delay_alu instid0(VALU_DEP_3) | instskip(NEXT) | instid1(VALU_DEP_3)
	v_add3_u32 v12, v6, v12, 0x7fff
	v_add3_u32 v13, v7, v13, 0x7fff
	s_delay_alu instid0(VALU_DEP_2) | instskip(NEXT) | instid1(VALU_DEP_2)
	v_and_b32_e32 v12, 0xffff0000, v12
	v_lshrrev_b32_e32 v13, 16, v13
	s_delay_alu instid0(VALU_DEP_2) | instskip(SKIP_1) | instid1(VALU_DEP_3)
	v_cndmask_b32_e32 v6, 0x7fc00000, v12, vcc_lo
	v_cmp_o_f32_e32 vcc_lo, v7, v7
	v_cndmask_b32_e32 v7, 0x7fc0, v13, vcc_lo
	s_delay_alu instid0(VALU_DEP_1)
	v_or_b32_e32 v6, v6, v7
	global_store_b32 v[0:1], v6, off
.LBB225_67:
	s_and_b32 vcc_lo, exec_lo, s22
	s_cbranch_vccz .LBB225_72
; %bb.68:
	v_cmp_eq_u16_e32 vcc_lo, 44, v11
	s_mov_b32 s2, -1
	s_cbranch_vccz .LBB225_72
; %bb.69:
	v_cvt_f32_f64_e32 v6, v[4:5]
	v_mov_b32_e32 v7, 0xff
	s_mov_b32 s3, exec_lo
	s_delay_alu instid0(VALU_DEP_2) | instskip(NEXT) | instid1(VALU_DEP_1)
	v_bfe_u32 v12, v6, 23, 8
	v_cmpx_ne_u32_e32 0xff, v12
; %bb.70:
	v_and_b32_e32 v7, 0x400000, v6
	v_and_or_b32 v12, 0x3fffff, v6, v12
	v_lshrrev_b32_e32 v6, 23, v6
	s_delay_alu instid0(VALU_DEP_3) | instskip(NEXT) | instid1(VALU_DEP_3)
	v_cmp_ne_u32_e32 vcc_lo, 0, v7
	v_cmp_ne_u32_e64 s2, 0, v12
	s_delay_alu instid0(VALU_DEP_1) | instskip(NEXT) | instid1(SALU_CYCLE_1)
	s_and_b32 s2, vcc_lo, s2
	v_cndmask_b32_e64 v7, 0, 1, s2
	s_delay_alu instid0(VALU_DEP_1)
	v_add_nc_u32_e32 v7, v6, v7
; %bb.71:
	s_or_b32 exec_lo, exec_lo, s3
	s_mov_b32 s3, -1
	s_mov_b32 s2, 0
	global_store_b8 v[0:1], v7, off
.LBB225_72:
	s_mov_b32 s22, 0
.LBB225_73:
	s_delay_alu instid0(SALU_CYCLE_1)
	s_and_b32 vcc_lo, exec_lo, s22
	s_cbranch_vccz .LBB225_76
; %bb.74:
	v_cmp_eq_u16_e32 vcc_lo, 29, v11
	s_mov_b32 s2, -1
	s_cbranch_vccz .LBB225_76
; %bb.75:
	v_trunc_f64_e32 v[6:7], v[4:5]
	s_mov_b32 s3, -1
	s_mov_b32 s2, 0
	s_delay_alu instid0(VALU_DEP_1) | instskip(NEXT) | instid1(VALU_DEP_1)
	v_ldexp_f64 v[12:13], v[6:7], 0xffffffe0
	v_floor_f64_e32 v[12:13], v[12:13]
	s_delay_alu instid0(VALU_DEP_1) | instskip(SKIP_1) | instid1(VALU_DEP_2)
	v_fma_f64 v[6:7], 0xc1f00000, v[12:13], v[6:7]
	v_cvt_u32_f64_e32 v13, v[12:13]
	v_cvt_u32_f64_e32 v12, v[6:7]
	global_store_b64 v[0:1], v[12:13], off
.LBB225_76:
	s_mov_b32 s22, 0
.LBB225_77:
	s_delay_alu instid0(SALU_CYCLE_1)
	s_and_b32 vcc_lo, exec_lo, s22
	s_cbranch_vccz .LBB225_93
; %bb.78:
	v_cmp_gt_i16_e32 vcc_lo, 27, v11
	s_mov_b32 s3, -1
	s_cbranch_vccnz .LBB225_84
; %bb.79:
	v_cmp_lt_i16_e32 vcc_lo, 27, v11
	s_cbranch_vccz .LBB225_81
; %bb.80:
	v_cvt_u32_f64_e32 v6, v[4:5]
	s_mov_b32 s3, 0
	global_store_b32 v[0:1], v6, off
.LBB225_81:
	s_and_not1_b32 vcc_lo, exec_lo, s3
	s_cbranch_vccnz .LBB225_83
; %bb.82:
	v_cvt_u32_f64_e32 v6, v[4:5]
	global_store_b16 v[0:1], v6, off
.LBB225_83:
	s_mov_b32 s3, 0
.LBB225_84:
	s_delay_alu instid0(SALU_CYCLE_1)
	s_and_not1_b32 vcc_lo, exec_lo, s3
	s_cbranch_vccnz .LBB225_92
; %bb.85:
	v_cvt_f32_f64_e32 v6, v[4:5]
	v_mov_b32_e32 v12, 0x80
	s_mov_b32 s3, exec_lo
	s_delay_alu instid0(VALU_DEP_2) | instskip(NEXT) | instid1(VALU_DEP_1)
	v_and_b32_e32 v7, 0x7fffffff, v6
	v_cmpx_gt_u32_e32 0x43800000, v7
	s_cbranch_execz .LBB225_91
; %bb.86:
	v_cmp_lt_u32_e32 vcc_lo, 0x3bffffff, v7
	s_mov_b32 s22, 0
                                        ; implicit-def: $vgpr7
	s_and_saveexec_b32 s23, vcc_lo
	s_delay_alu instid0(SALU_CYCLE_1)
	s_xor_b32 s23, exec_lo, s23
	s_cbranch_execz .LBB225_182
; %bb.87:
	v_bfe_u32 v7, v6, 20, 1
	s_mov_b32 s22, exec_lo
	s_delay_alu instid0(VALU_DEP_1) | instskip(NEXT) | instid1(VALU_DEP_1)
	v_add3_u32 v7, v6, v7, 0x487ffff
	v_lshrrev_b32_e32 v7, 20, v7
	s_or_saveexec_b32 s23, s23
                                        ; implicit-def: $sgpr34
	s_delay_alu instid0(SALU_CYCLE_1)
	s_xor_b32 exec_lo, exec_lo, s23
	s_cbranch_execnz .LBB225_183
.LBB225_88:
	s_or_b32 exec_lo, exec_lo, s23
	v_mov_b32_e32 v12, s34
	s_and_saveexec_b32 s23, s22
.LBB225_89:
	v_lshrrev_b32_e32 v6, 24, v6
	s_delay_alu instid0(VALU_DEP_1)
	v_and_or_b32 v12, 0x80, v6, v7
.LBB225_90:
	s_or_b32 exec_lo, exec_lo, s23
.LBB225_91:
	s_delay_alu instid0(SALU_CYCLE_1)
	s_or_b32 exec_lo, exec_lo, s3
	global_store_b8 v[0:1], v12, off
.LBB225_92:
	s_mov_b32 s3, -1
.LBB225_93:
	s_mov_b32 s22, 0
.LBB225_94:
	s_delay_alu instid0(SALU_CYCLE_1)
	s_and_b32 vcc_lo, exec_lo, s22
	s_cbranch_vccz .LBB225_135
; %bb.95:
	v_cmp_lt_i16_e32 vcc_lo, 22, v11
	s_mov_b32 s22, -1
	s_cbranch_vccz .LBB225_127
; %bb.96:
	v_cmp_gt_i16_e32 vcc_lo, 24, v11
	s_mov_b32 s3, -1
	s_cbranch_vccnz .LBB225_116
; %bb.97:
	v_cmp_lt_i16_e32 vcc_lo, 24, v11
	s_cbranch_vccz .LBB225_105
; %bb.98:
	v_cvt_f32_f64_e32 v6, v[4:5]
	v_mov_b32_e32 v12, 0x80
	s_mov_b32 s3, exec_lo
	s_delay_alu instid0(VALU_DEP_2) | instskip(NEXT) | instid1(VALU_DEP_1)
	v_and_b32_e32 v7, 0x7fffffff, v6
	v_cmpx_gt_u32_e32 0x47800000, v7
	s_cbranch_execz .LBB225_104
; %bb.99:
	v_cmp_lt_u32_e32 vcc_lo, 0x37ffffff, v7
	s_mov_b32 s22, 0
                                        ; implicit-def: $vgpr7
	s_and_saveexec_b32 s23, vcc_lo
	s_delay_alu instid0(SALU_CYCLE_1)
	s_xor_b32 s23, exec_lo, s23
	s_cbranch_execz .LBB225_410
; %bb.100:
	v_bfe_u32 v7, v6, 21, 1
	s_mov_b32 s22, exec_lo
	s_delay_alu instid0(VALU_DEP_1) | instskip(NEXT) | instid1(VALU_DEP_1)
	v_add3_u32 v7, v6, v7, 0x88fffff
	v_lshrrev_b32_e32 v7, 21, v7
	s_or_saveexec_b32 s23, s23
                                        ; implicit-def: $sgpr34
	s_delay_alu instid0(SALU_CYCLE_1)
	s_xor_b32 exec_lo, exec_lo, s23
	s_cbranch_execnz .LBB225_411
.LBB225_101:
	s_or_b32 exec_lo, exec_lo, s23
	v_mov_b32_e32 v12, s34
	s_and_saveexec_b32 s23, s22
.LBB225_102:
	v_lshrrev_b32_e32 v6, 24, v6
	s_delay_alu instid0(VALU_DEP_1)
	v_and_or_b32 v12, 0x80, v6, v7
.LBB225_103:
	s_or_b32 exec_lo, exec_lo, s23
.LBB225_104:
	s_delay_alu instid0(SALU_CYCLE_1)
	s_or_b32 exec_lo, exec_lo, s3
	s_mov_b32 s3, 0
	global_store_b8 v[0:1], v12, off
.LBB225_105:
	s_and_b32 vcc_lo, exec_lo, s3
	s_cbranch_vccz .LBB225_115
; %bb.106:
	v_cvt_f32_f64_e32 v6, v[4:5]
	s_mov_b32 s3, exec_lo
                                        ; implicit-def: $vgpr7
	s_delay_alu instid0(VALU_DEP_1) | instskip(NEXT) | instid1(VALU_DEP_1)
	v_and_b32_e32 v12, 0x7fffffff, v6
	v_cmpx_gt_u32_e32 0x43f00000, v12
	s_xor_b32 s3, exec_lo, s3
	s_cbranch_execz .LBB225_112
; %bb.107:
	s_mov_b32 s22, exec_lo
                                        ; implicit-def: $vgpr7
	v_cmpx_lt_u32_e32 0x3c7fffff, v12
	s_xor_b32 s22, exec_lo, s22
; %bb.108:
	v_bfe_u32 v7, v6, 20, 1
	s_delay_alu instid0(VALU_DEP_1) | instskip(NEXT) | instid1(VALU_DEP_1)
	v_add3_u32 v7, v6, v7, 0x407ffff
	v_and_b32_e32 v12, 0xff00000, v7
	v_lshrrev_b32_e32 v7, 20, v7
	s_delay_alu instid0(VALU_DEP_2) | instskip(NEXT) | instid1(VALU_DEP_2)
	v_cmp_ne_u32_e32 vcc_lo, 0x7f00000, v12
	v_cndmask_b32_e32 v7, 0x7e, v7, vcc_lo
; %bb.109:
	s_and_not1_saveexec_b32 s22, s22
; %bb.110:
	v_add_f32_e64 v7, 0x46800000, |v6|
; %bb.111:
	s_or_b32 exec_lo, exec_lo, s22
                                        ; implicit-def: $vgpr12
.LBB225_112:
	s_and_not1_saveexec_b32 s3, s3
; %bb.113:
	v_mov_b32_e32 v7, 0x7f
	v_cmp_lt_u32_e32 vcc_lo, 0x7f800000, v12
	s_delay_alu instid0(VALU_DEP_2)
	v_cndmask_b32_e32 v7, 0x7e, v7, vcc_lo
; %bb.114:
	s_or_b32 exec_lo, exec_lo, s3
	v_lshrrev_b32_e32 v6, 24, v6
	s_delay_alu instid0(VALU_DEP_1)
	v_and_or_b32 v6, 0x80, v6, v7
	global_store_b8 v[0:1], v6, off
.LBB225_115:
	s_mov_b32 s3, 0
.LBB225_116:
	s_delay_alu instid0(SALU_CYCLE_1)
	s_and_not1_b32 vcc_lo, exec_lo, s3
	s_cbranch_vccnz .LBB225_126
; %bb.117:
	v_cvt_f32_f64_e32 v6, v[4:5]
	s_mov_b32 s3, exec_lo
                                        ; implicit-def: $vgpr7
	s_delay_alu instid0(VALU_DEP_1) | instskip(NEXT) | instid1(VALU_DEP_1)
	v_and_b32_e32 v12, 0x7fffffff, v6
	v_cmpx_gt_u32_e32 0x47800000, v12
	s_xor_b32 s3, exec_lo, s3
	s_cbranch_execz .LBB225_123
; %bb.118:
	s_mov_b32 s22, exec_lo
                                        ; implicit-def: $vgpr7
	v_cmpx_lt_u32_e32 0x387fffff, v12
	s_xor_b32 s22, exec_lo, s22
; %bb.119:
	v_bfe_u32 v7, v6, 21, 1
	s_delay_alu instid0(VALU_DEP_1) | instskip(NEXT) | instid1(VALU_DEP_1)
	v_add3_u32 v7, v6, v7, 0x80fffff
	v_lshrrev_b32_e32 v7, 21, v7
; %bb.120:
	s_and_not1_saveexec_b32 s22, s22
; %bb.121:
	v_add_f32_e64 v7, 0x43000000, |v6|
; %bb.122:
	s_or_b32 exec_lo, exec_lo, s22
                                        ; implicit-def: $vgpr12
.LBB225_123:
	s_and_not1_saveexec_b32 s3, s3
; %bb.124:
	v_mov_b32_e32 v7, 0x7f
	v_cmp_lt_u32_e32 vcc_lo, 0x7f800000, v12
	s_delay_alu instid0(VALU_DEP_2)
	v_cndmask_b32_e32 v7, 0x7c, v7, vcc_lo
; %bb.125:
	s_or_b32 exec_lo, exec_lo, s3
	v_lshrrev_b32_e32 v6, 24, v6
	s_delay_alu instid0(VALU_DEP_1)
	v_and_or_b32 v6, 0x80, v6, v7
	global_store_b8 v[0:1], v6, off
.LBB225_126:
	s_mov_b32 s22, 0
	s_mov_b32 s3, -1
.LBB225_127:
	s_and_not1_b32 vcc_lo, exec_lo, s22
	s_cbranch_vccnz .LBB225_135
; %bb.128:
	v_cmp_lt_i16_e32 vcc_lo, 14, v11
	s_mov_b32 s22, -1
	s_cbranch_vccz .LBB225_132
; %bb.129:
	v_cmp_eq_u16_e32 vcc_lo, 15, v11
	s_mov_b32 s2, -1
	s_cbranch_vccz .LBB225_131
; %bb.130:
	v_cvt_f32_f64_e32 v6, v[4:5]
	s_mov_b32 s3, -1
	s_mov_b32 s2, 0
	s_delay_alu instid0(VALU_DEP_1) | instskip(SKIP_1) | instid1(VALU_DEP_2)
	v_bfe_u32 v7, v6, 16, 1
	v_cmp_o_f32_e32 vcc_lo, v6, v6
	v_add3_u32 v7, v6, v7, 0x7fff
	s_delay_alu instid0(VALU_DEP_1) | instskip(NEXT) | instid1(VALU_DEP_1)
	v_lshrrev_b32_e32 v7, 16, v7
	v_cndmask_b32_e32 v6, 0x7fc0, v7, vcc_lo
	global_store_b16 v[0:1], v6, off
.LBB225_131:
	s_mov_b32 s22, 0
.LBB225_132:
	s_delay_alu instid0(SALU_CYCLE_1)
	s_and_b32 vcc_lo, exec_lo, s22
	s_cbranch_vccz .LBB225_135
; %bb.133:
	v_cmp_eq_u16_e32 vcc_lo, 11, v11
	s_mov_b32 s2, -1
	s_cbranch_vccz .LBB225_135
; %bb.134:
	v_cmp_neq_f64_e32 vcc_lo, 0, v[4:5]
	v_cmp_neq_f64_e64 s2, 0, v[2:3]
	s_mov_b32 s3, -1
	s_delay_alu instid0(VALU_DEP_1) | instskip(NEXT) | instid1(SALU_CYCLE_1)
	s_or_b32 s2, vcc_lo, s2
	v_cndmask_b32_e64 v6, 0, 1, s2
	s_mov_b32 s2, 0
	global_store_b8 v[0:1], v6, off
.LBB225_135:
.LBB225_136:
	s_and_not1_b32 vcc_lo, exec_lo, s3
	s_cbranch_vccz .LBB225_176
	s_branch .LBB225_298
.LBB225_137:
	s_and_b32 vcc_lo, exec_lo, s22
	s_cbranch_vccz .LBB225_136
; %bb.138:
	v_cmp_gt_i16_e32 vcc_lo, 5, v11
	s_mov_b32 s3, -1
	s_cbranch_vccnz .LBB225_159
; %bb.139:
	v_cmp_gt_i16_e32 vcc_lo, 8, v11
	s_cbranch_vccnz .LBB225_149
; %bb.140:
	v_cmp_gt_i16_e32 vcc_lo, 9, v11
	s_cbranch_vccnz .LBB225_146
; %bb.141:
	v_cmp_lt_i16_e32 vcc_lo, 9, v11
	s_cbranch_vccz .LBB225_143
; %bb.142:
	v_dual_mov_b32 v6, v2 :: v_dual_mov_b32 v7, v3
	s_mov_b32 s3, 0
	global_store_b128 v[0:1], v[4:7], off
.LBB225_143:
	s_and_not1_b32 vcc_lo, exec_lo, s3
	s_cbranch_vccnz .LBB225_145
; %bb.144:
	v_cvt_f32_f64_e32 v6, v[4:5]
	v_cvt_f32_f64_e32 v7, v[2:3]
	global_store_b64 v[0:1], v[6:7], off
.LBB225_145:
	s_mov_b32 s3, 0
.LBB225_146:
	s_delay_alu instid0(SALU_CYCLE_1)
	s_and_not1_b32 vcc_lo, exec_lo, s3
	s_cbranch_vccnz .LBB225_148
; %bb.147:
	v_cvt_f32_f64_e32 v2, v[2:3]
	v_cvt_f32_f64_e32 v3, v[4:5]
	s_delay_alu instid0(VALU_DEP_2) | instskip(NEXT) | instid1(VALU_DEP_2)
	v_cvt_f16_f32_e32 v2, v2
	v_cvt_f16_f32_e32 v3, v3
	s_delay_alu instid0(VALU_DEP_2) | instskip(NEXT) | instid1(VALU_DEP_2)
	v_lshlrev_b32_e32 v2, 16, v2
	v_and_b32_e32 v3, 0xffff, v3
	s_delay_alu instid0(VALU_DEP_1)
	v_or_b32_e32 v2, v2, v3
	global_store_b32 v[0:1], v2, off
.LBB225_148:
	s_mov_b32 s3, 0
.LBB225_149:
	s_delay_alu instid0(SALU_CYCLE_1)
	s_and_not1_b32 vcc_lo, exec_lo, s3
	s_cbranch_vccnz .LBB225_158
; %bb.150:
	v_cmp_gt_i16_e32 vcc_lo, 6, v11
	s_mov_b32 s3, -1
	s_cbranch_vccnz .LBB225_156
; %bb.151:
	v_cmp_lt_i16_e32 vcc_lo, 6, v11
	s_cbranch_vccz .LBB225_153
; %bb.152:
	s_mov_b32 s3, 0
	global_store_b64 v[0:1], v[4:5], off
.LBB225_153:
	s_and_not1_b32 vcc_lo, exec_lo, s3
	s_cbranch_vccnz .LBB225_155
; %bb.154:
	v_cvt_f32_f64_e32 v2, v[4:5]
	global_store_b32 v[0:1], v2, off
.LBB225_155:
	s_mov_b32 s3, 0
.LBB225_156:
	s_delay_alu instid0(SALU_CYCLE_1)
	s_and_not1_b32 vcc_lo, exec_lo, s3
	s_cbranch_vccnz .LBB225_158
; %bb.157:
	v_cvt_f32_f64_e32 v2, v[4:5]
	s_delay_alu instid0(VALU_DEP_1)
	v_cvt_f16_f32_e32 v2, v2
	global_store_b16 v[0:1], v2, off
.LBB225_158:
	s_mov_b32 s3, 0
.LBB225_159:
	s_delay_alu instid0(SALU_CYCLE_1)
	s_and_not1_b32 vcc_lo, exec_lo, s3
	s_cbranch_vccnz .LBB225_175
; %bb.160:
	v_cmp_gt_i16_e32 vcc_lo, 2, v11
	s_mov_b32 s3, -1
	s_cbranch_vccnz .LBB225_170
; %bb.161:
	v_cmp_gt_i16_e32 vcc_lo, 3, v11
	s_cbranch_vccnz .LBB225_167
; %bb.162:
	v_cmp_lt_i16_e32 vcc_lo, 3, v11
	s_cbranch_vccz .LBB225_164
; %bb.163:
	v_trunc_f64_e32 v[2:3], v[4:5]
	s_mov_b32 s3, 0
	s_delay_alu instid0(VALU_DEP_1) | instskip(NEXT) | instid1(VALU_DEP_1)
	v_ldexp_f64 v[6:7], v[2:3], 0xffffffe0
	v_floor_f64_e32 v[6:7], v[6:7]
	s_delay_alu instid0(VALU_DEP_1) | instskip(SKIP_1) | instid1(VALU_DEP_2)
	v_fma_f64 v[2:3], 0xc1f00000, v[6:7], v[2:3]
	v_cvt_i32_f64_e32 v7, v[6:7]
	v_cvt_u32_f64_e32 v6, v[2:3]
	global_store_b64 v[0:1], v[6:7], off
.LBB225_164:
	s_and_not1_b32 vcc_lo, exec_lo, s3
	s_cbranch_vccnz .LBB225_166
; %bb.165:
	v_cvt_i32_f64_e32 v2, v[4:5]
	global_store_b32 v[0:1], v2, off
.LBB225_166:
	s_mov_b32 s3, 0
.LBB225_167:
	s_delay_alu instid0(SALU_CYCLE_1)
	s_and_not1_b32 vcc_lo, exec_lo, s3
	s_cbranch_vccnz .LBB225_169
; %bb.168:
	v_cvt_i32_f64_e32 v2, v[4:5]
	global_store_b16 v[0:1], v2, off
.LBB225_169:
	s_mov_b32 s3, 0
.LBB225_170:
	s_delay_alu instid0(SALU_CYCLE_1)
	s_and_not1_b32 vcc_lo, exec_lo, s3
	s_cbranch_vccnz .LBB225_175
; %bb.171:
	v_cmp_lt_i16_e32 vcc_lo, 0, v11
	s_mov_b32 s3, -1
	s_cbranch_vccz .LBB225_173
; %bb.172:
	v_cvt_i32_f64_e32 v2, v[4:5]
	s_mov_b32 s3, 0
	global_store_b8 v[0:1], v2, off
.LBB225_173:
	s_and_not1_b32 vcc_lo, exec_lo, s3
	s_cbranch_vccnz .LBB225_175
; %bb.174:
	v_trunc_f64_e32 v[2:3], v[4:5]
	s_delay_alu instid0(VALU_DEP_1) | instskip(NEXT) | instid1(VALU_DEP_1)
	v_ldexp_f64 v[4:5], v[2:3], 0xffffffe0
	v_floor_f64_e32 v[4:5], v[4:5]
	s_delay_alu instid0(VALU_DEP_1) | instskip(NEXT) | instid1(VALU_DEP_1)
	v_fma_f64 v[2:3], 0xc1f00000, v[4:5], v[2:3]
	v_cvt_u32_f64_e32 v2, v[2:3]
	global_store_b8 v[0:1], v2, off
.LBB225_175:
.LBB225_176:
	v_add_nc_u32_e32 v9, 0x80, v9
	s_mov_b32 s3, -1
	s_branch .LBB225_299
.LBB225_177:
	s_mov_b32 s35, -1
.LBB225_178:
	s_mov_b32 s22, 0
                                        ; implicit-def: $vgpr2_vgpr3
.LBB225_179:
	s_and_b32 vcc_lo, exec_lo, s2
	s_cbranch_vccz .LBB225_186
; %bb.180:
	v_cmp_eq_u16_e32 vcc_lo, 44, v8
	s_cbranch_vccz .LBB225_184
; %bb.181:
	global_load_u8 v2, v[4:5], off
	s_mov_b32 s35, 0
	s_mov_b32 s22, -1
	s_mov_b64 s[2:3], 0
	s_waitcnt vmcnt(0)
	v_cmp_ne_u32_e32 vcc_lo, 0xff, v2
	v_lshlrev_b32_e32 v0, 23, v2
	s_delay_alu instid0(VALU_DEP_1) | instskip(NEXT) | instid1(VALU_DEP_1)
	v_cvt_f64_f32_e32 v[0:1], v0
	v_cndmask_b32_e32 v1, 0x7ff80000, v1, vcc_lo
	s_delay_alu instid0(VALU_DEP_2) | instskip(SKIP_1) | instid1(VALU_DEP_3)
	v_cndmask_b32_e32 v0, 0x20000000, v0, vcc_lo
	v_cmp_ne_u32_e32 vcc_lo, 0, v2
	v_cndmask_b32_e32 v1, 0x38000000, v1, vcc_lo
	s_delay_alu instid0(VALU_DEP_3)
	v_cndmask_b32_e32 v0, 0, v0, vcc_lo
	s_branch .LBB225_185
.LBB225_182:
	s_or_saveexec_b32 s23, s23
                                        ; implicit-def: $sgpr34
	s_delay_alu instid0(SALU_CYCLE_1)
	s_xor_b32 exec_lo, exec_lo, s23
	s_cbranch_execz .LBB225_88
.LBB225_183:
	v_add_f32_e64 v7, 0x46000000, |v6|
	s_and_not1_b32 s22, s22, exec_lo
	s_mov_b32 s34, 0
	s_delay_alu instid0(VALU_DEP_1) | instskip(NEXT) | instid1(VALU_DEP_1)
	v_and_b32_e32 v7, 0xff, v7
	v_cmp_ne_u32_e32 vcc_lo, 0, v7
	s_and_b32 s38, vcc_lo, exec_lo
	s_delay_alu instid0(SALU_CYCLE_1)
	s_or_b32 s22, s22, s38
	s_or_b32 exec_lo, exec_lo, s23
	v_mov_b32_e32 v12, s34
	s_and_saveexec_b32 s23, s22
	s_cbranch_execnz .LBB225_89
	s_branch .LBB225_90
.LBB225_184:
	s_mov_b32 s35, -1
                                        ; implicit-def: $sgpr2_sgpr3
                                        ; implicit-def: $vgpr0_vgpr1
.LBB225_185:
	v_dual_mov_b32 v2, s2 :: v_dual_mov_b32 v3, s3
.LBB225_186:
	s_mov_b32 s2, 0
.LBB225_187:
	s_delay_alu instid0(SALU_CYCLE_1)
	s_and_b32 vcc_lo, exec_lo, s2
	s_cbranch_vccz .LBB225_192
; %bb.188:
	v_cmp_eq_u16_e32 vcc_lo, 29, v8
	s_cbranch_vccz .LBB225_190
; %bb.189:
	global_load_b64 v[0:1], v[4:5], off
	s_mov_b32 s22, -1
	s_mov_b32 s35, 0
	s_mov_b64 s[2:3], 0
	s_waitcnt vmcnt(0)
	v_cvt_f64_u32_e32 v[1:2], v1
	v_cvt_f64_u32_e32 v[11:12], v0
	s_delay_alu instid0(VALU_DEP_2) | instskip(NEXT) | instid1(VALU_DEP_1)
	v_ldexp_f64 v[1:2], v[1:2], 32
	v_add_f64 v[0:1], v[1:2], v[11:12]
	s_branch .LBB225_191
.LBB225_190:
	s_mov_b32 s35, -1
                                        ; implicit-def: $sgpr2_sgpr3
                                        ; implicit-def: $vgpr0_vgpr1
.LBB225_191:
	v_dual_mov_b32 v2, s2 :: v_dual_mov_b32 v3, s3
.LBB225_192:
	s_mov_b32 s2, 0
.LBB225_193:
	s_delay_alu instid0(SALU_CYCLE_1)
	s_and_b32 vcc_lo, exec_lo, s2
	s_cbranch_vccz .LBB225_213
; %bb.194:
	v_cmp_gt_i16_e32 vcc_lo, 27, v8
	s_cbranch_vccnz .LBB225_197
; %bb.195:
	v_cmp_lt_i16_e32 vcc_lo, 27, v8
	s_cbranch_vccz .LBB225_198
; %bb.196:
	global_load_b32 v0, v[4:5], off
	s_mov_b32 s22, 0
	s_mov_b64 s[2:3], 0
	s_waitcnt vmcnt(0)
	v_cvt_f64_u32_e32 v[0:1], v0
	s_branch .LBB225_199
.LBB225_197:
	s_mov_b32 s22, -1
                                        ; implicit-def: $sgpr2_sgpr3
                                        ; implicit-def: $vgpr0_vgpr1
	s_branch .LBB225_202
.LBB225_198:
	s_mov_b32 s22, -1
                                        ; implicit-def: $sgpr2_sgpr3
                                        ; implicit-def: $vgpr0_vgpr1
.LBB225_199:
	s_delay_alu instid0(SALU_CYCLE_1)
	s_and_not1_b32 vcc_lo, exec_lo, s22
	s_cbranch_vccnz .LBB225_201
; %bb.200:
	global_load_u16 v0, v[4:5], off
	s_mov_b64 s[2:3], 0
	s_waitcnt vmcnt(0)
	v_cvt_f64_u32_e32 v[0:1], v0
.LBB225_201:
	s_mov_b32 s22, 0
.LBB225_202:
	v_dual_mov_b32 v2, s2 :: v_dual_mov_b32 v3, s3
	s_and_not1_b32 vcc_lo, exec_lo, s22
	s_cbranch_vccnz .LBB225_212
; %bb.203:
	global_load_u8 v7, v[4:5], off
	s_mov_b32 s34, 0
	s_mov_b32 s38, exec_lo
                                        ; implicit-def: $sgpr2_sgpr3
                                        ; implicit-def: $sgpr22_sgpr23
	s_waitcnt vmcnt(0)
	v_cmpx_lt_i16_e32 0x7f, v7
	s_xor_b32 s38, exec_lo, s38
	s_cbranch_execz .LBB225_207
; %bb.204:
	s_mov_b32 s34, -1
	s_mov_b32 s39, exec_lo
                                        ; implicit-def: $sgpr2_sgpr3
                                        ; implicit-def: $sgpr22_sgpr23
	v_cmpx_eq_u16_e32 0x80, v7
; %bb.205:
	s_mov_b64 s[2:3], 0
	s_mov_b32 s23, 0x7ff80000
	s_brev_b32 s22, 4
	s_xor_b32 s34, exec_lo, -1
; %bb.206:
	s_or_b32 exec_lo, exec_lo, s39
	s_delay_alu instid0(SALU_CYCLE_1)
	s_and_b32 s34, s34, exec_lo
.LBB225_207:
	s_or_saveexec_b32 s38, s38
	v_dual_mov_b32 v2, s2 :: v_dual_mov_b32 v3, s3
	v_dual_mov_b32 v0, s22 :: v_dual_mov_b32 v1, s23
	s_xor_b32 exec_lo, exec_lo, s38
; %bb.208:
	v_mov_b32_e32 v2, 0
	v_mov_b32_e32 v3, 0
	v_cmp_ne_u16_e32 vcc_lo, 0, v7
	s_delay_alu instid0(VALU_DEP_3) | instskip(SKIP_1) | instid1(VALU_DEP_3)
	v_mov_b32_e32 v0, v2
	s_and_not1_b32 s2, s34, exec_lo
	v_mov_b32_e32 v1, v3
	s_and_b32 s3, vcc_lo, exec_lo
	s_delay_alu instid0(SALU_CYCLE_1)
	s_or_b32 s34, s2, s3
; %bb.209:
	s_or_b32 exec_lo, exec_lo, s38
	s_and_saveexec_b32 s2, s34
	s_cbranch_execz .LBB225_211
; %bb.210:
	v_and_b32_e32 v0, 0xffff, v7
	v_lshlrev_b32_e32 v7, 24, v7
	s_delay_alu instid0(VALU_DEP_2) | instskip(NEXT) | instid1(VALU_DEP_1)
	v_and_b32_e32 v1, 7, v0
	v_clz_i32_u32_e32 v2, v1
	s_delay_alu instid0(VALU_DEP_1) | instskip(NEXT) | instid1(VALU_DEP_1)
	v_min_u32_e32 v2, 32, v2
	v_subrev_nc_u32_e32 v3, 28, v2
	v_sub_nc_u32_e32 v2, 29, v2
	s_delay_alu instid0(VALU_DEP_2) | instskip(SKIP_1) | instid1(VALU_DEP_2)
	v_lshlrev_b32_e32 v3, v3, v0
	v_bfe_u32 v0, v0, 3, 4
	v_and_b32_e32 v3, 7, v3
	s_delay_alu instid0(VALU_DEP_2) | instskip(NEXT) | instid1(VALU_DEP_2)
	v_cmp_eq_u32_e32 vcc_lo, 0, v0
	v_dual_cndmask_b32 v0, v0, v2 :: v_dual_cndmask_b32 v1, v1, v3
	v_and_b32_e32 v2, 0x80000000, v7
	s_delay_alu instid0(VALU_DEP_2) | instskip(NEXT) | instid1(VALU_DEP_3)
	v_lshl_add_u32 v0, v0, 23, 0x3b800000
	v_lshlrev_b32_e32 v1, 20, v1
	s_delay_alu instid0(VALU_DEP_1) | instskip(SKIP_2) | instid1(VALU_DEP_3)
	v_or3_b32 v0, v2, v0, v1
	v_mov_b32_e32 v2, 0
	v_mov_b32_e32 v3, 0
	v_cvt_f64_f32_e32 v[0:1], v0
.LBB225_211:
	s_or_b32 exec_lo, exec_lo, s2
.LBB225_212:
	s_mov_b32 s22, -1
.LBB225_213:
	s_branch .LBB225_247
.LBB225_214:
	v_cmp_lt_i16_e32 vcc_lo, 22, v8
	s_cbranch_vccz .LBB225_226
; %bb.215:
	v_cmp_gt_i16_e32 vcc_lo, 24, v8
	s_cbranch_vccnz .LBB225_227
; %bb.216:
	v_cmp_lt_i16_e32 vcc_lo, 24, v8
	s_cbranch_vccz .LBB225_228
; %bb.217:
	global_load_u8 v7, v[4:5], off
	s_mov_b32 s34, 0
	s_mov_b32 s38, exec_lo
                                        ; implicit-def: $sgpr2_sgpr3
                                        ; implicit-def: $sgpr22_sgpr23
	s_waitcnt vmcnt(0)
	v_cmpx_lt_i16_e32 0x7f, v7
	s_xor_b32 s38, exec_lo, s38
	s_cbranch_execz .LBB225_221
; %bb.218:
	s_mov_b32 s34, -1
	s_mov_b32 s39, exec_lo
                                        ; implicit-def: $sgpr2_sgpr3
                                        ; implicit-def: $sgpr22_sgpr23
	v_cmpx_eq_u16_e32 0x80, v7
; %bb.219:
	s_mov_b64 s[2:3], 0
	s_mov_b32 s23, 0x7ff80000
	s_brev_b32 s22, 4
	s_xor_b32 s34, exec_lo, -1
; %bb.220:
	s_or_b32 exec_lo, exec_lo, s39
	s_delay_alu instid0(SALU_CYCLE_1)
	s_and_b32 s34, s34, exec_lo
.LBB225_221:
	s_or_saveexec_b32 s38, s38
	v_dual_mov_b32 v2, s2 :: v_dual_mov_b32 v3, s3
	v_dual_mov_b32 v0, s22 :: v_dual_mov_b32 v1, s23
	s_xor_b32 exec_lo, exec_lo, s38
; %bb.222:
	v_mov_b32_e32 v2, 0
	v_mov_b32_e32 v3, 0
	v_cmp_ne_u16_e32 vcc_lo, 0, v7
	s_delay_alu instid0(VALU_DEP_3) | instskip(SKIP_1) | instid1(VALU_DEP_3)
	v_mov_b32_e32 v0, v2
	s_and_not1_b32 s2, s34, exec_lo
	v_mov_b32_e32 v1, v3
	s_and_b32 s3, vcc_lo, exec_lo
	s_delay_alu instid0(SALU_CYCLE_1)
	s_or_b32 s34, s2, s3
; %bb.223:
	s_or_b32 exec_lo, exec_lo, s38
	s_and_saveexec_b32 s2, s34
	s_cbranch_execz .LBB225_225
; %bb.224:
	v_and_b32_e32 v0, 0xffff, v7
	v_lshlrev_b32_e32 v7, 24, v7
	s_delay_alu instid0(VALU_DEP_2) | instskip(NEXT) | instid1(VALU_DEP_1)
	v_and_b32_e32 v1, 3, v0
	v_clz_i32_u32_e32 v2, v1
	s_delay_alu instid0(VALU_DEP_1) | instskip(NEXT) | instid1(VALU_DEP_1)
	v_min_u32_e32 v2, 32, v2
	v_subrev_nc_u32_e32 v3, 29, v2
	v_sub_nc_u32_e32 v2, 30, v2
	s_delay_alu instid0(VALU_DEP_2) | instskip(SKIP_1) | instid1(VALU_DEP_2)
	v_lshlrev_b32_e32 v3, v3, v0
	v_bfe_u32 v0, v0, 2, 5
	v_and_b32_e32 v3, 3, v3
	s_delay_alu instid0(VALU_DEP_2) | instskip(NEXT) | instid1(VALU_DEP_2)
	v_cmp_eq_u32_e32 vcc_lo, 0, v0
	v_dual_cndmask_b32 v0, v0, v2 :: v_dual_cndmask_b32 v1, v1, v3
	v_and_b32_e32 v2, 0x80000000, v7
	s_delay_alu instid0(VALU_DEP_2) | instskip(NEXT) | instid1(VALU_DEP_3)
	v_lshl_add_u32 v0, v0, 23, 0x37800000
	v_lshlrev_b32_e32 v1, 21, v1
	s_delay_alu instid0(VALU_DEP_1) | instskip(SKIP_2) | instid1(VALU_DEP_3)
	v_or3_b32 v0, v2, v0, v1
	v_mov_b32_e32 v2, 0
	v_mov_b32_e32 v3, 0
	v_cvt_f64_f32_e32 v[0:1], v0
.LBB225_225:
	s_or_b32 exec_lo, exec_lo, s2
	s_mov_b32 s2, 0
	s_branch .LBB225_229
.LBB225_226:
	s_mov_b32 s2, -1
                                        ; implicit-def: $vgpr2_vgpr3
	s_branch .LBB225_235
.LBB225_227:
	s_mov_b32 s2, -1
                                        ; implicit-def: $vgpr2_vgpr3
	s_branch .LBB225_232
.LBB225_228:
	s_mov_b32 s2, -1
                                        ; implicit-def: $vgpr2_vgpr3
.LBB225_229:
	s_delay_alu instid0(SALU_CYCLE_1)
	s_and_b32 vcc_lo, exec_lo, s2
	s_cbranch_vccz .LBB225_231
; %bb.230:
	global_load_u8 v0, v[4:5], off
	s_waitcnt vmcnt(0)
	v_lshlrev_b32_e32 v0, 24, v0
	s_delay_alu instid0(VALU_DEP_1) | instskip(NEXT) | instid1(VALU_DEP_1)
	v_and_b32_e32 v1, 0x7f000000, v0
	v_clz_i32_u32_e32 v2, v1
	v_add_nc_u32_e32 v7, 0x1000000, v1
	v_cmp_ne_u32_e32 vcc_lo, 0, v1
	s_delay_alu instid0(VALU_DEP_3) | instskip(NEXT) | instid1(VALU_DEP_1)
	v_min_u32_e32 v2, 32, v2
	v_sub_nc_u32_e64 v2, v2, 4 clamp
	s_delay_alu instid0(VALU_DEP_1) | instskip(SKIP_1) | instid1(VALU_DEP_2)
	v_lshlrev_b32_e32 v3, v2, v1
	v_lshlrev_b32_e32 v2, 23, v2
	v_lshrrev_b32_e32 v3, 4, v3
	s_delay_alu instid0(VALU_DEP_1) | instskip(SKIP_1) | instid1(VALU_DEP_2)
	v_sub_nc_u32_e32 v2, v3, v2
	v_ashrrev_i32_e32 v3, 8, v7
	v_add_nc_u32_e32 v2, 0x3c000000, v2
	s_delay_alu instid0(VALU_DEP_1) | instskip(NEXT) | instid1(VALU_DEP_1)
	v_and_or_b32 v2, 0x7f800000, v3, v2
	v_dual_cndmask_b32 v1, 0, v2 :: v_dual_mov_b32 v2, 0
	v_mov_b32_e32 v3, 0
	s_delay_alu instid0(VALU_DEP_2) | instskip(NEXT) | instid1(VALU_DEP_1)
	v_and_or_b32 v0, 0x80000000, v0, v1
	v_cvt_f64_f32_e32 v[0:1], v0
.LBB225_231:
	s_mov_b32 s2, 0
.LBB225_232:
	s_delay_alu instid0(SALU_CYCLE_1)
	s_and_not1_b32 vcc_lo, exec_lo, s2
	s_cbranch_vccnz .LBB225_234
; %bb.233:
	global_load_u8 v0, v[4:5], off
	s_waitcnt vmcnt(0)
	v_lshlrev_b32_e32 v1, 25, v0
	v_lshlrev_b16 v0, 8, v0
	s_delay_alu instid0(VALU_DEP_2) | instskip(NEXT) | instid1(VALU_DEP_2)
	v_lshrrev_b32_e32 v2, 4, v1
	v_and_or_b32 v3, 0x7f00, v0, 0.5
	v_bfe_i32 v0, v0, 0, 16
	s_delay_alu instid0(VALU_DEP_3) | instskip(NEXT) | instid1(VALU_DEP_1)
	v_or_b32_e32 v2, 0x70000000, v2
	v_dual_add_f32 v3, -0.5, v3 :: v_dual_mul_f32 v2, 0x7800000, v2
	v_cmp_gt_u32_e32 vcc_lo, 0x8000000, v1
	s_delay_alu instid0(VALU_DEP_2) | instskip(SKIP_1) | instid1(VALU_DEP_2)
	v_dual_cndmask_b32 v1, v2, v3 :: v_dual_mov_b32 v2, 0
	v_mov_b32_e32 v3, 0
	v_and_or_b32 v0, 0x80000000, v0, v1
	s_delay_alu instid0(VALU_DEP_1)
	v_cvt_f64_f32_e32 v[0:1], v0
.LBB225_234:
	s_mov_b32 s2, 0
	s_mov_b32 s22, -1
.LBB225_235:
	s_and_not1_b32 vcc_lo, exec_lo, s2
	s_cbranch_vccnz .LBB225_247
; %bb.236:
	v_cmp_lt_i16_e32 vcc_lo, 14, v8
	s_cbranch_vccz .LBB225_239
; %bb.237:
	v_cmp_eq_u16_e32 vcc_lo, 15, v8
	s_cbranch_vccz .LBB225_240
; %bb.238:
	global_load_u16 v0, v[4:5], off
	s_mov_b32 s22, -1
	s_mov_b32 s35, 0
	s_mov_b64 s[2:3], 0
	s_waitcnt vmcnt(0)
	v_lshlrev_b32_e32 v0, 16, v0
	s_delay_alu instid0(VALU_DEP_1)
	v_cvt_f64_f32_e32 v[0:1], v0
	s_branch .LBB225_241
.LBB225_239:
	s_mov_b32 s23, -1
                                        ; implicit-def: $sgpr2_sgpr3
                                        ; implicit-def: $vgpr0_vgpr1
	s_branch .LBB225_242
.LBB225_240:
	s_mov_b32 s35, -1
                                        ; implicit-def: $sgpr2_sgpr3
                                        ; implicit-def: $vgpr0_vgpr1
.LBB225_241:
	s_mov_b32 s23, 0
.LBB225_242:
	s_delay_alu instid0(SALU_CYCLE_1)
	s_and_b32 vcc_lo, exec_lo, s23
	s_cbranch_vccz .LBB225_246
; %bb.243:
	v_cmp_eq_u16_e32 vcc_lo, 11, v8
	s_cbranch_vccz .LBB225_245
; %bb.244:
	global_load_u8 v0, v[4:5], off
	s_mov_b32 s35, 0
	s_mov_b32 s22, -1
	s_mov_b64 s[2:3], 0
	s_waitcnt vmcnt(0)
	v_cmp_ne_u16_e32 vcc_lo, 0, v0
	v_mov_b32_e32 v0, 0
	v_cndmask_b32_e64 v1, 0, 0x3ff00000, vcc_lo
	s_branch .LBB225_246
.LBB225_245:
	s_mov_b32 s35, -1
                                        ; implicit-def: $sgpr2_sgpr3
                                        ; implicit-def: $vgpr0_vgpr1
.LBB225_246:
	v_dual_mov_b32 v2, s2 :: v_dual_mov_b32 v3, s3
.LBB225_247:
	s_branch .LBB225_23
.LBB225_248:
	v_cmp_gt_i16_e32 vcc_lo, 5, v8
	s_cbranch_vccnz .LBB225_253
; %bb.249:
	v_cmp_gt_i16_e32 vcc_lo, 8, v8
	s_cbranch_vccnz .LBB225_254
; %bb.250:
	;; [unrolled: 3-line block ×3, first 2 shown]
	v_cmp_lt_i16_e32 vcc_lo, 9, v8
	s_cbranch_vccz .LBB225_256
; %bb.252:
	global_load_b128 v[0:3], v[4:5], off
	s_mov_b32 s2, 0
	s_branch .LBB225_257
.LBB225_253:
                                        ; implicit-def: $vgpr2_vgpr3
	s_branch .LBB225_276
.LBB225_254:
	s_mov_b32 s2, -1
                                        ; implicit-def: $vgpr2_vgpr3
	s_branch .LBB225_263
.LBB225_255:
	s_mov_b32 s2, -1
                                        ; implicit-def: $vgpr2_vgpr3
	s_branch .LBB225_260
.LBB225_256:
	s_mov_b32 s2, -1
                                        ; implicit-def: $vgpr2_vgpr3
.LBB225_257:
	s_delay_alu instid0(SALU_CYCLE_1)
	s_and_not1_b32 vcc_lo, exec_lo, s2
	s_cbranch_vccnz .LBB225_259
; %bb.258:
	global_load_b64 v[1:2], v[4:5], off
	s_waitcnt vmcnt(0)
	v_cvt_f64_f32_e32 v[0:1], v1
	v_cvt_f64_f32_e32 v[2:3], v2
.LBB225_259:
	s_mov_b32 s2, 0
.LBB225_260:
	s_delay_alu instid0(SALU_CYCLE_1)
	s_and_not1_b32 vcc_lo, exec_lo, s2
	s_cbranch_vccnz .LBB225_262
; %bb.261:
	global_load_b32 v0, v[4:5], off
	s_waitcnt vmcnt(0)
	v_lshrrev_b32_e32 v1, 16, v0
	v_cvt_f32_f16_e32 v0, v0
	s_delay_alu instid0(VALU_DEP_2) | instskip(NEXT) | instid1(VALU_DEP_2)
	v_cvt_f32_f16_e32 v2, v1
	v_cvt_f64_f32_e32 v[0:1], v0
	s_delay_alu instid0(VALU_DEP_2)
	v_cvt_f64_f32_e32 v[2:3], v2
.LBB225_262:
	s_mov_b32 s2, 0
.LBB225_263:
	s_delay_alu instid0(SALU_CYCLE_1)
	s_and_not1_b32 vcc_lo, exec_lo, s2
	s_cbranch_vccnz .LBB225_275
; %bb.264:
	v_cmp_gt_i16_e32 vcc_lo, 6, v8
	s_cbranch_vccnz .LBB225_267
; %bb.265:
	v_cmp_lt_i16_e32 vcc_lo, 6, v8
	s_cbranch_vccz .LBB225_268
; %bb.266:
	global_load_b64 v[0:1], v[4:5], off
	s_mov_b32 s22, 0
	s_mov_b64 s[2:3], 0
	s_branch .LBB225_269
.LBB225_267:
	s_mov_b32 s22, -1
                                        ; implicit-def: $sgpr2_sgpr3
                                        ; implicit-def: $vgpr0_vgpr1
	s_branch .LBB225_272
.LBB225_268:
	s_mov_b32 s22, -1
                                        ; implicit-def: $sgpr2_sgpr3
                                        ; implicit-def: $vgpr0_vgpr1
.LBB225_269:
	s_delay_alu instid0(SALU_CYCLE_1)
	s_and_not1_b32 vcc_lo, exec_lo, s22
	s_cbranch_vccnz .LBB225_271
; %bb.270:
	global_load_b32 v0, v[4:5], off
	s_mov_b64 s[2:3], 0
	s_waitcnt vmcnt(0)
	v_cvt_f64_f32_e32 v[0:1], v0
.LBB225_271:
	s_mov_b32 s22, 0
.LBB225_272:
	s_delay_alu instid0(SALU_CYCLE_1)
	s_and_not1_b32 vcc_lo, exec_lo, s22
	s_cbranch_vccnz .LBB225_274
; %bb.273:
	global_load_u16 v0, v[4:5], off
	s_mov_b64 s[2:3], 0
	s_waitcnt vmcnt(0)
	v_cvt_f32_f16_e32 v0, v0
	s_delay_alu instid0(VALU_DEP_1)
	v_cvt_f64_f32_e32 v[0:1], v0
.LBB225_274:
	s_waitcnt vmcnt(0)
	v_dual_mov_b32 v2, s2 :: v_dual_mov_b32 v3, s3
.LBB225_275:
	s_cbranch_execnz .LBB225_296
.LBB225_276:
	v_cmp_gt_i16_e32 vcc_lo, 2, v8
	s_cbranch_vccnz .LBB225_280
; %bb.277:
	v_cmp_gt_i16_e32 vcc_lo, 3, v8
	s_cbranch_vccnz .LBB225_281
; %bb.278:
	v_cmp_lt_i16_e32 vcc_lo, 3, v8
	s_cbranch_vccz .LBB225_282
; %bb.279:
	global_load_b64 v[0:1], v[4:5], off
	s_mov_b32 s22, 0
	s_mov_b64 s[2:3], 0
	s_waitcnt vmcnt(0)
	v_cvt_f64_i32_e32 v[1:2], v1
	v_cvt_f64_u32_e32 v[11:12], v0
	s_delay_alu instid0(VALU_DEP_2) | instskip(NEXT) | instid1(VALU_DEP_1)
	v_ldexp_f64 v[1:2], v[1:2], 32
	v_add_f64 v[0:1], v[1:2], v[11:12]
	s_branch .LBB225_283
.LBB225_280:
	s_mov_b32 s22, -1
                                        ; implicit-def: $sgpr2_sgpr3
                                        ; implicit-def: $vgpr0_vgpr1
	s_branch .LBB225_289
.LBB225_281:
	s_mov_b32 s22, -1
                                        ; implicit-def: $sgpr2_sgpr3
                                        ; implicit-def: $vgpr0_vgpr1
	s_branch .LBB225_286
.LBB225_282:
	s_mov_b32 s22, -1
                                        ; implicit-def: $sgpr2_sgpr3
                                        ; implicit-def: $vgpr0_vgpr1
.LBB225_283:
	s_delay_alu instid0(SALU_CYCLE_1)
	s_and_not1_b32 vcc_lo, exec_lo, s22
	s_cbranch_vccnz .LBB225_285
; %bb.284:
	global_load_b32 v0, v[4:5], off
	s_mov_b64 s[2:3], 0
	s_waitcnt vmcnt(0)
	v_cvt_f64_i32_e32 v[0:1], v0
.LBB225_285:
	s_mov_b32 s22, 0
.LBB225_286:
	s_delay_alu instid0(SALU_CYCLE_1)
	s_and_not1_b32 vcc_lo, exec_lo, s22
	s_cbranch_vccnz .LBB225_288
; %bb.287:
	global_load_i16 v0, v[4:5], off
	s_mov_b64 s[2:3], 0
	s_waitcnt vmcnt(0)
	v_cvt_f64_i32_e32 v[0:1], v0
.LBB225_288:
	s_mov_b32 s22, 0
.LBB225_289:
	s_delay_alu instid0(SALU_CYCLE_1)
	s_and_not1_b32 vcc_lo, exec_lo, s22
	s_cbranch_vccnz .LBB225_295
; %bb.290:
	v_cmp_lt_i16_e32 vcc_lo, 0, v8
	s_mov_b32 s22, 0
	s_cbranch_vccz .LBB225_292
; %bb.291:
	global_load_i8 v0, v[4:5], off
	s_mov_b64 s[2:3], 0
	s_waitcnt vmcnt(0)
	v_cvt_f64_i32_e32 v[0:1], v0
	s_branch .LBB225_293
.LBB225_292:
	s_mov_b32 s22, -1
                                        ; implicit-def: $sgpr2_sgpr3
                                        ; implicit-def: $vgpr0_vgpr1
.LBB225_293:
	s_delay_alu instid0(SALU_CYCLE_1)
	s_and_not1_b32 vcc_lo, exec_lo, s22
	s_cbranch_vccnz .LBB225_295
; %bb.294:
	global_load_u8 v0, v[4:5], off
	s_mov_b64 s[2:3], 0
	s_waitcnt vmcnt(0)
	v_cvt_f64_u32_e32 v[0:1], v0
.LBB225_295:
	s_waitcnt vmcnt(0)
	v_dual_mov_b32 v2, s2 :: v_dual_mov_b32 v3, s3
.LBB225_296:
	s_branch .LBB225_24
.LBB225_297:
	s_mov_b32 s2, 0
.LBB225_298:
	s_mov_b32 s3, 0
                                        ; implicit-def: $vgpr9
.LBB225_299:
	s_and_b32 s34, s2, exec_lo
	s_and_b32 s35, s35, exec_lo
	s_or_not1_b32 s3, s3, exec_lo
.LBB225_300:
	s_or_b32 exec_lo, exec_lo, s36
	s_mov_b32 s2, 0
	s_mov_b32 s22, 0
                                        ; implicit-def: $vgpr4_vgpr5
                                        ; implicit-def: $vgpr6
                                        ; implicit-def: $vgpr2_vgpr3
	s_and_saveexec_b32 s36, s3
	s_cbranch_execz .LBB225_1020
; %bb.301:
	s_mov_b32 s22, -1
	s_mov_b32 s37, s35
	s_mov_b32 s38, s34
	s_mov_b32 s39, exec_lo
	v_cmpx_gt_i32_e64 s30, v9
	s_cbranch_execz .LBB225_607
; %bb.302:
	s_and_not1_b32 vcc_lo, exec_lo, s27
	s_cbranch_vccnz .LBB225_307
; %bb.303:
	v_mov_b32_e32 v6, 0
	s_waitcnt vmcnt(0)
	v_mov_b32_e32 v0, 0
	s_and_not1_b32 vcc_lo, exec_lo, s33
	s_mov_b32 s37, 0
	s_cbranch_vccnz .LBB225_312
; %bb.304:
	v_mov_b32_e32 v6, 0
	s_add_i32 s40, s31, 1
	s_cmp_eq_u32 s25, 2
	s_mov_b32 s38, 0
	s_cbranch_scc1 .LBB225_308
; %bb.305:
	v_dual_mov_b32 v0, 0 :: v_dual_mov_b32 v1, v9
	v_mov_b32_e32 v6, 0
	s_and_b32 s38, s40, 28
	s_mov_b32 s41, 0
	s_mov_b64 s[2:3], s[20:21]
	s_mov_b64 s[22:23], s[16:17]
.LBB225_306:                            ; =>This Inner Loop Header: Depth=1
	s_clause 0x1
	s_load_b256 s[44:51], s[22:23], 0x4
	s_load_b128 s[60:63], s[22:23], 0x24
	s_load_b256 s[52:59], s[2:3], 0x0
	s_add_u32 s22, s22, 48
	s_addc_u32 s23, s23, 0
	s_add_i32 s41, s41, 4
	s_add_u32 s2, s2, 32
	s_addc_u32 s3, s3, 0
	s_cmp_eq_u32 s38, s41
	s_waitcnt lgkmcnt(0)
	v_mul_hi_u32 v2, s45, v1
	s_delay_alu instid0(VALU_DEP_1) | instskip(NEXT) | instid1(VALU_DEP_1)
	v_add_nc_u32_e32 v2, v1, v2
	v_lshrrev_b32_e32 v2, s46, v2
	s_delay_alu instid0(VALU_DEP_1) | instskip(SKIP_1) | instid1(VALU_DEP_2)
	v_mul_hi_u32 v3, s48, v2
	v_mul_lo_u32 v5, v2, s44
	v_add_nc_u32_e32 v3, v2, v3
	s_delay_alu instid0(VALU_DEP_2) | instskip(NEXT) | instid1(VALU_DEP_2)
	v_sub_nc_u32_e32 v1, v1, v5
	v_lshrrev_b32_e32 v3, s49, v3
	s_delay_alu instid0(VALU_DEP_2) | instskip(SKIP_1) | instid1(VALU_DEP_3)
	v_mul_lo_u32 v5, v1, s52
	v_mul_lo_u32 v11, v1, s53
	v_mul_hi_u32 v4, s51, v3
	s_delay_alu instid0(VALU_DEP_1) | instskip(NEXT) | instid1(VALU_DEP_1)
	v_add_nc_u32_e32 v4, v3, v4
	v_lshrrev_b32_e32 v4, s60, v4
	s_delay_alu instid0(VALU_DEP_1) | instskip(SKIP_1) | instid1(VALU_DEP_2)
	v_mul_hi_u32 v7, s62, v4
	v_mul_lo_u32 v12, v4, s50
	v_add_nc_u32_e32 v1, v4, v7
	v_mul_lo_u32 v7, v3, s47
	s_delay_alu instid0(VALU_DEP_3) | instskip(NEXT) | instid1(VALU_DEP_3)
	v_sub_nc_u32_e32 v3, v3, v12
	v_lshrrev_b32_e32 v1, s63, v1
	s_delay_alu instid0(VALU_DEP_2) | instskip(SKIP_2) | instid1(VALU_DEP_4)
	v_mul_lo_u32 v12, v3, s56
	v_mul_lo_u32 v3, v3, s57
	v_sub_nc_u32_e32 v2, v2, v7
	v_mul_lo_u32 v13, v1, s61
	s_delay_alu instid0(VALU_DEP_2) | instskip(SKIP_1) | instid1(VALU_DEP_3)
	v_mul_lo_u32 v7, v2, s54
	v_mul_lo_u32 v2, v2, s55
	v_sub_nc_u32_e32 v4, v4, v13
	s_delay_alu instid0(VALU_DEP_3) | instskip(NEXT) | instid1(VALU_DEP_2)
	v_add3_u32 v5, v5, v6, v7
	v_mul_lo_u32 v13, v4, s58
	v_mul_lo_u32 v4, v4, s59
	v_add3_u32 v0, v11, v0, v2
	s_delay_alu instid0(VALU_DEP_3) | instskip(NEXT) | instid1(VALU_DEP_2)
	v_add3_u32 v6, v12, v5, v13
	v_add3_u32 v0, v3, v0, v4
	s_cbranch_scc0 .LBB225_306
	s_branch .LBB225_309
.LBB225_307:
	s_mov_b32 s37, -1
                                        ; implicit-def: $vgpr6
                                        ; implicit-def: $vgpr0
	s_branch .LBB225_312
.LBB225_308:
	v_dual_mov_b32 v1, v9 :: v_dual_mov_b32 v0, 0
.LBB225_309:
	s_and_b32 s40, s40, 3
	s_delay_alu instid0(SALU_CYCLE_1)
	s_cmp_eq_u32 s40, 0
	s_cbranch_scc1 .LBB225_312
; %bb.310:
	s_lshl_b32 s2, s38, 3
	s_mul_i32 s22, s38, 12
	s_add_u32 s2, s2, s16
	s_addc_u32 s3, s17, 0
	s_add_u32 s2, s2, 0xc4
	s_addc_u32 s3, s3, 0
	;; [unrolled: 2-line block ×3, first 2 shown]
	.p2align	6
.LBB225_311:                            ; =>This Inner Loop Header: Depth=1
	s_clause 0x1
	s_load_b64 s[42:43], s[22:23], 0x4
	s_load_b32 s38, s[22:23], 0xc
	s_load_b64 s[44:45], s[2:3], 0x0
	s_add_u32 s22, s22, 12
	s_addc_u32 s23, s23, 0
	s_add_u32 s2, s2, 8
	s_addc_u32 s3, s3, 0
	s_add_i32 s40, s40, -1
	s_delay_alu instid0(SALU_CYCLE_1) | instskip(SKIP_2) | instid1(VALU_DEP_1)
	s_cmp_lg_u32 s40, 0
	s_waitcnt lgkmcnt(0)
	v_mul_hi_u32 v2, s43, v1
	v_add_nc_u32_e32 v2, v1, v2
	s_delay_alu instid0(VALU_DEP_1) | instskip(NEXT) | instid1(VALU_DEP_1)
	v_lshrrev_b32_e32 v5, s38, v2
	v_mul_lo_u32 v2, v5, s42
	s_delay_alu instid0(VALU_DEP_1) | instskip(NEXT) | instid1(VALU_DEP_1)
	v_sub_nc_u32_e32 v1, v1, v2
	v_mad_u64_u32 v[2:3], null, v1, s44, v[6:7]
	v_mad_u64_u32 v[3:4], null, v1, s45, v[0:1]
	s_delay_alu instid0(VALU_DEP_2) | instskip(NEXT) | instid1(VALU_DEP_2)
	v_dual_mov_b32 v1, v5 :: v_dual_mov_b32 v6, v2
	v_mov_b32_e32 v0, v3
	s_cbranch_scc1 .LBB225_311
.LBB225_312:
	s_and_not1_b32 vcc_lo, exec_lo, s37
	s_cbranch_vccnz .LBB225_315
; %bb.313:
	s_waitcnt vmcnt(0) lgkmcnt(0)
	v_mul_hi_u32 v0, s13, v9
	s_and_not1_b32 vcc_lo, exec_lo, s29
	s_delay_alu instid0(VALU_DEP_1) | instskip(NEXT) | instid1(VALU_DEP_1)
	v_add_nc_u32_e32 v0, v9, v0
	v_lshrrev_b32_e32 v1, s14, v0
	s_delay_alu instid0(VALU_DEP_1) | instskip(NEXT) | instid1(VALU_DEP_1)
	v_mul_lo_u32 v0, v1, s12
	v_sub_nc_u32_e32 v0, v9, v0
	s_delay_alu instid0(VALU_DEP_1)
	v_mul_lo_u32 v6, v0, s8
	v_mul_lo_u32 v0, v0, s9
	s_cbranch_vccnz .LBB225_315
; %bb.314:
	v_mul_hi_u32 v2, s18, v1
	s_delay_alu instid0(VALU_DEP_1) | instskip(NEXT) | instid1(VALU_DEP_1)
	v_add_nc_u32_e32 v2, v1, v2
	v_lshrrev_b32_e32 v2, s19, v2
	s_delay_alu instid0(VALU_DEP_1) | instskip(NEXT) | instid1(VALU_DEP_1)
	v_mul_lo_u32 v2, v2, s15
	v_sub_nc_u32_e32 v4, v1, v2
	s_delay_alu instid0(VALU_DEP_1) | instskip(NEXT) | instid1(VALU_DEP_1)
	v_mad_u64_u32 v[1:2], null, v4, s10, v[6:7]
	v_mad_u64_u32 v[2:3], null, v4, s11, v[0:1]
	v_mov_b32_e32 v6, v1
	s_delay_alu instid0(VALU_DEP_2)
	v_mov_b32_e32 v0, v2
.LBB225_315:
	v_cmp_gt_i16_e32 vcc_lo, 11, v8
	s_waitcnt vmcnt(0) lgkmcnt(0)
	s_delay_alu instid0(VALU_DEP_2) | instskip(NEXT) | instid1(VALU_DEP_1)
	v_add_co_u32 v4, s2, s6, v0
	v_add_co_ci_u32_e64 v5, null, s7, 0, s2
	s_mov_b32 s22, 0
	s_cbranch_vccnz .LBB225_322
; %bb.316:
	v_cmp_lt_i16_e32 vcc_lo, 25, v8
	s_cbranch_vccz .LBB225_340
; %bb.317:
	v_cmp_lt_i16_e32 vcc_lo, 28, v8
	s_cbranch_vccz .LBB225_341
	;; [unrolled: 3-line block ×4, first 2 shown]
; %bb.320:
	v_cmp_eq_u16_e32 vcc_lo, 46, v8
	s_mov_b32 s2, 0
	s_cbranch_vccz .LBB225_412
; %bb.321:
	global_load_b32 v0, v[4:5], off
	s_mov_b32 s22, -1
	s_mov_b32 s37, 0
	s_waitcnt vmcnt(0)
	v_lshlrev_b32_e32 v1, 16, v0
	v_and_b32_e32 v2, 0xffff0000, v0
	s_delay_alu instid0(VALU_DEP_2) | instskip(NEXT) | instid1(VALU_DEP_2)
	v_cvt_f64_f32_e32 v[0:1], v1
	v_cvt_f64_f32_e32 v[2:3], v2
	s_branch .LBB225_414
.LBB225_322:
	s_mov_b32 s37, s35
                                        ; implicit-def: $vgpr2_vgpr3
	s_cbranch_execnz .LBB225_554
.LBB225_323:
	s_and_not1_b32 vcc_lo, exec_lo, s22
	s_cbranch_vccnz .LBB225_604
.LBB225_324:
	s_waitcnt vmcnt(0)
	s_delay_alu instid0(VALU_DEP_1) | instskip(NEXT) | instid1(VALU_DEP_2)
	v_cmp_neq_f64_e32 vcc_lo, 0, v[0:1]
	v_cmp_neq_f64_e64 s2, 0, v[2:3]
	v_mov_b32_e32 v4, 0
	v_mov_b32_e32 v5, 0
	s_delay_alu instid0(VALU_DEP_3) | instskip(NEXT) | instid1(SALU_CYCLE_1)
	s_or_b32 s2, vcc_lo, s2
	s_and_saveexec_b32 s22, s2
	s_cbranch_execz .LBB225_360
; %bb.325:
	s_mov_b32 s2, 0
	s_mov_b32 s3, 0x7ff00000
	v_mov_b32_e32 v4, s2
	v_mov_b32_e32 v5, s3
	s_mov_b32 s23, exec_lo
	v_cmpx_neq_f64_e64 0x7ff00000, |v[2:3]|
	s_cbranch_execz .LBB225_359
; %bb.326:
	s_mov_b32 s2, exec_lo
	v_cmpx_o_f64_e32 v[0:1], v[0:1]
	s_xor_b32 s38, exec_lo, s2
	s_cbranch_execz .LBB225_356
; %bb.327:
	s_mov_b32 s3, exec_lo
	v_cmpx_neq_f64_e64 0x7ff00000, |v[0:1]|
	s_xor_b32 s40, exec_lo, s3
	s_cbranch_execz .LBB225_349
; %bb.328:
	v_max_f64 v[4:5], |v[2:3]|, |v[2:3]|
	v_max_f64 v[11:12], |v[0:1]|, |v[0:1]|
	s_mov_b32 s2, 0x99fcef32
	s_mov_b32 s3, 0x7fda8279
                                        ; implicit-def: $sgpr41
	s_delay_alu instid0(VALU_DEP_1) | instskip(NEXT) | instid1(VALU_DEP_1)
	v_max_f64 v[4:5], v[11:12], v[4:5]
	v_cmp_nle_f64_e64 s2, s[2:3], v[4:5]
	s_delay_alu instid0(VALU_DEP_1) | instskip(NEXT) | instid1(SALU_CYCLE_1)
	s_and_saveexec_b32 s3, s2
	s_xor_b32 s3, exec_lo, s3
	s_cbranch_execz .LBB225_332
; %bb.329:
	v_cmp_ge_f64_e64 s41, 0x200000, |v[0:1]|
	v_cmp_ge_f64_e64 s42, 0x200000, |v[2:3]|
	s_delay_alu instid0(VALU_DEP_1)
	s_and_b32 s43, s41, s42
	s_mov_b32 s41, 0
	s_and_saveexec_b32 s42, s43
; %bb.330:
	v_mul_f64 v[0:1], v[0:1], 4.0
	v_mul_f64 v[2:3], v[2:3], 4.0
	s_mov_b32 s41, exec_lo
; %bb.331:
	s_or_b32 exec_lo, exec_lo, s42
	s_delay_alu instid0(SALU_CYCLE_1)
	s_and_b32 s41, s41, exec_lo
.LBB225_332:
	s_and_not1_saveexec_b32 s3, s3
; %bb.333:
	s_delay_alu instid0(VALU_DEP_2) | instskip(NEXT) | instid1(VALU_DEP_2)
	v_ldexp_f64 v[0:1], v[0:1], -2
	v_ldexp_f64 v[2:3], v[2:3], -2
	s_and_not1_b32 s41, s41, exec_lo
; %bb.334:
	s_or_b32 exec_lo, exec_lo, s3
	s_delay_alu instid0(VALU_DEP_1) | instskip(NEXT) | instid1(VALU_DEP_3)
	v_max_f64 v[4:5], |v[2:3]|, |v[2:3]|
	v_max_f64 v[11:12], |v[0:1]|, |v[0:1]|
	v_cmp_class_f64_e64 s42, v[0:1], 0x204
	v_cmp_class_f64_e64 s43, v[2:3], 0x204
	v_cmp_le_f64_e64 s3, 0, v[0:1]
	s_delay_alu instid0(VALU_DEP_4) | instskip(NEXT) | instid1(VALU_DEP_3)
	v_max_f64 v[4:5], v[11:12], v[4:5]
	s_or_b32 s42, s43, s42
	s_delay_alu instid0(VALU_DEP_1) | instskip(NEXT) | instid1(VALU_DEP_1)
	v_frexp_exp_i32_f64_e32 v7, v[4:5]
	v_sub_nc_u32_e32 v11, 0, v7
	s_delay_alu instid0(VALU_DEP_1) | instskip(SKIP_1) | instid1(VALU_DEP_2)
	v_ldexp_f64 v[4:5], |v[2:3]|, v11
	v_ldexp_f64 v[11:12], |v[0:1]|, v11
	v_mul_f64 v[4:5], v[4:5], v[4:5]
	s_delay_alu instid0(VALU_DEP_1) | instskip(NEXT) | instid1(VALU_DEP_1)
	v_fma_f64 v[4:5], v[11:12], v[11:12], v[4:5]
	v_rsq_f64_e32 v[11:12], v[4:5]
	v_cmp_eq_f64_e32 vcc_lo, 0, v[4:5]
	s_waitcnt_depctr 0xfff
	v_mul_f64 v[13:14], v[4:5], v[11:12]
	v_mul_f64 v[11:12], v[11:12], 0.5
	s_delay_alu instid0(VALU_DEP_1) | instskip(NEXT) | instid1(VALU_DEP_1)
	v_fma_f64 v[15:16], -v[11:12], v[13:14], 0.5
	v_fma_f64 v[13:14], v[13:14], v[15:16], v[13:14]
	v_fma_f64 v[11:12], v[11:12], v[15:16], v[11:12]
	s_delay_alu instid0(VALU_DEP_2) | instskip(NEXT) | instid1(VALU_DEP_1)
	v_fma_f64 v[15:16], -v[13:14], v[13:14], v[4:5]
	v_fma_f64 v[11:12], v[15:16], v[11:12], v[13:14]
	s_delay_alu instid0(VALU_DEP_1) | instskip(SKIP_1) | instid1(VALU_DEP_2)
	v_dual_cndmask_b32 v5, v12, v5 :: v_dual_cndmask_b32 v4, v11, v4
	v_cmp_o_f64_e32 vcc_lo, v[2:3], v[2:3]
	v_ldexp_f64 v[4:5], v[4:5], v7
	s_delay_alu instid0(VALU_DEP_1) | instskip(NEXT) | instid1(VALU_DEP_2)
	v_cndmask_b32_e32 v4, 0, v4, vcc_lo
	v_cndmask_b32_e32 v5, 0x7ff80000, v5, vcc_lo
	s_delay_alu instid0(VALU_DEP_2) | instskip(NEXT) | instid1(VALU_DEP_2)
	v_cndmask_b32_e64 v4, v4, 0, s42
	v_cndmask_b32_e64 v5, v5, 0x7ff00000, s42
	s_and_saveexec_b32 s42, s3
	s_delay_alu instid0(SALU_CYCLE_1)
	s_xor_b32 s3, exec_lo, s42
	s_cbranch_execz .LBB225_344
; %bb.335:
	s_delay_alu instid0(VALU_DEP_1) | instskip(NEXT) | instid1(VALU_DEP_1)
	v_add_f64 v[0:1], v[0:1], v[4:5]
	v_mul_f64 v[0:1], v[0:1], 0.5
	s_delay_alu instid0(VALU_DEP_1) | instskip(SKIP_2) | instid1(VALU_DEP_2)
	v_cmp_gt_f64_e32 vcc_lo, 0x10000000, v[0:1]
	v_cndmask_b32_e64 v4, 0, 1, vcc_lo
	v_cndmask_b32_e64 v7, 0, 0xffffff80, vcc_lo
	v_lshlrev_b32_e32 v4, 8, v4
	s_delay_alu instid0(VALU_DEP_1) | instskip(NEXT) | instid1(VALU_DEP_1)
	v_ldexp_f64 v[0:1], v[0:1], v4
	v_rsq_f64_e32 v[4:5], v[0:1]
	v_cmp_class_f64_e64 vcc_lo, v[0:1], 0x260
	s_waitcnt_depctr 0xfff
	v_mul_f64 v[11:12], v[0:1], v[4:5]
	v_mul_f64 v[4:5], v[4:5], 0.5
	s_delay_alu instid0(VALU_DEP_1) | instskip(NEXT) | instid1(VALU_DEP_1)
	v_fma_f64 v[13:14], -v[4:5], v[11:12], 0.5
	v_fma_f64 v[11:12], v[11:12], v[13:14], v[11:12]
	v_fma_f64 v[4:5], v[4:5], v[13:14], v[4:5]
	s_delay_alu instid0(VALU_DEP_2) | instskip(NEXT) | instid1(VALU_DEP_1)
	v_fma_f64 v[13:14], -v[11:12], v[11:12], v[0:1]
	v_fma_f64 v[11:12], v[13:14], v[4:5], v[11:12]
	s_delay_alu instid0(VALU_DEP_1) | instskip(NEXT) | instid1(VALU_DEP_1)
	v_fma_f64 v[13:14], -v[11:12], v[11:12], v[0:1]
	v_fma_f64 v[4:5], v[13:14], v[4:5], v[11:12]
	s_delay_alu instid0(VALU_DEP_1) | instskip(NEXT) | instid1(VALU_DEP_1)
	v_ldexp_f64 v[4:5], v[4:5], v7
	v_dual_cndmask_b32 v1, v5, v1 :: v_dual_cndmask_b32 v0, v4, v0
	s_delay_alu instid0(VALU_DEP_1) | instskip(NEXT) | instid1(VALU_DEP_1)
	v_add_f64 v[4:5], v[0:1], v[0:1]
	v_div_scale_f64 v[11:12], null, v[4:5], v[4:5], v[2:3]
	s_delay_alu instid0(VALU_DEP_1) | instskip(SKIP_2) | instid1(VALU_DEP_1)
	v_rcp_f64_e32 v[13:14], v[11:12]
	s_waitcnt_depctr 0xfff
	v_fma_f64 v[15:16], -v[11:12], v[13:14], 1.0
	v_fma_f64 v[13:14], v[13:14], v[15:16], v[13:14]
	s_delay_alu instid0(VALU_DEP_1) | instskip(NEXT) | instid1(VALU_DEP_1)
	v_fma_f64 v[15:16], -v[11:12], v[13:14], 1.0
	v_fma_f64 v[13:14], v[13:14], v[15:16], v[13:14]
	v_div_scale_f64 v[15:16], vcc_lo, v[2:3], v[4:5], v[2:3]
	s_delay_alu instid0(VALU_DEP_1) | instskip(NEXT) | instid1(VALU_DEP_1)
	v_mul_f64 v[17:18], v[15:16], v[13:14]
	v_fma_f64 v[11:12], -v[11:12], v[17:18], v[15:16]
	s_delay_alu instid0(VALU_DEP_1) | instskip(NEXT) | instid1(VALU_DEP_1)
	v_div_fmas_f64 v[11:12], v[11:12], v[13:14], v[17:18]
	v_div_fixup_f64 v[2:3], v[11:12], v[4:5], v[2:3]
                                        ; implicit-def: $vgpr4_vgpr5
	s_and_not1_saveexec_b32 s3, s3
	s_cbranch_execnz .LBB225_345
.LBB225_336:
	s_or_b32 exec_lo, exec_lo, s3
	s_and_saveexec_b32 s3, s2
	s_delay_alu instid0(SALU_CYCLE_1)
	s_xor_b32 s2, exec_lo, s3
	s_cbranch_execz .LBB225_346
.LBB225_337:
	s_and_saveexec_b32 s3, s41
; %bb.338:
	s_delay_alu instid0(VALU_DEP_2) | instskip(NEXT) | instid1(VALU_DEP_2)
	v_mul_f64 v[0:1], v[0:1], 0.5
	v_mul_f64 v[2:3], v[2:3], 0.5
; %bb.339:
	s_or_b32 exec_lo, exec_lo, s3
	s_and_not1_saveexec_b32 s2, s2
	s_cbranch_execnz .LBB225_347
	s_branch .LBB225_348
.LBB225_340:
	s_mov_b32 s2, -1
	s_mov_b32 s37, s35
                                        ; implicit-def: $vgpr2_vgpr3
	s_branch .LBB225_519
.LBB225_341:
	s_mov_b32 s2, -1
	s_mov_b32 s37, s35
                                        ; implicit-def: $vgpr2_vgpr3
	s_branch .LBB225_498
.LBB225_342:
	s_mov_b32 s2, -1
	s_mov_b32 s37, s35
                                        ; implicit-def: $vgpr2_vgpr3
	s_branch .LBB225_492
.LBB225_343:
	s_mov_b32 s2, -1
	s_mov_b32 s37, s35
	s_branch .LBB225_413
.LBB225_344:
	s_and_not1_saveexec_b32 s3, s3
	s_cbranch_execz .LBB225_336
.LBB225_345:
	v_add_f64 v[0:1], v[4:5], -v[0:1]
	s_delay_alu instid0(VALU_DEP_1) | instskip(NEXT) | instid1(VALU_DEP_1)
	v_mul_f64 v[0:1], v[0:1], 0.5
	v_cmp_gt_f64_e32 vcc_lo, 0x10000000, v[0:1]
	v_cndmask_b32_e64 v4, 0, 1, vcc_lo
	v_cndmask_b32_e64 v7, 0, 0xffffff80, vcc_lo
	s_delay_alu instid0(VALU_DEP_2) | instskip(NEXT) | instid1(VALU_DEP_1)
	v_lshlrev_b32_e32 v4, 8, v4
	v_ldexp_f64 v[0:1], v[0:1], v4
	s_delay_alu instid0(VALU_DEP_1) | instskip(SKIP_4) | instid1(VALU_DEP_1)
	v_rsq_f64_e32 v[4:5], v[0:1]
	v_cmp_class_f64_e64 vcc_lo, v[0:1], 0x260
	s_waitcnt_depctr 0xfff
	v_mul_f64 v[11:12], v[0:1], v[4:5]
	v_mul_f64 v[4:5], v[4:5], 0.5
	v_fma_f64 v[13:14], -v[4:5], v[11:12], 0.5
	s_delay_alu instid0(VALU_DEP_1) | instskip(SKIP_1) | instid1(VALU_DEP_2)
	v_fma_f64 v[11:12], v[11:12], v[13:14], v[11:12]
	v_fma_f64 v[4:5], v[4:5], v[13:14], v[4:5]
	v_fma_f64 v[13:14], -v[11:12], v[11:12], v[0:1]
	s_delay_alu instid0(VALU_DEP_1) | instskip(NEXT) | instid1(VALU_DEP_1)
	v_fma_f64 v[11:12], v[13:14], v[4:5], v[11:12]
	v_fma_f64 v[13:14], -v[11:12], v[11:12], v[0:1]
	s_delay_alu instid0(VALU_DEP_1) | instskip(SKIP_1) | instid1(VALU_DEP_2)
	v_fma_f64 v[4:5], v[13:14], v[4:5], v[11:12]
	v_mov_b32_e32 v11, v2
	v_ldexp_f64 v[4:5], v[4:5], v7
	s_delay_alu instid0(VALU_DEP_1) | instskip(NEXT) | instid1(VALU_DEP_1)
	v_dual_cndmask_b32 v5, v5, v1 :: v_dual_cndmask_b32 v4, v4, v0
	v_add_f64 v[0:1], v[4:5], v[4:5]
	v_bfi_b32 v5, 0x7fffffff, v5, v3
	v_and_b32_e32 v12, 0x7fffffff, v3
	s_delay_alu instid0(VALU_DEP_1) | instskip(SKIP_1) | instid1(VALU_DEP_2)
	v_div_scale_f64 v[13:14], null, v[0:1], v[0:1], v[11:12]
	v_div_scale_f64 v[11:12], vcc_lo, v[11:12], v[0:1], v[11:12]
	v_rcp_f64_e32 v[15:16], v[13:14]
	s_waitcnt_depctr 0xfff
	v_fma_f64 v[17:18], -v[13:14], v[15:16], 1.0
	s_delay_alu instid0(VALU_DEP_1) | instskip(NEXT) | instid1(VALU_DEP_1)
	v_fma_f64 v[15:16], v[15:16], v[17:18], v[15:16]
	v_fma_f64 v[17:18], -v[13:14], v[15:16], 1.0
	s_delay_alu instid0(VALU_DEP_1) | instskip(NEXT) | instid1(VALU_DEP_1)
	v_fma_f64 v[15:16], v[15:16], v[17:18], v[15:16]
	v_mul_f64 v[17:18], v[11:12], v[15:16]
	s_delay_alu instid0(VALU_DEP_1) | instskip(NEXT) | instid1(VALU_DEP_1)
	v_fma_f64 v[11:12], -v[13:14], v[17:18], v[11:12]
	v_div_fmas_f64 v[11:12], v[11:12], v[15:16], v[17:18]
	s_delay_alu instid0(VALU_DEP_1) | instskip(SKIP_3) | instid1(SALU_CYCLE_1)
	v_div_fixup_f64 v[0:1], v[11:12], v[0:1], |v[2:3]|
	v_dual_mov_b32 v2, v4 :: v_dual_mov_b32 v3, v5
	s_or_b32 exec_lo, exec_lo, s3
	s_and_saveexec_b32 s3, s2
	s_xor_b32 s2, exec_lo, s3
	s_cbranch_execnz .LBB225_337
.LBB225_346:
	s_and_not1_saveexec_b32 s2, s2
.LBB225_347:
	s_delay_alu instid0(VALU_DEP_2) | instskip(NEXT) | instid1(VALU_DEP_2)
	v_add_f64 v[0:1], v[0:1], v[0:1]
	v_add_f64 v[2:3], v[2:3], v[2:3]
.LBB225_348:
	s_or_b32 exec_lo, exec_lo, s2
.LBB225_349:
	s_and_not1_saveexec_b32 s2, s40
	s_cbranch_execz .LBB225_355
; %bb.350:
	s_delay_alu instid0(VALU_DEP_1) | instskip(SKIP_1) | instid1(VALU_DEP_3)
	v_add_f64 v[4:5], v[2:3], -v[2:3]
	s_mov_b32 s3, exec_lo
	v_cmpx_lt_i64_e32 -1, v[0:1]
	s_xor_b32 s3, exec_lo, s3
; %bb.351:
	s_delay_alu instid0(VALU_DEP_2) | instskip(NEXT) | instid1(VALU_DEP_1)
	v_bfi_b32 v5, 0x7fffffff, v5, v3
	v_dual_mov_b32 v2, v4 :: v_dual_mov_b32 v3, v5
                                        ; implicit-def: $vgpr4_vgpr5
; %bb.352:
	s_and_not1_saveexec_b32 s3, s3
; %bb.353:
	s_delay_alu instid0(VALU_DEP_1) | instskip(SKIP_1) | instid1(VALU_DEP_2)
	v_bfi_b32 v1, 0x7fffffff, v1, v3
	v_and_b32_e32 v5, 0x7fffffff, v5
	v_dual_mov_b32 v3, v1 :: v_dual_mov_b32 v2, v0
	s_delay_alu instid0(VALU_DEP_2)
	v_dual_mov_b32 v0, v4 :: v_dual_mov_b32 v1, v5
; %bb.354:
	s_or_b32 exec_lo, exec_lo, s3
.LBB225_355:
	s_delay_alu instid0(SALU_CYCLE_1)
	s_or_b32 exec_lo, exec_lo, s2
.LBB225_356:
	s_and_not1_saveexec_b32 s2, s38
; %bb.357:
	s_delay_alu instid0(VALU_DEP_1) | instskip(NEXT) | instid1(VALU_DEP_1)
	v_add_f64 v[2:3], v[2:3], -v[2:3]
	v_div_scale_f64 v[4:5], vcc_lo, v[2:3], v[2:3], v[2:3]
	s_delay_alu instid0(VALU_DEP_1) | instskip(SKIP_2) | instid1(VALU_DEP_1)
	v_rcp_f64_e32 v[11:12], v[4:5]
	s_waitcnt_depctr 0xfff
	v_fma_f64 v[13:14], -v[4:5], v[11:12], 1.0
	v_fma_f64 v[11:12], v[11:12], v[13:14], v[11:12]
	s_delay_alu instid0(VALU_DEP_1) | instskip(NEXT) | instid1(VALU_DEP_1)
	v_fma_f64 v[13:14], -v[4:5], v[11:12], 1.0
	v_fma_f64 v[11:12], v[11:12], v[13:14], v[11:12]
	s_delay_alu instid0(VALU_DEP_1) | instskip(NEXT) | instid1(VALU_DEP_1)
	v_mul_f64 v[13:14], v[4:5], v[11:12]
	v_fma_f64 v[4:5], -v[4:5], v[13:14], v[4:5]
	s_delay_alu instid0(VALU_DEP_1) | instskip(NEXT) | instid1(VALU_DEP_1)
	v_div_fmas_f64 v[4:5], v[4:5], v[11:12], v[13:14]
	v_div_fixup_f64 v[2:3], v[4:5], v[2:3], v[2:3]
; %bb.358:
	s_or_b32 exec_lo, exec_lo, s2
	v_dual_mov_b32 v5, v1 :: v_dual_mov_b32 v4, v0
.LBB225_359:
	s_or_b32 exec_lo, exec_lo, s23
.LBB225_360:
	s_delay_alu instid0(SALU_CYCLE_1) | instskip(SKIP_2) | instid1(VALU_DEP_1)
	s_or_b32 exec_lo, exec_lo, s22
	v_and_b32_e32 v11, 0xff, v10
	v_add_co_u32 v0, s2, s4, v6
	v_add_co_ci_u32_e64 v1, null, s5, 0, s2
	s_delay_alu instid0(VALU_DEP_3)
	v_cmp_gt_i16_e32 vcc_lo, 11, v11
	s_mov_b32 s3, 0
	s_mov_b32 s22, -1
	s_mov_b32 s2, s34
	s_cbranch_vccnz .LBB225_367
; %bb.361:
	v_cmp_lt_i16_e32 vcc_lo, 25, v11
	s_cbranch_vccz .LBB225_407
; %bb.362:
	v_cmp_lt_i16_e32 vcc_lo, 28, v11
	s_cbranch_vccz .LBB225_408
	;; [unrolled: 3-line block ×4, first 2 shown]
; %bb.365:
	v_cmp_eq_u16_e32 vcc_lo, 46, v11
	s_mov_b32 s22, 0
	s_mov_b32 s2, -1
	s_cbranch_vccz .LBB225_418
; %bb.366:
	v_cvt_f32_f64_e32 v6, v[2:3]
	v_cvt_f32_f64_e32 v7, v[4:5]
	s_mov_b32 s3, -1
	s_mov_b32 s2, 0
	s_delay_alu instid0(VALU_DEP_2) | instskip(NEXT) | instid1(VALU_DEP_2)
	v_bfe_u32 v12, v6, 16, 1
	v_bfe_u32 v13, v7, 16, 1
	v_cmp_o_f32_e32 vcc_lo, v6, v6
	s_delay_alu instid0(VALU_DEP_3) | instskip(NEXT) | instid1(VALU_DEP_3)
	v_add3_u32 v12, v6, v12, 0x7fff
	v_add3_u32 v13, v7, v13, 0x7fff
	s_delay_alu instid0(VALU_DEP_2) | instskip(NEXT) | instid1(VALU_DEP_2)
	v_and_b32_e32 v12, 0xffff0000, v12
	v_lshrrev_b32_e32 v13, 16, v13
	s_delay_alu instid0(VALU_DEP_2) | instskip(SKIP_1) | instid1(VALU_DEP_3)
	v_cndmask_b32_e32 v6, 0x7fc00000, v12, vcc_lo
	v_cmp_o_f32_e32 vcc_lo, v7, v7
	v_cndmask_b32_e32 v7, 0x7fc0, v13, vcc_lo
	s_delay_alu instid0(VALU_DEP_1)
	v_or_b32_e32 v6, v6, v7
	global_store_b32 v[0:1], v6, off
	s_branch .LBB225_418
.LBB225_367:
	s_and_b32 vcc_lo, exec_lo, s22
	s_cbranch_vccz .LBB225_487
; %bb.368:
	v_cmp_gt_i16_e32 vcc_lo, 5, v11
	s_mov_b32 s3, -1
	s_cbranch_vccnz .LBB225_389
; %bb.369:
	v_cmp_gt_i16_e32 vcc_lo, 8, v11
	s_cbranch_vccnz .LBB225_379
; %bb.370:
	v_cmp_gt_i16_e32 vcc_lo, 9, v11
	s_cbranch_vccnz .LBB225_376
; %bb.371:
	v_cmp_lt_i16_e32 vcc_lo, 9, v11
	s_cbranch_vccz .LBB225_373
; %bb.372:
	v_dual_mov_b32 v6, v2 :: v_dual_mov_b32 v7, v3
	s_mov_b32 s3, 0
	global_store_b128 v[0:1], v[4:7], off
.LBB225_373:
	s_and_not1_b32 vcc_lo, exec_lo, s3
	s_cbranch_vccnz .LBB225_375
; %bb.374:
	v_cvt_f32_f64_e32 v6, v[4:5]
	v_cvt_f32_f64_e32 v7, v[2:3]
	global_store_b64 v[0:1], v[6:7], off
.LBB225_375:
	s_mov_b32 s3, 0
.LBB225_376:
	s_delay_alu instid0(SALU_CYCLE_1)
	s_and_not1_b32 vcc_lo, exec_lo, s3
	s_cbranch_vccnz .LBB225_378
; %bb.377:
	v_cvt_f32_f64_e32 v2, v[2:3]
	v_cvt_f32_f64_e32 v3, v[4:5]
	s_delay_alu instid0(VALU_DEP_2) | instskip(NEXT) | instid1(VALU_DEP_2)
	v_cvt_f16_f32_e32 v2, v2
	v_cvt_f16_f32_e32 v3, v3
	s_delay_alu instid0(VALU_DEP_2) | instskip(NEXT) | instid1(VALU_DEP_2)
	v_lshlrev_b32_e32 v2, 16, v2
	v_and_b32_e32 v3, 0xffff, v3
	s_delay_alu instid0(VALU_DEP_1)
	v_or_b32_e32 v2, v2, v3
	global_store_b32 v[0:1], v2, off
.LBB225_378:
	s_mov_b32 s3, 0
.LBB225_379:
	s_delay_alu instid0(SALU_CYCLE_1)
	s_and_not1_b32 vcc_lo, exec_lo, s3
	s_cbranch_vccnz .LBB225_388
; %bb.380:
	v_cmp_gt_i16_e32 vcc_lo, 6, v11
	s_mov_b32 s3, -1
	s_cbranch_vccnz .LBB225_386
; %bb.381:
	v_cmp_lt_i16_e32 vcc_lo, 6, v11
	s_cbranch_vccz .LBB225_383
; %bb.382:
	s_mov_b32 s3, 0
	global_store_b64 v[0:1], v[4:5], off
.LBB225_383:
	s_and_not1_b32 vcc_lo, exec_lo, s3
	s_cbranch_vccnz .LBB225_385
; %bb.384:
	v_cvt_f32_f64_e32 v2, v[4:5]
	global_store_b32 v[0:1], v2, off
.LBB225_385:
	s_mov_b32 s3, 0
.LBB225_386:
	s_delay_alu instid0(SALU_CYCLE_1)
	s_and_not1_b32 vcc_lo, exec_lo, s3
	s_cbranch_vccnz .LBB225_388
; %bb.387:
	v_cvt_f32_f64_e32 v2, v[4:5]
	s_delay_alu instid0(VALU_DEP_1)
	v_cvt_f16_f32_e32 v2, v2
	global_store_b16 v[0:1], v2, off
.LBB225_388:
	s_mov_b32 s3, 0
.LBB225_389:
	s_delay_alu instid0(SALU_CYCLE_1)
	s_and_not1_b32 vcc_lo, exec_lo, s3
	s_cbranch_vccnz .LBB225_405
; %bb.390:
	v_cmp_gt_i16_e32 vcc_lo, 2, v11
	s_mov_b32 s3, -1
	s_cbranch_vccnz .LBB225_400
; %bb.391:
	v_cmp_gt_i16_e32 vcc_lo, 3, v11
	s_cbranch_vccnz .LBB225_397
; %bb.392:
	v_cmp_lt_i16_e32 vcc_lo, 3, v11
	s_cbranch_vccz .LBB225_394
; %bb.393:
	v_trunc_f64_e32 v[2:3], v[4:5]
	s_mov_b32 s3, 0
	s_delay_alu instid0(VALU_DEP_1) | instskip(NEXT) | instid1(VALU_DEP_1)
	v_ldexp_f64 v[6:7], v[2:3], 0xffffffe0
	v_floor_f64_e32 v[6:7], v[6:7]
	s_delay_alu instid0(VALU_DEP_1) | instskip(SKIP_1) | instid1(VALU_DEP_2)
	v_fma_f64 v[2:3], 0xc1f00000, v[6:7], v[2:3]
	v_cvt_i32_f64_e32 v7, v[6:7]
	v_cvt_u32_f64_e32 v6, v[2:3]
	global_store_b64 v[0:1], v[6:7], off
.LBB225_394:
	s_and_not1_b32 vcc_lo, exec_lo, s3
	s_cbranch_vccnz .LBB225_396
; %bb.395:
	v_cvt_i32_f64_e32 v2, v[4:5]
	global_store_b32 v[0:1], v2, off
.LBB225_396:
	s_mov_b32 s3, 0
.LBB225_397:
	s_delay_alu instid0(SALU_CYCLE_1)
	s_and_not1_b32 vcc_lo, exec_lo, s3
	s_cbranch_vccnz .LBB225_399
; %bb.398:
	v_cvt_i32_f64_e32 v2, v[4:5]
	global_store_b16 v[0:1], v2, off
.LBB225_399:
	s_mov_b32 s3, 0
.LBB225_400:
	s_delay_alu instid0(SALU_CYCLE_1)
	s_and_not1_b32 vcc_lo, exec_lo, s3
	s_cbranch_vccnz .LBB225_405
; %bb.401:
	v_cmp_lt_i16_e32 vcc_lo, 0, v11
	s_mov_b32 s3, -1
	s_cbranch_vccz .LBB225_403
; %bb.402:
	v_cvt_i32_f64_e32 v2, v[4:5]
	s_mov_b32 s3, 0
	global_store_b8 v[0:1], v2, off
.LBB225_403:
	s_and_not1_b32 vcc_lo, exec_lo, s3
	s_cbranch_vccnz .LBB225_405
; %bb.404:
	v_trunc_f64_e32 v[2:3], v[4:5]
	s_delay_alu instid0(VALU_DEP_1) | instskip(NEXT) | instid1(VALU_DEP_1)
	v_ldexp_f64 v[4:5], v[2:3], 0xffffffe0
	v_floor_f64_e32 v[4:5], v[4:5]
	s_delay_alu instid0(VALU_DEP_1) | instskip(NEXT) | instid1(VALU_DEP_1)
	v_fma_f64 v[2:3], 0xc1f00000, v[4:5], v[2:3]
	v_cvt_u32_f64_e32 v2, v[2:3]
	global_store_b8 v[0:1], v2, off
.LBB225_405:
	s_branch .LBB225_488
.LBB225_406:
	s_mov_b32 s3, 0
	s_branch .LBB225_605
.LBB225_407:
	s_mov_b32 s2, s34
	s_branch .LBB225_445
.LBB225_408:
	s_mov_b32 s2, s34
	s_branch .LBB225_428
.LBB225_409:
	s_mov_b32 s2, s34
	s_branch .LBB225_424
.LBB225_410:
	s_or_saveexec_b32 s23, s23
                                        ; implicit-def: $sgpr34
	s_delay_alu instid0(SALU_CYCLE_1)
	s_xor_b32 exec_lo, exec_lo, s23
	s_cbranch_execz .LBB225_101
.LBB225_411:
	v_add_f32_e64 v7, 0x42800000, |v6|
	s_and_not1_b32 s22, s22, exec_lo
	s_mov_b32 s34, 0
	s_delay_alu instid0(VALU_DEP_1) | instskip(NEXT) | instid1(VALU_DEP_1)
	v_and_b32_e32 v7, 0xff, v7
	v_cmp_ne_u32_e32 vcc_lo, 0, v7
	s_and_b32 s38, vcc_lo, exec_lo
	s_delay_alu instid0(SALU_CYCLE_1)
	s_or_b32 s22, s22, s38
	s_or_b32 exec_lo, exec_lo, s23
	v_mov_b32_e32 v12, s34
	s_and_saveexec_b32 s23, s22
	s_cbranch_execnz .LBB225_102
	s_branch .LBB225_103
.LBB225_412:
	s_mov_b32 s37, -1
.LBB225_413:
                                        ; implicit-def: $vgpr2_vgpr3
.LBB225_414:
	s_and_b32 vcc_lo, exec_lo, s2
	s_cbranch_vccz .LBB225_491
; %bb.415:
	v_cmp_eq_u16_e32 vcc_lo, 44, v8
	s_cbranch_vccz .LBB225_489
; %bb.416:
	global_load_u8 v2, v[4:5], off
	s_mov_b32 s37, 0
	s_mov_b32 s22, -1
	s_mov_b64 s[2:3], 0
	s_waitcnt vmcnt(0)
	v_cmp_ne_u32_e32 vcc_lo, 0xff, v2
	v_lshlrev_b32_e32 v0, 23, v2
	s_delay_alu instid0(VALU_DEP_1) | instskip(NEXT) | instid1(VALU_DEP_1)
	v_cvt_f64_f32_e32 v[0:1], v0
	v_cndmask_b32_e32 v1, 0x7ff80000, v1, vcc_lo
	s_delay_alu instid0(VALU_DEP_2) | instskip(SKIP_1) | instid1(VALU_DEP_3)
	v_cndmask_b32_e32 v0, 0x20000000, v0, vcc_lo
	v_cmp_ne_u32_e32 vcc_lo, 0, v2
	v_cndmask_b32_e32 v1, 0x38000000, v1, vcc_lo
	s_delay_alu instid0(VALU_DEP_3)
	v_cndmask_b32_e32 v0, 0, v0, vcc_lo
	s_branch .LBB225_490
.LBB225_417:
	s_mov_b32 s2, s34
.LBB225_418:
	s_and_b32 vcc_lo, exec_lo, s22
	s_cbranch_vccz .LBB225_423
; %bb.419:
	v_cmp_eq_u16_e32 vcc_lo, 44, v11
	s_mov_b32 s2, -1
	s_cbranch_vccz .LBB225_423
; %bb.420:
	v_cvt_f32_f64_e32 v6, v[4:5]
	v_mov_b32_e32 v7, 0xff
	s_mov_b32 s3, exec_lo
	s_delay_alu instid0(VALU_DEP_2) | instskip(NEXT) | instid1(VALU_DEP_1)
	v_bfe_u32 v12, v6, 23, 8
	v_cmpx_ne_u32_e32 0xff, v12
; %bb.421:
	v_and_b32_e32 v7, 0x400000, v6
	v_and_or_b32 v12, 0x3fffff, v6, v12
	v_lshrrev_b32_e32 v6, 23, v6
	s_delay_alu instid0(VALU_DEP_3) | instskip(NEXT) | instid1(VALU_DEP_3)
	v_cmp_ne_u32_e32 vcc_lo, 0, v7
	v_cmp_ne_u32_e64 s2, 0, v12
	s_delay_alu instid0(VALU_DEP_1) | instskip(NEXT) | instid1(SALU_CYCLE_1)
	s_and_b32 s2, vcc_lo, s2
	v_cndmask_b32_e64 v7, 0, 1, s2
	s_delay_alu instid0(VALU_DEP_1)
	v_add_nc_u32_e32 v7, v6, v7
; %bb.422:
	s_or_b32 exec_lo, exec_lo, s3
	s_mov_b32 s3, -1
	s_mov_b32 s2, 0
	global_store_b8 v[0:1], v7, off
.LBB225_423:
	s_mov_b32 s22, 0
.LBB225_424:
	s_delay_alu instid0(SALU_CYCLE_1)
	s_and_b32 vcc_lo, exec_lo, s22
	s_cbranch_vccz .LBB225_427
; %bb.425:
	v_cmp_eq_u16_e32 vcc_lo, 29, v11
	s_mov_b32 s2, -1
	s_cbranch_vccz .LBB225_427
; %bb.426:
	v_trunc_f64_e32 v[6:7], v[4:5]
	s_mov_b32 s3, -1
	s_mov_b32 s2, 0
	s_mov_b32 s22, 0
	s_delay_alu instid0(VALU_DEP_1) | instskip(NEXT) | instid1(VALU_DEP_1)
	v_ldexp_f64 v[12:13], v[6:7], 0xffffffe0
	v_floor_f64_e32 v[12:13], v[12:13]
	s_delay_alu instid0(VALU_DEP_1) | instskip(SKIP_1) | instid1(VALU_DEP_2)
	v_fma_f64 v[6:7], 0xc1f00000, v[12:13], v[6:7]
	v_cvt_u32_f64_e32 v13, v[12:13]
	v_cvt_u32_f64_e32 v12, v[6:7]
	global_store_b64 v[0:1], v[12:13], off
	s_branch .LBB225_428
.LBB225_427:
	s_mov_b32 s22, 0
.LBB225_428:
	s_delay_alu instid0(SALU_CYCLE_1)
	s_and_b32 vcc_lo, exec_lo, s22
	s_cbranch_vccz .LBB225_444
; %bb.429:
	v_cmp_gt_i16_e32 vcc_lo, 27, v11
	s_mov_b32 s3, -1
	s_cbranch_vccnz .LBB225_435
; %bb.430:
	v_cmp_lt_i16_e32 vcc_lo, 27, v11
	s_cbranch_vccz .LBB225_432
; %bb.431:
	v_cvt_u32_f64_e32 v6, v[4:5]
	s_mov_b32 s3, 0
	global_store_b32 v[0:1], v6, off
.LBB225_432:
	s_and_not1_b32 vcc_lo, exec_lo, s3
	s_cbranch_vccnz .LBB225_434
; %bb.433:
	v_cvt_u32_f64_e32 v6, v[4:5]
	global_store_b16 v[0:1], v6, off
.LBB225_434:
	s_mov_b32 s3, 0
.LBB225_435:
	s_delay_alu instid0(SALU_CYCLE_1)
	s_and_not1_b32 vcc_lo, exec_lo, s3
	s_cbranch_vccnz .LBB225_443
; %bb.436:
	v_cvt_f32_f64_e32 v6, v[4:5]
	v_mov_b32_e32 v12, 0x80
	s_mov_b32 s3, exec_lo
	s_delay_alu instid0(VALU_DEP_2) | instskip(NEXT) | instid1(VALU_DEP_1)
	v_and_b32_e32 v7, 0x7fffffff, v6
	v_cmpx_gt_u32_e32 0x43800000, v7
	s_cbranch_execz .LBB225_442
; %bb.437:
	v_cmp_lt_u32_e32 vcc_lo, 0x3bffffff, v7
	s_mov_b32 s22, 0
                                        ; implicit-def: $vgpr7
	s_and_saveexec_b32 s23, vcc_lo
	s_delay_alu instid0(SALU_CYCLE_1)
	s_xor_b32 s23, exec_lo, s23
	s_cbranch_execz .LBB225_633
; %bb.438:
	v_bfe_u32 v7, v6, 20, 1
	s_mov_b32 s22, exec_lo
	s_delay_alu instid0(VALU_DEP_1) | instskip(NEXT) | instid1(VALU_DEP_1)
	v_add3_u32 v7, v6, v7, 0x487ffff
	v_lshrrev_b32_e32 v7, 20, v7
	s_or_saveexec_b32 s23, s23
                                        ; implicit-def: $sgpr38
	s_delay_alu instid0(SALU_CYCLE_1)
	s_xor_b32 exec_lo, exec_lo, s23
	s_cbranch_execnz .LBB225_634
.LBB225_439:
	s_or_b32 exec_lo, exec_lo, s23
	v_mov_b32_e32 v12, s38
	s_and_saveexec_b32 s23, s22
.LBB225_440:
	v_lshrrev_b32_e32 v6, 24, v6
	s_delay_alu instid0(VALU_DEP_1)
	v_and_or_b32 v12, 0x80, v6, v7
.LBB225_441:
	s_or_b32 exec_lo, exec_lo, s23
.LBB225_442:
	s_delay_alu instid0(SALU_CYCLE_1)
	s_or_b32 exec_lo, exec_lo, s3
	global_store_b8 v[0:1], v12, off
.LBB225_443:
	s_mov_b32 s3, -1
.LBB225_444:
	s_mov_b32 s22, 0
.LBB225_445:
	s_delay_alu instid0(SALU_CYCLE_1)
	s_and_b32 vcc_lo, exec_lo, s22
	s_cbranch_vccz .LBB225_486
; %bb.446:
	v_cmp_lt_i16_e32 vcc_lo, 22, v11
	s_mov_b32 s22, -1
	s_cbranch_vccz .LBB225_478
; %bb.447:
	v_cmp_gt_i16_e32 vcc_lo, 24, v11
	s_mov_b32 s3, -1
	s_cbranch_vccnz .LBB225_467
; %bb.448:
	v_cmp_lt_i16_e32 vcc_lo, 24, v11
	s_cbranch_vccz .LBB225_456
; %bb.449:
	v_cvt_f32_f64_e32 v6, v[4:5]
	v_mov_b32_e32 v12, 0x80
	s_mov_b32 s3, exec_lo
	s_delay_alu instid0(VALU_DEP_2) | instskip(NEXT) | instid1(VALU_DEP_1)
	v_and_b32_e32 v7, 0x7fffffff, v6
	v_cmpx_gt_u32_e32 0x47800000, v7
	s_cbranch_execz .LBB225_455
; %bb.450:
	v_cmp_lt_u32_e32 vcc_lo, 0x37ffffff, v7
	s_mov_b32 s22, 0
                                        ; implicit-def: $vgpr7
	s_and_saveexec_b32 s23, vcc_lo
	s_delay_alu instid0(SALU_CYCLE_1)
	s_xor_b32 s23, exec_lo, s23
	s_cbranch_execz .LBB225_636
; %bb.451:
	v_bfe_u32 v7, v6, 21, 1
	s_mov_b32 s22, exec_lo
	s_delay_alu instid0(VALU_DEP_1) | instskip(NEXT) | instid1(VALU_DEP_1)
	v_add3_u32 v7, v6, v7, 0x88fffff
	v_lshrrev_b32_e32 v7, 21, v7
	s_or_saveexec_b32 s23, s23
                                        ; implicit-def: $sgpr38
	s_delay_alu instid0(SALU_CYCLE_1)
	s_xor_b32 exec_lo, exec_lo, s23
	s_cbranch_execnz .LBB225_637
.LBB225_452:
	s_or_b32 exec_lo, exec_lo, s23
	v_mov_b32_e32 v12, s38
	s_and_saveexec_b32 s23, s22
.LBB225_453:
	v_lshrrev_b32_e32 v6, 24, v6
	s_delay_alu instid0(VALU_DEP_1)
	v_and_or_b32 v12, 0x80, v6, v7
.LBB225_454:
	s_or_b32 exec_lo, exec_lo, s23
.LBB225_455:
	s_delay_alu instid0(SALU_CYCLE_1)
	s_or_b32 exec_lo, exec_lo, s3
	s_mov_b32 s3, 0
	global_store_b8 v[0:1], v12, off
.LBB225_456:
	s_and_b32 vcc_lo, exec_lo, s3
	s_cbranch_vccz .LBB225_466
; %bb.457:
	v_cvt_f32_f64_e32 v6, v[4:5]
	s_mov_b32 s3, exec_lo
                                        ; implicit-def: $vgpr7
	s_delay_alu instid0(VALU_DEP_1) | instskip(NEXT) | instid1(VALU_DEP_1)
	v_and_b32_e32 v12, 0x7fffffff, v6
	v_cmpx_gt_u32_e32 0x43f00000, v12
	s_xor_b32 s3, exec_lo, s3
	s_cbranch_execz .LBB225_463
; %bb.458:
	s_mov_b32 s22, exec_lo
                                        ; implicit-def: $vgpr7
	v_cmpx_lt_u32_e32 0x3c7fffff, v12
	s_xor_b32 s22, exec_lo, s22
; %bb.459:
	v_bfe_u32 v7, v6, 20, 1
	s_delay_alu instid0(VALU_DEP_1) | instskip(NEXT) | instid1(VALU_DEP_1)
	v_add3_u32 v7, v6, v7, 0x407ffff
	v_and_b32_e32 v12, 0xff00000, v7
	v_lshrrev_b32_e32 v7, 20, v7
	s_delay_alu instid0(VALU_DEP_2) | instskip(NEXT) | instid1(VALU_DEP_2)
	v_cmp_ne_u32_e32 vcc_lo, 0x7f00000, v12
	v_cndmask_b32_e32 v7, 0x7e, v7, vcc_lo
; %bb.460:
	s_and_not1_saveexec_b32 s22, s22
; %bb.461:
	v_add_f32_e64 v7, 0x46800000, |v6|
; %bb.462:
	s_or_b32 exec_lo, exec_lo, s22
                                        ; implicit-def: $vgpr12
.LBB225_463:
	s_and_not1_saveexec_b32 s3, s3
; %bb.464:
	v_mov_b32_e32 v7, 0x7f
	v_cmp_lt_u32_e32 vcc_lo, 0x7f800000, v12
	s_delay_alu instid0(VALU_DEP_2)
	v_cndmask_b32_e32 v7, 0x7e, v7, vcc_lo
; %bb.465:
	s_or_b32 exec_lo, exec_lo, s3
	v_lshrrev_b32_e32 v6, 24, v6
	s_delay_alu instid0(VALU_DEP_1)
	v_and_or_b32 v6, 0x80, v6, v7
	global_store_b8 v[0:1], v6, off
.LBB225_466:
	s_mov_b32 s3, 0
.LBB225_467:
	s_delay_alu instid0(SALU_CYCLE_1)
	s_and_not1_b32 vcc_lo, exec_lo, s3
	s_cbranch_vccnz .LBB225_477
; %bb.468:
	v_cvt_f32_f64_e32 v6, v[4:5]
	s_mov_b32 s3, exec_lo
                                        ; implicit-def: $vgpr7
	s_delay_alu instid0(VALU_DEP_1) | instskip(NEXT) | instid1(VALU_DEP_1)
	v_and_b32_e32 v12, 0x7fffffff, v6
	v_cmpx_gt_u32_e32 0x47800000, v12
	s_xor_b32 s3, exec_lo, s3
	s_cbranch_execz .LBB225_474
; %bb.469:
	s_mov_b32 s22, exec_lo
                                        ; implicit-def: $vgpr7
	v_cmpx_lt_u32_e32 0x387fffff, v12
	s_xor_b32 s22, exec_lo, s22
; %bb.470:
	v_bfe_u32 v7, v6, 21, 1
	s_delay_alu instid0(VALU_DEP_1) | instskip(NEXT) | instid1(VALU_DEP_1)
	v_add3_u32 v7, v6, v7, 0x80fffff
	v_lshrrev_b32_e32 v7, 21, v7
; %bb.471:
	s_and_not1_saveexec_b32 s22, s22
; %bb.472:
	v_add_f32_e64 v7, 0x43000000, |v6|
; %bb.473:
	s_or_b32 exec_lo, exec_lo, s22
                                        ; implicit-def: $vgpr12
.LBB225_474:
	s_and_not1_saveexec_b32 s3, s3
; %bb.475:
	v_mov_b32_e32 v7, 0x7f
	v_cmp_lt_u32_e32 vcc_lo, 0x7f800000, v12
	s_delay_alu instid0(VALU_DEP_2)
	v_cndmask_b32_e32 v7, 0x7c, v7, vcc_lo
; %bb.476:
	s_or_b32 exec_lo, exec_lo, s3
	v_lshrrev_b32_e32 v6, 24, v6
	s_delay_alu instid0(VALU_DEP_1)
	v_and_or_b32 v6, 0x80, v6, v7
	global_store_b8 v[0:1], v6, off
.LBB225_477:
	s_mov_b32 s22, 0
	s_mov_b32 s3, -1
.LBB225_478:
	s_and_not1_b32 vcc_lo, exec_lo, s22
	s_cbranch_vccnz .LBB225_486
; %bb.479:
	v_cmp_lt_i16_e32 vcc_lo, 14, v11
	s_mov_b32 s22, -1
	s_cbranch_vccz .LBB225_483
; %bb.480:
	v_cmp_eq_u16_e32 vcc_lo, 15, v11
	s_mov_b32 s2, -1
	s_cbranch_vccz .LBB225_482
; %bb.481:
	v_cvt_f32_f64_e32 v6, v[4:5]
	s_mov_b32 s3, -1
	s_mov_b32 s2, 0
	s_delay_alu instid0(VALU_DEP_1) | instskip(SKIP_1) | instid1(VALU_DEP_2)
	v_bfe_u32 v7, v6, 16, 1
	v_cmp_o_f32_e32 vcc_lo, v6, v6
	v_add3_u32 v7, v6, v7, 0x7fff
	s_delay_alu instid0(VALU_DEP_1) | instskip(NEXT) | instid1(VALU_DEP_1)
	v_lshrrev_b32_e32 v7, 16, v7
	v_cndmask_b32_e32 v6, 0x7fc0, v7, vcc_lo
	global_store_b16 v[0:1], v6, off
.LBB225_482:
	s_mov_b32 s22, 0
.LBB225_483:
	s_delay_alu instid0(SALU_CYCLE_1)
	s_and_b32 vcc_lo, exec_lo, s22
	s_cbranch_vccz .LBB225_486
; %bb.484:
	v_cmp_eq_u16_e32 vcc_lo, 11, v11
	s_mov_b32 s2, -1
	s_cbranch_vccz .LBB225_486
; %bb.485:
	v_cmp_neq_f64_e32 vcc_lo, 0, v[4:5]
	v_cmp_neq_f64_e64 s2, 0, v[2:3]
	s_mov_b32 s3, -1
	s_delay_alu instid0(VALU_DEP_1) | instskip(NEXT) | instid1(SALU_CYCLE_1)
	s_or_b32 s2, vcc_lo, s2
	v_cndmask_b32_e64 v6, 0, 1, s2
	s_mov_b32 s2, 0
	global_store_b8 v[0:1], v6, off
.LBB225_486:
.LBB225_487:
	s_and_not1_b32 vcc_lo, exec_lo, s3
	s_cbranch_vccnz .LBB225_406
.LBB225_488:
	v_add_nc_u32_e32 v9, 0x80, v9
	s_mov_b32 s3, -1
	s_branch .LBB225_606
.LBB225_489:
	s_mov_b32 s37, -1
                                        ; implicit-def: $sgpr2_sgpr3
                                        ; implicit-def: $vgpr0_vgpr1
.LBB225_490:
	v_dual_mov_b32 v2, s2 :: v_dual_mov_b32 v3, s3
.LBB225_491:
	s_mov_b32 s2, 0
.LBB225_492:
	s_delay_alu instid0(SALU_CYCLE_1)
	s_and_b32 vcc_lo, exec_lo, s2
	s_cbranch_vccz .LBB225_497
; %bb.493:
	v_cmp_eq_u16_e32 vcc_lo, 29, v8
	s_cbranch_vccz .LBB225_495
; %bb.494:
	global_load_b64 v[0:1], v[4:5], off
	s_mov_b32 s22, -1
	s_mov_b32 s37, 0
	s_mov_b64 s[2:3], 0
	s_waitcnt vmcnt(0)
	v_cvt_f64_u32_e32 v[1:2], v1
	v_cvt_f64_u32_e32 v[11:12], v0
	s_delay_alu instid0(VALU_DEP_2) | instskip(NEXT) | instid1(VALU_DEP_1)
	v_ldexp_f64 v[1:2], v[1:2], 32
	v_add_f64 v[0:1], v[1:2], v[11:12]
	s_branch .LBB225_496
.LBB225_495:
	s_mov_b32 s37, -1
                                        ; implicit-def: $sgpr2_sgpr3
                                        ; implicit-def: $vgpr0_vgpr1
.LBB225_496:
	v_dual_mov_b32 v2, s2 :: v_dual_mov_b32 v3, s3
.LBB225_497:
	s_mov_b32 s2, 0
.LBB225_498:
	s_delay_alu instid0(SALU_CYCLE_1)
	s_and_b32 vcc_lo, exec_lo, s2
	s_cbranch_vccz .LBB225_518
; %bb.499:
	v_cmp_gt_i16_e32 vcc_lo, 27, v8
	s_cbranch_vccnz .LBB225_502
; %bb.500:
	v_cmp_lt_i16_e32 vcc_lo, 27, v8
	s_cbranch_vccz .LBB225_503
; %bb.501:
	global_load_b32 v0, v[4:5], off
	s_mov_b32 s22, 0
	s_mov_b64 s[2:3], 0
	s_waitcnt vmcnt(0)
	v_cvt_f64_u32_e32 v[0:1], v0
	s_branch .LBB225_504
.LBB225_502:
	s_mov_b32 s22, -1
                                        ; implicit-def: $sgpr2_sgpr3
                                        ; implicit-def: $vgpr0_vgpr1
	s_branch .LBB225_507
.LBB225_503:
	s_mov_b32 s22, -1
                                        ; implicit-def: $sgpr2_sgpr3
                                        ; implicit-def: $vgpr0_vgpr1
.LBB225_504:
	s_delay_alu instid0(SALU_CYCLE_1)
	s_and_not1_b32 vcc_lo, exec_lo, s22
	s_cbranch_vccnz .LBB225_506
; %bb.505:
	global_load_u16 v0, v[4:5], off
	s_mov_b64 s[2:3], 0
	s_waitcnt vmcnt(0)
	v_cvt_f64_u32_e32 v[0:1], v0
.LBB225_506:
	s_mov_b32 s22, 0
.LBB225_507:
	v_dual_mov_b32 v2, s2 :: v_dual_mov_b32 v3, s3
	s_and_not1_b32 vcc_lo, exec_lo, s22
	s_cbranch_vccnz .LBB225_517
; %bb.508:
	global_load_u8 v7, v[4:5], off
	s_mov_b32 s38, 0
	s_mov_b32 s40, exec_lo
                                        ; implicit-def: $sgpr2_sgpr3
                                        ; implicit-def: $sgpr22_sgpr23
	s_waitcnt vmcnt(0)
	v_cmpx_lt_i16_e32 0x7f, v7
	s_xor_b32 s40, exec_lo, s40
	s_cbranch_execz .LBB225_512
; %bb.509:
	s_mov_b32 s38, -1
	s_mov_b32 s41, exec_lo
                                        ; implicit-def: $sgpr2_sgpr3
                                        ; implicit-def: $sgpr22_sgpr23
	v_cmpx_eq_u16_e32 0x80, v7
; %bb.510:
	s_mov_b64 s[2:3], 0
	s_mov_b32 s23, 0x7ff80000
	s_brev_b32 s22, 4
	s_xor_b32 s38, exec_lo, -1
; %bb.511:
	s_or_b32 exec_lo, exec_lo, s41
	s_delay_alu instid0(SALU_CYCLE_1)
	s_and_b32 s38, s38, exec_lo
.LBB225_512:
	s_or_saveexec_b32 s40, s40
	v_dual_mov_b32 v2, s2 :: v_dual_mov_b32 v3, s3
	v_dual_mov_b32 v0, s22 :: v_dual_mov_b32 v1, s23
	s_xor_b32 exec_lo, exec_lo, s40
; %bb.513:
	v_mov_b32_e32 v2, 0
	v_mov_b32_e32 v3, 0
	v_cmp_ne_u16_e32 vcc_lo, 0, v7
	s_delay_alu instid0(VALU_DEP_3) | instskip(SKIP_1) | instid1(VALU_DEP_3)
	v_mov_b32_e32 v0, v2
	s_and_not1_b32 s2, s38, exec_lo
	v_mov_b32_e32 v1, v3
	s_and_b32 s3, vcc_lo, exec_lo
	s_delay_alu instid0(SALU_CYCLE_1)
	s_or_b32 s38, s2, s3
; %bb.514:
	s_or_b32 exec_lo, exec_lo, s40
	s_and_saveexec_b32 s2, s38
	s_cbranch_execz .LBB225_516
; %bb.515:
	v_and_b32_e32 v0, 0xffff, v7
	v_lshlrev_b32_e32 v7, 24, v7
	s_delay_alu instid0(VALU_DEP_2) | instskip(NEXT) | instid1(VALU_DEP_1)
	v_and_b32_e32 v1, 7, v0
	v_clz_i32_u32_e32 v2, v1
	s_delay_alu instid0(VALU_DEP_1) | instskip(NEXT) | instid1(VALU_DEP_1)
	v_min_u32_e32 v2, 32, v2
	v_subrev_nc_u32_e32 v3, 28, v2
	v_sub_nc_u32_e32 v2, 29, v2
	s_delay_alu instid0(VALU_DEP_2) | instskip(SKIP_1) | instid1(VALU_DEP_2)
	v_lshlrev_b32_e32 v3, v3, v0
	v_bfe_u32 v0, v0, 3, 4
	v_and_b32_e32 v3, 7, v3
	s_delay_alu instid0(VALU_DEP_2) | instskip(NEXT) | instid1(VALU_DEP_2)
	v_cmp_eq_u32_e32 vcc_lo, 0, v0
	v_dual_cndmask_b32 v0, v0, v2 :: v_dual_cndmask_b32 v1, v1, v3
	v_and_b32_e32 v2, 0x80000000, v7
	s_delay_alu instid0(VALU_DEP_2) | instskip(NEXT) | instid1(VALU_DEP_3)
	v_lshl_add_u32 v0, v0, 23, 0x3b800000
	v_lshlrev_b32_e32 v1, 20, v1
	s_delay_alu instid0(VALU_DEP_1) | instskip(SKIP_2) | instid1(VALU_DEP_3)
	v_or3_b32 v0, v2, v0, v1
	v_mov_b32_e32 v2, 0
	v_mov_b32_e32 v3, 0
	v_cvt_f64_f32_e32 v[0:1], v0
.LBB225_516:
	s_or_b32 exec_lo, exec_lo, s2
.LBB225_517:
	s_mov_b32 s22, -1
.LBB225_518:
	s_mov_b32 s2, 0
.LBB225_519:
	s_delay_alu instid0(SALU_CYCLE_1)
	s_and_b32 vcc_lo, exec_lo, s2
	s_cbranch_vccz .LBB225_553
; %bb.520:
	v_cmp_lt_i16_e32 vcc_lo, 22, v8
	s_cbranch_vccz .LBB225_532
; %bb.521:
	v_cmp_gt_i16_e32 vcc_lo, 24, v8
	s_cbranch_vccnz .LBB225_533
; %bb.522:
	v_cmp_lt_i16_e32 vcc_lo, 24, v8
	s_cbranch_vccz .LBB225_534
; %bb.523:
	global_load_u8 v7, v[4:5], off
	s_mov_b32 s38, 0
	s_mov_b32 s40, exec_lo
                                        ; implicit-def: $sgpr2_sgpr3
                                        ; implicit-def: $sgpr22_sgpr23
	s_waitcnt vmcnt(0)
	v_cmpx_lt_i16_e32 0x7f, v7
	s_xor_b32 s40, exec_lo, s40
	s_cbranch_execz .LBB225_527
; %bb.524:
	s_mov_b32 s38, -1
	s_mov_b32 s41, exec_lo
                                        ; implicit-def: $sgpr2_sgpr3
                                        ; implicit-def: $sgpr22_sgpr23
	v_cmpx_eq_u16_e32 0x80, v7
; %bb.525:
	s_mov_b64 s[2:3], 0
	s_mov_b32 s23, 0x7ff80000
	s_brev_b32 s22, 4
	s_xor_b32 s38, exec_lo, -1
; %bb.526:
	s_or_b32 exec_lo, exec_lo, s41
	s_delay_alu instid0(SALU_CYCLE_1)
	s_and_b32 s38, s38, exec_lo
.LBB225_527:
	s_or_saveexec_b32 s40, s40
	v_dual_mov_b32 v2, s2 :: v_dual_mov_b32 v3, s3
	v_dual_mov_b32 v0, s22 :: v_dual_mov_b32 v1, s23
	s_xor_b32 exec_lo, exec_lo, s40
; %bb.528:
	v_mov_b32_e32 v2, 0
	v_mov_b32_e32 v3, 0
	v_cmp_ne_u16_e32 vcc_lo, 0, v7
	s_delay_alu instid0(VALU_DEP_3) | instskip(SKIP_1) | instid1(VALU_DEP_3)
	v_mov_b32_e32 v0, v2
	s_and_not1_b32 s2, s38, exec_lo
	v_mov_b32_e32 v1, v3
	s_and_b32 s3, vcc_lo, exec_lo
	s_delay_alu instid0(SALU_CYCLE_1)
	s_or_b32 s38, s2, s3
; %bb.529:
	s_or_b32 exec_lo, exec_lo, s40
	s_and_saveexec_b32 s2, s38
	s_cbranch_execz .LBB225_531
; %bb.530:
	v_and_b32_e32 v0, 0xffff, v7
	v_lshlrev_b32_e32 v7, 24, v7
	s_delay_alu instid0(VALU_DEP_2) | instskip(NEXT) | instid1(VALU_DEP_1)
	v_and_b32_e32 v1, 3, v0
	v_clz_i32_u32_e32 v2, v1
	s_delay_alu instid0(VALU_DEP_1) | instskip(NEXT) | instid1(VALU_DEP_1)
	v_min_u32_e32 v2, 32, v2
	v_subrev_nc_u32_e32 v3, 29, v2
	v_sub_nc_u32_e32 v2, 30, v2
	s_delay_alu instid0(VALU_DEP_2) | instskip(SKIP_1) | instid1(VALU_DEP_2)
	v_lshlrev_b32_e32 v3, v3, v0
	v_bfe_u32 v0, v0, 2, 5
	v_and_b32_e32 v3, 3, v3
	s_delay_alu instid0(VALU_DEP_2) | instskip(NEXT) | instid1(VALU_DEP_2)
	v_cmp_eq_u32_e32 vcc_lo, 0, v0
	v_dual_cndmask_b32 v0, v0, v2 :: v_dual_cndmask_b32 v1, v1, v3
	v_and_b32_e32 v2, 0x80000000, v7
	s_delay_alu instid0(VALU_DEP_2) | instskip(NEXT) | instid1(VALU_DEP_3)
	v_lshl_add_u32 v0, v0, 23, 0x37800000
	v_lshlrev_b32_e32 v1, 21, v1
	s_delay_alu instid0(VALU_DEP_1) | instskip(SKIP_2) | instid1(VALU_DEP_3)
	v_or3_b32 v0, v2, v0, v1
	v_mov_b32_e32 v2, 0
	v_mov_b32_e32 v3, 0
	v_cvt_f64_f32_e32 v[0:1], v0
.LBB225_531:
	s_or_b32 exec_lo, exec_lo, s2
	s_mov_b32 s2, 0
	s_branch .LBB225_535
.LBB225_532:
	s_mov_b32 s2, -1
                                        ; implicit-def: $vgpr2_vgpr3
	s_branch .LBB225_541
.LBB225_533:
	s_mov_b32 s2, -1
                                        ; implicit-def: $vgpr2_vgpr3
	s_branch .LBB225_538
.LBB225_534:
	s_mov_b32 s2, -1
                                        ; implicit-def: $vgpr2_vgpr3
.LBB225_535:
	s_delay_alu instid0(SALU_CYCLE_1)
	s_and_b32 vcc_lo, exec_lo, s2
	s_cbranch_vccz .LBB225_537
; %bb.536:
	global_load_u8 v0, v[4:5], off
	s_waitcnt vmcnt(0)
	v_lshlrev_b32_e32 v0, 24, v0
	s_delay_alu instid0(VALU_DEP_1) | instskip(NEXT) | instid1(VALU_DEP_1)
	v_and_b32_e32 v1, 0x7f000000, v0
	v_clz_i32_u32_e32 v2, v1
	v_add_nc_u32_e32 v7, 0x1000000, v1
	v_cmp_ne_u32_e32 vcc_lo, 0, v1
	s_delay_alu instid0(VALU_DEP_3) | instskip(NEXT) | instid1(VALU_DEP_1)
	v_min_u32_e32 v2, 32, v2
	v_sub_nc_u32_e64 v2, v2, 4 clamp
	s_delay_alu instid0(VALU_DEP_1) | instskip(SKIP_1) | instid1(VALU_DEP_2)
	v_lshlrev_b32_e32 v3, v2, v1
	v_lshlrev_b32_e32 v2, 23, v2
	v_lshrrev_b32_e32 v3, 4, v3
	s_delay_alu instid0(VALU_DEP_1) | instskip(SKIP_1) | instid1(VALU_DEP_2)
	v_sub_nc_u32_e32 v2, v3, v2
	v_ashrrev_i32_e32 v3, 8, v7
	v_add_nc_u32_e32 v2, 0x3c000000, v2
	s_delay_alu instid0(VALU_DEP_1) | instskip(NEXT) | instid1(VALU_DEP_1)
	v_and_or_b32 v2, 0x7f800000, v3, v2
	v_dual_cndmask_b32 v1, 0, v2 :: v_dual_mov_b32 v2, 0
	v_mov_b32_e32 v3, 0
	s_delay_alu instid0(VALU_DEP_2) | instskip(NEXT) | instid1(VALU_DEP_1)
	v_and_or_b32 v0, 0x80000000, v0, v1
	v_cvt_f64_f32_e32 v[0:1], v0
.LBB225_537:
	s_mov_b32 s2, 0
.LBB225_538:
	s_delay_alu instid0(SALU_CYCLE_1)
	s_and_not1_b32 vcc_lo, exec_lo, s2
	s_cbranch_vccnz .LBB225_540
; %bb.539:
	global_load_u8 v0, v[4:5], off
	s_waitcnt vmcnt(0)
	v_lshlrev_b32_e32 v1, 25, v0
	v_lshlrev_b16 v0, 8, v0
	s_delay_alu instid0(VALU_DEP_2) | instskip(NEXT) | instid1(VALU_DEP_2)
	v_lshrrev_b32_e32 v2, 4, v1
	v_and_or_b32 v3, 0x7f00, v0, 0.5
	v_bfe_i32 v0, v0, 0, 16
	s_delay_alu instid0(VALU_DEP_3) | instskip(NEXT) | instid1(VALU_DEP_1)
	v_or_b32_e32 v2, 0x70000000, v2
	v_dual_add_f32 v3, -0.5, v3 :: v_dual_mul_f32 v2, 0x7800000, v2
	v_cmp_gt_u32_e32 vcc_lo, 0x8000000, v1
	s_delay_alu instid0(VALU_DEP_2) | instskip(SKIP_1) | instid1(VALU_DEP_2)
	v_dual_cndmask_b32 v1, v2, v3 :: v_dual_mov_b32 v2, 0
	v_mov_b32_e32 v3, 0
	v_and_or_b32 v0, 0x80000000, v0, v1
	s_delay_alu instid0(VALU_DEP_1)
	v_cvt_f64_f32_e32 v[0:1], v0
.LBB225_540:
	s_mov_b32 s2, 0
	s_mov_b32 s22, -1
.LBB225_541:
	s_and_not1_b32 vcc_lo, exec_lo, s2
	s_cbranch_vccnz .LBB225_553
; %bb.542:
	v_cmp_lt_i16_e32 vcc_lo, 14, v8
	s_cbranch_vccz .LBB225_545
; %bb.543:
	v_cmp_eq_u16_e32 vcc_lo, 15, v8
	s_cbranch_vccz .LBB225_546
; %bb.544:
	global_load_u16 v0, v[4:5], off
	s_mov_b32 s22, -1
	s_mov_b32 s37, 0
	s_mov_b64 s[2:3], 0
	s_waitcnt vmcnt(0)
	v_lshlrev_b32_e32 v0, 16, v0
	s_delay_alu instid0(VALU_DEP_1)
	v_cvt_f64_f32_e32 v[0:1], v0
	s_branch .LBB225_547
.LBB225_545:
	s_mov_b32 s23, -1
                                        ; implicit-def: $sgpr2_sgpr3
                                        ; implicit-def: $vgpr0_vgpr1
	s_branch .LBB225_548
.LBB225_546:
	s_mov_b32 s37, -1
                                        ; implicit-def: $sgpr2_sgpr3
                                        ; implicit-def: $vgpr0_vgpr1
.LBB225_547:
	s_mov_b32 s23, 0
.LBB225_548:
	s_delay_alu instid0(SALU_CYCLE_1)
	s_and_b32 vcc_lo, exec_lo, s23
	s_cbranch_vccz .LBB225_552
; %bb.549:
	v_cmp_eq_u16_e32 vcc_lo, 11, v8
	s_cbranch_vccz .LBB225_551
; %bb.550:
	global_load_u8 v0, v[4:5], off
	s_mov_b32 s37, 0
	s_mov_b32 s22, -1
	s_mov_b64 s[2:3], 0
	s_waitcnt vmcnt(0)
	v_cmp_ne_u16_e32 vcc_lo, 0, v0
	v_mov_b32_e32 v0, 0
	v_cndmask_b32_e64 v1, 0, 0x3ff00000, vcc_lo
	s_branch .LBB225_552
.LBB225_551:
	s_mov_b32 s37, -1
                                        ; implicit-def: $sgpr2_sgpr3
                                        ; implicit-def: $vgpr0_vgpr1
.LBB225_552:
	v_dual_mov_b32 v2, s2 :: v_dual_mov_b32 v3, s3
.LBB225_553:
	s_branch .LBB225_323
.LBB225_554:
	v_cmp_gt_i16_e32 vcc_lo, 5, v8
	s_cbranch_vccnz .LBB225_559
; %bb.555:
	v_cmp_gt_i16_e32 vcc_lo, 8, v8
	s_cbranch_vccnz .LBB225_560
; %bb.556:
	;; [unrolled: 3-line block ×3, first 2 shown]
	v_cmp_lt_i16_e32 vcc_lo, 9, v8
	s_cbranch_vccz .LBB225_562
; %bb.558:
	global_load_b128 v[0:3], v[4:5], off
	s_mov_b32 s2, 0
	s_branch .LBB225_563
.LBB225_559:
	s_mov_b32 s2, -1
                                        ; implicit-def: $vgpr2_vgpr3
	s_branch .LBB225_582
.LBB225_560:
	s_mov_b32 s2, -1
                                        ; implicit-def: $vgpr2_vgpr3
	s_branch .LBB225_569
.LBB225_561:
	s_mov_b32 s2, -1
                                        ; implicit-def: $vgpr2_vgpr3
	s_branch .LBB225_566
.LBB225_562:
	s_mov_b32 s2, -1
                                        ; implicit-def: $vgpr2_vgpr3
.LBB225_563:
	s_delay_alu instid0(SALU_CYCLE_1)
	s_and_not1_b32 vcc_lo, exec_lo, s2
	s_cbranch_vccnz .LBB225_565
; %bb.564:
	global_load_b64 v[1:2], v[4:5], off
	s_waitcnt vmcnt(0)
	v_cvt_f64_f32_e32 v[0:1], v1
	v_cvt_f64_f32_e32 v[2:3], v2
.LBB225_565:
	s_mov_b32 s2, 0
.LBB225_566:
	s_delay_alu instid0(SALU_CYCLE_1)
	s_and_not1_b32 vcc_lo, exec_lo, s2
	s_cbranch_vccnz .LBB225_568
; %bb.567:
	global_load_b32 v0, v[4:5], off
	s_waitcnt vmcnt(0)
	v_lshrrev_b32_e32 v1, 16, v0
	v_cvt_f32_f16_e32 v0, v0
	s_delay_alu instid0(VALU_DEP_2) | instskip(NEXT) | instid1(VALU_DEP_2)
	v_cvt_f32_f16_e32 v2, v1
	v_cvt_f64_f32_e32 v[0:1], v0
	s_delay_alu instid0(VALU_DEP_2)
	v_cvt_f64_f32_e32 v[2:3], v2
.LBB225_568:
	s_mov_b32 s2, 0
.LBB225_569:
	s_delay_alu instid0(SALU_CYCLE_1)
	s_and_not1_b32 vcc_lo, exec_lo, s2
	s_cbranch_vccnz .LBB225_581
; %bb.570:
	v_cmp_gt_i16_e32 vcc_lo, 6, v8
	s_cbranch_vccnz .LBB225_573
; %bb.571:
	v_cmp_lt_i16_e32 vcc_lo, 6, v8
	s_cbranch_vccz .LBB225_574
; %bb.572:
	global_load_b64 v[0:1], v[4:5], off
	s_mov_b32 s22, 0
	s_mov_b64 s[2:3], 0
	s_branch .LBB225_575
.LBB225_573:
	s_mov_b32 s22, -1
                                        ; implicit-def: $sgpr2_sgpr3
                                        ; implicit-def: $vgpr0_vgpr1
	s_branch .LBB225_578
.LBB225_574:
	s_mov_b32 s22, -1
                                        ; implicit-def: $sgpr2_sgpr3
                                        ; implicit-def: $vgpr0_vgpr1
.LBB225_575:
	s_delay_alu instid0(SALU_CYCLE_1)
	s_and_not1_b32 vcc_lo, exec_lo, s22
	s_cbranch_vccnz .LBB225_577
; %bb.576:
	global_load_b32 v0, v[4:5], off
	s_mov_b64 s[2:3], 0
	s_waitcnt vmcnt(0)
	v_cvt_f64_f32_e32 v[0:1], v0
.LBB225_577:
	s_mov_b32 s22, 0
.LBB225_578:
	s_delay_alu instid0(SALU_CYCLE_1)
	s_and_not1_b32 vcc_lo, exec_lo, s22
	s_cbranch_vccnz .LBB225_580
; %bb.579:
	global_load_u16 v0, v[4:5], off
	s_mov_b64 s[2:3], 0
	s_waitcnt vmcnt(0)
	v_cvt_f32_f16_e32 v0, v0
	s_delay_alu instid0(VALU_DEP_1)
	v_cvt_f64_f32_e32 v[0:1], v0
.LBB225_580:
	s_waitcnt vmcnt(0)
	v_dual_mov_b32 v2, s2 :: v_dual_mov_b32 v3, s3
.LBB225_581:
	s_mov_b32 s2, 0
.LBB225_582:
	s_delay_alu instid0(SALU_CYCLE_1)
	s_and_not1_b32 vcc_lo, exec_lo, s2
	s_cbranch_vccnz .LBB225_603
; %bb.583:
	v_cmp_gt_i16_e32 vcc_lo, 2, v8
	s_cbranch_vccnz .LBB225_587
; %bb.584:
	v_cmp_gt_i16_e32 vcc_lo, 3, v8
	s_cbranch_vccnz .LBB225_588
; %bb.585:
	v_cmp_lt_i16_e32 vcc_lo, 3, v8
	s_cbranch_vccz .LBB225_589
; %bb.586:
	global_load_b64 v[0:1], v[4:5], off
	s_mov_b32 s22, 0
	s_mov_b64 s[2:3], 0
	s_waitcnt vmcnt(0)
	v_cvt_f64_i32_e32 v[1:2], v1
	v_cvt_f64_u32_e32 v[11:12], v0
	s_delay_alu instid0(VALU_DEP_2) | instskip(NEXT) | instid1(VALU_DEP_1)
	v_ldexp_f64 v[1:2], v[1:2], 32
	v_add_f64 v[0:1], v[1:2], v[11:12]
	s_branch .LBB225_590
.LBB225_587:
	s_mov_b32 s22, -1
                                        ; implicit-def: $sgpr2_sgpr3
                                        ; implicit-def: $vgpr0_vgpr1
	s_branch .LBB225_596
.LBB225_588:
	s_mov_b32 s22, -1
                                        ; implicit-def: $sgpr2_sgpr3
                                        ; implicit-def: $vgpr0_vgpr1
	s_branch .LBB225_593
.LBB225_589:
	s_mov_b32 s22, -1
                                        ; implicit-def: $sgpr2_sgpr3
                                        ; implicit-def: $vgpr0_vgpr1
.LBB225_590:
	s_delay_alu instid0(SALU_CYCLE_1)
	s_and_not1_b32 vcc_lo, exec_lo, s22
	s_cbranch_vccnz .LBB225_592
; %bb.591:
	global_load_b32 v0, v[4:5], off
	s_mov_b64 s[2:3], 0
	s_waitcnt vmcnt(0)
	v_cvt_f64_i32_e32 v[0:1], v0
.LBB225_592:
	s_mov_b32 s22, 0
.LBB225_593:
	s_delay_alu instid0(SALU_CYCLE_1)
	s_and_not1_b32 vcc_lo, exec_lo, s22
	s_cbranch_vccnz .LBB225_595
; %bb.594:
	global_load_i16 v0, v[4:5], off
	s_mov_b64 s[2:3], 0
	s_waitcnt vmcnt(0)
	v_cvt_f64_i32_e32 v[0:1], v0
.LBB225_595:
	s_mov_b32 s22, 0
.LBB225_596:
	s_delay_alu instid0(SALU_CYCLE_1)
	s_and_not1_b32 vcc_lo, exec_lo, s22
	s_cbranch_vccnz .LBB225_602
; %bb.597:
	v_cmp_lt_i16_e32 vcc_lo, 0, v8
	s_mov_b32 s22, 0
	s_cbranch_vccz .LBB225_599
; %bb.598:
	global_load_i8 v0, v[4:5], off
	s_mov_b64 s[2:3], 0
	s_waitcnt vmcnt(0)
	v_cvt_f64_i32_e32 v[0:1], v0
	s_branch .LBB225_600
.LBB225_599:
	s_mov_b32 s22, -1
                                        ; implicit-def: $sgpr2_sgpr3
                                        ; implicit-def: $vgpr0_vgpr1
.LBB225_600:
	s_delay_alu instid0(SALU_CYCLE_1)
	s_and_not1_b32 vcc_lo, exec_lo, s22
	s_cbranch_vccnz .LBB225_602
; %bb.601:
	global_load_u8 v0, v[4:5], off
	s_mov_b64 s[2:3], 0
	s_waitcnt vmcnt(0)
	v_cvt_f64_u32_e32 v[0:1], v0
.LBB225_602:
	s_waitcnt vmcnt(0)
	v_dual_mov_b32 v2, s2 :: v_dual_mov_b32 v3, s3
.LBB225_603:
	s_branch .LBB225_324
.LBB225_604:
	s_mov_b32 s3, 0
	s_mov_b32 s2, s34
.LBB225_605:
                                        ; implicit-def: $vgpr9
.LBB225_606:
	s_and_not1_b32 s22, s34, exec_lo
	s_and_b32 s2, s2, exec_lo
	s_and_not1_b32 s23, s35, exec_lo
	s_and_b32 s37, s37, exec_lo
	s_or_b32 s38, s22, s2
	s_or_b32 s37, s23, s37
	s_or_not1_b32 s22, s3, exec_lo
.LBB225_607:
	s_or_b32 exec_lo, exec_lo, s39
	s_mov_b32 s3, 0
	s_mov_b32 s2, 0
	s_mov_b32 s23, 0
                                        ; implicit-def: $vgpr4_vgpr5
                                        ; implicit-def: $vgpr6
                                        ; implicit-def: $vgpr2_vgpr3
	s_and_saveexec_b32 s39, s22
	s_cbranch_execz .LBB225_1019
; %bb.608:
	s_mov_b32 s42, -1
	s_mov_b32 s22, s37
	s_mov_b32 s23, s38
	s_mov_b32 s40, exec_lo
	v_cmpx_gt_i32_e64 s30, v9
	s_cbranch_execz .LBB225_917
; %bb.609:
	s_and_not1_b32 vcc_lo, exec_lo, s27
	s_cbranch_vccnz .LBB225_614
; %bb.610:
	v_mov_b32_e32 v6, 0
	s_waitcnt vmcnt(0)
	v_mov_b32_e32 v0, 0
	s_and_not1_b32 vcc_lo, exec_lo, s33
	s_mov_b32 s41, 0
	s_cbranch_vccnz .LBB225_619
; %bb.611:
	v_mov_b32_e32 v6, 0
	s_add_i32 s43, s31, 1
	s_cmp_eq_u32 s25, 2
	s_mov_b32 s42, 0
	s_cbranch_scc1 .LBB225_615
; %bb.612:
	v_dual_mov_b32 v0, 0 :: v_dual_mov_b32 v1, v9
	v_mov_b32_e32 v6, 0
	s_and_b32 s42, s43, 28
	s_mov_b32 s44, 0
	s_mov_b64 s[2:3], s[20:21]
	s_mov_b64 s[22:23], s[16:17]
.LBB225_613:                            ; =>This Inner Loop Header: Depth=1
	s_clause 0x1
	s_load_b256 s[48:55], s[22:23], 0x4
	s_load_b128 s[64:67], s[22:23], 0x24
	s_load_b256 s[56:63], s[2:3], 0x0
	s_add_u32 s22, s22, 48
	s_addc_u32 s23, s23, 0
	s_add_i32 s44, s44, 4
	s_add_u32 s2, s2, 32
	s_addc_u32 s3, s3, 0
	s_cmp_eq_u32 s42, s44
	s_waitcnt lgkmcnt(0)
	v_mul_hi_u32 v2, s49, v1
	s_delay_alu instid0(VALU_DEP_1) | instskip(NEXT) | instid1(VALU_DEP_1)
	v_add_nc_u32_e32 v2, v1, v2
	v_lshrrev_b32_e32 v2, s50, v2
	s_delay_alu instid0(VALU_DEP_1) | instskip(SKIP_1) | instid1(VALU_DEP_2)
	v_mul_hi_u32 v3, s52, v2
	v_mul_lo_u32 v5, v2, s48
	v_add_nc_u32_e32 v3, v2, v3
	s_delay_alu instid0(VALU_DEP_2) | instskip(NEXT) | instid1(VALU_DEP_2)
	v_sub_nc_u32_e32 v1, v1, v5
	v_lshrrev_b32_e32 v3, s53, v3
	s_delay_alu instid0(VALU_DEP_2) | instskip(SKIP_1) | instid1(VALU_DEP_3)
	v_mul_lo_u32 v5, v1, s56
	v_mul_lo_u32 v11, v1, s57
	v_mul_hi_u32 v4, s55, v3
	s_delay_alu instid0(VALU_DEP_1) | instskip(NEXT) | instid1(VALU_DEP_1)
	v_add_nc_u32_e32 v4, v3, v4
	v_lshrrev_b32_e32 v4, s64, v4
	s_delay_alu instid0(VALU_DEP_1) | instskip(SKIP_1) | instid1(VALU_DEP_2)
	v_mul_hi_u32 v7, s66, v4
	v_mul_lo_u32 v12, v4, s54
	v_add_nc_u32_e32 v1, v4, v7
	v_mul_lo_u32 v7, v3, s51
	s_delay_alu instid0(VALU_DEP_3) | instskip(NEXT) | instid1(VALU_DEP_3)
	v_sub_nc_u32_e32 v3, v3, v12
	v_lshrrev_b32_e32 v1, s67, v1
	s_delay_alu instid0(VALU_DEP_2) | instskip(SKIP_2) | instid1(VALU_DEP_4)
	v_mul_lo_u32 v12, v3, s60
	v_mul_lo_u32 v3, v3, s61
	v_sub_nc_u32_e32 v2, v2, v7
	v_mul_lo_u32 v13, v1, s65
	s_delay_alu instid0(VALU_DEP_2) | instskip(SKIP_1) | instid1(VALU_DEP_3)
	v_mul_lo_u32 v7, v2, s58
	v_mul_lo_u32 v2, v2, s59
	v_sub_nc_u32_e32 v4, v4, v13
	s_delay_alu instid0(VALU_DEP_3) | instskip(NEXT) | instid1(VALU_DEP_2)
	v_add3_u32 v5, v5, v6, v7
	v_mul_lo_u32 v13, v4, s62
	v_mul_lo_u32 v4, v4, s63
	v_add3_u32 v0, v11, v0, v2
	s_delay_alu instid0(VALU_DEP_3) | instskip(NEXT) | instid1(VALU_DEP_2)
	v_add3_u32 v6, v12, v5, v13
	v_add3_u32 v0, v3, v0, v4
	s_cbranch_scc0 .LBB225_613
	s_branch .LBB225_616
.LBB225_614:
	s_mov_b32 s41, -1
                                        ; implicit-def: $vgpr6
                                        ; implicit-def: $vgpr0
	s_branch .LBB225_619
.LBB225_615:
	v_dual_mov_b32 v1, v9 :: v_dual_mov_b32 v0, 0
.LBB225_616:
	s_and_b32 s43, s43, 3
	s_delay_alu instid0(SALU_CYCLE_1)
	s_cmp_eq_u32 s43, 0
	s_cbranch_scc1 .LBB225_619
; %bb.617:
	s_lshl_b32 s2, s42, 3
	s_mul_i32 s22, s42, 12
	s_add_u32 s2, s2, s16
	s_addc_u32 s3, s17, 0
	s_add_u32 s2, s2, 0xc4
	s_addc_u32 s3, s3, 0
	;; [unrolled: 2-line block ×3, first 2 shown]
	.p2align	6
.LBB225_618:                            ; =>This Inner Loop Header: Depth=1
	s_clause 0x1
	s_load_b64 s[44:45], s[22:23], 0x4
	s_load_b32 s42, s[22:23], 0xc
	s_load_b64 s[46:47], s[2:3], 0x0
	s_add_u32 s22, s22, 12
	s_addc_u32 s23, s23, 0
	s_add_u32 s2, s2, 8
	s_addc_u32 s3, s3, 0
	s_add_i32 s43, s43, -1
	s_delay_alu instid0(SALU_CYCLE_1) | instskip(SKIP_2) | instid1(VALU_DEP_1)
	s_cmp_lg_u32 s43, 0
	s_waitcnt lgkmcnt(0)
	v_mul_hi_u32 v2, s45, v1
	v_add_nc_u32_e32 v2, v1, v2
	s_delay_alu instid0(VALU_DEP_1) | instskip(NEXT) | instid1(VALU_DEP_1)
	v_lshrrev_b32_e32 v5, s42, v2
	v_mul_lo_u32 v2, v5, s44
	s_delay_alu instid0(VALU_DEP_1) | instskip(NEXT) | instid1(VALU_DEP_1)
	v_sub_nc_u32_e32 v1, v1, v2
	v_mad_u64_u32 v[2:3], null, v1, s46, v[6:7]
	v_mad_u64_u32 v[3:4], null, v1, s47, v[0:1]
	s_delay_alu instid0(VALU_DEP_2) | instskip(NEXT) | instid1(VALU_DEP_2)
	v_dual_mov_b32 v1, v5 :: v_dual_mov_b32 v6, v2
	v_mov_b32_e32 v0, v3
	s_cbranch_scc1 .LBB225_618
.LBB225_619:
	s_and_not1_b32 vcc_lo, exec_lo, s41
	s_cbranch_vccnz .LBB225_622
; %bb.620:
	s_waitcnt vmcnt(0) lgkmcnt(0)
	v_mul_hi_u32 v0, s13, v9
	s_and_not1_b32 vcc_lo, exec_lo, s29
	s_delay_alu instid0(VALU_DEP_1) | instskip(NEXT) | instid1(VALU_DEP_1)
	v_add_nc_u32_e32 v0, v9, v0
	v_lshrrev_b32_e32 v1, s14, v0
	s_delay_alu instid0(VALU_DEP_1) | instskip(NEXT) | instid1(VALU_DEP_1)
	v_mul_lo_u32 v0, v1, s12
	v_sub_nc_u32_e32 v0, v9, v0
	s_delay_alu instid0(VALU_DEP_1)
	v_mul_lo_u32 v6, v0, s8
	v_mul_lo_u32 v0, v0, s9
	s_cbranch_vccnz .LBB225_622
; %bb.621:
	v_mul_hi_u32 v2, s18, v1
	s_delay_alu instid0(VALU_DEP_1) | instskip(NEXT) | instid1(VALU_DEP_1)
	v_add_nc_u32_e32 v2, v1, v2
	v_lshrrev_b32_e32 v2, s19, v2
	s_delay_alu instid0(VALU_DEP_1) | instskip(NEXT) | instid1(VALU_DEP_1)
	v_mul_lo_u32 v2, v2, s15
	v_sub_nc_u32_e32 v4, v1, v2
	s_delay_alu instid0(VALU_DEP_1) | instskip(NEXT) | instid1(VALU_DEP_1)
	v_mad_u64_u32 v[1:2], null, v4, s10, v[6:7]
	v_mad_u64_u32 v[2:3], null, v4, s11, v[0:1]
	v_mov_b32_e32 v6, v1
	s_delay_alu instid0(VALU_DEP_2)
	v_mov_b32_e32 v0, v2
.LBB225_622:
	v_cmp_gt_i16_e32 vcc_lo, 11, v8
	s_waitcnt vmcnt(0) lgkmcnt(0)
	s_delay_alu instid0(VALU_DEP_2) | instskip(NEXT) | instid1(VALU_DEP_1)
	v_add_co_u32 v4, s2, s6, v0
	v_add_co_ci_u32_e64 v5, null, s7, 0, s2
	s_mov_b32 s22, 0
	s_cbranch_vccnz .LBB225_629
; %bb.623:
	v_cmp_lt_i16_e32 vcc_lo, 25, v8
	s_cbranch_vccz .LBB225_630
; %bb.624:
	v_cmp_lt_i16_e32 vcc_lo, 28, v8
	s_cbranch_vccz .LBB225_631
	;; [unrolled: 3-line block ×4, first 2 shown]
; %bb.627:
	v_cmp_eq_u16_e32 vcc_lo, 46, v8
	s_mov_b32 s2, 0
	s_cbranch_vccz .LBB225_638
; %bb.628:
	global_load_b32 v0, v[4:5], off
	s_mov_b32 s22, -1
	s_mov_b32 s41, 0
	s_waitcnt vmcnt(0)
	v_lshlrev_b32_e32 v1, 16, v0
	v_and_b32_e32 v2, 0xffff0000, v0
	s_delay_alu instid0(VALU_DEP_2) | instskip(NEXT) | instid1(VALU_DEP_2)
	v_cvt_f64_f32_e32 v[0:1], v1
	v_cvt_f64_f32_e32 v[2:3], v2
	s_branch .LBB225_640
.LBB225_629:
	s_mov_b32 s2, -1
	s_mov_b32 s41, s37
                                        ; implicit-def: $vgpr2_vgpr3
	s_branch .LBB225_708
.LBB225_630:
	s_mov_b32 s2, -1
	s_mov_b32 s41, s37
                                        ; implicit-def: $vgpr2_vgpr3
	s_branch .LBB225_673
.LBB225_631:
	s_mov_b32 s2, -1
	s_mov_b32 s41, s37
                                        ; implicit-def: $vgpr2_vgpr3
	s_branch .LBB225_652
.LBB225_632:
	s_mov_b32 s2, -1
	s_mov_b32 s41, s37
                                        ; implicit-def: $vgpr2_vgpr3
	s_branch .LBB225_646
.LBB225_633:
	s_or_saveexec_b32 s23, s23
                                        ; implicit-def: $sgpr38
	s_delay_alu instid0(SALU_CYCLE_1)
	s_xor_b32 exec_lo, exec_lo, s23
	s_cbranch_execz .LBB225_439
.LBB225_634:
	v_add_f32_e64 v7, 0x46000000, |v6|
	s_and_not1_b32 s22, s22, exec_lo
	s_mov_b32 s38, 0
	s_delay_alu instid0(VALU_DEP_1) | instskip(NEXT) | instid1(VALU_DEP_1)
	v_and_b32_e32 v7, 0xff, v7
	v_cmp_ne_u32_e32 vcc_lo, 0, v7
	s_and_b32 s40, vcc_lo, exec_lo
	s_delay_alu instid0(SALU_CYCLE_1)
	s_or_b32 s22, s22, s40
	s_or_b32 exec_lo, exec_lo, s23
	v_mov_b32_e32 v12, s38
	s_and_saveexec_b32 s23, s22
	s_cbranch_execnz .LBB225_440
	s_branch .LBB225_441
.LBB225_635:
	s_mov_b32 s2, -1
	s_mov_b32 s41, s37
	s_branch .LBB225_639
.LBB225_636:
	s_or_saveexec_b32 s23, s23
                                        ; implicit-def: $sgpr38
	s_delay_alu instid0(SALU_CYCLE_1)
	s_xor_b32 exec_lo, exec_lo, s23
	s_cbranch_execz .LBB225_452
.LBB225_637:
	v_add_f32_e64 v7, 0x42800000, |v6|
	s_and_not1_b32 s22, s22, exec_lo
	s_mov_b32 s38, 0
	s_delay_alu instid0(VALU_DEP_1) | instskip(NEXT) | instid1(VALU_DEP_1)
	v_and_b32_e32 v7, 0xff, v7
	v_cmp_ne_u32_e32 vcc_lo, 0, v7
	s_and_b32 s40, vcc_lo, exec_lo
	s_delay_alu instid0(SALU_CYCLE_1)
	s_or_b32 s22, s22, s40
	s_or_b32 exec_lo, exec_lo, s23
	v_mov_b32_e32 v12, s38
	s_and_saveexec_b32 s23, s22
	s_cbranch_execnz .LBB225_453
	s_branch .LBB225_454
.LBB225_638:
	s_mov_b32 s41, -1
.LBB225_639:
                                        ; implicit-def: $vgpr2_vgpr3
.LBB225_640:
	s_and_b32 vcc_lo, exec_lo, s2
	s_cbranch_vccz .LBB225_645
; %bb.641:
	v_cmp_eq_u16_e32 vcc_lo, 44, v8
	s_cbranch_vccz .LBB225_643
; %bb.642:
	global_load_u8 v2, v[4:5], off
	s_mov_b32 s41, 0
	s_mov_b32 s22, -1
	s_mov_b64 s[2:3], 0
	s_waitcnt vmcnt(0)
	v_cmp_ne_u32_e32 vcc_lo, 0xff, v2
	v_lshlrev_b32_e32 v0, 23, v2
	s_delay_alu instid0(VALU_DEP_1) | instskip(NEXT) | instid1(VALU_DEP_1)
	v_cvt_f64_f32_e32 v[0:1], v0
	v_cndmask_b32_e32 v1, 0x7ff80000, v1, vcc_lo
	s_delay_alu instid0(VALU_DEP_2) | instskip(SKIP_1) | instid1(VALU_DEP_3)
	v_cndmask_b32_e32 v0, 0x20000000, v0, vcc_lo
	v_cmp_ne_u32_e32 vcc_lo, 0, v2
	v_cndmask_b32_e32 v1, 0x38000000, v1, vcc_lo
	s_delay_alu instid0(VALU_DEP_3)
	v_cndmask_b32_e32 v0, 0, v0, vcc_lo
	s_branch .LBB225_644
.LBB225_643:
	s_mov_b32 s41, -1
                                        ; implicit-def: $sgpr2_sgpr3
                                        ; implicit-def: $vgpr0_vgpr1
.LBB225_644:
	v_dual_mov_b32 v2, s2 :: v_dual_mov_b32 v3, s3
.LBB225_645:
	s_mov_b32 s2, 0
.LBB225_646:
	s_delay_alu instid0(SALU_CYCLE_1)
	s_and_b32 vcc_lo, exec_lo, s2
	s_cbranch_vccz .LBB225_651
; %bb.647:
	v_cmp_eq_u16_e32 vcc_lo, 29, v8
	s_cbranch_vccz .LBB225_649
; %bb.648:
	global_load_b64 v[0:1], v[4:5], off
	s_mov_b32 s22, -1
	s_mov_b32 s41, 0
	s_mov_b64 s[2:3], 0
	s_waitcnt vmcnt(0)
	v_cvt_f64_u32_e32 v[1:2], v1
	v_cvt_f64_u32_e32 v[11:12], v0
	s_delay_alu instid0(VALU_DEP_2) | instskip(NEXT) | instid1(VALU_DEP_1)
	v_ldexp_f64 v[1:2], v[1:2], 32
	v_add_f64 v[0:1], v[1:2], v[11:12]
	s_branch .LBB225_650
.LBB225_649:
	s_mov_b32 s41, -1
                                        ; implicit-def: $sgpr2_sgpr3
                                        ; implicit-def: $vgpr0_vgpr1
.LBB225_650:
	v_dual_mov_b32 v2, s2 :: v_dual_mov_b32 v3, s3
.LBB225_651:
	s_mov_b32 s2, 0
.LBB225_652:
	s_delay_alu instid0(SALU_CYCLE_1)
	s_and_b32 vcc_lo, exec_lo, s2
	s_cbranch_vccz .LBB225_672
; %bb.653:
	v_cmp_gt_i16_e32 vcc_lo, 27, v8
	s_cbranch_vccnz .LBB225_656
; %bb.654:
	v_cmp_lt_i16_e32 vcc_lo, 27, v8
	s_cbranch_vccz .LBB225_657
; %bb.655:
	global_load_b32 v0, v[4:5], off
	s_mov_b32 s22, 0
	s_mov_b64 s[2:3], 0
	s_waitcnt vmcnt(0)
	v_cvt_f64_u32_e32 v[0:1], v0
	s_branch .LBB225_658
.LBB225_656:
	s_mov_b32 s22, -1
                                        ; implicit-def: $sgpr2_sgpr3
                                        ; implicit-def: $vgpr0_vgpr1
	s_branch .LBB225_661
.LBB225_657:
	s_mov_b32 s22, -1
                                        ; implicit-def: $sgpr2_sgpr3
                                        ; implicit-def: $vgpr0_vgpr1
.LBB225_658:
	s_delay_alu instid0(SALU_CYCLE_1)
	s_and_not1_b32 vcc_lo, exec_lo, s22
	s_cbranch_vccnz .LBB225_660
; %bb.659:
	global_load_u16 v0, v[4:5], off
	s_mov_b64 s[2:3], 0
	s_waitcnt vmcnt(0)
	v_cvt_f64_u32_e32 v[0:1], v0
.LBB225_660:
	s_mov_b32 s22, 0
.LBB225_661:
	v_dual_mov_b32 v2, s2 :: v_dual_mov_b32 v3, s3
	s_and_not1_b32 vcc_lo, exec_lo, s22
	s_cbranch_vccnz .LBB225_671
; %bb.662:
	global_load_u8 v7, v[4:5], off
	s_mov_b32 s42, 0
	s_mov_b32 s43, exec_lo
                                        ; implicit-def: $sgpr2_sgpr3
                                        ; implicit-def: $sgpr22_sgpr23
	s_waitcnt vmcnt(0)
	v_cmpx_lt_i16_e32 0x7f, v7
	s_xor_b32 s43, exec_lo, s43
	s_cbranch_execz .LBB225_666
; %bb.663:
	s_mov_b32 s42, -1
	s_mov_b32 s44, exec_lo
                                        ; implicit-def: $sgpr2_sgpr3
                                        ; implicit-def: $sgpr22_sgpr23
	v_cmpx_eq_u16_e32 0x80, v7
; %bb.664:
	s_mov_b64 s[2:3], 0
	s_mov_b32 s23, 0x7ff80000
	s_brev_b32 s22, 4
	s_xor_b32 s42, exec_lo, -1
; %bb.665:
	s_or_b32 exec_lo, exec_lo, s44
	s_delay_alu instid0(SALU_CYCLE_1)
	s_and_b32 s42, s42, exec_lo
.LBB225_666:
	s_or_saveexec_b32 s43, s43
	v_dual_mov_b32 v2, s2 :: v_dual_mov_b32 v3, s3
	v_dual_mov_b32 v0, s22 :: v_dual_mov_b32 v1, s23
	s_xor_b32 exec_lo, exec_lo, s43
; %bb.667:
	v_mov_b32_e32 v2, 0
	v_mov_b32_e32 v3, 0
	v_cmp_ne_u16_e32 vcc_lo, 0, v7
	s_delay_alu instid0(VALU_DEP_3) | instskip(SKIP_1) | instid1(VALU_DEP_3)
	v_mov_b32_e32 v0, v2
	s_and_not1_b32 s2, s42, exec_lo
	v_mov_b32_e32 v1, v3
	s_and_b32 s3, vcc_lo, exec_lo
	s_delay_alu instid0(SALU_CYCLE_1)
	s_or_b32 s42, s2, s3
; %bb.668:
	s_or_b32 exec_lo, exec_lo, s43
	s_and_saveexec_b32 s2, s42
	s_cbranch_execz .LBB225_670
; %bb.669:
	v_and_b32_e32 v0, 0xffff, v7
	v_lshlrev_b32_e32 v7, 24, v7
	s_delay_alu instid0(VALU_DEP_2) | instskip(NEXT) | instid1(VALU_DEP_1)
	v_and_b32_e32 v1, 7, v0
	v_clz_i32_u32_e32 v2, v1
	s_delay_alu instid0(VALU_DEP_1) | instskip(NEXT) | instid1(VALU_DEP_1)
	v_min_u32_e32 v2, 32, v2
	v_subrev_nc_u32_e32 v3, 28, v2
	v_sub_nc_u32_e32 v2, 29, v2
	s_delay_alu instid0(VALU_DEP_2) | instskip(SKIP_1) | instid1(VALU_DEP_2)
	v_lshlrev_b32_e32 v3, v3, v0
	v_bfe_u32 v0, v0, 3, 4
	v_and_b32_e32 v3, 7, v3
	s_delay_alu instid0(VALU_DEP_2) | instskip(NEXT) | instid1(VALU_DEP_2)
	v_cmp_eq_u32_e32 vcc_lo, 0, v0
	v_dual_cndmask_b32 v0, v0, v2 :: v_dual_cndmask_b32 v1, v1, v3
	v_and_b32_e32 v2, 0x80000000, v7
	s_delay_alu instid0(VALU_DEP_2) | instskip(NEXT) | instid1(VALU_DEP_3)
	v_lshl_add_u32 v0, v0, 23, 0x3b800000
	v_lshlrev_b32_e32 v1, 20, v1
	s_delay_alu instid0(VALU_DEP_1) | instskip(SKIP_2) | instid1(VALU_DEP_3)
	v_or3_b32 v0, v2, v0, v1
	v_mov_b32_e32 v2, 0
	v_mov_b32_e32 v3, 0
	v_cvt_f64_f32_e32 v[0:1], v0
.LBB225_670:
	s_or_b32 exec_lo, exec_lo, s2
.LBB225_671:
	s_mov_b32 s22, -1
.LBB225_672:
	s_mov_b32 s2, 0
.LBB225_673:
	s_delay_alu instid0(SALU_CYCLE_1)
	s_and_b32 vcc_lo, exec_lo, s2
	s_cbranch_vccz .LBB225_707
; %bb.674:
	v_cmp_lt_i16_e32 vcc_lo, 22, v8
	s_cbranch_vccz .LBB225_686
; %bb.675:
	v_cmp_gt_i16_e32 vcc_lo, 24, v8
	s_cbranch_vccnz .LBB225_687
; %bb.676:
	v_cmp_lt_i16_e32 vcc_lo, 24, v8
	s_cbranch_vccz .LBB225_688
; %bb.677:
	global_load_u8 v7, v[4:5], off
	s_mov_b32 s42, 0
	s_mov_b32 s43, exec_lo
                                        ; implicit-def: $sgpr2_sgpr3
                                        ; implicit-def: $sgpr22_sgpr23
	s_waitcnt vmcnt(0)
	v_cmpx_lt_i16_e32 0x7f, v7
	s_xor_b32 s43, exec_lo, s43
	s_cbranch_execz .LBB225_681
; %bb.678:
	s_mov_b32 s42, -1
	s_mov_b32 s44, exec_lo
                                        ; implicit-def: $sgpr2_sgpr3
                                        ; implicit-def: $sgpr22_sgpr23
	v_cmpx_eq_u16_e32 0x80, v7
; %bb.679:
	s_mov_b64 s[2:3], 0
	s_mov_b32 s23, 0x7ff80000
	s_brev_b32 s22, 4
	s_xor_b32 s42, exec_lo, -1
; %bb.680:
	s_or_b32 exec_lo, exec_lo, s44
	s_delay_alu instid0(SALU_CYCLE_1)
	s_and_b32 s42, s42, exec_lo
.LBB225_681:
	s_or_saveexec_b32 s43, s43
	v_dual_mov_b32 v2, s2 :: v_dual_mov_b32 v3, s3
	v_dual_mov_b32 v0, s22 :: v_dual_mov_b32 v1, s23
	s_xor_b32 exec_lo, exec_lo, s43
; %bb.682:
	v_mov_b32_e32 v2, 0
	v_mov_b32_e32 v3, 0
	v_cmp_ne_u16_e32 vcc_lo, 0, v7
	s_delay_alu instid0(VALU_DEP_3) | instskip(SKIP_1) | instid1(VALU_DEP_3)
	v_mov_b32_e32 v0, v2
	s_and_not1_b32 s2, s42, exec_lo
	v_mov_b32_e32 v1, v3
	s_and_b32 s3, vcc_lo, exec_lo
	s_delay_alu instid0(SALU_CYCLE_1)
	s_or_b32 s42, s2, s3
; %bb.683:
	s_or_b32 exec_lo, exec_lo, s43
	s_and_saveexec_b32 s2, s42
	s_cbranch_execz .LBB225_685
; %bb.684:
	v_and_b32_e32 v0, 0xffff, v7
	v_lshlrev_b32_e32 v7, 24, v7
	s_delay_alu instid0(VALU_DEP_2) | instskip(NEXT) | instid1(VALU_DEP_1)
	v_and_b32_e32 v1, 3, v0
	v_clz_i32_u32_e32 v2, v1
	s_delay_alu instid0(VALU_DEP_1) | instskip(NEXT) | instid1(VALU_DEP_1)
	v_min_u32_e32 v2, 32, v2
	v_subrev_nc_u32_e32 v3, 29, v2
	v_sub_nc_u32_e32 v2, 30, v2
	s_delay_alu instid0(VALU_DEP_2) | instskip(SKIP_1) | instid1(VALU_DEP_2)
	v_lshlrev_b32_e32 v3, v3, v0
	v_bfe_u32 v0, v0, 2, 5
	v_and_b32_e32 v3, 3, v3
	s_delay_alu instid0(VALU_DEP_2) | instskip(NEXT) | instid1(VALU_DEP_2)
	v_cmp_eq_u32_e32 vcc_lo, 0, v0
	v_dual_cndmask_b32 v0, v0, v2 :: v_dual_cndmask_b32 v1, v1, v3
	v_and_b32_e32 v2, 0x80000000, v7
	s_delay_alu instid0(VALU_DEP_2) | instskip(NEXT) | instid1(VALU_DEP_3)
	v_lshl_add_u32 v0, v0, 23, 0x37800000
	v_lshlrev_b32_e32 v1, 21, v1
	s_delay_alu instid0(VALU_DEP_1) | instskip(SKIP_2) | instid1(VALU_DEP_3)
	v_or3_b32 v0, v2, v0, v1
	v_mov_b32_e32 v2, 0
	v_mov_b32_e32 v3, 0
	v_cvt_f64_f32_e32 v[0:1], v0
.LBB225_685:
	s_or_b32 exec_lo, exec_lo, s2
	s_mov_b32 s2, 0
	s_branch .LBB225_689
.LBB225_686:
	s_mov_b32 s2, -1
                                        ; implicit-def: $vgpr2_vgpr3
	s_branch .LBB225_695
.LBB225_687:
	s_mov_b32 s2, -1
                                        ; implicit-def: $vgpr2_vgpr3
	s_branch .LBB225_692
.LBB225_688:
	s_mov_b32 s2, -1
                                        ; implicit-def: $vgpr2_vgpr3
.LBB225_689:
	s_delay_alu instid0(SALU_CYCLE_1)
	s_and_b32 vcc_lo, exec_lo, s2
	s_cbranch_vccz .LBB225_691
; %bb.690:
	global_load_u8 v0, v[4:5], off
	s_waitcnt vmcnt(0)
	v_lshlrev_b32_e32 v0, 24, v0
	s_delay_alu instid0(VALU_DEP_1) | instskip(NEXT) | instid1(VALU_DEP_1)
	v_and_b32_e32 v1, 0x7f000000, v0
	v_clz_i32_u32_e32 v2, v1
	v_add_nc_u32_e32 v7, 0x1000000, v1
	v_cmp_ne_u32_e32 vcc_lo, 0, v1
	s_delay_alu instid0(VALU_DEP_3) | instskip(NEXT) | instid1(VALU_DEP_1)
	v_min_u32_e32 v2, 32, v2
	v_sub_nc_u32_e64 v2, v2, 4 clamp
	s_delay_alu instid0(VALU_DEP_1) | instskip(SKIP_1) | instid1(VALU_DEP_2)
	v_lshlrev_b32_e32 v3, v2, v1
	v_lshlrev_b32_e32 v2, 23, v2
	v_lshrrev_b32_e32 v3, 4, v3
	s_delay_alu instid0(VALU_DEP_1) | instskip(SKIP_1) | instid1(VALU_DEP_2)
	v_sub_nc_u32_e32 v2, v3, v2
	v_ashrrev_i32_e32 v3, 8, v7
	v_add_nc_u32_e32 v2, 0x3c000000, v2
	s_delay_alu instid0(VALU_DEP_1) | instskip(NEXT) | instid1(VALU_DEP_1)
	v_and_or_b32 v2, 0x7f800000, v3, v2
	v_dual_cndmask_b32 v1, 0, v2 :: v_dual_mov_b32 v2, 0
	v_mov_b32_e32 v3, 0
	s_delay_alu instid0(VALU_DEP_2) | instskip(NEXT) | instid1(VALU_DEP_1)
	v_and_or_b32 v0, 0x80000000, v0, v1
	v_cvt_f64_f32_e32 v[0:1], v0
.LBB225_691:
	s_mov_b32 s2, 0
.LBB225_692:
	s_delay_alu instid0(SALU_CYCLE_1)
	s_and_not1_b32 vcc_lo, exec_lo, s2
	s_cbranch_vccnz .LBB225_694
; %bb.693:
	global_load_u8 v0, v[4:5], off
	s_waitcnt vmcnt(0)
	v_lshlrev_b32_e32 v1, 25, v0
	v_lshlrev_b16 v0, 8, v0
	s_delay_alu instid0(VALU_DEP_2) | instskip(NEXT) | instid1(VALU_DEP_2)
	v_lshrrev_b32_e32 v2, 4, v1
	v_and_or_b32 v3, 0x7f00, v0, 0.5
	v_bfe_i32 v0, v0, 0, 16
	s_delay_alu instid0(VALU_DEP_3) | instskip(NEXT) | instid1(VALU_DEP_1)
	v_or_b32_e32 v2, 0x70000000, v2
	v_dual_add_f32 v3, -0.5, v3 :: v_dual_mul_f32 v2, 0x7800000, v2
	v_cmp_gt_u32_e32 vcc_lo, 0x8000000, v1
	s_delay_alu instid0(VALU_DEP_2) | instskip(SKIP_1) | instid1(VALU_DEP_2)
	v_dual_cndmask_b32 v1, v2, v3 :: v_dual_mov_b32 v2, 0
	v_mov_b32_e32 v3, 0
	v_and_or_b32 v0, 0x80000000, v0, v1
	s_delay_alu instid0(VALU_DEP_1)
	v_cvt_f64_f32_e32 v[0:1], v0
.LBB225_694:
	s_mov_b32 s2, 0
	s_mov_b32 s22, -1
.LBB225_695:
	s_and_not1_b32 vcc_lo, exec_lo, s2
	s_cbranch_vccnz .LBB225_707
; %bb.696:
	v_cmp_lt_i16_e32 vcc_lo, 14, v8
	s_cbranch_vccz .LBB225_699
; %bb.697:
	v_cmp_eq_u16_e32 vcc_lo, 15, v8
	s_cbranch_vccz .LBB225_700
; %bb.698:
	global_load_u16 v0, v[4:5], off
	s_mov_b32 s22, -1
	s_mov_b32 s41, 0
	s_mov_b64 s[2:3], 0
	s_waitcnt vmcnt(0)
	v_lshlrev_b32_e32 v0, 16, v0
	s_delay_alu instid0(VALU_DEP_1)
	v_cvt_f64_f32_e32 v[0:1], v0
	s_branch .LBB225_701
.LBB225_699:
	s_mov_b32 s23, -1
                                        ; implicit-def: $sgpr2_sgpr3
                                        ; implicit-def: $vgpr0_vgpr1
	s_branch .LBB225_702
.LBB225_700:
	s_mov_b32 s41, -1
                                        ; implicit-def: $sgpr2_sgpr3
                                        ; implicit-def: $vgpr0_vgpr1
.LBB225_701:
	s_mov_b32 s23, 0
.LBB225_702:
	s_delay_alu instid0(SALU_CYCLE_1)
	s_and_b32 vcc_lo, exec_lo, s23
	s_cbranch_vccz .LBB225_706
; %bb.703:
	v_cmp_eq_u16_e32 vcc_lo, 11, v8
	s_cbranch_vccz .LBB225_705
; %bb.704:
	global_load_u8 v0, v[4:5], off
	s_mov_b32 s41, 0
	s_mov_b32 s22, -1
	s_mov_b64 s[2:3], 0
	s_waitcnt vmcnt(0)
	v_cmp_ne_u16_e32 vcc_lo, 0, v0
	v_mov_b32_e32 v0, 0
	v_cndmask_b32_e64 v1, 0, 0x3ff00000, vcc_lo
	s_branch .LBB225_706
.LBB225_705:
	s_mov_b32 s41, -1
                                        ; implicit-def: $sgpr2_sgpr3
                                        ; implicit-def: $vgpr0_vgpr1
.LBB225_706:
	v_dual_mov_b32 v2, s2 :: v_dual_mov_b32 v3, s3
.LBB225_707:
	s_mov_b32 s2, 0
.LBB225_708:
	s_delay_alu instid0(SALU_CYCLE_1)
	s_and_b32 vcc_lo, exec_lo, s2
	s_cbranch_vccz .LBB225_759
; %bb.709:
	v_cmp_gt_i16_e32 vcc_lo, 5, v8
	s_cbranch_vccnz .LBB225_714
; %bb.710:
	v_cmp_gt_i16_e32 vcc_lo, 8, v8
	s_cbranch_vccnz .LBB225_715
	;; [unrolled: 3-line block ×3, first 2 shown]
; %bb.712:
	v_cmp_lt_i16_e32 vcc_lo, 9, v8
	s_cbranch_vccz .LBB225_717
; %bb.713:
	global_load_b128 v[0:3], v[4:5], off
	s_mov_b32 s2, 0
	s_branch .LBB225_718
.LBB225_714:
	s_mov_b32 s2, -1
                                        ; implicit-def: $vgpr2_vgpr3
	s_branch .LBB225_737
.LBB225_715:
	s_mov_b32 s2, -1
                                        ; implicit-def: $vgpr2_vgpr3
	s_branch .LBB225_724
.LBB225_716:
	s_mov_b32 s2, -1
                                        ; implicit-def: $vgpr2_vgpr3
	s_branch .LBB225_721
.LBB225_717:
	s_mov_b32 s2, -1
                                        ; implicit-def: $vgpr2_vgpr3
.LBB225_718:
	s_delay_alu instid0(SALU_CYCLE_1)
	s_and_not1_b32 vcc_lo, exec_lo, s2
	s_cbranch_vccnz .LBB225_720
; %bb.719:
	global_load_b64 v[1:2], v[4:5], off
	s_waitcnt vmcnt(0)
	v_cvt_f64_f32_e32 v[0:1], v1
	v_cvt_f64_f32_e32 v[2:3], v2
.LBB225_720:
	s_mov_b32 s2, 0
.LBB225_721:
	s_delay_alu instid0(SALU_CYCLE_1)
	s_and_not1_b32 vcc_lo, exec_lo, s2
	s_cbranch_vccnz .LBB225_723
; %bb.722:
	global_load_b32 v0, v[4:5], off
	s_waitcnt vmcnt(0)
	v_lshrrev_b32_e32 v1, 16, v0
	v_cvt_f32_f16_e32 v0, v0
	s_delay_alu instid0(VALU_DEP_2) | instskip(NEXT) | instid1(VALU_DEP_2)
	v_cvt_f32_f16_e32 v2, v1
	v_cvt_f64_f32_e32 v[0:1], v0
	s_delay_alu instid0(VALU_DEP_2)
	v_cvt_f64_f32_e32 v[2:3], v2
.LBB225_723:
	s_mov_b32 s2, 0
.LBB225_724:
	s_delay_alu instid0(SALU_CYCLE_1)
	s_and_not1_b32 vcc_lo, exec_lo, s2
	s_cbranch_vccnz .LBB225_736
; %bb.725:
	v_cmp_gt_i16_e32 vcc_lo, 6, v8
	s_cbranch_vccnz .LBB225_728
; %bb.726:
	v_cmp_lt_i16_e32 vcc_lo, 6, v8
	s_cbranch_vccz .LBB225_729
; %bb.727:
	global_load_b64 v[0:1], v[4:5], off
	s_mov_b32 s22, 0
	s_mov_b64 s[2:3], 0
	s_branch .LBB225_730
.LBB225_728:
	s_mov_b32 s22, -1
                                        ; implicit-def: $sgpr2_sgpr3
                                        ; implicit-def: $vgpr0_vgpr1
	s_branch .LBB225_733
.LBB225_729:
	s_mov_b32 s22, -1
                                        ; implicit-def: $sgpr2_sgpr3
                                        ; implicit-def: $vgpr0_vgpr1
.LBB225_730:
	s_delay_alu instid0(SALU_CYCLE_1)
	s_and_not1_b32 vcc_lo, exec_lo, s22
	s_cbranch_vccnz .LBB225_732
; %bb.731:
	global_load_b32 v0, v[4:5], off
	s_mov_b64 s[2:3], 0
	s_waitcnt vmcnt(0)
	v_cvt_f64_f32_e32 v[0:1], v0
.LBB225_732:
	s_mov_b32 s22, 0
.LBB225_733:
	s_delay_alu instid0(SALU_CYCLE_1)
	s_and_not1_b32 vcc_lo, exec_lo, s22
	s_cbranch_vccnz .LBB225_735
; %bb.734:
	global_load_u16 v0, v[4:5], off
	s_mov_b64 s[2:3], 0
	s_waitcnt vmcnt(0)
	v_cvt_f32_f16_e32 v0, v0
	s_delay_alu instid0(VALU_DEP_1)
	v_cvt_f64_f32_e32 v[0:1], v0
.LBB225_735:
	s_waitcnt vmcnt(0)
	v_dual_mov_b32 v2, s2 :: v_dual_mov_b32 v3, s3
.LBB225_736:
	s_mov_b32 s2, 0
.LBB225_737:
	s_delay_alu instid0(SALU_CYCLE_1)
	s_and_not1_b32 vcc_lo, exec_lo, s2
	s_cbranch_vccnz .LBB225_758
; %bb.738:
	v_cmp_gt_i16_e32 vcc_lo, 2, v8
	s_cbranch_vccnz .LBB225_742
; %bb.739:
	v_cmp_gt_i16_e32 vcc_lo, 3, v8
	s_cbranch_vccnz .LBB225_743
; %bb.740:
	v_cmp_lt_i16_e32 vcc_lo, 3, v8
	s_cbranch_vccz .LBB225_744
; %bb.741:
	global_load_b64 v[0:1], v[4:5], off
	s_mov_b32 s22, 0
	s_mov_b64 s[2:3], 0
	s_waitcnt vmcnt(0)
	v_cvt_f64_i32_e32 v[1:2], v1
	v_cvt_f64_u32_e32 v[11:12], v0
	s_delay_alu instid0(VALU_DEP_2) | instskip(NEXT) | instid1(VALU_DEP_1)
	v_ldexp_f64 v[1:2], v[1:2], 32
	v_add_f64 v[0:1], v[1:2], v[11:12]
	s_branch .LBB225_745
.LBB225_742:
	s_mov_b32 s22, -1
                                        ; implicit-def: $sgpr2_sgpr3
                                        ; implicit-def: $vgpr0_vgpr1
	s_branch .LBB225_751
.LBB225_743:
	s_mov_b32 s22, -1
                                        ; implicit-def: $sgpr2_sgpr3
                                        ; implicit-def: $vgpr0_vgpr1
	s_branch .LBB225_748
.LBB225_744:
	s_mov_b32 s22, -1
                                        ; implicit-def: $sgpr2_sgpr3
                                        ; implicit-def: $vgpr0_vgpr1
.LBB225_745:
	s_delay_alu instid0(SALU_CYCLE_1)
	s_and_not1_b32 vcc_lo, exec_lo, s22
	s_cbranch_vccnz .LBB225_747
; %bb.746:
	global_load_b32 v0, v[4:5], off
	s_mov_b64 s[2:3], 0
	s_waitcnt vmcnt(0)
	v_cvt_f64_i32_e32 v[0:1], v0
.LBB225_747:
	s_mov_b32 s22, 0
.LBB225_748:
	s_delay_alu instid0(SALU_CYCLE_1)
	s_and_not1_b32 vcc_lo, exec_lo, s22
	s_cbranch_vccnz .LBB225_750
; %bb.749:
	global_load_i16 v0, v[4:5], off
	s_mov_b64 s[2:3], 0
	s_waitcnt vmcnt(0)
	v_cvt_f64_i32_e32 v[0:1], v0
.LBB225_750:
	s_mov_b32 s22, 0
.LBB225_751:
	s_delay_alu instid0(SALU_CYCLE_1)
	s_and_not1_b32 vcc_lo, exec_lo, s22
	s_cbranch_vccnz .LBB225_757
; %bb.752:
	v_cmp_lt_i16_e32 vcc_lo, 0, v8
	s_mov_b32 s22, 0
	s_cbranch_vccz .LBB225_754
; %bb.753:
	global_load_i8 v0, v[4:5], off
	s_mov_b64 s[2:3], 0
	s_waitcnt vmcnt(0)
	v_cvt_f64_i32_e32 v[0:1], v0
	s_branch .LBB225_755
.LBB225_754:
	s_mov_b32 s22, -1
                                        ; implicit-def: $sgpr2_sgpr3
                                        ; implicit-def: $vgpr0_vgpr1
.LBB225_755:
	s_delay_alu instid0(SALU_CYCLE_1)
	s_and_not1_b32 vcc_lo, exec_lo, s22
	s_cbranch_vccnz .LBB225_757
; %bb.756:
	global_load_u8 v0, v[4:5], off
	s_mov_b64 s[2:3], 0
	s_waitcnt vmcnt(0)
	v_cvt_f64_u32_e32 v[0:1], v0
.LBB225_757:
	s_waitcnt vmcnt(0)
	v_dual_mov_b32 v2, s2 :: v_dual_mov_b32 v3, s3
.LBB225_758:
	s_mov_b32 s22, -1
.LBB225_759:
	s_delay_alu instid0(SALU_CYCLE_1)
	s_and_not1_b32 vcc_lo, exec_lo, s22
	s_cbranch_vccnz .LBB225_776
; %bb.760:
	s_waitcnt vmcnt(0)
	s_delay_alu instid0(VALU_DEP_1) | instskip(NEXT) | instid1(VALU_DEP_2)
	v_cmp_neq_f64_e32 vcc_lo, 0, v[0:1]
	v_cmp_neq_f64_e64 s2, 0, v[2:3]
	v_mov_b32_e32 v4, 0
	v_mov_b32_e32 v5, 0
	s_delay_alu instid0(VALU_DEP_3) | instskip(NEXT) | instid1(SALU_CYCLE_1)
	s_or_b32 s2, vcc_lo, s2
	s_and_saveexec_b32 s22, s2
	s_cbranch_execz .LBB225_793
; %bb.761:
	s_mov_b32 s2, 0
	s_mov_b32 s3, 0x7ff00000
	v_mov_b32_e32 v4, s2
	v_mov_b32_e32 v5, s3
	s_mov_b32 s23, exec_lo
	v_cmpx_neq_f64_e64 0x7ff00000, |v[2:3]|
	s_cbranch_execz .LBB225_792
; %bb.762:
	s_mov_b32 s2, exec_lo
	v_cmpx_o_f64_e32 v[0:1], v[0:1]
	s_xor_b32 s42, exec_lo, s2
	s_cbranch_execz .LBB225_789
; %bb.763:
	s_mov_b32 s3, exec_lo
	v_cmpx_neq_f64_e64 0x7ff00000, |v[0:1]|
	s_xor_b32 s43, exec_lo, s3
	s_cbranch_execz .LBB225_782
; %bb.764:
	v_max_f64 v[4:5], |v[2:3]|, |v[2:3]|
	v_max_f64 v[11:12], |v[0:1]|, |v[0:1]|
	s_mov_b32 s2, 0x99fcef32
	s_mov_b32 s3, 0x7fda8279
                                        ; implicit-def: $sgpr44
	s_delay_alu instid0(VALU_DEP_1) | instskip(NEXT) | instid1(VALU_DEP_1)
	v_max_f64 v[4:5], v[11:12], v[4:5]
	v_cmp_nle_f64_e64 s2, s[2:3], v[4:5]
	s_delay_alu instid0(VALU_DEP_1) | instskip(NEXT) | instid1(SALU_CYCLE_1)
	s_and_saveexec_b32 s3, s2
	s_xor_b32 s3, exec_lo, s3
	s_cbranch_execz .LBB225_768
; %bb.765:
	v_cmp_ge_f64_e64 s44, 0x200000, |v[0:1]|
	v_cmp_ge_f64_e64 s45, 0x200000, |v[2:3]|
	s_delay_alu instid0(VALU_DEP_1)
	s_and_b32 s46, s44, s45
	s_mov_b32 s44, 0
	s_and_saveexec_b32 s45, s46
; %bb.766:
	v_mul_f64 v[0:1], v[0:1], 4.0
	v_mul_f64 v[2:3], v[2:3], 4.0
	s_mov_b32 s44, exec_lo
; %bb.767:
	s_or_b32 exec_lo, exec_lo, s45
	s_delay_alu instid0(SALU_CYCLE_1)
	s_and_b32 s44, s44, exec_lo
.LBB225_768:
	s_and_not1_saveexec_b32 s3, s3
; %bb.769:
	s_delay_alu instid0(VALU_DEP_2) | instskip(NEXT) | instid1(VALU_DEP_2)
	v_ldexp_f64 v[0:1], v[0:1], -2
	v_ldexp_f64 v[2:3], v[2:3], -2
	s_and_not1_b32 s44, s44, exec_lo
; %bb.770:
	s_or_b32 exec_lo, exec_lo, s3
	s_delay_alu instid0(VALU_DEP_1) | instskip(NEXT) | instid1(VALU_DEP_3)
	v_max_f64 v[4:5], |v[2:3]|, |v[2:3]|
	v_max_f64 v[11:12], |v[0:1]|, |v[0:1]|
	v_cmp_class_f64_e64 s45, v[0:1], 0x204
	v_cmp_class_f64_e64 s46, v[2:3], 0x204
	v_cmp_le_f64_e64 s3, 0, v[0:1]
	s_delay_alu instid0(VALU_DEP_4) | instskip(NEXT) | instid1(VALU_DEP_3)
	v_max_f64 v[4:5], v[11:12], v[4:5]
	s_or_b32 s45, s46, s45
	s_delay_alu instid0(VALU_DEP_1) | instskip(NEXT) | instid1(VALU_DEP_1)
	v_frexp_exp_i32_f64_e32 v7, v[4:5]
	v_sub_nc_u32_e32 v11, 0, v7
	s_delay_alu instid0(VALU_DEP_1) | instskip(SKIP_1) | instid1(VALU_DEP_2)
	v_ldexp_f64 v[4:5], |v[2:3]|, v11
	v_ldexp_f64 v[11:12], |v[0:1]|, v11
	v_mul_f64 v[4:5], v[4:5], v[4:5]
	s_delay_alu instid0(VALU_DEP_1) | instskip(NEXT) | instid1(VALU_DEP_1)
	v_fma_f64 v[4:5], v[11:12], v[11:12], v[4:5]
	v_rsq_f64_e32 v[11:12], v[4:5]
	v_cmp_eq_f64_e32 vcc_lo, 0, v[4:5]
	s_waitcnt_depctr 0xfff
	v_mul_f64 v[13:14], v[4:5], v[11:12]
	v_mul_f64 v[11:12], v[11:12], 0.5
	s_delay_alu instid0(VALU_DEP_1) | instskip(NEXT) | instid1(VALU_DEP_1)
	v_fma_f64 v[15:16], -v[11:12], v[13:14], 0.5
	v_fma_f64 v[13:14], v[13:14], v[15:16], v[13:14]
	v_fma_f64 v[11:12], v[11:12], v[15:16], v[11:12]
	s_delay_alu instid0(VALU_DEP_2) | instskip(NEXT) | instid1(VALU_DEP_1)
	v_fma_f64 v[15:16], -v[13:14], v[13:14], v[4:5]
	v_fma_f64 v[11:12], v[15:16], v[11:12], v[13:14]
	s_delay_alu instid0(VALU_DEP_1) | instskip(SKIP_1) | instid1(VALU_DEP_2)
	v_dual_cndmask_b32 v5, v12, v5 :: v_dual_cndmask_b32 v4, v11, v4
	v_cmp_o_f64_e32 vcc_lo, v[2:3], v[2:3]
	v_ldexp_f64 v[4:5], v[4:5], v7
	s_delay_alu instid0(VALU_DEP_1) | instskip(NEXT) | instid1(VALU_DEP_2)
	v_cndmask_b32_e32 v4, 0, v4, vcc_lo
	v_cndmask_b32_e32 v5, 0x7ff80000, v5, vcc_lo
	s_delay_alu instid0(VALU_DEP_2) | instskip(NEXT) | instid1(VALU_DEP_2)
	v_cndmask_b32_e64 v4, v4, 0, s45
	v_cndmask_b32_e64 v5, v5, 0x7ff00000, s45
	s_and_saveexec_b32 s45, s3
	s_delay_alu instid0(SALU_CYCLE_1)
	s_xor_b32 s3, exec_lo, s45
	s_cbranch_execz .LBB225_777
; %bb.771:
	s_delay_alu instid0(VALU_DEP_1) | instskip(NEXT) | instid1(VALU_DEP_1)
	v_add_f64 v[0:1], v[0:1], v[4:5]
	v_mul_f64 v[0:1], v[0:1], 0.5
	s_delay_alu instid0(VALU_DEP_1) | instskip(SKIP_2) | instid1(VALU_DEP_2)
	v_cmp_gt_f64_e32 vcc_lo, 0x10000000, v[0:1]
	v_cndmask_b32_e64 v4, 0, 1, vcc_lo
	v_cndmask_b32_e64 v7, 0, 0xffffff80, vcc_lo
	v_lshlrev_b32_e32 v4, 8, v4
	s_delay_alu instid0(VALU_DEP_1) | instskip(NEXT) | instid1(VALU_DEP_1)
	v_ldexp_f64 v[0:1], v[0:1], v4
	v_rsq_f64_e32 v[4:5], v[0:1]
	v_cmp_class_f64_e64 vcc_lo, v[0:1], 0x260
	s_waitcnt_depctr 0xfff
	v_mul_f64 v[11:12], v[0:1], v[4:5]
	v_mul_f64 v[4:5], v[4:5], 0.5
	s_delay_alu instid0(VALU_DEP_1) | instskip(NEXT) | instid1(VALU_DEP_1)
	v_fma_f64 v[13:14], -v[4:5], v[11:12], 0.5
	v_fma_f64 v[11:12], v[11:12], v[13:14], v[11:12]
	v_fma_f64 v[4:5], v[4:5], v[13:14], v[4:5]
	s_delay_alu instid0(VALU_DEP_2) | instskip(NEXT) | instid1(VALU_DEP_1)
	v_fma_f64 v[13:14], -v[11:12], v[11:12], v[0:1]
	v_fma_f64 v[11:12], v[13:14], v[4:5], v[11:12]
	s_delay_alu instid0(VALU_DEP_1) | instskip(NEXT) | instid1(VALU_DEP_1)
	v_fma_f64 v[13:14], -v[11:12], v[11:12], v[0:1]
	v_fma_f64 v[4:5], v[13:14], v[4:5], v[11:12]
	s_delay_alu instid0(VALU_DEP_1) | instskip(NEXT) | instid1(VALU_DEP_1)
	v_ldexp_f64 v[4:5], v[4:5], v7
	v_dual_cndmask_b32 v1, v5, v1 :: v_dual_cndmask_b32 v0, v4, v0
	s_delay_alu instid0(VALU_DEP_1) | instskip(NEXT) | instid1(VALU_DEP_1)
	v_add_f64 v[4:5], v[0:1], v[0:1]
	v_div_scale_f64 v[11:12], null, v[4:5], v[4:5], v[2:3]
	s_delay_alu instid0(VALU_DEP_1) | instskip(SKIP_2) | instid1(VALU_DEP_1)
	v_rcp_f64_e32 v[13:14], v[11:12]
	s_waitcnt_depctr 0xfff
	v_fma_f64 v[15:16], -v[11:12], v[13:14], 1.0
	v_fma_f64 v[13:14], v[13:14], v[15:16], v[13:14]
	s_delay_alu instid0(VALU_DEP_1) | instskip(NEXT) | instid1(VALU_DEP_1)
	v_fma_f64 v[15:16], -v[11:12], v[13:14], 1.0
	v_fma_f64 v[13:14], v[13:14], v[15:16], v[13:14]
	v_div_scale_f64 v[15:16], vcc_lo, v[2:3], v[4:5], v[2:3]
	s_delay_alu instid0(VALU_DEP_1) | instskip(NEXT) | instid1(VALU_DEP_1)
	v_mul_f64 v[17:18], v[15:16], v[13:14]
	v_fma_f64 v[11:12], -v[11:12], v[17:18], v[15:16]
	s_delay_alu instid0(VALU_DEP_1) | instskip(NEXT) | instid1(VALU_DEP_1)
	v_div_fmas_f64 v[11:12], v[11:12], v[13:14], v[17:18]
	v_div_fixup_f64 v[2:3], v[11:12], v[4:5], v[2:3]
                                        ; implicit-def: $vgpr4_vgpr5
	s_and_not1_saveexec_b32 s3, s3
	s_cbranch_execnz .LBB225_778
.LBB225_772:
	s_or_b32 exec_lo, exec_lo, s3
	s_and_saveexec_b32 s3, s2
	s_delay_alu instid0(SALU_CYCLE_1)
	s_xor_b32 s2, exec_lo, s3
	s_cbranch_execz .LBB225_779
.LBB225_773:
	s_and_saveexec_b32 s3, s44
; %bb.774:
	s_delay_alu instid0(VALU_DEP_2) | instskip(NEXT) | instid1(VALU_DEP_2)
	v_mul_f64 v[0:1], v[0:1], 0.5
	v_mul_f64 v[2:3], v[2:3], 0.5
; %bb.775:
	s_or_b32 exec_lo, exec_lo, s3
	s_and_not1_saveexec_b32 s2, s2
	s_cbranch_execnz .LBB225_780
	s_branch .LBB225_781
.LBB225_776:
	s_mov_b32 s3, 0
	s_mov_b32 s2, s38
	s_branch .LBB225_840
.LBB225_777:
	s_and_not1_saveexec_b32 s3, s3
	s_cbranch_execz .LBB225_772
.LBB225_778:
	v_add_f64 v[0:1], v[4:5], -v[0:1]
	s_delay_alu instid0(VALU_DEP_1) | instskip(NEXT) | instid1(VALU_DEP_1)
	v_mul_f64 v[0:1], v[0:1], 0.5
	v_cmp_gt_f64_e32 vcc_lo, 0x10000000, v[0:1]
	v_cndmask_b32_e64 v4, 0, 1, vcc_lo
	v_cndmask_b32_e64 v7, 0, 0xffffff80, vcc_lo
	s_delay_alu instid0(VALU_DEP_2) | instskip(NEXT) | instid1(VALU_DEP_1)
	v_lshlrev_b32_e32 v4, 8, v4
	v_ldexp_f64 v[0:1], v[0:1], v4
	s_delay_alu instid0(VALU_DEP_1) | instskip(SKIP_4) | instid1(VALU_DEP_1)
	v_rsq_f64_e32 v[4:5], v[0:1]
	v_cmp_class_f64_e64 vcc_lo, v[0:1], 0x260
	s_waitcnt_depctr 0xfff
	v_mul_f64 v[11:12], v[0:1], v[4:5]
	v_mul_f64 v[4:5], v[4:5], 0.5
	v_fma_f64 v[13:14], -v[4:5], v[11:12], 0.5
	s_delay_alu instid0(VALU_DEP_1) | instskip(SKIP_1) | instid1(VALU_DEP_2)
	v_fma_f64 v[11:12], v[11:12], v[13:14], v[11:12]
	v_fma_f64 v[4:5], v[4:5], v[13:14], v[4:5]
	v_fma_f64 v[13:14], -v[11:12], v[11:12], v[0:1]
	s_delay_alu instid0(VALU_DEP_1) | instskip(NEXT) | instid1(VALU_DEP_1)
	v_fma_f64 v[11:12], v[13:14], v[4:5], v[11:12]
	v_fma_f64 v[13:14], -v[11:12], v[11:12], v[0:1]
	s_delay_alu instid0(VALU_DEP_1) | instskip(SKIP_1) | instid1(VALU_DEP_2)
	v_fma_f64 v[4:5], v[13:14], v[4:5], v[11:12]
	v_mov_b32_e32 v11, v2
	v_ldexp_f64 v[4:5], v[4:5], v7
	s_delay_alu instid0(VALU_DEP_1) | instskip(NEXT) | instid1(VALU_DEP_1)
	v_dual_cndmask_b32 v5, v5, v1 :: v_dual_cndmask_b32 v4, v4, v0
	v_add_f64 v[0:1], v[4:5], v[4:5]
	v_bfi_b32 v5, 0x7fffffff, v5, v3
	v_and_b32_e32 v12, 0x7fffffff, v3
	s_delay_alu instid0(VALU_DEP_1) | instskip(SKIP_1) | instid1(VALU_DEP_2)
	v_div_scale_f64 v[13:14], null, v[0:1], v[0:1], v[11:12]
	v_div_scale_f64 v[11:12], vcc_lo, v[11:12], v[0:1], v[11:12]
	v_rcp_f64_e32 v[15:16], v[13:14]
	s_waitcnt_depctr 0xfff
	v_fma_f64 v[17:18], -v[13:14], v[15:16], 1.0
	s_delay_alu instid0(VALU_DEP_1) | instskip(NEXT) | instid1(VALU_DEP_1)
	v_fma_f64 v[15:16], v[15:16], v[17:18], v[15:16]
	v_fma_f64 v[17:18], -v[13:14], v[15:16], 1.0
	s_delay_alu instid0(VALU_DEP_1) | instskip(NEXT) | instid1(VALU_DEP_1)
	v_fma_f64 v[15:16], v[15:16], v[17:18], v[15:16]
	v_mul_f64 v[17:18], v[11:12], v[15:16]
	s_delay_alu instid0(VALU_DEP_1) | instskip(NEXT) | instid1(VALU_DEP_1)
	v_fma_f64 v[11:12], -v[13:14], v[17:18], v[11:12]
	v_div_fmas_f64 v[11:12], v[11:12], v[15:16], v[17:18]
	s_delay_alu instid0(VALU_DEP_1) | instskip(SKIP_3) | instid1(SALU_CYCLE_1)
	v_div_fixup_f64 v[0:1], v[11:12], v[0:1], |v[2:3]|
	v_dual_mov_b32 v2, v4 :: v_dual_mov_b32 v3, v5
	s_or_b32 exec_lo, exec_lo, s3
	s_and_saveexec_b32 s3, s2
	s_xor_b32 s2, exec_lo, s3
	s_cbranch_execnz .LBB225_773
.LBB225_779:
	s_and_not1_saveexec_b32 s2, s2
.LBB225_780:
	s_delay_alu instid0(VALU_DEP_2) | instskip(NEXT) | instid1(VALU_DEP_2)
	v_add_f64 v[0:1], v[0:1], v[0:1]
	v_add_f64 v[2:3], v[2:3], v[2:3]
.LBB225_781:
	s_or_b32 exec_lo, exec_lo, s2
.LBB225_782:
	s_and_not1_saveexec_b32 s2, s43
	s_cbranch_execz .LBB225_788
; %bb.783:
	s_delay_alu instid0(VALU_DEP_1) | instskip(SKIP_1) | instid1(VALU_DEP_3)
	v_add_f64 v[4:5], v[2:3], -v[2:3]
	s_mov_b32 s3, exec_lo
	v_cmpx_lt_i64_e32 -1, v[0:1]
	s_xor_b32 s3, exec_lo, s3
; %bb.784:
	s_delay_alu instid0(VALU_DEP_2) | instskip(NEXT) | instid1(VALU_DEP_1)
	v_bfi_b32 v5, 0x7fffffff, v5, v3
	v_dual_mov_b32 v2, v4 :: v_dual_mov_b32 v3, v5
                                        ; implicit-def: $vgpr4_vgpr5
; %bb.785:
	s_and_not1_saveexec_b32 s3, s3
; %bb.786:
	s_delay_alu instid0(VALU_DEP_1) | instskip(SKIP_1) | instid1(VALU_DEP_2)
	v_bfi_b32 v1, 0x7fffffff, v1, v3
	v_and_b32_e32 v5, 0x7fffffff, v5
	v_dual_mov_b32 v3, v1 :: v_dual_mov_b32 v2, v0
	s_delay_alu instid0(VALU_DEP_2)
	v_dual_mov_b32 v0, v4 :: v_dual_mov_b32 v1, v5
; %bb.787:
	s_or_b32 exec_lo, exec_lo, s3
.LBB225_788:
	s_delay_alu instid0(SALU_CYCLE_1)
	s_or_b32 exec_lo, exec_lo, s2
.LBB225_789:
	s_and_not1_saveexec_b32 s2, s42
; %bb.790:
	s_delay_alu instid0(VALU_DEP_1) | instskip(NEXT) | instid1(VALU_DEP_1)
	v_add_f64 v[2:3], v[2:3], -v[2:3]
	v_div_scale_f64 v[4:5], vcc_lo, v[2:3], v[2:3], v[2:3]
	s_delay_alu instid0(VALU_DEP_1) | instskip(SKIP_2) | instid1(VALU_DEP_1)
	v_rcp_f64_e32 v[11:12], v[4:5]
	s_waitcnt_depctr 0xfff
	v_fma_f64 v[13:14], -v[4:5], v[11:12], 1.0
	v_fma_f64 v[11:12], v[11:12], v[13:14], v[11:12]
	s_delay_alu instid0(VALU_DEP_1) | instskip(NEXT) | instid1(VALU_DEP_1)
	v_fma_f64 v[13:14], -v[4:5], v[11:12], 1.0
	v_fma_f64 v[11:12], v[11:12], v[13:14], v[11:12]
	s_delay_alu instid0(VALU_DEP_1) | instskip(NEXT) | instid1(VALU_DEP_1)
	v_mul_f64 v[13:14], v[4:5], v[11:12]
	v_fma_f64 v[4:5], -v[4:5], v[13:14], v[4:5]
	s_delay_alu instid0(VALU_DEP_1) | instskip(NEXT) | instid1(VALU_DEP_1)
	v_div_fmas_f64 v[4:5], v[4:5], v[11:12], v[13:14]
	v_div_fixup_f64 v[2:3], v[4:5], v[2:3], v[2:3]
; %bb.791:
	s_or_b32 exec_lo, exec_lo, s2
	v_dual_mov_b32 v5, v1 :: v_dual_mov_b32 v4, v0
.LBB225_792:
	s_or_b32 exec_lo, exec_lo, s23
.LBB225_793:
	s_delay_alu instid0(SALU_CYCLE_1) | instskip(SKIP_2) | instid1(VALU_DEP_1)
	s_or_b32 exec_lo, exec_lo, s22
	v_and_b32_e32 v11, 0xff, v10
	v_add_co_u32 v0, s2, s4, v6
	v_add_co_ci_u32_e64 v1, null, s5, 0, s2
	s_delay_alu instid0(VALU_DEP_3)
	v_cmp_gt_i16_e32 vcc_lo, 11, v11
	s_mov_b32 s3, 0
	s_mov_b32 s22, -1
	s_mov_b32 s2, s38
	s_cbranch_vccnz .LBB225_800
; %bb.794:
	v_cmp_lt_i16_e32 vcc_lo, 25, v11
	s_cbranch_vccz .LBB225_841
; %bb.795:
	v_cmp_lt_i16_e32 vcc_lo, 28, v11
	s_cbranch_vccz .LBB225_842
	;; [unrolled: 3-line block ×4, first 2 shown]
; %bb.798:
	v_cmp_eq_u16_e32 vcc_lo, 46, v11
	s_mov_b32 s22, 0
	s_mov_b32 s2, -1
	s_cbranch_vccz .LBB225_845
; %bb.799:
	v_cvt_f32_f64_e32 v6, v[2:3]
	v_cvt_f32_f64_e32 v7, v[4:5]
	s_mov_b32 s3, -1
	s_mov_b32 s2, 0
	s_delay_alu instid0(VALU_DEP_2) | instskip(NEXT) | instid1(VALU_DEP_2)
	v_bfe_u32 v12, v6, 16, 1
	v_bfe_u32 v13, v7, 16, 1
	v_cmp_o_f32_e32 vcc_lo, v6, v6
	s_delay_alu instid0(VALU_DEP_3) | instskip(NEXT) | instid1(VALU_DEP_3)
	v_add3_u32 v12, v6, v12, 0x7fff
	v_add3_u32 v13, v7, v13, 0x7fff
	s_delay_alu instid0(VALU_DEP_2) | instskip(NEXT) | instid1(VALU_DEP_2)
	v_and_b32_e32 v12, 0xffff0000, v12
	v_lshrrev_b32_e32 v13, 16, v13
	s_delay_alu instid0(VALU_DEP_2) | instskip(SKIP_1) | instid1(VALU_DEP_3)
	v_cndmask_b32_e32 v6, 0x7fc00000, v12, vcc_lo
	v_cmp_o_f32_e32 vcc_lo, v7, v7
	v_cndmask_b32_e32 v7, 0x7fc0, v13, vcc_lo
	s_delay_alu instid0(VALU_DEP_1)
	v_or_b32_e32 v6, v6, v7
	global_store_b32 v[0:1], v6, off
	s_branch .LBB225_845
.LBB225_800:
	s_and_b32 vcc_lo, exec_lo, s22
	s_cbranch_vccz .LBB225_914
; %bb.801:
	v_cmp_gt_i16_e32 vcc_lo, 5, v11
	s_mov_b32 s3, -1
	s_cbranch_vccnz .LBB225_822
; %bb.802:
	v_cmp_gt_i16_e32 vcc_lo, 8, v11
	s_cbranch_vccnz .LBB225_812
; %bb.803:
	v_cmp_gt_i16_e32 vcc_lo, 9, v11
	s_cbranch_vccnz .LBB225_809
; %bb.804:
	v_cmp_lt_i16_e32 vcc_lo, 9, v11
	s_cbranch_vccz .LBB225_806
; %bb.805:
	v_dual_mov_b32 v6, v2 :: v_dual_mov_b32 v7, v3
	s_mov_b32 s3, 0
	global_store_b128 v[0:1], v[4:7], off
.LBB225_806:
	s_and_not1_b32 vcc_lo, exec_lo, s3
	s_cbranch_vccnz .LBB225_808
; %bb.807:
	v_cvt_f32_f64_e32 v6, v[4:5]
	v_cvt_f32_f64_e32 v7, v[2:3]
	global_store_b64 v[0:1], v[6:7], off
.LBB225_808:
	s_mov_b32 s3, 0
.LBB225_809:
	s_delay_alu instid0(SALU_CYCLE_1)
	s_and_not1_b32 vcc_lo, exec_lo, s3
	s_cbranch_vccnz .LBB225_811
; %bb.810:
	v_cvt_f32_f64_e32 v2, v[2:3]
	v_cvt_f32_f64_e32 v3, v[4:5]
	s_delay_alu instid0(VALU_DEP_2) | instskip(NEXT) | instid1(VALU_DEP_2)
	v_cvt_f16_f32_e32 v2, v2
	v_cvt_f16_f32_e32 v3, v3
	s_delay_alu instid0(VALU_DEP_2) | instskip(NEXT) | instid1(VALU_DEP_2)
	v_lshlrev_b32_e32 v2, 16, v2
	v_and_b32_e32 v3, 0xffff, v3
	s_delay_alu instid0(VALU_DEP_1)
	v_or_b32_e32 v2, v2, v3
	global_store_b32 v[0:1], v2, off
.LBB225_811:
	s_mov_b32 s3, 0
.LBB225_812:
	s_delay_alu instid0(SALU_CYCLE_1)
	s_and_not1_b32 vcc_lo, exec_lo, s3
	s_cbranch_vccnz .LBB225_821
; %bb.813:
	v_cmp_gt_i16_e32 vcc_lo, 6, v11
	s_mov_b32 s3, -1
	s_cbranch_vccnz .LBB225_819
; %bb.814:
	v_cmp_lt_i16_e32 vcc_lo, 6, v11
	s_cbranch_vccz .LBB225_816
; %bb.815:
	s_mov_b32 s3, 0
	global_store_b64 v[0:1], v[4:5], off
.LBB225_816:
	s_and_not1_b32 vcc_lo, exec_lo, s3
	s_cbranch_vccnz .LBB225_818
; %bb.817:
	v_cvt_f32_f64_e32 v2, v[4:5]
	global_store_b32 v[0:1], v2, off
.LBB225_818:
	s_mov_b32 s3, 0
.LBB225_819:
	s_delay_alu instid0(SALU_CYCLE_1)
	s_and_not1_b32 vcc_lo, exec_lo, s3
	s_cbranch_vccnz .LBB225_821
; %bb.820:
	v_cvt_f32_f64_e32 v2, v[4:5]
	s_delay_alu instid0(VALU_DEP_1)
	v_cvt_f16_f32_e32 v2, v2
	global_store_b16 v[0:1], v2, off
.LBB225_821:
	s_mov_b32 s3, 0
.LBB225_822:
	s_delay_alu instid0(SALU_CYCLE_1)
	s_and_not1_b32 vcc_lo, exec_lo, s3
	s_cbranch_vccnz .LBB225_838
; %bb.823:
	v_cmp_gt_i16_e32 vcc_lo, 2, v11
	s_mov_b32 s3, -1
	s_cbranch_vccnz .LBB225_833
; %bb.824:
	v_cmp_gt_i16_e32 vcc_lo, 3, v11
	s_cbranch_vccnz .LBB225_830
; %bb.825:
	v_cmp_lt_i16_e32 vcc_lo, 3, v11
	s_cbranch_vccz .LBB225_827
; %bb.826:
	v_trunc_f64_e32 v[2:3], v[4:5]
	s_mov_b32 s3, 0
	s_delay_alu instid0(VALU_DEP_1) | instskip(NEXT) | instid1(VALU_DEP_1)
	v_ldexp_f64 v[6:7], v[2:3], 0xffffffe0
	v_floor_f64_e32 v[6:7], v[6:7]
	s_delay_alu instid0(VALU_DEP_1) | instskip(SKIP_1) | instid1(VALU_DEP_2)
	v_fma_f64 v[2:3], 0xc1f00000, v[6:7], v[2:3]
	v_cvt_i32_f64_e32 v7, v[6:7]
	v_cvt_u32_f64_e32 v6, v[2:3]
	global_store_b64 v[0:1], v[6:7], off
.LBB225_827:
	s_and_not1_b32 vcc_lo, exec_lo, s3
	s_cbranch_vccnz .LBB225_829
; %bb.828:
	v_cvt_i32_f64_e32 v2, v[4:5]
	global_store_b32 v[0:1], v2, off
.LBB225_829:
	s_mov_b32 s3, 0
.LBB225_830:
	s_delay_alu instid0(SALU_CYCLE_1)
	s_and_not1_b32 vcc_lo, exec_lo, s3
	s_cbranch_vccnz .LBB225_832
; %bb.831:
	v_cvt_i32_f64_e32 v2, v[4:5]
	global_store_b16 v[0:1], v2, off
.LBB225_832:
	s_mov_b32 s3, 0
.LBB225_833:
	s_delay_alu instid0(SALU_CYCLE_1)
	s_and_not1_b32 vcc_lo, exec_lo, s3
	s_cbranch_vccnz .LBB225_838
; %bb.834:
	v_cmp_lt_i16_e32 vcc_lo, 0, v11
	s_mov_b32 s3, -1
	s_cbranch_vccz .LBB225_836
; %bb.835:
	v_cvt_i32_f64_e32 v2, v[4:5]
	s_mov_b32 s3, 0
	global_store_b8 v[0:1], v2, off
.LBB225_836:
	s_and_not1_b32 vcc_lo, exec_lo, s3
	s_cbranch_vccnz .LBB225_838
; %bb.837:
	v_trunc_f64_e32 v[2:3], v[4:5]
	s_delay_alu instid0(VALU_DEP_1) | instskip(NEXT) | instid1(VALU_DEP_1)
	v_ldexp_f64 v[4:5], v[2:3], 0xffffffe0
	v_floor_f64_e32 v[4:5], v[4:5]
	s_delay_alu instid0(VALU_DEP_1) | instskip(NEXT) | instid1(VALU_DEP_1)
	v_fma_f64 v[2:3], 0xc1f00000, v[4:5], v[2:3]
	v_cvt_u32_f64_e32 v2, v[2:3]
	global_store_b8 v[0:1], v2, off
.LBB225_838:
	s_branch .LBB225_915
.LBB225_839:
	s_mov_b32 s3, 0
.LBB225_840:
                                        ; implicit-def: $vgpr9
	s_branch .LBB225_916
.LBB225_841:
	s_mov_b32 s2, s38
	s_branch .LBB225_872
.LBB225_842:
	s_mov_b32 s2, s38
	s_branch .LBB225_855
.LBB225_843:
	s_mov_b32 s2, s38
	s_branch .LBB225_851
.LBB225_844:
	s_mov_b32 s2, s38
.LBB225_845:
	s_and_b32 vcc_lo, exec_lo, s22
	s_cbranch_vccz .LBB225_850
; %bb.846:
	v_cmp_eq_u16_e32 vcc_lo, 44, v11
	s_mov_b32 s2, -1
	s_cbranch_vccz .LBB225_850
; %bb.847:
	v_cvt_f32_f64_e32 v6, v[4:5]
	v_mov_b32_e32 v7, 0xff
	s_mov_b32 s3, exec_lo
	s_delay_alu instid0(VALU_DEP_2) | instskip(NEXT) | instid1(VALU_DEP_1)
	v_bfe_u32 v12, v6, 23, 8
	v_cmpx_ne_u32_e32 0xff, v12
; %bb.848:
	v_and_b32_e32 v7, 0x400000, v6
	v_and_or_b32 v12, 0x3fffff, v6, v12
	v_lshrrev_b32_e32 v6, 23, v6
	s_delay_alu instid0(VALU_DEP_3) | instskip(NEXT) | instid1(VALU_DEP_3)
	v_cmp_ne_u32_e32 vcc_lo, 0, v7
	v_cmp_ne_u32_e64 s2, 0, v12
	s_delay_alu instid0(VALU_DEP_1) | instskip(NEXT) | instid1(SALU_CYCLE_1)
	s_and_b32 s2, vcc_lo, s2
	v_cndmask_b32_e64 v7, 0, 1, s2
	s_delay_alu instid0(VALU_DEP_1)
	v_add_nc_u32_e32 v7, v6, v7
; %bb.849:
	s_or_b32 exec_lo, exec_lo, s3
	s_mov_b32 s3, -1
	s_mov_b32 s2, 0
	global_store_b8 v[0:1], v7, off
.LBB225_850:
	s_mov_b32 s22, 0
.LBB225_851:
	s_delay_alu instid0(SALU_CYCLE_1)
	s_and_b32 vcc_lo, exec_lo, s22
	s_cbranch_vccz .LBB225_854
; %bb.852:
	v_cmp_eq_u16_e32 vcc_lo, 29, v11
	s_mov_b32 s2, -1
	s_cbranch_vccz .LBB225_854
; %bb.853:
	v_trunc_f64_e32 v[6:7], v[4:5]
	s_mov_b32 s3, -1
	s_mov_b32 s2, 0
	s_mov_b32 s22, 0
	s_delay_alu instid0(VALU_DEP_1) | instskip(NEXT) | instid1(VALU_DEP_1)
	v_ldexp_f64 v[12:13], v[6:7], 0xffffffe0
	v_floor_f64_e32 v[12:13], v[12:13]
	s_delay_alu instid0(VALU_DEP_1) | instskip(SKIP_1) | instid1(VALU_DEP_2)
	v_fma_f64 v[6:7], 0xc1f00000, v[12:13], v[6:7]
	v_cvt_u32_f64_e32 v13, v[12:13]
	v_cvt_u32_f64_e32 v12, v[6:7]
	global_store_b64 v[0:1], v[12:13], off
	s_branch .LBB225_855
.LBB225_854:
	s_mov_b32 s22, 0
.LBB225_855:
	s_delay_alu instid0(SALU_CYCLE_1)
	s_and_b32 vcc_lo, exec_lo, s22
	s_cbranch_vccz .LBB225_871
; %bb.856:
	v_cmp_gt_i16_e32 vcc_lo, 27, v11
	s_mov_b32 s3, -1
	s_cbranch_vccnz .LBB225_862
; %bb.857:
	v_cmp_lt_i16_e32 vcc_lo, 27, v11
	s_cbranch_vccz .LBB225_859
; %bb.858:
	v_cvt_u32_f64_e32 v6, v[4:5]
	s_mov_b32 s3, 0
	global_store_b32 v[0:1], v6, off
.LBB225_859:
	s_and_not1_b32 vcc_lo, exec_lo, s3
	s_cbranch_vccnz .LBB225_861
; %bb.860:
	v_cvt_u32_f64_e32 v6, v[4:5]
	global_store_b16 v[0:1], v6, off
.LBB225_861:
	s_mov_b32 s3, 0
.LBB225_862:
	s_delay_alu instid0(SALU_CYCLE_1)
	s_and_not1_b32 vcc_lo, exec_lo, s3
	s_cbranch_vccnz .LBB225_870
; %bb.863:
	v_cvt_f32_f64_e32 v6, v[4:5]
	v_mov_b32_e32 v12, 0x80
	s_mov_b32 s3, exec_lo
	s_delay_alu instid0(VALU_DEP_2) | instskip(NEXT) | instid1(VALU_DEP_1)
	v_and_b32_e32 v7, 0x7fffffff, v6
	v_cmpx_gt_u32_e32 0x43800000, v7
	s_cbranch_execz .LBB225_869
; %bb.864:
	v_cmp_lt_u32_e32 vcc_lo, 0x3bffffff, v7
	s_mov_b32 s22, 0
                                        ; implicit-def: $vgpr7
	s_and_saveexec_b32 s23, vcc_lo
	s_delay_alu instid0(SALU_CYCLE_1)
	s_xor_b32 s23, exec_lo, s23
	s_cbranch_execz .LBB225_943
; %bb.865:
	v_bfe_u32 v7, v6, 20, 1
	s_mov_b32 s22, exec_lo
	s_delay_alu instid0(VALU_DEP_1) | instskip(NEXT) | instid1(VALU_DEP_1)
	v_add3_u32 v7, v6, v7, 0x487ffff
	v_lshrrev_b32_e32 v7, 20, v7
	s_or_saveexec_b32 s23, s23
                                        ; implicit-def: $sgpr42
	s_delay_alu instid0(SALU_CYCLE_1)
	s_xor_b32 exec_lo, exec_lo, s23
	s_cbranch_execnz .LBB225_944
.LBB225_866:
	s_or_b32 exec_lo, exec_lo, s23
	v_mov_b32_e32 v12, s42
	s_and_saveexec_b32 s23, s22
.LBB225_867:
	v_lshrrev_b32_e32 v6, 24, v6
	s_delay_alu instid0(VALU_DEP_1)
	v_and_or_b32 v12, 0x80, v6, v7
.LBB225_868:
	s_or_b32 exec_lo, exec_lo, s23
.LBB225_869:
	s_delay_alu instid0(SALU_CYCLE_1)
	s_or_b32 exec_lo, exec_lo, s3
	global_store_b8 v[0:1], v12, off
.LBB225_870:
	s_mov_b32 s3, -1
.LBB225_871:
	s_mov_b32 s22, 0
.LBB225_872:
	s_delay_alu instid0(SALU_CYCLE_1)
	s_and_b32 vcc_lo, exec_lo, s22
	s_cbranch_vccz .LBB225_913
; %bb.873:
	v_cmp_lt_i16_e32 vcc_lo, 22, v11
	s_mov_b32 s22, -1
	s_cbranch_vccz .LBB225_905
; %bb.874:
	v_cmp_gt_i16_e32 vcc_lo, 24, v11
	s_mov_b32 s3, -1
	s_cbranch_vccnz .LBB225_894
; %bb.875:
	v_cmp_lt_i16_e32 vcc_lo, 24, v11
	s_cbranch_vccz .LBB225_883
; %bb.876:
	v_cvt_f32_f64_e32 v6, v[4:5]
	v_mov_b32_e32 v12, 0x80
	s_mov_b32 s3, exec_lo
	s_delay_alu instid0(VALU_DEP_2) | instskip(NEXT) | instid1(VALU_DEP_1)
	v_and_b32_e32 v7, 0x7fffffff, v6
	v_cmpx_gt_u32_e32 0x47800000, v7
	s_cbranch_execz .LBB225_882
; %bb.877:
	v_cmp_lt_u32_e32 vcc_lo, 0x37ffffff, v7
	s_mov_b32 s22, 0
                                        ; implicit-def: $vgpr7
	s_and_saveexec_b32 s23, vcc_lo
	s_delay_alu instid0(SALU_CYCLE_1)
	s_xor_b32 s23, exec_lo, s23
	s_cbranch_execz .LBB225_946
; %bb.878:
	v_bfe_u32 v7, v6, 21, 1
	s_mov_b32 s22, exec_lo
	s_delay_alu instid0(VALU_DEP_1) | instskip(NEXT) | instid1(VALU_DEP_1)
	v_add3_u32 v7, v6, v7, 0x88fffff
	v_lshrrev_b32_e32 v7, 21, v7
	s_or_saveexec_b32 s23, s23
                                        ; implicit-def: $sgpr42
	s_delay_alu instid0(SALU_CYCLE_1)
	s_xor_b32 exec_lo, exec_lo, s23
	s_cbranch_execnz .LBB225_947
.LBB225_879:
	s_or_b32 exec_lo, exec_lo, s23
	v_mov_b32_e32 v12, s42
	s_and_saveexec_b32 s23, s22
.LBB225_880:
	v_lshrrev_b32_e32 v6, 24, v6
	s_delay_alu instid0(VALU_DEP_1)
	v_and_or_b32 v12, 0x80, v6, v7
.LBB225_881:
	s_or_b32 exec_lo, exec_lo, s23
.LBB225_882:
	s_delay_alu instid0(SALU_CYCLE_1)
	s_or_b32 exec_lo, exec_lo, s3
	s_mov_b32 s3, 0
	global_store_b8 v[0:1], v12, off
.LBB225_883:
	s_and_b32 vcc_lo, exec_lo, s3
	s_cbranch_vccz .LBB225_893
; %bb.884:
	v_cvt_f32_f64_e32 v6, v[4:5]
	s_mov_b32 s3, exec_lo
                                        ; implicit-def: $vgpr7
	s_delay_alu instid0(VALU_DEP_1) | instskip(NEXT) | instid1(VALU_DEP_1)
	v_and_b32_e32 v12, 0x7fffffff, v6
	v_cmpx_gt_u32_e32 0x43f00000, v12
	s_xor_b32 s3, exec_lo, s3
	s_cbranch_execz .LBB225_890
; %bb.885:
	s_mov_b32 s22, exec_lo
                                        ; implicit-def: $vgpr7
	v_cmpx_lt_u32_e32 0x3c7fffff, v12
	s_xor_b32 s22, exec_lo, s22
; %bb.886:
	v_bfe_u32 v7, v6, 20, 1
	s_delay_alu instid0(VALU_DEP_1) | instskip(NEXT) | instid1(VALU_DEP_1)
	v_add3_u32 v7, v6, v7, 0x407ffff
	v_and_b32_e32 v12, 0xff00000, v7
	v_lshrrev_b32_e32 v7, 20, v7
	s_delay_alu instid0(VALU_DEP_2) | instskip(NEXT) | instid1(VALU_DEP_2)
	v_cmp_ne_u32_e32 vcc_lo, 0x7f00000, v12
	v_cndmask_b32_e32 v7, 0x7e, v7, vcc_lo
; %bb.887:
	s_and_not1_saveexec_b32 s22, s22
; %bb.888:
	v_add_f32_e64 v7, 0x46800000, |v6|
; %bb.889:
	s_or_b32 exec_lo, exec_lo, s22
                                        ; implicit-def: $vgpr12
.LBB225_890:
	s_and_not1_saveexec_b32 s3, s3
; %bb.891:
	v_mov_b32_e32 v7, 0x7f
	v_cmp_lt_u32_e32 vcc_lo, 0x7f800000, v12
	s_delay_alu instid0(VALU_DEP_2)
	v_cndmask_b32_e32 v7, 0x7e, v7, vcc_lo
; %bb.892:
	s_or_b32 exec_lo, exec_lo, s3
	v_lshrrev_b32_e32 v6, 24, v6
	s_delay_alu instid0(VALU_DEP_1)
	v_and_or_b32 v6, 0x80, v6, v7
	global_store_b8 v[0:1], v6, off
.LBB225_893:
	s_mov_b32 s3, 0
.LBB225_894:
	s_delay_alu instid0(SALU_CYCLE_1)
	s_and_not1_b32 vcc_lo, exec_lo, s3
	s_cbranch_vccnz .LBB225_904
; %bb.895:
	v_cvt_f32_f64_e32 v6, v[4:5]
	s_mov_b32 s3, exec_lo
                                        ; implicit-def: $vgpr7
	s_delay_alu instid0(VALU_DEP_1) | instskip(NEXT) | instid1(VALU_DEP_1)
	v_and_b32_e32 v12, 0x7fffffff, v6
	v_cmpx_gt_u32_e32 0x47800000, v12
	s_xor_b32 s3, exec_lo, s3
	s_cbranch_execz .LBB225_901
; %bb.896:
	s_mov_b32 s22, exec_lo
                                        ; implicit-def: $vgpr7
	v_cmpx_lt_u32_e32 0x387fffff, v12
	s_xor_b32 s22, exec_lo, s22
; %bb.897:
	v_bfe_u32 v7, v6, 21, 1
	s_delay_alu instid0(VALU_DEP_1) | instskip(NEXT) | instid1(VALU_DEP_1)
	v_add3_u32 v7, v6, v7, 0x80fffff
	v_lshrrev_b32_e32 v7, 21, v7
; %bb.898:
	s_and_not1_saveexec_b32 s22, s22
; %bb.899:
	v_add_f32_e64 v7, 0x43000000, |v6|
; %bb.900:
	s_or_b32 exec_lo, exec_lo, s22
                                        ; implicit-def: $vgpr12
.LBB225_901:
	s_and_not1_saveexec_b32 s3, s3
; %bb.902:
	v_mov_b32_e32 v7, 0x7f
	v_cmp_lt_u32_e32 vcc_lo, 0x7f800000, v12
	s_delay_alu instid0(VALU_DEP_2)
	v_cndmask_b32_e32 v7, 0x7c, v7, vcc_lo
; %bb.903:
	s_or_b32 exec_lo, exec_lo, s3
	v_lshrrev_b32_e32 v6, 24, v6
	s_delay_alu instid0(VALU_DEP_1)
	v_and_or_b32 v6, 0x80, v6, v7
	global_store_b8 v[0:1], v6, off
.LBB225_904:
	s_mov_b32 s22, 0
	s_mov_b32 s3, -1
.LBB225_905:
	s_and_not1_b32 vcc_lo, exec_lo, s22
	s_cbranch_vccnz .LBB225_913
; %bb.906:
	v_cmp_lt_i16_e32 vcc_lo, 14, v11
	s_mov_b32 s22, -1
	s_cbranch_vccz .LBB225_910
; %bb.907:
	v_cmp_eq_u16_e32 vcc_lo, 15, v11
	s_mov_b32 s2, -1
	s_cbranch_vccz .LBB225_909
; %bb.908:
	v_cvt_f32_f64_e32 v6, v[4:5]
	s_mov_b32 s3, -1
	s_mov_b32 s2, 0
	s_delay_alu instid0(VALU_DEP_1) | instskip(SKIP_1) | instid1(VALU_DEP_2)
	v_bfe_u32 v7, v6, 16, 1
	v_cmp_o_f32_e32 vcc_lo, v6, v6
	v_add3_u32 v7, v6, v7, 0x7fff
	s_delay_alu instid0(VALU_DEP_1) | instskip(NEXT) | instid1(VALU_DEP_1)
	v_lshrrev_b32_e32 v7, 16, v7
	v_cndmask_b32_e32 v6, 0x7fc0, v7, vcc_lo
	global_store_b16 v[0:1], v6, off
.LBB225_909:
	s_mov_b32 s22, 0
.LBB225_910:
	s_delay_alu instid0(SALU_CYCLE_1)
	s_and_b32 vcc_lo, exec_lo, s22
	s_cbranch_vccz .LBB225_913
; %bb.911:
	v_cmp_eq_u16_e32 vcc_lo, 11, v11
	s_mov_b32 s2, -1
	s_cbranch_vccz .LBB225_913
; %bb.912:
	v_cmp_neq_f64_e32 vcc_lo, 0, v[4:5]
	v_cmp_neq_f64_e64 s2, 0, v[2:3]
	s_mov_b32 s3, -1
	s_delay_alu instid0(VALU_DEP_1) | instskip(NEXT) | instid1(SALU_CYCLE_1)
	s_or_b32 s2, vcc_lo, s2
	v_cndmask_b32_e64 v6, 0, 1, s2
	s_mov_b32 s2, 0
	global_store_b8 v[0:1], v6, off
.LBB225_913:
.LBB225_914:
	s_and_not1_b32 vcc_lo, exec_lo, s3
	s_cbranch_vccnz .LBB225_839
.LBB225_915:
	v_add_nc_u32_e32 v9, 0x80, v9
	s_mov_b32 s3, -1
.LBB225_916:
	s_and_not1_b32 s22, s38, exec_lo
	s_and_b32 s2, s2, exec_lo
	s_and_not1_b32 s42, s37, exec_lo
	s_and_b32 s41, s41, exec_lo
	s_or_b32 s23, s22, s2
	s_or_b32 s22, s42, s41
	s_or_not1_b32 s42, s3, exec_lo
.LBB225_917:
	s_or_b32 exec_lo, exec_lo, s40
	s_mov_b32 s3, 0
	s_mov_b32 s2, 0
	;; [unrolled: 1-line block ×3, first 2 shown]
                                        ; implicit-def: $vgpr4_vgpr5
                                        ; implicit-def: $vgpr6
                                        ; implicit-def: $vgpr2_vgpr3
	s_and_saveexec_b32 s40, s42
	s_cbranch_execz .LBB225_1018
; %bb.918:
	v_cmp_gt_i32_e32 vcc_lo, s30, v9
	s_mov_b32 s42, s22
                                        ; implicit-def: $vgpr4_vgpr5
                                        ; implicit-def: $vgpr6
                                        ; implicit-def: $vgpr2_vgpr3
	s_and_saveexec_b32 s30, vcc_lo
	s_cbranch_execz .LBB225_1017
; %bb.919:
	s_and_not1_b32 vcc_lo, exec_lo, s27
	s_cbranch_vccnz .LBB225_924
; %bb.920:
	v_mov_b32_e32 v6, 0
	s_waitcnt vmcnt(0)
	v_mov_b32_e32 v0, 0
	s_and_not1_b32 vcc_lo, exec_lo, s33
	s_mov_b32 s33, 0
	s_cbranch_vccnz .LBB225_929
; %bb.921:
	v_mov_b32_e32 v6, 0
	s_add_i32 s41, s31, 1
	s_cmp_eq_u32 s25, 2
	s_mov_b32 s31, 0
	s_cbranch_scc1 .LBB225_925
; %bb.922:
	v_dual_mov_b32 v0, 0 :: v_dual_mov_b32 v1, v9
	v_mov_b32_e32 v6, 0
	s_and_b32 s31, s41, 28
	s_mov_b32 s42, 0
	s_mov_b64 s[2:3], s[16:17]
.LBB225_923:                            ; =>This Inner Loop Header: Depth=1
	s_clause 0x1
	s_load_b256 s[44:51], s[2:3], 0x4
	s_load_b128 s[60:63], s[2:3], 0x24
	s_load_b256 s[52:59], s[20:21], 0x0
	s_add_u32 s2, s2, 48
	s_addc_u32 s3, s3, 0
	s_add_i32 s42, s42, 4
	s_add_u32 s20, s20, 32
	s_addc_u32 s21, s21, 0
	s_cmp_eq_u32 s31, s42
	s_waitcnt lgkmcnt(0)
	v_mul_hi_u32 v2, s45, v1
	s_delay_alu instid0(VALU_DEP_1) | instskip(NEXT) | instid1(VALU_DEP_1)
	v_add_nc_u32_e32 v2, v1, v2
	v_lshrrev_b32_e32 v2, s46, v2
	s_delay_alu instid0(VALU_DEP_1) | instskip(SKIP_1) | instid1(VALU_DEP_2)
	v_mul_hi_u32 v3, s48, v2
	v_mul_lo_u32 v5, v2, s44
	v_add_nc_u32_e32 v3, v2, v3
	s_delay_alu instid0(VALU_DEP_2) | instskip(NEXT) | instid1(VALU_DEP_2)
	v_sub_nc_u32_e32 v1, v1, v5
	v_lshrrev_b32_e32 v3, s49, v3
	s_delay_alu instid0(VALU_DEP_2) | instskip(SKIP_1) | instid1(VALU_DEP_3)
	v_mul_lo_u32 v5, v1, s52
	v_mul_lo_u32 v11, v1, s53
	v_mul_hi_u32 v4, s51, v3
	s_delay_alu instid0(VALU_DEP_1) | instskip(NEXT) | instid1(VALU_DEP_1)
	v_add_nc_u32_e32 v4, v3, v4
	v_lshrrev_b32_e32 v4, s60, v4
	s_delay_alu instid0(VALU_DEP_1) | instskip(SKIP_1) | instid1(VALU_DEP_2)
	v_mul_hi_u32 v7, s62, v4
	v_mul_lo_u32 v12, v4, s50
	v_add_nc_u32_e32 v1, v4, v7
	v_mul_lo_u32 v7, v3, s47
	s_delay_alu instid0(VALU_DEP_3) | instskip(NEXT) | instid1(VALU_DEP_3)
	v_sub_nc_u32_e32 v3, v3, v12
	v_lshrrev_b32_e32 v1, s63, v1
	s_delay_alu instid0(VALU_DEP_2) | instskip(SKIP_2) | instid1(VALU_DEP_4)
	v_mul_lo_u32 v12, v3, s56
	v_mul_lo_u32 v3, v3, s57
	v_sub_nc_u32_e32 v2, v2, v7
	v_mul_lo_u32 v13, v1, s61
	s_delay_alu instid0(VALU_DEP_2) | instskip(SKIP_1) | instid1(VALU_DEP_3)
	v_mul_lo_u32 v7, v2, s54
	v_mul_lo_u32 v2, v2, s55
	v_sub_nc_u32_e32 v4, v4, v13
	s_delay_alu instid0(VALU_DEP_3) | instskip(NEXT) | instid1(VALU_DEP_2)
	v_add3_u32 v5, v5, v6, v7
	v_mul_lo_u32 v13, v4, s58
	v_mul_lo_u32 v4, v4, s59
	v_add3_u32 v0, v11, v0, v2
	s_delay_alu instid0(VALU_DEP_3) | instskip(NEXT) | instid1(VALU_DEP_2)
	v_add3_u32 v6, v12, v5, v13
	v_add3_u32 v0, v3, v0, v4
	s_cbranch_scc0 .LBB225_923
	s_branch .LBB225_926
.LBB225_924:
	s_mov_b32 s33, -1
                                        ; implicit-def: $vgpr6
                                        ; implicit-def: $vgpr0
	s_branch .LBB225_929
.LBB225_925:
	v_dual_mov_b32 v1, v9 :: v_dual_mov_b32 v0, 0
.LBB225_926:
	s_and_b32 s41, s41, 3
	s_delay_alu instid0(SALU_CYCLE_1)
	s_cmp_eq_u32 s41, 0
	s_cbranch_scc1 .LBB225_929
; %bb.927:
	s_lshl_b32 s2, s31, 3
	s_mul_i32 s20, s31, 12
	s_add_u32 s2, s2, s16
	s_addc_u32 s3, s17, 0
	s_add_u32 s2, s2, 0xc4
	s_addc_u32 s3, s3, 0
	;; [unrolled: 2-line block ×3, first 2 shown]
.LBB225_928:                            ; =>This Inner Loop Header: Depth=1
	s_clause 0x1
	s_load_b64 s[42:43], s[20:21], 0x4
	s_load_b32 s31, s[20:21], 0xc
	s_load_b64 s[44:45], s[2:3], 0x0
	s_add_u32 s20, s20, 12
	s_addc_u32 s21, s21, 0
	s_add_u32 s2, s2, 8
	s_addc_u32 s3, s3, 0
	s_add_i32 s41, s41, -1
	s_delay_alu instid0(SALU_CYCLE_1) | instskip(SKIP_2) | instid1(VALU_DEP_1)
	s_cmp_lg_u32 s41, 0
	s_waitcnt lgkmcnt(0)
	v_mul_hi_u32 v2, s43, v1
	v_add_nc_u32_e32 v2, v1, v2
	s_delay_alu instid0(VALU_DEP_1) | instskip(NEXT) | instid1(VALU_DEP_1)
	v_lshrrev_b32_e32 v5, s31, v2
	v_mul_lo_u32 v2, v5, s42
	s_delay_alu instid0(VALU_DEP_1) | instskip(NEXT) | instid1(VALU_DEP_1)
	v_sub_nc_u32_e32 v1, v1, v2
	v_mad_u64_u32 v[2:3], null, v1, s44, v[6:7]
	v_mad_u64_u32 v[3:4], null, v1, s45, v[0:1]
	s_delay_alu instid0(VALU_DEP_2) | instskip(NEXT) | instid1(VALU_DEP_2)
	v_dual_mov_b32 v1, v5 :: v_dual_mov_b32 v6, v2
	v_mov_b32_e32 v0, v3
	s_cbranch_scc1 .LBB225_928
.LBB225_929:
	s_and_not1_b32 vcc_lo, exec_lo, s33
	s_cbranch_vccnz .LBB225_932
; %bb.930:
	s_waitcnt vmcnt(0) lgkmcnt(0)
	v_mul_hi_u32 v0, s13, v9
	s_and_not1_b32 vcc_lo, exec_lo, s29
	s_delay_alu instid0(VALU_DEP_1) | instskip(NEXT) | instid1(VALU_DEP_1)
	v_add_nc_u32_e32 v0, v9, v0
	v_lshrrev_b32_e32 v1, s14, v0
	s_delay_alu instid0(VALU_DEP_1) | instskip(NEXT) | instid1(VALU_DEP_1)
	v_mul_lo_u32 v0, v1, s12
	v_sub_nc_u32_e32 v0, v9, v0
	s_delay_alu instid0(VALU_DEP_1)
	v_mul_lo_u32 v6, v0, s8
	v_mul_lo_u32 v0, v0, s9
	s_cbranch_vccnz .LBB225_932
; %bb.931:
	v_mul_hi_u32 v2, s18, v1
	s_delay_alu instid0(VALU_DEP_1) | instskip(NEXT) | instid1(VALU_DEP_1)
	v_add_nc_u32_e32 v2, v1, v2
	v_lshrrev_b32_e32 v2, s19, v2
	s_delay_alu instid0(VALU_DEP_1) | instskip(NEXT) | instid1(VALU_DEP_1)
	v_mul_lo_u32 v2, v2, s15
	v_sub_nc_u32_e32 v4, v1, v2
	s_delay_alu instid0(VALU_DEP_1) | instskip(NEXT) | instid1(VALU_DEP_1)
	v_mad_u64_u32 v[1:2], null, v4, s10, v[6:7]
	v_mad_u64_u32 v[2:3], null, v4, s11, v[0:1]
	v_mov_b32_e32 v6, v1
	s_delay_alu instid0(VALU_DEP_2)
	v_mov_b32_e32 v0, v2
.LBB225_932:
	v_cmp_gt_i16_e32 vcc_lo, 11, v8
	s_waitcnt vmcnt(0) lgkmcnt(0)
	s_delay_alu instid0(VALU_DEP_2) | instskip(NEXT) | instid1(VALU_DEP_1)
	v_add_co_u32 v4, s2, s6, v0
	v_add_co_ci_u32_e64 v5, null, s7, 0, s2
	s_mov_b32 s6, 0
	s_cbranch_vccnz .LBB225_939
; %bb.933:
	v_cmp_lt_i16_e32 vcc_lo, 25, v8
	s_mov_b32 s9, 0
	s_cbranch_vccz .LBB225_940
; %bb.934:
	v_cmp_lt_i16_e32 vcc_lo, 28, v8
	s_cbranch_vccz .LBB225_941
; %bb.935:
	v_cmp_lt_i16_e32 vcc_lo, 43, v8
	;; [unrolled: 3-line block ×3, first 2 shown]
	s_cbranch_vccz .LBB225_945
; %bb.937:
	v_cmp_eq_u16_e32 vcc_lo, 46, v8
	s_mov_b32 s2, 0
	s_cbranch_vccz .LBB225_948
; %bb.938:
	global_load_b32 v0, v[4:5], off
	s_mov_b32 s8, 0
	s_mov_b32 s6, -1
	s_waitcnt vmcnt(0)
	v_lshlrev_b32_e32 v1, 16, v0
	v_and_b32_e32 v2, 0xffff0000, v0
	s_delay_alu instid0(VALU_DEP_2) | instskip(NEXT) | instid1(VALU_DEP_2)
	v_cvt_f64_f32_e32 v[0:1], v1
	v_cvt_f64_f32_e32 v[2:3], v2
	s_branch .LBB225_950
.LBB225_939:
	s_mov_b32 s2, -1
	s_mov_b32 s9, 0
	s_mov_b32 s8, s22
                                        ; implicit-def: $vgpr2_vgpr3
	s_branch .LBB225_1016
.LBB225_940:
	s_mov_b32 s2, -1
	s_mov_b32 s8, s22
                                        ; implicit-def: $vgpr2_vgpr3
	s_branch .LBB225_983
.LBB225_941:
	s_mov_b32 s2, -1
	s_mov_b32 s8, s22
                                        ; implicit-def: $vgpr2_vgpr3
	s_branch .LBB225_962
.LBB225_942:
	s_mov_b32 s2, -1
	s_mov_b32 s8, s22
                                        ; implicit-def: $vgpr2_vgpr3
	s_branch .LBB225_956
.LBB225_943:
	s_or_saveexec_b32 s23, s23
                                        ; implicit-def: $sgpr42
	s_delay_alu instid0(SALU_CYCLE_1)
	s_xor_b32 exec_lo, exec_lo, s23
	s_cbranch_execz .LBB225_866
.LBB225_944:
	v_add_f32_e64 v7, 0x46000000, |v6|
	s_and_not1_b32 s22, s22, exec_lo
	s_mov_b32 s42, 0
	s_delay_alu instid0(VALU_DEP_1) | instskip(NEXT) | instid1(VALU_DEP_1)
	v_and_b32_e32 v7, 0xff, v7
	v_cmp_ne_u32_e32 vcc_lo, 0, v7
	s_and_b32 s43, vcc_lo, exec_lo
	s_delay_alu instid0(SALU_CYCLE_1)
	s_or_b32 s22, s22, s43
	s_or_b32 exec_lo, exec_lo, s23
	v_mov_b32_e32 v12, s42
	s_and_saveexec_b32 s23, s22
	s_cbranch_execnz .LBB225_867
	s_branch .LBB225_868
.LBB225_945:
	s_mov_b32 s2, -1
	s_mov_b32 s8, s22
	s_branch .LBB225_949
.LBB225_946:
	s_or_saveexec_b32 s23, s23
                                        ; implicit-def: $sgpr42
	s_delay_alu instid0(SALU_CYCLE_1)
	s_xor_b32 exec_lo, exec_lo, s23
	s_cbranch_execz .LBB225_879
.LBB225_947:
	v_add_f32_e64 v7, 0x42800000, |v6|
	s_and_not1_b32 s22, s22, exec_lo
	s_mov_b32 s42, 0
	s_delay_alu instid0(VALU_DEP_1) | instskip(NEXT) | instid1(VALU_DEP_1)
	v_and_b32_e32 v7, 0xff, v7
	v_cmp_ne_u32_e32 vcc_lo, 0, v7
	s_and_b32 s43, vcc_lo, exec_lo
	s_delay_alu instid0(SALU_CYCLE_1)
	s_or_b32 s22, s22, s43
	s_or_b32 exec_lo, exec_lo, s23
	v_mov_b32_e32 v12, s42
	s_and_saveexec_b32 s23, s22
	s_cbranch_execnz .LBB225_880
	s_branch .LBB225_881
.LBB225_948:
	s_mov_b32 s8, -1
.LBB225_949:
                                        ; implicit-def: $vgpr2_vgpr3
.LBB225_950:
	s_and_b32 vcc_lo, exec_lo, s2
	s_cbranch_vccz .LBB225_955
; %bb.951:
	v_cmp_eq_u16_e32 vcc_lo, 44, v8
	s_cbranch_vccz .LBB225_953
; %bb.952:
	global_load_u8 v2, v[4:5], off
	s_mov_b32 s8, 0
	s_mov_b32 s6, -1
	s_mov_b64 s[2:3], 0
	s_waitcnt vmcnt(0)
	v_cmp_ne_u32_e32 vcc_lo, 0xff, v2
	v_lshlrev_b32_e32 v0, 23, v2
	s_delay_alu instid0(VALU_DEP_1) | instskip(NEXT) | instid1(VALU_DEP_1)
	v_cvt_f64_f32_e32 v[0:1], v0
	v_cndmask_b32_e32 v1, 0x7ff80000, v1, vcc_lo
	s_delay_alu instid0(VALU_DEP_2) | instskip(SKIP_1) | instid1(VALU_DEP_3)
	v_cndmask_b32_e32 v0, 0x20000000, v0, vcc_lo
	v_cmp_ne_u32_e32 vcc_lo, 0, v2
	v_cndmask_b32_e32 v1, 0x38000000, v1, vcc_lo
	s_delay_alu instid0(VALU_DEP_3)
	v_cndmask_b32_e32 v0, 0, v0, vcc_lo
	s_branch .LBB225_954
.LBB225_953:
	s_mov_b32 s8, -1
                                        ; implicit-def: $sgpr2_sgpr3
                                        ; implicit-def: $vgpr0_vgpr1
.LBB225_954:
	v_dual_mov_b32 v2, s2 :: v_dual_mov_b32 v3, s3
.LBB225_955:
	s_mov_b32 s2, 0
.LBB225_956:
	s_delay_alu instid0(SALU_CYCLE_1)
	s_and_b32 vcc_lo, exec_lo, s2
	s_cbranch_vccz .LBB225_961
; %bb.957:
	v_cmp_eq_u16_e32 vcc_lo, 29, v8
	s_cbranch_vccz .LBB225_959
; %bb.958:
	global_load_b64 v[0:1], v[4:5], off
	s_mov_b32 s8, 0
	s_mov_b32 s6, -1
	s_mov_b64 s[2:3], 0
	s_waitcnt vmcnt(0)
	v_cvt_f64_u32_e32 v[1:2], v1
	v_cvt_f64_u32_e32 v[11:12], v0
	s_delay_alu instid0(VALU_DEP_2) | instskip(NEXT) | instid1(VALU_DEP_1)
	v_ldexp_f64 v[1:2], v[1:2], 32
	v_add_f64 v[0:1], v[1:2], v[11:12]
	s_branch .LBB225_960
.LBB225_959:
	s_mov_b32 s8, -1
                                        ; implicit-def: $sgpr2_sgpr3
                                        ; implicit-def: $vgpr0_vgpr1
.LBB225_960:
	v_dual_mov_b32 v2, s2 :: v_dual_mov_b32 v3, s3
.LBB225_961:
	s_mov_b32 s2, 0
.LBB225_962:
	s_delay_alu instid0(SALU_CYCLE_1)
	s_and_b32 vcc_lo, exec_lo, s2
	s_cbranch_vccz .LBB225_982
; %bb.963:
	v_cmp_gt_i16_e32 vcc_lo, 27, v8
	s_cbranch_vccnz .LBB225_966
; %bb.964:
	v_cmp_lt_i16_e32 vcc_lo, 27, v8
	s_cbranch_vccz .LBB225_967
; %bb.965:
	global_load_b32 v0, v[4:5], off
	s_mov_b32 s6, 0
	s_mov_b64 s[2:3], 0
	s_waitcnt vmcnt(0)
	v_cvt_f64_u32_e32 v[0:1], v0
	s_branch .LBB225_968
.LBB225_966:
	s_mov_b32 s6, -1
                                        ; implicit-def: $sgpr2_sgpr3
                                        ; implicit-def: $vgpr0_vgpr1
	s_branch .LBB225_971
.LBB225_967:
	s_mov_b32 s6, -1
                                        ; implicit-def: $sgpr2_sgpr3
                                        ; implicit-def: $vgpr0_vgpr1
.LBB225_968:
	s_delay_alu instid0(SALU_CYCLE_1)
	s_and_not1_b32 vcc_lo, exec_lo, s6
	s_cbranch_vccnz .LBB225_970
; %bb.969:
	global_load_u16 v0, v[4:5], off
	s_mov_b64 s[2:3], 0
	s_waitcnt vmcnt(0)
	v_cvt_f64_u32_e32 v[0:1], v0
.LBB225_970:
	s_mov_b32 s6, 0
.LBB225_971:
	v_dual_mov_b32 v2, s2 :: v_dual_mov_b32 v3, s3
	s_and_not1_b32 vcc_lo, exec_lo, s6
	s_cbranch_vccnz .LBB225_981
; %bb.972:
	global_load_u8 v7, v[4:5], off
	s_mov_b32 s10, 0
	s_mov_b32 s11, exec_lo
                                        ; implicit-def: $sgpr2_sgpr3
                                        ; implicit-def: $sgpr6_sgpr7
	s_waitcnt vmcnt(0)
	v_cmpx_lt_i16_e32 0x7f, v7
	s_xor_b32 s11, exec_lo, s11
	s_cbranch_execz .LBB225_976
; %bb.973:
	s_mov_b32 s10, -1
	s_mov_b32 s12, exec_lo
                                        ; implicit-def: $sgpr2_sgpr3
                                        ; implicit-def: $sgpr6_sgpr7
	v_cmpx_eq_u16_e32 0x80, v7
; %bb.974:
	s_mov_b64 s[2:3], 0
	s_mov_b32 s7, 0x7ff80000
	s_brev_b32 s6, 4
	s_xor_b32 s10, exec_lo, -1
; %bb.975:
	s_or_b32 exec_lo, exec_lo, s12
	s_delay_alu instid0(SALU_CYCLE_1)
	s_and_b32 s10, s10, exec_lo
.LBB225_976:
	s_or_saveexec_b32 s11, s11
	v_dual_mov_b32 v2, s2 :: v_dual_mov_b32 v3, s3
	v_dual_mov_b32 v0, s6 :: v_dual_mov_b32 v1, s7
	s_xor_b32 exec_lo, exec_lo, s11
; %bb.977:
	v_mov_b32_e32 v2, 0
	v_mov_b32_e32 v3, 0
	v_cmp_ne_u16_e32 vcc_lo, 0, v7
	s_delay_alu instid0(VALU_DEP_3) | instskip(SKIP_1) | instid1(VALU_DEP_3)
	v_mov_b32_e32 v0, v2
	s_and_not1_b32 s2, s10, exec_lo
	v_mov_b32_e32 v1, v3
	s_and_b32 s3, vcc_lo, exec_lo
	s_delay_alu instid0(SALU_CYCLE_1)
	s_or_b32 s10, s2, s3
; %bb.978:
	s_or_b32 exec_lo, exec_lo, s11
	s_and_saveexec_b32 s2, s10
	s_cbranch_execz .LBB225_980
; %bb.979:
	v_and_b32_e32 v0, 0xffff, v7
	v_lshlrev_b32_e32 v7, 24, v7
	s_delay_alu instid0(VALU_DEP_2) | instskip(NEXT) | instid1(VALU_DEP_1)
	v_and_b32_e32 v1, 7, v0
	v_clz_i32_u32_e32 v2, v1
	s_delay_alu instid0(VALU_DEP_1) | instskip(NEXT) | instid1(VALU_DEP_1)
	v_min_u32_e32 v2, 32, v2
	v_subrev_nc_u32_e32 v3, 28, v2
	v_sub_nc_u32_e32 v2, 29, v2
	s_delay_alu instid0(VALU_DEP_2) | instskip(SKIP_1) | instid1(VALU_DEP_2)
	v_lshlrev_b32_e32 v3, v3, v0
	v_bfe_u32 v0, v0, 3, 4
	v_and_b32_e32 v3, 7, v3
	s_delay_alu instid0(VALU_DEP_2) | instskip(NEXT) | instid1(VALU_DEP_2)
	v_cmp_eq_u32_e32 vcc_lo, 0, v0
	v_dual_cndmask_b32 v0, v0, v2 :: v_dual_cndmask_b32 v1, v1, v3
	v_and_b32_e32 v2, 0x80000000, v7
	s_delay_alu instid0(VALU_DEP_2) | instskip(NEXT) | instid1(VALU_DEP_3)
	v_lshl_add_u32 v0, v0, 23, 0x3b800000
	v_lshlrev_b32_e32 v1, 20, v1
	s_delay_alu instid0(VALU_DEP_1) | instskip(SKIP_2) | instid1(VALU_DEP_3)
	v_or3_b32 v0, v2, v0, v1
	v_mov_b32_e32 v2, 0
	v_mov_b32_e32 v3, 0
	v_cvt_f64_f32_e32 v[0:1], v0
.LBB225_980:
	s_or_b32 exec_lo, exec_lo, s2
.LBB225_981:
	s_mov_b32 s6, -1
.LBB225_982:
	s_mov_b32 s2, 0
.LBB225_983:
	s_delay_alu instid0(SALU_CYCLE_1)
	s_and_b32 vcc_lo, exec_lo, s2
	s_cbranch_vccz .LBB225_1015
; %bb.984:
	v_cmp_lt_i16_e32 vcc_lo, 22, v8
	s_cbranch_vccz .LBB225_996
; %bb.985:
	v_cmp_gt_i16_e32 vcc_lo, 24, v8
	s_cbranch_vccnz .LBB225_997
; %bb.986:
	v_cmp_lt_i16_e32 vcc_lo, 24, v8
	s_cbranch_vccz .LBB225_998
; %bb.987:
	global_load_u8 v7, v[4:5], off
	s_mov_b32 s10, exec_lo
                                        ; implicit-def: $sgpr2_sgpr3
                                        ; implicit-def: $sgpr6_sgpr7
	s_waitcnt vmcnt(0)
	v_cmpx_lt_i16_e32 0x7f, v7
	s_xor_b32 s10, exec_lo, s10
	s_cbranch_execz .LBB225_991
; %bb.988:
	s_mov_b32 s9, -1
	s_mov_b32 s11, exec_lo
                                        ; implicit-def: $sgpr2_sgpr3
                                        ; implicit-def: $sgpr6_sgpr7
	v_cmpx_eq_u16_e32 0x80, v7
; %bb.989:
	s_mov_b64 s[2:3], 0
	s_mov_b32 s7, 0x7ff80000
	s_brev_b32 s6, 4
	s_xor_b32 s9, exec_lo, -1
; %bb.990:
	s_or_b32 exec_lo, exec_lo, s11
	s_delay_alu instid0(SALU_CYCLE_1)
	s_and_b32 s9, s9, exec_lo
.LBB225_991:
	s_or_saveexec_b32 s10, s10
	v_dual_mov_b32 v2, s2 :: v_dual_mov_b32 v3, s3
	v_dual_mov_b32 v0, s6 :: v_dual_mov_b32 v1, s7
	s_xor_b32 exec_lo, exec_lo, s10
; %bb.992:
	v_mov_b32_e32 v2, 0
	v_mov_b32_e32 v3, 0
	v_cmp_ne_u16_e32 vcc_lo, 0, v7
	s_delay_alu instid0(VALU_DEP_3) | instskip(SKIP_1) | instid1(VALU_DEP_3)
	v_mov_b32_e32 v0, v2
	s_and_not1_b32 s2, s9, exec_lo
	v_mov_b32_e32 v1, v3
	s_and_b32 s3, vcc_lo, exec_lo
	s_delay_alu instid0(SALU_CYCLE_1)
	s_or_b32 s9, s2, s3
; %bb.993:
	s_or_b32 exec_lo, exec_lo, s10
	s_and_saveexec_b32 s2, s9
	s_cbranch_execz .LBB225_995
; %bb.994:
	v_and_b32_e32 v0, 0xffff, v7
	v_lshlrev_b32_e32 v7, 24, v7
	s_delay_alu instid0(VALU_DEP_2) | instskip(NEXT) | instid1(VALU_DEP_1)
	v_and_b32_e32 v1, 3, v0
	v_clz_i32_u32_e32 v2, v1
	s_delay_alu instid0(VALU_DEP_1) | instskip(NEXT) | instid1(VALU_DEP_1)
	v_min_u32_e32 v2, 32, v2
	v_subrev_nc_u32_e32 v3, 29, v2
	v_sub_nc_u32_e32 v2, 30, v2
	s_delay_alu instid0(VALU_DEP_2) | instskip(SKIP_1) | instid1(VALU_DEP_2)
	v_lshlrev_b32_e32 v3, v3, v0
	v_bfe_u32 v0, v0, 2, 5
	v_and_b32_e32 v3, 3, v3
	s_delay_alu instid0(VALU_DEP_2) | instskip(NEXT) | instid1(VALU_DEP_2)
	v_cmp_eq_u32_e32 vcc_lo, 0, v0
	v_dual_cndmask_b32 v0, v0, v2 :: v_dual_cndmask_b32 v1, v1, v3
	v_and_b32_e32 v2, 0x80000000, v7
	s_delay_alu instid0(VALU_DEP_2) | instskip(NEXT) | instid1(VALU_DEP_3)
	v_lshl_add_u32 v0, v0, 23, 0x37800000
	v_lshlrev_b32_e32 v1, 21, v1
	s_delay_alu instid0(VALU_DEP_1) | instskip(SKIP_2) | instid1(VALU_DEP_3)
	v_or3_b32 v0, v2, v0, v1
	v_mov_b32_e32 v2, 0
	v_mov_b32_e32 v3, 0
	v_cvt_f64_f32_e32 v[0:1], v0
.LBB225_995:
	s_or_b32 exec_lo, exec_lo, s2
	s_mov_b32 s2, 0
	s_branch .LBB225_999
.LBB225_996:
	s_mov_b32 s2, -1
                                        ; implicit-def: $vgpr2_vgpr3
	s_branch .LBB225_1005
.LBB225_997:
	s_mov_b32 s2, -1
                                        ; implicit-def: $vgpr2_vgpr3
	s_branch .LBB225_1002
.LBB225_998:
	s_mov_b32 s2, -1
                                        ; implicit-def: $vgpr2_vgpr3
.LBB225_999:
	s_delay_alu instid0(SALU_CYCLE_1)
	s_and_b32 vcc_lo, exec_lo, s2
	s_cbranch_vccz .LBB225_1001
; %bb.1000:
	global_load_u8 v0, v[4:5], off
	s_waitcnt vmcnt(0)
	v_lshlrev_b32_e32 v0, 24, v0
	s_delay_alu instid0(VALU_DEP_1) | instskip(NEXT) | instid1(VALU_DEP_1)
	v_and_b32_e32 v1, 0x7f000000, v0
	v_clz_i32_u32_e32 v2, v1
	v_add_nc_u32_e32 v7, 0x1000000, v1
	v_cmp_ne_u32_e32 vcc_lo, 0, v1
	s_delay_alu instid0(VALU_DEP_3) | instskip(NEXT) | instid1(VALU_DEP_1)
	v_min_u32_e32 v2, 32, v2
	v_sub_nc_u32_e64 v2, v2, 4 clamp
	s_delay_alu instid0(VALU_DEP_1) | instskip(SKIP_1) | instid1(VALU_DEP_2)
	v_lshlrev_b32_e32 v3, v2, v1
	v_lshlrev_b32_e32 v2, 23, v2
	v_lshrrev_b32_e32 v3, 4, v3
	s_delay_alu instid0(VALU_DEP_1) | instskip(SKIP_1) | instid1(VALU_DEP_2)
	v_sub_nc_u32_e32 v2, v3, v2
	v_ashrrev_i32_e32 v3, 8, v7
	v_add_nc_u32_e32 v2, 0x3c000000, v2
	s_delay_alu instid0(VALU_DEP_1) | instskip(NEXT) | instid1(VALU_DEP_1)
	v_and_or_b32 v2, 0x7f800000, v3, v2
	v_dual_cndmask_b32 v1, 0, v2 :: v_dual_mov_b32 v2, 0
	v_mov_b32_e32 v3, 0
	s_delay_alu instid0(VALU_DEP_2) | instskip(NEXT) | instid1(VALU_DEP_1)
	v_and_or_b32 v0, 0x80000000, v0, v1
	v_cvt_f64_f32_e32 v[0:1], v0
.LBB225_1001:
	s_mov_b32 s2, 0
.LBB225_1002:
	s_delay_alu instid0(SALU_CYCLE_1)
	s_and_not1_b32 vcc_lo, exec_lo, s2
	s_cbranch_vccnz .LBB225_1004
; %bb.1003:
	global_load_u8 v0, v[4:5], off
	s_waitcnt vmcnt(0)
	v_lshlrev_b32_e32 v1, 25, v0
	v_lshlrev_b16 v0, 8, v0
	s_delay_alu instid0(VALU_DEP_2) | instskip(NEXT) | instid1(VALU_DEP_2)
	v_lshrrev_b32_e32 v2, 4, v1
	v_and_or_b32 v3, 0x7f00, v0, 0.5
	v_bfe_i32 v0, v0, 0, 16
	s_delay_alu instid0(VALU_DEP_3) | instskip(NEXT) | instid1(VALU_DEP_1)
	v_or_b32_e32 v2, 0x70000000, v2
	v_dual_add_f32 v3, -0.5, v3 :: v_dual_mul_f32 v2, 0x7800000, v2
	v_cmp_gt_u32_e32 vcc_lo, 0x8000000, v1
	s_delay_alu instid0(VALU_DEP_2) | instskip(SKIP_1) | instid1(VALU_DEP_2)
	v_dual_cndmask_b32 v1, v2, v3 :: v_dual_mov_b32 v2, 0
	v_mov_b32_e32 v3, 0
	v_and_or_b32 v0, 0x80000000, v0, v1
	s_delay_alu instid0(VALU_DEP_1)
	v_cvt_f64_f32_e32 v[0:1], v0
.LBB225_1004:
	s_mov_b32 s2, 0
	s_mov_b32 s6, -1
.LBB225_1005:
	s_and_not1_b32 vcc_lo, exec_lo, s2
	s_mov_b32 s9, 0
	s_cbranch_vccnz .LBB225_1015
; %bb.1006:
	v_cmp_lt_i16_e32 vcc_lo, 14, v8
	s_cbranch_vccz .LBB225_1009
; %bb.1007:
	v_cmp_eq_u16_e32 vcc_lo, 15, v8
	s_cbranch_vccz .LBB225_1010
; %bb.1008:
	global_load_u16 v0, v[4:5], off
	s_mov_b32 s8, 0
	s_mov_b32 s6, -1
	s_mov_b64 s[2:3], 0
	s_waitcnt vmcnt(0)
	v_lshlrev_b32_e32 v0, 16, v0
	s_delay_alu instid0(VALU_DEP_1)
	v_cvt_f64_f32_e32 v[0:1], v0
	s_branch .LBB225_1011
.LBB225_1009:
	s_mov_b32 s7, -1
                                        ; implicit-def: $sgpr2_sgpr3
                                        ; implicit-def: $vgpr0_vgpr1
	s_branch .LBB225_1012
.LBB225_1010:
	s_mov_b32 s8, -1
                                        ; implicit-def: $sgpr2_sgpr3
                                        ; implicit-def: $vgpr0_vgpr1
.LBB225_1011:
	s_mov_b32 s7, 0
.LBB225_1012:
	s_delay_alu instid0(SALU_CYCLE_1)
	s_and_b32 vcc_lo, exec_lo, s7
	s_cbranch_vccz .LBB225_1014
; %bb.1013:
	v_cmp_ne_u16_e32 vcc_lo, 11, v8
	s_and_not1_b32 s2, s8, exec_lo
	s_mov_b32 s9, -1
                                        ; implicit-def: $vgpr0_vgpr1
	s_and_b32 s3, vcc_lo, exec_lo
	s_delay_alu instid0(SALU_CYCLE_1)
	s_or_b32 s8, s2, s3
                                        ; implicit-def: $sgpr2_sgpr3
.LBB225_1014:
	v_dual_mov_b32 v2, s2 :: v_dual_mov_b32 v3, s3
.LBB225_1015:
	s_mov_b32 s2, 0
.LBB225_1016:
	s_and_b32 s41, s6, exec_lo
	s_and_not1_b32 s6, s22, exec_lo
	s_and_b32 s7, s8, exec_lo
	s_and_b32 s2, s2, exec_lo
	;; [unrolled: 1-line block ×3, first 2 shown]
	s_or_b32 s42, s6, s7
.LBB225_1017:
	s_or_b32 exec_lo, exec_lo, s30
	s_waitcnt lgkmcnt(0)
	s_and_not1_b32 s6, s22, exec_lo
	s_and_b32 s7, s42, exec_lo
	s_and_b32 s41, s41, exec_lo
	;; [unrolled: 1-line block ×4, first 2 shown]
	s_or_b32 s22, s6, s7
.LBB225_1018:
	s_or_b32 exec_lo, exec_lo, s40
	s_waitcnt lgkmcnt(0)
	s_and_not1_b32 s6, s38, exec_lo
	s_and_b32 s7, s23, exec_lo
	s_and_b32 s23, s41, exec_lo
	s_or_b32 s38, s6, s7
	s_and_not1_b32 s6, s37, exec_lo
	s_and_b32 s7, s22, exec_lo
	s_and_b32 s2, s2, exec_lo
	;; [unrolled: 1-line block ×3, first 2 shown]
	s_or_b32 s37, s6, s7
.LBB225_1019:
	s_or_b32 exec_lo, exec_lo, s39
	s_waitcnt lgkmcnt(0)
	s_and_not1_b32 s6, s34, exec_lo
	s_and_b32 s7, s38, exec_lo
	s_and_b32 s22, s23, exec_lo
	s_or_b32 s34, s6, s7
	s_and_not1_b32 s6, s35, exec_lo
	s_and_b32 s7, s37, exec_lo
	s_and_b32 s2, s2, exec_lo
	;; [unrolled: 1-line block ×3, first 2 shown]
	s_or_b32 s35, s6, s7
.LBB225_1020:
	s_or_b32 exec_lo, exec_lo, s36
	s_waitcnt lgkmcnt(0)
	s_mov_b32 s6, 0
	s_and_saveexec_b32 s3, s35
	s_cbranch_execnz .LBB225_1032
; %bb.1021:
	s_or_b32 exec_lo, exec_lo, s3
	s_and_saveexec_b32 s3, s37
	s_delay_alu instid0(SALU_CYCLE_1)
	s_xor_b32 s3, exec_lo, s3
	s_cbranch_execz .LBB225_1023
.LBB225_1022:
	global_load_u8 v0, v[4:5], off
	s_waitcnt vmcnt(1)
	v_mov_b32_e32 v2, 0
	v_mov_b32_e32 v3, 0
	s_or_b32 s22, s22, exec_lo
	s_waitcnt vmcnt(0)
	v_cmp_ne_u16_e32 vcc_lo, 0, v0
	v_mov_b32_e32 v0, 0
	v_cndmask_b32_e64 v1, 0, 0x3ff00000, vcc_lo
.LBB225_1023:
	s_or_b32 exec_lo, exec_lo, s3
	s_and_saveexec_b32 s7, s2
	s_cbranch_execz .LBB225_1073
; %bb.1024:
	v_cmp_gt_i16_e32 vcc_lo, 5, v8
	s_cbranch_vccnz .LBB225_1029
; %bb.1025:
	v_cmp_gt_i16_e32 vcc_lo, 8, v8
	s_cbranch_vccnz .LBB225_1030
	;; [unrolled: 3-line block ×3, first 2 shown]
; %bb.1027:
	v_cmp_lt_i16_e32 vcc_lo, 9, v8
	s_cbranch_vccz .LBB225_1034
; %bb.1028:
	global_load_b128 v[0:3], v[4:5], off
	s_mov_b32 s2, 0
	s_branch .LBB225_1035
.LBB225_1029:
                                        ; implicit-def: $vgpr2_vgpr3
	s_branch .LBB225_1053
.LBB225_1030:
                                        ; implicit-def: $vgpr2_vgpr3
	s_branch .LBB225_1041
.LBB225_1031:
	s_mov_b32 s2, -1
                                        ; implicit-def: $vgpr2_vgpr3
	s_branch .LBB225_1038
.LBB225_1032:
	s_cbranch_execnz .LBB225_1338
; %bb.1033:
	s_mov_b32 s6, exec_lo
	s_and_not1_b32 s37, s37, exec_lo
                                        ; implicit-def: $vgpr2_vgpr3
	s_or_b32 exec_lo, exec_lo, s3
	s_and_saveexec_b32 s3, s37
	s_delay_alu instid0(SALU_CYCLE_1)
	s_xor_b32 s3, exec_lo, s3
	s_cbranch_execnz .LBB225_1022
	s_branch .LBB225_1023
.LBB225_1034:
	s_mov_b32 s2, -1
                                        ; implicit-def: $vgpr2_vgpr3
.LBB225_1035:
	s_delay_alu instid0(SALU_CYCLE_1)
	s_and_not1_b32 vcc_lo, exec_lo, s2
	s_cbranch_vccnz .LBB225_1037
; %bb.1036:
	global_load_b64 v[1:2], v[4:5], off
	s_waitcnt vmcnt(0)
	v_cvt_f64_f32_e32 v[0:1], v1
	v_cvt_f64_f32_e32 v[2:3], v2
.LBB225_1037:
	s_mov_b32 s2, 0
.LBB225_1038:
	s_delay_alu instid0(SALU_CYCLE_1)
	s_and_not1_b32 vcc_lo, exec_lo, s2
	s_cbranch_vccnz .LBB225_1040
; %bb.1039:
	global_load_b32 v0, v[4:5], off
	s_waitcnt vmcnt(0)
	v_lshrrev_b32_e32 v1, 16, v0
	v_cvt_f32_f16_e32 v0, v0
	s_delay_alu instid0(VALU_DEP_2) | instskip(NEXT) | instid1(VALU_DEP_2)
	v_cvt_f32_f16_e32 v2, v1
	v_cvt_f64_f32_e32 v[0:1], v0
	s_delay_alu instid0(VALU_DEP_2)
	v_cvt_f64_f32_e32 v[2:3], v2
.LBB225_1040:
	s_cbranch_execnz .LBB225_1052
.LBB225_1041:
	v_cmp_gt_i16_e32 vcc_lo, 6, v8
	s_cbranch_vccnz .LBB225_1044
; %bb.1042:
	v_cmp_lt_i16_e32 vcc_lo, 6, v8
	s_cbranch_vccz .LBB225_1045
; %bb.1043:
	global_load_b64 v[0:1], v[4:5], off
	s_mov_b32 s8, 0
	s_mov_b64 s[2:3], 0
	s_branch .LBB225_1046
.LBB225_1044:
	s_mov_b32 s8, -1
                                        ; implicit-def: $sgpr2_sgpr3
                                        ; implicit-def: $vgpr0_vgpr1
	s_branch .LBB225_1049
.LBB225_1045:
	s_mov_b32 s8, -1
                                        ; implicit-def: $sgpr2_sgpr3
                                        ; implicit-def: $vgpr0_vgpr1
.LBB225_1046:
	s_delay_alu instid0(SALU_CYCLE_1)
	s_and_not1_b32 vcc_lo, exec_lo, s8
	s_cbranch_vccnz .LBB225_1048
; %bb.1047:
	global_load_b32 v0, v[4:5], off
	s_mov_b64 s[2:3], 0
	s_waitcnt vmcnt(0)
	v_cvt_f64_f32_e32 v[0:1], v0
.LBB225_1048:
	s_mov_b32 s8, 0
.LBB225_1049:
	s_delay_alu instid0(SALU_CYCLE_1)
	s_and_not1_b32 vcc_lo, exec_lo, s8
	s_cbranch_vccnz .LBB225_1051
; %bb.1050:
	global_load_u16 v0, v[4:5], off
	s_mov_b64 s[2:3], 0
	s_waitcnt vmcnt(0)
	v_cvt_f32_f16_e32 v0, v0
	s_delay_alu instid0(VALU_DEP_1)
	v_cvt_f64_f32_e32 v[0:1], v0
.LBB225_1051:
	s_waitcnt vmcnt(0)
	v_dual_mov_b32 v2, s2 :: v_dual_mov_b32 v3, s3
.LBB225_1052:
	s_cbranch_execnz .LBB225_1072
.LBB225_1053:
	v_cmp_gt_i16_e32 vcc_lo, 2, v8
	s_cbranch_vccnz .LBB225_1057
; %bb.1054:
	v_cmp_gt_i16_e32 vcc_lo, 3, v8
	s_cbranch_vccnz .LBB225_1058
; %bb.1055:
	v_cmp_lt_i16_e32 vcc_lo, 3, v8
	s_cbranch_vccz .LBB225_1059
; %bb.1056:
	global_load_b64 v[0:1], v[4:5], off
	s_mov_b32 s8, 0
	s_mov_b64 s[2:3], 0
	s_waitcnt vmcnt(0)
	v_cvt_f64_i32_e32 v[1:2], v1
	v_cvt_f64_u32_e32 v[11:12], v0
	s_delay_alu instid0(VALU_DEP_2) | instskip(NEXT) | instid1(VALU_DEP_1)
	v_ldexp_f64 v[1:2], v[1:2], 32
	v_add_f64 v[0:1], v[1:2], v[11:12]
	s_branch .LBB225_1060
.LBB225_1057:
                                        ; implicit-def: $sgpr2_sgpr3
                                        ; implicit-def: $vgpr0_vgpr1
	s_branch .LBB225_1066
.LBB225_1058:
	s_mov_b32 s8, -1
                                        ; implicit-def: $sgpr2_sgpr3
                                        ; implicit-def: $vgpr0_vgpr1
	s_branch .LBB225_1063
.LBB225_1059:
	s_mov_b32 s8, -1
                                        ; implicit-def: $sgpr2_sgpr3
                                        ; implicit-def: $vgpr0_vgpr1
.LBB225_1060:
	s_delay_alu instid0(SALU_CYCLE_1)
	s_and_not1_b32 vcc_lo, exec_lo, s8
	s_cbranch_vccnz .LBB225_1062
; %bb.1061:
	global_load_b32 v0, v[4:5], off
	s_mov_b64 s[2:3], 0
	s_waitcnt vmcnt(0)
	v_cvt_f64_i32_e32 v[0:1], v0
.LBB225_1062:
	s_mov_b32 s8, 0
.LBB225_1063:
	s_delay_alu instid0(SALU_CYCLE_1)
	s_and_not1_b32 vcc_lo, exec_lo, s8
	s_cbranch_vccnz .LBB225_1065
; %bb.1064:
	global_load_i16 v0, v[4:5], off
	s_mov_b64 s[2:3], 0
	s_waitcnt vmcnt(0)
	v_cvt_f64_i32_e32 v[0:1], v0
.LBB225_1065:
	s_cbranch_execnz .LBB225_1071
.LBB225_1066:
	v_cmp_lt_i16_e32 vcc_lo, 0, v8
	s_mov_b32 s8, 0
	s_cbranch_vccz .LBB225_1068
; %bb.1067:
	global_load_i8 v0, v[4:5], off
	s_mov_b64 s[2:3], 0
	s_waitcnt vmcnt(0)
	v_cvt_f64_i32_e32 v[0:1], v0
	s_branch .LBB225_1069
.LBB225_1068:
	s_mov_b32 s8, -1
                                        ; implicit-def: $sgpr2_sgpr3
                                        ; implicit-def: $vgpr0_vgpr1
.LBB225_1069:
	s_delay_alu instid0(SALU_CYCLE_1)
	s_and_not1_b32 vcc_lo, exec_lo, s8
	s_cbranch_vccnz .LBB225_1071
; %bb.1070:
	global_load_u8 v0, v[4:5], off
	s_mov_b64 s[2:3], 0
	s_waitcnt vmcnt(0)
	v_cvt_f64_u32_e32 v[0:1], v0
.LBB225_1071:
	s_waitcnt vmcnt(0)
	v_dual_mov_b32 v2, s2 :: v_dual_mov_b32 v3, s3
.LBB225_1072:
	s_or_b32 s22, s22, exec_lo
.LBB225_1073:
	s_or_b32 exec_lo, exec_lo, s7
	s_mov_b32 s2, 0
	s_mov_b32 s3, 0
                                        ; implicit-def: $vgpr11
                                        ; implicit-def: $vgpr8_vgpr9
                                        ; implicit-def: $vgpr4_vgpr5
	s_and_saveexec_b32 s7, s22
	s_cbranch_execz .LBB225_1182
; %bb.1074:
	s_waitcnt vmcnt(0)
	s_delay_alu instid0(VALU_DEP_1) | instskip(NEXT) | instid1(VALU_DEP_2)
	v_cmp_neq_f64_e32 vcc_lo, 0, v[0:1]
	v_cmp_neq_f64_e64 s2, 0, v[2:3]
	v_mov_b32_e32 v4, 0
	v_mov_b32_e32 v5, 0
	s_delay_alu instid0(VALU_DEP_3) | instskip(NEXT) | instid1(SALU_CYCLE_1)
	s_or_b32 s2, vcc_lo, s2
	s_and_saveexec_b32 s8, s2
	s_cbranch_execz .LBB225_1106
; %bb.1075:
	s_mov_b32 s2, 0
	s_mov_b32 s3, 0x7ff00000
	v_mov_b32_e32 v4, s2
	v_mov_b32_e32 v5, s3
	s_mov_b32 s9, exec_lo
	v_cmpx_neq_f64_e64 0x7ff00000, |v[2:3]|
	s_cbranch_execz .LBB225_1105
; %bb.1076:
	s_mov_b32 s2, exec_lo
	v_cmpx_o_f64_e32 v[0:1], v[0:1]
	s_xor_b32 s10, exec_lo, s2
	s_cbranch_execz .LBB225_1102
; %bb.1077:
	s_mov_b32 s3, exec_lo
	v_cmpx_neq_f64_e64 0x7ff00000, |v[0:1]|
	s_xor_b32 s11, exec_lo, s3
	s_cbranch_execz .LBB225_1095
; %bb.1078:
	v_max_f64 v[4:5], |v[2:3]|, |v[2:3]|
	v_max_f64 v[7:8], |v[0:1]|, |v[0:1]|
	s_mov_b32 s2, 0x99fcef32
	s_mov_b32 s3, 0x7fda8279
                                        ; implicit-def: $sgpr12
	s_delay_alu instid0(VALU_DEP_1) | instskip(NEXT) | instid1(VALU_DEP_1)
	v_max_f64 v[4:5], v[7:8], v[4:5]
	v_cmp_nle_f64_e64 s2, s[2:3], v[4:5]
	s_delay_alu instid0(VALU_DEP_1) | instskip(NEXT) | instid1(SALU_CYCLE_1)
	s_and_saveexec_b32 s3, s2
	s_xor_b32 s3, exec_lo, s3
	s_cbranch_execz .LBB225_1082
; %bb.1079:
	v_cmp_ge_f64_e64 s12, 0x200000, |v[0:1]|
	v_cmp_ge_f64_e64 s13, 0x200000, |v[2:3]|
	s_delay_alu instid0(VALU_DEP_1)
	s_and_b32 s14, s12, s13
	s_mov_b32 s12, 0
	s_and_saveexec_b32 s13, s14
; %bb.1080:
	v_mul_f64 v[0:1], v[0:1], 4.0
	v_mul_f64 v[2:3], v[2:3], 4.0
	s_mov_b32 s12, exec_lo
; %bb.1081:
	s_or_b32 exec_lo, exec_lo, s13
	s_delay_alu instid0(SALU_CYCLE_1)
	s_and_b32 s12, s12, exec_lo
.LBB225_1082:
	s_and_not1_saveexec_b32 s3, s3
; %bb.1083:
	s_delay_alu instid0(VALU_DEP_2) | instskip(NEXT) | instid1(VALU_DEP_2)
	v_ldexp_f64 v[0:1], v[0:1], -2
	v_ldexp_f64 v[2:3], v[2:3], -2
	s_and_not1_b32 s12, s12, exec_lo
; %bb.1084:
	s_or_b32 exec_lo, exec_lo, s3
	s_delay_alu instid0(VALU_DEP_1) | instskip(NEXT) | instid1(VALU_DEP_3)
	v_max_f64 v[4:5], |v[2:3]|, |v[2:3]|
	v_max_f64 v[7:8], |v[0:1]|, |v[0:1]|
	v_cmp_class_f64_e64 s13, v[0:1], 0x204
	v_cmp_class_f64_e64 s14, v[2:3], 0x204
	v_cmp_le_f64_e64 s3, 0, v[0:1]
	s_delay_alu instid0(VALU_DEP_4) | instskip(NEXT) | instid1(VALU_DEP_3)
	v_max_f64 v[4:5], v[7:8], v[4:5]
	s_or_b32 s13, s14, s13
	s_delay_alu instid0(VALU_DEP_1) | instskip(NEXT) | instid1(VALU_DEP_1)
	v_frexp_exp_i32_f64_e32 v9, v[4:5]
	v_sub_nc_u32_e32 v7, 0, v9
	s_delay_alu instid0(VALU_DEP_1) | instskip(SKIP_1) | instid1(VALU_DEP_2)
	v_ldexp_f64 v[4:5], |v[2:3]|, v7
	v_ldexp_f64 v[7:8], |v[0:1]|, v7
	v_mul_f64 v[4:5], v[4:5], v[4:5]
	s_delay_alu instid0(VALU_DEP_1) | instskip(NEXT) | instid1(VALU_DEP_1)
	v_fma_f64 v[4:5], v[7:8], v[7:8], v[4:5]
	v_rsq_f64_e32 v[7:8], v[4:5]
	v_cmp_eq_f64_e32 vcc_lo, 0, v[4:5]
	s_waitcnt_depctr 0xfff
	v_mul_f64 v[11:12], v[4:5], v[7:8]
	v_mul_f64 v[7:8], v[7:8], 0.5
	s_delay_alu instid0(VALU_DEP_1) | instskip(NEXT) | instid1(VALU_DEP_1)
	v_fma_f64 v[13:14], -v[7:8], v[11:12], 0.5
	v_fma_f64 v[11:12], v[11:12], v[13:14], v[11:12]
	v_fma_f64 v[7:8], v[7:8], v[13:14], v[7:8]
	s_delay_alu instid0(VALU_DEP_2) | instskip(NEXT) | instid1(VALU_DEP_1)
	v_fma_f64 v[13:14], -v[11:12], v[11:12], v[4:5]
	v_fma_f64 v[7:8], v[13:14], v[7:8], v[11:12]
	s_delay_alu instid0(VALU_DEP_1) | instskip(SKIP_1) | instid1(VALU_DEP_2)
	v_dual_cndmask_b32 v5, v8, v5 :: v_dual_cndmask_b32 v4, v7, v4
	v_cmp_o_f64_e32 vcc_lo, v[2:3], v[2:3]
	v_ldexp_f64 v[4:5], v[4:5], v9
	s_delay_alu instid0(VALU_DEP_1) | instskip(NEXT) | instid1(VALU_DEP_2)
	v_cndmask_b32_e32 v4, 0, v4, vcc_lo
	v_cndmask_b32_e32 v5, 0x7ff80000, v5, vcc_lo
	s_delay_alu instid0(VALU_DEP_2) | instskip(NEXT) | instid1(VALU_DEP_2)
	v_cndmask_b32_e64 v4, v4, 0, s13
	v_cndmask_b32_e64 v5, v5, 0x7ff00000, s13
	s_and_saveexec_b32 s13, s3
	s_delay_alu instid0(SALU_CYCLE_1)
	s_xor_b32 s3, exec_lo, s13
	s_cbranch_execz .LBB225_1090
; %bb.1085:
	s_delay_alu instid0(VALU_DEP_1) | instskip(NEXT) | instid1(VALU_DEP_1)
	v_add_f64 v[0:1], v[0:1], v[4:5]
	v_mul_f64 v[0:1], v[0:1], 0.5
	s_delay_alu instid0(VALU_DEP_1) | instskip(SKIP_1) | instid1(VALU_DEP_1)
	v_cmp_gt_f64_e32 vcc_lo, 0x10000000, v[0:1]
	v_cndmask_b32_e64 v4, 0, 1, vcc_lo
	v_lshlrev_b32_e32 v4, 8, v4
	s_delay_alu instid0(VALU_DEP_1) | instskip(NEXT) | instid1(VALU_DEP_1)
	v_ldexp_f64 v[0:1], v[0:1], v4
	v_rsq_f64_e32 v[4:5], v[0:1]
	s_waitcnt_depctr 0xfff
	v_mul_f64 v[7:8], v[0:1], v[4:5]
	v_mul_f64 v[4:5], v[4:5], 0.5
	s_delay_alu instid0(VALU_DEP_1) | instskip(NEXT) | instid1(VALU_DEP_1)
	v_fma_f64 v[11:12], -v[4:5], v[7:8], 0.5
	v_fma_f64 v[7:8], v[7:8], v[11:12], v[7:8]
	v_fma_f64 v[4:5], v[4:5], v[11:12], v[4:5]
	s_delay_alu instid0(VALU_DEP_2) | instskip(NEXT) | instid1(VALU_DEP_1)
	v_fma_f64 v[11:12], -v[7:8], v[7:8], v[0:1]
	v_fma_f64 v[7:8], v[11:12], v[4:5], v[7:8]
	s_delay_alu instid0(VALU_DEP_1) | instskip(NEXT) | instid1(VALU_DEP_1)
	v_fma_f64 v[11:12], -v[7:8], v[7:8], v[0:1]
	v_fma_f64 v[4:5], v[11:12], v[4:5], v[7:8]
	v_cndmask_b32_e64 v7, 0, 0xffffff80, vcc_lo
	v_cmp_class_f64_e64 vcc_lo, v[0:1], 0x260
	s_delay_alu instid0(VALU_DEP_2) | instskip(NEXT) | instid1(VALU_DEP_1)
	v_ldexp_f64 v[4:5], v[4:5], v7
	v_dual_cndmask_b32 v1, v5, v1 :: v_dual_cndmask_b32 v0, v4, v0
	s_delay_alu instid0(VALU_DEP_1) | instskip(NEXT) | instid1(VALU_DEP_1)
	v_add_f64 v[4:5], v[0:1], v[0:1]
	v_div_scale_f64 v[7:8], null, v[4:5], v[4:5], v[2:3]
	s_delay_alu instid0(VALU_DEP_1) | instskip(SKIP_2) | instid1(VALU_DEP_1)
	v_rcp_f64_e32 v[11:12], v[7:8]
	s_waitcnt_depctr 0xfff
	v_fma_f64 v[13:14], -v[7:8], v[11:12], 1.0
	v_fma_f64 v[11:12], v[11:12], v[13:14], v[11:12]
	s_delay_alu instid0(VALU_DEP_1) | instskip(NEXT) | instid1(VALU_DEP_1)
	v_fma_f64 v[13:14], -v[7:8], v[11:12], 1.0
	v_fma_f64 v[11:12], v[11:12], v[13:14], v[11:12]
	v_div_scale_f64 v[13:14], vcc_lo, v[2:3], v[4:5], v[2:3]
	s_delay_alu instid0(VALU_DEP_1) | instskip(NEXT) | instid1(VALU_DEP_1)
	v_mul_f64 v[15:16], v[13:14], v[11:12]
	v_fma_f64 v[7:8], -v[7:8], v[15:16], v[13:14]
	s_delay_alu instid0(VALU_DEP_1) | instskip(NEXT) | instid1(VALU_DEP_1)
	v_div_fmas_f64 v[7:8], v[7:8], v[11:12], v[15:16]
	v_div_fixup_f64 v[2:3], v[7:8], v[4:5], v[2:3]
                                        ; implicit-def: $vgpr4_vgpr5
	s_and_not1_saveexec_b32 s3, s3
	s_cbranch_execnz .LBB225_1091
.LBB225_1086:
	s_or_b32 exec_lo, exec_lo, s3
	s_and_saveexec_b32 s3, s2
	s_delay_alu instid0(SALU_CYCLE_1)
	s_xor_b32 s2, exec_lo, s3
	s_cbranch_execz .LBB225_1092
.LBB225_1087:
	s_and_saveexec_b32 s3, s12
; %bb.1088:
	s_delay_alu instid0(VALU_DEP_2) | instskip(NEXT) | instid1(VALU_DEP_2)
	v_mul_f64 v[0:1], v[0:1], 0.5
	v_mul_f64 v[2:3], v[2:3], 0.5
; %bb.1089:
	s_or_b32 exec_lo, exec_lo, s3
	s_and_not1_saveexec_b32 s2, s2
	s_cbranch_execnz .LBB225_1093
	s_branch .LBB225_1094
.LBB225_1090:
	s_and_not1_saveexec_b32 s3, s3
	s_cbranch_execz .LBB225_1086
.LBB225_1091:
	v_add_f64 v[0:1], v[4:5], -v[0:1]
	s_delay_alu instid0(VALU_DEP_1) | instskip(NEXT) | instid1(VALU_DEP_1)
	v_mul_f64 v[0:1], v[0:1], 0.5
	v_cmp_gt_f64_e32 vcc_lo, 0x10000000, v[0:1]
	v_cndmask_b32_e64 v4, 0, 1, vcc_lo
	s_delay_alu instid0(VALU_DEP_1) | instskip(NEXT) | instid1(VALU_DEP_1)
	v_lshlrev_b32_e32 v4, 8, v4
	v_ldexp_f64 v[0:1], v[0:1], v4
	s_delay_alu instid0(VALU_DEP_1) | instskip(SKIP_3) | instid1(VALU_DEP_1)
	v_rsq_f64_e32 v[4:5], v[0:1]
	s_waitcnt_depctr 0xfff
	v_mul_f64 v[7:8], v[0:1], v[4:5]
	v_mul_f64 v[4:5], v[4:5], 0.5
	v_fma_f64 v[11:12], -v[4:5], v[7:8], 0.5
	s_delay_alu instid0(VALU_DEP_1) | instskip(SKIP_1) | instid1(VALU_DEP_2)
	v_fma_f64 v[7:8], v[7:8], v[11:12], v[7:8]
	v_fma_f64 v[4:5], v[4:5], v[11:12], v[4:5]
	v_fma_f64 v[11:12], -v[7:8], v[7:8], v[0:1]
	s_delay_alu instid0(VALU_DEP_1) | instskip(NEXT) | instid1(VALU_DEP_1)
	v_fma_f64 v[7:8], v[11:12], v[4:5], v[7:8]
	v_fma_f64 v[11:12], -v[7:8], v[7:8], v[0:1]
	s_delay_alu instid0(VALU_DEP_1) | instskip(SKIP_2) | instid1(VALU_DEP_2)
	v_fma_f64 v[4:5], v[11:12], v[4:5], v[7:8]
	v_cndmask_b32_e64 v7, 0, 0xffffff80, vcc_lo
	v_cmp_class_f64_e64 vcc_lo, v[0:1], 0x260
	v_ldexp_f64 v[4:5], v[4:5], v7
	v_mov_b32_e32 v7, v2
	s_delay_alu instid0(VALU_DEP_2) | instskip(NEXT) | instid1(VALU_DEP_1)
	v_dual_cndmask_b32 v5, v5, v1 :: v_dual_cndmask_b32 v4, v4, v0
	v_add_f64 v[0:1], v[4:5], v[4:5]
	v_bfi_b32 v5, 0x7fffffff, v5, v3
	v_and_b32_e32 v8, 0x7fffffff, v3
	s_delay_alu instid0(VALU_DEP_1) | instskip(SKIP_1) | instid1(VALU_DEP_2)
	v_div_scale_f64 v[11:12], null, v[0:1], v[0:1], v[7:8]
	v_div_scale_f64 v[7:8], vcc_lo, v[7:8], v[0:1], v[7:8]
	v_rcp_f64_e32 v[13:14], v[11:12]
	s_waitcnt_depctr 0xfff
	v_fma_f64 v[15:16], -v[11:12], v[13:14], 1.0
	s_delay_alu instid0(VALU_DEP_1) | instskip(NEXT) | instid1(VALU_DEP_1)
	v_fma_f64 v[13:14], v[13:14], v[15:16], v[13:14]
	v_fma_f64 v[15:16], -v[11:12], v[13:14], 1.0
	s_delay_alu instid0(VALU_DEP_1) | instskip(NEXT) | instid1(VALU_DEP_1)
	v_fma_f64 v[13:14], v[13:14], v[15:16], v[13:14]
	v_mul_f64 v[15:16], v[7:8], v[13:14]
	s_delay_alu instid0(VALU_DEP_1) | instskip(NEXT) | instid1(VALU_DEP_1)
	v_fma_f64 v[7:8], -v[11:12], v[15:16], v[7:8]
	v_div_fmas_f64 v[7:8], v[7:8], v[13:14], v[15:16]
	s_delay_alu instid0(VALU_DEP_1) | instskip(SKIP_3) | instid1(SALU_CYCLE_1)
	v_div_fixup_f64 v[0:1], v[7:8], v[0:1], |v[2:3]|
	v_dual_mov_b32 v2, v4 :: v_dual_mov_b32 v3, v5
	s_or_b32 exec_lo, exec_lo, s3
	s_and_saveexec_b32 s3, s2
	s_xor_b32 s2, exec_lo, s3
	s_cbranch_execnz .LBB225_1087
.LBB225_1092:
	s_and_not1_saveexec_b32 s2, s2
.LBB225_1093:
	s_delay_alu instid0(VALU_DEP_2) | instskip(NEXT) | instid1(VALU_DEP_2)
	v_add_f64 v[0:1], v[0:1], v[0:1]
	v_add_f64 v[2:3], v[2:3], v[2:3]
.LBB225_1094:
	s_or_b32 exec_lo, exec_lo, s2
.LBB225_1095:
	s_and_not1_saveexec_b32 s2, s11
	s_cbranch_execz .LBB225_1101
; %bb.1096:
	s_delay_alu instid0(VALU_DEP_1) | instskip(SKIP_1) | instid1(VALU_DEP_3)
	v_add_f64 v[4:5], v[2:3], -v[2:3]
	s_mov_b32 s3, exec_lo
	v_cmpx_lt_i64_e32 -1, v[0:1]
	s_xor_b32 s3, exec_lo, s3
; %bb.1097:
	s_delay_alu instid0(VALU_DEP_2) | instskip(NEXT) | instid1(VALU_DEP_1)
	v_bfi_b32 v5, 0x7fffffff, v5, v3
	v_dual_mov_b32 v2, v4 :: v_dual_mov_b32 v3, v5
                                        ; implicit-def: $vgpr4_vgpr5
; %bb.1098:
	s_and_not1_saveexec_b32 s3, s3
; %bb.1099:
	s_delay_alu instid0(VALU_DEP_1) | instskip(SKIP_1) | instid1(VALU_DEP_2)
	v_bfi_b32 v1, 0x7fffffff, v1, v3
	v_and_b32_e32 v5, 0x7fffffff, v5
	v_dual_mov_b32 v3, v1 :: v_dual_mov_b32 v2, v0
	s_delay_alu instid0(VALU_DEP_2)
	v_dual_mov_b32 v0, v4 :: v_dual_mov_b32 v1, v5
; %bb.1100:
	s_or_b32 exec_lo, exec_lo, s3
.LBB225_1101:
	s_delay_alu instid0(SALU_CYCLE_1)
	s_or_b32 exec_lo, exec_lo, s2
.LBB225_1102:
	s_and_not1_saveexec_b32 s2, s10
; %bb.1103:
	s_delay_alu instid0(VALU_DEP_1) | instskip(NEXT) | instid1(VALU_DEP_1)
	v_add_f64 v[2:3], v[2:3], -v[2:3]
	v_div_scale_f64 v[4:5], vcc_lo, v[2:3], v[2:3], v[2:3]
	s_delay_alu instid0(VALU_DEP_1) | instskip(SKIP_2) | instid1(VALU_DEP_1)
	v_rcp_f64_e32 v[7:8], v[4:5]
	s_waitcnt_depctr 0xfff
	v_fma_f64 v[11:12], -v[4:5], v[7:8], 1.0
	v_fma_f64 v[7:8], v[7:8], v[11:12], v[7:8]
	s_delay_alu instid0(VALU_DEP_1) | instskip(NEXT) | instid1(VALU_DEP_1)
	v_fma_f64 v[11:12], -v[4:5], v[7:8], 1.0
	v_fma_f64 v[7:8], v[7:8], v[11:12], v[7:8]
	s_delay_alu instid0(VALU_DEP_1) | instskip(NEXT) | instid1(VALU_DEP_1)
	v_mul_f64 v[11:12], v[4:5], v[7:8]
	v_fma_f64 v[4:5], -v[4:5], v[11:12], v[4:5]
	s_delay_alu instid0(VALU_DEP_1) | instskip(NEXT) | instid1(VALU_DEP_1)
	v_div_fmas_f64 v[4:5], v[4:5], v[7:8], v[11:12]
	v_div_fixup_f64 v[2:3], v[4:5], v[2:3], v[2:3]
; %bb.1104:
	s_or_b32 exec_lo, exec_lo, s2
	v_dual_mov_b32 v5, v1 :: v_dual_mov_b32 v4, v0
.LBB225_1105:
	s_or_b32 exec_lo, exec_lo, s9
.LBB225_1106:
	s_delay_alu instid0(SALU_CYCLE_1) | instskip(SKIP_2) | instid1(VALU_DEP_1)
	s_or_b32 exec_lo, exec_lo, s8
	v_and_b32_e32 v11, 0xff, v10
	v_add_co_u32 v8, s2, s4, v6
	v_add_co_ci_u32_e64 v9, null, s5, 0, s2
	s_delay_alu instid0(VALU_DEP_3)
	v_cmp_gt_i16_e32 vcc_lo, 11, v11
	s_mov_b32 s8, 0
	s_mov_b32 s3, -1
	s_mov_b32 s2, s34
	s_cbranch_vccnz .LBB225_1181
; %bb.1107:
	v_cmp_lt_i16_e32 vcc_lo, 25, v11
	s_mov_b32 s2, s34
	s_cbranch_vccz .LBB225_1140
; %bb.1108:
	v_cmp_lt_i16_e32 vcc_lo, 28, v11
	s_mov_b32 s2, s34
	s_cbranch_vccz .LBB225_1124
	;; [unrolled: 4-line block ×4, first 2 shown]
; %bb.1111:
	v_cmp_eq_u16_e32 vcc_lo, 46, v11
	s_mov_b32 s2, -1
	s_cbranch_vccz .LBB225_1113
; %bb.1112:
	v_cvt_f32_f64_e32 v0, v[2:3]
	v_cvt_f32_f64_e32 v1, v[4:5]
	s_mov_b32 s2, 0
	s_delay_alu instid0(VALU_DEP_2) | instskip(NEXT) | instid1(VALU_DEP_2)
	v_bfe_u32 v6, v0, 16, 1
	v_bfe_u32 v7, v1, 16, 1
	v_cmp_o_f32_e32 vcc_lo, v0, v0
	s_delay_alu instid0(VALU_DEP_3) | instskip(NEXT) | instid1(VALU_DEP_3)
	v_add3_u32 v6, v0, v6, 0x7fff
	v_add3_u32 v7, v1, v7, 0x7fff
	s_delay_alu instid0(VALU_DEP_2) | instskip(NEXT) | instid1(VALU_DEP_2)
	v_and_b32_e32 v6, 0xffff0000, v6
	v_lshrrev_b32_e32 v7, 16, v7
	s_delay_alu instid0(VALU_DEP_2) | instskip(SKIP_1) | instid1(VALU_DEP_3)
	v_cndmask_b32_e32 v0, 0x7fc00000, v6, vcc_lo
	v_cmp_o_f32_e32 vcc_lo, v1, v1
	v_cndmask_b32_e32 v1, 0x7fc0, v7, vcc_lo
	s_delay_alu instid0(VALU_DEP_1)
	v_or_b32_e32 v0, v0, v1
	global_store_b32 v[8:9], v0, off
.LBB225_1113:
	s_mov_b32 s3, 0
.LBB225_1114:
	s_delay_alu instid0(SALU_CYCLE_1)
	s_and_b32 vcc_lo, exec_lo, s3
	s_cbranch_vccz .LBB225_1119
; %bb.1115:
	v_cmp_eq_u16_e32 vcc_lo, 44, v11
	s_mov_b32 s2, -1
	s_cbranch_vccz .LBB225_1119
; %bb.1116:
	v_cvt_f32_f64_e32 v0, v[4:5]
	v_mov_b32_e32 v1, 0xff
	s_mov_b32 s3, exec_lo
	s_delay_alu instid0(VALU_DEP_2) | instskip(NEXT) | instid1(VALU_DEP_1)
	v_bfe_u32 v6, v0, 23, 8
	v_cmpx_ne_u32_e32 0xff, v6
; %bb.1117:
	v_and_b32_e32 v1, 0x400000, v0
	v_and_or_b32 v6, 0x3fffff, v0, v6
	v_lshrrev_b32_e32 v0, 23, v0
	s_delay_alu instid0(VALU_DEP_3) | instskip(NEXT) | instid1(VALU_DEP_3)
	v_cmp_ne_u32_e32 vcc_lo, 0, v1
	v_cmp_ne_u32_e64 s2, 0, v6
	s_delay_alu instid0(VALU_DEP_1) | instskip(NEXT) | instid1(SALU_CYCLE_1)
	s_and_b32 s2, vcc_lo, s2
	v_cndmask_b32_e64 v1, 0, 1, s2
	s_delay_alu instid0(VALU_DEP_1)
	v_add_nc_u32_e32 v1, v0, v1
; %bb.1118:
	s_or_b32 exec_lo, exec_lo, s3
	s_mov_b32 s2, 0
	global_store_b8 v[8:9], v1, off
.LBB225_1119:
	s_mov_b32 s3, 0
.LBB225_1120:
	s_delay_alu instid0(SALU_CYCLE_1)
	s_and_b32 vcc_lo, exec_lo, s3
	s_cbranch_vccz .LBB225_1123
; %bb.1121:
	v_cmp_eq_u16_e32 vcc_lo, 29, v11
	s_mov_b32 s2, -1
	s_cbranch_vccz .LBB225_1123
; %bb.1122:
	v_trunc_f64_e32 v[0:1], v[4:5]
	s_mov_b32 s2, 0
	s_delay_alu instid0(VALU_DEP_1) | instskip(NEXT) | instid1(VALU_DEP_1)
	v_ldexp_f64 v[6:7], v[0:1], 0xffffffe0
	v_floor_f64_e32 v[6:7], v[6:7]
	s_delay_alu instid0(VALU_DEP_1) | instskip(SKIP_1) | instid1(VALU_DEP_2)
	v_fma_f64 v[0:1], 0xc1f00000, v[6:7], v[0:1]
	v_cvt_u32_f64_e32 v7, v[6:7]
	v_cvt_u32_f64_e32 v6, v[0:1]
	global_store_b64 v[8:9], v[6:7], off
.LBB225_1123:
	s_mov_b32 s3, 0
.LBB225_1124:
	s_delay_alu instid0(SALU_CYCLE_1)
	s_and_b32 vcc_lo, exec_lo, s3
	s_cbranch_vccz .LBB225_1139
; %bb.1125:
	v_cmp_gt_i16_e32 vcc_lo, 27, v11
	s_mov_b32 s3, -1
	s_cbranch_vccnz .LBB225_1131
; %bb.1126:
	v_cvt_u32_f64_e32 v0, v[4:5]
	v_cmp_lt_i16_e32 vcc_lo, 27, v11
	s_cbranch_vccz .LBB225_1128
; %bb.1127:
	s_mov_b32 s3, 0
	global_store_b32 v[8:9], v0, off
.LBB225_1128:
	s_and_not1_b32 vcc_lo, exec_lo, s3
	s_cbranch_vccnz .LBB225_1130
; %bb.1129:
	global_store_b16 v[8:9], v0, off
.LBB225_1130:
	s_mov_b32 s3, 0
.LBB225_1131:
	s_delay_alu instid0(SALU_CYCLE_1)
	s_and_not1_b32 vcc_lo, exec_lo, s3
	s_cbranch_vccnz .LBB225_1139
; %bb.1132:
	v_cvt_f32_f64_e32 v0, v[4:5]
	v_mov_b32_e32 v6, 0x80
	s_mov_b32 s3, exec_lo
	s_delay_alu instid0(VALU_DEP_2) | instskip(NEXT) | instid1(VALU_DEP_1)
	v_and_b32_e32 v1, 0x7fffffff, v0
	v_cmpx_gt_u32_e32 0x43800000, v1
	s_cbranch_execz .LBB225_1138
; %bb.1133:
	v_cmp_lt_u32_e32 vcc_lo, 0x3bffffff, v1
	s_mov_b32 s4, 0
                                        ; implicit-def: $vgpr1
	s_and_saveexec_b32 s5, vcc_lo
	s_delay_alu instid0(SALU_CYCLE_1)
	s_xor_b32 s5, exec_lo, s5
	s_cbranch_execz .LBB225_1465
; %bb.1134:
	v_bfe_u32 v1, v0, 20, 1
	s_mov_b32 s4, exec_lo
	s_delay_alu instid0(VALU_DEP_1) | instskip(NEXT) | instid1(VALU_DEP_1)
	v_add3_u32 v1, v0, v1, 0x487ffff
	v_lshrrev_b32_e32 v1, 20, v1
	s_or_saveexec_b32 s5, s5
                                        ; implicit-def: $sgpr8
	s_delay_alu instid0(SALU_CYCLE_1)
	s_xor_b32 exec_lo, exec_lo, s5
	s_cbranch_execnz .LBB225_1466
.LBB225_1135:
	s_or_b32 exec_lo, exec_lo, s5
	v_mov_b32_e32 v6, s8
	s_and_saveexec_b32 s5, s4
.LBB225_1136:
	v_lshrrev_b32_e32 v0, 24, v0
	s_delay_alu instid0(VALU_DEP_1)
	v_and_or_b32 v6, 0x80, v0, v1
.LBB225_1137:
	s_or_b32 exec_lo, exec_lo, s5
.LBB225_1138:
	s_delay_alu instid0(SALU_CYCLE_1)
	s_or_b32 exec_lo, exec_lo, s3
	global_store_b8 v[8:9], v6, off
.LBB225_1139:
	s_mov_b32 s3, 0
.LBB225_1140:
	s_delay_alu instid0(SALU_CYCLE_1)
	s_and_b32 vcc_lo, exec_lo, s3
	s_mov_b32 s3, 0
	s_cbranch_vccz .LBB225_1180
; %bb.1141:
	v_cmp_lt_i16_e32 vcc_lo, 22, v11
	s_mov_b32 s4, -1
	s_cbranch_vccz .LBB225_1173
; %bb.1142:
	v_cmp_gt_i16_e32 vcc_lo, 24, v11
	s_cbranch_vccnz .LBB225_1162
; %bb.1143:
	v_cmp_lt_i16_e32 vcc_lo, 24, v11
	s_cbranch_vccz .LBB225_1151
; %bb.1144:
	v_cvt_f32_f64_e32 v0, v[4:5]
	v_mov_b32_e32 v6, 0x80
	s_mov_b32 s4, exec_lo
	s_delay_alu instid0(VALU_DEP_2) | instskip(NEXT) | instid1(VALU_DEP_1)
	v_and_b32_e32 v1, 0x7fffffff, v0
	v_cmpx_gt_u32_e32 0x47800000, v1
	s_cbranch_execz .LBB225_1150
; %bb.1145:
	v_cmp_lt_u32_e32 vcc_lo, 0x37ffffff, v1
	s_mov_b32 s5, 0
                                        ; implicit-def: $vgpr1
	s_and_saveexec_b32 s8, vcc_lo
	s_delay_alu instid0(SALU_CYCLE_1)
	s_xor_b32 s8, exec_lo, s8
	s_cbranch_execz .LBB225_1510
; %bb.1146:
	v_bfe_u32 v1, v0, 21, 1
	s_mov_b32 s5, exec_lo
	s_delay_alu instid0(VALU_DEP_1) | instskip(NEXT) | instid1(VALU_DEP_1)
	v_add3_u32 v1, v0, v1, 0x88fffff
	v_lshrrev_b32_e32 v1, 21, v1
	s_or_saveexec_b32 s8, s8
                                        ; implicit-def: $sgpr9
	s_delay_alu instid0(SALU_CYCLE_1)
	s_xor_b32 exec_lo, exec_lo, s8
	s_cbranch_execnz .LBB225_1511
.LBB225_1147:
	s_or_b32 exec_lo, exec_lo, s8
	v_mov_b32_e32 v6, s9
	s_and_saveexec_b32 s8, s5
.LBB225_1148:
	v_lshrrev_b32_e32 v0, 24, v0
	s_delay_alu instid0(VALU_DEP_1)
	v_and_or_b32 v6, 0x80, v0, v1
.LBB225_1149:
	s_or_b32 exec_lo, exec_lo, s8
.LBB225_1150:
	s_delay_alu instid0(SALU_CYCLE_1)
	s_or_b32 exec_lo, exec_lo, s4
	s_mov_b32 s4, 0
	global_store_b8 v[8:9], v6, off
.LBB225_1151:
	s_and_b32 vcc_lo, exec_lo, s4
	s_cbranch_vccz .LBB225_1161
; %bb.1152:
	v_cvt_f32_f64_e32 v0, v[4:5]
	s_mov_b32 s4, exec_lo
                                        ; implicit-def: $vgpr1
	s_delay_alu instid0(VALU_DEP_1) | instskip(NEXT) | instid1(VALU_DEP_1)
	v_and_b32_e32 v6, 0x7fffffff, v0
	v_cmpx_gt_u32_e32 0x43f00000, v6
	s_xor_b32 s4, exec_lo, s4
	s_cbranch_execz .LBB225_1158
; %bb.1153:
	s_mov_b32 s5, exec_lo
                                        ; implicit-def: $vgpr1
	v_cmpx_lt_u32_e32 0x3c7fffff, v6
	s_xor_b32 s5, exec_lo, s5
; %bb.1154:
	v_bfe_u32 v1, v0, 20, 1
	s_delay_alu instid0(VALU_DEP_1) | instskip(NEXT) | instid1(VALU_DEP_1)
	v_add3_u32 v1, v0, v1, 0x407ffff
	v_and_b32_e32 v6, 0xff00000, v1
	v_lshrrev_b32_e32 v1, 20, v1
	s_delay_alu instid0(VALU_DEP_2) | instskip(NEXT) | instid1(VALU_DEP_2)
	v_cmp_ne_u32_e32 vcc_lo, 0x7f00000, v6
	v_cndmask_b32_e32 v1, 0x7e, v1, vcc_lo
; %bb.1155:
	s_and_not1_saveexec_b32 s5, s5
; %bb.1156:
	v_add_f32_e64 v1, 0x46800000, |v0|
; %bb.1157:
	s_or_b32 exec_lo, exec_lo, s5
                                        ; implicit-def: $vgpr6
.LBB225_1158:
	s_and_not1_saveexec_b32 s4, s4
; %bb.1159:
	v_mov_b32_e32 v1, 0x7f
	v_cmp_lt_u32_e32 vcc_lo, 0x7f800000, v6
	s_delay_alu instid0(VALU_DEP_2)
	v_cndmask_b32_e32 v1, 0x7e, v1, vcc_lo
; %bb.1160:
	s_or_b32 exec_lo, exec_lo, s4
	v_lshrrev_b32_e32 v0, 24, v0
	s_delay_alu instid0(VALU_DEP_1)
	v_and_or_b32 v0, 0x80, v0, v1
	global_store_b8 v[8:9], v0, off
.LBB225_1161:
	s_mov_b32 s4, 0
.LBB225_1162:
	s_delay_alu instid0(SALU_CYCLE_1)
	s_and_not1_b32 vcc_lo, exec_lo, s4
	s_cbranch_vccnz .LBB225_1172
; %bb.1163:
	v_cvt_f32_f64_e32 v0, v[4:5]
	s_mov_b32 s4, exec_lo
                                        ; implicit-def: $vgpr1
	s_delay_alu instid0(VALU_DEP_1) | instskip(NEXT) | instid1(VALU_DEP_1)
	v_and_b32_e32 v6, 0x7fffffff, v0
	v_cmpx_gt_u32_e32 0x47800000, v6
	s_xor_b32 s4, exec_lo, s4
	s_cbranch_execz .LBB225_1169
; %bb.1164:
	s_mov_b32 s5, exec_lo
                                        ; implicit-def: $vgpr1
	v_cmpx_lt_u32_e32 0x387fffff, v6
	s_xor_b32 s5, exec_lo, s5
; %bb.1165:
	v_bfe_u32 v1, v0, 21, 1
	s_delay_alu instid0(VALU_DEP_1) | instskip(NEXT) | instid1(VALU_DEP_1)
	v_add3_u32 v1, v0, v1, 0x80fffff
	v_lshrrev_b32_e32 v1, 21, v1
; %bb.1166:
	s_and_not1_saveexec_b32 s5, s5
; %bb.1167:
	v_add_f32_e64 v1, 0x43000000, |v0|
; %bb.1168:
	s_or_b32 exec_lo, exec_lo, s5
                                        ; implicit-def: $vgpr6
.LBB225_1169:
	s_and_not1_saveexec_b32 s4, s4
; %bb.1170:
	v_mov_b32_e32 v1, 0x7f
	v_cmp_lt_u32_e32 vcc_lo, 0x7f800000, v6
	s_delay_alu instid0(VALU_DEP_2)
	v_cndmask_b32_e32 v1, 0x7c, v1, vcc_lo
; %bb.1171:
	s_or_b32 exec_lo, exec_lo, s4
	v_lshrrev_b32_e32 v0, 24, v0
	s_delay_alu instid0(VALU_DEP_1)
	v_and_or_b32 v0, 0x80, v0, v1
	global_store_b8 v[8:9], v0, off
.LBB225_1172:
	s_mov_b32 s4, 0
.LBB225_1173:
	s_delay_alu instid0(SALU_CYCLE_1)
	s_and_not1_b32 vcc_lo, exec_lo, s4
	s_mov_b32 s8, 0
	s_cbranch_vccnz .LBB225_1181
; %bb.1174:
	v_cmp_lt_i16_e32 vcc_lo, 14, v11
	s_mov_b32 s4, -1
	s_cbranch_vccz .LBB225_1178
; %bb.1175:
	v_cmp_eq_u16_e32 vcc_lo, 15, v11
	s_mov_b32 s2, -1
	s_cbranch_vccz .LBB225_1177
; %bb.1176:
	v_cvt_f32_f64_e32 v0, v[4:5]
	s_mov_b32 s2, 0
	s_delay_alu instid0(VALU_DEP_1) | instskip(SKIP_1) | instid1(VALU_DEP_2)
	v_bfe_u32 v1, v0, 16, 1
	v_cmp_o_f32_e32 vcc_lo, v0, v0
	v_add3_u32 v1, v0, v1, 0x7fff
	s_delay_alu instid0(VALU_DEP_1) | instskip(NEXT) | instid1(VALU_DEP_1)
	v_lshrrev_b32_e32 v1, 16, v1
	v_cndmask_b32_e32 v0, 0x7fc0, v1, vcc_lo
	global_store_b16 v[8:9], v0, off
.LBB225_1177:
	s_mov_b32 s4, 0
.LBB225_1178:
	s_delay_alu instid0(SALU_CYCLE_1)
	s_and_b32 vcc_lo, exec_lo, s4
	s_cbranch_vccz .LBB225_1181
; %bb.1179:
	v_cmp_ne_u16_e32 vcc_lo, 11, v11
	s_and_not1_b32 s2, s2, exec_lo
	s_mov_b32 s8, -1
	s_and_b32 s4, vcc_lo, exec_lo
	s_delay_alu instid0(SALU_CYCLE_1)
	s_or_b32 s2, s2, s4
	s_branch .LBB225_1181
.LBB225_1180:
	s_mov_b32 s8, 0
.LBB225_1181:
	s_and_not1_b32 s4, s34, exec_lo
	s_and_b32 s5, s2, exec_lo
	s_and_b32 s3, s3, exec_lo
	;; [unrolled: 1-line block ×3, first 2 shown]
	s_or_b32 s34, s4, s5
.LBB225_1182:
	s_or_b32 exec_lo, exec_lo, s7
	s_and_saveexec_b32 s4, s34
	s_cbranch_execnz .LBB225_1297
; %bb.1183:
	s_or_b32 exec_lo, exec_lo, s4
	s_and_saveexec_b32 s4, s2
	s_delay_alu instid0(SALU_CYCLE_1)
	s_xor_b32 s4, exec_lo, s4
	s_cbranch_execz .LBB225_1185
.LBB225_1184:
	v_cmp_neq_f64_e32 vcc_lo, 0, v[4:5]
	s_waitcnt vmcnt(0)
	s_delay_alu instid0(VALU_DEP_2) | instskip(NEXT) | instid1(VALU_DEP_1)
	v_cmp_neq_f64_e64 s2, 0, v[2:3]
	s_or_b32 s2, vcc_lo, s2
	s_delay_alu instid0(SALU_CYCLE_1)
	v_cndmask_b32_e64 v0, 0, 1, s2
	global_store_b8 v[8:9], v0, off
.LBB225_1185:
	s_or_b32 exec_lo, exec_lo, s4
	s_and_saveexec_b32 s2, s3
	s_delay_alu instid0(SALU_CYCLE_1)
	s_xor_b32 s2, exec_lo, s2
	s_cbranch_execz .LBB225_1223
; %bb.1186:
	v_cmp_gt_i16_e32 vcc_lo, 5, v11
	s_mov_b32 s3, -1
	s_cbranch_vccnz .LBB225_1207
; %bb.1187:
	v_cmp_gt_i16_e32 vcc_lo, 8, v11
	s_cbranch_vccnz .LBB225_1197
; %bb.1188:
	v_cmp_gt_i16_e32 vcc_lo, 9, v11
	s_cbranch_vccnz .LBB225_1194
; %bb.1189:
	v_cmp_lt_i16_e32 vcc_lo, 9, v11
	s_cbranch_vccz .LBB225_1191
; %bb.1190:
	s_waitcnt vmcnt(0)
	v_dual_mov_b32 v6, v2 :: v_dual_mov_b32 v7, v3
	s_mov_b32 s3, 0
	global_store_b128 v[8:9], v[4:7], off
.LBB225_1191:
	s_and_not1_b32 vcc_lo, exec_lo, s3
	s_cbranch_vccnz .LBB225_1193
; %bb.1192:
	s_waitcnt vmcnt(0)
	v_cvt_f32_f64_e32 v0, v[4:5]
	v_cvt_f32_f64_e32 v1, v[2:3]
	global_store_b64 v[8:9], v[0:1], off
.LBB225_1193:
	s_mov_b32 s3, 0
.LBB225_1194:
	s_delay_alu instid0(SALU_CYCLE_1)
	s_and_not1_b32 vcc_lo, exec_lo, s3
	s_cbranch_vccnz .LBB225_1196
; %bb.1195:
	s_waitcnt vmcnt(0)
	s_delay_alu instid0(VALU_DEP_4) | instskip(SKIP_1) | instid1(VALU_DEP_2)
	v_cvt_f32_f64_e32 v0, v[2:3]
	v_cvt_f32_f64_e32 v1, v[4:5]
	v_cvt_f16_f32_e32 v0, v0
	s_delay_alu instid0(VALU_DEP_2) | instskip(NEXT) | instid1(VALU_DEP_2)
	v_cvt_f16_f32_e32 v1, v1
	v_lshlrev_b32_e32 v0, 16, v0
	s_delay_alu instid0(VALU_DEP_2) | instskip(NEXT) | instid1(VALU_DEP_1)
	v_and_b32_e32 v1, 0xffff, v1
	v_or_b32_e32 v0, v0, v1
	global_store_b32 v[8:9], v0, off
.LBB225_1196:
	s_mov_b32 s3, 0
.LBB225_1197:
	s_delay_alu instid0(SALU_CYCLE_1)
	s_and_not1_b32 vcc_lo, exec_lo, s3
	s_cbranch_vccnz .LBB225_1206
; %bb.1198:
	v_cmp_gt_i16_e32 vcc_lo, 6, v11
	s_mov_b32 s3, -1
	s_cbranch_vccnz .LBB225_1204
; %bb.1199:
	v_cmp_lt_i16_e32 vcc_lo, 6, v11
	s_cbranch_vccz .LBB225_1201
; %bb.1200:
	s_mov_b32 s3, 0
	global_store_b64 v[8:9], v[4:5], off
.LBB225_1201:
	s_and_not1_b32 vcc_lo, exec_lo, s3
	s_cbranch_vccnz .LBB225_1203
; %bb.1202:
	s_waitcnt vmcnt(0)
	v_cvt_f32_f64_e32 v0, v[4:5]
	global_store_b32 v[8:9], v0, off
.LBB225_1203:
	s_mov_b32 s3, 0
.LBB225_1204:
	s_delay_alu instid0(SALU_CYCLE_1)
	s_and_not1_b32 vcc_lo, exec_lo, s3
	s_cbranch_vccnz .LBB225_1206
; %bb.1205:
	s_waitcnt vmcnt(0)
	v_cvt_f32_f64_e32 v0, v[4:5]
	s_delay_alu instid0(VALU_DEP_1)
	v_cvt_f16_f32_e32 v0, v0
	global_store_b16 v[8:9], v0, off
.LBB225_1206:
	s_mov_b32 s3, 0
.LBB225_1207:
	s_delay_alu instid0(SALU_CYCLE_1)
	s_and_not1_b32 vcc_lo, exec_lo, s3
	s_cbranch_vccnz .LBB225_1223
; %bb.1208:
	v_cmp_gt_i16_e32 vcc_lo, 2, v11
	s_mov_b32 s3, -1
	s_cbranch_vccnz .LBB225_1218
; %bb.1209:
	v_cmp_gt_i16_e32 vcc_lo, 3, v11
	s_cbranch_vccnz .LBB225_1215
; %bb.1210:
	v_cmp_lt_i16_e32 vcc_lo, 3, v11
	s_cbranch_vccz .LBB225_1212
; %bb.1211:
	s_waitcnt vmcnt(0)
	v_trunc_f64_e32 v[0:1], v[4:5]
	s_mov_b32 s3, 0
	s_delay_alu instid0(VALU_DEP_1) | instskip(NEXT) | instid1(VALU_DEP_1)
	v_ldexp_f64 v[2:3], v[0:1], 0xffffffe0
	v_floor_f64_e32 v[2:3], v[2:3]
	s_delay_alu instid0(VALU_DEP_1) | instskip(SKIP_1) | instid1(VALU_DEP_2)
	v_fma_f64 v[0:1], 0xc1f00000, v[2:3], v[0:1]
	v_cvt_i32_f64_e32 v2, v[2:3]
	v_cvt_u32_f64_e32 v1, v[0:1]
	global_store_b64 v[8:9], v[1:2], off
.LBB225_1212:
	s_and_not1_b32 vcc_lo, exec_lo, s3
	s_cbranch_vccnz .LBB225_1214
; %bb.1213:
	s_waitcnt vmcnt(0)
	v_cvt_i32_f64_e32 v0, v[4:5]
	global_store_b32 v[8:9], v0, off
.LBB225_1214:
	s_mov_b32 s3, 0
.LBB225_1215:
	s_delay_alu instid0(SALU_CYCLE_1)
	s_and_not1_b32 vcc_lo, exec_lo, s3
	s_cbranch_vccnz .LBB225_1217
; %bb.1216:
	s_waitcnt vmcnt(0)
	v_cvt_i32_f64_e32 v0, v[4:5]
	global_store_b16 v[8:9], v0, off
.LBB225_1217:
	s_mov_b32 s3, 0
.LBB225_1218:
	s_delay_alu instid0(SALU_CYCLE_1)
	s_and_not1_b32 vcc_lo, exec_lo, s3
	s_cbranch_vccnz .LBB225_1223
; %bb.1219:
	v_cmp_lt_i16_e32 vcc_lo, 0, v11
	s_mov_b32 s3, -1
	s_cbranch_vccz .LBB225_1221
; %bb.1220:
	s_waitcnt vmcnt(0)
	v_cvt_i32_f64_e32 v0, v[4:5]
	s_mov_b32 s3, 0
	global_store_b8 v[8:9], v0, off
.LBB225_1221:
	s_and_not1_b32 vcc_lo, exec_lo, s3
	s_cbranch_vccnz .LBB225_1223
; %bb.1222:
	s_waitcnt vmcnt(0)
	v_trunc_f64_e32 v[0:1], v[4:5]
	s_delay_alu instid0(VALU_DEP_1) | instskip(NEXT) | instid1(VALU_DEP_1)
	v_ldexp_f64 v[2:3], v[0:1], 0xffffffe0
	v_floor_f64_e32 v[2:3], v[2:3]
	s_delay_alu instid0(VALU_DEP_1) | instskip(NEXT) | instid1(VALU_DEP_1)
	v_fma_f64 v[0:1], 0xc1f00000, v[2:3], v[0:1]
	v_cvt_u32_f64_e32 v0, v[0:1]
	global_store_b8 v[8:9], v0, off
.LBB225_1223:
	s_or_b32 exec_lo, exec_lo, s2
	s_delay_alu instid0(SALU_CYCLE_1)
	s_and_b32 s8, s6, exec_lo
                                        ; implicit-def: $vgpr2
                                        ; implicit-def: $vgpr9
.LBB225_1224:
	s_or_saveexec_b32 s9, s28
	s_mov_b32 s2, 0
                                        ; implicit-def: $vgpr0_vgpr1
                                        ; implicit-def: $vgpr24
                                        ; implicit-def: $vgpr16_vgpr17
                                        ; implicit-def: $vgpr18_vgpr19
	s_xor_b32 exec_lo, exec_lo, s9
	s_cbranch_execz .LBB225_1942
; %bb.1225:
	s_waitcnt vmcnt(0)
	v_cndmask_b32_e64 v1, 0, 1, s27
	s_and_not1_b32 vcc_lo, exec_lo, s27
	s_cbranch_vccnz .LBB225_1231
; %bb.1226:
	v_dual_mov_b32 v23, 0 :: v_dual_mov_b32 v0, 0
	s_cmp_lg_u32 s24, 0
	s_mov_b32 s6, 0
	s_cbranch_scc0 .LBB225_1235
; %bb.1227:
	s_min_u32 s7, s25, 15
	v_mov_b32_e32 v23, 0
	s_add_i32 s7, s7, 1
	s_cmp_eq_u32 s25, 2
	s_mov_b32 s10, 0
	s_cbranch_scc1 .LBB225_1232
; %bb.1228:
	v_dual_mov_b32 v0, 0 :: v_dual_mov_b32 v23, 0
	v_mov_b32_e32 v3, v9
	s_add_u32 s2, s16, 0xc4
	s_addc_u32 s3, s17, 0
	s_and_b32 s10, s7, 28
	s_mov_b32 s11, 0
	s_mov_b64 s[4:5], s[16:17]
.LBB225_1229:                           ; =>This Inner Loop Header: Depth=1
	s_clause 0x1
	s_load_b256 s[36:43], s[4:5], 0x4
	s_load_b128 s[12:15], s[4:5], 0x24
	s_load_b256 s[44:51], s[2:3], 0x0
	s_add_u32 s4, s4, 48
	s_addc_u32 s5, s5, 0
	s_add_i32 s11, s11, 4
	s_add_u32 s2, s2, 32
	s_addc_u32 s3, s3, 0
	s_cmp_lg_u32 s10, s11
	s_waitcnt lgkmcnt(0)
	v_mul_hi_u32 v4, s37, v3
	s_delay_alu instid0(VALU_DEP_1) | instskip(NEXT) | instid1(VALU_DEP_1)
	v_add_nc_u32_e32 v4, v3, v4
	v_lshrrev_b32_e32 v4, s38, v4
	s_delay_alu instid0(VALU_DEP_1) | instskip(SKIP_1) | instid1(VALU_DEP_2)
	v_mul_hi_u32 v5, s40, v4
	v_mul_lo_u32 v7, v4, s36
	v_add_nc_u32_e32 v5, v4, v5
	s_delay_alu instid0(VALU_DEP_2) | instskip(NEXT) | instid1(VALU_DEP_2)
	v_sub_nc_u32_e32 v3, v3, v7
	v_lshrrev_b32_e32 v5, s41, v5
	s_delay_alu instid0(VALU_DEP_2) | instskip(SKIP_1) | instid1(VALU_DEP_3)
	v_mul_lo_u32 v7, v3, s44
	v_mul_lo_u32 v10, v3, s45
	v_mul_hi_u32 v6, s43, v5
	s_delay_alu instid0(VALU_DEP_1) | instskip(NEXT) | instid1(VALU_DEP_1)
	v_add_nc_u32_e32 v6, v5, v6
	v_lshrrev_b32_e32 v6, s12, v6
	s_delay_alu instid0(VALU_DEP_1) | instskip(SKIP_1) | instid1(VALU_DEP_2)
	v_mul_hi_u32 v8, s14, v6
	v_mul_lo_u32 v11, v6, s42
	v_add_nc_u32_e32 v3, v6, v8
	v_mul_lo_u32 v8, v5, s39
	s_delay_alu instid0(VALU_DEP_3) | instskip(NEXT) | instid1(VALU_DEP_3)
	v_sub_nc_u32_e32 v5, v5, v11
	v_lshrrev_b32_e32 v3, s15, v3
	s_delay_alu instid0(VALU_DEP_2) | instskip(SKIP_2) | instid1(VALU_DEP_4)
	v_mul_lo_u32 v11, v5, s48
	v_mul_lo_u32 v5, v5, s49
	v_sub_nc_u32_e32 v4, v4, v8
	v_mul_lo_u32 v12, v3, s13
	s_delay_alu instid0(VALU_DEP_2) | instskip(SKIP_1) | instid1(VALU_DEP_3)
	v_mul_lo_u32 v8, v4, s46
	v_mul_lo_u32 v4, v4, s47
	v_sub_nc_u32_e32 v6, v6, v12
	s_delay_alu instid0(VALU_DEP_3) | instskip(NEXT) | instid1(VALU_DEP_2)
	v_add3_u32 v7, v7, v23, v8
	v_mul_lo_u32 v12, v6, s50
	v_mul_lo_u32 v6, v6, s51
	v_add3_u32 v0, v10, v0, v4
	s_delay_alu instid0(VALU_DEP_3) | instskip(NEXT) | instid1(VALU_DEP_2)
	v_add3_u32 v23, v11, v7, v12
	v_add3_u32 v0, v5, v0, v6
	s_cbranch_scc1 .LBB225_1229
; %bb.1230:
	s_and_b32 s7, s7, 3
	s_delay_alu instid0(SALU_CYCLE_1)
	s_cmp_eq_u32 s7, 0
	s_cbranch_scc0 .LBB225_1233
	s_branch .LBB225_1235
.LBB225_1231:
	s_mov_b32 s6, -1
                                        ; implicit-def: $vgpr23
                                        ; implicit-def: $vgpr0
	s_branch .LBB225_1235
.LBB225_1232:
	v_dual_mov_b32 v3, v9 :: v_dual_mov_b32 v0, 0
	s_and_b32 s7, s7, 3
	s_delay_alu instid0(SALU_CYCLE_1)
	s_cmp_eq_u32 s7, 0
	s_cbranch_scc1 .LBB225_1235
.LBB225_1233:
	s_lshl_b32 s2, s10, 3
	s_mul_i32 s4, s10, 12
	s_add_u32 s2, s2, s16
	s_addc_u32 s3, 0, s17
	s_add_u32 s2, s2, 0xc4
	s_addc_u32 s3, s3, 0
	;; [unrolled: 2-line block ×3, first 2 shown]
	.p2align	6
.LBB225_1234:                           ; =>This Inner Loop Header: Depth=1
	s_clause 0x1
	s_load_b64 s[10:11], s[4:5], 0x4
	s_load_b32 s14, s[4:5], 0xc
	s_load_b64 s[12:13], s[2:3], 0x0
	s_add_u32 s4, s4, 12
	s_addc_u32 s5, s5, 0
	s_add_u32 s2, s2, 8
	s_addc_u32 s3, s3, 0
	s_add_i32 s7, s7, -1
	s_delay_alu instid0(SALU_CYCLE_1) | instskip(SKIP_2) | instid1(VALU_DEP_1)
	s_cmp_lg_u32 s7, 0
	s_waitcnt lgkmcnt(0)
	v_mul_hi_u32 v4, s11, v3
	v_add_nc_u32_e32 v4, v3, v4
	s_delay_alu instid0(VALU_DEP_1) | instskip(NEXT) | instid1(VALU_DEP_1)
	v_lshrrev_b32_e32 v7, s14, v4
	v_mul_lo_u32 v4, v7, s10
	s_delay_alu instid0(VALU_DEP_1) | instskip(NEXT) | instid1(VALU_DEP_1)
	v_sub_nc_u32_e32 v3, v3, v4
	v_mad_u64_u32 v[4:5], null, v3, s12, v[23:24]
	v_mad_u64_u32 v[5:6], null, v3, s13, v[0:1]
	v_mov_b32_e32 v3, v7
	s_delay_alu instid0(VALU_DEP_2)
	v_dual_mov_b32 v23, v4 :: v_dual_mov_b32 v0, v5
	s_cbranch_scc1 .LBB225_1234
.LBB225_1235:
	s_and_not1_b32 vcc_lo, exec_lo, s6
	s_cbranch_vccnz .LBB225_1238
; %bb.1236:
	s_clause 0x1
	s_load_b128 s[4:7], s[16:17], 0x4
	s_load_b64 s[2:3], s[16:17], 0xc4
	s_cmp_lt_u32 s24, 2
	s_waitcnt lgkmcnt(0)
	v_mul_hi_u32 v0, s5, v9
	s_delay_alu instid0(VALU_DEP_1) | instskip(NEXT) | instid1(VALU_DEP_1)
	v_add_nc_u32_e32 v0, v9, v0
	v_lshrrev_b32_e32 v3, s6, v0
	s_delay_alu instid0(VALU_DEP_1) | instskip(NEXT) | instid1(VALU_DEP_1)
	v_mul_lo_u32 v0, v3, s4
	v_sub_nc_u32_e32 v0, v9, v0
	s_delay_alu instid0(VALU_DEP_1)
	v_mul_lo_u32 v23, v0, s2
	v_mul_lo_u32 v0, v0, s3
	s_cbranch_scc1 .LBB225_1238
; %bb.1237:
	s_clause 0x1
	s_load_b128 s[4:7], s[16:17], 0x10
	s_load_b64 s[2:3], s[16:17], 0xcc
	s_waitcnt lgkmcnt(0)
	v_mul_hi_u32 v4, s5, v3
	s_delay_alu instid0(VALU_DEP_1) | instskip(NEXT) | instid1(VALU_DEP_1)
	v_add_nc_u32_e32 v4, v3, v4
	v_lshrrev_b32_e32 v4, s6, v4
	s_delay_alu instid0(VALU_DEP_1) | instskip(NEXT) | instid1(VALU_DEP_1)
	v_mul_lo_u32 v4, v4, s4
	v_sub_nc_u32_e32 v6, v3, v4
	s_delay_alu instid0(VALU_DEP_1) | instskip(SKIP_1) | instid1(VALU_DEP_1)
	v_mad_u64_u32 v[3:4], null, v6, s2, v[23:24]
	v_mad_u64_u32 v[4:5], null, v6, s3, v[0:1]
	v_dual_mov_b32 v23, v3 :: v_dual_mov_b32 v0, v4
.LBB225_1238:
	v_cmp_ne_u32_e32 vcc_lo, 1, v1
	v_add_nc_u32_e32 v3, 0x80, v9
	s_cbranch_vccnz .LBB225_1244
; %bb.1239:
	v_mov_b32_e32 v22, 0
	v_mov_b32_e32 v4, 0
	s_cmp_lg_u32 s24, 0
	s_mov_b32 s6, 0
	s_cbranch_scc0 .LBB225_1248
; %bb.1240:
	s_min_u32 s7, s25, 15
	v_mov_b32_e32 v22, 0
	s_add_i32 s7, s7, 1
	s_cmp_eq_u32 s25, 2
	s_mov_b32 s10, 0
	s_cbranch_scc1 .LBB225_1245
; %bb.1241:
	v_dual_mov_b32 v4, 0 :: v_dual_mov_b32 v5, v3
	v_mov_b32_e32 v22, 0
	s_add_u32 s2, s16, 0xc4
	s_addc_u32 s3, s17, 0
	s_and_b32 s10, s7, 28
	s_mov_b32 s11, 0
	s_mov_b64 s[4:5], s[16:17]
.LBB225_1242:                           ; =>This Inner Loop Header: Depth=1
	s_clause 0x1
	s_load_b256 s[36:43], s[4:5], 0x4
	s_load_b128 s[12:15], s[4:5], 0x24
	s_load_b256 s[44:51], s[2:3], 0x0
	s_add_u32 s4, s4, 48
	s_addc_u32 s5, s5, 0
	s_add_i32 s11, s11, 4
	s_add_u32 s2, s2, 32
	s_addc_u32 s3, s3, 0
	s_cmp_lg_u32 s10, s11
	s_waitcnt lgkmcnt(0)
	v_mul_hi_u32 v6, s37, v5
	s_delay_alu instid0(VALU_DEP_1) | instskip(NEXT) | instid1(VALU_DEP_1)
	v_add_nc_u32_e32 v6, v5, v6
	v_lshrrev_b32_e32 v6, s38, v6
	s_delay_alu instid0(VALU_DEP_1) | instskip(SKIP_1) | instid1(VALU_DEP_2)
	v_mul_hi_u32 v7, s40, v6
	v_mul_lo_u32 v10, v6, s36
	v_add_nc_u32_e32 v7, v6, v7
	s_delay_alu instid0(VALU_DEP_2) | instskip(NEXT) | instid1(VALU_DEP_2)
	v_sub_nc_u32_e32 v5, v5, v10
	v_lshrrev_b32_e32 v7, s41, v7
	s_delay_alu instid0(VALU_DEP_2) | instskip(SKIP_1) | instid1(VALU_DEP_3)
	v_mul_lo_u32 v10, v5, s44
	v_mul_lo_u32 v12, v5, s45
	v_mul_hi_u32 v8, s43, v7
	s_delay_alu instid0(VALU_DEP_1) | instskip(NEXT) | instid1(VALU_DEP_1)
	v_add_nc_u32_e32 v8, v7, v8
	v_lshrrev_b32_e32 v8, s12, v8
	s_delay_alu instid0(VALU_DEP_1) | instskip(SKIP_1) | instid1(VALU_DEP_2)
	v_mul_hi_u32 v11, s14, v8
	v_mul_lo_u32 v13, v8, s42
	v_add_nc_u32_e32 v5, v8, v11
	v_mul_lo_u32 v11, v7, s39
	s_delay_alu instid0(VALU_DEP_3) | instskip(NEXT) | instid1(VALU_DEP_3)
	v_sub_nc_u32_e32 v7, v7, v13
	v_lshrrev_b32_e32 v5, s15, v5
	s_delay_alu instid0(VALU_DEP_2) | instskip(SKIP_2) | instid1(VALU_DEP_4)
	v_mul_lo_u32 v13, v7, s48
	v_mul_lo_u32 v7, v7, s49
	v_sub_nc_u32_e32 v6, v6, v11
	v_mul_lo_u32 v14, v5, s13
	s_delay_alu instid0(VALU_DEP_2) | instskip(SKIP_1) | instid1(VALU_DEP_3)
	v_mul_lo_u32 v11, v6, s46
	v_mul_lo_u32 v6, v6, s47
	v_sub_nc_u32_e32 v8, v8, v14
	s_delay_alu instid0(VALU_DEP_3) | instskip(NEXT) | instid1(VALU_DEP_2)
	v_add3_u32 v10, v10, v22, v11
	v_mul_lo_u32 v14, v8, s50
	v_mul_lo_u32 v8, v8, s51
	v_add3_u32 v4, v12, v4, v6
	s_delay_alu instid0(VALU_DEP_3) | instskip(NEXT) | instid1(VALU_DEP_2)
	v_add3_u32 v22, v13, v10, v14
	v_add3_u32 v4, v7, v4, v8
	s_cbranch_scc1 .LBB225_1242
; %bb.1243:
	s_and_b32 s7, s7, 3
	s_delay_alu instid0(SALU_CYCLE_1)
	s_cmp_eq_u32 s7, 0
	s_cbranch_scc0 .LBB225_1246
	s_branch .LBB225_1248
.LBB225_1244:
	s_mov_b32 s6, -1
                                        ; implicit-def: $vgpr22
                                        ; implicit-def: $vgpr4
	s_branch .LBB225_1248
.LBB225_1245:
	v_dual_mov_b32 v5, v3 :: v_dual_mov_b32 v4, 0
	s_and_b32 s7, s7, 3
	s_delay_alu instid0(SALU_CYCLE_1)
	s_cmp_eq_u32 s7, 0
	s_cbranch_scc1 .LBB225_1248
.LBB225_1246:
	s_lshl_b32 s2, s10, 3
	s_mul_i32 s4, s10, 12
	s_add_u32 s2, s2, s16
	s_addc_u32 s3, 0, s17
	s_add_u32 s2, s2, 0xc4
	s_addc_u32 s3, s3, 0
	;; [unrolled: 2-line block ×3, first 2 shown]
	.p2align	6
.LBB225_1247:                           ; =>This Inner Loop Header: Depth=1
	s_clause 0x1
	s_load_b64 s[10:11], s[4:5], 0x4
	s_load_b32 s14, s[4:5], 0xc
	s_load_b64 s[12:13], s[2:3], 0x0
	s_add_u32 s4, s4, 12
	s_addc_u32 s5, s5, 0
	s_add_u32 s2, s2, 8
	s_addc_u32 s3, s3, 0
	s_add_i32 s7, s7, -1
	s_delay_alu instid0(SALU_CYCLE_1) | instskip(SKIP_2) | instid1(VALU_DEP_1)
	s_cmp_lg_u32 s7, 0
	s_waitcnt lgkmcnt(0)
	v_mul_hi_u32 v6, s11, v5
	v_add_nc_u32_e32 v6, v5, v6
	s_delay_alu instid0(VALU_DEP_1) | instskip(NEXT) | instid1(VALU_DEP_1)
	v_lshrrev_b32_e32 v10, s14, v6
	v_mul_lo_u32 v6, v10, s10
	s_delay_alu instid0(VALU_DEP_1) | instskip(NEXT) | instid1(VALU_DEP_1)
	v_sub_nc_u32_e32 v5, v5, v6
	v_mad_u64_u32 v[6:7], null, v5, s12, v[22:23]
	v_mad_u64_u32 v[7:8], null, v5, s13, v[4:5]
	v_mov_b32_e32 v5, v10
	s_delay_alu instid0(VALU_DEP_3) | instskip(NEXT) | instid1(VALU_DEP_3)
	v_mov_b32_e32 v22, v6
	v_mov_b32_e32 v4, v7
	s_cbranch_scc1 .LBB225_1247
.LBB225_1248:
	s_and_not1_b32 vcc_lo, exec_lo, s6
	s_cbranch_vccnz .LBB225_1251
; %bb.1249:
	s_clause 0x1
	s_load_b128 s[4:7], s[16:17], 0x4
	s_load_b64 s[2:3], s[16:17], 0xc4
	s_cmp_lt_u32 s24, 2
	s_waitcnt lgkmcnt(0)
	v_mul_hi_u32 v4, s5, v3
	s_delay_alu instid0(VALU_DEP_1) | instskip(NEXT) | instid1(VALU_DEP_1)
	v_add_nc_u32_e32 v4, v3, v4
	v_lshrrev_b32_e32 v5, s6, v4
	s_delay_alu instid0(VALU_DEP_1) | instskip(NEXT) | instid1(VALU_DEP_1)
	v_mul_lo_u32 v4, v5, s4
	v_sub_nc_u32_e32 v3, v3, v4
	s_delay_alu instid0(VALU_DEP_1)
	v_mul_lo_u32 v22, v3, s2
	v_mul_lo_u32 v4, v3, s3
	s_cbranch_scc1 .LBB225_1251
; %bb.1250:
	s_clause 0x1
	s_load_b128 s[4:7], s[16:17], 0x10
	s_load_b64 s[2:3], s[16:17], 0xcc
	s_waitcnt lgkmcnt(0)
	v_mul_hi_u32 v3, s5, v5
	s_delay_alu instid0(VALU_DEP_1) | instskip(NEXT) | instid1(VALU_DEP_1)
	v_add_nc_u32_e32 v3, v5, v3
	v_lshrrev_b32_e32 v3, s6, v3
	s_delay_alu instid0(VALU_DEP_1) | instskip(NEXT) | instid1(VALU_DEP_1)
	v_mul_lo_u32 v3, v3, s4
	v_sub_nc_u32_e32 v3, v5, v3
	s_delay_alu instid0(VALU_DEP_1) | instskip(NEXT) | instid1(VALU_DEP_1)
	v_mad_u64_u32 v[5:6], null, v3, s2, v[22:23]
	v_mad_u64_u32 v[6:7], null, v3, s3, v[4:5]
	v_mov_b32_e32 v22, v5
	s_delay_alu instid0(VALU_DEP_2)
	v_mov_b32_e32 v4, v6
.LBB225_1251:
	v_cmp_ne_u32_e32 vcc_lo, 1, v1
	v_add_nc_u32_e32 v3, 0x100, v9
	s_cbranch_vccnz .LBB225_1257
; %bb.1252:
	v_dual_mov_b32 v21, 0 :: v_dual_mov_b32 v10, 0
	s_cmp_lg_u32 s24, 0
	s_mov_b32 s6, 0
	s_cbranch_scc0 .LBB225_1261
; %bb.1253:
	s_min_u32 s7, s25, 15
	v_mov_b32_e32 v21, 0
	s_add_i32 s7, s7, 1
	s_cmp_eq_u32 s25, 2
	s_mov_b32 s10, 0
	s_cbranch_scc1 .LBB225_1258
; %bb.1254:
	v_dual_mov_b32 v10, 0 :: v_dual_mov_b32 v21, 0
	v_mov_b32_e32 v5, v3
	s_add_u32 s2, s16, 0xc4
	s_addc_u32 s3, s17, 0
	s_and_b32 s10, s7, 28
	s_mov_b32 s11, 0
	s_mov_b64 s[4:5], s[16:17]
.LBB225_1255:                           ; =>This Inner Loop Header: Depth=1
	s_clause 0x1
	s_load_b256 s[36:43], s[4:5], 0x4
	s_load_b128 s[12:15], s[4:5], 0x24
	s_load_b256 s[44:51], s[2:3], 0x0
	s_add_u32 s4, s4, 48
	s_addc_u32 s5, s5, 0
	s_add_i32 s11, s11, 4
	s_add_u32 s2, s2, 32
	s_addc_u32 s3, s3, 0
	s_cmp_lg_u32 s10, s11
	s_waitcnt lgkmcnt(0)
	v_mul_hi_u32 v6, s37, v5
	s_delay_alu instid0(VALU_DEP_1) | instskip(NEXT) | instid1(VALU_DEP_1)
	v_add_nc_u32_e32 v6, v5, v6
	v_lshrrev_b32_e32 v6, s38, v6
	s_delay_alu instid0(VALU_DEP_1) | instskip(SKIP_1) | instid1(VALU_DEP_2)
	v_mul_hi_u32 v7, s40, v6
	v_mul_lo_u32 v9, v6, s36
	v_add_nc_u32_e32 v7, v6, v7
	s_delay_alu instid0(VALU_DEP_2) | instskip(NEXT) | instid1(VALU_DEP_2)
	v_sub_nc_u32_e32 v5, v5, v9
	v_lshrrev_b32_e32 v7, s41, v7
	s_delay_alu instid0(VALU_DEP_2) | instskip(SKIP_1) | instid1(VALU_DEP_3)
	v_mul_lo_u32 v9, v5, s44
	v_mul_lo_u32 v12, v5, s45
	v_mul_hi_u32 v8, s43, v7
	s_delay_alu instid0(VALU_DEP_1) | instskip(NEXT) | instid1(VALU_DEP_1)
	v_add_nc_u32_e32 v8, v7, v8
	v_lshrrev_b32_e32 v8, s12, v8
	s_delay_alu instid0(VALU_DEP_1) | instskip(SKIP_1) | instid1(VALU_DEP_2)
	v_mul_hi_u32 v11, s14, v8
	v_mul_lo_u32 v13, v8, s42
	v_add_nc_u32_e32 v5, v8, v11
	v_mul_lo_u32 v11, v7, s39
	s_delay_alu instid0(VALU_DEP_3) | instskip(NEXT) | instid1(VALU_DEP_3)
	v_sub_nc_u32_e32 v7, v7, v13
	v_lshrrev_b32_e32 v5, s15, v5
	s_delay_alu instid0(VALU_DEP_2) | instskip(SKIP_2) | instid1(VALU_DEP_4)
	v_mul_lo_u32 v13, v7, s48
	v_mul_lo_u32 v7, v7, s49
	v_sub_nc_u32_e32 v6, v6, v11
	v_mul_lo_u32 v14, v5, s13
	s_delay_alu instid0(VALU_DEP_2) | instskip(SKIP_1) | instid1(VALU_DEP_3)
	v_mul_lo_u32 v11, v6, s46
	v_mul_lo_u32 v6, v6, s47
	v_sub_nc_u32_e32 v8, v8, v14
	s_delay_alu instid0(VALU_DEP_3) | instskip(NEXT) | instid1(VALU_DEP_2)
	v_add3_u32 v9, v9, v21, v11
	v_mul_lo_u32 v14, v8, s50
	v_mul_lo_u32 v8, v8, s51
	v_add3_u32 v6, v12, v10, v6
	s_delay_alu instid0(VALU_DEP_3) | instskip(NEXT) | instid1(VALU_DEP_2)
	v_add3_u32 v21, v13, v9, v14
	v_add3_u32 v10, v7, v6, v8
	s_cbranch_scc1 .LBB225_1255
; %bb.1256:
	s_and_b32 s7, s7, 3
	s_delay_alu instid0(SALU_CYCLE_1)
	s_cmp_eq_u32 s7, 0
	s_cbranch_scc0 .LBB225_1259
	s_branch .LBB225_1261
.LBB225_1257:
	s_mov_b32 s6, -1
                                        ; implicit-def: $vgpr21
                                        ; implicit-def: $vgpr10
	s_branch .LBB225_1261
.LBB225_1258:
	v_dual_mov_b32 v5, v3 :: v_dual_mov_b32 v10, 0
	s_and_b32 s7, s7, 3
	s_delay_alu instid0(SALU_CYCLE_1)
	s_cmp_eq_u32 s7, 0
	s_cbranch_scc1 .LBB225_1261
.LBB225_1259:
	s_lshl_b32 s2, s10, 3
	s_mul_i32 s4, s10, 12
	s_add_u32 s2, s2, s16
	s_addc_u32 s3, 0, s17
	s_add_u32 s2, s2, 0xc4
	s_addc_u32 s3, s3, 0
	;; [unrolled: 2-line block ×3, first 2 shown]
	.p2align	6
.LBB225_1260:                           ; =>This Inner Loop Header: Depth=1
	s_clause 0x1
	s_load_b64 s[10:11], s[4:5], 0x4
	s_load_b32 s14, s[4:5], 0xc
	s_load_b64 s[12:13], s[2:3], 0x0
	s_add_u32 s4, s4, 12
	s_addc_u32 s5, s5, 0
	s_add_u32 s2, s2, 8
	s_addc_u32 s3, s3, 0
	s_add_i32 s7, s7, -1
	s_delay_alu instid0(SALU_CYCLE_1) | instskip(SKIP_2) | instid1(VALU_DEP_1)
	s_cmp_lg_u32 s7, 0
	s_waitcnt lgkmcnt(0)
	v_mul_hi_u32 v6, s11, v5
	v_add_nc_u32_e32 v6, v5, v6
	s_delay_alu instid0(VALU_DEP_1) | instskip(NEXT) | instid1(VALU_DEP_1)
	v_lshrrev_b32_e32 v9, s14, v6
	v_mul_lo_u32 v6, v9, s10
	s_delay_alu instid0(VALU_DEP_1) | instskip(NEXT) | instid1(VALU_DEP_1)
	v_sub_nc_u32_e32 v5, v5, v6
	v_mad_u64_u32 v[6:7], null, v5, s12, v[21:22]
	v_mad_u64_u32 v[7:8], null, v5, s13, v[10:11]
	v_mov_b32_e32 v5, v9
	s_delay_alu instid0(VALU_DEP_2)
	v_dual_mov_b32 v21, v6 :: v_dual_mov_b32 v10, v7
	s_cbranch_scc1 .LBB225_1260
.LBB225_1261:
	s_and_not1_b32 vcc_lo, exec_lo, s6
	s_cbranch_vccnz .LBB225_1264
; %bb.1262:
	s_clause 0x1
	s_load_b128 s[4:7], s[16:17], 0x4
	s_load_b64 s[2:3], s[16:17], 0xc4
	s_cmp_lt_u32 s24, 2
	s_waitcnt lgkmcnt(0)
	v_mul_hi_u32 v5, s5, v3
	s_delay_alu instid0(VALU_DEP_1) | instskip(NEXT) | instid1(VALU_DEP_1)
	v_add_nc_u32_e32 v5, v3, v5
	v_lshrrev_b32_e32 v5, s6, v5
	s_delay_alu instid0(VALU_DEP_1) | instskip(NEXT) | instid1(VALU_DEP_1)
	v_mul_lo_u32 v6, v5, s4
	v_sub_nc_u32_e32 v3, v3, v6
	s_delay_alu instid0(VALU_DEP_1)
	v_mul_lo_u32 v21, v3, s2
	v_mul_lo_u32 v10, v3, s3
	s_cbranch_scc1 .LBB225_1264
; %bb.1263:
	s_clause 0x1
	s_load_b128 s[4:7], s[16:17], 0x10
	s_load_b64 s[2:3], s[16:17], 0xcc
	s_waitcnt lgkmcnt(0)
	v_mul_hi_u32 v3, s5, v5
	s_delay_alu instid0(VALU_DEP_1) | instskip(NEXT) | instid1(VALU_DEP_1)
	v_add_nc_u32_e32 v3, v5, v3
	v_lshrrev_b32_e32 v3, s6, v3
	s_delay_alu instid0(VALU_DEP_1) | instskip(NEXT) | instid1(VALU_DEP_1)
	v_mul_lo_u32 v3, v3, s4
	v_sub_nc_u32_e32 v3, v5, v3
	s_delay_alu instid0(VALU_DEP_1) | instskip(SKIP_1) | instid1(VALU_DEP_1)
	v_mad_u64_u32 v[5:6], null, v3, s2, v[21:22]
	v_mad_u64_u32 v[6:7], null, v3, s3, v[10:11]
	v_dual_mov_b32 v21, v5 :: v_dual_mov_b32 v10, v6
.LBB225_1264:
	v_cmp_ne_u32_e32 vcc_lo, 1, v1
	s_cbranch_vccnz .LBB225_1270
; %bb.1265:
	v_mov_b32_e32 v20, 0
	v_mov_b32_e32 v14, 0
	s_cmp_lg_u32 s24, 0
	s_mov_b32 s6, 0
	s_cbranch_scc0 .LBB225_1274
; %bb.1266:
	s_min_u32 s7, s25, 15
	v_mov_b32_e32 v20, 0
	s_add_i32 s7, s7, 1
	s_cmp_eq_u32 s25, 2
	s_mov_b32 s10, 0
	s_cbranch_scc1 .LBB225_1271
; %bb.1267:
	v_dual_mov_b32 v14, 0 :: v_dual_mov_b32 v1, v2
	v_mov_b32_e32 v20, 0
	s_add_u32 s2, s16, 0xc4
	s_addc_u32 s3, s17, 0
	s_and_b32 s10, s7, 28
	s_mov_b32 s11, 0
	s_mov_b64 s[4:5], s[16:17]
.LBB225_1268:                           ; =>This Inner Loop Header: Depth=1
	s_clause 0x1
	s_load_b256 s[36:43], s[4:5], 0x4
	s_load_b128 s[12:15], s[4:5], 0x24
	s_load_b256 s[44:51], s[2:3], 0x0
	s_add_u32 s4, s4, 48
	s_addc_u32 s5, s5, 0
	s_add_i32 s11, s11, 4
	s_add_u32 s2, s2, 32
	s_addc_u32 s3, s3, 0
	s_cmp_lg_u32 s10, s11
	s_waitcnt lgkmcnt(0)
	v_mul_hi_u32 v3, s37, v1
	s_delay_alu instid0(VALU_DEP_1) | instskip(NEXT) | instid1(VALU_DEP_1)
	v_add_nc_u32_e32 v3, v1, v3
	v_lshrrev_b32_e32 v3, s38, v3
	s_delay_alu instid0(VALU_DEP_1) | instskip(SKIP_1) | instid1(VALU_DEP_2)
	v_mul_hi_u32 v5, s40, v3
	v_mul_lo_u32 v7, v3, s36
	v_add_nc_u32_e32 v5, v3, v5
	s_delay_alu instid0(VALU_DEP_2) | instskip(NEXT) | instid1(VALU_DEP_2)
	v_sub_nc_u32_e32 v1, v1, v7
	v_lshrrev_b32_e32 v5, s41, v5
	s_delay_alu instid0(VALU_DEP_2) | instskip(SKIP_1) | instid1(VALU_DEP_3)
	v_mul_lo_u32 v7, v1, s44
	v_mul_lo_u32 v9, v1, s45
	v_mul_hi_u32 v6, s43, v5
	s_delay_alu instid0(VALU_DEP_1) | instskip(NEXT) | instid1(VALU_DEP_1)
	v_add_nc_u32_e32 v6, v5, v6
	v_lshrrev_b32_e32 v6, s12, v6
	s_delay_alu instid0(VALU_DEP_1) | instskip(SKIP_1) | instid1(VALU_DEP_2)
	v_mul_hi_u32 v8, s14, v6
	v_mul_lo_u32 v11, v6, s42
	v_add_nc_u32_e32 v1, v6, v8
	v_mul_lo_u32 v8, v5, s39
	s_delay_alu instid0(VALU_DEP_3) | instskip(NEXT) | instid1(VALU_DEP_3)
	v_sub_nc_u32_e32 v5, v5, v11
	v_lshrrev_b32_e32 v1, s15, v1
	s_delay_alu instid0(VALU_DEP_2) | instskip(SKIP_2) | instid1(VALU_DEP_4)
	v_mul_lo_u32 v11, v5, s48
	v_mul_lo_u32 v5, v5, s49
	v_sub_nc_u32_e32 v3, v3, v8
	v_mul_lo_u32 v12, v1, s13
	s_delay_alu instid0(VALU_DEP_2) | instskip(SKIP_1) | instid1(VALU_DEP_3)
	v_mul_lo_u32 v8, v3, s46
	v_mul_lo_u32 v3, v3, s47
	v_sub_nc_u32_e32 v6, v6, v12
	s_delay_alu instid0(VALU_DEP_3) | instskip(NEXT) | instid1(VALU_DEP_2)
	v_add3_u32 v7, v7, v20, v8
	v_mul_lo_u32 v12, v6, s50
	v_mul_lo_u32 v6, v6, s51
	v_add3_u32 v3, v9, v14, v3
	s_delay_alu instid0(VALU_DEP_3) | instskip(NEXT) | instid1(VALU_DEP_2)
	v_add3_u32 v20, v11, v7, v12
	v_add3_u32 v14, v5, v3, v6
	s_cbranch_scc1 .LBB225_1268
; %bb.1269:
	s_and_b32 s7, s7, 3
	s_delay_alu instid0(SALU_CYCLE_1)
	s_cmp_eq_u32 s7, 0
	s_cbranch_scc0 .LBB225_1272
	s_branch .LBB225_1274
.LBB225_1270:
	s_mov_b32 s6, -1
                                        ; implicit-def: $vgpr20
                                        ; implicit-def: $vgpr14
	s_branch .LBB225_1274
.LBB225_1271:
	v_dual_mov_b32 v1, v2 :: v_dual_mov_b32 v14, 0
	s_and_b32 s7, s7, 3
	s_delay_alu instid0(SALU_CYCLE_1)
	s_cmp_eq_u32 s7, 0
	s_cbranch_scc1 .LBB225_1274
.LBB225_1272:
	s_lshl_b32 s2, s10, 3
	s_mul_i32 s4, s10, 12
	s_add_u32 s2, s2, s16
	s_addc_u32 s3, 0, s17
	s_add_u32 s2, s2, 0xc4
	s_addc_u32 s3, s3, 0
	;; [unrolled: 2-line block ×3, first 2 shown]
	.p2align	6
.LBB225_1273:                           ; =>This Inner Loop Header: Depth=1
	s_clause 0x1
	s_load_b64 s[10:11], s[4:5], 0x4
	s_load_b32 s14, s[4:5], 0xc
	s_load_b64 s[12:13], s[2:3], 0x0
	s_add_u32 s4, s4, 12
	s_addc_u32 s5, s5, 0
	s_add_u32 s2, s2, 8
	s_addc_u32 s3, s3, 0
	s_add_i32 s7, s7, -1
	s_delay_alu instid0(SALU_CYCLE_1) | instskip(SKIP_2) | instid1(VALU_DEP_1)
	s_cmp_lg_u32 s7, 0
	s_waitcnt lgkmcnt(0)
	v_mul_hi_u32 v3, s11, v1
	v_add_nc_u32_e32 v3, v1, v3
	s_delay_alu instid0(VALU_DEP_1) | instskip(NEXT) | instid1(VALU_DEP_1)
	v_lshrrev_b32_e32 v3, s14, v3
	v_mul_lo_u32 v5, v3, s10
	s_delay_alu instid0(VALU_DEP_1) | instskip(NEXT) | instid1(VALU_DEP_1)
	v_sub_nc_u32_e32 v1, v1, v5
	v_mad_u64_u32 v[5:6], null, v1, s12, v[20:21]
	v_mad_u64_u32 v[6:7], null, v1, s13, v[14:15]
	s_delay_alu instid0(VALU_DEP_2) | instskip(NEXT) | instid1(VALU_DEP_2)
	v_dual_mov_b32 v1, v3 :: v_dual_mov_b32 v20, v5
	v_mov_b32_e32 v14, v6
	s_cbranch_scc1 .LBB225_1273
.LBB225_1274:
	s_and_not1_b32 vcc_lo, exec_lo, s6
	s_cbranch_vccnz .LBB225_1277
; %bb.1275:
	s_clause 0x1
	s_load_b128 s[4:7], s[16:17], 0x4
	s_load_b64 s[2:3], s[16:17], 0xc4
	s_cmp_lt_u32 s24, 2
	s_waitcnt lgkmcnt(0)
	v_mul_hi_u32 v1, s5, v2
	s_delay_alu instid0(VALU_DEP_1) | instskip(NEXT) | instid1(VALU_DEP_1)
	v_add_nc_u32_e32 v1, v2, v1
	v_lshrrev_b32_e32 v1, s6, v1
	s_delay_alu instid0(VALU_DEP_1) | instskip(NEXT) | instid1(VALU_DEP_1)
	v_mul_lo_u32 v3, v1, s4
	v_sub_nc_u32_e32 v2, v2, v3
	s_delay_alu instid0(VALU_DEP_1)
	v_mul_lo_u32 v20, v2, s2
	v_mul_lo_u32 v14, v2, s3
	s_cbranch_scc1 .LBB225_1277
; %bb.1276:
	s_clause 0x1
	s_load_b128 s[4:7], s[16:17], 0x10
	s_load_b64 s[2:3], s[16:17], 0xcc
	s_waitcnt lgkmcnt(0)
	v_mul_hi_u32 v2, s5, v1
	s_delay_alu instid0(VALU_DEP_1) | instskip(NEXT) | instid1(VALU_DEP_1)
	v_add_nc_u32_e32 v2, v1, v2
	v_lshrrev_b32_e32 v2, s6, v2
	s_delay_alu instid0(VALU_DEP_1) | instskip(NEXT) | instid1(VALU_DEP_1)
	v_mul_lo_u32 v2, v2, s4
	v_sub_nc_u32_e32 v5, v1, v2
	s_delay_alu instid0(VALU_DEP_1) | instskip(SKIP_1) | instid1(VALU_DEP_2)
	v_mad_u64_u32 v[1:2], null, v5, s2, v[20:21]
	v_mad_u64_u32 v[2:3], null, v5, s3, v[14:15]
	v_mov_b32_e32 v20, v1
	s_delay_alu instid0(VALU_DEP_2)
	v_mov_b32_e32 v14, v2
.LBB225_1277:
	s_clause 0x1
	s_load_b32 s11, s[0:1], 0x160
	s_load_b128 s[4:7], s[16:17], 0x148
	s_mov_b32 s2, 0
	s_waitcnt lgkmcnt(0)
	s_lshr_b32 s0, s11, 16
	s_delay_alu instid0(SALU_CYCLE_1) | instskip(SKIP_1) | instid1(VALU_DEP_1)
	v_and_b32_e64 v18, 0xff, s0
	v_add_co_u32 v5, s0, s6, v0
	v_add_co_ci_u32_e64 v6, null, s7, 0, s0
	s_delay_alu instid0(VALU_DEP_3)
	v_cmp_gt_i16_e32 vcc_lo, 11, v18
	s_cbranch_vccnz .LBB225_1284
; %bb.1278:
	v_cmp_lt_i16_e32 vcc_lo, 25, v18
	s_mov_b32 s12, 0
	s_cbranch_vccz .LBB225_1290
; %bb.1279:
	v_cmp_lt_i16_e32 vcc_lo, 28, v18
	s_cbranch_vccz .LBB225_1293
; %bb.1280:
	v_cmp_lt_i16_e32 vcc_lo, 43, v18
	;; [unrolled: 3-line block ×3, first 2 shown]
	s_cbranch_vccz .LBB225_1299
; %bb.1282:
	v_cmp_eq_u16_e32 vcc_lo, 46, v18
	s_mov_b32 s0, 0
	s_cbranch_vccz .LBB225_1342
; %bb.1283:
	global_load_b32 v0, v[5:6], off
	s_mov_b32 s10, 0
	s_mov_b32 s2, -1
	s_waitcnt vmcnt(0)
	v_lshlrev_b32_e32 v1, 16, v0
	v_and_b32_e32 v2, 0xffff0000, v0
	s_delay_alu instid0(VALU_DEP_2) | instskip(NEXT) | instid1(VALU_DEP_2)
	v_cvt_f64_f32_e32 v[0:1], v1
	v_cvt_f64_f32_e32 v[2:3], v2
	s_branch .LBB225_1344
.LBB225_1284:
	s_mov_b32 s10, s8
                                        ; implicit-def: $vgpr2_vgpr3
	s_cbranch_execz .LBB225_1410
; %bb.1285:
	v_cmp_gt_i16_e32 vcc_lo, 5, v18
	s_cbranch_vccnz .LBB225_1291
; %bb.1286:
	v_cmp_gt_i16_e32 vcc_lo, 8, v18
	s_cbranch_vccnz .LBB225_1294
	;; [unrolled: 3-line block ×3, first 2 shown]
; %bb.1288:
	v_cmp_lt_i16_e32 vcc_lo, 9, v18
	s_cbranch_vccz .LBB225_1300
; %bb.1289:
	global_load_b128 v[0:3], v[5:6], off
	s_mov_b32 s0, 0
	s_branch .LBB225_1301
.LBB225_1290:
	s_mov_b32 s10, 0
                                        ; implicit-def: $vgpr2_vgpr3
	s_cbranch_execnz .LBB225_1376
	s_branch .LBB225_1406
.LBB225_1291:
                                        ; implicit-def: $vgpr2_vgpr3
	s_branch .LBB225_1319
.LBB225_1292:
	s_branch .LBB225_1411
.LBB225_1293:
	s_mov_b32 s10, 0
                                        ; implicit-def: $vgpr2_vgpr3
	s_cbranch_execnz .LBB225_1356
	s_branch .LBB225_1375
.LBB225_1294:
                                        ; implicit-def: $vgpr2_vgpr3
	s_branch .LBB225_1307
.LBB225_1295:
	s_mov_b32 s0, -1
	s_mov_b32 s10, 0
                                        ; implicit-def: $vgpr2_vgpr3
	s_branch .LBB225_1350
.LBB225_1296:
	s_mov_b32 s0, -1
                                        ; implicit-def: $vgpr2_vgpr3
	s_branch .LBB225_1304
.LBB225_1297:
	s_cbranch_execnz .LBB225_1340
; %bb.1298:
	s_or_b32 s6, s6, exec_lo
	s_and_not1_b32 s2, s2, exec_lo
	s_or_b32 exec_lo, exec_lo, s4
	s_and_saveexec_b32 s4, s2
	s_delay_alu instid0(SALU_CYCLE_1)
	s_xor_b32 s4, exec_lo, s4
	s_cbranch_execnz .LBB225_1184
	s_branch .LBB225_1185
.LBB225_1299:
	s_mov_b32 s0, -1
	s_mov_b32 s10, 0
	s_branch .LBB225_1343
.LBB225_1300:
	s_mov_b32 s0, -1
                                        ; implicit-def: $vgpr2_vgpr3
.LBB225_1301:
	s_delay_alu instid0(SALU_CYCLE_1)
	s_and_not1_b32 vcc_lo, exec_lo, s0
	s_cbranch_vccnz .LBB225_1303
; %bb.1302:
	global_load_b64 v[1:2], v[5:6], off
	s_waitcnt vmcnt(0)
	v_cvt_f64_f32_e32 v[0:1], v1
	v_cvt_f64_f32_e32 v[2:3], v2
.LBB225_1303:
	s_mov_b32 s0, 0
.LBB225_1304:
	s_delay_alu instid0(SALU_CYCLE_1)
	s_and_not1_b32 vcc_lo, exec_lo, s0
	s_cbranch_vccnz .LBB225_1306
; %bb.1305:
	global_load_b32 v0, v[5:6], off
	s_waitcnt vmcnt(0)
	v_lshrrev_b32_e32 v1, 16, v0
	v_cvt_f32_f16_e32 v0, v0
	s_delay_alu instid0(VALU_DEP_2) | instskip(NEXT) | instid1(VALU_DEP_2)
	v_cvt_f32_f16_e32 v2, v1
	v_cvt_f64_f32_e32 v[0:1], v0
	s_delay_alu instid0(VALU_DEP_2)
	v_cvt_f64_f32_e32 v[2:3], v2
.LBB225_1306:
	s_cbranch_execnz .LBB225_1318
.LBB225_1307:
	v_cmp_gt_i16_e32 vcc_lo, 6, v18
	s_cbranch_vccnz .LBB225_1310
; %bb.1308:
	v_cmp_lt_i16_e32 vcc_lo, 6, v18
	s_cbranch_vccz .LBB225_1311
; %bb.1309:
	global_load_b64 v[0:1], v[5:6], off
	s_mov_b32 s2, 0
	s_mov_b64 s[0:1], 0
	s_branch .LBB225_1312
.LBB225_1310:
	s_mov_b32 s2, -1
                                        ; implicit-def: $sgpr0_sgpr1
                                        ; implicit-def: $vgpr0_vgpr1
	s_branch .LBB225_1315
.LBB225_1311:
	s_mov_b32 s2, -1
                                        ; implicit-def: $sgpr0_sgpr1
                                        ; implicit-def: $vgpr0_vgpr1
.LBB225_1312:
	s_delay_alu instid0(SALU_CYCLE_1)
	s_and_not1_b32 vcc_lo, exec_lo, s2
	s_cbranch_vccnz .LBB225_1314
; %bb.1313:
	global_load_b32 v0, v[5:6], off
	s_mov_b64 s[0:1], 0
	s_waitcnt vmcnt(0)
	v_cvt_f64_f32_e32 v[0:1], v0
.LBB225_1314:
	s_mov_b32 s2, 0
.LBB225_1315:
	s_delay_alu instid0(SALU_CYCLE_1)
	s_and_not1_b32 vcc_lo, exec_lo, s2
	s_cbranch_vccnz .LBB225_1317
; %bb.1316:
	global_load_u16 v0, v[5:6], off
	s_mov_b64 s[0:1], 0
	s_waitcnt vmcnt(0)
	v_cvt_f32_f16_e32 v0, v0
	s_delay_alu instid0(VALU_DEP_1)
	v_cvt_f64_f32_e32 v[0:1], v0
.LBB225_1317:
	s_waitcnt vmcnt(0)
	v_dual_mov_b32 v3, s1 :: v_dual_mov_b32 v2, s0
.LBB225_1318:
	s_cbranch_execnz .LBB225_1292
.LBB225_1319:
	v_cmp_gt_i16_e32 vcc_lo, 2, v18
	s_cbranch_vccnz .LBB225_1323
; %bb.1320:
	v_cmp_gt_i16_e32 vcc_lo, 3, v18
	s_cbranch_vccnz .LBB225_1324
; %bb.1321:
	v_cmp_lt_i16_e32 vcc_lo, 3, v18
	s_cbranch_vccz .LBB225_1325
; %bb.1322:
	global_load_b64 v[0:1], v[5:6], off
	s_mov_b32 s2, 0
	s_mov_b64 s[0:1], 0
	s_waitcnt vmcnt(0)
	v_cvt_f64_i32_e32 v[1:2], v1
	v_cvt_f64_u32_e32 v[7:8], v0
	s_delay_alu instid0(VALU_DEP_2) | instskip(NEXT) | instid1(VALU_DEP_1)
	v_ldexp_f64 v[1:2], v[1:2], 32
	v_add_f64 v[0:1], v[1:2], v[7:8]
	s_branch .LBB225_1326
.LBB225_1323:
                                        ; implicit-def: $sgpr0_sgpr1
                                        ; implicit-def: $vgpr0_vgpr1
	s_branch .LBB225_1332
.LBB225_1324:
	s_mov_b32 s2, -1
                                        ; implicit-def: $sgpr0_sgpr1
                                        ; implicit-def: $vgpr0_vgpr1
	s_branch .LBB225_1329
.LBB225_1325:
	s_mov_b32 s2, -1
                                        ; implicit-def: $sgpr0_sgpr1
                                        ; implicit-def: $vgpr0_vgpr1
.LBB225_1326:
	s_delay_alu instid0(SALU_CYCLE_1)
	s_and_not1_b32 vcc_lo, exec_lo, s2
	s_cbranch_vccnz .LBB225_1328
; %bb.1327:
	global_load_b32 v0, v[5:6], off
	s_mov_b64 s[0:1], 0
	s_waitcnt vmcnt(0)
	v_cvt_f64_i32_e32 v[0:1], v0
.LBB225_1328:
	s_mov_b32 s2, 0
.LBB225_1329:
	s_delay_alu instid0(SALU_CYCLE_1)
	s_and_not1_b32 vcc_lo, exec_lo, s2
	s_cbranch_vccnz .LBB225_1331
; %bb.1330:
	global_load_i16 v0, v[5:6], off
	s_mov_b64 s[0:1], 0
	s_waitcnt vmcnt(0)
	v_cvt_f64_i32_e32 v[0:1], v0
.LBB225_1331:
	s_cbranch_execnz .LBB225_1337
.LBB225_1332:
	v_cmp_lt_i16_e32 vcc_lo, 0, v18
	s_mov_b32 s2, 0
	s_cbranch_vccz .LBB225_1334
; %bb.1333:
	global_load_i8 v0, v[5:6], off
	s_mov_b64 s[0:1], 0
	s_waitcnt vmcnt(0)
	v_cvt_f64_i32_e32 v[0:1], v0
	s_branch .LBB225_1335
.LBB225_1334:
	s_mov_b32 s2, -1
                                        ; implicit-def: $sgpr0_sgpr1
                                        ; implicit-def: $vgpr0_vgpr1
.LBB225_1335:
	s_delay_alu instid0(SALU_CYCLE_1)
	s_and_not1_b32 vcc_lo, exec_lo, s2
	s_cbranch_vccnz .LBB225_1337
; %bb.1336:
	global_load_u8 v0, v[5:6], off
	s_mov_b64 s[0:1], 0
	s_waitcnt vmcnt(0)
	v_cvt_f64_u32_e32 v[0:1], v0
.LBB225_1337:
	s_waitcnt vmcnt(0)
	v_dual_mov_b32 v3, s1 :: v_dual_mov_b32 v2, s0
	s_branch .LBB225_1411
.LBB225_1338:
	s_trap 2
	s_sendmsg_rtn_b32 s0, sendmsg(MSG_RTN_GET_DOORBELL)
	s_mov_b32 ttmp2, m0
	s_waitcnt lgkmcnt(0)
	s_and_b32 s0, s0, 0x3ff
	s_delay_alu instid0(SALU_CYCLE_1) | instskip(NEXT) | instid1(SALU_CYCLE_1)
	s_bitset1_b32 s0, 10
	s_mov_b32 m0, s0
	s_sendmsg sendmsg(MSG_INTERRUPT)
	s_mov_b32 m0, ttmp2
.LBB225_1339:                           ; =>This Inner Loop Header: Depth=1
	s_sethalt 5
	s_branch .LBB225_1339
.LBB225_1340:
	s_trap 2
	s_sendmsg_rtn_b32 s0, sendmsg(MSG_RTN_GET_DOORBELL)
	s_mov_b32 ttmp2, m0
	s_waitcnt lgkmcnt(0)
	s_and_b32 s0, s0, 0x3ff
	s_delay_alu instid0(SALU_CYCLE_1) | instskip(NEXT) | instid1(SALU_CYCLE_1)
	s_bitset1_b32 s0, 10
	s_mov_b32 m0, s0
	s_sendmsg sendmsg(MSG_INTERRUPT)
	s_mov_b32 m0, ttmp2
.LBB225_1341:                           ; =>This Inner Loop Header: Depth=1
	s_sethalt 5
	s_branch .LBB225_1341
.LBB225_1342:
	s_mov_b32 s10, -1
.LBB225_1343:
                                        ; implicit-def: $vgpr2_vgpr3
.LBB225_1344:
	s_and_b32 vcc_lo, exec_lo, s0
	s_cbranch_vccz .LBB225_1349
; %bb.1345:
	v_cmp_eq_u16_e32 vcc_lo, 44, v18
	s_cbranch_vccz .LBB225_1347
; %bb.1346:
	global_load_u8 v2, v[5:6], off
	s_mov_b32 s10, 0
	s_mov_b32 s2, -1
	s_mov_b64 s[0:1], 0
	s_waitcnt vmcnt(0)
	v_cmp_ne_u32_e32 vcc_lo, 0xff, v2
	v_lshlrev_b32_e32 v0, 23, v2
	s_delay_alu instid0(VALU_DEP_1) | instskip(NEXT) | instid1(VALU_DEP_1)
	v_cvt_f64_f32_e32 v[0:1], v0
	v_cndmask_b32_e32 v1, 0x7ff80000, v1, vcc_lo
	s_delay_alu instid0(VALU_DEP_2) | instskip(SKIP_1) | instid1(VALU_DEP_3)
	v_cndmask_b32_e32 v0, 0x20000000, v0, vcc_lo
	v_cmp_ne_u32_e32 vcc_lo, 0, v2
	v_cndmask_b32_e32 v1, 0x38000000, v1, vcc_lo
	s_delay_alu instid0(VALU_DEP_3)
	v_cndmask_b32_e32 v0, 0, v0, vcc_lo
	s_branch .LBB225_1348
.LBB225_1347:
	s_mov_b32 s10, -1
                                        ; implicit-def: $sgpr0_sgpr1
                                        ; implicit-def: $vgpr0_vgpr1
.LBB225_1348:
	v_dual_mov_b32 v3, s1 :: v_dual_mov_b32 v2, s0
.LBB225_1349:
	s_mov_b32 s0, 0
.LBB225_1350:
	s_delay_alu instid0(SALU_CYCLE_1)
	s_and_b32 vcc_lo, exec_lo, s0
	s_cbranch_vccz .LBB225_1355
; %bb.1351:
	v_cmp_eq_u16_e32 vcc_lo, 29, v18
	s_cbranch_vccz .LBB225_1353
; %bb.1352:
	global_load_b64 v[0:1], v[5:6], off
	s_mov_b32 s10, 0
	s_mov_b32 s2, -1
	s_mov_b64 s[0:1], 0
	s_waitcnt vmcnt(0)
	v_cvt_f64_u32_e32 v[1:2], v1
	v_cvt_f64_u32_e32 v[7:8], v0
	s_delay_alu instid0(VALU_DEP_2) | instskip(NEXT) | instid1(VALU_DEP_1)
	v_ldexp_f64 v[1:2], v[1:2], 32
	v_add_f64 v[0:1], v[1:2], v[7:8]
	s_branch .LBB225_1354
.LBB225_1353:
	s_mov_b32 s10, -1
                                        ; implicit-def: $sgpr0_sgpr1
                                        ; implicit-def: $vgpr0_vgpr1
.LBB225_1354:
	v_dual_mov_b32 v3, s1 :: v_dual_mov_b32 v2, s0
.LBB225_1355:
	s_branch .LBB225_1375
.LBB225_1356:
	v_cmp_gt_i16_e32 vcc_lo, 27, v18
	s_cbranch_vccnz .LBB225_1359
; %bb.1357:
	v_cmp_lt_i16_e32 vcc_lo, 27, v18
	s_cbranch_vccz .LBB225_1360
; %bb.1358:
	global_load_b32 v0, v[5:6], off
	s_mov_b32 s2, 0
	s_mov_b64 s[0:1], 0
	s_waitcnt vmcnt(0)
	v_cvt_f64_u32_e32 v[0:1], v0
	s_branch .LBB225_1361
.LBB225_1359:
	s_mov_b32 s2, -1
                                        ; implicit-def: $sgpr0_sgpr1
                                        ; implicit-def: $vgpr0_vgpr1
	s_branch .LBB225_1364
.LBB225_1360:
	s_mov_b32 s2, -1
                                        ; implicit-def: $sgpr0_sgpr1
                                        ; implicit-def: $vgpr0_vgpr1
.LBB225_1361:
	s_delay_alu instid0(SALU_CYCLE_1)
	s_and_not1_b32 vcc_lo, exec_lo, s2
	s_cbranch_vccnz .LBB225_1363
; %bb.1362:
	global_load_u16 v0, v[5:6], off
	s_mov_b64 s[0:1], 0
	s_waitcnt vmcnt(0)
	v_cvt_f64_u32_e32 v[0:1], v0
.LBB225_1363:
	s_mov_b32 s2, 0
.LBB225_1364:
	v_dual_mov_b32 v3, s1 :: v_dual_mov_b32 v2, s0
	s_and_not1_b32 vcc_lo, exec_lo, s2
	s_cbranch_vccnz .LBB225_1374
; %bb.1365:
	global_load_u8 v7, v[5:6], off
	s_mov_b32 s13, 0
	s_mov_b32 s14, exec_lo
                                        ; implicit-def: $sgpr0_sgpr1
                                        ; implicit-def: $sgpr2_sgpr3
	s_waitcnt vmcnt(0)
	v_cmpx_lt_i16_e32 0x7f, v7
	s_xor_b32 s14, exec_lo, s14
	s_cbranch_execz .LBB225_1369
; %bb.1366:
	s_mov_b32 s13, -1
	s_mov_b32 s15, exec_lo
                                        ; implicit-def: $sgpr0_sgpr1
                                        ; implicit-def: $sgpr2_sgpr3
	v_cmpx_eq_u16_e32 0x80, v7
; %bb.1367:
	s_mov_b64 s[0:1], 0
	s_mov_b32 s3, 0x7ff80000
	s_brev_b32 s2, 4
	s_xor_b32 s13, exec_lo, -1
; %bb.1368:
	s_or_b32 exec_lo, exec_lo, s15
	s_delay_alu instid0(SALU_CYCLE_1)
	s_and_b32 s13, s13, exec_lo
.LBB225_1369:
	s_or_saveexec_b32 s14, s14
	v_dual_mov_b32 v3, s1 :: v_dual_mov_b32 v2, s0
	v_dual_mov_b32 v0, s2 :: v_dual_mov_b32 v1, s3
	s_xor_b32 exec_lo, exec_lo, s14
; %bb.1370:
	v_mov_b32_e32 v2, 0
	v_mov_b32_e32 v3, 0
	v_cmp_ne_u16_e32 vcc_lo, 0, v7
	s_delay_alu instid0(VALU_DEP_3) | instskip(SKIP_1) | instid1(VALU_DEP_3)
	v_mov_b32_e32 v0, v2
	s_and_not1_b32 s0, s13, exec_lo
	v_mov_b32_e32 v1, v3
	s_and_b32 s1, vcc_lo, exec_lo
	s_delay_alu instid0(SALU_CYCLE_1)
	s_or_b32 s13, s0, s1
; %bb.1371:
	s_or_b32 exec_lo, exec_lo, s14
	s_and_saveexec_b32 s0, s13
	s_cbranch_execz .LBB225_1373
; %bb.1372:
	v_and_b32_e32 v0, 0xffff, v7
	v_lshlrev_b32_e32 v7, 24, v7
	s_delay_alu instid0(VALU_DEP_2) | instskip(NEXT) | instid1(VALU_DEP_1)
	v_and_b32_e32 v1, 7, v0
	v_clz_i32_u32_e32 v2, v1
	s_delay_alu instid0(VALU_DEP_1) | instskip(NEXT) | instid1(VALU_DEP_1)
	v_min_u32_e32 v2, 32, v2
	v_subrev_nc_u32_e32 v3, 28, v2
	v_sub_nc_u32_e32 v2, 29, v2
	s_delay_alu instid0(VALU_DEP_2) | instskip(SKIP_1) | instid1(VALU_DEP_2)
	v_lshlrev_b32_e32 v3, v3, v0
	v_bfe_u32 v0, v0, 3, 4
	v_and_b32_e32 v3, 7, v3
	s_delay_alu instid0(VALU_DEP_2) | instskip(NEXT) | instid1(VALU_DEP_2)
	v_cmp_eq_u32_e32 vcc_lo, 0, v0
	v_dual_cndmask_b32 v0, v0, v2 :: v_dual_cndmask_b32 v1, v1, v3
	v_and_b32_e32 v2, 0x80000000, v7
	s_delay_alu instid0(VALU_DEP_2) | instskip(NEXT) | instid1(VALU_DEP_3)
	v_lshl_add_u32 v0, v0, 23, 0x3b800000
	v_lshlrev_b32_e32 v1, 20, v1
	s_delay_alu instid0(VALU_DEP_1) | instskip(SKIP_2) | instid1(VALU_DEP_3)
	v_or3_b32 v0, v2, v0, v1
	v_mov_b32_e32 v2, 0
	v_mov_b32_e32 v3, 0
	v_cvt_f64_f32_e32 v[0:1], v0
.LBB225_1373:
	s_or_b32 exec_lo, exec_lo, s0
.LBB225_1374:
	s_mov_b32 s2, -1
.LBB225_1375:
	s_branch .LBB225_1406
.LBB225_1376:
	v_cmp_lt_i16_e32 vcc_lo, 22, v18
	s_cbranch_vccz .LBB225_1388
; %bb.1377:
	v_cmp_gt_i16_e32 vcc_lo, 24, v18
	s_cbranch_vccnz .LBB225_1389
; %bb.1378:
	v_cmp_lt_i16_e32 vcc_lo, 24, v18
	s_cbranch_vccz .LBB225_1390
; %bb.1379:
	global_load_u8 v7, v[5:6], off
	s_mov_b32 s13, exec_lo
                                        ; implicit-def: $sgpr0_sgpr1
                                        ; implicit-def: $sgpr2_sgpr3
	s_waitcnt vmcnt(0)
	v_cmpx_lt_i16_e32 0x7f, v7
	s_xor_b32 s13, exec_lo, s13
	s_cbranch_execz .LBB225_1383
; %bb.1380:
	s_mov_b32 s12, -1
	s_mov_b32 s14, exec_lo
                                        ; implicit-def: $sgpr0_sgpr1
                                        ; implicit-def: $sgpr2_sgpr3
	v_cmpx_eq_u16_e32 0x80, v7
; %bb.1381:
	s_mov_b64 s[0:1], 0
	s_mov_b32 s3, 0x7ff80000
	s_brev_b32 s2, 4
	s_xor_b32 s12, exec_lo, -1
; %bb.1382:
	s_or_b32 exec_lo, exec_lo, s14
	s_delay_alu instid0(SALU_CYCLE_1)
	s_and_b32 s12, s12, exec_lo
.LBB225_1383:
	s_or_saveexec_b32 s13, s13
	v_dual_mov_b32 v3, s1 :: v_dual_mov_b32 v2, s0
	v_dual_mov_b32 v0, s2 :: v_dual_mov_b32 v1, s3
	s_xor_b32 exec_lo, exec_lo, s13
; %bb.1384:
	v_mov_b32_e32 v2, 0
	v_mov_b32_e32 v3, 0
	v_cmp_ne_u16_e32 vcc_lo, 0, v7
	s_delay_alu instid0(VALU_DEP_3) | instskip(SKIP_1) | instid1(VALU_DEP_3)
	v_mov_b32_e32 v0, v2
	s_and_not1_b32 s0, s12, exec_lo
	v_mov_b32_e32 v1, v3
	s_and_b32 s1, vcc_lo, exec_lo
	s_delay_alu instid0(SALU_CYCLE_1)
	s_or_b32 s12, s0, s1
; %bb.1385:
	s_or_b32 exec_lo, exec_lo, s13
	s_and_saveexec_b32 s0, s12
	s_cbranch_execz .LBB225_1387
; %bb.1386:
	v_and_b32_e32 v0, 0xffff, v7
	v_lshlrev_b32_e32 v7, 24, v7
	s_delay_alu instid0(VALU_DEP_2) | instskip(NEXT) | instid1(VALU_DEP_1)
	v_and_b32_e32 v1, 3, v0
	v_clz_i32_u32_e32 v2, v1
	s_delay_alu instid0(VALU_DEP_1) | instskip(NEXT) | instid1(VALU_DEP_1)
	v_min_u32_e32 v2, 32, v2
	v_subrev_nc_u32_e32 v3, 29, v2
	v_sub_nc_u32_e32 v2, 30, v2
	s_delay_alu instid0(VALU_DEP_2) | instskip(SKIP_1) | instid1(VALU_DEP_2)
	v_lshlrev_b32_e32 v3, v3, v0
	v_bfe_u32 v0, v0, 2, 5
	v_and_b32_e32 v3, 3, v3
	s_delay_alu instid0(VALU_DEP_2) | instskip(NEXT) | instid1(VALU_DEP_2)
	v_cmp_eq_u32_e32 vcc_lo, 0, v0
	v_dual_cndmask_b32 v0, v0, v2 :: v_dual_cndmask_b32 v1, v1, v3
	v_and_b32_e32 v2, 0x80000000, v7
	s_delay_alu instid0(VALU_DEP_2) | instskip(NEXT) | instid1(VALU_DEP_3)
	v_lshl_add_u32 v0, v0, 23, 0x37800000
	v_lshlrev_b32_e32 v1, 21, v1
	s_delay_alu instid0(VALU_DEP_1) | instskip(SKIP_2) | instid1(VALU_DEP_3)
	v_or3_b32 v0, v2, v0, v1
	v_mov_b32_e32 v2, 0
	v_mov_b32_e32 v3, 0
	v_cvt_f64_f32_e32 v[0:1], v0
.LBB225_1387:
	s_or_b32 exec_lo, exec_lo, s0
	s_mov_b32 s0, 0
	s_branch .LBB225_1391
.LBB225_1388:
                                        ; implicit-def: $vgpr2_vgpr3
	s_mov_b32 s12, 0
	s_branch .LBB225_1397
.LBB225_1389:
	s_mov_b32 s0, -1
                                        ; implicit-def: $vgpr2_vgpr3
	s_branch .LBB225_1394
.LBB225_1390:
	s_mov_b32 s0, -1
                                        ; implicit-def: $vgpr2_vgpr3
.LBB225_1391:
	s_delay_alu instid0(SALU_CYCLE_1)
	s_and_b32 vcc_lo, exec_lo, s0
	s_cbranch_vccz .LBB225_1393
; %bb.1392:
	global_load_u8 v0, v[5:6], off
	s_waitcnt vmcnt(0)
	v_lshlrev_b32_e32 v0, 24, v0
	s_delay_alu instid0(VALU_DEP_1) | instskip(NEXT) | instid1(VALU_DEP_1)
	v_and_b32_e32 v1, 0x7f000000, v0
	v_clz_i32_u32_e32 v2, v1
	v_add_nc_u32_e32 v7, 0x1000000, v1
	v_cmp_ne_u32_e32 vcc_lo, 0, v1
	s_delay_alu instid0(VALU_DEP_3) | instskip(NEXT) | instid1(VALU_DEP_1)
	v_min_u32_e32 v2, 32, v2
	v_sub_nc_u32_e64 v2, v2, 4 clamp
	s_delay_alu instid0(VALU_DEP_1) | instskip(SKIP_1) | instid1(VALU_DEP_2)
	v_lshlrev_b32_e32 v3, v2, v1
	v_lshlrev_b32_e32 v2, 23, v2
	v_lshrrev_b32_e32 v3, 4, v3
	s_delay_alu instid0(VALU_DEP_1) | instskip(SKIP_1) | instid1(VALU_DEP_2)
	v_sub_nc_u32_e32 v2, v3, v2
	v_ashrrev_i32_e32 v3, 8, v7
	v_add_nc_u32_e32 v2, 0x3c000000, v2
	s_delay_alu instid0(VALU_DEP_1) | instskip(NEXT) | instid1(VALU_DEP_1)
	v_and_or_b32 v2, 0x7f800000, v3, v2
	v_dual_cndmask_b32 v1, 0, v2 :: v_dual_mov_b32 v2, 0
	v_mov_b32_e32 v3, 0
	s_delay_alu instid0(VALU_DEP_2) | instskip(NEXT) | instid1(VALU_DEP_1)
	v_and_or_b32 v0, 0x80000000, v0, v1
	v_cvt_f64_f32_e32 v[0:1], v0
.LBB225_1393:
	s_mov_b32 s0, 0
.LBB225_1394:
	s_delay_alu instid0(SALU_CYCLE_1)
	s_and_not1_b32 vcc_lo, exec_lo, s0
	s_cbranch_vccnz .LBB225_1396
; %bb.1395:
	global_load_u8 v0, v[5:6], off
	s_waitcnt vmcnt(0)
	v_lshlrev_b32_e32 v1, 25, v0
	v_lshlrev_b16 v0, 8, v0
	s_delay_alu instid0(VALU_DEP_2) | instskip(NEXT) | instid1(VALU_DEP_2)
	v_lshrrev_b32_e32 v2, 4, v1
	v_and_or_b32 v3, 0x7f00, v0, 0.5
	v_bfe_i32 v0, v0, 0, 16
	s_delay_alu instid0(VALU_DEP_3) | instskip(NEXT) | instid1(VALU_DEP_1)
	v_or_b32_e32 v2, 0x70000000, v2
	v_dual_add_f32 v3, -0.5, v3 :: v_dual_mul_f32 v2, 0x7800000, v2
	v_cmp_gt_u32_e32 vcc_lo, 0x8000000, v1
	s_delay_alu instid0(VALU_DEP_2) | instskip(SKIP_1) | instid1(VALU_DEP_2)
	v_dual_cndmask_b32 v1, v2, v3 :: v_dual_mov_b32 v2, 0
	v_mov_b32_e32 v3, 0
	v_and_or_b32 v0, 0x80000000, v0, v1
	s_delay_alu instid0(VALU_DEP_1)
	v_cvt_f64_f32_e32 v[0:1], v0
.LBB225_1396:
	s_mov_b32 s2, -1
	s_mov_b32 s12, 0
	s_cbranch_execnz .LBB225_1406
.LBB225_1397:
	v_cmp_lt_i16_e32 vcc_lo, 14, v18
	s_cbranch_vccz .LBB225_1400
; %bb.1398:
	v_cmp_eq_u16_e32 vcc_lo, 15, v18
	s_cbranch_vccz .LBB225_1401
; %bb.1399:
	global_load_u16 v0, v[5:6], off
	s_mov_b32 s10, 0
	s_mov_b32 s2, -1
	s_mov_b64 s[0:1], 0
	s_waitcnt vmcnt(0)
	v_lshlrev_b32_e32 v0, 16, v0
	s_delay_alu instid0(VALU_DEP_1)
	v_cvt_f64_f32_e32 v[0:1], v0
	s_branch .LBB225_1402
.LBB225_1400:
	s_mov_b32 s3, -1
                                        ; implicit-def: $sgpr0_sgpr1
                                        ; implicit-def: $vgpr0_vgpr1
	s_branch .LBB225_1403
.LBB225_1401:
	s_mov_b32 s10, -1
                                        ; implicit-def: $sgpr0_sgpr1
                                        ; implicit-def: $vgpr0_vgpr1
.LBB225_1402:
	s_mov_b32 s3, 0
.LBB225_1403:
	s_delay_alu instid0(SALU_CYCLE_1)
	s_and_b32 vcc_lo, exec_lo, s3
	s_cbranch_vccz .LBB225_1405
; %bb.1404:
	v_cmp_ne_u16_e64 s10, 11, v18
	s_mov_b32 s12, -1
                                        ; implicit-def: $sgpr0_sgpr1
                                        ; implicit-def: $vgpr0_vgpr1
.LBB225_1405:
	v_dual_mov_b32 v3, s1 :: v_dual_mov_b32 v2, s0
.LBB225_1406:
	s_delay_alu instid0(VALU_DEP_2)
	s_and_b32 vcc_lo, exec_lo, s10
	s_mov_b32 s10, s8
	s_cbranch_vccnz .LBB225_1463
; %bb.1407:
	s_and_not1_b32 vcc_lo, exec_lo, s12
	s_cbranch_vccnz .LBB225_1409
.LBB225_1408:
	global_load_u8 v0, v[5:6], off
	v_mov_b32_e32 v2, 0
	v_mov_b32_e32 v3, 0
	s_mov_b32 s2, -1
	s_waitcnt vmcnt(0)
	v_cmp_ne_u16_e32 vcc_lo, 0, v0
	v_mov_b32_e32 v0, 0
	v_cndmask_b32_e64 v1, 0, 0x3ff00000, vcc_lo
.LBB225_1409:
.LBB225_1410:
	s_and_not1_b32 vcc_lo, exec_lo, s2
	s_cbranch_vccnz .LBB225_1940
.LBB225_1411:
	s_waitcnt vmcnt(0)
	s_delay_alu instid0(VALU_DEP_1) | instskip(NEXT) | instid1(VALU_DEP_2)
	v_cmp_neq_f64_e32 vcc_lo, 0, v[0:1]
	v_cmp_neq_f64_e64 s0, 0, v[2:3]
	v_mov_b32_e32 v8, 0
	v_mov_b32_e32 v9, 0
	s_delay_alu instid0(VALU_DEP_3) | instskip(NEXT) | instid1(SALU_CYCLE_1)
	s_or_b32 s0, vcc_lo, s0
	s_and_saveexec_b32 s2, s0
	s_cbranch_execz .LBB225_1443
; %bb.1412:
	s_mov_b32 s0, 0
	s_mov_b32 s1, 0x7ff00000
	v_mov_b32_e32 v8, s0
	v_mov_b32_e32 v9, s1
	s_mov_b32 s3, exec_lo
	v_cmpx_neq_f64_e64 0x7ff00000, |v[2:3]|
	s_cbranch_execz .LBB225_1442
; %bb.1413:
	s_mov_b32 s0, exec_lo
	v_cmpx_o_f64_e32 v[0:1], v[0:1]
	s_xor_b32 s12, exec_lo, s0
	s_cbranch_execz .LBB225_1439
; %bb.1414:
	s_mov_b32 s1, exec_lo
	v_cmpx_neq_f64_e64 0x7ff00000, |v[0:1]|
	s_xor_b32 s13, exec_lo, s1
	s_cbranch_execz .LBB225_1432
; %bb.1415:
	v_max_f64 v[5:6], |v[2:3]|, |v[2:3]|
	v_max_f64 v[7:8], |v[0:1]|, |v[0:1]|
	s_mov_b32 s0, 0x99fcef32
	s_mov_b32 s1, 0x7fda8279
                                        ; implicit-def: $sgpr14
	s_delay_alu instid0(VALU_DEP_1) | instskip(NEXT) | instid1(VALU_DEP_1)
	v_max_f64 v[5:6], v[7:8], v[5:6]
	v_cmp_nle_f64_e64 s0, s[0:1], v[5:6]
	s_delay_alu instid0(VALU_DEP_1) | instskip(NEXT) | instid1(SALU_CYCLE_1)
	s_and_saveexec_b32 s1, s0
	s_xor_b32 s1, exec_lo, s1
	s_cbranch_execz .LBB225_1419
; %bb.1416:
	v_cmp_ge_f64_e64 s14, 0x200000, |v[0:1]|
	v_cmp_ge_f64_e64 s15, 0x200000, |v[2:3]|
	s_delay_alu instid0(VALU_DEP_1)
	s_and_b32 s16, s14, s15
	s_mov_b32 s14, 0
	s_and_saveexec_b32 s15, s16
; %bb.1417:
	v_mul_f64 v[0:1], v[0:1], 4.0
	v_mul_f64 v[2:3], v[2:3], 4.0
	s_mov_b32 s14, exec_lo
; %bb.1418:
	s_or_b32 exec_lo, exec_lo, s15
	s_delay_alu instid0(SALU_CYCLE_1)
	s_and_b32 s14, s14, exec_lo
.LBB225_1419:
	s_and_not1_saveexec_b32 s1, s1
; %bb.1420:
	s_delay_alu instid0(VALU_DEP_2) | instskip(NEXT) | instid1(VALU_DEP_2)
	v_ldexp_f64 v[0:1], v[0:1], -2
	v_ldexp_f64 v[2:3], v[2:3], -2
	s_and_not1_b32 s14, s14, exec_lo
; %bb.1421:
	s_or_b32 exec_lo, exec_lo, s1
	s_delay_alu instid0(VALU_DEP_1) | instskip(NEXT) | instid1(VALU_DEP_3)
	v_max_f64 v[5:6], |v[2:3]|, |v[2:3]|
	v_max_f64 v[7:8], |v[0:1]|, |v[0:1]|
	v_cmp_class_f64_e64 s15, v[0:1], 0x204
	v_cmp_class_f64_e64 s16, v[2:3], 0x204
	v_cmp_le_f64_e64 s1, 0, v[0:1]
	s_delay_alu instid0(VALU_DEP_4) | instskip(NEXT) | instid1(VALU_DEP_3)
	v_max_f64 v[5:6], v[7:8], v[5:6]
	s_or_b32 s15, s16, s15
	s_delay_alu instid0(VALU_DEP_1) | instskip(NEXT) | instid1(VALU_DEP_1)
	v_frexp_exp_i32_f64_e32 v9, v[5:6]
	v_sub_nc_u32_e32 v7, 0, v9
	s_delay_alu instid0(VALU_DEP_1) | instskip(SKIP_1) | instid1(VALU_DEP_2)
	v_ldexp_f64 v[5:6], |v[2:3]|, v7
	v_ldexp_f64 v[7:8], |v[0:1]|, v7
	v_mul_f64 v[5:6], v[5:6], v[5:6]
	s_delay_alu instid0(VALU_DEP_1) | instskip(NEXT) | instid1(VALU_DEP_1)
	v_fma_f64 v[5:6], v[7:8], v[7:8], v[5:6]
	v_rsq_f64_e32 v[7:8], v[5:6]
	v_cmp_eq_f64_e32 vcc_lo, 0, v[5:6]
	s_waitcnt_depctr 0xfff
	v_mul_f64 v[11:12], v[5:6], v[7:8]
	v_mul_f64 v[7:8], v[7:8], 0.5
	s_delay_alu instid0(VALU_DEP_1) | instskip(NEXT) | instid1(VALU_DEP_1)
	v_fma_f64 v[15:16], -v[7:8], v[11:12], 0.5
	v_fma_f64 v[11:12], v[11:12], v[15:16], v[11:12]
	v_fma_f64 v[7:8], v[7:8], v[15:16], v[7:8]
	s_delay_alu instid0(VALU_DEP_2) | instskip(NEXT) | instid1(VALU_DEP_1)
	v_fma_f64 v[15:16], -v[11:12], v[11:12], v[5:6]
	v_fma_f64 v[7:8], v[15:16], v[7:8], v[11:12]
	s_delay_alu instid0(VALU_DEP_1) | instskip(SKIP_1) | instid1(VALU_DEP_2)
	v_dual_cndmask_b32 v6, v8, v6 :: v_dual_cndmask_b32 v5, v7, v5
	v_cmp_o_f64_e32 vcc_lo, v[2:3], v[2:3]
	v_ldexp_f64 v[5:6], v[5:6], v9
	s_delay_alu instid0(VALU_DEP_1) | instskip(NEXT) | instid1(VALU_DEP_2)
	v_cndmask_b32_e32 v5, 0, v5, vcc_lo
	v_cndmask_b32_e32 v6, 0x7ff80000, v6, vcc_lo
	s_delay_alu instid0(VALU_DEP_2) | instskip(NEXT) | instid1(VALU_DEP_2)
	v_cndmask_b32_e64 v5, v5, 0, s15
	v_cndmask_b32_e64 v6, v6, 0x7ff00000, s15
	s_and_saveexec_b32 s15, s1
	s_delay_alu instid0(SALU_CYCLE_1)
	s_xor_b32 s1, exec_lo, s15
	s_cbranch_execz .LBB225_1427
; %bb.1422:
	s_delay_alu instid0(VALU_DEP_1) | instskip(NEXT) | instid1(VALU_DEP_1)
	v_add_f64 v[0:1], v[0:1], v[5:6]
	v_mul_f64 v[0:1], v[0:1], 0.5
	s_delay_alu instid0(VALU_DEP_1) | instskip(SKIP_1) | instid1(VALU_DEP_1)
	v_cmp_gt_f64_e32 vcc_lo, 0x10000000, v[0:1]
	v_cndmask_b32_e64 v5, 0, 1, vcc_lo
	v_lshlrev_b32_e32 v5, 8, v5
	s_delay_alu instid0(VALU_DEP_1) | instskip(NEXT) | instid1(VALU_DEP_1)
	v_ldexp_f64 v[0:1], v[0:1], v5
	v_rsq_f64_e32 v[5:6], v[0:1]
	s_waitcnt_depctr 0xfff
	v_mul_f64 v[7:8], v[0:1], v[5:6]
	v_mul_f64 v[5:6], v[5:6], 0.5
	s_delay_alu instid0(VALU_DEP_1) | instskip(NEXT) | instid1(VALU_DEP_1)
	v_fma_f64 v[11:12], -v[5:6], v[7:8], 0.5
	v_fma_f64 v[7:8], v[7:8], v[11:12], v[7:8]
	v_fma_f64 v[5:6], v[5:6], v[11:12], v[5:6]
	s_delay_alu instid0(VALU_DEP_2) | instskip(NEXT) | instid1(VALU_DEP_1)
	v_fma_f64 v[11:12], -v[7:8], v[7:8], v[0:1]
	v_fma_f64 v[7:8], v[11:12], v[5:6], v[7:8]
	s_delay_alu instid0(VALU_DEP_1) | instskip(NEXT) | instid1(VALU_DEP_1)
	v_fma_f64 v[11:12], -v[7:8], v[7:8], v[0:1]
	v_fma_f64 v[5:6], v[11:12], v[5:6], v[7:8]
	v_cndmask_b32_e64 v7, 0, 0xffffff80, vcc_lo
	v_cmp_class_f64_e64 vcc_lo, v[0:1], 0x260
	s_delay_alu instid0(VALU_DEP_2) | instskip(NEXT) | instid1(VALU_DEP_1)
	v_ldexp_f64 v[5:6], v[5:6], v7
	v_dual_cndmask_b32 v1, v6, v1 :: v_dual_cndmask_b32 v0, v5, v0
	s_delay_alu instid0(VALU_DEP_1) | instskip(NEXT) | instid1(VALU_DEP_1)
	v_add_f64 v[5:6], v[0:1], v[0:1]
	v_div_scale_f64 v[7:8], null, v[5:6], v[5:6], v[2:3]
	s_delay_alu instid0(VALU_DEP_1) | instskip(SKIP_2) | instid1(VALU_DEP_1)
	v_rcp_f64_e32 v[11:12], v[7:8]
	s_waitcnt_depctr 0xfff
	v_fma_f64 v[15:16], -v[7:8], v[11:12], 1.0
	v_fma_f64 v[11:12], v[11:12], v[15:16], v[11:12]
	s_delay_alu instid0(VALU_DEP_1) | instskip(NEXT) | instid1(VALU_DEP_1)
	v_fma_f64 v[15:16], -v[7:8], v[11:12], 1.0
	v_fma_f64 v[11:12], v[11:12], v[15:16], v[11:12]
	v_div_scale_f64 v[15:16], vcc_lo, v[2:3], v[5:6], v[2:3]
	s_delay_alu instid0(VALU_DEP_1) | instskip(NEXT) | instid1(VALU_DEP_1)
	v_mul_f64 v[24:25], v[15:16], v[11:12]
	v_fma_f64 v[7:8], -v[7:8], v[24:25], v[15:16]
	s_delay_alu instid0(VALU_DEP_1) | instskip(NEXT) | instid1(VALU_DEP_1)
	v_div_fmas_f64 v[7:8], v[7:8], v[11:12], v[24:25]
	v_div_fixup_f64 v[2:3], v[7:8], v[5:6], v[2:3]
                                        ; implicit-def: $vgpr5_vgpr6
	s_and_not1_saveexec_b32 s1, s1
	s_cbranch_execnz .LBB225_1428
.LBB225_1423:
	s_or_b32 exec_lo, exec_lo, s1
	s_and_saveexec_b32 s1, s0
	s_delay_alu instid0(SALU_CYCLE_1)
	s_xor_b32 s0, exec_lo, s1
	s_cbranch_execz .LBB225_1429
.LBB225_1424:
	s_and_saveexec_b32 s1, s14
; %bb.1425:
	s_delay_alu instid0(VALU_DEP_2) | instskip(NEXT) | instid1(VALU_DEP_2)
	v_mul_f64 v[0:1], v[0:1], 0.5
	v_mul_f64 v[2:3], v[2:3], 0.5
; %bb.1426:
	s_or_b32 exec_lo, exec_lo, s1
	s_and_not1_saveexec_b32 s0, s0
	s_cbranch_execnz .LBB225_1430
	s_branch .LBB225_1431
.LBB225_1427:
	s_and_not1_saveexec_b32 s1, s1
	s_cbranch_execz .LBB225_1423
.LBB225_1428:
	v_add_f64 v[0:1], v[5:6], -v[0:1]
	s_delay_alu instid0(VALU_DEP_1) | instskip(NEXT) | instid1(VALU_DEP_1)
	v_mul_f64 v[0:1], v[0:1], 0.5
	v_cmp_gt_f64_e32 vcc_lo, 0x10000000, v[0:1]
	v_cndmask_b32_e64 v5, 0, 1, vcc_lo
	s_delay_alu instid0(VALU_DEP_1) | instskip(NEXT) | instid1(VALU_DEP_1)
	v_lshlrev_b32_e32 v5, 8, v5
	v_ldexp_f64 v[0:1], v[0:1], v5
	s_delay_alu instid0(VALU_DEP_1) | instskip(SKIP_3) | instid1(VALU_DEP_1)
	v_rsq_f64_e32 v[5:6], v[0:1]
	s_waitcnt_depctr 0xfff
	v_mul_f64 v[7:8], v[0:1], v[5:6]
	v_mul_f64 v[5:6], v[5:6], 0.5
	v_fma_f64 v[11:12], -v[5:6], v[7:8], 0.5
	s_delay_alu instid0(VALU_DEP_1) | instskip(SKIP_1) | instid1(VALU_DEP_2)
	v_fma_f64 v[7:8], v[7:8], v[11:12], v[7:8]
	v_fma_f64 v[5:6], v[5:6], v[11:12], v[5:6]
	v_fma_f64 v[11:12], -v[7:8], v[7:8], v[0:1]
	s_delay_alu instid0(VALU_DEP_1) | instskip(NEXT) | instid1(VALU_DEP_1)
	v_fma_f64 v[7:8], v[11:12], v[5:6], v[7:8]
	v_fma_f64 v[11:12], -v[7:8], v[7:8], v[0:1]
	s_delay_alu instid0(VALU_DEP_1) | instskip(SKIP_3) | instid1(VALU_DEP_3)
	v_fma_f64 v[5:6], v[11:12], v[5:6], v[7:8]
	v_cndmask_b32_e64 v7, 0, 0xffffff80, vcc_lo
	v_cmp_class_f64_e64 vcc_lo, v[0:1], 0x260
	v_and_b32_e32 v8, 0x7fffffff, v3
	v_ldexp_f64 v[5:6], v[5:6], v7
	v_mov_b32_e32 v7, v2
	s_delay_alu instid0(VALU_DEP_2) | instskip(NEXT) | instid1(VALU_DEP_1)
	v_dual_cndmask_b32 v6, v6, v1 :: v_dual_cndmask_b32 v5, v5, v0
	v_add_f64 v[0:1], v[5:6], v[5:6]
	v_bfi_b32 v6, 0x7fffffff, v6, v3
	s_delay_alu instid0(VALU_DEP_2) | instskip(SKIP_1) | instid1(VALU_DEP_2)
	v_div_scale_f64 v[11:12], null, v[0:1], v[0:1], v[7:8]
	v_div_scale_f64 v[7:8], vcc_lo, v[7:8], v[0:1], v[7:8]
	v_rcp_f64_e32 v[15:16], v[11:12]
	s_waitcnt_depctr 0xfff
	v_fma_f64 v[24:25], -v[11:12], v[15:16], 1.0
	s_delay_alu instid0(VALU_DEP_1) | instskip(NEXT) | instid1(VALU_DEP_1)
	v_fma_f64 v[15:16], v[15:16], v[24:25], v[15:16]
	v_fma_f64 v[24:25], -v[11:12], v[15:16], 1.0
	s_delay_alu instid0(VALU_DEP_1) | instskip(NEXT) | instid1(VALU_DEP_1)
	v_fma_f64 v[15:16], v[15:16], v[24:25], v[15:16]
	v_mul_f64 v[24:25], v[7:8], v[15:16]
	s_delay_alu instid0(VALU_DEP_1) | instskip(NEXT) | instid1(VALU_DEP_1)
	v_fma_f64 v[7:8], -v[11:12], v[24:25], v[7:8]
	v_div_fmas_f64 v[7:8], v[7:8], v[15:16], v[24:25]
	s_delay_alu instid0(VALU_DEP_1) | instskip(SKIP_3) | instid1(SALU_CYCLE_1)
	v_div_fixup_f64 v[0:1], v[7:8], v[0:1], |v[2:3]|
	v_dual_mov_b32 v2, v5 :: v_dual_mov_b32 v3, v6
	s_or_b32 exec_lo, exec_lo, s1
	s_and_saveexec_b32 s1, s0
	s_xor_b32 s0, exec_lo, s1
	s_cbranch_execnz .LBB225_1424
.LBB225_1429:
	s_and_not1_saveexec_b32 s0, s0
.LBB225_1430:
	s_delay_alu instid0(VALU_DEP_2) | instskip(NEXT) | instid1(VALU_DEP_2)
	v_add_f64 v[0:1], v[0:1], v[0:1]
	v_add_f64 v[2:3], v[2:3], v[2:3]
.LBB225_1431:
	s_or_b32 exec_lo, exec_lo, s0
.LBB225_1432:
	s_and_not1_saveexec_b32 s0, s13
	s_cbranch_execz .LBB225_1438
; %bb.1433:
	s_delay_alu instid0(VALU_DEP_1) | instskip(SKIP_1) | instid1(VALU_DEP_3)
	v_add_f64 v[5:6], v[2:3], -v[2:3]
	s_mov_b32 s1, exec_lo
	v_cmpx_lt_i64_e32 -1, v[0:1]
	s_xor_b32 s1, exec_lo, s1
; %bb.1434:
	s_delay_alu instid0(VALU_DEP_2) | instskip(NEXT) | instid1(VALU_DEP_1)
	v_bfi_b32 v6, 0x7fffffff, v6, v3
	v_dual_mov_b32 v2, v5 :: v_dual_mov_b32 v3, v6
                                        ; implicit-def: $vgpr5_vgpr6
; %bb.1435:
	s_and_not1_saveexec_b32 s1, s1
; %bb.1436:
	s_delay_alu instid0(VALU_DEP_1) | instskip(NEXT) | instid1(VALU_DEP_1)
	v_bfi_b32 v1, 0x7fffffff, v1, v3
	v_dual_mov_b32 v3, v1 :: v_dual_and_b32 v6, 0x7fffffff, v6
	v_mov_b32_e32 v2, v0
	s_delay_alu instid0(VALU_DEP_2)
	v_dual_mov_b32 v0, v5 :: v_dual_mov_b32 v1, v6
; %bb.1437:
	s_or_b32 exec_lo, exec_lo, s1
.LBB225_1438:
	s_delay_alu instid0(SALU_CYCLE_1)
	s_or_b32 exec_lo, exec_lo, s0
.LBB225_1439:
	s_and_not1_saveexec_b32 s0, s12
; %bb.1440:
	s_delay_alu instid0(VALU_DEP_1) | instskip(NEXT) | instid1(VALU_DEP_1)
	v_add_f64 v[2:3], v[2:3], -v[2:3]
	v_div_scale_f64 v[5:6], vcc_lo, v[2:3], v[2:3], v[2:3]
	s_delay_alu instid0(VALU_DEP_1) | instskip(SKIP_2) | instid1(VALU_DEP_1)
	v_rcp_f64_e32 v[7:8], v[5:6]
	s_waitcnt_depctr 0xfff
	v_fma_f64 v[11:12], -v[5:6], v[7:8], 1.0
	v_fma_f64 v[7:8], v[7:8], v[11:12], v[7:8]
	s_delay_alu instid0(VALU_DEP_1) | instskip(NEXT) | instid1(VALU_DEP_1)
	v_fma_f64 v[11:12], -v[5:6], v[7:8], 1.0
	v_fma_f64 v[7:8], v[7:8], v[11:12], v[7:8]
	s_delay_alu instid0(VALU_DEP_1) | instskip(NEXT) | instid1(VALU_DEP_1)
	v_mul_f64 v[11:12], v[5:6], v[7:8]
	v_fma_f64 v[5:6], -v[5:6], v[11:12], v[5:6]
	s_delay_alu instid0(VALU_DEP_1) | instskip(NEXT) | instid1(VALU_DEP_1)
	v_div_fmas_f64 v[5:6], v[5:6], v[7:8], v[11:12]
	v_div_fixup_f64 v[2:3], v[5:6], v[2:3], v[2:3]
; %bb.1441:
	s_or_b32 exec_lo, exec_lo, s0
	v_dual_mov_b32 v9, v1 :: v_dual_mov_b32 v8, v0
.LBB225_1442:
	s_or_b32 exec_lo, exec_lo, s3
.LBB225_1443:
	s_delay_alu instid0(SALU_CYCLE_1) | instskip(SKIP_2) | instid1(VALU_DEP_1)
	s_or_b32 exec_lo, exec_lo, s2
	v_cmp_gt_i16_e32 vcc_lo, 11, v18
	v_add_co_u32 v0, s0, s6, v4
	v_add_co_ci_u32_e64 v1, null, s7, 0, s0
	s_mov_b32 s2, 0
	s_cbranch_vccnz .LBB225_1450
; %bb.1444:
	v_cmp_lt_i16_e32 vcc_lo, 25, v18
	s_mov_b32 s13, 0
	s_cbranch_vccz .LBB225_1456
; %bb.1445:
	v_cmp_lt_i16_e32 vcc_lo, 28, v18
	s_cbranch_vccz .LBB225_1459
; %bb.1446:
	v_cmp_lt_i16_e32 vcc_lo, 43, v18
	;; [unrolled: 3-line block ×3, first 2 shown]
	s_cbranch_vccz .LBB225_1467
; %bb.1448:
	v_cmp_eq_u16_e32 vcc_lo, 46, v18
	s_mov_b32 s0, 0
	s_cbranch_vccz .LBB225_1512
; %bb.1449:
	global_load_b32 v4, v[0:1], off
	s_mov_b32 s12, 0
	s_mov_b32 s2, -1
	s_waitcnt vmcnt(0)
	v_lshlrev_b32_e32 v5, 16, v4
	v_and_b32_e32 v6, 0xffff0000, v4
	s_delay_alu instid0(VALU_DEP_2) | instskip(NEXT) | instid1(VALU_DEP_2)
	v_cvt_f64_f32_e32 v[4:5], v5
	v_cvt_f64_f32_e32 v[6:7], v6
	s_branch .LBB225_1514
.LBB225_1450:
                                        ; implicit-def: $vgpr6_vgpr7
	s_cbranch_execz .LBB225_1582
; %bb.1451:
	v_cmp_gt_i16_e32 vcc_lo, 5, v18
	s_cbranch_vccnz .LBB225_1457
; %bb.1452:
	v_cmp_gt_i16_e32 vcc_lo, 8, v18
	s_cbranch_vccnz .LBB225_1460
	;; [unrolled: 3-line block ×3, first 2 shown]
; %bb.1454:
	v_cmp_lt_i16_e32 vcc_lo, 9, v18
	s_cbranch_vccz .LBB225_1468
; %bb.1455:
	global_load_b128 v[4:7], v[0:1], off
	s_mov_b32 s0, 0
	s_branch .LBB225_1469
.LBB225_1456:
	s_mov_b32 s12, 0
                                        ; implicit-def: $vgpr6_vgpr7
	s_cbranch_execnz .LBB225_1547
	s_branch .LBB225_1578
.LBB225_1457:
                                        ; implicit-def: $vgpr6_vgpr7
	s_branch .LBB225_1488
.LBB225_1458:
	s_branch .LBB225_1583
.LBB225_1459:
	s_mov_b32 s0, -1
	s_mov_b32 s12, 0
                                        ; implicit-def: $vgpr6_vgpr7
	s_branch .LBB225_1526
.LBB225_1460:
	s_mov_b32 s0, -1
                                        ; implicit-def: $vgpr6_vgpr7
	s_branch .LBB225_1475
.LBB225_1461:
	s_mov_b32 s0, -1
	s_mov_b32 s12, 0
                                        ; implicit-def: $vgpr6_vgpr7
	s_branch .LBB225_1520
.LBB225_1462:
	s_mov_b32 s0, -1
                                        ; implicit-def: $vgpr6_vgpr7
	s_branch .LBB225_1472
.LBB225_1463:
	s_cbranch_execnz .LBB225_1508
; %bb.1464:
	s_or_b32 s10, s8, exec_lo
                                        ; implicit-def: $vgpr2_vgpr3
	s_cbranch_execz .LBB225_1408
	s_branch .LBB225_1409
.LBB225_1465:
	s_or_saveexec_b32 s5, s5
                                        ; implicit-def: $sgpr8
	s_delay_alu instid0(SALU_CYCLE_1)
	s_xor_b32 exec_lo, exec_lo, s5
	s_cbranch_execz .LBB225_1135
.LBB225_1466:
	v_add_f32_e64 v1, 0x46000000, |v0|
	s_and_not1_b32 s4, s4, exec_lo
	s_mov_b32 s8, 0
	s_delay_alu instid0(VALU_DEP_1) | instskip(NEXT) | instid1(VALU_DEP_1)
	v_and_b32_e32 v1, 0xff, v1
	v_cmp_ne_u32_e32 vcc_lo, 0, v1
	s_and_b32 s9, vcc_lo, exec_lo
	s_delay_alu instid0(SALU_CYCLE_1)
	s_or_b32 s4, s4, s9
	s_or_b32 exec_lo, exec_lo, s5
	v_mov_b32_e32 v6, s8
	s_and_saveexec_b32 s5, s4
	s_cbranch_execnz .LBB225_1136
	s_branch .LBB225_1137
.LBB225_1467:
	s_mov_b32 s0, -1
	s_mov_b32 s12, 0
	s_branch .LBB225_1513
.LBB225_1468:
	s_mov_b32 s0, -1
                                        ; implicit-def: $vgpr6_vgpr7
.LBB225_1469:
	s_delay_alu instid0(SALU_CYCLE_1)
	s_and_not1_b32 vcc_lo, exec_lo, s0
	s_cbranch_vccnz .LBB225_1471
; %bb.1470:
	global_load_b64 v[5:6], v[0:1], off
	s_waitcnt vmcnt(0)
	v_cvt_f64_f32_e32 v[4:5], v5
	v_cvt_f64_f32_e32 v[6:7], v6
.LBB225_1471:
	s_mov_b32 s0, 0
.LBB225_1472:
	s_delay_alu instid0(SALU_CYCLE_1)
	s_and_not1_b32 vcc_lo, exec_lo, s0
	s_cbranch_vccnz .LBB225_1474
; %bb.1473:
	global_load_b32 v4, v[0:1], off
	s_waitcnt vmcnt(0)
	v_lshrrev_b32_e32 v5, 16, v4
	v_cvt_f32_f16_e32 v4, v4
	s_delay_alu instid0(VALU_DEP_2) | instskip(NEXT) | instid1(VALU_DEP_2)
	v_cvt_f32_f16_e32 v6, v5
	v_cvt_f64_f32_e32 v[4:5], v4
	s_delay_alu instid0(VALU_DEP_2)
	v_cvt_f64_f32_e32 v[6:7], v6
.LBB225_1474:
	s_mov_b32 s0, 0
.LBB225_1475:
	s_delay_alu instid0(SALU_CYCLE_1)
	s_and_not1_b32 vcc_lo, exec_lo, s0
	s_cbranch_vccnz .LBB225_1487
; %bb.1476:
	v_cmp_gt_i16_e32 vcc_lo, 6, v18
	s_cbranch_vccnz .LBB225_1479
; %bb.1477:
	v_cmp_lt_i16_e32 vcc_lo, 6, v18
	s_cbranch_vccz .LBB225_1480
; %bb.1478:
	global_load_b64 v[4:5], v[0:1], off
	s_mov_b32 s2, 0
	s_mov_b64 s[0:1], 0
	s_branch .LBB225_1481
.LBB225_1479:
	s_mov_b32 s2, -1
                                        ; implicit-def: $sgpr0_sgpr1
                                        ; implicit-def: $vgpr4_vgpr5
	s_branch .LBB225_1484
.LBB225_1480:
	s_mov_b32 s2, -1
                                        ; implicit-def: $sgpr0_sgpr1
                                        ; implicit-def: $vgpr4_vgpr5
.LBB225_1481:
	s_delay_alu instid0(SALU_CYCLE_1)
	s_and_not1_b32 vcc_lo, exec_lo, s2
	s_cbranch_vccnz .LBB225_1483
; %bb.1482:
	global_load_b32 v4, v[0:1], off
	s_mov_b64 s[0:1], 0
	s_waitcnt vmcnt(0)
	v_cvt_f64_f32_e32 v[4:5], v4
.LBB225_1483:
	s_mov_b32 s2, 0
.LBB225_1484:
	s_delay_alu instid0(SALU_CYCLE_1)
	s_and_not1_b32 vcc_lo, exec_lo, s2
	s_cbranch_vccnz .LBB225_1486
; %bb.1485:
	global_load_u16 v4, v[0:1], off
	s_mov_b64 s[0:1], 0
	s_waitcnt vmcnt(0)
	v_cvt_f32_f16_e32 v4, v4
	s_delay_alu instid0(VALU_DEP_1)
	v_cvt_f64_f32_e32 v[4:5], v4
.LBB225_1486:
	s_waitcnt vmcnt(0)
	v_dual_mov_b32 v7, s1 :: v_dual_mov_b32 v6, s0
.LBB225_1487:
	s_cbranch_execnz .LBB225_1458
.LBB225_1488:
	v_cmp_gt_i16_e32 vcc_lo, 2, v18
	s_cbranch_vccnz .LBB225_1492
; %bb.1489:
	v_cmp_gt_i16_e32 vcc_lo, 3, v18
	s_cbranch_vccnz .LBB225_1493
; %bb.1490:
	v_cmp_lt_i16_e32 vcc_lo, 3, v18
	s_cbranch_vccz .LBB225_1494
; %bb.1491:
	global_load_b64 v[4:5], v[0:1], off
	s_mov_b32 s2, 0
	s_mov_b64 s[0:1], 0
	s_waitcnt vmcnt(0)
	v_cvt_f64_i32_e32 v[5:6], v5
	v_cvt_f64_u32_e32 v[11:12], v4
	s_delay_alu instid0(VALU_DEP_2) | instskip(NEXT) | instid1(VALU_DEP_1)
	v_ldexp_f64 v[5:6], v[5:6], 32
	v_add_f64 v[4:5], v[5:6], v[11:12]
	s_branch .LBB225_1495
.LBB225_1492:
	s_mov_b32 s2, -1
                                        ; implicit-def: $sgpr0_sgpr1
                                        ; implicit-def: $vgpr4_vgpr5
	s_branch .LBB225_1501
.LBB225_1493:
	s_mov_b32 s2, -1
                                        ; implicit-def: $sgpr0_sgpr1
                                        ; implicit-def: $vgpr4_vgpr5
	s_branch .LBB225_1498
.LBB225_1494:
	s_mov_b32 s2, -1
                                        ; implicit-def: $sgpr0_sgpr1
                                        ; implicit-def: $vgpr4_vgpr5
.LBB225_1495:
	s_delay_alu instid0(SALU_CYCLE_1)
	s_and_not1_b32 vcc_lo, exec_lo, s2
	s_cbranch_vccnz .LBB225_1497
; %bb.1496:
	global_load_b32 v4, v[0:1], off
	s_mov_b64 s[0:1], 0
	s_waitcnt vmcnt(0)
	v_cvt_f64_i32_e32 v[4:5], v4
.LBB225_1497:
	s_mov_b32 s2, 0
.LBB225_1498:
	s_delay_alu instid0(SALU_CYCLE_1)
	s_and_not1_b32 vcc_lo, exec_lo, s2
	s_cbranch_vccnz .LBB225_1500
; %bb.1499:
	global_load_i16 v4, v[0:1], off
	s_mov_b64 s[0:1], 0
	s_waitcnt vmcnt(0)
	v_cvt_f64_i32_e32 v[4:5], v4
.LBB225_1500:
	s_mov_b32 s2, 0
.LBB225_1501:
	s_delay_alu instid0(SALU_CYCLE_1)
	s_and_not1_b32 vcc_lo, exec_lo, s2
	s_cbranch_vccnz .LBB225_1507
; %bb.1502:
	v_cmp_lt_i16_e32 vcc_lo, 0, v18
	s_mov_b32 s2, 0
	s_cbranch_vccz .LBB225_1504
; %bb.1503:
	global_load_i8 v4, v[0:1], off
	s_mov_b64 s[0:1], 0
	s_waitcnt vmcnt(0)
	v_cvt_f64_i32_e32 v[4:5], v4
	s_branch .LBB225_1505
.LBB225_1504:
	s_mov_b32 s2, -1
                                        ; implicit-def: $sgpr0_sgpr1
                                        ; implicit-def: $vgpr4_vgpr5
.LBB225_1505:
	s_delay_alu instid0(SALU_CYCLE_1)
	s_and_not1_b32 vcc_lo, exec_lo, s2
	s_cbranch_vccnz .LBB225_1507
; %bb.1506:
	global_load_u8 v0, v[0:1], off
	s_mov_b64 s[0:1], 0
	s_waitcnt vmcnt(0)
	v_cvt_f64_u32_e32 v[4:5], v0
.LBB225_1507:
	s_waitcnt vmcnt(0)
	v_dual_mov_b32 v7, s1 :: v_dual_mov_b32 v6, s0
	s_branch .LBB225_1583
.LBB225_1508:
	s_trap 2
	s_sendmsg_rtn_b32 s0, sendmsg(MSG_RTN_GET_DOORBELL)
	s_mov_b32 ttmp2, m0
	s_waitcnt lgkmcnt(0)
	s_and_b32 s0, s0, 0x3ff
	s_delay_alu instid0(SALU_CYCLE_1) | instskip(NEXT) | instid1(SALU_CYCLE_1)
	s_bitset1_b32 s0, 10
	s_mov_b32 m0, s0
	s_sendmsg sendmsg(MSG_INTERRUPT)
	s_mov_b32 m0, ttmp2
.LBB225_1509:                           ; =>This Inner Loop Header: Depth=1
	s_sethalt 5
	s_branch .LBB225_1509
.LBB225_1510:
	s_or_saveexec_b32 s8, s8
                                        ; implicit-def: $sgpr9
	s_delay_alu instid0(SALU_CYCLE_1)
	s_xor_b32 exec_lo, exec_lo, s8
	s_cbranch_execz .LBB225_1147
.LBB225_1511:
	v_add_f32_e64 v1, 0x42800000, |v0|
	s_and_not1_b32 s5, s5, exec_lo
	s_mov_b32 s9, 0
	s_delay_alu instid0(VALU_DEP_1) | instskip(NEXT) | instid1(VALU_DEP_1)
	v_and_b32_e32 v1, 0xff, v1
	v_cmp_ne_u32_e32 vcc_lo, 0, v1
	s_and_b32 s10, vcc_lo, exec_lo
	s_delay_alu instid0(SALU_CYCLE_1)
	s_or_b32 s5, s5, s10
	s_or_b32 exec_lo, exec_lo, s8
	v_mov_b32_e32 v6, s9
	s_and_saveexec_b32 s8, s5
	s_cbranch_execnz .LBB225_1148
	s_branch .LBB225_1149
.LBB225_1512:
	s_mov_b32 s12, -1
.LBB225_1513:
                                        ; implicit-def: $vgpr6_vgpr7
.LBB225_1514:
	s_and_b32 vcc_lo, exec_lo, s0
	s_cbranch_vccz .LBB225_1519
; %bb.1515:
	v_cmp_eq_u16_e32 vcc_lo, 44, v18
	s_cbranch_vccz .LBB225_1517
; %bb.1516:
	global_load_u8 v6, v[0:1], off
	s_mov_b32 s12, 0
	s_mov_b32 s2, -1
	s_mov_b64 s[0:1], 0
	s_waitcnt vmcnt(0)
	v_cmp_ne_u32_e32 vcc_lo, 0xff, v6
	v_lshlrev_b32_e32 v4, 23, v6
	s_delay_alu instid0(VALU_DEP_1) | instskip(NEXT) | instid1(VALU_DEP_1)
	v_cvt_f64_f32_e32 v[4:5], v4
	v_cndmask_b32_e32 v5, 0x7ff80000, v5, vcc_lo
	s_delay_alu instid0(VALU_DEP_2) | instskip(SKIP_1) | instid1(VALU_DEP_3)
	v_cndmask_b32_e32 v4, 0x20000000, v4, vcc_lo
	v_cmp_ne_u32_e32 vcc_lo, 0, v6
	v_cndmask_b32_e32 v5, 0x38000000, v5, vcc_lo
	s_delay_alu instid0(VALU_DEP_3)
	v_cndmask_b32_e32 v4, 0, v4, vcc_lo
	s_branch .LBB225_1518
.LBB225_1517:
	s_mov_b32 s12, -1
                                        ; implicit-def: $sgpr0_sgpr1
                                        ; implicit-def: $vgpr4_vgpr5
.LBB225_1518:
	v_dual_mov_b32 v7, s1 :: v_dual_mov_b32 v6, s0
.LBB225_1519:
	s_mov_b32 s0, 0
.LBB225_1520:
	s_delay_alu instid0(SALU_CYCLE_1)
	s_and_b32 vcc_lo, exec_lo, s0
	s_cbranch_vccz .LBB225_1525
; %bb.1521:
	v_cmp_eq_u16_e32 vcc_lo, 29, v18
	s_cbranch_vccz .LBB225_1523
; %bb.1522:
	global_load_b64 v[4:5], v[0:1], off
	s_mov_b32 s12, 0
	s_mov_b32 s2, -1
	s_mov_b64 s[0:1], 0
	s_waitcnt vmcnt(0)
	v_cvt_f64_u32_e32 v[5:6], v5
	v_cvt_f64_u32_e32 v[11:12], v4
	s_delay_alu instid0(VALU_DEP_2) | instskip(NEXT) | instid1(VALU_DEP_1)
	v_ldexp_f64 v[5:6], v[5:6], 32
	v_add_f64 v[4:5], v[5:6], v[11:12]
	s_branch .LBB225_1524
.LBB225_1523:
	s_mov_b32 s12, -1
                                        ; implicit-def: $sgpr0_sgpr1
                                        ; implicit-def: $vgpr4_vgpr5
.LBB225_1524:
	v_dual_mov_b32 v7, s1 :: v_dual_mov_b32 v6, s0
.LBB225_1525:
	s_mov_b32 s0, 0
.LBB225_1526:
	s_delay_alu instid0(SALU_CYCLE_1)
	s_and_b32 vcc_lo, exec_lo, s0
	s_cbranch_vccz .LBB225_1546
; %bb.1527:
	v_cmp_gt_i16_e32 vcc_lo, 27, v18
	s_cbranch_vccnz .LBB225_1530
; %bb.1528:
	v_cmp_lt_i16_e32 vcc_lo, 27, v18
	s_cbranch_vccz .LBB225_1531
; %bb.1529:
	global_load_b32 v4, v[0:1], off
	s_mov_b32 s2, 0
	s_mov_b64 s[0:1], 0
	s_waitcnt vmcnt(0)
	v_cvt_f64_u32_e32 v[4:5], v4
	s_branch .LBB225_1532
.LBB225_1530:
	s_mov_b32 s2, -1
                                        ; implicit-def: $sgpr0_sgpr1
                                        ; implicit-def: $vgpr4_vgpr5
	s_branch .LBB225_1535
.LBB225_1531:
	s_mov_b32 s2, -1
                                        ; implicit-def: $sgpr0_sgpr1
                                        ; implicit-def: $vgpr4_vgpr5
.LBB225_1532:
	s_delay_alu instid0(SALU_CYCLE_1)
	s_and_not1_b32 vcc_lo, exec_lo, s2
	s_cbranch_vccnz .LBB225_1534
; %bb.1533:
	global_load_u16 v4, v[0:1], off
	s_mov_b64 s[0:1], 0
	s_waitcnt vmcnt(0)
	v_cvt_f64_u32_e32 v[4:5], v4
.LBB225_1534:
	s_mov_b32 s2, 0
.LBB225_1535:
	v_dual_mov_b32 v7, s1 :: v_dual_mov_b32 v6, s0
	s_and_not1_b32 vcc_lo, exec_lo, s2
	s_cbranch_vccnz .LBB225_1545
; %bb.1536:
	global_load_u8 v11, v[0:1], off
	s_mov_b32 s14, 0
	s_mov_b32 s15, exec_lo
                                        ; implicit-def: $sgpr0_sgpr1
                                        ; implicit-def: $sgpr2_sgpr3
	s_waitcnt vmcnt(0)
	v_cmpx_lt_i16_e32 0x7f, v11
	s_xor_b32 s15, exec_lo, s15
	s_cbranch_execz .LBB225_1540
; %bb.1537:
	s_mov_b32 s14, -1
	s_mov_b32 s16, exec_lo
                                        ; implicit-def: $sgpr0_sgpr1
                                        ; implicit-def: $sgpr2_sgpr3
	v_cmpx_eq_u16_e32 0x80, v11
; %bb.1538:
	s_mov_b64 s[0:1], 0
	s_mov_b32 s3, 0x7ff80000
	s_brev_b32 s2, 4
	s_xor_b32 s14, exec_lo, -1
; %bb.1539:
	s_or_b32 exec_lo, exec_lo, s16
	s_delay_alu instid0(SALU_CYCLE_1)
	s_and_b32 s14, s14, exec_lo
.LBB225_1540:
	s_or_saveexec_b32 s15, s15
	v_dual_mov_b32 v7, s1 :: v_dual_mov_b32 v6, s0
	v_dual_mov_b32 v5, s3 :: v_dual_mov_b32 v4, s2
	s_xor_b32 exec_lo, exec_lo, s15
; %bb.1541:
	v_mov_b32_e32 v6, 0
	v_mov_b32_e32 v7, 0
	v_cmp_ne_u16_e32 vcc_lo, 0, v11
	s_delay_alu instid0(VALU_DEP_3) | instskip(SKIP_1) | instid1(VALU_DEP_3)
	v_mov_b32_e32 v4, v6
	s_and_not1_b32 s0, s14, exec_lo
	v_mov_b32_e32 v5, v7
	s_and_b32 s1, vcc_lo, exec_lo
	s_delay_alu instid0(SALU_CYCLE_1)
	s_or_b32 s14, s0, s1
; %bb.1542:
	s_or_b32 exec_lo, exec_lo, s15
	s_and_saveexec_b32 s0, s14
	s_cbranch_execz .LBB225_1544
; %bb.1543:
	v_and_b32_e32 v4, 0xffff, v11
	v_lshlrev_b32_e32 v11, 24, v11
	s_delay_alu instid0(VALU_DEP_2) | instskip(NEXT) | instid1(VALU_DEP_1)
	v_and_b32_e32 v5, 7, v4
	v_clz_i32_u32_e32 v6, v5
	s_delay_alu instid0(VALU_DEP_1) | instskip(NEXT) | instid1(VALU_DEP_1)
	v_min_u32_e32 v6, 32, v6
	v_subrev_nc_u32_e32 v7, 28, v6
	v_sub_nc_u32_e32 v6, 29, v6
	s_delay_alu instid0(VALU_DEP_2) | instskip(SKIP_1) | instid1(VALU_DEP_2)
	v_lshlrev_b32_e32 v7, v7, v4
	v_bfe_u32 v4, v4, 3, 4
	v_and_b32_e32 v7, 7, v7
	s_delay_alu instid0(VALU_DEP_2) | instskip(NEXT) | instid1(VALU_DEP_2)
	v_cmp_eq_u32_e32 vcc_lo, 0, v4
	v_dual_cndmask_b32 v4, v4, v6 :: v_dual_cndmask_b32 v5, v5, v7
	v_and_b32_e32 v6, 0x80000000, v11
	s_delay_alu instid0(VALU_DEP_2) | instskip(NEXT) | instid1(VALU_DEP_3)
	v_lshl_add_u32 v4, v4, 23, 0x3b800000
	v_lshlrev_b32_e32 v5, 20, v5
	s_delay_alu instid0(VALU_DEP_1) | instskip(SKIP_2) | instid1(VALU_DEP_3)
	v_or3_b32 v4, v6, v4, v5
	v_mov_b32_e32 v6, 0
	v_mov_b32_e32 v7, 0
	v_cvt_f64_f32_e32 v[4:5], v4
.LBB225_1544:
	s_or_b32 exec_lo, exec_lo, s0
.LBB225_1545:
	s_mov_b32 s2, -1
.LBB225_1546:
	s_branch .LBB225_1578
.LBB225_1547:
	v_cmp_lt_i16_e32 vcc_lo, 22, v18
	s_cbranch_vccz .LBB225_1559
; %bb.1548:
	v_cmp_gt_i16_e32 vcc_lo, 24, v18
	s_cbranch_vccnz .LBB225_1560
; %bb.1549:
	v_cmp_lt_i16_e32 vcc_lo, 24, v18
	s_cbranch_vccz .LBB225_1561
; %bb.1550:
	global_load_u8 v11, v[0:1], off
	s_mov_b32 s14, exec_lo
                                        ; implicit-def: $sgpr0_sgpr1
                                        ; implicit-def: $sgpr2_sgpr3
	s_waitcnt vmcnt(0)
	v_cmpx_lt_i16_e32 0x7f, v11
	s_xor_b32 s14, exec_lo, s14
	s_cbranch_execz .LBB225_1554
; %bb.1551:
	s_mov_b32 s13, -1
	s_mov_b32 s15, exec_lo
                                        ; implicit-def: $sgpr0_sgpr1
                                        ; implicit-def: $sgpr2_sgpr3
	v_cmpx_eq_u16_e32 0x80, v11
; %bb.1552:
	s_mov_b64 s[0:1], 0
	s_mov_b32 s3, 0x7ff80000
	s_brev_b32 s2, 4
	s_xor_b32 s13, exec_lo, -1
; %bb.1553:
	s_or_b32 exec_lo, exec_lo, s15
	s_delay_alu instid0(SALU_CYCLE_1)
	s_and_b32 s13, s13, exec_lo
.LBB225_1554:
	s_or_saveexec_b32 s14, s14
	v_dual_mov_b32 v7, s1 :: v_dual_mov_b32 v6, s0
	v_dual_mov_b32 v5, s3 :: v_dual_mov_b32 v4, s2
	s_xor_b32 exec_lo, exec_lo, s14
; %bb.1555:
	v_mov_b32_e32 v6, 0
	v_mov_b32_e32 v7, 0
	v_cmp_ne_u16_e32 vcc_lo, 0, v11
	s_delay_alu instid0(VALU_DEP_3) | instskip(SKIP_1) | instid1(VALU_DEP_3)
	v_mov_b32_e32 v4, v6
	s_and_not1_b32 s0, s13, exec_lo
	v_mov_b32_e32 v5, v7
	s_and_b32 s1, vcc_lo, exec_lo
	s_delay_alu instid0(SALU_CYCLE_1)
	s_or_b32 s13, s0, s1
; %bb.1556:
	s_or_b32 exec_lo, exec_lo, s14
	s_and_saveexec_b32 s0, s13
	s_cbranch_execz .LBB225_1558
; %bb.1557:
	v_and_b32_e32 v4, 0xffff, v11
	v_lshlrev_b32_e32 v11, 24, v11
	s_delay_alu instid0(VALU_DEP_2) | instskip(NEXT) | instid1(VALU_DEP_1)
	v_and_b32_e32 v5, 3, v4
	v_clz_i32_u32_e32 v6, v5
	s_delay_alu instid0(VALU_DEP_1) | instskip(NEXT) | instid1(VALU_DEP_1)
	v_min_u32_e32 v6, 32, v6
	v_subrev_nc_u32_e32 v7, 29, v6
	v_sub_nc_u32_e32 v6, 30, v6
	s_delay_alu instid0(VALU_DEP_2) | instskip(SKIP_1) | instid1(VALU_DEP_2)
	v_lshlrev_b32_e32 v7, v7, v4
	v_bfe_u32 v4, v4, 2, 5
	v_and_b32_e32 v7, 3, v7
	s_delay_alu instid0(VALU_DEP_2) | instskip(NEXT) | instid1(VALU_DEP_2)
	v_cmp_eq_u32_e32 vcc_lo, 0, v4
	v_dual_cndmask_b32 v4, v4, v6 :: v_dual_cndmask_b32 v5, v5, v7
	v_and_b32_e32 v6, 0x80000000, v11
	s_delay_alu instid0(VALU_DEP_2) | instskip(NEXT) | instid1(VALU_DEP_3)
	v_lshl_add_u32 v4, v4, 23, 0x37800000
	v_lshlrev_b32_e32 v5, 21, v5
	s_delay_alu instid0(VALU_DEP_1) | instskip(SKIP_2) | instid1(VALU_DEP_3)
	v_or3_b32 v4, v6, v4, v5
	v_mov_b32_e32 v6, 0
	v_mov_b32_e32 v7, 0
	v_cvt_f64_f32_e32 v[4:5], v4
.LBB225_1558:
	s_or_b32 exec_lo, exec_lo, s0
	s_mov_b32 s0, 0
	s_branch .LBB225_1562
.LBB225_1559:
	s_mov_b32 s0, -1
                                        ; implicit-def: $vgpr6_vgpr7
	s_branch .LBB225_1568
.LBB225_1560:
	s_mov_b32 s0, -1
                                        ; implicit-def: $vgpr6_vgpr7
	s_branch .LBB225_1565
.LBB225_1561:
	s_mov_b32 s0, -1
                                        ; implicit-def: $vgpr6_vgpr7
.LBB225_1562:
	s_delay_alu instid0(SALU_CYCLE_1)
	s_and_b32 vcc_lo, exec_lo, s0
	s_cbranch_vccz .LBB225_1564
; %bb.1563:
	global_load_u8 v4, v[0:1], off
	s_waitcnt vmcnt(0)
	v_lshlrev_b32_e32 v4, 24, v4
	s_delay_alu instid0(VALU_DEP_1) | instskip(NEXT) | instid1(VALU_DEP_1)
	v_and_b32_e32 v5, 0x7f000000, v4
	v_clz_i32_u32_e32 v6, v5
	v_add_nc_u32_e32 v11, 0x1000000, v5
	v_cmp_ne_u32_e32 vcc_lo, 0, v5
	s_delay_alu instid0(VALU_DEP_3) | instskip(NEXT) | instid1(VALU_DEP_1)
	v_min_u32_e32 v6, 32, v6
	v_sub_nc_u32_e64 v6, v6, 4 clamp
	s_delay_alu instid0(VALU_DEP_1) | instskip(SKIP_1) | instid1(VALU_DEP_2)
	v_lshlrev_b32_e32 v7, v6, v5
	v_lshlrev_b32_e32 v6, 23, v6
	v_lshrrev_b32_e32 v7, 4, v7
	s_delay_alu instid0(VALU_DEP_1) | instskip(SKIP_1) | instid1(VALU_DEP_2)
	v_sub_nc_u32_e32 v6, v7, v6
	v_ashrrev_i32_e32 v7, 8, v11
	v_add_nc_u32_e32 v6, 0x3c000000, v6
	s_delay_alu instid0(VALU_DEP_1) | instskip(NEXT) | instid1(VALU_DEP_1)
	v_and_or_b32 v6, 0x7f800000, v7, v6
	v_dual_cndmask_b32 v5, 0, v6 :: v_dual_mov_b32 v6, 0
	v_mov_b32_e32 v7, 0
	s_delay_alu instid0(VALU_DEP_2) | instskip(NEXT) | instid1(VALU_DEP_1)
	v_and_or_b32 v4, 0x80000000, v4, v5
	v_cvt_f64_f32_e32 v[4:5], v4
.LBB225_1564:
	s_mov_b32 s0, 0
.LBB225_1565:
	s_delay_alu instid0(SALU_CYCLE_1)
	s_and_not1_b32 vcc_lo, exec_lo, s0
	s_cbranch_vccnz .LBB225_1567
; %bb.1566:
	global_load_u8 v4, v[0:1], off
	s_waitcnt vmcnt(0)
	v_lshlrev_b32_e32 v5, 25, v4
	v_lshlrev_b16 v4, 8, v4
	s_delay_alu instid0(VALU_DEP_2) | instskip(NEXT) | instid1(VALU_DEP_2)
	v_lshrrev_b32_e32 v6, 4, v5
	v_and_or_b32 v7, 0x7f00, v4, 0.5
	v_bfe_i32 v4, v4, 0, 16
	s_delay_alu instid0(VALU_DEP_3) | instskip(NEXT) | instid1(VALU_DEP_1)
	v_or_b32_e32 v6, 0x70000000, v6
	v_dual_add_f32 v7, -0.5, v7 :: v_dual_mul_f32 v6, 0x7800000, v6
	v_cmp_gt_u32_e32 vcc_lo, 0x8000000, v5
	s_delay_alu instid0(VALU_DEP_2) | instskip(SKIP_1) | instid1(VALU_DEP_2)
	v_dual_cndmask_b32 v5, v6, v7 :: v_dual_mov_b32 v6, 0
	v_mov_b32_e32 v7, 0
	v_and_or_b32 v4, 0x80000000, v4, v5
	s_delay_alu instid0(VALU_DEP_1)
	v_cvt_f64_f32_e32 v[4:5], v4
.LBB225_1567:
	s_mov_b32 s0, 0
	s_mov_b32 s2, -1
.LBB225_1568:
	s_and_not1_b32 vcc_lo, exec_lo, s0
	s_mov_b32 s13, 0
	s_cbranch_vccnz .LBB225_1578
; %bb.1569:
	v_cmp_lt_i16_e32 vcc_lo, 14, v18
	s_cbranch_vccz .LBB225_1572
; %bb.1570:
	v_cmp_eq_u16_e32 vcc_lo, 15, v18
	s_cbranch_vccz .LBB225_1573
; %bb.1571:
	global_load_u16 v4, v[0:1], off
	s_mov_b32 s12, 0
	s_mov_b32 s2, -1
	s_mov_b64 s[0:1], 0
	s_waitcnt vmcnt(0)
	v_lshlrev_b32_e32 v4, 16, v4
	s_delay_alu instid0(VALU_DEP_1)
	v_cvt_f64_f32_e32 v[4:5], v4
	s_branch .LBB225_1574
.LBB225_1572:
	s_mov_b32 s3, -1
                                        ; implicit-def: $sgpr0_sgpr1
                                        ; implicit-def: $vgpr4_vgpr5
	s_branch .LBB225_1575
.LBB225_1573:
	s_mov_b32 s12, -1
                                        ; implicit-def: $sgpr0_sgpr1
                                        ; implicit-def: $vgpr4_vgpr5
.LBB225_1574:
	s_mov_b32 s3, 0
.LBB225_1575:
	s_delay_alu instid0(SALU_CYCLE_1)
	s_and_b32 vcc_lo, exec_lo, s3
	s_cbranch_vccz .LBB225_1577
; %bb.1576:
	v_cmp_ne_u16_e64 s12, 11, v18
	s_mov_b32 s13, -1
                                        ; implicit-def: $sgpr0_sgpr1
                                        ; implicit-def: $vgpr4_vgpr5
.LBB225_1577:
	v_dual_mov_b32 v7, s1 :: v_dual_mov_b32 v6, s0
.LBB225_1578:
	s_delay_alu instid0(VALU_DEP_2)
	s_and_b32 vcc_lo, exec_lo, s12
	s_cbranch_vccnz .LBB225_1634
; %bb.1579:
	s_and_not1_b32 vcc_lo, exec_lo, s13
	s_cbranch_vccnz .LBB225_1581
.LBB225_1580:
	global_load_u8 v4, v[0:1], off
	v_mov_b32_e32 v6, 0
	v_mov_b32_e32 v7, 0
	s_mov_b32 s2, -1
	s_waitcnt vmcnt(0)
	v_cmp_ne_u16_e32 vcc_lo, 0, v4
	v_mov_b32_e32 v4, 0
	v_cndmask_b32_e64 v5, 0, 0x3ff00000, vcc_lo
.LBB225_1581:
.LBB225_1582:
	s_and_not1_b32 vcc_lo, exec_lo, s2
	s_cbranch_vccnz .LBB225_1940
.LBB225_1583:
	s_waitcnt vmcnt(0)
	s_delay_alu instid0(VALU_DEP_1) | instskip(NEXT) | instid1(VALU_DEP_2)
	v_cmp_neq_f64_e32 vcc_lo, 0, v[4:5]
	v_cmp_neq_f64_e64 s0, 0, v[6:7]
	v_mov_b32_e32 v0, 0
	v_mov_b32_e32 v1, 0
	s_delay_alu instid0(VALU_DEP_3) | instskip(NEXT) | instid1(SALU_CYCLE_1)
	s_or_b32 s0, vcc_lo, s0
	s_and_saveexec_b32 s2, s0
	s_cbranch_execz .LBB225_1615
; %bb.1584:
	s_mov_b32 s0, 0
	s_mov_b32 s1, 0x7ff00000
	v_mov_b32_e32 v0, s0
	v_mov_b32_e32 v1, s1
	s_mov_b32 s3, exec_lo
	v_cmpx_neq_f64_e64 0x7ff00000, |v[6:7]|
	s_cbranch_execz .LBB225_1614
; %bb.1585:
	s_mov_b32 s0, exec_lo
	v_cmpx_o_f64_e32 v[4:5], v[4:5]
	s_xor_b32 s12, exec_lo, s0
	s_cbranch_execz .LBB225_1611
; %bb.1586:
	s_mov_b32 s1, exec_lo
	v_cmpx_neq_f64_e64 0x7ff00000, |v[4:5]|
	s_xor_b32 s13, exec_lo, s1
	s_cbranch_execz .LBB225_1604
; %bb.1587:
	v_max_f64 v[0:1], |v[6:7]|, |v[6:7]|
	v_max_f64 v[11:12], |v[4:5]|, |v[4:5]|
	s_mov_b32 s0, 0x99fcef32
	s_mov_b32 s1, 0x7fda8279
                                        ; implicit-def: $sgpr14
	s_delay_alu instid0(VALU_DEP_1) | instskip(NEXT) | instid1(VALU_DEP_1)
	v_max_f64 v[0:1], v[11:12], v[0:1]
	v_cmp_nle_f64_e64 s0, s[0:1], v[0:1]
	s_delay_alu instid0(VALU_DEP_1) | instskip(NEXT) | instid1(SALU_CYCLE_1)
	s_and_saveexec_b32 s1, s0
	s_xor_b32 s1, exec_lo, s1
	s_cbranch_execz .LBB225_1591
; %bb.1588:
	v_cmp_ge_f64_e64 s14, 0x200000, |v[4:5]|
	v_cmp_ge_f64_e64 s15, 0x200000, |v[6:7]|
	s_delay_alu instid0(VALU_DEP_1)
	s_and_b32 s16, s14, s15
	s_mov_b32 s14, 0
	s_and_saveexec_b32 s15, s16
; %bb.1589:
	v_mul_f64 v[4:5], v[4:5], 4.0
	v_mul_f64 v[6:7], v[6:7], 4.0
	s_mov_b32 s14, exec_lo
; %bb.1590:
	s_or_b32 exec_lo, exec_lo, s15
	s_delay_alu instid0(SALU_CYCLE_1)
	s_and_b32 s14, s14, exec_lo
.LBB225_1591:
	s_and_not1_saveexec_b32 s1, s1
; %bb.1592:
	s_delay_alu instid0(VALU_DEP_2) | instskip(NEXT) | instid1(VALU_DEP_2)
	v_ldexp_f64 v[4:5], v[4:5], -2
	v_ldexp_f64 v[6:7], v[6:7], -2
	s_and_not1_b32 s14, s14, exec_lo
; %bb.1593:
	s_or_b32 exec_lo, exec_lo, s1
	s_delay_alu instid0(VALU_DEP_1) | instskip(NEXT) | instid1(VALU_DEP_3)
	v_max_f64 v[0:1], |v[6:7]|, |v[6:7]|
	v_max_f64 v[11:12], |v[4:5]|, |v[4:5]|
	v_cmp_class_f64_e64 s15, v[4:5], 0x204
	v_cmp_class_f64_e64 s16, v[6:7], 0x204
	v_cmp_le_f64_e64 s1, 0, v[4:5]
	s_delay_alu instid0(VALU_DEP_4) | instskip(NEXT) | instid1(VALU_DEP_3)
	v_max_f64 v[0:1], v[11:12], v[0:1]
	s_or_b32 s15, s16, s15
	s_delay_alu instid0(VALU_DEP_1) | instskip(NEXT) | instid1(VALU_DEP_1)
	v_frexp_exp_i32_f64_e32 v13, v[0:1]
	v_sub_nc_u32_e32 v11, 0, v13
	s_delay_alu instid0(VALU_DEP_1) | instskip(SKIP_1) | instid1(VALU_DEP_2)
	v_ldexp_f64 v[0:1], |v[6:7]|, v11
	v_ldexp_f64 v[11:12], |v[4:5]|, v11
	v_mul_f64 v[0:1], v[0:1], v[0:1]
	s_delay_alu instid0(VALU_DEP_1) | instskip(NEXT) | instid1(VALU_DEP_1)
	v_fma_f64 v[0:1], v[11:12], v[11:12], v[0:1]
	v_rsq_f64_e32 v[11:12], v[0:1]
	v_cmp_eq_f64_e32 vcc_lo, 0, v[0:1]
	s_waitcnt_depctr 0xfff
	v_mul_f64 v[15:16], v[0:1], v[11:12]
	v_mul_f64 v[11:12], v[11:12], 0.5
	s_delay_alu instid0(VALU_DEP_1) | instskip(NEXT) | instid1(VALU_DEP_1)
	v_fma_f64 v[24:25], -v[11:12], v[15:16], 0.5
	v_fma_f64 v[15:16], v[15:16], v[24:25], v[15:16]
	v_fma_f64 v[11:12], v[11:12], v[24:25], v[11:12]
	s_delay_alu instid0(VALU_DEP_2) | instskip(NEXT) | instid1(VALU_DEP_1)
	v_fma_f64 v[24:25], -v[15:16], v[15:16], v[0:1]
	v_fma_f64 v[11:12], v[24:25], v[11:12], v[15:16]
	s_delay_alu instid0(VALU_DEP_1) | instskip(SKIP_1) | instid1(VALU_DEP_2)
	v_dual_cndmask_b32 v1, v12, v1 :: v_dual_cndmask_b32 v0, v11, v0
	v_cmp_o_f64_e32 vcc_lo, v[6:7], v[6:7]
	v_ldexp_f64 v[0:1], v[0:1], v13
	s_delay_alu instid0(VALU_DEP_1) | instskip(NEXT) | instid1(VALU_DEP_2)
	v_cndmask_b32_e32 v0, 0, v0, vcc_lo
	v_cndmask_b32_e32 v1, 0x7ff80000, v1, vcc_lo
	s_delay_alu instid0(VALU_DEP_2) | instskip(NEXT) | instid1(VALU_DEP_2)
	v_cndmask_b32_e64 v0, v0, 0, s15
	v_cndmask_b32_e64 v1, v1, 0x7ff00000, s15
	s_and_saveexec_b32 s15, s1
	s_delay_alu instid0(SALU_CYCLE_1)
	s_xor_b32 s1, exec_lo, s15
	s_cbranch_execz .LBB225_1599
; %bb.1594:
	s_delay_alu instid0(VALU_DEP_1) | instskip(NEXT) | instid1(VALU_DEP_1)
	v_add_f64 v[0:1], v[4:5], v[0:1]
	v_mul_f64 v[0:1], v[0:1], 0.5
	s_delay_alu instid0(VALU_DEP_1) | instskip(SKIP_1) | instid1(VALU_DEP_1)
	v_cmp_gt_f64_e32 vcc_lo, 0x10000000, v[0:1]
	v_cndmask_b32_e64 v4, 0, 1, vcc_lo
	v_lshlrev_b32_e32 v4, 8, v4
	s_delay_alu instid0(VALU_DEP_1) | instskip(NEXT) | instid1(VALU_DEP_1)
	v_ldexp_f64 v[0:1], v[0:1], v4
	v_rsq_f64_e32 v[4:5], v[0:1]
	s_waitcnt_depctr 0xfff
	v_mul_f64 v[11:12], v[0:1], v[4:5]
	v_mul_f64 v[4:5], v[4:5], 0.5
	s_delay_alu instid0(VALU_DEP_1) | instskip(NEXT) | instid1(VALU_DEP_1)
	v_fma_f64 v[15:16], -v[4:5], v[11:12], 0.5
	v_fma_f64 v[11:12], v[11:12], v[15:16], v[11:12]
	v_fma_f64 v[4:5], v[4:5], v[15:16], v[4:5]
	s_delay_alu instid0(VALU_DEP_2) | instskip(NEXT) | instid1(VALU_DEP_1)
	v_fma_f64 v[15:16], -v[11:12], v[11:12], v[0:1]
	v_fma_f64 v[11:12], v[15:16], v[4:5], v[11:12]
	s_delay_alu instid0(VALU_DEP_1) | instskip(NEXT) | instid1(VALU_DEP_1)
	v_fma_f64 v[15:16], -v[11:12], v[11:12], v[0:1]
	v_fma_f64 v[4:5], v[15:16], v[4:5], v[11:12]
	v_cndmask_b32_e64 v11, 0, 0xffffff80, vcc_lo
	v_cmp_class_f64_e64 vcc_lo, v[0:1], 0x260
	s_delay_alu instid0(VALU_DEP_2) | instskip(NEXT) | instid1(VALU_DEP_1)
	v_ldexp_f64 v[4:5], v[4:5], v11
	v_dual_cndmask_b32 v5, v5, v1 :: v_dual_cndmask_b32 v4, v4, v0
	s_delay_alu instid0(VALU_DEP_1) | instskip(NEXT) | instid1(VALU_DEP_1)
	v_add_f64 v[0:1], v[4:5], v[4:5]
	v_div_scale_f64 v[11:12], null, v[0:1], v[0:1], v[6:7]
	s_delay_alu instid0(VALU_DEP_1) | instskip(SKIP_2) | instid1(VALU_DEP_1)
	v_rcp_f64_e32 v[15:16], v[11:12]
	s_waitcnt_depctr 0xfff
	v_fma_f64 v[24:25], -v[11:12], v[15:16], 1.0
	v_fma_f64 v[15:16], v[15:16], v[24:25], v[15:16]
	s_delay_alu instid0(VALU_DEP_1) | instskip(NEXT) | instid1(VALU_DEP_1)
	v_fma_f64 v[24:25], -v[11:12], v[15:16], 1.0
	v_fma_f64 v[15:16], v[15:16], v[24:25], v[15:16]
	v_div_scale_f64 v[24:25], vcc_lo, v[6:7], v[0:1], v[6:7]
	s_delay_alu instid0(VALU_DEP_1) | instskip(NEXT) | instid1(VALU_DEP_1)
	v_mul_f64 v[26:27], v[24:25], v[15:16]
	v_fma_f64 v[11:12], -v[11:12], v[26:27], v[24:25]
	s_delay_alu instid0(VALU_DEP_1) | instskip(NEXT) | instid1(VALU_DEP_1)
	v_div_fmas_f64 v[11:12], v[11:12], v[15:16], v[26:27]
	v_div_fixup_f64 v[6:7], v[11:12], v[0:1], v[6:7]
                                        ; implicit-def: $vgpr0_vgpr1
	s_and_not1_saveexec_b32 s1, s1
	s_cbranch_execnz .LBB225_1600
.LBB225_1595:
	s_or_b32 exec_lo, exec_lo, s1
	s_and_saveexec_b32 s1, s0
	s_delay_alu instid0(SALU_CYCLE_1)
	s_xor_b32 s0, exec_lo, s1
	s_cbranch_execz .LBB225_1601
.LBB225_1596:
	s_and_saveexec_b32 s1, s14
; %bb.1597:
	s_delay_alu instid0(VALU_DEP_2) | instskip(NEXT) | instid1(VALU_DEP_2)
	v_mul_f64 v[4:5], v[4:5], 0.5
	v_mul_f64 v[6:7], v[6:7], 0.5
; %bb.1598:
	s_or_b32 exec_lo, exec_lo, s1
	s_and_not1_saveexec_b32 s0, s0
	s_cbranch_execnz .LBB225_1602
	s_branch .LBB225_1603
.LBB225_1599:
	s_and_not1_saveexec_b32 s1, s1
	s_cbranch_execz .LBB225_1595
.LBB225_1600:
	v_add_f64 v[0:1], v[0:1], -v[4:5]
	s_delay_alu instid0(VALU_DEP_1) | instskip(NEXT) | instid1(VALU_DEP_1)
	v_mul_f64 v[0:1], v[0:1], 0.5
	v_cmp_gt_f64_e32 vcc_lo, 0x10000000, v[0:1]
	v_cndmask_b32_e64 v4, 0, 1, vcc_lo
	s_delay_alu instid0(VALU_DEP_1) | instskip(NEXT) | instid1(VALU_DEP_1)
	v_lshlrev_b32_e32 v4, 8, v4
	v_ldexp_f64 v[0:1], v[0:1], v4
	s_delay_alu instid0(VALU_DEP_1) | instskip(SKIP_3) | instid1(VALU_DEP_1)
	v_rsq_f64_e32 v[4:5], v[0:1]
	s_waitcnt_depctr 0xfff
	v_mul_f64 v[11:12], v[0:1], v[4:5]
	v_mul_f64 v[4:5], v[4:5], 0.5
	v_fma_f64 v[15:16], -v[4:5], v[11:12], 0.5
	s_delay_alu instid0(VALU_DEP_1) | instskip(SKIP_1) | instid1(VALU_DEP_2)
	v_fma_f64 v[11:12], v[11:12], v[15:16], v[11:12]
	v_fma_f64 v[4:5], v[4:5], v[15:16], v[4:5]
	v_fma_f64 v[15:16], -v[11:12], v[11:12], v[0:1]
	s_delay_alu instid0(VALU_DEP_1) | instskip(NEXT) | instid1(VALU_DEP_1)
	v_fma_f64 v[11:12], v[15:16], v[4:5], v[11:12]
	v_fma_f64 v[15:16], -v[11:12], v[11:12], v[0:1]
	s_delay_alu instid0(VALU_DEP_1) | instskip(SKIP_2) | instid1(VALU_DEP_2)
	v_fma_f64 v[4:5], v[15:16], v[4:5], v[11:12]
	v_cndmask_b32_e64 v11, 0, 0xffffff80, vcc_lo
	v_cmp_class_f64_e64 vcc_lo, v[0:1], 0x260
	v_ldexp_f64 v[4:5], v[4:5], v11
	v_mov_b32_e32 v11, v6
	s_delay_alu instid0(VALU_DEP_2) | instskip(NEXT) | instid1(VALU_DEP_1)
	v_dual_cndmask_b32 v1, v5, v1 :: v_dual_cndmask_b32 v0, v4, v0
	v_add_f64 v[4:5], v[0:1], v[0:1]
	v_bfi_b32 v1, 0x7fffffff, v1, v7
	v_and_b32_e32 v12, 0x7fffffff, v7
	s_delay_alu instid0(VALU_DEP_1) | instskip(SKIP_1) | instid1(VALU_DEP_2)
	v_div_scale_f64 v[15:16], null, v[4:5], v[4:5], v[11:12]
	v_div_scale_f64 v[11:12], vcc_lo, v[11:12], v[4:5], v[11:12]
	v_rcp_f64_e32 v[24:25], v[15:16]
	s_waitcnt_depctr 0xfff
	v_fma_f64 v[26:27], -v[15:16], v[24:25], 1.0
	s_delay_alu instid0(VALU_DEP_1) | instskip(NEXT) | instid1(VALU_DEP_1)
	v_fma_f64 v[24:25], v[24:25], v[26:27], v[24:25]
	v_fma_f64 v[26:27], -v[15:16], v[24:25], 1.0
	s_delay_alu instid0(VALU_DEP_1) | instskip(NEXT) | instid1(VALU_DEP_1)
	v_fma_f64 v[24:25], v[24:25], v[26:27], v[24:25]
	v_mul_f64 v[26:27], v[11:12], v[24:25]
	s_delay_alu instid0(VALU_DEP_1) | instskip(NEXT) | instid1(VALU_DEP_1)
	v_fma_f64 v[11:12], -v[15:16], v[26:27], v[11:12]
	v_div_fmas_f64 v[11:12], v[11:12], v[24:25], v[26:27]
	s_delay_alu instid0(VALU_DEP_1) | instskip(SKIP_3) | instid1(SALU_CYCLE_1)
	v_div_fixup_f64 v[4:5], v[11:12], v[4:5], |v[6:7]|
	v_dual_mov_b32 v7, v1 :: v_dual_mov_b32 v6, v0
	s_or_b32 exec_lo, exec_lo, s1
	s_and_saveexec_b32 s1, s0
	s_xor_b32 s0, exec_lo, s1
	s_cbranch_execnz .LBB225_1596
.LBB225_1601:
	s_and_not1_saveexec_b32 s0, s0
.LBB225_1602:
	s_delay_alu instid0(VALU_DEP_2) | instskip(NEXT) | instid1(VALU_DEP_2)
	v_add_f64 v[4:5], v[4:5], v[4:5]
	v_add_f64 v[6:7], v[6:7], v[6:7]
.LBB225_1603:
	s_or_b32 exec_lo, exec_lo, s0
.LBB225_1604:
	s_and_not1_saveexec_b32 s0, s13
	s_cbranch_execz .LBB225_1610
; %bb.1605:
	s_delay_alu instid0(VALU_DEP_1) | instskip(SKIP_1) | instid1(VALU_DEP_3)
	v_add_f64 v[0:1], v[6:7], -v[6:7]
	s_mov_b32 s1, exec_lo
	v_cmpx_lt_i64_e32 -1, v[4:5]
	s_xor_b32 s1, exec_lo, s1
; %bb.1606:
	s_delay_alu instid0(VALU_DEP_2) | instskip(NEXT) | instid1(VALU_DEP_1)
	v_bfi_b32 v1, 0x7fffffff, v1, v7
	v_dual_mov_b32 v7, v1 :: v_dual_mov_b32 v6, v0
                                        ; implicit-def: $vgpr0_vgpr1
; %bb.1607:
	s_and_not1_saveexec_b32 s1, s1
; %bb.1608:
	s_delay_alu instid0(VALU_DEP_1) | instskip(SKIP_1) | instid1(VALU_DEP_2)
	v_bfi_b32 v5, 0x7fffffff, v5, v7
	v_and_b32_e32 v1, 0x7fffffff, v1
	v_dual_mov_b32 v7, v5 :: v_dual_mov_b32 v6, v4
	s_delay_alu instid0(VALU_DEP_2)
	v_dual_mov_b32 v5, v1 :: v_dual_mov_b32 v4, v0
; %bb.1609:
	s_or_b32 exec_lo, exec_lo, s1
.LBB225_1610:
	s_delay_alu instid0(SALU_CYCLE_1)
	s_or_b32 exec_lo, exec_lo, s0
.LBB225_1611:
	s_and_not1_saveexec_b32 s0, s12
; %bb.1612:
	s_delay_alu instid0(VALU_DEP_1) | instskip(NEXT) | instid1(VALU_DEP_1)
	v_add_f64 v[0:1], v[6:7], -v[6:7]
	v_div_scale_f64 v[6:7], vcc_lo, v[0:1], v[0:1], v[0:1]
	s_delay_alu instid0(VALU_DEP_1) | instskip(SKIP_2) | instid1(VALU_DEP_1)
	v_rcp_f64_e32 v[11:12], v[6:7]
	s_waitcnt_depctr 0xfff
	v_fma_f64 v[15:16], -v[6:7], v[11:12], 1.0
	v_fma_f64 v[11:12], v[11:12], v[15:16], v[11:12]
	s_delay_alu instid0(VALU_DEP_1) | instskip(NEXT) | instid1(VALU_DEP_1)
	v_fma_f64 v[15:16], -v[6:7], v[11:12], 1.0
	v_fma_f64 v[11:12], v[11:12], v[15:16], v[11:12]
	s_delay_alu instid0(VALU_DEP_1) | instskip(NEXT) | instid1(VALU_DEP_1)
	v_mul_f64 v[15:16], v[6:7], v[11:12]
	v_fma_f64 v[6:7], -v[6:7], v[15:16], v[6:7]
	s_delay_alu instid0(VALU_DEP_1) | instskip(NEXT) | instid1(VALU_DEP_1)
	v_div_fmas_f64 v[6:7], v[6:7], v[11:12], v[15:16]
	v_div_fixup_f64 v[6:7], v[6:7], v[0:1], v[0:1]
; %bb.1613:
	s_or_b32 exec_lo, exec_lo, s0
	v_dual_mov_b32 v0, v4 :: v_dual_mov_b32 v1, v5
.LBB225_1614:
	s_or_b32 exec_lo, exec_lo, s3
.LBB225_1615:
	s_delay_alu instid0(SALU_CYCLE_1) | instskip(SKIP_2) | instid1(VALU_DEP_1)
	s_or_b32 exec_lo, exec_lo, s2
	v_cmp_gt_i16_e32 vcc_lo, 11, v18
	v_add_co_u32 v4, s0, s6, v10
	v_add_co_ci_u32_e64 v5, null, s7, 0, s0
	s_mov_b32 s2, 0
	s_cbranch_vccnz .LBB225_1622
; %bb.1616:
	v_cmp_lt_i16_e32 vcc_lo, 25, v18
	s_mov_b32 s13, 0
	s_cbranch_vccz .LBB225_1628
; %bb.1617:
	v_cmp_lt_i16_e32 vcc_lo, 28, v18
	s_cbranch_vccz .LBB225_1630
; %bb.1618:
	v_cmp_lt_i16_e32 vcc_lo, 43, v18
	s_cbranch_vccz .LBB225_1632
; %bb.1619:
	v_cmp_lt_i16_e32 vcc_lo, 45, v18
	s_cbranch_vccz .LBB225_1636
; %bb.1620:
	v_cmp_eq_u16_e32 vcc_lo, 46, v18
	s_mov_b32 s0, 0
	s_cbranch_vccz .LBB225_1681
; %bb.1621:
	global_load_b32 v10, v[4:5], off
	s_mov_b32 s12, 0
	s_mov_b32 s2, -1
	s_waitcnt vmcnt(0)
	v_lshlrev_b32_e32 v11, 16, v10
	v_and_b32_e32 v12, 0xffff0000, v10
	s_delay_alu instid0(VALU_DEP_2) | instskip(NEXT) | instid1(VALU_DEP_2)
	v_cvt_f64_f32_e32 v[10:11], v11
	v_cvt_f64_f32_e32 v[12:13], v12
	s_branch .LBB225_1683
.LBB225_1622:
                                        ; implicit-def: $vgpr12_vgpr13
	s_cbranch_execz .LBB225_1752
; %bb.1623:
	v_cmp_gt_i16_e32 vcc_lo, 5, v18
	s_cbranch_vccnz .LBB225_1629
; %bb.1624:
	v_cmp_gt_i16_e32 vcc_lo, 8, v18
	s_cbranch_vccnz .LBB225_1631
	;; [unrolled: 3-line block ×3, first 2 shown]
; %bb.1626:
	v_cmp_lt_i16_e32 vcc_lo, 9, v18
	s_cbranch_vccz .LBB225_1637
; %bb.1627:
	global_load_b128 v[10:13], v[4:5], off
	s_mov_b32 s0, 0
	s_branch .LBB225_1638
.LBB225_1628:
	s_mov_b32 s0, -1
	s_mov_b32 s12, 0
                                        ; implicit-def: $vgpr12_vgpr13
	s_branch .LBB225_1716
.LBB225_1629:
	s_mov_b32 s0, -1
                                        ; implicit-def: $vgpr12_vgpr13
	s_branch .LBB225_1657
.LBB225_1630:
	s_mov_b32 s0, -1
	s_mov_b32 s12, 0
                                        ; implicit-def: $vgpr12_vgpr13
	s_branch .LBB225_1695
.LBB225_1631:
	s_mov_b32 s0, -1
                                        ; implicit-def: $vgpr12_vgpr13
	s_branch .LBB225_1644
.LBB225_1632:
	s_mov_b32 s0, -1
	s_mov_b32 s12, 0
                                        ; implicit-def: $vgpr12_vgpr13
	s_branch .LBB225_1689
.LBB225_1633:
	s_mov_b32 s0, -1
                                        ; implicit-def: $vgpr12_vgpr13
	s_branch .LBB225_1641
.LBB225_1634:
	s_cbranch_execnz .LBB225_1679
; %bb.1635:
	s_or_b32 s10, s10, exec_lo
                                        ; implicit-def: $vgpr6_vgpr7
	s_cbranch_execz .LBB225_1580
	s_branch .LBB225_1581
.LBB225_1636:
	s_mov_b32 s0, -1
	s_mov_b32 s12, 0
	s_branch .LBB225_1682
.LBB225_1637:
	s_mov_b32 s0, -1
                                        ; implicit-def: $vgpr12_vgpr13
.LBB225_1638:
	s_delay_alu instid0(SALU_CYCLE_1)
	s_and_not1_b32 vcc_lo, exec_lo, s0
	s_cbranch_vccnz .LBB225_1640
; %bb.1639:
	global_load_b64 v[11:12], v[4:5], off
	s_waitcnt vmcnt(0)
	v_cvt_f64_f32_e32 v[10:11], v11
	v_cvt_f64_f32_e32 v[12:13], v12
.LBB225_1640:
	s_mov_b32 s0, 0
.LBB225_1641:
	s_delay_alu instid0(SALU_CYCLE_1)
	s_and_not1_b32 vcc_lo, exec_lo, s0
	s_cbranch_vccnz .LBB225_1643
; %bb.1642:
	global_load_b32 v10, v[4:5], off
	s_waitcnt vmcnt(0)
	v_lshrrev_b32_e32 v11, 16, v10
	v_cvt_f32_f16_e32 v10, v10
	s_delay_alu instid0(VALU_DEP_2) | instskip(NEXT) | instid1(VALU_DEP_2)
	v_cvt_f32_f16_e32 v12, v11
	v_cvt_f64_f32_e32 v[10:11], v10
	s_delay_alu instid0(VALU_DEP_2)
	v_cvt_f64_f32_e32 v[12:13], v12
.LBB225_1643:
	s_mov_b32 s0, 0
.LBB225_1644:
	s_delay_alu instid0(SALU_CYCLE_1)
	s_and_not1_b32 vcc_lo, exec_lo, s0
	s_cbranch_vccnz .LBB225_1656
; %bb.1645:
	v_cmp_gt_i16_e32 vcc_lo, 6, v18
	s_cbranch_vccnz .LBB225_1648
; %bb.1646:
	v_cmp_lt_i16_e32 vcc_lo, 6, v18
	s_cbranch_vccz .LBB225_1649
; %bb.1647:
	global_load_b64 v[10:11], v[4:5], off
	s_mov_b32 s2, 0
	s_mov_b64 s[0:1], 0
	s_branch .LBB225_1650
.LBB225_1648:
	s_mov_b32 s2, -1
                                        ; implicit-def: $sgpr0_sgpr1
                                        ; implicit-def: $vgpr10_vgpr11
	s_branch .LBB225_1653
.LBB225_1649:
	s_mov_b32 s2, -1
                                        ; implicit-def: $sgpr0_sgpr1
                                        ; implicit-def: $vgpr10_vgpr11
.LBB225_1650:
	s_delay_alu instid0(SALU_CYCLE_1)
	s_and_not1_b32 vcc_lo, exec_lo, s2
	s_cbranch_vccnz .LBB225_1652
; %bb.1651:
	global_load_b32 v10, v[4:5], off
	s_mov_b64 s[0:1], 0
	s_waitcnt vmcnt(0)
	v_cvt_f64_f32_e32 v[10:11], v10
.LBB225_1652:
	s_mov_b32 s2, 0
.LBB225_1653:
	s_delay_alu instid0(SALU_CYCLE_1)
	s_and_not1_b32 vcc_lo, exec_lo, s2
	s_cbranch_vccnz .LBB225_1655
; %bb.1654:
	global_load_u16 v10, v[4:5], off
	s_mov_b64 s[0:1], 0
	s_waitcnt vmcnt(0)
	v_cvt_f32_f16_e32 v10, v10
	s_delay_alu instid0(VALU_DEP_1)
	v_cvt_f64_f32_e32 v[10:11], v10
.LBB225_1655:
	s_waitcnt vmcnt(0)
	v_dual_mov_b32 v13, s1 :: v_dual_mov_b32 v12, s0
.LBB225_1656:
	s_mov_b32 s0, 0
.LBB225_1657:
	s_delay_alu instid0(SALU_CYCLE_1)
	s_and_not1_b32 vcc_lo, exec_lo, s0
	s_cbranch_vccnz .LBB225_1678
; %bb.1658:
	v_cmp_gt_i16_e32 vcc_lo, 2, v18
	s_cbranch_vccnz .LBB225_1662
; %bb.1659:
	v_cmp_gt_i16_e32 vcc_lo, 3, v18
	s_cbranch_vccnz .LBB225_1663
; %bb.1660:
	v_cmp_lt_i16_e32 vcc_lo, 3, v18
	s_cbranch_vccz .LBB225_1664
; %bb.1661:
	global_load_b64 v[10:11], v[4:5], off
	s_mov_b32 s2, 0
	s_mov_b64 s[0:1], 0
	s_waitcnt vmcnt(0)
	v_cvt_f64_i32_e32 v[11:12], v11
	v_cvt_f64_u32_e32 v[15:16], v10
	s_delay_alu instid0(VALU_DEP_2) | instskip(NEXT) | instid1(VALU_DEP_1)
	v_ldexp_f64 v[11:12], v[11:12], 32
	v_add_f64 v[10:11], v[11:12], v[15:16]
	s_branch .LBB225_1665
.LBB225_1662:
	s_mov_b32 s2, -1
                                        ; implicit-def: $sgpr0_sgpr1
                                        ; implicit-def: $vgpr10_vgpr11
	s_branch .LBB225_1671
.LBB225_1663:
	s_mov_b32 s2, -1
                                        ; implicit-def: $sgpr0_sgpr1
                                        ; implicit-def: $vgpr10_vgpr11
	s_branch .LBB225_1668
.LBB225_1664:
	s_mov_b32 s2, -1
                                        ; implicit-def: $sgpr0_sgpr1
                                        ; implicit-def: $vgpr10_vgpr11
.LBB225_1665:
	s_delay_alu instid0(SALU_CYCLE_1)
	s_and_not1_b32 vcc_lo, exec_lo, s2
	s_cbranch_vccnz .LBB225_1667
; %bb.1666:
	global_load_b32 v10, v[4:5], off
	s_mov_b64 s[0:1], 0
	s_waitcnt vmcnt(0)
	v_cvt_f64_i32_e32 v[10:11], v10
.LBB225_1667:
	s_mov_b32 s2, 0
.LBB225_1668:
	s_delay_alu instid0(SALU_CYCLE_1)
	s_and_not1_b32 vcc_lo, exec_lo, s2
	s_cbranch_vccnz .LBB225_1670
; %bb.1669:
	global_load_i16 v10, v[4:5], off
	s_mov_b64 s[0:1], 0
	s_waitcnt vmcnt(0)
	v_cvt_f64_i32_e32 v[10:11], v10
.LBB225_1670:
	s_mov_b32 s2, 0
.LBB225_1671:
	s_delay_alu instid0(SALU_CYCLE_1)
	s_and_not1_b32 vcc_lo, exec_lo, s2
	s_cbranch_vccnz .LBB225_1677
; %bb.1672:
	v_cmp_lt_i16_e32 vcc_lo, 0, v18
	s_mov_b32 s2, 0
	s_cbranch_vccz .LBB225_1674
; %bb.1673:
	global_load_i8 v10, v[4:5], off
	s_mov_b64 s[0:1], 0
	s_waitcnt vmcnt(0)
	v_cvt_f64_i32_e32 v[10:11], v10
	s_branch .LBB225_1675
.LBB225_1674:
	s_mov_b32 s2, -1
                                        ; implicit-def: $sgpr0_sgpr1
                                        ; implicit-def: $vgpr10_vgpr11
.LBB225_1675:
	s_delay_alu instid0(SALU_CYCLE_1)
	s_and_not1_b32 vcc_lo, exec_lo, s2
	s_cbranch_vccnz .LBB225_1677
; %bb.1676:
	global_load_u8 v4, v[4:5], off
	s_mov_b64 s[0:1], 0
	s_waitcnt vmcnt(0)
	v_cvt_f64_u32_e32 v[10:11], v4
.LBB225_1677:
	s_waitcnt vmcnt(0)
	v_dual_mov_b32 v13, s1 :: v_dual_mov_b32 v12, s0
.LBB225_1678:
	s_branch .LBB225_1753
.LBB225_1679:
	s_trap 2
	s_sendmsg_rtn_b32 s0, sendmsg(MSG_RTN_GET_DOORBELL)
	s_mov_b32 ttmp2, m0
	s_waitcnt lgkmcnt(0)
	s_and_b32 s0, s0, 0x3ff
	s_delay_alu instid0(SALU_CYCLE_1) | instskip(NEXT) | instid1(SALU_CYCLE_1)
	s_bitset1_b32 s0, 10
	s_mov_b32 m0, s0
	s_sendmsg sendmsg(MSG_INTERRUPT)
	s_mov_b32 m0, ttmp2
.LBB225_1680:                           ; =>This Inner Loop Header: Depth=1
	s_sethalt 5
	s_branch .LBB225_1680
.LBB225_1681:
	s_mov_b32 s12, -1
.LBB225_1682:
                                        ; implicit-def: $vgpr12_vgpr13
.LBB225_1683:
	s_and_b32 vcc_lo, exec_lo, s0
	s_cbranch_vccz .LBB225_1688
; %bb.1684:
	v_cmp_eq_u16_e32 vcc_lo, 44, v18
	s_cbranch_vccz .LBB225_1686
; %bb.1685:
	global_load_u8 v12, v[4:5], off
	s_mov_b32 s12, 0
	s_mov_b32 s2, -1
	s_mov_b64 s[0:1], 0
	s_waitcnt vmcnt(0)
	v_cmp_ne_u32_e32 vcc_lo, 0xff, v12
	v_lshlrev_b32_e32 v10, 23, v12
	s_delay_alu instid0(VALU_DEP_1) | instskip(NEXT) | instid1(VALU_DEP_1)
	v_cvt_f64_f32_e32 v[10:11], v10
	v_cndmask_b32_e32 v11, 0x7ff80000, v11, vcc_lo
	s_delay_alu instid0(VALU_DEP_2) | instskip(SKIP_1) | instid1(VALU_DEP_3)
	v_cndmask_b32_e32 v10, 0x20000000, v10, vcc_lo
	v_cmp_ne_u32_e32 vcc_lo, 0, v12
	v_cndmask_b32_e32 v11, 0x38000000, v11, vcc_lo
	s_delay_alu instid0(VALU_DEP_3)
	v_cndmask_b32_e32 v10, 0, v10, vcc_lo
	s_branch .LBB225_1687
.LBB225_1686:
	s_mov_b32 s12, -1
                                        ; implicit-def: $sgpr0_sgpr1
                                        ; implicit-def: $vgpr10_vgpr11
.LBB225_1687:
	v_dual_mov_b32 v13, s1 :: v_dual_mov_b32 v12, s0
.LBB225_1688:
	s_mov_b32 s0, 0
.LBB225_1689:
	s_delay_alu instid0(SALU_CYCLE_1)
	s_and_b32 vcc_lo, exec_lo, s0
	s_cbranch_vccz .LBB225_1694
; %bb.1690:
	v_cmp_eq_u16_e32 vcc_lo, 29, v18
	s_cbranch_vccz .LBB225_1692
; %bb.1691:
	global_load_b64 v[10:11], v[4:5], off
	s_mov_b32 s12, 0
	s_mov_b32 s2, -1
	s_mov_b64 s[0:1], 0
	s_waitcnt vmcnt(0)
	v_cvt_f64_u32_e32 v[11:12], v11
	v_cvt_f64_u32_e32 v[15:16], v10
	s_delay_alu instid0(VALU_DEP_2) | instskip(NEXT) | instid1(VALU_DEP_1)
	v_ldexp_f64 v[11:12], v[11:12], 32
	v_add_f64 v[10:11], v[11:12], v[15:16]
	s_branch .LBB225_1693
.LBB225_1692:
	s_mov_b32 s12, -1
                                        ; implicit-def: $sgpr0_sgpr1
                                        ; implicit-def: $vgpr10_vgpr11
.LBB225_1693:
	v_dual_mov_b32 v13, s1 :: v_dual_mov_b32 v12, s0
.LBB225_1694:
	s_mov_b32 s0, 0
.LBB225_1695:
	s_delay_alu instid0(SALU_CYCLE_1)
	s_and_b32 vcc_lo, exec_lo, s0
	s_cbranch_vccz .LBB225_1715
; %bb.1696:
	v_cmp_gt_i16_e32 vcc_lo, 27, v18
	s_cbranch_vccnz .LBB225_1699
; %bb.1697:
	v_cmp_lt_i16_e32 vcc_lo, 27, v18
	s_cbranch_vccz .LBB225_1700
; %bb.1698:
	global_load_b32 v10, v[4:5], off
	s_mov_b32 s2, 0
	s_mov_b64 s[0:1], 0
	s_waitcnt vmcnt(0)
	v_cvt_f64_u32_e32 v[10:11], v10
	s_branch .LBB225_1701
.LBB225_1699:
	s_mov_b32 s2, -1
                                        ; implicit-def: $sgpr0_sgpr1
                                        ; implicit-def: $vgpr10_vgpr11
	s_branch .LBB225_1704
.LBB225_1700:
	s_mov_b32 s2, -1
                                        ; implicit-def: $sgpr0_sgpr1
                                        ; implicit-def: $vgpr10_vgpr11
.LBB225_1701:
	s_delay_alu instid0(SALU_CYCLE_1)
	s_and_not1_b32 vcc_lo, exec_lo, s2
	s_cbranch_vccnz .LBB225_1703
; %bb.1702:
	global_load_u16 v10, v[4:5], off
	s_mov_b64 s[0:1], 0
	s_waitcnt vmcnt(0)
	v_cvt_f64_u32_e32 v[10:11], v10
.LBB225_1703:
	s_mov_b32 s2, 0
.LBB225_1704:
	v_dual_mov_b32 v13, s1 :: v_dual_mov_b32 v12, s0
	s_and_not1_b32 vcc_lo, exec_lo, s2
	s_cbranch_vccnz .LBB225_1714
; %bb.1705:
	global_load_u8 v15, v[4:5], off
	s_mov_b32 s14, 0
	s_mov_b32 s15, exec_lo
                                        ; implicit-def: $sgpr0_sgpr1
                                        ; implicit-def: $sgpr2_sgpr3
	s_waitcnt vmcnt(0)
	v_cmpx_lt_i16_e32 0x7f, v15
	s_xor_b32 s15, exec_lo, s15
	s_cbranch_execz .LBB225_1709
; %bb.1706:
	s_mov_b32 s14, -1
	s_mov_b32 s16, exec_lo
                                        ; implicit-def: $sgpr0_sgpr1
                                        ; implicit-def: $sgpr2_sgpr3
	v_cmpx_eq_u16_e32 0x80, v15
; %bb.1707:
	s_mov_b64 s[0:1], 0
	s_mov_b32 s3, 0x7ff80000
	s_brev_b32 s2, 4
	s_xor_b32 s14, exec_lo, -1
; %bb.1708:
	s_or_b32 exec_lo, exec_lo, s16
	s_delay_alu instid0(SALU_CYCLE_1)
	s_and_b32 s14, s14, exec_lo
.LBB225_1709:
	s_or_saveexec_b32 s15, s15
	v_dual_mov_b32 v13, s1 :: v_dual_mov_b32 v12, s0
	v_dual_mov_b32 v11, s3 :: v_dual_mov_b32 v10, s2
	s_xor_b32 exec_lo, exec_lo, s15
; %bb.1710:
	v_mov_b32_e32 v12, 0
	v_mov_b32_e32 v13, 0
	v_cmp_ne_u16_e32 vcc_lo, 0, v15
	s_delay_alu instid0(VALU_DEP_3) | instskip(SKIP_1) | instid1(VALU_DEP_3)
	v_mov_b32_e32 v10, v12
	s_and_not1_b32 s0, s14, exec_lo
	v_mov_b32_e32 v11, v13
	s_and_b32 s1, vcc_lo, exec_lo
	s_delay_alu instid0(SALU_CYCLE_1)
	s_or_b32 s14, s0, s1
; %bb.1711:
	s_or_b32 exec_lo, exec_lo, s15
	s_and_saveexec_b32 s0, s14
	s_cbranch_execz .LBB225_1713
; %bb.1712:
	v_and_b32_e32 v10, 0xffff, v15
	v_lshlrev_b32_e32 v15, 24, v15
	s_delay_alu instid0(VALU_DEP_2) | instskip(NEXT) | instid1(VALU_DEP_1)
	v_and_b32_e32 v11, 7, v10
	v_clz_i32_u32_e32 v12, v11
	s_delay_alu instid0(VALU_DEP_1) | instskip(NEXT) | instid1(VALU_DEP_1)
	v_min_u32_e32 v12, 32, v12
	v_subrev_nc_u32_e32 v13, 28, v12
	v_sub_nc_u32_e32 v12, 29, v12
	s_delay_alu instid0(VALU_DEP_2) | instskip(SKIP_1) | instid1(VALU_DEP_2)
	v_lshlrev_b32_e32 v13, v13, v10
	v_bfe_u32 v10, v10, 3, 4
	v_and_b32_e32 v13, 7, v13
	s_delay_alu instid0(VALU_DEP_2) | instskip(NEXT) | instid1(VALU_DEP_2)
	v_cmp_eq_u32_e32 vcc_lo, 0, v10
	v_dual_cndmask_b32 v10, v10, v12 :: v_dual_cndmask_b32 v11, v11, v13
	v_and_b32_e32 v12, 0x80000000, v15
	s_delay_alu instid0(VALU_DEP_2) | instskip(NEXT) | instid1(VALU_DEP_3)
	v_lshl_add_u32 v10, v10, 23, 0x3b800000
	v_lshlrev_b32_e32 v11, 20, v11
	s_delay_alu instid0(VALU_DEP_1) | instskip(SKIP_2) | instid1(VALU_DEP_3)
	v_or3_b32 v10, v12, v10, v11
	v_mov_b32_e32 v12, 0
	v_mov_b32_e32 v13, 0
	v_cvt_f64_f32_e32 v[10:11], v10
.LBB225_1713:
	s_or_b32 exec_lo, exec_lo, s0
.LBB225_1714:
	s_mov_b32 s2, -1
.LBB225_1715:
	s_mov_b32 s0, 0
.LBB225_1716:
	s_delay_alu instid0(SALU_CYCLE_1)
	s_and_b32 vcc_lo, exec_lo, s0
	s_cbranch_vccz .LBB225_1748
; %bb.1717:
	v_cmp_lt_i16_e32 vcc_lo, 22, v18
	s_cbranch_vccz .LBB225_1729
; %bb.1718:
	v_cmp_gt_i16_e32 vcc_lo, 24, v18
	s_cbranch_vccnz .LBB225_1730
; %bb.1719:
	v_cmp_lt_i16_e32 vcc_lo, 24, v18
	s_cbranch_vccz .LBB225_1731
; %bb.1720:
	global_load_u8 v15, v[4:5], off
	s_mov_b32 s14, exec_lo
                                        ; implicit-def: $sgpr0_sgpr1
                                        ; implicit-def: $sgpr2_sgpr3
	s_waitcnt vmcnt(0)
	v_cmpx_lt_i16_e32 0x7f, v15
	s_xor_b32 s14, exec_lo, s14
	s_cbranch_execz .LBB225_1724
; %bb.1721:
	s_mov_b32 s13, -1
	s_mov_b32 s15, exec_lo
                                        ; implicit-def: $sgpr0_sgpr1
                                        ; implicit-def: $sgpr2_sgpr3
	v_cmpx_eq_u16_e32 0x80, v15
; %bb.1722:
	s_mov_b64 s[0:1], 0
	s_mov_b32 s3, 0x7ff80000
	s_brev_b32 s2, 4
	s_xor_b32 s13, exec_lo, -1
; %bb.1723:
	s_or_b32 exec_lo, exec_lo, s15
	s_delay_alu instid0(SALU_CYCLE_1)
	s_and_b32 s13, s13, exec_lo
.LBB225_1724:
	s_or_saveexec_b32 s14, s14
	v_dual_mov_b32 v13, s1 :: v_dual_mov_b32 v12, s0
	v_dual_mov_b32 v11, s3 :: v_dual_mov_b32 v10, s2
	s_xor_b32 exec_lo, exec_lo, s14
; %bb.1725:
	v_mov_b32_e32 v12, 0
	v_mov_b32_e32 v13, 0
	v_cmp_ne_u16_e32 vcc_lo, 0, v15
	s_delay_alu instid0(VALU_DEP_3) | instskip(SKIP_1) | instid1(VALU_DEP_3)
	v_mov_b32_e32 v10, v12
	s_and_not1_b32 s0, s13, exec_lo
	v_mov_b32_e32 v11, v13
	s_and_b32 s1, vcc_lo, exec_lo
	s_delay_alu instid0(SALU_CYCLE_1)
	s_or_b32 s13, s0, s1
; %bb.1726:
	s_or_b32 exec_lo, exec_lo, s14
	s_and_saveexec_b32 s0, s13
	s_cbranch_execz .LBB225_1728
; %bb.1727:
	v_and_b32_e32 v10, 0xffff, v15
	v_lshlrev_b32_e32 v15, 24, v15
	s_delay_alu instid0(VALU_DEP_2) | instskip(NEXT) | instid1(VALU_DEP_1)
	v_and_b32_e32 v11, 3, v10
	v_clz_i32_u32_e32 v12, v11
	s_delay_alu instid0(VALU_DEP_1) | instskip(NEXT) | instid1(VALU_DEP_1)
	v_min_u32_e32 v12, 32, v12
	v_subrev_nc_u32_e32 v13, 29, v12
	v_sub_nc_u32_e32 v12, 30, v12
	s_delay_alu instid0(VALU_DEP_2) | instskip(SKIP_1) | instid1(VALU_DEP_2)
	v_lshlrev_b32_e32 v13, v13, v10
	v_bfe_u32 v10, v10, 2, 5
	v_and_b32_e32 v13, 3, v13
	s_delay_alu instid0(VALU_DEP_2) | instskip(NEXT) | instid1(VALU_DEP_2)
	v_cmp_eq_u32_e32 vcc_lo, 0, v10
	v_dual_cndmask_b32 v10, v10, v12 :: v_dual_cndmask_b32 v11, v11, v13
	v_and_b32_e32 v12, 0x80000000, v15
	s_delay_alu instid0(VALU_DEP_2) | instskip(NEXT) | instid1(VALU_DEP_3)
	v_lshl_add_u32 v10, v10, 23, 0x37800000
	v_lshlrev_b32_e32 v11, 21, v11
	s_delay_alu instid0(VALU_DEP_1) | instskip(SKIP_2) | instid1(VALU_DEP_3)
	v_or3_b32 v10, v12, v10, v11
	v_mov_b32_e32 v12, 0
	v_mov_b32_e32 v13, 0
	v_cvt_f64_f32_e32 v[10:11], v10
.LBB225_1728:
	s_or_b32 exec_lo, exec_lo, s0
	s_mov_b32 s0, 0
	s_branch .LBB225_1732
.LBB225_1729:
	s_mov_b32 s0, -1
                                        ; implicit-def: $vgpr12_vgpr13
	s_branch .LBB225_1738
.LBB225_1730:
	s_mov_b32 s0, -1
                                        ; implicit-def: $vgpr12_vgpr13
	s_branch .LBB225_1735
.LBB225_1731:
	s_mov_b32 s0, -1
                                        ; implicit-def: $vgpr12_vgpr13
.LBB225_1732:
	s_delay_alu instid0(SALU_CYCLE_1)
	s_and_b32 vcc_lo, exec_lo, s0
	s_cbranch_vccz .LBB225_1734
; %bb.1733:
	global_load_u8 v10, v[4:5], off
	s_waitcnt vmcnt(0)
	v_lshlrev_b32_e32 v10, 24, v10
	s_delay_alu instid0(VALU_DEP_1) | instskip(NEXT) | instid1(VALU_DEP_1)
	v_and_b32_e32 v11, 0x7f000000, v10
	v_clz_i32_u32_e32 v12, v11
	v_add_nc_u32_e32 v15, 0x1000000, v11
	v_cmp_ne_u32_e32 vcc_lo, 0, v11
	s_delay_alu instid0(VALU_DEP_3) | instskip(NEXT) | instid1(VALU_DEP_1)
	v_min_u32_e32 v12, 32, v12
	v_sub_nc_u32_e64 v12, v12, 4 clamp
	s_delay_alu instid0(VALU_DEP_1) | instskip(SKIP_1) | instid1(VALU_DEP_2)
	v_lshlrev_b32_e32 v13, v12, v11
	v_lshlrev_b32_e32 v12, 23, v12
	v_lshrrev_b32_e32 v13, 4, v13
	s_delay_alu instid0(VALU_DEP_1) | instskip(SKIP_1) | instid1(VALU_DEP_2)
	v_sub_nc_u32_e32 v12, v13, v12
	v_ashrrev_i32_e32 v13, 8, v15
	v_add_nc_u32_e32 v12, 0x3c000000, v12
	s_delay_alu instid0(VALU_DEP_1) | instskip(NEXT) | instid1(VALU_DEP_1)
	v_and_or_b32 v12, 0x7f800000, v13, v12
	v_dual_cndmask_b32 v11, 0, v12 :: v_dual_mov_b32 v12, 0
	v_mov_b32_e32 v13, 0
	s_delay_alu instid0(VALU_DEP_2) | instskip(NEXT) | instid1(VALU_DEP_1)
	v_and_or_b32 v10, 0x80000000, v10, v11
	v_cvt_f64_f32_e32 v[10:11], v10
.LBB225_1734:
	s_mov_b32 s0, 0
.LBB225_1735:
	s_delay_alu instid0(SALU_CYCLE_1)
	s_and_not1_b32 vcc_lo, exec_lo, s0
	s_cbranch_vccnz .LBB225_1737
; %bb.1736:
	global_load_u8 v10, v[4:5], off
	s_waitcnt vmcnt(0)
	v_lshlrev_b32_e32 v11, 25, v10
	v_lshlrev_b16 v10, 8, v10
	s_delay_alu instid0(VALU_DEP_2) | instskip(NEXT) | instid1(VALU_DEP_2)
	v_lshrrev_b32_e32 v12, 4, v11
	v_and_or_b32 v13, 0x7f00, v10, 0.5
	v_bfe_i32 v10, v10, 0, 16
	s_delay_alu instid0(VALU_DEP_3) | instskip(NEXT) | instid1(VALU_DEP_1)
	v_or_b32_e32 v12, 0x70000000, v12
	v_dual_add_f32 v13, -0.5, v13 :: v_dual_mul_f32 v12, 0x7800000, v12
	v_cmp_gt_u32_e32 vcc_lo, 0x8000000, v11
	s_delay_alu instid0(VALU_DEP_2) | instskip(SKIP_1) | instid1(VALU_DEP_2)
	v_dual_cndmask_b32 v11, v12, v13 :: v_dual_mov_b32 v12, 0
	v_mov_b32_e32 v13, 0
	v_and_or_b32 v10, 0x80000000, v10, v11
	s_delay_alu instid0(VALU_DEP_1)
	v_cvt_f64_f32_e32 v[10:11], v10
.LBB225_1737:
	s_mov_b32 s0, 0
	s_mov_b32 s2, -1
.LBB225_1738:
	s_and_not1_b32 vcc_lo, exec_lo, s0
	s_mov_b32 s13, 0
	s_cbranch_vccnz .LBB225_1748
; %bb.1739:
	v_cmp_lt_i16_e32 vcc_lo, 14, v18
	s_cbranch_vccz .LBB225_1742
; %bb.1740:
	v_cmp_eq_u16_e32 vcc_lo, 15, v18
	s_cbranch_vccz .LBB225_1743
; %bb.1741:
	global_load_u16 v10, v[4:5], off
	s_mov_b32 s12, 0
	s_mov_b32 s2, -1
	s_mov_b64 s[0:1], 0
	s_waitcnt vmcnt(0)
	v_lshlrev_b32_e32 v10, 16, v10
	s_delay_alu instid0(VALU_DEP_1)
	v_cvt_f64_f32_e32 v[10:11], v10
	s_branch .LBB225_1744
.LBB225_1742:
	s_mov_b32 s3, -1
                                        ; implicit-def: $sgpr0_sgpr1
                                        ; implicit-def: $vgpr10_vgpr11
	s_branch .LBB225_1745
.LBB225_1743:
	s_mov_b32 s12, -1
                                        ; implicit-def: $sgpr0_sgpr1
                                        ; implicit-def: $vgpr10_vgpr11
.LBB225_1744:
	s_mov_b32 s3, 0
.LBB225_1745:
	s_delay_alu instid0(SALU_CYCLE_1)
	s_and_b32 vcc_lo, exec_lo, s3
	s_cbranch_vccz .LBB225_1747
; %bb.1746:
	v_cmp_ne_u16_e64 s12, 11, v18
	s_mov_b32 s13, -1
                                        ; implicit-def: $sgpr0_sgpr1
                                        ; implicit-def: $vgpr10_vgpr11
.LBB225_1747:
	v_dual_mov_b32 v13, s1 :: v_dual_mov_b32 v12, s0
.LBB225_1748:
	s_delay_alu instid0(VALU_DEP_2)
	s_and_b32 vcc_lo, exec_lo, s12
	s_cbranch_vccnz .LBB225_1796
; %bb.1749:
	s_and_not1_b32 vcc_lo, exec_lo, s13
	s_cbranch_vccnz .LBB225_1751
.LBB225_1750:
	global_load_u8 v10, v[4:5], off
	v_mov_b32_e32 v12, 0
	v_mov_b32_e32 v13, 0
	s_mov_b32 s2, -1
	s_waitcnt vmcnt(0)
	v_cmp_ne_u16_e32 vcc_lo, 0, v10
	v_mov_b32_e32 v10, 0
	v_cndmask_b32_e64 v11, 0, 0x3ff00000, vcc_lo
.LBB225_1751:
.LBB225_1752:
	s_and_not1_b32 vcc_lo, exec_lo, s2
	s_cbranch_vccnz .LBB225_1940
.LBB225_1753:
	s_waitcnt vmcnt(0)
	s_delay_alu instid0(VALU_DEP_1) | instskip(NEXT) | instid1(VALU_DEP_2)
	v_cmp_neq_f64_e32 vcc_lo, 0, v[10:11]
	v_cmp_neq_f64_e64 s0, 0, v[12:13]
	v_mov_b32_e32 v4, 0
	v_mov_b32_e32 v5, 0
	s_delay_alu instid0(VALU_DEP_3) | instskip(NEXT) | instid1(SALU_CYCLE_1)
	s_or_b32 s0, vcc_lo, s0
	s_and_saveexec_b32 s2, s0
	s_cbranch_execz .LBB225_1785
; %bb.1754:
	s_mov_b32 s0, 0
	s_mov_b32 s1, 0x7ff00000
	v_mov_b32_e32 v4, s0
	v_mov_b32_e32 v5, s1
	s_mov_b32 s3, exec_lo
	v_cmpx_neq_f64_e64 0x7ff00000, |v[12:13]|
	s_cbranch_execz .LBB225_1784
; %bb.1755:
	s_mov_b32 s0, exec_lo
	v_cmpx_o_f64_e32 v[10:11], v[10:11]
	s_xor_b32 s12, exec_lo, s0
	s_cbranch_execz .LBB225_1781
; %bb.1756:
	s_mov_b32 s1, exec_lo
	v_cmpx_neq_f64_e64 0x7ff00000, |v[10:11]|
	s_xor_b32 s13, exec_lo, s1
	s_cbranch_execz .LBB225_1774
; %bb.1757:
	v_max_f64 v[4:5], |v[12:13]|, |v[12:13]|
	v_max_f64 v[15:16], |v[10:11]|, |v[10:11]|
	s_mov_b32 s0, 0x99fcef32
	s_mov_b32 s1, 0x7fda8279
                                        ; implicit-def: $sgpr14
	s_delay_alu instid0(VALU_DEP_1) | instskip(NEXT) | instid1(VALU_DEP_1)
	v_max_f64 v[4:5], v[15:16], v[4:5]
	v_cmp_nle_f64_e64 s0, s[0:1], v[4:5]
	s_delay_alu instid0(VALU_DEP_1) | instskip(NEXT) | instid1(SALU_CYCLE_1)
	s_and_saveexec_b32 s1, s0
	s_xor_b32 s1, exec_lo, s1
	s_cbranch_execz .LBB225_1761
; %bb.1758:
	v_cmp_ge_f64_e64 s14, 0x200000, |v[10:11]|
	v_cmp_ge_f64_e64 s15, 0x200000, |v[12:13]|
	s_delay_alu instid0(VALU_DEP_1)
	s_and_b32 s16, s14, s15
	s_mov_b32 s14, 0
	s_and_saveexec_b32 s15, s16
; %bb.1759:
	v_mul_f64 v[10:11], v[10:11], 4.0
	v_mul_f64 v[12:13], v[12:13], 4.0
	s_mov_b32 s14, exec_lo
; %bb.1760:
	s_or_b32 exec_lo, exec_lo, s15
	s_delay_alu instid0(SALU_CYCLE_1)
	s_and_b32 s14, s14, exec_lo
.LBB225_1761:
	s_and_not1_saveexec_b32 s1, s1
; %bb.1762:
	s_delay_alu instid0(VALU_DEP_2) | instskip(NEXT) | instid1(VALU_DEP_2)
	v_ldexp_f64 v[10:11], v[10:11], -2
	v_ldexp_f64 v[12:13], v[12:13], -2
	s_and_not1_b32 s14, s14, exec_lo
; %bb.1763:
	s_or_b32 exec_lo, exec_lo, s1
	s_delay_alu instid0(VALU_DEP_1) | instskip(NEXT) | instid1(VALU_DEP_3)
	v_max_f64 v[4:5], |v[12:13]|, |v[12:13]|
	v_max_f64 v[15:16], |v[10:11]|, |v[10:11]|
	v_cmp_class_f64_e64 s15, v[10:11], 0x204
	v_cmp_class_f64_e64 s16, v[12:13], 0x204
	v_cmp_le_f64_e64 s1, 0, v[10:11]
	s_delay_alu instid0(VALU_DEP_4) | instskip(NEXT) | instid1(VALU_DEP_3)
	v_max_f64 v[4:5], v[15:16], v[4:5]
	s_or_b32 s15, s16, s15
	s_delay_alu instid0(VALU_DEP_1) | instskip(NEXT) | instid1(VALU_DEP_1)
	v_frexp_exp_i32_f64_e32 v17, v[4:5]
	v_sub_nc_u32_e32 v15, 0, v17
	s_delay_alu instid0(VALU_DEP_1) | instskip(SKIP_1) | instid1(VALU_DEP_2)
	v_ldexp_f64 v[4:5], |v[12:13]|, v15
	v_ldexp_f64 v[15:16], |v[10:11]|, v15
	v_mul_f64 v[4:5], v[4:5], v[4:5]
	s_delay_alu instid0(VALU_DEP_1) | instskip(NEXT) | instid1(VALU_DEP_1)
	v_fma_f64 v[4:5], v[15:16], v[15:16], v[4:5]
	v_rsq_f64_e32 v[15:16], v[4:5]
	v_cmp_eq_f64_e32 vcc_lo, 0, v[4:5]
	s_waitcnt_depctr 0xfff
	v_mul_f64 v[24:25], v[4:5], v[15:16]
	v_mul_f64 v[15:16], v[15:16], 0.5
	s_delay_alu instid0(VALU_DEP_1) | instskip(NEXT) | instid1(VALU_DEP_1)
	v_fma_f64 v[26:27], -v[15:16], v[24:25], 0.5
	v_fma_f64 v[24:25], v[24:25], v[26:27], v[24:25]
	v_fma_f64 v[15:16], v[15:16], v[26:27], v[15:16]
	s_delay_alu instid0(VALU_DEP_2) | instskip(NEXT) | instid1(VALU_DEP_1)
	v_fma_f64 v[26:27], -v[24:25], v[24:25], v[4:5]
	v_fma_f64 v[15:16], v[26:27], v[15:16], v[24:25]
	s_delay_alu instid0(VALU_DEP_1) | instskip(SKIP_1) | instid1(VALU_DEP_2)
	v_dual_cndmask_b32 v5, v16, v5 :: v_dual_cndmask_b32 v4, v15, v4
	v_cmp_o_f64_e32 vcc_lo, v[12:13], v[12:13]
	v_ldexp_f64 v[4:5], v[4:5], v17
	s_delay_alu instid0(VALU_DEP_1) | instskip(NEXT) | instid1(VALU_DEP_2)
	v_cndmask_b32_e32 v4, 0, v4, vcc_lo
	v_cndmask_b32_e32 v5, 0x7ff80000, v5, vcc_lo
	s_delay_alu instid0(VALU_DEP_2) | instskip(NEXT) | instid1(VALU_DEP_2)
	v_cndmask_b32_e64 v4, v4, 0, s15
	v_cndmask_b32_e64 v5, v5, 0x7ff00000, s15
	s_and_saveexec_b32 s15, s1
	s_delay_alu instid0(SALU_CYCLE_1)
	s_xor_b32 s1, exec_lo, s15
	s_cbranch_execz .LBB225_1769
; %bb.1764:
	s_delay_alu instid0(VALU_DEP_1) | instskip(NEXT) | instid1(VALU_DEP_1)
	v_add_f64 v[4:5], v[10:11], v[4:5]
	v_mul_f64 v[4:5], v[4:5], 0.5
	s_delay_alu instid0(VALU_DEP_1) | instskip(SKIP_1) | instid1(VALU_DEP_1)
	v_cmp_gt_f64_e32 vcc_lo, 0x10000000, v[4:5]
	v_cndmask_b32_e64 v10, 0, 1, vcc_lo
	v_lshlrev_b32_e32 v10, 8, v10
	s_delay_alu instid0(VALU_DEP_1) | instskip(NEXT) | instid1(VALU_DEP_1)
	v_ldexp_f64 v[4:5], v[4:5], v10
	v_rsq_f64_e32 v[10:11], v[4:5]
	s_waitcnt_depctr 0xfff
	v_mul_f64 v[15:16], v[4:5], v[10:11]
	v_mul_f64 v[10:11], v[10:11], 0.5
	s_delay_alu instid0(VALU_DEP_1) | instskip(NEXT) | instid1(VALU_DEP_1)
	v_fma_f64 v[24:25], -v[10:11], v[15:16], 0.5
	v_fma_f64 v[15:16], v[15:16], v[24:25], v[15:16]
	v_fma_f64 v[10:11], v[10:11], v[24:25], v[10:11]
	s_delay_alu instid0(VALU_DEP_2) | instskip(NEXT) | instid1(VALU_DEP_1)
	v_fma_f64 v[24:25], -v[15:16], v[15:16], v[4:5]
	v_fma_f64 v[15:16], v[24:25], v[10:11], v[15:16]
	s_delay_alu instid0(VALU_DEP_1) | instskip(NEXT) | instid1(VALU_DEP_1)
	v_fma_f64 v[24:25], -v[15:16], v[15:16], v[4:5]
	v_fma_f64 v[10:11], v[24:25], v[10:11], v[15:16]
	v_cndmask_b32_e64 v15, 0, 0xffffff80, vcc_lo
	v_cmp_class_f64_e64 vcc_lo, v[4:5], 0x260
	s_delay_alu instid0(VALU_DEP_2) | instskip(NEXT) | instid1(VALU_DEP_1)
	v_ldexp_f64 v[10:11], v[10:11], v15
	v_dual_cndmask_b32 v11, v11, v5 :: v_dual_cndmask_b32 v10, v10, v4
	s_delay_alu instid0(VALU_DEP_1) | instskip(NEXT) | instid1(VALU_DEP_1)
	v_add_f64 v[4:5], v[10:11], v[10:11]
	v_div_scale_f64 v[15:16], null, v[4:5], v[4:5], v[12:13]
	s_delay_alu instid0(VALU_DEP_1) | instskip(SKIP_2) | instid1(VALU_DEP_1)
	v_rcp_f64_e32 v[24:25], v[15:16]
	s_waitcnt_depctr 0xfff
	v_fma_f64 v[26:27], -v[15:16], v[24:25], 1.0
	v_fma_f64 v[24:25], v[24:25], v[26:27], v[24:25]
	s_delay_alu instid0(VALU_DEP_1) | instskip(NEXT) | instid1(VALU_DEP_1)
	v_fma_f64 v[26:27], -v[15:16], v[24:25], 1.0
	v_fma_f64 v[24:25], v[24:25], v[26:27], v[24:25]
	v_div_scale_f64 v[26:27], vcc_lo, v[12:13], v[4:5], v[12:13]
	s_delay_alu instid0(VALU_DEP_1) | instskip(NEXT) | instid1(VALU_DEP_1)
	v_mul_f64 v[28:29], v[26:27], v[24:25]
	v_fma_f64 v[15:16], -v[15:16], v[28:29], v[26:27]
	s_delay_alu instid0(VALU_DEP_1) | instskip(NEXT) | instid1(VALU_DEP_1)
	v_div_fmas_f64 v[15:16], v[15:16], v[24:25], v[28:29]
	v_div_fixup_f64 v[12:13], v[15:16], v[4:5], v[12:13]
                                        ; implicit-def: $vgpr4_vgpr5
	s_and_not1_saveexec_b32 s1, s1
	s_cbranch_execnz .LBB225_1770
.LBB225_1765:
	s_or_b32 exec_lo, exec_lo, s1
	s_and_saveexec_b32 s1, s0
	s_delay_alu instid0(SALU_CYCLE_1)
	s_xor_b32 s0, exec_lo, s1
	s_cbranch_execz .LBB225_1771
.LBB225_1766:
	s_and_saveexec_b32 s1, s14
; %bb.1767:
	s_delay_alu instid0(VALU_DEP_2) | instskip(NEXT) | instid1(VALU_DEP_2)
	v_mul_f64 v[10:11], v[10:11], 0.5
	v_mul_f64 v[12:13], v[12:13], 0.5
; %bb.1768:
	s_or_b32 exec_lo, exec_lo, s1
	s_and_not1_saveexec_b32 s0, s0
	s_cbranch_execnz .LBB225_1772
	s_branch .LBB225_1773
.LBB225_1769:
	s_and_not1_saveexec_b32 s1, s1
	s_cbranch_execz .LBB225_1765
.LBB225_1770:
	v_add_f64 v[4:5], v[4:5], -v[10:11]
	s_delay_alu instid0(VALU_DEP_1) | instskip(NEXT) | instid1(VALU_DEP_1)
	v_mul_f64 v[4:5], v[4:5], 0.5
	v_cmp_gt_f64_e32 vcc_lo, 0x10000000, v[4:5]
	v_cndmask_b32_e64 v10, 0, 1, vcc_lo
	s_delay_alu instid0(VALU_DEP_1) | instskip(NEXT) | instid1(VALU_DEP_1)
	v_lshlrev_b32_e32 v10, 8, v10
	v_ldexp_f64 v[4:5], v[4:5], v10
	s_delay_alu instid0(VALU_DEP_1) | instskip(SKIP_3) | instid1(VALU_DEP_1)
	v_rsq_f64_e32 v[10:11], v[4:5]
	s_waitcnt_depctr 0xfff
	v_mul_f64 v[15:16], v[4:5], v[10:11]
	v_mul_f64 v[10:11], v[10:11], 0.5
	v_fma_f64 v[24:25], -v[10:11], v[15:16], 0.5
	s_delay_alu instid0(VALU_DEP_1) | instskip(SKIP_1) | instid1(VALU_DEP_2)
	v_fma_f64 v[15:16], v[15:16], v[24:25], v[15:16]
	v_fma_f64 v[10:11], v[10:11], v[24:25], v[10:11]
	v_fma_f64 v[24:25], -v[15:16], v[15:16], v[4:5]
	s_delay_alu instid0(VALU_DEP_1) | instskip(NEXT) | instid1(VALU_DEP_1)
	v_fma_f64 v[15:16], v[24:25], v[10:11], v[15:16]
	v_fma_f64 v[24:25], -v[15:16], v[15:16], v[4:5]
	s_delay_alu instid0(VALU_DEP_1) | instskip(SKIP_2) | instid1(VALU_DEP_2)
	v_fma_f64 v[10:11], v[24:25], v[10:11], v[15:16]
	v_cndmask_b32_e64 v15, 0, 0xffffff80, vcc_lo
	v_cmp_class_f64_e64 vcc_lo, v[4:5], 0x260
	v_ldexp_f64 v[10:11], v[10:11], v15
	v_mov_b32_e32 v15, v12
	s_delay_alu instid0(VALU_DEP_2) | instskip(NEXT) | instid1(VALU_DEP_1)
	v_dual_cndmask_b32 v5, v11, v5 :: v_dual_cndmask_b32 v4, v10, v4
	v_add_f64 v[10:11], v[4:5], v[4:5]
	v_bfi_b32 v5, 0x7fffffff, v5, v13
	v_and_b32_e32 v16, 0x7fffffff, v13
	s_delay_alu instid0(VALU_DEP_1) | instskip(SKIP_1) | instid1(VALU_DEP_2)
	v_div_scale_f64 v[24:25], null, v[10:11], v[10:11], v[15:16]
	v_div_scale_f64 v[15:16], vcc_lo, v[15:16], v[10:11], v[15:16]
	v_rcp_f64_e32 v[26:27], v[24:25]
	s_waitcnt_depctr 0xfff
	v_fma_f64 v[28:29], -v[24:25], v[26:27], 1.0
	s_delay_alu instid0(VALU_DEP_1) | instskip(NEXT) | instid1(VALU_DEP_1)
	v_fma_f64 v[26:27], v[26:27], v[28:29], v[26:27]
	v_fma_f64 v[28:29], -v[24:25], v[26:27], 1.0
	s_delay_alu instid0(VALU_DEP_1) | instskip(NEXT) | instid1(VALU_DEP_1)
	v_fma_f64 v[26:27], v[26:27], v[28:29], v[26:27]
	v_mul_f64 v[28:29], v[15:16], v[26:27]
	s_delay_alu instid0(VALU_DEP_1) | instskip(NEXT) | instid1(VALU_DEP_1)
	v_fma_f64 v[15:16], -v[24:25], v[28:29], v[15:16]
	v_div_fmas_f64 v[15:16], v[15:16], v[26:27], v[28:29]
	s_delay_alu instid0(VALU_DEP_1) | instskip(SKIP_3) | instid1(SALU_CYCLE_1)
	v_div_fixup_f64 v[10:11], v[15:16], v[10:11], |v[12:13]|
	v_dual_mov_b32 v13, v5 :: v_dual_mov_b32 v12, v4
	s_or_b32 exec_lo, exec_lo, s1
	s_and_saveexec_b32 s1, s0
	s_xor_b32 s0, exec_lo, s1
	s_cbranch_execnz .LBB225_1766
.LBB225_1771:
	s_and_not1_saveexec_b32 s0, s0
.LBB225_1772:
	s_delay_alu instid0(VALU_DEP_2) | instskip(NEXT) | instid1(VALU_DEP_2)
	v_add_f64 v[10:11], v[10:11], v[10:11]
	v_add_f64 v[12:13], v[12:13], v[12:13]
.LBB225_1773:
	s_or_b32 exec_lo, exec_lo, s0
.LBB225_1774:
	s_and_not1_saveexec_b32 s0, s13
	s_cbranch_execz .LBB225_1780
; %bb.1775:
	s_delay_alu instid0(VALU_DEP_1) | instskip(SKIP_1) | instid1(VALU_DEP_3)
	v_add_f64 v[4:5], v[12:13], -v[12:13]
	s_mov_b32 s1, exec_lo
	v_cmpx_lt_i64_e32 -1, v[10:11]
	s_xor_b32 s1, exec_lo, s1
; %bb.1776:
	s_delay_alu instid0(VALU_DEP_2) | instskip(NEXT) | instid1(VALU_DEP_1)
	v_bfi_b32 v5, 0x7fffffff, v5, v13
	v_dual_mov_b32 v13, v5 :: v_dual_mov_b32 v12, v4
                                        ; implicit-def: $vgpr4_vgpr5
; %bb.1777:
	s_and_not1_saveexec_b32 s1, s1
; %bb.1778:
	s_delay_alu instid0(VALU_DEP_1) | instskip(SKIP_1) | instid1(VALU_DEP_2)
	v_bfi_b32 v11, 0x7fffffff, v11, v13
	v_and_b32_e32 v5, 0x7fffffff, v5
	v_dual_mov_b32 v13, v11 :: v_dual_mov_b32 v12, v10
	s_delay_alu instid0(VALU_DEP_2)
	v_dual_mov_b32 v11, v5 :: v_dual_mov_b32 v10, v4
; %bb.1779:
	s_or_b32 exec_lo, exec_lo, s1
.LBB225_1780:
	s_delay_alu instid0(SALU_CYCLE_1)
	s_or_b32 exec_lo, exec_lo, s0
.LBB225_1781:
	s_and_not1_saveexec_b32 s0, s12
; %bb.1782:
	s_delay_alu instid0(VALU_DEP_1) | instskip(NEXT) | instid1(VALU_DEP_1)
	v_add_f64 v[4:5], v[12:13], -v[12:13]
	v_div_scale_f64 v[12:13], vcc_lo, v[4:5], v[4:5], v[4:5]
	s_delay_alu instid0(VALU_DEP_1) | instskip(SKIP_2) | instid1(VALU_DEP_1)
	v_rcp_f64_e32 v[15:16], v[12:13]
	s_waitcnt_depctr 0xfff
	v_fma_f64 v[24:25], -v[12:13], v[15:16], 1.0
	v_fma_f64 v[15:16], v[15:16], v[24:25], v[15:16]
	s_delay_alu instid0(VALU_DEP_1) | instskip(NEXT) | instid1(VALU_DEP_1)
	v_fma_f64 v[24:25], -v[12:13], v[15:16], 1.0
	v_fma_f64 v[15:16], v[15:16], v[24:25], v[15:16]
	s_delay_alu instid0(VALU_DEP_1) | instskip(NEXT) | instid1(VALU_DEP_1)
	v_mul_f64 v[24:25], v[12:13], v[15:16]
	v_fma_f64 v[12:13], -v[12:13], v[24:25], v[12:13]
	s_delay_alu instid0(VALU_DEP_1) | instskip(NEXT) | instid1(VALU_DEP_1)
	v_div_fmas_f64 v[12:13], v[12:13], v[15:16], v[24:25]
	v_div_fixup_f64 v[12:13], v[12:13], v[4:5], v[4:5]
; %bb.1783:
	s_or_b32 exec_lo, exec_lo, s0
	v_dual_mov_b32 v4, v10 :: v_dual_mov_b32 v5, v11
.LBB225_1784:
	s_or_b32 exec_lo, exec_lo, s3
.LBB225_1785:
	s_delay_alu instid0(SALU_CYCLE_1) | instskip(SKIP_2) | instid1(VALU_DEP_1)
	s_or_b32 exec_lo, exec_lo, s2
	v_cmp_gt_i16_e32 vcc_lo, 11, v18
	v_add_co_u32 v10, s0, s6, v14
	v_add_co_ci_u32_e64 v11, null, s7, 0, s0
	s_mov_b32 s2, 0
	s_cbranch_vccnz .LBB225_1792
; %bb.1786:
	v_cmp_lt_i16_e32 vcc_lo, 25, v18
	s_mov_b32 s7, 0
	s_cbranch_vccz .LBB225_1793
; %bb.1787:
	v_cmp_lt_i16_e32 vcc_lo, 28, v18
	s_cbranch_vccz .LBB225_1794
; %bb.1788:
	v_cmp_lt_i16_e32 vcc_lo, 43, v18
	;; [unrolled: 3-line block ×3, first 2 shown]
	s_cbranch_vccz .LBB225_1798
; %bb.1790:
	v_cmp_eq_u16_e32 vcc_lo, 46, v18
	s_mov_b32 s0, 0
	s_cbranch_vccz .LBB225_1801
; %bb.1791:
	global_load_b32 v14, v[10:11], off
	s_mov_b32 s6, 0
	s_mov_b32 s2, -1
	s_waitcnt vmcnt(0)
	v_lshlrev_b32_e32 v15, 16, v14
	v_and_b32_e32 v16, 0xffff0000, v14
	s_delay_alu instid0(VALU_DEP_2) | instskip(NEXT) | instid1(VALU_DEP_2)
	v_cvt_f64_f32_e32 v[14:15], v15
	v_cvt_f64_f32_e32 v[16:17], v16
	s_branch .LBB225_1803
.LBB225_1792:
	s_mov_b32 s0, -1
                                        ; implicit-def: $vgpr16_vgpr17
	s_branch .LBB225_1872
.LBB225_1793:
	s_mov_b32 s0, -1
	s_mov_b32 s6, 0
                                        ; implicit-def: $vgpr16_vgpr17
	s_branch .LBB225_1836
.LBB225_1794:
	s_mov_b32 s0, -1
	s_mov_b32 s6, 0
                                        ; implicit-def: $vgpr16_vgpr17
	s_branch .LBB225_1815
.LBB225_1795:
	s_mov_b32 s0, -1
	s_mov_b32 s6, 0
                                        ; implicit-def: $vgpr16_vgpr17
	s_branch .LBB225_1809
.LBB225_1796:
	s_cbranch_execnz .LBB225_1799
; %bb.1797:
	s_or_b32 s10, s10, exec_lo
                                        ; implicit-def: $vgpr12_vgpr13
	s_cbranch_execz .LBB225_1750
	s_branch .LBB225_1751
.LBB225_1798:
	s_mov_b32 s0, -1
	s_mov_b32 s6, 0
	s_branch .LBB225_1802
.LBB225_1799:
	s_trap 2
	s_sendmsg_rtn_b32 s0, sendmsg(MSG_RTN_GET_DOORBELL)
	s_mov_b32 ttmp2, m0
	s_waitcnt lgkmcnt(0)
	s_and_b32 s0, s0, 0x3ff
	s_delay_alu instid0(SALU_CYCLE_1) | instskip(NEXT) | instid1(SALU_CYCLE_1)
	s_bitset1_b32 s0, 10
	s_mov_b32 m0, s0
	s_sendmsg sendmsg(MSG_INTERRUPT)
	s_mov_b32 m0, ttmp2
.LBB225_1800:                           ; =>This Inner Loop Header: Depth=1
	s_sethalt 5
	s_branch .LBB225_1800
.LBB225_1801:
	s_mov_b32 s6, -1
.LBB225_1802:
                                        ; implicit-def: $vgpr16_vgpr17
.LBB225_1803:
	s_and_b32 vcc_lo, exec_lo, s0
	s_cbranch_vccz .LBB225_1808
; %bb.1804:
	v_cmp_eq_u16_e32 vcc_lo, 44, v18
	s_cbranch_vccz .LBB225_1806
; %bb.1805:
	global_load_u8 v16, v[10:11], off
	s_mov_b32 s6, 0
	s_mov_b32 s2, -1
	s_mov_b64 s[0:1], 0
	s_waitcnt vmcnt(0)
	v_cmp_ne_u32_e32 vcc_lo, 0xff, v16
	v_lshlrev_b32_e32 v14, 23, v16
	s_delay_alu instid0(VALU_DEP_1) | instskip(NEXT) | instid1(VALU_DEP_1)
	v_cvt_f64_f32_e32 v[14:15], v14
	v_cndmask_b32_e32 v15, 0x7ff80000, v15, vcc_lo
	s_delay_alu instid0(VALU_DEP_2) | instskip(SKIP_1) | instid1(VALU_DEP_3)
	v_cndmask_b32_e32 v14, 0x20000000, v14, vcc_lo
	v_cmp_ne_u32_e32 vcc_lo, 0, v16
	v_cndmask_b32_e32 v15, 0x38000000, v15, vcc_lo
	s_delay_alu instid0(VALU_DEP_3)
	v_cndmask_b32_e32 v14, 0, v14, vcc_lo
	s_branch .LBB225_1807
.LBB225_1806:
	s_mov_b32 s6, -1
                                        ; implicit-def: $sgpr0_sgpr1
                                        ; implicit-def: $vgpr14_vgpr15
.LBB225_1807:
	v_dual_mov_b32 v17, s1 :: v_dual_mov_b32 v16, s0
.LBB225_1808:
	s_mov_b32 s0, 0
.LBB225_1809:
	s_delay_alu instid0(SALU_CYCLE_1)
	s_and_b32 vcc_lo, exec_lo, s0
	s_cbranch_vccz .LBB225_1814
; %bb.1810:
	v_cmp_eq_u16_e32 vcc_lo, 29, v18
	s_cbranch_vccz .LBB225_1812
; %bb.1811:
	global_load_b64 v[14:15], v[10:11], off
	s_mov_b32 s6, 0
	s_mov_b32 s2, -1
	s_mov_b64 s[0:1], 0
	s_waitcnt vmcnt(0)
	v_cvt_f64_u32_e32 v[15:16], v15
	v_cvt_f64_u32_e32 v[24:25], v14
	s_delay_alu instid0(VALU_DEP_2) | instskip(NEXT) | instid1(VALU_DEP_1)
	v_ldexp_f64 v[15:16], v[15:16], 32
	v_add_f64 v[14:15], v[15:16], v[24:25]
	s_branch .LBB225_1813
.LBB225_1812:
	s_mov_b32 s6, -1
                                        ; implicit-def: $sgpr0_sgpr1
                                        ; implicit-def: $vgpr14_vgpr15
.LBB225_1813:
	v_dual_mov_b32 v17, s1 :: v_dual_mov_b32 v16, s0
.LBB225_1814:
	s_mov_b32 s0, 0
.LBB225_1815:
	s_delay_alu instid0(SALU_CYCLE_1)
	s_and_b32 vcc_lo, exec_lo, s0
	s_cbranch_vccz .LBB225_1835
; %bb.1816:
	v_cmp_gt_i16_e32 vcc_lo, 27, v18
	s_cbranch_vccnz .LBB225_1819
; %bb.1817:
	v_cmp_lt_i16_e32 vcc_lo, 27, v18
	s_cbranch_vccz .LBB225_1820
; %bb.1818:
	global_load_b32 v14, v[10:11], off
	s_mov_b32 s2, 0
	s_mov_b64 s[0:1], 0
	s_waitcnt vmcnt(0)
	v_cvt_f64_u32_e32 v[14:15], v14
	s_branch .LBB225_1821
.LBB225_1819:
	s_mov_b32 s2, -1
                                        ; implicit-def: $sgpr0_sgpr1
                                        ; implicit-def: $vgpr14_vgpr15
	s_branch .LBB225_1824
.LBB225_1820:
	s_mov_b32 s2, -1
                                        ; implicit-def: $sgpr0_sgpr1
                                        ; implicit-def: $vgpr14_vgpr15
.LBB225_1821:
	s_delay_alu instid0(SALU_CYCLE_1)
	s_and_not1_b32 vcc_lo, exec_lo, s2
	s_cbranch_vccnz .LBB225_1823
; %bb.1822:
	global_load_u16 v14, v[10:11], off
	s_mov_b64 s[0:1], 0
	s_waitcnt vmcnt(0)
	v_cvt_f64_u32_e32 v[14:15], v14
.LBB225_1823:
	s_mov_b32 s2, 0
.LBB225_1824:
	v_dual_mov_b32 v17, s1 :: v_dual_mov_b32 v16, s0
	s_and_not1_b32 vcc_lo, exec_lo, s2
	s_cbranch_vccnz .LBB225_1834
; %bb.1825:
	global_load_u8 v19, v[10:11], off
	s_mov_b32 s12, 0
	s_mov_b32 s13, exec_lo
                                        ; implicit-def: $sgpr0_sgpr1
                                        ; implicit-def: $sgpr2_sgpr3
	s_waitcnt vmcnt(0)
	v_cmpx_lt_i16_e32 0x7f, v19
	s_xor_b32 s13, exec_lo, s13
	s_cbranch_execz .LBB225_1829
; %bb.1826:
	s_mov_b32 s12, -1
	s_mov_b32 s14, exec_lo
                                        ; implicit-def: $sgpr0_sgpr1
                                        ; implicit-def: $sgpr2_sgpr3
	v_cmpx_eq_u16_e32 0x80, v19
; %bb.1827:
	s_mov_b64 s[0:1], 0
	s_mov_b32 s3, 0x7ff80000
	s_brev_b32 s2, 4
	s_xor_b32 s12, exec_lo, -1
; %bb.1828:
	s_or_b32 exec_lo, exec_lo, s14
	s_delay_alu instid0(SALU_CYCLE_1)
	s_and_b32 s12, s12, exec_lo
.LBB225_1829:
	s_or_saveexec_b32 s13, s13
	v_dual_mov_b32 v17, s1 :: v_dual_mov_b32 v16, s0
	v_dual_mov_b32 v15, s3 :: v_dual_mov_b32 v14, s2
	s_xor_b32 exec_lo, exec_lo, s13
; %bb.1830:
	v_mov_b32_e32 v16, 0
	v_mov_b32_e32 v17, 0
	v_cmp_ne_u16_e32 vcc_lo, 0, v19
	s_delay_alu instid0(VALU_DEP_3) | instskip(SKIP_1) | instid1(VALU_DEP_3)
	v_mov_b32_e32 v14, v16
	s_and_not1_b32 s0, s12, exec_lo
	v_mov_b32_e32 v15, v17
	s_and_b32 s1, vcc_lo, exec_lo
	s_delay_alu instid0(SALU_CYCLE_1)
	s_or_b32 s12, s0, s1
; %bb.1831:
	s_or_b32 exec_lo, exec_lo, s13
	s_and_saveexec_b32 s0, s12
	s_cbranch_execz .LBB225_1833
; %bb.1832:
	v_and_b32_e32 v14, 0xffff, v19
	v_lshlrev_b32_e32 v19, 24, v19
	s_delay_alu instid0(VALU_DEP_2) | instskip(NEXT) | instid1(VALU_DEP_1)
	v_and_b32_e32 v15, 7, v14
	v_clz_i32_u32_e32 v16, v15
	s_delay_alu instid0(VALU_DEP_1) | instskip(NEXT) | instid1(VALU_DEP_1)
	v_min_u32_e32 v16, 32, v16
	v_subrev_nc_u32_e32 v17, 28, v16
	v_sub_nc_u32_e32 v16, 29, v16
	s_delay_alu instid0(VALU_DEP_2) | instskip(SKIP_1) | instid1(VALU_DEP_2)
	v_lshlrev_b32_e32 v17, v17, v14
	v_bfe_u32 v14, v14, 3, 4
	v_and_b32_e32 v17, 7, v17
	s_delay_alu instid0(VALU_DEP_2) | instskip(NEXT) | instid1(VALU_DEP_2)
	v_cmp_eq_u32_e32 vcc_lo, 0, v14
	v_dual_cndmask_b32 v14, v14, v16 :: v_dual_cndmask_b32 v15, v15, v17
	v_and_b32_e32 v16, 0x80000000, v19
	s_delay_alu instid0(VALU_DEP_2) | instskip(NEXT) | instid1(VALU_DEP_3)
	v_lshl_add_u32 v14, v14, 23, 0x3b800000
	v_lshlrev_b32_e32 v15, 20, v15
	s_delay_alu instid0(VALU_DEP_1) | instskip(SKIP_2) | instid1(VALU_DEP_3)
	v_or3_b32 v14, v16, v14, v15
	v_mov_b32_e32 v16, 0
	v_mov_b32_e32 v17, 0
	v_cvt_f64_f32_e32 v[14:15], v14
.LBB225_1833:
	s_or_b32 exec_lo, exec_lo, s0
.LBB225_1834:
	s_mov_b32 s2, -1
.LBB225_1835:
	s_mov_b32 s0, 0
.LBB225_1836:
	s_delay_alu instid0(SALU_CYCLE_1)
	s_and_b32 vcc_lo, exec_lo, s0
	s_cbranch_vccz .LBB225_1868
; %bb.1837:
	v_cmp_lt_i16_e32 vcc_lo, 22, v18
	s_cbranch_vccz .LBB225_1849
; %bb.1838:
	v_cmp_gt_i16_e32 vcc_lo, 24, v18
	s_cbranch_vccnz .LBB225_1850
; %bb.1839:
	v_cmp_lt_i16_e32 vcc_lo, 24, v18
	s_cbranch_vccz .LBB225_1851
; %bb.1840:
	global_load_u8 v19, v[10:11], off
	s_mov_b32 s12, exec_lo
                                        ; implicit-def: $sgpr0_sgpr1
                                        ; implicit-def: $sgpr2_sgpr3
	s_waitcnt vmcnt(0)
	v_cmpx_lt_i16_e32 0x7f, v19
	s_xor_b32 s12, exec_lo, s12
	s_cbranch_execz .LBB225_1844
; %bb.1841:
	s_mov_b32 s7, -1
	s_mov_b32 s13, exec_lo
                                        ; implicit-def: $sgpr0_sgpr1
                                        ; implicit-def: $sgpr2_sgpr3
	v_cmpx_eq_u16_e32 0x80, v19
; %bb.1842:
	s_mov_b64 s[0:1], 0
	s_mov_b32 s3, 0x7ff80000
	s_brev_b32 s2, 4
	s_xor_b32 s7, exec_lo, -1
; %bb.1843:
	s_or_b32 exec_lo, exec_lo, s13
	s_delay_alu instid0(SALU_CYCLE_1)
	s_and_b32 s7, s7, exec_lo
.LBB225_1844:
	s_or_saveexec_b32 s12, s12
	v_dual_mov_b32 v17, s1 :: v_dual_mov_b32 v16, s0
	v_dual_mov_b32 v15, s3 :: v_dual_mov_b32 v14, s2
	s_xor_b32 exec_lo, exec_lo, s12
; %bb.1845:
	v_mov_b32_e32 v16, 0
	v_mov_b32_e32 v17, 0
	v_cmp_ne_u16_e32 vcc_lo, 0, v19
	s_delay_alu instid0(VALU_DEP_3) | instskip(SKIP_1) | instid1(VALU_DEP_3)
	v_mov_b32_e32 v14, v16
	s_and_not1_b32 s0, s7, exec_lo
	v_mov_b32_e32 v15, v17
	s_and_b32 s1, vcc_lo, exec_lo
	s_delay_alu instid0(SALU_CYCLE_1)
	s_or_b32 s7, s0, s1
; %bb.1846:
	s_or_b32 exec_lo, exec_lo, s12
	s_and_saveexec_b32 s0, s7
	s_cbranch_execz .LBB225_1848
; %bb.1847:
	v_and_b32_e32 v14, 0xffff, v19
	v_lshlrev_b32_e32 v19, 24, v19
	s_delay_alu instid0(VALU_DEP_2) | instskip(NEXT) | instid1(VALU_DEP_1)
	v_and_b32_e32 v15, 3, v14
	v_clz_i32_u32_e32 v16, v15
	s_delay_alu instid0(VALU_DEP_1) | instskip(NEXT) | instid1(VALU_DEP_1)
	v_min_u32_e32 v16, 32, v16
	v_subrev_nc_u32_e32 v17, 29, v16
	v_sub_nc_u32_e32 v16, 30, v16
	s_delay_alu instid0(VALU_DEP_2) | instskip(SKIP_1) | instid1(VALU_DEP_2)
	v_lshlrev_b32_e32 v17, v17, v14
	v_bfe_u32 v14, v14, 2, 5
	v_and_b32_e32 v17, 3, v17
	s_delay_alu instid0(VALU_DEP_2) | instskip(NEXT) | instid1(VALU_DEP_2)
	v_cmp_eq_u32_e32 vcc_lo, 0, v14
	v_dual_cndmask_b32 v14, v14, v16 :: v_dual_cndmask_b32 v15, v15, v17
	v_and_b32_e32 v16, 0x80000000, v19
	s_delay_alu instid0(VALU_DEP_2) | instskip(NEXT) | instid1(VALU_DEP_3)
	v_lshl_add_u32 v14, v14, 23, 0x37800000
	v_lshlrev_b32_e32 v15, 21, v15
	s_delay_alu instid0(VALU_DEP_1) | instskip(SKIP_2) | instid1(VALU_DEP_3)
	v_or3_b32 v14, v16, v14, v15
	v_mov_b32_e32 v16, 0
	v_mov_b32_e32 v17, 0
	v_cvt_f64_f32_e32 v[14:15], v14
.LBB225_1848:
	s_or_b32 exec_lo, exec_lo, s0
	s_mov_b32 s0, 0
	s_branch .LBB225_1852
.LBB225_1849:
	s_mov_b32 s0, -1
                                        ; implicit-def: $vgpr16_vgpr17
	s_branch .LBB225_1858
.LBB225_1850:
	s_mov_b32 s0, -1
                                        ; implicit-def: $vgpr16_vgpr17
	s_branch .LBB225_1855
.LBB225_1851:
	s_mov_b32 s0, -1
                                        ; implicit-def: $vgpr16_vgpr17
.LBB225_1852:
	s_delay_alu instid0(SALU_CYCLE_1)
	s_and_b32 vcc_lo, exec_lo, s0
	s_cbranch_vccz .LBB225_1854
; %bb.1853:
	global_load_u8 v14, v[10:11], off
	s_waitcnt vmcnt(0)
	v_lshlrev_b32_e32 v14, 24, v14
	s_delay_alu instid0(VALU_DEP_1) | instskip(NEXT) | instid1(VALU_DEP_1)
	v_and_b32_e32 v15, 0x7f000000, v14
	v_clz_i32_u32_e32 v16, v15
	v_add_nc_u32_e32 v19, 0x1000000, v15
	v_cmp_ne_u32_e32 vcc_lo, 0, v15
	s_delay_alu instid0(VALU_DEP_3) | instskip(NEXT) | instid1(VALU_DEP_1)
	v_min_u32_e32 v16, 32, v16
	v_sub_nc_u32_e64 v16, v16, 4 clamp
	s_delay_alu instid0(VALU_DEP_1) | instskip(SKIP_1) | instid1(VALU_DEP_2)
	v_lshlrev_b32_e32 v17, v16, v15
	v_lshlrev_b32_e32 v16, 23, v16
	v_lshrrev_b32_e32 v17, 4, v17
	s_delay_alu instid0(VALU_DEP_1) | instskip(SKIP_1) | instid1(VALU_DEP_2)
	v_sub_nc_u32_e32 v16, v17, v16
	v_ashrrev_i32_e32 v17, 8, v19
	v_add_nc_u32_e32 v16, 0x3c000000, v16
	s_delay_alu instid0(VALU_DEP_1) | instskip(NEXT) | instid1(VALU_DEP_1)
	v_and_or_b32 v16, 0x7f800000, v17, v16
	v_dual_cndmask_b32 v15, 0, v16 :: v_dual_mov_b32 v16, 0
	v_mov_b32_e32 v17, 0
	s_delay_alu instid0(VALU_DEP_2) | instskip(NEXT) | instid1(VALU_DEP_1)
	v_and_or_b32 v14, 0x80000000, v14, v15
	v_cvt_f64_f32_e32 v[14:15], v14
.LBB225_1854:
	s_mov_b32 s0, 0
.LBB225_1855:
	s_delay_alu instid0(SALU_CYCLE_1)
	s_and_not1_b32 vcc_lo, exec_lo, s0
	s_cbranch_vccnz .LBB225_1857
; %bb.1856:
	global_load_u8 v14, v[10:11], off
	s_waitcnt vmcnt(0)
	v_lshlrev_b32_e32 v15, 25, v14
	v_lshlrev_b16 v14, 8, v14
	s_delay_alu instid0(VALU_DEP_2) | instskip(NEXT) | instid1(VALU_DEP_2)
	v_lshrrev_b32_e32 v16, 4, v15
	v_and_or_b32 v17, 0x7f00, v14, 0.5
	v_bfe_i32 v14, v14, 0, 16
	s_delay_alu instid0(VALU_DEP_3) | instskip(NEXT) | instid1(VALU_DEP_1)
	v_or_b32_e32 v16, 0x70000000, v16
	v_dual_add_f32 v17, -0.5, v17 :: v_dual_mul_f32 v16, 0x7800000, v16
	v_cmp_gt_u32_e32 vcc_lo, 0x8000000, v15
	s_delay_alu instid0(VALU_DEP_2) | instskip(SKIP_1) | instid1(VALU_DEP_2)
	v_dual_cndmask_b32 v15, v16, v17 :: v_dual_mov_b32 v16, 0
	v_mov_b32_e32 v17, 0
	v_and_or_b32 v14, 0x80000000, v14, v15
	s_delay_alu instid0(VALU_DEP_1)
	v_cvt_f64_f32_e32 v[14:15], v14
.LBB225_1857:
	s_mov_b32 s0, 0
	s_mov_b32 s2, -1
.LBB225_1858:
	s_and_not1_b32 vcc_lo, exec_lo, s0
	s_mov_b32 s7, 0
	s_cbranch_vccnz .LBB225_1868
; %bb.1859:
	v_cmp_lt_i16_e32 vcc_lo, 14, v18
	s_cbranch_vccz .LBB225_1862
; %bb.1860:
	v_cmp_eq_u16_e32 vcc_lo, 15, v18
	s_cbranch_vccz .LBB225_1863
; %bb.1861:
	global_load_u16 v14, v[10:11], off
	s_mov_b32 s6, 0
	s_mov_b32 s2, -1
	s_mov_b64 s[0:1], 0
	s_waitcnt vmcnt(0)
	v_lshlrev_b32_e32 v14, 16, v14
	s_delay_alu instid0(VALU_DEP_1)
	v_cvt_f64_f32_e32 v[14:15], v14
	s_branch .LBB225_1864
.LBB225_1862:
	s_mov_b32 s3, -1
                                        ; implicit-def: $sgpr0_sgpr1
                                        ; implicit-def: $vgpr14_vgpr15
	s_branch .LBB225_1865
.LBB225_1863:
	s_mov_b32 s6, -1
                                        ; implicit-def: $sgpr0_sgpr1
                                        ; implicit-def: $vgpr14_vgpr15
.LBB225_1864:
	s_mov_b32 s3, 0
.LBB225_1865:
	s_delay_alu instid0(SALU_CYCLE_1)
	s_and_b32 vcc_lo, exec_lo, s3
	s_cbranch_vccz .LBB225_1867
; %bb.1866:
	v_cmp_ne_u16_e64 s6, 11, v18
	s_mov_b32 s7, -1
                                        ; implicit-def: $sgpr0_sgpr1
                                        ; implicit-def: $vgpr14_vgpr15
.LBB225_1867:
	v_dual_mov_b32 v17, s1 :: v_dual_mov_b32 v16, s0
.LBB225_1868:
	s_delay_alu instid0(VALU_DEP_2)
	s_and_b32 vcc_lo, exec_lo, s6
	s_cbranch_vccnz .LBB225_2432
; %bb.1869:
	s_and_not1_b32 vcc_lo, exec_lo, s7
	s_cbranch_vccnz .LBB225_1871
.LBB225_1870:
	global_load_u8 v14, v[10:11], off
	v_mov_b32_e32 v16, 0
	v_mov_b32_e32 v17, 0
	s_mov_b32 s2, -1
	s_waitcnt vmcnt(0)
	v_cmp_ne_u16_e32 vcc_lo, 0, v14
	v_mov_b32_e32 v14, 0
	v_cndmask_b32_e64 v15, 0, 0x3ff00000, vcc_lo
.LBB225_1871:
	s_mov_b32 s0, 0
.LBB225_1872:
	s_delay_alu instid0(SALU_CYCLE_1)
	s_and_b32 vcc_lo, exec_lo, s0
	s_cbranch_vccz .LBB225_1923
; %bb.1873:
	v_cmp_gt_i16_e32 vcc_lo, 5, v18
	s_cbranch_vccnz .LBB225_1878
; %bb.1874:
	v_cmp_gt_i16_e32 vcc_lo, 8, v18
	s_cbranch_vccnz .LBB225_1879
	;; [unrolled: 3-line block ×3, first 2 shown]
; %bb.1876:
	v_cmp_lt_i16_e32 vcc_lo, 9, v18
	s_cbranch_vccz .LBB225_1881
; %bb.1877:
	global_load_b128 v[14:17], v[10:11], off
	s_mov_b32 s0, 0
	s_branch .LBB225_1882
.LBB225_1878:
	s_mov_b32 s0, -1
                                        ; implicit-def: $vgpr16_vgpr17
	s_branch .LBB225_1901
.LBB225_1879:
	s_mov_b32 s0, -1
                                        ; implicit-def: $vgpr16_vgpr17
	s_branch .LBB225_1888
.LBB225_1880:
	s_mov_b32 s0, -1
                                        ; implicit-def: $vgpr16_vgpr17
	s_branch .LBB225_1885
.LBB225_1881:
	s_mov_b32 s0, -1
                                        ; implicit-def: $vgpr16_vgpr17
.LBB225_1882:
	s_delay_alu instid0(SALU_CYCLE_1)
	s_and_not1_b32 vcc_lo, exec_lo, s0
	s_cbranch_vccnz .LBB225_1884
; %bb.1883:
	global_load_b64 v[15:16], v[10:11], off
	s_waitcnt vmcnt(0)
	v_cvt_f64_f32_e32 v[14:15], v15
	v_cvt_f64_f32_e32 v[16:17], v16
.LBB225_1884:
	s_mov_b32 s0, 0
.LBB225_1885:
	s_delay_alu instid0(SALU_CYCLE_1)
	s_and_not1_b32 vcc_lo, exec_lo, s0
	s_cbranch_vccnz .LBB225_1887
; %bb.1886:
	global_load_b32 v14, v[10:11], off
	s_waitcnt vmcnt(0)
	v_lshrrev_b32_e32 v15, 16, v14
	v_cvt_f32_f16_e32 v14, v14
	s_delay_alu instid0(VALU_DEP_2) | instskip(NEXT) | instid1(VALU_DEP_2)
	v_cvt_f32_f16_e32 v16, v15
	v_cvt_f64_f32_e32 v[14:15], v14
	s_delay_alu instid0(VALU_DEP_2)
	v_cvt_f64_f32_e32 v[16:17], v16
.LBB225_1887:
	s_mov_b32 s0, 0
.LBB225_1888:
	s_delay_alu instid0(SALU_CYCLE_1)
	s_and_not1_b32 vcc_lo, exec_lo, s0
	s_cbranch_vccnz .LBB225_1900
; %bb.1889:
	v_cmp_gt_i16_e32 vcc_lo, 6, v18
	s_cbranch_vccnz .LBB225_1892
; %bb.1890:
	v_cmp_lt_i16_e32 vcc_lo, 6, v18
	s_cbranch_vccz .LBB225_1893
; %bb.1891:
	global_load_b64 v[14:15], v[10:11], off
	s_mov_b32 s2, 0
	s_mov_b64 s[0:1], 0
	s_branch .LBB225_1894
.LBB225_1892:
	s_mov_b32 s2, -1
                                        ; implicit-def: $sgpr0_sgpr1
                                        ; implicit-def: $vgpr14_vgpr15
	s_branch .LBB225_1897
.LBB225_1893:
	s_mov_b32 s2, -1
                                        ; implicit-def: $sgpr0_sgpr1
                                        ; implicit-def: $vgpr14_vgpr15
.LBB225_1894:
	s_delay_alu instid0(SALU_CYCLE_1)
	s_and_not1_b32 vcc_lo, exec_lo, s2
	s_cbranch_vccnz .LBB225_1896
; %bb.1895:
	global_load_b32 v14, v[10:11], off
	s_mov_b64 s[0:1], 0
	s_waitcnt vmcnt(0)
	v_cvt_f64_f32_e32 v[14:15], v14
.LBB225_1896:
	s_mov_b32 s2, 0
.LBB225_1897:
	s_delay_alu instid0(SALU_CYCLE_1)
	s_and_not1_b32 vcc_lo, exec_lo, s2
	s_cbranch_vccnz .LBB225_1899
; %bb.1898:
	global_load_u16 v14, v[10:11], off
	s_mov_b64 s[0:1], 0
	s_waitcnt vmcnt(0)
	v_cvt_f32_f16_e32 v14, v14
	s_delay_alu instid0(VALU_DEP_1)
	v_cvt_f64_f32_e32 v[14:15], v14
.LBB225_1899:
	s_waitcnt vmcnt(0)
	v_dual_mov_b32 v17, s1 :: v_dual_mov_b32 v16, s0
.LBB225_1900:
	s_mov_b32 s0, 0
.LBB225_1901:
	s_delay_alu instid0(SALU_CYCLE_1)
	s_and_not1_b32 vcc_lo, exec_lo, s0
	s_cbranch_vccnz .LBB225_1922
; %bb.1902:
	v_cmp_gt_i16_e32 vcc_lo, 2, v18
	s_cbranch_vccnz .LBB225_1906
; %bb.1903:
	v_cmp_gt_i16_e32 vcc_lo, 3, v18
	s_cbranch_vccnz .LBB225_1907
; %bb.1904:
	v_cmp_lt_i16_e32 vcc_lo, 3, v18
	s_cbranch_vccz .LBB225_1908
; %bb.1905:
	global_load_b64 v[14:15], v[10:11], off
	s_mov_b32 s2, 0
	s_mov_b64 s[0:1], 0
	s_waitcnt vmcnt(0)
	v_cvt_f64_i32_e32 v[15:16], v15
	v_cvt_f64_u32_e32 v[24:25], v14
	s_delay_alu instid0(VALU_DEP_2) | instskip(NEXT) | instid1(VALU_DEP_1)
	v_ldexp_f64 v[15:16], v[15:16], 32
	v_add_f64 v[14:15], v[15:16], v[24:25]
	s_branch .LBB225_1909
.LBB225_1906:
	s_mov_b32 s2, -1
                                        ; implicit-def: $sgpr0_sgpr1
                                        ; implicit-def: $vgpr14_vgpr15
	s_branch .LBB225_1915
.LBB225_1907:
	s_mov_b32 s2, -1
                                        ; implicit-def: $sgpr0_sgpr1
                                        ; implicit-def: $vgpr14_vgpr15
	s_branch .LBB225_1912
.LBB225_1908:
	s_mov_b32 s2, -1
                                        ; implicit-def: $sgpr0_sgpr1
                                        ; implicit-def: $vgpr14_vgpr15
.LBB225_1909:
	s_delay_alu instid0(SALU_CYCLE_1)
	s_and_not1_b32 vcc_lo, exec_lo, s2
	s_cbranch_vccnz .LBB225_1911
; %bb.1910:
	global_load_b32 v14, v[10:11], off
	s_mov_b64 s[0:1], 0
	s_waitcnt vmcnt(0)
	v_cvt_f64_i32_e32 v[14:15], v14
.LBB225_1911:
	s_mov_b32 s2, 0
.LBB225_1912:
	s_delay_alu instid0(SALU_CYCLE_1)
	s_and_not1_b32 vcc_lo, exec_lo, s2
	s_cbranch_vccnz .LBB225_1914
; %bb.1913:
	global_load_i16 v14, v[10:11], off
	s_mov_b64 s[0:1], 0
	s_waitcnt vmcnt(0)
	v_cvt_f64_i32_e32 v[14:15], v14
.LBB225_1914:
	s_mov_b32 s2, 0
.LBB225_1915:
	s_delay_alu instid0(SALU_CYCLE_1)
	s_and_not1_b32 vcc_lo, exec_lo, s2
	s_cbranch_vccnz .LBB225_1921
; %bb.1916:
	v_cmp_lt_i16_e32 vcc_lo, 0, v18
	s_mov_b32 s2, 0
	s_cbranch_vccz .LBB225_1918
; %bb.1917:
	global_load_i8 v14, v[10:11], off
	s_mov_b64 s[0:1], 0
	s_waitcnt vmcnt(0)
	v_cvt_f64_i32_e32 v[14:15], v14
	s_branch .LBB225_1919
.LBB225_1918:
	s_mov_b32 s2, -1
                                        ; implicit-def: $sgpr0_sgpr1
                                        ; implicit-def: $vgpr14_vgpr15
.LBB225_1919:
	s_delay_alu instid0(SALU_CYCLE_1)
	s_and_not1_b32 vcc_lo, exec_lo, s2
	s_cbranch_vccnz .LBB225_1921
; %bb.1920:
	global_load_u8 v10, v[10:11], off
	s_mov_b64 s[0:1], 0
	s_waitcnt vmcnt(0)
	v_cvt_f64_u32_e32 v[14:15], v10
.LBB225_1921:
	s_waitcnt vmcnt(0)
	v_dual_mov_b32 v17, s1 :: v_dual_mov_b32 v16, s0
.LBB225_1922:
	s_mov_b32 s2, -1
.LBB225_1923:
	s_delay_alu instid0(SALU_CYCLE_1)
	s_and_not1_b32 vcc_lo, exec_lo, s2
	s_cbranch_vccnz .LBB225_1940
; %bb.1924:
	s_waitcnt vmcnt(0)
	s_delay_alu instid0(VALU_DEP_1) | instskip(NEXT) | instid1(VALU_DEP_2)
	v_cmp_neq_f64_e32 vcc_lo, 0, v[14:15]
	v_cmp_neq_f64_e64 s0, 0, v[16:17]
	v_mov_b32_e32 v18, 0
	v_mov_b32_e32 v19, 0
	s_delay_alu instid0(VALU_DEP_3) | instskip(NEXT) | instid1(SALU_CYCLE_1)
	s_or_b32 s0, vcc_lo, s0
	s_and_saveexec_b32 s2, s0
	s_cbranch_execz .LBB225_2001
; %bb.1925:
	s_mov_b32 s0, 0
	s_mov_b32 s1, 0x7ff00000
	v_mov_b32_e32 v18, s0
	v_mov_b32_e32 v19, s1
	s_mov_b32 s3, exec_lo
	v_cmpx_neq_f64_e64 0x7ff00000, |v[16:17]|
	s_cbranch_execz .LBB225_2000
; %bb.1926:
	s_mov_b32 s0, exec_lo
	v_cmpx_o_f64_e32 v[14:15], v[14:15]
	s_xor_b32 s6, exec_lo, s0
	s_cbranch_execz .LBB225_1997
; %bb.1927:
	s_mov_b32 s1, exec_lo
	v_cmpx_neq_f64_e64 0x7ff00000, |v[14:15]|
	s_xor_b32 s7, exec_lo, s1
	s_cbranch_execz .LBB225_1990
; %bb.1928:
	v_max_f64 v[10:11], |v[16:17]|, |v[16:17]|
	v_max_f64 v[18:19], |v[14:15]|, |v[14:15]|
	s_mov_b32 s0, 0x99fcef32
	s_mov_b32 s1, 0x7fda8279
                                        ; implicit-def: $sgpr12
	s_delay_alu instid0(VALU_DEP_1) | instskip(NEXT) | instid1(VALU_DEP_1)
	v_max_f64 v[10:11], v[18:19], v[10:11]
	v_cmp_nle_f64_e64 s0, s[0:1], v[10:11]
	s_delay_alu instid0(VALU_DEP_1) | instskip(NEXT) | instid1(SALU_CYCLE_1)
	s_and_saveexec_b32 s1, s0
	s_xor_b32 s1, exec_lo, s1
	s_cbranch_execz .LBB225_1932
; %bb.1929:
	v_cmp_ge_f64_e64 s12, 0x200000, |v[14:15]|
	v_cmp_ge_f64_e64 s13, 0x200000, |v[16:17]|
	s_delay_alu instid0(VALU_DEP_1)
	s_and_b32 s14, s12, s13
	s_mov_b32 s12, 0
	s_and_saveexec_b32 s13, s14
; %bb.1930:
	v_mul_f64 v[14:15], v[14:15], 4.0
	v_mul_f64 v[16:17], v[16:17], 4.0
	s_mov_b32 s12, exec_lo
; %bb.1931:
	s_or_b32 exec_lo, exec_lo, s13
	s_delay_alu instid0(SALU_CYCLE_1)
	s_and_b32 s12, s12, exec_lo
.LBB225_1932:
	s_and_not1_saveexec_b32 s1, s1
; %bb.1933:
	s_delay_alu instid0(VALU_DEP_2) | instskip(NEXT) | instid1(VALU_DEP_2)
	v_ldexp_f64 v[14:15], v[14:15], -2
	v_ldexp_f64 v[16:17], v[16:17], -2
	s_and_not1_b32 s12, s12, exec_lo
; %bb.1934:
	s_or_b32 exec_lo, exec_lo, s1
	s_delay_alu instid0(VALU_DEP_1) | instskip(NEXT) | instid1(VALU_DEP_3)
	v_max_f64 v[10:11], |v[16:17]|, |v[16:17]|
	v_max_f64 v[18:19], |v[14:15]|, |v[14:15]|
	v_cmp_class_f64_e64 s13, v[14:15], 0x204
	v_cmp_class_f64_e64 s14, v[16:17], 0x204
	v_cmp_le_f64_e64 s1, 0, v[14:15]
	s_delay_alu instid0(VALU_DEP_4) | instskip(NEXT) | instid1(VALU_DEP_3)
	v_max_f64 v[10:11], v[18:19], v[10:11]
	s_or_b32 s13, s14, s13
	s_delay_alu instid0(VALU_DEP_1) | instskip(NEXT) | instid1(VALU_DEP_1)
	v_frexp_exp_i32_f64_e32 v28, v[10:11]
	v_sub_nc_u32_e32 v18, 0, v28
	s_delay_alu instid0(VALU_DEP_1) | instskip(SKIP_1) | instid1(VALU_DEP_2)
	v_ldexp_f64 v[10:11], |v[16:17]|, v18
	v_ldexp_f64 v[18:19], |v[14:15]|, v18
	v_mul_f64 v[10:11], v[10:11], v[10:11]
	s_delay_alu instid0(VALU_DEP_1) | instskip(NEXT) | instid1(VALU_DEP_1)
	v_fma_f64 v[10:11], v[18:19], v[18:19], v[10:11]
	v_rsq_f64_e32 v[18:19], v[10:11]
	v_cmp_eq_f64_e32 vcc_lo, 0, v[10:11]
	s_waitcnt_depctr 0xfff
	v_mul_f64 v[24:25], v[10:11], v[18:19]
	v_mul_f64 v[18:19], v[18:19], 0.5
	s_delay_alu instid0(VALU_DEP_1) | instskip(NEXT) | instid1(VALU_DEP_1)
	v_fma_f64 v[26:27], -v[18:19], v[24:25], 0.5
	v_fma_f64 v[24:25], v[24:25], v[26:27], v[24:25]
	v_fma_f64 v[18:19], v[18:19], v[26:27], v[18:19]
	s_delay_alu instid0(VALU_DEP_2) | instskip(NEXT) | instid1(VALU_DEP_1)
	v_fma_f64 v[26:27], -v[24:25], v[24:25], v[10:11]
	v_fma_f64 v[18:19], v[26:27], v[18:19], v[24:25]
	s_delay_alu instid0(VALU_DEP_1) | instskip(SKIP_1) | instid1(VALU_DEP_2)
	v_dual_cndmask_b32 v11, v19, v11 :: v_dual_cndmask_b32 v10, v18, v10
	v_cmp_o_f64_e32 vcc_lo, v[16:17], v[16:17]
	v_ldexp_f64 v[10:11], v[10:11], v28
	s_delay_alu instid0(VALU_DEP_1) | instskip(NEXT) | instid1(VALU_DEP_2)
	v_cndmask_b32_e32 v10, 0, v10, vcc_lo
	v_cndmask_b32_e32 v11, 0x7ff80000, v11, vcc_lo
	s_delay_alu instid0(VALU_DEP_2) | instskip(NEXT) | instid1(VALU_DEP_2)
	v_cndmask_b32_e64 v10, v10, 0, s13
	v_cndmask_b32_e64 v11, v11, 0x7ff00000, s13
	s_and_saveexec_b32 s13, s1
	s_delay_alu instid0(SALU_CYCLE_1)
	s_xor_b32 s1, exec_lo, s13
	s_cbranch_execz .LBB225_1985
; %bb.1935:
	s_delay_alu instid0(VALU_DEP_1) | instskip(NEXT) | instid1(VALU_DEP_1)
	v_add_f64 v[10:11], v[14:15], v[10:11]
	v_mul_f64 v[10:11], v[10:11], 0.5
	s_delay_alu instid0(VALU_DEP_1) | instskip(SKIP_1) | instid1(VALU_DEP_1)
	v_cmp_gt_f64_e32 vcc_lo, 0x10000000, v[10:11]
	v_cndmask_b32_e64 v14, 0, 1, vcc_lo
	v_lshlrev_b32_e32 v14, 8, v14
	s_delay_alu instid0(VALU_DEP_1) | instskip(NEXT) | instid1(VALU_DEP_1)
	v_ldexp_f64 v[10:11], v[10:11], v14
	v_rsq_f64_e32 v[14:15], v[10:11]
	s_waitcnt_depctr 0xfff
	v_mul_f64 v[18:19], v[10:11], v[14:15]
	v_mul_f64 v[14:15], v[14:15], 0.5
	s_delay_alu instid0(VALU_DEP_1) | instskip(NEXT) | instid1(VALU_DEP_1)
	v_fma_f64 v[24:25], -v[14:15], v[18:19], 0.5
	v_fma_f64 v[18:19], v[18:19], v[24:25], v[18:19]
	v_fma_f64 v[14:15], v[14:15], v[24:25], v[14:15]
	s_delay_alu instid0(VALU_DEP_2) | instskip(NEXT) | instid1(VALU_DEP_1)
	v_fma_f64 v[24:25], -v[18:19], v[18:19], v[10:11]
	v_fma_f64 v[18:19], v[24:25], v[14:15], v[18:19]
	s_delay_alu instid0(VALU_DEP_1) | instskip(NEXT) | instid1(VALU_DEP_1)
	v_fma_f64 v[24:25], -v[18:19], v[18:19], v[10:11]
	v_fma_f64 v[14:15], v[24:25], v[14:15], v[18:19]
	v_cndmask_b32_e64 v18, 0, 0xffffff80, vcc_lo
	v_cmp_class_f64_e64 vcc_lo, v[10:11], 0x260
	s_delay_alu instid0(VALU_DEP_2) | instskip(NEXT) | instid1(VALU_DEP_1)
	v_ldexp_f64 v[14:15], v[14:15], v18
	v_dual_cndmask_b32 v15, v15, v11 :: v_dual_cndmask_b32 v14, v14, v10
	s_delay_alu instid0(VALU_DEP_1) | instskip(NEXT) | instid1(VALU_DEP_1)
	v_add_f64 v[10:11], v[14:15], v[14:15]
	v_div_scale_f64 v[18:19], null, v[10:11], v[10:11], v[16:17]
	s_delay_alu instid0(VALU_DEP_1) | instskip(SKIP_2) | instid1(VALU_DEP_1)
	v_rcp_f64_e32 v[24:25], v[18:19]
	s_waitcnt_depctr 0xfff
	v_fma_f64 v[26:27], -v[18:19], v[24:25], 1.0
	v_fma_f64 v[24:25], v[24:25], v[26:27], v[24:25]
	s_delay_alu instid0(VALU_DEP_1) | instskip(NEXT) | instid1(VALU_DEP_1)
	v_fma_f64 v[26:27], -v[18:19], v[24:25], 1.0
	v_fma_f64 v[24:25], v[24:25], v[26:27], v[24:25]
	v_div_scale_f64 v[26:27], vcc_lo, v[16:17], v[10:11], v[16:17]
	s_delay_alu instid0(VALU_DEP_1) | instskip(NEXT) | instid1(VALU_DEP_1)
	v_mul_f64 v[28:29], v[26:27], v[24:25]
	v_fma_f64 v[18:19], -v[18:19], v[28:29], v[26:27]
	s_delay_alu instid0(VALU_DEP_1) | instskip(NEXT) | instid1(VALU_DEP_1)
	v_div_fmas_f64 v[18:19], v[18:19], v[24:25], v[28:29]
	v_div_fixup_f64 v[16:17], v[18:19], v[10:11], v[16:17]
                                        ; implicit-def: $vgpr10_vgpr11
	s_and_not1_saveexec_b32 s1, s1
	s_cbranch_execnz .LBB225_1986
.LBB225_1936:
	s_or_b32 exec_lo, exec_lo, s1
	s_and_saveexec_b32 s1, s0
	s_delay_alu instid0(SALU_CYCLE_1)
	s_xor_b32 s0, exec_lo, s1
	s_cbranch_execz .LBB225_1987
.LBB225_1937:
	s_and_saveexec_b32 s1, s12
; %bb.1938:
	s_delay_alu instid0(VALU_DEP_2) | instskip(NEXT) | instid1(VALU_DEP_2)
	v_mul_f64 v[14:15], v[14:15], 0.5
	v_mul_f64 v[16:17], v[16:17], 0.5
; %bb.1939:
	s_or_b32 exec_lo, exec_lo, s1
	s_and_not1_saveexec_b32 s0, s0
	s_cbranch_execnz .LBB225_1988
	s_branch .LBB225_1989
.LBB225_1940:
	s_mov_b32 s0, 0
	s_mov_b32 s1, 0
                                        ; implicit-def: $vgpr0_vgpr1
                                        ; implicit-def: $vgpr24
                                        ; implicit-def: $vgpr16_vgpr17
                                        ; implicit-def: $vgpr18_vgpr19
.LBB225_1941:
	s_and_b32 s2, s0, exec_lo
	s_and_not1_b32 s0, s8, exec_lo
	s_and_b32 s3, s10, exec_lo
	s_and_b32 s26, s1, exec_lo
	s_or_b32 s8, s0, s3
.LBB225_1942:
	s_or_b32 exec_lo, exec_lo, s9
	s_and_saveexec_b32 s0, s8
	s_cbranch_execz .LBB225_1945
; %bb.1943:
	; divergent unreachable
	s_or_b32 exec_lo, exec_lo, s0
	s_and_saveexec_b32 s0, s26
	s_delay_alu instid0(SALU_CYCLE_1)
	s_xor_b32 s1, exec_lo, s0
	s_cbranch_execnz .LBB225_1946
.LBB225_1944:
	s_or_b32 exec_lo, exec_lo, s1
	s_and_saveexec_b32 s0, s2
	s_cbranch_execnz .LBB225_1947
	s_branch .LBB225_1984
.LBB225_1945:
	s_or_b32 exec_lo, exec_lo, s0
	s_and_saveexec_b32 s0, s26
	s_delay_alu instid0(SALU_CYCLE_1)
	s_xor_b32 s1, exec_lo, s0
	s_cbranch_execz .LBB225_1944
.LBB225_1946:
	v_cmp_neq_f64_e32 vcc_lo, 0, v[18:19]
	s_waitcnt vmcnt(0)
	s_delay_alu instid0(VALU_DEP_2) | instskip(NEXT) | instid1(VALU_DEP_1)
	v_cmp_neq_f64_e64 s0, 0, v[16:17]
	s_or_b32 s0, vcc_lo, s0
	s_delay_alu instid0(SALU_CYCLE_1)
	v_cndmask_b32_e64 v2, 0, 1, s0
	global_store_b8 v[0:1], v2, off
	s_or_b32 exec_lo, exec_lo, s1
	s_and_saveexec_b32 s0, s2
	s_cbranch_execz .LBB225_1984
.LBB225_1947:
	v_cmp_gt_i16_e32 vcc_lo, 5, v24
	s_mov_b32 s0, -1
	s_cbranch_vccnz .LBB225_1968
; %bb.1948:
	v_cmp_gt_i16_e32 vcc_lo, 8, v24
	s_cbranch_vccnz .LBB225_1958
; %bb.1949:
	v_cmp_gt_i16_e32 vcc_lo, 9, v24
	s_cbranch_vccnz .LBB225_1955
; %bb.1950:
	v_cmp_lt_i16_e32 vcc_lo, 9, v24
	s_cbranch_vccz .LBB225_1952
; %bb.1951:
	s_waitcnt vmcnt(0)
	v_dual_mov_b32 v20, v16 :: v_dual_mov_b32 v21, v17
	s_mov_b32 s0, 0
	global_store_b128 v[0:1], v[18:21], off
.LBB225_1952:
	s_and_not1_b32 vcc_lo, exec_lo, s0
	s_cbranch_vccnz .LBB225_1954
; %bb.1953:
	s_waitcnt vmcnt(0)
	v_cvt_f32_f64_e32 v2, v[18:19]
	v_cvt_f32_f64_e32 v3, v[16:17]
	global_store_b64 v[0:1], v[2:3], off
.LBB225_1954:
	s_mov_b32 s0, 0
.LBB225_1955:
	s_delay_alu instid0(SALU_CYCLE_1)
	s_and_not1_b32 vcc_lo, exec_lo, s0
	s_cbranch_vccnz .LBB225_1957
; %bb.1956:
	s_waitcnt vmcnt(0)
	v_cvt_f32_f64_e32 v2, v[16:17]
	v_cvt_f32_f64_e32 v3, v[18:19]
	s_delay_alu instid0(VALU_DEP_2) | instskip(NEXT) | instid1(VALU_DEP_2)
	v_cvt_f16_f32_e32 v2, v2
	v_cvt_f16_f32_e32 v3, v3
	s_delay_alu instid0(VALU_DEP_2) | instskip(NEXT) | instid1(VALU_DEP_2)
	v_lshlrev_b32_e32 v2, 16, v2
	v_and_b32_e32 v3, 0xffff, v3
	s_delay_alu instid0(VALU_DEP_1)
	v_or_b32_e32 v2, v2, v3
	global_store_b32 v[0:1], v2, off
.LBB225_1957:
	s_mov_b32 s0, 0
.LBB225_1958:
	s_delay_alu instid0(SALU_CYCLE_1)
	s_and_not1_b32 vcc_lo, exec_lo, s0
	s_cbranch_vccnz .LBB225_1967
; %bb.1959:
	v_cmp_gt_i16_e32 vcc_lo, 6, v24
	s_mov_b32 s0, -1
	s_cbranch_vccnz .LBB225_1965
; %bb.1960:
	v_cmp_lt_i16_e32 vcc_lo, 6, v24
	s_cbranch_vccz .LBB225_1962
; %bb.1961:
	s_mov_b32 s0, 0
	s_waitcnt vmcnt(0)
	global_store_b64 v[0:1], v[18:19], off
.LBB225_1962:
	s_and_not1_b32 vcc_lo, exec_lo, s0
	s_cbranch_vccnz .LBB225_1964
; %bb.1963:
	s_waitcnt vmcnt(0)
	v_cvt_f32_f64_e32 v2, v[18:19]
	global_store_b32 v[0:1], v2, off
.LBB225_1964:
	s_mov_b32 s0, 0
.LBB225_1965:
	s_delay_alu instid0(SALU_CYCLE_1)
	s_and_not1_b32 vcc_lo, exec_lo, s0
	s_cbranch_vccnz .LBB225_1967
; %bb.1966:
	s_waitcnt vmcnt(0)
	v_cvt_f32_f64_e32 v2, v[18:19]
	s_delay_alu instid0(VALU_DEP_1)
	v_cvt_f16_f32_e32 v2, v2
	global_store_b16 v[0:1], v2, off
.LBB225_1967:
	s_mov_b32 s0, 0
.LBB225_1968:
	s_delay_alu instid0(SALU_CYCLE_1)
	s_and_not1_b32 vcc_lo, exec_lo, s0
	s_cbranch_vccnz .LBB225_1984
; %bb.1969:
	v_cmp_gt_i16_e32 vcc_lo, 2, v24
	s_mov_b32 s0, -1
	s_cbranch_vccnz .LBB225_1979
; %bb.1970:
	v_cmp_gt_i16_e32 vcc_lo, 3, v24
	s_cbranch_vccnz .LBB225_1976
; %bb.1971:
	v_cmp_lt_i16_e32 vcc_lo, 3, v24
	s_cbranch_vccz .LBB225_1973
; %bb.1972:
	s_waitcnt vmcnt(0)
	v_trunc_f64_e32 v[2:3], v[18:19]
	s_mov_b32 s0, 0
	s_delay_alu instid0(VALU_DEP_1) | instskip(NEXT) | instid1(VALU_DEP_1)
	v_ldexp_f64 v[4:5], v[2:3], 0xffffffe0
	v_floor_f64_e32 v[4:5], v[4:5]
	s_delay_alu instid0(VALU_DEP_1) | instskip(SKIP_1) | instid1(VALU_DEP_2)
	v_fma_f64 v[2:3], 0xc1f00000, v[4:5], v[2:3]
	v_cvt_i32_f64_e32 v4, v[4:5]
	v_cvt_u32_f64_e32 v3, v[2:3]
	global_store_b64 v[0:1], v[3:4], off
.LBB225_1973:
	s_and_not1_b32 vcc_lo, exec_lo, s0
	s_cbranch_vccnz .LBB225_1975
; %bb.1974:
	s_waitcnt vmcnt(0)
	v_cvt_i32_f64_e32 v2, v[18:19]
	global_store_b32 v[0:1], v2, off
.LBB225_1975:
	s_mov_b32 s0, 0
.LBB225_1976:
	s_delay_alu instid0(SALU_CYCLE_1)
	s_and_not1_b32 vcc_lo, exec_lo, s0
	s_cbranch_vccnz .LBB225_1978
; %bb.1977:
	s_waitcnt vmcnt(0)
	v_cvt_i32_f64_e32 v2, v[18:19]
	global_store_b16 v[0:1], v2, off
.LBB225_1978:
	s_mov_b32 s0, 0
.LBB225_1979:
	s_delay_alu instid0(SALU_CYCLE_1)
	s_and_not1_b32 vcc_lo, exec_lo, s0
	s_cbranch_vccnz .LBB225_1984
; %bb.1980:
	v_cmp_lt_i16_e32 vcc_lo, 0, v24
	s_mov_b32 s0, -1
	s_cbranch_vccz .LBB225_1982
; %bb.1981:
	s_waitcnt vmcnt(0)
	v_cvt_i32_f64_e32 v2, v[18:19]
	s_mov_b32 s0, 0
	global_store_b8 v[0:1], v2, off
.LBB225_1982:
	s_and_not1_b32 vcc_lo, exec_lo, s0
	s_cbranch_vccnz .LBB225_1984
; %bb.1983:
	s_waitcnt vmcnt(0)
	v_trunc_f64_e32 v[2:3], v[18:19]
	s_delay_alu instid0(VALU_DEP_1) | instskip(NEXT) | instid1(VALU_DEP_1)
	v_ldexp_f64 v[4:5], v[2:3], 0xffffffe0
	v_floor_f64_e32 v[4:5], v[4:5]
	s_delay_alu instid0(VALU_DEP_1) | instskip(NEXT) | instid1(VALU_DEP_1)
	v_fma_f64 v[2:3], 0xc1f00000, v[4:5], v[2:3]
	v_cvt_u32_f64_e32 v2, v[2:3]
	global_store_b8 v[0:1], v2, off
	s_nop 0
	s_sendmsg sendmsg(MSG_DEALLOC_VGPRS)
	s_endpgm
.LBB225_1984:
	s_nop 0
	s_sendmsg sendmsg(MSG_DEALLOC_VGPRS)
	s_endpgm
.LBB225_1985:
	s_and_not1_saveexec_b32 s1, s1
	s_cbranch_execz .LBB225_1936
.LBB225_1986:
	v_add_f64 v[10:11], v[10:11], -v[14:15]
	s_delay_alu instid0(VALU_DEP_1) | instskip(NEXT) | instid1(VALU_DEP_1)
	v_mul_f64 v[10:11], v[10:11], 0.5
	v_cmp_gt_f64_e32 vcc_lo, 0x10000000, v[10:11]
	v_cndmask_b32_e64 v14, 0, 1, vcc_lo
	s_delay_alu instid0(VALU_DEP_1) | instskip(NEXT) | instid1(VALU_DEP_1)
	v_lshlrev_b32_e32 v14, 8, v14
	v_ldexp_f64 v[10:11], v[10:11], v14
	s_delay_alu instid0(VALU_DEP_1) | instskip(SKIP_3) | instid1(VALU_DEP_1)
	v_rsq_f64_e32 v[14:15], v[10:11]
	s_waitcnt_depctr 0xfff
	v_mul_f64 v[18:19], v[10:11], v[14:15]
	v_mul_f64 v[14:15], v[14:15], 0.5
	v_fma_f64 v[24:25], -v[14:15], v[18:19], 0.5
	s_delay_alu instid0(VALU_DEP_1) | instskip(SKIP_1) | instid1(VALU_DEP_2)
	v_fma_f64 v[18:19], v[18:19], v[24:25], v[18:19]
	v_fma_f64 v[14:15], v[14:15], v[24:25], v[14:15]
	v_fma_f64 v[24:25], -v[18:19], v[18:19], v[10:11]
	s_delay_alu instid0(VALU_DEP_1) | instskip(NEXT) | instid1(VALU_DEP_1)
	v_fma_f64 v[18:19], v[24:25], v[14:15], v[18:19]
	v_fma_f64 v[24:25], -v[18:19], v[18:19], v[10:11]
	s_delay_alu instid0(VALU_DEP_1) | instskip(SKIP_3) | instid1(VALU_DEP_3)
	v_fma_f64 v[14:15], v[24:25], v[14:15], v[18:19]
	v_cndmask_b32_e64 v18, 0, 0xffffff80, vcc_lo
	v_cmp_class_f64_e64 vcc_lo, v[10:11], 0x260
	v_and_b32_e32 v19, 0x7fffffff, v17
	v_ldexp_f64 v[14:15], v[14:15], v18
	s_delay_alu instid0(VALU_DEP_1) | instskip(NEXT) | instid1(VALU_DEP_1)
	v_dual_cndmask_b32 v11, v15, v11 :: v_dual_cndmask_b32 v10, v14, v10
	v_add_f64 v[14:15], v[10:11], v[10:11]
	v_bfi_b32 v11, 0x7fffffff, v11, v17
	v_mov_b32_e32 v18, v16
	s_delay_alu instid0(VALU_DEP_1) | instskip(SKIP_1) | instid1(VALU_DEP_2)
	v_div_scale_f64 v[24:25], null, v[14:15], v[14:15], v[18:19]
	v_div_scale_f64 v[18:19], vcc_lo, v[18:19], v[14:15], v[18:19]
	v_rcp_f64_e32 v[26:27], v[24:25]
	s_waitcnt_depctr 0xfff
	v_fma_f64 v[28:29], -v[24:25], v[26:27], 1.0
	s_delay_alu instid0(VALU_DEP_1) | instskip(NEXT) | instid1(VALU_DEP_1)
	v_fma_f64 v[26:27], v[26:27], v[28:29], v[26:27]
	v_fma_f64 v[28:29], -v[24:25], v[26:27], 1.0
	s_delay_alu instid0(VALU_DEP_1) | instskip(NEXT) | instid1(VALU_DEP_1)
	v_fma_f64 v[26:27], v[26:27], v[28:29], v[26:27]
	v_mul_f64 v[28:29], v[18:19], v[26:27]
	s_delay_alu instid0(VALU_DEP_1) | instskip(NEXT) | instid1(VALU_DEP_1)
	v_fma_f64 v[18:19], -v[24:25], v[28:29], v[18:19]
	v_div_fmas_f64 v[18:19], v[18:19], v[26:27], v[28:29]
	s_delay_alu instid0(VALU_DEP_1) | instskip(SKIP_3) | instid1(SALU_CYCLE_1)
	v_div_fixup_f64 v[14:15], v[18:19], v[14:15], |v[16:17]|
	v_dual_mov_b32 v17, v11 :: v_dual_mov_b32 v16, v10
	s_or_b32 exec_lo, exec_lo, s1
	s_and_saveexec_b32 s1, s0
	s_xor_b32 s0, exec_lo, s1
	s_cbranch_execnz .LBB225_1937
.LBB225_1987:
	s_and_not1_saveexec_b32 s0, s0
.LBB225_1988:
	s_delay_alu instid0(VALU_DEP_2) | instskip(NEXT) | instid1(VALU_DEP_2)
	v_add_f64 v[14:15], v[14:15], v[14:15]
	v_add_f64 v[16:17], v[16:17], v[16:17]
.LBB225_1989:
	s_or_b32 exec_lo, exec_lo, s0
.LBB225_1990:
	s_and_not1_saveexec_b32 s0, s7
	s_cbranch_execz .LBB225_1996
; %bb.1991:
	s_delay_alu instid0(VALU_DEP_1) | instskip(SKIP_1) | instid1(VALU_DEP_3)
	v_add_f64 v[10:11], v[16:17], -v[16:17]
	s_mov_b32 s1, exec_lo
	v_cmpx_lt_i64_e32 -1, v[14:15]
	s_xor_b32 s1, exec_lo, s1
; %bb.1992:
	s_delay_alu instid0(VALU_DEP_2) | instskip(NEXT) | instid1(VALU_DEP_1)
	v_bfi_b32 v11, 0x7fffffff, v11, v17
	v_dual_mov_b32 v17, v11 :: v_dual_mov_b32 v16, v10
                                        ; implicit-def: $vgpr10_vgpr11
; %bb.1993:
	s_and_not1_saveexec_b32 s1, s1
; %bb.1994:
	s_delay_alu instid0(VALU_DEP_1) | instskip(SKIP_1) | instid1(VALU_DEP_2)
	v_bfi_b32 v15, 0x7fffffff, v15, v17
	v_and_b32_e32 v11, 0x7fffffff, v11
	v_dual_mov_b32 v17, v15 :: v_dual_mov_b32 v16, v14
	s_delay_alu instid0(VALU_DEP_2)
	v_dual_mov_b32 v15, v11 :: v_dual_mov_b32 v14, v10
; %bb.1995:
	s_or_b32 exec_lo, exec_lo, s1
.LBB225_1996:
	s_delay_alu instid0(SALU_CYCLE_1)
	s_or_b32 exec_lo, exec_lo, s0
.LBB225_1997:
	s_and_not1_saveexec_b32 s0, s6
; %bb.1998:
	s_delay_alu instid0(VALU_DEP_1) | instskip(NEXT) | instid1(VALU_DEP_1)
	v_add_f64 v[10:11], v[16:17], -v[16:17]
	v_div_scale_f64 v[16:17], vcc_lo, v[10:11], v[10:11], v[10:11]
	s_delay_alu instid0(VALU_DEP_1) | instskip(SKIP_2) | instid1(VALU_DEP_1)
	v_rcp_f64_e32 v[18:19], v[16:17]
	s_waitcnt_depctr 0xfff
	v_fma_f64 v[24:25], -v[16:17], v[18:19], 1.0
	v_fma_f64 v[18:19], v[18:19], v[24:25], v[18:19]
	s_delay_alu instid0(VALU_DEP_1) | instskip(NEXT) | instid1(VALU_DEP_1)
	v_fma_f64 v[24:25], -v[16:17], v[18:19], 1.0
	v_fma_f64 v[18:19], v[18:19], v[24:25], v[18:19]
	s_delay_alu instid0(VALU_DEP_1) | instskip(NEXT) | instid1(VALU_DEP_1)
	v_mul_f64 v[24:25], v[16:17], v[18:19]
	v_fma_f64 v[16:17], -v[16:17], v[24:25], v[16:17]
	s_delay_alu instid0(VALU_DEP_1) | instskip(NEXT) | instid1(VALU_DEP_1)
	v_div_fmas_f64 v[16:17], v[16:17], v[18:19], v[24:25]
	v_div_fixup_f64 v[16:17], v[16:17], v[10:11], v[10:11]
; %bb.1999:
	s_or_b32 exec_lo, exec_lo, s0
	v_dual_mov_b32 v19, v15 :: v_dual_mov_b32 v18, v14
.LBB225_2000:
	s_or_b32 exec_lo, exec_lo, s3
.LBB225_2001:
	s_delay_alu instid0(SALU_CYCLE_1) | instskip(SKIP_4) | instid1(VALU_DEP_1)
	s_or_b32 exec_lo, exec_lo, s2
	s_lshr_b32 s0, s11, 8
	s_mov_b32 s2, 0
	v_and_b32_e64 v24, 0xff, s0
	v_add_co_u32 v14, s0, s4, v23
	v_add_co_ci_u32_e64 v15, null, s5, 0, s0
	s_delay_alu instid0(VALU_DEP_3)
	v_cmp_gt_i16_e32 vcc_lo, 11, v24
	s_mov_b32 s0, -1
	s_cbranch_vccnz .LBB225_2079
; %bb.2002:
	v_cmp_lt_i16_e32 vcc_lo, 25, v24
	s_mov_b32 s3, -1
	s_mov_b32 s1, 0
	s_mov_b32 s0, 0
	s_cbranch_vccz .LBB225_2035
; %bb.2003:
	v_cmp_lt_i16_e32 vcc_lo, 28, v24
	s_cbranch_vccz .LBB225_2018
; %bb.2004:
	v_cmp_lt_i16_e32 vcc_lo, 43, v24
	;; [unrolled: 3-line block ×3, first 2 shown]
	s_cbranch_vccz .LBB225_2008
; %bb.2006:
	v_cmp_eq_u16_e32 vcc_lo, 46, v24
	s_mov_b32 s0, -1
	s_mov_b32 s3, 0
	s_cbranch_vccz .LBB225_2008
; %bb.2007:
	v_cvt_f32_f64_e32 v10, v[2:3]
	v_cvt_f32_f64_e32 v11, v[8:9]
	s_mov_b32 s0, 0
	s_mov_b32 s2, -1
	s_delay_alu instid0(VALU_DEP_2) | instskip(NEXT) | instid1(VALU_DEP_2)
	v_bfe_u32 v23, v10, 16, 1
	v_bfe_u32 v25, v11, 16, 1
	v_cmp_o_f32_e32 vcc_lo, v10, v10
	s_delay_alu instid0(VALU_DEP_3) | instskip(NEXT) | instid1(VALU_DEP_3)
	v_add3_u32 v23, v10, v23, 0x7fff
	v_add3_u32 v25, v11, v25, 0x7fff
	s_delay_alu instid0(VALU_DEP_2) | instskip(NEXT) | instid1(VALU_DEP_2)
	v_and_b32_e32 v23, 0xffff0000, v23
	v_lshrrev_b32_e32 v25, 16, v25
	s_delay_alu instid0(VALU_DEP_2) | instskip(SKIP_1) | instid1(VALU_DEP_3)
	v_cndmask_b32_e32 v10, 0x7fc00000, v23, vcc_lo
	v_cmp_o_f32_e32 vcc_lo, v11, v11
	v_cndmask_b32_e32 v11, 0x7fc0, v25, vcc_lo
	s_delay_alu instid0(VALU_DEP_1)
	v_or_b32_e32 v10, v10, v11
	global_store_b32 v[14:15], v10, off
.LBB225_2008:
	s_and_b32 vcc_lo, exec_lo, s3
	s_cbranch_vccz .LBB225_2013
; %bb.2009:
	v_cmp_eq_u16_e32 vcc_lo, 44, v24
	s_mov_b32 s0, -1
	s_cbranch_vccz .LBB225_2013
; %bb.2010:
	v_cvt_f32_f64_e32 v10, v[8:9]
	v_mov_b32_e32 v11, 0xff
	s_mov_b32 s2, exec_lo
	s_delay_alu instid0(VALU_DEP_2) | instskip(NEXT) | instid1(VALU_DEP_1)
	v_bfe_u32 v23, v10, 23, 8
	v_cmpx_ne_u32_e32 0xff, v23
; %bb.2011:
	v_and_b32_e32 v11, 0x400000, v10
	v_and_or_b32 v23, 0x3fffff, v10, v23
	v_lshrrev_b32_e32 v10, 23, v10
	s_delay_alu instid0(VALU_DEP_3) | instskip(NEXT) | instid1(VALU_DEP_3)
	v_cmp_ne_u32_e32 vcc_lo, 0, v11
	v_cmp_ne_u32_e64 s0, 0, v23
	s_delay_alu instid0(VALU_DEP_1) | instskip(NEXT) | instid1(SALU_CYCLE_1)
	s_and_b32 s0, vcc_lo, s0
	v_cndmask_b32_e64 v11, 0, 1, s0
	s_delay_alu instid0(VALU_DEP_1)
	v_add_nc_u32_e32 v11, v10, v11
; %bb.2012:
	s_or_b32 exec_lo, exec_lo, s2
	s_mov_b32 s0, 0
	s_mov_b32 s2, -1
	global_store_b8 v[14:15], v11, off
.LBB225_2013:
	s_mov_b32 s3, 0
.LBB225_2014:
	s_delay_alu instid0(SALU_CYCLE_1)
	s_and_b32 vcc_lo, exec_lo, s3
	s_cbranch_vccz .LBB225_2017
; %bb.2015:
	v_cmp_eq_u16_e32 vcc_lo, 29, v24
	s_mov_b32 s0, -1
	s_cbranch_vccz .LBB225_2017
; %bb.2016:
	v_trunc_f64_e32 v[10:11], v[8:9]
	s_mov_b32 s0, 0
	s_mov_b32 s2, -1
	s_delay_alu instid0(VALU_DEP_1) | instskip(NEXT) | instid1(VALU_DEP_1)
	v_ldexp_f64 v[25:26], v[10:11], 0xffffffe0
	v_floor_f64_e32 v[25:26], v[25:26]
	s_delay_alu instid0(VALU_DEP_1) | instskip(SKIP_1) | instid1(VALU_DEP_2)
	v_fma_f64 v[10:11], 0xc1f00000, v[25:26], v[10:11]
	v_cvt_u32_f64_e32 v26, v[25:26]
	v_cvt_u32_f64_e32 v25, v[10:11]
	global_store_b64 v[14:15], v[25:26], off
.LBB225_2017:
	s_mov_b32 s3, 0
.LBB225_2018:
	s_delay_alu instid0(SALU_CYCLE_1)
	s_and_b32 vcc_lo, exec_lo, s3
	s_cbranch_vccz .LBB225_2034
; %bb.2019:
	v_cmp_gt_i16_e32 vcc_lo, 27, v24
	s_mov_b32 s2, -1
	s_cbranch_vccnz .LBB225_2025
; %bb.2020:
	v_cvt_u32_f64_e32 v10, v[8:9]
	v_cmp_lt_i16_e32 vcc_lo, 27, v24
	s_cbranch_vccz .LBB225_2022
; %bb.2021:
	s_mov_b32 s2, 0
	global_store_b32 v[14:15], v10, off
.LBB225_2022:
	s_and_not1_b32 vcc_lo, exec_lo, s2
	s_cbranch_vccnz .LBB225_2024
; %bb.2023:
	global_store_b16 v[14:15], v10, off
.LBB225_2024:
	s_mov_b32 s2, 0
.LBB225_2025:
	s_delay_alu instid0(SALU_CYCLE_1)
	s_and_not1_b32 vcc_lo, exec_lo, s2
	s_cbranch_vccnz .LBB225_2033
; %bb.2026:
	v_cvt_f32_f64_e32 v10, v[8:9]
	v_mov_b32_e32 v23, 0x80
	s_mov_b32 s2, exec_lo
	s_delay_alu instid0(VALU_DEP_2) | instskip(NEXT) | instid1(VALU_DEP_1)
	v_and_b32_e32 v11, 0x7fffffff, v10
	v_cmpx_gt_u32_e32 0x43800000, v11
	s_cbranch_execz .LBB225_2032
; %bb.2027:
	v_cmp_lt_u32_e32 vcc_lo, 0x3bffffff, v11
	s_mov_b32 s3, 0
                                        ; implicit-def: $vgpr11
	s_and_saveexec_b32 s6, vcc_lo
	s_delay_alu instid0(SALU_CYCLE_1)
	s_xor_b32 s6, exec_lo, s6
	s_cbranch_execz .LBB225_2434
; %bb.2028:
	v_bfe_u32 v11, v10, 20, 1
	s_mov_b32 s3, exec_lo
	s_delay_alu instid0(VALU_DEP_1) | instskip(NEXT) | instid1(VALU_DEP_1)
	v_add3_u32 v11, v10, v11, 0x487ffff
	v_lshrrev_b32_e32 v11, 20, v11
	s_or_saveexec_b32 s6, s6
                                        ; implicit-def: $sgpr7
	s_delay_alu instid0(SALU_CYCLE_1)
	s_xor_b32 exec_lo, exec_lo, s6
	s_cbranch_execnz .LBB225_2435
.LBB225_2029:
	s_or_b32 exec_lo, exec_lo, s6
	v_mov_b32_e32 v23, s7
	s_and_saveexec_b32 s6, s3
.LBB225_2030:
	v_lshrrev_b32_e32 v10, 24, v10
	s_delay_alu instid0(VALU_DEP_1)
	v_and_or_b32 v23, 0x80, v10, v11
.LBB225_2031:
	s_or_b32 exec_lo, exec_lo, s6
.LBB225_2032:
	s_delay_alu instid0(SALU_CYCLE_1)
	s_or_b32 exec_lo, exec_lo, s2
	global_store_b8 v[14:15], v23, off
.LBB225_2033:
	s_mov_b32 s2, -1
.LBB225_2034:
	s_mov_b32 s3, 0
.LBB225_2035:
	s_delay_alu instid0(SALU_CYCLE_1)
	s_and_b32 vcc_lo, exec_lo, s3
	s_cbranch_vccz .LBB225_2075
; %bb.2036:
	v_cmp_lt_i16_e32 vcc_lo, 22, v24
	s_mov_b32 s1, -1
	s_cbranch_vccz .LBB225_2068
; %bb.2037:
	v_cmp_gt_i16_e32 vcc_lo, 24, v24
	s_cbranch_vccnz .LBB225_2057
; %bb.2038:
	v_cmp_lt_i16_e32 vcc_lo, 24, v24
	s_cbranch_vccz .LBB225_2046
; %bb.2039:
	v_cvt_f32_f64_e32 v10, v[8:9]
	v_mov_b32_e32 v23, 0x80
	s_mov_b32 s1, exec_lo
	s_delay_alu instid0(VALU_DEP_2) | instskip(NEXT) | instid1(VALU_DEP_1)
	v_and_b32_e32 v11, 0x7fffffff, v10
	v_cmpx_gt_u32_e32 0x47800000, v11
	s_cbranch_execz .LBB225_2045
; %bb.2040:
	v_cmp_lt_u32_e32 vcc_lo, 0x37ffffff, v11
	s_mov_b32 s2, 0
                                        ; implicit-def: $vgpr11
	s_and_saveexec_b32 s3, vcc_lo
	s_delay_alu instid0(SALU_CYCLE_1)
	s_xor_b32 s3, exec_lo, s3
	s_cbranch_execz .LBB225_2440
; %bb.2041:
	v_bfe_u32 v11, v10, 21, 1
	s_mov_b32 s2, exec_lo
	s_delay_alu instid0(VALU_DEP_1) | instskip(NEXT) | instid1(VALU_DEP_1)
	v_add3_u32 v11, v10, v11, 0x88fffff
	v_lshrrev_b32_e32 v11, 21, v11
	s_or_saveexec_b32 s3, s3
                                        ; implicit-def: $sgpr6
	s_delay_alu instid0(SALU_CYCLE_1)
	s_xor_b32 exec_lo, exec_lo, s3
	s_cbranch_execnz .LBB225_2441
.LBB225_2042:
	s_or_b32 exec_lo, exec_lo, s3
	v_mov_b32_e32 v23, s6
	s_and_saveexec_b32 s3, s2
.LBB225_2043:
	v_lshrrev_b32_e32 v10, 24, v10
	s_delay_alu instid0(VALU_DEP_1)
	v_and_or_b32 v23, 0x80, v10, v11
.LBB225_2044:
	s_or_b32 exec_lo, exec_lo, s3
.LBB225_2045:
	s_delay_alu instid0(SALU_CYCLE_1)
	s_or_b32 exec_lo, exec_lo, s1
	s_mov_b32 s1, 0
	global_store_b8 v[14:15], v23, off
.LBB225_2046:
	s_and_b32 vcc_lo, exec_lo, s1
	s_cbranch_vccz .LBB225_2056
; %bb.2047:
	v_cvt_f32_f64_e32 v10, v[8:9]
	s_mov_b32 s1, exec_lo
                                        ; implicit-def: $vgpr11
	s_delay_alu instid0(VALU_DEP_1) | instskip(NEXT) | instid1(VALU_DEP_1)
	v_and_b32_e32 v23, 0x7fffffff, v10
	v_cmpx_gt_u32_e32 0x43f00000, v23
	s_xor_b32 s1, exec_lo, s1
	s_cbranch_execz .LBB225_2053
; %bb.2048:
	s_mov_b32 s2, exec_lo
                                        ; implicit-def: $vgpr11
	v_cmpx_lt_u32_e32 0x3c7fffff, v23
	s_xor_b32 s2, exec_lo, s2
; %bb.2049:
	v_bfe_u32 v11, v10, 20, 1
	s_delay_alu instid0(VALU_DEP_1) | instskip(NEXT) | instid1(VALU_DEP_1)
	v_add3_u32 v11, v10, v11, 0x407ffff
	v_and_b32_e32 v23, 0xff00000, v11
	v_lshrrev_b32_e32 v11, 20, v11
	s_delay_alu instid0(VALU_DEP_2) | instskip(NEXT) | instid1(VALU_DEP_2)
	v_cmp_ne_u32_e32 vcc_lo, 0x7f00000, v23
	v_cndmask_b32_e32 v11, 0x7e, v11, vcc_lo
; %bb.2050:
	s_and_not1_saveexec_b32 s2, s2
; %bb.2051:
	v_add_f32_e64 v11, 0x46800000, |v10|
; %bb.2052:
	s_or_b32 exec_lo, exec_lo, s2
                                        ; implicit-def: $vgpr23
.LBB225_2053:
	s_and_not1_saveexec_b32 s1, s1
; %bb.2054:
	v_mov_b32_e32 v11, 0x7f
	v_cmp_lt_u32_e32 vcc_lo, 0x7f800000, v23
	s_delay_alu instid0(VALU_DEP_2)
	v_cndmask_b32_e32 v11, 0x7e, v11, vcc_lo
; %bb.2055:
	s_or_b32 exec_lo, exec_lo, s1
	v_lshrrev_b32_e32 v10, 24, v10
	s_delay_alu instid0(VALU_DEP_1)
	v_and_or_b32 v10, 0x80, v10, v11
	global_store_b8 v[14:15], v10, off
.LBB225_2056:
	s_mov_b32 s1, 0
.LBB225_2057:
	s_delay_alu instid0(SALU_CYCLE_1)
	s_and_not1_b32 vcc_lo, exec_lo, s1
	s_cbranch_vccnz .LBB225_2067
; %bb.2058:
	v_cvt_f32_f64_e32 v10, v[8:9]
	s_mov_b32 s1, exec_lo
                                        ; implicit-def: $vgpr11
	s_delay_alu instid0(VALU_DEP_1) | instskip(NEXT) | instid1(VALU_DEP_1)
	v_and_b32_e32 v23, 0x7fffffff, v10
	v_cmpx_gt_u32_e32 0x47800000, v23
	s_xor_b32 s1, exec_lo, s1
	s_cbranch_execz .LBB225_2064
; %bb.2059:
	s_mov_b32 s2, exec_lo
                                        ; implicit-def: $vgpr11
	v_cmpx_lt_u32_e32 0x387fffff, v23
	s_xor_b32 s2, exec_lo, s2
; %bb.2060:
	v_bfe_u32 v11, v10, 21, 1
	s_delay_alu instid0(VALU_DEP_1) | instskip(NEXT) | instid1(VALU_DEP_1)
	v_add3_u32 v11, v10, v11, 0x80fffff
	v_lshrrev_b32_e32 v11, 21, v11
; %bb.2061:
	s_and_not1_saveexec_b32 s2, s2
; %bb.2062:
	v_add_f32_e64 v11, 0x43000000, |v10|
; %bb.2063:
	s_or_b32 exec_lo, exec_lo, s2
                                        ; implicit-def: $vgpr23
.LBB225_2064:
	s_and_not1_saveexec_b32 s1, s1
; %bb.2065:
	v_mov_b32_e32 v11, 0x7f
	v_cmp_lt_u32_e32 vcc_lo, 0x7f800000, v23
	s_delay_alu instid0(VALU_DEP_2)
	v_cndmask_b32_e32 v11, 0x7c, v11, vcc_lo
; %bb.2066:
	s_or_b32 exec_lo, exec_lo, s1
	v_lshrrev_b32_e32 v10, 24, v10
	s_delay_alu instid0(VALU_DEP_1)
	v_and_or_b32 v10, 0x80, v10, v11
	global_store_b8 v[14:15], v10, off
.LBB225_2067:
	s_mov_b32 s1, 0
	s_mov_b32 s2, -1
.LBB225_2068:
	s_and_not1_b32 vcc_lo, exec_lo, s1
	s_mov_b32 s1, 0
	s_cbranch_vccnz .LBB225_2075
; %bb.2069:
	v_cmp_lt_i16_e32 vcc_lo, 14, v24
	s_mov_b32 s1, -1
	s_cbranch_vccz .LBB225_2073
; %bb.2070:
	v_cmp_eq_u16_e32 vcc_lo, 15, v24
	s_mov_b32 s0, -1
	s_cbranch_vccz .LBB225_2072
; %bb.2071:
	v_cvt_f32_f64_e32 v10, v[8:9]
	s_mov_b32 s0, 0
	s_mov_b32 s2, -1
	s_delay_alu instid0(VALU_DEP_1) | instskip(SKIP_1) | instid1(VALU_DEP_2)
	v_bfe_u32 v11, v10, 16, 1
	v_cmp_o_f32_e32 vcc_lo, v10, v10
	v_add3_u32 v11, v10, v11, 0x7fff
	s_delay_alu instid0(VALU_DEP_1) | instskip(NEXT) | instid1(VALU_DEP_1)
	v_lshrrev_b32_e32 v11, 16, v11
	v_cndmask_b32_e32 v10, 0x7fc0, v11, vcc_lo
	global_store_b16 v[14:15], v10, off
.LBB225_2072:
	s_mov_b32 s1, 0
.LBB225_2073:
	s_delay_alu instid0(SALU_CYCLE_1)
	s_and_b32 vcc_lo, exec_lo, s1
	s_mov_b32 s1, 0
	s_cbranch_vccz .LBB225_2075
; %bb.2074:
	v_cmp_ne_u16_e64 s0, 11, v24
	s_mov_b32 s1, -1
.LBB225_2075:
	s_delay_alu instid0(VALU_DEP_1)
	s_and_b32 vcc_lo, exec_lo, s0
	s_cbranch_vccnz .LBB225_2438
; %bb.2076:
	s_and_not1_b32 vcc_lo, exec_lo, s1
	s_cbranch_vccnz .LBB225_2078
.LBB225_2077:
	v_cmp_neq_f64_e32 vcc_lo, 0, v[8:9]
	v_cmp_neq_f64_e64 s0, 0, v[2:3]
	s_mov_b32 s2, -1
	s_delay_alu instid0(VALU_DEP_1) | instskip(NEXT) | instid1(SALU_CYCLE_1)
	s_or_b32 s0, vcc_lo, s0
	v_cndmask_b32_e64 v10, 0, 1, s0
	global_store_b8 v[14:15], v10, off
.LBB225_2078:
	s_mov_b32 s0, 0
.LBB225_2079:
	s_delay_alu instid0(SALU_CYCLE_1)
	s_and_b32 vcc_lo, exec_lo, s0
	s_cbranch_vccz .LBB225_2118
; %bb.2080:
	v_cmp_gt_i16_e32 vcc_lo, 5, v24
	s_mov_b32 s0, -1
	s_cbranch_vccnz .LBB225_2101
; %bb.2081:
	v_cmp_gt_i16_e32 vcc_lo, 8, v24
	s_cbranch_vccnz .LBB225_2091
; %bb.2082:
	v_cmp_gt_i16_e32 vcc_lo, 9, v24
	s_cbranch_vccnz .LBB225_2088
; %bb.2083:
	v_cmp_lt_i16_e32 vcc_lo, 9, v24
	s_cbranch_vccz .LBB225_2085
; %bb.2084:
	v_dual_mov_b32 v10, v2 :: v_dual_mov_b32 v11, v3
	s_mov_b32 s0, 0
	global_store_b128 v[14:15], v[8:11], off
.LBB225_2085:
	s_and_not1_b32 vcc_lo, exec_lo, s0
	s_cbranch_vccnz .LBB225_2087
; %bb.2086:
	v_cvt_f32_f64_e32 v10, v[8:9]
	v_cvt_f32_f64_e32 v11, v[2:3]
	global_store_b64 v[14:15], v[10:11], off
.LBB225_2087:
	s_mov_b32 s0, 0
.LBB225_2088:
	s_delay_alu instid0(SALU_CYCLE_1)
	s_and_not1_b32 vcc_lo, exec_lo, s0
	s_cbranch_vccnz .LBB225_2090
; %bb.2089:
	v_cvt_f32_f64_e32 v2, v[2:3]
	v_cvt_f32_f64_e32 v3, v[8:9]
	s_delay_alu instid0(VALU_DEP_2) | instskip(NEXT) | instid1(VALU_DEP_2)
	v_cvt_f16_f32_e32 v2, v2
	v_cvt_f16_f32_e32 v3, v3
	s_delay_alu instid0(VALU_DEP_2) | instskip(NEXT) | instid1(VALU_DEP_2)
	v_lshlrev_b32_e32 v2, 16, v2
	v_and_b32_e32 v3, 0xffff, v3
	s_delay_alu instid0(VALU_DEP_1)
	v_or_b32_e32 v2, v2, v3
	global_store_b32 v[14:15], v2, off
.LBB225_2090:
	s_mov_b32 s0, 0
.LBB225_2091:
	s_delay_alu instid0(SALU_CYCLE_1)
	s_and_not1_b32 vcc_lo, exec_lo, s0
	s_cbranch_vccnz .LBB225_2100
; %bb.2092:
	v_cmp_gt_i16_e32 vcc_lo, 6, v24
	s_mov_b32 s0, -1
	s_cbranch_vccnz .LBB225_2098
; %bb.2093:
	v_cmp_lt_i16_e32 vcc_lo, 6, v24
	s_cbranch_vccz .LBB225_2095
; %bb.2094:
	s_mov_b32 s0, 0
	global_store_b64 v[14:15], v[8:9], off
.LBB225_2095:
	s_and_not1_b32 vcc_lo, exec_lo, s0
	s_cbranch_vccnz .LBB225_2097
; %bb.2096:
	v_cvt_f32_f64_e32 v2, v[8:9]
	global_store_b32 v[14:15], v2, off
.LBB225_2097:
	s_mov_b32 s0, 0
.LBB225_2098:
	s_delay_alu instid0(SALU_CYCLE_1)
	s_and_not1_b32 vcc_lo, exec_lo, s0
	s_cbranch_vccnz .LBB225_2100
; %bb.2099:
	v_cvt_f32_f64_e32 v2, v[8:9]
	s_delay_alu instid0(VALU_DEP_1)
	v_cvt_f16_f32_e32 v2, v2
	global_store_b16 v[14:15], v2, off
.LBB225_2100:
	s_mov_b32 s0, 0
.LBB225_2101:
	s_delay_alu instid0(SALU_CYCLE_1)
	s_and_not1_b32 vcc_lo, exec_lo, s0
	s_cbranch_vccnz .LBB225_2117
; %bb.2102:
	v_cmp_gt_i16_e32 vcc_lo, 2, v24
	s_mov_b32 s0, -1
	s_cbranch_vccnz .LBB225_2112
; %bb.2103:
	v_cmp_gt_i16_e32 vcc_lo, 3, v24
	s_cbranch_vccnz .LBB225_2109
; %bb.2104:
	v_cmp_lt_i16_e32 vcc_lo, 3, v24
	s_cbranch_vccz .LBB225_2106
; %bb.2105:
	v_trunc_f64_e32 v[2:3], v[8:9]
	s_mov_b32 s0, 0
	s_delay_alu instid0(VALU_DEP_1) | instskip(NEXT) | instid1(VALU_DEP_1)
	v_ldexp_f64 v[10:11], v[2:3], 0xffffffe0
	v_floor_f64_e32 v[10:11], v[10:11]
	s_delay_alu instid0(VALU_DEP_1) | instskip(SKIP_1) | instid1(VALU_DEP_2)
	v_fma_f64 v[2:3], 0xc1f00000, v[10:11], v[2:3]
	v_cvt_i32_f64_e32 v11, v[10:11]
	v_cvt_u32_f64_e32 v10, v[2:3]
	global_store_b64 v[14:15], v[10:11], off
.LBB225_2106:
	s_and_not1_b32 vcc_lo, exec_lo, s0
	s_cbranch_vccnz .LBB225_2108
; %bb.2107:
	v_cvt_i32_f64_e32 v2, v[8:9]
	global_store_b32 v[14:15], v2, off
.LBB225_2108:
	s_mov_b32 s0, 0
.LBB225_2109:
	s_delay_alu instid0(SALU_CYCLE_1)
	s_and_not1_b32 vcc_lo, exec_lo, s0
	s_cbranch_vccnz .LBB225_2111
; %bb.2110:
	v_cvt_i32_f64_e32 v2, v[8:9]
	global_store_b16 v[14:15], v2, off
.LBB225_2111:
	s_mov_b32 s0, 0
.LBB225_2112:
	s_delay_alu instid0(SALU_CYCLE_1)
	s_and_not1_b32 vcc_lo, exec_lo, s0
	s_cbranch_vccnz .LBB225_2117
; %bb.2113:
	v_cmp_lt_i16_e32 vcc_lo, 0, v24
	s_mov_b32 s0, -1
	s_cbranch_vccz .LBB225_2115
; %bb.2114:
	v_cvt_i32_f64_e32 v2, v[8:9]
	s_mov_b32 s0, 0
	global_store_b8 v[14:15], v2, off
.LBB225_2115:
	s_and_not1_b32 vcc_lo, exec_lo, s0
	s_cbranch_vccnz .LBB225_2117
; %bb.2116:
	v_trunc_f64_e32 v[2:3], v[8:9]
	s_delay_alu instid0(VALU_DEP_1) | instskip(NEXT) | instid1(VALU_DEP_1)
	v_ldexp_f64 v[8:9], v[2:3], 0xffffffe0
	v_floor_f64_e32 v[8:9], v[8:9]
	s_delay_alu instid0(VALU_DEP_1) | instskip(NEXT) | instid1(VALU_DEP_1)
	v_fma_f64 v[2:3], 0xc1f00000, v[8:9], v[2:3]
	v_cvt_u32_f64_e32 v2, v[2:3]
	global_store_b8 v[14:15], v2, off
.LBB225_2117:
	s_mov_b32 s2, -1
.LBB225_2118:
	s_delay_alu instid0(SALU_CYCLE_1)
	s_and_not1_b32 vcc_lo, exec_lo, s2
	s_cbranch_vccnz .LBB225_2431
; %bb.2119:
	v_cmp_gt_i16_e32 vcc_lo, 11, v24
	v_add_co_u32 v8, s0, s4, v22
	s_delay_alu instid0(VALU_DEP_1)
	v_add_co_ci_u32_e64 v9, null, s5, 0, s0
	s_mov_b32 s2, 0
	s_mov_b32 s0, -1
	s_cbranch_vccnz .LBB225_2197
; %bb.2120:
	v_cmp_lt_i16_e32 vcc_lo, 25, v24
	s_mov_b32 s3, -1
	s_mov_b32 s1, 0
	s_mov_b32 s0, 0
	s_cbranch_vccz .LBB225_2153
; %bb.2121:
	v_cmp_lt_i16_e32 vcc_lo, 28, v24
	s_cbranch_vccz .LBB225_2136
; %bb.2122:
	v_cmp_lt_i16_e32 vcc_lo, 43, v24
	;; [unrolled: 3-line block ×3, first 2 shown]
	s_cbranch_vccz .LBB225_2126
; %bb.2124:
	v_cmp_eq_u16_e32 vcc_lo, 46, v24
	s_mov_b32 s0, -1
	s_mov_b32 s3, 0
	s_cbranch_vccz .LBB225_2126
; %bb.2125:
	v_cvt_f32_f64_e32 v2, v[6:7]
	v_cvt_f32_f64_e32 v3, v[0:1]
	s_mov_b32 s0, 0
	s_mov_b32 s2, -1
	s_delay_alu instid0(VALU_DEP_2) | instskip(NEXT) | instid1(VALU_DEP_2)
	v_bfe_u32 v10, v2, 16, 1
	v_bfe_u32 v11, v3, 16, 1
	v_cmp_o_f32_e32 vcc_lo, v2, v2
	s_delay_alu instid0(VALU_DEP_3) | instskip(NEXT) | instid1(VALU_DEP_3)
	v_add3_u32 v10, v2, v10, 0x7fff
	v_add3_u32 v11, v3, v11, 0x7fff
	s_delay_alu instid0(VALU_DEP_2) | instskip(NEXT) | instid1(VALU_DEP_2)
	v_and_b32_e32 v10, 0xffff0000, v10
	v_lshrrev_b32_e32 v11, 16, v11
	s_delay_alu instid0(VALU_DEP_2) | instskip(SKIP_1) | instid1(VALU_DEP_3)
	v_cndmask_b32_e32 v2, 0x7fc00000, v10, vcc_lo
	v_cmp_o_f32_e32 vcc_lo, v3, v3
	v_cndmask_b32_e32 v3, 0x7fc0, v11, vcc_lo
	s_delay_alu instid0(VALU_DEP_1)
	v_or_b32_e32 v2, v2, v3
	global_store_b32 v[8:9], v2, off
.LBB225_2126:
	s_and_b32 vcc_lo, exec_lo, s3
	s_cbranch_vccz .LBB225_2131
; %bb.2127:
	v_cmp_eq_u16_e32 vcc_lo, 44, v24
	s_mov_b32 s0, -1
	s_cbranch_vccz .LBB225_2131
; %bb.2128:
	v_cvt_f32_f64_e32 v2, v[0:1]
	v_mov_b32_e32 v3, 0xff
	s_mov_b32 s2, exec_lo
	s_delay_alu instid0(VALU_DEP_2) | instskip(NEXT) | instid1(VALU_DEP_1)
	v_bfe_u32 v10, v2, 23, 8
	v_cmpx_ne_u32_e32 0xff, v10
; %bb.2129:
	v_and_b32_e32 v3, 0x400000, v2
	v_and_or_b32 v10, 0x3fffff, v2, v10
	v_lshrrev_b32_e32 v2, 23, v2
	s_delay_alu instid0(VALU_DEP_3) | instskip(NEXT) | instid1(VALU_DEP_3)
	v_cmp_ne_u32_e32 vcc_lo, 0, v3
	v_cmp_ne_u32_e64 s0, 0, v10
	s_delay_alu instid0(VALU_DEP_1) | instskip(NEXT) | instid1(SALU_CYCLE_1)
	s_and_b32 s0, vcc_lo, s0
	v_cndmask_b32_e64 v3, 0, 1, s0
	s_delay_alu instid0(VALU_DEP_1)
	v_add_nc_u32_e32 v3, v2, v3
; %bb.2130:
	s_or_b32 exec_lo, exec_lo, s2
	s_mov_b32 s0, 0
	s_mov_b32 s2, -1
	global_store_b8 v[8:9], v3, off
.LBB225_2131:
	s_mov_b32 s3, 0
.LBB225_2132:
	s_delay_alu instid0(SALU_CYCLE_1)
	s_and_b32 vcc_lo, exec_lo, s3
	s_cbranch_vccz .LBB225_2135
; %bb.2133:
	v_cmp_eq_u16_e32 vcc_lo, 29, v24
	s_mov_b32 s0, -1
	s_cbranch_vccz .LBB225_2135
; %bb.2134:
	v_trunc_f64_e32 v[2:3], v[0:1]
	s_mov_b32 s0, 0
	s_mov_b32 s2, -1
	s_delay_alu instid0(VALU_DEP_1) | instskip(NEXT) | instid1(VALU_DEP_1)
	v_ldexp_f64 v[10:11], v[2:3], 0xffffffe0
	v_floor_f64_e32 v[10:11], v[10:11]
	s_delay_alu instid0(VALU_DEP_1) | instskip(SKIP_1) | instid1(VALU_DEP_2)
	v_fma_f64 v[2:3], 0xc1f00000, v[10:11], v[2:3]
	v_cvt_u32_f64_e32 v11, v[10:11]
	v_cvt_u32_f64_e32 v10, v[2:3]
	global_store_b64 v[8:9], v[10:11], off
.LBB225_2135:
	s_mov_b32 s3, 0
.LBB225_2136:
	s_delay_alu instid0(SALU_CYCLE_1)
	s_and_b32 vcc_lo, exec_lo, s3
	s_cbranch_vccz .LBB225_2152
; %bb.2137:
	v_cmp_gt_i16_e32 vcc_lo, 27, v24
	s_mov_b32 s2, -1
	s_cbranch_vccnz .LBB225_2143
; %bb.2138:
	v_cvt_u32_f64_e32 v2, v[0:1]
	v_cmp_lt_i16_e32 vcc_lo, 27, v24
	s_cbranch_vccz .LBB225_2140
; %bb.2139:
	s_mov_b32 s2, 0
	global_store_b32 v[8:9], v2, off
.LBB225_2140:
	s_and_not1_b32 vcc_lo, exec_lo, s2
	s_cbranch_vccnz .LBB225_2142
; %bb.2141:
	global_store_b16 v[8:9], v2, off
.LBB225_2142:
	s_mov_b32 s2, 0
.LBB225_2143:
	s_delay_alu instid0(SALU_CYCLE_1)
	s_and_not1_b32 vcc_lo, exec_lo, s2
	s_cbranch_vccnz .LBB225_2151
; %bb.2144:
	v_cvt_f32_f64_e32 v2, v[0:1]
	v_mov_b32_e32 v10, 0x80
	s_mov_b32 s2, exec_lo
	s_delay_alu instid0(VALU_DEP_2) | instskip(NEXT) | instid1(VALU_DEP_1)
	v_and_b32_e32 v3, 0x7fffffff, v2
	v_cmpx_gt_u32_e32 0x43800000, v3
	s_cbranch_execz .LBB225_2150
; %bb.2145:
	v_cmp_lt_u32_e32 vcc_lo, 0x3bffffff, v3
	s_mov_b32 s3, 0
                                        ; implicit-def: $vgpr3
	s_and_saveexec_b32 s6, vcc_lo
	s_delay_alu instid0(SALU_CYCLE_1)
	s_xor_b32 s6, exec_lo, s6
	s_cbranch_execz .LBB225_2442
; %bb.2146:
	v_bfe_u32 v3, v2, 20, 1
	s_mov_b32 s3, exec_lo
	s_delay_alu instid0(VALU_DEP_1) | instskip(NEXT) | instid1(VALU_DEP_1)
	v_add3_u32 v3, v2, v3, 0x487ffff
	v_lshrrev_b32_e32 v3, 20, v3
	s_or_saveexec_b32 s6, s6
                                        ; implicit-def: $sgpr7
	s_delay_alu instid0(SALU_CYCLE_1)
	s_xor_b32 exec_lo, exec_lo, s6
	s_cbranch_execnz .LBB225_2443
.LBB225_2147:
	s_or_b32 exec_lo, exec_lo, s6
	v_mov_b32_e32 v10, s7
	s_and_saveexec_b32 s6, s3
.LBB225_2148:
	v_lshrrev_b32_e32 v2, 24, v2
	s_delay_alu instid0(VALU_DEP_1)
	v_and_or_b32 v10, 0x80, v2, v3
.LBB225_2149:
	s_or_b32 exec_lo, exec_lo, s6
.LBB225_2150:
	s_delay_alu instid0(SALU_CYCLE_1)
	s_or_b32 exec_lo, exec_lo, s2
	global_store_b8 v[8:9], v10, off
.LBB225_2151:
	s_mov_b32 s2, -1
.LBB225_2152:
	s_mov_b32 s3, 0
.LBB225_2153:
	s_delay_alu instid0(SALU_CYCLE_1)
	s_and_b32 vcc_lo, exec_lo, s3
	s_cbranch_vccz .LBB225_2193
; %bb.2154:
	v_cmp_lt_i16_e32 vcc_lo, 22, v24
	s_mov_b32 s1, -1
	s_cbranch_vccz .LBB225_2186
; %bb.2155:
	v_cmp_gt_i16_e32 vcc_lo, 24, v24
	s_cbranch_vccnz .LBB225_2175
; %bb.2156:
	v_cmp_lt_i16_e32 vcc_lo, 24, v24
	s_cbranch_vccz .LBB225_2164
; %bb.2157:
	v_cvt_f32_f64_e32 v2, v[0:1]
	v_mov_b32_e32 v10, 0x80
	s_mov_b32 s1, exec_lo
	s_delay_alu instid0(VALU_DEP_2) | instskip(NEXT) | instid1(VALU_DEP_1)
	v_and_b32_e32 v3, 0x7fffffff, v2
	v_cmpx_gt_u32_e32 0x47800000, v3
	s_cbranch_execz .LBB225_2163
; %bb.2158:
	v_cmp_lt_u32_e32 vcc_lo, 0x37ffffff, v3
	s_mov_b32 s2, 0
                                        ; implicit-def: $vgpr3
	s_and_saveexec_b32 s3, vcc_lo
	s_delay_alu instid0(SALU_CYCLE_1)
	s_xor_b32 s3, exec_lo, s3
	s_cbranch_execz .LBB225_2448
; %bb.2159:
	v_bfe_u32 v3, v2, 21, 1
	s_mov_b32 s2, exec_lo
	s_delay_alu instid0(VALU_DEP_1) | instskip(NEXT) | instid1(VALU_DEP_1)
	v_add3_u32 v3, v2, v3, 0x88fffff
	v_lshrrev_b32_e32 v3, 21, v3
	s_or_saveexec_b32 s3, s3
                                        ; implicit-def: $sgpr6
	s_delay_alu instid0(SALU_CYCLE_1)
	s_xor_b32 exec_lo, exec_lo, s3
	s_cbranch_execnz .LBB225_2449
.LBB225_2160:
	s_or_b32 exec_lo, exec_lo, s3
	v_mov_b32_e32 v10, s6
	s_and_saveexec_b32 s3, s2
.LBB225_2161:
	v_lshrrev_b32_e32 v2, 24, v2
	s_delay_alu instid0(VALU_DEP_1)
	v_and_or_b32 v10, 0x80, v2, v3
.LBB225_2162:
	s_or_b32 exec_lo, exec_lo, s3
.LBB225_2163:
	s_delay_alu instid0(SALU_CYCLE_1)
	s_or_b32 exec_lo, exec_lo, s1
	s_mov_b32 s1, 0
	global_store_b8 v[8:9], v10, off
.LBB225_2164:
	s_and_b32 vcc_lo, exec_lo, s1
	s_cbranch_vccz .LBB225_2174
; %bb.2165:
	v_cvt_f32_f64_e32 v2, v[0:1]
	s_mov_b32 s1, exec_lo
                                        ; implicit-def: $vgpr3
	s_delay_alu instid0(VALU_DEP_1) | instskip(NEXT) | instid1(VALU_DEP_1)
	v_and_b32_e32 v10, 0x7fffffff, v2
	v_cmpx_gt_u32_e32 0x43f00000, v10
	s_xor_b32 s1, exec_lo, s1
	s_cbranch_execz .LBB225_2171
; %bb.2166:
	s_mov_b32 s2, exec_lo
                                        ; implicit-def: $vgpr3
	v_cmpx_lt_u32_e32 0x3c7fffff, v10
	s_xor_b32 s2, exec_lo, s2
; %bb.2167:
	v_bfe_u32 v3, v2, 20, 1
	s_delay_alu instid0(VALU_DEP_1) | instskip(NEXT) | instid1(VALU_DEP_1)
	v_add3_u32 v3, v2, v3, 0x407ffff
	v_and_b32_e32 v10, 0xff00000, v3
	v_lshrrev_b32_e32 v3, 20, v3
	s_delay_alu instid0(VALU_DEP_2) | instskip(NEXT) | instid1(VALU_DEP_2)
	v_cmp_ne_u32_e32 vcc_lo, 0x7f00000, v10
	v_cndmask_b32_e32 v3, 0x7e, v3, vcc_lo
; %bb.2168:
	s_and_not1_saveexec_b32 s2, s2
; %bb.2169:
	v_add_f32_e64 v3, 0x46800000, |v2|
; %bb.2170:
	s_or_b32 exec_lo, exec_lo, s2
                                        ; implicit-def: $vgpr10
.LBB225_2171:
	s_and_not1_saveexec_b32 s1, s1
; %bb.2172:
	v_mov_b32_e32 v3, 0x7f
	v_cmp_lt_u32_e32 vcc_lo, 0x7f800000, v10
	s_delay_alu instid0(VALU_DEP_2)
	v_cndmask_b32_e32 v3, 0x7e, v3, vcc_lo
; %bb.2173:
	s_or_b32 exec_lo, exec_lo, s1
	v_lshrrev_b32_e32 v2, 24, v2
	s_delay_alu instid0(VALU_DEP_1)
	v_and_or_b32 v2, 0x80, v2, v3
	global_store_b8 v[8:9], v2, off
.LBB225_2174:
	s_mov_b32 s1, 0
.LBB225_2175:
	s_delay_alu instid0(SALU_CYCLE_1)
	s_and_not1_b32 vcc_lo, exec_lo, s1
	s_cbranch_vccnz .LBB225_2185
; %bb.2176:
	v_cvt_f32_f64_e32 v2, v[0:1]
	s_mov_b32 s1, exec_lo
                                        ; implicit-def: $vgpr3
	s_delay_alu instid0(VALU_DEP_1) | instskip(NEXT) | instid1(VALU_DEP_1)
	v_and_b32_e32 v10, 0x7fffffff, v2
	v_cmpx_gt_u32_e32 0x47800000, v10
	s_xor_b32 s1, exec_lo, s1
	s_cbranch_execz .LBB225_2182
; %bb.2177:
	s_mov_b32 s2, exec_lo
                                        ; implicit-def: $vgpr3
	v_cmpx_lt_u32_e32 0x387fffff, v10
	s_xor_b32 s2, exec_lo, s2
; %bb.2178:
	v_bfe_u32 v3, v2, 21, 1
	s_delay_alu instid0(VALU_DEP_1) | instskip(NEXT) | instid1(VALU_DEP_1)
	v_add3_u32 v3, v2, v3, 0x80fffff
	v_lshrrev_b32_e32 v3, 21, v3
; %bb.2179:
	s_and_not1_saveexec_b32 s2, s2
; %bb.2180:
	v_add_f32_e64 v3, 0x43000000, |v2|
; %bb.2181:
	s_or_b32 exec_lo, exec_lo, s2
                                        ; implicit-def: $vgpr10
.LBB225_2182:
	s_and_not1_saveexec_b32 s1, s1
; %bb.2183:
	v_mov_b32_e32 v3, 0x7f
	v_cmp_lt_u32_e32 vcc_lo, 0x7f800000, v10
	s_delay_alu instid0(VALU_DEP_2)
	v_cndmask_b32_e32 v3, 0x7c, v3, vcc_lo
; %bb.2184:
	s_or_b32 exec_lo, exec_lo, s1
	v_lshrrev_b32_e32 v2, 24, v2
	s_delay_alu instid0(VALU_DEP_1)
	v_and_or_b32 v2, 0x80, v2, v3
	global_store_b8 v[8:9], v2, off
.LBB225_2185:
	s_mov_b32 s1, 0
	s_mov_b32 s2, -1
.LBB225_2186:
	s_and_not1_b32 vcc_lo, exec_lo, s1
	s_mov_b32 s1, 0
	s_cbranch_vccnz .LBB225_2193
; %bb.2187:
	v_cmp_lt_i16_e32 vcc_lo, 14, v24
	s_mov_b32 s1, -1
	s_cbranch_vccz .LBB225_2191
; %bb.2188:
	v_cmp_eq_u16_e32 vcc_lo, 15, v24
	s_mov_b32 s0, -1
	s_cbranch_vccz .LBB225_2190
; %bb.2189:
	v_cvt_f32_f64_e32 v2, v[0:1]
	s_mov_b32 s0, 0
	s_mov_b32 s2, -1
	s_delay_alu instid0(VALU_DEP_1) | instskip(SKIP_1) | instid1(VALU_DEP_2)
	v_bfe_u32 v3, v2, 16, 1
	v_cmp_o_f32_e32 vcc_lo, v2, v2
	v_add3_u32 v3, v2, v3, 0x7fff
	s_delay_alu instid0(VALU_DEP_1) | instskip(NEXT) | instid1(VALU_DEP_1)
	v_lshrrev_b32_e32 v3, 16, v3
	v_cndmask_b32_e32 v2, 0x7fc0, v3, vcc_lo
	global_store_b16 v[8:9], v2, off
.LBB225_2190:
	s_mov_b32 s1, 0
.LBB225_2191:
	s_delay_alu instid0(SALU_CYCLE_1)
	s_and_b32 vcc_lo, exec_lo, s1
	s_mov_b32 s1, 0
	s_cbranch_vccz .LBB225_2193
; %bb.2192:
	v_cmp_ne_u16_e64 s0, 11, v24
	s_mov_b32 s1, -1
.LBB225_2193:
	s_delay_alu instid0(VALU_DEP_1)
	s_and_b32 vcc_lo, exec_lo, s0
	s_cbranch_vccnz .LBB225_2446
; %bb.2194:
	s_and_not1_b32 vcc_lo, exec_lo, s1
	s_cbranch_vccnz .LBB225_2196
.LBB225_2195:
	v_cmp_neq_f64_e32 vcc_lo, 0, v[0:1]
	v_cmp_neq_f64_e64 s0, 0, v[6:7]
	s_mov_b32 s2, -1
	s_delay_alu instid0(VALU_DEP_1) | instskip(NEXT) | instid1(SALU_CYCLE_1)
	s_or_b32 s0, vcc_lo, s0
	v_cndmask_b32_e64 v2, 0, 1, s0
	global_store_b8 v[8:9], v2, off
.LBB225_2196:
	s_mov_b32 s0, 0
.LBB225_2197:
	s_delay_alu instid0(SALU_CYCLE_1)
	s_and_b32 vcc_lo, exec_lo, s0
	s_cbranch_vccz .LBB225_2236
; %bb.2198:
	v_cmp_gt_i16_e32 vcc_lo, 5, v24
	s_mov_b32 s0, -1
	s_cbranch_vccnz .LBB225_2219
; %bb.2199:
	v_cmp_gt_i16_e32 vcc_lo, 8, v24
	s_cbranch_vccnz .LBB225_2209
; %bb.2200:
	v_cmp_gt_i16_e32 vcc_lo, 9, v24
	s_cbranch_vccnz .LBB225_2206
; %bb.2201:
	v_cmp_lt_i16_e32 vcc_lo, 9, v24
	s_cbranch_vccz .LBB225_2203
; %bb.2202:
	v_dual_mov_b32 v2, v6 :: v_dual_mov_b32 v3, v7
	s_mov_b32 s0, 0
	global_store_b128 v[8:9], v[0:3], off
.LBB225_2203:
	s_and_not1_b32 vcc_lo, exec_lo, s0
	s_cbranch_vccnz .LBB225_2205
; %bb.2204:
	v_cvt_f32_f64_e32 v2, v[0:1]
	v_cvt_f32_f64_e32 v3, v[6:7]
	global_store_b64 v[8:9], v[2:3], off
.LBB225_2205:
	s_mov_b32 s0, 0
.LBB225_2206:
	s_delay_alu instid0(SALU_CYCLE_1)
	s_and_not1_b32 vcc_lo, exec_lo, s0
	s_cbranch_vccnz .LBB225_2208
; %bb.2207:
	v_cvt_f32_f64_e32 v2, v[6:7]
	v_cvt_f32_f64_e32 v3, v[0:1]
	s_delay_alu instid0(VALU_DEP_2) | instskip(NEXT) | instid1(VALU_DEP_2)
	v_cvt_f16_f32_e32 v2, v2
	v_cvt_f16_f32_e32 v3, v3
	s_delay_alu instid0(VALU_DEP_2) | instskip(NEXT) | instid1(VALU_DEP_2)
	v_lshlrev_b32_e32 v2, 16, v2
	v_and_b32_e32 v3, 0xffff, v3
	s_delay_alu instid0(VALU_DEP_1)
	v_or_b32_e32 v2, v2, v3
	global_store_b32 v[8:9], v2, off
.LBB225_2208:
	s_mov_b32 s0, 0
.LBB225_2209:
	s_delay_alu instid0(SALU_CYCLE_1)
	s_and_not1_b32 vcc_lo, exec_lo, s0
	s_cbranch_vccnz .LBB225_2218
; %bb.2210:
	v_cmp_gt_i16_e32 vcc_lo, 6, v24
	s_mov_b32 s0, -1
	s_cbranch_vccnz .LBB225_2216
; %bb.2211:
	v_cmp_lt_i16_e32 vcc_lo, 6, v24
	s_cbranch_vccz .LBB225_2213
; %bb.2212:
	s_mov_b32 s0, 0
	global_store_b64 v[8:9], v[0:1], off
.LBB225_2213:
	s_and_not1_b32 vcc_lo, exec_lo, s0
	s_cbranch_vccnz .LBB225_2215
; %bb.2214:
	v_cvt_f32_f64_e32 v2, v[0:1]
	global_store_b32 v[8:9], v2, off
.LBB225_2215:
	s_mov_b32 s0, 0
.LBB225_2216:
	s_delay_alu instid0(SALU_CYCLE_1)
	s_and_not1_b32 vcc_lo, exec_lo, s0
	s_cbranch_vccnz .LBB225_2218
; %bb.2217:
	v_cvt_f32_f64_e32 v2, v[0:1]
	s_delay_alu instid0(VALU_DEP_1)
	v_cvt_f16_f32_e32 v2, v2
	global_store_b16 v[8:9], v2, off
.LBB225_2218:
	s_mov_b32 s0, 0
.LBB225_2219:
	s_delay_alu instid0(SALU_CYCLE_1)
	s_and_not1_b32 vcc_lo, exec_lo, s0
	s_cbranch_vccnz .LBB225_2235
; %bb.2220:
	v_cmp_gt_i16_e32 vcc_lo, 2, v24
	s_mov_b32 s0, -1
	s_cbranch_vccnz .LBB225_2230
; %bb.2221:
	v_cmp_gt_i16_e32 vcc_lo, 3, v24
	s_cbranch_vccnz .LBB225_2227
; %bb.2222:
	v_cmp_lt_i16_e32 vcc_lo, 3, v24
	s_cbranch_vccz .LBB225_2224
; %bb.2223:
	v_trunc_f64_e32 v[2:3], v[0:1]
	s_mov_b32 s0, 0
	s_delay_alu instid0(VALU_DEP_1) | instskip(NEXT) | instid1(VALU_DEP_1)
	v_ldexp_f64 v[6:7], v[2:3], 0xffffffe0
	v_floor_f64_e32 v[6:7], v[6:7]
	s_delay_alu instid0(VALU_DEP_1) | instskip(SKIP_1) | instid1(VALU_DEP_2)
	v_fma_f64 v[2:3], 0xc1f00000, v[6:7], v[2:3]
	v_cvt_i32_f64_e32 v7, v[6:7]
	v_cvt_u32_f64_e32 v6, v[2:3]
	global_store_b64 v[8:9], v[6:7], off
.LBB225_2224:
	s_and_not1_b32 vcc_lo, exec_lo, s0
	s_cbranch_vccnz .LBB225_2226
; %bb.2225:
	v_cvt_i32_f64_e32 v2, v[0:1]
	global_store_b32 v[8:9], v2, off
.LBB225_2226:
	s_mov_b32 s0, 0
.LBB225_2227:
	s_delay_alu instid0(SALU_CYCLE_1)
	s_and_not1_b32 vcc_lo, exec_lo, s0
	s_cbranch_vccnz .LBB225_2229
; %bb.2228:
	v_cvt_i32_f64_e32 v2, v[0:1]
	global_store_b16 v[8:9], v2, off
.LBB225_2229:
	s_mov_b32 s0, 0
.LBB225_2230:
	s_delay_alu instid0(SALU_CYCLE_1)
	s_and_not1_b32 vcc_lo, exec_lo, s0
	s_cbranch_vccnz .LBB225_2235
; %bb.2231:
	v_cmp_lt_i16_e32 vcc_lo, 0, v24
	s_mov_b32 s0, -1
	s_cbranch_vccz .LBB225_2233
; %bb.2232:
	v_cvt_i32_f64_e32 v2, v[0:1]
	s_mov_b32 s0, 0
	global_store_b8 v[8:9], v2, off
.LBB225_2233:
	s_and_not1_b32 vcc_lo, exec_lo, s0
	s_cbranch_vccnz .LBB225_2235
; %bb.2234:
	v_trunc_f64_e32 v[0:1], v[0:1]
	s_delay_alu instid0(VALU_DEP_1) | instskip(NEXT) | instid1(VALU_DEP_1)
	v_ldexp_f64 v[2:3], v[0:1], 0xffffffe0
	v_floor_f64_e32 v[2:3], v[2:3]
	s_delay_alu instid0(VALU_DEP_1) | instskip(NEXT) | instid1(VALU_DEP_1)
	v_fma_f64 v[0:1], 0xc1f00000, v[2:3], v[0:1]
	v_cvt_u32_f64_e32 v0, v[0:1]
	global_store_b8 v[8:9], v0, off
.LBB225_2235:
	s_mov_b32 s2, -1
.LBB225_2236:
	s_delay_alu instid0(SALU_CYCLE_1)
	s_and_not1_b32 vcc_lo, exec_lo, s2
	s_cbranch_vccnz .LBB225_2431
; %bb.2237:
	v_cmp_gt_i16_e32 vcc_lo, 11, v24
	v_add_co_u32 v0, s0, s4, v21
	s_delay_alu instid0(VALU_DEP_1)
	v_add_co_ci_u32_e64 v1, null, s5, 0, s0
	s_mov_b32 s2, 0
	s_mov_b32 s0, -1
	s_cbranch_vccnz .LBB225_2315
; %bb.2238:
	v_cmp_lt_i16_e32 vcc_lo, 25, v24
	s_mov_b32 s3, -1
	s_mov_b32 s1, 0
	s_mov_b32 s0, 0
	s_cbranch_vccz .LBB225_2271
; %bb.2239:
	v_cmp_lt_i16_e32 vcc_lo, 28, v24
	s_cbranch_vccz .LBB225_2254
; %bb.2240:
	v_cmp_lt_i16_e32 vcc_lo, 43, v24
	;; [unrolled: 3-line block ×3, first 2 shown]
	s_cbranch_vccz .LBB225_2244
; %bb.2242:
	v_cmp_eq_u16_e32 vcc_lo, 46, v24
	s_mov_b32 s0, -1
	s_mov_b32 s3, 0
	s_cbranch_vccz .LBB225_2244
; %bb.2243:
	v_cvt_f32_f64_e32 v2, v[12:13]
	v_cvt_f32_f64_e32 v3, v[4:5]
	s_mov_b32 s0, 0
	s_mov_b32 s2, -1
	s_delay_alu instid0(VALU_DEP_2) | instskip(NEXT) | instid1(VALU_DEP_2)
	v_bfe_u32 v6, v2, 16, 1
	v_bfe_u32 v7, v3, 16, 1
	v_cmp_o_f32_e32 vcc_lo, v2, v2
	s_delay_alu instid0(VALU_DEP_3) | instskip(NEXT) | instid1(VALU_DEP_3)
	v_add3_u32 v6, v2, v6, 0x7fff
	v_add3_u32 v7, v3, v7, 0x7fff
	s_delay_alu instid0(VALU_DEP_2) | instskip(NEXT) | instid1(VALU_DEP_2)
	v_and_b32_e32 v6, 0xffff0000, v6
	v_lshrrev_b32_e32 v7, 16, v7
	s_delay_alu instid0(VALU_DEP_2) | instskip(SKIP_1) | instid1(VALU_DEP_3)
	v_cndmask_b32_e32 v2, 0x7fc00000, v6, vcc_lo
	v_cmp_o_f32_e32 vcc_lo, v3, v3
	v_cndmask_b32_e32 v3, 0x7fc0, v7, vcc_lo
	s_delay_alu instid0(VALU_DEP_1)
	v_or_b32_e32 v2, v2, v3
	global_store_b32 v[0:1], v2, off
.LBB225_2244:
	s_and_b32 vcc_lo, exec_lo, s3
	s_cbranch_vccz .LBB225_2249
; %bb.2245:
	v_cmp_eq_u16_e32 vcc_lo, 44, v24
	s_mov_b32 s0, -1
	s_cbranch_vccz .LBB225_2249
; %bb.2246:
	v_cvt_f32_f64_e32 v2, v[4:5]
	v_mov_b32_e32 v3, 0xff
	s_mov_b32 s2, exec_lo
	s_delay_alu instid0(VALU_DEP_2) | instskip(NEXT) | instid1(VALU_DEP_1)
	v_bfe_u32 v6, v2, 23, 8
	v_cmpx_ne_u32_e32 0xff, v6
; %bb.2247:
	v_and_b32_e32 v3, 0x400000, v2
	v_and_or_b32 v6, 0x3fffff, v2, v6
	v_lshrrev_b32_e32 v2, 23, v2
	s_delay_alu instid0(VALU_DEP_3) | instskip(NEXT) | instid1(VALU_DEP_3)
	v_cmp_ne_u32_e32 vcc_lo, 0, v3
	v_cmp_ne_u32_e64 s0, 0, v6
	s_delay_alu instid0(VALU_DEP_1) | instskip(NEXT) | instid1(SALU_CYCLE_1)
	s_and_b32 s0, vcc_lo, s0
	v_cndmask_b32_e64 v3, 0, 1, s0
	s_delay_alu instid0(VALU_DEP_1)
	v_add_nc_u32_e32 v3, v2, v3
; %bb.2248:
	s_or_b32 exec_lo, exec_lo, s2
	s_mov_b32 s0, 0
	s_mov_b32 s2, -1
	global_store_b8 v[0:1], v3, off
.LBB225_2249:
	s_mov_b32 s3, 0
.LBB225_2250:
	s_delay_alu instid0(SALU_CYCLE_1)
	s_and_b32 vcc_lo, exec_lo, s3
	s_cbranch_vccz .LBB225_2253
; %bb.2251:
	v_cmp_eq_u16_e32 vcc_lo, 29, v24
	s_mov_b32 s0, -1
	s_cbranch_vccz .LBB225_2253
; %bb.2252:
	v_trunc_f64_e32 v[2:3], v[4:5]
	s_mov_b32 s0, 0
	s_mov_b32 s2, -1
	s_delay_alu instid0(VALU_DEP_1) | instskip(NEXT) | instid1(VALU_DEP_1)
	v_ldexp_f64 v[6:7], v[2:3], 0xffffffe0
	v_floor_f64_e32 v[6:7], v[6:7]
	s_delay_alu instid0(VALU_DEP_1) | instskip(SKIP_1) | instid1(VALU_DEP_2)
	v_fma_f64 v[2:3], 0xc1f00000, v[6:7], v[2:3]
	v_cvt_u32_f64_e32 v7, v[6:7]
	v_cvt_u32_f64_e32 v6, v[2:3]
	global_store_b64 v[0:1], v[6:7], off
.LBB225_2253:
	s_mov_b32 s3, 0
.LBB225_2254:
	s_delay_alu instid0(SALU_CYCLE_1)
	s_and_b32 vcc_lo, exec_lo, s3
	s_cbranch_vccz .LBB225_2270
; %bb.2255:
	v_cmp_gt_i16_e32 vcc_lo, 27, v24
	s_mov_b32 s2, -1
	s_cbranch_vccnz .LBB225_2261
; %bb.2256:
	v_cvt_u32_f64_e32 v2, v[4:5]
	v_cmp_lt_i16_e32 vcc_lo, 27, v24
	s_cbranch_vccz .LBB225_2258
; %bb.2257:
	s_mov_b32 s2, 0
	global_store_b32 v[0:1], v2, off
.LBB225_2258:
	s_and_not1_b32 vcc_lo, exec_lo, s2
	s_cbranch_vccnz .LBB225_2260
; %bb.2259:
	global_store_b16 v[0:1], v2, off
.LBB225_2260:
	s_mov_b32 s2, 0
.LBB225_2261:
	s_delay_alu instid0(SALU_CYCLE_1)
	s_and_not1_b32 vcc_lo, exec_lo, s2
	s_cbranch_vccnz .LBB225_2269
; %bb.2262:
	v_cvt_f32_f64_e32 v2, v[4:5]
	v_mov_b32_e32 v6, 0x80
	s_mov_b32 s2, exec_lo
	s_delay_alu instid0(VALU_DEP_2) | instskip(NEXT) | instid1(VALU_DEP_1)
	v_and_b32_e32 v3, 0x7fffffff, v2
	v_cmpx_gt_u32_e32 0x43800000, v3
	s_cbranch_execz .LBB225_2268
; %bb.2263:
	v_cmp_lt_u32_e32 vcc_lo, 0x3bffffff, v3
	s_mov_b32 s3, 0
                                        ; implicit-def: $vgpr3
	s_and_saveexec_b32 s6, vcc_lo
	s_delay_alu instid0(SALU_CYCLE_1)
	s_xor_b32 s6, exec_lo, s6
	s_cbranch_execz .LBB225_2450
; %bb.2264:
	v_bfe_u32 v3, v2, 20, 1
	s_mov_b32 s3, exec_lo
	s_delay_alu instid0(VALU_DEP_1) | instskip(NEXT) | instid1(VALU_DEP_1)
	v_add3_u32 v3, v2, v3, 0x487ffff
	v_lshrrev_b32_e32 v3, 20, v3
	s_or_saveexec_b32 s6, s6
                                        ; implicit-def: $sgpr7
	s_delay_alu instid0(SALU_CYCLE_1)
	s_xor_b32 exec_lo, exec_lo, s6
	s_cbranch_execnz .LBB225_2451
.LBB225_2265:
	s_or_b32 exec_lo, exec_lo, s6
	v_mov_b32_e32 v6, s7
	s_and_saveexec_b32 s6, s3
.LBB225_2266:
	v_lshrrev_b32_e32 v2, 24, v2
	s_delay_alu instid0(VALU_DEP_1)
	v_and_or_b32 v6, 0x80, v2, v3
.LBB225_2267:
	s_or_b32 exec_lo, exec_lo, s6
.LBB225_2268:
	s_delay_alu instid0(SALU_CYCLE_1)
	s_or_b32 exec_lo, exec_lo, s2
	global_store_b8 v[0:1], v6, off
.LBB225_2269:
	s_mov_b32 s2, -1
.LBB225_2270:
	s_mov_b32 s3, 0
.LBB225_2271:
	s_delay_alu instid0(SALU_CYCLE_1)
	s_and_b32 vcc_lo, exec_lo, s3
	s_cbranch_vccz .LBB225_2311
; %bb.2272:
	v_cmp_lt_i16_e32 vcc_lo, 22, v24
	s_mov_b32 s1, -1
	s_cbranch_vccz .LBB225_2304
; %bb.2273:
	v_cmp_gt_i16_e32 vcc_lo, 24, v24
	s_cbranch_vccnz .LBB225_2293
; %bb.2274:
	v_cmp_lt_i16_e32 vcc_lo, 24, v24
	s_cbranch_vccz .LBB225_2282
; %bb.2275:
	v_cvt_f32_f64_e32 v2, v[4:5]
	v_mov_b32_e32 v6, 0x80
	s_mov_b32 s1, exec_lo
	s_delay_alu instid0(VALU_DEP_2) | instskip(NEXT) | instid1(VALU_DEP_1)
	v_and_b32_e32 v3, 0x7fffffff, v2
	v_cmpx_gt_u32_e32 0x47800000, v3
	s_cbranch_execz .LBB225_2281
; %bb.2276:
	v_cmp_lt_u32_e32 vcc_lo, 0x37ffffff, v3
	s_mov_b32 s2, 0
                                        ; implicit-def: $vgpr3
	s_and_saveexec_b32 s3, vcc_lo
	s_delay_alu instid0(SALU_CYCLE_1)
	s_xor_b32 s3, exec_lo, s3
	s_cbranch_execz .LBB225_2456
; %bb.2277:
	v_bfe_u32 v3, v2, 21, 1
	s_mov_b32 s2, exec_lo
	s_delay_alu instid0(VALU_DEP_1) | instskip(NEXT) | instid1(VALU_DEP_1)
	v_add3_u32 v3, v2, v3, 0x88fffff
	v_lshrrev_b32_e32 v3, 21, v3
	s_or_saveexec_b32 s3, s3
                                        ; implicit-def: $sgpr6
	s_delay_alu instid0(SALU_CYCLE_1)
	s_xor_b32 exec_lo, exec_lo, s3
	s_cbranch_execnz .LBB225_2457
.LBB225_2278:
	s_or_b32 exec_lo, exec_lo, s3
	v_mov_b32_e32 v6, s6
	s_and_saveexec_b32 s3, s2
.LBB225_2279:
	v_lshrrev_b32_e32 v2, 24, v2
	s_delay_alu instid0(VALU_DEP_1)
	v_and_or_b32 v6, 0x80, v2, v3
.LBB225_2280:
	s_or_b32 exec_lo, exec_lo, s3
.LBB225_2281:
	s_delay_alu instid0(SALU_CYCLE_1)
	s_or_b32 exec_lo, exec_lo, s1
	s_mov_b32 s1, 0
	global_store_b8 v[0:1], v6, off
.LBB225_2282:
	s_and_b32 vcc_lo, exec_lo, s1
	s_cbranch_vccz .LBB225_2292
; %bb.2283:
	v_cvt_f32_f64_e32 v2, v[4:5]
	s_mov_b32 s1, exec_lo
                                        ; implicit-def: $vgpr3
	s_delay_alu instid0(VALU_DEP_1) | instskip(NEXT) | instid1(VALU_DEP_1)
	v_and_b32_e32 v6, 0x7fffffff, v2
	v_cmpx_gt_u32_e32 0x43f00000, v6
	s_xor_b32 s1, exec_lo, s1
	s_cbranch_execz .LBB225_2289
; %bb.2284:
	s_mov_b32 s2, exec_lo
                                        ; implicit-def: $vgpr3
	v_cmpx_lt_u32_e32 0x3c7fffff, v6
	s_xor_b32 s2, exec_lo, s2
; %bb.2285:
	v_bfe_u32 v3, v2, 20, 1
	s_delay_alu instid0(VALU_DEP_1) | instskip(NEXT) | instid1(VALU_DEP_1)
	v_add3_u32 v3, v2, v3, 0x407ffff
	v_and_b32_e32 v6, 0xff00000, v3
	v_lshrrev_b32_e32 v3, 20, v3
	s_delay_alu instid0(VALU_DEP_2) | instskip(NEXT) | instid1(VALU_DEP_2)
	v_cmp_ne_u32_e32 vcc_lo, 0x7f00000, v6
	v_cndmask_b32_e32 v3, 0x7e, v3, vcc_lo
; %bb.2286:
	s_and_not1_saveexec_b32 s2, s2
; %bb.2287:
	v_add_f32_e64 v3, 0x46800000, |v2|
; %bb.2288:
	s_or_b32 exec_lo, exec_lo, s2
                                        ; implicit-def: $vgpr6
.LBB225_2289:
	s_and_not1_saveexec_b32 s1, s1
; %bb.2290:
	v_mov_b32_e32 v3, 0x7f
	v_cmp_lt_u32_e32 vcc_lo, 0x7f800000, v6
	s_delay_alu instid0(VALU_DEP_2)
	v_cndmask_b32_e32 v3, 0x7e, v3, vcc_lo
; %bb.2291:
	s_or_b32 exec_lo, exec_lo, s1
	v_lshrrev_b32_e32 v2, 24, v2
	s_delay_alu instid0(VALU_DEP_1)
	v_and_or_b32 v2, 0x80, v2, v3
	global_store_b8 v[0:1], v2, off
.LBB225_2292:
	s_mov_b32 s1, 0
.LBB225_2293:
	s_delay_alu instid0(SALU_CYCLE_1)
	s_and_not1_b32 vcc_lo, exec_lo, s1
	s_cbranch_vccnz .LBB225_2303
; %bb.2294:
	v_cvt_f32_f64_e32 v2, v[4:5]
	s_mov_b32 s1, exec_lo
                                        ; implicit-def: $vgpr3
	s_delay_alu instid0(VALU_DEP_1) | instskip(NEXT) | instid1(VALU_DEP_1)
	v_and_b32_e32 v6, 0x7fffffff, v2
	v_cmpx_gt_u32_e32 0x47800000, v6
	s_xor_b32 s1, exec_lo, s1
	s_cbranch_execz .LBB225_2300
; %bb.2295:
	s_mov_b32 s2, exec_lo
                                        ; implicit-def: $vgpr3
	v_cmpx_lt_u32_e32 0x387fffff, v6
	s_xor_b32 s2, exec_lo, s2
; %bb.2296:
	v_bfe_u32 v3, v2, 21, 1
	s_delay_alu instid0(VALU_DEP_1) | instskip(NEXT) | instid1(VALU_DEP_1)
	v_add3_u32 v3, v2, v3, 0x80fffff
	v_lshrrev_b32_e32 v3, 21, v3
; %bb.2297:
	s_and_not1_saveexec_b32 s2, s2
; %bb.2298:
	v_add_f32_e64 v3, 0x43000000, |v2|
; %bb.2299:
	s_or_b32 exec_lo, exec_lo, s2
                                        ; implicit-def: $vgpr6
.LBB225_2300:
	s_and_not1_saveexec_b32 s1, s1
; %bb.2301:
	v_mov_b32_e32 v3, 0x7f
	v_cmp_lt_u32_e32 vcc_lo, 0x7f800000, v6
	s_delay_alu instid0(VALU_DEP_2)
	v_cndmask_b32_e32 v3, 0x7c, v3, vcc_lo
; %bb.2302:
	s_or_b32 exec_lo, exec_lo, s1
	v_lshrrev_b32_e32 v2, 24, v2
	s_delay_alu instid0(VALU_DEP_1)
	v_and_or_b32 v2, 0x80, v2, v3
	global_store_b8 v[0:1], v2, off
.LBB225_2303:
	s_mov_b32 s1, 0
	s_mov_b32 s2, -1
.LBB225_2304:
	s_and_not1_b32 vcc_lo, exec_lo, s1
	s_mov_b32 s1, 0
	s_cbranch_vccnz .LBB225_2311
; %bb.2305:
	v_cmp_lt_i16_e32 vcc_lo, 14, v24
	s_mov_b32 s1, -1
	s_cbranch_vccz .LBB225_2309
; %bb.2306:
	v_cmp_eq_u16_e32 vcc_lo, 15, v24
	s_mov_b32 s0, -1
	s_cbranch_vccz .LBB225_2308
; %bb.2307:
	v_cvt_f32_f64_e32 v2, v[4:5]
	s_mov_b32 s0, 0
	s_mov_b32 s2, -1
	s_delay_alu instid0(VALU_DEP_1) | instskip(SKIP_1) | instid1(VALU_DEP_2)
	v_bfe_u32 v3, v2, 16, 1
	v_cmp_o_f32_e32 vcc_lo, v2, v2
	v_add3_u32 v3, v2, v3, 0x7fff
	s_delay_alu instid0(VALU_DEP_1) | instskip(NEXT) | instid1(VALU_DEP_1)
	v_lshrrev_b32_e32 v3, 16, v3
	v_cndmask_b32_e32 v2, 0x7fc0, v3, vcc_lo
	global_store_b16 v[0:1], v2, off
.LBB225_2308:
	s_mov_b32 s1, 0
.LBB225_2309:
	s_delay_alu instid0(SALU_CYCLE_1)
	s_and_b32 vcc_lo, exec_lo, s1
	s_mov_b32 s1, 0
	s_cbranch_vccz .LBB225_2311
; %bb.2310:
	v_cmp_ne_u16_e64 s0, 11, v24
	s_mov_b32 s1, -1
.LBB225_2311:
	s_delay_alu instid0(VALU_DEP_1)
	s_and_b32 vcc_lo, exec_lo, s0
	s_cbranch_vccnz .LBB225_2454
; %bb.2312:
	s_and_not1_b32 vcc_lo, exec_lo, s1
	s_cbranch_vccnz .LBB225_2314
.LBB225_2313:
	v_cmp_neq_f64_e32 vcc_lo, 0, v[4:5]
	v_cmp_neq_f64_e64 s0, 0, v[12:13]
	s_mov_b32 s2, -1
	s_delay_alu instid0(VALU_DEP_1) | instskip(NEXT) | instid1(SALU_CYCLE_1)
	s_or_b32 s0, vcc_lo, s0
	v_cndmask_b32_e64 v2, 0, 1, s0
	global_store_b8 v[0:1], v2, off
.LBB225_2314:
	s_mov_b32 s0, 0
.LBB225_2315:
	s_delay_alu instid0(SALU_CYCLE_1)
	s_and_b32 vcc_lo, exec_lo, s0
	s_cbranch_vccz .LBB225_2354
; %bb.2316:
	v_cmp_gt_i16_e32 vcc_lo, 5, v24
	s_mov_b32 s0, -1
	s_cbranch_vccnz .LBB225_2337
; %bb.2317:
	v_cmp_gt_i16_e32 vcc_lo, 8, v24
	s_cbranch_vccnz .LBB225_2327
; %bb.2318:
	v_cmp_gt_i16_e32 vcc_lo, 9, v24
	s_cbranch_vccnz .LBB225_2324
; %bb.2319:
	v_cmp_lt_i16_e32 vcc_lo, 9, v24
	s_cbranch_vccz .LBB225_2321
; %bb.2320:
	v_dual_mov_b32 v6, v12 :: v_dual_mov_b32 v7, v13
	s_mov_b32 s0, 0
	global_store_b128 v[0:1], v[4:7], off
.LBB225_2321:
	s_and_not1_b32 vcc_lo, exec_lo, s0
	s_cbranch_vccnz .LBB225_2323
; %bb.2322:
	v_cvt_f32_f64_e32 v2, v[4:5]
	v_cvt_f32_f64_e32 v3, v[12:13]
	global_store_b64 v[0:1], v[2:3], off
.LBB225_2323:
	s_mov_b32 s0, 0
.LBB225_2324:
	s_delay_alu instid0(SALU_CYCLE_1)
	s_and_not1_b32 vcc_lo, exec_lo, s0
	s_cbranch_vccnz .LBB225_2326
; %bb.2325:
	v_cvt_f32_f64_e32 v2, v[12:13]
	v_cvt_f32_f64_e32 v3, v[4:5]
	s_delay_alu instid0(VALU_DEP_2) | instskip(NEXT) | instid1(VALU_DEP_2)
	v_cvt_f16_f32_e32 v2, v2
	v_cvt_f16_f32_e32 v3, v3
	s_delay_alu instid0(VALU_DEP_2) | instskip(NEXT) | instid1(VALU_DEP_2)
	v_lshlrev_b32_e32 v2, 16, v2
	v_and_b32_e32 v3, 0xffff, v3
	s_delay_alu instid0(VALU_DEP_1)
	v_or_b32_e32 v2, v2, v3
	global_store_b32 v[0:1], v2, off
.LBB225_2326:
	s_mov_b32 s0, 0
.LBB225_2327:
	s_delay_alu instid0(SALU_CYCLE_1)
	s_and_not1_b32 vcc_lo, exec_lo, s0
	s_cbranch_vccnz .LBB225_2336
; %bb.2328:
	v_cmp_gt_i16_e32 vcc_lo, 6, v24
	s_mov_b32 s0, -1
	s_cbranch_vccnz .LBB225_2334
; %bb.2329:
	v_cmp_lt_i16_e32 vcc_lo, 6, v24
	s_cbranch_vccz .LBB225_2331
; %bb.2330:
	s_mov_b32 s0, 0
	global_store_b64 v[0:1], v[4:5], off
.LBB225_2331:
	s_and_not1_b32 vcc_lo, exec_lo, s0
	s_cbranch_vccnz .LBB225_2333
; %bb.2332:
	v_cvt_f32_f64_e32 v2, v[4:5]
	global_store_b32 v[0:1], v2, off
.LBB225_2333:
	s_mov_b32 s0, 0
.LBB225_2334:
	s_delay_alu instid0(SALU_CYCLE_1)
	s_and_not1_b32 vcc_lo, exec_lo, s0
	s_cbranch_vccnz .LBB225_2336
; %bb.2335:
	v_cvt_f32_f64_e32 v2, v[4:5]
	s_delay_alu instid0(VALU_DEP_1)
	v_cvt_f16_f32_e32 v2, v2
	global_store_b16 v[0:1], v2, off
.LBB225_2336:
	s_mov_b32 s0, 0
.LBB225_2337:
	s_delay_alu instid0(SALU_CYCLE_1)
	s_and_not1_b32 vcc_lo, exec_lo, s0
	s_cbranch_vccnz .LBB225_2353
; %bb.2338:
	v_cmp_gt_i16_e32 vcc_lo, 2, v24
	s_mov_b32 s0, -1
	s_cbranch_vccnz .LBB225_2348
; %bb.2339:
	v_cmp_gt_i16_e32 vcc_lo, 3, v24
	s_cbranch_vccnz .LBB225_2345
; %bb.2340:
	v_cmp_lt_i16_e32 vcc_lo, 3, v24
	s_cbranch_vccz .LBB225_2342
; %bb.2341:
	v_trunc_f64_e32 v[2:3], v[4:5]
	s_mov_b32 s0, 0
	s_delay_alu instid0(VALU_DEP_1) | instskip(NEXT) | instid1(VALU_DEP_1)
	v_ldexp_f64 v[6:7], v[2:3], 0xffffffe0
	v_floor_f64_e32 v[6:7], v[6:7]
	s_delay_alu instid0(VALU_DEP_1) | instskip(SKIP_1) | instid1(VALU_DEP_2)
	v_fma_f64 v[2:3], 0xc1f00000, v[6:7], v[2:3]
	v_cvt_i32_f64_e32 v7, v[6:7]
	v_cvt_u32_f64_e32 v6, v[2:3]
	global_store_b64 v[0:1], v[6:7], off
.LBB225_2342:
	s_and_not1_b32 vcc_lo, exec_lo, s0
	s_cbranch_vccnz .LBB225_2344
; %bb.2343:
	v_cvt_i32_f64_e32 v2, v[4:5]
	global_store_b32 v[0:1], v2, off
.LBB225_2344:
	s_mov_b32 s0, 0
.LBB225_2345:
	s_delay_alu instid0(SALU_CYCLE_1)
	s_and_not1_b32 vcc_lo, exec_lo, s0
	s_cbranch_vccnz .LBB225_2347
; %bb.2346:
	v_cvt_i32_f64_e32 v2, v[4:5]
	global_store_b16 v[0:1], v2, off
.LBB225_2347:
	s_mov_b32 s0, 0
.LBB225_2348:
	s_delay_alu instid0(SALU_CYCLE_1)
	s_and_not1_b32 vcc_lo, exec_lo, s0
	s_cbranch_vccnz .LBB225_2353
; %bb.2349:
	v_cmp_lt_i16_e32 vcc_lo, 0, v24
	s_mov_b32 s0, -1
	s_cbranch_vccz .LBB225_2351
; %bb.2350:
	v_cvt_i32_f64_e32 v2, v[4:5]
	s_mov_b32 s0, 0
	global_store_b8 v[0:1], v2, off
.LBB225_2351:
	s_and_not1_b32 vcc_lo, exec_lo, s0
	s_cbranch_vccnz .LBB225_2353
; %bb.2352:
	v_trunc_f64_e32 v[2:3], v[4:5]
	s_delay_alu instid0(VALU_DEP_1) | instskip(NEXT) | instid1(VALU_DEP_1)
	v_ldexp_f64 v[4:5], v[2:3], 0xffffffe0
	v_floor_f64_e32 v[4:5], v[4:5]
	s_delay_alu instid0(VALU_DEP_1) | instskip(NEXT) | instid1(VALU_DEP_1)
	v_fma_f64 v[2:3], 0xc1f00000, v[4:5], v[2:3]
	v_cvt_u32_f64_e32 v2, v[2:3]
	global_store_b8 v[0:1], v2, off
.LBB225_2353:
	s_mov_b32 s2, -1
.LBB225_2354:
	s_delay_alu instid0(SALU_CYCLE_1)
	s_and_not1_b32 vcc_lo, exec_lo, s2
	s_cbranch_vccnz .LBB225_2431
; %bb.2355:
	v_cmp_gt_i16_e32 vcc_lo, 11, v24
	v_add_co_u32 v0, s0, s4, v20
	s_delay_alu instid0(VALU_DEP_1)
	v_add_co_ci_u32_e64 v1, null, s5, 0, s0
	s_mov_b32 s1, 0
	s_mov_b32 s0, -1
	s_cbranch_vccnz .LBB225_1941
; %bb.2356:
	v_cmp_lt_i16_e32 vcc_lo, 25, v24
	s_mov_b32 s2, -1
	s_mov_b32 s0, 0
	s_cbranch_vccz .LBB225_2389
; %bb.2357:
	v_cmp_lt_i16_e32 vcc_lo, 28, v24
	s_cbranch_vccz .LBB225_2373
; %bb.2358:
	v_cmp_lt_i16_e32 vcc_lo, 43, v24
	;; [unrolled: 3-line block ×3, first 2 shown]
	s_cbranch_vccz .LBB225_2363
; %bb.2360:
	v_cmp_eq_u16_e32 vcc_lo, 46, v24
	s_mov_b32 s0, -1
	s_cbranch_vccz .LBB225_2362
; %bb.2361:
	v_cvt_f32_f64_e32 v2, v[16:17]
	v_cvt_f32_f64_e32 v3, v[18:19]
	s_mov_b32 s0, 0
	s_delay_alu instid0(VALU_DEP_2) | instskip(NEXT) | instid1(VALU_DEP_2)
	v_bfe_u32 v4, v2, 16, 1
	v_bfe_u32 v5, v3, 16, 1
	v_cmp_o_f32_e32 vcc_lo, v2, v2
	s_delay_alu instid0(VALU_DEP_3) | instskip(NEXT) | instid1(VALU_DEP_3)
	v_add3_u32 v4, v2, v4, 0x7fff
	v_add3_u32 v5, v3, v5, 0x7fff
	s_delay_alu instid0(VALU_DEP_2) | instskip(NEXT) | instid1(VALU_DEP_2)
	v_and_b32_e32 v4, 0xffff0000, v4
	v_lshrrev_b32_e32 v5, 16, v5
	s_delay_alu instid0(VALU_DEP_2) | instskip(SKIP_1) | instid1(VALU_DEP_3)
	v_cndmask_b32_e32 v2, 0x7fc00000, v4, vcc_lo
	v_cmp_o_f32_e32 vcc_lo, v3, v3
	v_cndmask_b32_e32 v3, 0x7fc0, v5, vcc_lo
	s_delay_alu instid0(VALU_DEP_1)
	v_or_b32_e32 v2, v2, v3
	global_store_b32 v[0:1], v2, off
.LBB225_2362:
	s_mov_b32 s2, 0
.LBB225_2363:
	s_delay_alu instid0(SALU_CYCLE_1)
	s_and_b32 vcc_lo, exec_lo, s2
	s_cbranch_vccz .LBB225_2368
; %bb.2364:
	v_cmp_eq_u16_e32 vcc_lo, 44, v24
	s_mov_b32 s0, -1
	s_cbranch_vccz .LBB225_2368
; %bb.2365:
	v_cvt_f32_f64_e32 v2, v[18:19]
	v_mov_b32_e32 v3, 0xff
	s_mov_b32 s2, exec_lo
	s_delay_alu instid0(VALU_DEP_2) | instskip(NEXT) | instid1(VALU_DEP_1)
	v_bfe_u32 v4, v2, 23, 8
	v_cmpx_ne_u32_e32 0xff, v4
; %bb.2366:
	v_and_b32_e32 v3, 0x400000, v2
	v_and_or_b32 v4, 0x3fffff, v2, v4
	v_lshrrev_b32_e32 v2, 23, v2
	s_delay_alu instid0(VALU_DEP_3) | instskip(NEXT) | instid1(VALU_DEP_3)
	v_cmp_ne_u32_e32 vcc_lo, 0, v3
	v_cmp_ne_u32_e64 s0, 0, v4
	s_delay_alu instid0(VALU_DEP_1) | instskip(NEXT) | instid1(SALU_CYCLE_1)
	s_and_b32 s0, vcc_lo, s0
	v_cndmask_b32_e64 v3, 0, 1, s0
	s_delay_alu instid0(VALU_DEP_1)
	v_add_nc_u32_e32 v3, v2, v3
; %bb.2367:
	s_or_b32 exec_lo, exec_lo, s2
	s_mov_b32 s0, 0
	global_store_b8 v[0:1], v3, off
.LBB225_2368:
	s_mov_b32 s2, 0
.LBB225_2369:
	s_delay_alu instid0(SALU_CYCLE_1)
	s_and_b32 vcc_lo, exec_lo, s2
	s_cbranch_vccz .LBB225_2372
; %bb.2370:
	v_cmp_eq_u16_e32 vcc_lo, 29, v24
	s_mov_b32 s0, -1
	s_cbranch_vccz .LBB225_2372
; %bb.2371:
	v_trunc_f64_e32 v[2:3], v[18:19]
	s_mov_b32 s0, 0
	s_delay_alu instid0(VALU_DEP_1) | instskip(NEXT) | instid1(VALU_DEP_1)
	v_ldexp_f64 v[4:5], v[2:3], 0xffffffe0
	v_floor_f64_e32 v[4:5], v[4:5]
	s_delay_alu instid0(VALU_DEP_1) | instskip(SKIP_1) | instid1(VALU_DEP_2)
	v_fma_f64 v[2:3], 0xc1f00000, v[4:5], v[2:3]
	v_cvt_u32_f64_e32 v4, v[4:5]
	v_cvt_u32_f64_e32 v3, v[2:3]
	global_store_b64 v[0:1], v[3:4], off
.LBB225_2372:
	s_mov_b32 s2, 0
.LBB225_2373:
	s_delay_alu instid0(SALU_CYCLE_1)
	s_and_b32 vcc_lo, exec_lo, s2
	s_cbranch_vccz .LBB225_2388
; %bb.2374:
	v_cmp_gt_i16_e32 vcc_lo, 27, v24
	s_mov_b32 s2, -1
	s_cbranch_vccnz .LBB225_2380
; %bb.2375:
	v_cvt_u32_f64_e32 v2, v[18:19]
	v_cmp_lt_i16_e32 vcc_lo, 27, v24
	s_cbranch_vccz .LBB225_2377
; %bb.2376:
	s_mov_b32 s2, 0
	global_store_b32 v[0:1], v2, off
.LBB225_2377:
	s_and_not1_b32 vcc_lo, exec_lo, s2
	s_cbranch_vccnz .LBB225_2379
; %bb.2378:
	global_store_b16 v[0:1], v2, off
.LBB225_2379:
	s_mov_b32 s2, 0
.LBB225_2380:
	s_delay_alu instid0(SALU_CYCLE_1)
	s_and_not1_b32 vcc_lo, exec_lo, s2
	s_cbranch_vccnz .LBB225_2388
; %bb.2381:
	v_cvt_f32_f64_e32 v2, v[18:19]
	v_mov_b32_e32 v4, 0x80
	s_mov_b32 s2, exec_lo
	s_delay_alu instid0(VALU_DEP_2) | instskip(NEXT) | instid1(VALU_DEP_1)
	v_and_b32_e32 v3, 0x7fffffff, v2
	v_cmpx_gt_u32_e32 0x43800000, v3
	s_cbranch_execz .LBB225_2387
; %bb.2382:
	v_cmp_lt_u32_e32 vcc_lo, 0x3bffffff, v3
	s_mov_b32 s3, 0
                                        ; implicit-def: $vgpr3
	s_and_saveexec_b32 s4, vcc_lo
	s_delay_alu instid0(SALU_CYCLE_1)
	s_xor_b32 s4, exec_lo, s4
	s_cbranch_execz .LBB225_2458
; %bb.2383:
	v_bfe_u32 v3, v2, 20, 1
	s_mov_b32 s3, exec_lo
	s_delay_alu instid0(VALU_DEP_1) | instskip(NEXT) | instid1(VALU_DEP_1)
	v_add3_u32 v3, v2, v3, 0x487ffff
	v_lshrrev_b32_e32 v3, 20, v3
	s_or_saveexec_b32 s4, s4
                                        ; implicit-def: $sgpr5
	s_delay_alu instid0(SALU_CYCLE_1)
	s_xor_b32 exec_lo, exec_lo, s4
	s_cbranch_execnz .LBB225_2459
.LBB225_2384:
	s_or_b32 exec_lo, exec_lo, s4
	v_mov_b32_e32 v4, s5
	s_and_saveexec_b32 s4, s3
.LBB225_2385:
	v_lshrrev_b32_e32 v2, 24, v2
	s_delay_alu instid0(VALU_DEP_1)
	v_and_or_b32 v4, 0x80, v2, v3
.LBB225_2386:
	s_or_b32 exec_lo, exec_lo, s4
.LBB225_2387:
	s_delay_alu instid0(SALU_CYCLE_1)
	s_or_b32 exec_lo, exec_lo, s2
	global_store_b8 v[0:1], v4, off
.LBB225_2388:
	s_mov_b32 s2, 0
.LBB225_2389:
	s_delay_alu instid0(SALU_CYCLE_1)
	s_and_b32 vcc_lo, exec_lo, s2
	s_cbranch_vccz .LBB225_2429
; %bb.2390:
	v_cmp_lt_i16_e32 vcc_lo, 22, v24
	s_mov_b32 s1, -1
	s_cbranch_vccz .LBB225_2422
; %bb.2391:
	v_cmp_gt_i16_e32 vcc_lo, 24, v24
	s_cbranch_vccnz .LBB225_2411
; %bb.2392:
	v_cmp_lt_i16_e32 vcc_lo, 24, v24
	s_cbranch_vccz .LBB225_2400
; %bb.2393:
	v_cvt_f32_f64_e32 v2, v[18:19]
	v_mov_b32_e32 v4, 0x80
	s_mov_b32 s1, exec_lo
	s_delay_alu instid0(VALU_DEP_2) | instskip(NEXT) | instid1(VALU_DEP_1)
	v_and_b32_e32 v3, 0x7fffffff, v2
	v_cmpx_gt_u32_e32 0x47800000, v3
	s_cbranch_execz .LBB225_2399
; %bb.2394:
	v_cmp_lt_u32_e32 vcc_lo, 0x37ffffff, v3
	s_mov_b32 s2, 0
                                        ; implicit-def: $vgpr3
	s_and_saveexec_b32 s3, vcc_lo
	s_delay_alu instid0(SALU_CYCLE_1)
	s_xor_b32 s3, exec_lo, s3
	s_cbranch_execz .LBB225_2464
; %bb.2395:
	v_bfe_u32 v3, v2, 21, 1
	s_mov_b32 s2, exec_lo
	s_delay_alu instid0(VALU_DEP_1) | instskip(NEXT) | instid1(VALU_DEP_1)
	v_add3_u32 v3, v2, v3, 0x88fffff
	v_lshrrev_b32_e32 v3, 21, v3
	s_or_saveexec_b32 s3, s3
                                        ; implicit-def: $sgpr4
	s_delay_alu instid0(SALU_CYCLE_1)
	s_xor_b32 exec_lo, exec_lo, s3
	s_cbranch_execnz .LBB225_2465
.LBB225_2396:
	s_or_b32 exec_lo, exec_lo, s3
	v_mov_b32_e32 v4, s4
	s_and_saveexec_b32 s3, s2
.LBB225_2397:
	v_lshrrev_b32_e32 v2, 24, v2
	s_delay_alu instid0(VALU_DEP_1)
	v_and_or_b32 v4, 0x80, v2, v3
.LBB225_2398:
	s_or_b32 exec_lo, exec_lo, s3
.LBB225_2399:
	s_delay_alu instid0(SALU_CYCLE_1)
	s_or_b32 exec_lo, exec_lo, s1
	s_mov_b32 s1, 0
	global_store_b8 v[0:1], v4, off
.LBB225_2400:
	s_and_b32 vcc_lo, exec_lo, s1
	s_cbranch_vccz .LBB225_2410
; %bb.2401:
	v_cvt_f32_f64_e32 v2, v[18:19]
	s_mov_b32 s1, exec_lo
                                        ; implicit-def: $vgpr3
	s_delay_alu instid0(VALU_DEP_1) | instskip(NEXT) | instid1(VALU_DEP_1)
	v_and_b32_e32 v4, 0x7fffffff, v2
	v_cmpx_gt_u32_e32 0x43f00000, v4
	s_xor_b32 s1, exec_lo, s1
	s_cbranch_execz .LBB225_2407
; %bb.2402:
	s_mov_b32 s2, exec_lo
                                        ; implicit-def: $vgpr3
	v_cmpx_lt_u32_e32 0x3c7fffff, v4
	s_xor_b32 s2, exec_lo, s2
; %bb.2403:
	v_bfe_u32 v3, v2, 20, 1
	s_delay_alu instid0(VALU_DEP_1) | instskip(NEXT) | instid1(VALU_DEP_1)
	v_add3_u32 v3, v2, v3, 0x407ffff
	v_and_b32_e32 v4, 0xff00000, v3
	v_lshrrev_b32_e32 v3, 20, v3
	s_delay_alu instid0(VALU_DEP_2) | instskip(NEXT) | instid1(VALU_DEP_2)
	v_cmp_ne_u32_e32 vcc_lo, 0x7f00000, v4
	v_cndmask_b32_e32 v3, 0x7e, v3, vcc_lo
; %bb.2404:
	s_and_not1_saveexec_b32 s2, s2
; %bb.2405:
	v_add_f32_e64 v3, 0x46800000, |v2|
; %bb.2406:
	s_or_b32 exec_lo, exec_lo, s2
                                        ; implicit-def: $vgpr4
.LBB225_2407:
	s_and_not1_saveexec_b32 s1, s1
; %bb.2408:
	v_mov_b32_e32 v3, 0x7f
	v_cmp_lt_u32_e32 vcc_lo, 0x7f800000, v4
	s_delay_alu instid0(VALU_DEP_2)
	v_cndmask_b32_e32 v3, 0x7e, v3, vcc_lo
; %bb.2409:
	s_or_b32 exec_lo, exec_lo, s1
	v_lshrrev_b32_e32 v2, 24, v2
	s_delay_alu instid0(VALU_DEP_1)
	v_and_or_b32 v2, 0x80, v2, v3
	global_store_b8 v[0:1], v2, off
.LBB225_2410:
	s_mov_b32 s1, 0
.LBB225_2411:
	s_delay_alu instid0(SALU_CYCLE_1)
	s_and_not1_b32 vcc_lo, exec_lo, s1
	s_cbranch_vccnz .LBB225_2421
; %bb.2412:
	v_cvt_f32_f64_e32 v2, v[18:19]
	s_mov_b32 s1, exec_lo
                                        ; implicit-def: $vgpr3
	s_delay_alu instid0(VALU_DEP_1) | instskip(NEXT) | instid1(VALU_DEP_1)
	v_and_b32_e32 v4, 0x7fffffff, v2
	v_cmpx_gt_u32_e32 0x47800000, v4
	s_xor_b32 s1, exec_lo, s1
	s_cbranch_execz .LBB225_2418
; %bb.2413:
	s_mov_b32 s2, exec_lo
                                        ; implicit-def: $vgpr3
	v_cmpx_lt_u32_e32 0x387fffff, v4
	s_xor_b32 s2, exec_lo, s2
; %bb.2414:
	v_bfe_u32 v3, v2, 21, 1
	s_delay_alu instid0(VALU_DEP_1) | instskip(NEXT) | instid1(VALU_DEP_1)
	v_add3_u32 v3, v2, v3, 0x80fffff
	v_lshrrev_b32_e32 v3, 21, v3
; %bb.2415:
	s_and_not1_saveexec_b32 s2, s2
; %bb.2416:
	v_add_f32_e64 v3, 0x43000000, |v2|
; %bb.2417:
	s_or_b32 exec_lo, exec_lo, s2
                                        ; implicit-def: $vgpr4
.LBB225_2418:
	s_and_not1_saveexec_b32 s1, s1
; %bb.2419:
	v_mov_b32_e32 v3, 0x7f
	v_cmp_lt_u32_e32 vcc_lo, 0x7f800000, v4
	s_delay_alu instid0(VALU_DEP_2)
	v_cndmask_b32_e32 v3, 0x7c, v3, vcc_lo
; %bb.2420:
	s_or_b32 exec_lo, exec_lo, s1
	v_lshrrev_b32_e32 v2, 24, v2
	s_delay_alu instid0(VALU_DEP_1)
	v_and_or_b32 v2, 0x80, v2, v3
	global_store_b8 v[0:1], v2, off
.LBB225_2421:
	s_mov_b32 s1, 0
.LBB225_2422:
	s_delay_alu instid0(SALU_CYCLE_1)
	s_and_not1_b32 vcc_lo, exec_lo, s1
	s_mov_b32 s1, 0
	s_cbranch_vccnz .LBB225_2429
; %bb.2423:
	v_cmp_lt_i16_e32 vcc_lo, 14, v24
	s_mov_b32 s1, -1
	s_cbranch_vccz .LBB225_2427
; %bb.2424:
	v_cmp_eq_u16_e32 vcc_lo, 15, v24
	s_mov_b32 s0, -1
	s_cbranch_vccz .LBB225_2426
; %bb.2425:
	v_cvt_f32_f64_e32 v2, v[18:19]
	s_mov_b32 s0, 0
	s_delay_alu instid0(VALU_DEP_1) | instskip(SKIP_1) | instid1(VALU_DEP_2)
	v_bfe_u32 v3, v2, 16, 1
	v_cmp_o_f32_e32 vcc_lo, v2, v2
	v_add3_u32 v3, v2, v3, 0x7fff
	s_delay_alu instid0(VALU_DEP_1) | instskip(NEXT) | instid1(VALU_DEP_1)
	v_lshrrev_b32_e32 v3, 16, v3
	v_cndmask_b32_e32 v2, 0x7fc0, v3, vcc_lo
	global_store_b16 v[0:1], v2, off
.LBB225_2426:
	s_mov_b32 s1, 0
.LBB225_2427:
	s_delay_alu instid0(SALU_CYCLE_1)
	s_and_b32 vcc_lo, exec_lo, s1
	s_mov_b32 s1, 0
	s_cbranch_vccz .LBB225_2429
; %bb.2428:
	v_cmp_ne_u16_e64 s0, 11, v24
	s_mov_b32 s1, -1
.LBB225_2429:
	s_delay_alu instid0(VALU_DEP_1)
	s_and_b32 vcc_lo, exec_lo, s0
	s_cbranch_vccnz .LBB225_2462
.LBB225_2430:
	s_mov_b32 s0, 0
	s_branch .LBB225_1941
.LBB225_2431:
	s_mov_b32 s0, 0
	s_mov_b32 s1, 0
                                        ; implicit-def: $vgpr0_vgpr1
                                        ; implicit-def: $vgpr24
	s_branch .LBB225_1941
.LBB225_2432:
	s_cbranch_execnz .LBB225_2436
; %bb.2433:
	s_or_b32 s10, s10, exec_lo
                                        ; implicit-def: $vgpr16_vgpr17
	s_cbranch_execz .LBB225_1870
	s_branch .LBB225_1871
.LBB225_2434:
	s_or_saveexec_b32 s6, s6
                                        ; implicit-def: $sgpr7
	s_delay_alu instid0(SALU_CYCLE_1)
	s_xor_b32 exec_lo, exec_lo, s6
	s_cbranch_execz .LBB225_2029
.LBB225_2435:
	v_add_f32_e64 v11, 0x46000000, |v10|
	s_and_not1_b32 s3, s3, exec_lo
	s_mov_b32 s7, 0
	s_delay_alu instid0(VALU_DEP_1) | instskip(NEXT) | instid1(VALU_DEP_1)
	v_and_b32_e32 v11, 0xff, v11
	v_cmp_ne_u32_e32 vcc_lo, 0, v11
	s_and_b32 s11, vcc_lo, exec_lo
	s_delay_alu instid0(SALU_CYCLE_1)
	s_or_b32 s3, s3, s11
	s_or_b32 exec_lo, exec_lo, s6
	v_mov_b32_e32 v23, s7
	s_and_saveexec_b32 s6, s3
	s_cbranch_execnz .LBB225_2030
	s_branch .LBB225_2031
.LBB225_2436:
	s_trap 2
	s_sendmsg_rtn_b32 s0, sendmsg(MSG_RTN_GET_DOORBELL)
	s_mov_b32 ttmp2, m0
	s_waitcnt lgkmcnt(0)
	s_and_b32 s0, s0, 0x3ff
	s_delay_alu instid0(SALU_CYCLE_1) | instskip(NEXT) | instid1(SALU_CYCLE_1)
	s_bitset1_b32 s0, 10
	s_mov_b32 m0, s0
	s_sendmsg sendmsg(MSG_INTERRUPT)
	s_mov_b32 m0, ttmp2
.LBB225_2437:                           ; =>This Inner Loop Header: Depth=1
	s_sethalt 5
	s_branch .LBB225_2437
.LBB225_2438:
	s_cbranch_execnz .LBB225_2444
; %bb.2439:
	s_or_b32 s10, s10, exec_lo
	s_cbranch_execz .LBB225_2077
	s_branch .LBB225_2078
.LBB225_2440:
	s_or_saveexec_b32 s3, s3
                                        ; implicit-def: $sgpr6
	s_delay_alu instid0(SALU_CYCLE_1)
	s_xor_b32 exec_lo, exec_lo, s3
	s_cbranch_execz .LBB225_2042
.LBB225_2441:
	v_add_f32_e64 v11, 0x42800000, |v10|
	s_and_not1_b32 s2, s2, exec_lo
	s_mov_b32 s6, 0
	s_delay_alu instid0(VALU_DEP_1) | instskip(NEXT) | instid1(VALU_DEP_1)
	v_and_b32_e32 v11, 0xff, v11
	v_cmp_ne_u32_e32 vcc_lo, 0, v11
	s_and_b32 s7, vcc_lo, exec_lo
	s_delay_alu instid0(SALU_CYCLE_1)
	s_or_b32 s2, s2, s7
	s_or_b32 exec_lo, exec_lo, s3
	v_mov_b32_e32 v23, s6
	s_and_saveexec_b32 s3, s2
	s_cbranch_execnz .LBB225_2043
	s_branch .LBB225_2044
.LBB225_2442:
	s_or_saveexec_b32 s6, s6
                                        ; implicit-def: $sgpr7
	s_delay_alu instid0(SALU_CYCLE_1)
	s_xor_b32 exec_lo, exec_lo, s6
	s_cbranch_execz .LBB225_2147
.LBB225_2443:
	v_add_f32_e64 v3, 0x46000000, |v2|
	s_and_not1_b32 s3, s3, exec_lo
	s_mov_b32 s7, 0
	s_delay_alu instid0(VALU_DEP_1) | instskip(NEXT) | instid1(VALU_DEP_1)
	v_and_b32_e32 v3, 0xff, v3
	v_cmp_ne_u32_e32 vcc_lo, 0, v3
	s_and_b32 s11, vcc_lo, exec_lo
	s_delay_alu instid0(SALU_CYCLE_1)
	s_or_b32 s3, s3, s11
	s_or_b32 exec_lo, exec_lo, s6
	v_mov_b32_e32 v10, s7
	s_and_saveexec_b32 s6, s3
	s_cbranch_execnz .LBB225_2148
	s_branch .LBB225_2149
.LBB225_2444:
	s_trap 2
	s_sendmsg_rtn_b32 s0, sendmsg(MSG_RTN_GET_DOORBELL)
	s_mov_b32 ttmp2, m0
	s_waitcnt lgkmcnt(0)
	s_and_b32 s0, s0, 0x3ff
	s_delay_alu instid0(SALU_CYCLE_1) | instskip(NEXT) | instid1(SALU_CYCLE_1)
	s_bitset1_b32 s0, 10
	s_mov_b32 m0, s0
	s_sendmsg sendmsg(MSG_INTERRUPT)
	s_mov_b32 m0, ttmp2
.LBB225_2445:                           ; =>This Inner Loop Header: Depth=1
	s_sethalt 5
	s_branch .LBB225_2445
.LBB225_2446:
	s_cbranch_execnz .LBB225_2452
; %bb.2447:
	s_or_b32 s10, s10, exec_lo
	s_cbranch_execz .LBB225_2195
	s_branch .LBB225_2196
.LBB225_2448:
	s_or_saveexec_b32 s3, s3
                                        ; implicit-def: $sgpr6
	s_delay_alu instid0(SALU_CYCLE_1)
	s_xor_b32 exec_lo, exec_lo, s3
	s_cbranch_execz .LBB225_2160
.LBB225_2449:
	v_add_f32_e64 v3, 0x42800000, |v2|
	s_and_not1_b32 s2, s2, exec_lo
	s_mov_b32 s6, 0
	s_delay_alu instid0(VALU_DEP_1) | instskip(NEXT) | instid1(VALU_DEP_1)
	v_and_b32_e32 v3, 0xff, v3
	v_cmp_ne_u32_e32 vcc_lo, 0, v3
	s_and_b32 s7, vcc_lo, exec_lo
	s_delay_alu instid0(SALU_CYCLE_1)
	s_or_b32 s2, s2, s7
	s_or_b32 exec_lo, exec_lo, s3
	v_mov_b32_e32 v10, s6
	s_and_saveexec_b32 s3, s2
	s_cbranch_execnz .LBB225_2161
	s_branch .LBB225_2162
.LBB225_2450:
	s_or_saveexec_b32 s6, s6
                                        ; implicit-def: $sgpr7
	s_delay_alu instid0(SALU_CYCLE_1)
	s_xor_b32 exec_lo, exec_lo, s6
	s_cbranch_execz .LBB225_2265
.LBB225_2451:
	v_add_f32_e64 v3, 0x46000000, |v2|
	s_and_not1_b32 s3, s3, exec_lo
	s_mov_b32 s7, 0
	s_delay_alu instid0(VALU_DEP_1) | instskip(NEXT) | instid1(VALU_DEP_1)
	v_and_b32_e32 v3, 0xff, v3
	v_cmp_ne_u32_e32 vcc_lo, 0, v3
	s_and_b32 s11, vcc_lo, exec_lo
	s_delay_alu instid0(SALU_CYCLE_1)
	s_or_b32 s3, s3, s11
	s_or_b32 exec_lo, exec_lo, s6
	v_mov_b32_e32 v6, s7
	s_and_saveexec_b32 s6, s3
	s_cbranch_execnz .LBB225_2266
	s_branch .LBB225_2267
.LBB225_2452:
	s_trap 2
	s_sendmsg_rtn_b32 s0, sendmsg(MSG_RTN_GET_DOORBELL)
	s_mov_b32 ttmp2, m0
	s_waitcnt lgkmcnt(0)
	s_and_b32 s0, s0, 0x3ff
	s_delay_alu instid0(SALU_CYCLE_1) | instskip(NEXT) | instid1(SALU_CYCLE_1)
	s_bitset1_b32 s0, 10
	s_mov_b32 m0, s0
	s_sendmsg sendmsg(MSG_INTERRUPT)
	s_mov_b32 m0, ttmp2
.LBB225_2453:                           ; =>This Inner Loop Header: Depth=1
	s_sethalt 5
	s_branch .LBB225_2453
.LBB225_2454:
	s_cbranch_execnz .LBB225_2460
; %bb.2455:
	s_or_b32 s10, s10, exec_lo
	s_cbranch_execz .LBB225_2313
	s_branch .LBB225_2314
.LBB225_2456:
	s_or_saveexec_b32 s3, s3
                                        ; implicit-def: $sgpr6
	s_delay_alu instid0(SALU_CYCLE_1)
	s_xor_b32 exec_lo, exec_lo, s3
	s_cbranch_execz .LBB225_2278
.LBB225_2457:
	v_add_f32_e64 v3, 0x42800000, |v2|
	s_and_not1_b32 s2, s2, exec_lo
	s_mov_b32 s6, 0
	s_delay_alu instid0(VALU_DEP_1) | instskip(NEXT) | instid1(VALU_DEP_1)
	v_and_b32_e32 v3, 0xff, v3
	v_cmp_ne_u32_e32 vcc_lo, 0, v3
	s_and_b32 s7, vcc_lo, exec_lo
	s_delay_alu instid0(SALU_CYCLE_1)
	s_or_b32 s2, s2, s7
	s_or_b32 exec_lo, exec_lo, s3
	v_mov_b32_e32 v6, s6
	s_and_saveexec_b32 s3, s2
	s_cbranch_execnz .LBB225_2279
	s_branch .LBB225_2280
.LBB225_2458:
	s_or_saveexec_b32 s4, s4
                                        ; implicit-def: $sgpr5
	s_delay_alu instid0(SALU_CYCLE_1)
	s_xor_b32 exec_lo, exec_lo, s4
	s_cbranch_execz .LBB225_2384
.LBB225_2459:
	v_add_f32_e64 v3, 0x46000000, |v2|
	s_and_not1_b32 s3, s3, exec_lo
	s_mov_b32 s5, 0
	s_delay_alu instid0(VALU_DEP_1) | instskip(NEXT) | instid1(VALU_DEP_1)
	v_and_b32_e32 v3, 0xff, v3
	v_cmp_ne_u32_e32 vcc_lo, 0, v3
	s_and_b32 s6, vcc_lo, exec_lo
	s_delay_alu instid0(SALU_CYCLE_1)
	s_or_b32 s3, s3, s6
	s_or_b32 exec_lo, exec_lo, s4
	v_mov_b32_e32 v4, s5
	s_and_saveexec_b32 s4, s3
	s_cbranch_execnz .LBB225_2385
	s_branch .LBB225_2386
.LBB225_2460:
	s_trap 2
	s_sendmsg_rtn_b32 s0, sendmsg(MSG_RTN_GET_DOORBELL)
	s_mov_b32 ttmp2, m0
	s_waitcnt lgkmcnt(0)
	s_and_b32 s0, s0, 0x3ff
	s_delay_alu instid0(SALU_CYCLE_1) | instskip(NEXT) | instid1(SALU_CYCLE_1)
	s_bitset1_b32 s0, 10
	s_mov_b32 m0, s0
	s_sendmsg sendmsg(MSG_INTERRUPT)
	s_mov_b32 m0, ttmp2
.LBB225_2461:                           ; =>This Inner Loop Header: Depth=1
	s_sethalt 5
	s_branch .LBB225_2461
.LBB225_2462:
	s_cbranch_execnz .LBB225_2466
; %bb.2463:
	s_mov_b32 s1, 0
	s_or_b32 s10, s10, exec_lo
	s_branch .LBB225_2430
.LBB225_2464:
	s_or_saveexec_b32 s3, s3
                                        ; implicit-def: $sgpr4
	s_delay_alu instid0(SALU_CYCLE_1)
	s_xor_b32 exec_lo, exec_lo, s3
	s_cbranch_execz .LBB225_2396
.LBB225_2465:
	v_add_f32_e64 v3, 0x42800000, |v2|
	s_and_not1_b32 s2, s2, exec_lo
	s_mov_b32 s4, 0
	s_delay_alu instid0(VALU_DEP_1) | instskip(NEXT) | instid1(VALU_DEP_1)
	v_and_b32_e32 v3, 0xff, v3
	v_cmp_ne_u32_e32 vcc_lo, 0, v3
	s_and_b32 s5, vcc_lo, exec_lo
	s_delay_alu instid0(SALU_CYCLE_1)
	s_or_b32 s2, s2, s5
	s_or_b32 exec_lo, exec_lo, s3
	v_mov_b32_e32 v4, s4
	s_and_saveexec_b32 s3, s2
	s_cbranch_execnz .LBB225_2397
	s_branch .LBB225_2398
.LBB225_2466:
	s_trap 2
	s_sendmsg_rtn_b32 s0, sendmsg(MSG_RTN_GET_DOORBELL)
	s_mov_b32 ttmp2, m0
	s_waitcnt lgkmcnt(0)
	s_and_b32 s0, s0, 0x3ff
	s_delay_alu instid0(SALU_CYCLE_1) | instskip(NEXT) | instid1(SALU_CYCLE_1)
	s_bitset1_b32 s0, 10
	s_mov_b32 m0, s0
	s_sendmsg sendmsg(MSG_INTERRUPT)
	s_mov_b32 m0, ttmp2
.LBB225_2467:                           ; =>This Inner Loop Header: Depth=1
	s_sethalt 5
	s_branch .LBB225_2467
	.section	.rodata,"a",@progbits
	.p2align	6, 0x0
	.amdhsa_kernel _ZN2at6native32elementwise_kernel_manual_unrollILi128ELi4EZNS0_15gpu_kernel_implIZZZNS0_16sqrt_kernel_cudaERNS_18TensorIteratorBaseEENKUlvE_clEvENKUlvE_clEvEUlN3c107complexIdEEE_EEvS4_RKT_EUlibE0_EEviT1_
		.amdhsa_group_segment_fixed_size 0
		.amdhsa_private_segment_fixed_size 0
		.amdhsa_kernarg_size 360
		.amdhsa_user_sgpr_count 15
		.amdhsa_user_sgpr_dispatch_ptr 0
		.amdhsa_user_sgpr_queue_ptr 0
		.amdhsa_user_sgpr_kernarg_segment_ptr 1
		.amdhsa_user_sgpr_dispatch_id 0
		.amdhsa_user_sgpr_private_segment_size 0
		.amdhsa_wavefront_size32 1
		.amdhsa_uses_dynamic_stack 0
		.amdhsa_enable_private_segment 0
		.amdhsa_system_sgpr_workgroup_id_x 1
		.amdhsa_system_sgpr_workgroup_id_y 0
		.amdhsa_system_sgpr_workgroup_id_z 0
		.amdhsa_system_sgpr_workgroup_info 0
		.amdhsa_system_vgpr_workitem_id 0
		.amdhsa_next_free_vgpr 30
		.amdhsa_next_free_sgpr 68
		.amdhsa_reserve_vcc 1
		.amdhsa_float_round_mode_32 0
		.amdhsa_float_round_mode_16_64 0
		.amdhsa_float_denorm_mode_32 3
		.amdhsa_float_denorm_mode_16_64 3
		.amdhsa_dx10_clamp 1
		.amdhsa_ieee_mode 1
		.amdhsa_fp16_overflow 0
		.amdhsa_workgroup_processor_mode 1
		.amdhsa_memory_ordered 1
		.amdhsa_forward_progress 0
		.amdhsa_shared_vgpr_count 0
		.amdhsa_exception_fp_ieee_invalid_op 0
		.amdhsa_exception_fp_denorm_src 0
		.amdhsa_exception_fp_ieee_div_zero 0
		.amdhsa_exception_fp_ieee_overflow 0
		.amdhsa_exception_fp_ieee_underflow 0
		.amdhsa_exception_fp_ieee_inexact 0
		.amdhsa_exception_int_div_zero 0
	.end_amdhsa_kernel
	.section	.text._ZN2at6native32elementwise_kernel_manual_unrollILi128ELi4EZNS0_15gpu_kernel_implIZZZNS0_16sqrt_kernel_cudaERNS_18TensorIteratorBaseEENKUlvE_clEvENKUlvE_clEvEUlN3c107complexIdEEE_EEvS4_RKT_EUlibE0_EEviT1_,"axG",@progbits,_ZN2at6native32elementwise_kernel_manual_unrollILi128ELi4EZNS0_15gpu_kernel_implIZZZNS0_16sqrt_kernel_cudaERNS_18TensorIteratorBaseEENKUlvE_clEvENKUlvE_clEvEUlN3c107complexIdEEE_EEvS4_RKT_EUlibE0_EEviT1_,comdat
.Lfunc_end225:
	.size	_ZN2at6native32elementwise_kernel_manual_unrollILi128ELi4EZNS0_15gpu_kernel_implIZZZNS0_16sqrt_kernel_cudaERNS_18TensorIteratorBaseEENKUlvE_clEvENKUlvE_clEvEUlN3c107complexIdEEE_EEvS4_RKT_EUlibE0_EEviT1_, .Lfunc_end225-_ZN2at6native32elementwise_kernel_manual_unrollILi128ELi4EZNS0_15gpu_kernel_implIZZZNS0_16sqrt_kernel_cudaERNS_18TensorIteratorBaseEENKUlvE_clEvENKUlvE_clEvEUlN3c107complexIdEEE_EEvS4_RKT_EUlibE0_EEviT1_
                                        ; -- End function
	.section	.AMDGPU.csdata,"",@progbits
; Kernel info:
; codeLenInByte = 56276
; NumSgprs: 70
; NumVgprs: 30
; ScratchSize: 0
; MemoryBound: 1
; FloatMode: 240
; IeeeMode: 1
; LDSByteSize: 0 bytes/workgroup (compile time only)
; SGPRBlocks: 8
; VGPRBlocks: 3
; NumSGPRsForWavesPerEU: 70
; NumVGPRsForWavesPerEU: 30
; Occupancy: 16
; WaveLimiterHint : 1
; COMPUTE_PGM_RSRC2:SCRATCH_EN: 0
; COMPUTE_PGM_RSRC2:USER_SGPR: 15
; COMPUTE_PGM_RSRC2:TRAP_HANDLER: 0
; COMPUTE_PGM_RSRC2:TGID_X_EN: 1
; COMPUTE_PGM_RSRC2:TGID_Y_EN: 0
; COMPUTE_PGM_RSRC2:TGID_Z_EN: 0
; COMPUTE_PGM_RSRC2:TIDIG_COMP_CNT: 0
	.section	.text._ZN2at6native29vectorized_elementwise_kernelILi16EZZZNS0_16sqrt_kernel_cudaERNS_18TensorIteratorBaseEENKUlvE_clEvENKUlvE0_clEvEUlN3c107complexIfEEE_St5arrayIPcLm2EEEEviT0_T1_,"axG",@progbits,_ZN2at6native29vectorized_elementwise_kernelILi16EZZZNS0_16sqrt_kernel_cudaERNS_18TensorIteratorBaseEENKUlvE_clEvENKUlvE0_clEvEUlN3c107complexIfEEE_St5arrayIPcLm2EEEEviT0_T1_,comdat
	.globl	_ZN2at6native29vectorized_elementwise_kernelILi16EZZZNS0_16sqrt_kernel_cudaERNS_18TensorIteratorBaseEENKUlvE_clEvENKUlvE0_clEvEUlN3c107complexIfEEE_St5arrayIPcLm2EEEEviT0_T1_ ; -- Begin function _ZN2at6native29vectorized_elementwise_kernelILi16EZZZNS0_16sqrt_kernel_cudaERNS_18TensorIteratorBaseEENKUlvE_clEvENKUlvE0_clEvEUlN3c107complexIfEEE_St5arrayIPcLm2EEEEviT0_T1_
	.p2align	8
	.type	_ZN2at6native29vectorized_elementwise_kernelILi16EZZZNS0_16sqrt_kernel_cudaERNS_18TensorIteratorBaseEENKUlvE_clEvENKUlvE0_clEvEUlN3c107complexIfEEE_St5arrayIPcLm2EEEEviT0_T1_,@function
_ZN2at6native29vectorized_elementwise_kernelILi16EZZZNS0_16sqrt_kernel_cudaERNS_18TensorIteratorBaseEENKUlvE_clEvENKUlvE0_clEvEUlN3c107complexIfEEE_St5arrayIPcLm2EEEEviT0_T1_: ; @_ZN2at6native29vectorized_elementwise_kernelILi16EZZZNS0_16sqrt_kernel_cudaERNS_18TensorIteratorBaseEENKUlvE_clEvENKUlvE0_clEvEUlN3c107complexIfEEE_St5arrayIPcLm2EEEEviT0_T1_
; %bb.0:
	s_clause 0x1
	s_load_b32 s2, s[0:1], 0x0
	s_load_b128 s[4:7], s[0:1], 0x8
	s_lshl_b32 s8, s15, 10
	s_mov_b32 s0, -1
	s_waitcnt lgkmcnt(0)
	s_sub_i32 s10, s2, s8
	s_delay_alu instid0(SALU_CYCLE_1)
	s_cmpk_gt_i32 s10, 0x3ff
	s_cbranch_scc0 .LBB226_122
; %bb.1:
	s_ashr_i32 s9, s8, 31
	v_dual_mov_b32 v3, 0 :: v_dual_lshlrev_b32 v12, 5, v0
	s_lshl_b64 s[2:3], s[8:9], 3
	s_delay_alu instid0(SALU_CYCLE_1)
	s_add_u32 s0, s6, s2
	s_addc_u32 s1, s7, s3
	s_clause 0x1
	global_load_b128 v[8:11], v12, s[0:1]
	global_load_b128 v[4:7], v12, s[0:1] offset:16
	s_waitcnt vmcnt(1)
	v_dual_mov_b32 v1, 0 :: v_dual_mov_b32 v2, v9
	v_cmp_neq_f32_e32 vcc_lo, 0, v8
	v_cmp_neq_f32_e64 s0, 0, v9
	s_delay_alu instid0(VALU_DEP_1) | instskip(NEXT) | instid1(SALU_CYCLE_1)
	s_or_b32 s0, vcc_lo, s0
	s_and_saveexec_b32 s9, s0
	s_cbranch_execz .LBB226_31
; %bb.2:
	v_dual_mov_b32 v1, 0x7f800000 :: v_dual_mov_b32 v2, v9
	s_mov_b32 s11, exec_lo
	v_cmpx_neq_f32_e64 0x7f800000, |v9|
	s_cbranch_execz .LBB226_30
; %bb.3:
	s_mov_b32 s0, exec_lo
	v_cmpx_o_f32_e32 v8, v8
	s_xor_b32 s12, exec_lo, s0
	s_cbranch_execz .LBB226_27
; %bb.4:
	s_mov_b32 s1, exec_lo
	v_cmpx_neq_f32_e64 0x7f800000, |v8|
	s_xor_b32 s13, exec_lo, s1
	s_cbranch_execz .LBB226_20
; %bb.5:
	v_max_f32_e64 v1, |v9|, |v9|
	v_max_f32_e64 v2, |v8|, |v8|
                                        ; implicit-def: $sgpr14
	s_delay_alu instid0(VALU_DEP_1) | instskip(NEXT) | instid1(VALU_DEP_1)
	v_max_f32_e32 v1, v2, v1
                                        ; implicit-def: $vgpr2
	v_cmp_nle_f32_e64 s0, 0x7ed413cb, v1
                                        ; implicit-def: $vgpr1
	s_delay_alu instid0(VALU_DEP_1) | instskip(NEXT) | instid1(SALU_CYCLE_1)
	s_and_saveexec_b32 s1, s0
	s_xor_b32 s1, exec_lo, s1
	s_cbranch_execz .LBB226_9
; %bb.6:
	v_cmp_ge_f32_e64 s14, 0x1000000, |v8|
	v_cmp_ge_f32_e64 s15, 0x1000000, |v9|
	v_dual_mov_b32 v2, v8 :: v_dual_mov_b32 v1, v9
	s_delay_alu instid0(VALU_DEP_2)
	s_and_b32 s16, s14, s15
	s_mov_b32 s14, 0
	s_and_saveexec_b32 s15, s16
; %bb.7:
	v_dual_mul_f32 v1, 4.0, v9 :: v_dual_mul_f32 v2, 4.0, v8
	s_mov_b32 s14, exec_lo
; %bb.8:
	s_or_b32 exec_lo, exec_lo, s15
	s_delay_alu instid0(SALU_CYCLE_1)
	s_and_b32 s14, s14, exec_lo
.LBB226_9:
	s_and_not1_saveexec_b32 s1, s1
; %bb.10:
	v_dual_mul_f32 v2, 0x3e800000, v8 :: v_dual_mul_f32 v1, 0x3e800000, v9
	s_and_not1_b32 s14, s14, exec_lo
; %bb.11:
	s_or_b32 exec_lo, exec_lo, s1
	s_delay_alu instid0(VALU_DEP_1) | instskip(NEXT) | instid1(VALU_DEP_2)
	v_max_f32_e64 v13, |v1|, |v1|
	v_max_f32_e64 v14, |v2|, |v2|
	s_delay_alu instid0(VALU_DEP_1) | instskip(NEXT) | instid1(VALU_DEP_1)
	v_max_f32_e32 v15, v14, v13
	v_cvt_f64_f32_e32 v[13:14], v15
	s_delay_alu instid0(VALU_DEP_1) | instskip(NEXT) | instid1(VALU_DEP_1)
	v_frexp_exp_i32_f64_e32 v13, v[13:14]
	v_sub_nc_u32_e32 v14, 0, v13
	s_delay_alu instid0(VALU_DEP_1) | instskip(SKIP_1) | instid1(VALU_DEP_2)
	v_ldexp_f32 v16, |v1|, v14
	v_ldexp_f32 v14, |v2|, v14
	v_mul_f32_e32 v16, v16, v16
	v_cmp_neq_f32_e64 s1, 0x7f800000, v15
	s_delay_alu instid0(VALU_DEP_2) | instskip(NEXT) | instid1(VALU_DEP_1)
	v_fmac_f32_e32 v16, v14, v14
	v_sqrt_f32_e32 v14, v16
	s_waitcnt_depctr 0xfff
	v_ldexp_f32 v13, v14, v13
                                        ; implicit-def: $vgpr14
	s_delay_alu instid0(VALU_DEP_1)
	v_cndmask_b32_e64 v15, 0x7f800000, v13, s1
                                        ; implicit-def: $vgpr13
	s_mov_b32 s1, exec_lo
	v_cmpx_le_f32_e32 0, v2
	s_xor_b32 s15, exec_lo, s1
	s_cbranch_execz .LBB226_15
; %bb.12:
	v_add_f32_e32 v2, v2, v15
	s_delay_alu instid0(VALU_DEP_1) | instskip(NEXT) | instid1(VALU_DEP_1)
	v_mul_f32_e32 v2, 0.5, v2
	v_mul_f32_e32 v13, 0x4f800000, v2
	v_cmp_gt_f32_e32 vcc_lo, 0xf800000, v2
	s_delay_alu instid0(VALU_DEP_2) | instskip(NEXT) | instid1(VALU_DEP_1)
	v_cndmask_b32_e32 v2, v2, v13, vcc_lo
	v_sqrt_f32_e32 v13, v2
	s_waitcnt_depctr 0xfff
	v_add_nc_u32_e32 v14, -1, v13
	v_add_nc_u32_e32 v15, 1, v13
	s_delay_alu instid0(VALU_DEP_2) | instskip(NEXT) | instid1(VALU_DEP_2)
	v_fma_f32 v16, -v14, v13, v2
	v_fma_f32 v17, -v15, v13, v2
	s_delay_alu instid0(VALU_DEP_2) | instskip(NEXT) | instid1(VALU_DEP_1)
	v_cmp_ge_f32_e64 s1, 0, v16
	v_cndmask_b32_e64 v13, v13, v14, s1
	s_delay_alu instid0(VALU_DEP_3) | instskip(NEXT) | instid1(VALU_DEP_1)
	v_cmp_lt_f32_e64 s1, 0, v17
	v_cndmask_b32_e64 v13, v13, v15, s1
	s_delay_alu instid0(VALU_DEP_1) | instskip(NEXT) | instid1(VALU_DEP_1)
	v_mul_f32_e32 v14, 0x37800000, v13
	v_cndmask_b32_e32 v13, v13, v14, vcc_lo
	v_cmp_class_f32_e64 vcc_lo, v2, 0x260
	s_delay_alu instid0(VALU_DEP_2) | instskip(NEXT) | instid1(VALU_DEP_1)
	v_cndmask_b32_e32 v13, v13, v2, vcc_lo
	v_add_f32_e32 v2, v13, v13
	s_delay_alu instid0(VALU_DEP_1) | instskip(NEXT) | instid1(VALU_DEP_1)
	v_div_scale_f32 v14, null, v2, v2, v1
	v_rcp_f32_e32 v15, v14
	s_waitcnt_depctr 0xfff
	v_fma_f32 v16, -v14, v15, 1.0
	s_delay_alu instid0(VALU_DEP_1) | instskip(SKIP_1) | instid1(VALU_DEP_1)
	v_fmac_f32_e32 v15, v16, v15
	v_div_scale_f32 v16, vcc_lo, v1, v2, v1
	v_mul_f32_e32 v17, v16, v15
	s_delay_alu instid0(VALU_DEP_1) | instskip(NEXT) | instid1(VALU_DEP_1)
	v_fma_f32 v18, -v14, v17, v16
	v_fmac_f32_e32 v17, v18, v15
	s_delay_alu instid0(VALU_DEP_1) | instskip(NEXT) | instid1(VALU_DEP_1)
	v_fma_f32 v14, -v14, v17, v16
	v_div_fmas_f32 v14, v14, v15, v17
                                        ; implicit-def: $vgpr15
	s_delay_alu instid0(VALU_DEP_1)
	v_div_fixup_f32 v14, v14, v2, v1
                                        ; implicit-def: $vgpr2
                                        ; implicit-def: $vgpr1
	s_and_not1_saveexec_b32 s15, s15
	s_cbranch_execnz .LBB226_16
.LBB226_13:
	s_or_b32 exec_lo, exec_lo, s15
	s_and_saveexec_b32 s1, s0
	s_delay_alu instid0(SALU_CYCLE_1)
	s_xor_b32 s0, exec_lo, s1
	s_cbranch_execz .LBB226_17
.LBB226_14:
	v_dual_mul_f32 v1, 0.5, v13 :: v_dual_mul_f32 v2, 0.5, v14
	s_delay_alu instid0(VALU_DEP_1) | instskip(NEXT) | instid1(VALU_DEP_2)
	v_cndmask_b32_e64 v1, v13, v1, s14
	v_cndmask_b32_e64 v2, v14, v2, s14
                                        ; implicit-def: $vgpr13
                                        ; implicit-def: $vgpr14
	s_and_not1_saveexec_b32 s0, s0
	s_cbranch_execnz .LBB226_18
	s_branch .LBB226_19
.LBB226_15:
	s_and_not1_saveexec_b32 s15, s15
	s_cbranch_execz .LBB226_13
.LBB226_16:
	v_sub_f32_e32 v2, v15, v2
	s_delay_alu instid0(VALU_DEP_1) | instskip(NEXT) | instid1(VALU_DEP_1)
	v_mul_f32_e32 v2, 0.5, v2
	v_mul_f32_e32 v13, 0x4f800000, v2
	v_cmp_gt_f32_e32 vcc_lo, 0xf800000, v2
	s_delay_alu instid0(VALU_DEP_2) | instskip(NEXT) | instid1(VALU_DEP_1)
	v_cndmask_b32_e32 v2, v2, v13, vcc_lo
	v_sqrt_f32_e32 v13, v2
	s_waitcnt_depctr 0xfff
	v_add_nc_u32_e32 v14, -1, v13
	v_add_nc_u32_e32 v15, 1, v13
	s_delay_alu instid0(VALU_DEP_2) | instskip(NEXT) | instid1(VALU_DEP_2)
	v_fma_f32 v16, -v14, v13, v2
	v_fma_f32 v17, -v15, v13, v2
	s_delay_alu instid0(VALU_DEP_2) | instskip(NEXT) | instid1(VALU_DEP_1)
	v_cmp_ge_f32_e64 s1, 0, v16
	v_cndmask_b32_e64 v13, v13, v14, s1
	s_delay_alu instid0(VALU_DEP_3) | instskip(NEXT) | instid1(VALU_DEP_1)
	v_cmp_lt_f32_e64 s1, 0, v17
	v_cndmask_b32_e64 v13, v13, v15, s1
	s_delay_alu instid0(VALU_DEP_1) | instskip(NEXT) | instid1(VALU_DEP_1)
	v_mul_f32_e32 v14, 0x37800000, v13
	v_cndmask_b32_e32 v13, v13, v14, vcc_lo
	v_cmp_class_f32_e64 vcc_lo, v2, 0x260
	s_delay_alu instid0(VALU_DEP_2) | instskip(NEXT) | instid1(VALU_DEP_1)
	v_dual_cndmask_b32 v2, v13, v2 :: v_dual_and_b32 v13, 0x7fffffff, v1
	v_add_f32_e32 v14, v2, v2
	s_delay_alu instid0(VALU_DEP_1) | instskip(SKIP_1) | instid1(VALU_DEP_2)
	v_div_scale_f32 v15, null, v14, v14, v13
	v_div_scale_f32 v13, vcc_lo, v13, v14, v13
	v_rcp_f32_e32 v16, v15
	s_waitcnt_depctr 0xfff
	v_fma_f32 v17, -v15, v16, 1.0
	s_delay_alu instid0(VALU_DEP_1) | instskip(NEXT) | instid1(VALU_DEP_1)
	v_fmac_f32_e32 v16, v17, v16
	v_mul_f32_e32 v17, v13, v16
	s_delay_alu instid0(VALU_DEP_1) | instskip(NEXT) | instid1(VALU_DEP_1)
	v_fma_f32 v18, -v15, v17, v13
	v_fmac_f32_e32 v17, v18, v16
	s_delay_alu instid0(VALU_DEP_1) | instskip(NEXT) | instid1(VALU_DEP_1)
	v_fma_f32 v13, -v15, v17, v13
	v_div_fmas_f32 v13, v13, v16, v17
	s_delay_alu instid0(VALU_DEP_1) | instskip(SKIP_3) | instid1(SALU_CYCLE_1)
	v_div_fixup_f32 v13, v13, v14, |v1|
	v_bfi_b32 v14, 0x7fffffff, v2, v1
	s_or_b32 exec_lo, exec_lo, s15
	s_and_saveexec_b32 s1, s0
	s_xor_b32 s0, exec_lo, s1
	s_cbranch_execnz .LBB226_14
.LBB226_17:
	s_and_not1_saveexec_b32 s0, s0
.LBB226_18:
	v_dual_add_f32 v1, v13, v13 :: v_dual_add_f32 v2, v14, v14
.LBB226_19:
	s_or_b32 exec_lo, exec_lo, s0
.LBB226_20:
	s_and_not1_saveexec_b32 s0, s13
	s_cbranch_execz .LBB226_26
; %bb.21:
	v_sub_f32_e32 v13, v9, v9
	s_mov_b32 s1, exec_lo
	v_cmpx_lt_i32_e32 -1, v8
	s_xor_b32 s1, exec_lo, s1
; %bb.22:
	s_delay_alu instid0(VALU_DEP_2)
	v_bfi_b32 v2, 0x7fffffff, v13, v9
                                        ; implicit-def: $vgpr13
; %bb.23:
	s_or_saveexec_b32 s1, s1
	v_mov_b32_e32 v1, v8
	s_xor_b32 exec_lo, exec_lo, s1
; %bb.24:
	v_and_b32_e32 v1, 0x7fffffff, v13
	v_bfi_b32 v2, 0x7fffffff, v8, v9
; %bb.25:
	s_or_b32 exec_lo, exec_lo, s1
.LBB226_26:
	s_delay_alu instid0(SALU_CYCLE_1)
	s_or_b32 exec_lo, exec_lo, s0
.LBB226_27:
	s_and_not1_saveexec_b32 s0, s12
	s_cbranch_execz .LBB226_29
; %bb.28:
	v_sub_f32_e32 v1, v9, v9
	s_delay_alu instid0(VALU_DEP_1) | instskip(NEXT) | instid1(VALU_DEP_1)
	v_div_scale_f32 v2, vcc_lo, v1, v1, v1
	v_rcp_f32_e32 v9, v2
	s_waitcnt_depctr 0xfff
	v_fma_f32 v13, -v2, v9, 1.0
	s_delay_alu instid0(VALU_DEP_1) | instskip(NEXT) | instid1(VALU_DEP_1)
	v_fmac_f32_e32 v9, v13, v9
	v_mul_f32_e32 v13, v2, v9
	s_delay_alu instid0(VALU_DEP_1) | instskip(NEXT) | instid1(VALU_DEP_1)
	v_fma_f32 v14, -v2, v13, v2
	v_fmac_f32_e32 v13, v14, v9
	s_delay_alu instid0(VALU_DEP_1) | instskip(NEXT) | instid1(VALU_DEP_1)
	v_fma_f32 v2, -v2, v13, v2
	v_div_fmas_f32 v2, v2, v9, v13
	s_delay_alu instid0(VALU_DEP_1)
	v_div_fixup_f32 v2, v2, v1, v1
	v_mov_b32_e32 v1, v8
.LBB226_29:
	s_or_b32 exec_lo, exec_lo, s0
.LBB226_30:
	s_delay_alu instid0(SALU_CYCLE_1)
	s_or_b32 exec_lo, exec_lo, s11
.LBB226_31:
	s_delay_alu instid0(SALU_CYCLE_1) | instskip(SKIP_2) | instid1(VALU_DEP_1)
	s_or_b32 exec_lo, exec_lo, s9
	v_cmp_neq_f32_e32 vcc_lo, 0, v10
	v_cmp_neq_f32_e64 s0, 0, v11
	s_or_b32 s0, vcc_lo, s0
	s_delay_alu instid0(SALU_CYCLE_1)
	s_and_saveexec_b32 s9, s0
	s_cbranch_execz .LBB226_61
; %bb.32:
	v_mov_b32_e32 v3, 0x7f800000
	s_mov_b32 s11, exec_lo
	v_cmpx_neq_f32_e64 0x7f800000, |v11|
	s_cbranch_execz .LBB226_60
; %bb.33:
	s_mov_b32 s0, exec_lo
	v_cmpx_o_f32_e32 v10, v10
	s_xor_b32 s12, exec_lo, s0
	s_cbranch_execz .LBB226_57
; %bb.34:
	s_mov_b32 s1, exec_lo
	v_cmpx_neq_f32_e64 0x7f800000, |v10|
	s_xor_b32 s13, exec_lo, s1
	s_cbranch_execz .LBB226_50
; %bb.35:
	v_max_f32_e64 v3, |v11|, |v11|
	v_max_f32_e64 v8, |v10|, |v10|
                                        ; implicit-def: $sgpr14
	s_delay_alu instid0(VALU_DEP_1) | instskip(NEXT) | instid1(VALU_DEP_1)
	v_max_f32_e32 v3, v8, v3
	v_cmp_nle_f32_e64 s0, 0x7ed413cb, v3
	s_delay_alu instid0(VALU_DEP_1) | instskip(NEXT) | instid1(SALU_CYCLE_1)
	s_and_saveexec_b32 s1, s0
	s_xor_b32 s1, exec_lo, s1
	s_cbranch_execz .LBB226_39
; %bb.36:
	v_cmp_ge_f32_e64 s14, 0x1000000, |v10|
	v_cmp_ge_f32_e64 s15, 0x1000000, |v11|
	s_delay_alu instid0(VALU_DEP_1)
	s_and_b32 s16, s14, s15
	s_mov_b32 s14, 0
	s_and_saveexec_b32 s15, s16
; %bb.37:
	v_dual_mul_f32 v11, 4.0, v11 :: v_dual_mul_f32 v10, 4.0, v10
	s_mov_b32 s14, exec_lo
; %bb.38:
	s_or_b32 exec_lo, exec_lo, s15
	s_delay_alu instid0(SALU_CYCLE_1)
	s_and_b32 s14, s14, exec_lo
.LBB226_39:
	s_and_not1_saveexec_b32 s1, s1
; %bb.40:
	v_dual_mul_f32 v10, 0x3e800000, v10 :: v_dual_mul_f32 v11, 0x3e800000, v11
	s_and_not1_b32 s14, s14, exec_lo
; %bb.41:
	s_or_b32 exec_lo, exec_lo, s1
	s_delay_alu instid0(VALU_DEP_1) | instskip(NEXT) | instid1(VALU_DEP_2)
	v_max_f32_e64 v3, |v11|, |v11|
	v_max_f32_e64 v8, |v10|, |v10|
	s_delay_alu instid0(VALU_DEP_1) | instskip(NEXT) | instid1(VALU_DEP_1)
	v_max_f32_e32 v3, v8, v3
	v_cvt_f64_f32_e32 v[8:9], v3
	v_cmp_neq_f32_e64 s1, 0x7f800000, v3
                                        ; implicit-def: $vgpr3
	s_delay_alu instid0(VALU_DEP_2) | instskip(NEXT) | instid1(VALU_DEP_1)
	v_frexp_exp_i32_f64_e32 v8, v[8:9]
	v_sub_nc_u32_e32 v9, 0, v8
	s_delay_alu instid0(VALU_DEP_1) | instskip(SKIP_1) | instid1(VALU_DEP_2)
	v_ldexp_f32 v13, |v11|, v9
	v_ldexp_f32 v9, |v10|, v9
	v_mul_f32_e32 v13, v13, v13
	s_delay_alu instid0(VALU_DEP_1) | instskip(NEXT) | instid1(VALU_DEP_1)
	v_fmac_f32_e32 v13, v9, v9
	v_sqrt_f32_e32 v9, v13
	s_waitcnt_depctr 0xfff
	v_ldexp_f32 v8, v9, v8
	s_delay_alu instid0(VALU_DEP_1)
	v_cndmask_b32_e64 v9, 0x7f800000, v8, s1
                                        ; implicit-def: $vgpr8
	s_mov_b32 s1, exec_lo
	v_cmpx_le_f32_e32 0, v10
	s_xor_b32 s15, exec_lo, s1
	s_cbranch_execz .LBB226_43
; %bb.42:
	v_add_f32_e32 v3, v10, v9
	s_delay_alu instid0(VALU_DEP_1) | instskip(NEXT) | instid1(VALU_DEP_1)
	v_mul_f32_e32 v3, 0.5, v3
	v_mul_f32_e32 v8, 0x4f800000, v3
	v_cmp_gt_f32_e32 vcc_lo, 0xf800000, v3
	s_delay_alu instid0(VALU_DEP_2) | instskip(NEXT) | instid1(VALU_DEP_1)
	v_cndmask_b32_e32 v3, v3, v8, vcc_lo
	v_sqrt_f32_e32 v8, v3
	s_waitcnt_depctr 0xfff
	v_add_nc_u32_e32 v9, -1, v8
	v_add_nc_u32_e32 v10, 1, v8
	s_delay_alu instid0(VALU_DEP_2) | instskip(NEXT) | instid1(VALU_DEP_2)
	v_fma_f32 v13, -v9, v8, v3
	v_fma_f32 v14, -v10, v8, v3
	s_delay_alu instid0(VALU_DEP_2) | instskip(NEXT) | instid1(VALU_DEP_1)
	v_cmp_ge_f32_e64 s1, 0, v13
	v_cndmask_b32_e64 v8, v8, v9, s1
	s_delay_alu instid0(VALU_DEP_3) | instskip(NEXT) | instid1(VALU_DEP_1)
	v_cmp_lt_f32_e64 s1, 0, v14
	v_cndmask_b32_e64 v8, v8, v10, s1
	s_delay_alu instid0(VALU_DEP_1) | instskip(NEXT) | instid1(VALU_DEP_1)
	v_mul_f32_e32 v9, 0x37800000, v8
	v_cndmask_b32_e32 v8, v8, v9, vcc_lo
	v_cmp_class_f32_e64 vcc_lo, v3, 0x260
	s_delay_alu instid0(VALU_DEP_2) | instskip(NEXT) | instid1(VALU_DEP_1)
	v_cndmask_b32_e32 v3, v8, v3, vcc_lo
	v_add_f32_e32 v8, v3, v3
	s_delay_alu instid0(VALU_DEP_1) | instskip(NEXT) | instid1(VALU_DEP_1)
	v_div_scale_f32 v9, null, v8, v8, v11
	v_rcp_f32_e32 v10, v9
	s_waitcnt_depctr 0xfff
	v_fma_f32 v13, -v9, v10, 1.0
	s_delay_alu instid0(VALU_DEP_1) | instskip(SKIP_1) | instid1(VALU_DEP_1)
	v_fmac_f32_e32 v10, v13, v10
	v_div_scale_f32 v13, vcc_lo, v11, v8, v11
	v_mul_f32_e32 v14, v13, v10
	s_delay_alu instid0(VALU_DEP_1) | instskip(NEXT) | instid1(VALU_DEP_1)
	v_fma_f32 v15, -v9, v14, v13
	v_fmac_f32_e32 v14, v15, v10
	s_delay_alu instid0(VALU_DEP_1) | instskip(NEXT) | instid1(VALU_DEP_1)
	v_fma_f32 v9, -v9, v14, v13
	v_div_fmas_f32 v9, v9, v10, v14
                                        ; implicit-def: $vgpr10
	s_delay_alu instid0(VALU_DEP_1)
	v_div_fixup_f32 v8, v9, v8, v11
                                        ; implicit-def: $vgpr9
	s_and_not1_saveexec_b32 s15, s15
	s_cbranch_execz .LBB226_45
	s_branch .LBB226_44
.LBB226_43:
	s_and_not1_saveexec_b32 s15, s15
	s_cbranch_execz .LBB226_45
.LBB226_44:
	v_sub_f32_e32 v3, v9, v10
	s_delay_alu instid0(VALU_DEP_1) | instskip(NEXT) | instid1(VALU_DEP_1)
	v_mul_f32_e32 v3, 0.5, v3
	v_mul_f32_e32 v8, 0x4f800000, v3
	v_cmp_gt_f32_e32 vcc_lo, 0xf800000, v3
	s_delay_alu instid0(VALU_DEP_2) | instskip(NEXT) | instid1(VALU_DEP_1)
	v_cndmask_b32_e32 v3, v3, v8, vcc_lo
	v_sqrt_f32_e32 v8, v3
	s_waitcnt_depctr 0xfff
	v_add_nc_u32_e32 v9, -1, v8
	v_add_nc_u32_e32 v10, 1, v8
	s_delay_alu instid0(VALU_DEP_2) | instskip(NEXT) | instid1(VALU_DEP_2)
	v_fma_f32 v13, -v9, v8, v3
	v_fma_f32 v14, -v10, v8, v3
	s_delay_alu instid0(VALU_DEP_2) | instskip(NEXT) | instid1(VALU_DEP_1)
	v_cmp_ge_f32_e64 s1, 0, v13
	v_cndmask_b32_e64 v8, v8, v9, s1
	s_delay_alu instid0(VALU_DEP_3) | instskip(NEXT) | instid1(VALU_DEP_1)
	v_cmp_lt_f32_e64 s1, 0, v14
	v_cndmask_b32_e64 v8, v8, v10, s1
	s_delay_alu instid0(VALU_DEP_1) | instskip(NEXT) | instid1(VALU_DEP_1)
	v_mul_f32_e32 v9, 0x37800000, v8
	v_cndmask_b32_e32 v8, v8, v9, vcc_lo
	v_cmp_class_f32_e64 vcc_lo, v3, 0x260
	s_delay_alu instid0(VALU_DEP_2) | instskip(SKIP_1) | instid1(VALU_DEP_2)
	v_cndmask_b32_e32 v8, v8, v3, vcc_lo
	v_and_b32_e32 v3, 0x7fffffff, v11
	v_add_f32_e32 v9, v8, v8
	v_bfi_b32 v8, 0x7fffffff, v8, v11
	s_delay_alu instid0(VALU_DEP_2) | instskip(SKIP_1) | instid1(VALU_DEP_2)
	v_div_scale_f32 v10, null, v9, v9, v3
	v_div_scale_f32 v3, vcc_lo, v3, v9, v3
	v_rcp_f32_e32 v13, v10
	s_waitcnt_depctr 0xfff
	v_fma_f32 v14, -v10, v13, 1.0
	s_delay_alu instid0(VALU_DEP_1) | instskip(NEXT) | instid1(VALU_DEP_1)
	v_fmac_f32_e32 v13, v14, v13
	v_mul_f32_e32 v14, v3, v13
	s_delay_alu instid0(VALU_DEP_1) | instskip(NEXT) | instid1(VALU_DEP_1)
	v_fma_f32 v15, -v10, v14, v3
	v_fmac_f32_e32 v14, v15, v13
	s_delay_alu instid0(VALU_DEP_1) | instskip(NEXT) | instid1(VALU_DEP_1)
	v_fma_f32 v3, -v10, v14, v3
	v_div_fmas_f32 v3, v3, v13, v14
	s_delay_alu instid0(VALU_DEP_1)
	v_div_fixup_f32 v3, v3, v9, |v11|
.LBB226_45:
	s_or_b32 exec_lo, exec_lo, s15
                                        ; implicit-def: $vgpr11
	s_and_saveexec_b32 s1, s0
	s_delay_alu instid0(SALU_CYCLE_1)
	s_xor_b32 s0, exec_lo, s1
	s_cbranch_execz .LBB226_47
; %bb.46:
	v_mul_f32_e32 v9, 0.5, v3
	v_mul_f32_e32 v11, 0.5, v8
	s_delay_alu instid0(VALU_DEP_2) | instskip(NEXT) | instid1(VALU_DEP_2)
	v_cndmask_b32_e64 v10, v3, v9, s14
	v_cndmask_b32_e64 v11, v8, v11, s14
                                        ; implicit-def: $vgpr3
                                        ; implicit-def: $vgpr8
	s_and_not1_saveexec_b32 s0, s0
	s_cbranch_execnz .LBB226_48
	s_branch .LBB226_49
.LBB226_47:
	s_and_not1_saveexec_b32 s0, s0
.LBB226_48:
	v_dual_add_f32 v10, v3, v3 :: v_dual_add_f32 v11, v8, v8
.LBB226_49:
	s_or_b32 exec_lo, exec_lo, s0
.LBB226_50:
	s_and_not1_saveexec_b32 s0, s13
	s_cbranch_execz .LBB226_56
; %bb.51:
	s_delay_alu instid0(VALU_DEP_1)
	v_sub_f32_e32 v3, v11, v11
	s_mov_b32 s1, exec_lo
	v_cmpx_lt_i32_e32 -1, v10
	s_xor_b32 s1, exec_lo, s1
; %bb.52:
	s_delay_alu instid0(VALU_DEP_2)
	v_bfi_b32 v11, 0x7fffffff, v3, v11
                                        ; implicit-def: $vgpr3
; %bb.53:
	s_and_not1_saveexec_b32 s1, s1
; %bb.54:
	v_and_b32_e32 v3, 0x7fffffff, v3
	s_delay_alu instid0(VALU_DEP_2) | instskip(NEXT) | instid1(VALU_DEP_2)
	v_bfi_b32 v11, 0x7fffffff, v10, v11
	v_mov_b32_e32 v10, v3
; %bb.55:
	s_or_b32 exec_lo, exec_lo, s1
.LBB226_56:
	s_delay_alu instid0(SALU_CYCLE_1)
	s_or_b32 exec_lo, exec_lo, s0
.LBB226_57:
	s_and_not1_saveexec_b32 s0, s12
; %bb.58:
	v_sub_f32_e32 v3, v11, v11
	s_delay_alu instid0(VALU_DEP_1) | instskip(NEXT) | instid1(VALU_DEP_1)
	v_div_scale_f32 v8, vcc_lo, v3, v3, v3
	v_rcp_f32_e32 v9, v8
	s_waitcnt_depctr 0xfff
	v_fma_f32 v11, -v8, v9, 1.0
	s_delay_alu instid0(VALU_DEP_1) | instskip(NEXT) | instid1(VALU_DEP_1)
	v_fmac_f32_e32 v9, v11, v9
	v_mul_f32_e32 v11, v8, v9
	s_delay_alu instid0(VALU_DEP_1) | instskip(NEXT) | instid1(VALU_DEP_1)
	v_fma_f32 v13, -v8, v11, v8
	v_fmac_f32_e32 v11, v13, v9
	s_delay_alu instid0(VALU_DEP_1) | instskip(NEXT) | instid1(VALU_DEP_1)
	v_fma_f32 v8, -v8, v11, v8
	v_div_fmas_f32 v8, v8, v9, v11
	s_delay_alu instid0(VALU_DEP_1)
	v_div_fixup_f32 v11, v8, v3, v3
; %bb.59:
	s_or_b32 exec_lo, exec_lo, s0
	v_mov_b32_e32 v3, v10
.LBB226_60:
	s_or_b32 exec_lo, exec_lo, s11
.LBB226_61:
	s_delay_alu instid0(SALU_CYCLE_1)
	s_or_b32 exec_lo, exec_lo, s9
	s_waitcnt vmcnt(0)
	v_cmp_neq_f32_e32 vcc_lo, 0, v4
	v_cmp_neq_f32_e64 s0, 0, v5
	v_dual_mov_b32 v10, 0 :: v_dual_mov_b32 v9, v5
	v_mov_b32_e32 v8, 0
	s_delay_alu instid0(VALU_DEP_3) | instskip(NEXT) | instid1(SALU_CYCLE_1)
	s_or_b32 s0, vcc_lo, s0
	s_and_saveexec_b32 s9, s0
	s_cbranch_execz .LBB226_91
; %bb.62:
	v_dual_mov_b32 v8, 0x7f800000 :: v_dual_mov_b32 v9, v5
	s_mov_b32 s11, exec_lo
	v_cmpx_neq_f32_e64 0x7f800000, |v5|
	s_cbranch_execz .LBB226_90
; %bb.63:
	s_mov_b32 s0, exec_lo
	v_cmpx_o_f32_e32 v4, v4
	s_xor_b32 s12, exec_lo, s0
	s_cbranch_execz .LBB226_87
; %bb.64:
	s_mov_b32 s1, exec_lo
	v_cmpx_neq_f32_e64 0x7f800000, |v4|
	s_xor_b32 s13, exec_lo, s1
	s_cbranch_execz .LBB226_80
; %bb.65:
	v_max_f32_e64 v8, |v5|, |v5|
	v_max_f32_e64 v9, |v4|, |v4|
                                        ; implicit-def: $sgpr14
	s_delay_alu instid0(VALU_DEP_1) | instskip(NEXT) | instid1(VALU_DEP_1)
	v_max_f32_e32 v8, v9, v8
                                        ; implicit-def: $vgpr9
	v_cmp_nle_f32_e64 s0, 0x7ed413cb, v8
                                        ; implicit-def: $vgpr8
	s_delay_alu instid0(VALU_DEP_1) | instskip(NEXT) | instid1(SALU_CYCLE_1)
	s_and_saveexec_b32 s1, s0
	s_xor_b32 s1, exec_lo, s1
	s_cbranch_execz .LBB226_69
; %bb.66:
	v_cmp_ge_f32_e64 s14, 0x1000000, |v4|
	v_cmp_ge_f32_e64 s15, 0x1000000, |v5|
	v_dual_mov_b32 v9, v4 :: v_dual_mov_b32 v8, v5
	s_delay_alu instid0(VALU_DEP_2)
	s_and_b32 s16, s14, s15
	s_mov_b32 s14, 0
	s_and_saveexec_b32 s15, s16
; %bb.67:
	v_dual_mul_f32 v8, 4.0, v5 :: v_dual_mul_f32 v9, 4.0, v4
	s_mov_b32 s14, exec_lo
; %bb.68:
	s_or_b32 exec_lo, exec_lo, s15
	s_delay_alu instid0(SALU_CYCLE_1)
	s_and_b32 s14, s14, exec_lo
.LBB226_69:
	s_and_not1_saveexec_b32 s1, s1
; %bb.70:
	v_dual_mul_f32 v9, 0x3e800000, v4 :: v_dual_mul_f32 v8, 0x3e800000, v5
	s_and_not1_b32 s14, s14, exec_lo
; %bb.71:
	s_or_b32 exec_lo, exec_lo, s1
	s_delay_alu instid0(VALU_DEP_1) | instskip(NEXT) | instid1(VALU_DEP_2)
	v_max_f32_e64 v13, |v8|, |v8|
	v_max_f32_e64 v14, |v9|, |v9|
	s_delay_alu instid0(VALU_DEP_1) | instskip(NEXT) | instid1(VALU_DEP_1)
	v_max_f32_e32 v15, v14, v13
	v_cvt_f64_f32_e32 v[13:14], v15
	s_delay_alu instid0(VALU_DEP_1) | instskip(NEXT) | instid1(VALU_DEP_1)
	v_frexp_exp_i32_f64_e32 v13, v[13:14]
	v_sub_nc_u32_e32 v14, 0, v13
	s_delay_alu instid0(VALU_DEP_1) | instskip(SKIP_1) | instid1(VALU_DEP_2)
	v_ldexp_f32 v16, |v8|, v14
	v_ldexp_f32 v14, |v9|, v14
	v_mul_f32_e32 v16, v16, v16
	v_cmp_neq_f32_e64 s1, 0x7f800000, v15
	s_delay_alu instid0(VALU_DEP_2) | instskip(NEXT) | instid1(VALU_DEP_1)
	v_fmac_f32_e32 v16, v14, v14
	v_sqrt_f32_e32 v14, v16
	s_waitcnt_depctr 0xfff
	v_ldexp_f32 v13, v14, v13
                                        ; implicit-def: $vgpr14
	s_delay_alu instid0(VALU_DEP_1)
	v_cndmask_b32_e64 v15, 0x7f800000, v13, s1
                                        ; implicit-def: $vgpr13
	s_mov_b32 s1, exec_lo
	v_cmpx_le_f32_e32 0, v9
	s_xor_b32 s15, exec_lo, s1
	s_cbranch_execz .LBB226_75
; %bb.72:
	v_add_f32_e32 v9, v9, v15
	s_delay_alu instid0(VALU_DEP_1) | instskip(NEXT) | instid1(VALU_DEP_1)
	v_mul_f32_e32 v9, 0.5, v9
	v_mul_f32_e32 v13, 0x4f800000, v9
	v_cmp_gt_f32_e32 vcc_lo, 0xf800000, v9
	s_delay_alu instid0(VALU_DEP_2) | instskip(NEXT) | instid1(VALU_DEP_1)
	v_cndmask_b32_e32 v9, v9, v13, vcc_lo
	v_sqrt_f32_e32 v13, v9
	s_waitcnt_depctr 0xfff
	v_add_nc_u32_e32 v14, -1, v13
	v_add_nc_u32_e32 v15, 1, v13
	s_delay_alu instid0(VALU_DEP_2) | instskip(NEXT) | instid1(VALU_DEP_2)
	v_fma_f32 v16, -v14, v13, v9
	v_fma_f32 v17, -v15, v13, v9
	s_delay_alu instid0(VALU_DEP_2) | instskip(NEXT) | instid1(VALU_DEP_1)
	v_cmp_ge_f32_e64 s1, 0, v16
	v_cndmask_b32_e64 v13, v13, v14, s1
	s_delay_alu instid0(VALU_DEP_3) | instskip(NEXT) | instid1(VALU_DEP_1)
	v_cmp_lt_f32_e64 s1, 0, v17
	v_cndmask_b32_e64 v13, v13, v15, s1
	s_delay_alu instid0(VALU_DEP_1) | instskip(NEXT) | instid1(VALU_DEP_1)
	v_mul_f32_e32 v14, 0x37800000, v13
	v_cndmask_b32_e32 v13, v13, v14, vcc_lo
	v_cmp_class_f32_e64 vcc_lo, v9, 0x260
	s_delay_alu instid0(VALU_DEP_2) | instskip(NEXT) | instid1(VALU_DEP_1)
	v_cndmask_b32_e32 v13, v13, v9, vcc_lo
	v_add_f32_e32 v9, v13, v13
	s_delay_alu instid0(VALU_DEP_1) | instskip(NEXT) | instid1(VALU_DEP_1)
	v_div_scale_f32 v14, null, v9, v9, v8
	v_rcp_f32_e32 v15, v14
	s_waitcnt_depctr 0xfff
	v_fma_f32 v16, -v14, v15, 1.0
	s_delay_alu instid0(VALU_DEP_1) | instskip(SKIP_1) | instid1(VALU_DEP_1)
	v_fmac_f32_e32 v15, v16, v15
	v_div_scale_f32 v16, vcc_lo, v8, v9, v8
	v_mul_f32_e32 v17, v16, v15
	s_delay_alu instid0(VALU_DEP_1) | instskip(NEXT) | instid1(VALU_DEP_1)
	v_fma_f32 v18, -v14, v17, v16
	v_fmac_f32_e32 v17, v18, v15
	s_delay_alu instid0(VALU_DEP_1) | instskip(NEXT) | instid1(VALU_DEP_1)
	v_fma_f32 v14, -v14, v17, v16
	v_div_fmas_f32 v14, v14, v15, v17
                                        ; implicit-def: $vgpr15
	s_delay_alu instid0(VALU_DEP_1)
	v_div_fixup_f32 v14, v14, v9, v8
                                        ; implicit-def: $vgpr9
                                        ; implicit-def: $vgpr8
	s_and_not1_saveexec_b32 s15, s15
	s_cbranch_execnz .LBB226_76
.LBB226_73:
	s_or_b32 exec_lo, exec_lo, s15
	s_and_saveexec_b32 s1, s0
	s_delay_alu instid0(SALU_CYCLE_1)
	s_xor_b32 s0, exec_lo, s1
	s_cbranch_execz .LBB226_77
.LBB226_74:
	v_dual_mul_f32 v8, 0.5, v13 :: v_dual_mul_f32 v9, 0.5, v14
	s_delay_alu instid0(VALU_DEP_1) | instskip(NEXT) | instid1(VALU_DEP_2)
	v_cndmask_b32_e64 v8, v13, v8, s14
	v_cndmask_b32_e64 v9, v14, v9, s14
                                        ; implicit-def: $vgpr13
                                        ; implicit-def: $vgpr14
	s_and_not1_saveexec_b32 s0, s0
	s_cbranch_execnz .LBB226_78
	s_branch .LBB226_79
.LBB226_75:
	s_and_not1_saveexec_b32 s15, s15
	s_cbranch_execz .LBB226_73
.LBB226_76:
	v_sub_f32_e32 v9, v15, v9
	s_delay_alu instid0(VALU_DEP_1) | instskip(NEXT) | instid1(VALU_DEP_1)
	v_mul_f32_e32 v9, 0.5, v9
	v_mul_f32_e32 v13, 0x4f800000, v9
	v_cmp_gt_f32_e32 vcc_lo, 0xf800000, v9
	s_delay_alu instid0(VALU_DEP_2) | instskip(NEXT) | instid1(VALU_DEP_1)
	v_cndmask_b32_e32 v9, v9, v13, vcc_lo
	v_sqrt_f32_e32 v13, v9
	s_waitcnt_depctr 0xfff
	v_add_nc_u32_e32 v14, -1, v13
	v_add_nc_u32_e32 v15, 1, v13
	s_delay_alu instid0(VALU_DEP_2) | instskip(NEXT) | instid1(VALU_DEP_2)
	v_fma_f32 v16, -v14, v13, v9
	v_fma_f32 v17, -v15, v13, v9
	s_delay_alu instid0(VALU_DEP_2) | instskip(NEXT) | instid1(VALU_DEP_1)
	v_cmp_ge_f32_e64 s1, 0, v16
	v_cndmask_b32_e64 v13, v13, v14, s1
	s_delay_alu instid0(VALU_DEP_3) | instskip(NEXT) | instid1(VALU_DEP_1)
	v_cmp_lt_f32_e64 s1, 0, v17
	v_cndmask_b32_e64 v13, v13, v15, s1
	s_delay_alu instid0(VALU_DEP_1) | instskip(NEXT) | instid1(VALU_DEP_1)
	v_mul_f32_e32 v14, 0x37800000, v13
	v_cndmask_b32_e32 v13, v13, v14, vcc_lo
	v_cmp_class_f32_e64 vcc_lo, v9, 0x260
	s_delay_alu instid0(VALU_DEP_2) | instskip(NEXT) | instid1(VALU_DEP_1)
	v_cndmask_b32_e32 v9, v13, v9, vcc_lo
	v_dual_add_f32 v14, v9, v9 :: v_dual_and_b32 v13, 0x7fffffff, v8
	s_delay_alu instid0(VALU_DEP_1) | instskip(SKIP_1) | instid1(VALU_DEP_2)
	v_div_scale_f32 v15, null, v14, v14, v13
	v_div_scale_f32 v13, vcc_lo, v13, v14, v13
	v_rcp_f32_e32 v16, v15
	s_waitcnt_depctr 0xfff
	v_fma_f32 v17, -v15, v16, 1.0
	s_delay_alu instid0(VALU_DEP_1) | instskip(NEXT) | instid1(VALU_DEP_1)
	v_fmac_f32_e32 v16, v17, v16
	v_mul_f32_e32 v17, v13, v16
	s_delay_alu instid0(VALU_DEP_1) | instskip(NEXT) | instid1(VALU_DEP_1)
	v_fma_f32 v18, -v15, v17, v13
	v_fmac_f32_e32 v17, v18, v16
	s_delay_alu instid0(VALU_DEP_1) | instskip(NEXT) | instid1(VALU_DEP_1)
	v_fma_f32 v13, -v15, v17, v13
	v_div_fmas_f32 v13, v13, v16, v17
	s_delay_alu instid0(VALU_DEP_1) | instskip(SKIP_3) | instid1(SALU_CYCLE_1)
	v_div_fixup_f32 v13, v13, v14, |v8|
	v_bfi_b32 v14, 0x7fffffff, v9, v8
	s_or_b32 exec_lo, exec_lo, s15
	s_and_saveexec_b32 s1, s0
	s_xor_b32 s0, exec_lo, s1
	s_cbranch_execnz .LBB226_74
.LBB226_77:
	s_and_not1_saveexec_b32 s0, s0
.LBB226_78:
	v_dual_add_f32 v8, v13, v13 :: v_dual_add_f32 v9, v14, v14
.LBB226_79:
	s_or_b32 exec_lo, exec_lo, s0
.LBB226_80:
	s_and_not1_saveexec_b32 s0, s13
	s_cbranch_execz .LBB226_86
; %bb.81:
	v_sub_f32_e32 v13, v5, v5
	s_mov_b32 s1, exec_lo
	v_cmpx_lt_i32_e32 -1, v4
	s_xor_b32 s1, exec_lo, s1
; %bb.82:
	s_delay_alu instid0(VALU_DEP_2)
	v_bfi_b32 v9, 0x7fffffff, v13, v5
                                        ; implicit-def: $vgpr13
; %bb.83:
	s_or_saveexec_b32 s1, s1
	v_mov_b32_e32 v8, v4
	s_xor_b32 exec_lo, exec_lo, s1
; %bb.84:
	v_and_b32_e32 v8, 0x7fffffff, v13
	v_bfi_b32 v9, 0x7fffffff, v4, v5
; %bb.85:
	s_or_b32 exec_lo, exec_lo, s1
.LBB226_86:
	s_delay_alu instid0(SALU_CYCLE_1)
	s_or_b32 exec_lo, exec_lo, s0
.LBB226_87:
	s_and_not1_saveexec_b32 s0, s12
	s_cbranch_execz .LBB226_89
; %bb.88:
	v_sub_f32_e32 v5, v5, v5
	s_delay_alu instid0(VALU_DEP_1) | instskip(NEXT) | instid1(VALU_DEP_1)
	v_div_scale_f32 v8, vcc_lo, v5, v5, v5
	v_rcp_f32_e32 v9, v8
	s_waitcnt_depctr 0xfff
	v_fma_f32 v13, -v8, v9, 1.0
	s_delay_alu instid0(VALU_DEP_1) | instskip(NEXT) | instid1(VALU_DEP_1)
	v_fmac_f32_e32 v9, v13, v9
	v_mul_f32_e32 v13, v8, v9
	s_delay_alu instid0(VALU_DEP_1) | instskip(NEXT) | instid1(VALU_DEP_1)
	v_fma_f32 v14, -v8, v13, v8
	v_fmac_f32_e32 v13, v14, v9
	s_delay_alu instid0(VALU_DEP_1) | instskip(NEXT) | instid1(VALU_DEP_1)
	v_fma_f32 v8, -v8, v13, v8
	v_div_fmas_f32 v8, v8, v9, v13
	s_delay_alu instid0(VALU_DEP_1)
	v_div_fixup_f32 v9, v8, v5, v5
	v_mov_b32_e32 v8, v4
.LBB226_89:
	s_or_b32 exec_lo, exec_lo, s0
.LBB226_90:
	s_delay_alu instid0(SALU_CYCLE_1)
	s_or_b32 exec_lo, exec_lo, s11
.LBB226_91:
	s_delay_alu instid0(SALU_CYCLE_1) | instskip(SKIP_2) | instid1(VALU_DEP_1)
	s_or_b32 exec_lo, exec_lo, s9
	v_cmp_neq_f32_e32 vcc_lo, 0, v6
	v_cmp_neq_f32_e64 s0, 0, v7
	s_or_b32 s0, vcc_lo, s0
	s_delay_alu instid0(SALU_CYCLE_1)
	s_and_saveexec_b32 s9, s0
	s_cbranch_execz .LBB226_121
; %bb.92:
	v_mov_b32_e32 v10, 0x7f800000
	s_mov_b32 s11, exec_lo
	v_cmpx_neq_f32_e64 0x7f800000, |v7|
	s_cbranch_execz .LBB226_120
; %bb.93:
	s_mov_b32 s0, exec_lo
	v_cmpx_o_f32_e32 v6, v6
	s_xor_b32 s12, exec_lo, s0
	s_cbranch_execz .LBB226_117
; %bb.94:
	s_mov_b32 s1, exec_lo
	v_cmpx_neq_f32_e64 0x7f800000, |v6|
	s_xor_b32 s13, exec_lo, s1
	s_cbranch_execz .LBB226_110
; %bb.95:
	v_max_f32_e64 v4, |v7|, |v7|
	v_max_f32_e64 v5, |v6|, |v6|
                                        ; implicit-def: $sgpr14
	s_delay_alu instid0(VALU_DEP_1) | instskip(NEXT) | instid1(VALU_DEP_1)
	v_max_f32_e32 v4, v5, v4
	v_cmp_nle_f32_e64 s0, 0x7ed413cb, v4
	s_delay_alu instid0(VALU_DEP_1) | instskip(NEXT) | instid1(SALU_CYCLE_1)
	s_and_saveexec_b32 s1, s0
	s_xor_b32 s1, exec_lo, s1
	s_cbranch_execz .LBB226_99
; %bb.96:
	v_cmp_ge_f32_e64 s14, 0x1000000, |v6|
	v_cmp_ge_f32_e64 s15, 0x1000000, |v7|
	s_delay_alu instid0(VALU_DEP_1)
	s_and_b32 s16, s14, s15
	s_mov_b32 s14, 0
	s_and_saveexec_b32 s15, s16
; %bb.97:
	v_dual_mul_f32 v7, 4.0, v7 :: v_dual_mul_f32 v6, 4.0, v6
	s_mov_b32 s14, exec_lo
; %bb.98:
	s_or_b32 exec_lo, exec_lo, s15
	s_delay_alu instid0(SALU_CYCLE_1)
	s_and_b32 s14, s14, exec_lo
.LBB226_99:
	s_and_not1_saveexec_b32 s1, s1
; %bb.100:
	v_dual_mul_f32 v6, 0x3e800000, v6 :: v_dual_mul_f32 v7, 0x3e800000, v7
	s_and_not1_b32 s14, s14, exec_lo
; %bb.101:
	s_or_b32 exec_lo, exec_lo, s1
	s_delay_alu instid0(VALU_DEP_1) | instskip(NEXT) | instid1(VALU_DEP_2)
	v_max_f32_e64 v4, |v7|, |v7|
	v_max_f32_e64 v5, |v6|, |v6|
	s_delay_alu instid0(VALU_DEP_1) | instskip(NEXT) | instid1(VALU_DEP_1)
	v_max_f32_e32 v10, v5, v4
	v_cvt_f64_f32_e32 v[4:5], v10
	v_cmp_neq_f32_e64 s1, 0x7f800000, v10
	s_delay_alu instid0(VALU_DEP_2) | instskip(NEXT) | instid1(VALU_DEP_1)
	v_frexp_exp_i32_f64_e32 v4, v[4:5]
	v_sub_nc_u32_e32 v5, 0, v4
	s_delay_alu instid0(VALU_DEP_1) | instskip(SKIP_1) | instid1(VALU_DEP_2)
	v_ldexp_f32 v13, |v7|, v5
	v_ldexp_f32 v5, |v6|, v5
	v_mul_f32_e32 v13, v13, v13
	s_delay_alu instid0(VALU_DEP_1) | instskip(NEXT) | instid1(VALU_DEP_1)
	v_fmac_f32_e32 v13, v5, v5
	v_sqrt_f32_e32 v5, v13
	s_waitcnt_depctr 0xfff
	v_ldexp_f32 v4, v5, v4
                                        ; implicit-def: $vgpr5
	s_delay_alu instid0(VALU_DEP_1)
	v_cndmask_b32_e64 v10, 0x7f800000, v4, s1
                                        ; implicit-def: $vgpr4
	s_mov_b32 s1, exec_lo
	v_cmpx_le_f32_e32 0, v6
	s_xor_b32 s15, exec_lo, s1
	s_cbranch_execz .LBB226_103
; %bb.102:
	v_add_f32_e32 v4, v6, v10
	s_delay_alu instid0(VALU_DEP_1) | instskip(NEXT) | instid1(VALU_DEP_1)
	v_mul_f32_e32 v4, 0.5, v4
	v_mul_f32_e32 v5, 0x4f800000, v4
	v_cmp_gt_f32_e32 vcc_lo, 0xf800000, v4
	s_delay_alu instid0(VALU_DEP_2) | instskip(NEXT) | instid1(VALU_DEP_1)
	v_cndmask_b32_e32 v4, v4, v5, vcc_lo
	v_sqrt_f32_e32 v5, v4
	s_waitcnt_depctr 0xfff
	v_add_nc_u32_e32 v6, -1, v5
	v_add_nc_u32_e32 v10, 1, v5
	s_delay_alu instid0(VALU_DEP_2) | instskip(NEXT) | instid1(VALU_DEP_2)
	v_fma_f32 v13, -v6, v5, v4
	v_fma_f32 v14, -v10, v5, v4
	s_delay_alu instid0(VALU_DEP_2) | instskip(NEXT) | instid1(VALU_DEP_1)
	v_cmp_ge_f32_e64 s1, 0, v13
	v_cndmask_b32_e64 v5, v5, v6, s1
	s_delay_alu instid0(VALU_DEP_3) | instskip(NEXT) | instid1(VALU_DEP_1)
	v_cmp_lt_f32_e64 s1, 0, v14
	v_cndmask_b32_e64 v5, v5, v10, s1
	s_delay_alu instid0(VALU_DEP_1) | instskip(NEXT) | instid1(VALU_DEP_1)
	v_mul_f32_e32 v6, 0x37800000, v5
	v_cndmask_b32_e32 v5, v5, v6, vcc_lo
	v_cmp_class_f32_e64 vcc_lo, v4, 0x260
	s_delay_alu instid0(VALU_DEP_2) | instskip(NEXT) | instid1(VALU_DEP_1)
	v_cndmask_b32_e32 v4, v5, v4, vcc_lo
	v_add_f32_e32 v5, v4, v4
	s_delay_alu instid0(VALU_DEP_1) | instskip(NEXT) | instid1(VALU_DEP_1)
	v_div_scale_f32 v6, null, v5, v5, v7
	v_rcp_f32_e32 v10, v6
	s_waitcnt_depctr 0xfff
	v_fma_f32 v13, -v6, v10, 1.0
	s_delay_alu instid0(VALU_DEP_1) | instskip(SKIP_1) | instid1(VALU_DEP_1)
	v_fmac_f32_e32 v10, v13, v10
	v_div_scale_f32 v13, vcc_lo, v7, v5, v7
	v_mul_f32_e32 v14, v13, v10
	s_delay_alu instid0(VALU_DEP_1) | instskip(NEXT) | instid1(VALU_DEP_1)
	v_fma_f32 v15, -v6, v14, v13
	v_fmac_f32_e32 v14, v15, v10
	s_delay_alu instid0(VALU_DEP_1) | instskip(NEXT) | instid1(VALU_DEP_1)
	v_fma_f32 v6, -v6, v14, v13
	v_div_fmas_f32 v6, v6, v10, v14
                                        ; implicit-def: $vgpr10
	s_delay_alu instid0(VALU_DEP_1)
	v_div_fixup_f32 v5, v6, v5, v7
                                        ; implicit-def: $vgpr6
	s_and_not1_saveexec_b32 s15, s15
	s_cbranch_execz .LBB226_105
	s_branch .LBB226_104
.LBB226_103:
	s_and_not1_saveexec_b32 s15, s15
	s_cbranch_execz .LBB226_105
.LBB226_104:
	v_sub_f32_e32 v4, v10, v6
	s_delay_alu instid0(VALU_DEP_1) | instskip(NEXT) | instid1(VALU_DEP_1)
	v_mul_f32_e32 v4, 0.5, v4
	v_mul_f32_e32 v5, 0x4f800000, v4
	v_cmp_gt_f32_e32 vcc_lo, 0xf800000, v4
	s_delay_alu instid0(VALU_DEP_2) | instskip(NEXT) | instid1(VALU_DEP_1)
	v_cndmask_b32_e32 v4, v4, v5, vcc_lo
	v_sqrt_f32_e32 v5, v4
	s_waitcnt_depctr 0xfff
	v_add_nc_u32_e32 v6, -1, v5
	v_add_nc_u32_e32 v10, 1, v5
	s_delay_alu instid0(VALU_DEP_2) | instskip(NEXT) | instid1(VALU_DEP_2)
	v_fma_f32 v13, -v6, v5, v4
	v_fma_f32 v14, -v10, v5, v4
	s_delay_alu instid0(VALU_DEP_2) | instskip(NEXT) | instid1(VALU_DEP_1)
	v_cmp_ge_f32_e64 s1, 0, v13
	v_cndmask_b32_e64 v5, v5, v6, s1
	s_delay_alu instid0(VALU_DEP_3) | instskip(NEXT) | instid1(VALU_DEP_1)
	v_cmp_lt_f32_e64 s1, 0, v14
	v_cndmask_b32_e64 v5, v5, v10, s1
	s_delay_alu instid0(VALU_DEP_1) | instskip(NEXT) | instid1(VALU_DEP_1)
	v_mul_f32_e32 v6, 0x37800000, v5
	v_cndmask_b32_e32 v5, v5, v6, vcc_lo
	v_cmp_class_f32_e64 vcc_lo, v4, 0x260
	s_delay_alu instid0(VALU_DEP_2) | instskip(NEXT) | instid1(VALU_DEP_1)
	v_dual_cndmask_b32 v5, v5, v4 :: v_dual_and_b32 v4, 0x7fffffff, v7
	v_add_f32_e32 v6, v5, v5
	v_bfi_b32 v5, 0x7fffffff, v5, v7
	s_delay_alu instid0(VALU_DEP_2) | instskip(NEXT) | instid1(VALU_DEP_1)
	v_div_scale_f32 v10, null, v6, v6, v4
	v_rcp_f32_e32 v13, v10
	s_waitcnt_depctr 0xfff
	v_fma_f32 v14, -v10, v13, 1.0
	s_delay_alu instid0(VALU_DEP_1) | instskip(SKIP_1) | instid1(VALU_DEP_1)
	v_fmac_f32_e32 v13, v14, v13
	v_div_scale_f32 v4, vcc_lo, v4, v6, v4
	v_mul_f32_e32 v14, v4, v13
	s_delay_alu instid0(VALU_DEP_1) | instskip(NEXT) | instid1(VALU_DEP_1)
	v_fma_f32 v15, -v10, v14, v4
	v_fmac_f32_e32 v14, v15, v13
	s_delay_alu instid0(VALU_DEP_1) | instskip(NEXT) | instid1(VALU_DEP_1)
	v_fma_f32 v4, -v10, v14, v4
	v_div_fmas_f32 v4, v4, v13, v14
	s_delay_alu instid0(VALU_DEP_1)
	v_div_fixup_f32 v4, v4, v6, |v7|
.LBB226_105:
	s_or_b32 exec_lo, exec_lo, s15
                                        ; implicit-def: $vgpr7
	s_and_saveexec_b32 s1, s0
	s_delay_alu instid0(SALU_CYCLE_1)
	s_xor_b32 s0, exec_lo, s1
	s_cbranch_execz .LBB226_107
; %bb.106:
	v_dual_mul_f32 v6, 0.5, v4 :: v_dual_mul_f32 v7, 0.5, v5
	s_delay_alu instid0(VALU_DEP_1) | instskip(NEXT) | instid1(VALU_DEP_2)
	v_cndmask_b32_e64 v6, v4, v6, s14
	v_cndmask_b32_e64 v7, v5, v7, s14
                                        ; implicit-def: $vgpr4
                                        ; implicit-def: $vgpr5
	s_and_not1_saveexec_b32 s0, s0
	s_cbranch_execnz .LBB226_108
	s_branch .LBB226_109
.LBB226_107:
	s_and_not1_saveexec_b32 s0, s0
.LBB226_108:
	v_dual_add_f32 v6, v4, v4 :: v_dual_add_f32 v7, v5, v5
.LBB226_109:
	s_or_b32 exec_lo, exec_lo, s0
.LBB226_110:
	s_and_not1_saveexec_b32 s0, s13
	s_cbranch_execz .LBB226_116
; %bb.111:
	s_delay_alu instid0(VALU_DEP_1)
	v_sub_f32_e32 v4, v7, v7
	s_mov_b32 s1, exec_lo
	v_cmpx_lt_i32_e32 -1, v6
	s_xor_b32 s1, exec_lo, s1
; %bb.112:
	s_delay_alu instid0(VALU_DEP_2)
	v_bfi_b32 v7, 0x7fffffff, v4, v7
                                        ; implicit-def: $vgpr4
; %bb.113:
	s_and_not1_saveexec_b32 s1, s1
; %bb.114:
	v_and_b32_e32 v4, 0x7fffffff, v4
	s_delay_alu instid0(VALU_DEP_2) | instskip(NEXT) | instid1(VALU_DEP_2)
	v_bfi_b32 v7, 0x7fffffff, v6, v7
	v_mov_b32_e32 v6, v4
; %bb.115:
	s_or_b32 exec_lo, exec_lo, s1
.LBB226_116:
	s_delay_alu instid0(SALU_CYCLE_1)
	s_or_b32 exec_lo, exec_lo, s0
.LBB226_117:
	s_and_not1_saveexec_b32 s0, s12
; %bb.118:
	v_sub_f32_e32 v4, v7, v7
	s_delay_alu instid0(VALU_DEP_1) | instskip(NEXT) | instid1(VALU_DEP_1)
	v_div_scale_f32 v5, vcc_lo, v4, v4, v4
	v_rcp_f32_e32 v7, v5
	s_waitcnt_depctr 0xfff
	v_fma_f32 v10, -v5, v7, 1.0
	s_delay_alu instid0(VALU_DEP_1) | instskip(NEXT) | instid1(VALU_DEP_1)
	v_fmac_f32_e32 v7, v10, v7
	v_mul_f32_e32 v10, v5, v7
	s_delay_alu instid0(VALU_DEP_1) | instskip(NEXT) | instid1(VALU_DEP_1)
	v_fma_f32 v13, -v5, v10, v5
	v_fmac_f32_e32 v10, v13, v7
	s_delay_alu instid0(VALU_DEP_1) | instskip(NEXT) | instid1(VALU_DEP_1)
	v_fma_f32 v5, -v5, v10, v5
	v_div_fmas_f32 v5, v5, v7, v10
	s_delay_alu instid0(VALU_DEP_1)
	v_div_fixup_f32 v7, v5, v4, v4
; %bb.119:
	s_or_b32 exec_lo, exec_lo, s0
	v_mov_b32_e32 v10, v6
.LBB226_120:
	s_or_b32 exec_lo, exec_lo, s11
.LBB226_121:
	s_delay_alu instid0(SALU_CYCLE_1)
	s_or_b32 exec_lo, exec_lo, s9
	v_mov_b32_e32 v4, v11
	v_mov_b32_e32 v11, v7
	s_add_u32 s2, s4, s2
	s_addc_u32 s3, s5, s3
	s_mov_b32 s0, 0
	s_clause 0x1
	global_store_b128 v12, v[1:4], s[2:3]
	global_store_b128 v12, v[8:11], s[2:3] offset:16
.LBB226_122:
	s_and_b32 vcc_lo, exec_lo, s0
	s_cbranch_vccz .LBB226_267
; %bb.123:
	v_cmp_gt_i32_e64 s0, s10, v0
	v_dual_mov_b32 v11, 0 :: v_dual_mov_b32 v12, 0
	v_or_b32_e32 v1, s8, v0
	v_or_b32_e32 v14, 0x100, v0
	v_dual_mov_b32 v13, 0 :: v_dual_mov_b32 v4, v0
	s_and_saveexec_b32 s1, s0
	s_cbranch_execz .LBB226_125
; %bb.124:
	v_mov_b32_e32 v2, 0
	v_or_b32_e32 v4, 0x100, v0
	s_delay_alu instid0(VALU_DEP_2) | instskip(NEXT) | instid1(VALU_DEP_1)
	v_lshlrev_b64 v[2:3], 3, v[1:2]
	v_add_co_u32 v2, vcc_lo, s6, v2
	s_delay_alu instid0(VALU_DEP_2)
	v_add_co_ci_u32_e32 v3, vcc_lo, s7, v3, vcc_lo
	global_load_b64 v[12:13], v[2:3], off
.LBB226_125:
	s_or_b32 exec_lo, exec_lo, s1
	v_mov_b32_e32 v10, 0
	s_mov_b32 s1, exec_lo
	v_cmpx_gt_i32_e64 s10, v4
	s_cbranch_execz .LBB226_127
; %bb.126:
	v_dual_mov_b32 v3, 0 :: v_dual_add_nc_u32 v2, s8, v4
	v_add_nc_u32_e32 v4, 0x100, v4
	s_delay_alu instid0(VALU_DEP_2) | instskip(NEXT) | instid1(VALU_DEP_1)
	v_lshlrev_b64 v[2:3], 3, v[2:3]
	v_add_co_u32 v2, vcc_lo, s6, v2
	s_delay_alu instid0(VALU_DEP_2)
	v_add_co_ci_u32_e32 v3, vcc_lo, s7, v3, vcc_lo
	global_load_b64 v[10:11], v[2:3], off
.LBB226_127:
	s_or_b32 exec_lo, exec_lo, s1
	v_dual_mov_b32 v3, 0 :: v_dual_mov_b32 v8, 0
	v_mov_b32_e32 v9, 0
	s_mov_b32 s1, exec_lo
	v_cmpx_gt_i32_e64 s10, v4
	s_cbranch_execz .LBB226_129
; %bb.128:
	v_dual_mov_b32 v6, 0 :: v_dual_add_nc_u32 v5, s8, v4
	v_add_nc_u32_e32 v4, 0x100, v4
	s_delay_alu instid0(VALU_DEP_2) | instskip(NEXT) | instid1(VALU_DEP_1)
	v_lshlrev_b64 v[5:6], 3, v[5:6]
	v_add_co_u32 v5, vcc_lo, s6, v5
	s_delay_alu instid0(VALU_DEP_2)
	v_add_co_ci_u32_e32 v6, vcc_lo, s7, v6, vcc_lo
	global_load_b64 v[8:9], v[5:6], off
.LBB226_129:
	s_or_b32 exec_lo, exec_lo, s1
	v_mov_b32_e32 v2, 0
	s_mov_b32 s1, exec_lo
	v_cmpx_gt_i32_e64 s10, v4
	s_cbranch_execz .LBB226_131
; %bb.130:
	v_dual_mov_b32 v3, 0 :: v_dual_add_nc_u32 v2, s8, v4
	s_delay_alu instid0(VALU_DEP_1) | instskip(NEXT) | instid1(VALU_DEP_1)
	v_lshlrev_b64 v[2:3], 3, v[2:3]
	v_add_co_u32 v2, vcc_lo, s6, v2
	s_delay_alu instid0(VALU_DEP_2)
	v_add_co_ci_u32_e32 v3, vcc_lo, s7, v3, vcc_lo
	global_load_b64 v[2:3], v[2:3], off
.LBB226_131:
	s_or_b32 exec_lo, exec_lo, s1
	v_dual_mov_b32 v5, 0 :: v_dual_mov_b32 v6, 0
	v_mov_b32_e32 v7, 0
	s_and_saveexec_b32 s3, s0
	s_cbranch_execz .LBB226_163
; %bb.132:
	s_waitcnt vmcnt(0)
	v_cmp_neq_f32_e32 vcc_lo, 0, v12
	v_cmp_neq_f32_e64 s1, 0, v13
	v_mov_b32_e32 v6, 0
	s_delay_alu instid0(VALU_DEP_2) | instskip(NEXT) | instid1(SALU_CYCLE_1)
	s_or_b32 s1, vcc_lo, s1
	s_and_saveexec_b32 s6, s1
	s_cbranch_execz .LBB226_162
; %bb.133:
	v_mov_b32_e32 v6, 0x7f800000
	s_mov_b32 s7, exec_lo
	v_cmpx_neq_f32_e64 0x7f800000, |v13|
	s_cbranch_execz .LBB226_161
; %bb.134:
	s_mov_b32 s1, exec_lo
	v_cmpx_o_f32_e32 v12, v12
	s_xor_b32 s9, exec_lo, s1
	s_cbranch_execz .LBB226_158
; %bb.135:
	s_mov_b32 s2, exec_lo
	v_cmpx_neq_f32_e64 0x7f800000, |v12|
	s_xor_b32 s11, exec_lo, s2
	s_cbranch_execz .LBB226_151
; %bb.136:
	v_max_f32_e64 v4, |v12|, |v12|
	v_max_f32_e64 v6, |v13|, |v13|
                                        ; implicit-def: $sgpr12
	s_delay_alu instid0(VALU_DEP_1) | instskip(NEXT) | instid1(VALU_DEP_1)
	v_max_f32_e32 v4, v6, v4
	v_cmp_nle_f32_e64 s1, 0x7ed413cb, v4
	s_delay_alu instid0(VALU_DEP_1) | instskip(NEXT) | instid1(SALU_CYCLE_1)
	s_and_saveexec_b32 s2, s1
	s_xor_b32 s2, exec_lo, s2
	s_cbranch_execz .LBB226_140
; %bb.137:
	v_cmp_ge_f32_e64 s12, 0x1000000, |v12|
	v_cmp_ge_f32_e64 s13, 0x1000000, |v13|
	s_delay_alu instid0(VALU_DEP_1)
	s_and_b32 s14, s13, s12
	s_mov_b32 s12, 0
	s_and_saveexec_b32 s13, s14
; %bb.138:
	v_dual_mul_f32 v13, 4.0, v13 :: v_dual_mul_f32 v12, 4.0, v12
	s_mov_b32 s12, exec_lo
; %bb.139:
	s_or_b32 exec_lo, exec_lo, s13
	s_delay_alu instid0(SALU_CYCLE_1)
	s_and_b32 s12, s12, exec_lo
.LBB226_140:
	s_and_not1_saveexec_b32 s2, s2
; %bb.141:
	v_dual_mul_f32 v12, 0x3e800000, v12 :: v_dual_mul_f32 v13, 0x3e800000, v13
	s_and_not1_b32 s12, s12, exec_lo
; %bb.142:
	s_or_b32 exec_lo, exec_lo, s2
	s_delay_alu instid0(VALU_DEP_1) | instskip(NEXT) | instid1(VALU_DEP_2)
	v_max_f32_e64 v4, |v13|, |v13|
	v_max_f32_e64 v6, |v12|, |v12|
	s_delay_alu instid0(VALU_DEP_1) | instskip(NEXT) | instid1(VALU_DEP_1)
	v_max_f32_e32 v4, v6, v4
	v_cvt_f64_f32_e32 v[6:7], v4
	s_delay_alu instid0(VALU_DEP_1) | instskip(NEXT) | instid1(VALU_DEP_1)
	v_frexp_exp_i32_f64_e32 v6, v[6:7]
	v_sub_nc_u32_e32 v7, 0, v6
	s_delay_alu instid0(VALU_DEP_1) | instskip(SKIP_1) | instid1(VALU_DEP_2)
	v_ldexp_f32 v15, |v13|, v7
	v_ldexp_f32 v7, |v12|, v7
	v_mul_f32_e32 v15, v15, v15
	v_cmp_neq_f32_e64 s2, 0x7f800000, v4
                                        ; implicit-def: $vgpr4
	s_delay_alu instid0(VALU_DEP_2) | instskip(NEXT) | instid1(VALU_DEP_1)
	v_fmac_f32_e32 v15, v7, v7
	v_sqrt_f32_e32 v7, v15
	s_waitcnt_depctr 0xfff
	v_ldexp_f32 v6, v7, v6
	s_delay_alu instid0(VALU_DEP_1)
	v_cndmask_b32_e64 v7, 0x7f800000, v6, s2
                                        ; implicit-def: $vgpr6
	s_mov_b32 s2, exec_lo
	v_cmpx_le_f32_e32 0, v12
	s_xor_b32 s13, exec_lo, s2
	s_cbranch_execz .LBB226_144
; %bb.143:
	v_add_f32_e32 v4, v12, v7
	s_delay_alu instid0(VALU_DEP_1) | instskip(NEXT) | instid1(VALU_DEP_1)
	v_mul_f32_e32 v4, 0.5, v4
	v_mul_f32_e32 v6, 0x4f800000, v4
	v_cmp_gt_f32_e32 vcc_lo, 0xf800000, v4
	s_delay_alu instid0(VALU_DEP_2) | instskip(NEXT) | instid1(VALU_DEP_1)
	v_cndmask_b32_e32 v4, v4, v6, vcc_lo
	v_sqrt_f32_e32 v6, v4
	s_waitcnt_depctr 0xfff
	v_add_nc_u32_e32 v7, -1, v6
	v_add_nc_u32_e32 v12, 1, v6
	s_delay_alu instid0(VALU_DEP_2) | instskip(NEXT) | instid1(VALU_DEP_2)
	v_fma_f32 v15, -v7, v6, v4
	v_fma_f32 v16, -v12, v6, v4
	s_delay_alu instid0(VALU_DEP_2) | instskip(NEXT) | instid1(VALU_DEP_1)
	v_cmp_ge_f32_e64 s2, 0, v15
	v_cndmask_b32_e64 v6, v6, v7, s2
	s_delay_alu instid0(VALU_DEP_3) | instskip(NEXT) | instid1(VALU_DEP_1)
	v_cmp_lt_f32_e64 s2, 0, v16
	v_cndmask_b32_e64 v6, v6, v12, s2
	s_delay_alu instid0(VALU_DEP_1) | instskip(NEXT) | instid1(VALU_DEP_1)
	v_mul_f32_e32 v7, 0x37800000, v6
	v_cndmask_b32_e32 v6, v6, v7, vcc_lo
	v_cmp_class_f32_e64 vcc_lo, v4, 0x260
	s_delay_alu instid0(VALU_DEP_2) | instskip(NEXT) | instid1(VALU_DEP_1)
	v_cndmask_b32_e32 v4, v6, v4, vcc_lo
	v_add_f32_e32 v6, v4, v4
	s_delay_alu instid0(VALU_DEP_1) | instskip(NEXT) | instid1(VALU_DEP_1)
	v_div_scale_f32 v7, null, v6, v6, v13
	v_rcp_f32_e32 v12, v7
	s_waitcnt_depctr 0xfff
	v_fma_f32 v15, -v7, v12, 1.0
	s_delay_alu instid0(VALU_DEP_1) | instskip(SKIP_1) | instid1(VALU_DEP_1)
	v_fmac_f32_e32 v12, v15, v12
	v_div_scale_f32 v15, vcc_lo, v13, v6, v13
	v_mul_f32_e32 v16, v15, v12
	s_delay_alu instid0(VALU_DEP_1) | instskip(NEXT) | instid1(VALU_DEP_1)
	v_fma_f32 v17, -v7, v16, v15
	v_fmac_f32_e32 v16, v17, v12
	s_delay_alu instid0(VALU_DEP_1) | instskip(NEXT) | instid1(VALU_DEP_1)
	v_fma_f32 v7, -v7, v16, v15
	v_div_fmas_f32 v7, v7, v12, v16
                                        ; implicit-def: $vgpr12
	s_delay_alu instid0(VALU_DEP_1)
	v_div_fixup_f32 v6, v7, v6, v13
                                        ; implicit-def: $vgpr7
	s_and_not1_saveexec_b32 s13, s13
	s_cbranch_execz .LBB226_146
	s_branch .LBB226_145
.LBB226_144:
	s_and_not1_saveexec_b32 s13, s13
	s_cbranch_execz .LBB226_146
.LBB226_145:
	v_sub_f32_e32 v4, v7, v12
	s_delay_alu instid0(VALU_DEP_1) | instskip(NEXT) | instid1(VALU_DEP_1)
	v_mul_f32_e32 v4, 0.5, v4
	v_mul_f32_e32 v6, 0x4f800000, v4
	v_cmp_gt_f32_e32 vcc_lo, 0xf800000, v4
	s_delay_alu instid0(VALU_DEP_2) | instskip(NEXT) | instid1(VALU_DEP_1)
	v_cndmask_b32_e32 v4, v4, v6, vcc_lo
	v_sqrt_f32_e32 v6, v4
	s_waitcnt_depctr 0xfff
	v_add_nc_u32_e32 v7, -1, v6
	v_add_nc_u32_e32 v12, 1, v6
	s_delay_alu instid0(VALU_DEP_2) | instskip(NEXT) | instid1(VALU_DEP_2)
	v_fma_f32 v15, -v7, v6, v4
	v_fma_f32 v16, -v12, v6, v4
	s_delay_alu instid0(VALU_DEP_2) | instskip(NEXT) | instid1(VALU_DEP_1)
	v_cmp_ge_f32_e64 s2, 0, v15
	v_cndmask_b32_e64 v6, v6, v7, s2
	s_delay_alu instid0(VALU_DEP_3) | instskip(NEXT) | instid1(VALU_DEP_1)
	v_cmp_lt_f32_e64 s2, 0, v16
	v_cndmask_b32_e64 v6, v6, v12, s2
	s_delay_alu instid0(VALU_DEP_1) | instskip(NEXT) | instid1(VALU_DEP_1)
	v_mul_f32_e32 v7, 0x37800000, v6
	v_cndmask_b32_e32 v6, v6, v7, vcc_lo
	v_cmp_class_f32_e64 vcc_lo, v4, 0x260
	s_delay_alu instid0(VALU_DEP_2) | instskip(NEXT) | instid1(VALU_DEP_1)
	v_cndmask_b32_e32 v6, v6, v4, vcc_lo
	v_dual_add_f32 v7, v6, v6 :: v_dual_and_b32 v4, 0x7fffffff, v13
	v_bfi_b32 v6, 0x7fffffff, v6, v13
	s_delay_alu instid0(VALU_DEP_2) | instskip(SKIP_1) | instid1(VALU_DEP_2)
	v_div_scale_f32 v12, null, v7, v7, v4
	v_div_scale_f32 v4, vcc_lo, v4, v7, v4
	v_rcp_f32_e32 v15, v12
	s_waitcnt_depctr 0xfff
	v_fma_f32 v16, -v12, v15, 1.0
	s_delay_alu instid0(VALU_DEP_1) | instskip(NEXT) | instid1(VALU_DEP_1)
	v_fmac_f32_e32 v15, v16, v15
	v_mul_f32_e32 v16, v4, v15
	s_delay_alu instid0(VALU_DEP_1) | instskip(NEXT) | instid1(VALU_DEP_1)
	v_fma_f32 v17, -v12, v16, v4
	v_fmac_f32_e32 v16, v17, v15
	s_delay_alu instid0(VALU_DEP_1) | instskip(NEXT) | instid1(VALU_DEP_1)
	v_fma_f32 v4, -v12, v16, v4
	v_div_fmas_f32 v4, v4, v15, v16
	s_delay_alu instid0(VALU_DEP_1)
	v_div_fixup_f32 v4, v4, v7, |v13|
.LBB226_146:
	s_or_b32 exec_lo, exec_lo, s13
                                        ; implicit-def: $vgpr12
	s_and_saveexec_b32 s2, s1
	s_delay_alu instid0(SALU_CYCLE_1)
	s_xor_b32 s1, exec_lo, s2
	s_cbranch_execz .LBB226_148
; %bb.147:
	v_mul_f32_e32 v7, 0.5, v4
	v_mul_f32_e32 v13, 0.5, v6
	s_delay_alu instid0(VALU_DEP_2) | instskip(NEXT) | instid1(VALU_DEP_2)
	v_cndmask_b32_e64 v12, v4, v7, s12
	v_cndmask_b32_e64 v13, v6, v13, s12
                                        ; implicit-def: $vgpr4
                                        ; implicit-def: $vgpr6
	s_and_not1_saveexec_b32 s1, s1
	s_cbranch_execnz .LBB226_149
	s_branch .LBB226_150
.LBB226_148:
	s_and_not1_saveexec_b32 s1, s1
.LBB226_149:
	v_dual_add_f32 v12, v4, v4 :: v_dual_add_f32 v13, v6, v6
.LBB226_150:
	s_or_b32 exec_lo, exec_lo, s1
.LBB226_151:
	s_and_not1_saveexec_b32 s1, s11
	s_cbranch_execz .LBB226_157
; %bb.152:
	s_delay_alu instid0(VALU_DEP_1)
	v_sub_f32_e32 v4, v13, v13
	s_mov_b32 s2, exec_lo
	v_cmpx_lt_i32_e32 -1, v12
	s_xor_b32 s2, exec_lo, s2
; %bb.153:
	s_delay_alu instid0(VALU_DEP_2)
	v_bfi_b32 v13, 0x7fffffff, v4, v13
                                        ; implicit-def: $vgpr4
; %bb.154:
	s_and_not1_saveexec_b32 s2, s2
; %bb.155:
	v_and_b32_e32 v4, 0x7fffffff, v4
	s_delay_alu instid0(VALU_DEP_2) | instskip(NEXT) | instid1(VALU_DEP_2)
	v_bfi_b32 v13, 0x7fffffff, v12, v13
	v_mov_b32_e32 v12, v4
; %bb.156:
	s_or_b32 exec_lo, exec_lo, s2
.LBB226_157:
	s_delay_alu instid0(SALU_CYCLE_1)
	s_or_b32 exec_lo, exec_lo, s1
.LBB226_158:
	s_and_not1_saveexec_b32 s1, s9
; %bb.159:
	v_sub_f32_e32 v4, v13, v13
	s_delay_alu instid0(VALU_DEP_1) | instskip(NEXT) | instid1(VALU_DEP_1)
	v_div_scale_f32 v6, vcc_lo, v4, v4, v4
	v_rcp_f32_e32 v7, v6
	s_waitcnt_depctr 0xfff
	v_fma_f32 v13, -v6, v7, 1.0
	s_delay_alu instid0(VALU_DEP_1) | instskip(NEXT) | instid1(VALU_DEP_1)
	v_fmac_f32_e32 v7, v13, v7
	v_mul_f32_e32 v13, v6, v7
	s_delay_alu instid0(VALU_DEP_1) | instskip(NEXT) | instid1(VALU_DEP_1)
	v_fma_f32 v15, -v6, v13, v6
	v_fmac_f32_e32 v13, v15, v7
	s_delay_alu instid0(VALU_DEP_1) | instskip(NEXT) | instid1(VALU_DEP_1)
	v_fma_f32 v6, -v6, v13, v6
	v_div_fmas_f32 v6, v6, v7, v13
	s_delay_alu instid0(VALU_DEP_1)
	v_div_fixup_f32 v13, v6, v4, v4
; %bb.160:
	s_or_b32 exec_lo, exec_lo, s1
	v_mov_b32_e32 v6, v12
.LBB226_161:
	s_or_b32 exec_lo, exec_lo, s7
.LBB226_162:
	s_delay_alu instid0(SALU_CYCLE_1)
	s_or_b32 exec_lo, exec_lo, s6
	v_mov_b32_e32 v7, v13
.LBB226_163:
	s_or_b32 exec_lo, exec_lo, s3
	v_mov_b32_e32 v4, 0
	s_mov_b32 s3, exec_lo
	v_cmpx_gt_i32_e64 s10, v14
	s_cbranch_execz .LBB226_195
; %bb.164:
	s_waitcnt vmcnt(0)
	v_cmp_neq_f32_e32 vcc_lo, 0, v10
	v_cmp_neq_f32_e64 s1, 0, v11
	v_mov_b32_e32 v4, 0
	s_delay_alu instid0(VALU_DEP_2) | instskip(NEXT) | instid1(SALU_CYCLE_1)
	s_or_b32 s1, vcc_lo, s1
	s_and_saveexec_b32 s6, s1
	s_cbranch_execz .LBB226_194
; %bb.165:
	v_mov_b32_e32 v4, 0x7f800000
	s_mov_b32 s7, exec_lo
	v_cmpx_neq_f32_e64 0x7f800000, |v11|
	s_cbranch_execz .LBB226_193
; %bb.166:
	s_mov_b32 s1, exec_lo
	v_cmpx_o_f32_e32 v10, v10
	s_xor_b32 s9, exec_lo, s1
	s_cbranch_execz .LBB226_190
; %bb.167:
	s_mov_b32 s2, exec_lo
	v_cmpx_neq_f32_e64 0x7f800000, |v10|
	s_xor_b32 s11, exec_lo, s2
	s_cbranch_execz .LBB226_183
; %bb.168:
	v_max_f32_e64 v4, |v10|, |v10|
	v_max_f32_e64 v5, |v11|, |v11|
                                        ; implicit-def: $sgpr12
	s_delay_alu instid0(VALU_DEP_1) | instskip(NEXT) | instid1(VALU_DEP_1)
	v_max_f32_e32 v4, v5, v4
	v_cmp_nle_f32_e64 s1, 0x7ed413cb, v4
	s_delay_alu instid0(VALU_DEP_1) | instskip(NEXT) | instid1(SALU_CYCLE_1)
	s_and_saveexec_b32 s2, s1
	s_xor_b32 s2, exec_lo, s2
	s_cbranch_execz .LBB226_172
; %bb.169:
	v_cmp_ge_f32_e64 s12, 0x1000000, |v10|
	v_cmp_ge_f32_e64 s13, 0x1000000, |v11|
	s_delay_alu instid0(VALU_DEP_1)
	s_and_b32 s14, s13, s12
	s_mov_b32 s12, 0
	s_and_saveexec_b32 s13, s14
; %bb.170:
	v_dual_mul_f32 v11, 4.0, v11 :: v_dual_mul_f32 v10, 4.0, v10
	s_mov_b32 s12, exec_lo
; %bb.171:
	s_or_b32 exec_lo, exec_lo, s13
	s_delay_alu instid0(SALU_CYCLE_1)
	s_and_b32 s12, s12, exec_lo
.LBB226_172:
	s_and_not1_saveexec_b32 s2, s2
; %bb.173:
	v_dual_mul_f32 v10, 0x3e800000, v10 :: v_dual_mul_f32 v11, 0x3e800000, v11
	s_and_not1_b32 s12, s12, exec_lo
; %bb.174:
	s_or_b32 exec_lo, exec_lo, s2
	s_delay_alu instid0(VALU_DEP_1) | instskip(NEXT) | instid1(VALU_DEP_2)
	v_max_f32_e64 v4, |v11|, |v11|
	v_max_f32_e64 v5, |v10|, |v10|
	s_delay_alu instid0(VALU_DEP_1) | instskip(NEXT) | instid1(VALU_DEP_1)
	v_max_f32_e32 v12, v5, v4
	v_cvt_f64_f32_e32 v[4:5], v12
	v_cmp_neq_f32_e64 s2, 0x7f800000, v12
	s_delay_alu instid0(VALU_DEP_2) | instskip(NEXT) | instid1(VALU_DEP_1)
	v_frexp_exp_i32_f64_e32 v4, v[4:5]
	v_sub_nc_u32_e32 v5, 0, v4
	s_delay_alu instid0(VALU_DEP_1) | instskip(SKIP_1) | instid1(VALU_DEP_2)
	v_ldexp_f32 v13, |v11|, v5
	v_ldexp_f32 v5, |v10|, v5
	v_mul_f32_e32 v13, v13, v13
	s_delay_alu instid0(VALU_DEP_1) | instskip(NEXT) | instid1(VALU_DEP_1)
	v_fmac_f32_e32 v13, v5, v5
	v_sqrt_f32_e32 v5, v13
	s_waitcnt_depctr 0xfff
	v_ldexp_f32 v4, v5, v4
                                        ; implicit-def: $vgpr5
	s_delay_alu instid0(VALU_DEP_1)
	v_cndmask_b32_e64 v12, 0x7f800000, v4, s2
                                        ; implicit-def: $vgpr4
	s_mov_b32 s2, exec_lo
	v_cmpx_le_f32_e32 0, v10
	s_xor_b32 s13, exec_lo, s2
	s_cbranch_execz .LBB226_176
; %bb.175:
	v_add_f32_e32 v4, v10, v12
	s_delay_alu instid0(VALU_DEP_1) | instskip(NEXT) | instid1(VALU_DEP_1)
	v_mul_f32_e32 v4, 0.5, v4
	v_mul_f32_e32 v5, 0x4f800000, v4
	v_cmp_gt_f32_e32 vcc_lo, 0xf800000, v4
	s_delay_alu instid0(VALU_DEP_2) | instskip(NEXT) | instid1(VALU_DEP_1)
	v_cndmask_b32_e32 v4, v4, v5, vcc_lo
	v_sqrt_f32_e32 v5, v4
	s_waitcnt_depctr 0xfff
	v_add_nc_u32_e32 v10, -1, v5
	v_add_nc_u32_e32 v12, 1, v5
	s_delay_alu instid0(VALU_DEP_2) | instskip(NEXT) | instid1(VALU_DEP_2)
	v_fma_f32 v13, -v10, v5, v4
	v_fma_f32 v15, -v12, v5, v4
	s_delay_alu instid0(VALU_DEP_2) | instskip(NEXT) | instid1(VALU_DEP_1)
	v_cmp_ge_f32_e64 s2, 0, v13
	v_cndmask_b32_e64 v5, v5, v10, s2
	s_delay_alu instid0(VALU_DEP_3) | instskip(NEXT) | instid1(VALU_DEP_1)
	v_cmp_lt_f32_e64 s2, 0, v15
	v_cndmask_b32_e64 v5, v5, v12, s2
	s_delay_alu instid0(VALU_DEP_1) | instskip(NEXT) | instid1(VALU_DEP_1)
	v_mul_f32_e32 v10, 0x37800000, v5
	v_cndmask_b32_e32 v5, v5, v10, vcc_lo
	v_cmp_class_f32_e64 vcc_lo, v4, 0x260
	s_delay_alu instid0(VALU_DEP_2) | instskip(NEXT) | instid1(VALU_DEP_1)
	v_cndmask_b32_e32 v4, v5, v4, vcc_lo
	v_add_f32_e32 v5, v4, v4
	s_delay_alu instid0(VALU_DEP_1) | instskip(NEXT) | instid1(VALU_DEP_1)
	v_div_scale_f32 v10, null, v5, v5, v11
	v_rcp_f32_e32 v12, v10
	s_waitcnt_depctr 0xfff
	v_fma_f32 v13, -v10, v12, 1.0
	s_delay_alu instid0(VALU_DEP_1) | instskip(SKIP_1) | instid1(VALU_DEP_1)
	v_fmac_f32_e32 v12, v13, v12
	v_div_scale_f32 v13, vcc_lo, v11, v5, v11
	v_mul_f32_e32 v15, v13, v12
	s_delay_alu instid0(VALU_DEP_1) | instskip(NEXT) | instid1(VALU_DEP_1)
	v_fma_f32 v16, -v10, v15, v13
	v_fmac_f32_e32 v15, v16, v12
	s_delay_alu instid0(VALU_DEP_1) | instskip(NEXT) | instid1(VALU_DEP_1)
	v_fma_f32 v10, -v10, v15, v13
	v_div_fmas_f32 v10, v10, v12, v15
                                        ; implicit-def: $vgpr12
	s_delay_alu instid0(VALU_DEP_1)
	v_div_fixup_f32 v5, v10, v5, v11
                                        ; implicit-def: $vgpr10
	s_and_not1_saveexec_b32 s13, s13
	s_cbranch_execz .LBB226_178
	s_branch .LBB226_177
.LBB226_176:
	s_and_not1_saveexec_b32 s13, s13
	s_cbranch_execz .LBB226_178
.LBB226_177:
	v_sub_f32_e32 v4, v12, v10
	s_delay_alu instid0(VALU_DEP_1) | instskip(NEXT) | instid1(VALU_DEP_1)
	v_mul_f32_e32 v4, 0.5, v4
	v_mul_f32_e32 v5, 0x4f800000, v4
	v_cmp_gt_f32_e32 vcc_lo, 0xf800000, v4
	s_delay_alu instid0(VALU_DEP_2) | instskip(NEXT) | instid1(VALU_DEP_1)
	v_cndmask_b32_e32 v4, v4, v5, vcc_lo
	v_sqrt_f32_e32 v5, v4
	s_waitcnt_depctr 0xfff
	v_add_nc_u32_e32 v10, -1, v5
	v_add_nc_u32_e32 v12, 1, v5
	s_delay_alu instid0(VALU_DEP_2) | instskip(NEXT) | instid1(VALU_DEP_2)
	v_fma_f32 v13, -v10, v5, v4
	v_fma_f32 v15, -v12, v5, v4
	s_delay_alu instid0(VALU_DEP_2) | instskip(NEXT) | instid1(VALU_DEP_1)
	v_cmp_ge_f32_e64 s2, 0, v13
	v_cndmask_b32_e64 v5, v5, v10, s2
	s_delay_alu instid0(VALU_DEP_3) | instskip(NEXT) | instid1(VALU_DEP_1)
	v_cmp_lt_f32_e64 s2, 0, v15
	v_cndmask_b32_e64 v5, v5, v12, s2
	s_delay_alu instid0(VALU_DEP_1) | instskip(NEXT) | instid1(VALU_DEP_1)
	v_mul_f32_e32 v10, 0x37800000, v5
	v_cndmask_b32_e32 v5, v5, v10, vcc_lo
	v_cmp_class_f32_e64 vcc_lo, v4, 0x260
	s_delay_alu instid0(VALU_DEP_2) | instskip(NEXT) | instid1(VALU_DEP_1)
	v_dual_cndmask_b32 v5, v5, v4 :: v_dual_and_b32 v4, 0x7fffffff, v11
	v_add_f32_e32 v10, v5, v5
	v_bfi_b32 v5, 0x7fffffff, v5, v11
	s_delay_alu instid0(VALU_DEP_2) | instskip(SKIP_1) | instid1(VALU_DEP_2)
	v_div_scale_f32 v12, null, v10, v10, v4
	v_div_scale_f32 v4, vcc_lo, v4, v10, v4
	v_rcp_f32_e32 v13, v12
	s_waitcnt_depctr 0xfff
	v_fma_f32 v15, -v12, v13, 1.0
	s_delay_alu instid0(VALU_DEP_1) | instskip(NEXT) | instid1(VALU_DEP_1)
	v_fmac_f32_e32 v13, v15, v13
	v_mul_f32_e32 v15, v4, v13
	s_delay_alu instid0(VALU_DEP_1) | instskip(NEXT) | instid1(VALU_DEP_1)
	v_fma_f32 v16, -v12, v15, v4
	v_fmac_f32_e32 v15, v16, v13
	s_delay_alu instid0(VALU_DEP_1) | instskip(NEXT) | instid1(VALU_DEP_1)
	v_fma_f32 v4, -v12, v15, v4
	v_div_fmas_f32 v4, v4, v13, v15
	s_delay_alu instid0(VALU_DEP_1)
	v_div_fixup_f32 v4, v4, v10, |v11|
.LBB226_178:
	s_or_b32 exec_lo, exec_lo, s13
                                        ; implicit-def: $vgpr10
	s_and_saveexec_b32 s2, s1
	s_delay_alu instid0(SALU_CYCLE_1)
	s_xor_b32 s1, exec_lo, s2
	s_cbranch_execz .LBB226_180
; %bb.179:
	v_dual_mul_f32 v10, 0.5, v4 :: v_dual_mul_f32 v11, 0.5, v5
	s_delay_alu instid0(VALU_DEP_1) | instskip(NEXT) | instid1(VALU_DEP_2)
	v_cndmask_b32_e64 v10, v4, v10, s12
	v_cndmask_b32_e64 v11, v5, v11, s12
                                        ; implicit-def: $vgpr4
                                        ; implicit-def: $vgpr5
	s_and_not1_saveexec_b32 s1, s1
	s_cbranch_execnz .LBB226_181
	s_branch .LBB226_182
.LBB226_180:
	s_and_not1_saveexec_b32 s1, s1
.LBB226_181:
	v_dual_add_f32 v10, v4, v4 :: v_dual_add_f32 v11, v5, v5
.LBB226_182:
	s_or_b32 exec_lo, exec_lo, s1
.LBB226_183:
	s_and_not1_saveexec_b32 s1, s11
	s_cbranch_execz .LBB226_189
; %bb.184:
	s_delay_alu instid0(VALU_DEP_1)
	v_sub_f32_e32 v4, v11, v11
	s_mov_b32 s2, exec_lo
	v_cmpx_lt_i32_e32 -1, v10
	s_xor_b32 s2, exec_lo, s2
; %bb.185:
	s_delay_alu instid0(VALU_DEP_2)
	v_bfi_b32 v11, 0x7fffffff, v4, v11
                                        ; implicit-def: $vgpr4
; %bb.186:
	s_and_not1_saveexec_b32 s2, s2
; %bb.187:
	v_and_b32_e32 v4, 0x7fffffff, v4
	s_delay_alu instid0(VALU_DEP_2) | instskip(NEXT) | instid1(VALU_DEP_2)
	v_bfi_b32 v11, 0x7fffffff, v10, v11
	v_mov_b32_e32 v10, v4
; %bb.188:
	s_or_b32 exec_lo, exec_lo, s2
.LBB226_189:
	s_delay_alu instid0(SALU_CYCLE_1)
	s_or_b32 exec_lo, exec_lo, s1
.LBB226_190:
	s_and_not1_saveexec_b32 s1, s9
; %bb.191:
	v_sub_f32_e32 v4, v11, v11
	s_delay_alu instid0(VALU_DEP_1) | instskip(NEXT) | instid1(VALU_DEP_1)
	v_div_scale_f32 v5, vcc_lo, v4, v4, v4
	v_rcp_f32_e32 v11, v5
	s_waitcnt_depctr 0xfff
	v_fma_f32 v12, -v5, v11, 1.0
	s_delay_alu instid0(VALU_DEP_1) | instskip(NEXT) | instid1(VALU_DEP_1)
	v_fmac_f32_e32 v11, v12, v11
	v_mul_f32_e32 v12, v5, v11
	s_delay_alu instid0(VALU_DEP_1) | instskip(NEXT) | instid1(VALU_DEP_1)
	v_fma_f32 v13, -v5, v12, v5
	v_fmac_f32_e32 v12, v13, v11
	s_delay_alu instid0(VALU_DEP_1) | instskip(NEXT) | instid1(VALU_DEP_1)
	v_fma_f32 v5, -v5, v12, v5
	v_div_fmas_f32 v5, v5, v11, v12
	s_delay_alu instid0(VALU_DEP_1)
	v_div_fixup_f32 v11, v5, v4, v4
; %bb.192:
	s_or_b32 exec_lo, exec_lo, s1
	v_mov_b32_e32 v4, v10
.LBB226_193:
	s_or_b32 exec_lo, exec_lo, s7
.LBB226_194:
	s_delay_alu instid0(SALU_CYCLE_1)
	s_or_b32 exec_lo, exec_lo, s6
	v_mov_b32_e32 v5, v11
.LBB226_195:
	s_or_b32 exec_lo, exec_lo, s3
	s_waitcnt vmcnt(0)
	v_or_b32_e32 v11, 0x200, v0
	v_mov_b32_e32 v10, 0
	s_delay_alu instid0(VALU_DEP_2)
	v_cmp_gt_i32_e32 vcc_lo, s10, v11
	v_mov_b32_e32 v11, 0
	s_and_saveexec_b32 s3, vcc_lo
	s_cbranch_execz .LBB226_227
; %bb.196:
	v_cmp_neq_f32_e32 vcc_lo, 0, v8
	v_cmp_neq_f32_e64 s1, 0, v9
	v_mov_b32_e32 v10, 0
	s_delay_alu instid0(VALU_DEP_2) | instskip(NEXT) | instid1(SALU_CYCLE_1)
	s_or_b32 s1, vcc_lo, s1
	s_and_saveexec_b32 s6, s1
	s_cbranch_execz .LBB226_226
; %bb.197:
	v_mov_b32_e32 v10, 0x7f800000
	s_mov_b32 s7, exec_lo
	v_cmpx_neq_f32_e64 0x7f800000, |v9|
	s_cbranch_execz .LBB226_225
; %bb.198:
	s_mov_b32 s1, exec_lo
	v_cmpx_o_f32_e32 v8, v8
	s_xor_b32 s9, exec_lo, s1
	s_cbranch_execz .LBB226_222
; %bb.199:
	s_mov_b32 s2, exec_lo
	v_cmpx_neq_f32_e64 0x7f800000, |v8|
	s_xor_b32 s11, exec_lo, s2
	s_cbranch_execz .LBB226_215
; %bb.200:
	v_max_f32_e64 v10, |v8|, |v8|
	v_max_f32_e64 v11, |v9|, |v9|
                                        ; implicit-def: $sgpr12
	s_delay_alu instid0(VALU_DEP_1) | instskip(NEXT) | instid1(VALU_DEP_1)
	v_max_f32_e32 v10, v11, v10
	v_cmp_nle_f32_e64 s1, 0x7ed413cb, v10
	s_delay_alu instid0(VALU_DEP_1) | instskip(NEXT) | instid1(SALU_CYCLE_1)
	s_and_saveexec_b32 s2, s1
	s_xor_b32 s2, exec_lo, s2
	s_cbranch_execz .LBB226_204
; %bb.201:
	v_cmp_ge_f32_e64 s12, 0x1000000, |v8|
	v_cmp_ge_f32_e64 s13, 0x1000000, |v9|
	s_delay_alu instid0(VALU_DEP_1)
	s_and_b32 s14, s13, s12
	s_mov_b32 s12, 0
	s_and_saveexec_b32 s13, s14
; %bb.202:
	v_dual_mul_f32 v9, 4.0, v9 :: v_dual_mul_f32 v8, 4.0, v8
	s_mov_b32 s12, exec_lo
; %bb.203:
	s_or_b32 exec_lo, exec_lo, s13
	s_delay_alu instid0(SALU_CYCLE_1)
	s_and_b32 s12, s12, exec_lo
.LBB226_204:
	s_and_not1_saveexec_b32 s2, s2
; %bb.205:
	v_dual_mul_f32 v8, 0x3e800000, v8 :: v_dual_mul_f32 v9, 0x3e800000, v9
	s_and_not1_b32 s12, s12, exec_lo
; %bb.206:
	s_or_b32 exec_lo, exec_lo, s2
	s_delay_alu instid0(VALU_DEP_1) | instskip(NEXT) | instid1(VALU_DEP_2)
	v_max_f32_e64 v10, |v9|, |v9|
	v_max_f32_e64 v11, |v8|, |v8|
	s_delay_alu instid0(VALU_DEP_1) | instskip(NEXT) | instid1(VALU_DEP_1)
	v_max_f32_e32 v12, v11, v10
	v_cvt_f64_f32_e32 v[10:11], v12
	s_delay_alu instid0(VALU_DEP_1) | instskip(NEXT) | instid1(VALU_DEP_1)
	v_frexp_exp_i32_f64_e32 v10, v[10:11]
	v_sub_nc_u32_e32 v11, 0, v10
	s_delay_alu instid0(VALU_DEP_1) | instskip(SKIP_1) | instid1(VALU_DEP_2)
	v_ldexp_f32 v13, |v9|, v11
	v_ldexp_f32 v11, |v8|, v11
	v_mul_f32_e32 v13, v13, v13
	v_cmp_neq_f32_e64 s2, 0x7f800000, v12
	s_delay_alu instid0(VALU_DEP_2) | instskip(NEXT) | instid1(VALU_DEP_1)
	v_fmac_f32_e32 v13, v11, v11
	v_sqrt_f32_e32 v11, v13
	s_waitcnt_depctr 0xfff
	v_ldexp_f32 v10, v11, v10
                                        ; implicit-def: $vgpr11
	s_delay_alu instid0(VALU_DEP_1)
	v_cndmask_b32_e64 v12, 0x7f800000, v10, s2
                                        ; implicit-def: $vgpr10
	s_mov_b32 s2, exec_lo
	v_cmpx_le_f32_e32 0, v8
	s_xor_b32 s13, exec_lo, s2
	s_cbranch_execz .LBB226_208
; %bb.207:
	v_add_f32_e32 v8, v8, v12
	s_delay_alu instid0(VALU_DEP_1) | instskip(NEXT) | instid1(VALU_DEP_1)
	v_mul_f32_e32 v8, 0.5, v8
	v_mul_f32_e32 v10, 0x4f800000, v8
	v_cmp_gt_f32_e32 vcc_lo, 0xf800000, v8
	s_delay_alu instid0(VALU_DEP_2) | instskip(NEXT) | instid1(VALU_DEP_1)
	v_cndmask_b32_e32 v8, v8, v10, vcc_lo
	v_sqrt_f32_e32 v10, v8
	s_waitcnt_depctr 0xfff
	v_add_nc_u32_e32 v11, -1, v10
	v_add_nc_u32_e32 v12, 1, v10
	s_delay_alu instid0(VALU_DEP_2) | instskip(NEXT) | instid1(VALU_DEP_2)
	v_fma_f32 v13, -v11, v10, v8
	v_fma_f32 v15, -v12, v10, v8
	s_delay_alu instid0(VALU_DEP_2) | instskip(NEXT) | instid1(VALU_DEP_1)
	v_cmp_ge_f32_e64 s2, 0, v13
	v_cndmask_b32_e64 v10, v10, v11, s2
	s_delay_alu instid0(VALU_DEP_3) | instskip(NEXT) | instid1(VALU_DEP_1)
	v_cmp_lt_f32_e64 s2, 0, v15
	v_cndmask_b32_e64 v10, v10, v12, s2
	s_delay_alu instid0(VALU_DEP_1) | instskip(NEXT) | instid1(VALU_DEP_1)
	v_mul_f32_e32 v11, 0x37800000, v10
	v_cndmask_b32_e32 v10, v10, v11, vcc_lo
	v_cmp_class_f32_e64 vcc_lo, v8, 0x260
	s_delay_alu instid0(VALU_DEP_2) | instskip(NEXT) | instid1(VALU_DEP_1)
	v_cndmask_b32_e32 v10, v10, v8, vcc_lo
	v_add_f32_e32 v8, v10, v10
	s_delay_alu instid0(VALU_DEP_1) | instskip(NEXT) | instid1(VALU_DEP_1)
	v_div_scale_f32 v11, null, v8, v8, v9
	v_rcp_f32_e32 v12, v11
	s_waitcnt_depctr 0xfff
	v_fma_f32 v13, -v11, v12, 1.0
	s_delay_alu instid0(VALU_DEP_1) | instskip(SKIP_1) | instid1(VALU_DEP_1)
	v_fmac_f32_e32 v12, v13, v12
	v_div_scale_f32 v13, vcc_lo, v9, v8, v9
	v_mul_f32_e32 v15, v13, v12
	s_delay_alu instid0(VALU_DEP_1) | instskip(NEXT) | instid1(VALU_DEP_1)
	v_fma_f32 v16, -v11, v15, v13
	v_fmac_f32_e32 v15, v16, v12
	s_delay_alu instid0(VALU_DEP_1) | instskip(NEXT) | instid1(VALU_DEP_1)
	v_fma_f32 v11, -v11, v15, v13
	v_div_fmas_f32 v11, v11, v12, v15
                                        ; implicit-def: $vgpr12
	s_delay_alu instid0(VALU_DEP_1)
	v_div_fixup_f32 v11, v11, v8, v9
                                        ; implicit-def: $vgpr8
	s_and_not1_saveexec_b32 s13, s13
	s_cbranch_execz .LBB226_210
	s_branch .LBB226_209
.LBB226_208:
	s_and_not1_saveexec_b32 s13, s13
	s_cbranch_execz .LBB226_210
.LBB226_209:
	v_sub_f32_e32 v8, v12, v8
	s_delay_alu instid0(VALU_DEP_1) | instskip(NEXT) | instid1(VALU_DEP_1)
	v_mul_f32_e32 v8, 0.5, v8
	v_mul_f32_e32 v10, 0x4f800000, v8
	v_cmp_gt_f32_e32 vcc_lo, 0xf800000, v8
	s_delay_alu instid0(VALU_DEP_2) | instskip(NEXT) | instid1(VALU_DEP_1)
	v_cndmask_b32_e32 v8, v8, v10, vcc_lo
	v_sqrt_f32_e32 v10, v8
	s_waitcnt_depctr 0xfff
	v_add_nc_u32_e32 v11, -1, v10
	v_add_nc_u32_e32 v12, 1, v10
	s_delay_alu instid0(VALU_DEP_2) | instskip(NEXT) | instid1(VALU_DEP_2)
	v_fma_f32 v13, -v11, v10, v8
	v_fma_f32 v15, -v12, v10, v8
	s_delay_alu instid0(VALU_DEP_2) | instskip(NEXT) | instid1(VALU_DEP_1)
	v_cmp_ge_f32_e64 s2, 0, v13
	v_cndmask_b32_e64 v10, v10, v11, s2
	s_delay_alu instid0(VALU_DEP_3) | instskip(NEXT) | instid1(VALU_DEP_1)
	v_cmp_lt_f32_e64 s2, 0, v15
	v_cndmask_b32_e64 v10, v10, v12, s2
	s_delay_alu instid0(VALU_DEP_1) | instskip(NEXT) | instid1(VALU_DEP_1)
	v_mul_f32_e32 v11, 0x37800000, v10
	v_cndmask_b32_e32 v10, v10, v11, vcc_lo
	v_cmp_class_f32_e64 vcc_lo, v8, 0x260
	s_delay_alu instid0(VALU_DEP_2) | instskip(NEXT) | instid1(VALU_DEP_1)
	v_cndmask_b32_e32 v8, v10, v8, vcc_lo
	v_dual_add_f32 v11, v8, v8 :: v_dual_and_b32 v10, 0x7fffffff, v9
	s_delay_alu instid0(VALU_DEP_1) | instskip(SKIP_1) | instid1(VALU_DEP_2)
	v_div_scale_f32 v12, null, v11, v11, v10
	v_div_scale_f32 v10, vcc_lo, v10, v11, v10
	v_rcp_f32_e32 v13, v12
	s_waitcnt_depctr 0xfff
	v_fma_f32 v15, -v12, v13, 1.0
	s_delay_alu instid0(VALU_DEP_1) | instskip(NEXT) | instid1(VALU_DEP_1)
	v_fmac_f32_e32 v13, v15, v13
	v_mul_f32_e32 v15, v10, v13
	s_delay_alu instid0(VALU_DEP_1) | instskip(NEXT) | instid1(VALU_DEP_1)
	v_fma_f32 v16, -v12, v15, v10
	v_fmac_f32_e32 v15, v16, v13
	s_delay_alu instid0(VALU_DEP_1) | instskip(NEXT) | instid1(VALU_DEP_1)
	v_fma_f32 v10, -v12, v15, v10
	v_div_fmas_f32 v10, v10, v13, v15
	s_delay_alu instid0(VALU_DEP_1)
	v_div_fixup_f32 v10, v10, v11, |v9|
	v_bfi_b32 v11, 0x7fffffff, v8, v9
.LBB226_210:
	s_or_b32 exec_lo, exec_lo, s13
                                        ; implicit-def: $vgpr9
	s_and_saveexec_b32 s2, s1
	s_delay_alu instid0(SALU_CYCLE_1)
	s_xor_b32 s1, exec_lo, s2
	s_cbranch_execz .LBB226_212
; %bb.211:
	v_dual_mul_f32 v8, 0.5, v10 :: v_dual_mul_f32 v9, 0.5, v11
	s_delay_alu instid0(VALU_DEP_1) | instskip(NEXT) | instid1(VALU_DEP_2)
	v_cndmask_b32_e64 v8, v10, v8, s12
	v_cndmask_b32_e64 v9, v11, v9, s12
                                        ; implicit-def: $vgpr10
                                        ; implicit-def: $vgpr11
	s_and_not1_saveexec_b32 s1, s1
	s_cbranch_execnz .LBB226_213
	s_branch .LBB226_214
.LBB226_212:
	s_and_not1_saveexec_b32 s1, s1
.LBB226_213:
	v_dual_add_f32 v8, v10, v10 :: v_dual_add_f32 v9, v11, v11
.LBB226_214:
	s_or_b32 exec_lo, exec_lo, s1
.LBB226_215:
	s_and_not1_saveexec_b32 s1, s11
	s_cbranch_execz .LBB226_221
; %bb.216:
	s_delay_alu instid0(VALU_DEP_1)
	v_sub_f32_e32 v10, v9, v9
	s_mov_b32 s2, exec_lo
	v_cmpx_lt_i32_e32 -1, v8
	s_xor_b32 s2, exec_lo, s2
; %bb.217:
	s_delay_alu instid0(VALU_DEP_2)
	v_bfi_b32 v9, 0x7fffffff, v10, v9
                                        ; implicit-def: $vgpr10
; %bb.218:
	s_and_not1_saveexec_b32 s2, s2
; %bb.219:
	v_and_b32_e32 v10, 0x7fffffff, v10
	s_delay_alu instid0(VALU_DEP_2) | instskip(NEXT) | instid1(VALU_DEP_2)
	v_bfi_b32 v9, 0x7fffffff, v8, v9
	v_mov_b32_e32 v8, v10
; %bb.220:
	s_or_b32 exec_lo, exec_lo, s2
.LBB226_221:
	s_delay_alu instid0(SALU_CYCLE_1)
	s_or_b32 exec_lo, exec_lo, s1
.LBB226_222:
	s_and_not1_saveexec_b32 s1, s9
; %bb.223:
	v_sub_f32_e32 v9, v9, v9
	s_delay_alu instid0(VALU_DEP_1) | instskip(NEXT) | instid1(VALU_DEP_1)
	v_div_scale_f32 v10, vcc_lo, v9, v9, v9
	v_rcp_f32_e32 v11, v10
	s_waitcnt_depctr 0xfff
	v_fma_f32 v12, -v10, v11, 1.0
	s_delay_alu instid0(VALU_DEP_1) | instskip(NEXT) | instid1(VALU_DEP_1)
	v_fmac_f32_e32 v11, v12, v11
	v_mul_f32_e32 v12, v10, v11
	s_delay_alu instid0(VALU_DEP_1) | instskip(NEXT) | instid1(VALU_DEP_1)
	v_fma_f32 v13, -v10, v12, v10
	v_fmac_f32_e32 v12, v13, v11
	s_delay_alu instid0(VALU_DEP_1) | instskip(NEXT) | instid1(VALU_DEP_1)
	v_fma_f32 v10, -v10, v12, v10
	v_div_fmas_f32 v10, v10, v11, v12
	s_delay_alu instid0(VALU_DEP_1)
	v_div_fixup_f32 v9, v10, v9, v9
; %bb.224:
	s_or_b32 exec_lo, exec_lo, s1
	v_mov_b32_e32 v10, v8
.LBB226_225:
	s_or_b32 exec_lo, exec_lo, s7
.LBB226_226:
	s_delay_alu instid0(SALU_CYCLE_1)
	s_or_b32 exec_lo, exec_lo, s6
	v_mov_b32_e32 v11, v9
.LBB226_227:
	s_or_b32 exec_lo, exec_lo, s3
	v_or_b32_e32 v9, 0x300, v0
	v_mov_b32_e32 v8, 0
	s_delay_alu instid0(VALU_DEP_2)
	v_cmp_gt_i32_e32 vcc_lo, s10, v9
	v_mov_b32_e32 v9, 0
	s_and_saveexec_b32 s3, vcc_lo
	s_cbranch_execz .LBB226_240
; %bb.228:
	v_cmp_neq_f32_e32 vcc_lo, 0, v2
	v_cmp_neq_f32_e64 s1, 0, v3
	v_mov_b32_e32 v8, 0
	s_delay_alu instid0(VALU_DEP_2) | instskip(NEXT) | instid1(SALU_CYCLE_1)
	s_or_b32 s1, vcc_lo, s1
	s_and_saveexec_b32 s6, s1
	s_cbranch_execz .LBB226_262
; %bb.229:
	v_mov_b32_e32 v8, 0x7f800000
	s_mov_b32 s7, exec_lo
	v_cmpx_neq_f32_e64 0x7f800000, |v3|
	s_cbranch_execz .LBB226_261
; %bb.230:
	s_mov_b32 s1, exec_lo
	v_cmpx_o_f32_e32 v2, v2
	s_xor_b32 s9, exec_lo, s1
	s_cbranch_execz .LBB226_258
; %bb.231:
	s_mov_b32 s2, exec_lo
	v_cmpx_neq_f32_e64 0x7f800000, |v2|
	s_xor_b32 s11, exec_lo, s2
	s_cbranch_execz .LBB226_251
; %bb.232:
	v_max_f32_e64 v8, |v2|, |v2|
	v_max_f32_e64 v9, |v3|, |v3|
                                        ; implicit-def: $sgpr12
	s_delay_alu instid0(VALU_DEP_1) | instskip(NEXT) | instid1(VALU_DEP_1)
	v_max_f32_e32 v8, v9, v8
	v_cmp_nle_f32_e64 s1, 0x7ed413cb, v8
	s_delay_alu instid0(VALU_DEP_1) | instskip(NEXT) | instid1(SALU_CYCLE_1)
	s_and_saveexec_b32 s2, s1
	s_xor_b32 s2, exec_lo, s2
	s_cbranch_execz .LBB226_236
; %bb.233:
	v_cmp_ge_f32_e64 s12, 0x1000000, |v2|
	v_cmp_ge_f32_e64 s13, 0x1000000, |v3|
	s_delay_alu instid0(VALU_DEP_1)
	s_and_b32 s14, s13, s12
	s_mov_b32 s12, 0
	s_and_saveexec_b32 s13, s14
; %bb.234:
	v_dual_mul_f32 v3, 4.0, v3 :: v_dual_mul_f32 v2, 4.0, v2
	s_mov_b32 s12, exec_lo
; %bb.235:
	s_or_b32 exec_lo, exec_lo, s13
	s_delay_alu instid0(SALU_CYCLE_1)
	s_and_b32 s12, s12, exec_lo
.LBB226_236:
	s_and_not1_saveexec_b32 s2, s2
; %bb.237:
	v_dual_mul_f32 v2, 0x3e800000, v2 :: v_dual_mul_f32 v3, 0x3e800000, v3
	s_and_not1_b32 s12, s12, exec_lo
; %bb.238:
	s_or_b32 exec_lo, exec_lo, s2
	s_delay_alu instid0(VALU_DEP_1) | instskip(NEXT) | instid1(VALU_DEP_2)
	v_max_f32_e64 v8, |v3|, |v3|
	v_max_f32_e64 v9, |v2|, |v2|
	s_delay_alu instid0(VALU_DEP_1) | instskip(NEXT) | instid1(VALU_DEP_1)
	v_max_f32_e32 v12, v9, v8
	v_cvt_f64_f32_e32 v[8:9], v12
	v_cmp_neq_f32_e64 s2, 0x7f800000, v12
	s_delay_alu instid0(VALU_DEP_2) | instskip(NEXT) | instid1(VALU_DEP_1)
	v_frexp_exp_i32_f64_e32 v8, v[8:9]
	v_sub_nc_u32_e32 v9, 0, v8
	s_delay_alu instid0(VALU_DEP_1) | instskip(SKIP_1) | instid1(VALU_DEP_2)
	v_ldexp_f32 v13, |v3|, v9
	v_ldexp_f32 v9, |v2|, v9
	v_mul_f32_e32 v13, v13, v13
	s_delay_alu instid0(VALU_DEP_1) | instskip(NEXT) | instid1(VALU_DEP_1)
	v_fmac_f32_e32 v13, v9, v9
	v_sqrt_f32_e32 v9, v13
	s_waitcnt_depctr 0xfff
	v_ldexp_f32 v8, v9, v8
                                        ; implicit-def: $vgpr9
	s_delay_alu instid0(VALU_DEP_1)
	v_cndmask_b32_e64 v12, 0x7f800000, v8, s2
                                        ; implicit-def: $vgpr8
	s_mov_b32 s2, exec_lo
	v_cmpx_le_f32_e32 0, v2
	s_xor_b32 s13, exec_lo, s2
	s_cbranch_execz .LBB226_244
; %bb.239:
	v_add_f32_e32 v2, v2, v12
	s_delay_alu instid0(VALU_DEP_1) | instskip(NEXT) | instid1(VALU_DEP_1)
	v_mul_f32_e32 v2, 0.5, v2
	v_mul_f32_e32 v8, 0x4f800000, v2
	v_cmp_gt_f32_e32 vcc_lo, 0xf800000, v2
	s_delay_alu instid0(VALU_DEP_2) | instskip(NEXT) | instid1(VALU_DEP_1)
	v_cndmask_b32_e32 v2, v2, v8, vcc_lo
	v_sqrt_f32_e32 v8, v2
	s_waitcnt_depctr 0xfff
	v_add_nc_u32_e32 v9, -1, v8
	v_add_nc_u32_e32 v12, 1, v8
	s_delay_alu instid0(VALU_DEP_2) | instskip(NEXT) | instid1(VALU_DEP_2)
	v_fma_f32 v13, -v9, v8, v2
	v_fma_f32 v15, -v12, v8, v2
	s_delay_alu instid0(VALU_DEP_2) | instskip(NEXT) | instid1(VALU_DEP_1)
	v_cmp_ge_f32_e64 s2, 0, v13
	v_cndmask_b32_e64 v8, v8, v9, s2
	s_delay_alu instid0(VALU_DEP_3) | instskip(NEXT) | instid1(VALU_DEP_1)
	v_cmp_lt_f32_e64 s2, 0, v15
	v_cndmask_b32_e64 v8, v8, v12, s2
	s_delay_alu instid0(VALU_DEP_1) | instskip(NEXT) | instid1(VALU_DEP_1)
	v_mul_f32_e32 v9, 0x37800000, v8
	v_cndmask_b32_e32 v8, v8, v9, vcc_lo
	v_cmp_class_f32_e64 vcc_lo, v2, 0x260
	s_delay_alu instid0(VALU_DEP_2) | instskip(NEXT) | instid1(VALU_DEP_1)
	v_cndmask_b32_e32 v8, v8, v2, vcc_lo
	v_add_f32_e32 v2, v8, v8
	s_delay_alu instid0(VALU_DEP_1) | instskip(NEXT) | instid1(VALU_DEP_1)
	v_div_scale_f32 v9, null, v2, v2, v3
	v_rcp_f32_e32 v12, v9
	s_waitcnt_depctr 0xfff
	v_fma_f32 v13, -v9, v12, 1.0
	s_delay_alu instid0(VALU_DEP_1) | instskip(SKIP_1) | instid1(VALU_DEP_1)
	v_fmac_f32_e32 v12, v13, v12
	v_div_scale_f32 v13, vcc_lo, v3, v2, v3
	v_mul_f32_e32 v15, v13, v12
	s_delay_alu instid0(VALU_DEP_1) | instskip(NEXT) | instid1(VALU_DEP_1)
	v_fma_f32 v16, -v9, v15, v13
	v_fmac_f32_e32 v15, v16, v12
	s_delay_alu instid0(VALU_DEP_1) | instskip(NEXT) | instid1(VALU_DEP_1)
	v_fma_f32 v9, -v9, v15, v13
	v_div_fmas_f32 v9, v9, v12, v15
                                        ; implicit-def: $vgpr12
	s_delay_alu instid0(VALU_DEP_1)
	v_div_fixup_f32 v9, v9, v2, v3
                                        ; implicit-def: $vgpr2
	s_and_not1_saveexec_b32 s13, s13
	s_cbranch_execz .LBB226_246
	s_branch .LBB226_245
.LBB226_240:
	s_or_b32 exec_lo, exec_lo, s3
	s_and_saveexec_b32 s1, s0
	s_delay_alu instid0(SALU_CYCLE_1)
	s_xor_b32 s0, exec_lo, s1
	s_cbranch_execz .LBB226_263
.LBB226_241:
	v_mov_b32_e32 v2, 0
	s_delay_alu instid0(VALU_DEP_1) | instskip(NEXT) | instid1(VALU_DEP_1)
	v_lshlrev_b64 v[0:1], 3, v[1:2]
	v_add_co_u32 v2, vcc_lo, s4, v0
	s_delay_alu instid0(VALU_DEP_2) | instskip(SKIP_3) | instid1(SALU_CYCLE_1)
	v_add_co_ci_u32_e32 v3, vcc_lo, s5, v1, vcc_lo
	v_mov_b32_e32 v0, v14
	global_store_b64 v[2:3], v[6:7], off
	s_or_b32 exec_lo, exec_lo, s0
	s_mov_b32 s0, exec_lo
	v_cmpx_gt_i32_e64 s10, v0
	s_cbranch_execnz .LBB226_264
.LBB226_242:
	s_or_b32 exec_lo, exec_lo, s0
	s_delay_alu instid0(SALU_CYCLE_1)
	s_mov_b32 s0, exec_lo
	v_cmpx_gt_i32_e64 s10, v0
	s_cbranch_execz .LBB226_265
.LBB226_243:
	v_dual_mov_b32 v2, 0 :: v_dual_add_nc_u32 v1, s8, v0
	v_add_nc_u32_e32 v0, 0x100, v0
	s_delay_alu instid0(VALU_DEP_2) | instskip(NEXT) | instid1(VALU_DEP_1)
	v_lshlrev_b64 v[1:2], 3, v[1:2]
	v_add_co_u32 v1, vcc_lo, s4, v1
	s_delay_alu instid0(VALU_DEP_2) | instskip(SKIP_2) | instid1(SALU_CYCLE_1)
	v_add_co_ci_u32_e32 v2, vcc_lo, s5, v2, vcc_lo
	global_store_b64 v[1:2], v[10:11], off
	s_or_b32 exec_lo, exec_lo, s0
	s_mov_b32 s0, exec_lo
	v_cmpx_gt_i32_e64 s10, v0
	s_cbranch_execnz .LBB226_266
	s_branch .LBB226_267
.LBB226_244:
	s_and_not1_saveexec_b32 s13, s13
	s_cbranch_execz .LBB226_246
.LBB226_245:
	v_sub_f32_e32 v2, v12, v2
	s_delay_alu instid0(VALU_DEP_1) | instskip(NEXT) | instid1(VALU_DEP_1)
	v_mul_f32_e32 v2, 0.5, v2
	v_mul_f32_e32 v8, 0x4f800000, v2
	v_cmp_gt_f32_e32 vcc_lo, 0xf800000, v2
	s_delay_alu instid0(VALU_DEP_2) | instskip(NEXT) | instid1(VALU_DEP_1)
	v_cndmask_b32_e32 v2, v2, v8, vcc_lo
	v_sqrt_f32_e32 v8, v2
	s_waitcnt_depctr 0xfff
	v_add_nc_u32_e32 v9, -1, v8
	v_add_nc_u32_e32 v12, 1, v8
	s_delay_alu instid0(VALU_DEP_2) | instskip(NEXT) | instid1(VALU_DEP_2)
	v_fma_f32 v13, -v9, v8, v2
	v_fma_f32 v15, -v12, v8, v2
	s_delay_alu instid0(VALU_DEP_2) | instskip(NEXT) | instid1(VALU_DEP_1)
	v_cmp_ge_f32_e64 s2, 0, v13
	v_cndmask_b32_e64 v8, v8, v9, s2
	s_delay_alu instid0(VALU_DEP_3) | instskip(NEXT) | instid1(VALU_DEP_1)
	v_cmp_lt_f32_e64 s2, 0, v15
	v_cndmask_b32_e64 v8, v8, v12, s2
	s_delay_alu instid0(VALU_DEP_1) | instskip(NEXT) | instid1(VALU_DEP_1)
	v_mul_f32_e32 v9, 0x37800000, v8
	v_cndmask_b32_e32 v8, v8, v9, vcc_lo
	v_cmp_class_f32_e64 vcc_lo, v2, 0x260
	s_delay_alu instid0(VALU_DEP_2) | instskip(NEXT) | instid1(VALU_DEP_1)
	v_cndmask_b32_e32 v2, v8, v2, vcc_lo
	v_dual_add_f32 v9, v2, v2 :: v_dual_and_b32 v8, 0x7fffffff, v3
	s_delay_alu instid0(VALU_DEP_1) | instskip(SKIP_1) | instid1(VALU_DEP_2)
	v_div_scale_f32 v12, null, v9, v9, v8
	v_div_scale_f32 v8, vcc_lo, v8, v9, v8
	v_rcp_f32_e32 v13, v12
	s_waitcnt_depctr 0xfff
	v_fma_f32 v15, -v12, v13, 1.0
	s_delay_alu instid0(VALU_DEP_1) | instskip(NEXT) | instid1(VALU_DEP_1)
	v_fmac_f32_e32 v13, v15, v13
	v_mul_f32_e32 v15, v8, v13
	s_delay_alu instid0(VALU_DEP_1) | instskip(NEXT) | instid1(VALU_DEP_1)
	v_fma_f32 v16, -v12, v15, v8
	v_fmac_f32_e32 v15, v16, v13
	s_delay_alu instid0(VALU_DEP_1) | instskip(NEXT) | instid1(VALU_DEP_1)
	v_fma_f32 v8, -v12, v15, v8
	v_div_fmas_f32 v8, v8, v13, v15
	s_delay_alu instid0(VALU_DEP_1)
	v_div_fixup_f32 v8, v8, v9, |v3|
	v_bfi_b32 v9, 0x7fffffff, v2, v3
.LBB226_246:
	s_or_b32 exec_lo, exec_lo, s13
                                        ; implicit-def: $vgpr3
	s_and_saveexec_b32 s2, s1
	s_delay_alu instid0(SALU_CYCLE_1)
	s_xor_b32 s1, exec_lo, s2
	s_cbranch_execz .LBB226_248
; %bb.247:
	v_dual_mul_f32 v2, 0.5, v8 :: v_dual_mul_f32 v3, 0.5, v9
	s_delay_alu instid0(VALU_DEP_1) | instskip(NEXT) | instid1(VALU_DEP_2)
	v_cndmask_b32_e64 v2, v8, v2, s12
	v_cndmask_b32_e64 v3, v9, v3, s12
                                        ; implicit-def: $vgpr8
                                        ; implicit-def: $vgpr9
	s_and_not1_saveexec_b32 s1, s1
	s_cbranch_execnz .LBB226_249
	s_branch .LBB226_250
.LBB226_248:
	s_and_not1_saveexec_b32 s1, s1
.LBB226_249:
	v_dual_add_f32 v2, v8, v8 :: v_dual_add_f32 v3, v9, v9
.LBB226_250:
	s_or_b32 exec_lo, exec_lo, s1
.LBB226_251:
	s_and_not1_saveexec_b32 s1, s11
	s_cbranch_execz .LBB226_257
; %bb.252:
	s_delay_alu instid0(VALU_DEP_1)
	v_sub_f32_e32 v8, v3, v3
	s_mov_b32 s2, exec_lo
	v_cmpx_lt_i32_e32 -1, v2
	s_xor_b32 s2, exec_lo, s2
; %bb.253:
	s_delay_alu instid0(VALU_DEP_2)
	v_bfi_b32 v3, 0x7fffffff, v8, v3
                                        ; implicit-def: $vgpr8
; %bb.254:
	s_and_not1_saveexec_b32 s2, s2
; %bb.255:
	v_and_b32_e32 v8, 0x7fffffff, v8
	s_delay_alu instid0(VALU_DEP_2) | instskip(NEXT) | instid1(VALU_DEP_2)
	v_bfi_b32 v3, 0x7fffffff, v2, v3
	v_mov_b32_e32 v2, v8
; %bb.256:
	s_or_b32 exec_lo, exec_lo, s2
.LBB226_257:
	s_delay_alu instid0(SALU_CYCLE_1)
	s_or_b32 exec_lo, exec_lo, s1
.LBB226_258:
	s_and_not1_saveexec_b32 s1, s9
; %bb.259:
	v_sub_f32_e32 v3, v3, v3
	s_delay_alu instid0(VALU_DEP_1) | instskip(NEXT) | instid1(VALU_DEP_1)
	v_div_scale_f32 v8, vcc_lo, v3, v3, v3
	v_rcp_f32_e32 v9, v8
	s_waitcnt_depctr 0xfff
	v_fma_f32 v12, -v8, v9, 1.0
	s_delay_alu instid0(VALU_DEP_1) | instskip(NEXT) | instid1(VALU_DEP_1)
	v_fmac_f32_e32 v9, v12, v9
	v_mul_f32_e32 v12, v8, v9
	s_delay_alu instid0(VALU_DEP_1) | instskip(NEXT) | instid1(VALU_DEP_1)
	v_fma_f32 v13, -v8, v12, v8
	v_fmac_f32_e32 v12, v13, v9
	s_delay_alu instid0(VALU_DEP_1) | instskip(NEXT) | instid1(VALU_DEP_1)
	v_fma_f32 v8, -v8, v12, v8
	v_div_fmas_f32 v8, v8, v9, v12
	s_delay_alu instid0(VALU_DEP_1)
	v_div_fixup_f32 v3, v8, v3, v3
; %bb.260:
	s_or_b32 exec_lo, exec_lo, s1
	v_mov_b32_e32 v8, v2
.LBB226_261:
	s_or_b32 exec_lo, exec_lo, s7
.LBB226_262:
	s_delay_alu instid0(SALU_CYCLE_1) | instskip(SKIP_3) | instid1(SALU_CYCLE_1)
	s_or_b32 exec_lo, exec_lo, s6
	v_mov_b32_e32 v9, v3
	s_or_b32 exec_lo, exec_lo, s3
	s_and_saveexec_b32 s1, s0
	s_xor_b32 s0, exec_lo, s1
	s_cbranch_execnz .LBB226_241
.LBB226_263:
	s_or_b32 exec_lo, exec_lo, s0
	s_delay_alu instid0(SALU_CYCLE_1)
	s_mov_b32 s0, exec_lo
	v_cmpx_gt_i32_e64 s10, v0
	s_cbranch_execz .LBB226_242
.LBB226_264:
	v_dual_mov_b32 v2, 0 :: v_dual_add_nc_u32 v1, s8, v0
	v_add_nc_u32_e32 v0, 0x100, v0
	s_delay_alu instid0(VALU_DEP_2) | instskip(NEXT) | instid1(VALU_DEP_1)
	v_lshlrev_b64 v[1:2], 3, v[1:2]
	v_add_co_u32 v1, vcc_lo, s4, v1
	s_delay_alu instid0(VALU_DEP_2) | instskip(SKIP_2) | instid1(SALU_CYCLE_1)
	v_add_co_ci_u32_e32 v2, vcc_lo, s5, v2, vcc_lo
	global_store_b64 v[1:2], v[4:5], off
	s_or_b32 exec_lo, exec_lo, s0
	s_mov_b32 s0, exec_lo
	v_cmpx_gt_i32_e64 s10, v0
	s_cbranch_execnz .LBB226_243
.LBB226_265:
	s_or_b32 exec_lo, exec_lo, s0
	s_delay_alu instid0(SALU_CYCLE_1)
	s_mov_b32 s0, exec_lo
	v_cmpx_gt_i32_e64 s10, v0
	s_cbranch_execz .LBB226_267
.LBB226_266:
	v_dual_mov_b32 v1, 0 :: v_dual_add_nc_u32 v0, s8, v0
	s_delay_alu instid0(VALU_DEP_1) | instskip(NEXT) | instid1(VALU_DEP_1)
	v_lshlrev_b64 v[0:1], 3, v[0:1]
	v_add_co_u32 v0, vcc_lo, s4, v0
	s_delay_alu instid0(VALU_DEP_2)
	v_add_co_ci_u32_e32 v1, vcc_lo, s5, v1, vcc_lo
	global_store_b64 v[0:1], v[8:9], off
.LBB226_267:
	s_nop 0
	s_sendmsg sendmsg(MSG_DEALLOC_VGPRS)
	s_endpgm
	.section	.rodata,"a",@progbits
	.p2align	6, 0x0
	.amdhsa_kernel _ZN2at6native29vectorized_elementwise_kernelILi16EZZZNS0_16sqrt_kernel_cudaERNS_18TensorIteratorBaseEENKUlvE_clEvENKUlvE0_clEvEUlN3c107complexIfEEE_St5arrayIPcLm2EEEEviT0_T1_
		.amdhsa_group_segment_fixed_size 0
		.amdhsa_private_segment_fixed_size 0
		.amdhsa_kernarg_size 24
		.amdhsa_user_sgpr_count 15
		.amdhsa_user_sgpr_dispatch_ptr 0
		.amdhsa_user_sgpr_queue_ptr 0
		.amdhsa_user_sgpr_kernarg_segment_ptr 1
		.amdhsa_user_sgpr_dispatch_id 0
		.amdhsa_user_sgpr_private_segment_size 0
		.amdhsa_wavefront_size32 1
		.amdhsa_uses_dynamic_stack 0
		.amdhsa_enable_private_segment 0
		.amdhsa_system_sgpr_workgroup_id_x 1
		.amdhsa_system_sgpr_workgroup_id_y 0
		.amdhsa_system_sgpr_workgroup_id_z 0
		.amdhsa_system_sgpr_workgroup_info 0
		.amdhsa_system_vgpr_workitem_id 0
		.amdhsa_next_free_vgpr 19
		.amdhsa_next_free_sgpr 17
		.amdhsa_reserve_vcc 1
		.amdhsa_float_round_mode_32 0
		.amdhsa_float_round_mode_16_64 0
		.amdhsa_float_denorm_mode_32 3
		.amdhsa_float_denorm_mode_16_64 3
		.amdhsa_dx10_clamp 1
		.amdhsa_ieee_mode 1
		.amdhsa_fp16_overflow 0
		.amdhsa_workgroup_processor_mode 1
		.amdhsa_memory_ordered 1
		.amdhsa_forward_progress 0
		.amdhsa_shared_vgpr_count 0
		.amdhsa_exception_fp_ieee_invalid_op 0
		.amdhsa_exception_fp_denorm_src 0
		.amdhsa_exception_fp_ieee_div_zero 0
		.amdhsa_exception_fp_ieee_overflow 0
		.amdhsa_exception_fp_ieee_underflow 0
		.amdhsa_exception_fp_ieee_inexact 0
		.amdhsa_exception_int_div_zero 0
	.end_amdhsa_kernel
	.section	.text._ZN2at6native29vectorized_elementwise_kernelILi16EZZZNS0_16sqrt_kernel_cudaERNS_18TensorIteratorBaseEENKUlvE_clEvENKUlvE0_clEvEUlN3c107complexIfEEE_St5arrayIPcLm2EEEEviT0_T1_,"axG",@progbits,_ZN2at6native29vectorized_elementwise_kernelILi16EZZZNS0_16sqrt_kernel_cudaERNS_18TensorIteratorBaseEENKUlvE_clEvENKUlvE0_clEvEUlN3c107complexIfEEE_St5arrayIPcLm2EEEEviT0_T1_,comdat
.Lfunc_end226:
	.size	_ZN2at6native29vectorized_elementwise_kernelILi16EZZZNS0_16sqrt_kernel_cudaERNS_18TensorIteratorBaseEENKUlvE_clEvENKUlvE0_clEvEUlN3c107complexIfEEE_St5arrayIPcLm2EEEEviT0_T1_, .Lfunc_end226-_ZN2at6native29vectorized_elementwise_kernelILi16EZZZNS0_16sqrt_kernel_cudaERNS_18TensorIteratorBaseEENKUlvE_clEvENKUlvE0_clEvEUlN3c107complexIfEEE_St5arrayIPcLm2EEEEviT0_T1_
                                        ; -- End function
	.section	.AMDGPU.csdata,"",@progbits
; Kernel info:
; codeLenInByte = 10592
; NumSgprs: 19
; NumVgprs: 19
; ScratchSize: 0
; MemoryBound: 0
; FloatMode: 240
; IeeeMode: 1
; LDSByteSize: 0 bytes/workgroup (compile time only)
; SGPRBlocks: 2
; VGPRBlocks: 2
; NumSGPRsForWavesPerEU: 19
; NumVGPRsForWavesPerEU: 19
; Occupancy: 16
; WaveLimiterHint : 0
; COMPUTE_PGM_RSRC2:SCRATCH_EN: 0
; COMPUTE_PGM_RSRC2:USER_SGPR: 15
; COMPUTE_PGM_RSRC2:TRAP_HANDLER: 0
; COMPUTE_PGM_RSRC2:TGID_X_EN: 1
; COMPUTE_PGM_RSRC2:TGID_Y_EN: 0
; COMPUTE_PGM_RSRC2:TGID_Z_EN: 0
; COMPUTE_PGM_RSRC2:TIDIG_COMP_CNT: 0
	.section	.text._ZN2at6native29vectorized_elementwise_kernelILi8EZZZNS0_16sqrt_kernel_cudaERNS_18TensorIteratorBaseEENKUlvE_clEvENKUlvE0_clEvEUlN3c107complexIfEEE_St5arrayIPcLm2EEEEviT0_T1_,"axG",@progbits,_ZN2at6native29vectorized_elementwise_kernelILi8EZZZNS0_16sqrt_kernel_cudaERNS_18TensorIteratorBaseEENKUlvE_clEvENKUlvE0_clEvEUlN3c107complexIfEEE_St5arrayIPcLm2EEEEviT0_T1_,comdat
	.globl	_ZN2at6native29vectorized_elementwise_kernelILi8EZZZNS0_16sqrt_kernel_cudaERNS_18TensorIteratorBaseEENKUlvE_clEvENKUlvE0_clEvEUlN3c107complexIfEEE_St5arrayIPcLm2EEEEviT0_T1_ ; -- Begin function _ZN2at6native29vectorized_elementwise_kernelILi8EZZZNS0_16sqrt_kernel_cudaERNS_18TensorIteratorBaseEENKUlvE_clEvENKUlvE0_clEvEUlN3c107complexIfEEE_St5arrayIPcLm2EEEEviT0_T1_
	.p2align	8
	.type	_ZN2at6native29vectorized_elementwise_kernelILi8EZZZNS0_16sqrt_kernel_cudaERNS_18TensorIteratorBaseEENKUlvE_clEvENKUlvE0_clEvEUlN3c107complexIfEEE_St5arrayIPcLm2EEEEviT0_T1_,@function
_ZN2at6native29vectorized_elementwise_kernelILi8EZZZNS0_16sqrt_kernel_cudaERNS_18TensorIteratorBaseEENKUlvE_clEvENKUlvE0_clEvEUlN3c107complexIfEEE_St5arrayIPcLm2EEEEviT0_T1_: ; @_ZN2at6native29vectorized_elementwise_kernelILi8EZZZNS0_16sqrt_kernel_cudaERNS_18TensorIteratorBaseEENKUlvE_clEvENKUlvE0_clEvEUlN3c107complexIfEEE_St5arrayIPcLm2EEEEviT0_T1_
; %bb.0:
	s_clause 0x1
	s_load_b32 s2, s[0:1], 0x0
	s_load_b128 s[4:7], s[0:1], 0x8
	s_lshl_b32 s8, s15, 10
	s_mov_b32 s0, -1
	s_waitcnt lgkmcnt(0)
	s_sub_i32 s10, s2, s8
	s_delay_alu instid0(SALU_CYCLE_1)
	s_cmpk_gt_i32 s10, 0x3ff
	s_cbranch_scc0 .LBB227_122
; %bb.1:
	s_ashr_i32 s9, s8, 31
	v_dual_mov_b32 v3, 0 :: v_dual_lshlrev_b32 v12, 5, v0
	s_lshl_b64 s[2:3], s[8:9], 3
	s_delay_alu instid0(SALU_CYCLE_1)
	s_add_u32 s0, s6, s2
	s_addc_u32 s1, s7, s3
	s_clause 0x1
	global_load_b128 v[8:11], v12, s[0:1]
	global_load_b128 v[4:7], v12, s[0:1] offset:16
	s_waitcnt vmcnt(1)
	v_dual_mov_b32 v1, 0 :: v_dual_mov_b32 v2, v9
	v_cmp_neq_f32_e32 vcc_lo, 0, v8
	v_cmp_neq_f32_e64 s0, 0, v9
	s_delay_alu instid0(VALU_DEP_1) | instskip(NEXT) | instid1(SALU_CYCLE_1)
	s_or_b32 s0, vcc_lo, s0
	s_and_saveexec_b32 s9, s0
	s_cbranch_execz .LBB227_31
; %bb.2:
	v_dual_mov_b32 v1, 0x7f800000 :: v_dual_mov_b32 v2, v9
	s_mov_b32 s11, exec_lo
	v_cmpx_neq_f32_e64 0x7f800000, |v9|
	s_cbranch_execz .LBB227_30
; %bb.3:
	s_mov_b32 s0, exec_lo
	v_cmpx_o_f32_e32 v8, v8
	s_xor_b32 s12, exec_lo, s0
	s_cbranch_execz .LBB227_27
; %bb.4:
	s_mov_b32 s1, exec_lo
	v_cmpx_neq_f32_e64 0x7f800000, |v8|
	s_xor_b32 s13, exec_lo, s1
	s_cbranch_execz .LBB227_20
; %bb.5:
	v_max_f32_e64 v1, |v9|, |v9|
	v_max_f32_e64 v2, |v8|, |v8|
                                        ; implicit-def: $sgpr14
	s_delay_alu instid0(VALU_DEP_1) | instskip(NEXT) | instid1(VALU_DEP_1)
	v_max_f32_e32 v1, v2, v1
                                        ; implicit-def: $vgpr2
	v_cmp_nle_f32_e64 s0, 0x7ed413cb, v1
                                        ; implicit-def: $vgpr1
	s_delay_alu instid0(VALU_DEP_1) | instskip(NEXT) | instid1(SALU_CYCLE_1)
	s_and_saveexec_b32 s1, s0
	s_xor_b32 s1, exec_lo, s1
	s_cbranch_execz .LBB227_9
; %bb.6:
	v_cmp_ge_f32_e64 s14, 0x1000000, |v8|
	v_cmp_ge_f32_e64 s15, 0x1000000, |v9|
	v_dual_mov_b32 v2, v8 :: v_dual_mov_b32 v1, v9
	s_delay_alu instid0(VALU_DEP_2)
	s_and_b32 s16, s14, s15
	s_mov_b32 s14, 0
	s_and_saveexec_b32 s15, s16
; %bb.7:
	v_dual_mul_f32 v1, 4.0, v9 :: v_dual_mul_f32 v2, 4.0, v8
	s_mov_b32 s14, exec_lo
; %bb.8:
	s_or_b32 exec_lo, exec_lo, s15
	s_delay_alu instid0(SALU_CYCLE_1)
	s_and_b32 s14, s14, exec_lo
.LBB227_9:
	s_and_not1_saveexec_b32 s1, s1
; %bb.10:
	v_dual_mul_f32 v2, 0x3e800000, v8 :: v_dual_mul_f32 v1, 0x3e800000, v9
	s_and_not1_b32 s14, s14, exec_lo
; %bb.11:
	s_or_b32 exec_lo, exec_lo, s1
	s_delay_alu instid0(VALU_DEP_1) | instskip(NEXT) | instid1(VALU_DEP_2)
	v_max_f32_e64 v13, |v1|, |v1|
	v_max_f32_e64 v14, |v2|, |v2|
	s_delay_alu instid0(VALU_DEP_1) | instskip(NEXT) | instid1(VALU_DEP_1)
	v_max_f32_e32 v15, v14, v13
	v_cvt_f64_f32_e32 v[13:14], v15
	s_delay_alu instid0(VALU_DEP_1) | instskip(NEXT) | instid1(VALU_DEP_1)
	v_frexp_exp_i32_f64_e32 v13, v[13:14]
	v_sub_nc_u32_e32 v14, 0, v13
	s_delay_alu instid0(VALU_DEP_1) | instskip(SKIP_1) | instid1(VALU_DEP_2)
	v_ldexp_f32 v16, |v1|, v14
	v_ldexp_f32 v14, |v2|, v14
	v_mul_f32_e32 v16, v16, v16
	v_cmp_neq_f32_e64 s1, 0x7f800000, v15
	s_delay_alu instid0(VALU_DEP_2) | instskip(NEXT) | instid1(VALU_DEP_1)
	v_fmac_f32_e32 v16, v14, v14
	v_sqrt_f32_e32 v14, v16
	s_waitcnt_depctr 0xfff
	v_ldexp_f32 v13, v14, v13
                                        ; implicit-def: $vgpr14
	s_delay_alu instid0(VALU_DEP_1)
	v_cndmask_b32_e64 v15, 0x7f800000, v13, s1
                                        ; implicit-def: $vgpr13
	s_mov_b32 s1, exec_lo
	v_cmpx_le_f32_e32 0, v2
	s_xor_b32 s15, exec_lo, s1
	s_cbranch_execz .LBB227_15
; %bb.12:
	v_add_f32_e32 v2, v2, v15
	s_delay_alu instid0(VALU_DEP_1) | instskip(NEXT) | instid1(VALU_DEP_1)
	v_mul_f32_e32 v2, 0.5, v2
	v_mul_f32_e32 v13, 0x4f800000, v2
	v_cmp_gt_f32_e32 vcc_lo, 0xf800000, v2
	s_delay_alu instid0(VALU_DEP_2) | instskip(NEXT) | instid1(VALU_DEP_1)
	v_cndmask_b32_e32 v2, v2, v13, vcc_lo
	v_sqrt_f32_e32 v13, v2
	s_waitcnt_depctr 0xfff
	v_add_nc_u32_e32 v14, -1, v13
	v_add_nc_u32_e32 v15, 1, v13
	s_delay_alu instid0(VALU_DEP_2) | instskip(NEXT) | instid1(VALU_DEP_2)
	v_fma_f32 v16, -v14, v13, v2
	v_fma_f32 v17, -v15, v13, v2
	s_delay_alu instid0(VALU_DEP_2) | instskip(NEXT) | instid1(VALU_DEP_1)
	v_cmp_ge_f32_e64 s1, 0, v16
	v_cndmask_b32_e64 v13, v13, v14, s1
	s_delay_alu instid0(VALU_DEP_3) | instskip(NEXT) | instid1(VALU_DEP_1)
	v_cmp_lt_f32_e64 s1, 0, v17
	v_cndmask_b32_e64 v13, v13, v15, s1
	s_delay_alu instid0(VALU_DEP_1) | instskip(NEXT) | instid1(VALU_DEP_1)
	v_mul_f32_e32 v14, 0x37800000, v13
	v_cndmask_b32_e32 v13, v13, v14, vcc_lo
	v_cmp_class_f32_e64 vcc_lo, v2, 0x260
	s_delay_alu instid0(VALU_DEP_2) | instskip(NEXT) | instid1(VALU_DEP_1)
	v_cndmask_b32_e32 v13, v13, v2, vcc_lo
	v_add_f32_e32 v2, v13, v13
	s_delay_alu instid0(VALU_DEP_1) | instskip(NEXT) | instid1(VALU_DEP_1)
	v_div_scale_f32 v14, null, v2, v2, v1
	v_rcp_f32_e32 v15, v14
	s_waitcnt_depctr 0xfff
	v_fma_f32 v16, -v14, v15, 1.0
	s_delay_alu instid0(VALU_DEP_1) | instskip(SKIP_1) | instid1(VALU_DEP_1)
	v_fmac_f32_e32 v15, v16, v15
	v_div_scale_f32 v16, vcc_lo, v1, v2, v1
	v_mul_f32_e32 v17, v16, v15
	s_delay_alu instid0(VALU_DEP_1) | instskip(NEXT) | instid1(VALU_DEP_1)
	v_fma_f32 v18, -v14, v17, v16
	v_fmac_f32_e32 v17, v18, v15
	s_delay_alu instid0(VALU_DEP_1) | instskip(NEXT) | instid1(VALU_DEP_1)
	v_fma_f32 v14, -v14, v17, v16
	v_div_fmas_f32 v14, v14, v15, v17
                                        ; implicit-def: $vgpr15
	s_delay_alu instid0(VALU_DEP_1)
	v_div_fixup_f32 v14, v14, v2, v1
                                        ; implicit-def: $vgpr2
                                        ; implicit-def: $vgpr1
	s_and_not1_saveexec_b32 s15, s15
	s_cbranch_execnz .LBB227_16
.LBB227_13:
	s_or_b32 exec_lo, exec_lo, s15
	s_and_saveexec_b32 s1, s0
	s_delay_alu instid0(SALU_CYCLE_1)
	s_xor_b32 s0, exec_lo, s1
	s_cbranch_execz .LBB227_17
.LBB227_14:
	v_dual_mul_f32 v1, 0.5, v13 :: v_dual_mul_f32 v2, 0.5, v14
	s_delay_alu instid0(VALU_DEP_1) | instskip(NEXT) | instid1(VALU_DEP_2)
	v_cndmask_b32_e64 v1, v13, v1, s14
	v_cndmask_b32_e64 v2, v14, v2, s14
                                        ; implicit-def: $vgpr13
                                        ; implicit-def: $vgpr14
	s_and_not1_saveexec_b32 s0, s0
	s_cbranch_execnz .LBB227_18
	s_branch .LBB227_19
.LBB227_15:
	s_and_not1_saveexec_b32 s15, s15
	s_cbranch_execz .LBB227_13
.LBB227_16:
	v_sub_f32_e32 v2, v15, v2
	s_delay_alu instid0(VALU_DEP_1) | instskip(NEXT) | instid1(VALU_DEP_1)
	v_mul_f32_e32 v2, 0.5, v2
	v_mul_f32_e32 v13, 0x4f800000, v2
	v_cmp_gt_f32_e32 vcc_lo, 0xf800000, v2
	s_delay_alu instid0(VALU_DEP_2) | instskip(NEXT) | instid1(VALU_DEP_1)
	v_cndmask_b32_e32 v2, v2, v13, vcc_lo
	v_sqrt_f32_e32 v13, v2
	s_waitcnt_depctr 0xfff
	v_add_nc_u32_e32 v14, -1, v13
	v_add_nc_u32_e32 v15, 1, v13
	s_delay_alu instid0(VALU_DEP_2) | instskip(NEXT) | instid1(VALU_DEP_2)
	v_fma_f32 v16, -v14, v13, v2
	v_fma_f32 v17, -v15, v13, v2
	s_delay_alu instid0(VALU_DEP_2) | instskip(NEXT) | instid1(VALU_DEP_1)
	v_cmp_ge_f32_e64 s1, 0, v16
	v_cndmask_b32_e64 v13, v13, v14, s1
	s_delay_alu instid0(VALU_DEP_3) | instskip(NEXT) | instid1(VALU_DEP_1)
	v_cmp_lt_f32_e64 s1, 0, v17
	v_cndmask_b32_e64 v13, v13, v15, s1
	s_delay_alu instid0(VALU_DEP_1) | instskip(NEXT) | instid1(VALU_DEP_1)
	v_mul_f32_e32 v14, 0x37800000, v13
	v_cndmask_b32_e32 v13, v13, v14, vcc_lo
	v_cmp_class_f32_e64 vcc_lo, v2, 0x260
	s_delay_alu instid0(VALU_DEP_2) | instskip(NEXT) | instid1(VALU_DEP_1)
	v_dual_cndmask_b32 v2, v13, v2 :: v_dual_and_b32 v13, 0x7fffffff, v1
	v_add_f32_e32 v14, v2, v2
	s_delay_alu instid0(VALU_DEP_1) | instskip(SKIP_1) | instid1(VALU_DEP_2)
	v_div_scale_f32 v15, null, v14, v14, v13
	v_div_scale_f32 v13, vcc_lo, v13, v14, v13
	v_rcp_f32_e32 v16, v15
	s_waitcnt_depctr 0xfff
	v_fma_f32 v17, -v15, v16, 1.0
	s_delay_alu instid0(VALU_DEP_1) | instskip(NEXT) | instid1(VALU_DEP_1)
	v_fmac_f32_e32 v16, v17, v16
	v_mul_f32_e32 v17, v13, v16
	s_delay_alu instid0(VALU_DEP_1) | instskip(NEXT) | instid1(VALU_DEP_1)
	v_fma_f32 v18, -v15, v17, v13
	v_fmac_f32_e32 v17, v18, v16
	s_delay_alu instid0(VALU_DEP_1) | instskip(NEXT) | instid1(VALU_DEP_1)
	v_fma_f32 v13, -v15, v17, v13
	v_div_fmas_f32 v13, v13, v16, v17
	s_delay_alu instid0(VALU_DEP_1) | instskip(SKIP_3) | instid1(SALU_CYCLE_1)
	v_div_fixup_f32 v13, v13, v14, |v1|
	v_bfi_b32 v14, 0x7fffffff, v2, v1
	s_or_b32 exec_lo, exec_lo, s15
	s_and_saveexec_b32 s1, s0
	s_xor_b32 s0, exec_lo, s1
	s_cbranch_execnz .LBB227_14
.LBB227_17:
	s_and_not1_saveexec_b32 s0, s0
.LBB227_18:
	v_dual_add_f32 v1, v13, v13 :: v_dual_add_f32 v2, v14, v14
.LBB227_19:
	s_or_b32 exec_lo, exec_lo, s0
.LBB227_20:
	s_and_not1_saveexec_b32 s0, s13
	s_cbranch_execz .LBB227_26
; %bb.21:
	v_sub_f32_e32 v13, v9, v9
	s_mov_b32 s1, exec_lo
	v_cmpx_lt_i32_e32 -1, v8
	s_xor_b32 s1, exec_lo, s1
; %bb.22:
	s_delay_alu instid0(VALU_DEP_2)
	v_bfi_b32 v2, 0x7fffffff, v13, v9
                                        ; implicit-def: $vgpr13
; %bb.23:
	s_or_saveexec_b32 s1, s1
	v_mov_b32_e32 v1, v8
	s_xor_b32 exec_lo, exec_lo, s1
; %bb.24:
	v_and_b32_e32 v1, 0x7fffffff, v13
	v_bfi_b32 v2, 0x7fffffff, v8, v9
; %bb.25:
	s_or_b32 exec_lo, exec_lo, s1
.LBB227_26:
	s_delay_alu instid0(SALU_CYCLE_1)
	s_or_b32 exec_lo, exec_lo, s0
.LBB227_27:
	s_and_not1_saveexec_b32 s0, s12
	s_cbranch_execz .LBB227_29
; %bb.28:
	v_sub_f32_e32 v1, v9, v9
	s_delay_alu instid0(VALU_DEP_1) | instskip(NEXT) | instid1(VALU_DEP_1)
	v_div_scale_f32 v2, vcc_lo, v1, v1, v1
	v_rcp_f32_e32 v9, v2
	s_waitcnt_depctr 0xfff
	v_fma_f32 v13, -v2, v9, 1.0
	s_delay_alu instid0(VALU_DEP_1) | instskip(NEXT) | instid1(VALU_DEP_1)
	v_fmac_f32_e32 v9, v13, v9
	v_mul_f32_e32 v13, v2, v9
	s_delay_alu instid0(VALU_DEP_1) | instskip(NEXT) | instid1(VALU_DEP_1)
	v_fma_f32 v14, -v2, v13, v2
	v_fmac_f32_e32 v13, v14, v9
	s_delay_alu instid0(VALU_DEP_1) | instskip(NEXT) | instid1(VALU_DEP_1)
	v_fma_f32 v2, -v2, v13, v2
	v_div_fmas_f32 v2, v2, v9, v13
	s_delay_alu instid0(VALU_DEP_1)
	v_div_fixup_f32 v2, v2, v1, v1
	v_mov_b32_e32 v1, v8
.LBB227_29:
	s_or_b32 exec_lo, exec_lo, s0
.LBB227_30:
	s_delay_alu instid0(SALU_CYCLE_1)
	s_or_b32 exec_lo, exec_lo, s11
.LBB227_31:
	s_delay_alu instid0(SALU_CYCLE_1) | instskip(SKIP_2) | instid1(VALU_DEP_1)
	s_or_b32 exec_lo, exec_lo, s9
	v_cmp_neq_f32_e32 vcc_lo, 0, v10
	v_cmp_neq_f32_e64 s0, 0, v11
	s_or_b32 s0, vcc_lo, s0
	s_delay_alu instid0(SALU_CYCLE_1)
	s_and_saveexec_b32 s9, s0
	s_cbranch_execz .LBB227_61
; %bb.32:
	v_mov_b32_e32 v3, 0x7f800000
	s_mov_b32 s11, exec_lo
	v_cmpx_neq_f32_e64 0x7f800000, |v11|
	s_cbranch_execz .LBB227_60
; %bb.33:
	s_mov_b32 s0, exec_lo
	v_cmpx_o_f32_e32 v10, v10
	s_xor_b32 s12, exec_lo, s0
	s_cbranch_execz .LBB227_57
; %bb.34:
	s_mov_b32 s1, exec_lo
	v_cmpx_neq_f32_e64 0x7f800000, |v10|
	s_xor_b32 s13, exec_lo, s1
	s_cbranch_execz .LBB227_50
; %bb.35:
	v_max_f32_e64 v3, |v11|, |v11|
	v_max_f32_e64 v8, |v10|, |v10|
                                        ; implicit-def: $sgpr14
	s_delay_alu instid0(VALU_DEP_1) | instskip(NEXT) | instid1(VALU_DEP_1)
	v_max_f32_e32 v3, v8, v3
	v_cmp_nle_f32_e64 s0, 0x7ed413cb, v3
	s_delay_alu instid0(VALU_DEP_1) | instskip(NEXT) | instid1(SALU_CYCLE_1)
	s_and_saveexec_b32 s1, s0
	s_xor_b32 s1, exec_lo, s1
	s_cbranch_execz .LBB227_39
; %bb.36:
	v_cmp_ge_f32_e64 s14, 0x1000000, |v10|
	v_cmp_ge_f32_e64 s15, 0x1000000, |v11|
	s_delay_alu instid0(VALU_DEP_1)
	s_and_b32 s16, s14, s15
	s_mov_b32 s14, 0
	s_and_saveexec_b32 s15, s16
; %bb.37:
	v_dual_mul_f32 v11, 4.0, v11 :: v_dual_mul_f32 v10, 4.0, v10
	s_mov_b32 s14, exec_lo
; %bb.38:
	s_or_b32 exec_lo, exec_lo, s15
	s_delay_alu instid0(SALU_CYCLE_1)
	s_and_b32 s14, s14, exec_lo
.LBB227_39:
	s_and_not1_saveexec_b32 s1, s1
; %bb.40:
	v_dual_mul_f32 v10, 0x3e800000, v10 :: v_dual_mul_f32 v11, 0x3e800000, v11
	s_and_not1_b32 s14, s14, exec_lo
; %bb.41:
	s_or_b32 exec_lo, exec_lo, s1
	s_delay_alu instid0(VALU_DEP_1) | instskip(NEXT) | instid1(VALU_DEP_2)
	v_max_f32_e64 v3, |v11|, |v11|
	v_max_f32_e64 v8, |v10|, |v10|
	s_delay_alu instid0(VALU_DEP_1) | instskip(NEXT) | instid1(VALU_DEP_1)
	v_max_f32_e32 v3, v8, v3
	v_cvt_f64_f32_e32 v[8:9], v3
	v_cmp_neq_f32_e64 s1, 0x7f800000, v3
                                        ; implicit-def: $vgpr3
	s_delay_alu instid0(VALU_DEP_2) | instskip(NEXT) | instid1(VALU_DEP_1)
	v_frexp_exp_i32_f64_e32 v8, v[8:9]
	v_sub_nc_u32_e32 v9, 0, v8
	s_delay_alu instid0(VALU_DEP_1) | instskip(SKIP_1) | instid1(VALU_DEP_2)
	v_ldexp_f32 v13, |v11|, v9
	v_ldexp_f32 v9, |v10|, v9
	v_mul_f32_e32 v13, v13, v13
	s_delay_alu instid0(VALU_DEP_1) | instskip(NEXT) | instid1(VALU_DEP_1)
	v_fmac_f32_e32 v13, v9, v9
	v_sqrt_f32_e32 v9, v13
	s_waitcnt_depctr 0xfff
	v_ldexp_f32 v8, v9, v8
	s_delay_alu instid0(VALU_DEP_1)
	v_cndmask_b32_e64 v9, 0x7f800000, v8, s1
                                        ; implicit-def: $vgpr8
	s_mov_b32 s1, exec_lo
	v_cmpx_le_f32_e32 0, v10
	s_xor_b32 s15, exec_lo, s1
	s_cbranch_execz .LBB227_43
; %bb.42:
	v_add_f32_e32 v3, v10, v9
	s_delay_alu instid0(VALU_DEP_1) | instskip(NEXT) | instid1(VALU_DEP_1)
	v_mul_f32_e32 v3, 0.5, v3
	v_mul_f32_e32 v8, 0x4f800000, v3
	v_cmp_gt_f32_e32 vcc_lo, 0xf800000, v3
	s_delay_alu instid0(VALU_DEP_2) | instskip(NEXT) | instid1(VALU_DEP_1)
	v_cndmask_b32_e32 v3, v3, v8, vcc_lo
	v_sqrt_f32_e32 v8, v3
	s_waitcnt_depctr 0xfff
	v_add_nc_u32_e32 v9, -1, v8
	v_add_nc_u32_e32 v10, 1, v8
	s_delay_alu instid0(VALU_DEP_2) | instskip(NEXT) | instid1(VALU_DEP_2)
	v_fma_f32 v13, -v9, v8, v3
	v_fma_f32 v14, -v10, v8, v3
	s_delay_alu instid0(VALU_DEP_2) | instskip(NEXT) | instid1(VALU_DEP_1)
	v_cmp_ge_f32_e64 s1, 0, v13
	v_cndmask_b32_e64 v8, v8, v9, s1
	s_delay_alu instid0(VALU_DEP_3) | instskip(NEXT) | instid1(VALU_DEP_1)
	v_cmp_lt_f32_e64 s1, 0, v14
	v_cndmask_b32_e64 v8, v8, v10, s1
	s_delay_alu instid0(VALU_DEP_1) | instskip(NEXT) | instid1(VALU_DEP_1)
	v_mul_f32_e32 v9, 0x37800000, v8
	v_cndmask_b32_e32 v8, v8, v9, vcc_lo
	v_cmp_class_f32_e64 vcc_lo, v3, 0x260
	s_delay_alu instid0(VALU_DEP_2) | instskip(NEXT) | instid1(VALU_DEP_1)
	v_cndmask_b32_e32 v3, v8, v3, vcc_lo
	v_add_f32_e32 v8, v3, v3
	s_delay_alu instid0(VALU_DEP_1) | instskip(NEXT) | instid1(VALU_DEP_1)
	v_div_scale_f32 v9, null, v8, v8, v11
	v_rcp_f32_e32 v10, v9
	s_waitcnt_depctr 0xfff
	v_fma_f32 v13, -v9, v10, 1.0
	s_delay_alu instid0(VALU_DEP_1) | instskip(SKIP_1) | instid1(VALU_DEP_1)
	v_fmac_f32_e32 v10, v13, v10
	v_div_scale_f32 v13, vcc_lo, v11, v8, v11
	v_mul_f32_e32 v14, v13, v10
	s_delay_alu instid0(VALU_DEP_1) | instskip(NEXT) | instid1(VALU_DEP_1)
	v_fma_f32 v15, -v9, v14, v13
	v_fmac_f32_e32 v14, v15, v10
	s_delay_alu instid0(VALU_DEP_1) | instskip(NEXT) | instid1(VALU_DEP_1)
	v_fma_f32 v9, -v9, v14, v13
	v_div_fmas_f32 v9, v9, v10, v14
                                        ; implicit-def: $vgpr10
	s_delay_alu instid0(VALU_DEP_1)
	v_div_fixup_f32 v8, v9, v8, v11
                                        ; implicit-def: $vgpr9
	s_and_not1_saveexec_b32 s15, s15
	s_cbranch_execz .LBB227_45
	s_branch .LBB227_44
.LBB227_43:
	s_and_not1_saveexec_b32 s15, s15
	s_cbranch_execz .LBB227_45
.LBB227_44:
	v_sub_f32_e32 v3, v9, v10
	s_delay_alu instid0(VALU_DEP_1) | instskip(NEXT) | instid1(VALU_DEP_1)
	v_mul_f32_e32 v3, 0.5, v3
	v_mul_f32_e32 v8, 0x4f800000, v3
	v_cmp_gt_f32_e32 vcc_lo, 0xf800000, v3
	s_delay_alu instid0(VALU_DEP_2) | instskip(NEXT) | instid1(VALU_DEP_1)
	v_cndmask_b32_e32 v3, v3, v8, vcc_lo
	v_sqrt_f32_e32 v8, v3
	s_waitcnt_depctr 0xfff
	v_add_nc_u32_e32 v9, -1, v8
	v_add_nc_u32_e32 v10, 1, v8
	s_delay_alu instid0(VALU_DEP_2) | instskip(NEXT) | instid1(VALU_DEP_2)
	v_fma_f32 v13, -v9, v8, v3
	v_fma_f32 v14, -v10, v8, v3
	s_delay_alu instid0(VALU_DEP_2) | instskip(NEXT) | instid1(VALU_DEP_1)
	v_cmp_ge_f32_e64 s1, 0, v13
	v_cndmask_b32_e64 v8, v8, v9, s1
	s_delay_alu instid0(VALU_DEP_3) | instskip(NEXT) | instid1(VALU_DEP_1)
	v_cmp_lt_f32_e64 s1, 0, v14
	v_cndmask_b32_e64 v8, v8, v10, s1
	s_delay_alu instid0(VALU_DEP_1) | instskip(NEXT) | instid1(VALU_DEP_1)
	v_mul_f32_e32 v9, 0x37800000, v8
	v_cndmask_b32_e32 v8, v8, v9, vcc_lo
	v_cmp_class_f32_e64 vcc_lo, v3, 0x260
	s_delay_alu instid0(VALU_DEP_2) | instskip(SKIP_1) | instid1(VALU_DEP_2)
	v_cndmask_b32_e32 v8, v8, v3, vcc_lo
	v_and_b32_e32 v3, 0x7fffffff, v11
	v_add_f32_e32 v9, v8, v8
	v_bfi_b32 v8, 0x7fffffff, v8, v11
	s_delay_alu instid0(VALU_DEP_2) | instskip(SKIP_1) | instid1(VALU_DEP_2)
	v_div_scale_f32 v10, null, v9, v9, v3
	v_div_scale_f32 v3, vcc_lo, v3, v9, v3
	v_rcp_f32_e32 v13, v10
	s_waitcnt_depctr 0xfff
	v_fma_f32 v14, -v10, v13, 1.0
	s_delay_alu instid0(VALU_DEP_1) | instskip(NEXT) | instid1(VALU_DEP_1)
	v_fmac_f32_e32 v13, v14, v13
	v_mul_f32_e32 v14, v3, v13
	s_delay_alu instid0(VALU_DEP_1) | instskip(NEXT) | instid1(VALU_DEP_1)
	v_fma_f32 v15, -v10, v14, v3
	v_fmac_f32_e32 v14, v15, v13
	s_delay_alu instid0(VALU_DEP_1) | instskip(NEXT) | instid1(VALU_DEP_1)
	v_fma_f32 v3, -v10, v14, v3
	v_div_fmas_f32 v3, v3, v13, v14
	s_delay_alu instid0(VALU_DEP_1)
	v_div_fixup_f32 v3, v3, v9, |v11|
.LBB227_45:
	s_or_b32 exec_lo, exec_lo, s15
                                        ; implicit-def: $vgpr11
	s_and_saveexec_b32 s1, s0
	s_delay_alu instid0(SALU_CYCLE_1)
	s_xor_b32 s0, exec_lo, s1
	s_cbranch_execz .LBB227_47
; %bb.46:
	v_mul_f32_e32 v9, 0.5, v3
	v_mul_f32_e32 v11, 0.5, v8
	s_delay_alu instid0(VALU_DEP_2) | instskip(NEXT) | instid1(VALU_DEP_2)
	v_cndmask_b32_e64 v10, v3, v9, s14
	v_cndmask_b32_e64 v11, v8, v11, s14
                                        ; implicit-def: $vgpr3
                                        ; implicit-def: $vgpr8
	s_and_not1_saveexec_b32 s0, s0
	s_cbranch_execnz .LBB227_48
	s_branch .LBB227_49
.LBB227_47:
	s_and_not1_saveexec_b32 s0, s0
.LBB227_48:
	v_dual_add_f32 v10, v3, v3 :: v_dual_add_f32 v11, v8, v8
.LBB227_49:
	s_or_b32 exec_lo, exec_lo, s0
.LBB227_50:
	s_and_not1_saveexec_b32 s0, s13
	s_cbranch_execz .LBB227_56
; %bb.51:
	s_delay_alu instid0(VALU_DEP_1)
	v_sub_f32_e32 v3, v11, v11
	s_mov_b32 s1, exec_lo
	v_cmpx_lt_i32_e32 -1, v10
	s_xor_b32 s1, exec_lo, s1
; %bb.52:
	s_delay_alu instid0(VALU_DEP_2)
	v_bfi_b32 v11, 0x7fffffff, v3, v11
                                        ; implicit-def: $vgpr3
; %bb.53:
	s_and_not1_saveexec_b32 s1, s1
; %bb.54:
	v_and_b32_e32 v3, 0x7fffffff, v3
	s_delay_alu instid0(VALU_DEP_2) | instskip(NEXT) | instid1(VALU_DEP_2)
	v_bfi_b32 v11, 0x7fffffff, v10, v11
	v_mov_b32_e32 v10, v3
; %bb.55:
	s_or_b32 exec_lo, exec_lo, s1
.LBB227_56:
	s_delay_alu instid0(SALU_CYCLE_1)
	s_or_b32 exec_lo, exec_lo, s0
.LBB227_57:
	s_and_not1_saveexec_b32 s0, s12
; %bb.58:
	v_sub_f32_e32 v3, v11, v11
	s_delay_alu instid0(VALU_DEP_1) | instskip(NEXT) | instid1(VALU_DEP_1)
	v_div_scale_f32 v8, vcc_lo, v3, v3, v3
	v_rcp_f32_e32 v9, v8
	s_waitcnt_depctr 0xfff
	v_fma_f32 v11, -v8, v9, 1.0
	s_delay_alu instid0(VALU_DEP_1) | instskip(NEXT) | instid1(VALU_DEP_1)
	v_fmac_f32_e32 v9, v11, v9
	v_mul_f32_e32 v11, v8, v9
	s_delay_alu instid0(VALU_DEP_1) | instskip(NEXT) | instid1(VALU_DEP_1)
	v_fma_f32 v13, -v8, v11, v8
	v_fmac_f32_e32 v11, v13, v9
	s_delay_alu instid0(VALU_DEP_1) | instskip(NEXT) | instid1(VALU_DEP_1)
	v_fma_f32 v8, -v8, v11, v8
	v_div_fmas_f32 v8, v8, v9, v11
	s_delay_alu instid0(VALU_DEP_1)
	v_div_fixup_f32 v11, v8, v3, v3
; %bb.59:
	s_or_b32 exec_lo, exec_lo, s0
	v_mov_b32_e32 v3, v10
.LBB227_60:
	s_or_b32 exec_lo, exec_lo, s11
.LBB227_61:
	s_delay_alu instid0(SALU_CYCLE_1)
	s_or_b32 exec_lo, exec_lo, s9
	s_waitcnt vmcnt(0)
	v_cmp_neq_f32_e32 vcc_lo, 0, v4
	v_cmp_neq_f32_e64 s0, 0, v5
	v_dual_mov_b32 v10, 0 :: v_dual_mov_b32 v9, v5
	v_mov_b32_e32 v8, 0
	s_delay_alu instid0(VALU_DEP_3) | instskip(NEXT) | instid1(SALU_CYCLE_1)
	s_or_b32 s0, vcc_lo, s0
	s_and_saveexec_b32 s9, s0
	s_cbranch_execz .LBB227_91
; %bb.62:
	v_dual_mov_b32 v8, 0x7f800000 :: v_dual_mov_b32 v9, v5
	s_mov_b32 s11, exec_lo
	v_cmpx_neq_f32_e64 0x7f800000, |v5|
	s_cbranch_execz .LBB227_90
; %bb.63:
	s_mov_b32 s0, exec_lo
	v_cmpx_o_f32_e32 v4, v4
	s_xor_b32 s12, exec_lo, s0
	s_cbranch_execz .LBB227_87
; %bb.64:
	s_mov_b32 s1, exec_lo
	v_cmpx_neq_f32_e64 0x7f800000, |v4|
	s_xor_b32 s13, exec_lo, s1
	s_cbranch_execz .LBB227_80
; %bb.65:
	v_max_f32_e64 v8, |v5|, |v5|
	v_max_f32_e64 v9, |v4|, |v4|
                                        ; implicit-def: $sgpr14
	s_delay_alu instid0(VALU_DEP_1) | instskip(NEXT) | instid1(VALU_DEP_1)
	v_max_f32_e32 v8, v9, v8
                                        ; implicit-def: $vgpr9
	v_cmp_nle_f32_e64 s0, 0x7ed413cb, v8
                                        ; implicit-def: $vgpr8
	s_delay_alu instid0(VALU_DEP_1) | instskip(NEXT) | instid1(SALU_CYCLE_1)
	s_and_saveexec_b32 s1, s0
	s_xor_b32 s1, exec_lo, s1
	s_cbranch_execz .LBB227_69
; %bb.66:
	v_cmp_ge_f32_e64 s14, 0x1000000, |v4|
	v_cmp_ge_f32_e64 s15, 0x1000000, |v5|
	v_dual_mov_b32 v9, v4 :: v_dual_mov_b32 v8, v5
	s_delay_alu instid0(VALU_DEP_2)
	s_and_b32 s16, s14, s15
	s_mov_b32 s14, 0
	s_and_saveexec_b32 s15, s16
; %bb.67:
	v_dual_mul_f32 v8, 4.0, v5 :: v_dual_mul_f32 v9, 4.0, v4
	s_mov_b32 s14, exec_lo
; %bb.68:
	s_or_b32 exec_lo, exec_lo, s15
	s_delay_alu instid0(SALU_CYCLE_1)
	s_and_b32 s14, s14, exec_lo
.LBB227_69:
	s_and_not1_saveexec_b32 s1, s1
; %bb.70:
	v_dual_mul_f32 v9, 0x3e800000, v4 :: v_dual_mul_f32 v8, 0x3e800000, v5
	s_and_not1_b32 s14, s14, exec_lo
; %bb.71:
	s_or_b32 exec_lo, exec_lo, s1
	s_delay_alu instid0(VALU_DEP_1) | instskip(NEXT) | instid1(VALU_DEP_2)
	v_max_f32_e64 v13, |v8|, |v8|
	v_max_f32_e64 v14, |v9|, |v9|
	s_delay_alu instid0(VALU_DEP_1) | instskip(NEXT) | instid1(VALU_DEP_1)
	v_max_f32_e32 v15, v14, v13
	v_cvt_f64_f32_e32 v[13:14], v15
	s_delay_alu instid0(VALU_DEP_1) | instskip(NEXT) | instid1(VALU_DEP_1)
	v_frexp_exp_i32_f64_e32 v13, v[13:14]
	v_sub_nc_u32_e32 v14, 0, v13
	s_delay_alu instid0(VALU_DEP_1) | instskip(SKIP_1) | instid1(VALU_DEP_2)
	v_ldexp_f32 v16, |v8|, v14
	v_ldexp_f32 v14, |v9|, v14
	v_mul_f32_e32 v16, v16, v16
	v_cmp_neq_f32_e64 s1, 0x7f800000, v15
	s_delay_alu instid0(VALU_DEP_2) | instskip(NEXT) | instid1(VALU_DEP_1)
	v_fmac_f32_e32 v16, v14, v14
	v_sqrt_f32_e32 v14, v16
	s_waitcnt_depctr 0xfff
	v_ldexp_f32 v13, v14, v13
                                        ; implicit-def: $vgpr14
	s_delay_alu instid0(VALU_DEP_1)
	v_cndmask_b32_e64 v15, 0x7f800000, v13, s1
                                        ; implicit-def: $vgpr13
	s_mov_b32 s1, exec_lo
	v_cmpx_le_f32_e32 0, v9
	s_xor_b32 s15, exec_lo, s1
	s_cbranch_execz .LBB227_75
; %bb.72:
	v_add_f32_e32 v9, v9, v15
	s_delay_alu instid0(VALU_DEP_1) | instskip(NEXT) | instid1(VALU_DEP_1)
	v_mul_f32_e32 v9, 0.5, v9
	v_mul_f32_e32 v13, 0x4f800000, v9
	v_cmp_gt_f32_e32 vcc_lo, 0xf800000, v9
	s_delay_alu instid0(VALU_DEP_2) | instskip(NEXT) | instid1(VALU_DEP_1)
	v_cndmask_b32_e32 v9, v9, v13, vcc_lo
	v_sqrt_f32_e32 v13, v9
	s_waitcnt_depctr 0xfff
	v_add_nc_u32_e32 v14, -1, v13
	v_add_nc_u32_e32 v15, 1, v13
	s_delay_alu instid0(VALU_DEP_2) | instskip(NEXT) | instid1(VALU_DEP_2)
	v_fma_f32 v16, -v14, v13, v9
	v_fma_f32 v17, -v15, v13, v9
	s_delay_alu instid0(VALU_DEP_2) | instskip(NEXT) | instid1(VALU_DEP_1)
	v_cmp_ge_f32_e64 s1, 0, v16
	v_cndmask_b32_e64 v13, v13, v14, s1
	s_delay_alu instid0(VALU_DEP_3) | instskip(NEXT) | instid1(VALU_DEP_1)
	v_cmp_lt_f32_e64 s1, 0, v17
	v_cndmask_b32_e64 v13, v13, v15, s1
	s_delay_alu instid0(VALU_DEP_1) | instskip(NEXT) | instid1(VALU_DEP_1)
	v_mul_f32_e32 v14, 0x37800000, v13
	v_cndmask_b32_e32 v13, v13, v14, vcc_lo
	v_cmp_class_f32_e64 vcc_lo, v9, 0x260
	s_delay_alu instid0(VALU_DEP_2) | instskip(NEXT) | instid1(VALU_DEP_1)
	v_cndmask_b32_e32 v13, v13, v9, vcc_lo
	v_add_f32_e32 v9, v13, v13
	s_delay_alu instid0(VALU_DEP_1) | instskip(NEXT) | instid1(VALU_DEP_1)
	v_div_scale_f32 v14, null, v9, v9, v8
	v_rcp_f32_e32 v15, v14
	s_waitcnt_depctr 0xfff
	v_fma_f32 v16, -v14, v15, 1.0
	s_delay_alu instid0(VALU_DEP_1) | instskip(SKIP_1) | instid1(VALU_DEP_1)
	v_fmac_f32_e32 v15, v16, v15
	v_div_scale_f32 v16, vcc_lo, v8, v9, v8
	v_mul_f32_e32 v17, v16, v15
	s_delay_alu instid0(VALU_DEP_1) | instskip(NEXT) | instid1(VALU_DEP_1)
	v_fma_f32 v18, -v14, v17, v16
	v_fmac_f32_e32 v17, v18, v15
	s_delay_alu instid0(VALU_DEP_1) | instskip(NEXT) | instid1(VALU_DEP_1)
	v_fma_f32 v14, -v14, v17, v16
	v_div_fmas_f32 v14, v14, v15, v17
                                        ; implicit-def: $vgpr15
	s_delay_alu instid0(VALU_DEP_1)
	v_div_fixup_f32 v14, v14, v9, v8
                                        ; implicit-def: $vgpr9
                                        ; implicit-def: $vgpr8
	s_and_not1_saveexec_b32 s15, s15
	s_cbranch_execnz .LBB227_76
.LBB227_73:
	s_or_b32 exec_lo, exec_lo, s15
	s_and_saveexec_b32 s1, s0
	s_delay_alu instid0(SALU_CYCLE_1)
	s_xor_b32 s0, exec_lo, s1
	s_cbranch_execz .LBB227_77
.LBB227_74:
	v_dual_mul_f32 v8, 0.5, v13 :: v_dual_mul_f32 v9, 0.5, v14
	s_delay_alu instid0(VALU_DEP_1) | instskip(NEXT) | instid1(VALU_DEP_2)
	v_cndmask_b32_e64 v8, v13, v8, s14
	v_cndmask_b32_e64 v9, v14, v9, s14
                                        ; implicit-def: $vgpr13
                                        ; implicit-def: $vgpr14
	s_and_not1_saveexec_b32 s0, s0
	s_cbranch_execnz .LBB227_78
	s_branch .LBB227_79
.LBB227_75:
	s_and_not1_saveexec_b32 s15, s15
	s_cbranch_execz .LBB227_73
.LBB227_76:
	v_sub_f32_e32 v9, v15, v9
	s_delay_alu instid0(VALU_DEP_1) | instskip(NEXT) | instid1(VALU_DEP_1)
	v_mul_f32_e32 v9, 0.5, v9
	v_mul_f32_e32 v13, 0x4f800000, v9
	v_cmp_gt_f32_e32 vcc_lo, 0xf800000, v9
	s_delay_alu instid0(VALU_DEP_2) | instskip(NEXT) | instid1(VALU_DEP_1)
	v_cndmask_b32_e32 v9, v9, v13, vcc_lo
	v_sqrt_f32_e32 v13, v9
	s_waitcnt_depctr 0xfff
	v_add_nc_u32_e32 v14, -1, v13
	v_add_nc_u32_e32 v15, 1, v13
	s_delay_alu instid0(VALU_DEP_2) | instskip(NEXT) | instid1(VALU_DEP_2)
	v_fma_f32 v16, -v14, v13, v9
	v_fma_f32 v17, -v15, v13, v9
	s_delay_alu instid0(VALU_DEP_2) | instskip(NEXT) | instid1(VALU_DEP_1)
	v_cmp_ge_f32_e64 s1, 0, v16
	v_cndmask_b32_e64 v13, v13, v14, s1
	s_delay_alu instid0(VALU_DEP_3) | instskip(NEXT) | instid1(VALU_DEP_1)
	v_cmp_lt_f32_e64 s1, 0, v17
	v_cndmask_b32_e64 v13, v13, v15, s1
	s_delay_alu instid0(VALU_DEP_1) | instskip(NEXT) | instid1(VALU_DEP_1)
	v_mul_f32_e32 v14, 0x37800000, v13
	v_cndmask_b32_e32 v13, v13, v14, vcc_lo
	v_cmp_class_f32_e64 vcc_lo, v9, 0x260
	s_delay_alu instid0(VALU_DEP_2) | instskip(NEXT) | instid1(VALU_DEP_1)
	v_cndmask_b32_e32 v9, v13, v9, vcc_lo
	v_dual_add_f32 v14, v9, v9 :: v_dual_and_b32 v13, 0x7fffffff, v8
	s_delay_alu instid0(VALU_DEP_1) | instskip(SKIP_1) | instid1(VALU_DEP_2)
	v_div_scale_f32 v15, null, v14, v14, v13
	v_div_scale_f32 v13, vcc_lo, v13, v14, v13
	v_rcp_f32_e32 v16, v15
	s_waitcnt_depctr 0xfff
	v_fma_f32 v17, -v15, v16, 1.0
	s_delay_alu instid0(VALU_DEP_1) | instskip(NEXT) | instid1(VALU_DEP_1)
	v_fmac_f32_e32 v16, v17, v16
	v_mul_f32_e32 v17, v13, v16
	s_delay_alu instid0(VALU_DEP_1) | instskip(NEXT) | instid1(VALU_DEP_1)
	v_fma_f32 v18, -v15, v17, v13
	v_fmac_f32_e32 v17, v18, v16
	s_delay_alu instid0(VALU_DEP_1) | instskip(NEXT) | instid1(VALU_DEP_1)
	v_fma_f32 v13, -v15, v17, v13
	v_div_fmas_f32 v13, v13, v16, v17
	s_delay_alu instid0(VALU_DEP_1) | instskip(SKIP_3) | instid1(SALU_CYCLE_1)
	v_div_fixup_f32 v13, v13, v14, |v8|
	v_bfi_b32 v14, 0x7fffffff, v9, v8
	s_or_b32 exec_lo, exec_lo, s15
	s_and_saveexec_b32 s1, s0
	s_xor_b32 s0, exec_lo, s1
	s_cbranch_execnz .LBB227_74
.LBB227_77:
	s_and_not1_saveexec_b32 s0, s0
.LBB227_78:
	v_dual_add_f32 v8, v13, v13 :: v_dual_add_f32 v9, v14, v14
.LBB227_79:
	s_or_b32 exec_lo, exec_lo, s0
.LBB227_80:
	s_and_not1_saveexec_b32 s0, s13
	s_cbranch_execz .LBB227_86
; %bb.81:
	v_sub_f32_e32 v13, v5, v5
	s_mov_b32 s1, exec_lo
	v_cmpx_lt_i32_e32 -1, v4
	s_xor_b32 s1, exec_lo, s1
; %bb.82:
	s_delay_alu instid0(VALU_DEP_2)
	v_bfi_b32 v9, 0x7fffffff, v13, v5
                                        ; implicit-def: $vgpr13
; %bb.83:
	s_or_saveexec_b32 s1, s1
	v_mov_b32_e32 v8, v4
	s_xor_b32 exec_lo, exec_lo, s1
; %bb.84:
	v_and_b32_e32 v8, 0x7fffffff, v13
	v_bfi_b32 v9, 0x7fffffff, v4, v5
; %bb.85:
	s_or_b32 exec_lo, exec_lo, s1
.LBB227_86:
	s_delay_alu instid0(SALU_CYCLE_1)
	s_or_b32 exec_lo, exec_lo, s0
.LBB227_87:
	s_and_not1_saveexec_b32 s0, s12
	s_cbranch_execz .LBB227_89
; %bb.88:
	v_sub_f32_e32 v5, v5, v5
	s_delay_alu instid0(VALU_DEP_1) | instskip(NEXT) | instid1(VALU_DEP_1)
	v_div_scale_f32 v8, vcc_lo, v5, v5, v5
	v_rcp_f32_e32 v9, v8
	s_waitcnt_depctr 0xfff
	v_fma_f32 v13, -v8, v9, 1.0
	s_delay_alu instid0(VALU_DEP_1) | instskip(NEXT) | instid1(VALU_DEP_1)
	v_fmac_f32_e32 v9, v13, v9
	v_mul_f32_e32 v13, v8, v9
	s_delay_alu instid0(VALU_DEP_1) | instskip(NEXT) | instid1(VALU_DEP_1)
	v_fma_f32 v14, -v8, v13, v8
	v_fmac_f32_e32 v13, v14, v9
	s_delay_alu instid0(VALU_DEP_1) | instskip(NEXT) | instid1(VALU_DEP_1)
	v_fma_f32 v8, -v8, v13, v8
	v_div_fmas_f32 v8, v8, v9, v13
	s_delay_alu instid0(VALU_DEP_1)
	v_div_fixup_f32 v9, v8, v5, v5
	v_mov_b32_e32 v8, v4
.LBB227_89:
	s_or_b32 exec_lo, exec_lo, s0
.LBB227_90:
	s_delay_alu instid0(SALU_CYCLE_1)
	s_or_b32 exec_lo, exec_lo, s11
.LBB227_91:
	s_delay_alu instid0(SALU_CYCLE_1) | instskip(SKIP_2) | instid1(VALU_DEP_1)
	s_or_b32 exec_lo, exec_lo, s9
	v_cmp_neq_f32_e32 vcc_lo, 0, v6
	v_cmp_neq_f32_e64 s0, 0, v7
	s_or_b32 s0, vcc_lo, s0
	s_delay_alu instid0(SALU_CYCLE_1)
	s_and_saveexec_b32 s9, s0
	s_cbranch_execz .LBB227_121
; %bb.92:
	v_mov_b32_e32 v10, 0x7f800000
	s_mov_b32 s11, exec_lo
	v_cmpx_neq_f32_e64 0x7f800000, |v7|
	s_cbranch_execz .LBB227_120
; %bb.93:
	s_mov_b32 s0, exec_lo
	v_cmpx_o_f32_e32 v6, v6
	s_xor_b32 s12, exec_lo, s0
	s_cbranch_execz .LBB227_117
; %bb.94:
	s_mov_b32 s1, exec_lo
	v_cmpx_neq_f32_e64 0x7f800000, |v6|
	s_xor_b32 s13, exec_lo, s1
	s_cbranch_execz .LBB227_110
; %bb.95:
	v_max_f32_e64 v4, |v7|, |v7|
	v_max_f32_e64 v5, |v6|, |v6|
                                        ; implicit-def: $sgpr14
	s_delay_alu instid0(VALU_DEP_1) | instskip(NEXT) | instid1(VALU_DEP_1)
	v_max_f32_e32 v4, v5, v4
	v_cmp_nle_f32_e64 s0, 0x7ed413cb, v4
	s_delay_alu instid0(VALU_DEP_1) | instskip(NEXT) | instid1(SALU_CYCLE_1)
	s_and_saveexec_b32 s1, s0
	s_xor_b32 s1, exec_lo, s1
	s_cbranch_execz .LBB227_99
; %bb.96:
	v_cmp_ge_f32_e64 s14, 0x1000000, |v6|
	v_cmp_ge_f32_e64 s15, 0x1000000, |v7|
	s_delay_alu instid0(VALU_DEP_1)
	s_and_b32 s16, s14, s15
	s_mov_b32 s14, 0
	s_and_saveexec_b32 s15, s16
; %bb.97:
	v_dual_mul_f32 v7, 4.0, v7 :: v_dual_mul_f32 v6, 4.0, v6
	s_mov_b32 s14, exec_lo
; %bb.98:
	s_or_b32 exec_lo, exec_lo, s15
	s_delay_alu instid0(SALU_CYCLE_1)
	s_and_b32 s14, s14, exec_lo
.LBB227_99:
	s_and_not1_saveexec_b32 s1, s1
; %bb.100:
	v_dual_mul_f32 v6, 0x3e800000, v6 :: v_dual_mul_f32 v7, 0x3e800000, v7
	s_and_not1_b32 s14, s14, exec_lo
; %bb.101:
	s_or_b32 exec_lo, exec_lo, s1
	s_delay_alu instid0(VALU_DEP_1) | instskip(NEXT) | instid1(VALU_DEP_2)
	v_max_f32_e64 v4, |v7|, |v7|
	v_max_f32_e64 v5, |v6|, |v6|
	s_delay_alu instid0(VALU_DEP_1) | instskip(NEXT) | instid1(VALU_DEP_1)
	v_max_f32_e32 v10, v5, v4
	v_cvt_f64_f32_e32 v[4:5], v10
	v_cmp_neq_f32_e64 s1, 0x7f800000, v10
	s_delay_alu instid0(VALU_DEP_2) | instskip(NEXT) | instid1(VALU_DEP_1)
	v_frexp_exp_i32_f64_e32 v4, v[4:5]
	v_sub_nc_u32_e32 v5, 0, v4
	s_delay_alu instid0(VALU_DEP_1) | instskip(SKIP_1) | instid1(VALU_DEP_2)
	v_ldexp_f32 v13, |v7|, v5
	v_ldexp_f32 v5, |v6|, v5
	v_mul_f32_e32 v13, v13, v13
	s_delay_alu instid0(VALU_DEP_1) | instskip(NEXT) | instid1(VALU_DEP_1)
	v_fmac_f32_e32 v13, v5, v5
	v_sqrt_f32_e32 v5, v13
	s_waitcnt_depctr 0xfff
	v_ldexp_f32 v4, v5, v4
                                        ; implicit-def: $vgpr5
	s_delay_alu instid0(VALU_DEP_1)
	v_cndmask_b32_e64 v10, 0x7f800000, v4, s1
                                        ; implicit-def: $vgpr4
	s_mov_b32 s1, exec_lo
	v_cmpx_le_f32_e32 0, v6
	s_xor_b32 s15, exec_lo, s1
	s_cbranch_execz .LBB227_103
; %bb.102:
	v_add_f32_e32 v4, v6, v10
	s_delay_alu instid0(VALU_DEP_1) | instskip(NEXT) | instid1(VALU_DEP_1)
	v_mul_f32_e32 v4, 0.5, v4
	v_mul_f32_e32 v5, 0x4f800000, v4
	v_cmp_gt_f32_e32 vcc_lo, 0xf800000, v4
	s_delay_alu instid0(VALU_DEP_2) | instskip(NEXT) | instid1(VALU_DEP_1)
	v_cndmask_b32_e32 v4, v4, v5, vcc_lo
	v_sqrt_f32_e32 v5, v4
	s_waitcnt_depctr 0xfff
	v_add_nc_u32_e32 v6, -1, v5
	v_add_nc_u32_e32 v10, 1, v5
	s_delay_alu instid0(VALU_DEP_2) | instskip(NEXT) | instid1(VALU_DEP_2)
	v_fma_f32 v13, -v6, v5, v4
	v_fma_f32 v14, -v10, v5, v4
	s_delay_alu instid0(VALU_DEP_2) | instskip(NEXT) | instid1(VALU_DEP_1)
	v_cmp_ge_f32_e64 s1, 0, v13
	v_cndmask_b32_e64 v5, v5, v6, s1
	s_delay_alu instid0(VALU_DEP_3) | instskip(NEXT) | instid1(VALU_DEP_1)
	v_cmp_lt_f32_e64 s1, 0, v14
	v_cndmask_b32_e64 v5, v5, v10, s1
	s_delay_alu instid0(VALU_DEP_1) | instskip(NEXT) | instid1(VALU_DEP_1)
	v_mul_f32_e32 v6, 0x37800000, v5
	v_cndmask_b32_e32 v5, v5, v6, vcc_lo
	v_cmp_class_f32_e64 vcc_lo, v4, 0x260
	s_delay_alu instid0(VALU_DEP_2) | instskip(NEXT) | instid1(VALU_DEP_1)
	v_cndmask_b32_e32 v4, v5, v4, vcc_lo
	v_add_f32_e32 v5, v4, v4
	s_delay_alu instid0(VALU_DEP_1) | instskip(NEXT) | instid1(VALU_DEP_1)
	v_div_scale_f32 v6, null, v5, v5, v7
	v_rcp_f32_e32 v10, v6
	s_waitcnt_depctr 0xfff
	v_fma_f32 v13, -v6, v10, 1.0
	s_delay_alu instid0(VALU_DEP_1) | instskip(SKIP_1) | instid1(VALU_DEP_1)
	v_fmac_f32_e32 v10, v13, v10
	v_div_scale_f32 v13, vcc_lo, v7, v5, v7
	v_mul_f32_e32 v14, v13, v10
	s_delay_alu instid0(VALU_DEP_1) | instskip(NEXT) | instid1(VALU_DEP_1)
	v_fma_f32 v15, -v6, v14, v13
	v_fmac_f32_e32 v14, v15, v10
	s_delay_alu instid0(VALU_DEP_1) | instskip(NEXT) | instid1(VALU_DEP_1)
	v_fma_f32 v6, -v6, v14, v13
	v_div_fmas_f32 v6, v6, v10, v14
                                        ; implicit-def: $vgpr10
	s_delay_alu instid0(VALU_DEP_1)
	v_div_fixup_f32 v5, v6, v5, v7
                                        ; implicit-def: $vgpr6
	s_and_not1_saveexec_b32 s15, s15
	s_cbranch_execz .LBB227_105
	s_branch .LBB227_104
.LBB227_103:
	s_and_not1_saveexec_b32 s15, s15
	s_cbranch_execz .LBB227_105
.LBB227_104:
	v_sub_f32_e32 v4, v10, v6
	s_delay_alu instid0(VALU_DEP_1) | instskip(NEXT) | instid1(VALU_DEP_1)
	v_mul_f32_e32 v4, 0.5, v4
	v_mul_f32_e32 v5, 0x4f800000, v4
	v_cmp_gt_f32_e32 vcc_lo, 0xf800000, v4
	s_delay_alu instid0(VALU_DEP_2) | instskip(NEXT) | instid1(VALU_DEP_1)
	v_cndmask_b32_e32 v4, v4, v5, vcc_lo
	v_sqrt_f32_e32 v5, v4
	s_waitcnt_depctr 0xfff
	v_add_nc_u32_e32 v6, -1, v5
	v_add_nc_u32_e32 v10, 1, v5
	s_delay_alu instid0(VALU_DEP_2) | instskip(NEXT) | instid1(VALU_DEP_2)
	v_fma_f32 v13, -v6, v5, v4
	v_fma_f32 v14, -v10, v5, v4
	s_delay_alu instid0(VALU_DEP_2) | instskip(NEXT) | instid1(VALU_DEP_1)
	v_cmp_ge_f32_e64 s1, 0, v13
	v_cndmask_b32_e64 v5, v5, v6, s1
	s_delay_alu instid0(VALU_DEP_3) | instskip(NEXT) | instid1(VALU_DEP_1)
	v_cmp_lt_f32_e64 s1, 0, v14
	v_cndmask_b32_e64 v5, v5, v10, s1
	s_delay_alu instid0(VALU_DEP_1) | instskip(NEXT) | instid1(VALU_DEP_1)
	v_mul_f32_e32 v6, 0x37800000, v5
	v_cndmask_b32_e32 v5, v5, v6, vcc_lo
	v_cmp_class_f32_e64 vcc_lo, v4, 0x260
	s_delay_alu instid0(VALU_DEP_2) | instskip(NEXT) | instid1(VALU_DEP_1)
	v_dual_cndmask_b32 v5, v5, v4 :: v_dual_and_b32 v4, 0x7fffffff, v7
	v_add_f32_e32 v6, v5, v5
	v_bfi_b32 v5, 0x7fffffff, v5, v7
	s_delay_alu instid0(VALU_DEP_2) | instskip(NEXT) | instid1(VALU_DEP_1)
	v_div_scale_f32 v10, null, v6, v6, v4
	v_rcp_f32_e32 v13, v10
	s_waitcnt_depctr 0xfff
	v_fma_f32 v14, -v10, v13, 1.0
	s_delay_alu instid0(VALU_DEP_1) | instskip(SKIP_1) | instid1(VALU_DEP_1)
	v_fmac_f32_e32 v13, v14, v13
	v_div_scale_f32 v4, vcc_lo, v4, v6, v4
	v_mul_f32_e32 v14, v4, v13
	s_delay_alu instid0(VALU_DEP_1) | instskip(NEXT) | instid1(VALU_DEP_1)
	v_fma_f32 v15, -v10, v14, v4
	v_fmac_f32_e32 v14, v15, v13
	s_delay_alu instid0(VALU_DEP_1) | instskip(NEXT) | instid1(VALU_DEP_1)
	v_fma_f32 v4, -v10, v14, v4
	v_div_fmas_f32 v4, v4, v13, v14
	s_delay_alu instid0(VALU_DEP_1)
	v_div_fixup_f32 v4, v4, v6, |v7|
.LBB227_105:
	s_or_b32 exec_lo, exec_lo, s15
                                        ; implicit-def: $vgpr7
	s_and_saveexec_b32 s1, s0
	s_delay_alu instid0(SALU_CYCLE_1)
	s_xor_b32 s0, exec_lo, s1
	s_cbranch_execz .LBB227_107
; %bb.106:
	v_dual_mul_f32 v6, 0.5, v4 :: v_dual_mul_f32 v7, 0.5, v5
	s_delay_alu instid0(VALU_DEP_1) | instskip(NEXT) | instid1(VALU_DEP_2)
	v_cndmask_b32_e64 v6, v4, v6, s14
	v_cndmask_b32_e64 v7, v5, v7, s14
                                        ; implicit-def: $vgpr4
                                        ; implicit-def: $vgpr5
	s_and_not1_saveexec_b32 s0, s0
	s_cbranch_execnz .LBB227_108
	s_branch .LBB227_109
.LBB227_107:
	s_and_not1_saveexec_b32 s0, s0
.LBB227_108:
	v_dual_add_f32 v6, v4, v4 :: v_dual_add_f32 v7, v5, v5
.LBB227_109:
	s_or_b32 exec_lo, exec_lo, s0
.LBB227_110:
	s_and_not1_saveexec_b32 s0, s13
	s_cbranch_execz .LBB227_116
; %bb.111:
	s_delay_alu instid0(VALU_DEP_1)
	v_sub_f32_e32 v4, v7, v7
	s_mov_b32 s1, exec_lo
	v_cmpx_lt_i32_e32 -1, v6
	s_xor_b32 s1, exec_lo, s1
; %bb.112:
	s_delay_alu instid0(VALU_DEP_2)
	v_bfi_b32 v7, 0x7fffffff, v4, v7
                                        ; implicit-def: $vgpr4
; %bb.113:
	s_and_not1_saveexec_b32 s1, s1
; %bb.114:
	v_and_b32_e32 v4, 0x7fffffff, v4
	s_delay_alu instid0(VALU_DEP_2) | instskip(NEXT) | instid1(VALU_DEP_2)
	v_bfi_b32 v7, 0x7fffffff, v6, v7
	v_mov_b32_e32 v6, v4
; %bb.115:
	s_or_b32 exec_lo, exec_lo, s1
.LBB227_116:
	s_delay_alu instid0(SALU_CYCLE_1)
	s_or_b32 exec_lo, exec_lo, s0
.LBB227_117:
	s_and_not1_saveexec_b32 s0, s12
; %bb.118:
	v_sub_f32_e32 v4, v7, v7
	s_delay_alu instid0(VALU_DEP_1) | instskip(NEXT) | instid1(VALU_DEP_1)
	v_div_scale_f32 v5, vcc_lo, v4, v4, v4
	v_rcp_f32_e32 v7, v5
	s_waitcnt_depctr 0xfff
	v_fma_f32 v10, -v5, v7, 1.0
	s_delay_alu instid0(VALU_DEP_1) | instskip(NEXT) | instid1(VALU_DEP_1)
	v_fmac_f32_e32 v7, v10, v7
	v_mul_f32_e32 v10, v5, v7
	s_delay_alu instid0(VALU_DEP_1) | instskip(NEXT) | instid1(VALU_DEP_1)
	v_fma_f32 v13, -v5, v10, v5
	v_fmac_f32_e32 v10, v13, v7
	s_delay_alu instid0(VALU_DEP_1) | instskip(NEXT) | instid1(VALU_DEP_1)
	v_fma_f32 v5, -v5, v10, v5
	v_div_fmas_f32 v5, v5, v7, v10
	s_delay_alu instid0(VALU_DEP_1)
	v_div_fixup_f32 v7, v5, v4, v4
; %bb.119:
	s_or_b32 exec_lo, exec_lo, s0
	v_mov_b32_e32 v10, v6
.LBB227_120:
	s_or_b32 exec_lo, exec_lo, s11
.LBB227_121:
	s_delay_alu instid0(SALU_CYCLE_1)
	s_or_b32 exec_lo, exec_lo, s9
	v_mov_b32_e32 v4, v11
	v_mov_b32_e32 v11, v7
	s_add_u32 s2, s4, s2
	s_addc_u32 s3, s5, s3
	s_mov_b32 s0, 0
	s_clause 0x1
	global_store_b128 v12, v[1:4], s[2:3]
	global_store_b128 v12, v[8:11], s[2:3] offset:16
.LBB227_122:
	s_and_b32 vcc_lo, exec_lo, s0
	s_cbranch_vccz .LBB227_267
; %bb.123:
	v_cmp_gt_i32_e64 s0, s10, v0
	v_dual_mov_b32 v11, 0 :: v_dual_mov_b32 v12, 0
	v_or_b32_e32 v1, s8, v0
	v_or_b32_e32 v14, 0x100, v0
	v_dual_mov_b32 v13, 0 :: v_dual_mov_b32 v4, v0
	s_and_saveexec_b32 s1, s0
	s_cbranch_execz .LBB227_125
; %bb.124:
	v_mov_b32_e32 v2, 0
	v_or_b32_e32 v4, 0x100, v0
	s_delay_alu instid0(VALU_DEP_2) | instskip(NEXT) | instid1(VALU_DEP_1)
	v_lshlrev_b64 v[2:3], 3, v[1:2]
	v_add_co_u32 v2, vcc_lo, s6, v2
	s_delay_alu instid0(VALU_DEP_2)
	v_add_co_ci_u32_e32 v3, vcc_lo, s7, v3, vcc_lo
	global_load_b64 v[12:13], v[2:3], off
.LBB227_125:
	s_or_b32 exec_lo, exec_lo, s1
	v_mov_b32_e32 v10, 0
	s_mov_b32 s1, exec_lo
	v_cmpx_gt_i32_e64 s10, v4
	s_cbranch_execz .LBB227_127
; %bb.126:
	v_dual_mov_b32 v3, 0 :: v_dual_add_nc_u32 v2, s8, v4
	v_add_nc_u32_e32 v4, 0x100, v4
	s_delay_alu instid0(VALU_DEP_2) | instskip(NEXT) | instid1(VALU_DEP_1)
	v_lshlrev_b64 v[2:3], 3, v[2:3]
	v_add_co_u32 v2, vcc_lo, s6, v2
	s_delay_alu instid0(VALU_DEP_2)
	v_add_co_ci_u32_e32 v3, vcc_lo, s7, v3, vcc_lo
	global_load_b64 v[10:11], v[2:3], off
.LBB227_127:
	s_or_b32 exec_lo, exec_lo, s1
	v_dual_mov_b32 v3, 0 :: v_dual_mov_b32 v8, 0
	v_mov_b32_e32 v9, 0
	s_mov_b32 s1, exec_lo
	v_cmpx_gt_i32_e64 s10, v4
	s_cbranch_execz .LBB227_129
; %bb.128:
	v_dual_mov_b32 v6, 0 :: v_dual_add_nc_u32 v5, s8, v4
	v_add_nc_u32_e32 v4, 0x100, v4
	s_delay_alu instid0(VALU_DEP_2) | instskip(NEXT) | instid1(VALU_DEP_1)
	v_lshlrev_b64 v[5:6], 3, v[5:6]
	v_add_co_u32 v5, vcc_lo, s6, v5
	s_delay_alu instid0(VALU_DEP_2)
	v_add_co_ci_u32_e32 v6, vcc_lo, s7, v6, vcc_lo
	global_load_b64 v[8:9], v[5:6], off
.LBB227_129:
	s_or_b32 exec_lo, exec_lo, s1
	v_mov_b32_e32 v2, 0
	s_mov_b32 s1, exec_lo
	v_cmpx_gt_i32_e64 s10, v4
	s_cbranch_execz .LBB227_131
; %bb.130:
	v_dual_mov_b32 v3, 0 :: v_dual_add_nc_u32 v2, s8, v4
	s_delay_alu instid0(VALU_DEP_1) | instskip(NEXT) | instid1(VALU_DEP_1)
	v_lshlrev_b64 v[2:3], 3, v[2:3]
	v_add_co_u32 v2, vcc_lo, s6, v2
	s_delay_alu instid0(VALU_DEP_2)
	v_add_co_ci_u32_e32 v3, vcc_lo, s7, v3, vcc_lo
	global_load_b64 v[2:3], v[2:3], off
.LBB227_131:
	s_or_b32 exec_lo, exec_lo, s1
	v_dual_mov_b32 v5, 0 :: v_dual_mov_b32 v6, 0
	v_mov_b32_e32 v7, 0
	s_and_saveexec_b32 s3, s0
	s_cbranch_execz .LBB227_163
; %bb.132:
	s_waitcnt vmcnt(0)
	v_cmp_neq_f32_e32 vcc_lo, 0, v12
	v_cmp_neq_f32_e64 s1, 0, v13
	v_mov_b32_e32 v6, 0
	s_delay_alu instid0(VALU_DEP_2) | instskip(NEXT) | instid1(SALU_CYCLE_1)
	s_or_b32 s1, vcc_lo, s1
	s_and_saveexec_b32 s6, s1
	s_cbranch_execz .LBB227_162
; %bb.133:
	v_mov_b32_e32 v6, 0x7f800000
	s_mov_b32 s7, exec_lo
	v_cmpx_neq_f32_e64 0x7f800000, |v13|
	s_cbranch_execz .LBB227_161
; %bb.134:
	s_mov_b32 s1, exec_lo
	v_cmpx_o_f32_e32 v12, v12
	s_xor_b32 s9, exec_lo, s1
	s_cbranch_execz .LBB227_158
; %bb.135:
	s_mov_b32 s2, exec_lo
	v_cmpx_neq_f32_e64 0x7f800000, |v12|
	s_xor_b32 s11, exec_lo, s2
	s_cbranch_execz .LBB227_151
; %bb.136:
	v_max_f32_e64 v4, |v12|, |v12|
	v_max_f32_e64 v6, |v13|, |v13|
                                        ; implicit-def: $sgpr12
	s_delay_alu instid0(VALU_DEP_1) | instskip(NEXT) | instid1(VALU_DEP_1)
	v_max_f32_e32 v4, v6, v4
	v_cmp_nle_f32_e64 s1, 0x7ed413cb, v4
	s_delay_alu instid0(VALU_DEP_1) | instskip(NEXT) | instid1(SALU_CYCLE_1)
	s_and_saveexec_b32 s2, s1
	s_xor_b32 s2, exec_lo, s2
	s_cbranch_execz .LBB227_140
; %bb.137:
	v_cmp_ge_f32_e64 s12, 0x1000000, |v12|
	v_cmp_ge_f32_e64 s13, 0x1000000, |v13|
	s_delay_alu instid0(VALU_DEP_1)
	s_and_b32 s14, s13, s12
	s_mov_b32 s12, 0
	s_and_saveexec_b32 s13, s14
; %bb.138:
	v_dual_mul_f32 v13, 4.0, v13 :: v_dual_mul_f32 v12, 4.0, v12
	s_mov_b32 s12, exec_lo
; %bb.139:
	s_or_b32 exec_lo, exec_lo, s13
	s_delay_alu instid0(SALU_CYCLE_1)
	s_and_b32 s12, s12, exec_lo
.LBB227_140:
	s_and_not1_saveexec_b32 s2, s2
; %bb.141:
	v_dual_mul_f32 v12, 0x3e800000, v12 :: v_dual_mul_f32 v13, 0x3e800000, v13
	s_and_not1_b32 s12, s12, exec_lo
; %bb.142:
	s_or_b32 exec_lo, exec_lo, s2
	s_delay_alu instid0(VALU_DEP_1) | instskip(NEXT) | instid1(VALU_DEP_2)
	v_max_f32_e64 v4, |v13|, |v13|
	v_max_f32_e64 v6, |v12|, |v12|
	s_delay_alu instid0(VALU_DEP_1) | instskip(NEXT) | instid1(VALU_DEP_1)
	v_max_f32_e32 v4, v6, v4
	v_cvt_f64_f32_e32 v[6:7], v4
	s_delay_alu instid0(VALU_DEP_1) | instskip(NEXT) | instid1(VALU_DEP_1)
	v_frexp_exp_i32_f64_e32 v6, v[6:7]
	v_sub_nc_u32_e32 v7, 0, v6
	s_delay_alu instid0(VALU_DEP_1) | instskip(SKIP_1) | instid1(VALU_DEP_2)
	v_ldexp_f32 v15, |v13|, v7
	v_ldexp_f32 v7, |v12|, v7
	v_mul_f32_e32 v15, v15, v15
	v_cmp_neq_f32_e64 s2, 0x7f800000, v4
                                        ; implicit-def: $vgpr4
	s_delay_alu instid0(VALU_DEP_2) | instskip(NEXT) | instid1(VALU_DEP_1)
	v_fmac_f32_e32 v15, v7, v7
	v_sqrt_f32_e32 v7, v15
	s_waitcnt_depctr 0xfff
	v_ldexp_f32 v6, v7, v6
	s_delay_alu instid0(VALU_DEP_1)
	v_cndmask_b32_e64 v7, 0x7f800000, v6, s2
                                        ; implicit-def: $vgpr6
	s_mov_b32 s2, exec_lo
	v_cmpx_le_f32_e32 0, v12
	s_xor_b32 s13, exec_lo, s2
	s_cbranch_execz .LBB227_144
; %bb.143:
	v_add_f32_e32 v4, v12, v7
	s_delay_alu instid0(VALU_DEP_1) | instskip(NEXT) | instid1(VALU_DEP_1)
	v_mul_f32_e32 v4, 0.5, v4
	v_mul_f32_e32 v6, 0x4f800000, v4
	v_cmp_gt_f32_e32 vcc_lo, 0xf800000, v4
	s_delay_alu instid0(VALU_DEP_2) | instskip(NEXT) | instid1(VALU_DEP_1)
	v_cndmask_b32_e32 v4, v4, v6, vcc_lo
	v_sqrt_f32_e32 v6, v4
	s_waitcnt_depctr 0xfff
	v_add_nc_u32_e32 v7, -1, v6
	v_add_nc_u32_e32 v12, 1, v6
	s_delay_alu instid0(VALU_DEP_2) | instskip(NEXT) | instid1(VALU_DEP_2)
	v_fma_f32 v15, -v7, v6, v4
	v_fma_f32 v16, -v12, v6, v4
	s_delay_alu instid0(VALU_DEP_2) | instskip(NEXT) | instid1(VALU_DEP_1)
	v_cmp_ge_f32_e64 s2, 0, v15
	v_cndmask_b32_e64 v6, v6, v7, s2
	s_delay_alu instid0(VALU_DEP_3) | instskip(NEXT) | instid1(VALU_DEP_1)
	v_cmp_lt_f32_e64 s2, 0, v16
	v_cndmask_b32_e64 v6, v6, v12, s2
	s_delay_alu instid0(VALU_DEP_1) | instskip(NEXT) | instid1(VALU_DEP_1)
	v_mul_f32_e32 v7, 0x37800000, v6
	v_cndmask_b32_e32 v6, v6, v7, vcc_lo
	v_cmp_class_f32_e64 vcc_lo, v4, 0x260
	s_delay_alu instid0(VALU_DEP_2) | instskip(NEXT) | instid1(VALU_DEP_1)
	v_cndmask_b32_e32 v4, v6, v4, vcc_lo
	v_add_f32_e32 v6, v4, v4
	s_delay_alu instid0(VALU_DEP_1) | instskip(NEXT) | instid1(VALU_DEP_1)
	v_div_scale_f32 v7, null, v6, v6, v13
	v_rcp_f32_e32 v12, v7
	s_waitcnt_depctr 0xfff
	v_fma_f32 v15, -v7, v12, 1.0
	s_delay_alu instid0(VALU_DEP_1) | instskip(SKIP_1) | instid1(VALU_DEP_1)
	v_fmac_f32_e32 v12, v15, v12
	v_div_scale_f32 v15, vcc_lo, v13, v6, v13
	v_mul_f32_e32 v16, v15, v12
	s_delay_alu instid0(VALU_DEP_1) | instskip(NEXT) | instid1(VALU_DEP_1)
	v_fma_f32 v17, -v7, v16, v15
	v_fmac_f32_e32 v16, v17, v12
	s_delay_alu instid0(VALU_DEP_1) | instskip(NEXT) | instid1(VALU_DEP_1)
	v_fma_f32 v7, -v7, v16, v15
	v_div_fmas_f32 v7, v7, v12, v16
                                        ; implicit-def: $vgpr12
	s_delay_alu instid0(VALU_DEP_1)
	v_div_fixup_f32 v6, v7, v6, v13
                                        ; implicit-def: $vgpr7
	s_and_not1_saveexec_b32 s13, s13
	s_cbranch_execz .LBB227_146
	s_branch .LBB227_145
.LBB227_144:
	s_and_not1_saveexec_b32 s13, s13
	s_cbranch_execz .LBB227_146
.LBB227_145:
	v_sub_f32_e32 v4, v7, v12
	s_delay_alu instid0(VALU_DEP_1) | instskip(NEXT) | instid1(VALU_DEP_1)
	v_mul_f32_e32 v4, 0.5, v4
	v_mul_f32_e32 v6, 0x4f800000, v4
	v_cmp_gt_f32_e32 vcc_lo, 0xf800000, v4
	s_delay_alu instid0(VALU_DEP_2) | instskip(NEXT) | instid1(VALU_DEP_1)
	v_cndmask_b32_e32 v4, v4, v6, vcc_lo
	v_sqrt_f32_e32 v6, v4
	s_waitcnt_depctr 0xfff
	v_add_nc_u32_e32 v7, -1, v6
	v_add_nc_u32_e32 v12, 1, v6
	s_delay_alu instid0(VALU_DEP_2) | instskip(NEXT) | instid1(VALU_DEP_2)
	v_fma_f32 v15, -v7, v6, v4
	v_fma_f32 v16, -v12, v6, v4
	s_delay_alu instid0(VALU_DEP_2) | instskip(NEXT) | instid1(VALU_DEP_1)
	v_cmp_ge_f32_e64 s2, 0, v15
	v_cndmask_b32_e64 v6, v6, v7, s2
	s_delay_alu instid0(VALU_DEP_3) | instskip(NEXT) | instid1(VALU_DEP_1)
	v_cmp_lt_f32_e64 s2, 0, v16
	v_cndmask_b32_e64 v6, v6, v12, s2
	s_delay_alu instid0(VALU_DEP_1) | instskip(NEXT) | instid1(VALU_DEP_1)
	v_mul_f32_e32 v7, 0x37800000, v6
	v_cndmask_b32_e32 v6, v6, v7, vcc_lo
	v_cmp_class_f32_e64 vcc_lo, v4, 0x260
	s_delay_alu instid0(VALU_DEP_2) | instskip(NEXT) | instid1(VALU_DEP_1)
	v_cndmask_b32_e32 v6, v6, v4, vcc_lo
	v_dual_add_f32 v7, v6, v6 :: v_dual_and_b32 v4, 0x7fffffff, v13
	v_bfi_b32 v6, 0x7fffffff, v6, v13
	s_delay_alu instid0(VALU_DEP_2) | instskip(SKIP_1) | instid1(VALU_DEP_2)
	v_div_scale_f32 v12, null, v7, v7, v4
	v_div_scale_f32 v4, vcc_lo, v4, v7, v4
	v_rcp_f32_e32 v15, v12
	s_waitcnt_depctr 0xfff
	v_fma_f32 v16, -v12, v15, 1.0
	s_delay_alu instid0(VALU_DEP_1) | instskip(NEXT) | instid1(VALU_DEP_1)
	v_fmac_f32_e32 v15, v16, v15
	v_mul_f32_e32 v16, v4, v15
	s_delay_alu instid0(VALU_DEP_1) | instskip(NEXT) | instid1(VALU_DEP_1)
	v_fma_f32 v17, -v12, v16, v4
	v_fmac_f32_e32 v16, v17, v15
	s_delay_alu instid0(VALU_DEP_1) | instskip(NEXT) | instid1(VALU_DEP_1)
	v_fma_f32 v4, -v12, v16, v4
	v_div_fmas_f32 v4, v4, v15, v16
	s_delay_alu instid0(VALU_DEP_1)
	v_div_fixup_f32 v4, v4, v7, |v13|
.LBB227_146:
	s_or_b32 exec_lo, exec_lo, s13
                                        ; implicit-def: $vgpr12
	s_and_saveexec_b32 s2, s1
	s_delay_alu instid0(SALU_CYCLE_1)
	s_xor_b32 s1, exec_lo, s2
	s_cbranch_execz .LBB227_148
; %bb.147:
	v_mul_f32_e32 v7, 0.5, v4
	v_mul_f32_e32 v13, 0.5, v6
	s_delay_alu instid0(VALU_DEP_2) | instskip(NEXT) | instid1(VALU_DEP_2)
	v_cndmask_b32_e64 v12, v4, v7, s12
	v_cndmask_b32_e64 v13, v6, v13, s12
                                        ; implicit-def: $vgpr4
                                        ; implicit-def: $vgpr6
	s_and_not1_saveexec_b32 s1, s1
	s_cbranch_execnz .LBB227_149
	s_branch .LBB227_150
.LBB227_148:
	s_and_not1_saveexec_b32 s1, s1
.LBB227_149:
	v_dual_add_f32 v12, v4, v4 :: v_dual_add_f32 v13, v6, v6
.LBB227_150:
	s_or_b32 exec_lo, exec_lo, s1
.LBB227_151:
	s_and_not1_saveexec_b32 s1, s11
	s_cbranch_execz .LBB227_157
; %bb.152:
	s_delay_alu instid0(VALU_DEP_1)
	v_sub_f32_e32 v4, v13, v13
	s_mov_b32 s2, exec_lo
	v_cmpx_lt_i32_e32 -1, v12
	s_xor_b32 s2, exec_lo, s2
; %bb.153:
	s_delay_alu instid0(VALU_DEP_2)
	v_bfi_b32 v13, 0x7fffffff, v4, v13
                                        ; implicit-def: $vgpr4
; %bb.154:
	s_and_not1_saveexec_b32 s2, s2
; %bb.155:
	v_and_b32_e32 v4, 0x7fffffff, v4
	s_delay_alu instid0(VALU_DEP_2) | instskip(NEXT) | instid1(VALU_DEP_2)
	v_bfi_b32 v13, 0x7fffffff, v12, v13
	v_mov_b32_e32 v12, v4
; %bb.156:
	s_or_b32 exec_lo, exec_lo, s2
.LBB227_157:
	s_delay_alu instid0(SALU_CYCLE_1)
	s_or_b32 exec_lo, exec_lo, s1
.LBB227_158:
	s_and_not1_saveexec_b32 s1, s9
; %bb.159:
	v_sub_f32_e32 v4, v13, v13
	s_delay_alu instid0(VALU_DEP_1) | instskip(NEXT) | instid1(VALU_DEP_1)
	v_div_scale_f32 v6, vcc_lo, v4, v4, v4
	v_rcp_f32_e32 v7, v6
	s_waitcnt_depctr 0xfff
	v_fma_f32 v13, -v6, v7, 1.0
	s_delay_alu instid0(VALU_DEP_1) | instskip(NEXT) | instid1(VALU_DEP_1)
	v_fmac_f32_e32 v7, v13, v7
	v_mul_f32_e32 v13, v6, v7
	s_delay_alu instid0(VALU_DEP_1) | instskip(NEXT) | instid1(VALU_DEP_1)
	v_fma_f32 v15, -v6, v13, v6
	v_fmac_f32_e32 v13, v15, v7
	s_delay_alu instid0(VALU_DEP_1) | instskip(NEXT) | instid1(VALU_DEP_1)
	v_fma_f32 v6, -v6, v13, v6
	v_div_fmas_f32 v6, v6, v7, v13
	s_delay_alu instid0(VALU_DEP_1)
	v_div_fixup_f32 v13, v6, v4, v4
; %bb.160:
	s_or_b32 exec_lo, exec_lo, s1
	v_mov_b32_e32 v6, v12
.LBB227_161:
	s_or_b32 exec_lo, exec_lo, s7
.LBB227_162:
	s_delay_alu instid0(SALU_CYCLE_1)
	s_or_b32 exec_lo, exec_lo, s6
	v_mov_b32_e32 v7, v13
.LBB227_163:
	s_or_b32 exec_lo, exec_lo, s3
	v_mov_b32_e32 v4, 0
	s_mov_b32 s3, exec_lo
	v_cmpx_gt_i32_e64 s10, v14
	s_cbranch_execz .LBB227_195
; %bb.164:
	s_waitcnt vmcnt(0)
	v_cmp_neq_f32_e32 vcc_lo, 0, v10
	v_cmp_neq_f32_e64 s1, 0, v11
	v_mov_b32_e32 v4, 0
	s_delay_alu instid0(VALU_DEP_2) | instskip(NEXT) | instid1(SALU_CYCLE_1)
	s_or_b32 s1, vcc_lo, s1
	s_and_saveexec_b32 s6, s1
	s_cbranch_execz .LBB227_194
; %bb.165:
	v_mov_b32_e32 v4, 0x7f800000
	s_mov_b32 s7, exec_lo
	v_cmpx_neq_f32_e64 0x7f800000, |v11|
	s_cbranch_execz .LBB227_193
; %bb.166:
	s_mov_b32 s1, exec_lo
	v_cmpx_o_f32_e32 v10, v10
	s_xor_b32 s9, exec_lo, s1
	s_cbranch_execz .LBB227_190
; %bb.167:
	s_mov_b32 s2, exec_lo
	v_cmpx_neq_f32_e64 0x7f800000, |v10|
	s_xor_b32 s11, exec_lo, s2
	s_cbranch_execz .LBB227_183
; %bb.168:
	v_max_f32_e64 v4, |v10|, |v10|
	v_max_f32_e64 v5, |v11|, |v11|
                                        ; implicit-def: $sgpr12
	s_delay_alu instid0(VALU_DEP_1) | instskip(NEXT) | instid1(VALU_DEP_1)
	v_max_f32_e32 v4, v5, v4
	v_cmp_nle_f32_e64 s1, 0x7ed413cb, v4
	s_delay_alu instid0(VALU_DEP_1) | instskip(NEXT) | instid1(SALU_CYCLE_1)
	s_and_saveexec_b32 s2, s1
	s_xor_b32 s2, exec_lo, s2
	s_cbranch_execz .LBB227_172
; %bb.169:
	v_cmp_ge_f32_e64 s12, 0x1000000, |v10|
	v_cmp_ge_f32_e64 s13, 0x1000000, |v11|
	s_delay_alu instid0(VALU_DEP_1)
	s_and_b32 s14, s13, s12
	s_mov_b32 s12, 0
	s_and_saveexec_b32 s13, s14
; %bb.170:
	v_dual_mul_f32 v11, 4.0, v11 :: v_dual_mul_f32 v10, 4.0, v10
	s_mov_b32 s12, exec_lo
; %bb.171:
	s_or_b32 exec_lo, exec_lo, s13
	s_delay_alu instid0(SALU_CYCLE_1)
	s_and_b32 s12, s12, exec_lo
.LBB227_172:
	s_and_not1_saveexec_b32 s2, s2
; %bb.173:
	v_dual_mul_f32 v10, 0x3e800000, v10 :: v_dual_mul_f32 v11, 0x3e800000, v11
	s_and_not1_b32 s12, s12, exec_lo
; %bb.174:
	s_or_b32 exec_lo, exec_lo, s2
	s_delay_alu instid0(VALU_DEP_1) | instskip(NEXT) | instid1(VALU_DEP_2)
	v_max_f32_e64 v4, |v11|, |v11|
	v_max_f32_e64 v5, |v10|, |v10|
	s_delay_alu instid0(VALU_DEP_1) | instskip(NEXT) | instid1(VALU_DEP_1)
	v_max_f32_e32 v12, v5, v4
	v_cvt_f64_f32_e32 v[4:5], v12
	v_cmp_neq_f32_e64 s2, 0x7f800000, v12
	s_delay_alu instid0(VALU_DEP_2) | instskip(NEXT) | instid1(VALU_DEP_1)
	v_frexp_exp_i32_f64_e32 v4, v[4:5]
	v_sub_nc_u32_e32 v5, 0, v4
	s_delay_alu instid0(VALU_DEP_1) | instskip(SKIP_1) | instid1(VALU_DEP_2)
	v_ldexp_f32 v13, |v11|, v5
	v_ldexp_f32 v5, |v10|, v5
	v_mul_f32_e32 v13, v13, v13
	s_delay_alu instid0(VALU_DEP_1) | instskip(NEXT) | instid1(VALU_DEP_1)
	v_fmac_f32_e32 v13, v5, v5
	v_sqrt_f32_e32 v5, v13
	s_waitcnt_depctr 0xfff
	v_ldexp_f32 v4, v5, v4
                                        ; implicit-def: $vgpr5
	s_delay_alu instid0(VALU_DEP_1)
	v_cndmask_b32_e64 v12, 0x7f800000, v4, s2
                                        ; implicit-def: $vgpr4
	s_mov_b32 s2, exec_lo
	v_cmpx_le_f32_e32 0, v10
	s_xor_b32 s13, exec_lo, s2
	s_cbranch_execz .LBB227_176
; %bb.175:
	v_add_f32_e32 v4, v10, v12
	s_delay_alu instid0(VALU_DEP_1) | instskip(NEXT) | instid1(VALU_DEP_1)
	v_mul_f32_e32 v4, 0.5, v4
	v_mul_f32_e32 v5, 0x4f800000, v4
	v_cmp_gt_f32_e32 vcc_lo, 0xf800000, v4
	s_delay_alu instid0(VALU_DEP_2) | instskip(NEXT) | instid1(VALU_DEP_1)
	v_cndmask_b32_e32 v4, v4, v5, vcc_lo
	v_sqrt_f32_e32 v5, v4
	s_waitcnt_depctr 0xfff
	v_add_nc_u32_e32 v10, -1, v5
	v_add_nc_u32_e32 v12, 1, v5
	s_delay_alu instid0(VALU_DEP_2) | instskip(NEXT) | instid1(VALU_DEP_2)
	v_fma_f32 v13, -v10, v5, v4
	v_fma_f32 v15, -v12, v5, v4
	s_delay_alu instid0(VALU_DEP_2) | instskip(NEXT) | instid1(VALU_DEP_1)
	v_cmp_ge_f32_e64 s2, 0, v13
	v_cndmask_b32_e64 v5, v5, v10, s2
	s_delay_alu instid0(VALU_DEP_3) | instskip(NEXT) | instid1(VALU_DEP_1)
	v_cmp_lt_f32_e64 s2, 0, v15
	v_cndmask_b32_e64 v5, v5, v12, s2
	s_delay_alu instid0(VALU_DEP_1) | instskip(NEXT) | instid1(VALU_DEP_1)
	v_mul_f32_e32 v10, 0x37800000, v5
	v_cndmask_b32_e32 v5, v5, v10, vcc_lo
	v_cmp_class_f32_e64 vcc_lo, v4, 0x260
	s_delay_alu instid0(VALU_DEP_2) | instskip(NEXT) | instid1(VALU_DEP_1)
	v_cndmask_b32_e32 v4, v5, v4, vcc_lo
	v_add_f32_e32 v5, v4, v4
	s_delay_alu instid0(VALU_DEP_1) | instskip(NEXT) | instid1(VALU_DEP_1)
	v_div_scale_f32 v10, null, v5, v5, v11
	v_rcp_f32_e32 v12, v10
	s_waitcnt_depctr 0xfff
	v_fma_f32 v13, -v10, v12, 1.0
	s_delay_alu instid0(VALU_DEP_1) | instskip(SKIP_1) | instid1(VALU_DEP_1)
	v_fmac_f32_e32 v12, v13, v12
	v_div_scale_f32 v13, vcc_lo, v11, v5, v11
	v_mul_f32_e32 v15, v13, v12
	s_delay_alu instid0(VALU_DEP_1) | instskip(NEXT) | instid1(VALU_DEP_1)
	v_fma_f32 v16, -v10, v15, v13
	v_fmac_f32_e32 v15, v16, v12
	s_delay_alu instid0(VALU_DEP_1) | instskip(NEXT) | instid1(VALU_DEP_1)
	v_fma_f32 v10, -v10, v15, v13
	v_div_fmas_f32 v10, v10, v12, v15
                                        ; implicit-def: $vgpr12
	s_delay_alu instid0(VALU_DEP_1)
	v_div_fixup_f32 v5, v10, v5, v11
                                        ; implicit-def: $vgpr10
	s_and_not1_saveexec_b32 s13, s13
	s_cbranch_execz .LBB227_178
	s_branch .LBB227_177
.LBB227_176:
	s_and_not1_saveexec_b32 s13, s13
	s_cbranch_execz .LBB227_178
.LBB227_177:
	v_sub_f32_e32 v4, v12, v10
	s_delay_alu instid0(VALU_DEP_1) | instskip(NEXT) | instid1(VALU_DEP_1)
	v_mul_f32_e32 v4, 0.5, v4
	v_mul_f32_e32 v5, 0x4f800000, v4
	v_cmp_gt_f32_e32 vcc_lo, 0xf800000, v4
	s_delay_alu instid0(VALU_DEP_2) | instskip(NEXT) | instid1(VALU_DEP_1)
	v_cndmask_b32_e32 v4, v4, v5, vcc_lo
	v_sqrt_f32_e32 v5, v4
	s_waitcnt_depctr 0xfff
	v_add_nc_u32_e32 v10, -1, v5
	v_add_nc_u32_e32 v12, 1, v5
	s_delay_alu instid0(VALU_DEP_2) | instskip(NEXT) | instid1(VALU_DEP_2)
	v_fma_f32 v13, -v10, v5, v4
	v_fma_f32 v15, -v12, v5, v4
	s_delay_alu instid0(VALU_DEP_2) | instskip(NEXT) | instid1(VALU_DEP_1)
	v_cmp_ge_f32_e64 s2, 0, v13
	v_cndmask_b32_e64 v5, v5, v10, s2
	s_delay_alu instid0(VALU_DEP_3) | instskip(NEXT) | instid1(VALU_DEP_1)
	v_cmp_lt_f32_e64 s2, 0, v15
	v_cndmask_b32_e64 v5, v5, v12, s2
	s_delay_alu instid0(VALU_DEP_1) | instskip(NEXT) | instid1(VALU_DEP_1)
	v_mul_f32_e32 v10, 0x37800000, v5
	v_cndmask_b32_e32 v5, v5, v10, vcc_lo
	v_cmp_class_f32_e64 vcc_lo, v4, 0x260
	s_delay_alu instid0(VALU_DEP_2) | instskip(NEXT) | instid1(VALU_DEP_1)
	v_dual_cndmask_b32 v5, v5, v4 :: v_dual_and_b32 v4, 0x7fffffff, v11
	v_add_f32_e32 v10, v5, v5
	v_bfi_b32 v5, 0x7fffffff, v5, v11
	s_delay_alu instid0(VALU_DEP_2) | instskip(SKIP_1) | instid1(VALU_DEP_2)
	v_div_scale_f32 v12, null, v10, v10, v4
	v_div_scale_f32 v4, vcc_lo, v4, v10, v4
	v_rcp_f32_e32 v13, v12
	s_waitcnt_depctr 0xfff
	v_fma_f32 v15, -v12, v13, 1.0
	s_delay_alu instid0(VALU_DEP_1) | instskip(NEXT) | instid1(VALU_DEP_1)
	v_fmac_f32_e32 v13, v15, v13
	v_mul_f32_e32 v15, v4, v13
	s_delay_alu instid0(VALU_DEP_1) | instskip(NEXT) | instid1(VALU_DEP_1)
	v_fma_f32 v16, -v12, v15, v4
	v_fmac_f32_e32 v15, v16, v13
	s_delay_alu instid0(VALU_DEP_1) | instskip(NEXT) | instid1(VALU_DEP_1)
	v_fma_f32 v4, -v12, v15, v4
	v_div_fmas_f32 v4, v4, v13, v15
	s_delay_alu instid0(VALU_DEP_1)
	v_div_fixup_f32 v4, v4, v10, |v11|
.LBB227_178:
	s_or_b32 exec_lo, exec_lo, s13
                                        ; implicit-def: $vgpr10
	s_and_saveexec_b32 s2, s1
	s_delay_alu instid0(SALU_CYCLE_1)
	s_xor_b32 s1, exec_lo, s2
	s_cbranch_execz .LBB227_180
; %bb.179:
	v_dual_mul_f32 v10, 0.5, v4 :: v_dual_mul_f32 v11, 0.5, v5
	s_delay_alu instid0(VALU_DEP_1) | instskip(NEXT) | instid1(VALU_DEP_2)
	v_cndmask_b32_e64 v10, v4, v10, s12
	v_cndmask_b32_e64 v11, v5, v11, s12
                                        ; implicit-def: $vgpr4
                                        ; implicit-def: $vgpr5
	s_and_not1_saveexec_b32 s1, s1
	s_cbranch_execnz .LBB227_181
	s_branch .LBB227_182
.LBB227_180:
	s_and_not1_saveexec_b32 s1, s1
.LBB227_181:
	v_dual_add_f32 v10, v4, v4 :: v_dual_add_f32 v11, v5, v5
.LBB227_182:
	s_or_b32 exec_lo, exec_lo, s1
.LBB227_183:
	s_and_not1_saveexec_b32 s1, s11
	s_cbranch_execz .LBB227_189
; %bb.184:
	s_delay_alu instid0(VALU_DEP_1)
	v_sub_f32_e32 v4, v11, v11
	s_mov_b32 s2, exec_lo
	v_cmpx_lt_i32_e32 -1, v10
	s_xor_b32 s2, exec_lo, s2
; %bb.185:
	s_delay_alu instid0(VALU_DEP_2)
	v_bfi_b32 v11, 0x7fffffff, v4, v11
                                        ; implicit-def: $vgpr4
; %bb.186:
	s_and_not1_saveexec_b32 s2, s2
; %bb.187:
	v_and_b32_e32 v4, 0x7fffffff, v4
	s_delay_alu instid0(VALU_DEP_2) | instskip(NEXT) | instid1(VALU_DEP_2)
	v_bfi_b32 v11, 0x7fffffff, v10, v11
	v_mov_b32_e32 v10, v4
; %bb.188:
	s_or_b32 exec_lo, exec_lo, s2
.LBB227_189:
	s_delay_alu instid0(SALU_CYCLE_1)
	s_or_b32 exec_lo, exec_lo, s1
.LBB227_190:
	s_and_not1_saveexec_b32 s1, s9
; %bb.191:
	v_sub_f32_e32 v4, v11, v11
	s_delay_alu instid0(VALU_DEP_1) | instskip(NEXT) | instid1(VALU_DEP_1)
	v_div_scale_f32 v5, vcc_lo, v4, v4, v4
	v_rcp_f32_e32 v11, v5
	s_waitcnt_depctr 0xfff
	v_fma_f32 v12, -v5, v11, 1.0
	s_delay_alu instid0(VALU_DEP_1) | instskip(NEXT) | instid1(VALU_DEP_1)
	v_fmac_f32_e32 v11, v12, v11
	v_mul_f32_e32 v12, v5, v11
	s_delay_alu instid0(VALU_DEP_1) | instskip(NEXT) | instid1(VALU_DEP_1)
	v_fma_f32 v13, -v5, v12, v5
	v_fmac_f32_e32 v12, v13, v11
	s_delay_alu instid0(VALU_DEP_1) | instskip(NEXT) | instid1(VALU_DEP_1)
	v_fma_f32 v5, -v5, v12, v5
	v_div_fmas_f32 v5, v5, v11, v12
	s_delay_alu instid0(VALU_DEP_1)
	v_div_fixup_f32 v11, v5, v4, v4
; %bb.192:
	s_or_b32 exec_lo, exec_lo, s1
	v_mov_b32_e32 v4, v10
.LBB227_193:
	s_or_b32 exec_lo, exec_lo, s7
.LBB227_194:
	s_delay_alu instid0(SALU_CYCLE_1)
	s_or_b32 exec_lo, exec_lo, s6
	v_mov_b32_e32 v5, v11
.LBB227_195:
	s_or_b32 exec_lo, exec_lo, s3
	s_waitcnt vmcnt(0)
	v_or_b32_e32 v11, 0x200, v0
	v_mov_b32_e32 v10, 0
	s_delay_alu instid0(VALU_DEP_2)
	v_cmp_gt_i32_e32 vcc_lo, s10, v11
	v_mov_b32_e32 v11, 0
	s_and_saveexec_b32 s3, vcc_lo
	s_cbranch_execz .LBB227_227
; %bb.196:
	v_cmp_neq_f32_e32 vcc_lo, 0, v8
	v_cmp_neq_f32_e64 s1, 0, v9
	v_mov_b32_e32 v10, 0
	s_delay_alu instid0(VALU_DEP_2) | instskip(NEXT) | instid1(SALU_CYCLE_1)
	s_or_b32 s1, vcc_lo, s1
	s_and_saveexec_b32 s6, s1
	s_cbranch_execz .LBB227_226
; %bb.197:
	v_mov_b32_e32 v10, 0x7f800000
	s_mov_b32 s7, exec_lo
	v_cmpx_neq_f32_e64 0x7f800000, |v9|
	s_cbranch_execz .LBB227_225
; %bb.198:
	s_mov_b32 s1, exec_lo
	v_cmpx_o_f32_e32 v8, v8
	s_xor_b32 s9, exec_lo, s1
	s_cbranch_execz .LBB227_222
; %bb.199:
	s_mov_b32 s2, exec_lo
	v_cmpx_neq_f32_e64 0x7f800000, |v8|
	s_xor_b32 s11, exec_lo, s2
	s_cbranch_execz .LBB227_215
; %bb.200:
	v_max_f32_e64 v10, |v8|, |v8|
	v_max_f32_e64 v11, |v9|, |v9|
                                        ; implicit-def: $sgpr12
	s_delay_alu instid0(VALU_DEP_1) | instskip(NEXT) | instid1(VALU_DEP_1)
	v_max_f32_e32 v10, v11, v10
	v_cmp_nle_f32_e64 s1, 0x7ed413cb, v10
	s_delay_alu instid0(VALU_DEP_1) | instskip(NEXT) | instid1(SALU_CYCLE_1)
	s_and_saveexec_b32 s2, s1
	s_xor_b32 s2, exec_lo, s2
	s_cbranch_execz .LBB227_204
; %bb.201:
	v_cmp_ge_f32_e64 s12, 0x1000000, |v8|
	v_cmp_ge_f32_e64 s13, 0x1000000, |v9|
	s_delay_alu instid0(VALU_DEP_1)
	s_and_b32 s14, s13, s12
	s_mov_b32 s12, 0
	s_and_saveexec_b32 s13, s14
; %bb.202:
	v_dual_mul_f32 v9, 4.0, v9 :: v_dual_mul_f32 v8, 4.0, v8
	s_mov_b32 s12, exec_lo
; %bb.203:
	s_or_b32 exec_lo, exec_lo, s13
	s_delay_alu instid0(SALU_CYCLE_1)
	s_and_b32 s12, s12, exec_lo
.LBB227_204:
	s_and_not1_saveexec_b32 s2, s2
; %bb.205:
	v_dual_mul_f32 v8, 0x3e800000, v8 :: v_dual_mul_f32 v9, 0x3e800000, v9
	s_and_not1_b32 s12, s12, exec_lo
; %bb.206:
	s_or_b32 exec_lo, exec_lo, s2
	s_delay_alu instid0(VALU_DEP_1) | instskip(NEXT) | instid1(VALU_DEP_2)
	v_max_f32_e64 v10, |v9|, |v9|
	v_max_f32_e64 v11, |v8|, |v8|
	s_delay_alu instid0(VALU_DEP_1) | instskip(NEXT) | instid1(VALU_DEP_1)
	v_max_f32_e32 v12, v11, v10
	v_cvt_f64_f32_e32 v[10:11], v12
	s_delay_alu instid0(VALU_DEP_1) | instskip(NEXT) | instid1(VALU_DEP_1)
	v_frexp_exp_i32_f64_e32 v10, v[10:11]
	v_sub_nc_u32_e32 v11, 0, v10
	s_delay_alu instid0(VALU_DEP_1) | instskip(SKIP_1) | instid1(VALU_DEP_2)
	v_ldexp_f32 v13, |v9|, v11
	v_ldexp_f32 v11, |v8|, v11
	v_mul_f32_e32 v13, v13, v13
	v_cmp_neq_f32_e64 s2, 0x7f800000, v12
	s_delay_alu instid0(VALU_DEP_2) | instskip(NEXT) | instid1(VALU_DEP_1)
	v_fmac_f32_e32 v13, v11, v11
	v_sqrt_f32_e32 v11, v13
	s_waitcnt_depctr 0xfff
	v_ldexp_f32 v10, v11, v10
                                        ; implicit-def: $vgpr11
	s_delay_alu instid0(VALU_DEP_1)
	v_cndmask_b32_e64 v12, 0x7f800000, v10, s2
                                        ; implicit-def: $vgpr10
	s_mov_b32 s2, exec_lo
	v_cmpx_le_f32_e32 0, v8
	s_xor_b32 s13, exec_lo, s2
	s_cbranch_execz .LBB227_208
; %bb.207:
	v_add_f32_e32 v8, v8, v12
	s_delay_alu instid0(VALU_DEP_1) | instskip(NEXT) | instid1(VALU_DEP_1)
	v_mul_f32_e32 v8, 0.5, v8
	v_mul_f32_e32 v10, 0x4f800000, v8
	v_cmp_gt_f32_e32 vcc_lo, 0xf800000, v8
	s_delay_alu instid0(VALU_DEP_2) | instskip(NEXT) | instid1(VALU_DEP_1)
	v_cndmask_b32_e32 v8, v8, v10, vcc_lo
	v_sqrt_f32_e32 v10, v8
	s_waitcnt_depctr 0xfff
	v_add_nc_u32_e32 v11, -1, v10
	v_add_nc_u32_e32 v12, 1, v10
	s_delay_alu instid0(VALU_DEP_2) | instskip(NEXT) | instid1(VALU_DEP_2)
	v_fma_f32 v13, -v11, v10, v8
	v_fma_f32 v15, -v12, v10, v8
	s_delay_alu instid0(VALU_DEP_2) | instskip(NEXT) | instid1(VALU_DEP_1)
	v_cmp_ge_f32_e64 s2, 0, v13
	v_cndmask_b32_e64 v10, v10, v11, s2
	s_delay_alu instid0(VALU_DEP_3) | instskip(NEXT) | instid1(VALU_DEP_1)
	v_cmp_lt_f32_e64 s2, 0, v15
	v_cndmask_b32_e64 v10, v10, v12, s2
	s_delay_alu instid0(VALU_DEP_1) | instskip(NEXT) | instid1(VALU_DEP_1)
	v_mul_f32_e32 v11, 0x37800000, v10
	v_cndmask_b32_e32 v10, v10, v11, vcc_lo
	v_cmp_class_f32_e64 vcc_lo, v8, 0x260
	s_delay_alu instid0(VALU_DEP_2) | instskip(NEXT) | instid1(VALU_DEP_1)
	v_cndmask_b32_e32 v10, v10, v8, vcc_lo
	v_add_f32_e32 v8, v10, v10
	s_delay_alu instid0(VALU_DEP_1) | instskip(NEXT) | instid1(VALU_DEP_1)
	v_div_scale_f32 v11, null, v8, v8, v9
	v_rcp_f32_e32 v12, v11
	s_waitcnt_depctr 0xfff
	v_fma_f32 v13, -v11, v12, 1.0
	s_delay_alu instid0(VALU_DEP_1) | instskip(SKIP_1) | instid1(VALU_DEP_1)
	v_fmac_f32_e32 v12, v13, v12
	v_div_scale_f32 v13, vcc_lo, v9, v8, v9
	v_mul_f32_e32 v15, v13, v12
	s_delay_alu instid0(VALU_DEP_1) | instskip(NEXT) | instid1(VALU_DEP_1)
	v_fma_f32 v16, -v11, v15, v13
	v_fmac_f32_e32 v15, v16, v12
	s_delay_alu instid0(VALU_DEP_1) | instskip(NEXT) | instid1(VALU_DEP_1)
	v_fma_f32 v11, -v11, v15, v13
	v_div_fmas_f32 v11, v11, v12, v15
                                        ; implicit-def: $vgpr12
	s_delay_alu instid0(VALU_DEP_1)
	v_div_fixup_f32 v11, v11, v8, v9
                                        ; implicit-def: $vgpr8
	s_and_not1_saveexec_b32 s13, s13
	s_cbranch_execz .LBB227_210
	s_branch .LBB227_209
.LBB227_208:
	s_and_not1_saveexec_b32 s13, s13
	s_cbranch_execz .LBB227_210
.LBB227_209:
	v_sub_f32_e32 v8, v12, v8
	s_delay_alu instid0(VALU_DEP_1) | instskip(NEXT) | instid1(VALU_DEP_1)
	v_mul_f32_e32 v8, 0.5, v8
	v_mul_f32_e32 v10, 0x4f800000, v8
	v_cmp_gt_f32_e32 vcc_lo, 0xf800000, v8
	s_delay_alu instid0(VALU_DEP_2) | instskip(NEXT) | instid1(VALU_DEP_1)
	v_cndmask_b32_e32 v8, v8, v10, vcc_lo
	v_sqrt_f32_e32 v10, v8
	s_waitcnt_depctr 0xfff
	v_add_nc_u32_e32 v11, -1, v10
	v_add_nc_u32_e32 v12, 1, v10
	s_delay_alu instid0(VALU_DEP_2) | instskip(NEXT) | instid1(VALU_DEP_2)
	v_fma_f32 v13, -v11, v10, v8
	v_fma_f32 v15, -v12, v10, v8
	s_delay_alu instid0(VALU_DEP_2) | instskip(NEXT) | instid1(VALU_DEP_1)
	v_cmp_ge_f32_e64 s2, 0, v13
	v_cndmask_b32_e64 v10, v10, v11, s2
	s_delay_alu instid0(VALU_DEP_3) | instskip(NEXT) | instid1(VALU_DEP_1)
	v_cmp_lt_f32_e64 s2, 0, v15
	v_cndmask_b32_e64 v10, v10, v12, s2
	s_delay_alu instid0(VALU_DEP_1) | instskip(NEXT) | instid1(VALU_DEP_1)
	v_mul_f32_e32 v11, 0x37800000, v10
	v_cndmask_b32_e32 v10, v10, v11, vcc_lo
	v_cmp_class_f32_e64 vcc_lo, v8, 0x260
	s_delay_alu instid0(VALU_DEP_2) | instskip(NEXT) | instid1(VALU_DEP_1)
	v_cndmask_b32_e32 v8, v10, v8, vcc_lo
	v_dual_add_f32 v11, v8, v8 :: v_dual_and_b32 v10, 0x7fffffff, v9
	s_delay_alu instid0(VALU_DEP_1) | instskip(SKIP_1) | instid1(VALU_DEP_2)
	v_div_scale_f32 v12, null, v11, v11, v10
	v_div_scale_f32 v10, vcc_lo, v10, v11, v10
	v_rcp_f32_e32 v13, v12
	s_waitcnt_depctr 0xfff
	v_fma_f32 v15, -v12, v13, 1.0
	s_delay_alu instid0(VALU_DEP_1) | instskip(NEXT) | instid1(VALU_DEP_1)
	v_fmac_f32_e32 v13, v15, v13
	v_mul_f32_e32 v15, v10, v13
	s_delay_alu instid0(VALU_DEP_1) | instskip(NEXT) | instid1(VALU_DEP_1)
	v_fma_f32 v16, -v12, v15, v10
	v_fmac_f32_e32 v15, v16, v13
	s_delay_alu instid0(VALU_DEP_1) | instskip(NEXT) | instid1(VALU_DEP_1)
	v_fma_f32 v10, -v12, v15, v10
	v_div_fmas_f32 v10, v10, v13, v15
	s_delay_alu instid0(VALU_DEP_1)
	v_div_fixup_f32 v10, v10, v11, |v9|
	v_bfi_b32 v11, 0x7fffffff, v8, v9
.LBB227_210:
	s_or_b32 exec_lo, exec_lo, s13
                                        ; implicit-def: $vgpr9
	s_and_saveexec_b32 s2, s1
	s_delay_alu instid0(SALU_CYCLE_1)
	s_xor_b32 s1, exec_lo, s2
	s_cbranch_execz .LBB227_212
; %bb.211:
	v_dual_mul_f32 v8, 0.5, v10 :: v_dual_mul_f32 v9, 0.5, v11
	s_delay_alu instid0(VALU_DEP_1) | instskip(NEXT) | instid1(VALU_DEP_2)
	v_cndmask_b32_e64 v8, v10, v8, s12
	v_cndmask_b32_e64 v9, v11, v9, s12
                                        ; implicit-def: $vgpr10
                                        ; implicit-def: $vgpr11
	s_and_not1_saveexec_b32 s1, s1
	s_cbranch_execnz .LBB227_213
	s_branch .LBB227_214
.LBB227_212:
	s_and_not1_saveexec_b32 s1, s1
.LBB227_213:
	v_dual_add_f32 v8, v10, v10 :: v_dual_add_f32 v9, v11, v11
.LBB227_214:
	s_or_b32 exec_lo, exec_lo, s1
.LBB227_215:
	s_and_not1_saveexec_b32 s1, s11
	s_cbranch_execz .LBB227_221
; %bb.216:
	s_delay_alu instid0(VALU_DEP_1)
	v_sub_f32_e32 v10, v9, v9
	s_mov_b32 s2, exec_lo
	v_cmpx_lt_i32_e32 -1, v8
	s_xor_b32 s2, exec_lo, s2
; %bb.217:
	s_delay_alu instid0(VALU_DEP_2)
	v_bfi_b32 v9, 0x7fffffff, v10, v9
                                        ; implicit-def: $vgpr10
; %bb.218:
	s_and_not1_saveexec_b32 s2, s2
; %bb.219:
	v_and_b32_e32 v10, 0x7fffffff, v10
	s_delay_alu instid0(VALU_DEP_2) | instskip(NEXT) | instid1(VALU_DEP_2)
	v_bfi_b32 v9, 0x7fffffff, v8, v9
	v_mov_b32_e32 v8, v10
; %bb.220:
	s_or_b32 exec_lo, exec_lo, s2
.LBB227_221:
	s_delay_alu instid0(SALU_CYCLE_1)
	s_or_b32 exec_lo, exec_lo, s1
.LBB227_222:
	s_and_not1_saveexec_b32 s1, s9
; %bb.223:
	v_sub_f32_e32 v9, v9, v9
	s_delay_alu instid0(VALU_DEP_1) | instskip(NEXT) | instid1(VALU_DEP_1)
	v_div_scale_f32 v10, vcc_lo, v9, v9, v9
	v_rcp_f32_e32 v11, v10
	s_waitcnt_depctr 0xfff
	v_fma_f32 v12, -v10, v11, 1.0
	s_delay_alu instid0(VALU_DEP_1) | instskip(NEXT) | instid1(VALU_DEP_1)
	v_fmac_f32_e32 v11, v12, v11
	v_mul_f32_e32 v12, v10, v11
	s_delay_alu instid0(VALU_DEP_1) | instskip(NEXT) | instid1(VALU_DEP_1)
	v_fma_f32 v13, -v10, v12, v10
	v_fmac_f32_e32 v12, v13, v11
	s_delay_alu instid0(VALU_DEP_1) | instskip(NEXT) | instid1(VALU_DEP_1)
	v_fma_f32 v10, -v10, v12, v10
	v_div_fmas_f32 v10, v10, v11, v12
	s_delay_alu instid0(VALU_DEP_1)
	v_div_fixup_f32 v9, v10, v9, v9
; %bb.224:
	s_or_b32 exec_lo, exec_lo, s1
	v_mov_b32_e32 v10, v8
.LBB227_225:
	s_or_b32 exec_lo, exec_lo, s7
.LBB227_226:
	s_delay_alu instid0(SALU_CYCLE_1)
	s_or_b32 exec_lo, exec_lo, s6
	v_mov_b32_e32 v11, v9
.LBB227_227:
	s_or_b32 exec_lo, exec_lo, s3
	v_or_b32_e32 v9, 0x300, v0
	v_mov_b32_e32 v8, 0
	s_delay_alu instid0(VALU_DEP_2)
	v_cmp_gt_i32_e32 vcc_lo, s10, v9
	v_mov_b32_e32 v9, 0
	s_and_saveexec_b32 s3, vcc_lo
	s_cbranch_execz .LBB227_240
; %bb.228:
	v_cmp_neq_f32_e32 vcc_lo, 0, v2
	v_cmp_neq_f32_e64 s1, 0, v3
	v_mov_b32_e32 v8, 0
	s_delay_alu instid0(VALU_DEP_2) | instskip(NEXT) | instid1(SALU_CYCLE_1)
	s_or_b32 s1, vcc_lo, s1
	s_and_saveexec_b32 s6, s1
	s_cbranch_execz .LBB227_262
; %bb.229:
	v_mov_b32_e32 v8, 0x7f800000
	s_mov_b32 s7, exec_lo
	v_cmpx_neq_f32_e64 0x7f800000, |v3|
	s_cbranch_execz .LBB227_261
; %bb.230:
	s_mov_b32 s1, exec_lo
	v_cmpx_o_f32_e32 v2, v2
	s_xor_b32 s9, exec_lo, s1
	s_cbranch_execz .LBB227_258
; %bb.231:
	s_mov_b32 s2, exec_lo
	v_cmpx_neq_f32_e64 0x7f800000, |v2|
	s_xor_b32 s11, exec_lo, s2
	s_cbranch_execz .LBB227_251
; %bb.232:
	v_max_f32_e64 v8, |v2|, |v2|
	v_max_f32_e64 v9, |v3|, |v3|
                                        ; implicit-def: $sgpr12
	s_delay_alu instid0(VALU_DEP_1) | instskip(NEXT) | instid1(VALU_DEP_1)
	v_max_f32_e32 v8, v9, v8
	v_cmp_nle_f32_e64 s1, 0x7ed413cb, v8
	s_delay_alu instid0(VALU_DEP_1) | instskip(NEXT) | instid1(SALU_CYCLE_1)
	s_and_saveexec_b32 s2, s1
	s_xor_b32 s2, exec_lo, s2
	s_cbranch_execz .LBB227_236
; %bb.233:
	v_cmp_ge_f32_e64 s12, 0x1000000, |v2|
	v_cmp_ge_f32_e64 s13, 0x1000000, |v3|
	s_delay_alu instid0(VALU_DEP_1)
	s_and_b32 s14, s13, s12
	s_mov_b32 s12, 0
	s_and_saveexec_b32 s13, s14
; %bb.234:
	v_dual_mul_f32 v3, 4.0, v3 :: v_dual_mul_f32 v2, 4.0, v2
	s_mov_b32 s12, exec_lo
; %bb.235:
	s_or_b32 exec_lo, exec_lo, s13
	s_delay_alu instid0(SALU_CYCLE_1)
	s_and_b32 s12, s12, exec_lo
.LBB227_236:
	s_and_not1_saveexec_b32 s2, s2
; %bb.237:
	v_dual_mul_f32 v2, 0x3e800000, v2 :: v_dual_mul_f32 v3, 0x3e800000, v3
	s_and_not1_b32 s12, s12, exec_lo
; %bb.238:
	s_or_b32 exec_lo, exec_lo, s2
	s_delay_alu instid0(VALU_DEP_1) | instskip(NEXT) | instid1(VALU_DEP_2)
	v_max_f32_e64 v8, |v3|, |v3|
	v_max_f32_e64 v9, |v2|, |v2|
	s_delay_alu instid0(VALU_DEP_1) | instskip(NEXT) | instid1(VALU_DEP_1)
	v_max_f32_e32 v12, v9, v8
	v_cvt_f64_f32_e32 v[8:9], v12
	v_cmp_neq_f32_e64 s2, 0x7f800000, v12
	s_delay_alu instid0(VALU_DEP_2) | instskip(NEXT) | instid1(VALU_DEP_1)
	v_frexp_exp_i32_f64_e32 v8, v[8:9]
	v_sub_nc_u32_e32 v9, 0, v8
	s_delay_alu instid0(VALU_DEP_1) | instskip(SKIP_1) | instid1(VALU_DEP_2)
	v_ldexp_f32 v13, |v3|, v9
	v_ldexp_f32 v9, |v2|, v9
	v_mul_f32_e32 v13, v13, v13
	s_delay_alu instid0(VALU_DEP_1) | instskip(NEXT) | instid1(VALU_DEP_1)
	v_fmac_f32_e32 v13, v9, v9
	v_sqrt_f32_e32 v9, v13
	s_waitcnt_depctr 0xfff
	v_ldexp_f32 v8, v9, v8
                                        ; implicit-def: $vgpr9
	s_delay_alu instid0(VALU_DEP_1)
	v_cndmask_b32_e64 v12, 0x7f800000, v8, s2
                                        ; implicit-def: $vgpr8
	s_mov_b32 s2, exec_lo
	v_cmpx_le_f32_e32 0, v2
	s_xor_b32 s13, exec_lo, s2
	s_cbranch_execz .LBB227_244
; %bb.239:
	v_add_f32_e32 v2, v2, v12
	s_delay_alu instid0(VALU_DEP_1) | instskip(NEXT) | instid1(VALU_DEP_1)
	v_mul_f32_e32 v2, 0.5, v2
	v_mul_f32_e32 v8, 0x4f800000, v2
	v_cmp_gt_f32_e32 vcc_lo, 0xf800000, v2
	s_delay_alu instid0(VALU_DEP_2) | instskip(NEXT) | instid1(VALU_DEP_1)
	v_cndmask_b32_e32 v2, v2, v8, vcc_lo
	v_sqrt_f32_e32 v8, v2
	s_waitcnt_depctr 0xfff
	v_add_nc_u32_e32 v9, -1, v8
	v_add_nc_u32_e32 v12, 1, v8
	s_delay_alu instid0(VALU_DEP_2) | instskip(NEXT) | instid1(VALU_DEP_2)
	v_fma_f32 v13, -v9, v8, v2
	v_fma_f32 v15, -v12, v8, v2
	s_delay_alu instid0(VALU_DEP_2) | instskip(NEXT) | instid1(VALU_DEP_1)
	v_cmp_ge_f32_e64 s2, 0, v13
	v_cndmask_b32_e64 v8, v8, v9, s2
	s_delay_alu instid0(VALU_DEP_3) | instskip(NEXT) | instid1(VALU_DEP_1)
	v_cmp_lt_f32_e64 s2, 0, v15
	v_cndmask_b32_e64 v8, v8, v12, s2
	s_delay_alu instid0(VALU_DEP_1) | instskip(NEXT) | instid1(VALU_DEP_1)
	v_mul_f32_e32 v9, 0x37800000, v8
	v_cndmask_b32_e32 v8, v8, v9, vcc_lo
	v_cmp_class_f32_e64 vcc_lo, v2, 0x260
	s_delay_alu instid0(VALU_DEP_2) | instskip(NEXT) | instid1(VALU_DEP_1)
	v_cndmask_b32_e32 v8, v8, v2, vcc_lo
	v_add_f32_e32 v2, v8, v8
	s_delay_alu instid0(VALU_DEP_1) | instskip(NEXT) | instid1(VALU_DEP_1)
	v_div_scale_f32 v9, null, v2, v2, v3
	v_rcp_f32_e32 v12, v9
	s_waitcnt_depctr 0xfff
	v_fma_f32 v13, -v9, v12, 1.0
	s_delay_alu instid0(VALU_DEP_1) | instskip(SKIP_1) | instid1(VALU_DEP_1)
	v_fmac_f32_e32 v12, v13, v12
	v_div_scale_f32 v13, vcc_lo, v3, v2, v3
	v_mul_f32_e32 v15, v13, v12
	s_delay_alu instid0(VALU_DEP_1) | instskip(NEXT) | instid1(VALU_DEP_1)
	v_fma_f32 v16, -v9, v15, v13
	v_fmac_f32_e32 v15, v16, v12
	s_delay_alu instid0(VALU_DEP_1) | instskip(NEXT) | instid1(VALU_DEP_1)
	v_fma_f32 v9, -v9, v15, v13
	v_div_fmas_f32 v9, v9, v12, v15
                                        ; implicit-def: $vgpr12
	s_delay_alu instid0(VALU_DEP_1)
	v_div_fixup_f32 v9, v9, v2, v3
                                        ; implicit-def: $vgpr2
	s_and_not1_saveexec_b32 s13, s13
	s_cbranch_execz .LBB227_246
	s_branch .LBB227_245
.LBB227_240:
	s_or_b32 exec_lo, exec_lo, s3
	s_and_saveexec_b32 s1, s0
	s_delay_alu instid0(SALU_CYCLE_1)
	s_xor_b32 s0, exec_lo, s1
	s_cbranch_execz .LBB227_263
.LBB227_241:
	v_mov_b32_e32 v2, 0
	s_delay_alu instid0(VALU_DEP_1) | instskip(NEXT) | instid1(VALU_DEP_1)
	v_lshlrev_b64 v[0:1], 3, v[1:2]
	v_add_co_u32 v2, vcc_lo, s4, v0
	s_delay_alu instid0(VALU_DEP_2) | instskip(SKIP_3) | instid1(SALU_CYCLE_1)
	v_add_co_ci_u32_e32 v3, vcc_lo, s5, v1, vcc_lo
	v_mov_b32_e32 v0, v14
	global_store_b64 v[2:3], v[6:7], off
	s_or_b32 exec_lo, exec_lo, s0
	s_mov_b32 s0, exec_lo
	v_cmpx_gt_i32_e64 s10, v0
	s_cbranch_execnz .LBB227_264
.LBB227_242:
	s_or_b32 exec_lo, exec_lo, s0
	s_delay_alu instid0(SALU_CYCLE_1)
	s_mov_b32 s0, exec_lo
	v_cmpx_gt_i32_e64 s10, v0
	s_cbranch_execz .LBB227_265
.LBB227_243:
	v_dual_mov_b32 v2, 0 :: v_dual_add_nc_u32 v1, s8, v0
	v_add_nc_u32_e32 v0, 0x100, v0
	s_delay_alu instid0(VALU_DEP_2) | instskip(NEXT) | instid1(VALU_DEP_1)
	v_lshlrev_b64 v[1:2], 3, v[1:2]
	v_add_co_u32 v1, vcc_lo, s4, v1
	s_delay_alu instid0(VALU_DEP_2) | instskip(SKIP_2) | instid1(SALU_CYCLE_1)
	v_add_co_ci_u32_e32 v2, vcc_lo, s5, v2, vcc_lo
	global_store_b64 v[1:2], v[10:11], off
	s_or_b32 exec_lo, exec_lo, s0
	s_mov_b32 s0, exec_lo
	v_cmpx_gt_i32_e64 s10, v0
	s_cbranch_execnz .LBB227_266
	s_branch .LBB227_267
.LBB227_244:
	s_and_not1_saveexec_b32 s13, s13
	s_cbranch_execz .LBB227_246
.LBB227_245:
	v_sub_f32_e32 v2, v12, v2
	s_delay_alu instid0(VALU_DEP_1) | instskip(NEXT) | instid1(VALU_DEP_1)
	v_mul_f32_e32 v2, 0.5, v2
	v_mul_f32_e32 v8, 0x4f800000, v2
	v_cmp_gt_f32_e32 vcc_lo, 0xf800000, v2
	s_delay_alu instid0(VALU_DEP_2) | instskip(NEXT) | instid1(VALU_DEP_1)
	v_cndmask_b32_e32 v2, v2, v8, vcc_lo
	v_sqrt_f32_e32 v8, v2
	s_waitcnt_depctr 0xfff
	v_add_nc_u32_e32 v9, -1, v8
	v_add_nc_u32_e32 v12, 1, v8
	s_delay_alu instid0(VALU_DEP_2) | instskip(NEXT) | instid1(VALU_DEP_2)
	v_fma_f32 v13, -v9, v8, v2
	v_fma_f32 v15, -v12, v8, v2
	s_delay_alu instid0(VALU_DEP_2) | instskip(NEXT) | instid1(VALU_DEP_1)
	v_cmp_ge_f32_e64 s2, 0, v13
	v_cndmask_b32_e64 v8, v8, v9, s2
	s_delay_alu instid0(VALU_DEP_3) | instskip(NEXT) | instid1(VALU_DEP_1)
	v_cmp_lt_f32_e64 s2, 0, v15
	v_cndmask_b32_e64 v8, v8, v12, s2
	s_delay_alu instid0(VALU_DEP_1) | instskip(NEXT) | instid1(VALU_DEP_1)
	v_mul_f32_e32 v9, 0x37800000, v8
	v_cndmask_b32_e32 v8, v8, v9, vcc_lo
	v_cmp_class_f32_e64 vcc_lo, v2, 0x260
	s_delay_alu instid0(VALU_DEP_2) | instskip(NEXT) | instid1(VALU_DEP_1)
	v_cndmask_b32_e32 v2, v8, v2, vcc_lo
	v_dual_add_f32 v9, v2, v2 :: v_dual_and_b32 v8, 0x7fffffff, v3
	s_delay_alu instid0(VALU_DEP_1) | instskip(SKIP_1) | instid1(VALU_DEP_2)
	v_div_scale_f32 v12, null, v9, v9, v8
	v_div_scale_f32 v8, vcc_lo, v8, v9, v8
	v_rcp_f32_e32 v13, v12
	s_waitcnt_depctr 0xfff
	v_fma_f32 v15, -v12, v13, 1.0
	s_delay_alu instid0(VALU_DEP_1) | instskip(NEXT) | instid1(VALU_DEP_1)
	v_fmac_f32_e32 v13, v15, v13
	v_mul_f32_e32 v15, v8, v13
	s_delay_alu instid0(VALU_DEP_1) | instskip(NEXT) | instid1(VALU_DEP_1)
	v_fma_f32 v16, -v12, v15, v8
	v_fmac_f32_e32 v15, v16, v13
	s_delay_alu instid0(VALU_DEP_1) | instskip(NEXT) | instid1(VALU_DEP_1)
	v_fma_f32 v8, -v12, v15, v8
	v_div_fmas_f32 v8, v8, v13, v15
	s_delay_alu instid0(VALU_DEP_1)
	v_div_fixup_f32 v8, v8, v9, |v3|
	v_bfi_b32 v9, 0x7fffffff, v2, v3
.LBB227_246:
	s_or_b32 exec_lo, exec_lo, s13
                                        ; implicit-def: $vgpr3
	s_and_saveexec_b32 s2, s1
	s_delay_alu instid0(SALU_CYCLE_1)
	s_xor_b32 s1, exec_lo, s2
	s_cbranch_execz .LBB227_248
; %bb.247:
	v_dual_mul_f32 v2, 0.5, v8 :: v_dual_mul_f32 v3, 0.5, v9
	s_delay_alu instid0(VALU_DEP_1) | instskip(NEXT) | instid1(VALU_DEP_2)
	v_cndmask_b32_e64 v2, v8, v2, s12
	v_cndmask_b32_e64 v3, v9, v3, s12
                                        ; implicit-def: $vgpr8
                                        ; implicit-def: $vgpr9
	s_and_not1_saveexec_b32 s1, s1
	s_cbranch_execnz .LBB227_249
	s_branch .LBB227_250
.LBB227_248:
	s_and_not1_saveexec_b32 s1, s1
.LBB227_249:
	v_dual_add_f32 v2, v8, v8 :: v_dual_add_f32 v3, v9, v9
.LBB227_250:
	s_or_b32 exec_lo, exec_lo, s1
.LBB227_251:
	s_and_not1_saveexec_b32 s1, s11
	s_cbranch_execz .LBB227_257
; %bb.252:
	s_delay_alu instid0(VALU_DEP_1)
	v_sub_f32_e32 v8, v3, v3
	s_mov_b32 s2, exec_lo
	v_cmpx_lt_i32_e32 -1, v2
	s_xor_b32 s2, exec_lo, s2
; %bb.253:
	s_delay_alu instid0(VALU_DEP_2)
	v_bfi_b32 v3, 0x7fffffff, v8, v3
                                        ; implicit-def: $vgpr8
; %bb.254:
	s_and_not1_saveexec_b32 s2, s2
; %bb.255:
	v_and_b32_e32 v8, 0x7fffffff, v8
	s_delay_alu instid0(VALU_DEP_2) | instskip(NEXT) | instid1(VALU_DEP_2)
	v_bfi_b32 v3, 0x7fffffff, v2, v3
	v_mov_b32_e32 v2, v8
; %bb.256:
	s_or_b32 exec_lo, exec_lo, s2
.LBB227_257:
	s_delay_alu instid0(SALU_CYCLE_1)
	s_or_b32 exec_lo, exec_lo, s1
.LBB227_258:
	s_and_not1_saveexec_b32 s1, s9
; %bb.259:
	v_sub_f32_e32 v3, v3, v3
	s_delay_alu instid0(VALU_DEP_1) | instskip(NEXT) | instid1(VALU_DEP_1)
	v_div_scale_f32 v8, vcc_lo, v3, v3, v3
	v_rcp_f32_e32 v9, v8
	s_waitcnt_depctr 0xfff
	v_fma_f32 v12, -v8, v9, 1.0
	s_delay_alu instid0(VALU_DEP_1) | instskip(NEXT) | instid1(VALU_DEP_1)
	v_fmac_f32_e32 v9, v12, v9
	v_mul_f32_e32 v12, v8, v9
	s_delay_alu instid0(VALU_DEP_1) | instskip(NEXT) | instid1(VALU_DEP_1)
	v_fma_f32 v13, -v8, v12, v8
	v_fmac_f32_e32 v12, v13, v9
	s_delay_alu instid0(VALU_DEP_1) | instskip(NEXT) | instid1(VALU_DEP_1)
	v_fma_f32 v8, -v8, v12, v8
	v_div_fmas_f32 v8, v8, v9, v12
	s_delay_alu instid0(VALU_DEP_1)
	v_div_fixup_f32 v3, v8, v3, v3
; %bb.260:
	s_or_b32 exec_lo, exec_lo, s1
	v_mov_b32_e32 v8, v2
.LBB227_261:
	s_or_b32 exec_lo, exec_lo, s7
.LBB227_262:
	s_delay_alu instid0(SALU_CYCLE_1) | instskip(SKIP_3) | instid1(SALU_CYCLE_1)
	s_or_b32 exec_lo, exec_lo, s6
	v_mov_b32_e32 v9, v3
	s_or_b32 exec_lo, exec_lo, s3
	s_and_saveexec_b32 s1, s0
	s_xor_b32 s0, exec_lo, s1
	s_cbranch_execnz .LBB227_241
.LBB227_263:
	s_or_b32 exec_lo, exec_lo, s0
	s_delay_alu instid0(SALU_CYCLE_1)
	s_mov_b32 s0, exec_lo
	v_cmpx_gt_i32_e64 s10, v0
	s_cbranch_execz .LBB227_242
.LBB227_264:
	v_dual_mov_b32 v2, 0 :: v_dual_add_nc_u32 v1, s8, v0
	v_add_nc_u32_e32 v0, 0x100, v0
	s_delay_alu instid0(VALU_DEP_2) | instskip(NEXT) | instid1(VALU_DEP_1)
	v_lshlrev_b64 v[1:2], 3, v[1:2]
	v_add_co_u32 v1, vcc_lo, s4, v1
	s_delay_alu instid0(VALU_DEP_2) | instskip(SKIP_2) | instid1(SALU_CYCLE_1)
	v_add_co_ci_u32_e32 v2, vcc_lo, s5, v2, vcc_lo
	global_store_b64 v[1:2], v[4:5], off
	s_or_b32 exec_lo, exec_lo, s0
	s_mov_b32 s0, exec_lo
	v_cmpx_gt_i32_e64 s10, v0
	s_cbranch_execnz .LBB227_243
.LBB227_265:
	s_or_b32 exec_lo, exec_lo, s0
	s_delay_alu instid0(SALU_CYCLE_1)
	s_mov_b32 s0, exec_lo
	v_cmpx_gt_i32_e64 s10, v0
	s_cbranch_execz .LBB227_267
.LBB227_266:
	v_dual_mov_b32 v1, 0 :: v_dual_add_nc_u32 v0, s8, v0
	s_delay_alu instid0(VALU_DEP_1) | instskip(NEXT) | instid1(VALU_DEP_1)
	v_lshlrev_b64 v[0:1], 3, v[0:1]
	v_add_co_u32 v0, vcc_lo, s4, v0
	s_delay_alu instid0(VALU_DEP_2)
	v_add_co_ci_u32_e32 v1, vcc_lo, s5, v1, vcc_lo
	global_store_b64 v[0:1], v[8:9], off
.LBB227_267:
	s_nop 0
	s_sendmsg sendmsg(MSG_DEALLOC_VGPRS)
	s_endpgm
	.section	.rodata,"a",@progbits
	.p2align	6, 0x0
	.amdhsa_kernel _ZN2at6native29vectorized_elementwise_kernelILi8EZZZNS0_16sqrt_kernel_cudaERNS_18TensorIteratorBaseEENKUlvE_clEvENKUlvE0_clEvEUlN3c107complexIfEEE_St5arrayIPcLm2EEEEviT0_T1_
		.amdhsa_group_segment_fixed_size 0
		.amdhsa_private_segment_fixed_size 0
		.amdhsa_kernarg_size 24
		.amdhsa_user_sgpr_count 15
		.amdhsa_user_sgpr_dispatch_ptr 0
		.amdhsa_user_sgpr_queue_ptr 0
		.amdhsa_user_sgpr_kernarg_segment_ptr 1
		.amdhsa_user_sgpr_dispatch_id 0
		.amdhsa_user_sgpr_private_segment_size 0
		.amdhsa_wavefront_size32 1
		.amdhsa_uses_dynamic_stack 0
		.amdhsa_enable_private_segment 0
		.amdhsa_system_sgpr_workgroup_id_x 1
		.amdhsa_system_sgpr_workgroup_id_y 0
		.amdhsa_system_sgpr_workgroup_id_z 0
		.amdhsa_system_sgpr_workgroup_info 0
		.amdhsa_system_vgpr_workitem_id 0
		.amdhsa_next_free_vgpr 19
		.amdhsa_next_free_sgpr 17
		.amdhsa_reserve_vcc 1
		.amdhsa_float_round_mode_32 0
		.amdhsa_float_round_mode_16_64 0
		.amdhsa_float_denorm_mode_32 3
		.amdhsa_float_denorm_mode_16_64 3
		.amdhsa_dx10_clamp 1
		.amdhsa_ieee_mode 1
		.amdhsa_fp16_overflow 0
		.amdhsa_workgroup_processor_mode 1
		.amdhsa_memory_ordered 1
		.amdhsa_forward_progress 0
		.amdhsa_shared_vgpr_count 0
		.amdhsa_exception_fp_ieee_invalid_op 0
		.amdhsa_exception_fp_denorm_src 0
		.amdhsa_exception_fp_ieee_div_zero 0
		.amdhsa_exception_fp_ieee_overflow 0
		.amdhsa_exception_fp_ieee_underflow 0
		.amdhsa_exception_fp_ieee_inexact 0
		.amdhsa_exception_int_div_zero 0
	.end_amdhsa_kernel
	.section	.text._ZN2at6native29vectorized_elementwise_kernelILi8EZZZNS0_16sqrt_kernel_cudaERNS_18TensorIteratorBaseEENKUlvE_clEvENKUlvE0_clEvEUlN3c107complexIfEEE_St5arrayIPcLm2EEEEviT0_T1_,"axG",@progbits,_ZN2at6native29vectorized_elementwise_kernelILi8EZZZNS0_16sqrt_kernel_cudaERNS_18TensorIteratorBaseEENKUlvE_clEvENKUlvE0_clEvEUlN3c107complexIfEEE_St5arrayIPcLm2EEEEviT0_T1_,comdat
.Lfunc_end227:
	.size	_ZN2at6native29vectorized_elementwise_kernelILi8EZZZNS0_16sqrt_kernel_cudaERNS_18TensorIteratorBaseEENKUlvE_clEvENKUlvE0_clEvEUlN3c107complexIfEEE_St5arrayIPcLm2EEEEviT0_T1_, .Lfunc_end227-_ZN2at6native29vectorized_elementwise_kernelILi8EZZZNS0_16sqrt_kernel_cudaERNS_18TensorIteratorBaseEENKUlvE_clEvENKUlvE0_clEvEUlN3c107complexIfEEE_St5arrayIPcLm2EEEEviT0_T1_
                                        ; -- End function
	.section	.AMDGPU.csdata,"",@progbits
; Kernel info:
; codeLenInByte = 10592
; NumSgprs: 19
; NumVgprs: 19
; ScratchSize: 0
; MemoryBound: 0
; FloatMode: 240
; IeeeMode: 1
; LDSByteSize: 0 bytes/workgroup (compile time only)
; SGPRBlocks: 2
; VGPRBlocks: 2
; NumSGPRsForWavesPerEU: 19
; NumVGPRsForWavesPerEU: 19
; Occupancy: 16
; WaveLimiterHint : 0
; COMPUTE_PGM_RSRC2:SCRATCH_EN: 0
; COMPUTE_PGM_RSRC2:USER_SGPR: 15
; COMPUTE_PGM_RSRC2:TRAP_HANDLER: 0
; COMPUTE_PGM_RSRC2:TGID_X_EN: 1
; COMPUTE_PGM_RSRC2:TGID_Y_EN: 0
; COMPUTE_PGM_RSRC2:TGID_Z_EN: 0
; COMPUTE_PGM_RSRC2:TIDIG_COMP_CNT: 0
	.section	.text._ZN2at6native29vectorized_elementwise_kernelILi4EZZZNS0_16sqrt_kernel_cudaERNS_18TensorIteratorBaseEENKUlvE_clEvENKUlvE0_clEvEUlN3c107complexIfEEE_St5arrayIPcLm2EEEEviT0_T1_,"axG",@progbits,_ZN2at6native29vectorized_elementwise_kernelILi4EZZZNS0_16sqrt_kernel_cudaERNS_18TensorIteratorBaseEENKUlvE_clEvENKUlvE0_clEvEUlN3c107complexIfEEE_St5arrayIPcLm2EEEEviT0_T1_,comdat
	.globl	_ZN2at6native29vectorized_elementwise_kernelILi4EZZZNS0_16sqrt_kernel_cudaERNS_18TensorIteratorBaseEENKUlvE_clEvENKUlvE0_clEvEUlN3c107complexIfEEE_St5arrayIPcLm2EEEEviT0_T1_ ; -- Begin function _ZN2at6native29vectorized_elementwise_kernelILi4EZZZNS0_16sqrt_kernel_cudaERNS_18TensorIteratorBaseEENKUlvE_clEvENKUlvE0_clEvEUlN3c107complexIfEEE_St5arrayIPcLm2EEEEviT0_T1_
	.p2align	8
	.type	_ZN2at6native29vectorized_elementwise_kernelILi4EZZZNS0_16sqrt_kernel_cudaERNS_18TensorIteratorBaseEENKUlvE_clEvENKUlvE0_clEvEUlN3c107complexIfEEE_St5arrayIPcLm2EEEEviT0_T1_,@function
_ZN2at6native29vectorized_elementwise_kernelILi4EZZZNS0_16sqrt_kernel_cudaERNS_18TensorIteratorBaseEENKUlvE_clEvENKUlvE0_clEvEUlN3c107complexIfEEE_St5arrayIPcLm2EEEEviT0_T1_: ; @_ZN2at6native29vectorized_elementwise_kernelILi4EZZZNS0_16sqrt_kernel_cudaERNS_18TensorIteratorBaseEENKUlvE_clEvENKUlvE0_clEvEUlN3c107complexIfEEE_St5arrayIPcLm2EEEEviT0_T1_
; %bb.0:
	s_clause 0x1
	s_load_b32 s2, s[0:1], 0x0
	s_load_b128 s[4:7], s[0:1], 0x8
	s_lshl_b32 s8, s15, 10
	s_mov_b32 s0, -1
	s_waitcnt lgkmcnt(0)
	s_sub_i32 s10, s2, s8
	s_delay_alu instid0(SALU_CYCLE_1)
	s_cmpk_gt_i32 s10, 0x3ff
	s_cbranch_scc0 .LBB228_122
; %bb.1:
	s_ashr_i32 s9, s8, 31
	v_dual_mov_b32 v3, 0 :: v_dual_lshlrev_b32 v12, 5, v0
	s_lshl_b64 s[2:3], s[8:9], 3
	s_delay_alu instid0(SALU_CYCLE_1)
	s_add_u32 s0, s6, s2
	s_addc_u32 s1, s7, s3
	s_clause 0x1
	global_load_b128 v[8:11], v12, s[0:1]
	global_load_b128 v[4:7], v12, s[0:1] offset:16
	s_waitcnt vmcnt(1)
	v_dual_mov_b32 v1, 0 :: v_dual_mov_b32 v2, v9
	v_cmp_neq_f32_e32 vcc_lo, 0, v8
	v_cmp_neq_f32_e64 s0, 0, v9
	s_delay_alu instid0(VALU_DEP_1) | instskip(NEXT) | instid1(SALU_CYCLE_1)
	s_or_b32 s0, vcc_lo, s0
	s_and_saveexec_b32 s9, s0
	s_cbranch_execz .LBB228_31
; %bb.2:
	v_dual_mov_b32 v1, 0x7f800000 :: v_dual_mov_b32 v2, v9
	s_mov_b32 s11, exec_lo
	v_cmpx_neq_f32_e64 0x7f800000, |v9|
	s_cbranch_execz .LBB228_30
; %bb.3:
	s_mov_b32 s0, exec_lo
	v_cmpx_o_f32_e32 v8, v8
	s_xor_b32 s12, exec_lo, s0
	s_cbranch_execz .LBB228_27
; %bb.4:
	s_mov_b32 s1, exec_lo
	v_cmpx_neq_f32_e64 0x7f800000, |v8|
	s_xor_b32 s13, exec_lo, s1
	s_cbranch_execz .LBB228_20
; %bb.5:
	v_max_f32_e64 v1, |v9|, |v9|
	v_max_f32_e64 v2, |v8|, |v8|
                                        ; implicit-def: $sgpr14
	s_delay_alu instid0(VALU_DEP_1) | instskip(NEXT) | instid1(VALU_DEP_1)
	v_max_f32_e32 v1, v2, v1
                                        ; implicit-def: $vgpr2
	v_cmp_nle_f32_e64 s0, 0x7ed413cb, v1
                                        ; implicit-def: $vgpr1
	s_delay_alu instid0(VALU_DEP_1) | instskip(NEXT) | instid1(SALU_CYCLE_1)
	s_and_saveexec_b32 s1, s0
	s_xor_b32 s1, exec_lo, s1
	s_cbranch_execz .LBB228_9
; %bb.6:
	v_cmp_ge_f32_e64 s14, 0x1000000, |v8|
	v_cmp_ge_f32_e64 s15, 0x1000000, |v9|
	v_dual_mov_b32 v2, v8 :: v_dual_mov_b32 v1, v9
	s_delay_alu instid0(VALU_DEP_2)
	s_and_b32 s16, s14, s15
	s_mov_b32 s14, 0
	s_and_saveexec_b32 s15, s16
; %bb.7:
	v_dual_mul_f32 v1, 4.0, v9 :: v_dual_mul_f32 v2, 4.0, v8
	s_mov_b32 s14, exec_lo
; %bb.8:
	s_or_b32 exec_lo, exec_lo, s15
	s_delay_alu instid0(SALU_CYCLE_1)
	s_and_b32 s14, s14, exec_lo
.LBB228_9:
	s_and_not1_saveexec_b32 s1, s1
; %bb.10:
	v_dual_mul_f32 v2, 0x3e800000, v8 :: v_dual_mul_f32 v1, 0x3e800000, v9
	s_and_not1_b32 s14, s14, exec_lo
; %bb.11:
	s_or_b32 exec_lo, exec_lo, s1
	s_delay_alu instid0(VALU_DEP_1) | instskip(NEXT) | instid1(VALU_DEP_2)
	v_max_f32_e64 v13, |v1|, |v1|
	v_max_f32_e64 v14, |v2|, |v2|
	s_delay_alu instid0(VALU_DEP_1) | instskip(NEXT) | instid1(VALU_DEP_1)
	v_max_f32_e32 v15, v14, v13
	v_cvt_f64_f32_e32 v[13:14], v15
	s_delay_alu instid0(VALU_DEP_1) | instskip(NEXT) | instid1(VALU_DEP_1)
	v_frexp_exp_i32_f64_e32 v13, v[13:14]
	v_sub_nc_u32_e32 v14, 0, v13
	s_delay_alu instid0(VALU_DEP_1) | instskip(SKIP_1) | instid1(VALU_DEP_2)
	v_ldexp_f32 v16, |v1|, v14
	v_ldexp_f32 v14, |v2|, v14
	v_mul_f32_e32 v16, v16, v16
	v_cmp_neq_f32_e64 s1, 0x7f800000, v15
	s_delay_alu instid0(VALU_DEP_2) | instskip(NEXT) | instid1(VALU_DEP_1)
	v_fmac_f32_e32 v16, v14, v14
	v_sqrt_f32_e32 v14, v16
	s_waitcnt_depctr 0xfff
	v_ldexp_f32 v13, v14, v13
                                        ; implicit-def: $vgpr14
	s_delay_alu instid0(VALU_DEP_1)
	v_cndmask_b32_e64 v15, 0x7f800000, v13, s1
                                        ; implicit-def: $vgpr13
	s_mov_b32 s1, exec_lo
	v_cmpx_le_f32_e32 0, v2
	s_xor_b32 s15, exec_lo, s1
	s_cbranch_execz .LBB228_15
; %bb.12:
	v_add_f32_e32 v2, v2, v15
	s_delay_alu instid0(VALU_DEP_1) | instskip(NEXT) | instid1(VALU_DEP_1)
	v_mul_f32_e32 v2, 0.5, v2
	v_mul_f32_e32 v13, 0x4f800000, v2
	v_cmp_gt_f32_e32 vcc_lo, 0xf800000, v2
	s_delay_alu instid0(VALU_DEP_2) | instskip(NEXT) | instid1(VALU_DEP_1)
	v_cndmask_b32_e32 v2, v2, v13, vcc_lo
	v_sqrt_f32_e32 v13, v2
	s_waitcnt_depctr 0xfff
	v_add_nc_u32_e32 v14, -1, v13
	v_add_nc_u32_e32 v15, 1, v13
	s_delay_alu instid0(VALU_DEP_2) | instskip(NEXT) | instid1(VALU_DEP_2)
	v_fma_f32 v16, -v14, v13, v2
	v_fma_f32 v17, -v15, v13, v2
	s_delay_alu instid0(VALU_DEP_2) | instskip(NEXT) | instid1(VALU_DEP_1)
	v_cmp_ge_f32_e64 s1, 0, v16
	v_cndmask_b32_e64 v13, v13, v14, s1
	s_delay_alu instid0(VALU_DEP_3) | instskip(NEXT) | instid1(VALU_DEP_1)
	v_cmp_lt_f32_e64 s1, 0, v17
	v_cndmask_b32_e64 v13, v13, v15, s1
	s_delay_alu instid0(VALU_DEP_1) | instskip(NEXT) | instid1(VALU_DEP_1)
	v_mul_f32_e32 v14, 0x37800000, v13
	v_cndmask_b32_e32 v13, v13, v14, vcc_lo
	v_cmp_class_f32_e64 vcc_lo, v2, 0x260
	s_delay_alu instid0(VALU_DEP_2) | instskip(NEXT) | instid1(VALU_DEP_1)
	v_cndmask_b32_e32 v13, v13, v2, vcc_lo
	v_add_f32_e32 v2, v13, v13
	s_delay_alu instid0(VALU_DEP_1) | instskip(NEXT) | instid1(VALU_DEP_1)
	v_div_scale_f32 v14, null, v2, v2, v1
	v_rcp_f32_e32 v15, v14
	s_waitcnt_depctr 0xfff
	v_fma_f32 v16, -v14, v15, 1.0
	s_delay_alu instid0(VALU_DEP_1) | instskip(SKIP_1) | instid1(VALU_DEP_1)
	v_fmac_f32_e32 v15, v16, v15
	v_div_scale_f32 v16, vcc_lo, v1, v2, v1
	v_mul_f32_e32 v17, v16, v15
	s_delay_alu instid0(VALU_DEP_1) | instskip(NEXT) | instid1(VALU_DEP_1)
	v_fma_f32 v18, -v14, v17, v16
	v_fmac_f32_e32 v17, v18, v15
	s_delay_alu instid0(VALU_DEP_1) | instskip(NEXT) | instid1(VALU_DEP_1)
	v_fma_f32 v14, -v14, v17, v16
	v_div_fmas_f32 v14, v14, v15, v17
                                        ; implicit-def: $vgpr15
	s_delay_alu instid0(VALU_DEP_1)
	v_div_fixup_f32 v14, v14, v2, v1
                                        ; implicit-def: $vgpr2
                                        ; implicit-def: $vgpr1
	s_and_not1_saveexec_b32 s15, s15
	s_cbranch_execnz .LBB228_16
.LBB228_13:
	s_or_b32 exec_lo, exec_lo, s15
	s_and_saveexec_b32 s1, s0
	s_delay_alu instid0(SALU_CYCLE_1)
	s_xor_b32 s0, exec_lo, s1
	s_cbranch_execz .LBB228_17
.LBB228_14:
	v_dual_mul_f32 v1, 0.5, v13 :: v_dual_mul_f32 v2, 0.5, v14
	s_delay_alu instid0(VALU_DEP_1) | instskip(NEXT) | instid1(VALU_DEP_2)
	v_cndmask_b32_e64 v1, v13, v1, s14
	v_cndmask_b32_e64 v2, v14, v2, s14
                                        ; implicit-def: $vgpr13
                                        ; implicit-def: $vgpr14
	s_and_not1_saveexec_b32 s0, s0
	s_cbranch_execnz .LBB228_18
	s_branch .LBB228_19
.LBB228_15:
	s_and_not1_saveexec_b32 s15, s15
	s_cbranch_execz .LBB228_13
.LBB228_16:
	v_sub_f32_e32 v2, v15, v2
	s_delay_alu instid0(VALU_DEP_1) | instskip(NEXT) | instid1(VALU_DEP_1)
	v_mul_f32_e32 v2, 0.5, v2
	v_mul_f32_e32 v13, 0x4f800000, v2
	v_cmp_gt_f32_e32 vcc_lo, 0xf800000, v2
	s_delay_alu instid0(VALU_DEP_2) | instskip(NEXT) | instid1(VALU_DEP_1)
	v_cndmask_b32_e32 v2, v2, v13, vcc_lo
	v_sqrt_f32_e32 v13, v2
	s_waitcnt_depctr 0xfff
	v_add_nc_u32_e32 v14, -1, v13
	v_add_nc_u32_e32 v15, 1, v13
	s_delay_alu instid0(VALU_DEP_2) | instskip(NEXT) | instid1(VALU_DEP_2)
	v_fma_f32 v16, -v14, v13, v2
	v_fma_f32 v17, -v15, v13, v2
	s_delay_alu instid0(VALU_DEP_2) | instskip(NEXT) | instid1(VALU_DEP_1)
	v_cmp_ge_f32_e64 s1, 0, v16
	v_cndmask_b32_e64 v13, v13, v14, s1
	s_delay_alu instid0(VALU_DEP_3) | instskip(NEXT) | instid1(VALU_DEP_1)
	v_cmp_lt_f32_e64 s1, 0, v17
	v_cndmask_b32_e64 v13, v13, v15, s1
	s_delay_alu instid0(VALU_DEP_1) | instskip(NEXT) | instid1(VALU_DEP_1)
	v_mul_f32_e32 v14, 0x37800000, v13
	v_cndmask_b32_e32 v13, v13, v14, vcc_lo
	v_cmp_class_f32_e64 vcc_lo, v2, 0x260
	s_delay_alu instid0(VALU_DEP_2) | instskip(NEXT) | instid1(VALU_DEP_1)
	v_dual_cndmask_b32 v2, v13, v2 :: v_dual_and_b32 v13, 0x7fffffff, v1
	v_add_f32_e32 v14, v2, v2
	s_delay_alu instid0(VALU_DEP_1) | instskip(SKIP_1) | instid1(VALU_DEP_2)
	v_div_scale_f32 v15, null, v14, v14, v13
	v_div_scale_f32 v13, vcc_lo, v13, v14, v13
	v_rcp_f32_e32 v16, v15
	s_waitcnt_depctr 0xfff
	v_fma_f32 v17, -v15, v16, 1.0
	s_delay_alu instid0(VALU_DEP_1) | instskip(NEXT) | instid1(VALU_DEP_1)
	v_fmac_f32_e32 v16, v17, v16
	v_mul_f32_e32 v17, v13, v16
	s_delay_alu instid0(VALU_DEP_1) | instskip(NEXT) | instid1(VALU_DEP_1)
	v_fma_f32 v18, -v15, v17, v13
	v_fmac_f32_e32 v17, v18, v16
	s_delay_alu instid0(VALU_DEP_1) | instskip(NEXT) | instid1(VALU_DEP_1)
	v_fma_f32 v13, -v15, v17, v13
	v_div_fmas_f32 v13, v13, v16, v17
	s_delay_alu instid0(VALU_DEP_1) | instskip(SKIP_3) | instid1(SALU_CYCLE_1)
	v_div_fixup_f32 v13, v13, v14, |v1|
	v_bfi_b32 v14, 0x7fffffff, v2, v1
	s_or_b32 exec_lo, exec_lo, s15
	s_and_saveexec_b32 s1, s0
	s_xor_b32 s0, exec_lo, s1
	s_cbranch_execnz .LBB228_14
.LBB228_17:
	s_and_not1_saveexec_b32 s0, s0
.LBB228_18:
	v_dual_add_f32 v1, v13, v13 :: v_dual_add_f32 v2, v14, v14
.LBB228_19:
	s_or_b32 exec_lo, exec_lo, s0
.LBB228_20:
	s_and_not1_saveexec_b32 s0, s13
	s_cbranch_execz .LBB228_26
; %bb.21:
	v_sub_f32_e32 v13, v9, v9
	s_mov_b32 s1, exec_lo
	v_cmpx_lt_i32_e32 -1, v8
	s_xor_b32 s1, exec_lo, s1
; %bb.22:
	s_delay_alu instid0(VALU_DEP_2)
	v_bfi_b32 v2, 0x7fffffff, v13, v9
                                        ; implicit-def: $vgpr13
; %bb.23:
	s_or_saveexec_b32 s1, s1
	v_mov_b32_e32 v1, v8
	s_xor_b32 exec_lo, exec_lo, s1
; %bb.24:
	v_and_b32_e32 v1, 0x7fffffff, v13
	v_bfi_b32 v2, 0x7fffffff, v8, v9
; %bb.25:
	s_or_b32 exec_lo, exec_lo, s1
.LBB228_26:
	s_delay_alu instid0(SALU_CYCLE_1)
	s_or_b32 exec_lo, exec_lo, s0
.LBB228_27:
	s_and_not1_saveexec_b32 s0, s12
	s_cbranch_execz .LBB228_29
; %bb.28:
	v_sub_f32_e32 v1, v9, v9
	s_delay_alu instid0(VALU_DEP_1) | instskip(NEXT) | instid1(VALU_DEP_1)
	v_div_scale_f32 v2, vcc_lo, v1, v1, v1
	v_rcp_f32_e32 v9, v2
	s_waitcnt_depctr 0xfff
	v_fma_f32 v13, -v2, v9, 1.0
	s_delay_alu instid0(VALU_DEP_1) | instskip(NEXT) | instid1(VALU_DEP_1)
	v_fmac_f32_e32 v9, v13, v9
	v_mul_f32_e32 v13, v2, v9
	s_delay_alu instid0(VALU_DEP_1) | instskip(NEXT) | instid1(VALU_DEP_1)
	v_fma_f32 v14, -v2, v13, v2
	v_fmac_f32_e32 v13, v14, v9
	s_delay_alu instid0(VALU_DEP_1) | instskip(NEXT) | instid1(VALU_DEP_1)
	v_fma_f32 v2, -v2, v13, v2
	v_div_fmas_f32 v2, v2, v9, v13
	s_delay_alu instid0(VALU_DEP_1)
	v_div_fixup_f32 v2, v2, v1, v1
	v_mov_b32_e32 v1, v8
.LBB228_29:
	s_or_b32 exec_lo, exec_lo, s0
.LBB228_30:
	s_delay_alu instid0(SALU_CYCLE_1)
	s_or_b32 exec_lo, exec_lo, s11
.LBB228_31:
	s_delay_alu instid0(SALU_CYCLE_1) | instskip(SKIP_2) | instid1(VALU_DEP_1)
	s_or_b32 exec_lo, exec_lo, s9
	v_cmp_neq_f32_e32 vcc_lo, 0, v10
	v_cmp_neq_f32_e64 s0, 0, v11
	s_or_b32 s0, vcc_lo, s0
	s_delay_alu instid0(SALU_CYCLE_1)
	s_and_saveexec_b32 s9, s0
	s_cbranch_execz .LBB228_61
; %bb.32:
	v_mov_b32_e32 v3, 0x7f800000
	s_mov_b32 s11, exec_lo
	v_cmpx_neq_f32_e64 0x7f800000, |v11|
	s_cbranch_execz .LBB228_60
; %bb.33:
	s_mov_b32 s0, exec_lo
	v_cmpx_o_f32_e32 v10, v10
	s_xor_b32 s12, exec_lo, s0
	s_cbranch_execz .LBB228_57
; %bb.34:
	s_mov_b32 s1, exec_lo
	v_cmpx_neq_f32_e64 0x7f800000, |v10|
	s_xor_b32 s13, exec_lo, s1
	s_cbranch_execz .LBB228_50
; %bb.35:
	v_max_f32_e64 v3, |v11|, |v11|
	v_max_f32_e64 v8, |v10|, |v10|
                                        ; implicit-def: $sgpr14
	s_delay_alu instid0(VALU_DEP_1) | instskip(NEXT) | instid1(VALU_DEP_1)
	v_max_f32_e32 v3, v8, v3
	v_cmp_nle_f32_e64 s0, 0x7ed413cb, v3
	s_delay_alu instid0(VALU_DEP_1) | instskip(NEXT) | instid1(SALU_CYCLE_1)
	s_and_saveexec_b32 s1, s0
	s_xor_b32 s1, exec_lo, s1
	s_cbranch_execz .LBB228_39
; %bb.36:
	v_cmp_ge_f32_e64 s14, 0x1000000, |v10|
	v_cmp_ge_f32_e64 s15, 0x1000000, |v11|
	s_delay_alu instid0(VALU_DEP_1)
	s_and_b32 s16, s14, s15
	s_mov_b32 s14, 0
	s_and_saveexec_b32 s15, s16
; %bb.37:
	v_dual_mul_f32 v11, 4.0, v11 :: v_dual_mul_f32 v10, 4.0, v10
	s_mov_b32 s14, exec_lo
; %bb.38:
	s_or_b32 exec_lo, exec_lo, s15
	s_delay_alu instid0(SALU_CYCLE_1)
	s_and_b32 s14, s14, exec_lo
.LBB228_39:
	s_and_not1_saveexec_b32 s1, s1
; %bb.40:
	v_dual_mul_f32 v10, 0x3e800000, v10 :: v_dual_mul_f32 v11, 0x3e800000, v11
	s_and_not1_b32 s14, s14, exec_lo
; %bb.41:
	s_or_b32 exec_lo, exec_lo, s1
	s_delay_alu instid0(VALU_DEP_1) | instskip(NEXT) | instid1(VALU_DEP_2)
	v_max_f32_e64 v3, |v11|, |v11|
	v_max_f32_e64 v8, |v10|, |v10|
	s_delay_alu instid0(VALU_DEP_1) | instskip(NEXT) | instid1(VALU_DEP_1)
	v_max_f32_e32 v3, v8, v3
	v_cvt_f64_f32_e32 v[8:9], v3
	v_cmp_neq_f32_e64 s1, 0x7f800000, v3
                                        ; implicit-def: $vgpr3
	s_delay_alu instid0(VALU_DEP_2) | instskip(NEXT) | instid1(VALU_DEP_1)
	v_frexp_exp_i32_f64_e32 v8, v[8:9]
	v_sub_nc_u32_e32 v9, 0, v8
	s_delay_alu instid0(VALU_DEP_1) | instskip(SKIP_1) | instid1(VALU_DEP_2)
	v_ldexp_f32 v13, |v11|, v9
	v_ldexp_f32 v9, |v10|, v9
	v_mul_f32_e32 v13, v13, v13
	s_delay_alu instid0(VALU_DEP_1) | instskip(NEXT) | instid1(VALU_DEP_1)
	v_fmac_f32_e32 v13, v9, v9
	v_sqrt_f32_e32 v9, v13
	s_waitcnt_depctr 0xfff
	v_ldexp_f32 v8, v9, v8
	s_delay_alu instid0(VALU_DEP_1)
	v_cndmask_b32_e64 v9, 0x7f800000, v8, s1
                                        ; implicit-def: $vgpr8
	s_mov_b32 s1, exec_lo
	v_cmpx_le_f32_e32 0, v10
	s_xor_b32 s15, exec_lo, s1
	s_cbranch_execz .LBB228_43
; %bb.42:
	v_add_f32_e32 v3, v10, v9
	s_delay_alu instid0(VALU_DEP_1) | instskip(NEXT) | instid1(VALU_DEP_1)
	v_mul_f32_e32 v3, 0.5, v3
	v_mul_f32_e32 v8, 0x4f800000, v3
	v_cmp_gt_f32_e32 vcc_lo, 0xf800000, v3
	s_delay_alu instid0(VALU_DEP_2) | instskip(NEXT) | instid1(VALU_DEP_1)
	v_cndmask_b32_e32 v3, v3, v8, vcc_lo
	v_sqrt_f32_e32 v8, v3
	s_waitcnt_depctr 0xfff
	v_add_nc_u32_e32 v9, -1, v8
	v_add_nc_u32_e32 v10, 1, v8
	s_delay_alu instid0(VALU_DEP_2) | instskip(NEXT) | instid1(VALU_DEP_2)
	v_fma_f32 v13, -v9, v8, v3
	v_fma_f32 v14, -v10, v8, v3
	s_delay_alu instid0(VALU_DEP_2) | instskip(NEXT) | instid1(VALU_DEP_1)
	v_cmp_ge_f32_e64 s1, 0, v13
	v_cndmask_b32_e64 v8, v8, v9, s1
	s_delay_alu instid0(VALU_DEP_3) | instskip(NEXT) | instid1(VALU_DEP_1)
	v_cmp_lt_f32_e64 s1, 0, v14
	v_cndmask_b32_e64 v8, v8, v10, s1
	s_delay_alu instid0(VALU_DEP_1) | instskip(NEXT) | instid1(VALU_DEP_1)
	v_mul_f32_e32 v9, 0x37800000, v8
	v_cndmask_b32_e32 v8, v8, v9, vcc_lo
	v_cmp_class_f32_e64 vcc_lo, v3, 0x260
	s_delay_alu instid0(VALU_DEP_2) | instskip(NEXT) | instid1(VALU_DEP_1)
	v_cndmask_b32_e32 v3, v8, v3, vcc_lo
	v_add_f32_e32 v8, v3, v3
	s_delay_alu instid0(VALU_DEP_1) | instskip(NEXT) | instid1(VALU_DEP_1)
	v_div_scale_f32 v9, null, v8, v8, v11
	v_rcp_f32_e32 v10, v9
	s_waitcnt_depctr 0xfff
	v_fma_f32 v13, -v9, v10, 1.0
	s_delay_alu instid0(VALU_DEP_1) | instskip(SKIP_1) | instid1(VALU_DEP_1)
	v_fmac_f32_e32 v10, v13, v10
	v_div_scale_f32 v13, vcc_lo, v11, v8, v11
	v_mul_f32_e32 v14, v13, v10
	s_delay_alu instid0(VALU_DEP_1) | instskip(NEXT) | instid1(VALU_DEP_1)
	v_fma_f32 v15, -v9, v14, v13
	v_fmac_f32_e32 v14, v15, v10
	s_delay_alu instid0(VALU_DEP_1) | instskip(NEXT) | instid1(VALU_DEP_1)
	v_fma_f32 v9, -v9, v14, v13
	v_div_fmas_f32 v9, v9, v10, v14
                                        ; implicit-def: $vgpr10
	s_delay_alu instid0(VALU_DEP_1)
	v_div_fixup_f32 v8, v9, v8, v11
                                        ; implicit-def: $vgpr9
	s_and_not1_saveexec_b32 s15, s15
	s_cbranch_execz .LBB228_45
	s_branch .LBB228_44
.LBB228_43:
	s_and_not1_saveexec_b32 s15, s15
	s_cbranch_execz .LBB228_45
.LBB228_44:
	v_sub_f32_e32 v3, v9, v10
	s_delay_alu instid0(VALU_DEP_1) | instskip(NEXT) | instid1(VALU_DEP_1)
	v_mul_f32_e32 v3, 0.5, v3
	v_mul_f32_e32 v8, 0x4f800000, v3
	v_cmp_gt_f32_e32 vcc_lo, 0xf800000, v3
	s_delay_alu instid0(VALU_DEP_2) | instskip(NEXT) | instid1(VALU_DEP_1)
	v_cndmask_b32_e32 v3, v3, v8, vcc_lo
	v_sqrt_f32_e32 v8, v3
	s_waitcnt_depctr 0xfff
	v_add_nc_u32_e32 v9, -1, v8
	v_add_nc_u32_e32 v10, 1, v8
	s_delay_alu instid0(VALU_DEP_2) | instskip(NEXT) | instid1(VALU_DEP_2)
	v_fma_f32 v13, -v9, v8, v3
	v_fma_f32 v14, -v10, v8, v3
	s_delay_alu instid0(VALU_DEP_2) | instskip(NEXT) | instid1(VALU_DEP_1)
	v_cmp_ge_f32_e64 s1, 0, v13
	v_cndmask_b32_e64 v8, v8, v9, s1
	s_delay_alu instid0(VALU_DEP_3) | instskip(NEXT) | instid1(VALU_DEP_1)
	v_cmp_lt_f32_e64 s1, 0, v14
	v_cndmask_b32_e64 v8, v8, v10, s1
	s_delay_alu instid0(VALU_DEP_1) | instskip(NEXT) | instid1(VALU_DEP_1)
	v_mul_f32_e32 v9, 0x37800000, v8
	v_cndmask_b32_e32 v8, v8, v9, vcc_lo
	v_cmp_class_f32_e64 vcc_lo, v3, 0x260
	s_delay_alu instid0(VALU_DEP_2) | instskip(SKIP_1) | instid1(VALU_DEP_2)
	v_cndmask_b32_e32 v8, v8, v3, vcc_lo
	v_and_b32_e32 v3, 0x7fffffff, v11
	v_add_f32_e32 v9, v8, v8
	v_bfi_b32 v8, 0x7fffffff, v8, v11
	s_delay_alu instid0(VALU_DEP_2) | instskip(SKIP_1) | instid1(VALU_DEP_2)
	v_div_scale_f32 v10, null, v9, v9, v3
	v_div_scale_f32 v3, vcc_lo, v3, v9, v3
	v_rcp_f32_e32 v13, v10
	s_waitcnt_depctr 0xfff
	v_fma_f32 v14, -v10, v13, 1.0
	s_delay_alu instid0(VALU_DEP_1) | instskip(NEXT) | instid1(VALU_DEP_1)
	v_fmac_f32_e32 v13, v14, v13
	v_mul_f32_e32 v14, v3, v13
	s_delay_alu instid0(VALU_DEP_1) | instskip(NEXT) | instid1(VALU_DEP_1)
	v_fma_f32 v15, -v10, v14, v3
	v_fmac_f32_e32 v14, v15, v13
	s_delay_alu instid0(VALU_DEP_1) | instskip(NEXT) | instid1(VALU_DEP_1)
	v_fma_f32 v3, -v10, v14, v3
	v_div_fmas_f32 v3, v3, v13, v14
	s_delay_alu instid0(VALU_DEP_1)
	v_div_fixup_f32 v3, v3, v9, |v11|
.LBB228_45:
	s_or_b32 exec_lo, exec_lo, s15
                                        ; implicit-def: $vgpr11
	s_and_saveexec_b32 s1, s0
	s_delay_alu instid0(SALU_CYCLE_1)
	s_xor_b32 s0, exec_lo, s1
	s_cbranch_execz .LBB228_47
; %bb.46:
	v_mul_f32_e32 v9, 0.5, v3
	v_mul_f32_e32 v11, 0.5, v8
	s_delay_alu instid0(VALU_DEP_2) | instskip(NEXT) | instid1(VALU_DEP_2)
	v_cndmask_b32_e64 v10, v3, v9, s14
	v_cndmask_b32_e64 v11, v8, v11, s14
                                        ; implicit-def: $vgpr3
                                        ; implicit-def: $vgpr8
	s_and_not1_saveexec_b32 s0, s0
	s_cbranch_execnz .LBB228_48
	s_branch .LBB228_49
.LBB228_47:
	s_and_not1_saveexec_b32 s0, s0
.LBB228_48:
	v_dual_add_f32 v10, v3, v3 :: v_dual_add_f32 v11, v8, v8
.LBB228_49:
	s_or_b32 exec_lo, exec_lo, s0
.LBB228_50:
	s_and_not1_saveexec_b32 s0, s13
	s_cbranch_execz .LBB228_56
; %bb.51:
	s_delay_alu instid0(VALU_DEP_1)
	v_sub_f32_e32 v3, v11, v11
	s_mov_b32 s1, exec_lo
	v_cmpx_lt_i32_e32 -1, v10
	s_xor_b32 s1, exec_lo, s1
; %bb.52:
	s_delay_alu instid0(VALU_DEP_2)
	v_bfi_b32 v11, 0x7fffffff, v3, v11
                                        ; implicit-def: $vgpr3
; %bb.53:
	s_and_not1_saveexec_b32 s1, s1
; %bb.54:
	v_and_b32_e32 v3, 0x7fffffff, v3
	s_delay_alu instid0(VALU_DEP_2) | instskip(NEXT) | instid1(VALU_DEP_2)
	v_bfi_b32 v11, 0x7fffffff, v10, v11
	v_mov_b32_e32 v10, v3
; %bb.55:
	s_or_b32 exec_lo, exec_lo, s1
.LBB228_56:
	s_delay_alu instid0(SALU_CYCLE_1)
	s_or_b32 exec_lo, exec_lo, s0
.LBB228_57:
	s_and_not1_saveexec_b32 s0, s12
; %bb.58:
	v_sub_f32_e32 v3, v11, v11
	s_delay_alu instid0(VALU_DEP_1) | instskip(NEXT) | instid1(VALU_DEP_1)
	v_div_scale_f32 v8, vcc_lo, v3, v3, v3
	v_rcp_f32_e32 v9, v8
	s_waitcnt_depctr 0xfff
	v_fma_f32 v11, -v8, v9, 1.0
	s_delay_alu instid0(VALU_DEP_1) | instskip(NEXT) | instid1(VALU_DEP_1)
	v_fmac_f32_e32 v9, v11, v9
	v_mul_f32_e32 v11, v8, v9
	s_delay_alu instid0(VALU_DEP_1) | instskip(NEXT) | instid1(VALU_DEP_1)
	v_fma_f32 v13, -v8, v11, v8
	v_fmac_f32_e32 v11, v13, v9
	s_delay_alu instid0(VALU_DEP_1) | instskip(NEXT) | instid1(VALU_DEP_1)
	v_fma_f32 v8, -v8, v11, v8
	v_div_fmas_f32 v8, v8, v9, v11
	s_delay_alu instid0(VALU_DEP_1)
	v_div_fixup_f32 v11, v8, v3, v3
; %bb.59:
	s_or_b32 exec_lo, exec_lo, s0
	v_mov_b32_e32 v3, v10
.LBB228_60:
	s_or_b32 exec_lo, exec_lo, s11
.LBB228_61:
	s_delay_alu instid0(SALU_CYCLE_1)
	s_or_b32 exec_lo, exec_lo, s9
	s_waitcnt vmcnt(0)
	v_cmp_neq_f32_e32 vcc_lo, 0, v4
	v_cmp_neq_f32_e64 s0, 0, v5
	v_dual_mov_b32 v10, 0 :: v_dual_mov_b32 v9, v5
	v_mov_b32_e32 v8, 0
	s_delay_alu instid0(VALU_DEP_3) | instskip(NEXT) | instid1(SALU_CYCLE_1)
	s_or_b32 s0, vcc_lo, s0
	s_and_saveexec_b32 s9, s0
	s_cbranch_execz .LBB228_91
; %bb.62:
	v_dual_mov_b32 v8, 0x7f800000 :: v_dual_mov_b32 v9, v5
	s_mov_b32 s11, exec_lo
	v_cmpx_neq_f32_e64 0x7f800000, |v5|
	s_cbranch_execz .LBB228_90
; %bb.63:
	s_mov_b32 s0, exec_lo
	v_cmpx_o_f32_e32 v4, v4
	s_xor_b32 s12, exec_lo, s0
	s_cbranch_execz .LBB228_87
; %bb.64:
	s_mov_b32 s1, exec_lo
	v_cmpx_neq_f32_e64 0x7f800000, |v4|
	s_xor_b32 s13, exec_lo, s1
	s_cbranch_execz .LBB228_80
; %bb.65:
	v_max_f32_e64 v8, |v5|, |v5|
	v_max_f32_e64 v9, |v4|, |v4|
                                        ; implicit-def: $sgpr14
	s_delay_alu instid0(VALU_DEP_1) | instskip(NEXT) | instid1(VALU_DEP_1)
	v_max_f32_e32 v8, v9, v8
                                        ; implicit-def: $vgpr9
	v_cmp_nle_f32_e64 s0, 0x7ed413cb, v8
                                        ; implicit-def: $vgpr8
	s_delay_alu instid0(VALU_DEP_1) | instskip(NEXT) | instid1(SALU_CYCLE_1)
	s_and_saveexec_b32 s1, s0
	s_xor_b32 s1, exec_lo, s1
	s_cbranch_execz .LBB228_69
; %bb.66:
	v_cmp_ge_f32_e64 s14, 0x1000000, |v4|
	v_cmp_ge_f32_e64 s15, 0x1000000, |v5|
	v_dual_mov_b32 v9, v4 :: v_dual_mov_b32 v8, v5
	s_delay_alu instid0(VALU_DEP_2)
	s_and_b32 s16, s14, s15
	s_mov_b32 s14, 0
	s_and_saveexec_b32 s15, s16
; %bb.67:
	v_dual_mul_f32 v8, 4.0, v5 :: v_dual_mul_f32 v9, 4.0, v4
	s_mov_b32 s14, exec_lo
; %bb.68:
	s_or_b32 exec_lo, exec_lo, s15
	s_delay_alu instid0(SALU_CYCLE_1)
	s_and_b32 s14, s14, exec_lo
.LBB228_69:
	s_and_not1_saveexec_b32 s1, s1
; %bb.70:
	v_dual_mul_f32 v9, 0x3e800000, v4 :: v_dual_mul_f32 v8, 0x3e800000, v5
	s_and_not1_b32 s14, s14, exec_lo
; %bb.71:
	s_or_b32 exec_lo, exec_lo, s1
	s_delay_alu instid0(VALU_DEP_1) | instskip(NEXT) | instid1(VALU_DEP_2)
	v_max_f32_e64 v13, |v8|, |v8|
	v_max_f32_e64 v14, |v9|, |v9|
	s_delay_alu instid0(VALU_DEP_1) | instskip(NEXT) | instid1(VALU_DEP_1)
	v_max_f32_e32 v15, v14, v13
	v_cvt_f64_f32_e32 v[13:14], v15
	s_delay_alu instid0(VALU_DEP_1) | instskip(NEXT) | instid1(VALU_DEP_1)
	v_frexp_exp_i32_f64_e32 v13, v[13:14]
	v_sub_nc_u32_e32 v14, 0, v13
	s_delay_alu instid0(VALU_DEP_1) | instskip(SKIP_1) | instid1(VALU_DEP_2)
	v_ldexp_f32 v16, |v8|, v14
	v_ldexp_f32 v14, |v9|, v14
	v_mul_f32_e32 v16, v16, v16
	v_cmp_neq_f32_e64 s1, 0x7f800000, v15
	s_delay_alu instid0(VALU_DEP_2) | instskip(NEXT) | instid1(VALU_DEP_1)
	v_fmac_f32_e32 v16, v14, v14
	v_sqrt_f32_e32 v14, v16
	s_waitcnt_depctr 0xfff
	v_ldexp_f32 v13, v14, v13
                                        ; implicit-def: $vgpr14
	s_delay_alu instid0(VALU_DEP_1)
	v_cndmask_b32_e64 v15, 0x7f800000, v13, s1
                                        ; implicit-def: $vgpr13
	s_mov_b32 s1, exec_lo
	v_cmpx_le_f32_e32 0, v9
	s_xor_b32 s15, exec_lo, s1
	s_cbranch_execz .LBB228_75
; %bb.72:
	v_add_f32_e32 v9, v9, v15
	s_delay_alu instid0(VALU_DEP_1) | instskip(NEXT) | instid1(VALU_DEP_1)
	v_mul_f32_e32 v9, 0.5, v9
	v_mul_f32_e32 v13, 0x4f800000, v9
	v_cmp_gt_f32_e32 vcc_lo, 0xf800000, v9
	s_delay_alu instid0(VALU_DEP_2) | instskip(NEXT) | instid1(VALU_DEP_1)
	v_cndmask_b32_e32 v9, v9, v13, vcc_lo
	v_sqrt_f32_e32 v13, v9
	s_waitcnt_depctr 0xfff
	v_add_nc_u32_e32 v14, -1, v13
	v_add_nc_u32_e32 v15, 1, v13
	s_delay_alu instid0(VALU_DEP_2) | instskip(NEXT) | instid1(VALU_DEP_2)
	v_fma_f32 v16, -v14, v13, v9
	v_fma_f32 v17, -v15, v13, v9
	s_delay_alu instid0(VALU_DEP_2) | instskip(NEXT) | instid1(VALU_DEP_1)
	v_cmp_ge_f32_e64 s1, 0, v16
	v_cndmask_b32_e64 v13, v13, v14, s1
	s_delay_alu instid0(VALU_DEP_3) | instskip(NEXT) | instid1(VALU_DEP_1)
	v_cmp_lt_f32_e64 s1, 0, v17
	v_cndmask_b32_e64 v13, v13, v15, s1
	s_delay_alu instid0(VALU_DEP_1) | instskip(NEXT) | instid1(VALU_DEP_1)
	v_mul_f32_e32 v14, 0x37800000, v13
	v_cndmask_b32_e32 v13, v13, v14, vcc_lo
	v_cmp_class_f32_e64 vcc_lo, v9, 0x260
	s_delay_alu instid0(VALU_DEP_2) | instskip(NEXT) | instid1(VALU_DEP_1)
	v_cndmask_b32_e32 v13, v13, v9, vcc_lo
	v_add_f32_e32 v9, v13, v13
	s_delay_alu instid0(VALU_DEP_1) | instskip(NEXT) | instid1(VALU_DEP_1)
	v_div_scale_f32 v14, null, v9, v9, v8
	v_rcp_f32_e32 v15, v14
	s_waitcnt_depctr 0xfff
	v_fma_f32 v16, -v14, v15, 1.0
	s_delay_alu instid0(VALU_DEP_1) | instskip(SKIP_1) | instid1(VALU_DEP_1)
	v_fmac_f32_e32 v15, v16, v15
	v_div_scale_f32 v16, vcc_lo, v8, v9, v8
	v_mul_f32_e32 v17, v16, v15
	s_delay_alu instid0(VALU_DEP_1) | instskip(NEXT) | instid1(VALU_DEP_1)
	v_fma_f32 v18, -v14, v17, v16
	v_fmac_f32_e32 v17, v18, v15
	s_delay_alu instid0(VALU_DEP_1) | instskip(NEXT) | instid1(VALU_DEP_1)
	v_fma_f32 v14, -v14, v17, v16
	v_div_fmas_f32 v14, v14, v15, v17
                                        ; implicit-def: $vgpr15
	s_delay_alu instid0(VALU_DEP_1)
	v_div_fixup_f32 v14, v14, v9, v8
                                        ; implicit-def: $vgpr9
                                        ; implicit-def: $vgpr8
	s_and_not1_saveexec_b32 s15, s15
	s_cbranch_execnz .LBB228_76
.LBB228_73:
	s_or_b32 exec_lo, exec_lo, s15
	s_and_saveexec_b32 s1, s0
	s_delay_alu instid0(SALU_CYCLE_1)
	s_xor_b32 s0, exec_lo, s1
	s_cbranch_execz .LBB228_77
.LBB228_74:
	v_dual_mul_f32 v8, 0.5, v13 :: v_dual_mul_f32 v9, 0.5, v14
	s_delay_alu instid0(VALU_DEP_1) | instskip(NEXT) | instid1(VALU_DEP_2)
	v_cndmask_b32_e64 v8, v13, v8, s14
	v_cndmask_b32_e64 v9, v14, v9, s14
                                        ; implicit-def: $vgpr13
                                        ; implicit-def: $vgpr14
	s_and_not1_saveexec_b32 s0, s0
	s_cbranch_execnz .LBB228_78
	s_branch .LBB228_79
.LBB228_75:
	s_and_not1_saveexec_b32 s15, s15
	s_cbranch_execz .LBB228_73
.LBB228_76:
	v_sub_f32_e32 v9, v15, v9
	s_delay_alu instid0(VALU_DEP_1) | instskip(NEXT) | instid1(VALU_DEP_1)
	v_mul_f32_e32 v9, 0.5, v9
	v_mul_f32_e32 v13, 0x4f800000, v9
	v_cmp_gt_f32_e32 vcc_lo, 0xf800000, v9
	s_delay_alu instid0(VALU_DEP_2) | instskip(NEXT) | instid1(VALU_DEP_1)
	v_cndmask_b32_e32 v9, v9, v13, vcc_lo
	v_sqrt_f32_e32 v13, v9
	s_waitcnt_depctr 0xfff
	v_add_nc_u32_e32 v14, -1, v13
	v_add_nc_u32_e32 v15, 1, v13
	s_delay_alu instid0(VALU_DEP_2) | instskip(NEXT) | instid1(VALU_DEP_2)
	v_fma_f32 v16, -v14, v13, v9
	v_fma_f32 v17, -v15, v13, v9
	s_delay_alu instid0(VALU_DEP_2) | instskip(NEXT) | instid1(VALU_DEP_1)
	v_cmp_ge_f32_e64 s1, 0, v16
	v_cndmask_b32_e64 v13, v13, v14, s1
	s_delay_alu instid0(VALU_DEP_3) | instskip(NEXT) | instid1(VALU_DEP_1)
	v_cmp_lt_f32_e64 s1, 0, v17
	v_cndmask_b32_e64 v13, v13, v15, s1
	s_delay_alu instid0(VALU_DEP_1) | instskip(NEXT) | instid1(VALU_DEP_1)
	v_mul_f32_e32 v14, 0x37800000, v13
	v_cndmask_b32_e32 v13, v13, v14, vcc_lo
	v_cmp_class_f32_e64 vcc_lo, v9, 0x260
	s_delay_alu instid0(VALU_DEP_2) | instskip(NEXT) | instid1(VALU_DEP_1)
	v_cndmask_b32_e32 v9, v13, v9, vcc_lo
	v_dual_add_f32 v14, v9, v9 :: v_dual_and_b32 v13, 0x7fffffff, v8
	s_delay_alu instid0(VALU_DEP_1) | instskip(SKIP_1) | instid1(VALU_DEP_2)
	v_div_scale_f32 v15, null, v14, v14, v13
	v_div_scale_f32 v13, vcc_lo, v13, v14, v13
	v_rcp_f32_e32 v16, v15
	s_waitcnt_depctr 0xfff
	v_fma_f32 v17, -v15, v16, 1.0
	s_delay_alu instid0(VALU_DEP_1) | instskip(NEXT) | instid1(VALU_DEP_1)
	v_fmac_f32_e32 v16, v17, v16
	v_mul_f32_e32 v17, v13, v16
	s_delay_alu instid0(VALU_DEP_1) | instskip(NEXT) | instid1(VALU_DEP_1)
	v_fma_f32 v18, -v15, v17, v13
	v_fmac_f32_e32 v17, v18, v16
	s_delay_alu instid0(VALU_DEP_1) | instskip(NEXT) | instid1(VALU_DEP_1)
	v_fma_f32 v13, -v15, v17, v13
	v_div_fmas_f32 v13, v13, v16, v17
	s_delay_alu instid0(VALU_DEP_1) | instskip(SKIP_3) | instid1(SALU_CYCLE_1)
	v_div_fixup_f32 v13, v13, v14, |v8|
	v_bfi_b32 v14, 0x7fffffff, v9, v8
	s_or_b32 exec_lo, exec_lo, s15
	s_and_saveexec_b32 s1, s0
	s_xor_b32 s0, exec_lo, s1
	s_cbranch_execnz .LBB228_74
.LBB228_77:
	s_and_not1_saveexec_b32 s0, s0
.LBB228_78:
	v_dual_add_f32 v8, v13, v13 :: v_dual_add_f32 v9, v14, v14
.LBB228_79:
	s_or_b32 exec_lo, exec_lo, s0
.LBB228_80:
	s_and_not1_saveexec_b32 s0, s13
	s_cbranch_execz .LBB228_86
; %bb.81:
	v_sub_f32_e32 v13, v5, v5
	s_mov_b32 s1, exec_lo
	v_cmpx_lt_i32_e32 -1, v4
	s_xor_b32 s1, exec_lo, s1
; %bb.82:
	s_delay_alu instid0(VALU_DEP_2)
	v_bfi_b32 v9, 0x7fffffff, v13, v5
                                        ; implicit-def: $vgpr13
; %bb.83:
	s_or_saveexec_b32 s1, s1
	v_mov_b32_e32 v8, v4
	s_xor_b32 exec_lo, exec_lo, s1
; %bb.84:
	v_and_b32_e32 v8, 0x7fffffff, v13
	v_bfi_b32 v9, 0x7fffffff, v4, v5
; %bb.85:
	s_or_b32 exec_lo, exec_lo, s1
.LBB228_86:
	s_delay_alu instid0(SALU_CYCLE_1)
	s_or_b32 exec_lo, exec_lo, s0
.LBB228_87:
	s_and_not1_saveexec_b32 s0, s12
	s_cbranch_execz .LBB228_89
; %bb.88:
	v_sub_f32_e32 v5, v5, v5
	s_delay_alu instid0(VALU_DEP_1) | instskip(NEXT) | instid1(VALU_DEP_1)
	v_div_scale_f32 v8, vcc_lo, v5, v5, v5
	v_rcp_f32_e32 v9, v8
	s_waitcnt_depctr 0xfff
	v_fma_f32 v13, -v8, v9, 1.0
	s_delay_alu instid0(VALU_DEP_1) | instskip(NEXT) | instid1(VALU_DEP_1)
	v_fmac_f32_e32 v9, v13, v9
	v_mul_f32_e32 v13, v8, v9
	s_delay_alu instid0(VALU_DEP_1) | instskip(NEXT) | instid1(VALU_DEP_1)
	v_fma_f32 v14, -v8, v13, v8
	v_fmac_f32_e32 v13, v14, v9
	s_delay_alu instid0(VALU_DEP_1) | instskip(NEXT) | instid1(VALU_DEP_1)
	v_fma_f32 v8, -v8, v13, v8
	v_div_fmas_f32 v8, v8, v9, v13
	s_delay_alu instid0(VALU_DEP_1)
	v_div_fixup_f32 v9, v8, v5, v5
	v_mov_b32_e32 v8, v4
.LBB228_89:
	s_or_b32 exec_lo, exec_lo, s0
.LBB228_90:
	s_delay_alu instid0(SALU_CYCLE_1)
	s_or_b32 exec_lo, exec_lo, s11
.LBB228_91:
	s_delay_alu instid0(SALU_CYCLE_1) | instskip(SKIP_2) | instid1(VALU_DEP_1)
	s_or_b32 exec_lo, exec_lo, s9
	v_cmp_neq_f32_e32 vcc_lo, 0, v6
	v_cmp_neq_f32_e64 s0, 0, v7
	s_or_b32 s0, vcc_lo, s0
	s_delay_alu instid0(SALU_CYCLE_1)
	s_and_saveexec_b32 s9, s0
	s_cbranch_execz .LBB228_121
; %bb.92:
	v_mov_b32_e32 v10, 0x7f800000
	s_mov_b32 s11, exec_lo
	v_cmpx_neq_f32_e64 0x7f800000, |v7|
	s_cbranch_execz .LBB228_120
; %bb.93:
	s_mov_b32 s0, exec_lo
	v_cmpx_o_f32_e32 v6, v6
	s_xor_b32 s12, exec_lo, s0
	s_cbranch_execz .LBB228_117
; %bb.94:
	s_mov_b32 s1, exec_lo
	v_cmpx_neq_f32_e64 0x7f800000, |v6|
	s_xor_b32 s13, exec_lo, s1
	s_cbranch_execz .LBB228_110
; %bb.95:
	v_max_f32_e64 v4, |v7|, |v7|
	v_max_f32_e64 v5, |v6|, |v6|
                                        ; implicit-def: $sgpr14
	s_delay_alu instid0(VALU_DEP_1) | instskip(NEXT) | instid1(VALU_DEP_1)
	v_max_f32_e32 v4, v5, v4
	v_cmp_nle_f32_e64 s0, 0x7ed413cb, v4
	s_delay_alu instid0(VALU_DEP_1) | instskip(NEXT) | instid1(SALU_CYCLE_1)
	s_and_saveexec_b32 s1, s0
	s_xor_b32 s1, exec_lo, s1
	s_cbranch_execz .LBB228_99
; %bb.96:
	v_cmp_ge_f32_e64 s14, 0x1000000, |v6|
	v_cmp_ge_f32_e64 s15, 0x1000000, |v7|
	s_delay_alu instid0(VALU_DEP_1)
	s_and_b32 s16, s14, s15
	s_mov_b32 s14, 0
	s_and_saveexec_b32 s15, s16
; %bb.97:
	v_dual_mul_f32 v7, 4.0, v7 :: v_dual_mul_f32 v6, 4.0, v6
	s_mov_b32 s14, exec_lo
; %bb.98:
	s_or_b32 exec_lo, exec_lo, s15
	s_delay_alu instid0(SALU_CYCLE_1)
	s_and_b32 s14, s14, exec_lo
.LBB228_99:
	s_and_not1_saveexec_b32 s1, s1
; %bb.100:
	v_dual_mul_f32 v6, 0x3e800000, v6 :: v_dual_mul_f32 v7, 0x3e800000, v7
	s_and_not1_b32 s14, s14, exec_lo
; %bb.101:
	s_or_b32 exec_lo, exec_lo, s1
	s_delay_alu instid0(VALU_DEP_1) | instskip(NEXT) | instid1(VALU_DEP_2)
	v_max_f32_e64 v4, |v7|, |v7|
	v_max_f32_e64 v5, |v6|, |v6|
	s_delay_alu instid0(VALU_DEP_1) | instskip(NEXT) | instid1(VALU_DEP_1)
	v_max_f32_e32 v10, v5, v4
	v_cvt_f64_f32_e32 v[4:5], v10
	v_cmp_neq_f32_e64 s1, 0x7f800000, v10
	s_delay_alu instid0(VALU_DEP_2) | instskip(NEXT) | instid1(VALU_DEP_1)
	v_frexp_exp_i32_f64_e32 v4, v[4:5]
	v_sub_nc_u32_e32 v5, 0, v4
	s_delay_alu instid0(VALU_DEP_1) | instskip(SKIP_1) | instid1(VALU_DEP_2)
	v_ldexp_f32 v13, |v7|, v5
	v_ldexp_f32 v5, |v6|, v5
	v_mul_f32_e32 v13, v13, v13
	s_delay_alu instid0(VALU_DEP_1) | instskip(NEXT) | instid1(VALU_DEP_1)
	v_fmac_f32_e32 v13, v5, v5
	v_sqrt_f32_e32 v5, v13
	s_waitcnt_depctr 0xfff
	v_ldexp_f32 v4, v5, v4
                                        ; implicit-def: $vgpr5
	s_delay_alu instid0(VALU_DEP_1)
	v_cndmask_b32_e64 v10, 0x7f800000, v4, s1
                                        ; implicit-def: $vgpr4
	s_mov_b32 s1, exec_lo
	v_cmpx_le_f32_e32 0, v6
	s_xor_b32 s15, exec_lo, s1
	s_cbranch_execz .LBB228_103
; %bb.102:
	v_add_f32_e32 v4, v6, v10
	s_delay_alu instid0(VALU_DEP_1) | instskip(NEXT) | instid1(VALU_DEP_1)
	v_mul_f32_e32 v4, 0.5, v4
	v_mul_f32_e32 v5, 0x4f800000, v4
	v_cmp_gt_f32_e32 vcc_lo, 0xf800000, v4
	s_delay_alu instid0(VALU_DEP_2) | instskip(NEXT) | instid1(VALU_DEP_1)
	v_cndmask_b32_e32 v4, v4, v5, vcc_lo
	v_sqrt_f32_e32 v5, v4
	s_waitcnt_depctr 0xfff
	v_add_nc_u32_e32 v6, -1, v5
	v_add_nc_u32_e32 v10, 1, v5
	s_delay_alu instid0(VALU_DEP_2) | instskip(NEXT) | instid1(VALU_DEP_2)
	v_fma_f32 v13, -v6, v5, v4
	v_fma_f32 v14, -v10, v5, v4
	s_delay_alu instid0(VALU_DEP_2) | instskip(NEXT) | instid1(VALU_DEP_1)
	v_cmp_ge_f32_e64 s1, 0, v13
	v_cndmask_b32_e64 v5, v5, v6, s1
	s_delay_alu instid0(VALU_DEP_3) | instskip(NEXT) | instid1(VALU_DEP_1)
	v_cmp_lt_f32_e64 s1, 0, v14
	v_cndmask_b32_e64 v5, v5, v10, s1
	s_delay_alu instid0(VALU_DEP_1) | instskip(NEXT) | instid1(VALU_DEP_1)
	v_mul_f32_e32 v6, 0x37800000, v5
	v_cndmask_b32_e32 v5, v5, v6, vcc_lo
	v_cmp_class_f32_e64 vcc_lo, v4, 0x260
	s_delay_alu instid0(VALU_DEP_2) | instskip(NEXT) | instid1(VALU_DEP_1)
	v_cndmask_b32_e32 v4, v5, v4, vcc_lo
	v_add_f32_e32 v5, v4, v4
	s_delay_alu instid0(VALU_DEP_1) | instskip(NEXT) | instid1(VALU_DEP_1)
	v_div_scale_f32 v6, null, v5, v5, v7
	v_rcp_f32_e32 v10, v6
	s_waitcnt_depctr 0xfff
	v_fma_f32 v13, -v6, v10, 1.0
	s_delay_alu instid0(VALU_DEP_1) | instskip(SKIP_1) | instid1(VALU_DEP_1)
	v_fmac_f32_e32 v10, v13, v10
	v_div_scale_f32 v13, vcc_lo, v7, v5, v7
	v_mul_f32_e32 v14, v13, v10
	s_delay_alu instid0(VALU_DEP_1) | instskip(NEXT) | instid1(VALU_DEP_1)
	v_fma_f32 v15, -v6, v14, v13
	v_fmac_f32_e32 v14, v15, v10
	s_delay_alu instid0(VALU_DEP_1) | instskip(NEXT) | instid1(VALU_DEP_1)
	v_fma_f32 v6, -v6, v14, v13
	v_div_fmas_f32 v6, v6, v10, v14
                                        ; implicit-def: $vgpr10
	s_delay_alu instid0(VALU_DEP_1)
	v_div_fixup_f32 v5, v6, v5, v7
                                        ; implicit-def: $vgpr6
	s_and_not1_saveexec_b32 s15, s15
	s_cbranch_execz .LBB228_105
	s_branch .LBB228_104
.LBB228_103:
	s_and_not1_saveexec_b32 s15, s15
	s_cbranch_execz .LBB228_105
.LBB228_104:
	v_sub_f32_e32 v4, v10, v6
	s_delay_alu instid0(VALU_DEP_1) | instskip(NEXT) | instid1(VALU_DEP_1)
	v_mul_f32_e32 v4, 0.5, v4
	v_mul_f32_e32 v5, 0x4f800000, v4
	v_cmp_gt_f32_e32 vcc_lo, 0xf800000, v4
	s_delay_alu instid0(VALU_DEP_2) | instskip(NEXT) | instid1(VALU_DEP_1)
	v_cndmask_b32_e32 v4, v4, v5, vcc_lo
	v_sqrt_f32_e32 v5, v4
	s_waitcnt_depctr 0xfff
	v_add_nc_u32_e32 v6, -1, v5
	v_add_nc_u32_e32 v10, 1, v5
	s_delay_alu instid0(VALU_DEP_2) | instskip(NEXT) | instid1(VALU_DEP_2)
	v_fma_f32 v13, -v6, v5, v4
	v_fma_f32 v14, -v10, v5, v4
	s_delay_alu instid0(VALU_DEP_2) | instskip(NEXT) | instid1(VALU_DEP_1)
	v_cmp_ge_f32_e64 s1, 0, v13
	v_cndmask_b32_e64 v5, v5, v6, s1
	s_delay_alu instid0(VALU_DEP_3) | instskip(NEXT) | instid1(VALU_DEP_1)
	v_cmp_lt_f32_e64 s1, 0, v14
	v_cndmask_b32_e64 v5, v5, v10, s1
	s_delay_alu instid0(VALU_DEP_1) | instskip(NEXT) | instid1(VALU_DEP_1)
	v_mul_f32_e32 v6, 0x37800000, v5
	v_cndmask_b32_e32 v5, v5, v6, vcc_lo
	v_cmp_class_f32_e64 vcc_lo, v4, 0x260
	s_delay_alu instid0(VALU_DEP_2) | instskip(NEXT) | instid1(VALU_DEP_1)
	v_dual_cndmask_b32 v5, v5, v4 :: v_dual_and_b32 v4, 0x7fffffff, v7
	v_add_f32_e32 v6, v5, v5
	v_bfi_b32 v5, 0x7fffffff, v5, v7
	s_delay_alu instid0(VALU_DEP_2) | instskip(NEXT) | instid1(VALU_DEP_1)
	v_div_scale_f32 v10, null, v6, v6, v4
	v_rcp_f32_e32 v13, v10
	s_waitcnt_depctr 0xfff
	v_fma_f32 v14, -v10, v13, 1.0
	s_delay_alu instid0(VALU_DEP_1) | instskip(SKIP_1) | instid1(VALU_DEP_1)
	v_fmac_f32_e32 v13, v14, v13
	v_div_scale_f32 v4, vcc_lo, v4, v6, v4
	v_mul_f32_e32 v14, v4, v13
	s_delay_alu instid0(VALU_DEP_1) | instskip(NEXT) | instid1(VALU_DEP_1)
	v_fma_f32 v15, -v10, v14, v4
	v_fmac_f32_e32 v14, v15, v13
	s_delay_alu instid0(VALU_DEP_1) | instskip(NEXT) | instid1(VALU_DEP_1)
	v_fma_f32 v4, -v10, v14, v4
	v_div_fmas_f32 v4, v4, v13, v14
	s_delay_alu instid0(VALU_DEP_1)
	v_div_fixup_f32 v4, v4, v6, |v7|
.LBB228_105:
	s_or_b32 exec_lo, exec_lo, s15
                                        ; implicit-def: $vgpr7
	s_and_saveexec_b32 s1, s0
	s_delay_alu instid0(SALU_CYCLE_1)
	s_xor_b32 s0, exec_lo, s1
	s_cbranch_execz .LBB228_107
; %bb.106:
	v_dual_mul_f32 v6, 0.5, v4 :: v_dual_mul_f32 v7, 0.5, v5
	s_delay_alu instid0(VALU_DEP_1) | instskip(NEXT) | instid1(VALU_DEP_2)
	v_cndmask_b32_e64 v6, v4, v6, s14
	v_cndmask_b32_e64 v7, v5, v7, s14
                                        ; implicit-def: $vgpr4
                                        ; implicit-def: $vgpr5
	s_and_not1_saveexec_b32 s0, s0
	s_cbranch_execnz .LBB228_108
	s_branch .LBB228_109
.LBB228_107:
	s_and_not1_saveexec_b32 s0, s0
.LBB228_108:
	v_dual_add_f32 v6, v4, v4 :: v_dual_add_f32 v7, v5, v5
.LBB228_109:
	s_or_b32 exec_lo, exec_lo, s0
.LBB228_110:
	s_and_not1_saveexec_b32 s0, s13
	s_cbranch_execz .LBB228_116
; %bb.111:
	s_delay_alu instid0(VALU_DEP_1)
	v_sub_f32_e32 v4, v7, v7
	s_mov_b32 s1, exec_lo
	v_cmpx_lt_i32_e32 -1, v6
	s_xor_b32 s1, exec_lo, s1
; %bb.112:
	s_delay_alu instid0(VALU_DEP_2)
	v_bfi_b32 v7, 0x7fffffff, v4, v7
                                        ; implicit-def: $vgpr4
; %bb.113:
	s_and_not1_saveexec_b32 s1, s1
; %bb.114:
	v_and_b32_e32 v4, 0x7fffffff, v4
	s_delay_alu instid0(VALU_DEP_2) | instskip(NEXT) | instid1(VALU_DEP_2)
	v_bfi_b32 v7, 0x7fffffff, v6, v7
	v_mov_b32_e32 v6, v4
; %bb.115:
	s_or_b32 exec_lo, exec_lo, s1
.LBB228_116:
	s_delay_alu instid0(SALU_CYCLE_1)
	s_or_b32 exec_lo, exec_lo, s0
.LBB228_117:
	s_and_not1_saveexec_b32 s0, s12
; %bb.118:
	v_sub_f32_e32 v4, v7, v7
	s_delay_alu instid0(VALU_DEP_1) | instskip(NEXT) | instid1(VALU_DEP_1)
	v_div_scale_f32 v5, vcc_lo, v4, v4, v4
	v_rcp_f32_e32 v7, v5
	s_waitcnt_depctr 0xfff
	v_fma_f32 v10, -v5, v7, 1.0
	s_delay_alu instid0(VALU_DEP_1) | instskip(NEXT) | instid1(VALU_DEP_1)
	v_fmac_f32_e32 v7, v10, v7
	v_mul_f32_e32 v10, v5, v7
	s_delay_alu instid0(VALU_DEP_1) | instskip(NEXT) | instid1(VALU_DEP_1)
	v_fma_f32 v13, -v5, v10, v5
	v_fmac_f32_e32 v10, v13, v7
	s_delay_alu instid0(VALU_DEP_1) | instskip(NEXT) | instid1(VALU_DEP_1)
	v_fma_f32 v5, -v5, v10, v5
	v_div_fmas_f32 v5, v5, v7, v10
	s_delay_alu instid0(VALU_DEP_1)
	v_div_fixup_f32 v7, v5, v4, v4
; %bb.119:
	s_or_b32 exec_lo, exec_lo, s0
	v_mov_b32_e32 v10, v6
.LBB228_120:
	s_or_b32 exec_lo, exec_lo, s11
.LBB228_121:
	s_delay_alu instid0(SALU_CYCLE_1)
	s_or_b32 exec_lo, exec_lo, s9
	v_mov_b32_e32 v4, v11
	v_mov_b32_e32 v11, v7
	s_add_u32 s2, s4, s2
	s_addc_u32 s3, s5, s3
	s_mov_b32 s0, 0
	s_clause 0x1
	global_store_b128 v12, v[1:4], s[2:3]
	global_store_b128 v12, v[8:11], s[2:3] offset:16
.LBB228_122:
	s_and_b32 vcc_lo, exec_lo, s0
	s_cbranch_vccz .LBB228_267
; %bb.123:
	v_cmp_gt_i32_e64 s0, s10, v0
	v_dual_mov_b32 v11, 0 :: v_dual_mov_b32 v12, 0
	v_or_b32_e32 v1, s8, v0
	v_or_b32_e32 v14, 0x100, v0
	v_dual_mov_b32 v13, 0 :: v_dual_mov_b32 v4, v0
	s_and_saveexec_b32 s1, s0
	s_cbranch_execz .LBB228_125
; %bb.124:
	v_mov_b32_e32 v2, 0
	v_or_b32_e32 v4, 0x100, v0
	s_delay_alu instid0(VALU_DEP_2) | instskip(NEXT) | instid1(VALU_DEP_1)
	v_lshlrev_b64 v[2:3], 3, v[1:2]
	v_add_co_u32 v2, vcc_lo, s6, v2
	s_delay_alu instid0(VALU_DEP_2)
	v_add_co_ci_u32_e32 v3, vcc_lo, s7, v3, vcc_lo
	global_load_b64 v[12:13], v[2:3], off
.LBB228_125:
	s_or_b32 exec_lo, exec_lo, s1
	v_mov_b32_e32 v10, 0
	s_mov_b32 s1, exec_lo
	v_cmpx_gt_i32_e64 s10, v4
	s_cbranch_execz .LBB228_127
; %bb.126:
	v_dual_mov_b32 v3, 0 :: v_dual_add_nc_u32 v2, s8, v4
	v_add_nc_u32_e32 v4, 0x100, v4
	s_delay_alu instid0(VALU_DEP_2) | instskip(NEXT) | instid1(VALU_DEP_1)
	v_lshlrev_b64 v[2:3], 3, v[2:3]
	v_add_co_u32 v2, vcc_lo, s6, v2
	s_delay_alu instid0(VALU_DEP_2)
	v_add_co_ci_u32_e32 v3, vcc_lo, s7, v3, vcc_lo
	global_load_b64 v[10:11], v[2:3], off
.LBB228_127:
	s_or_b32 exec_lo, exec_lo, s1
	v_dual_mov_b32 v3, 0 :: v_dual_mov_b32 v8, 0
	v_mov_b32_e32 v9, 0
	s_mov_b32 s1, exec_lo
	v_cmpx_gt_i32_e64 s10, v4
	s_cbranch_execz .LBB228_129
; %bb.128:
	v_dual_mov_b32 v6, 0 :: v_dual_add_nc_u32 v5, s8, v4
	v_add_nc_u32_e32 v4, 0x100, v4
	s_delay_alu instid0(VALU_DEP_2) | instskip(NEXT) | instid1(VALU_DEP_1)
	v_lshlrev_b64 v[5:6], 3, v[5:6]
	v_add_co_u32 v5, vcc_lo, s6, v5
	s_delay_alu instid0(VALU_DEP_2)
	v_add_co_ci_u32_e32 v6, vcc_lo, s7, v6, vcc_lo
	global_load_b64 v[8:9], v[5:6], off
.LBB228_129:
	s_or_b32 exec_lo, exec_lo, s1
	v_mov_b32_e32 v2, 0
	s_mov_b32 s1, exec_lo
	v_cmpx_gt_i32_e64 s10, v4
	s_cbranch_execz .LBB228_131
; %bb.130:
	v_dual_mov_b32 v3, 0 :: v_dual_add_nc_u32 v2, s8, v4
	s_delay_alu instid0(VALU_DEP_1) | instskip(NEXT) | instid1(VALU_DEP_1)
	v_lshlrev_b64 v[2:3], 3, v[2:3]
	v_add_co_u32 v2, vcc_lo, s6, v2
	s_delay_alu instid0(VALU_DEP_2)
	v_add_co_ci_u32_e32 v3, vcc_lo, s7, v3, vcc_lo
	global_load_b64 v[2:3], v[2:3], off
.LBB228_131:
	s_or_b32 exec_lo, exec_lo, s1
	v_dual_mov_b32 v5, 0 :: v_dual_mov_b32 v6, 0
	v_mov_b32_e32 v7, 0
	s_and_saveexec_b32 s3, s0
	s_cbranch_execz .LBB228_163
; %bb.132:
	s_waitcnt vmcnt(0)
	v_cmp_neq_f32_e32 vcc_lo, 0, v12
	v_cmp_neq_f32_e64 s1, 0, v13
	v_mov_b32_e32 v6, 0
	s_delay_alu instid0(VALU_DEP_2) | instskip(NEXT) | instid1(SALU_CYCLE_1)
	s_or_b32 s1, vcc_lo, s1
	s_and_saveexec_b32 s6, s1
	s_cbranch_execz .LBB228_162
; %bb.133:
	v_mov_b32_e32 v6, 0x7f800000
	s_mov_b32 s7, exec_lo
	v_cmpx_neq_f32_e64 0x7f800000, |v13|
	s_cbranch_execz .LBB228_161
; %bb.134:
	s_mov_b32 s1, exec_lo
	v_cmpx_o_f32_e32 v12, v12
	s_xor_b32 s9, exec_lo, s1
	s_cbranch_execz .LBB228_158
; %bb.135:
	s_mov_b32 s2, exec_lo
	v_cmpx_neq_f32_e64 0x7f800000, |v12|
	s_xor_b32 s11, exec_lo, s2
	s_cbranch_execz .LBB228_151
; %bb.136:
	v_max_f32_e64 v4, |v12|, |v12|
	v_max_f32_e64 v6, |v13|, |v13|
                                        ; implicit-def: $sgpr12
	s_delay_alu instid0(VALU_DEP_1) | instskip(NEXT) | instid1(VALU_DEP_1)
	v_max_f32_e32 v4, v6, v4
	v_cmp_nle_f32_e64 s1, 0x7ed413cb, v4
	s_delay_alu instid0(VALU_DEP_1) | instskip(NEXT) | instid1(SALU_CYCLE_1)
	s_and_saveexec_b32 s2, s1
	s_xor_b32 s2, exec_lo, s2
	s_cbranch_execz .LBB228_140
; %bb.137:
	v_cmp_ge_f32_e64 s12, 0x1000000, |v12|
	v_cmp_ge_f32_e64 s13, 0x1000000, |v13|
	s_delay_alu instid0(VALU_DEP_1)
	s_and_b32 s14, s13, s12
	s_mov_b32 s12, 0
	s_and_saveexec_b32 s13, s14
; %bb.138:
	v_dual_mul_f32 v13, 4.0, v13 :: v_dual_mul_f32 v12, 4.0, v12
	s_mov_b32 s12, exec_lo
; %bb.139:
	s_or_b32 exec_lo, exec_lo, s13
	s_delay_alu instid0(SALU_CYCLE_1)
	s_and_b32 s12, s12, exec_lo
.LBB228_140:
	s_and_not1_saveexec_b32 s2, s2
; %bb.141:
	v_dual_mul_f32 v12, 0x3e800000, v12 :: v_dual_mul_f32 v13, 0x3e800000, v13
	s_and_not1_b32 s12, s12, exec_lo
; %bb.142:
	s_or_b32 exec_lo, exec_lo, s2
	s_delay_alu instid0(VALU_DEP_1) | instskip(NEXT) | instid1(VALU_DEP_2)
	v_max_f32_e64 v4, |v13|, |v13|
	v_max_f32_e64 v6, |v12|, |v12|
	s_delay_alu instid0(VALU_DEP_1) | instskip(NEXT) | instid1(VALU_DEP_1)
	v_max_f32_e32 v4, v6, v4
	v_cvt_f64_f32_e32 v[6:7], v4
	s_delay_alu instid0(VALU_DEP_1) | instskip(NEXT) | instid1(VALU_DEP_1)
	v_frexp_exp_i32_f64_e32 v6, v[6:7]
	v_sub_nc_u32_e32 v7, 0, v6
	s_delay_alu instid0(VALU_DEP_1) | instskip(SKIP_1) | instid1(VALU_DEP_2)
	v_ldexp_f32 v15, |v13|, v7
	v_ldexp_f32 v7, |v12|, v7
	v_mul_f32_e32 v15, v15, v15
	v_cmp_neq_f32_e64 s2, 0x7f800000, v4
                                        ; implicit-def: $vgpr4
	s_delay_alu instid0(VALU_DEP_2) | instskip(NEXT) | instid1(VALU_DEP_1)
	v_fmac_f32_e32 v15, v7, v7
	v_sqrt_f32_e32 v7, v15
	s_waitcnt_depctr 0xfff
	v_ldexp_f32 v6, v7, v6
	s_delay_alu instid0(VALU_DEP_1)
	v_cndmask_b32_e64 v7, 0x7f800000, v6, s2
                                        ; implicit-def: $vgpr6
	s_mov_b32 s2, exec_lo
	v_cmpx_le_f32_e32 0, v12
	s_xor_b32 s13, exec_lo, s2
	s_cbranch_execz .LBB228_144
; %bb.143:
	v_add_f32_e32 v4, v12, v7
	s_delay_alu instid0(VALU_DEP_1) | instskip(NEXT) | instid1(VALU_DEP_1)
	v_mul_f32_e32 v4, 0.5, v4
	v_mul_f32_e32 v6, 0x4f800000, v4
	v_cmp_gt_f32_e32 vcc_lo, 0xf800000, v4
	s_delay_alu instid0(VALU_DEP_2) | instskip(NEXT) | instid1(VALU_DEP_1)
	v_cndmask_b32_e32 v4, v4, v6, vcc_lo
	v_sqrt_f32_e32 v6, v4
	s_waitcnt_depctr 0xfff
	v_add_nc_u32_e32 v7, -1, v6
	v_add_nc_u32_e32 v12, 1, v6
	s_delay_alu instid0(VALU_DEP_2) | instskip(NEXT) | instid1(VALU_DEP_2)
	v_fma_f32 v15, -v7, v6, v4
	v_fma_f32 v16, -v12, v6, v4
	s_delay_alu instid0(VALU_DEP_2) | instskip(NEXT) | instid1(VALU_DEP_1)
	v_cmp_ge_f32_e64 s2, 0, v15
	v_cndmask_b32_e64 v6, v6, v7, s2
	s_delay_alu instid0(VALU_DEP_3) | instskip(NEXT) | instid1(VALU_DEP_1)
	v_cmp_lt_f32_e64 s2, 0, v16
	v_cndmask_b32_e64 v6, v6, v12, s2
	s_delay_alu instid0(VALU_DEP_1) | instskip(NEXT) | instid1(VALU_DEP_1)
	v_mul_f32_e32 v7, 0x37800000, v6
	v_cndmask_b32_e32 v6, v6, v7, vcc_lo
	v_cmp_class_f32_e64 vcc_lo, v4, 0x260
	s_delay_alu instid0(VALU_DEP_2) | instskip(NEXT) | instid1(VALU_DEP_1)
	v_cndmask_b32_e32 v4, v6, v4, vcc_lo
	v_add_f32_e32 v6, v4, v4
	s_delay_alu instid0(VALU_DEP_1) | instskip(NEXT) | instid1(VALU_DEP_1)
	v_div_scale_f32 v7, null, v6, v6, v13
	v_rcp_f32_e32 v12, v7
	s_waitcnt_depctr 0xfff
	v_fma_f32 v15, -v7, v12, 1.0
	s_delay_alu instid0(VALU_DEP_1) | instskip(SKIP_1) | instid1(VALU_DEP_1)
	v_fmac_f32_e32 v12, v15, v12
	v_div_scale_f32 v15, vcc_lo, v13, v6, v13
	v_mul_f32_e32 v16, v15, v12
	s_delay_alu instid0(VALU_DEP_1) | instskip(NEXT) | instid1(VALU_DEP_1)
	v_fma_f32 v17, -v7, v16, v15
	v_fmac_f32_e32 v16, v17, v12
	s_delay_alu instid0(VALU_DEP_1) | instskip(NEXT) | instid1(VALU_DEP_1)
	v_fma_f32 v7, -v7, v16, v15
	v_div_fmas_f32 v7, v7, v12, v16
                                        ; implicit-def: $vgpr12
	s_delay_alu instid0(VALU_DEP_1)
	v_div_fixup_f32 v6, v7, v6, v13
                                        ; implicit-def: $vgpr7
	s_and_not1_saveexec_b32 s13, s13
	s_cbranch_execz .LBB228_146
	s_branch .LBB228_145
.LBB228_144:
	s_and_not1_saveexec_b32 s13, s13
	s_cbranch_execz .LBB228_146
.LBB228_145:
	v_sub_f32_e32 v4, v7, v12
	s_delay_alu instid0(VALU_DEP_1) | instskip(NEXT) | instid1(VALU_DEP_1)
	v_mul_f32_e32 v4, 0.5, v4
	v_mul_f32_e32 v6, 0x4f800000, v4
	v_cmp_gt_f32_e32 vcc_lo, 0xf800000, v4
	s_delay_alu instid0(VALU_DEP_2) | instskip(NEXT) | instid1(VALU_DEP_1)
	v_cndmask_b32_e32 v4, v4, v6, vcc_lo
	v_sqrt_f32_e32 v6, v4
	s_waitcnt_depctr 0xfff
	v_add_nc_u32_e32 v7, -1, v6
	v_add_nc_u32_e32 v12, 1, v6
	s_delay_alu instid0(VALU_DEP_2) | instskip(NEXT) | instid1(VALU_DEP_2)
	v_fma_f32 v15, -v7, v6, v4
	v_fma_f32 v16, -v12, v6, v4
	s_delay_alu instid0(VALU_DEP_2) | instskip(NEXT) | instid1(VALU_DEP_1)
	v_cmp_ge_f32_e64 s2, 0, v15
	v_cndmask_b32_e64 v6, v6, v7, s2
	s_delay_alu instid0(VALU_DEP_3) | instskip(NEXT) | instid1(VALU_DEP_1)
	v_cmp_lt_f32_e64 s2, 0, v16
	v_cndmask_b32_e64 v6, v6, v12, s2
	s_delay_alu instid0(VALU_DEP_1) | instskip(NEXT) | instid1(VALU_DEP_1)
	v_mul_f32_e32 v7, 0x37800000, v6
	v_cndmask_b32_e32 v6, v6, v7, vcc_lo
	v_cmp_class_f32_e64 vcc_lo, v4, 0x260
	s_delay_alu instid0(VALU_DEP_2) | instskip(NEXT) | instid1(VALU_DEP_1)
	v_cndmask_b32_e32 v6, v6, v4, vcc_lo
	v_dual_add_f32 v7, v6, v6 :: v_dual_and_b32 v4, 0x7fffffff, v13
	v_bfi_b32 v6, 0x7fffffff, v6, v13
	s_delay_alu instid0(VALU_DEP_2) | instskip(SKIP_1) | instid1(VALU_DEP_2)
	v_div_scale_f32 v12, null, v7, v7, v4
	v_div_scale_f32 v4, vcc_lo, v4, v7, v4
	v_rcp_f32_e32 v15, v12
	s_waitcnt_depctr 0xfff
	v_fma_f32 v16, -v12, v15, 1.0
	s_delay_alu instid0(VALU_DEP_1) | instskip(NEXT) | instid1(VALU_DEP_1)
	v_fmac_f32_e32 v15, v16, v15
	v_mul_f32_e32 v16, v4, v15
	s_delay_alu instid0(VALU_DEP_1) | instskip(NEXT) | instid1(VALU_DEP_1)
	v_fma_f32 v17, -v12, v16, v4
	v_fmac_f32_e32 v16, v17, v15
	s_delay_alu instid0(VALU_DEP_1) | instskip(NEXT) | instid1(VALU_DEP_1)
	v_fma_f32 v4, -v12, v16, v4
	v_div_fmas_f32 v4, v4, v15, v16
	s_delay_alu instid0(VALU_DEP_1)
	v_div_fixup_f32 v4, v4, v7, |v13|
.LBB228_146:
	s_or_b32 exec_lo, exec_lo, s13
                                        ; implicit-def: $vgpr12
	s_and_saveexec_b32 s2, s1
	s_delay_alu instid0(SALU_CYCLE_1)
	s_xor_b32 s1, exec_lo, s2
	s_cbranch_execz .LBB228_148
; %bb.147:
	v_mul_f32_e32 v7, 0.5, v4
	v_mul_f32_e32 v13, 0.5, v6
	s_delay_alu instid0(VALU_DEP_2) | instskip(NEXT) | instid1(VALU_DEP_2)
	v_cndmask_b32_e64 v12, v4, v7, s12
	v_cndmask_b32_e64 v13, v6, v13, s12
                                        ; implicit-def: $vgpr4
                                        ; implicit-def: $vgpr6
	s_and_not1_saveexec_b32 s1, s1
	s_cbranch_execnz .LBB228_149
	s_branch .LBB228_150
.LBB228_148:
	s_and_not1_saveexec_b32 s1, s1
.LBB228_149:
	v_dual_add_f32 v12, v4, v4 :: v_dual_add_f32 v13, v6, v6
.LBB228_150:
	s_or_b32 exec_lo, exec_lo, s1
.LBB228_151:
	s_and_not1_saveexec_b32 s1, s11
	s_cbranch_execz .LBB228_157
; %bb.152:
	s_delay_alu instid0(VALU_DEP_1)
	v_sub_f32_e32 v4, v13, v13
	s_mov_b32 s2, exec_lo
	v_cmpx_lt_i32_e32 -1, v12
	s_xor_b32 s2, exec_lo, s2
; %bb.153:
	s_delay_alu instid0(VALU_DEP_2)
	v_bfi_b32 v13, 0x7fffffff, v4, v13
                                        ; implicit-def: $vgpr4
; %bb.154:
	s_and_not1_saveexec_b32 s2, s2
; %bb.155:
	v_and_b32_e32 v4, 0x7fffffff, v4
	s_delay_alu instid0(VALU_DEP_2) | instskip(NEXT) | instid1(VALU_DEP_2)
	v_bfi_b32 v13, 0x7fffffff, v12, v13
	v_mov_b32_e32 v12, v4
; %bb.156:
	s_or_b32 exec_lo, exec_lo, s2
.LBB228_157:
	s_delay_alu instid0(SALU_CYCLE_1)
	s_or_b32 exec_lo, exec_lo, s1
.LBB228_158:
	s_and_not1_saveexec_b32 s1, s9
; %bb.159:
	v_sub_f32_e32 v4, v13, v13
	s_delay_alu instid0(VALU_DEP_1) | instskip(NEXT) | instid1(VALU_DEP_1)
	v_div_scale_f32 v6, vcc_lo, v4, v4, v4
	v_rcp_f32_e32 v7, v6
	s_waitcnt_depctr 0xfff
	v_fma_f32 v13, -v6, v7, 1.0
	s_delay_alu instid0(VALU_DEP_1) | instskip(NEXT) | instid1(VALU_DEP_1)
	v_fmac_f32_e32 v7, v13, v7
	v_mul_f32_e32 v13, v6, v7
	s_delay_alu instid0(VALU_DEP_1) | instskip(NEXT) | instid1(VALU_DEP_1)
	v_fma_f32 v15, -v6, v13, v6
	v_fmac_f32_e32 v13, v15, v7
	s_delay_alu instid0(VALU_DEP_1) | instskip(NEXT) | instid1(VALU_DEP_1)
	v_fma_f32 v6, -v6, v13, v6
	v_div_fmas_f32 v6, v6, v7, v13
	s_delay_alu instid0(VALU_DEP_1)
	v_div_fixup_f32 v13, v6, v4, v4
; %bb.160:
	s_or_b32 exec_lo, exec_lo, s1
	v_mov_b32_e32 v6, v12
.LBB228_161:
	s_or_b32 exec_lo, exec_lo, s7
.LBB228_162:
	s_delay_alu instid0(SALU_CYCLE_1)
	s_or_b32 exec_lo, exec_lo, s6
	v_mov_b32_e32 v7, v13
.LBB228_163:
	s_or_b32 exec_lo, exec_lo, s3
	v_mov_b32_e32 v4, 0
	s_mov_b32 s3, exec_lo
	v_cmpx_gt_i32_e64 s10, v14
	s_cbranch_execz .LBB228_195
; %bb.164:
	s_waitcnt vmcnt(0)
	v_cmp_neq_f32_e32 vcc_lo, 0, v10
	v_cmp_neq_f32_e64 s1, 0, v11
	v_mov_b32_e32 v4, 0
	s_delay_alu instid0(VALU_DEP_2) | instskip(NEXT) | instid1(SALU_CYCLE_1)
	s_or_b32 s1, vcc_lo, s1
	s_and_saveexec_b32 s6, s1
	s_cbranch_execz .LBB228_194
; %bb.165:
	v_mov_b32_e32 v4, 0x7f800000
	s_mov_b32 s7, exec_lo
	v_cmpx_neq_f32_e64 0x7f800000, |v11|
	s_cbranch_execz .LBB228_193
; %bb.166:
	s_mov_b32 s1, exec_lo
	v_cmpx_o_f32_e32 v10, v10
	s_xor_b32 s9, exec_lo, s1
	s_cbranch_execz .LBB228_190
; %bb.167:
	s_mov_b32 s2, exec_lo
	v_cmpx_neq_f32_e64 0x7f800000, |v10|
	s_xor_b32 s11, exec_lo, s2
	s_cbranch_execz .LBB228_183
; %bb.168:
	v_max_f32_e64 v4, |v10|, |v10|
	v_max_f32_e64 v5, |v11|, |v11|
                                        ; implicit-def: $sgpr12
	s_delay_alu instid0(VALU_DEP_1) | instskip(NEXT) | instid1(VALU_DEP_1)
	v_max_f32_e32 v4, v5, v4
	v_cmp_nle_f32_e64 s1, 0x7ed413cb, v4
	s_delay_alu instid0(VALU_DEP_1) | instskip(NEXT) | instid1(SALU_CYCLE_1)
	s_and_saveexec_b32 s2, s1
	s_xor_b32 s2, exec_lo, s2
	s_cbranch_execz .LBB228_172
; %bb.169:
	v_cmp_ge_f32_e64 s12, 0x1000000, |v10|
	v_cmp_ge_f32_e64 s13, 0x1000000, |v11|
	s_delay_alu instid0(VALU_DEP_1)
	s_and_b32 s14, s13, s12
	s_mov_b32 s12, 0
	s_and_saveexec_b32 s13, s14
; %bb.170:
	v_dual_mul_f32 v11, 4.0, v11 :: v_dual_mul_f32 v10, 4.0, v10
	s_mov_b32 s12, exec_lo
; %bb.171:
	s_or_b32 exec_lo, exec_lo, s13
	s_delay_alu instid0(SALU_CYCLE_1)
	s_and_b32 s12, s12, exec_lo
.LBB228_172:
	s_and_not1_saveexec_b32 s2, s2
; %bb.173:
	v_dual_mul_f32 v10, 0x3e800000, v10 :: v_dual_mul_f32 v11, 0x3e800000, v11
	s_and_not1_b32 s12, s12, exec_lo
; %bb.174:
	s_or_b32 exec_lo, exec_lo, s2
	s_delay_alu instid0(VALU_DEP_1) | instskip(NEXT) | instid1(VALU_DEP_2)
	v_max_f32_e64 v4, |v11|, |v11|
	v_max_f32_e64 v5, |v10|, |v10|
	s_delay_alu instid0(VALU_DEP_1) | instskip(NEXT) | instid1(VALU_DEP_1)
	v_max_f32_e32 v12, v5, v4
	v_cvt_f64_f32_e32 v[4:5], v12
	v_cmp_neq_f32_e64 s2, 0x7f800000, v12
	s_delay_alu instid0(VALU_DEP_2) | instskip(NEXT) | instid1(VALU_DEP_1)
	v_frexp_exp_i32_f64_e32 v4, v[4:5]
	v_sub_nc_u32_e32 v5, 0, v4
	s_delay_alu instid0(VALU_DEP_1) | instskip(SKIP_1) | instid1(VALU_DEP_2)
	v_ldexp_f32 v13, |v11|, v5
	v_ldexp_f32 v5, |v10|, v5
	v_mul_f32_e32 v13, v13, v13
	s_delay_alu instid0(VALU_DEP_1) | instskip(NEXT) | instid1(VALU_DEP_1)
	v_fmac_f32_e32 v13, v5, v5
	v_sqrt_f32_e32 v5, v13
	s_waitcnt_depctr 0xfff
	v_ldexp_f32 v4, v5, v4
                                        ; implicit-def: $vgpr5
	s_delay_alu instid0(VALU_DEP_1)
	v_cndmask_b32_e64 v12, 0x7f800000, v4, s2
                                        ; implicit-def: $vgpr4
	s_mov_b32 s2, exec_lo
	v_cmpx_le_f32_e32 0, v10
	s_xor_b32 s13, exec_lo, s2
	s_cbranch_execz .LBB228_176
; %bb.175:
	v_add_f32_e32 v4, v10, v12
	s_delay_alu instid0(VALU_DEP_1) | instskip(NEXT) | instid1(VALU_DEP_1)
	v_mul_f32_e32 v4, 0.5, v4
	v_mul_f32_e32 v5, 0x4f800000, v4
	v_cmp_gt_f32_e32 vcc_lo, 0xf800000, v4
	s_delay_alu instid0(VALU_DEP_2) | instskip(NEXT) | instid1(VALU_DEP_1)
	v_cndmask_b32_e32 v4, v4, v5, vcc_lo
	v_sqrt_f32_e32 v5, v4
	s_waitcnt_depctr 0xfff
	v_add_nc_u32_e32 v10, -1, v5
	v_add_nc_u32_e32 v12, 1, v5
	s_delay_alu instid0(VALU_DEP_2) | instskip(NEXT) | instid1(VALU_DEP_2)
	v_fma_f32 v13, -v10, v5, v4
	v_fma_f32 v15, -v12, v5, v4
	s_delay_alu instid0(VALU_DEP_2) | instskip(NEXT) | instid1(VALU_DEP_1)
	v_cmp_ge_f32_e64 s2, 0, v13
	v_cndmask_b32_e64 v5, v5, v10, s2
	s_delay_alu instid0(VALU_DEP_3) | instskip(NEXT) | instid1(VALU_DEP_1)
	v_cmp_lt_f32_e64 s2, 0, v15
	v_cndmask_b32_e64 v5, v5, v12, s2
	s_delay_alu instid0(VALU_DEP_1) | instskip(NEXT) | instid1(VALU_DEP_1)
	v_mul_f32_e32 v10, 0x37800000, v5
	v_cndmask_b32_e32 v5, v5, v10, vcc_lo
	v_cmp_class_f32_e64 vcc_lo, v4, 0x260
	s_delay_alu instid0(VALU_DEP_2) | instskip(NEXT) | instid1(VALU_DEP_1)
	v_cndmask_b32_e32 v4, v5, v4, vcc_lo
	v_add_f32_e32 v5, v4, v4
	s_delay_alu instid0(VALU_DEP_1) | instskip(NEXT) | instid1(VALU_DEP_1)
	v_div_scale_f32 v10, null, v5, v5, v11
	v_rcp_f32_e32 v12, v10
	s_waitcnt_depctr 0xfff
	v_fma_f32 v13, -v10, v12, 1.0
	s_delay_alu instid0(VALU_DEP_1) | instskip(SKIP_1) | instid1(VALU_DEP_1)
	v_fmac_f32_e32 v12, v13, v12
	v_div_scale_f32 v13, vcc_lo, v11, v5, v11
	v_mul_f32_e32 v15, v13, v12
	s_delay_alu instid0(VALU_DEP_1) | instskip(NEXT) | instid1(VALU_DEP_1)
	v_fma_f32 v16, -v10, v15, v13
	v_fmac_f32_e32 v15, v16, v12
	s_delay_alu instid0(VALU_DEP_1) | instskip(NEXT) | instid1(VALU_DEP_1)
	v_fma_f32 v10, -v10, v15, v13
	v_div_fmas_f32 v10, v10, v12, v15
                                        ; implicit-def: $vgpr12
	s_delay_alu instid0(VALU_DEP_1)
	v_div_fixup_f32 v5, v10, v5, v11
                                        ; implicit-def: $vgpr10
	s_and_not1_saveexec_b32 s13, s13
	s_cbranch_execz .LBB228_178
	s_branch .LBB228_177
.LBB228_176:
	s_and_not1_saveexec_b32 s13, s13
	s_cbranch_execz .LBB228_178
.LBB228_177:
	v_sub_f32_e32 v4, v12, v10
	s_delay_alu instid0(VALU_DEP_1) | instskip(NEXT) | instid1(VALU_DEP_1)
	v_mul_f32_e32 v4, 0.5, v4
	v_mul_f32_e32 v5, 0x4f800000, v4
	v_cmp_gt_f32_e32 vcc_lo, 0xf800000, v4
	s_delay_alu instid0(VALU_DEP_2) | instskip(NEXT) | instid1(VALU_DEP_1)
	v_cndmask_b32_e32 v4, v4, v5, vcc_lo
	v_sqrt_f32_e32 v5, v4
	s_waitcnt_depctr 0xfff
	v_add_nc_u32_e32 v10, -1, v5
	v_add_nc_u32_e32 v12, 1, v5
	s_delay_alu instid0(VALU_DEP_2) | instskip(NEXT) | instid1(VALU_DEP_2)
	v_fma_f32 v13, -v10, v5, v4
	v_fma_f32 v15, -v12, v5, v4
	s_delay_alu instid0(VALU_DEP_2) | instskip(NEXT) | instid1(VALU_DEP_1)
	v_cmp_ge_f32_e64 s2, 0, v13
	v_cndmask_b32_e64 v5, v5, v10, s2
	s_delay_alu instid0(VALU_DEP_3) | instskip(NEXT) | instid1(VALU_DEP_1)
	v_cmp_lt_f32_e64 s2, 0, v15
	v_cndmask_b32_e64 v5, v5, v12, s2
	s_delay_alu instid0(VALU_DEP_1) | instskip(NEXT) | instid1(VALU_DEP_1)
	v_mul_f32_e32 v10, 0x37800000, v5
	v_cndmask_b32_e32 v5, v5, v10, vcc_lo
	v_cmp_class_f32_e64 vcc_lo, v4, 0x260
	s_delay_alu instid0(VALU_DEP_2) | instskip(NEXT) | instid1(VALU_DEP_1)
	v_dual_cndmask_b32 v5, v5, v4 :: v_dual_and_b32 v4, 0x7fffffff, v11
	v_add_f32_e32 v10, v5, v5
	v_bfi_b32 v5, 0x7fffffff, v5, v11
	s_delay_alu instid0(VALU_DEP_2) | instskip(SKIP_1) | instid1(VALU_DEP_2)
	v_div_scale_f32 v12, null, v10, v10, v4
	v_div_scale_f32 v4, vcc_lo, v4, v10, v4
	v_rcp_f32_e32 v13, v12
	s_waitcnt_depctr 0xfff
	v_fma_f32 v15, -v12, v13, 1.0
	s_delay_alu instid0(VALU_DEP_1) | instskip(NEXT) | instid1(VALU_DEP_1)
	v_fmac_f32_e32 v13, v15, v13
	v_mul_f32_e32 v15, v4, v13
	s_delay_alu instid0(VALU_DEP_1) | instskip(NEXT) | instid1(VALU_DEP_1)
	v_fma_f32 v16, -v12, v15, v4
	v_fmac_f32_e32 v15, v16, v13
	s_delay_alu instid0(VALU_DEP_1) | instskip(NEXT) | instid1(VALU_DEP_1)
	v_fma_f32 v4, -v12, v15, v4
	v_div_fmas_f32 v4, v4, v13, v15
	s_delay_alu instid0(VALU_DEP_1)
	v_div_fixup_f32 v4, v4, v10, |v11|
.LBB228_178:
	s_or_b32 exec_lo, exec_lo, s13
                                        ; implicit-def: $vgpr10
	s_and_saveexec_b32 s2, s1
	s_delay_alu instid0(SALU_CYCLE_1)
	s_xor_b32 s1, exec_lo, s2
	s_cbranch_execz .LBB228_180
; %bb.179:
	v_dual_mul_f32 v10, 0.5, v4 :: v_dual_mul_f32 v11, 0.5, v5
	s_delay_alu instid0(VALU_DEP_1) | instskip(NEXT) | instid1(VALU_DEP_2)
	v_cndmask_b32_e64 v10, v4, v10, s12
	v_cndmask_b32_e64 v11, v5, v11, s12
                                        ; implicit-def: $vgpr4
                                        ; implicit-def: $vgpr5
	s_and_not1_saveexec_b32 s1, s1
	s_cbranch_execnz .LBB228_181
	s_branch .LBB228_182
.LBB228_180:
	s_and_not1_saveexec_b32 s1, s1
.LBB228_181:
	v_dual_add_f32 v10, v4, v4 :: v_dual_add_f32 v11, v5, v5
.LBB228_182:
	s_or_b32 exec_lo, exec_lo, s1
.LBB228_183:
	s_and_not1_saveexec_b32 s1, s11
	s_cbranch_execz .LBB228_189
; %bb.184:
	s_delay_alu instid0(VALU_DEP_1)
	v_sub_f32_e32 v4, v11, v11
	s_mov_b32 s2, exec_lo
	v_cmpx_lt_i32_e32 -1, v10
	s_xor_b32 s2, exec_lo, s2
; %bb.185:
	s_delay_alu instid0(VALU_DEP_2)
	v_bfi_b32 v11, 0x7fffffff, v4, v11
                                        ; implicit-def: $vgpr4
; %bb.186:
	s_and_not1_saveexec_b32 s2, s2
; %bb.187:
	v_and_b32_e32 v4, 0x7fffffff, v4
	s_delay_alu instid0(VALU_DEP_2) | instskip(NEXT) | instid1(VALU_DEP_2)
	v_bfi_b32 v11, 0x7fffffff, v10, v11
	v_mov_b32_e32 v10, v4
; %bb.188:
	s_or_b32 exec_lo, exec_lo, s2
.LBB228_189:
	s_delay_alu instid0(SALU_CYCLE_1)
	s_or_b32 exec_lo, exec_lo, s1
.LBB228_190:
	s_and_not1_saveexec_b32 s1, s9
; %bb.191:
	v_sub_f32_e32 v4, v11, v11
	s_delay_alu instid0(VALU_DEP_1) | instskip(NEXT) | instid1(VALU_DEP_1)
	v_div_scale_f32 v5, vcc_lo, v4, v4, v4
	v_rcp_f32_e32 v11, v5
	s_waitcnt_depctr 0xfff
	v_fma_f32 v12, -v5, v11, 1.0
	s_delay_alu instid0(VALU_DEP_1) | instskip(NEXT) | instid1(VALU_DEP_1)
	v_fmac_f32_e32 v11, v12, v11
	v_mul_f32_e32 v12, v5, v11
	s_delay_alu instid0(VALU_DEP_1) | instskip(NEXT) | instid1(VALU_DEP_1)
	v_fma_f32 v13, -v5, v12, v5
	v_fmac_f32_e32 v12, v13, v11
	s_delay_alu instid0(VALU_DEP_1) | instskip(NEXT) | instid1(VALU_DEP_1)
	v_fma_f32 v5, -v5, v12, v5
	v_div_fmas_f32 v5, v5, v11, v12
	s_delay_alu instid0(VALU_DEP_1)
	v_div_fixup_f32 v11, v5, v4, v4
; %bb.192:
	s_or_b32 exec_lo, exec_lo, s1
	v_mov_b32_e32 v4, v10
.LBB228_193:
	s_or_b32 exec_lo, exec_lo, s7
.LBB228_194:
	s_delay_alu instid0(SALU_CYCLE_1)
	s_or_b32 exec_lo, exec_lo, s6
	v_mov_b32_e32 v5, v11
.LBB228_195:
	s_or_b32 exec_lo, exec_lo, s3
	s_waitcnt vmcnt(0)
	v_or_b32_e32 v11, 0x200, v0
	v_mov_b32_e32 v10, 0
	s_delay_alu instid0(VALU_DEP_2)
	v_cmp_gt_i32_e32 vcc_lo, s10, v11
	v_mov_b32_e32 v11, 0
	s_and_saveexec_b32 s3, vcc_lo
	s_cbranch_execz .LBB228_227
; %bb.196:
	v_cmp_neq_f32_e32 vcc_lo, 0, v8
	v_cmp_neq_f32_e64 s1, 0, v9
	v_mov_b32_e32 v10, 0
	s_delay_alu instid0(VALU_DEP_2) | instskip(NEXT) | instid1(SALU_CYCLE_1)
	s_or_b32 s1, vcc_lo, s1
	s_and_saveexec_b32 s6, s1
	s_cbranch_execz .LBB228_226
; %bb.197:
	v_mov_b32_e32 v10, 0x7f800000
	s_mov_b32 s7, exec_lo
	v_cmpx_neq_f32_e64 0x7f800000, |v9|
	s_cbranch_execz .LBB228_225
; %bb.198:
	s_mov_b32 s1, exec_lo
	v_cmpx_o_f32_e32 v8, v8
	s_xor_b32 s9, exec_lo, s1
	s_cbranch_execz .LBB228_222
; %bb.199:
	s_mov_b32 s2, exec_lo
	v_cmpx_neq_f32_e64 0x7f800000, |v8|
	s_xor_b32 s11, exec_lo, s2
	s_cbranch_execz .LBB228_215
; %bb.200:
	v_max_f32_e64 v10, |v8|, |v8|
	v_max_f32_e64 v11, |v9|, |v9|
                                        ; implicit-def: $sgpr12
	s_delay_alu instid0(VALU_DEP_1) | instskip(NEXT) | instid1(VALU_DEP_1)
	v_max_f32_e32 v10, v11, v10
	v_cmp_nle_f32_e64 s1, 0x7ed413cb, v10
	s_delay_alu instid0(VALU_DEP_1) | instskip(NEXT) | instid1(SALU_CYCLE_1)
	s_and_saveexec_b32 s2, s1
	s_xor_b32 s2, exec_lo, s2
	s_cbranch_execz .LBB228_204
; %bb.201:
	v_cmp_ge_f32_e64 s12, 0x1000000, |v8|
	v_cmp_ge_f32_e64 s13, 0x1000000, |v9|
	s_delay_alu instid0(VALU_DEP_1)
	s_and_b32 s14, s13, s12
	s_mov_b32 s12, 0
	s_and_saveexec_b32 s13, s14
; %bb.202:
	v_dual_mul_f32 v9, 4.0, v9 :: v_dual_mul_f32 v8, 4.0, v8
	s_mov_b32 s12, exec_lo
; %bb.203:
	s_or_b32 exec_lo, exec_lo, s13
	s_delay_alu instid0(SALU_CYCLE_1)
	s_and_b32 s12, s12, exec_lo
.LBB228_204:
	s_and_not1_saveexec_b32 s2, s2
; %bb.205:
	v_dual_mul_f32 v8, 0x3e800000, v8 :: v_dual_mul_f32 v9, 0x3e800000, v9
	s_and_not1_b32 s12, s12, exec_lo
; %bb.206:
	s_or_b32 exec_lo, exec_lo, s2
	s_delay_alu instid0(VALU_DEP_1) | instskip(NEXT) | instid1(VALU_DEP_2)
	v_max_f32_e64 v10, |v9|, |v9|
	v_max_f32_e64 v11, |v8|, |v8|
	s_delay_alu instid0(VALU_DEP_1) | instskip(NEXT) | instid1(VALU_DEP_1)
	v_max_f32_e32 v12, v11, v10
	v_cvt_f64_f32_e32 v[10:11], v12
	s_delay_alu instid0(VALU_DEP_1) | instskip(NEXT) | instid1(VALU_DEP_1)
	v_frexp_exp_i32_f64_e32 v10, v[10:11]
	v_sub_nc_u32_e32 v11, 0, v10
	s_delay_alu instid0(VALU_DEP_1) | instskip(SKIP_1) | instid1(VALU_DEP_2)
	v_ldexp_f32 v13, |v9|, v11
	v_ldexp_f32 v11, |v8|, v11
	v_mul_f32_e32 v13, v13, v13
	v_cmp_neq_f32_e64 s2, 0x7f800000, v12
	s_delay_alu instid0(VALU_DEP_2) | instskip(NEXT) | instid1(VALU_DEP_1)
	v_fmac_f32_e32 v13, v11, v11
	v_sqrt_f32_e32 v11, v13
	s_waitcnt_depctr 0xfff
	v_ldexp_f32 v10, v11, v10
                                        ; implicit-def: $vgpr11
	s_delay_alu instid0(VALU_DEP_1)
	v_cndmask_b32_e64 v12, 0x7f800000, v10, s2
                                        ; implicit-def: $vgpr10
	s_mov_b32 s2, exec_lo
	v_cmpx_le_f32_e32 0, v8
	s_xor_b32 s13, exec_lo, s2
	s_cbranch_execz .LBB228_208
; %bb.207:
	v_add_f32_e32 v8, v8, v12
	s_delay_alu instid0(VALU_DEP_1) | instskip(NEXT) | instid1(VALU_DEP_1)
	v_mul_f32_e32 v8, 0.5, v8
	v_mul_f32_e32 v10, 0x4f800000, v8
	v_cmp_gt_f32_e32 vcc_lo, 0xf800000, v8
	s_delay_alu instid0(VALU_DEP_2) | instskip(NEXT) | instid1(VALU_DEP_1)
	v_cndmask_b32_e32 v8, v8, v10, vcc_lo
	v_sqrt_f32_e32 v10, v8
	s_waitcnt_depctr 0xfff
	v_add_nc_u32_e32 v11, -1, v10
	v_add_nc_u32_e32 v12, 1, v10
	s_delay_alu instid0(VALU_DEP_2) | instskip(NEXT) | instid1(VALU_DEP_2)
	v_fma_f32 v13, -v11, v10, v8
	v_fma_f32 v15, -v12, v10, v8
	s_delay_alu instid0(VALU_DEP_2) | instskip(NEXT) | instid1(VALU_DEP_1)
	v_cmp_ge_f32_e64 s2, 0, v13
	v_cndmask_b32_e64 v10, v10, v11, s2
	s_delay_alu instid0(VALU_DEP_3) | instskip(NEXT) | instid1(VALU_DEP_1)
	v_cmp_lt_f32_e64 s2, 0, v15
	v_cndmask_b32_e64 v10, v10, v12, s2
	s_delay_alu instid0(VALU_DEP_1) | instskip(NEXT) | instid1(VALU_DEP_1)
	v_mul_f32_e32 v11, 0x37800000, v10
	v_cndmask_b32_e32 v10, v10, v11, vcc_lo
	v_cmp_class_f32_e64 vcc_lo, v8, 0x260
	s_delay_alu instid0(VALU_DEP_2) | instskip(NEXT) | instid1(VALU_DEP_1)
	v_cndmask_b32_e32 v10, v10, v8, vcc_lo
	v_add_f32_e32 v8, v10, v10
	s_delay_alu instid0(VALU_DEP_1) | instskip(NEXT) | instid1(VALU_DEP_1)
	v_div_scale_f32 v11, null, v8, v8, v9
	v_rcp_f32_e32 v12, v11
	s_waitcnt_depctr 0xfff
	v_fma_f32 v13, -v11, v12, 1.0
	s_delay_alu instid0(VALU_DEP_1) | instskip(SKIP_1) | instid1(VALU_DEP_1)
	v_fmac_f32_e32 v12, v13, v12
	v_div_scale_f32 v13, vcc_lo, v9, v8, v9
	v_mul_f32_e32 v15, v13, v12
	s_delay_alu instid0(VALU_DEP_1) | instskip(NEXT) | instid1(VALU_DEP_1)
	v_fma_f32 v16, -v11, v15, v13
	v_fmac_f32_e32 v15, v16, v12
	s_delay_alu instid0(VALU_DEP_1) | instskip(NEXT) | instid1(VALU_DEP_1)
	v_fma_f32 v11, -v11, v15, v13
	v_div_fmas_f32 v11, v11, v12, v15
                                        ; implicit-def: $vgpr12
	s_delay_alu instid0(VALU_DEP_1)
	v_div_fixup_f32 v11, v11, v8, v9
                                        ; implicit-def: $vgpr8
	s_and_not1_saveexec_b32 s13, s13
	s_cbranch_execz .LBB228_210
	s_branch .LBB228_209
.LBB228_208:
	s_and_not1_saveexec_b32 s13, s13
	s_cbranch_execz .LBB228_210
.LBB228_209:
	v_sub_f32_e32 v8, v12, v8
	s_delay_alu instid0(VALU_DEP_1) | instskip(NEXT) | instid1(VALU_DEP_1)
	v_mul_f32_e32 v8, 0.5, v8
	v_mul_f32_e32 v10, 0x4f800000, v8
	v_cmp_gt_f32_e32 vcc_lo, 0xf800000, v8
	s_delay_alu instid0(VALU_DEP_2) | instskip(NEXT) | instid1(VALU_DEP_1)
	v_cndmask_b32_e32 v8, v8, v10, vcc_lo
	v_sqrt_f32_e32 v10, v8
	s_waitcnt_depctr 0xfff
	v_add_nc_u32_e32 v11, -1, v10
	v_add_nc_u32_e32 v12, 1, v10
	s_delay_alu instid0(VALU_DEP_2) | instskip(NEXT) | instid1(VALU_DEP_2)
	v_fma_f32 v13, -v11, v10, v8
	v_fma_f32 v15, -v12, v10, v8
	s_delay_alu instid0(VALU_DEP_2) | instskip(NEXT) | instid1(VALU_DEP_1)
	v_cmp_ge_f32_e64 s2, 0, v13
	v_cndmask_b32_e64 v10, v10, v11, s2
	s_delay_alu instid0(VALU_DEP_3) | instskip(NEXT) | instid1(VALU_DEP_1)
	v_cmp_lt_f32_e64 s2, 0, v15
	v_cndmask_b32_e64 v10, v10, v12, s2
	s_delay_alu instid0(VALU_DEP_1) | instskip(NEXT) | instid1(VALU_DEP_1)
	v_mul_f32_e32 v11, 0x37800000, v10
	v_cndmask_b32_e32 v10, v10, v11, vcc_lo
	v_cmp_class_f32_e64 vcc_lo, v8, 0x260
	s_delay_alu instid0(VALU_DEP_2) | instskip(NEXT) | instid1(VALU_DEP_1)
	v_cndmask_b32_e32 v8, v10, v8, vcc_lo
	v_dual_add_f32 v11, v8, v8 :: v_dual_and_b32 v10, 0x7fffffff, v9
	s_delay_alu instid0(VALU_DEP_1) | instskip(SKIP_1) | instid1(VALU_DEP_2)
	v_div_scale_f32 v12, null, v11, v11, v10
	v_div_scale_f32 v10, vcc_lo, v10, v11, v10
	v_rcp_f32_e32 v13, v12
	s_waitcnt_depctr 0xfff
	v_fma_f32 v15, -v12, v13, 1.0
	s_delay_alu instid0(VALU_DEP_1) | instskip(NEXT) | instid1(VALU_DEP_1)
	v_fmac_f32_e32 v13, v15, v13
	v_mul_f32_e32 v15, v10, v13
	s_delay_alu instid0(VALU_DEP_1) | instskip(NEXT) | instid1(VALU_DEP_1)
	v_fma_f32 v16, -v12, v15, v10
	v_fmac_f32_e32 v15, v16, v13
	s_delay_alu instid0(VALU_DEP_1) | instskip(NEXT) | instid1(VALU_DEP_1)
	v_fma_f32 v10, -v12, v15, v10
	v_div_fmas_f32 v10, v10, v13, v15
	s_delay_alu instid0(VALU_DEP_1)
	v_div_fixup_f32 v10, v10, v11, |v9|
	v_bfi_b32 v11, 0x7fffffff, v8, v9
.LBB228_210:
	s_or_b32 exec_lo, exec_lo, s13
                                        ; implicit-def: $vgpr9
	s_and_saveexec_b32 s2, s1
	s_delay_alu instid0(SALU_CYCLE_1)
	s_xor_b32 s1, exec_lo, s2
	s_cbranch_execz .LBB228_212
; %bb.211:
	v_dual_mul_f32 v8, 0.5, v10 :: v_dual_mul_f32 v9, 0.5, v11
	s_delay_alu instid0(VALU_DEP_1) | instskip(NEXT) | instid1(VALU_DEP_2)
	v_cndmask_b32_e64 v8, v10, v8, s12
	v_cndmask_b32_e64 v9, v11, v9, s12
                                        ; implicit-def: $vgpr10
                                        ; implicit-def: $vgpr11
	s_and_not1_saveexec_b32 s1, s1
	s_cbranch_execnz .LBB228_213
	s_branch .LBB228_214
.LBB228_212:
	s_and_not1_saveexec_b32 s1, s1
.LBB228_213:
	v_dual_add_f32 v8, v10, v10 :: v_dual_add_f32 v9, v11, v11
.LBB228_214:
	s_or_b32 exec_lo, exec_lo, s1
.LBB228_215:
	s_and_not1_saveexec_b32 s1, s11
	s_cbranch_execz .LBB228_221
; %bb.216:
	s_delay_alu instid0(VALU_DEP_1)
	v_sub_f32_e32 v10, v9, v9
	s_mov_b32 s2, exec_lo
	v_cmpx_lt_i32_e32 -1, v8
	s_xor_b32 s2, exec_lo, s2
; %bb.217:
	s_delay_alu instid0(VALU_DEP_2)
	v_bfi_b32 v9, 0x7fffffff, v10, v9
                                        ; implicit-def: $vgpr10
; %bb.218:
	s_and_not1_saveexec_b32 s2, s2
; %bb.219:
	v_and_b32_e32 v10, 0x7fffffff, v10
	s_delay_alu instid0(VALU_DEP_2) | instskip(NEXT) | instid1(VALU_DEP_2)
	v_bfi_b32 v9, 0x7fffffff, v8, v9
	v_mov_b32_e32 v8, v10
; %bb.220:
	s_or_b32 exec_lo, exec_lo, s2
.LBB228_221:
	s_delay_alu instid0(SALU_CYCLE_1)
	s_or_b32 exec_lo, exec_lo, s1
.LBB228_222:
	s_and_not1_saveexec_b32 s1, s9
; %bb.223:
	v_sub_f32_e32 v9, v9, v9
	s_delay_alu instid0(VALU_DEP_1) | instskip(NEXT) | instid1(VALU_DEP_1)
	v_div_scale_f32 v10, vcc_lo, v9, v9, v9
	v_rcp_f32_e32 v11, v10
	s_waitcnt_depctr 0xfff
	v_fma_f32 v12, -v10, v11, 1.0
	s_delay_alu instid0(VALU_DEP_1) | instskip(NEXT) | instid1(VALU_DEP_1)
	v_fmac_f32_e32 v11, v12, v11
	v_mul_f32_e32 v12, v10, v11
	s_delay_alu instid0(VALU_DEP_1) | instskip(NEXT) | instid1(VALU_DEP_1)
	v_fma_f32 v13, -v10, v12, v10
	v_fmac_f32_e32 v12, v13, v11
	s_delay_alu instid0(VALU_DEP_1) | instskip(NEXT) | instid1(VALU_DEP_1)
	v_fma_f32 v10, -v10, v12, v10
	v_div_fmas_f32 v10, v10, v11, v12
	s_delay_alu instid0(VALU_DEP_1)
	v_div_fixup_f32 v9, v10, v9, v9
; %bb.224:
	s_or_b32 exec_lo, exec_lo, s1
	v_mov_b32_e32 v10, v8
.LBB228_225:
	s_or_b32 exec_lo, exec_lo, s7
.LBB228_226:
	s_delay_alu instid0(SALU_CYCLE_1)
	s_or_b32 exec_lo, exec_lo, s6
	v_mov_b32_e32 v11, v9
.LBB228_227:
	s_or_b32 exec_lo, exec_lo, s3
	v_or_b32_e32 v9, 0x300, v0
	v_mov_b32_e32 v8, 0
	s_delay_alu instid0(VALU_DEP_2)
	v_cmp_gt_i32_e32 vcc_lo, s10, v9
	v_mov_b32_e32 v9, 0
	s_and_saveexec_b32 s3, vcc_lo
	s_cbranch_execz .LBB228_240
; %bb.228:
	v_cmp_neq_f32_e32 vcc_lo, 0, v2
	v_cmp_neq_f32_e64 s1, 0, v3
	v_mov_b32_e32 v8, 0
	s_delay_alu instid0(VALU_DEP_2) | instskip(NEXT) | instid1(SALU_CYCLE_1)
	s_or_b32 s1, vcc_lo, s1
	s_and_saveexec_b32 s6, s1
	s_cbranch_execz .LBB228_262
; %bb.229:
	v_mov_b32_e32 v8, 0x7f800000
	s_mov_b32 s7, exec_lo
	v_cmpx_neq_f32_e64 0x7f800000, |v3|
	s_cbranch_execz .LBB228_261
; %bb.230:
	s_mov_b32 s1, exec_lo
	v_cmpx_o_f32_e32 v2, v2
	s_xor_b32 s9, exec_lo, s1
	s_cbranch_execz .LBB228_258
; %bb.231:
	s_mov_b32 s2, exec_lo
	v_cmpx_neq_f32_e64 0x7f800000, |v2|
	s_xor_b32 s11, exec_lo, s2
	s_cbranch_execz .LBB228_251
; %bb.232:
	v_max_f32_e64 v8, |v2|, |v2|
	v_max_f32_e64 v9, |v3|, |v3|
                                        ; implicit-def: $sgpr12
	s_delay_alu instid0(VALU_DEP_1) | instskip(NEXT) | instid1(VALU_DEP_1)
	v_max_f32_e32 v8, v9, v8
	v_cmp_nle_f32_e64 s1, 0x7ed413cb, v8
	s_delay_alu instid0(VALU_DEP_1) | instskip(NEXT) | instid1(SALU_CYCLE_1)
	s_and_saveexec_b32 s2, s1
	s_xor_b32 s2, exec_lo, s2
	s_cbranch_execz .LBB228_236
; %bb.233:
	v_cmp_ge_f32_e64 s12, 0x1000000, |v2|
	v_cmp_ge_f32_e64 s13, 0x1000000, |v3|
	s_delay_alu instid0(VALU_DEP_1)
	s_and_b32 s14, s13, s12
	s_mov_b32 s12, 0
	s_and_saveexec_b32 s13, s14
; %bb.234:
	v_dual_mul_f32 v3, 4.0, v3 :: v_dual_mul_f32 v2, 4.0, v2
	s_mov_b32 s12, exec_lo
; %bb.235:
	s_or_b32 exec_lo, exec_lo, s13
	s_delay_alu instid0(SALU_CYCLE_1)
	s_and_b32 s12, s12, exec_lo
.LBB228_236:
	s_and_not1_saveexec_b32 s2, s2
; %bb.237:
	v_dual_mul_f32 v2, 0x3e800000, v2 :: v_dual_mul_f32 v3, 0x3e800000, v3
	s_and_not1_b32 s12, s12, exec_lo
; %bb.238:
	s_or_b32 exec_lo, exec_lo, s2
	s_delay_alu instid0(VALU_DEP_1) | instskip(NEXT) | instid1(VALU_DEP_2)
	v_max_f32_e64 v8, |v3|, |v3|
	v_max_f32_e64 v9, |v2|, |v2|
	s_delay_alu instid0(VALU_DEP_1) | instskip(NEXT) | instid1(VALU_DEP_1)
	v_max_f32_e32 v12, v9, v8
	v_cvt_f64_f32_e32 v[8:9], v12
	v_cmp_neq_f32_e64 s2, 0x7f800000, v12
	s_delay_alu instid0(VALU_DEP_2) | instskip(NEXT) | instid1(VALU_DEP_1)
	v_frexp_exp_i32_f64_e32 v8, v[8:9]
	v_sub_nc_u32_e32 v9, 0, v8
	s_delay_alu instid0(VALU_DEP_1) | instskip(SKIP_1) | instid1(VALU_DEP_2)
	v_ldexp_f32 v13, |v3|, v9
	v_ldexp_f32 v9, |v2|, v9
	v_mul_f32_e32 v13, v13, v13
	s_delay_alu instid0(VALU_DEP_1) | instskip(NEXT) | instid1(VALU_DEP_1)
	v_fmac_f32_e32 v13, v9, v9
	v_sqrt_f32_e32 v9, v13
	s_waitcnt_depctr 0xfff
	v_ldexp_f32 v8, v9, v8
                                        ; implicit-def: $vgpr9
	s_delay_alu instid0(VALU_DEP_1)
	v_cndmask_b32_e64 v12, 0x7f800000, v8, s2
                                        ; implicit-def: $vgpr8
	s_mov_b32 s2, exec_lo
	v_cmpx_le_f32_e32 0, v2
	s_xor_b32 s13, exec_lo, s2
	s_cbranch_execz .LBB228_244
; %bb.239:
	v_add_f32_e32 v2, v2, v12
	s_delay_alu instid0(VALU_DEP_1) | instskip(NEXT) | instid1(VALU_DEP_1)
	v_mul_f32_e32 v2, 0.5, v2
	v_mul_f32_e32 v8, 0x4f800000, v2
	v_cmp_gt_f32_e32 vcc_lo, 0xf800000, v2
	s_delay_alu instid0(VALU_DEP_2) | instskip(NEXT) | instid1(VALU_DEP_1)
	v_cndmask_b32_e32 v2, v2, v8, vcc_lo
	v_sqrt_f32_e32 v8, v2
	s_waitcnt_depctr 0xfff
	v_add_nc_u32_e32 v9, -1, v8
	v_add_nc_u32_e32 v12, 1, v8
	s_delay_alu instid0(VALU_DEP_2) | instskip(NEXT) | instid1(VALU_DEP_2)
	v_fma_f32 v13, -v9, v8, v2
	v_fma_f32 v15, -v12, v8, v2
	s_delay_alu instid0(VALU_DEP_2) | instskip(NEXT) | instid1(VALU_DEP_1)
	v_cmp_ge_f32_e64 s2, 0, v13
	v_cndmask_b32_e64 v8, v8, v9, s2
	s_delay_alu instid0(VALU_DEP_3) | instskip(NEXT) | instid1(VALU_DEP_1)
	v_cmp_lt_f32_e64 s2, 0, v15
	v_cndmask_b32_e64 v8, v8, v12, s2
	s_delay_alu instid0(VALU_DEP_1) | instskip(NEXT) | instid1(VALU_DEP_1)
	v_mul_f32_e32 v9, 0x37800000, v8
	v_cndmask_b32_e32 v8, v8, v9, vcc_lo
	v_cmp_class_f32_e64 vcc_lo, v2, 0x260
	s_delay_alu instid0(VALU_DEP_2) | instskip(NEXT) | instid1(VALU_DEP_1)
	v_cndmask_b32_e32 v8, v8, v2, vcc_lo
	v_add_f32_e32 v2, v8, v8
	s_delay_alu instid0(VALU_DEP_1) | instskip(NEXT) | instid1(VALU_DEP_1)
	v_div_scale_f32 v9, null, v2, v2, v3
	v_rcp_f32_e32 v12, v9
	s_waitcnt_depctr 0xfff
	v_fma_f32 v13, -v9, v12, 1.0
	s_delay_alu instid0(VALU_DEP_1) | instskip(SKIP_1) | instid1(VALU_DEP_1)
	v_fmac_f32_e32 v12, v13, v12
	v_div_scale_f32 v13, vcc_lo, v3, v2, v3
	v_mul_f32_e32 v15, v13, v12
	s_delay_alu instid0(VALU_DEP_1) | instskip(NEXT) | instid1(VALU_DEP_1)
	v_fma_f32 v16, -v9, v15, v13
	v_fmac_f32_e32 v15, v16, v12
	s_delay_alu instid0(VALU_DEP_1) | instskip(NEXT) | instid1(VALU_DEP_1)
	v_fma_f32 v9, -v9, v15, v13
	v_div_fmas_f32 v9, v9, v12, v15
                                        ; implicit-def: $vgpr12
	s_delay_alu instid0(VALU_DEP_1)
	v_div_fixup_f32 v9, v9, v2, v3
                                        ; implicit-def: $vgpr2
	s_and_not1_saveexec_b32 s13, s13
	s_cbranch_execz .LBB228_246
	s_branch .LBB228_245
.LBB228_240:
	s_or_b32 exec_lo, exec_lo, s3
	s_and_saveexec_b32 s1, s0
	s_delay_alu instid0(SALU_CYCLE_1)
	s_xor_b32 s0, exec_lo, s1
	s_cbranch_execz .LBB228_263
.LBB228_241:
	v_mov_b32_e32 v2, 0
	s_delay_alu instid0(VALU_DEP_1) | instskip(NEXT) | instid1(VALU_DEP_1)
	v_lshlrev_b64 v[0:1], 3, v[1:2]
	v_add_co_u32 v2, vcc_lo, s4, v0
	s_delay_alu instid0(VALU_DEP_2) | instskip(SKIP_3) | instid1(SALU_CYCLE_1)
	v_add_co_ci_u32_e32 v3, vcc_lo, s5, v1, vcc_lo
	v_mov_b32_e32 v0, v14
	global_store_b64 v[2:3], v[6:7], off
	s_or_b32 exec_lo, exec_lo, s0
	s_mov_b32 s0, exec_lo
	v_cmpx_gt_i32_e64 s10, v0
	s_cbranch_execnz .LBB228_264
.LBB228_242:
	s_or_b32 exec_lo, exec_lo, s0
	s_delay_alu instid0(SALU_CYCLE_1)
	s_mov_b32 s0, exec_lo
	v_cmpx_gt_i32_e64 s10, v0
	s_cbranch_execz .LBB228_265
.LBB228_243:
	v_dual_mov_b32 v2, 0 :: v_dual_add_nc_u32 v1, s8, v0
	v_add_nc_u32_e32 v0, 0x100, v0
	s_delay_alu instid0(VALU_DEP_2) | instskip(NEXT) | instid1(VALU_DEP_1)
	v_lshlrev_b64 v[1:2], 3, v[1:2]
	v_add_co_u32 v1, vcc_lo, s4, v1
	s_delay_alu instid0(VALU_DEP_2) | instskip(SKIP_2) | instid1(SALU_CYCLE_1)
	v_add_co_ci_u32_e32 v2, vcc_lo, s5, v2, vcc_lo
	global_store_b64 v[1:2], v[10:11], off
	s_or_b32 exec_lo, exec_lo, s0
	s_mov_b32 s0, exec_lo
	v_cmpx_gt_i32_e64 s10, v0
	s_cbranch_execnz .LBB228_266
	s_branch .LBB228_267
.LBB228_244:
	s_and_not1_saveexec_b32 s13, s13
	s_cbranch_execz .LBB228_246
.LBB228_245:
	v_sub_f32_e32 v2, v12, v2
	s_delay_alu instid0(VALU_DEP_1) | instskip(NEXT) | instid1(VALU_DEP_1)
	v_mul_f32_e32 v2, 0.5, v2
	v_mul_f32_e32 v8, 0x4f800000, v2
	v_cmp_gt_f32_e32 vcc_lo, 0xf800000, v2
	s_delay_alu instid0(VALU_DEP_2) | instskip(NEXT) | instid1(VALU_DEP_1)
	v_cndmask_b32_e32 v2, v2, v8, vcc_lo
	v_sqrt_f32_e32 v8, v2
	s_waitcnt_depctr 0xfff
	v_add_nc_u32_e32 v9, -1, v8
	v_add_nc_u32_e32 v12, 1, v8
	s_delay_alu instid0(VALU_DEP_2) | instskip(NEXT) | instid1(VALU_DEP_2)
	v_fma_f32 v13, -v9, v8, v2
	v_fma_f32 v15, -v12, v8, v2
	s_delay_alu instid0(VALU_DEP_2) | instskip(NEXT) | instid1(VALU_DEP_1)
	v_cmp_ge_f32_e64 s2, 0, v13
	v_cndmask_b32_e64 v8, v8, v9, s2
	s_delay_alu instid0(VALU_DEP_3) | instskip(NEXT) | instid1(VALU_DEP_1)
	v_cmp_lt_f32_e64 s2, 0, v15
	v_cndmask_b32_e64 v8, v8, v12, s2
	s_delay_alu instid0(VALU_DEP_1) | instskip(NEXT) | instid1(VALU_DEP_1)
	v_mul_f32_e32 v9, 0x37800000, v8
	v_cndmask_b32_e32 v8, v8, v9, vcc_lo
	v_cmp_class_f32_e64 vcc_lo, v2, 0x260
	s_delay_alu instid0(VALU_DEP_2) | instskip(NEXT) | instid1(VALU_DEP_1)
	v_cndmask_b32_e32 v2, v8, v2, vcc_lo
	v_dual_add_f32 v9, v2, v2 :: v_dual_and_b32 v8, 0x7fffffff, v3
	s_delay_alu instid0(VALU_DEP_1) | instskip(SKIP_1) | instid1(VALU_DEP_2)
	v_div_scale_f32 v12, null, v9, v9, v8
	v_div_scale_f32 v8, vcc_lo, v8, v9, v8
	v_rcp_f32_e32 v13, v12
	s_waitcnt_depctr 0xfff
	v_fma_f32 v15, -v12, v13, 1.0
	s_delay_alu instid0(VALU_DEP_1) | instskip(NEXT) | instid1(VALU_DEP_1)
	v_fmac_f32_e32 v13, v15, v13
	v_mul_f32_e32 v15, v8, v13
	s_delay_alu instid0(VALU_DEP_1) | instskip(NEXT) | instid1(VALU_DEP_1)
	v_fma_f32 v16, -v12, v15, v8
	v_fmac_f32_e32 v15, v16, v13
	s_delay_alu instid0(VALU_DEP_1) | instskip(NEXT) | instid1(VALU_DEP_1)
	v_fma_f32 v8, -v12, v15, v8
	v_div_fmas_f32 v8, v8, v13, v15
	s_delay_alu instid0(VALU_DEP_1)
	v_div_fixup_f32 v8, v8, v9, |v3|
	v_bfi_b32 v9, 0x7fffffff, v2, v3
.LBB228_246:
	s_or_b32 exec_lo, exec_lo, s13
                                        ; implicit-def: $vgpr3
	s_and_saveexec_b32 s2, s1
	s_delay_alu instid0(SALU_CYCLE_1)
	s_xor_b32 s1, exec_lo, s2
	s_cbranch_execz .LBB228_248
; %bb.247:
	v_dual_mul_f32 v2, 0.5, v8 :: v_dual_mul_f32 v3, 0.5, v9
	s_delay_alu instid0(VALU_DEP_1) | instskip(NEXT) | instid1(VALU_DEP_2)
	v_cndmask_b32_e64 v2, v8, v2, s12
	v_cndmask_b32_e64 v3, v9, v3, s12
                                        ; implicit-def: $vgpr8
                                        ; implicit-def: $vgpr9
	s_and_not1_saveexec_b32 s1, s1
	s_cbranch_execnz .LBB228_249
	s_branch .LBB228_250
.LBB228_248:
	s_and_not1_saveexec_b32 s1, s1
.LBB228_249:
	v_dual_add_f32 v2, v8, v8 :: v_dual_add_f32 v3, v9, v9
.LBB228_250:
	s_or_b32 exec_lo, exec_lo, s1
.LBB228_251:
	s_and_not1_saveexec_b32 s1, s11
	s_cbranch_execz .LBB228_257
; %bb.252:
	s_delay_alu instid0(VALU_DEP_1)
	v_sub_f32_e32 v8, v3, v3
	s_mov_b32 s2, exec_lo
	v_cmpx_lt_i32_e32 -1, v2
	s_xor_b32 s2, exec_lo, s2
; %bb.253:
	s_delay_alu instid0(VALU_DEP_2)
	v_bfi_b32 v3, 0x7fffffff, v8, v3
                                        ; implicit-def: $vgpr8
; %bb.254:
	s_and_not1_saveexec_b32 s2, s2
; %bb.255:
	v_and_b32_e32 v8, 0x7fffffff, v8
	s_delay_alu instid0(VALU_DEP_2) | instskip(NEXT) | instid1(VALU_DEP_2)
	v_bfi_b32 v3, 0x7fffffff, v2, v3
	v_mov_b32_e32 v2, v8
; %bb.256:
	s_or_b32 exec_lo, exec_lo, s2
.LBB228_257:
	s_delay_alu instid0(SALU_CYCLE_1)
	s_or_b32 exec_lo, exec_lo, s1
.LBB228_258:
	s_and_not1_saveexec_b32 s1, s9
; %bb.259:
	v_sub_f32_e32 v3, v3, v3
	s_delay_alu instid0(VALU_DEP_1) | instskip(NEXT) | instid1(VALU_DEP_1)
	v_div_scale_f32 v8, vcc_lo, v3, v3, v3
	v_rcp_f32_e32 v9, v8
	s_waitcnt_depctr 0xfff
	v_fma_f32 v12, -v8, v9, 1.0
	s_delay_alu instid0(VALU_DEP_1) | instskip(NEXT) | instid1(VALU_DEP_1)
	v_fmac_f32_e32 v9, v12, v9
	v_mul_f32_e32 v12, v8, v9
	s_delay_alu instid0(VALU_DEP_1) | instskip(NEXT) | instid1(VALU_DEP_1)
	v_fma_f32 v13, -v8, v12, v8
	v_fmac_f32_e32 v12, v13, v9
	s_delay_alu instid0(VALU_DEP_1) | instskip(NEXT) | instid1(VALU_DEP_1)
	v_fma_f32 v8, -v8, v12, v8
	v_div_fmas_f32 v8, v8, v9, v12
	s_delay_alu instid0(VALU_DEP_1)
	v_div_fixup_f32 v3, v8, v3, v3
; %bb.260:
	s_or_b32 exec_lo, exec_lo, s1
	v_mov_b32_e32 v8, v2
.LBB228_261:
	s_or_b32 exec_lo, exec_lo, s7
.LBB228_262:
	s_delay_alu instid0(SALU_CYCLE_1) | instskip(SKIP_3) | instid1(SALU_CYCLE_1)
	s_or_b32 exec_lo, exec_lo, s6
	v_mov_b32_e32 v9, v3
	s_or_b32 exec_lo, exec_lo, s3
	s_and_saveexec_b32 s1, s0
	s_xor_b32 s0, exec_lo, s1
	s_cbranch_execnz .LBB228_241
.LBB228_263:
	s_or_b32 exec_lo, exec_lo, s0
	s_delay_alu instid0(SALU_CYCLE_1)
	s_mov_b32 s0, exec_lo
	v_cmpx_gt_i32_e64 s10, v0
	s_cbranch_execz .LBB228_242
.LBB228_264:
	v_dual_mov_b32 v2, 0 :: v_dual_add_nc_u32 v1, s8, v0
	v_add_nc_u32_e32 v0, 0x100, v0
	s_delay_alu instid0(VALU_DEP_2) | instskip(NEXT) | instid1(VALU_DEP_1)
	v_lshlrev_b64 v[1:2], 3, v[1:2]
	v_add_co_u32 v1, vcc_lo, s4, v1
	s_delay_alu instid0(VALU_DEP_2) | instskip(SKIP_2) | instid1(SALU_CYCLE_1)
	v_add_co_ci_u32_e32 v2, vcc_lo, s5, v2, vcc_lo
	global_store_b64 v[1:2], v[4:5], off
	s_or_b32 exec_lo, exec_lo, s0
	s_mov_b32 s0, exec_lo
	v_cmpx_gt_i32_e64 s10, v0
	s_cbranch_execnz .LBB228_243
.LBB228_265:
	s_or_b32 exec_lo, exec_lo, s0
	s_delay_alu instid0(SALU_CYCLE_1)
	s_mov_b32 s0, exec_lo
	v_cmpx_gt_i32_e64 s10, v0
	s_cbranch_execz .LBB228_267
.LBB228_266:
	v_dual_mov_b32 v1, 0 :: v_dual_add_nc_u32 v0, s8, v0
	s_delay_alu instid0(VALU_DEP_1) | instskip(NEXT) | instid1(VALU_DEP_1)
	v_lshlrev_b64 v[0:1], 3, v[0:1]
	v_add_co_u32 v0, vcc_lo, s4, v0
	s_delay_alu instid0(VALU_DEP_2)
	v_add_co_ci_u32_e32 v1, vcc_lo, s5, v1, vcc_lo
	global_store_b64 v[0:1], v[8:9], off
.LBB228_267:
	s_nop 0
	s_sendmsg sendmsg(MSG_DEALLOC_VGPRS)
	s_endpgm
	.section	.rodata,"a",@progbits
	.p2align	6, 0x0
	.amdhsa_kernel _ZN2at6native29vectorized_elementwise_kernelILi4EZZZNS0_16sqrt_kernel_cudaERNS_18TensorIteratorBaseEENKUlvE_clEvENKUlvE0_clEvEUlN3c107complexIfEEE_St5arrayIPcLm2EEEEviT0_T1_
		.amdhsa_group_segment_fixed_size 0
		.amdhsa_private_segment_fixed_size 0
		.amdhsa_kernarg_size 24
		.amdhsa_user_sgpr_count 15
		.amdhsa_user_sgpr_dispatch_ptr 0
		.amdhsa_user_sgpr_queue_ptr 0
		.amdhsa_user_sgpr_kernarg_segment_ptr 1
		.amdhsa_user_sgpr_dispatch_id 0
		.amdhsa_user_sgpr_private_segment_size 0
		.amdhsa_wavefront_size32 1
		.amdhsa_uses_dynamic_stack 0
		.amdhsa_enable_private_segment 0
		.amdhsa_system_sgpr_workgroup_id_x 1
		.amdhsa_system_sgpr_workgroup_id_y 0
		.amdhsa_system_sgpr_workgroup_id_z 0
		.amdhsa_system_sgpr_workgroup_info 0
		.amdhsa_system_vgpr_workitem_id 0
		.amdhsa_next_free_vgpr 19
		.amdhsa_next_free_sgpr 17
		.amdhsa_reserve_vcc 1
		.amdhsa_float_round_mode_32 0
		.amdhsa_float_round_mode_16_64 0
		.amdhsa_float_denorm_mode_32 3
		.amdhsa_float_denorm_mode_16_64 3
		.amdhsa_dx10_clamp 1
		.amdhsa_ieee_mode 1
		.amdhsa_fp16_overflow 0
		.amdhsa_workgroup_processor_mode 1
		.amdhsa_memory_ordered 1
		.amdhsa_forward_progress 0
		.amdhsa_shared_vgpr_count 0
		.amdhsa_exception_fp_ieee_invalid_op 0
		.amdhsa_exception_fp_denorm_src 0
		.amdhsa_exception_fp_ieee_div_zero 0
		.amdhsa_exception_fp_ieee_overflow 0
		.amdhsa_exception_fp_ieee_underflow 0
		.amdhsa_exception_fp_ieee_inexact 0
		.amdhsa_exception_int_div_zero 0
	.end_amdhsa_kernel
	.section	.text._ZN2at6native29vectorized_elementwise_kernelILi4EZZZNS0_16sqrt_kernel_cudaERNS_18TensorIteratorBaseEENKUlvE_clEvENKUlvE0_clEvEUlN3c107complexIfEEE_St5arrayIPcLm2EEEEviT0_T1_,"axG",@progbits,_ZN2at6native29vectorized_elementwise_kernelILi4EZZZNS0_16sqrt_kernel_cudaERNS_18TensorIteratorBaseEENKUlvE_clEvENKUlvE0_clEvEUlN3c107complexIfEEE_St5arrayIPcLm2EEEEviT0_T1_,comdat
.Lfunc_end228:
	.size	_ZN2at6native29vectorized_elementwise_kernelILi4EZZZNS0_16sqrt_kernel_cudaERNS_18TensorIteratorBaseEENKUlvE_clEvENKUlvE0_clEvEUlN3c107complexIfEEE_St5arrayIPcLm2EEEEviT0_T1_, .Lfunc_end228-_ZN2at6native29vectorized_elementwise_kernelILi4EZZZNS0_16sqrt_kernel_cudaERNS_18TensorIteratorBaseEENKUlvE_clEvENKUlvE0_clEvEUlN3c107complexIfEEE_St5arrayIPcLm2EEEEviT0_T1_
                                        ; -- End function
	.section	.AMDGPU.csdata,"",@progbits
; Kernel info:
; codeLenInByte = 10592
; NumSgprs: 19
; NumVgprs: 19
; ScratchSize: 0
; MemoryBound: 0
; FloatMode: 240
; IeeeMode: 1
; LDSByteSize: 0 bytes/workgroup (compile time only)
; SGPRBlocks: 2
; VGPRBlocks: 2
; NumSGPRsForWavesPerEU: 19
; NumVGPRsForWavesPerEU: 19
; Occupancy: 16
; WaveLimiterHint : 0
; COMPUTE_PGM_RSRC2:SCRATCH_EN: 0
; COMPUTE_PGM_RSRC2:USER_SGPR: 15
; COMPUTE_PGM_RSRC2:TRAP_HANDLER: 0
; COMPUTE_PGM_RSRC2:TGID_X_EN: 1
; COMPUTE_PGM_RSRC2:TGID_Y_EN: 0
; COMPUTE_PGM_RSRC2:TGID_Z_EN: 0
; COMPUTE_PGM_RSRC2:TIDIG_COMP_CNT: 0
	.section	.text._ZN2at6native29vectorized_elementwise_kernelILi2EZZZNS0_16sqrt_kernel_cudaERNS_18TensorIteratorBaseEENKUlvE_clEvENKUlvE0_clEvEUlN3c107complexIfEEE_St5arrayIPcLm2EEEEviT0_T1_,"axG",@progbits,_ZN2at6native29vectorized_elementwise_kernelILi2EZZZNS0_16sqrt_kernel_cudaERNS_18TensorIteratorBaseEENKUlvE_clEvENKUlvE0_clEvEUlN3c107complexIfEEE_St5arrayIPcLm2EEEEviT0_T1_,comdat
	.globl	_ZN2at6native29vectorized_elementwise_kernelILi2EZZZNS0_16sqrt_kernel_cudaERNS_18TensorIteratorBaseEENKUlvE_clEvENKUlvE0_clEvEUlN3c107complexIfEEE_St5arrayIPcLm2EEEEviT0_T1_ ; -- Begin function _ZN2at6native29vectorized_elementwise_kernelILi2EZZZNS0_16sqrt_kernel_cudaERNS_18TensorIteratorBaseEENKUlvE_clEvENKUlvE0_clEvEUlN3c107complexIfEEE_St5arrayIPcLm2EEEEviT0_T1_
	.p2align	8
	.type	_ZN2at6native29vectorized_elementwise_kernelILi2EZZZNS0_16sqrt_kernel_cudaERNS_18TensorIteratorBaseEENKUlvE_clEvENKUlvE0_clEvEUlN3c107complexIfEEE_St5arrayIPcLm2EEEEviT0_T1_,@function
_ZN2at6native29vectorized_elementwise_kernelILi2EZZZNS0_16sqrt_kernel_cudaERNS_18TensorIteratorBaseEENKUlvE_clEvENKUlvE0_clEvEUlN3c107complexIfEEE_St5arrayIPcLm2EEEEviT0_T1_: ; @_ZN2at6native29vectorized_elementwise_kernelILi2EZZZNS0_16sqrt_kernel_cudaERNS_18TensorIteratorBaseEENKUlvE_clEvENKUlvE0_clEvEUlN3c107complexIfEEE_St5arrayIPcLm2EEEEviT0_T1_
; %bb.0:
	s_clause 0x1
	s_load_b32 s2, s[0:1], 0x0
	s_load_b128 s[4:7], s[0:1], 0x8
	s_lshl_b32 s8, s15, 10
	s_mov_b32 s0, -1
	s_waitcnt lgkmcnt(0)
	s_sub_i32 s10, s2, s8
	s_delay_alu instid0(SALU_CYCLE_1)
	s_cmpk_gt_i32 s10, 0x3ff
	s_cbranch_scc0 .LBB229_122
; %bb.1:
	s_ashr_i32 s9, s8, 31
	v_dual_mov_b32 v3, 0 :: v_dual_lshlrev_b32 v16, 4, v0
	s_lshl_b64 s[2:3], s[8:9], 3
	s_delay_alu instid0(SALU_CYCLE_1) | instskip(SKIP_1) | instid1(VALU_DEP_1)
	s_add_u32 s0, s6, s2
	s_addc_u32 s1, s7, s3
	v_add_co_u32 v1, s9, s0, v16
	s_delay_alu instid0(VALU_DEP_1)
	v_add_co_ci_u32_e64 v2, null, s1, 0, s9
	global_load_b128 v[4:7], v16, s[0:1]
	v_add_co_u32 v1, vcc_lo, 0x1000, v1
	v_add_co_ci_u32_e32 v2, vcc_lo, 0, v2, vcc_lo
	global_load_b128 v[8:11], v[1:2], off
	s_waitcnt vmcnt(1)
	v_dual_mov_b32 v1, 0 :: v_dual_mov_b32 v2, v5
	v_cmp_neq_f32_e32 vcc_lo, 0, v4
	v_cmp_neq_f32_e64 s0, 0, v5
	s_delay_alu instid0(VALU_DEP_1) | instskip(NEXT) | instid1(SALU_CYCLE_1)
	s_or_b32 s0, vcc_lo, s0
	s_and_saveexec_b32 s9, s0
	s_cbranch_execz .LBB229_31
; %bb.2:
	v_dual_mov_b32 v1, 0x7f800000 :: v_dual_mov_b32 v2, v5
	s_mov_b32 s11, exec_lo
	v_cmpx_neq_f32_e64 0x7f800000, |v5|
	s_cbranch_execz .LBB229_30
; %bb.3:
	s_mov_b32 s0, exec_lo
	v_cmpx_o_f32_e32 v4, v4
	s_xor_b32 s12, exec_lo, s0
	s_cbranch_execz .LBB229_27
; %bb.4:
	s_mov_b32 s1, exec_lo
	v_cmpx_neq_f32_e64 0x7f800000, |v4|
	s_xor_b32 s13, exec_lo, s1
	s_cbranch_execz .LBB229_20
; %bb.5:
	v_max_f32_e64 v1, |v5|, |v5|
	v_max_f32_e64 v2, |v4|, |v4|
                                        ; implicit-def: $sgpr14
	s_delay_alu instid0(VALU_DEP_1) | instskip(NEXT) | instid1(VALU_DEP_1)
	v_max_f32_e32 v1, v2, v1
                                        ; implicit-def: $vgpr2
	v_cmp_nle_f32_e64 s0, 0x7ed413cb, v1
                                        ; implicit-def: $vgpr1
	s_delay_alu instid0(VALU_DEP_1) | instskip(NEXT) | instid1(SALU_CYCLE_1)
	s_and_saveexec_b32 s1, s0
	s_xor_b32 s1, exec_lo, s1
	s_cbranch_execz .LBB229_9
; %bb.6:
	v_cmp_ge_f32_e64 s14, 0x1000000, |v4|
	v_cmp_ge_f32_e64 s15, 0x1000000, |v5|
	v_dual_mov_b32 v2, v4 :: v_dual_mov_b32 v1, v5
	s_delay_alu instid0(VALU_DEP_2)
	s_and_b32 s16, s14, s15
	s_mov_b32 s14, 0
	s_and_saveexec_b32 s15, s16
; %bb.7:
	v_dual_mul_f32 v1, 4.0, v5 :: v_dual_mul_f32 v2, 4.0, v4
	s_mov_b32 s14, exec_lo
; %bb.8:
	s_or_b32 exec_lo, exec_lo, s15
	s_delay_alu instid0(SALU_CYCLE_1)
	s_and_b32 s14, s14, exec_lo
.LBB229_9:
	s_and_not1_saveexec_b32 s1, s1
; %bb.10:
	v_dual_mul_f32 v2, 0x3e800000, v4 :: v_dual_mul_f32 v1, 0x3e800000, v5
	s_and_not1_b32 s14, s14, exec_lo
; %bb.11:
	s_or_b32 exec_lo, exec_lo, s1
	s_delay_alu instid0(VALU_DEP_1) | instskip(NEXT) | instid1(VALU_DEP_2)
	v_max_f32_e64 v12, |v1|, |v1|
	v_max_f32_e64 v13, |v2|, |v2|
	s_delay_alu instid0(VALU_DEP_1) | instskip(NEXT) | instid1(VALU_DEP_1)
	v_max_f32_e32 v14, v13, v12
	v_cvt_f64_f32_e32 v[12:13], v14
	s_delay_alu instid0(VALU_DEP_1) | instskip(NEXT) | instid1(VALU_DEP_1)
	v_frexp_exp_i32_f64_e32 v12, v[12:13]
	v_sub_nc_u32_e32 v13, 0, v12
	s_delay_alu instid0(VALU_DEP_1) | instskip(SKIP_1) | instid1(VALU_DEP_2)
	v_ldexp_f32 v15, |v1|, v13
	v_ldexp_f32 v13, |v2|, v13
	v_mul_f32_e32 v15, v15, v15
	v_cmp_neq_f32_e64 s1, 0x7f800000, v14
	s_delay_alu instid0(VALU_DEP_2) | instskip(NEXT) | instid1(VALU_DEP_1)
	v_fmac_f32_e32 v15, v13, v13
	v_sqrt_f32_e32 v13, v15
	s_waitcnt_depctr 0xfff
	v_ldexp_f32 v12, v13, v12
                                        ; implicit-def: $vgpr13
	s_delay_alu instid0(VALU_DEP_1)
	v_cndmask_b32_e64 v14, 0x7f800000, v12, s1
                                        ; implicit-def: $vgpr12
	s_mov_b32 s1, exec_lo
	v_cmpx_le_f32_e32 0, v2
	s_xor_b32 s15, exec_lo, s1
	s_cbranch_execz .LBB229_15
; %bb.12:
	v_add_f32_e32 v2, v2, v14
	s_delay_alu instid0(VALU_DEP_1) | instskip(NEXT) | instid1(VALU_DEP_1)
	v_mul_f32_e32 v2, 0.5, v2
	v_mul_f32_e32 v12, 0x4f800000, v2
	v_cmp_gt_f32_e32 vcc_lo, 0xf800000, v2
	s_delay_alu instid0(VALU_DEP_2) | instskip(NEXT) | instid1(VALU_DEP_1)
	v_cndmask_b32_e32 v2, v2, v12, vcc_lo
	v_sqrt_f32_e32 v12, v2
	s_waitcnt_depctr 0xfff
	v_add_nc_u32_e32 v13, -1, v12
	v_add_nc_u32_e32 v14, 1, v12
	s_delay_alu instid0(VALU_DEP_2) | instskip(NEXT) | instid1(VALU_DEP_2)
	v_fma_f32 v15, -v13, v12, v2
	v_fma_f32 v17, -v14, v12, v2
	s_delay_alu instid0(VALU_DEP_2) | instskip(NEXT) | instid1(VALU_DEP_1)
	v_cmp_ge_f32_e64 s1, 0, v15
	v_cndmask_b32_e64 v12, v12, v13, s1
	s_delay_alu instid0(VALU_DEP_3) | instskip(NEXT) | instid1(VALU_DEP_1)
	v_cmp_lt_f32_e64 s1, 0, v17
	v_cndmask_b32_e64 v12, v12, v14, s1
	s_delay_alu instid0(VALU_DEP_1) | instskip(NEXT) | instid1(VALU_DEP_1)
	v_mul_f32_e32 v13, 0x37800000, v12
	v_cndmask_b32_e32 v12, v12, v13, vcc_lo
	v_cmp_class_f32_e64 vcc_lo, v2, 0x260
	s_delay_alu instid0(VALU_DEP_2) | instskip(NEXT) | instid1(VALU_DEP_1)
	v_cndmask_b32_e32 v12, v12, v2, vcc_lo
	v_add_f32_e32 v2, v12, v12
	s_delay_alu instid0(VALU_DEP_1) | instskip(NEXT) | instid1(VALU_DEP_1)
	v_div_scale_f32 v13, null, v2, v2, v1
	v_rcp_f32_e32 v14, v13
	s_waitcnt_depctr 0xfff
	v_fma_f32 v15, -v13, v14, 1.0
	s_delay_alu instid0(VALU_DEP_1) | instskip(SKIP_1) | instid1(VALU_DEP_1)
	v_fmac_f32_e32 v14, v15, v14
	v_div_scale_f32 v15, vcc_lo, v1, v2, v1
	v_mul_f32_e32 v17, v15, v14
	s_delay_alu instid0(VALU_DEP_1) | instskip(NEXT) | instid1(VALU_DEP_1)
	v_fma_f32 v18, -v13, v17, v15
	v_fmac_f32_e32 v17, v18, v14
	s_delay_alu instid0(VALU_DEP_1) | instskip(NEXT) | instid1(VALU_DEP_1)
	v_fma_f32 v13, -v13, v17, v15
	v_div_fmas_f32 v13, v13, v14, v17
                                        ; implicit-def: $vgpr14
	s_delay_alu instid0(VALU_DEP_1)
	v_div_fixup_f32 v13, v13, v2, v1
                                        ; implicit-def: $vgpr2
                                        ; implicit-def: $vgpr1
	s_and_not1_saveexec_b32 s15, s15
	s_cbranch_execnz .LBB229_16
.LBB229_13:
	s_or_b32 exec_lo, exec_lo, s15
	s_and_saveexec_b32 s1, s0
	s_delay_alu instid0(SALU_CYCLE_1)
	s_xor_b32 s0, exec_lo, s1
	s_cbranch_execz .LBB229_17
.LBB229_14:
	v_dual_mul_f32 v1, 0.5, v12 :: v_dual_mul_f32 v2, 0.5, v13
	s_delay_alu instid0(VALU_DEP_1) | instskip(NEXT) | instid1(VALU_DEP_2)
	v_cndmask_b32_e64 v1, v12, v1, s14
	v_cndmask_b32_e64 v2, v13, v2, s14
                                        ; implicit-def: $vgpr12
                                        ; implicit-def: $vgpr13
	s_and_not1_saveexec_b32 s0, s0
	s_cbranch_execnz .LBB229_18
	s_branch .LBB229_19
.LBB229_15:
	s_and_not1_saveexec_b32 s15, s15
	s_cbranch_execz .LBB229_13
.LBB229_16:
	v_sub_f32_e32 v2, v14, v2
	s_delay_alu instid0(VALU_DEP_1) | instskip(NEXT) | instid1(VALU_DEP_1)
	v_mul_f32_e32 v2, 0.5, v2
	v_mul_f32_e32 v12, 0x4f800000, v2
	v_cmp_gt_f32_e32 vcc_lo, 0xf800000, v2
	s_delay_alu instid0(VALU_DEP_2) | instskip(NEXT) | instid1(VALU_DEP_1)
	v_cndmask_b32_e32 v2, v2, v12, vcc_lo
	v_sqrt_f32_e32 v12, v2
	s_waitcnt_depctr 0xfff
	v_add_nc_u32_e32 v13, -1, v12
	v_add_nc_u32_e32 v14, 1, v12
	s_delay_alu instid0(VALU_DEP_2) | instskip(NEXT) | instid1(VALU_DEP_2)
	v_fma_f32 v15, -v13, v12, v2
	v_fma_f32 v17, -v14, v12, v2
	s_delay_alu instid0(VALU_DEP_2) | instskip(NEXT) | instid1(VALU_DEP_1)
	v_cmp_ge_f32_e64 s1, 0, v15
	v_cndmask_b32_e64 v12, v12, v13, s1
	s_delay_alu instid0(VALU_DEP_3) | instskip(NEXT) | instid1(VALU_DEP_1)
	v_cmp_lt_f32_e64 s1, 0, v17
	v_cndmask_b32_e64 v12, v12, v14, s1
	s_delay_alu instid0(VALU_DEP_1) | instskip(NEXT) | instid1(VALU_DEP_1)
	v_mul_f32_e32 v13, 0x37800000, v12
	v_cndmask_b32_e32 v12, v12, v13, vcc_lo
	v_cmp_class_f32_e64 vcc_lo, v2, 0x260
	s_delay_alu instid0(VALU_DEP_2) | instskip(NEXT) | instid1(VALU_DEP_1)
	v_cndmask_b32_e32 v2, v12, v2, vcc_lo
	v_dual_add_f32 v13, v2, v2 :: v_dual_and_b32 v12, 0x7fffffff, v1
	s_delay_alu instid0(VALU_DEP_1) | instskip(SKIP_1) | instid1(VALU_DEP_2)
	v_div_scale_f32 v14, null, v13, v13, v12
	v_div_scale_f32 v12, vcc_lo, v12, v13, v12
	v_rcp_f32_e32 v15, v14
	s_waitcnt_depctr 0xfff
	v_fma_f32 v17, -v14, v15, 1.0
	s_delay_alu instid0(VALU_DEP_1) | instskip(NEXT) | instid1(VALU_DEP_1)
	v_fmac_f32_e32 v15, v17, v15
	v_mul_f32_e32 v17, v12, v15
	s_delay_alu instid0(VALU_DEP_1) | instskip(NEXT) | instid1(VALU_DEP_1)
	v_fma_f32 v18, -v14, v17, v12
	v_fmac_f32_e32 v17, v18, v15
	s_delay_alu instid0(VALU_DEP_1) | instskip(NEXT) | instid1(VALU_DEP_1)
	v_fma_f32 v12, -v14, v17, v12
	v_div_fmas_f32 v12, v12, v15, v17
	s_delay_alu instid0(VALU_DEP_1) | instskip(SKIP_3) | instid1(SALU_CYCLE_1)
	v_div_fixup_f32 v12, v12, v13, |v1|
	v_bfi_b32 v13, 0x7fffffff, v2, v1
	s_or_b32 exec_lo, exec_lo, s15
	s_and_saveexec_b32 s1, s0
	s_xor_b32 s0, exec_lo, s1
	s_cbranch_execnz .LBB229_14
.LBB229_17:
	s_and_not1_saveexec_b32 s0, s0
.LBB229_18:
	v_dual_add_f32 v1, v12, v12 :: v_dual_add_f32 v2, v13, v13
.LBB229_19:
	s_or_b32 exec_lo, exec_lo, s0
.LBB229_20:
	s_and_not1_saveexec_b32 s0, s13
	s_cbranch_execz .LBB229_26
; %bb.21:
	v_sub_f32_e32 v12, v5, v5
	s_mov_b32 s1, exec_lo
	v_cmpx_lt_i32_e32 -1, v4
	s_xor_b32 s1, exec_lo, s1
; %bb.22:
	s_delay_alu instid0(VALU_DEP_2)
	v_bfi_b32 v2, 0x7fffffff, v12, v5
                                        ; implicit-def: $vgpr12
; %bb.23:
	s_or_saveexec_b32 s1, s1
	v_mov_b32_e32 v1, v4
	s_xor_b32 exec_lo, exec_lo, s1
; %bb.24:
	v_and_b32_e32 v1, 0x7fffffff, v12
	v_bfi_b32 v2, 0x7fffffff, v4, v5
; %bb.25:
	s_or_b32 exec_lo, exec_lo, s1
.LBB229_26:
	s_delay_alu instid0(SALU_CYCLE_1)
	s_or_b32 exec_lo, exec_lo, s0
.LBB229_27:
	s_and_not1_saveexec_b32 s0, s12
	s_cbranch_execz .LBB229_29
; %bb.28:
	v_sub_f32_e32 v1, v5, v5
	s_delay_alu instid0(VALU_DEP_1) | instskip(NEXT) | instid1(VALU_DEP_1)
	v_div_scale_f32 v2, vcc_lo, v1, v1, v1
	v_rcp_f32_e32 v5, v2
	s_waitcnt_depctr 0xfff
	v_fma_f32 v12, -v2, v5, 1.0
	s_delay_alu instid0(VALU_DEP_1) | instskip(NEXT) | instid1(VALU_DEP_1)
	v_fmac_f32_e32 v5, v12, v5
	v_mul_f32_e32 v12, v2, v5
	s_delay_alu instid0(VALU_DEP_1) | instskip(NEXT) | instid1(VALU_DEP_1)
	v_fma_f32 v13, -v2, v12, v2
	v_fmac_f32_e32 v12, v13, v5
	s_delay_alu instid0(VALU_DEP_1) | instskip(NEXT) | instid1(VALU_DEP_1)
	v_fma_f32 v2, -v2, v12, v2
	v_div_fmas_f32 v2, v2, v5, v12
	s_delay_alu instid0(VALU_DEP_1)
	v_div_fixup_f32 v2, v2, v1, v1
	v_mov_b32_e32 v1, v4
.LBB229_29:
	s_or_b32 exec_lo, exec_lo, s0
.LBB229_30:
	s_delay_alu instid0(SALU_CYCLE_1)
	s_or_b32 exec_lo, exec_lo, s11
.LBB229_31:
	s_delay_alu instid0(SALU_CYCLE_1) | instskip(SKIP_2) | instid1(VALU_DEP_1)
	s_or_b32 exec_lo, exec_lo, s9
	v_cmp_neq_f32_e32 vcc_lo, 0, v6
	v_cmp_neq_f32_e64 s0, 0, v7
	s_or_b32 s0, vcc_lo, s0
	s_delay_alu instid0(SALU_CYCLE_1)
	s_and_saveexec_b32 s9, s0
	s_cbranch_execz .LBB229_61
; %bb.32:
	v_mov_b32_e32 v3, 0x7f800000
	s_mov_b32 s11, exec_lo
	v_cmpx_neq_f32_e64 0x7f800000, |v7|
	s_cbranch_execz .LBB229_60
; %bb.33:
	s_mov_b32 s0, exec_lo
	v_cmpx_o_f32_e32 v6, v6
	s_xor_b32 s12, exec_lo, s0
	s_cbranch_execz .LBB229_57
; %bb.34:
	s_mov_b32 s1, exec_lo
	v_cmpx_neq_f32_e64 0x7f800000, |v6|
	s_xor_b32 s13, exec_lo, s1
	s_cbranch_execz .LBB229_50
; %bb.35:
	v_max_f32_e64 v3, |v7|, |v7|
	v_max_f32_e64 v4, |v6|, |v6|
                                        ; implicit-def: $sgpr14
	s_delay_alu instid0(VALU_DEP_1) | instskip(NEXT) | instid1(VALU_DEP_1)
	v_max_f32_e32 v3, v4, v3
	v_cmp_nle_f32_e64 s0, 0x7ed413cb, v3
	s_delay_alu instid0(VALU_DEP_1) | instskip(NEXT) | instid1(SALU_CYCLE_1)
	s_and_saveexec_b32 s1, s0
	s_xor_b32 s1, exec_lo, s1
	s_cbranch_execz .LBB229_39
; %bb.36:
	v_cmp_ge_f32_e64 s14, 0x1000000, |v6|
	v_cmp_ge_f32_e64 s15, 0x1000000, |v7|
	s_delay_alu instid0(VALU_DEP_1)
	s_and_b32 s16, s14, s15
	s_mov_b32 s14, 0
	s_and_saveexec_b32 s15, s16
; %bb.37:
	v_dual_mul_f32 v7, 4.0, v7 :: v_dual_mul_f32 v6, 4.0, v6
	s_mov_b32 s14, exec_lo
; %bb.38:
	s_or_b32 exec_lo, exec_lo, s15
	s_delay_alu instid0(SALU_CYCLE_1)
	s_and_b32 s14, s14, exec_lo
.LBB229_39:
	s_and_not1_saveexec_b32 s1, s1
; %bb.40:
	v_dual_mul_f32 v6, 0x3e800000, v6 :: v_dual_mul_f32 v7, 0x3e800000, v7
	s_and_not1_b32 s14, s14, exec_lo
; %bb.41:
	s_or_b32 exec_lo, exec_lo, s1
	s_delay_alu instid0(VALU_DEP_1) | instskip(NEXT) | instid1(VALU_DEP_2)
	v_max_f32_e64 v3, |v7|, |v7|
	v_max_f32_e64 v4, |v6|, |v6|
	s_delay_alu instid0(VALU_DEP_1) | instskip(NEXT) | instid1(VALU_DEP_1)
	v_max_f32_e32 v5, v4, v3
	v_cvt_f64_f32_e32 v[3:4], v5
	v_cmp_neq_f32_e64 s1, 0x7f800000, v5
	s_delay_alu instid0(VALU_DEP_2) | instskip(NEXT) | instid1(VALU_DEP_1)
	v_frexp_exp_i32_f64_e32 v3, v[3:4]
	v_sub_nc_u32_e32 v4, 0, v3
	s_delay_alu instid0(VALU_DEP_1) | instskip(SKIP_1) | instid1(VALU_DEP_2)
	v_ldexp_f32 v12, |v7|, v4
	v_ldexp_f32 v4, |v6|, v4
	v_mul_f32_e32 v12, v12, v12
	s_delay_alu instid0(VALU_DEP_1) | instskip(NEXT) | instid1(VALU_DEP_1)
	v_fmac_f32_e32 v12, v4, v4
	v_sqrt_f32_e32 v4, v12
	s_waitcnt_depctr 0xfff
	v_ldexp_f32 v3, v4, v3
                                        ; implicit-def: $vgpr4
	s_delay_alu instid0(VALU_DEP_1)
	v_cndmask_b32_e64 v5, 0x7f800000, v3, s1
                                        ; implicit-def: $vgpr3
	s_mov_b32 s1, exec_lo
	v_cmpx_le_f32_e32 0, v6
	s_xor_b32 s15, exec_lo, s1
	s_cbranch_execz .LBB229_43
; %bb.42:
	v_add_f32_e32 v3, v6, v5
	s_delay_alu instid0(VALU_DEP_1) | instskip(NEXT) | instid1(VALU_DEP_1)
	v_mul_f32_e32 v3, 0.5, v3
	v_mul_f32_e32 v4, 0x4f800000, v3
	v_cmp_gt_f32_e32 vcc_lo, 0xf800000, v3
	s_delay_alu instid0(VALU_DEP_2) | instskip(NEXT) | instid1(VALU_DEP_1)
	v_cndmask_b32_e32 v3, v3, v4, vcc_lo
	v_sqrt_f32_e32 v4, v3
	s_waitcnt_depctr 0xfff
	v_add_nc_u32_e32 v5, -1, v4
	v_add_nc_u32_e32 v6, 1, v4
	s_delay_alu instid0(VALU_DEP_2) | instskip(NEXT) | instid1(VALU_DEP_2)
	v_fma_f32 v12, -v5, v4, v3
	v_fma_f32 v13, -v6, v4, v3
	s_delay_alu instid0(VALU_DEP_2) | instskip(NEXT) | instid1(VALU_DEP_1)
	v_cmp_ge_f32_e64 s1, 0, v12
	v_cndmask_b32_e64 v4, v4, v5, s1
	s_delay_alu instid0(VALU_DEP_3) | instskip(NEXT) | instid1(VALU_DEP_1)
	v_cmp_lt_f32_e64 s1, 0, v13
	v_cndmask_b32_e64 v4, v4, v6, s1
	s_delay_alu instid0(VALU_DEP_1) | instskip(NEXT) | instid1(VALU_DEP_1)
	v_mul_f32_e32 v5, 0x37800000, v4
	v_cndmask_b32_e32 v4, v4, v5, vcc_lo
	v_cmp_class_f32_e64 vcc_lo, v3, 0x260
	s_delay_alu instid0(VALU_DEP_2) | instskip(NEXT) | instid1(VALU_DEP_1)
	v_cndmask_b32_e32 v3, v4, v3, vcc_lo
	v_add_f32_e32 v4, v3, v3
	s_delay_alu instid0(VALU_DEP_1) | instskip(NEXT) | instid1(VALU_DEP_1)
	v_div_scale_f32 v5, null, v4, v4, v7
	v_rcp_f32_e32 v6, v5
	s_waitcnt_depctr 0xfff
	v_fma_f32 v12, -v5, v6, 1.0
	s_delay_alu instid0(VALU_DEP_1) | instskip(SKIP_1) | instid1(VALU_DEP_1)
	v_fmac_f32_e32 v6, v12, v6
	v_div_scale_f32 v12, vcc_lo, v7, v4, v7
	v_mul_f32_e32 v13, v12, v6
	s_delay_alu instid0(VALU_DEP_1) | instskip(NEXT) | instid1(VALU_DEP_1)
	v_fma_f32 v14, -v5, v13, v12
	v_fmac_f32_e32 v13, v14, v6
	s_delay_alu instid0(VALU_DEP_1) | instskip(NEXT) | instid1(VALU_DEP_1)
	v_fma_f32 v5, -v5, v13, v12
	v_div_fmas_f32 v5, v5, v6, v13
                                        ; implicit-def: $vgpr6
	s_delay_alu instid0(VALU_DEP_1)
	v_div_fixup_f32 v4, v5, v4, v7
                                        ; implicit-def: $vgpr5
	s_and_not1_saveexec_b32 s15, s15
	s_cbranch_execz .LBB229_45
	s_branch .LBB229_44
.LBB229_43:
	s_and_not1_saveexec_b32 s15, s15
	s_cbranch_execz .LBB229_45
.LBB229_44:
	v_sub_f32_e32 v3, v5, v6
	s_delay_alu instid0(VALU_DEP_1) | instskip(NEXT) | instid1(VALU_DEP_1)
	v_mul_f32_e32 v3, 0.5, v3
	v_mul_f32_e32 v4, 0x4f800000, v3
	v_cmp_gt_f32_e32 vcc_lo, 0xf800000, v3
	s_delay_alu instid0(VALU_DEP_2) | instskip(NEXT) | instid1(VALU_DEP_1)
	v_cndmask_b32_e32 v3, v3, v4, vcc_lo
	v_sqrt_f32_e32 v4, v3
	s_waitcnt_depctr 0xfff
	v_add_nc_u32_e32 v5, -1, v4
	v_add_nc_u32_e32 v6, 1, v4
	s_delay_alu instid0(VALU_DEP_2) | instskip(NEXT) | instid1(VALU_DEP_2)
	v_fma_f32 v12, -v5, v4, v3
	v_fma_f32 v13, -v6, v4, v3
	s_delay_alu instid0(VALU_DEP_2) | instskip(NEXT) | instid1(VALU_DEP_1)
	v_cmp_ge_f32_e64 s1, 0, v12
	v_cndmask_b32_e64 v4, v4, v5, s1
	s_delay_alu instid0(VALU_DEP_3) | instskip(NEXT) | instid1(VALU_DEP_1)
	v_cmp_lt_f32_e64 s1, 0, v13
	v_cndmask_b32_e64 v4, v4, v6, s1
	s_delay_alu instid0(VALU_DEP_1) | instskip(NEXT) | instid1(VALU_DEP_1)
	v_mul_f32_e32 v5, 0x37800000, v4
	v_cndmask_b32_e32 v4, v4, v5, vcc_lo
	v_cmp_class_f32_e64 vcc_lo, v3, 0x260
	s_delay_alu instid0(VALU_DEP_2) | instskip(SKIP_1) | instid1(VALU_DEP_2)
	v_cndmask_b32_e32 v4, v4, v3, vcc_lo
	v_and_b32_e32 v3, 0x7fffffff, v7
	v_add_f32_e32 v5, v4, v4
	v_bfi_b32 v4, 0x7fffffff, v4, v7
	s_delay_alu instid0(VALU_DEP_2) | instskip(NEXT) | instid1(VALU_DEP_1)
	v_div_scale_f32 v6, null, v5, v5, v3
	v_rcp_f32_e32 v12, v6
	s_waitcnt_depctr 0xfff
	v_fma_f32 v13, -v6, v12, 1.0
	s_delay_alu instid0(VALU_DEP_1) | instskip(SKIP_1) | instid1(VALU_DEP_1)
	v_fmac_f32_e32 v12, v13, v12
	v_div_scale_f32 v3, vcc_lo, v3, v5, v3
	v_mul_f32_e32 v13, v3, v12
	s_delay_alu instid0(VALU_DEP_1) | instskip(NEXT) | instid1(VALU_DEP_1)
	v_fma_f32 v14, -v6, v13, v3
	v_fmac_f32_e32 v13, v14, v12
	s_delay_alu instid0(VALU_DEP_1) | instskip(NEXT) | instid1(VALU_DEP_1)
	v_fma_f32 v3, -v6, v13, v3
	v_div_fmas_f32 v3, v3, v12, v13
	s_delay_alu instid0(VALU_DEP_1)
	v_div_fixup_f32 v3, v3, v5, |v7|
.LBB229_45:
	s_or_b32 exec_lo, exec_lo, s15
                                        ; implicit-def: $vgpr7
	s_and_saveexec_b32 s1, s0
	s_delay_alu instid0(SALU_CYCLE_1)
	s_xor_b32 s0, exec_lo, s1
	s_cbranch_execz .LBB229_47
; %bb.46:
	v_mul_f32_e32 v5, 0.5, v3
	v_mul_f32_e32 v7, 0.5, v4
	s_delay_alu instid0(VALU_DEP_2) | instskip(NEXT) | instid1(VALU_DEP_2)
	v_cndmask_b32_e64 v6, v3, v5, s14
	v_cndmask_b32_e64 v7, v4, v7, s14
                                        ; implicit-def: $vgpr3
                                        ; implicit-def: $vgpr4
	s_and_not1_saveexec_b32 s0, s0
	s_cbranch_execnz .LBB229_48
	s_branch .LBB229_49
.LBB229_47:
	s_and_not1_saveexec_b32 s0, s0
.LBB229_48:
	v_dual_add_f32 v6, v3, v3 :: v_dual_add_f32 v7, v4, v4
.LBB229_49:
	s_or_b32 exec_lo, exec_lo, s0
.LBB229_50:
	s_and_not1_saveexec_b32 s0, s13
	s_cbranch_execz .LBB229_56
; %bb.51:
	s_delay_alu instid0(VALU_DEP_1)
	v_sub_f32_e32 v3, v7, v7
	s_mov_b32 s1, exec_lo
	v_cmpx_lt_i32_e32 -1, v6
	s_xor_b32 s1, exec_lo, s1
; %bb.52:
	s_delay_alu instid0(VALU_DEP_2)
	v_bfi_b32 v7, 0x7fffffff, v3, v7
                                        ; implicit-def: $vgpr3
; %bb.53:
	s_and_not1_saveexec_b32 s1, s1
; %bb.54:
	v_and_b32_e32 v3, 0x7fffffff, v3
	s_delay_alu instid0(VALU_DEP_2) | instskip(NEXT) | instid1(VALU_DEP_2)
	v_bfi_b32 v7, 0x7fffffff, v6, v7
	v_mov_b32_e32 v6, v3
; %bb.55:
	s_or_b32 exec_lo, exec_lo, s1
.LBB229_56:
	s_delay_alu instid0(SALU_CYCLE_1)
	s_or_b32 exec_lo, exec_lo, s0
.LBB229_57:
	s_and_not1_saveexec_b32 s0, s12
; %bb.58:
	v_sub_f32_e32 v3, v7, v7
	s_delay_alu instid0(VALU_DEP_1) | instskip(NEXT) | instid1(VALU_DEP_1)
	v_div_scale_f32 v4, vcc_lo, v3, v3, v3
	v_rcp_f32_e32 v5, v4
	s_waitcnt_depctr 0xfff
	v_fma_f32 v7, -v4, v5, 1.0
	s_delay_alu instid0(VALU_DEP_1) | instskip(NEXT) | instid1(VALU_DEP_1)
	v_fmac_f32_e32 v5, v7, v5
	v_mul_f32_e32 v7, v4, v5
	s_delay_alu instid0(VALU_DEP_1) | instskip(NEXT) | instid1(VALU_DEP_1)
	v_fma_f32 v12, -v4, v7, v4
	v_fmac_f32_e32 v7, v12, v5
	s_delay_alu instid0(VALU_DEP_1) | instskip(NEXT) | instid1(VALU_DEP_1)
	v_fma_f32 v4, -v4, v7, v4
	v_div_fmas_f32 v4, v4, v5, v7
	s_delay_alu instid0(VALU_DEP_1)
	v_div_fixup_f32 v7, v4, v3, v3
; %bb.59:
	s_or_b32 exec_lo, exec_lo, s0
	v_mov_b32_e32 v3, v6
.LBB229_60:
	s_or_b32 exec_lo, exec_lo, s11
.LBB229_61:
	s_delay_alu instid0(SALU_CYCLE_1)
	s_or_b32 exec_lo, exec_lo, s9
	s_waitcnt vmcnt(0)
	v_cmp_neq_f32_e32 vcc_lo, 0, v8
	v_cmp_neq_f32_e64 s0, 0, v9
	v_dual_mov_b32 v14, 0 :: v_dual_mov_b32 v13, v9
	v_mov_b32_e32 v12, 0
	s_delay_alu instid0(VALU_DEP_3) | instskip(NEXT) | instid1(SALU_CYCLE_1)
	s_or_b32 s0, vcc_lo, s0
	s_and_saveexec_b32 s9, s0
	s_cbranch_execz .LBB229_91
; %bb.62:
	v_dual_mov_b32 v12, 0x7f800000 :: v_dual_mov_b32 v13, v9
	s_mov_b32 s11, exec_lo
	v_cmpx_neq_f32_e64 0x7f800000, |v9|
	s_cbranch_execz .LBB229_90
; %bb.63:
	s_mov_b32 s0, exec_lo
	v_cmpx_o_f32_e32 v8, v8
	s_xor_b32 s12, exec_lo, s0
	s_cbranch_execz .LBB229_87
; %bb.64:
	s_mov_b32 s1, exec_lo
	v_cmpx_neq_f32_e64 0x7f800000, |v8|
	s_xor_b32 s13, exec_lo, s1
	s_cbranch_execz .LBB229_80
; %bb.65:
	v_max_f32_e64 v4, |v9|, |v9|
	v_max_f32_e64 v5, |v8|, |v8|
                                        ; implicit-def: $sgpr14
	s_delay_alu instid0(VALU_DEP_1) | instskip(NEXT) | instid1(VALU_DEP_1)
	v_max_f32_e32 v4, v5, v4
                                        ; implicit-def: $vgpr5
	v_cmp_nle_f32_e64 s0, 0x7ed413cb, v4
                                        ; implicit-def: $vgpr4
	s_delay_alu instid0(VALU_DEP_1) | instskip(NEXT) | instid1(SALU_CYCLE_1)
	s_and_saveexec_b32 s1, s0
	s_xor_b32 s1, exec_lo, s1
	s_cbranch_execz .LBB229_69
; %bb.66:
	v_cmp_ge_f32_e64 s14, 0x1000000, |v8|
	v_cmp_ge_f32_e64 s15, 0x1000000, |v9|
	v_dual_mov_b32 v5, v8 :: v_dual_mov_b32 v4, v9
	s_delay_alu instid0(VALU_DEP_2)
	s_and_b32 s16, s14, s15
	s_mov_b32 s14, 0
	s_and_saveexec_b32 s15, s16
; %bb.67:
	v_dual_mul_f32 v4, 4.0, v9 :: v_dual_mul_f32 v5, 4.0, v8
	s_mov_b32 s14, exec_lo
; %bb.68:
	s_or_b32 exec_lo, exec_lo, s15
	s_delay_alu instid0(SALU_CYCLE_1)
	s_and_b32 s14, s14, exec_lo
.LBB229_69:
	s_and_not1_saveexec_b32 s1, s1
; %bb.70:
	v_dual_mul_f32 v5, 0x3e800000, v8 :: v_dual_mul_f32 v4, 0x3e800000, v9
	s_and_not1_b32 s14, s14, exec_lo
; %bb.71:
	s_or_b32 exec_lo, exec_lo, s1
	s_delay_alu instid0(VALU_DEP_1) | instskip(NEXT) | instid1(VALU_DEP_2)
	v_max_f32_e64 v6, |v4|, |v4|
	v_max_f32_e64 v12, |v5|, |v5|
	s_delay_alu instid0(VALU_DEP_1) | instskip(NEXT) | instid1(VALU_DEP_1)
	v_max_f32_e32 v6, v12, v6
	v_cvt_f64_f32_e32 v[12:13], v6
	s_delay_alu instid0(VALU_DEP_1) | instskip(NEXT) | instid1(VALU_DEP_1)
	v_frexp_exp_i32_f64_e32 v12, v[12:13]
	v_sub_nc_u32_e32 v13, 0, v12
	s_delay_alu instid0(VALU_DEP_1) | instskip(SKIP_1) | instid1(VALU_DEP_2)
	v_ldexp_f32 v15, |v4|, v13
	v_ldexp_f32 v13, |v5|, v13
	v_mul_f32_e32 v15, v15, v15
	v_cmp_neq_f32_e64 s1, 0x7f800000, v6
                                        ; implicit-def: $vgpr6
	s_delay_alu instid0(VALU_DEP_2) | instskip(NEXT) | instid1(VALU_DEP_1)
	v_fmac_f32_e32 v15, v13, v13
	v_sqrt_f32_e32 v13, v15
                                        ; implicit-def: $vgpr15
	s_waitcnt_depctr 0xfff
	v_ldexp_f32 v12, v13, v12
	s_delay_alu instid0(VALU_DEP_1)
	v_cndmask_b32_e64 v12, 0x7f800000, v12, s1
	s_mov_b32 s1, exec_lo
	v_cmpx_le_f32_e32 0, v5
	s_xor_b32 s15, exec_lo, s1
	s_cbranch_execz .LBB229_75
; %bb.72:
	v_add_f32_e32 v5, v5, v12
	s_delay_alu instid0(VALU_DEP_1) | instskip(NEXT) | instid1(VALU_DEP_1)
	v_mul_f32_e32 v5, 0.5, v5
	v_mul_f32_e32 v6, 0x4f800000, v5
	v_cmp_gt_f32_e32 vcc_lo, 0xf800000, v5
	s_delay_alu instid0(VALU_DEP_2) | instskip(NEXT) | instid1(VALU_DEP_1)
	v_cndmask_b32_e32 v5, v5, v6, vcc_lo
	v_sqrt_f32_e32 v6, v5
	s_waitcnt_depctr 0xfff
	v_add_nc_u32_e32 v12, -1, v6
	v_add_nc_u32_e32 v13, 1, v6
	s_delay_alu instid0(VALU_DEP_2) | instskip(NEXT) | instid1(VALU_DEP_2)
	v_fma_f32 v15, -v12, v6, v5
	v_fma_f32 v17, -v13, v6, v5
	s_delay_alu instid0(VALU_DEP_2) | instskip(NEXT) | instid1(VALU_DEP_1)
	v_cmp_ge_f32_e64 s1, 0, v15
	v_cndmask_b32_e64 v6, v6, v12, s1
	s_delay_alu instid0(VALU_DEP_3) | instskip(NEXT) | instid1(VALU_DEP_1)
	v_cmp_lt_f32_e64 s1, 0, v17
	v_cndmask_b32_e64 v6, v6, v13, s1
	s_delay_alu instid0(VALU_DEP_1) | instskip(NEXT) | instid1(VALU_DEP_1)
	v_mul_f32_e32 v12, 0x37800000, v6
	v_cndmask_b32_e32 v6, v6, v12, vcc_lo
	v_cmp_class_f32_e64 vcc_lo, v5, 0x260
	s_delay_alu instid0(VALU_DEP_2) | instskip(NEXT) | instid1(VALU_DEP_1)
	v_cndmask_b32_e32 v6, v6, v5, vcc_lo
	v_add_f32_e32 v5, v6, v6
	s_delay_alu instid0(VALU_DEP_1) | instskip(NEXT) | instid1(VALU_DEP_1)
	v_div_scale_f32 v12, null, v5, v5, v4
	v_rcp_f32_e32 v13, v12
	s_waitcnt_depctr 0xfff
	v_fma_f32 v15, -v12, v13, 1.0
	s_delay_alu instid0(VALU_DEP_1) | instskip(SKIP_1) | instid1(VALU_DEP_1)
	v_fmac_f32_e32 v13, v15, v13
	v_div_scale_f32 v15, vcc_lo, v4, v5, v4
	v_mul_f32_e32 v17, v15, v13
	s_delay_alu instid0(VALU_DEP_1) | instskip(NEXT) | instid1(VALU_DEP_1)
	v_fma_f32 v18, -v12, v17, v15
	v_fmac_f32_e32 v17, v18, v13
	s_delay_alu instid0(VALU_DEP_1) | instskip(NEXT) | instid1(VALU_DEP_1)
	v_fma_f32 v12, -v12, v17, v15
	v_div_fmas_f32 v12, v12, v13, v17
	s_delay_alu instid0(VALU_DEP_1)
	v_div_fixup_f32 v15, v12, v5, v4
                                        ; implicit-def: $vgpr12
                                        ; implicit-def: $vgpr5
                                        ; implicit-def: $vgpr4
	s_and_not1_saveexec_b32 s15, s15
	s_cbranch_execnz .LBB229_76
.LBB229_73:
	s_or_b32 exec_lo, exec_lo, s15
	s_and_saveexec_b32 s1, s0
	s_delay_alu instid0(SALU_CYCLE_1)
	s_xor_b32 s0, exec_lo, s1
	s_cbranch_execz .LBB229_77
.LBB229_74:
	v_dual_mul_f32 v4, 0.5, v6 :: v_dual_mul_f32 v5, 0.5, v15
	s_delay_alu instid0(VALU_DEP_1) | instskip(NEXT) | instid1(VALU_DEP_2)
	v_cndmask_b32_e64 v12, v6, v4, s14
	v_cndmask_b32_e64 v13, v15, v5, s14
                                        ; implicit-def: $vgpr6
                                        ; implicit-def: $vgpr15
	s_and_not1_saveexec_b32 s0, s0
	s_cbranch_execnz .LBB229_78
	s_branch .LBB229_79
.LBB229_75:
	s_and_not1_saveexec_b32 s15, s15
	s_cbranch_execz .LBB229_73
.LBB229_76:
	v_sub_f32_e32 v5, v12, v5
	s_delay_alu instid0(VALU_DEP_1) | instskip(NEXT) | instid1(VALU_DEP_1)
	v_mul_f32_e32 v5, 0.5, v5
	v_mul_f32_e32 v6, 0x4f800000, v5
	v_cmp_gt_f32_e32 vcc_lo, 0xf800000, v5
	s_delay_alu instid0(VALU_DEP_2) | instskip(NEXT) | instid1(VALU_DEP_1)
	v_cndmask_b32_e32 v5, v5, v6, vcc_lo
	v_sqrt_f32_e32 v6, v5
	s_waitcnt_depctr 0xfff
	v_add_nc_u32_e32 v12, -1, v6
	v_add_nc_u32_e32 v13, 1, v6
	s_delay_alu instid0(VALU_DEP_2) | instskip(NEXT) | instid1(VALU_DEP_2)
	v_fma_f32 v15, -v12, v6, v5
	v_fma_f32 v17, -v13, v6, v5
	s_delay_alu instid0(VALU_DEP_2) | instskip(NEXT) | instid1(VALU_DEP_1)
	v_cmp_ge_f32_e64 s1, 0, v15
	v_cndmask_b32_e64 v6, v6, v12, s1
	s_delay_alu instid0(VALU_DEP_3) | instskip(NEXT) | instid1(VALU_DEP_1)
	v_cmp_lt_f32_e64 s1, 0, v17
	v_cndmask_b32_e64 v6, v6, v13, s1
	s_delay_alu instid0(VALU_DEP_1) | instskip(NEXT) | instid1(VALU_DEP_1)
	v_mul_f32_e32 v12, 0x37800000, v6
	v_cndmask_b32_e32 v6, v6, v12, vcc_lo
	v_cmp_class_f32_e64 vcc_lo, v5, 0x260
	s_delay_alu instid0(VALU_DEP_2) | instskip(NEXT) | instid1(VALU_DEP_1)
	v_dual_cndmask_b32 v5, v6, v5 :: v_dual_and_b32 v6, 0x7fffffff, v4
	v_add_f32_e32 v12, v5, v5
	s_delay_alu instid0(VALU_DEP_1) | instskip(SKIP_1) | instid1(VALU_DEP_2)
	v_div_scale_f32 v13, null, v12, v12, v6
	v_div_scale_f32 v6, vcc_lo, v6, v12, v6
	v_rcp_f32_e32 v15, v13
	s_waitcnt_depctr 0xfff
	v_fma_f32 v17, -v13, v15, 1.0
	s_delay_alu instid0(VALU_DEP_1) | instskip(NEXT) | instid1(VALU_DEP_1)
	v_fmac_f32_e32 v15, v17, v15
	v_mul_f32_e32 v17, v6, v15
	s_delay_alu instid0(VALU_DEP_1) | instskip(NEXT) | instid1(VALU_DEP_1)
	v_fma_f32 v18, -v13, v17, v6
	v_fmac_f32_e32 v17, v18, v15
	s_delay_alu instid0(VALU_DEP_1) | instskip(NEXT) | instid1(VALU_DEP_1)
	v_fma_f32 v6, -v13, v17, v6
	v_div_fmas_f32 v6, v6, v15, v17
	v_bfi_b32 v15, 0x7fffffff, v5, v4
	s_delay_alu instid0(VALU_DEP_2) | instskip(SKIP_2) | instid1(SALU_CYCLE_1)
	v_div_fixup_f32 v6, v6, v12, |v4|
	s_or_b32 exec_lo, exec_lo, s15
	s_and_saveexec_b32 s1, s0
	s_xor_b32 s0, exec_lo, s1
	s_cbranch_execnz .LBB229_74
.LBB229_77:
	s_and_not1_saveexec_b32 s0, s0
.LBB229_78:
	v_dual_add_f32 v12, v6, v6 :: v_dual_add_f32 v13, v15, v15
.LBB229_79:
	s_or_b32 exec_lo, exec_lo, s0
.LBB229_80:
	s_and_not1_saveexec_b32 s0, s13
	s_cbranch_execz .LBB229_86
; %bb.81:
	v_sub_f32_e32 v4, v9, v9
	s_mov_b32 s1, exec_lo
	v_cmpx_lt_i32_e32 -1, v8
	s_xor_b32 s1, exec_lo, s1
; %bb.82:
	s_delay_alu instid0(VALU_DEP_2)
	v_bfi_b32 v13, 0x7fffffff, v4, v9
                                        ; implicit-def: $vgpr4
; %bb.83:
	s_or_saveexec_b32 s1, s1
	v_mov_b32_e32 v12, v8
	s_xor_b32 exec_lo, exec_lo, s1
; %bb.84:
	v_and_b32_e32 v12, 0x7fffffff, v4
	v_bfi_b32 v13, 0x7fffffff, v8, v9
; %bb.85:
	s_or_b32 exec_lo, exec_lo, s1
.LBB229_86:
	s_delay_alu instid0(SALU_CYCLE_1)
	s_or_b32 exec_lo, exec_lo, s0
.LBB229_87:
	s_and_not1_saveexec_b32 s0, s12
	s_cbranch_execz .LBB229_89
; %bb.88:
	v_sub_f32_e32 v4, v9, v9
	s_delay_alu instid0(VALU_DEP_1) | instskip(NEXT) | instid1(VALU_DEP_1)
	v_div_scale_f32 v5, vcc_lo, v4, v4, v4
	v_rcp_f32_e32 v6, v5
	s_waitcnt_depctr 0xfff
	v_fma_f32 v9, -v5, v6, 1.0
	s_delay_alu instid0(VALU_DEP_1) | instskip(NEXT) | instid1(VALU_DEP_1)
	v_fmac_f32_e32 v6, v9, v6
	v_mul_f32_e32 v9, v5, v6
	s_delay_alu instid0(VALU_DEP_1) | instskip(NEXT) | instid1(VALU_DEP_1)
	v_fma_f32 v12, -v5, v9, v5
	v_fmac_f32_e32 v9, v12, v6
	v_mov_b32_e32 v12, v8
	s_delay_alu instid0(VALU_DEP_2) | instskip(NEXT) | instid1(VALU_DEP_1)
	v_fma_f32 v5, -v5, v9, v5
	v_div_fmas_f32 v5, v5, v6, v9
	s_delay_alu instid0(VALU_DEP_1)
	v_div_fixup_f32 v13, v5, v4, v4
.LBB229_89:
	s_or_b32 exec_lo, exec_lo, s0
.LBB229_90:
	s_delay_alu instid0(SALU_CYCLE_1)
	s_or_b32 exec_lo, exec_lo, s11
.LBB229_91:
	s_delay_alu instid0(SALU_CYCLE_1) | instskip(SKIP_2) | instid1(VALU_DEP_1)
	s_or_b32 exec_lo, exec_lo, s9
	v_cmp_neq_f32_e32 vcc_lo, 0, v10
	v_cmp_neq_f32_e64 s0, 0, v11
	s_or_b32 s0, vcc_lo, s0
	s_delay_alu instid0(SALU_CYCLE_1)
	s_and_saveexec_b32 s9, s0
	s_cbranch_execz .LBB229_121
; %bb.92:
	v_mov_b32_e32 v14, 0x7f800000
	s_mov_b32 s11, exec_lo
	v_cmpx_neq_f32_e64 0x7f800000, |v11|
	s_cbranch_execz .LBB229_120
; %bb.93:
	s_mov_b32 s0, exec_lo
	v_cmpx_o_f32_e32 v10, v10
	s_xor_b32 s12, exec_lo, s0
	s_cbranch_execz .LBB229_117
; %bb.94:
	s_mov_b32 s1, exec_lo
	v_cmpx_neq_f32_e64 0x7f800000, |v10|
	s_xor_b32 s13, exec_lo, s1
	s_cbranch_execz .LBB229_110
; %bb.95:
	v_max_f32_e64 v4, |v11|, |v11|
	v_max_f32_e64 v5, |v10|, |v10|
                                        ; implicit-def: $sgpr14
	s_delay_alu instid0(VALU_DEP_1) | instskip(NEXT) | instid1(VALU_DEP_1)
	v_max_f32_e32 v4, v5, v4
	v_cmp_nle_f32_e64 s0, 0x7ed413cb, v4
	s_delay_alu instid0(VALU_DEP_1) | instskip(NEXT) | instid1(SALU_CYCLE_1)
	s_and_saveexec_b32 s1, s0
	s_xor_b32 s1, exec_lo, s1
	s_cbranch_execz .LBB229_99
; %bb.96:
	v_cmp_ge_f32_e64 s14, 0x1000000, |v10|
	v_cmp_ge_f32_e64 s15, 0x1000000, |v11|
	s_delay_alu instid0(VALU_DEP_1)
	s_and_b32 s16, s14, s15
	s_mov_b32 s14, 0
	s_and_saveexec_b32 s15, s16
; %bb.97:
	v_dual_mul_f32 v11, 4.0, v11 :: v_dual_mul_f32 v10, 4.0, v10
	s_mov_b32 s14, exec_lo
; %bb.98:
	s_or_b32 exec_lo, exec_lo, s15
	s_delay_alu instid0(SALU_CYCLE_1)
	s_and_b32 s14, s14, exec_lo
.LBB229_99:
	s_and_not1_saveexec_b32 s1, s1
; %bb.100:
	v_dual_mul_f32 v10, 0x3e800000, v10 :: v_dual_mul_f32 v11, 0x3e800000, v11
	s_and_not1_b32 s14, s14, exec_lo
; %bb.101:
	s_or_b32 exec_lo, exec_lo, s1
	s_delay_alu instid0(VALU_DEP_1) | instskip(NEXT) | instid1(VALU_DEP_2)
	v_max_f32_e64 v4, |v11|, |v11|
	v_max_f32_e64 v5, |v10|, |v10|
	s_delay_alu instid0(VALU_DEP_1) | instskip(NEXT) | instid1(VALU_DEP_1)
	v_max_f32_e32 v6, v5, v4
	v_cvt_f64_f32_e32 v[4:5], v6
	v_cmp_neq_f32_e64 s1, 0x7f800000, v6
	s_delay_alu instid0(VALU_DEP_2) | instskip(NEXT) | instid1(VALU_DEP_1)
	v_frexp_exp_i32_f64_e32 v4, v[4:5]
	v_sub_nc_u32_e32 v5, 0, v4
	s_delay_alu instid0(VALU_DEP_1) | instskip(SKIP_1) | instid1(VALU_DEP_2)
	v_ldexp_f32 v8, |v11|, v5
	v_ldexp_f32 v5, |v10|, v5
	v_mul_f32_e32 v8, v8, v8
	s_delay_alu instid0(VALU_DEP_1) | instskip(NEXT) | instid1(VALU_DEP_1)
	v_fmac_f32_e32 v8, v5, v5
	v_sqrt_f32_e32 v5, v8
	s_waitcnt_depctr 0xfff
	v_ldexp_f32 v4, v5, v4
                                        ; implicit-def: $vgpr5
	s_delay_alu instid0(VALU_DEP_1)
	v_cndmask_b32_e64 v6, 0x7f800000, v4, s1
                                        ; implicit-def: $vgpr4
	s_mov_b32 s1, exec_lo
	v_cmpx_le_f32_e32 0, v10
	s_xor_b32 s15, exec_lo, s1
	s_cbranch_execz .LBB229_103
; %bb.102:
	v_add_f32_e32 v4, v10, v6
	s_delay_alu instid0(VALU_DEP_1) | instskip(NEXT) | instid1(VALU_DEP_1)
	v_mul_f32_e32 v4, 0.5, v4
	v_mul_f32_e32 v5, 0x4f800000, v4
	v_cmp_gt_f32_e32 vcc_lo, 0xf800000, v4
	s_delay_alu instid0(VALU_DEP_2) | instskip(NEXT) | instid1(VALU_DEP_1)
	v_cndmask_b32_e32 v4, v4, v5, vcc_lo
	v_sqrt_f32_e32 v5, v4
	s_waitcnt_depctr 0xfff
	v_add_nc_u32_e32 v6, -1, v5
	v_add_nc_u32_e32 v8, 1, v5
	s_delay_alu instid0(VALU_DEP_2) | instskip(NEXT) | instid1(VALU_DEP_2)
	v_fma_f32 v9, -v6, v5, v4
	v_fma_f32 v10, -v8, v5, v4
	s_delay_alu instid0(VALU_DEP_2) | instskip(NEXT) | instid1(VALU_DEP_1)
	v_cmp_ge_f32_e64 s1, 0, v9
	v_cndmask_b32_e64 v5, v5, v6, s1
	s_delay_alu instid0(VALU_DEP_3) | instskip(NEXT) | instid1(VALU_DEP_1)
	v_cmp_lt_f32_e64 s1, 0, v10
	v_cndmask_b32_e64 v5, v5, v8, s1
	s_delay_alu instid0(VALU_DEP_1) | instskip(NEXT) | instid1(VALU_DEP_1)
	v_mul_f32_e32 v6, 0x37800000, v5
	v_cndmask_b32_e32 v5, v5, v6, vcc_lo
	v_cmp_class_f32_e64 vcc_lo, v4, 0x260
	s_delay_alu instid0(VALU_DEP_2) | instskip(NEXT) | instid1(VALU_DEP_1)
	v_cndmask_b32_e32 v4, v5, v4, vcc_lo
	v_add_f32_e32 v5, v4, v4
	s_delay_alu instid0(VALU_DEP_1) | instskip(NEXT) | instid1(VALU_DEP_1)
	v_div_scale_f32 v6, null, v5, v5, v11
	v_rcp_f32_e32 v8, v6
	s_waitcnt_depctr 0xfff
	v_fma_f32 v9, -v6, v8, 1.0
	s_delay_alu instid0(VALU_DEP_1) | instskip(SKIP_1) | instid1(VALU_DEP_1)
	v_fmac_f32_e32 v8, v9, v8
	v_div_scale_f32 v9, vcc_lo, v11, v5, v11
	v_mul_f32_e32 v10, v9, v8
	s_delay_alu instid0(VALU_DEP_1) | instskip(NEXT) | instid1(VALU_DEP_1)
	v_fma_f32 v14, -v6, v10, v9
	v_fmac_f32_e32 v10, v14, v8
	s_delay_alu instid0(VALU_DEP_1) | instskip(NEXT) | instid1(VALU_DEP_1)
	v_fma_f32 v6, -v6, v10, v9
	v_div_fmas_f32 v6, v6, v8, v10
                                        ; implicit-def: $vgpr10
	s_delay_alu instid0(VALU_DEP_1)
	v_div_fixup_f32 v5, v6, v5, v11
                                        ; implicit-def: $vgpr6
	s_and_not1_saveexec_b32 s15, s15
	s_cbranch_execz .LBB229_105
	s_branch .LBB229_104
.LBB229_103:
	s_and_not1_saveexec_b32 s15, s15
	s_cbranch_execz .LBB229_105
.LBB229_104:
	v_sub_f32_e32 v4, v6, v10
	s_delay_alu instid0(VALU_DEP_1) | instskip(NEXT) | instid1(VALU_DEP_1)
	v_mul_f32_e32 v4, 0.5, v4
	v_mul_f32_e32 v5, 0x4f800000, v4
	v_cmp_gt_f32_e32 vcc_lo, 0xf800000, v4
	s_delay_alu instid0(VALU_DEP_2) | instskip(NEXT) | instid1(VALU_DEP_1)
	v_cndmask_b32_e32 v4, v4, v5, vcc_lo
	v_sqrt_f32_e32 v5, v4
	s_waitcnt_depctr 0xfff
	v_add_nc_u32_e32 v6, -1, v5
	v_add_nc_u32_e32 v8, 1, v5
	s_delay_alu instid0(VALU_DEP_2) | instskip(NEXT) | instid1(VALU_DEP_2)
	v_fma_f32 v9, -v6, v5, v4
	v_fma_f32 v10, -v8, v5, v4
	s_delay_alu instid0(VALU_DEP_2) | instskip(NEXT) | instid1(VALU_DEP_1)
	v_cmp_ge_f32_e64 s1, 0, v9
	v_cndmask_b32_e64 v5, v5, v6, s1
	s_delay_alu instid0(VALU_DEP_3) | instskip(NEXT) | instid1(VALU_DEP_1)
	v_cmp_lt_f32_e64 s1, 0, v10
	v_cndmask_b32_e64 v5, v5, v8, s1
	s_delay_alu instid0(VALU_DEP_1) | instskip(NEXT) | instid1(VALU_DEP_1)
	v_mul_f32_e32 v6, 0x37800000, v5
	v_cndmask_b32_e32 v5, v5, v6, vcc_lo
	v_cmp_class_f32_e64 vcc_lo, v4, 0x260
	s_delay_alu instid0(VALU_DEP_2) | instskip(NEXT) | instid1(VALU_DEP_1)
	v_dual_cndmask_b32 v5, v5, v4 :: v_dual_and_b32 v4, 0x7fffffff, v11
	v_add_f32_e32 v6, v5, v5
	v_bfi_b32 v5, 0x7fffffff, v5, v11
	s_delay_alu instid0(VALU_DEP_2) | instskip(NEXT) | instid1(VALU_DEP_1)
	v_div_scale_f32 v8, null, v6, v6, v4
	v_rcp_f32_e32 v9, v8
	s_waitcnt_depctr 0xfff
	v_fma_f32 v10, -v8, v9, 1.0
	s_delay_alu instid0(VALU_DEP_1) | instskip(SKIP_1) | instid1(VALU_DEP_1)
	v_fmac_f32_e32 v9, v10, v9
	v_div_scale_f32 v4, vcc_lo, v4, v6, v4
	v_mul_f32_e32 v10, v4, v9
	s_delay_alu instid0(VALU_DEP_1) | instskip(NEXT) | instid1(VALU_DEP_1)
	v_fma_f32 v14, -v8, v10, v4
	v_fmac_f32_e32 v10, v14, v9
	s_delay_alu instid0(VALU_DEP_1) | instskip(NEXT) | instid1(VALU_DEP_1)
	v_fma_f32 v4, -v8, v10, v4
	v_div_fmas_f32 v4, v4, v9, v10
	s_delay_alu instid0(VALU_DEP_1)
	v_div_fixup_f32 v4, v4, v6, |v11|
.LBB229_105:
	s_or_b32 exec_lo, exec_lo, s15
                                        ; implicit-def: $vgpr11
	s_and_saveexec_b32 s1, s0
	s_delay_alu instid0(SALU_CYCLE_1)
	s_xor_b32 s0, exec_lo, s1
	s_cbranch_execz .LBB229_107
; %bb.106:
	v_mul_f32_e32 v6, 0.5, v4
	v_mul_f32_e32 v8, 0.5, v5
	s_delay_alu instid0(VALU_DEP_2) | instskip(NEXT) | instid1(VALU_DEP_2)
	v_cndmask_b32_e64 v10, v4, v6, s14
	v_cndmask_b32_e64 v11, v5, v8, s14
                                        ; implicit-def: $vgpr4
                                        ; implicit-def: $vgpr5
	s_and_not1_saveexec_b32 s0, s0
	s_cbranch_execnz .LBB229_108
	s_branch .LBB229_109
.LBB229_107:
	s_and_not1_saveexec_b32 s0, s0
.LBB229_108:
	v_dual_add_f32 v10, v4, v4 :: v_dual_add_f32 v11, v5, v5
.LBB229_109:
	s_or_b32 exec_lo, exec_lo, s0
.LBB229_110:
	s_and_not1_saveexec_b32 s0, s13
	s_cbranch_execz .LBB229_116
; %bb.111:
	s_delay_alu instid0(VALU_DEP_1)
	v_sub_f32_e32 v4, v11, v11
	s_mov_b32 s1, exec_lo
	v_cmpx_lt_i32_e32 -1, v10
	s_xor_b32 s1, exec_lo, s1
; %bb.112:
	s_delay_alu instid0(VALU_DEP_2)
	v_bfi_b32 v11, 0x7fffffff, v4, v11
                                        ; implicit-def: $vgpr4
; %bb.113:
	s_and_not1_saveexec_b32 s1, s1
; %bb.114:
	v_and_b32_e32 v4, 0x7fffffff, v4
	s_delay_alu instid0(VALU_DEP_2) | instskip(NEXT) | instid1(VALU_DEP_2)
	v_bfi_b32 v11, 0x7fffffff, v10, v11
	v_mov_b32_e32 v10, v4
; %bb.115:
	s_or_b32 exec_lo, exec_lo, s1
.LBB229_116:
	s_delay_alu instid0(SALU_CYCLE_1)
	s_or_b32 exec_lo, exec_lo, s0
.LBB229_117:
	s_and_not1_saveexec_b32 s0, s12
; %bb.118:
	v_sub_f32_e32 v4, v11, v11
	s_delay_alu instid0(VALU_DEP_1) | instskip(NEXT) | instid1(VALU_DEP_1)
	v_div_scale_f32 v5, vcc_lo, v4, v4, v4
	v_rcp_f32_e32 v6, v5
	s_waitcnt_depctr 0xfff
	v_fma_f32 v8, -v5, v6, 1.0
	s_delay_alu instid0(VALU_DEP_1) | instskip(NEXT) | instid1(VALU_DEP_1)
	v_fmac_f32_e32 v6, v8, v6
	v_mul_f32_e32 v8, v5, v6
	s_delay_alu instid0(VALU_DEP_1) | instskip(NEXT) | instid1(VALU_DEP_1)
	v_fma_f32 v9, -v5, v8, v5
	v_fmac_f32_e32 v8, v9, v6
	s_delay_alu instid0(VALU_DEP_1) | instskip(NEXT) | instid1(VALU_DEP_1)
	v_fma_f32 v5, -v5, v8, v5
	v_div_fmas_f32 v5, v5, v6, v8
	s_delay_alu instid0(VALU_DEP_1)
	v_div_fixup_f32 v11, v5, v4, v4
; %bb.119:
	s_or_b32 exec_lo, exec_lo, s0
	v_mov_b32_e32 v14, v10
.LBB229_120:
	s_or_b32 exec_lo, exec_lo, s11
.LBB229_121:
	s_delay_alu instid0(SALU_CYCLE_1) | instskip(SKIP_3) | instid1(VALU_DEP_1)
	s_or_b32 exec_lo, exec_lo, s9
	s_add_u32 s2, s4, s2
	s_addc_u32 s3, s5, s3
	v_add_co_u32 v5, s0, s2, v16
	v_add_co_ci_u32_e64 v6, null, s3, 0, s0
	v_mov_b32_e32 v4, v7
	s_delay_alu instid0(VALU_DEP_3) | instskip(SKIP_1) | instid1(VALU_DEP_4)
	v_add_co_u32 v5, vcc_lo, 0x1000, v5
	v_mov_b32_e32 v15, v11
	v_add_co_ci_u32_e32 v6, vcc_lo, 0, v6, vcc_lo
	s_mov_b32 s0, 0
	s_clause 0x1
	global_store_b128 v16, v[1:4], s[2:3]
	global_store_b128 v[5:6], v[12:15], off
.LBB229_122:
	s_and_b32 vcc_lo, exec_lo, s0
	s_cbranch_vccz .LBB229_267
; %bb.123:
	v_cmp_gt_i32_e64 s0, s10, v0
	v_dual_mov_b32 v11, 0 :: v_dual_mov_b32 v12, 0
	v_or_b32_e32 v1, s8, v0
	v_or_b32_e32 v14, 0x100, v0
	v_dual_mov_b32 v13, 0 :: v_dual_mov_b32 v4, v0
	s_and_saveexec_b32 s1, s0
	s_cbranch_execz .LBB229_125
; %bb.124:
	v_mov_b32_e32 v2, 0
	v_or_b32_e32 v4, 0x100, v0
	s_delay_alu instid0(VALU_DEP_2) | instskip(NEXT) | instid1(VALU_DEP_1)
	v_lshlrev_b64 v[2:3], 3, v[1:2]
	v_add_co_u32 v2, vcc_lo, s6, v2
	s_delay_alu instid0(VALU_DEP_2)
	v_add_co_ci_u32_e32 v3, vcc_lo, s7, v3, vcc_lo
	global_load_b64 v[12:13], v[2:3], off
.LBB229_125:
	s_or_b32 exec_lo, exec_lo, s1
	v_mov_b32_e32 v10, 0
	s_mov_b32 s1, exec_lo
	v_cmpx_gt_i32_e64 s10, v4
	s_cbranch_execz .LBB229_127
; %bb.126:
	v_dual_mov_b32 v3, 0 :: v_dual_add_nc_u32 v2, s8, v4
	v_add_nc_u32_e32 v4, 0x100, v4
	s_delay_alu instid0(VALU_DEP_2) | instskip(NEXT) | instid1(VALU_DEP_1)
	v_lshlrev_b64 v[2:3], 3, v[2:3]
	v_add_co_u32 v2, vcc_lo, s6, v2
	s_delay_alu instid0(VALU_DEP_2)
	v_add_co_ci_u32_e32 v3, vcc_lo, s7, v3, vcc_lo
	global_load_b64 v[10:11], v[2:3], off
.LBB229_127:
	s_or_b32 exec_lo, exec_lo, s1
	v_dual_mov_b32 v3, 0 :: v_dual_mov_b32 v8, 0
	v_mov_b32_e32 v9, 0
	s_mov_b32 s1, exec_lo
	v_cmpx_gt_i32_e64 s10, v4
	s_cbranch_execz .LBB229_129
; %bb.128:
	v_dual_mov_b32 v6, 0 :: v_dual_add_nc_u32 v5, s8, v4
	v_add_nc_u32_e32 v4, 0x100, v4
	s_delay_alu instid0(VALU_DEP_2) | instskip(NEXT) | instid1(VALU_DEP_1)
	v_lshlrev_b64 v[5:6], 3, v[5:6]
	v_add_co_u32 v5, vcc_lo, s6, v5
	s_delay_alu instid0(VALU_DEP_2)
	v_add_co_ci_u32_e32 v6, vcc_lo, s7, v6, vcc_lo
	global_load_b64 v[8:9], v[5:6], off
.LBB229_129:
	s_or_b32 exec_lo, exec_lo, s1
	v_mov_b32_e32 v2, 0
	s_mov_b32 s1, exec_lo
	v_cmpx_gt_i32_e64 s10, v4
	s_cbranch_execz .LBB229_131
; %bb.130:
	v_dual_mov_b32 v3, 0 :: v_dual_add_nc_u32 v2, s8, v4
	s_delay_alu instid0(VALU_DEP_1) | instskip(NEXT) | instid1(VALU_DEP_1)
	v_lshlrev_b64 v[2:3], 3, v[2:3]
	v_add_co_u32 v2, vcc_lo, s6, v2
	s_delay_alu instid0(VALU_DEP_2)
	v_add_co_ci_u32_e32 v3, vcc_lo, s7, v3, vcc_lo
	global_load_b64 v[2:3], v[2:3], off
.LBB229_131:
	s_or_b32 exec_lo, exec_lo, s1
	v_dual_mov_b32 v5, 0 :: v_dual_mov_b32 v6, 0
	v_mov_b32_e32 v7, 0
	s_and_saveexec_b32 s3, s0
	s_cbranch_execz .LBB229_163
; %bb.132:
	s_waitcnt vmcnt(0)
	v_cmp_neq_f32_e32 vcc_lo, 0, v12
	v_cmp_neq_f32_e64 s1, 0, v13
	v_mov_b32_e32 v6, 0
	s_delay_alu instid0(VALU_DEP_2) | instskip(NEXT) | instid1(SALU_CYCLE_1)
	s_or_b32 s1, vcc_lo, s1
	s_and_saveexec_b32 s6, s1
	s_cbranch_execz .LBB229_162
; %bb.133:
	v_mov_b32_e32 v6, 0x7f800000
	s_mov_b32 s7, exec_lo
	v_cmpx_neq_f32_e64 0x7f800000, |v13|
	s_cbranch_execz .LBB229_161
; %bb.134:
	s_mov_b32 s1, exec_lo
	v_cmpx_o_f32_e32 v12, v12
	s_xor_b32 s9, exec_lo, s1
	s_cbranch_execz .LBB229_158
; %bb.135:
	s_mov_b32 s2, exec_lo
	v_cmpx_neq_f32_e64 0x7f800000, |v12|
	s_xor_b32 s11, exec_lo, s2
	s_cbranch_execz .LBB229_151
; %bb.136:
	v_max_f32_e64 v4, |v12|, |v12|
	v_max_f32_e64 v6, |v13|, |v13|
                                        ; implicit-def: $sgpr12
	s_delay_alu instid0(VALU_DEP_1) | instskip(NEXT) | instid1(VALU_DEP_1)
	v_max_f32_e32 v4, v6, v4
	v_cmp_nle_f32_e64 s1, 0x7ed413cb, v4
	s_delay_alu instid0(VALU_DEP_1) | instskip(NEXT) | instid1(SALU_CYCLE_1)
	s_and_saveexec_b32 s2, s1
	s_xor_b32 s2, exec_lo, s2
	s_cbranch_execz .LBB229_140
; %bb.137:
	v_cmp_ge_f32_e64 s12, 0x1000000, |v12|
	v_cmp_ge_f32_e64 s13, 0x1000000, |v13|
	s_delay_alu instid0(VALU_DEP_1)
	s_and_b32 s14, s13, s12
	s_mov_b32 s12, 0
	s_and_saveexec_b32 s13, s14
; %bb.138:
	v_dual_mul_f32 v13, 4.0, v13 :: v_dual_mul_f32 v12, 4.0, v12
	s_mov_b32 s12, exec_lo
; %bb.139:
	s_or_b32 exec_lo, exec_lo, s13
	s_delay_alu instid0(SALU_CYCLE_1)
	s_and_b32 s12, s12, exec_lo
.LBB229_140:
	s_and_not1_saveexec_b32 s2, s2
; %bb.141:
	v_dual_mul_f32 v12, 0x3e800000, v12 :: v_dual_mul_f32 v13, 0x3e800000, v13
	s_and_not1_b32 s12, s12, exec_lo
; %bb.142:
	s_or_b32 exec_lo, exec_lo, s2
	s_delay_alu instid0(VALU_DEP_1) | instskip(NEXT) | instid1(VALU_DEP_2)
	v_max_f32_e64 v4, |v13|, |v13|
	v_max_f32_e64 v6, |v12|, |v12|
	s_delay_alu instid0(VALU_DEP_1) | instskip(NEXT) | instid1(VALU_DEP_1)
	v_max_f32_e32 v4, v6, v4
	v_cvt_f64_f32_e32 v[6:7], v4
	s_delay_alu instid0(VALU_DEP_1) | instskip(NEXT) | instid1(VALU_DEP_1)
	v_frexp_exp_i32_f64_e32 v6, v[6:7]
	v_sub_nc_u32_e32 v7, 0, v6
	s_delay_alu instid0(VALU_DEP_1) | instskip(SKIP_1) | instid1(VALU_DEP_2)
	v_ldexp_f32 v15, |v13|, v7
	v_ldexp_f32 v7, |v12|, v7
	v_mul_f32_e32 v15, v15, v15
	v_cmp_neq_f32_e64 s2, 0x7f800000, v4
                                        ; implicit-def: $vgpr4
	s_delay_alu instid0(VALU_DEP_2) | instskip(NEXT) | instid1(VALU_DEP_1)
	v_fmac_f32_e32 v15, v7, v7
	v_sqrt_f32_e32 v7, v15
	s_waitcnt_depctr 0xfff
	v_ldexp_f32 v6, v7, v6
	s_delay_alu instid0(VALU_DEP_1)
	v_cndmask_b32_e64 v7, 0x7f800000, v6, s2
                                        ; implicit-def: $vgpr6
	s_mov_b32 s2, exec_lo
	v_cmpx_le_f32_e32 0, v12
	s_xor_b32 s13, exec_lo, s2
	s_cbranch_execz .LBB229_144
; %bb.143:
	v_add_f32_e32 v4, v12, v7
	s_delay_alu instid0(VALU_DEP_1) | instskip(NEXT) | instid1(VALU_DEP_1)
	v_mul_f32_e32 v4, 0.5, v4
	v_mul_f32_e32 v6, 0x4f800000, v4
	v_cmp_gt_f32_e32 vcc_lo, 0xf800000, v4
	s_delay_alu instid0(VALU_DEP_2) | instskip(NEXT) | instid1(VALU_DEP_1)
	v_cndmask_b32_e32 v4, v4, v6, vcc_lo
	v_sqrt_f32_e32 v6, v4
	s_waitcnt_depctr 0xfff
	v_add_nc_u32_e32 v7, -1, v6
	v_add_nc_u32_e32 v12, 1, v6
	s_delay_alu instid0(VALU_DEP_2) | instskip(NEXT) | instid1(VALU_DEP_2)
	v_fma_f32 v15, -v7, v6, v4
	v_fma_f32 v16, -v12, v6, v4
	s_delay_alu instid0(VALU_DEP_2) | instskip(NEXT) | instid1(VALU_DEP_1)
	v_cmp_ge_f32_e64 s2, 0, v15
	v_cndmask_b32_e64 v6, v6, v7, s2
	s_delay_alu instid0(VALU_DEP_3) | instskip(NEXT) | instid1(VALU_DEP_1)
	v_cmp_lt_f32_e64 s2, 0, v16
	v_cndmask_b32_e64 v6, v6, v12, s2
	s_delay_alu instid0(VALU_DEP_1) | instskip(NEXT) | instid1(VALU_DEP_1)
	v_mul_f32_e32 v7, 0x37800000, v6
	v_cndmask_b32_e32 v6, v6, v7, vcc_lo
	v_cmp_class_f32_e64 vcc_lo, v4, 0x260
	s_delay_alu instid0(VALU_DEP_2) | instskip(NEXT) | instid1(VALU_DEP_1)
	v_cndmask_b32_e32 v4, v6, v4, vcc_lo
	v_add_f32_e32 v6, v4, v4
	s_delay_alu instid0(VALU_DEP_1) | instskip(NEXT) | instid1(VALU_DEP_1)
	v_div_scale_f32 v7, null, v6, v6, v13
	v_rcp_f32_e32 v12, v7
	s_waitcnt_depctr 0xfff
	v_fma_f32 v15, -v7, v12, 1.0
	s_delay_alu instid0(VALU_DEP_1) | instskip(SKIP_1) | instid1(VALU_DEP_1)
	v_fmac_f32_e32 v12, v15, v12
	v_div_scale_f32 v15, vcc_lo, v13, v6, v13
	v_mul_f32_e32 v16, v15, v12
	s_delay_alu instid0(VALU_DEP_1) | instskip(NEXT) | instid1(VALU_DEP_1)
	v_fma_f32 v17, -v7, v16, v15
	v_fmac_f32_e32 v16, v17, v12
	s_delay_alu instid0(VALU_DEP_1) | instskip(NEXT) | instid1(VALU_DEP_1)
	v_fma_f32 v7, -v7, v16, v15
	v_div_fmas_f32 v7, v7, v12, v16
                                        ; implicit-def: $vgpr12
	s_delay_alu instid0(VALU_DEP_1)
	v_div_fixup_f32 v6, v7, v6, v13
                                        ; implicit-def: $vgpr7
	s_and_not1_saveexec_b32 s13, s13
	s_cbranch_execz .LBB229_146
	s_branch .LBB229_145
.LBB229_144:
	s_and_not1_saveexec_b32 s13, s13
	s_cbranch_execz .LBB229_146
.LBB229_145:
	v_sub_f32_e32 v4, v7, v12
	s_delay_alu instid0(VALU_DEP_1) | instskip(NEXT) | instid1(VALU_DEP_1)
	v_mul_f32_e32 v4, 0.5, v4
	v_mul_f32_e32 v6, 0x4f800000, v4
	v_cmp_gt_f32_e32 vcc_lo, 0xf800000, v4
	s_delay_alu instid0(VALU_DEP_2) | instskip(NEXT) | instid1(VALU_DEP_1)
	v_cndmask_b32_e32 v4, v4, v6, vcc_lo
	v_sqrt_f32_e32 v6, v4
	s_waitcnt_depctr 0xfff
	v_add_nc_u32_e32 v7, -1, v6
	v_add_nc_u32_e32 v12, 1, v6
	s_delay_alu instid0(VALU_DEP_2) | instskip(NEXT) | instid1(VALU_DEP_2)
	v_fma_f32 v15, -v7, v6, v4
	v_fma_f32 v16, -v12, v6, v4
	s_delay_alu instid0(VALU_DEP_2) | instskip(NEXT) | instid1(VALU_DEP_1)
	v_cmp_ge_f32_e64 s2, 0, v15
	v_cndmask_b32_e64 v6, v6, v7, s2
	s_delay_alu instid0(VALU_DEP_3) | instskip(NEXT) | instid1(VALU_DEP_1)
	v_cmp_lt_f32_e64 s2, 0, v16
	v_cndmask_b32_e64 v6, v6, v12, s2
	s_delay_alu instid0(VALU_DEP_1) | instskip(NEXT) | instid1(VALU_DEP_1)
	v_mul_f32_e32 v7, 0x37800000, v6
	v_cndmask_b32_e32 v6, v6, v7, vcc_lo
	v_cmp_class_f32_e64 vcc_lo, v4, 0x260
	s_delay_alu instid0(VALU_DEP_2) | instskip(NEXT) | instid1(VALU_DEP_1)
	v_cndmask_b32_e32 v6, v6, v4, vcc_lo
	v_dual_add_f32 v7, v6, v6 :: v_dual_and_b32 v4, 0x7fffffff, v13
	v_bfi_b32 v6, 0x7fffffff, v6, v13
	s_delay_alu instid0(VALU_DEP_2) | instskip(SKIP_1) | instid1(VALU_DEP_2)
	v_div_scale_f32 v12, null, v7, v7, v4
	v_div_scale_f32 v4, vcc_lo, v4, v7, v4
	v_rcp_f32_e32 v15, v12
	s_waitcnt_depctr 0xfff
	v_fma_f32 v16, -v12, v15, 1.0
	s_delay_alu instid0(VALU_DEP_1) | instskip(NEXT) | instid1(VALU_DEP_1)
	v_fmac_f32_e32 v15, v16, v15
	v_mul_f32_e32 v16, v4, v15
	s_delay_alu instid0(VALU_DEP_1) | instskip(NEXT) | instid1(VALU_DEP_1)
	v_fma_f32 v17, -v12, v16, v4
	v_fmac_f32_e32 v16, v17, v15
	s_delay_alu instid0(VALU_DEP_1) | instskip(NEXT) | instid1(VALU_DEP_1)
	v_fma_f32 v4, -v12, v16, v4
	v_div_fmas_f32 v4, v4, v15, v16
	s_delay_alu instid0(VALU_DEP_1)
	v_div_fixup_f32 v4, v4, v7, |v13|
.LBB229_146:
	s_or_b32 exec_lo, exec_lo, s13
                                        ; implicit-def: $vgpr12
	s_and_saveexec_b32 s2, s1
	s_delay_alu instid0(SALU_CYCLE_1)
	s_xor_b32 s1, exec_lo, s2
	s_cbranch_execz .LBB229_148
; %bb.147:
	v_mul_f32_e32 v7, 0.5, v4
	v_mul_f32_e32 v13, 0.5, v6
	s_delay_alu instid0(VALU_DEP_2) | instskip(NEXT) | instid1(VALU_DEP_2)
	v_cndmask_b32_e64 v12, v4, v7, s12
	v_cndmask_b32_e64 v13, v6, v13, s12
                                        ; implicit-def: $vgpr4
                                        ; implicit-def: $vgpr6
	s_and_not1_saveexec_b32 s1, s1
	s_cbranch_execnz .LBB229_149
	s_branch .LBB229_150
.LBB229_148:
	s_and_not1_saveexec_b32 s1, s1
.LBB229_149:
	v_dual_add_f32 v12, v4, v4 :: v_dual_add_f32 v13, v6, v6
.LBB229_150:
	s_or_b32 exec_lo, exec_lo, s1
.LBB229_151:
	s_and_not1_saveexec_b32 s1, s11
	s_cbranch_execz .LBB229_157
; %bb.152:
	s_delay_alu instid0(VALU_DEP_1)
	v_sub_f32_e32 v4, v13, v13
	s_mov_b32 s2, exec_lo
	v_cmpx_lt_i32_e32 -1, v12
	s_xor_b32 s2, exec_lo, s2
; %bb.153:
	s_delay_alu instid0(VALU_DEP_2)
	v_bfi_b32 v13, 0x7fffffff, v4, v13
                                        ; implicit-def: $vgpr4
; %bb.154:
	s_and_not1_saveexec_b32 s2, s2
; %bb.155:
	v_and_b32_e32 v4, 0x7fffffff, v4
	s_delay_alu instid0(VALU_DEP_2) | instskip(NEXT) | instid1(VALU_DEP_2)
	v_bfi_b32 v13, 0x7fffffff, v12, v13
	v_mov_b32_e32 v12, v4
; %bb.156:
	s_or_b32 exec_lo, exec_lo, s2
.LBB229_157:
	s_delay_alu instid0(SALU_CYCLE_1)
	s_or_b32 exec_lo, exec_lo, s1
.LBB229_158:
	s_and_not1_saveexec_b32 s1, s9
; %bb.159:
	v_sub_f32_e32 v4, v13, v13
	s_delay_alu instid0(VALU_DEP_1) | instskip(NEXT) | instid1(VALU_DEP_1)
	v_div_scale_f32 v6, vcc_lo, v4, v4, v4
	v_rcp_f32_e32 v7, v6
	s_waitcnt_depctr 0xfff
	v_fma_f32 v13, -v6, v7, 1.0
	s_delay_alu instid0(VALU_DEP_1) | instskip(NEXT) | instid1(VALU_DEP_1)
	v_fmac_f32_e32 v7, v13, v7
	v_mul_f32_e32 v13, v6, v7
	s_delay_alu instid0(VALU_DEP_1) | instskip(NEXT) | instid1(VALU_DEP_1)
	v_fma_f32 v15, -v6, v13, v6
	v_fmac_f32_e32 v13, v15, v7
	s_delay_alu instid0(VALU_DEP_1) | instskip(NEXT) | instid1(VALU_DEP_1)
	v_fma_f32 v6, -v6, v13, v6
	v_div_fmas_f32 v6, v6, v7, v13
	s_delay_alu instid0(VALU_DEP_1)
	v_div_fixup_f32 v13, v6, v4, v4
; %bb.160:
	s_or_b32 exec_lo, exec_lo, s1
	v_mov_b32_e32 v6, v12
.LBB229_161:
	s_or_b32 exec_lo, exec_lo, s7
.LBB229_162:
	s_delay_alu instid0(SALU_CYCLE_1)
	s_or_b32 exec_lo, exec_lo, s6
	v_mov_b32_e32 v7, v13
.LBB229_163:
	s_or_b32 exec_lo, exec_lo, s3
	v_mov_b32_e32 v4, 0
	s_mov_b32 s3, exec_lo
	v_cmpx_gt_i32_e64 s10, v14
	s_cbranch_execz .LBB229_195
; %bb.164:
	s_waitcnt vmcnt(0)
	v_cmp_neq_f32_e32 vcc_lo, 0, v10
	v_cmp_neq_f32_e64 s1, 0, v11
	v_mov_b32_e32 v4, 0
	s_delay_alu instid0(VALU_DEP_2) | instskip(NEXT) | instid1(SALU_CYCLE_1)
	s_or_b32 s1, vcc_lo, s1
	s_and_saveexec_b32 s6, s1
	s_cbranch_execz .LBB229_194
; %bb.165:
	v_mov_b32_e32 v4, 0x7f800000
	s_mov_b32 s7, exec_lo
	v_cmpx_neq_f32_e64 0x7f800000, |v11|
	s_cbranch_execz .LBB229_193
; %bb.166:
	s_mov_b32 s1, exec_lo
	v_cmpx_o_f32_e32 v10, v10
	s_xor_b32 s9, exec_lo, s1
	s_cbranch_execz .LBB229_190
; %bb.167:
	s_mov_b32 s2, exec_lo
	v_cmpx_neq_f32_e64 0x7f800000, |v10|
	s_xor_b32 s11, exec_lo, s2
	s_cbranch_execz .LBB229_183
; %bb.168:
	v_max_f32_e64 v4, |v10|, |v10|
	v_max_f32_e64 v5, |v11|, |v11|
                                        ; implicit-def: $sgpr12
	s_delay_alu instid0(VALU_DEP_1) | instskip(NEXT) | instid1(VALU_DEP_1)
	v_max_f32_e32 v4, v5, v4
	v_cmp_nle_f32_e64 s1, 0x7ed413cb, v4
	s_delay_alu instid0(VALU_DEP_1) | instskip(NEXT) | instid1(SALU_CYCLE_1)
	s_and_saveexec_b32 s2, s1
	s_xor_b32 s2, exec_lo, s2
	s_cbranch_execz .LBB229_172
; %bb.169:
	v_cmp_ge_f32_e64 s12, 0x1000000, |v10|
	v_cmp_ge_f32_e64 s13, 0x1000000, |v11|
	s_delay_alu instid0(VALU_DEP_1)
	s_and_b32 s14, s13, s12
	s_mov_b32 s12, 0
	s_and_saveexec_b32 s13, s14
; %bb.170:
	v_dual_mul_f32 v11, 4.0, v11 :: v_dual_mul_f32 v10, 4.0, v10
	s_mov_b32 s12, exec_lo
; %bb.171:
	s_or_b32 exec_lo, exec_lo, s13
	s_delay_alu instid0(SALU_CYCLE_1)
	s_and_b32 s12, s12, exec_lo
.LBB229_172:
	s_and_not1_saveexec_b32 s2, s2
; %bb.173:
	v_dual_mul_f32 v10, 0x3e800000, v10 :: v_dual_mul_f32 v11, 0x3e800000, v11
	s_and_not1_b32 s12, s12, exec_lo
; %bb.174:
	s_or_b32 exec_lo, exec_lo, s2
	s_delay_alu instid0(VALU_DEP_1) | instskip(NEXT) | instid1(VALU_DEP_2)
	v_max_f32_e64 v4, |v11|, |v11|
	v_max_f32_e64 v5, |v10|, |v10|
	s_delay_alu instid0(VALU_DEP_1) | instskip(NEXT) | instid1(VALU_DEP_1)
	v_max_f32_e32 v12, v5, v4
	v_cvt_f64_f32_e32 v[4:5], v12
	v_cmp_neq_f32_e64 s2, 0x7f800000, v12
	s_delay_alu instid0(VALU_DEP_2) | instskip(NEXT) | instid1(VALU_DEP_1)
	v_frexp_exp_i32_f64_e32 v4, v[4:5]
	v_sub_nc_u32_e32 v5, 0, v4
	s_delay_alu instid0(VALU_DEP_1) | instskip(SKIP_1) | instid1(VALU_DEP_2)
	v_ldexp_f32 v13, |v11|, v5
	v_ldexp_f32 v5, |v10|, v5
	v_mul_f32_e32 v13, v13, v13
	s_delay_alu instid0(VALU_DEP_1) | instskip(NEXT) | instid1(VALU_DEP_1)
	v_fmac_f32_e32 v13, v5, v5
	v_sqrt_f32_e32 v5, v13
	s_waitcnt_depctr 0xfff
	v_ldexp_f32 v4, v5, v4
                                        ; implicit-def: $vgpr5
	s_delay_alu instid0(VALU_DEP_1)
	v_cndmask_b32_e64 v12, 0x7f800000, v4, s2
                                        ; implicit-def: $vgpr4
	s_mov_b32 s2, exec_lo
	v_cmpx_le_f32_e32 0, v10
	s_xor_b32 s13, exec_lo, s2
	s_cbranch_execz .LBB229_176
; %bb.175:
	v_add_f32_e32 v4, v10, v12
	s_delay_alu instid0(VALU_DEP_1) | instskip(NEXT) | instid1(VALU_DEP_1)
	v_mul_f32_e32 v4, 0.5, v4
	v_mul_f32_e32 v5, 0x4f800000, v4
	v_cmp_gt_f32_e32 vcc_lo, 0xf800000, v4
	s_delay_alu instid0(VALU_DEP_2) | instskip(NEXT) | instid1(VALU_DEP_1)
	v_cndmask_b32_e32 v4, v4, v5, vcc_lo
	v_sqrt_f32_e32 v5, v4
	s_waitcnt_depctr 0xfff
	v_add_nc_u32_e32 v10, -1, v5
	v_add_nc_u32_e32 v12, 1, v5
	s_delay_alu instid0(VALU_DEP_2) | instskip(NEXT) | instid1(VALU_DEP_2)
	v_fma_f32 v13, -v10, v5, v4
	v_fma_f32 v15, -v12, v5, v4
	s_delay_alu instid0(VALU_DEP_2) | instskip(NEXT) | instid1(VALU_DEP_1)
	v_cmp_ge_f32_e64 s2, 0, v13
	v_cndmask_b32_e64 v5, v5, v10, s2
	s_delay_alu instid0(VALU_DEP_3) | instskip(NEXT) | instid1(VALU_DEP_1)
	v_cmp_lt_f32_e64 s2, 0, v15
	v_cndmask_b32_e64 v5, v5, v12, s2
	s_delay_alu instid0(VALU_DEP_1) | instskip(NEXT) | instid1(VALU_DEP_1)
	v_mul_f32_e32 v10, 0x37800000, v5
	v_cndmask_b32_e32 v5, v5, v10, vcc_lo
	v_cmp_class_f32_e64 vcc_lo, v4, 0x260
	s_delay_alu instid0(VALU_DEP_2) | instskip(NEXT) | instid1(VALU_DEP_1)
	v_cndmask_b32_e32 v4, v5, v4, vcc_lo
	v_add_f32_e32 v5, v4, v4
	s_delay_alu instid0(VALU_DEP_1) | instskip(NEXT) | instid1(VALU_DEP_1)
	v_div_scale_f32 v10, null, v5, v5, v11
	v_rcp_f32_e32 v12, v10
	s_waitcnt_depctr 0xfff
	v_fma_f32 v13, -v10, v12, 1.0
	s_delay_alu instid0(VALU_DEP_1) | instskip(SKIP_1) | instid1(VALU_DEP_1)
	v_fmac_f32_e32 v12, v13, v12
	v_div_scale_f32 v13, vcc_lo, v11, v5, v11
	v_mul_f32_e32 v15, v13, v12
	s_delay_alu instid0(VALU_DEP_1) | instskip(NEXT) | instid1(VALU_DEP_1)
	v_fma_f32 v16, -v10, v15, v13
	v_fmac_f32_e32 v15, v16, v12
	s_delay_alu instid0(VALU_DEP_1) | instskip(NEXT) | instid1(VALU_DEP_1)
	v_fma_f32 v10, -v10, v15, v13
	v_div_fmas_f32 v10, v10, v12, v15
                                        ; implicit-def: $vgpr12
	s_delay_alu instid0(VALU_DEP_1)
	v_div_fixup_f32 v5, v10, v5, v11
                                        ; implicit-def: $vgpr10
	s_and_not1_saveexec_b32 s13, s13
	s_cbranch_execz .LBB229_178
	s_branch .LBB229_177
.LBB229_176:
	s_and_not1_saveexec_b32 s13, s13
	s_cbranch_execz .LBB229_178
.LBB229_177:
	v_sub_f32_e32 v4, v12, v10
	s_delay_alu instid0(VALU_DEP_1) | instskip(NEXT) | instid1(VALU_DEP_1)
	v_mul_f32_e32 v4, 0.5, v4
	v_mul_f32_e32 v5, 0x4f800000, v4
	v_cmp_gt_f32_e32 vcc_lo, 0xf800000, v4
	s_delay_alu instid0(VALU_DEP_2) | instskip(NEXT) | instid1(VALU_DEP_1)
	v_cndmask_b32_e32 v4, v4, v5, vcc_lo
	v_sqrt_f32_e32 v5, v4
	s_waitcnt_depctr 0xfff
	v_add_nc_u32_e32 v10, -1, v5
	v_add_nc_u32_e32 v12, 1, v5
	s_delay_alu instid0(VALU_DEP_2) | instskip(NEXT) | instid1(VALU_DEP_2)
	v_fma_f32 v13, -v10, v5, v4
	v_fma_f32 v15, -v12, v5, v4
	s_delay_alu instid0(VALU_DEP_2) | instskip(NEXT) | instid1(VALU_DEP_1)
	v_cmp_ge_f32_e64 s2, 0, v13
	v_cndmask_b32_e64 v5, v5, v10, s2
	s_delay_alu instid0(VALU_DEP_3) | instskip(NEXT) | instid1(VALU_DEP_1)
	v_cmp_lt_f32_e64 s2, 0, v15
	v_cndmask_b32_e64 v5, v5, v12, s2
	s_delay_alu instid0(VALU_DEP_1) | instskip(NEXT) | instid1(VALU_DEP_1)
	v_mul_f32_e32 v10, 0x37800000, v5
	v_cndmask_b32_e32 v5, v5, v10, vcc_lo
	v_cmp_class_f32_e64 vcc_lo, v4, 0x260
	s_delay_alu instid0(VALU_DEP_2) | instskip(NEXT) | instid1(VALU_DEP_1)
	v_dual_cndmask_b32 v5, v5, v4 :: v_dual_and_b32 v4, 0x7fffffff, v11
	v_add_f32_e32 v10, v5, v5
	v_bfi_b32 v5, 0x7fffffff, v5, v11
	s_delay_alu instid0(VALU_DEP_2) | instskip(SKIP_1) | instid1(VALU_DEP_2)
	v_div_scale_f32 v12, null, v10, v10, v4
	v_div_scale_f32 v4, vcc_lo, v4, v10, v4
	v_rcp_f32_e32 v13, v12
	s_waitcnt_depctr 0xfff
	v_fma_f32 v15, -v12, v13, 1.0
	s_delay_alu instid0(VALU_DEP_1) | instskip(NEXT) | instid1(VALU_DEP_1)
	v_fmac_f32_e32 v13, v15, v13
	v_mul_f32_e32 v15, v4, v13
	s_delay_alu instid0(VALU_DEP_1) | instskip(NEXT) | instid1(VALU_DEP_1)
	v_fma_f32 v16, -v12, v15, v4
	v_fmac_f32_e32 v15, v16, v13
	s_delay_alu instid0(VALU_DEP_1) | instskip(NEXT) | instid1(VALU_DEP_1)
	v_fma_f32 v4, -v12, v15, v4
	v_div_fmas_f32 v4, v4, v13, v15
	s_delay_alu instid0(VALU_DEP_1)
	v_div_fixup_f32 v4, v4, v10, |v11|
.LBB229_178:
	s_or_b32 exec_lo, exec_lo, s13
                                        ; implicit-def: $vgpr10
	s_and_saveexec_b32 s2, s1
	s_delay_alu instid0(SALU_CYCLE_1)
	s_xor_b32 s1, exec_lo, s2
	s_cbranch_execz .LBB229_180
; %bb.179:
	v_dual_mul_f32 v10, 0.5, v4 :: v_dual_mul_f32 v11, 0.5, v5
	s_delay_alu instid0(VALU_DEP_1) | instskip(NEXT) | instid1(VALU_DEP_2)
	v_cndmask_b32_e64 v10, v4, v10, s12
	v_cndmask_b32_e64 v11, v5, v11, s12
                                        ; implicit-def: $vgpr4
                                        ; implicit-def: $vgpr5
	s_and_not1_saveexec_b32 s1, s1
	s_cbranch_execnz .LBB229_181
	s_branch .LBB229_182
.LBB229_180:
	s_and_not1_saveexec_b32 s1, s1
.LBB229_181:
	v_dual_add_f32 v10, v4, v4 :: v_dual_add_f32 v11, v5, v5
.LBB229_182:
	s_or_b32 exec_lo, exec_lo, s1
.LBB229_183:
	s_and_not1_saveexec_b32 s1, s11
	s_cbranch_execz .LBB229_189
; %bb.184:
	s_delay_alu instid0(VALU_DEP_1)
	v_sub_f32_e32 v4, v11, v11
	s_mov_b32 s2, exec_lo
	v_cmpx_lt_i32_e32 -1, v10
	s_xor_b32 s2, exec_lo, s2
; %bb.185:
	s_delay_alu instid0(VALU_DEP_2)
	v_bfi_b32 v11, 0x7fffffff, v4, v11
                                        ; implicit-def: $vgpr4
; %bb.186:
	s_and_not1_saveexec_b32 s2, s2
; %bb.187:
	v_and_b32_e32 v4, 0x7fffffff, v4
	s_delay_alu instid0(VALU_DEP_2) | instskip(NEXT) | instid1(VALU_DEP_2)
	v_bfi_b32 v11, 0x7fffffff, v10, v11
	v_mov_b32_e32 v10, v4
; %bb.188:
	s_or_b32 exec_lo, exec_lo, s2
.LBB229_189:
	s_delay_alu instid0(SALU_CYCLE_1)
	s_or_b32 exec_lo, exec_lo, s1
.LBB229_190:
	s_and_not1_saveexec_b32 s1, s9
; %bb.191:
	v_sub_f32_e32 v4, v11, v11
	s_delay_alu instid0(VALU_DEP_1) | instskip(NEXT) | instid1(VALU_DEP_1)
	v_div_scale_f32 v5, vcc_lo, v4, v4, v4
	v_rcp_f32_e32 v11, v5
	s_waitcnt_depctr 0xfff
	v_fma_f32 v12, -v5, v11, 1.0
	s_delay_alu instid0(VALU_DEP_1) | instskip(NEXT) | instid1(VALU_DEP_1)
	v_fmac_f32_e32 v11, v12, v11
	v_mul_f32_e32 v12, v5, v11
	s_delay_alu instid0(VALU_DEP_1) | instskip(NEXT) | instid1(VALU_DEP_1)
	v_fma_f32 v13, -v5, v12, v5
	v_fmac_f32_e32 v12, v13, v11
	s_delay_alu instid0(VALU_DEP_1) | instskip(NEXT) | instid1(VALU_DEP_1)
	v_fma_f32 v5, -v5, v12, v5
	v_div_fmas_f32 v5, v5, v11, v12
	s_delay_alu instid0(VALU_DEP_1)
	v_div_fixup_f32 v11, v5, v4, v4
; %bb.192:
	s_or_b32 exec_lo, exec_lo, s1
	v_mov_b32_e32 v4, v10
.LBB229_193:
	s_or_b32 exec_lo, exec_lo, s7
.LBB229_194:
	s_delay_alu instid0(SALU_CYCLE_1)
	s_or_b32 exec_lo, exec_lo, s6
	v_mov_b32_e32 v5, v11
.LBB229_195:
	s_or_b32 exec_lo, exec_lo, s3
	s_waitcnt vmcnt(0)
	v_or_b32_e32 v11, 0x200, v0
	v_mov_b32_e32 v10, 0
	s_delay_alu instid0(VALU_DEP_2)
	v_cmp_gt_i32_e32 vcc_lo, s10, v11
	v_mov_b32_e32 v11, 0
	s_and_saveexec_b32 s3, vcc_lo
	s_cbranch_execz .LBB229_227
; %bb.196:
	v_cmp_neq_f32_e32 vcc_lo, 0, v8
	v_cmp_neq_f32_e64 s1, 0, v9
	v_mov_b32_e32 v10, 0
	s_delay_alu instid0(VALU_DEP_2) | instskip(NEXT) | instid1(SALU_CYCLE_1)
	s_or_b32 s1, vcc_lo, s1
	s_and_saveexec_b32 s6, s1
	s_cbranch_execz .LBB229_226
; %bb.197:
	v_mov_b32_e32 v10, 0x7f800000
	s_mov_b32 s7, exec_lo
	v_cmpx_neq_f32_e64 0x7f800000, |v9|
	s_cbranch_execz .LBB229_225
; %bb.198:
	s_mov_b32 s1, exec_lo
	v_cmpx_o_f32_e32 v8, v8
	s_xor_b32 s9, exec_lo, s1
	s_cbranch_execz .LBB229_222
; %bb.199:
	s_mov_b32 s2, exec_lo
	v_cmpx_neq_f32_e64 0x7f800000, |v8|
	s_xor_b32 s11, exec_lo, s2
	s_cbranch_execz .LBB229_215
; %bb.200:
	v_max_f32_e64 v10, |v8|, |v8|
	v_max_f32_e64 v11, |v9|, |v9|
                                        ; implicit-def: $sgpr12
	s_delay_alu instid0(VALU_DEP_1) | instskip(NEXT) | instid1(VALU_DEP_1)
	v_max_f32_e32 v10, v11, v10
	v_cmp_nle_f32_e64 s1, 0x7ed413cb, v10
	s_delay_alu instid0(VALU_DEP_1) | instskip(NEXT) | instid1(SALU_CYCLE_1)
	s_and_saveexec_b32 s2, s1
	s_xor_b32 s2, exec_lo, s2
	s_cbranch_execz .LBB229_204
; %bb.201:
	v_cmp_ge_f32_e64 s12, 0x1000000, |v8|
	v_cmp_ge_f32_e64 s13, 0x1000000, |v9|
	s_delay_alu instid0(VALU_DEP_1)
	s_and_b32 s14, s13, s12
	s_mov_b32 s12, 0
	s_and_saveexec_b32 s13, s14
; %bb.202:
	v_dual_mul_f32 v9, 4.0, v9 :: v_dual_mul_f32 v8, 4.0, v8
	s_mov_b32 s12, exec_lo
; %bb.203:
	s_or_b32 exec_lo, exec_lo, s13
	s_delay_alu instid0(SALU_CYCLE_1)
	s_and_b32 s12, s12, exec_lo
.LBB229_204:
	s_and_not1_saveexec_b32 s2, s2
; %bb.205:
	v_dual_mul_f32 v8, 0x3e800000, v8 :: v_dual_mul_f32 v9, 0x3e800000, v9
	s_and_not1_b32 s12, s12, exec_lo
; %bb.206:
	s_or_b32 exec_lo, exec_lo, s2
	s_delay_alu instid0(VALU_DEP_1) | instskip(NEXT) | instid1(VALU_DEP_2)
	v_max_f32_e64 v10, |v9|, |v9|
	v_max_f32_e64 v11, |v8|, |v8|
	s_delay_alu instid0(VALU_DEP_1) | instskip(NEXT) | instid1(VALU_DEP_1)
	v_max_f32_e32 v12, v11, v10
	v_cvt_f64_f32_e32 v[10:11], v12
	s_delay_alu instid0(VALU_DEP_1) | instskip(NEXT) | instid1(VALU_DEP_1)
	v_frexp_exp_i32_f64_e32 v10, v[10:11]
	v_sub_nc_u32_e32 v11, 0, v10
	s_delay_alu instid0(VALU_DEP_1) | instskip(SKIP_1) | instid1(VALU_DEP_2)
	v_ldexp_f32 v13, |v9|, v11
	v_ldexp_f32 v11, |v8|, v11
	v_mul_f32_e32 v13, v13, v13
	v_cmp_neq_f32_e64 s2, 0x7f800000, v12
	s_delay_alu instid0(VALU_DEP_2) | instskip(NEXT) | instid1(VALU_DEP_1)
	v_fmac_f32_e32 v13, v11, v11
	v_sqrt_f32_e32 v11, v13
	s_waitcnt_depctr 0xfff
	v_ldexp_f32 v10, v11, v10
                                        ; implicit-def: $vgpr11
	s_delay_alu instid0(VALU_DEP_1)
	v_cndmask_b32_e64 v12, 0x7f800000, v10, s2
                                        ; implicit-def: $vgpr10
	s_mov_b32 s2, exec_lo
	v_cmpx_le_f32_e32 0, v8
	s_xor_b32 s13, exec_lo, s2
	s_cbranch_execz .LBB229_208
; %bb.207:
	v_add_f32_e32 v8, v8, v12
	s_delay_alu instid0(VALU_DEP_1) | instskip(NEXT) | instid1(VALU_DEP_1)
	v_mul_f32_e32 v8, 0.5, v8
	v_mul_f32_e32 v10, 0x4f800000, v8
	v_cmp_gt_f32_e32 vcc_lo, 0xf800000, v8
	s_delay_alu instid0(VALU_DEP_2) | instskip(NEXT) | instid1(VALU_DEP_1)
	v_cndmask_b32_e32 v8, v8, v10, vcc_lo
	v_sqrt_f32_e32 v10, v8
	s_waitcnt_depctr 0xfff
	v_add_nc_u32_e32 v11, -1, v10
	v_add_nc_u32_e32 v12, 1, v10
	s_delay_alu instid0(VALU_DEP_2) | instskip(NEXT) | instid1(VALU_DEP_2)
	v_fma_f32 v13, -v11, v10, v8
	v_fma_f32 v15, -v12, v10, v8
	s_delay_alu instid0(VALU_DEP_2) | instskip(NEXT) | instid1(VALU_DEP_1)
	v_cmp_ge_f32_e64 s2, 0, v13
	v_cndmask_b32_e64 v10, v10, v11, s2
	s_delay_alu instid0(VALU_DEP_3) | instskip(NEXT) | instid1(VALU_DEP_1)
	v_cmp_lt_f32_e64 s2, 0, v15
	v_cndmask_b32_e64 v10, v10, v12, s2
	s_delay_alu instid0(VALU_DEP_1) | instskip(NEXT) | instid1(VALU_DEP_1)
	v_mul_f32_e32 v11, 0x37800000, v10
	v_cndmask_b32_e32 v10, v10, v11, vcc_lo
	v_cmp_class_f32_e64 vcc_lo, v8, 0x260
	s_delay_alu instid0(VALU_DEP_2) | instskip(NEXT) | instid1(VALU_DEP_1)
	v_cndmask_b32_e32 v10, v10, v8, vcc_lo
	v_add_f32_e32 v8, v10, v10
	s_delay_alu instid0(VALU_DEP_1) | instskip(NEXT) | instid1(VALU_DEP_1)
	v_div_scale_f32 v11, null, v8, v8, v9
	v_rcp_f32_e32 v12, v11
	s_waitcnt_depctr 0xfff
	v_fma_f32 v13, -v11, v12, 1.0
	s_delay_alu instid0(VALU_DEP_1) | instskip(SKIP_1) | instid1(VALU_DEP_1)
	v_fmac_f32_e32 v12, v13, v12
	v_div_scale_f32 v13, vcc_lo, v9, v8, v9
	v_mul_f32_e32 v15, v13, v12
	s_delay_alu instid0(VALU_DEP_1) | instskip(NEXT) | instid1(VALU_DEP_1)
	v_fma_f32 v16, -v11, v15, v13
	v_fmac_f32_e32 v15, v16, v12
	s_delay_alu instid0(VALU_DEP_1) | instskip(NEXT) | instid1(VALU_DEP_1)
	v_fma_f32 v11, -v11, v15, v13
	v_div_fmas_f32 v11, v11, v12, v15
                                        ; implicit-def: $vgpr12
	s_delay_alu instid0(VALU_DEP_1)
	v_div_fixup_f32 v11, v11, v8, v9
                                        ; implicit-def: $vgpr8
	s_and_not1_saveexec_b32 s13, s13
	s_cbranch_execz .LBB229_210
	s_branch .LBB229_209
.LBB229_208:
	s_and_not1_saveexec_b32 s13, s13
	s_cbranch_execz .LBB229_210
.LBB229_209:
	v_sub_f32_e32 v8, v12, v8
	s_delay_alu instid0(VALU_DEP_1) | instskip(NEXT) | instid1(VALU_DEP_1)
	v_mul_f32_e32 v8, 0.5, v8
	v_mul_f32_e32 v10, 0x4f800000, v8
	v_cmp_gt_f32_e32 vcc_lo, 0xf800000, v8
	s_delay_alu instid0(VALU_DEP_2) | instskip(NEXT) | instid1(VALU_DEP_1)
	v_cndmask_b32_e32 v8, v8, v10, vcc_lo
	v_sqrt_f32_e32 v10, v8
	s_waitcnt_depctr 0xfff
	v_add_nc_u32_e32 v11, -1, v10
	v_add_nc_u32_e32 v12, 1, v10
	s_delay_alu instid0(VALU_DEP_2) | instskip(NEXT) | instid1(VALU_DEP_2)
	v_fma_f32 v13, -v11, v10, v8
	v_fma_f32 v15, -v12, v10, v8
	s_delay_alu instid0(VALU_DEP_2) | instskip(NEXT) | instid1(VALU_DEP_1)
	v_cmp_ge_f32_e64 s2, 0, v13
	v_cndmask_b32_e64 v10, v10, v11, s2
	s_delay_alu instid0(VALU_DEP_3) | instskip(NEXT) | instid1(VALU_DEP_1)
	v_cmp_lt_f32_e64 s2, 0, v15
	v_cndmask_b32_e64 v10, v10, v12, s2
	s_delay_alu instid0(VALU_DEP_1) | instskip(NEXT) | instid1(VALU_DEP_1)
	v_mul_f32_e32 v11, 0x37800000, v10
	v_cndmask_b32_e32 v10, v10, v11, vcc_lo
	v_cmp_class_f32_e64 vcc_lo, v8, 0x260
	s_delay_alu instid0(VALU_DEP_2) | instskip(NEXT) | instid1(VALU_DEP_1)
	v_cndmask_b32_e32 v8, v10, v8, vcc_lo
	v_dual_add_f32 v11, v8, v8 :: v_dual_and_b32 v10, 0x7fffffff, v9
	s_delay_alu instid0(VALU_DEP_1) | instskip(SKIP_1) | instid1(VALU_DEP_2)
	v_div_scale_f32 v12, null, v11, v11, v10
	v_div_scale_f32 v10, vcc_lo, v10, v11, v10
	v_rcp_f32_e32 v13, v12
	s_waitcnt_depctr 0xfff
	v_fma_f32 v15, -v12, v13, 1.0
	s_delay_alu instid0(VALU_DEP_1) | instskip(NEXT) | instid1(VALU_DEP_1)
	v_fmac_f32_e32 v13, v15, v13
	v_mul_f32_e32 v15, v10, v13
	s_delay_alu instid0(VALU_DEP_1) | instskip(NEXT) | instid1(VALU_DEP_1)
	v_fma_f32 v16, -v12, v15, v10
	v_fmac_f32_e32 v15, v16, v13
	s_delay_alu instid0(VALU_DEP_1) | instskip(NEXT) | instid1(VALU_DEP_1)
	v_fma_f32 v10, -v12, v15, v10
	v_div_fmas_f32 v10, v10, v13, v15
	s_delay_alu instid0(VALU_DEP_1)
	v_div_fixup_f32 v10, v10, v11, |v9|
	v_bfi_b32 v11, 0x7fffffff, v8, v9
.LBB229_210:
	s_or_b32 exec_lo, exec_lo, s13
                                        ; implicit-def: $vgpr9
	s_and_saveexec_b32 s2, s1
	s_delay_alu instid0(SALU_CYCLE_1)
	s_xor_b32 s1, exec_lo, s2
	s_cbranch_execz .LBB229_212
; %bb.211:
	v_dual_mul_f32 v8, 0.5, v10 :: v_dual_mul_f32 v9, 0.5, v11
	s_delay_alu instid0(VALU_DEP_1) | instskip(NEXT) | instid1(VALU_DEP_2)
	v_cndmask_b32_e64 v8, v10, v8, s12
	v_cndmask_b32_e64 v9, v11, v9, s12
                                        ; implicit-def: $vgpr10
                                        ; implicit-def: $vgpr11
	s_and_not1_saveexec_b32 s1, s1
	s_cbranch_execnz .LBB229_213
	s_branch .LBB229_214
.LBB229_212:
	s_and_not1_saveexec_b32 s1, s1
.LBB229_213:
	v_dual_add_f32 v8, v10, v10 :: v_dual_add_f32 v9, v11, v11
.LBB229_214:
	s_or_b32 exec_lo, exec_lo, s1
.LBB229_215:
	s_and_not1_saveexec_b32 s1, s11
	s_cbranch_execz .LBB229_221
; %bb.216:
	s_delay_alu instid0(VALU_DEP_1)
	v_sub_f32_e32 v10, v9, v9
	s_mov_b32 s2, exec_lo
	v_cmpx_lt_i32_e32 -1, v8
	s_xor_b32 s2, exec_lo, s2
; %bb.217:
	s_delay_alu instid0(VALU_DEP_2)
	v_bfi_b32 v9, 0x7fffffff, v10, v9
                                        ; implicit-def: $vgpr10
; %bb.218:
	s_and_not1_saveexec_b32 s2, s2
; %bb.219:
	v_and_b32_e32 v10, 0x7fffffff, v10
	s_delay_alu instid0(VALU_DEP_2) | instskip(NEXT) | instid1(VALU_DEP_2)
	v_bfi_b32 v9, 0x7fffffff, v8, v9
	v_mov_b32_e32 v8, v10
; %bb.220:
	s_or_b32 exec_lo, exec_lo, s2
.LBB229_221:
	s_delay_alu instid0(SALU_CYCLE_1)
	s_or_b32 exec_lo, exec_lo, s1
.LBB229_222:
	s_and_not1_saveexec_b32 s1, s9
; %bb.223:
	v_sub_f32_e32 v9, v9, v9
	s_delay_alu instid0(VALU_DEP_1) | instskip(NEXT) | instid1(VALU_DEP_1)
	v_div_scale_f32 v10, vcc_lo, v9, v9, v9
	v_rcp_f32_e32 v11, v10
	s_waitcnt_depctr 0xfff
	v_fma_f32 v12, -v10, v11, 1.0
	s_delay_alu instid0(VALU_DEP_1) | instskip(NEXT) | instid1(VALU_DEP_1)
	v_fmac_f32_e32 v11, v12, v11
	v_mul_f32_e32 v12, v10, v11
	s_delay_alu instid0(VALU_DEP_1) | instskip(NEXT) | instid1(VALU_DEP_1)
	v_fma_f32 v13, -v10, v12, v10
	v_fmac_f32_e32 v12, v13, v11
	s_delay_alu instid0(VALU_DEP_1) | instskip(NEXT) | instid1(VALU_DEP_1)
	v_fma_f32 v10, -v10, v12, v10
	v_div_fmas_f32 v10, v10, v11, v12
	s_delay_alu instid0(VALU_DEP_1)
	v_div_fixup_f32 v9, v10, v9, v9
; %bb.224:
	s_or_b32 exec_lo, exec_lo, s1
	v_mov_b32_e32 v10, v8
.LBB229_225:
	s_or_b32 exec_lo, exec_lo, s7
.LBB229_226:
	s_delay_alu instid0(SALU_CYCLE_1)
	s_or_b32 exec_lo, exec_lo, s6
	v_mov_b32_e32 v11, v9
.LBB229_227:
	s_or_b32 exec_lo, exec_lo, s3
	v_or_b32_e32 v9, 0x300, v0
	v_mov_b32_e32 v8, 0
	s_delay_alu instid0(VALU_DEP_2)
	v_cmp_gt_i32_e32 vcc_lo, s10, v9
	v_mov_b32_e32 v9, 0
	s_and_saveexec_b32 s3, vcc_lo
	s_cbranch_execz .LBB229_240
; %bb.228:
	v_cmp_neq_f32_e32 vcc_lo, 0, v2
	v_cmp_neq_f32_e64 s1, 0, v3
	v_mov_b32_e32 v8, 0
	s_delay_alu instid0(VALU_DEP_2) | instskip(NEXT) | instid1(SALU_CYCLE_1)
	s_or_b32 s1, vcc_lo, s1
	s_and_saveexec_b32 s6, s1
	s_cbranch_execz .LBB229_262
; %bb.229:
	v_mov_b32_e32 v8, 0x7f800000
	s_mov_b32 s7, exec_lo
	v_cmpx_neq_f32_e64 0x7f800000, |v3|
	s_cbranch_execz .LBB229_261
; %bb.230:
	s_mov_b32 s1, exec_lo
	v_cmpx_o_f32_e32 v2, v2
	s_xor_b32 s9, exec_lo, s1
	s_cbranch_execz .LBB229_258
; %bb.231:
	s_mov_b32 s2, exec_lo
	v_cmpx_neq_f32_e64 0x7f800000, |v2|
	s_xor_b32 s11, exec_lo, s2
	s_cbranch_execz .LBB229_251
; %bb.232:
	v_max_f32_e64 v8, |v2|, |v2|
	v_max_f32_e64 v9, |v3|, |v3|
                                        ; implicit-def: $sgpr12
	s_delay_alu instid0(VALU_DEP_1) | instskip(NEXT) | instid1(VALU_DEP_1)
	v_max_f32_e32 v8, v9, v8
	v_cmp_nle_f32_e64 s1, 0x7ed413cb, v8
	s_delay_alu instid0(VALU_DEP_1) | instskip(NEXT) | instid1(SALU_CYCLE_1)
	s_and_saveexec_b32 s2, s1
	s_xor_b32 s2, exec_lo, s2
	s_cbranch_execz .LBB229_236
; %bb.233:
	v_cmp_ge_f32_e64 s12, 0x1000000, |v2|
	v_cmp_ge_f32_e64 s13, 0x1000000, |v3|
	s_delay_alu instid0(VALU_DEP_1)
	s_and_b32 s14, s13, s12
	s_mov_b32 s12, 0
	s_and_saveexec_b32 s13, s14
; %bb.234:
	v_dual_mul_f32 v3, 4.0, v3 :: v_dual_mul_f32 v2, 4.0, v2
	s_mov_b32 s12, exec_lo
; %bb.235:
	s_or_b32 exec_lo, exec_lo, s13
	s_delay_alu instid0(SALU_CYCLE_1)
	s_and_b32 s12, s12, exec_lo
.LBB229_236:
	s_and_not1_saveexec_b32 s2, s2
; %bb.237:
	v_dual_mul_f32 v2, 0x3e800000, v2 :: v_dual_mul_f32 v3, 0x3e800000, v3
	s_and_not1_b32 s12, s12, exec_lo
; %bb.238:
	s_or_b32 exec_lo, exec_lo, s2
	s_delay_alu instid0(VALU_DEP_1) | instskip(NEXT) | instid1(VALU_DEP_2)
	v_max_f32_e64 v8, |v3|, |v3|
	v_max_f32_e64 v9, |v2|, |v2|
	s_delay_alu instid0(VALU_DEP_1) | instskip(NEXT) | instid1(VALU_DEP_1)
	v_max_f32_e32 v12, v9, v8
	v_cvt_f64_f32_e32 v[8:9], v12
	v_cmp_neq_f32_e64 s2, 0x7f800000, v12
	s_delay_alu instid0(VALU_DEP_2) | instskip(NEXT) | instid1(VALU_DEP_1)
	v_frexp_exp_i32_f64_e32 v8, v[8:9]
	v_sub_nc_u32_e32 v9, 0, v8
	s_delay_alu instid0(VALU_DEP_1) | instskip(SKIP_1) | instid1(VALU_DEP_2)
	v_ldexp_f32 v13, |v3|, v9
	v_ldexp_f32 v9, |v2|, v9
	v_mul_f32_e32 v13, v13, v13
	s_delay_alu instid0(VALU_DEP_1) | instskip(NEXT) | instid1(VALU_DEP_1)
	v_fmac_f32_e32 v13, v9, v9
	v_sqrt_f32_e32 v9, v13
	s_waitcnt_depctr 0xfff
	v_ldexp_f32 v8, v9, v8
                                        ; implicit-def: $vgpr9
	s_delay_alu instid0(VALU_DEP_1)
	v_cndmask_b32_e64 v12, 0x7f800000, v8, s2
                                        ; implicit-def: $vgpr8
	s_mov_b32 s2, exec_lo
	v_cmpx_le_f32_e32 0, v2
	s_xor_b32 s13, exec_lo, s2
	s_cbranch_execz .LBB229_244
; %bb.239:
	v_add_f32_e32 v2, v2, v12
	s_delay_alu instid0(VALU_DEP_1) | instskip(NEXT) | instid1(VALU_DEP_1)
	v_mul_f32_e32 v2, 0.5, v2
	v_mul_f32_e32 v8, 0x4f800000, v2
	v_cmp_gt_f32_e32 vcc_lo, 0xf800000, v2
	s_delay_alu instid0(VALU_DEP_2) | instskip(NEXT) | instid1(VALU_DEP_1)
	v_cndmask_b32_e32 v2, v2, v8, vcc_lo
	v_sqrt_f32_e32 v8, v2
	s_waitcnt_depctr 0xfff
	v_add_nc_u32_e32 v9, -1, v8
	v_add_nc_u32_e32 v12, 1, v8
	s_delay_alu instid0(VALU_DEP_2) | instskip(NEXT) | instid1(VALU_DEP_2)
	v_fma_f32 v13, -v9, v8, v2
	v_fma_f32 v15, -v12, v8, v2
	s_delay_alu instid0(VALU_DEP_2) | instskip(NEXT) | instid1(VALU_DEP_1)
	v_cmp_ge_f32_e64 s2, 0, v13
	v_cndmask_b32_e64 v8, v8, v9, s2
	s_delay_alu instid0(VALU_DEP_3) | instskip(NEXT) | instid1(VALU_DEP_1)
	v_cmp_lt_f32_e64 s2, 0, v15
	v_cndmask_b32_e64 v8, v8, v12, s2
	s_delay_alu instid0(VALU_DEP_1) | instskip(NEXT) | instid1(VALU_DEP_1)
	v_mul_f32_e32 v9, 0x37800000, v8
	v_cndmask_b32_e32 v8, v8, v9, vcc_lo
	v_cmp_class_f32_e64 vcc_lo, v2, 0x260
	s_delay_alu instid0(VALU_DEP_2) | instskip(NEXT) | instid1(VALU_DEP_1)
	v_cndmask_b32_e32 v8, v8, v2, vcc_lo
	v_add_f32_e32 v2, v8, v8
	s_delay_alu instid0(VALU_DEP_1) | instskip(NEXT) | instid1(VALU_DEP_1)
	v_div_scale_f32 v9, null, v2, v2, v3
	v_rcp_f32_e32 v12, v9
	s_waitcnt_depctr 0xfff
	v_fma_f32 v13, -v9, v12, 1.0
	s_delay_alu instid0(VALU_DEP_1) | instskip(SKIP_1) | instid1(VALU_DEP_1)
	v_fmac_f32_e32 v12, v13, v12
	v_div_scale_f32 v13, vcc_lo, v3, v2, v3
	v_mul_f32_e32 v15, v13, v12
	s_delay_alu instid0(VALU_DEP_1) | instskip(NEXT) | instid1(VALU_DEP_1)
	v_fma_f32 v16, -v9, v15, v13
	v_fmac_f32_e32 v15, v16, v12
	s_delay_alu instid0(VALU_DEP_1) | instskip(NEXT) | instid1(VALU_DEP_1)
	v_fma_f32 v9, -v9, v15, v13
	v_div_fmas_f32 v9, v9, v12, v15
                                        ; implicit-def: $vgpr12
	s_delay_alu instid0(VALU_DEP_1)
	v_div_fixup_f32 v9, v9, v2, v3
                                        ; implicit-def: $vgpr2
	s_and_not1_saveexec_b32 s13, s13
	s_cbranch_execz .LBB229_246
	s_branch .LBB229_245
.LBB229_240:
	s_or_b32 exec_lo, exec_lo, s3
	s_and_saveexec_b32 s1, s0
	s_delay_alu instid0(SALU_CYCLE_1)
	s_xor_b32 s0, exec_lo, s1
	s_cbranch_execz .LBB229_263
.LBB229_241:
	v_mov_b32_e32 v2, 0
	s_delay_alu instid0(VALU_DEP_1) | instskip(NEXT) | instid1(VALU_DEP_1)
	v_lshlrev_b64 v[0:1], 3, v[1:2]
	v_add_co_u32 v2, vcc_lo, s4, v0
	s_delay_alu instid0(VALU_DEP_2) | instskip(SKIP_3) | instid1(SALU_CYCLE_1)
	v_add_co_ci_u32_e32 v3, vcc_lo, s5, v1, vcc_lo
	v_mov_b32_e32 v0, v14
	global_store_b64 v[2:3], v[6:7], off
	s_or_b32 exec_lo, exec_lo, s0
	s_mov_b32 s0, exec_lo
	v_cmpx_gt_i32_e64 s10, v0
	s_cbranch_execnz .LBB229_264
.LBB229_242:
	s_or_b32 exec_lo, exec_lo, s0
	s_delay_alu instid0(SALU_CYCLE_1)
	s_mov_b32 s0, exec_lo
	v_cmpx_gt_i32_e64 s10, v0
	s_cbranch_execz .LBB229_265
.LBB229_243:
	v_dual_mov_b32 v2, 0 :: v_dual_add_nc_u32 v1, s8, v0
	v_add_nc_u32_e32 v0, 0x100, v0
	s_delay_alu instid0(VALU_DEP_2) | instskip(NEXT) | instid1(VALU_DEP_1)
	v_lshlrev_b64 v[1:2], 3, v[1:2]
	v_add_co_u32 v1, vcc_lo, s4, v1
	s_delay_alu instid0(VALU_DEP_2) | instskip(SKIP_2) | instid1(SALU_CYCLE_1)
	v_add_co_ci_u32_e32 v2, vcc_lo, s5, v2, vcc_lo
	global_store_b64 v[1:2], v[10:11], off
	s_or_b32 exec_lo, exec_lo, s0
	s_mov_b32 s0, exec_lo
	v_cmpx_gt_i32_e64 s10, v0
	s_cbranch_execnz .LBB229_266
	s_branch .LBB229_267
.LBB229_244:
	s_and_not1_saveexec_b32 s13, s13
	s_cbranch_execz .LBB229_246
.LBB229_245:
	v_sub_f32_e32 v2, v12, v2
	s_delay_alu instid0(VALU_DEP_1) | instskip(NEXT) | instid1(VALU_DEP_1)
	v_mul_f32_e32 v2, 0.5, v2
	v_mul_f32_e32 v8, 0x4f800000, v2
	v_cmp_gt_f32_e32 vcc_lo, 0xf800000, v2
	s_delay_alu instid0(VALU_DEP_2) | instskip(NEXT) | instid1(VALU_DEP_1)
	v_cndmask_b32_e32 v2, v2, v8, vcc_lo
	v_sqrt_f32_e32 v8, v2
	s_waitcnt_depctr 0xfff
	v_add_nc_u32_e32 v9, -1, v8
	v_add_nc_u32_e32 v12, 1, v8
	s_delay_alu instid0(VALU_DEP_2) | instskip(NEXT) | instid1(VALU_DEP_2)
	v_fma_f32 v13, -v9, v8, v2
	v_fma_f32 v15, -v12, v8, v2
	s_delay_alu instid0(VALU_DEP_2) | instskip(NEXT) | instid1(VALU_DEP_1)
	v_cmp_ge_f32_e64 s2, 0, v13
	v_cndmask_b32_e64 v8, v8, v9, s2
	s_delay_alu instid0(VALU_DEP_3) | instskip(NEXT) | instid1(VALU_DEP_1)
	v_cmp_lt_f32_e64 s2, 0, v15
	v_cndmask_b32_e64 v8, v8, v12, s2
	s_delay_alu instid0(VALU_DEP_1) | instskip(NEXT) | instid1(VALU_DEP_1)
	v_mul_f32_e32 v9, 0x37800000, v8
	v_cndmask_b32_e32 v8, v8, v9, vcc_lo
	v_cmp_class_f32_e64 vcc_lo, v2, 0x260
	s_delay_alu instid0(VALU_DEP_2) | instskip(NEXT) | instid1(VALU_DEP_1)
	v_cndmask_b32_e32 v2, v8, v2, vcc_lo
	v_dual_add_f32 v9, v2, v2 :: v_dual_and_b32 v8, 0x7fffffff, v3
	s_delay_alu instid0(VALU_DEP_1) | instskip(SKIP_1) | instid1(VALU_DEP_2)
	v_div_scale_f32 v12, null, v9, v9, v8
	v_div_scale_f32 v8, vcc_lo, v8, v9, v8
	v_rcp_f32_e32 v13, v12
	s_waitcnt_depctr 0xfff
	v_fma_f32 v15, -v12, v13, 1.0
	s_delay_alu instid0(VALU_DEP_1) | instskip(NEXT) | instid1(VALU_DEP_1)
	v_fmac_f32_e32 v13, v15, v13
	v_mul_f32_e32 v15, v8, v13
	s_delay_alu instid0(VALU_DEP_1) | instskip(NEXT) | instid1(VALU_DEP_1)
	v_fma_f32 v16, -v12, v15, v8
	v_fmac_f32_e32 v15, v16, v13
	s_delay_alu instid0(VALU_DEP_1) | instskip(NEXT) | instid1(VALU_DEP_1)
	v_fma_f32 v8, -v12, v15, v8
	v_div_fmas_f32 v8, v8, v13, v15
	s_delay_alu instid0(VALU_DEP_1)
	v_div_fixup_f32 v8, v8, v9, |v3|
	v_bfi_b32 v9, 0x7fffffff, v2, v3
.LBB229_246:
	s_or_b32 exec_lo, exec_lo, s13
                                        ; implicit-def: $vgpr3
	s_and_saveexec_b32 s2, s1
	s_delay_alu instid0(SALU_CYCLE_1)
	s_xor_b32 s1, exec_lo, s2
	s_cbranch_execz .LBB229_248
; %bb.247:
	v_dual_mul_f32 v2, 0.5, v8 :: v_dual_mul_f32 v3, 0.5, v9
	s_delay_alu instid0(VALU_DEP_1) | instskip(NEXT) | instid1(VALU_DEP_2)
	v_cndmask_b32_e64 v2, v8, v2, s12
	v_cndmask_b32_e64 v3, v9, v3, s12
                                        ; implicit-def: $vgpr8
                                        ; implicit-def: $vgpr9
	s_and_not1_saveexec_b32 s1, s1
	s_cbranch_execnz .LBB229_249
	s_branch .LBB229_250
.LBB229_248:
	s_and_not1_saveexec_b32 s1, s1
.LBB229_249:
	v_dual_add_f32 v2, v8, v8 :: v_dual_add_f32 v3, v9, v9
.LBB229_250:
	s_or_b32 exec_lo, exec_lo, s1
.LBB229_251:
	s_and_not1_saveexec_b32 s1, s11
	s_cbranch_execz .LBB229_257
; %bb.252:
	s_delay_alu instid0(VALU_DEP_1)
	v_sub_f32_e32 v8, v3, v3
	s_mov_b32 s2, exec_lo
	v_cmpx_lt_i32_e32 -1, v2
	s_xor_b32 s2, exec_lo, s2
; %bb.253:
	s_delay_alu instid0(VALU_DEP_2)
	v_bfi_b32 v3, 0x7fffffff, v8, v3
                                        ; implicit-def: $vgpr8
; %bb.254:
	s_and_not1_saveexec_b32 s2, s2
; %bb.255:
	v_and_b32_e32 v8, 0x7fffffff, v8
	s_delay_alu instid0(VALU_DEP_2) | instskip(NEXT) | instid1(VALU_DEP_2)
	v_bfi_b32 v3, 0x7fffffff, v2, v3
	v_mov_b32_e32 v2, v8
; %bb.256:
	s_or_b32 exec_lo, exec_lo, s2
.LBB229_257:
	s_delay_alu instid0(SALU_CYCLE_1)
	s_or_b32 exec_lo, exec_lo, s1
.LBB229_258:
	s_and_not1_saveexec_b32 s1, s9
; %bb.259:
	v_sub_f32_e32 v3, v3, v3
	s_delay_alu instid0(VALU_DEP_1) | instskip(NEXT) | instid1(VALU_DEP_1)
	v_div_scale_f32 v8, vcc_lo, v3, v3, v3
	v_rcp_f32_e32 v9, v8
	s_waitcnt_depctr 0xfff
	v_fma_f32 v12, -v8, v9, 1.0
	s_delay_alu instid0(VALU_DEP_1) | instskip(NEXT) | instid1(VALU_DEP_1)
	v_fmac_f32_e32 v9, v12, v9
	v_mul_f32_e32 v12, v8, v9
	s_delay_alu instid0(VALU_DEP_1) | instskip(NEXT) | instid1(VALU_DEP_1)
	v_fma_f32 v13, -v8, v12, v8
	v_fmac_f32_e32 v12, v13, v9
	s_delay_alu instid0(VALU_DEP_1) | instskip(NEXT) | instid1(VALU_DEP_1)
	v_fma_f32 v8, -v8, v12, v8
	v_div_fmas_f32 v8, v8, v9, v12
	s_delay_alu instid0(VALU_DEP_1)
	v_div_fixup_f32 v3, v8, v3, v3
; %bb.260:
	s_or_b32 exec_lo, exec_lo, s1
	v_mov_b32_e32 v8, v2
.LBB229_261:
	s_or_b32 exec_lo, exec_lo, s7
.LBB229_262:
	s_delay_alu instid0(SALU_CYCLE_1) | instskip(SKIP_3) | instid1(SALU_CYCLE_1)
	s_or_b32 exec_lo, exec_lo, s6
	v_mov_b32_e32 v9, v3
	s_or_b32 exec_lo, exec_lo, s3
	s_and_saveexec_b32 s1, s0
	s_xor_b32 s0, exec_lo, s1
	s_cbranch_execnz .LBB229_241
.LBB229_263:
	s_or_b32 exec_lo, exec_lo, s0
	s_delay_alu instid0(SALU_CYCLE_1)
	s_mov_b32 s0, exec_lo
	v_cmpx_gt_i32_e64 s10, v0
	s_cbranch_execz .LBB229_242
.LBB229_264:
	v_dual_mov_b32 v2, 0 :: v_dual_add_nc_u32 v1, s8, v0
	v_add_nc_u32_e32 v0, 0x100, v0
	s_delay_alu instid0(VALU_DEP_2) | instskip(NEXT) | instid1(VALU_DEP_1)
	v_lshlrev_b64 v[1:2], 3, v[1:2]
	v_add_co_u32 v1, vcc_lo, s4, v1
	s_delay_alu instid0(VALU_DEP_2) | instskip(SKIP_2) | instid1(SALU_CYCLE_1)
	v_add_co_ci_u32_e32 v2, vcc_lo, s5, v2, vcc_lo
	global_store_b64 v[1:2], v[4:5], off
	s_or_b32 exec_lo, exec_lo, s0
	s_mov_b32 s0, exec_lo
	v_cmpx_gt_i32_e64 s10, v0
	s_cbranch_execnz .LBB229_243
.LBB229_265:
	s_or_b32 exec_lo, exec_lo, s0
	s_delay_alu instid0(SALU_CYCLE_1)
	s_mov_b32 s0, exec_lo
	v_cmpx_gt_i32_e64 s10, v0
	s_cbranch_execz .LBB229_267
.LBB229_266:
	v_dual_mov_b32 v1, 0 :: v_dual_add_nc_u32 v0, s8, v0
	s_delay_alu instid0(VALU_DEP_1) | instskip(NEXT) | instid1(VALU_DEP_1)
	v_lshlrev_b64 v[0:1], 3, v[0:1]
	v_add_co_u32 v0, vcc_lo, s4, v0
	s_delay_alu instid0(VALU_DEP_2)
	v_add_co_ci_u32_e32 v1, vcc_lo, s5, v1, vcc_lo
	global_store_b64 v[0:1], v[8:9], off
.LBB229_267:
	s_nop 0
	s_sendmsg sendmsg(MSG_DEALLOC_VGPRS)
	s_endpgm
	.section	.rodata,"a",@progbits
	.p2align	6, 0x0
	.amdhsa_kernel _ZN2at6native29vectorized_elementwise_kernelILi2EZZZNS0_16sqrt_kernel_cudaERNS_18TensorIteratorBaseEENKUlvE_clEvENKUlvE0_clEvEUlN3c107complexIfEEE_St5arrayIPcLm2EEEEviT0_T1_
		.amdhsa_group_segment_fixed_size 0
		.amdhsa_private_segment_fixed_size 0
		.amdhsa_kernarg_size 24
		.amdhsa_user_sgpr_count 15
		.amdhsa_user_sgpr_dispatch_ptr 0
		.amdhsa_user_sgpr_queue_ptr 0
		.amdhsa_user_sgpr_kernarg_segment_ptr 1
		.amdhsa_user_sgpr_dispatch_id 0
		.amdhsa_user_sgpr_private_segment_size 0
		.amdhsa_wavefront_size32 1
		.amdhsa_uses_dynamic_stack 0
		.amdhsa_enable_private_segment 0
		.amdhsa_system_sgpr_workgroup_id_x 1
		.amdhsa_system_sgpr_workgroup_id_y 0
		.amdhsa_system_sgpr_workgroup_id_z 0
		.amdhsa_system_sgpr_workgroup_info 0
		.amdhsa_system_vgpr_workitem_id 0
		.amdhsa_next_free_vgpr 19
		.amdhsa_next_free_sgpr 17
		.amdhsa_reserve_vcc 1
		.amdhsa_float_round_mode_32 0
		.amdhsa_float_round_mode_16_64 0
		.amdhsa_float_denorm_mode_32 3
		.amdhsa_float_denorm_mode_16_64 3
		.amdhsa_dx10_clamp 1
		.amdhsa_ieee_mode 1
		.amdhsa_fp16_overflow 0
		.amdhsa_workgroup_processor_mode 1
		.amdhsa_memory_ordered 1
		.amdhsa_forward_progress 0
		.amdhsa_shared_vgpr_count 0
		.amdhsa_exception_fp_ieee_invalid_op 0
		.amdhsa_exception_fp_denorm_src 0
		.amdhsa_exception_fp_ieee_div_zero 0
		.amdhsa_exception_fp_ieee_overflow 0
		.amdhsa_exception_fp_ieee_underflow 0
		.amdhsa_exception_fp_ieee_inexact 0
		.amdhsa_exception_int_div_zero 0
	.end_amdhsa_kernel
	.section	.text._ZN2at6native29vectorized_elementwise_kernelILi2EZZZNS0_16sqrt_kernel_cudaERNS_18TensorIteratorBaseEENKUlvE_clEvENKUlvE0_clEvEUlN3c107complexIfEEE_St5arrayIPcLm2EEEEviT0_T1_,"axG",@progbits,_ZN2at6native29vectorized_elementwise_kernelILi2EZZZNS0_16sqrt_kernel_cudaERNS_18TensorIteratorBaseEENKUlvE_clEvENKUlvE0_clEvEUlN3c107complexIfEEE_St5arrayIPcLm2EEEEviT0_T1_,comdat
.Lfunc_end229:
	.size	_ZN2at6native29vectorized_elementwise_kernelILi2EZZZNS0_16sqrt_kernel_cudaERNS_18TensorIteratorBaseEENKUlvE_clEvENKUlvE0_clEvEUlN3c107complexIfEEE_St5arrayIPcLm2EEEEviT0_T1_, .Lfunc_end229-_ZN2at6native29vectorized_elementwise_kernelILi2EZZZNS0_16sqrt_kernel_cudaERNS_18TensorIteratorBaseEENKUlvE_clEvENKUlvE0_clEvEUlN3c107complexIfEEE_St5arrayIPcLm2EEEEviT0_T1_
                                        ; -- End function
	.section	.AMDGPU.csdata,"",@progbits
; Kernel info:
; codeLenInByte = 10660
; NumSgprs: 19
; NumVgprs: 19
; ScratchSize: 0
; MemoryBound: 0
; FloatMode: 240
; IeeeMode: 1
; LDSByteSize: 0 bytes/workgroup (compile time only)
; SGPRBlocks: 2
; VGPRBlocks: 2
; NumSGPRsForWavesPerEU: 19
; NumVGPRsForWavesPerEU: 19
; Occupancy: 16
; WaveLimiterHint : 1
; COMPUTE_PGM_RSRC2:SCRATCH_EN: 0
; COMPUTE_PGM_RSRC2:USER_SGPR: 15
; COMPUTE_PGM_RSRC2:TRAP_HANDLER: 0
; COMPUTE_PGM_RSRC2:TGID_X_EN: 1
; COMPUTE_PGM_RSRC2:TGID_Y_EN: 0
; COMPUTE_PGM_RSRC2:TGID_Z_EN: 0
; COMPUTE_PGM_RSRC2:TIDIG_COMP_CNT: 0
	.section	.text._ZN2at6native27unrolled_elementwise_kernelIZZZNS0_16sqrt_kernel_cudaERNS_18TensorIteratorBaseEENKUlvE_clEvENKUlvE0_clEvEUlN3c107complexIfEEE_St5arrayIPcLm2EELi4E23TrivialOffsetCalculatorILi1EjESE_NS0_6memory15LoadWithoutCastENSF_16StoreWithoutCastEEEviT_T0_T2_T3_T4_T5_,"axG",@progbits,_ZN2at6native27unrolled_elementwise_kernelIZZZNS0_16sqrt_kernel_cudaERNS_18TensorIteratorBaseEENKUlvE_clEvENKUlvE0_clEvEUlN3c107complexIfEEE_St5arrayIPcLm2EELi4E23TrivialOffsetCalculatorILi1EjESE_NS0_6memory15LoadWithoutCastENSF_16StoreWithoutCastEEEviT_T0_T2_T3_T4_T5_,comdat
	.globl	_ZN2at6native27unrolled_elementwise_kernelIZZZNS0_16sqrt_kernel_cudaERNS_18TensorIteratorBaseEENKUlvE_clEvENKUlvE0_clEvEUlN3c107complexIfEEE_St5arrayIPcLm2EELi4E23TrivialOffsetCalculatorILi1EjESE_NS0_6memory15LoadWithoutCastENSF_16StoreWithoutCastEEEviT_T0_T2_T3_T4_T5_ ; -- Begin function _ZN2at6native27unrolled_elementwise_kernelIZZZNS0_16sqrt_kernel_cudaERNS_18TensorIteratorBaseEENKUlvE_clEvENKUlvE0_clEvEUlN3c107complexIfEEE_St5arrayIPcLm2EELi4E23TrivialOffsetCalculatorILi1EjESE_NS0_6memory15LoadWithoutCastENSF_16StoreWithoutCastEEEviT_T0_T2_T3_T4_T5_
	.p2align	8
	.type	_ZN2at6native27unrolled_elementwise_kernelIZZZNS0_16sqrt_kernel_cudaERNS_18TensorIteratorBaseEENKUlvE_clEvENKUlvE0_clEvEUlN3c107complexIfEEE_St5arrayIPcLm2EELi4E23TrivialOffsetCalculatorILi1EjESE_NS0_6memory15LoadWithoutCastENSF_16StoreWithoutCastEEEviT_T0_T2_T3_T4_T5_,@function
_ZN2at6native27unrolled_elementwise_kernelIZZZNS0_16sqrt_kernel_cudaERNS_18TensorIteratorBaseEENKUlvE_clEvENKUlvE0_clEvEUlN3c107complexIfEEE_St5arrayIPcLm2EELi4E23TrivialOffsetCalculatorILi1EjESE_NS0_6memory15LoadWithoutCastENSF_16StoreWithoutCastEEEviT_T0_T2_T3_T4_T5_: ; @_ZN2at6native27unrolled_elementwise_kernelIZZZNS0_16sqrt_kernel_cudaERNS_18TensorIteratorBaseEENKUlvE_clEvENKUlvE0_clEvEUlN3c107complexIfEEE_St5arrayIPcLm2EELi4E23TrivialOffsetCalculatorILi1EjESE_NS0_6memory15LoadWithoutCastENSF_16StoreWithoutCastEEEviT_T0_T2_T3_T4_T5_
; %bb.0:
	s_clause 0x1
	s_load_b32 s2, s[0:1], 0x0
	s_load_b128 s[4:7], s[0:1], 0x8
	s_lshl_b32 s3, s15, 10
	v_dual_mov_b32 v11, 0 :: v_dual_mov_b32 v12, 0
	v_dual_mov_b32 v13, 0 :: v_dual_mov_b32 v4, v0
	v_or_b32_e32 v1, s3, v0
	v_or_b32_e32 v14, 0x100, v0
	s_waitcnt lgkmcnt(0)
	s_sub_i32 s8, s2, s3
	s_delay_alu instid0(SALU_CYCLE_1) | instskip(NEXT) | instid1(VALU_DEP_1)
	v_cmp_gt_i32_e64 s0, s8, v0
	s_and_saveexec_b32 s1, s0
	s_cbranch_execz .LBB230_2
; %bb.1:
	v_mov_b32_e32 v2, 0
	v_or_b32_e32 v4, 0x100, v0
	s_delay_alu instid0(VALU_DEP_2) | instskip(NEXT) | instid1(VALU_DEP_1)
	v_lshlrev_b64 v[2:3], 3, v[1:2]
	v_add_co_u32 v2, vcc_lo, s6, v2
	s_delay_alu instid0(VALU_DEP_2)
	v_add_co_ci_u32_e32 v3, vcc_lo, s7, v3, vcc_lo
	global_load_b64 v[12:13], v[2:3], off
.LBB230_2:
	s_or_b32 exec_lo, exec_lo, s1
	v_mov_b32_e32 v10, 0
	s_mov_b32 s1, exec_lo
	v_cmpx_gt_i32_e64 s8, v4
	s_cbranch_execz .LBB230_4
; %bb.3:
	v_dual_mov_b32 v3, 0 :: v_dual_add_nc_u32 v2, s3, v4
	v_add_nc_u32_e32 v4, 0x100, v4
	s_delay_alu instid0(VALU_DEP_2) | instskip(NEXT) | instid1(VALU_DEP_1)
	v_lshlrev_b64 v[2:3], 3, v[2:3]
	v_add_co_u32 v2, vcc_lo, s6, v2
	s_delay_alu instid0(VALU_DEP_2)
	v_add_co_ci_u32_e32 v3, vcc_lo, s7, v3, vcc_lo
	global_load_b64 v[10:11], v[2:3], off
.LBB230_4:
	s_or_b32 exec_lo, exec_lo, s1
	v_dual_mov_b32 v3, 0 :: v_dual_mov_b32 v8, 0
	v_mov_b32_e32 v9, 0
	s_mov_b32 s1, exec_lo
	v_cmpx_gt_i32_e64 s8, v4
	s_cbranch_execz .LBB230_6
; %bb.5:
	v_dual_mov_b32 v6, 0 :: v_dual_add_nc_u32 v5, s3, v4
	v_add_nc_u32_e32 v4, 0x100, v4
	s_delay_alu instid0(VALU_DEP_2) | instskip(NEXT) | instid1(VALU_DEP_1)
	v_lshlrev_b64 v[5:6], 3, v[5:6]
	v_add_co_u32 v5, vcc_lo, s6, v5
	s_delay_alu instid0(VALU_DEP_2)
	v_add_co_ci_u32_e32 v6, vcc_lo, s7, v6, vcc_lo
	global_load_b64 v[8:9], v[5:6], off
.LBB230_6:
	s_or_b32 exec_lo, exec_lo, s1
	v_mov_b32_e32 v2, 0
	s_mov_b32 s1, exec_lo
	v_cmpx_gt_i32_e64 s8, v4
	s_cbranch_execz .LBB230_8
; %bb.7:
	v_dual_mov_b32 v3, 0 :: v_dual_add_nc_u32 v2, s3, v4
	s_delay_alu instid0(VALU_DEP_1) | instskip(NEXT) | instid1(VALU_DEP_1)
	v_lshlrev_b64 v[2:3], 3, v[2:3]
	v_add_co_u32 v2, vcc_lo, s6, v2
	s_delay_alu instid0(VALU_DEP_2)
	v_add_co_ci_u32_e32 v3, vcc_lo, s7, v3, vcc_lo
	global_load_b64 v[2:3], v[2:3], off
.LBB230_8:
	s_or_b32 exec_lo, exec_lo, s1
	v_dual_mov_b32 v5, 0 :: v_dual_mov_b32 v6, 0
	v_mov_b32_e32 v7, 0
	s_and_saveexec_b32 s6, s0
	s_cbranch_execz .LBB230_40
; %bb.9:
	s_waitcnt vmcnt(0)
	v_cmp_neq_f32_e32 vcc_lo, 0, v12
	v_cmp_neq_f32_e64 s1, 0, v13
	v_mov_b32_e32 v6, 0
	s_delay_alu instid0(VALU_DEP_2) | instskip(NEXT) | instid1(SALU_CYCLE_1)
	s_or_b32 s1, vcc_lo, s1
	s_and_saveexec_b32 s7, s1
	s_cbranch_execz .LBB230_39
; %bb.10:
	v_mov_b32_e32 v6, 0x7f800000
	s_mov_b32 s9, exec_lo
	v_cmpx_neq_f32_e64 0x7f800000, |v13|
	s_cbranch_execz .LBB230_38
; %bb.11:
	s_mov_b32 s1, exec_lo
	v_cmpx_o_f32_e32 v12, v12
	s_xor_b32 s10, exec_lo, s1
	s_cbranch_execz .LBB230_35
; %bb.12:
	s_mov_b32 s2, exec_lo
	v_cmpx_neq_f32_e64 0x7f800000, |v12|
	s_xor_b32 s11, exec_lo, s2
	s_cbranch_execz .LBB230_28
; %bb.13:
	v_max_f32_e64 v4, |v12|, |v12|
	v_max_f32_e64 v6, |v13|, |v13|
                                        ; implicit-def: $sgpr12
	s_delay_alu instid0(VALU_DEP_1) | instskip(NEXT) | instid1(VALU_DEP_1)
	v_max_f32_e32 v4, v6, v4
	v_cmp_nle_f32_e64 s1, 0x7ed413cb, v4
	s_delay_alu instid0(VALU_DEP_1) | instskip(NEXT) | instid1(SALU_CYCLE_1)
	s_and_saveexec_b32 s2, s1
	s_xor_b32 s2, exec_lo, s2
	s_cbranch_execz .LBB230_17
; %bb.14:
	v_cmp_ge_f32_e64 s12, 0x1000000, |v12|
	v_cmp_ge_f32_e64 s13, 0x1000000, |v13|
	s_delay_alu instid0(VALU_DEP_1)
	s_and_b32 s14, s13, s12
	s_mov_b32 s12, 0
	s_and_saveexec_b32 s13, s14
; %bb.15:
	v_dual_mul_f32 v12, 4.0, v12 :: v_dual_mul_f32 v13, 4.0, v13
	s_mov_b32 s12, exec_lo
; %bb.16:
	s_or_b32 exec_lo, exec_lo, s13
	s_delay_alu instid0(SALU_CYCLE_1)
	s_and_b32 s12, s12, exec_lo
.LBB230_17:
	s_and_not1_saveexec_b32 s2, s2
; %bb.18:
	v_dual_mul_f32 v12, 0x3e800000, v12 :: v_dual_mul_f32 v13, 0x3e800000, v13
	s_and_not1_b32 s12, s12, exec_lo
; %bb.19:
	s_or_b32 exec_lo, exec_lo, s2
	s_delay_alu instid0(VALU_DEP_1) | instskip(NEXT) | instid1(VALU_DEP_2)
	v_max_f32_e64 v4, |v13|, |v13|
	v_max_f32_e64 v6, |v12|, |v12|
	s_delay_alu instid0(VALU_DEP_1) | instskip(NEXT) | instid1(VALU_DEP_1)
	v_max_f32_e32 v4, v6, v4
	v_cvt_f64_f32_e32 v[6:7], v4
	s_delay_alu instid0(VALU_DEP_1) | instskip(NEXT) | instid1(VALU_DEP_1)
	v_frexp_exp_i32_f64_e32 v6, v[6:7]
	v_sub_nc_u32_e32 v7, 0, v6
	s_delay_alu instid0(VALU_DEP_1) | instskip(SKIP_1) | instid1(VALU_DEP_2)
	v_ldexp_f32 v15, |v13|, v7
	v_ldexp_f32 v7, |v12|, v7
	v_mul_f32_e32 v15, v15, v15
	v_cmp_neq_f32_e64 s2, 0x7f800000, v4
                                        ; implicit-def: $vgpr4
	s_delay_alu instid0(VALU_DEP_2) | instskip(NEXT) | instid1(VALU_DEP_1)
	v_fmac_f32_e32 v15, v7, v7
	v_sqrt_f32_e32 v7, v15
	s_waitcnt_depctr 0xfff
	v_ldexp_f32 v6, v7, v6
	s_delay_alu instid0(VALU_DEP_1)
	v_cndmask_b32_e64 v7, 0x7f800000, v6, s2
                                        ; implicit-def: $vgpr6
	s_mov_b32 s2, exec_lo
	v_cmpx_le_f32_e32 0, v12
	s_xor_b32 s13, exec_lo, s2
	s_cbranch_execz .LBB230_21
; %bb.20:
	v_add_f32_e32 v4, v12, v7
	s_delay_alu instid0(VALU_DEP_1) | instskip(NEXT) | instid1(VALU_DEP_1)
	v_mul_f32_e32 v4, 0.5, v4
	v_mul_f32_e32 v6, 0x4f800000, v4
	v_cmp_gt_f32_e32 vcc_lo, 0xf800000, v4
	s_delay_alu instid0(VALU_DEP_2) | instskip(NEXT) | instid1(VALU_DEP_1)
	v_cndmask_b32_e32 v4, v4, v6, vcc_lo
	v_sqrt_f32_e32 v6, v4
	s_waitcnt_depctr 0xfff
	v_add_nc_u32_e32 v7, -1, v6
	v_add_nc_u32_e32 v12, 1, v6
	s_delay_alu instid0(VALU_DEP_2) | instskip(NEXT) | instid1(VALU_DEP_2)
	v_fma_f32 v15, -v7, v6, v4
	v_fma_f32 v16, -v12, v6, v4
	s_delay_alu instid0(VALU_DEP_2) | instskip(NEXT) | instid1(VALU_DEP_1)
	v_cmp_ge_f32_e64 s2, 0, v15
	v_cndmask_b32_e64 v6, v6, v7, s2
	s_delay_alu instid0(VALU_DEP_3) | instskip(NEXT) | instid1(VALU_DEP_1)
	v_cmp_lt_f32_e64 s2, 0, v16
	v_cndmask_b32_e64 v6, v6, v12, s2
	s_delay_alu instid0(VALU_DEP_1) | instskip(NEXT) | instid1(VALU_DEP_1)
	v_mul_f32_e32 v7, 0x37800000, v6
	v_cndmask_b32_e32 v6, v6, v7, vcc_lo
	v_cmp_class_f32_e64 vcc_lo, v4, 0x260
	s_delay_alu instid0(VALU_DEP_2) | instskip(NEXT) | instid1(VALU_DEP_1)
	v_cndmask_b32_e32 v4, v6, v4, vcc_lo
	v_add_f32_e32 v6, v4, v4
	s_delay_alu instid0(VALU_DEP_1) | instskip(NEXT) | instid1(VALU_DEP_1)
	v_div_scale_f32 v7, null, v6, v6, v13
	v_rcp_f32_e32 v12, v7
	s_waitcnt_depctr 0xfff
	v_fma_f32 v15, -v7, v12, 1.0
	s_delay_alu instid0(VALU_DEP_1) | instskip(SKIP_1) | instid1(VALU_DEP_1)
	v_fmac_f32_e32 v12, v15, v12
	v_div_scale_f32 v15, vcc_lo, v13, v6, v13
	v_mul_f32_e32 v16, v15, v12
	s_delay_alu instid0(VALU_DEP_1) | instskip(NEXT) | instid1(VALU_DEP_1)
	v_fma_f32 v17, -v7, v16, v15
	v_fmac_f32_e32 v16, v17, v12
	s_delay_alu instid0(VALU_DEP_1) | instskip(NEXT) | instid1(VALU_DEP_1)
	v_fma_f32 v7, -v7, v16, v15
	v_div_fmas_f32 v7, v7, v12, v16
                                        ; implicit-def: $vgpr12
	s_delay_alu instid0(VALU_DEP_1)
	v_div_fixup_f32 v6, v7, v6, v13
                                        ; implicit-def: $vgpr7
	s_and_not1_saveexec_b32 s13, s13
	s_cbranch_execz .LBB230_23
	s_branch .LBB230_22
.LBB230_21:
	s_and_not1_saveexec_b32 s13, s13
	s_cbranch_execz .LBB230_23
.LBB230_22:
	v_sub_f32_e32 v4, v7, v12
	s_delay_alu instid0(VALU_DEP_1) | instskip(NEXT) | instid1(VALU_DEP_1)
	v_mul_f32_e32 v4, 0.5, v4
	v_mul_f32_e32 v6, 0x4f800000, v4
	v_cmp_gt_f32_e32 vcc_lo, 0xf800000, v4
	s_delay_alu instid0(VALU_DEP_2) | instskip(NEXT) | instid1(VALU_DEP_1)
	v_cndmask_b32_e32 v4, v4, v6, vcc_lo
	v_sqrt_f32_e32 v6, v4
	s_waitcnt_depctr 0xfff
	v_add_nc_u32_e32 v7, -1, v6
	v_add_nc_u32_e32 v12, 1, v6
	s_delay_alu instid0(VALU_DEP_2) | instskip(NEXT) | instid1(VALU_DEP_2)
	v_fma_f32 v15, -v7, v6, v4
	v_fma_f32 v16, -v12, v6, v4
	s_delay_alu instid0(VALU_DEP_2) | instskip(NEXT) | instid1(VALU_DEP_1)
	v_cmp_ge_f32_e64 s2, 0, v15
	v_cndmask_b32_e64 v6, v6, v7, s2
	s_delay_alu instid0(VALU_DEP_3) | instskip(NEXT) | instid1(VALU_DEP_1)
	v_cmp_lt_f32_e64 s2, 0, v16
	v_cndmask_b32_e64 v6, v6, v12, s2
	s_delay_alu instid0(VALU_DEP_1) | instskip(NEXT) | instid1(VALU_DEP_1)
	v_mul_f32_e32 v7, 0x37800000, v6
	v_cndmask_b32_e32 v6, v6, v7, vcc_lo
	v_cmp_class_f32_e64 vcc_lo, v4, 0x260
	s_delay_alu instid0(VALU_DEP_2) | instskip(NEXT) | instid1(VALU_DEP_1)
	v_cndmask_b32_e32 v6, v6, v4, vcc_lo
	v_dual_add_f32 v7, v6, v6 :: v_dual_and_b32 v4, 0x7fffffff, v13
	v_bfi_b32 v6, 0x7fffffff, v6, v13
	s_delay_alu instid0(VALU_DEP_2) | instskip(SKIP_1) | instid1(VALU_DEP_2)
	v_div_scale_f32 v12, null, v7, v7, v4
	v_div_scale_f32 v4, vcc_lo, v4, v7, v4
	v_rcp_f32_e32 v15, v12
	s_waitcnt_depctr 0xfff
	v_fma_f32 v16, -v12, v15, 1.0
	s_delay_alu instid0(VALU_DEP_1) | instskip(NEXT) | instid1(VALU_DEP_1)
	v_fmac_f32_e32 v15, v16, v15
	v_mul_f32_e32 v16, v4, v15
	s_delay_alu instid0(VALU_DEP_1) | instskip(NEXT) | instid1(VALU_DEP_1)
	v_fma_f32 v17, -v12, v16, v4
	v_fmac_f32_e32 v16, v17, v15
	s_delay_alu instid0(VALU_DEP_1) | instskip(NEXT) | instid1(VALU_DEP_1)
	v_fma_f32 v4, -v12, v16, v4
	v_div_fmas_f32 v4, v4, v15, v16
	s_delay_alu instid0(VALU_DEP_1)
	v_div_fixup_f32 v4, v4, v7, |v13|
.LBB230_23:
	s_or_b32 exec_lo, exec_lo, s13
                                        ; implicit-def: $vgpr12
	s_and_saveexec_b32 s2, s1
	s_delay_alu instid0(SALU_CYCLE_1)
	s_xor_b32 s1, exec_lo, s2
	s_cbranch_execz .LBB230_25
; %bb.24:
	v_mul_f32_e32 v7, 0.5, v4
	v_mul_f32_e32 v13, 0.5, v6
	s_delay_alu instid0(VALU_DEP_2) | instskip(NEXT) | instid1(VALU_DEP_2)
	v_cndmask_b32_e64 v12, v4, v7, s12
	v_cndmask_b32_e64 v13, v6, v13, s12
                                        ; implicit-def: $vgpr4
                                        ; implicit-def: $vgpr6
	s_and_not1_saveexec_b32 s1, s1
	s_cbranch_execnz .LBB230_26
	s_branch .LBB230_27
.LBB230_25:
	s_and_not1_saveexec_b32 s1, s1
.LBB230_26:
	v_dual_add_f32 v12, v4, v4 :: v_dual_add_f32 v13, v6, v6
.LBB230_27:
	s_or_b32 exec_lo, exec_lo, s1
.LBB230_28:
	s_and_not1_saveexec_b32 s1, s11
	s_cbranch_execz .LBB230_34
; %bb.29:
	s_delay_alu instid0(VALU_DEP_1)
	v_sub_f32_e32 v4, v13, v13
	s_mov_b32 s2, exec_lo
	v_cmpx_lt_i32_e32 -1, v12
	s_xor_b32 s2, exec_lo, s2
; %bb.30:
	s_delay_alu instid0(VALU_DEP_2)
	v_bfi_b32 v13, 0x7fffffff, v4, v13
                                        ; implicit-def: $vgpr4
; %bb.31:
	s_and_not1_saveexec_b32 s2, s2
; %bb.32:
	v_and_b32_e32 v4, 0x7fffffff, v4
	s_delay_alu instid0(VALU_DEP_2) | instskip(NEXT) | instid1(VALU_DEP_2)
	v_bfi_b32 v13, 0x7fffffff, v12, v13
	v_mov_b32_e32 v12, v4
; %bb.33:
	s_or_b32 exec_lo, exec_lo, s2
.LBB230_34:
	s_delay_alu instid0(SALU_CYCLE_1)
	s_or_b32 exec_lo, exec_lo, s1
.LBB230_35:
	s_and_not1_saveexec_b32 s1, s10
; %bb.36:
	v_sub_f32_e32 v4, v13, v13
	s_delay_alu instid0(VALU_DEP_1) | instskip(NEXT) | instid1(VALU_DEP_1)
	v_div_scale_f32 v6, vcc_lo, v4, v4, v4
	v_rcp_f32_e32 v7, v6
	s_waitcnt_depctr 0xfff
	v_fma_f32 v13, -v6, v7, 1.0
	s_delay_alu instid0(VALU_DEP_1) | instskip(NEXT) | instid1(VALU_DEP_1)
	v_fmac_f32_e32 v7, v13, v7
	v_mul_f32_e32 v13, v6, v7
	s_delay_alu instid0(VALU_DEP_1) | instskip(NEXT) | instid1(VALU_DEP_1)
	v_fma_f32 v15, -v6, v13, v6
	v_fmac_f32_e32 v13, v15, v7
	s_delay_alu instid0(VALU_DEP_1) | instskip(NEXT) | instid1(VALU_DEP_1)
	v_fma_f32 v6, -v6, v13, v6
	v_div_fmas_f32 v6, v6, v7, v13
	s_delay_alu instid0(VALU_DEP_1)
	v_div_fixup_f32 v13, v6, v4, v4
; %bb.37:
	s_or_b32 exec_lo, exec_lo, s1
	v_mov_b32_e32 v6, v12
.LBB230_38:
	s_or_b32 exec_lo, exec_lo, s9
.LBB230_39:
	s_delay_alu instid0(SALU_CYCLE_1)
	s_or_b32 exec_lo, exec_lo, s7
	v_mov_b32_e32 v7, v13
.LBB230_40:
	s_or_b32 exec_lo, exec_lo, s6
	v_mov_b32_e32 v4, 0
	s_mov_b32 s6, exec_lo
	v_cmpx_gt_i32_e64 s8, v14
	s_cbranch_execz .LBB230_72
; %bb.41:
	s_waitcnt vmcnt(0)
	v_cmp_neq_f32_e32 vcc_lo, 0, v10
	v_cmp_neq_f32_e64 s1, 0, v11
	v_mov_b32_e32 v4, 0
	s_delay_alu instid0(VALU_DEP_2) | instskip(NEXT) | instid1(SALU_CYCLE_1)
	s_or_b32 s1, vcc_lo, s1
	s_and_saveexec_b32 s7, s1
	s_cbranch_execz .LBB230_71
; %bb.42:
	v_mov_b32_e32 v4, 0x7f800000
	s_mov_b32 s9, exec_lo
	v_cmpx_neq_f32_e64 0x7f800000, |v11|
	s_cbranch_execz .LBB230_70
; %bb.43:
	s_mov_b32 s1, exec_lo
	v_cmpx_o_f32_e32 v10, v10
	s_xor_b32 s10, exec_lo, s1
	s_cbranch_execz .LBB230_67
; %bb.44:
	s_mov_b32 s2, exec_lo
	v_cmpx_neq_f32_e64 0x7f800000, |v10|
	s_xor_b32 s11, exec_lo, s2
	s_cbranch_execz .LBB230_60
; %bb.45:
	v_max_f32_e64 v4, |v10|, |v10|
	v_max_f32_e64 v5, |v11|, |v11|
                                        ; implicit-def: $sgpr12
	s_delay_alu instid0(VALU_DEP_1) | instskip(NEXT) | instid1(VALU_DEP_1)
	v_max_f32_e32 v4, v5, v4
	v_cmp_nle_f32_e64 s1, 0x7ed413cb, v4
	s_delay_alu instid0(VALU_DEP_1) | instskip(NEXT) | instid1(SALU_CYCLE_1)
	s_and_saveexec_b32 s2, s1
	s_xor_b32 s2, exec_lo, s2
	s_cbranch_execz .LBB230_49
; %bb.46:
	v_cmp_ge_f32_e64 s12, 0x1000000, |v10|
	v_cmp_ge_f32_e64 s13, 0x1000000, |v11|
	s_delay_alu instid0(VALU_DEP_1)
	s_and_b32 s14, s13, s12
	s_mov_b32 s12, 0
	s_and_saveexec_b32 s13, s14
; %bb.47:
	v_dual_mul_f32 v10, 4.0, v10 :: v_dual_mul_f32 v11, 4.0, v11
	s_mov_b32 s12, exec_lo
; %bb.48:
	s_or_b32 exec_lo, exec_lo, s13
	s_delay_alu instid0(SALU_CYCLE_1)
	s_and_b32 s12, s12, exec_lo
.LBB230_49:
	s_and_not1_saveexec_b32 s2, s2
; %bb.50:
	v_dual_mul_f32 v10, 0x3e800000, v10 :: v_dual_mul_f32 v11, 0x3e800000, v11
	s_and_not1_b32 s12, s12, exec_lo
; %bb.51:
	s_or_b32 exec_lo, exec_lo, s2
	s_delay_alu instid0(VALU_DEP_1) | instskip(NEXT) | instid1(VALU_DEP_2)
	v_max_f32_e64 v4, |v11|, |v11|
	v_max_f32_e64 v5, |v10|, |v10|
	s_delay_alu instid0(VALU_DEP_1) | instskip(NEXT) | instid1(VALU_DEP_1)
	v_max_f32_e32 v12, v5, v4
	v_cvt_f64_f32_e32 v[4:5], v12
	v_cmp_neq_f32_e64 s2, 0x7f800000, v12
	s_delay_alu instid0(VALU_DEP_2) | instskip(NEXT) | instid1(VALU_DEP_1)
	v_frexp_exp_i32_f64_e32 v4, v[4:5]
	v_sub_nc_u32_e32 v5, 0, v4
	s_delay_alu instid0(VALU_DEP_1) | instskip(SKIP_1) | instid1(VALU_DEP_2)
	v_ldexp_f32 v13, |v11|, v5
	v_ldexp_f32 v5, |v10|, v5
	v_mul_f32_e32 v13, v13, v13
	s_delay_alu instid0(VALU_DEP_1) | instskip(NEXT) | instid1(VALU_DEP_1)
	v_fmac_f32_e32 v13, v5, v5
	v_sqrt_f32_e32 v5, v13
	s_waitcnt_depctr 0xfff
	v_ldexp_f32 v4, v5, v4
                                        ; implicit-def: $vgpr5
	s_delay_alu instid0(VALU_DEP_1)
	v_cndmask_b32_e64 v12, 0x7f800000, v4, s2
                                        ; implicit-def: $vgpr4
	s_mov_b32 s2, exec_lo
	v_cmpx_le_f32_e32 0, v10
	s_xor_b32 s13, exec_lo, s2
	s_cbranch_execz .LBB230_53
; %bb.52:
	v_add_f32_e32 v4, v10, v12
	s_delay_alu instid0(VALU_DEP_1) | instskip(NEXT) | instid1(VALU_DEP_1)
	v_mul_f32_e32 v4, 0.5, v4
	v_mul_f32_e32 v5, 0x4f800000, v4
	v_cmp_gt_f32_e32 vcc_lo, 0xf800000, v4
	s_delay_alu instid0(VALU_DEP_2) | instskip(NEXT) | instid1(VALU_DEP_1)
	v_cndmask_b32_e32 v4, v4, v5, vcc_lo
	v_sqrt_f32_e32 v5, v4
	s_waitcnt_depctr 0xfff
	v_add_nc_u32_e32 v10, -1, v5
	v_add_nc_u32_e32 v12, 1, v5
	s_delay_alu instid0(VALU_DEP_2) | instskip(NEXT) | instid1(VALU_DEP_2)
	v_fma_f32 v13, -v10, v5, v4
	v_fma_f32 v15, -v12, v5, v4
	s_delay_alu instid0(VALU_DEP_2) | instskip(NEXT) | instid1(VALU_DEP_1)
	v_cmp_ge_f32_e64 s2, 0, v13
	v_cndmask_b32_e64 v5, v5, v10, s2
	s_delay_alu instid0(VALU_DEP_3) | instskip(NEXT) | instid1(VALU_DEP_1)
	v_cmp_lt_f32_e64 s2, 0, v15
	v_cndmask_b32_e64 v5, v5, v12, s2
	s_delay_alu instid0(VALU_DEP_1) | instskip(NEXT) | instid1(VALU_DEP_1)
	v_mul_f32_e32 v10, 0x37800000, v5
	v_cndmask_b32_e32 v5, v5, v10, vcc_lo
	v_cmp_class_f32_e64 vcc_lo, v4, 0x260
	s_delay_alu instid0(VALU_DEP_2) | instskip(NEXT) | instid1(VALU_DEP_1)
	v_cndmask_b32_e32 v4, v5, v4, vcc_lo
	v_add_f32_e32 v5, v4, v4
	s_delay_alu instid0(VALU_DEP_1) | instskip(NEXT) | instid1(VALU_DEP_1)
	v_div_scale_f32 v10, null, v5, v5, v11
	v_rcp_f32_e32 v12, v10
	s_waitcnt_depctr 0xfff
	v_fma_f32 v13, -v10, v12, 1.0
	s_delay_alu instid0(VALU_DEP_1) | instskip(SKIP_1) | instid1(VALU_DEP_1)
	v_fmac_f32_e32 v12, v13, v12
	v_div_scale_f32 v13, vcc_lo, v11, v5, v11
	v_mul_f32_e32 v15, v13, v12
	s_delay_alu instid0(VALU_DEP_1) | instskip(NEXT) | instid1(VALU_DEP_1)
	v_fma_f32 v16, -v10, v15, v13
	v_fmac_f32_e32 v15, v16, v12
	s_delay_alu instid0(VALU_DEP_1) | instskip(NEXT) | instid1(VALU_DEP_1)
	v_fma_f32 v10, -v10, v15, v13
	v_div_fmas_f32 v10, v10, v12, v15
                                        ; implicit-def: $vgpr12
	s_delay_alu instid0(VALU_DEP_1)
	v_div_fixup_f32 v5, v10, v5, v11
                                        ; implicit-def: $vgpr10
	s_and_not1_saveexec_b32 s13, s13
	s_cbranch_execz .LBB230_55
	s_branch .LBB230_54
.LBB230_53:
	s_and_not1_saveexec_b32 s13, s13
	s_cbranch_execz .LBB230_55
.LBB230_54:
	v_sub_f32_e32 v4, v12, v10
	s_delay_alu instid0(VALU_DEP_1) | instskip(NEXT) | instid1(VALU_DEP_1)
	v_mul_f32_e32 v4, 0.5, v4
	v_mul_f32_e32 v5, 0x4f800000, v4
	v_cmp_gt_f32_e32 vcc_lo, 0xf800000, v4
	s_delay_alu instid0(VALU_DEP_2) | instskip(NEXT) | instid1(VALU_DEP_1)
	v_cndmask_b32_e32 v4, v4, v5, vcc_lo
	v_sqrt_f32_e32 v5, v4
	s_waitcnt_depctr 0xfff
	v_add_nc_u32_e32 v10, -1, v5
	v_add_nc_u32_e32 v12, 1, v5
	s_delay_alu instid0(VALU_DEP_2) | instskip(NEXT) | instid1(VALU_DEP_2)
	v_fma_f32 v13, -v10, v5, v4
	v_fma_f32 v15, -v12, v5, v4
	s_delay_alu instid0(VALU_DEP_2) | instskip(NEXT) | instid1(VALU_DEP_1)
	v_cmp_ge_f32_e64 s2, 0, v13
	v_cndmask_b32_e64 v5, v5, v10, s2
	s_delay_alu instid0(VALU_DEP_3) | instskip(NEXT) | instid1(VALU_DEP_1)
	v_cmp_lt_f32_e64 s2, 0, v15
	v_cndmask_b32_e64 v5, v5, v12, s2
	s_delay_alu instid0(VALU_DEP_1) | instskip(NEXT) | instid1(VALU_DEP_1)
	v_mul_f32_e32 v10, 0x37800000, v5
	v_cndmask_b32_e32 v5, v5, v10, vcc_lo
	v_cmp_class_f32_e64 vcc_lo, v4, 0x260
	s_delay_alu instid0(VALU_DEP_2) | instskip(NEXT) | instid1(VALU_DEP_1)
	v_dual_cndmask_b32 v5, v5, v4 :: v_dual_and_b32 v4, 0x7fffffff, v11
	v_add_f32_e32 v10, v5, v5
	v_bfi_b32 v5, 0x7fffffff, v5, v11
	s_delay_alu instid0(VALU_DEP_2) | instskip(SKIP_1) | instid1(VALU_DEP_2)
	v_div_scale_f32 v12, null, v10, v10, v4
	v_div_scale_f32 v4, vcc_lo, v4, v10, v4
	v_rcp_f32_e32 v13, v12
	s_waitcnt_depctr 0xfff
	v_fma_f32 v15, -v12, v13, 1.0
	s_delay_alu instid0(VALU_DEP_1) | instskip(NEXT) | instid1(VALU_DEP_1)
	v_fmac_f32_e32 v13, v15, v13
	v_mul_f32_e32 v15, v4, v13
	s_delay_alu instid0(VALU_DEP_1) | instskip(NEXT) | instid1(VALU_DEP_1)
	v_fma_f32 v16, -v12, v15, v4
	v_fmac_f32_e32 v15, v16, v13
	s_delay_alu instid0(VALU_DEP_1) | instskip(NEXT) | instid1(VALU_DEP_1)
	v_fma_f32 v4, -v12, v15, v4
	v_div_fmas_f32 v4, v4, v13, v15
	s_delay_alu instid0(VALU_DEP_1)
	v_div_fixup_f32 v4, v4, v10, |v11|
.LBB230_55:
	s_or_b32 exec_lo, exec_lo, s13
                                        ; implicit-def: $vgpr10
	s_and_saveexec_b32 s2, s1
	s_delay_alu instid0(SALU_CYCLE_1)
	s_xor_b32 s1, exec_lo, s2
	s_cbranch_execz .LBB230_57
; %bb.56:
	v_dual_mul_f32 v10, 0.5, v4 :: v_dual_mul_f32 v11, 0.5, v5
	s_delay_alu instid0(VALU_DEP_1) | instskip(NEXT) | instid1(VALU_DEP_2)
	v_cndmask_b32_e64 v10, v4, v10, s12
	v_cndmask_b32_e64 v11, v5, v11, s12
                                        ; implicit-def: $vgpr4
                                        ; implicit-def: $vgpr5
	s_and_not1_saveexec_b32 s1, s1
	s_cbranch_execnz .LBB230_58
	s_branch .LBB230_59
.LBB230_57:
	s_and_not1_saveexec_b32 s1, s1
.LBB230_58:
	v_dual_add_f32 v10, v4, v4 :: v_dual_add_f32 v11, v5, v5
.LBB230_59:
	s_or_b32 exec_lo, exec_lo, s1
.LBB230_60:
	s_and_not1_saveexec_b32 s1, s11
	s_cbranch_execz .LBB230_66
; %bb.61:
	s_delay_alu instid0(VALU_DEP_1)
	v_sub_f32_e32 v4, v11, v11
	s_mov_b32 s2, exec_lo
	v_cmpx_lt_i32_e32 -1, v10
	s_xor_b32 s2, exec_lo, s2
; %bb.62:
	s_delay_alu instid0(VALU_DEP_2)
	v_bfi_b32 v11, 0x7fffffff, v4, v11
                                        ; implicit-def: $vgpr4
; %bb.63:
	s_and_not1_saveexec_b32 s2, s2
; %bb.64:
	v_and_b32_e32 v4, 0x7fffffff, v4
	s_delay_alu instid0(VALU_DEP_2) | instskip(NEXT) | instid1(VALU_DEP_2)
	v_bfi_b32 v11, 0x7fffffff, v10, v11
	v_mov_b32_e32 v10, v4
; %bb.65:
	s_or_b32 exec_lo, exec_lo, s2
.LBB230_66:
	s_delay_alu instid0(SALU_CYCLE_1)
	s_or_b32 exec_lo, exec_lo, s1
.LBB230_67:
	s_and_not1_saveexec_b32 s1, s10
; %bb.68:
	v_sub_f32_e32 v4, v11, v11
	s_delay_alu instid0(VALU_DEP_1) | instskip(NEXT) | instid1(VALU_DEP_1)
	v_div_scale_f32 v5, vcc_lo, v4, v4, v4
	v_rcp_f32_e32 v11, v5
	s_waitcnt_depctr 0xfff
	v_fma_f32 v12, -v5, v11, 1.0
	s_delay_alu instid0(VALU_DEP_1) | instskip(NEXT) | instid1(VALU_DEP_1)
	v_fmac_f32_e32 v11, v12, v11
	v_mul_f32_e32 v12, v5, v11
	s_delay_alu instid0(VALU_DEP_1) | instskip(NEXT) | instid1(VALU_DEP_1)
	v_fma_f32 v13, -v5, v12, v5
	v_fmac_f32_e32 v12, v13, v11
	s_delay_alu instid0(VALU_DEP_1) | instskip(NEXT) | instid1(VALU_DEP_1)
	v_fma_f32 v5, -v5, v12, v5
	v_div_fmas_f32 v5, v5, v11, v12
	s_delay_alu instid0(VALU_DEP_1)
	v_div_fixup_f32 v11, v5, v4, v4
; %bb.69:
	s_or_b32 exec_lo, exec_lo, s1
	v_mov_b32_e32 v4, v10
.LBB230_70:
	s_or_b32 exec_lo, exec_lo, s9
.LBB230_71:
	s_delay_alu instid0(SALU_CYCLE_1)
	s_or_b32 exec_lo, exec_lo, s7
	v_mov_b32_e32 v5, v11
.LBB230_72:
	s_or_b32 exec_lo, exec_lo, s6
	s_waitcnt vmcnt(0)
	v_or_b32_e32 v11, 0x200, v0
	v_mov_b32_e32 v10, 0
	s_delay_alu instid0(VALU_DEP_2)
	v_cmp_gt_i32_e32 vcc_lo, s8, v11
	v_mov_b32_e32 v11, 0
	s_and_saveexec_b32 s6, vcc_lo
	s_cbranch_execz .LBB230_104
; %bb.73:
	v_cmp_neq_f32_e32 vcc_lo, 0, v8
	v_cmp_neq_f32_e64 s1, 0, v9
	v_mov_b32_e32 v10, 0
	s_delay_alu instid0(VALU_DEP_2) | instskip(NEXT) | instid1(SALU_CYCLE_1)
	s_or_b32 s1, vcc_lo, s1
	s_and_saveexec_b32 s7, s1
	s_cbranch_execz .LBB230_103
; %bb.74:
	v_mov_b32_e32 v10, 0x7f800000
	s_mov_b32 s9, exec_lo
	v_cmpx_neq_f32_e64 0x7f800000, |v9|
	s_cbranch_execz .LBB230_102
; %bb.75:
	s_mov_b32 s1, exec_lo
	v_cmpx_o_f32_e32 v8, v8
	s_xor_b32 s10, exec_lo, s1
	s_cbranch_execz .LBB230_99
; %bb.76:
	s_mov_b32 s2, exec_lo
	v_cmpx_neq_f32_e64 0x7f800000, |v8|
	s_xor_b32 s11, exec_lo, s2
	s_cbranch_execz .LBB230_92
; %bb.77:
	v_max_f32_e64 v10, |v8|, |v8|
	v_max_f32_e64 v11, |v9|, |v9|
                                        ; implicit-def: $sgpr12
	s_delay_alu instid0(VALU_DEP_1) | instskip(NEXT) | instid1(VALU_DEP_1)
	v_max_f32_e32 v10, v11, v10
	v_cmp_nle_f32_e64 s1, 0x7ed413cb, v10
	s_delay_alu instid0(VALU_DEP_1) | instskip(NEXT) | instid1(SALU_CYCLE_1)
	s_and_saveexec_b32 s2, s1
	s_xor_b32 s2, exec_lo, s2
	s_cbranch_execz .LBB230_81
; %bb.78:
	v_cmp_ge_f32_e64 s12, 0x1000000, |v8|
	v_cmp_ge_f32_e64 s13, 0x1000000, |v9|
	s_delay_alu instid0(VALU_DEP_1)
	s_and_b32 s14, s13, s12
	s_mov_b32 s12, 0
	s_and_saveexec_b32 s13, s14
; %bb.79:
	v_dual_mul_f32 v8, 4.0, v8 :: v_dual_mul_f32 v9, 4.0, v9
	s_mov_b32 s12, exec_lo
; %bb.80:
	s_or_b32 exec_lo, exec_lo, s13
	s_delay_alu instid0(SALU_CYCLE_1)
	s_and_b32 s12, s12, exec_lo
.LBB230_81:
	s_and_not1_saveexec_b32 s2, s2
; %bb.82:
	v_dual_mul_f32 v8, 0x3e800000, v8 :: v_dual_mul_f32 v9, 0x3e800000, v9
	s_and_not1_b32 s12, s12, exec_lo
; %bb.83:
	s_or_b32 exec_lo, exec_lo, s2
	s_delay_alu instid0(VALU_DEP_1) | instskip(NEXT) | instid1(VALU_DEP_2)
	v_max_f32_e64 v10, |v9|, |v9|
	v_max_f32_e64 v11, |v8|, |v8|
	s_delay_alu instid0(VALU_DEP_1) | instskip(NEXT) | instid1(VALU_DEP_1)
	v_max_f32_e32 v12, v11, v10
	v_cvt_f64_f32_e32 v[10:11], v12
	s_delay_alu instid0(VALU_DEP_1) | instskip(NEXT) | instid1(VALU_DEP_1)
	v_frexp_exp_i32_f64_e32 v10, v[10:11]
	v_sub_nc_u32_e32 v11, 0, v10
	s_delay_alu instid0(VALU_DEP_1) | instskip(SKIP_1) | instid1(VALU_DEP_2)
	v_ldexp_f32 v13, |v9|, v11
	v_ldexp_f32 v11, |v8|, v11
	v_mul_f32_e32 v13, v13, v13
	v_cmp_neq_f32_e64 s2, 0x7f800000, v12
	s_delay_alu instid0(VALU_DEP_2) | instskip(NEXT) | instid1(VALU_DEP_1)
	v_fmac_f32_e32 v13, v11, v11
	v_sqrt_f32_e32 v11, v13
	s_waitcnt_depctr 0xfff
	v_ldexp_f32 v10, v11, v10
                                        ; implicit-def: $vgpr11
	s_delay_alu instid0(VALU_DEP_1)
	v_cndmask_b32_e64 v12, 0x7f800000, v10, s2
                                        ; implicit-def: $vgpr10
	s_mov_b32 s2, exec_lo
	v_cmpx_le_f32_e32 0, v8
	s_xor_b32 s13, exec_lo, s2
	s_cbranch_execz .LBB230_85
; %bb.84:
	v_add_f32_e32 v8, v8, v12
	s_delay_alu instid0(VALU_DEP_1) | instskip(NEXT) | instid1(VALU_DEP_1)
	v_mul_f32_e32 v8, 0.5, v8
	v_mul_f32_e32 v10, 0x4f800000, v8
	v_cmp_gt_f32_e32 vcc_lo, 0xf800000, v8
	s_delay_alu instid0(VALU_DEP_2) | instskip(NEXT) | instid1(VALU_DEP_1)
	v_cndmask_b32_e32 v8, v8, v10, vcc_lo
	v_sqrt_f32_e32 v10, v8
	s_waitcnt_depctr 0xfff
	v_add_nc_u32_e32 v11, -1, v10
	v_add_nc_u32_e32 v12, 1, v10
	s_delay_alu instid0(VALU_DEP_2) | instskip(NEXT) | instid1(VALU_DEP_2)
	v_fma_f32 v13, -v11, v10, v8
	v_fma_f32 v15, -v12, v10, v8
	s_delay_alu instid0(VALU_DEP_2) | instskip(NEXT) | instid1(VALU_DEP_1)
	v_cmp_ge_f32_e64 s2, 0, v13
	v_cndmask_b32_e64 v10, v10, v11, s2
	s_delay_alu instid0(VALU_DEP_3) | instskip(NEXT) | instid1(VALU_DEP_1)
	v_cmp_lt_f32_e64 s2, 0, v15
	v_cndmask_b32_e64 v10, v10, v12, s2
	s_delay_alu instid0(VALU_DEP_1) | instskip(NEXT) | instid1(VALU_DEP_1)
	v_mul_f32_e32 v11, 0x37800000, v10
	v_cndmask_b32_e32 v10, v10, v11, vcc_lo
	v_cmp_class_f32_e64 vcc_lo, v8, 0x260
	s_delay_alu instid0(VALU_DEP_2) | instskip(NEXT) | instid1(VALU_DEP_1)
	v_cndmask_b32_e32 v10, v10, v8, vcc_lo
	v_add_f32_e32 v8, v10, v10
	s_delay_alu instid0(VALU_DEP_1) | instskip(NEXT) | instid1(VALU_DEP_1)
	v_div_scale_f32 v11, null, v8, v8, v9
	v_rcp_f32_e32 v12, v11
	s_waitcnt_depctr 0xfff
	v_fma_f32 v13, -v11, v12, 1.0
	s_delay_alu instid0(VALU_DEP_1) | instskip(SKIP_1) | instid1(VALU_DEP_1)
	v_fmac_f32_e32 v12, v13, v12
	v_div_scale_f32 v13, vcc_lo, v9, v8, v9
	v_mul_f32_e32 v15, v13, v12
	s_delay_alu instid0(VALU_DEP_1) | instskip(NEXT) | instid1(VALU_DEP_1)
	v_fma_f32 v16, -v11, v15, v13
	v_fmac_f32_e32 v15, v16, v12
	s_delay_alu instid0(VALU_DEP_1) | instskip(NEXT) | instid1(VALU_DEP_1)
	v_fma_f32 v11, -v11, v15, v13
	v_div_fmas_f32 v11, v11, v12, v15
                                        ; implicit-def: $vgpr12
	s_delay_alu instid0(VALU_DEP_1)
	v_div_fixup_f32 v11, v11, v8, v9
                                        ; implicit-def: $vgpr8
	s_and_not1_saveexec_b32 s13, s13
	s_cbranch_execz .LBB230_87
	s_branch .LBB230_86
.LBB230_85:
	s_and_not1_saveexec_b32 s13, s13
	s_cbranch_execz .LBB230_87
.LBB230_86:
	v_sub_f32_e32 v8, v12, v8
	s_delay_alu instid0(VALU_DEP_1) | instskip(NEXT) | instid1(VALU_DEP_1)
	v_mul_f32_e32 v8, 0.5, v8
	v_mul_f32_e32 v10, 0x4f800000, v8
	v_cmp_gt_f32_e32 vcc_lo, 0xf800000, v8
	s_delay_alu instid0(VALU_DEP_2) | instskip(NEXT) | instid1(VALU_DEP_1)
	v_cndmask_b32_e32 v8, v8, v10, vcc_lo
	v_sqrt_f32_e32 v10, v8
	s_waitcnt_depctr 0xfff
	v_add_nc_u32_e32 v11, -1, v10
	v_add_nc_u32_e32 v12, 1, v10
	s_delay_alu instid0(VALU_DEP_2) | instskip(NEXT) | instid1(VALU_DEP_2)
	v_fma_f32 v13, -v11, v10, v8
	v_fma_f32 v15, -v12, v10, v8
	s_delay_alu instid0(VALU_DEP_2) | instskip(NEXT) | instid1(VALU_DEP_1)
	v_cmp_ge_f32_e64 s2, 0, v13
	v_cndmask_b32_e64 v10, v10, v11, s2
	s_delay_alu instid0(VALU_DEP_3) | instskip(NEXT) | instid1(VALU_DEP_1)
	v_cmp_lt_f32_e64 s2, 0, v15
	v_cndmask_b32_e64 v10, v10, v12, s2
	s_delay_alu instid0(VALU_DEP_1) | instskip(NEXT) | instid1(VALU_DEP_1)
	v_mul_f32_e32 v11, 0x37800000, v10
	v_cndmask_b32_e32 v10, v10, v11, vcc_lo
	v_cmp_class_f32_e64 vcc_lo, v8, 0x260
	s_delay_alu instid0(VALU_DEP_2) | instskip(NEXT) | instid1(VALU_DEP_1)
	v_cndmask_b32_e32 v8, v10, v8, vcc_lo
	v_dual_add_f32 v11, v8, v8 :: v_dual_and_b32 v10, 0x7fffffff, v9
	s_delay_alu instid0(VALU_DEP_1) | instskip(SKIP_1) | instid1(VALU_DEP_2)
	v_div_scale_f32 v12, null, v11, v11, v10
	v_div_scale_f32 v10, vcc_lo, v10, v11, v10
	v_rcp_f32_e32 v13, v12
	s_waitcnt_depctr 0xfff
	v_fma_f32 v15, -v12, v13, 1.0
	s_delay_alu instid0(VALU_DEP_1) | instskip(NEXT) | instid1(VALU_DEP_1)
	v_fmac_f32_e32 v13, v15, v13
	v_mul_f32_e32 v15, v10, v13
	s_delay_alu instid0(VALU_DEP_1) | instskip(NEXT) | instid1(VALU_DEP_1)
	v_fma_f32 v16, -v12, v15, v10
	v_fmac_f32_e32 v15, v16, v13
	s_delay_alu instid0(VALU_DEP_1) | instskip(NEXT) | instid1(VALU_DEP_1)
	v_fma_f32 v10, -v12, v15, v10
	v_div_fmas_f32 v10, v10, v13, v15
	s_delay_alu instid0(VALU_DEP_1)
	v_div_fixup_f32 v10, v10, v11, |v9|
	v_bfi_b32 v11, 0x7fffffff, v8, v9
.LBB230_87:
	s_or_b32 exec_lo, exec_lo, s13
                                        ; implicit-def: $vgpr9
	s_and_saveexec_b32 s2, s1
	s_delay_alu instid0(SALU_CYCLE_1)
	s_xor_b32 s1, exec_lo, s2
	s_cbranch_execz .LBB230_89
; %bb.88:
	v_dual_mul_f32 v8, 0.5, v10 :: v_dual_mul_f32 v9, 0.5, v11
	s_delay_alu instid0(VALU_DEP_1) | instskip(NEXT) | instid1(VALU_DEP_2)
	v_cndmask_b32_e64 v8, v10, v8, s12
	v_cndmask_b32_e64 v9, v11, v9, s12
                                        ; implicit-def: $vgpr10
                                        ; implicit-def: $vgpr11
	s_and_not1_saveexec_b32 s1, s1
	s_cbranch_execnz .LBB230_90
	s_branch .LBB230_91
.LBB230_89:
	s_and_not1_saveexec_b32 s1, s1
.LBB230_90:
	v_dual_add_f32 v8, v10, v10 :: v_dual_add_f32 v9, v11, v11
.LBB230_91:
	s_or_b32 exec_lo, exec_lo, s1
.LBB230_92:
	s_and_not1_saveexec_b32 s1, s11
	s_cbranch_execz .LBB230_98
; %bb.93:
	s_delay_alu instid0(VALU_DEP_1)
	v_sub_f32_e32 v10, v9, v9
	s_mov_b32 s2, exec_lo
	v_cmpx_lt_i32_e32 -1, v8
	s_xor_b32 s2, exec_lo, s2
; %bb.94:
	s_delay_alu instid0(VALU_DEP_2)
	v_bfi_b32 v9, 0x7fffffff, v10, v9
                                        ; implicit-def: $vgpr10
; %bb.95:
	s_and_not1_saveexec_b32 s2, s2
; %bb.96:
	v_and_b32_e32 v10, 0x7fffffff, v10
	s_delay_alu instid0(VALU_DEP_2) | instskip(NEXT) | instid1(VALU_DEP_2)
	v_bfi_b32 v9, 0x7fffffff, v8, v9
	v_mov_b32_e32 v8, v10
; %bb.97:
	s_or_b32 exec_lo, exec_lo, s2
.LBB230_98:
	s_delay_alu instid0(SALU_CYCLE_1)
	s_or_b32 exec_lo, exec_lo, s1
.LBB230_99:
	s_and_not1_saveexec_b32 s1, s10
; %bb.100:
	v_sub_f32_e32 v9, v9, v9
	s_delay_alu instid0(VALU_DEP_1) | instskip(NEXT) | instid1(VALU_DEP_1)
	v_div_scale_f32 v10, vcc_lo, v9, v9, v9
	v_rcp_f32_e32 v11, v10
	s_waitcnt_depctr 0xfff
	v_fma_f32 v12, -v10, v11, 1.0
	s_delay_alu instid0(VALU_DEP_1) | instskip(NEXT) | instid1(VALU_DEP_1)
	v_fmac_f32_e32 v11, v12, v11
	v_mul_f32_e32 v12, v10, v11
	s_delay_alu instid0(VALU_DEP_1) | instskip(NEXT) | instid1(VALU_DEP_1)
	v_fma_f32 v13, -v10, v12, v10
	v_fmac_f32_e32 v12, v13, v11
	s_delay_alu instid0(VALU_DEP_1) | instskip(NEXT) | instid1(VALU_DEP_1)
	v_fma_f32 v10, -v10, v12, v10
	v_div_fmas_f32 v10, v10, v11, v12
	s_delay_alu instid0(VALU_DEP_1)
	v_div_fixup_f32 v9, v10, v9, v9
; %bb.101:
	s_or_b32 exec_lo, exec_lo, s1
	v_mov_b32_e32 v10, v8
.LBB230_102:
	s_or_b32 exec_lo, exec_lo, s9
.LBB230_103:
	s_delay_alu instid0(SALU_CYCLE_1)
	s_or_b32 exec_lo, exec_lo, s7
	v_mov_b32_e32 v11, v9
.LBB230_104:
	s_or_b32 exec_lo, exec_lo, s6
	v_or_b32_e32 v9, 0x300, v0
	v_mov_b32_e32 v8, 0
	s_delay_alu instid0(VALU_DEP_2)
	v_cmp_gt_i32_e32 vcc_lo, s8, v9
	v_mov_b32_e32 v9, 0
	s_and_saveexec_b32 s6, vcc_lo
	s_cbranch_execz .LBB230_117
; %bb.105:
	v_cmp_neq_f32_e32 vcc_lo, 0, v2
	v_cmp_neq_f32_e64 s1, 0, v3
	v_mov_b32_e32 v8, 0
	s_delay_alu instid0(VALU_DEP_2) | instskip(NEXT) | instid1(SALU_CYCLE_1)
	s_or_b32 s1, vcc_lo, s1
	s_and_saveexec_b32 s7, s1
	s_cbranch_execz .LBB230_140
; %bb.106:
	v_mov_b32_e32 v8, 0x7f800000
	s_mov_b32 s9, exec_lo
	v_cmpx_neq_f32_e64 0x7f800000, |v3|
	s_cbranch_execz .LBB230_139
; %bb.107:
	s_mov_b32 s1, exec_lo
	v_cmpx_o_f32_e32 v2, v2
	s_xor_b32 s10, exec_lo, s1
	s_cbranch_execz .LBB230_136
; %bb.108:
	s_mov_b32 s2, exec_lo
	v_cmpx_neq_f32_e64 0x7f800000, |v2|
	s_xor_b32 s11, exec_lo, s2
	s_cbranch_execz .LBB230_129
; %bb.109:
	v_max_f32_e64 v8, |v2|, |v2|
	v_max_f32_e64 v9, |v3|, |v3|
                                        ; implicit-def: $sgpr12
	s_delay_alu instid0(VALU_DEP_1) | instskip(NEXT) | instid1(VALU_DEP_1)
	v_max_f32_e32 v8, v9, v8
	v_cmp_nle_f32_e64 s1, 0x7ed413cb, v8
	s_delay_alu instid0(VALU_DEP_1) | instskip(NEXT) | instid1(SALU_CYCLE_1)
	s_and_saveexec_b32 s2, s1
	s_xor_b32 s2, exec_lo, s2
	s_cbranch_execz .LBB230_113
; %bb.110:
	v_cmp_ge_f32_e64 s12, 0x1000000, |v2|
	v_cmp_ge_f32_e64 s13, 0x1000000, |v3|
	s_delay_alu instid0(VALU_DEP_1)
	s_and_b32 s14, s13, s12
	s_mov_b32 s12, 0
	s_and_saveexec_b32 s13, s14
; %bb.111:
	v_dual_mul_f32 v2, 4.0, v2 :: v_dual_mul_f32 v3, 4.0, v3
	s_mov_b32 s12, exec_lo
; %bb.112:
	s_or_b32 exec_lo, exec_lo, s13
	s_delay_alu instid0(SALU_CYCLE_1)
	s_and_b32 s12, s12, exec_lo
.LBB230_113:
	s_and_not1_saveexec_b32 s2, s2
; %bb.114:
	v_dual_mul_f32 v2, 0x3e800000, v2 :: v_dual_mul_f32 v3, 0x3e800000, v3
	s_and_not1_b32 s12, s12, exec_lo
; %bb.115:
	s_or_b32 exec_lo, exec_lo, s2
	s_delay_alu instid0(VALU_DEP_1) | instskip(NEXT) | instid1(VALU_DEP_2)
	v_max_f32_e64 v8, |v3|, |v3|
	v_max_f32_e64 v9, |v2|, |v2|
	s_delay_alu instid0(VALU_DEP_1) | instskip(NEXT) | instid1(VALU_DEP_1)
	v_max_f32_e32 v12, v9, v8
	v_cvt_f64_f32_e32 v[8:9], v12
	v_cmp_neq_f32_e64 s2, 0x7f800000, v12
	s_delay_alu instid0(VALU_DEP_2) | instskip(NEXT) | instid1(VALU_DEP_1)
	v_frexp_exp_i32_f64_e32 v8, v[8:9]
	v_sub_nc_u32_e32 v9, 0, v8
	s_delay_alu instid0(VALU_DEP_1) | instskip(SKIP_1) | instid1(VALU_DEP_2)
	v_ldexp_f32 v13, |v3|, v9
	v_ldexp_f32 v9, |v2|, v9
	v_mul_f32_e32 v13, v13, v13
	s_delay_alu instid0(VALU_DEP_1) | instskip(NEXT) | instid1(VALU_DEP_1)
	v_fmac_f32_e32 v13, v9, v9
	v_sqrt_f32_e32 v9, v13
	s_waitcnt_depctr 0xfff
	v_ldexp_f32 v8, v9, v8
                                        ; implicit-def: $vgpr9
	s_delay_alu instid0(VALU_DEP_1)
	v_cndmask_b32_e64 v12, 0x7f800000, v8, s2
                                        ; implicit-def: $vgpr8
	s_mov_b32 s2, exec_lo
	v_cmpx_le_f32_e32 0, v2
	s_xor_b32 s13, exec_lo, s2
	s_cbranch_execz .LBB230_122
; %bb.116:
	v_add_f32_e32 v2, v2, v12
	s_delay_alu instid0(VALU_DEP_1) | instskip(NEXT) | instid1(VALU_DEP_1)
	v_mul_f32_e32 v2, 0.5, v2
	v_mul_f32_e32 v8, 0x4f800000, v2
	v_cmp_gt_f32_e32 vcc_lo, 0xf800000, v2
	s_delay_alu instid0(VALU_DEP_2) | instskip(NEXT) | instid1(VALU_DEP_1)
	v_cndmask_b32_e32 v2, v2, v8, vcc_lo
	v_sqrt_f32_e32 v8, v2
	s_waitcnt_depctr 0xfff
	v_add_nc_u32_e32 v9, -1, v8
	v_add_nc_u32_e32 v12, 1, v8
	s_delay_alu instid0(VALU_DEP_2) | instskip(NEXT) | instid1(VALU_DEP_2)
	v_fma_f32 v13, -v9, v8, v2
	v_fma_f32 v15, -v12, v8, v2
	s_delay_alu instid0(VALU_DEP_2) | instskip(NEXT) | instid1(VALU_DEP_1)
	v_cmp_ge_f32_e64 s2, 0, v13
	v_cndmask_b32_e64 v8, v8, v9, s2
	s_delay_alu instid0(VALU_DEP_3) | instskip(NEXT) | instid1(VALU_DEP_1)
	v_cmp_lt_f32_e64 s2, 0, v15
	v_cndmask_b32_e64 v8, v8, v12, s2
	s_delay_alu instid0(VALU_DEP_1) | instskip(NEXT) | instid1(VALU_DEP_1)
	v_mul_f32_e32 v9, 0x37800000, v8
	v_cndmask_b32_e32 v8, v8, v9, vcc_lo
	v_cmp_class_f32_e64 vcc_lo, v2, 0x260
	s_delay_alu instid0(VALU_DEP_2) | instskip(NEXT) | instid1(VALU_DEP_1)
	v_cndmask_b32_e32 v8, v8, v2, vcc_lo
	v_add_f32_e32 v2, v8, v8
	s_delay_alu instid0(VALU_DEP_1) | instskip(NEXT) | instid1(VALU_DEP_1)
	v_div_scale_f32 v9, null, v2, v2, v3
	v_rcp_f32_e32 v12, v9
	s_waitcnt_depctr 0xfff
	v_fma_f32 v13, -v9, v12, 1.0
	s_delay_alu instid0(VALU_DEP_1) | instskip(SKIP_1) | instid1(VALU_DEP_1)
	v_fmac_f32_e32 v12, v13, v12
	v_div_scale_f32 v13, vcc_lo, v3, v2, v3
	v_mul_f32_e32 v15, v13, v12
	s_delay_alu instid0(VALU_DEP_1) | instskip(NEXT) | instid1(VALU_DEP_1)
	v_fma_f32 v16, -v9, v15, v13
	v_fmac_f32_e32 v15, v16, v12
	s_delay_alu instid0(VALU_DEP_1) | instskip(NEXT) | instid1(VALU_DEP_1)
	v_fma_f32 v9, -v9, v15, v13
	v_div_fmas_f32 v9, v9, v12, v15
                                        ; implicit-def: $vgpr12
	s_delay_alu instid0(VALU_DEP_1)
	v_div_fixup_f32 v9, v9, v2, v3
                                        ; implicit-def: $vgpr2
	s_and_not1_saveexec_b32 s13, s13
	s_cbranch_execz .LBB230_124
	s_branch .LBB230_123
.LBB230_117:
	s_or_b32 exec_lo, exec_lo, s6
	s_and_saveexec_b32 s1, s0
	s_delay_alu instid0(SALU_CYCLE_1)
	s_xor_b32 s0, exec_lo, s1
	s_cbranch_execz .LBB230_141
.LBB230_118:
	v_mov_b32_e32 v2, 0
	s_delay_alu instid0(VALU_DEP_1) | instskip(NEXT) | instid1(VALU_DEP_1)
	v_lshlrev_b64 v[0:1], 3, v[1:2]
	v_add_co_u32 v2, vcc_lo, s4, v0
	s_delay_alu instid0(VALU_DEP_2) | instskip(SKIP_3) | instid1(SALU_CYCLE_1)
	v_add_co_ci_u32_e32 v3, vcc_lo, s5, v1, vcc_lo
	v_mov_b32_e32 v0, v14
	global_store_b64 v[2:3], v[6:7], off
	s_or_b32 exec_lo, exec_lo, s0
	s_mov_b32 s0, exec_lo
	v_cmpx_gt_i32_e64 s8, v0
	s_cbranch_execnz .LBB230_142
.LBB230_119:
	s_or_b32 exec_lo, exec_lo, s0
	s_delay_alu instid0(SALU_CYCLE_1)
	s_mov_b32 s0, exec_lo
	v_cmpx_gt_i32_e64 s8, v0
	s_cbranch_execz .LBB230_143
.LBB230_120:
	v_dual_mov_b32 v2, 0 :: v_dual_add_nc_u32 v1, s3, v0
	v_add_nc_u32_e32 v0, 0x100, v0
	s_delay_alu instid0(VALU_DEP_2) | instskip(NEXT) | instid1(VALU_DEP_1)
	v_lshlrev_b64 v[1:2], 3, v[1:2]
	v_add_co_u32 v1, vcc_lo, s4, v1
	s_delay_alu instid0(VALU_DEP_2) | instskip(SKIP_2) | instid1(SALU_CYCLE_1)
	v_add_co_ci_u32_e32 v2, vcc_lo, s5, v2, vcc_lo
	global_store_b64 v[1:2], v[10:11], off
	s_or_b32 exec_lo, exec_lo, s0
	s_mov_b32 s0, exec_lo
	v_cmpx_gt_i32_e64 s8, v0
	s_cbranch_execnz .LBB230_144
.LBB230_121:
	s_nop 0
	s_sendmsg sendmsg(MSG_DEALLOC_VGPRS)
	s_endpgm
.LBB230_122:
	s_and_not1_saveexec_b32 s13, s13
	s_cbranch_execz .LBB230_124
.LBB230_123:
	v_sub_f32_e32 v2, v12, v2
	s_delay_alu instid0(VALU_DEP_1) | instskip(NEXT) | instid1(VALU_DEP_1)
	v_mul_f32_e32 v2, 0.5, v2
	v_mul_f32_e32 v8, 0x4f800000, v2
	v_cmp_gt_f32_e32 vcc_lo, 0xf800000, v2
	s_delay_alu instid0(VALU_DEP_2) | instskip(NEXT) | instid1(VALU_DEP_1)
	v_cndmask_b32_e32 v2, v2, v8, vcc_lo
	v_sqrt_f32_e32 v8, v2
	s_waitcnt_depctr 0xfff
	v_add_nc_u32_e32 v9, -1, v8
	v_add_nc_u32_e32 v12, 1, v8
	s_delay_alu instid0(VALU_DEP_2) | instskip(NEXT) | instid1(VALU_DEP_2)
	v_fma_f32 v13, -v9, v8, v2
	v_fma_f32 v15, -v12, v8, v2
	s_delay_alu instid0(VALU_DEP_2) | instskip(NEXT) | instid1(VALU_DEP_1)
	v_cmp_ge_f32_e64 s2, 0, v13
	v_cndmask_b32_e64 v8, v8, v9, s2
	s_delay_alu instid0(VALU_DEP_3) | instskip(NEXT) | instid1(VALU_DEP_1)
	v_cmp_lt_f32_e64 s2, 0, v15
	v_cndmask_b32_e64 v8, v8, v12, s2
	s_delay_alu instid0(VALU_DEP_1) | instskip(NEXT) | instid1(VALU_DEP_1)
	v_mul_f32_e32 v9, 0x37800000, v8
	v_cndmask_b32_e32 v8, v8, v9, vcc_lo
	v_cmp_class_f32_e64 vcc_lo, v2, 0x260
	s_delay_alu instid0(VALU_DEP_2) | instskip(NEXT) | instid1(VALU_DEP_1)
	v_cndmask_b32_e32 v2, v8, v2, vcc_lo
	v_dual_add_f32 v9, v2, v2 :: v_dual_and_b32 v8, 0x7fffffff, v3
	s_delay_alu instid0(VALU_DEP_1) | instskip(SKIP_1) | instid1(VALU_DEP_2)
	v_div_scale_f32 v12, null, v9, v9, v8
	v_div_scale_f32 v8, vcc_lo, v8, v9, v8
	v_rcp_f32_e32 v13, v12
	s_waitcnt_depctr 0xfff
	v_fma_f32 v15, -v12, v13, 1.0
	s_delay_alu instid0(VALU_DEP_1) | instskip(NEXT) | instid1(VALU_DEP_1)
	v_fmac_f32_e32 v13, v15, v13
	v_mul_f32_e32 v15, v8, v13
	s_delay_alu instid0(VALU_DEP_1) | instskip(NEXT) | instid1(VALU_DEP_1)
	v_fma_f32 v16, -v12, v15, v8
	v_fmac_f32_e32 v15, v16, v13
	s_delay_alu instid0(VALU_DEP_1) | instskip(NEXT) | instid1(VALU_DEP_1)
	v_fma_f32 v8, -v12, v15, v8
	v_div_fmas_f32 v8, v8, v13, v15
	s_delay_alu instid0(VALU_DEP_1)
	v_div_fixup_f32 v8, v8, v9, |v3|
	v_bfi_b32 v9, 0x7fffffff, v2, v3
.LBB230_124:
	s_or_b32 exec_lo, exec_lo, s13
                                        ; implicit-def: $vgpr3
	s_and_saveexec_b32 s2, s1
	s_delay_alu instid0(SALU_CYCLE_1)
	s_xor_b32 s1, exec_lo, s2
	s_cbranch_execz .LBB230_126
; %bb.125:
	v_dual_mul_f32 v2, 0.5, v8 :: v_dual_mul_f32 v3, 0.5, v9
	s_delay_alu instid0(VALU_DEP_1) | instskip(NEXT) | instid1(VALU_DEP_2)
	v_cndmask_b32_e64 v2, v8, v2, s12
	v_cndmask_b32_e64 v3, v9, v3, s12
                                        ; implicit-def: $vgpr8
                                        ; implicit-def: $vgpr9
	s_and_not1_saveexec_b32 s1, s1
	s_cbranch_execnz .LBB230_127
	s_branch .LBB230_128
.LBB230_126:
	s_and_not1_saveexec_b32 s1, s1
.LBB230_127:
	v_dual_add_f32 v2, v8, v8 :: v_dual_add_f32 v3, v9, v9
.LBB230_128:
	s_or_b32 exec_lo, exec_lo, s1
.LBB230_129:
	s_and_not1_saveexec_b32 s1, s11
	s_cbranch_execz .LBB230_135
; %bb.130:
	s_delay_alu instid0(VALU_DEP_1)
	v_sub_f32_e32 v8, v3, v3
	s_mov_b32 s2, exec_lo
	v_cmpx_lt_i32_e32 -1, v2
	s_xor_b32 s2, exec_lo, s2
; %bb.131:
	s_delay_alu instid0(VALU_DEP_2)
	v_bfi_b32 v3, 0x7fffffff, v8, v3
                                        ; implicit-def: $vgpr8
; %bb.132:
	s_and_not1_saveexec_b32 s2, s2
; %bb.133:
	v_and_b32_e32 v8, 0x7fffffff, v8
	s_delay_alu instid0(VALU_DEP_2) | instskip(NEXT) | instid1(VALU_DEP_2)
	v_bfi_b32 v3, 0x7fffffff, v2, v3
	v_mov_b32_e32 v2, v8
; %bb.134:
	s_or_b32 exec_lo, exec_lo, s2
.LBB230_135:
	s_delay_alu instid0(SALU_CYCLE_1)
	s_or_b32 exec_lo, exec_lo, s1
.LBB230_136:
	s_and_not1_saveexec_b32 s1, s10
; %bb.137:
	v_sub_f32_e32 v3, v3, v3
	s_delay_alu instid0(VALU_DEP_1) | instskip(NEXT) | instid1(VALU_DEP_1)
	v_div_scale_f32 v8, vcc_lo, v3, v3, v3
	v_rcp_f32_e32 v9, v8
	s_waitcnt_depctr 0xfff
	v_fma_f32 v12, -v8, v9, 1.0
	s_delay_alu instid0(VALU_DEP_1) | instskip(NEXT) | instid1(VALU_DEP_1)
	v_fmac_f32_e32 v9, v12, v9
	v_mul_f32_e32 v12, v8, v9
	s_delay_alu instid0(VALU_DEP_1) | instskip(NEXT) | instid1(VALU_DEP_1)
	v_fma_f32 v13, -v8, v12, v8
	v_fmac_f32_e32 v12, v13, v9
	s_delay_alu instid0(VALU_DEP_1) | instskip(NEXT) | instid1(VALU_DEP_1)
	v_fma_f32 v8, -v8, v12, v8
	v_div_fmas_f32 v8, v8, v9, v12
	s_delay_alu instid0(VALU_DEP_1)
	v_div_fixup_f32 v3, v8, v3, v3
; %bb.138:
	s_or_b32 exec_lo, exec_lo, s1
	v_mov_b32_e32 v8, v2
.LBB230_139:
	s_or_b32 exec_lo, exec_lo, s9
.LBB230_140:
	s_delay_alu instid0(SALU_CYCLE_1) | instskip(SKIP_3) | instid1(SALU_CYCLE_1)
	s_or_b32 exec_lo, exec_lo, s7
	v_mov_b32_e32 v9, v3
	s_or_b32 exec_lo, exec_lo, s6
	s_and_saveexec_b32 s1, s0
	s_xor_b32 s0, exec_lo, s1
	s_cbranch_execnz .LBB230_118
.LBB230_141:
	s_or_b32 exec_lo, exec_lo, s0
	s_delay_alu instid0(SALU_CYCLE_1)
	s_mov_b32 s0, exec_lo
	v_cmpx_gt_i32_e64 s8, v0
	s_cbranch_execz .LBB230_119
.LBB230_142:
	v_dual_mov_b32 v2, 0 :: v_dual_add_nc_u32 v1, s3, v0
	v_add_nc_u32_e32 v0, 0x100, v0
	s_delay_alu instid0(VALU_DEP_2) | instskip(NEXT) | instid1(VALU_DEP_1)
	v_lshlrev_b64 v[1:2], 3, v[1:2]
	v_add_co_u32 v1, vcc_lo, s4, v1
	s_delay_alu instid0(VALU_DEP_2) | instskip(SKIP_2) | instid1(SALU_CYCLE_1)
	v_add_co_ci_u32_e32 v2, vcc_lo, s5, v2, vcc_lo
	global_store_b64 v[1:2], v[4:5], off
	s_or_b32 exec_lo, exec_lo, s0
	s_mov_b32 s0, exec_lo
	v_cmpx_gt_i32_e64 s8, v0
	s_cbranch_execnz .LBB230_120
.LBB230_143:
	s_or_b32 exec_lo, exec_lo, s0
	s_delay_alu instid0(SALU_CYCLE_1)
	s_mov_b32 s0, exec_lo
	v_cmpx_gt_i32_e64 s8, v0
	s_cbranch_execz .LBB230_121
.LBB230_144:
	v_dual_mov_b32 v1, 0 :: v_dual_add_nc_u32 v0, s3, v0
	s_delay_alu instid0(VALU_DEP_1) | instskip(NEXT) | instid1(VALU_DEP_1)
	v_lshlrev_b64 v[0:1], 3, v[0:1]
	v_add_co_u32 v0, vcc_lo, s4, v0
	s_delay_alu instid0(VALU_DEP_2)
	v_add_co_ci_u32_e32 v1, vcc_lo, s5, v1, vcc_lo
	global_store_b64 v[0:1], v[8:9], off
	s_nop 0
	s_sendmsg sendmsg(MSG_DEALLOC_VGPRS)
	s_endpgm
	.section	.rodata,"a",@progbits
	.p2align	6, 0x0
	.amdhsa_kernel _ZN2at6native27unrolled_elementwise_kernelIZZZNS0_16sqrt_kernel_cudaERNS_18TensorIteratorBaseEENKUlvE_clEvENKUlvE0_clEvEUlN3c107complexIfEEE_St5arrayIPcLm2EELi4E23TrivialOffsetCalculatorILi1EjESE_NS0_6memory15LoadWithoutCastENSF_16StoreWithoutCastEEEviT_T0_T2_T3_T4_T5_
		.amdhsa_group_segment_fixed_size 0
		.amdhsa_private_segment_fixed_size 0
		.amdhsa_kernarg_size 28
		.amdhsa_user_sgpr_count 15
		.amdhsa_user_sgpr_dispatch_ptr 0
		.amdhsa_user_sgpr_queue_ptr 0
		.amdhsa_user_sgpr_kernarg_segment_ptr 1
		.amdhsa_user_sgpr_dispatch_id 0
		.amdhsa_user_sgpr_private_segment_size 0
		.amdhsa_wavefront_size32 1
		.amdhsa_uses_dynamic_stack 0
		.amdhsa_enable_private_segment 0
		.amdhsa_system_sgpr_workgroup_id_x 1
		.amdhsa_system_sgpr_workgroup_id_y 0
		.amdhsa_system_sgpr_workgroup_id_z 0
		.amdhsa_system_sgpr_workgroup_info 0
		.amdhsa_system_vgpr_workitem_id 0
		.amdhsa_next_free_vgpr 18
		.amdhsa_next_free_sgpr 16
		.amdhsa_reserve_vcc 1
		.amdhsa_float_round_mode_32 0
		.amdhsa_float_round_mode_16_64 0
		.amdhsa_float_denorm_mode_32 3
		.amdhsa_float_denorm_mode_16_64 3
		.amdhsa_dx10_clamp 1
		.amdhsa_ieee_mode 1
		.amdhsa_fp16_overflow 0
		.amdhsa_workgroup_processor_mode 1
		.amdhsa_memory_ordered 1
		.amdhsa_forward_progress 0
		.amdhsa_shared_vgpr_count 0
		.amdhsa_exception_fp_ieee_invalid_op 0
		.amdhsa_exception_fp_denorm_src 0
		.amdhsa_exception_fp_ieee_div_zero 0
		.amdhsa_exception_fp_ieee_overflow 0
		.amdhsa_exception_fp_ieee_underflow 0
		.amdhsa_exception_fp_ieee_inexact 0
		.amdhsa_exception_int_div_zero 0
	.end_amdhsa_kernel
	.section	.text._ZN2at6native27unrolled_elementwise_kernelIZZZNS0_16sqrt_kernel_cudaERNS_18TensorIteratorBaseEENKUlvE_clEvENKUlvE0_clEvEUlN3c107complexIfEEE_St5arrayIPcLm2EELi4E23TrivialOffsetCalculatorILi1EjESE_NS0_6memory15LoadWithoutCastENSF_16StoreWithoutCastEEEviT_T0_T2_T3_T4_T5_,"axG",@progbits,_ZN2at6native27unrolled_elementwise_kernelIZZZNS0_16sqrt_kernel_cudaERNS_18TensorIteratorBaseEENKUlvE_clEvENKUlvE0_clEvEUlN3c107complexIfEEE_St5arrayIPcLm2EELi4E23TrivialOffsetCalculatorILi1EjESE_NS0_6memory15LoadWithoutCastENSF_16StoreWithoutCastEEEviT_T0_T2_T3_T4_T5_,comdat
.Lfunc_end230:
	.size	_ZN2at6native27unrolled_elementwise_kernelIZZZNS0_16sqrt_kernel_cudaERNS_18TensorIteratorBaseEENKUlvE_clEvENKUlvE0_clEvEUlN3c107complexIfEEE_St5arrayIPcLm2EELi4E23TrivialOffsetCalculatorILi1EjESE_NS0_6memory15LoadWithoutCastENSF_16StoreWithoutCastEEEviT_T0_T2_T3_T4_T5_, .Lfunc_end230-_ZN2at6native27unrolled_elementwise_kernelIZZZNS0_16sqrt_kernel_cudaERNS_18TensorIteratorBaseEENKUlvE_clEvENKUlvE0_clEvEUlN3c107complexIfEEE_St5arrayIPcLm2EELi4E23TrivialOffsetCalculatorILi1EjESE_NS0_6memory15LoadWithoutCastENSF_16StoreWithoutCastEEEviT_T0_T2_T3_T4_T5_
                                        ; -- End function
	.section	.AMDGPU.csdata,"",@progbits
; Kernel info:
; codeLenInByte = 5656
; NumSgprs: 18
; NumVgprs: 18
; ScratchSize: 0
; MemoryBound: 0
; FloatMode: 240
; IeeeMode: 1
; LDSByteSize: 0 bytes/workgroup (compile time only)
; SGPRBlocks: 2
; VGPRBlocks: 2
; NumSGPRsForWavesPerEU: 18
; NumVGPRsForWavesPerEU: 18
; Occupancy: 16
; WaveLimiterHint : 0
; COMPUTE_PGM_RSRC2:SCRATCH_EN: 0
; COMPUTE_PGM_RSRC2:USER_SGPR: 15
; COMPUTE_PGM_RSRC2:TRAP_HANDLER: 0
; COMPUTE_PGM_RSRC2:TGID_X_EN: 1
; COMPUTE_PGM_RSRC2:TGID_Y_EN: 0
; COMPUTE_PGM_RSRC2:TGID_Z_EN: 0
; COMPUTE_PGM_RSRC2:TIDIG_COMP_CNT: 0
	.section	.text._ZN2at6native32elementwise_kernel_manual_unrollILi128ELi4EZNS0_22gpu_kernel_impl_nocastIZZZNS0_16sqrt_kernel_cudaERNS_18TensorIteratorBaseEENKUlvE_clEvENKUlvE0_clEvEUlN3c107complexIfEEE_EEvS4_RKT_EUlibE_EEviT1_,"axG",@progbits,_ZN2at6native32elementwise_kernel_manual_unrollILi128ELi4EZNS0_22gpu_kernel_impl_nocastIZZZNS0_16sqrt_kernel_cudaERNS_18TensorIteratorBaseEENKUlvE_clEvENKUlvE0_clEvEUlN3c107complexIfEEE_EEvS4_RKT_EUlibE_EEviT1_,comdat
	.globl	_ZN2at6native32elementwise_kernel_manual_unrollILi128ELi4EZNS0_22gpu_kernel_impl_nocastIZZZNS0_16sqrt_kernel_cudaERNS_18TensorIteratorBaseEENKUlvE_clEvENKUlvE0_clEvEUlN3c107complexIfEEE_EEvS4_RKT_EUlibE_EEviT1_ ; -- Begin function _ZN2at6native32elementwise_kernel_manual_unrollILi128ELi4EZNS0_22gpu_kernel_impl_nocastIZZZNS0_16sqrt_kernel_cudaERNS_18TensorIteratorBaseEENKUlvE_clEvENKUlvE0_clEvEUlN3c107complexIfEEE_EEvS4_RKT_EUlibE_EEviT1_
	.p2align	8
	.type	_ZN2at6native32elementwise_kernel_manual_unrollILi128ELi4EZNS0_22gpu_kernel_impl_nocastIZZZNS0_16sqrt_kernel_cudaERNS_18TensorIteratorBaseEENKUlvE_clEvENKUlvE0_clEvEUlN3c107complexIfEEE_EEvS4_RKT_EUlibE_EEviT1_,@function
_ZN2at6native32elementwise_kernel_manual_unrollILi128ELi4EZNS0_22gpu_kernel_impl_nocastIZZZNS0_16sqrt_kernel_cudaERNS_18TensorIteratorBaseEENKUlvE_clEvENKUlvE0_clEvEUlN3c107complexIfEEE_EEvS4_RKT_EUlibE_EEviT1_: ; @_ZN2at6native32elementwise_kernel_manual_unrollILi128ELi4EZNS0_22gpu_kernel_impl_nocastIZZZNS0_16sqrt_kernel_cudaERNS_18TensorIteratorBaseEENKUlvE_clEvENKUlvE0_clEvEUlN3c107complexIfEEE_EEvS4_RKT_EUlibE_EEviT1_
; %bb.0:
	s_clause 0x1
	s_load_b32 s22, s[0:1], 0x8
	s_load_b32 s27, s[0:1], 0x0
	v_lshl_or_b32 v5, s15, 9, v0
	s_or_b32 s0, s0, 8
	s_mov_b32 s8, 0
                                        ; implicit-def: $vgpr7
                                        ; implicit-def: $vgpr12_vgpr13
	s_mov_b32 s2, exec_lo
	s_delay_alu instid0(VALU_DEP_1) | instskip(SKIP_2) | instid1(SALU_CYCLE_1)
	v_or_b32_e32 v8, 0x180, v5
	s_waitcnt lgkmcnt(0)
	s_add_i32 s23, s22, -1
	s_cmp_gt_u32 s23, 1
	s_cselect_b32 s24, -1, 0
	v_cmpx_le_i32_e64 s27, v8
	s_xor_b32 s25, exec_lo, s2
	s_cbranch_execz .LBB231_7
; %bb.1:
	s_clause 0x3
	s_load_b128 s[12:15], s[0:1], 0x4
	s_load_b64 s[16:17], s[0:1], 0x14
	s_load_b128 s[8:11], s[0:1], 0xc4
	s_load_b128 s[4:7], s[0:1], 0x148
	s_cmp_lg_u32 s22, 0
	s_mov_b32 s30, exec_lo
	s_cselect_b32 s29, -1, 0
	s_add_u32 s18, s0, 0xc4
	s_addc_u32 s19, s1, 0
	s_min_u32 s28, s23, 15
	s_cmp_gt_u32 s22, 1
	s_cselect_b32 s26, -1, 0
	v_cmpx_gt_i32_e64 s27, v5
	s_cbranch_execz .LBB231_14
; %bb.2:
	s_and_not1_b32 vcc_lo, exec_lo, s24
	s_cbranch_vccnz .LBB231_21
; %bb.3:
	v_dual_mov_b32 v0, 0 :: v_dual_mov_b32 v1, 0
	s_and_not1_b32 vcc_lo, exec_lo, s29
	s_mov_b32 s31, 0
	s_cbranch_vccnz .LBB231_84
; %bb.4:
	v_mov_b32_e32 v0, 0
	s_add_i32 s34, s28, 1
	s_cmp_eq_u32 s23, 2
	s_mov_b32 s33, 0
	s_cbranch_scc1 .LBB231_80
; %bb.5:
	v_dual_mov_b32 v1, 0 :: v_dual_mov_b32 v0, 0
	v_mov_b32_e32 v2, v5
	s_and_b32 s33, s34, 28
	s_mov_b32 s35, 0
	s_mov_b64 s[2:3], s[18:19]
	s_mov_b64 s[20:21], s[0:1]
.LBB231_6:                              ; =>This Inner Loop Header: Depth=1
	s_clause 0x1
	s_load_b256 s[36:43], s[20:21], 0x4
	s_load_b128 s[52:55], s[20:21], 0x24
	s_load_b256 s[44:51], s[2:3], 0x0
	s_add_u32 s20, s20, 48
	s_addc_u32 s21, s21, 0
	s_add_i32 s35, s35, 4
	s_add_u32 s2, s2, 32
	s_addc_u32 s3, s3, 0
	s_cmp_lg_u32 s33, s35
	s_waitcnt lgkmcnt(0)
	v_mul_hi_u32 v3, s37, v2
	s_delay_alu instid0(VALU_DEP_1) | instskip(NEXT) | instid1(VALU_DEP_1)
	v_add_nc_u32_e32 v3, v2, v3
	v_lshrrev_b32_e32 v3, s38, v3
	s_delay_alu instid0(VALU_DEP_1) | instskip(SKIP_1) | instid1(VALU_DEP_2)
	v_mul_hi_u32 v4, s40, v3
	v_mul_lo_u32 v7, v3, s36
	v_add_nc_u32_e32 v4, v3, v4
	s_delay_alu instid0(VALU_DEP_2) | instskip(NEXT) | instid1(VALU_DEP_2)
	v_sub_nc_u32_e32 v2, v2, v7
	v_lshrrev_b32_e32 v4, s41, v4
	s_delay_alu instid0(VALU_DEP_2) | instskip(SKIP_1) | instid1(VALU_DEP_3)
	v_mul_lo_u32 v7, v2, s44
	v_mul_lo_u32 v9, v2, s45
	v_mul_hi_u32 v6, s43, v4
	s_delay_alu instid0(VALU_DEP_1) | instskip(NEXT) | instid1(VALU_DEP_1)
	v_add_nc_u32_e32 v6, v4, v6
	v_lshrrev_b32_e32 v6, s52, v6
	s_delay_alu instid0(VALU_DEP_1) | instskip(SKIP_1) | instid1(VALU_DEP_2)
	v_mul_hi_u32 v8, s54, v6
	v_mul_lo_u32 v10, v6, s42
	v_add_nc_u32_e32 v2, v6, v8
	v_mul_lo_u32 v8, v4, s39
	s_delay_alu instid0(VALU_DEP_3) | instskip(NEXT) | instid1(VALU_DEP_3)
	v_sub_nc_u32_e32 v4, v4, v10
	v_lshrrev_b32_e32 v2, s55, v2
	s_delay_alu instid0(VALU_DEP_2) | instskip(SKIP_2) | instid1(VALU_DEP_4)
	v_mul_lo_u32 v10, v4, s48
	v_mul_lo_u32 v4, v4, s49
	v_sub_nc_u32_e32 v3, v3, v8
	v_mul_lo_u32 v11, v2, s53
	s_delay_alu instid0(VALU_DEP_2) | instskip(SKIP_1) | instid1(VALU_DEP_3)
	v_mul_lo_u32 v8, v3, s46
	v_mul_lo_u32 v3, v3, s47
	v_sub_nc_u32_e32 v6, v6, v11
	s_delay_alu instid0(VALU_DEP_3) | instskip(NEXT) | instid1(VALU_DEP_2)
	v_add3_u32 v0, v7, v0, v8
	v_mul_lo_u32 v11, v6, s50
	v_mul_lo_u32 v6, v6, s51
	v_add3_u32 v1, v9, v1, v3
	s_delay_alu instid0(VALU_DEP_3) | instskip(NEXT) | instid1(VALU_DEP_2)
	v_add3_u32 v0, v10, v0, v11
	v_add3_u32 v1, v4, v1, v6
	s_cbranch_scc1 .LBB231_6
	s_branch .LBB231_81
.LBB231_7:
	s_and_not1_saveexec_b32 s9, s25
	s_cbranch_execz .LBB231_357
.LBB231_8:
	v_cndmask_b32_e64 v3, 0, 1, s24
	s_and_not1_b32 vcc_lo, exec_lo, s24
	s_cbranch_vccnz .LBB231_20
; %bb.9:
	v_mov_b32_e32 v0, 0
	v_mov_b32_e32 v4, 0
	s_cmp_lg_u32 s22, 0
	s_mov_b32 s6, 0
	s_cbranch_scc0 .LBB231_26
; %bb.10:
	s_min_u32 s7, s23, 15
	v_mov_b32_e32 v0, 0
	s_add_i32 s7, s7, 1
	s_cmp_eq_u32 s23, 2
	s_mov_b32 s10, 0
	s_cbranch_scc1 .LBB231_23
; %bb.11:
	v_dual_mov_b32 v4, 0 :: v_dual_mov_b32 v1, v5
	v_mov_b32_e32 v0, 0
	s_add_u32 s2, s0, 0xc4
	s_addc_u32 s3, s1, 0
	s_and_b32 s10, s7, 28
	s_mov_b32 s11, 0
	s_mov_b64 s[4:5], s[0:1]
.LBB231_12:                             ; =>This Inner Loop Header: Depth=1
	s_clause 0x1
	s_load_b256 s[12:19], s[4:5], 0x4
	s_load_b128 s[36:39], s[4:5], 0x24
	s_load_b256 s[24:31], s[2:3], 0x0
	s_add_u32 s4, s4, 48
	s_addc_u32 s5, s5, 0
	s_add_i32 s11, s11, 4
	s_add_u32 s2, s2, 32
	s_addc_u32 s3, s3, 0
	s_cmp_lg_u32 s10, s11
	s_waitcnt lgkmcnt(0)
	v_mul_hi_u32 v2, s13, v1
	s_delay_alu instid0(VALU_DEP_1) | instskip(NEXT) | instid1(VALU_DEP_1)
	v_add_nc_u32_e32 v2, v1, v2
	v_lshrrev_b32_e32 v2, s14, v2
	s_delay_alu instid0(VALU_DEP_1) | instskip(SKIP_1) | instid1(VALU_DEP_2)
	v_mul_hi_u32 v6, s16, v2
	v_mul_lo_u32 v9, v2, s12
	v_add_nc_u32_e32 v6, v2, v6
	s_delay_alu instid0(VALU_DEP_2) | instskip(NEXT) | instid1(VALU_DEP_2)
	v_sub_nc_u32_e32 v1, v1, v9
	v_lshrrev_b32_e32 v6, s17, v6
	s_delay_alu instid0(VALU_DEP_2) | instskip(SKIP_1) | instid1(VALU_DEP_3)
	v_mul_lo_u32 v9, v1, s24
	v_mul_lo_u32 v11, v1, s25
	v_mul_hi_u32 v7, s19, v6
	s_delay_alu instid0(VALU_DEP_1) | instskip(NEXT) | instid1(VALU_DEP_1)
	v_add_nc_u32_e32 v7, v6, v7
	v_lshrrev_b32_e32 v7, s36, v7
	s_delay_alu instid0(VALU_DEP_1) | instskip(SKIP_1) | instid1(VALU_DEP_2)
	v_mul_hi_u32 v10, s38, v7
	v_mul_lo_u32 v12, v7, s18
	v_add_nc_u32_e32 v1, v7, v10
	v_mul_lo_u32 v10, v6, s15
	s_delay_alu instid0(VALU_DEP_3) | instskip(NEXT) | instid1(VALU_DEP_3)
	v_sub_nc_u32_e32 v6, v6, v12
	v_lshrrev_b32_e32 v1, s39, v1
	s_delay_alu instid0(VALU_DEP_2) | instskip(SKIP_2) | instid1(VALU_DEP_4)
	v_mul_lo_u32 v12, v6, s28
	v_mul_lo_u32 v6, v6, s29
	v_sub_nc_u32_e32 v2, v2, v10
	v_mul_lo_u32 v13, v1, s37
	s_delay_alu instid0(VALU_DEP_2) | instskip(SKIP_1) | instid1(VALU_DEP_3)
	v_mul_lo_u32 v10, v2, s26
	v_mul_lo_u32 v2, v2, s27
	v_sub_nc_u32_e32 v7, v7, v13
	s_delay_alu instid0(VALU_DEP_3) | instskip(NEXT) | instid1(VALU_DEP_2)
	v_add3_u32 v0, v9, v0, v10
	v_mul_lo_u32 v13, v7, s30
	v_mul_lo_u32 v7, v7, s31
	v_add3_u32 v2, v11, v4, v2
	s_delay_alu instid0(VALU_DEP_3) | instskip(NEXT) | instid1(VALU_DEP_2)
	v_add3_u32 v0, v12, v0, v13
	v_add3_u32 v4, v6, v2, v7
	s_cbranch_scc1 .LBB231_12
; %bb.13:
	s_and_b32 s7, s7, 3
	s_delay_alu instid0(SALU_CYCLE_1)
	s_cmp_eq_u32 s7, 0
	s_cbranch_scc0 .LBB231_24
	s_branch .LBB231_26
.LBB231_14:
	s_or_b32 exec_lo, exec_lo, s30
	s_delay_alu instid0(SALU_CYCLE_1)
	s_mov_b32 s30, exec_lo
	v_cmpx_gt_i32_e64 s27, v5
	s_cbranch_execz .LBB231_251
.LBB231_15:
	s_and_not1_b32 vcc_lo, exec_lo, s24
	s_cbranch_vccnz .LBB231_22
; %bb.16:
	v_dual_mov_b32 v0, 0 :: v_dual_mov_b32 v1, 0
	s_and_not1_b32 vcc_lo, exec_lo, s29
	s_mov_b32 s31, 0
	s_cbranch_vccnz .LBB231_103
; %bb.17:
	v_mov_b32_e32 v0, 0
	s_add_i32 s34, s28, 1
	s_cmp_eq_u32 s23, 2
	s_mov_b32 s33, 0
	s_cbranch_scc1 .LBB231_99
; %bb.18:
	v_dual_mov_b32 v1, 0 :: v_dual_mov_b32 v0, 0
	v_mov_b32_e32 v2, v5
	s_and_b32 s33, s34, 28
	s_mov_b32 s35, 0
	s_mov_b64 s[2:3], s[18:19]
	s_mov_b64 s[20:21], s[0:1]
.LBB231_19:                             ; =>This Inner Loop Header: Depth=1
	s_clause 0x1
	s_load_b256 s[36:43], s[20:21], 0x4
	s_load_b128 s[52:55], s[20:21], 0x24
	s_load_b256 s[44:51], s[2:3], 0x0
	s_add_u32 s20, s20, 48
	s_addc_u32 s21, s21, 0
	s_add_i32 s35, s35, 4
	s_add_u32 s2, s2, 32
	s_addc_u32 s3, s3, 0
	s_cmp_eq_u32 s33, s35
	s_waitcnt lgkmcnt(0)
	v_mul_hi_u32 v3, s37, v2
	s_delay_alu instid0(VALU_DEP_1) | instskip(NEXT) | instid1(VALU_DEP_1)
	v_add_nc_u32_e32 v3, v2, v3
	v_lshrrev_b32_e32 v3, s38, v3
	s_delay_alu instid0(VALU_DEP_1) | instskip(SKIP_1) | instid1(VALU_DEP_2)
	v_mul_hi_u32 v4, s40, v3
	v_mul_lo_u32 v7, v3, s36
	v_add_nc_u32_e32 v4, v3, v4
	s_delay_alu instid0(VALU_DEP_2) | instskip(NEXT) | instid1(VALU_DEP_2)
	v_sub_nc_u32_e32 v2, v2, v7
	v_lshrrev_b32_e32 v4, s41, v4
	s_delay_alu instid0(VALU_DEP_2) | instskip(SKIP_1) | instid1(VALU_DEP_3)
	v_mul_lo_u32 v7, v2, s44
	v_mul_lo_u32 v9, v2, s45
	v_mul_hi_u32 v6, s43, v4
	s_delay_alu instid0(VALU_DEP_1) | instskip(NEXT) | instid1(VALU_DEP_1)
	v_add_nc_u32_e32 v6, v4, v6
	v_lshrrev_b32_e32 v6, s52, v6
	s_delay_alu instid0(VALU_DEP_1) | instskip(SKIP_1) | instid1(VALU_DEP_2)
	v_mul_hi_u32 v8, s54, v6
	v_mul_lo_u32 v10, v6, s42
	v_add_nc_u32_e32 v2, v6, v8
	v_mul_lo_u32 v8, v4, s39
	s_delay_alu instid0(VALU_DEP_3) | instskip(NEXT) | instid1(VALU_DEP_3)
	v_sub_nc_u32_e32 v4, v4, v10
	v_lshrrev_b32_e32 v2, s55, v2
	s_delay_alu instid0(VALU_DEP_2) | instskip(SKIP_2) | instid1(VALU_DEP_4)
	v_mul_lo_u32 v10, v4, s48
	v_mul_lo_u32 v4, v4, s49
	v_sub_nc_u32_e32 v3, v3, v8
	v_mul_lo_u32 v11, v2, s53
	s_delay_alu instid0(VALU_DEP_2) | instskip(SKIP_1) | instid1(VALU_DEP_3)
	v_mul_lo_u32 v8, v3, s46
	v_mul_lo_u32 v3, v3, s47
	v_sub_nc_u32_e32 v6, v6, v11
	s_delay_alu instid0(VALU_DEP_3) | instskip(NEXT) | instid1(VALU_DEP_2)
	v_add3_u32 v0, v7, v0, v8
	v_mul_lo_u32 v11, v6, s50
	v_mul_lo_u32 v6, v6, s51
	v_add3_u32 v1, v9, v1, v3
	s_delay_alu instid0(VALU_DEP_3) | instskip(NEXT) | instid1(VALU_DEP_2)
	v_add3_u32 v0, v10, v0, v11
	v_add3_u32 v1, v4, v1, v6
	s_cbranch_scc0 .LBB231_19
	s_branch .LBB231_100
.LBB231_20:
	s_mov_b32 s6, -1
                                        ; implicit-def: $vgpr0
                                        ; implicit-def: $vgpr4
	s_branch .LBB231_26
.LBB231_21:
	s_mov_b32 s31, -1
                                        ; implicit-def: $vgpr0
                                        ; implicit-def: $vgpr1
	s_branch .LBB231_84
.LBB231_22:
	s_mov_b32 s31, -1
                                        ; implicit-def: $vgpr0
                                        ; implicit-def: $vgpr1
	s_branch .LBB231_103
.LBB231_23:
	v_dual_mov_b32 v1, v5 :: v_dual_mov_b32 v4, 0
	s_and_b32 s7, s7, 3
	s_delay_alu instid0(SALU_CYCLE_1)
	s_cmp_eq_u32 s7, 0
	s_cbranch_scc1 .LBB231_26
.LBB231_24:
	s_lshl_b32 s2, s10, 3
	s_mul_i32 s4, s10, 12
	s_add_u32 s2, s2, s0
	s_addc_u32 s3, 0, s1
	s_add_u32 s2, s2, 0xc4
	s_addc_u32 s3, s3, 0
	;; [unrolled: 2-line block ×3, first 2 shown]
	.p2align	6
.LBB231_25:                             ; =>This Inner Loop Header: Depth=1
	s_clause 0x1
	s_load_b64 s[10:11], s[4:5], 0x4
	s_load_b32 s14, s[4:5], 0xc
	s_load_b64 s[12:13], s[2:3], 0x0
	s_add_u32 s4, s4, 12
	s_addc_u32 s5, s5, 0
	s_add_u32 s2, s2, 8
	s_addc_u32 s3, s3, 0
	s_add_i32 s7, s7, -1
	s_delay_alu instid0(SALU_CYCLE_1) | instskip(SKIP_2) | instid1(VALU_DEP_1)
	s_cmp_lg_u32 s7, 0
	s_waitcnt lgkmcnt(0)
	v_mul_hi_u32 v2, s11, v1
	v_add_nc_u32_e32 v2, v1, v2
	s_delay_alu instid0(VALU_DEP_1) | instskip(NEXT) | instid1(VALU_DEP_1)
	v_lshrrev_b32_e32 v2, s14, v2
	v_mul_lo_u32 v6, v2, s10
	s_delay_alu instid0(VALU_DEP_1) | instskip(NEXT) | instid1(VALU_DEP_1)
	v_sub_nc_u32_e32 v1, v1, v6
	v_mad_u64_u32 v[6:7], null, v1, s12, v[0:1]
	v_mad_u64_u32 v[9:10], null, v1, s13, v[4:5]
	v_mov_b32_e32 v1, v2
	s_delay_alu instid0(VALU_DEP_3) | instskip(NEXT) | instid1(VALU_DEP_3)
	v_mov_b32_e32 v0, v6
	v_mov_b32_e32 v4, v9
	s_cbranch_scc1 .LBB231_25
.LBB231_26:
	s_and_not1_b32 vcc_lo, exec_lo, s6
	s_cbranch_vccnz .LBB231_29
; %bb.27:
	s_clause 0x1
	s_load_b128 s[4:7], s[0:1], 0x4
	s_load_b64 s[2:3], s[0:1], 0xc4
	s_cmp_lt_u32 s22, 2
	s_waitcnt lgkmcnt(0)
	v_mul_hi_u32 v0, s5, v5
	s_delay_alu instid0(VALU_DEP_1) | instskip(NEXT) | instid1(VALU_DEP_1)
	v_add_nc_u32_e32 v0, v5, v0
	v_lshrrev_b32_e32 v1, s6, v0
	s_delay_alu instid0(VALU_DEP_1) | instskip(NEXT) | instid1(VALU_DEP_1)
	v_mul_lo_u32 v0, v1, s4
	v_sub_nc_u32_e32 v2, v5, v0
	s_delay_alu instid0(VALU_DEP_1)
	v_mul_lo_u32 v0, v2, s2
	v_mul_lo_u32 v4, v2, s3
	s_cbranch_scc1 .LBB231_29
; %bb.28:
	s_clause 0x1
	s_load_b128 s[4:7], s[0:1], 0x10
	s_load_b64 s[2:3], s[0:1], 0xcc
	s_waitcnt lgkmcnt(0)
	v_mul_hi_u32 v2, s5, v1
	s_delay_alu instid0(VALU_DEP_1) | instskip(NEXT) | instid1(VALU_DEP_1)
	v_add_nc_u32_e32 v2, v1, v2
	v_lshrrev_b32_e32 v2, s6, v2
	s_delay_alu instid0(VALU_DEP_1) | instskip(NEXT) | instid1(VALU_DEP_1)
	v_mul_lo_u32 v2, v2, s4
	v_sub_nc_u32_e32 v9, v1, v2
	s_delay_alu instid0(VALU_DEP_1) | instskip(SKIP_1) | instid1(VALU_DEP_2)
	v_mad_u64_u32 v[1:2], null, v9, s2, v[0:1]
	v_mad_u64_u32 v[6:7], null, v9, s3, v[4:5]
	v_mov_b32_e32 v0, v1
	s_delay_alu instid0(VALU_DEP_2)
	v_mov_b32_e32 v4, v6
.LBB231_29:
	v_cmp_ne_u32_e32 vcc_lo, 1, v3
	v_add_nc_u32_e32 v2, 0x80, v5
	s_cbranch_vccnz .LBB231_35
; %bb.30:
	v_mov_b32_e32 v1, 0
	v_mov_b32_e32 v9, 0
	s_cmp_lg_u32 s22, 0
	s_mov_b32 s6, 0
	s_cbranch_scc0 .LBB231_39
; %bb.31:
	s_min_u32 s7, s23, 15
	v_mov_b32_e32 v1, 0
	s_add_i32 s7, s7, 1
	s_cmp_eq_u32 s23, 2
	s_mov_b32 s10, 0
	s_cbranch_scc1 .LBB231_36
; %bb.32:
	v_dual_mov_b32 v9, 0 :: v_dual_mov_b32 v6, v2
	v_mov_b32_e32 v1, 0
	s_add_u32 s2, s0, 0xc4
	s_addc_u32 s3, s1, 0
	s_and_b32 s10, s7, 28
	s_mov_b32 s11, 0
	s_mov_b64 s[4:5], s[0:1]
.LBB231_33:                             ; =>This Inner Loop Header: Depth=1
	s_clause 0x1
	s_load_b256 s[12:19], s[4:5], 0x4
	s_load_b128 s[36:39], s[4:5], 0x24
	s_load_b256 s[24:31], s[2:3], 0x0
	s_add_u32 s4, s4, 48
	s_addc_u32 s5, s5, 0
	s_add_i32 s11, s11, 4
	s_add_u32 s2, s2, 32
	s_addc_u32 s3, s3, 0
	s_cmp_lg_u32 s10, s11
	s_waitcnt lgkmcnt(0)
	v_mul_hi_u32 v7, s13, v6
	s_delay_alu instid0(VALU_DEP_1) | instskip(NEXT) | instid1(VALU_DEP_1)
	v_add_nc_u32_e32 v7, v6, v7
	v_lshrrev_b32_e32 v7, s14, v7
	s_delay_alu instid0(VALU_DEP_1) | instskip(SKIP_1) | instid1(VALU_DEP_2)
	v_mul_hi_u32 v10, s16, v7
	v_mul_lo_u32 v12, v7, s12
	v_add_nc_u32_e32 v10, v7, v10
	s_delay_alu instid0(VALU_DEP_2) | instskip(NEXT) | instid1(VALU_DEP_2)
	v_sub_nc_u32_e32 v6, v6, v12
	v_lshrrev_b32_e32 v10, s17, v10
	s_delay_alu instid0(VALU_DEP_2) | instskip(SKIP_1) | instid1(VALU_DEP_3)
	v_mul_lo_u32 v12, v6, s24
	v_mul_lo_u32 v14, v6, s25
	v_mul_hi_u32 v11, s19, v10
	s_delay_alu instid0(VALU_DEP_1) | instskip(NEXT) | instid1(VALU_DEP_1)
	v_add_nc_u32_e32 v11, v10, v11
	v_lshrrev_b32_e32 v11, s36, v11
	s_delay_alu instid0(VALU_DEP_1) | instskip(SKIP_1) | instid1(VALU_DEP_2)
	v_mul_hi_u32 v13, s38, v11
	v_mul_lo_u32 v15, v11, s18
	v_add_nc_u32_e32 v6, v11, v13
	v_mul_lo_u32 v13, v10, s15
	s_delay_alu instid0(VALU_DEP_3) | instskip(NEXT) | instid1(VALU_DEP_3)
	v_sub_nc_u32_e32 v10, v10, v15
	v_lshrrev_b32_e32 v6, s39, v6
	s_delay_alu instid0(VALU_DEP_2) | instskip(SKIP_2) | instid1(VALU_DEP_4)
	v_mul_lo_u32 v15, v10, s28
	v_mul_lo_u32 v10, v10, s29
	v_sub_nc_u32_e32 v7, v7, v13
	v_mul_lo_u32 v16, v6, s37
	s_delay_alu instid0(VALU_DEP_2) | instskip(SKIP_1) | instid1(VALU_DEP_3)
	v_mul_lo_u32 v13, v7, s26
	v_mul_lo_u32 v7, v7, s27
	v_sub_nc_u32_e32 v11, v11, v16
	s_delay_alu instid0(VALU_DEP_3) | instskip(NEXT) | instid1(VALU_DEP_2)
	v_add3_u32 v1, v12, v1, v13
	v_mul_lo_u32 v16, v11, s30
	v_mul_lo_u32 v11, v11, s31
	v_add3_u32 v7, v14, v9, v7
	s_delay_alu instid0(VALU_DEP_3) | instskip(NEXT) | instid1(VALU_DEP_2)
	v_add3_u32 v1, v15, v1, v16
	v_add3_u32 v9, v10, v7, v11
	s_cbranch_scc1 .LBB231_33
; %bb.34:
	s_and_b32 s7, s7, 3
	s_delay_alu instid0(SALU_CYCLE_1)
	s_cmp_eq_u32 s7, 0
	s_cbranch_scc0 .LBB231_37
	s_branch .LBB231_39
.LBB231_35:
	s_mov_b32 s6, -1
                                        ; implicit-def: $vgpr1
                                        ; implicit-def: $vgpr9
	s_branch .LBB231_39
.LBB231_36:
	v_dual_mov_b32 v6, v2 :: v_dual_mov_b32 v9, 0
	s_and_b32 s7, s7, 3
	s_delay_alu instid0(SALU_CYCLE_1)
	s_cmp_eq_u32 s7, 0
	s_cbranch_scc1 .LBB231_39
.LBB231_37:
	s_lshl_b32 s2, s10, 3
	s_mul_i32 s4, s10, 12
	s_add_u32 s2, s2, s0
	s_addc_u32 s3, 0, s1
	s_add_u32 s2, s2, 0xc4
	s_addc_u32 s3, s3, 0
	;; [unrolled: 2-line block ×3, first 2 shown]
	.p2align	6
.LBB231_38:                             ; =>This Inner Loop Header: Depth=1
	s_clause 0x1
	s_load_b64 s[10:11], s[4:5], 0x4
	s_load_b32 s14, s[4:5], 0xc
	s_load_b64 s[12:13], s[2:3], 0x0
	s_add_u32 s4, s4, 12
	s_addc_u32 s5, s5, 0
	s_add_u32 s2, s2, 8
	s_addc_u32 s3, s3, 0
	s_add_i32 s7, s7, -1
	s_delay_alu instid0(SALU_CYCLE_1) | instskip(SKIP_2) | instid1(VALU_DEP_1)
	s_cmp_lg_u32 s7, 0
	s_waitcnt lgkmcnt(0)
	v_mul_hi_u32 v7, s11, v6
	v_add_nc_u32_e32 v7, v6, v7
	s_delay_alu instid0(VALU_DEP_1) | instskip(NEXT) | instid1(VALU_DEP_1)
	v_lshrrev_b32_e32 v7, s14, v7
	v_mul_lo_u32 v10, v7, s10
	s_delay_alu instid0(VALU_DEP_1) | instskip(NEXT) | instid1(VALU_DEP_1)
	v_sub_nc_u32_e32 v6, v6, v10
	v_mad_u64_u32 v[10:11], null, v6, s12, v[1:2]
	s_delay_alu instid0(VALU_DEP_1) | instskip(SKIP_1) | instid1(VALU_DEP_2)
	v_mad_u64_u32 v[11:12], null, v6, s13, v[9:10]
	v_dual_mov_b32 v6, v7 :: v_dual_mov_b32 v1, v10
	v_mov_b32_e32 v9, v11
	s_cbranch_scc1 .LBB231_38
.LBB231_39:
	s_and_not1_b32 vcc_lo, exec_lo, s6
	s_cbranch_vccnz .LBB231_42
; %bb.40:
	s_clause 0x1
	s_load_b128 s[4:7], s[0:1], 0x4
	s_load_b64 s[2:3], s[0:1], 0xc4
	s_cmp_lt_u32 s22, 2
	s_waitcnt lgkmcnt(0)
	v_mul_hi_u32 v1, s5, v2
	s_delay_alu instid0(VALU_DEP_1) | instskip(NEXT) | instid1(VALU_DEP_1)
	v_add_nc_u32_e32 v1, v2, v1
	v_lshrrev_b32_e32 v6, s6, v1
	s_delay_alu instid0(VALU_DEP_1) | instskip(NEXT) | instid1(VALU_DEP_1)
	v_mul_lo_u32 v1, v6, s4
	v_sub_nc_u32_e32 v2, v2, v1
	s_delay_alu instid0(VALU_DEP_1)
	v_mul_lo_u32 v1, v2, s2
	v_mul_lo_u32 v9, v2, s3
	s_cbranch_scc1 .LBB231_42
; %bb.41:
	s_clause 0x1
	s_load_b128 s[4:7], s[0:1], 0x10
	s_load_b64 s[2:3], s[0:1], 0xcc
	s_waitcnt lgkmcnt(0)
	v_mul_hi_u32 v2, s5, v6
	s_delay_alu instid0(VALU_DEP_1) | instskip(NEXT) | instid1(VALU_DEP_1)
	v_add_nc_u32_e32 v2, v6, v2
	v_lshrrev_b32_e32 v2, s6, v2
	s_delay_alu instid0(VALU_DEP_1) | instskip(NEXT) | instid1(VALU_DEP_1)
	v_mul_lo_u32 v2, v2, s4
	v_sub_nc_u32_e32 v2, v6, v2
	s_delay_alu instid0(VALU_DEP_1) | instskip(SKIP_1) | instid1(VALU_DEP_2)
	v_mad_u64_u32 v[6:7], null, v2, s2, v[1:2]
	v_mad_u64_u32 v[10:11], null, v2, s3, v[9:10]
	v_mov_b32_e32 v1, v6
	s_delay_alu instid0(VALU_DEP_2)
	v_mov_b32_e32 v9, v10
.LBB231_42:
	v_cmp_ne_u32_e32 vcc_lo, 1, v3
	v_add_nc_u32_e32 v5, 0x100, v5
	s_cbranch_vccnz .LBB231_48
; %bb.43:
	v_dual_mov_b32 v2, 0 :: v_dual_mov_b32 v7, 0
	s_cmp_lg_u32 s22, 0
	s_mov_b32 s6, 0
	s_cbranch_scc0 .LBB231_52
; %bb.44:
	s_min_u32 s7, s23, 15
	v_mov_b32_e32 v2, 0
	s_add_i32 s7, s7, 1
	s_cmp_eq_u32 s23, 2
	s_mov_b32 s10, 0
	s_cbranch_scc1 .LBB231_49
; %bb.45:
	v_dual_mov_b32 v7, 0 :: v_dual_mov_b32 v2, 0
	v_mov_b32_e32 v6, v5
	s_add_u32 s2, s0, 0xc4
	s_addc_u32 s3, s1, 0
	s_and_b32 s10, s7, 28
	s_mov_b32 s11, 0
	s_mov_b64 s[4:5], s[0:1]
.LBB231_46:                             ; =>This Inner Loop Header: Depth=1
	s_clause 0x1
	s_load_b256 s[12:19], s[4:5], 0x4
	s_load_b128 s[36:39], s[4:5], 0x24
	s_load_b256 s[24:31], s[2:3], 0x0
	s_add_u32 s4, s4, 48
	s_addc_u32 s5, s5, 0
	s_add_i32 s11, s11, 4
	s_add_u32 s2, s2, 32
	s_addc_u32 s3, s3, 0
	s_cmp_lg_u32 s10, s11
	s_waitcnt lgkmcnt(0)
	v_mul_hi_u32 v10, s13, v6
	s_delay_alu instid0(VALU_DEP_1) | instskip(NEXT) | instid1(VALU_DEP_1)
	v_add_nc_u32_e32 v10, v6, v10
	v_lshrrev_b32_e32 v10, s14, v10
	s_delay_alu instid0(VALU_DEP_1) | instskip(SKIP_1) | instid1(VALU_DEP_2)
	v_mul_hi_u32 v11, s16, v10
	v_mul_lo_u32 v13, v10, s12
	v_add_nc_u32_e32 v11, v10, v11
	s_delay_alu instid0(VALU_DEP_2) | instskip(NEXT) | instid1(VALU_DEP_2)
	v_sub_nc_u32_e32 v6, v6, v13
	v_lshrrev_b32_e32 v11, s17, v11
	s_delay_alu instid0(VALU_DEP_2) | instskip(SKIP_1) | instid1(VALU_DEP_3)
	v_mul_lo_u32 v13, v6, s24
	v_mul_lo_u32 v15, v6, s25
	v_mul_hi_u32 v12, s19, v11
	s_delay_alu instid0(VALU_DEP_1) | instskip(NEXT) | instid1(VALU_DEP_1)
	v_add_nc_u32_e32 v12, v11, v12
	v_lshrrev_b32_e32 v12, s36, v12
	s_delay_alu instid0(VALU_DEP_1) | instskip(SKIP_1) | instid1(VALU_DEP_2)
	v_mul_hi_u32 v14, s38, v12
	v_mul_lo_u32 v16, v12, s18
	v_add_nc_u32_e32 v6, v12, v14
	v_mul_lo_u32 v14, v11, s15
	s_delay_alu instid0(VALU_DEP_3) | instskip(NEXT) | instid1(VALU_DEP_3)
	v_sub_nc_u32_e32 v11, v11, v16
	v_lshrrev_b32_e32 v6, s39, v6
	s_delay_alu instid0(VALU_DEP_2) | instskip(SKIP_2) | instid1(VALU_DEP_4)
	v_mul_lo_u32 v16, v11, s28
	v_mul_lo_u32 v11, v11, s29
	v_sub_nc_u32_e32 v10, v10, v14
	v_mul_lo_u32 v17, v6, s37
	s_delay_alu instid0(VALU_DEP_2) | instskip(SKIP_1) | instid1(VALU_DEP_3)
	v_mul_lo_u32 v14, v10, s26
	v_mul_lo_u32 v10, v10, s27
	v_sub_nc_u32_e32 v12, v12, v17
	s_delay_alu instid0(VALU_DEP_3) | instskip(NEXT) | instid1(VALU_DEP_2)
	v_add3_u32 v2, v13, v2, v14
	v_mul_lo_u32 v17, v12, s30
	v_mul_lo_u32 v12, v12, s31
	v_add3_u32 v7, v15, v7, v10
	s_delay_alu instid0(VALU_DEP_3) | instskip(NEXT) | instid1(VALU_DEP_2)
	v_add3_u32 v2, v16, v2, v17
	v_add3_u32 v7, v11, v7, v12
	s_cbranch_scc1 .LBB231_46
; %bb.47:
	s_and_b32 s7, s7, 3
	s_delay_alu instid0(SALU_CYCLE_1)
	s_cmp_eq_u32 s7, 0
	s_cbranch_scc0 .LBB231_50
	s_branch .LBB231_52
.LBB231_48:
	s_mov_b32 s6, -1
                                        ; implicit-def: $vgpr2
                                        ; implicit-def: $vgpr7
	s_branch .LBB231_52
.LBB231_49:
	v_dual_mov_b32 v6, v5 :: v_dual_mov_b32 v7, 0
	s_and_b32 s7, s7, 3
	s_delay_alu instid0(SALU_CYCLE_1)
	s_cmp_eq_u32 s7, 0
	s_cbranch_scc1 .LBB231_52
.LBB231_50:
	s_lshl_b32 s2, s10, 3
	s_mul_i32 s4, s10, 12
	s_add_u32 s2, s2, s0
	s_addc_u32 s3, 0, s1
	s_add_u32 s2, s2, 0xc4
	s_addc_u32 s3, s3, 0
	;; [unrolled: 2-line block ×3, first 2 shown]
	.p2align	6
.LBB231_51:                             ; =>This Inner Loop Header: Depth=1
	s_clause 0x1
	s_load_b64 s[10:11], s[4:5], 0x4
	s_load_b32 s14, s[4:5], 0xc
	s_load_b64 s[12:13], s[2:3], 0x0
	s_add_u32 s4, s4, 12
	s_addc_u32 s5, s5, 0
	s_add_u32 s2, s2, 8
	s_addc_u32 s3, s3, 0
	s_add_i32 s7, s7, -1
	s_delay_alu instid0(SALU_CYCLE_1) | instskip(SKIP_2) | instid1(VALU_DEP_1)
	s_cmp_lg_u32 s7, 0
	s_waitcnt lgkmcnt(0)
	v_mul_hi_u32 v10, s11, v6
	v_add_nc_u32_e32 v10, v6, v10
	s_delay_alu instid0(VALU_DEP_1) | instskip(NEXT) | instid1(VALU_DEP_1)
	v_lshrrev_b32_e32 v13, s14, v10
	v_mul_lo_u32 v10, v13, s10
	s_delay_alu instid0(VALU_DEP_1) | instskip(NEXT) | instid1(VALU_DEP_1)
	v_sub_nc_u32_e32 v6, v6, v10
	v_mad_u64_u32 v[10:11], null, v6, s12, v[2:3]
	v_mad_u64_u32 v[11:12], null, v6, s13, v[7:8]
	v_mov_b32_e32 v6, v13
	s_delay_alu instid0(VALU_DEP_2)
	v_dual_mov_b32 v2, v10 :: v_dual_mov_b32 v7, v11
	s_cbranch_scc1 .LBB231_51
.LBB231_52:
	s_and_not1_b32 vcc_lo, exec_lo, s6
	s_cbranch_vccnz .LBB231_55
; %bb.53:
	s_clause 0x1
	s_load_b128 s[4:7], s[0:1], 0x4
	s_load_b64 s[2:3], s[0:1], 0xc4
	s_cmp_lt_u32 s22, 2
	s_waitcnt lgkmcnt(0)
	v_mul_hi_u32 v2, s5, v5
	s_delay_alu instid0(VALU_DEP_1) | instskip(NEXT) | instid1(VALU_DEP_1)
	v_add_nc_u32_e32 v2, v5, v2
	v_lshrrev_b32_e32 v6, s6, v2
	s_delay_alu instid0(VALU_DEP_1) | instskip(NEXT) | instid1(VALU_DEP_1)
	v_mul_lo_u32 v2, v6, s4
	v_sub_nc_u32_e32 v5, v5, v2
	s_delay_alu instid0(VALU_DEP_1)
	v_mul_lo_u32 v2, v5, s2
	v_mul_lo_u32 v7, v5, s3
	s_cbranch_scc1 .LBB231_55
; %bb.54:
	s_clause 0x1
	s_load_b128 s[4:7], s[0:1], 0x10
	s_load_b64 s[2:3], s[0:1], 0xcc
	s_waitcnt lgkmcnt(0)
	v_mul_hi_u32 v5, s5, v6
	s_delay_alu instid0(VALU_DEP_1) | instskip(NEXT) | instid1(VALU_DEP_1)
	v_add_nc_u32_e32 v5, v6, v5
	v_lshrrev_b32_e32 v5, s6, v5
	s_delay_alu instid0(VALU_DEP_1) | instskip(NEXT) | instid1(VALU_DEP_1)
	v_mul_lo_u32 v5, v5, s4
	v_sub_nc_u32_e32 v12, v6, v5
	s_delay_alu instid0(VALU_DEP_1) | instskip(SKIP_1) | instid1(VALU_DEP_1)
	v_mad_u64_u32 v[5:6], null, v12, s2, v[2:3]
	v_mad_u64_u32 v[10:11], null, v12, s3, v[7:8]
	v_dual_mov_b32 v2, v5 :: v_dual_mov_b32 v7, v10
.LBB231_55:
	v_cmp_ne_u32_e32 vcc_lo, 1, v3
	s_cbranch_vccnz .LBB231_61
; %bb.56:
	v_dual_mov_b32 v3, 0 :: v_dual_mov_b32 v6, 0
	s_cmp_lg_u32 s22, 0
	s_mov_b32 s6, 0
	s_cbranch_scc0 .LBB231_65
; %bb.57:
	s_min_u32 s7, s23, 15
	v_mov_b32_e32 v3, 0
	s_add_i32 s7, s7, 1
	s_cmp_eq_u32 s23, 2
	s_mov_b32 s10, 0
	s_cbranch_scc1 .LBB231_62
; %bb.58:
	v_dual_mov_b32 v6, 0 :: v_dual_mov_b32 v3, 0
	v_mov_b32_e32 v5, v8
	s_add_u32 s2, s0, 0xc4
	s_addc_u32 s3, s1, 0
	s_and_b32 s10, s7, 28
	s_mov_b32 s11, 0
	s_mov_b64 s[4:5], s[0:1]
.LBB231_59:                             ; =>This Inner Loop Header: Depth=1
	s_clause 0x1
	s_load_b256 s[12:19], s[4:5], 0x4
	s_load_b128 s[36:39], s[4:5], 0x24
	s_load_b256 s[24:31], s[2:3], 0x0
	s_add_u32 s4, s4, 48
	s_addc_u32 s5, s5, 0
	s_add_i32 s11, s11, 4
	s_add_u32 s2, s2, 32
	s_addc_u32 s3, s3, 0
	s_cmp_lg_u32 s10, s11
	s_waitcnt lgkmcnt(0)
	v_mul_hi_u32 v10, s13, v5
	s_delay_alu instid0(VALU_DEP_1) | instskip(NEXT) | instid1(VALU_DEP_1)
	v_add_nc_u32_e32 v10, v5, v10
	v_lshrrev_b32_e32 v10, s14, v10
	s_delay_alu instid0(VALU_DEP_1) | instskip(SKIP_1) | instid1(VALU_DEP_2)
	v_mul_hi_u32 v11, s16, v10
	v_mul_lo_u32 v13, v10, s12
	v_add_nc_u32_e32 v11, v10, v11
	s_delay_alu instid0(VALU_DEP_2) | instskip(NEXT) | instid1(VALU_DEP_2)
	v_sub_nc_u32_e32 v5, v5, v13
	v_lshrrev_b32_e32 v11, s17, v11
	s_delay_alu instid0(VALU_DEP_2) | instskip(SKIP_1) | instid1(VALU_DEP_3)
	v_mul_lo_u32 v13, v5, s24
	v_mul_lo_u32 v15, v5, s25
	v_mul_hi_u32 v12, s19, v11
	s_delay_alu instid0(VALU_DEP_1) | instskip(NEXT) | instid1(VALU_DEP_1)
	v_add_nc_u32_e32 v12, v11, v12
	v_lshrrev_b32_e32 v12, s36, v12
	s_delay_alu instid0(VALU_DEP_1) | instskip(SKIP_1) | instid1(VALU_DEP_2)
	v_mul_hi_u32 v14, s38, v12
	v_mul_lo_u32 v16, v12, s18
	v_add_nc_u32_e32 v5, v12, v14
	v_mul_lo_u32 v14, v11, s15
	s_delay_alu instid0(VALU_DEP_3) | instskip(NEXT) | instid1(VALU_DEP_3)
	v_sub_nc_u32_e32 v11, v11, v16
	v_lshrrev_b32_e32 v5, s39, v5
	s_delay_alu instid0(VALU_DEP_2) | instskip(SKIP_2) | instid1(VALU_DEP_4)
	v_mul_lo_u32 v16, v11, s28
	v_mul_lo_u32 v11, v11, s29
	v_sub_nc_u32_e32 v10, v10, v14
	v_mul_lo_u32 v17, v5, s37
	s_delay_alu instid0(VALU_DEP_2) | instskip(SKIP_1) | instid1(VALU_DEP_3)
	v_mul_lo_u32 v14, v10, s26
	v_mul_lo_u32 v10, v10, s27
	v_sub_nc_u32_e32 v12, v12, v17
	s_delay_alu instid0(VALU_DEP_3) | instskip(NEXT) | instid1(VALU_DEP_2)
	v_add3_u32 v3, v13, v3, v14
	v_mul_lo_u32 v17, v12, s30
	v_mul_lo_u32 v12, v12, s31
	v_add3_u32 v6, v15, v6, v10
	s_delay_alu instid0(VALU_DEP_3) | instskip(NEXT) | instid1(VALU_DEP_2)
	v_add3_u32 v3, v16, v3, v17
	v_add3_u32 v6, v11, v6, v12
	s_cbranch_scc1 .LBB231_59
; %bb.60:
	s_and_b32 s7, s7, 3
	s_delay_alu instid0(SALU_CYCLE_1)
	s_cmp_eq_u32 s7, 0
	s_cbranch_scc0 .LBB231_63
	s_branch .LBB231_65
.LBB231_61:
	s_mov_b32 s6, -1
                                        ; implicit-def: $vgpr3
                                        ; implicit-def: $vgpr6
	s_branch .LBB231_65
.LBB231_62:
	v_dual_mov_b32 v5, v8 :: v_dual_mov_b32 v6, 0
	s_and_b32 s7, s7, 3
	s_delay_alu instid0(SALU_CYCLE_1)
	s_cmp_eq_u32 s7, 0
	s_cbranch_scc1 .LBB231_65
.LBB231_63:
	s_lshl_b32 s2, s10, 3
	s_mul_i32 s4, s10, 12
	s_add_u32 s2, s2, s0
	s_addc_u32 s3, 0, s1
	s_add_u32 s2, s2, 0xc4
	s_addc_u32 s3, s3, 0
	;; [unrolled: 2-line block ×3, first 2 shown]
	.p2align	6
.LBB231_64:                             ; =>This Inner Loop Header: Depth=1
	s_clause 0x1
	s_load_b64 s[10:11], s[4:5], 0x4
	s_load_b32 s14, s[4:5], 0xc
	s_load_b64 s[12:13], s[2:3], 0x0
	s_add_u32 s4, s4, 12
	s_addc_u32 s5, s5, 0
	s_add_u32 s2, s2, 8
	s_addc_u32 s3, s3, 0
	s_add_i32 s7, s7, -1
	s_delay_alu instid0(SALU_CYCLE_1) | instskip(SKIP_2) | instid1(VALU_DEP_1)
	s_cmp_lg_u32 s7, 0
	s_waitcnt lgkmcnt(0)
	v_mul_hi_u32 v10, s11, v5
	v_add_nc_u32_e32 v10, v5, v10
	s_delay_alu instid0(VALU_DEP_1) | instskip(NEXT) | instid1(VALU_DEP_1)
	v_lshrrev_b32_e32 v13, s14, v10
	v_mul_lo_u32 v10, v13, s10
	s_delay_alu instid0(VALU_DEP_1) | instskip(NEXT) | instid1(VALU_DEP_1)
	v_sub_nc_u32_e32 v5, v5, v10
	v_mad_u64_u32 v[10:11], null, v5, s12, v[3:4]
	v_mad_u64_u32 v[11:12], null, v5, s13, v[6:7]
	v_mov_b32_e32 v5, v13
	s_delay_alu instid0(VALU_DEP_2)
	v_dual_mov_b32 v3, v10 :: v_dual_mov_b32 v6, v11
	s_cbranch_scc1 .LBB231_64
.LBB231_65:
	s_and_not1_b32 vcc_lo, exec_lo, s6
	s_cbranch_vccnz .LBB231_68
; %bb.66:
	s_clause 0x1
	s_load_b128 s[4:7], s[0:1], 0x4
	s_load_b64 s[2:3], s[0:1], 0xc4
	s_cmp_lt_u32 s22, 2
	s_waitcnt lgkmcnt(0)
	v_mul_hi_u32 v3, s5, v8
	s_delay_alu instid0(VALU_DEP_1) | instskip(NEXT) | instid1(VALU_DEP_1)
	v_add_nc_u32_e32 v3, v8, v3
	v_lshrrev_b32_e32 v5, s6, v3
	s_delay_alu instid0(VALU_DEP_1) | instskip(NEXT) | instid1(VALU_DEP_1)
	v_mul_lo_u32 v3, v5, s4
	v_sub_nc_u32_e32 v6, v8, v3
	s_delay_alu instid0(VALU_DEP_1)
	v_mul_lo_u32 v3, v6, s2
	v_mul_lo_u32 v6, v6, s3
	s_cbranch_scc1 .LBB231_68
; %bb.67:
	s_clause 0x1
	s_load_b128 s[4:7], s[0:1], 0x10
	s_load_b64 s[2:3], s[0:1], 0xcc
	s_waitcnt lgkmcnt(0)
	v_mul_hi_u32 v8, s5, v5
	s_delay_alu instid0(VALU_DEP_1) | instskip(NEXT) | instid1(VALU_DEP_1)
	v_add_nc_u32_e32 v8, v5, v8
	v_lshrrev_b32_e32 v8, s6, v8
	s_delay_alu instid0(VALU_DEP_1) | instskip(NEXT) | instid1(VALU_DEP_1)
	v_mul_lo_u32 v8, v8, s4
	v_sub_nc_u32_e32 v5, v5, v8
	s_delay_alu instid0(VALU_DEP_1) | instskip(SKIP_1) | instid1(VALU_DEP_1)
	v_mad_u64_u32 v[10:11], null, v5, s2, v[3:4]
	v_mad_u64_u32 v[11:12], null, v5, s3, v[6:7]
	v_dual_mov_b32 v3, v10 :: v_dual_mov_b32 v6, v11
.LBB231_68:
	s_load_b128 s[4:7], s[0:1], 0x148
	v_mov_b32_e32 v8, 0
	v_mov_b32_e32 v10, 0
	s_waitcnt lgkmcnt(0)
	global_load_b64 v[4:5], v4, s[6:7]
	s_waitcnt vmcnt(0)
	v_cmp_neq_f32_e32 vcc_lo, 0, v4
	v_cmp_neq_f32_e64 s0, 0, v5
	s_delay_alu instid0(VALU_DEP_1) | instskip(NEXT) | instid1(SALU_CYCLE_1)
	s_or_b32 s0, vcc_lo, s0
	s_and_saveexec_b32 s2, s0
	s_cbranch_execz .LBB231_136
; %bb.69:
	v_mov_b32_e32 v10, 0x7f800000
	s_mov_b32 s3, exec_lo
	v_cmpx_neq_f32_e64 0x7f800000, |v5|
	s_cbranch_execz .LBB231_135
; %bb.70:
	s_mov_b32 s0, exec_lo
	v_cmpx_o_f32_e32 v4, v4
	s_xor_b32 s10, exec_lo, s0
	s_cbranch_execz .LBB231_132
; %bb.71:
	s_mov_b32 s1, exec_lo
	v_cmpx_neq_f32_e64 0x7f800000, |v4|
	s_xor_b32 s11, exec_lo, s1
	s_cbranch_execz .LBB231_125
; %bb.72:
	v_max_f32_e64 v10, |v5|, |v5|
	v_max_f32_e64 v11, |v4|, |v4|
                                        ; implicit-def: $sgpr12
	s_delay_alu instid0(VALU_DEP_1) | instskip(NEXT) | instid1(VALU_DEP_1)
	v_max_f32_e32 v10, v11, v10
	v_cmp_nle_f32_e64 s0, 0x7ed413cb, v10
	s_delay_alu instid0(VALU_DEP_1) | instskip(NEXT) | instid1(SALU_CYCLE_1)
	s_and_saveexec_b32 s1, s0
	s_xor_b32 s1, exec_lo, s1
	s_cbranch_execz .LBB231_76
; %bb.73:
	v_cmp_ge_f32_e64 s12, 0x1000000, |v4|
	v_cmp_ge_f32_e64 s13, 0x1000000, |v5|
	s_delay_alu instid0(VALU_DEP_1)
	s_and_b32 s14, s12, s13
	s_mov_b32 s12, 0
	s_and_saveexec_b32 s13, s14
; %bb.74:
	v_dual_mul_f32 v4, 4.0, v4 :: v_dual_mul_f32 v5, 4.0, v5
	s_mov_b32 s12, exec_lo
; %bb.75:
	s_or_b32 exec_lo, exec_lo, s13
	s_delay_alu instid0(SALU_CYCLE_1)
	s_and_b32 s12, s12, exec_lo
.LBB231_76:
	s_and_not1_saveexec_b32 s1, s1
; %bb.77:
	v_dual_mul_f32 v4, 0x3e800000, v4 :: v_dual_mul_f32 v5, 0x3e800000, v5
	s_and_not1_b32 s12, s12, exec_lo
; %bb.78:
	s_or_b32 exec_lo, exec_lo, s1
	s_delay_alu instid0(VALU_DEP_1) | instskip(NEXT) | instid1(VALU_DEP_2)
	v_max_f32_e64 v10, |v5|, |v5|
	v_max_f32_e64 v11, |v4|, |v4|
	s_delay_alu instid0(VALU_DEP_1) | instskip(NEXT) | instid1(VALU_DEP_1)
	v_max_f32_e32 v12, v11, v10
	v_cvt_f64_f32_e32 v[10:11], v12
	s_delay_alu instid0(VALU_DEP_1) | instskip(NEXT) | instid1(VALU_DEP_1)
	v_frexp_exp_i32_f64_e32 v10, v[10:11]
	v_sub_nc_u32_e32 v11, 0, v10
	s_delay_alu instid0(VALU_DEP_1) | instskip(SKIP_1) | instid1(VALU_DEP_2)
	v_ldexp_f32 v13, |v5|, v11
	v_ldexp_f32 v11, |v4|, v11
	v_mul_f32_e32 v13, v13, v13
	v_cmp_neq_f32_e64 s1, 0x7f800000, v12
	s_delay_alu instid0(VALU_DEP_2) | instskip(NEXT) | instid1(VALU_DEP_1)
	v_fmac_f32_e32 v13, v11, v11
	v_sqrt_f32_e32 v11, v13
	s_waitcnt_depctr 0xfff
	v_ldexp_f32 v10, v11, v10
                                        ; implicit-def: $vgpr11
	s_delay_alu instid0(VALU_DEP_1)
	v_cndmask_b32_e64 v12, 0x7f800000, v10, s1
                                        ; implicit-def: $vgpr10
	s_mov_b32 s1, exec_lo
	v_cmpx_le_f32_e32 0, v4
	s_xor_b32 s13, exec_lo, s1
	s_cbranch_execz .LBB231_118
; %bb.79:
	v_add_f32_e32 v4, v4, v12
	s_delay_alu instid0(VALU_DEP_1) | instskip(NEXT) | instid1(VALU_DEP_1)
	v_mul_f32_e32 v4, 0.5, v4
	v_mul_f32_e32 v10, 0x4f800000, v4
	v_cmp_gt_f32_e32 vcc_lo, 0xf800000, v4
	s_delay_alu instid0(VALU_DEP_2) | instskip(NEXT) | instid1(VALU_DEP_1)
	v_cndmask_b32_e32 v4, v4, v10, vcc_lo
	v_sqrt_f32_e32 v10, v4
	s_waitcnt_depctr 0xfff
	v_add_nc_u32_e32 v11, -1, v10
	v_add_nc_u32_e32 v12, 1, v10
	s_delay_alu instid0(VALU_DEP_2) | instskip(NEXT) | instid1(VALU_DEP_2)
	v_fma_f32 v13, -v11, v10, v4
	v_fma_f32 v14, -v12, v10, v4
	s_delay_alu instid0(VALU_DEP_2) | instskip(NEXT) | instid1(VALU_DEP_1)
	v_cmp_ge_f32_e64 s1, 0, v13
	v_cndmask_b32_e64 v10, v10, v11, s1
	s_delay_alu instid0(VALU_DEP_3) | instskip(NEXT) | instid1(VALU_DEP_1)
	v_cmp_lt_f32_e64 s1, 0, v14
	v_cndmask_b32_e64 v10, v10, v12, s1
	s_delay_alu instid0(VALU_DEP_1) | instskip(NEXT) | instid1(VALU_DEP_1)
	v_mul_f32_e32 v11, 0x37800000, v10
	v_cndmask_b32_e32 v10, v10, v11, vcc_lo
	v_cmp_class_f32_e64 vcc_lo, v4, 0x260
	s_delay_alu instid0(VALU_DEP_2) | instskip(NEXT) | instid1(VALU_DEP_1)
	v_cndmask_b32_e32 v10, v10, v4, vcc_lo
	v_add_f32_e32 v4, v10, v10
	s_delay_alu instid0(VALU_DEP_1) | instskip(NEXT) | instid1(VALU_DEP_1)
	v_div_scale_f32 v11, null, v4, v4, v5
	v_rcp_f32_e32 v12, v11
	s_waitcnt_depctr 0xfff
	v_fma_f32 v13, -v11, v12, 1.0
	s_delay_alu instid0(VALU_DEP_1) | instskip(SKIP_1) | instid1(VALU_DEP_1)
	v_fmac_f32_e32 v12, v13, v12
	v_div_scale_f32 v13, vcc_lo, v5, v4, v5
	v_mul_f32_e32 v14, v13, v12
	s_delay_alu instid0(VALU_DEP_1) | instskip(NEXT) | instid1(VALU_DEP_1)
	v_fma_f32 v15, -v11, v14, v13
	v_fmac_f32_e32 v14, v15, v12
	s_delay_alu instid0(VALU_DEP_1) | instskip(NEXT) | instid1(VALU_DEP_1)
	v_fma_f32 v11, -v11, v14, v13
	v_div_fmas_f32 v11, v11, v12, v14
                                        ; implicit-def: $vgpr12
	s_delay_alu instid0(VALU_DEP_1)
	v_div_fixup_f32 v11, v11, v4, v5
                                        ; implicit-def: $vgpr4
	s_and_not1_saveexec_b32 s13, s13
	s_cbranch_execz .LBB231_120
	s_branch .LBB231_119
.LBB231_80:
	v_dual_mov_b32 v2, v5 :: v_dual_mov_b32 v1, 0
.LBB231_81:
	s_and_b32 s34, s34, 3
	s_delay_alu instid0(SALU_CYCLE_1)
	s_cmp_eq_u32 s34, 0
	s_cbranch_scc1 .LBB231_84
; %bb.82:
	s_lshl_b32 s2, s33, 3
	s_mul_i32 s20, s33, 12
	s_add_u32 s2, s2, s0
	s_addc_u32 s3, s1, 0
	s_add_u32 s2, s2, 0xc4
	s_addc_u32 s3, s3, 0
	;; [unrolled: 2-line block ×3, first 2 shown]
	.p2align	6
.LBB231_83:                             ; =>This Inner Loop Header: Depth=1
	s_clause 0x1
	s_load_b64 s[36:37], s[20:21], 0x4
	s_load_b32 s33, s[20:21], 0xc
	s_load_b64 s[38:39], s[2:3], 0x0
	s_add_u32 s20, s20, 12
	s_addc_u32 s21, s21, 0
	s_add_u32 s2, s2, 8
	s_addc_u32 s3, s3, 0
	s_add_i32 s34, s34, -1
	s_delay_alu instid0(SALU_CYCLE_1) | instskip(SKIP_2) | instid1(VALU_DEP_1)
	s_cmp_lg_u32 s34, 0
	s_waitcnt lgkmcnt(0)
	v_mul_hi_u32 v3, s37, v2
	v_add_nc_u32_e32 v3, v2, v3
	s_delay_alu instid0(VALU_DEP_1) | instskip(NEXT) | instid1(VALU_DEP_1)
	v_lshrrev_b32_e32 v8, s33, v3
	v_mul_lo_u32 v3, v8, s36
	s_delay_alu instid0(VALU_DEP_1) | instskip(NEXT) | instid1(VALU_DEP_1)
	v_sub_nc_u32_e32 v2, v2, v3
	v_mad_u64_u32 v[3:4], null, v2, s38, v[0:1]
	v_mad_u64_u32 v[6:7], null, v2, s39, v[1:2]
	v_mov_b32_e32 v2, v8
	s_delay_alu instid0(VALU_DEP_2)
	v_dual_mov_b32 v0, v3 :: v_dual_mov_b32 v1, v6
	s_cbranch_scc1 .LBB231_83
.LBB231_84:
	s_and_not1_b32 vcc_lo, exec_lo, s31
	s_cbranch_vccnz .LBB231_87
; %bb.85:
	s_waitcnt lgkmcnt(0)
	v_mul_hi_u32 v0, s13, v5
	s_and_not1_b32 vcc_lo, exec_lo, s26
	s_delay_alu instid0(VALU_DEP_1) | instskip(NEXT) | instid1(VALU_DEP_1)
	v_add_nc_u32_e32 v0, v5, v0
	v_lshrrev_b32_e32 v2, s14, v0
	s_delay_alu instid0(VALU_DEP_1) | instskip(NEXT) | instid1(VALU_DEP_1)
	v_mul_lo_u32 v0, v2, s12
	v_sub_nc_u32_e32 v1, v5, v0
	s_delay_alu instid0(VALU_DEP_1)
	v_mul_lo_u32 v0, v1, s8
	v_mul_lo_u32 v1, v1, s9
	s_cbranch_vccnz .LBB231_87
; %bb.86:
	v_mul_hi_u32 v3, s16, v2
	s_delay_alu instid0(VALU_DEP_1) | instskip(NEXT) | instid1(VALU_DEP_1)
	v_add_nc_u32_e32 v3, v2, v3
	v_lshrrev_b32_e32 v3, s17, v3
	s_delay_alu instid0(VALU_DEP_1) | instskip(NEXT) | instid1(VALU_DEP_1)
	v_mul_lo_u32 v3, v3, s15
	v_sub_nc_u32_e32 v6, v2, v3
	s_delay_alu instid0(VALU_DEP_1) | instskip(NEXT) | instid1(VALU_DEP_1)
	v_mad_u64_u32 v[2:3], null, v6, s10, v[0:1]
	v_mad_u64_u32 v[3:4], null, v6, s11, v[1:2]
	s_delay_alu instid0(VALU_DEP_1)
	v_dual_mov_b32 v0, v2 :: v_dual_mov_b32 v1, v3
.LBB231_87:
	s_waitcnt lgkmcnt(0)
	global_load_b64 v[1:2], v1, s[6:7]
	v_mov_b32_e32 v3, 0
	s_waitcnt vmcnt(0)
	v_cmp_neq_f32_e32 vcc_lo, 0, v1
	v_cmp_neq_f32_e64 s2, 0, v2
	s_delay_alu instid0(VALU_DEP_1) | instskip(NEXT) | instid1(SALU_CYCLE_1)
	s_or_b32 s2, vcc_lo, s2
	s_and_saveexec_b32 s20, s2
	s_cbranch_execz .LBB231_250
; %bb.88:
	v_mov_b32_e32 v3, 0x7f800000
	s_mov_b32 s21, exec_lo
	v_cmpx_neq_f32_e64 0x7f800000, |v2|
	s_cbranch_execz .LBB231_249
; %bb.89:
	s_mov_b32 s2, exec_lo
	v_cmpx_o_f32_e32 v1, v1
	s_xor_b32 s31, exec_lo, s2
	s_cbranch_execz .LBB231_246
; %bb.90:
	s_mov_b32 s3, exec_lo
	v_cmpx_neq_f32_e64 0x7f800000, |v1|
	s_xor_b32 s33, exec_lo, s3
	s_cbranch_execz .LBB231_239
; %bb.91:
	v_max_f32_e64 v3, |v2|, |v2|
	v_max_f32_e64 v4, |v1|, |v1|
                                        ; implicit-def: $sgpr34
	s_delay_alu instid0(VALU_DEP_1) | instskip(NEXT) | instid1(VALU_DEP_1)
	v_max_f32_e32 v3, v4, v3
	v_cmp_nle_f32_e64 s2, 0x7ed413cb, v3
	s_delay_alu instid0(VALU_DEP_1) | instskip(NEXT) | instid1(SALU_CYCLE_1)
	s_and_saveexec_b32 s3, s2
	s_xor_b32 s3, exec_lo, s3
	s_cbranch_execz .LBB231_95
; %bb.92:
	v_cmp_ge_f32_e64 s34, 0x1000000, |v1|
	v_cmp_ge_f32_e64 s35, 0x1000000, |v2|
	s_delay_alu instid0(VALU_DEP_1)
	s_and_b32 s36, s34, s35
	s_mov_b32 s34, 0
	s_and_saveexec_b32 s35, s36
; %bb.93:
	v_dual_mul_f32 v1, 4.0, v1 :: v_dual_mul_f32 v2, 4.0, v2
	s_mov_b32 s34, exec_lo
; %bb.94:
	s_or_b32 exec_lo, exec_lo, s35
	s_delay_alu instid0(SALU_CYCLE_1)
	s_and_b32 s34, s34, exec_lo
.LBB231_95:
	s_and_not1_saveexec_b32 s3, s3
; %bb.96:
	v_dual_mul_f32 v1, 0x3e800000, v1 :: v_dual_mul_f32 v2, 0x3e800000, v2
	s_and_not1_b32 s34, s34, exec_lo
; %bb.97:
	s_or_b32 exec_lo, exec_lo, s3
	s_delay_alu instid0(VALU_DEP_1) | instskip(NEXT) | instid1(VALU_DEP_2)
	v_max_f32_e64 v3, |v2|, |v2|
	v_max_f32_e64 v4, |v1|, |v1|
	s_delay_alu instid0(VALU_DEP_1) | instskip(NEXT) | instid1(VALU_DEP_1)
	v_max_f32_e32 v6, v4, v3
	v_cvt_f64_f32_e32 v[3:4], v6
	v_cmp_neq_f32_e64 s3, 0x7f800000, v6
	s_delay_alu instid0(VALU_DEP_2) | instskip(NEXT) | instid1(VALU_DEP_1)
	v_frexp_exp_i32_f64_e32 v3, v[3:4]
	v_sub_nc_u32_e32 v4, 0, v3
	s_delay_alu instid0(VALU_DEP_1) | instskip(SKIP_1) | instid1(VALU_DEP_2)
	v_ldexp_f32 v7, |v2|, v4
	v_ldexp_f32 v4, |v1|, v4
	v_mul_f32_e32 v7, v7, v7
	s_delay_alu instid0(VALU_DEP_1) | instskip(NEXT) | instid1(VALU_DEP_1)
	v_fmac_f32_e32 v7, v4, v4
	v_sqrt_f32_e32 v4, v7
	s_waitcnt_depctr 0xfff
	v_ldexp_f32 v3, v4, v3
                                        ; implicit-def: $vgpr4
	s_delay_alu instid0(VALU_DEP_1)
	v_cndmask_b32_e64 v6, 0x7f800000, v3, s3
                                        ; implicit-def: $vgpr3
	s_mov_b32 s3, exec_lo
	v_cmpx_le_f32_e32 0, v1
	s_xor_b32 s35, exec_lo, s3
	s_cbranch_execz .LBB231_228
; %bb.98:
	v_add_f32_e32 v1, v1, v6
	s_delay_alu instid0(VALU_DEP_1) | instskip(NEXT) | instid1(VALU_DEP_1)
	v_mul_f32_e32 v1, 0.5, v1
	v_mul_f32_e32 v3, 0x4f800000, v1
	v_cmp_gt_f32_e32 vcc_lo, 0xf800000, v1
	s_delay_alu instid0(VALU_DEP_2) | instskip(NEXT) | instid1(VALU_DEP_1)
	v_cndmask_b32_e32 v1, v1, v3, vcc_lo
	v_sqrt_f32_e32 v3, v1
	s_waitcnt_depctr 0xfff
	v_add_nc_u32_e32 v4, -1, v3
	v_add_nc_u32_e32 v6, 1, v3
	s_delay_alu instid0(VALU_DEP_2) | instskip(NEXT) | instid1(VALU_DEP_2)
	v_fma_f32 v7, -v4, v3, v1
	v_fma_f32 v8, -v6, v3, v1
	s_delay_alu instid0(VALU_DEP_2) | instskip(NEXT) | instid1(VALU_DEP_1)
	v_cmp_ge_f32_e64 s3, 0, v7
	v_cndmask_b32_e64 v3, v3, v4, s3
	s_delay_alu instid0(VALU_DEP_3) | instskip(NEXT) | instid1(VALU_DEP_1)
	v_cmp_lt_f32_e64 s3, 0, v8
	v_cndmask_b32_e64 v3, v3, v6, s3
	s_delay_alu instid0(VALU_DEP_1) | instskip(NEXT) | instid1(VALU_DEP_1)
	v_mul_f32_e32 v4, 0x37800000, v3
	v_cndmask_b32_e32 v3, v3, v4, vcc_lo
	v_cmp_class_f32_e64 vcc_lo, v1, 0x260
	s_delay_alu instid0(VALU_DEP_2) | instskip(NEXT) | instid1(VALU_DEP_1)
	v_cndmask_b32_e32 v3, v3, v1, vcc_lo
	v_add_f32_e32 v1, v3, v3
	s_delay_alu instid0(VALU_DEP_1) | instskip(NEXT) | instid1(VALU_DEP_1)
	v_div_scale_f32 v4, null, v1, v1, v2
	v_rcp_f32_e32 v6, v4
	s_waitcnt_depctr 0xfff
	v_fma_f32 v7, -v4, v6, 1.0
	s_delay_alu instid0(VALU_DEP_1) | instskip(SKIP_1) | instid1(VALU_DEP_1)
	v_fmac_f32_e32 v6, v7, v6
	v_div_scale_f32 v7, vcc_lo, v2, v1, v2
	v_mul_f32_e32 v8, v7, v6
	s_delay_alu instid0(VALU_DEP_1) | instskip(NEXT) | instid1(VALU_DEP_1)
	v_fma_f32 v9, -v4, v8, v7
	v_fmac_f32_e32 v8, v9, v6
	s_delay_alu instid0(VALU_DEP_1) | instskip(NEXT) | instid1(VALU_DEP_1)
	v_fma_f32 v4, -v4, v8, v7
	v_div_fmas_f32 v4, v4, v6, v8
                                        ; implicit-def: $vgpr6
	s_delay_alu instid0(VALU_DEP_1)
	v_div_fixup_f32 v4, v4, v1, v2
                                        ; implicit-def: $vgpr1
	s_and_not1_saveexec_b32 s35, s35
	s_cbranch_execz .LBB231_230
	s_branch .LBB231_229
.LBB231_99:
	v_dual_mov_b32 v2, v5 :: v_dual_mov_b32 v1, 0
.LBB231_100:
	s_and_b32 s34, s34, 3
	s_delay_alu instid0(SALU_CYCLE_1)
	s_cmp_eq_u32 s34, 0
	s_cbranch_scc1 .LBB231_103
; %bb.101:
	s_lshl_b32 s2, s33, 3
	s_mul_i32 s20, s33, 12
	s_add_u32 s2, s2, s0
	s_addc_u32 s3, s1, 0
	s_add_u32 s2, s2, 0xc4
	s_addc_u32 s3, s3, 0
	;; [unrolled: 2-line block ×3, first 2 shown]
	.p2align	6
.LBB231_102:                            ; =>This Inner Loop Header: Depth=1
	s_clause 0x1
	s_load_b64 s[36:37], s[20:21], 0x4
	s_load_b32 s33, s[20:21], 0xc
	s_load_b64 s[38:39], s[2:3], 0x0
	s_add_u32 s20, s20, 12
	s_addc_u32 s21, s21, 0
	s_add_u32 s2, s2, 8
	s_addc_u32 s3, s3, 0
	s_add_i32 s34, s34, -1
	s_delay_alu instid0(SALU_CYCLE_1) | instskip(SKIP_2) | instid1(VALU_DEP_1)
	s_cmp_lg_u32 s34, 0
	s_waitcnt lgkmcnt(0)
	v_mul_hi_u32 v3, s37, v2
	v_add_nc_u32_e32 v3, v2, v3
	s_delay_alu instid0(VALU_DEP_1) | instskip(NEXT) | instid1(VALU_DEP_1)
	v_lshrrev_b32_e32 v8, s33, v3
	v_mul_lo_u32 v3, v8, s36
	s_delay_alu instid0(VALU_DEP_1) | instskip(NEXT) | instid1(VALU_DEP_1)
	v_sub_nc_u32_e32 v2, v2, v3
	v_mad_u64_u32 v[3:4], null, v2, s38, v[0:1]
	v_mad_u64_u32 v[6:7], null, v2, s39, v[1:2]
	v_mov_b32_e32 v2, v8
	s_delay_alu instid0(VALU_DEP_2)
	v_dual_mov_b32 v0, v3 :: v_dual_mov_b32 v1, v6
	s_cbranch_scc1 .LBB231_102
.LBB231_103:
	s_and_not1_b32 vcc_lo, exec_lo, s31
	s_cbranch_vccnz .LBB231_106
; %bb.104:
	s_waitcnt lgkmcnt(0)
	v_mul_hi_u32 v0, s13, v5
	s_and_not1_b32 vcc_lo, exec_lo, s26
	s_delay_alu instid0(VALU_DEP_1) | instskip(NEXT) | instid1(VALU_DEP_1)
	v_add_nc_u32_e32 v0, v5, v0
	v_lshrrev_b32_e32 v2, s14, v0
	s_delay_alu instid0(VALU_DEP_1) | instskip(NEXT) | instid1(VALU_DEP_1)
	v_mul_lo_u32 v0, v2, s12
	v_sub_nc_u32_e32 v1, v5, v0
	s_delay_alu instid0(VALU_DEP_1)
	v_mul_lo_u32 v0, v1, s8
	v_mul_lo_u32 v1, v1, s9
	s_cbranch_vccnz .LBB231_106
; %bb.105:
	v_mul_hi_u32 v3, s16, v2
	s_delay_alu instid0(VALU_DEP_1) | instskip(NEXT) | instid1(VALU_DEP_1)
	v_add_nc_u32_e32 v3, v2, v3
	v_lshrrev_b32_e32 v3, s17, v3
	s_delay_alu instid0(VALU_DEP_1) | instskip(NEXT) | instid1(VALU_DEP_1)
	v_mul_lo_u32 v3, v3, s15
	v_sub_nc_u32_e32 v6, v2, v3
	s_delay_alu instid0(VALU_DEP_1) | instskip(NEXT) | instid1(VALU_DEP_1)
	v_mad_u64_u32 v[2:3], null, v6, s10, v[0:1]
	v_mad_u64_u32 v[3:4], null, v6, s11, v[1:2]
	s_delay_alu instid0(VALU_DEP_1)
	v_dual_mov_b32 v0, v2 :: v_dual_mov_b32 v1, v3
.LBB231_106:
	s_waitcnt lgkmcnt(0)
	global_load_b64 v[1:2], v1, s[6:7]
	v_mov_b32_e32 v3, 0
	s_waitcnt vmcnt(0)
	v_cmp_neq_f32_e32 vcc_lo, 0, v1
	v_cmp_neq_f32_e64 s2, 0, v2
	s_delay_alu instid0(VALU_DEP_1) | instskip(NEXT) | instid1(SALU_CYCLE_1)
	s_or_b32 s2, vcc_lo, s2
	s_and_saveexec_b32 s20, s2
	s_cbranch_execz .LBB231_266
; %bb.107:
	v_mov_b32_e32 v3, 0x7f800000
	s_mov_b32 s21, exec_lo
	v_cmpx_neq_f32_e64 0x7f800000, |v2|
	s_cbranch_execz .LBB231_265
; %bb.108:
	s_mov_b32 s2, exec_lo
	v_cmpx_o_f32_e32 v1, v1
	s_xor_b32 s31, exec_lo, s2
	s_cbranch_execz .LBB231_262
; %bb.109:
	s_mov_b32 s3, exec_lo
	v_cmpx_neq_f32_e64 0x7f800000, |v1|
	s_xor_b32 s33, exec_lo, s3
	s_cbranch_execz .LBB231_255
; %bb.110:
	v_max_f32_e64 v3, |v2|, |v2|
	v_max_f32_e64 v4, |v1|, |v1|
                                        ; implicit-def: $sgpr34
	s_delay_alu instid0(VALU_DEP_1) | instskip(NEXT) | instid1(VALU_DEP_1)
	v_max_f32_e32 v3, v4, v3
	v_cmp_nle_f32_e64 s2, 0x7ed413cb, v3
	s_delay_alu instid0(VALU_DEP_1) | instskip(NEXT) | instid1(SALU_CYCLE_1)
	s_and_saveexec_b32 s3, s2
	s_xor_b32 s3, exec_lo, s3
	s_cbranch_execz .LBB231_114
; %bb.111:
	v_cmp_ge_f32_e64 s34, 0x1000000, |v1|
	v_cmp_ge_f32_e64 s35, 0x1000000, |v2|
	s_delay_alu instid0(VALU_DEP_1)
	s_and_b32 s36, s34, s35
	s_mov_b32 s34, 0
	s_and_saveexec_b32 s35, s36
; %bb.112:
	v_dual_mul_f32 v1, 4.0, v1 :: v_dual_mul_f32 v2, 4.0, v2
	s_mov_b32 s34, exec_lo
; %bb.113:
	s_or_b32 exec_lo, exec_lo, s35
	s_delay_alu instid0(SALU_CYCLE_1)
	s_and_b32 s34, s34, exec_lo
.LBB231_114:
	s_and_not1_saveexec_b32 s3, s3
; %bb.115:
	v_dual_mul_f32 v1, 0x3e800000, v1 :: v_dual_mul_f32 v2, 0x3e800000, v2
	s_and_not1_b32 s34, s34, exec_lo
; %bb.116:
	s_or_b32 exec_lo, exec_lo, s3
	s_delay_alu instid0(VALU_DEP_1) | instskip(NEXT) | instid1(VALU_DEP_2)
	v_max_f32_e64 v3, |v2|, |v2|
	v_max_f32_e64 v4, |v1|, |v1|
	s_delay_alu instid0(VALU_DEP_1) | instskip(NEXT) | instid1(VALU_DEP_1)
	v_max_f32_e32 v6, v4, v3
	v_cvt_f64_f32_e32 v[3:4], v6
	v_cmp_neq_f32_e64 s3, 0x7f800000, v6
	s_delay_alu instid0(VALU_DEP_2) | instskip(NEXT) | instid1(VALU_DEP_1)
	v_frexp_exp_i32_f64_e32 v3, v[3:4]
	v_sub_nc_u32_e32 v4, 0, v3
	s_delay_alu instid0(VALU_DEP_1) | instskip(SKIP_1) | instid1(VALU_DEP_2)
	v_ldexp_f32 v7, |v2|, v4
	v_ldexp_f32 v4, |v1|, v4
	v_mul_f32_e32 v7, v7, v7
	s_delay_alu instid0(VALU_DEP_1) | instskip(NEXT) | instid1(VALU_DEP_1)
	v_fmac_f32_e32 v7, v4, v4
	v_sqrt_f32_e32 v4, v7
	s_waitcnt_depctr 0xfff
	v_ldexp_f32 v3, v4, v3
                                        ; implicit-def: $vgpr4
	s_delay_alu instid0(VALU_DEP_1)
	v_cndmask_b32_e64 v6, 0x7f800000, v3, s3
                                        ; implicit-def: $vgpr3
	s_mov_b32 s3, exec_lo
	v_cmpx_le_f32_e32 0, v1
	s_xor_b32 s35, exec_lo, s3
	s_cbranch_execz .LBB231_232
; %bb.117:
	v_add_f32_e32 v1, v1, v6
	s_delay_alu instid0(VALU_DEP_1) | instskip(NEXT) | instid1(VALU_DEP_1)
	v_mul_f32_e32 v1, 0.5, v1
	v_mul_f32_e32 v3, 0x4f800000, v1
	v_cmp_gt_f32_e32 vcc_lo, 0xf800000, v1
	s_delay_alu instid0(VALU_DEP_2) | instskip(NEXT) | instid1(VALU_DEP_1)
	v_cndmask_b32_e32 v1, v1, v3, vcc_lo
	v_sqrt_f32_e32 v3, v1
	s_waitcnt_depctr 0xfff
	v_add_nc_u32_e32 v4, -1, v3
	v_add_nc_u32_e32 v6, 1, v3
	s_delay_alu instid0(VALU_DEP_2) | instskip(NEXT) | instid1(VALU_DEP_2)
	v_fma_f32 v7, -v4, v3, v1
	v_fma_f32 v8, -v6, v3, v1
	s_delay_alu instid0(VALU_DEP_2) | instskip(NEXT) | instid1(VALU_DEP_1)
	v_cmp_ge_f32_e64 s3, 0, v7
	v_cndmask_b32_e64 v3, v3, v4, s3
	s_delay_alu instid0(VALU_DEP_3) | instskip(NEXT) | instid1(VALU_DEP_1)
	v_cmp_lt_f32_e64 s3, 0, v8
	v_cndmask_b32_e64 v3, v3, v6, s3
	s_delay_alu instid0(VALU_DEP_1) | instskip(NEXT) | instid1(VALU_DEP_1)
	v_mul_f32_e32 v4, 0x37800000, v3
	v_cndmask_b32_e32 v3, v3, v4, vcc_lo
	v_cmp_class_f32_e64 vcc_lo, v1, 0x260
	s_delay_alu instid0(VALU_DEP_2) | instskip(NEXT) | instid1(VALU_DEP_1)
	v_cndmask_b32_e32 v3, v3, v1, vcc_lo
	v_add_f32_e32 v1, v3, v3
	s_delay_alu instid0(VALU_DEP_1) | instskip(NEXT) | instid1(VALU_DEP_1)
	v_div_scale_f32 v4, null, v1, v1, v2
	v_rcp_f32_e32 v6, v4
	s_waitcnt_depctr 0xfff
	v_fma_f32 v7, -v4, v6, 1.0
	s_delay_alu instid0(VALU_DEP_1) | instskip(SKIP_1) | instid1(VALU_DEP_1)
	v_fmac_f32_e32 v6, v7, v6
	v_div_scale_f32 v7, vcc_lo, v2, v1, v2
	v_mul_f32_e32 v8, v7, v6
	s_delay_alu instid0(VALU_DEP_1) | instskip(NEXT) | instid1(VALU_DEP_1)
	v_fma_f32 v9, -v4, v8, v7
	v_fmac_f32_e32 v8, v9, v6
	s_delay_alu instid0(VALU_DEP_1) | instskip(NEXT) | instid1(VALU_DEP_1)
	v_fma_f32 v4, -v4, v8, v7
	v_div_fmas_f32 v4, v4, v6, v8
                                        ; implicit-def: $vgpr6
	s_delay_alu instid0(VALU_DEP_1)
	v_div_fixup_f32 v4, v4, v1, v2
                                        ; implicit-def: $vgpr1
	s_and_not1_saveexec_b32 s35, s35
	s_cbranch_execz .LBB231_234
	s_branch .LBB231_233
.LBB231_118:
	s_and_not1_saveexec_b32 s13, s13
	s_cbranch_execz .LBB231_120
.LBB231_119:
	v_sub_f32_e32 v4, v12, v4
	s_delay_alu instid0(VALU_DEP_1) | instskip(NEXT) | instid1(VALU_DEP_1)
	v_mul_f32_e32 v4, 0.5, v4
	v_mul_f32_e32 v10, 0x4f800000, v4
	v_cmp_gt_f32_e32 vcc_lo, 0xf800000, v4
	s_delay_alu instid0(VALU_DEP_2) | instskip(NEXT) | instid1(VALU_DEP_1)
	v_cndmask_b32_e32 v4, v4, v10, vcc_lo
	v_sqrt_f32_e32 v10, v4
	s_waitcnt_depctr 0xfff
	v_add_nc_u32_e32 v11, -1, v10
	v_add_nc_u32_e32 v12, 1, v10
	s_delay_alu instid0(VALU_DEP_2) | instskip(NEXT) | instid1(VALU_DEP_2)
	v_fma_f32 v13, -v11, v10, v4
	v_fma_f32 v14, -v12, v10, v4
	s_delay_alu instid0(VALU_DEP_2) | instskip(NEXT) | instid1(VALU_DEP_1)
	v_cmp_ge_f32_e64 s1, 0, v13
	v_cndmask_b32_e64 v10, v10, v11, s1
	s_delay_alu instid0(VALU_DEP_3) | instskip(NEXT) | instid1(VALU_DEP_1)
	v_cmp_lt_f32_e64 s1, 0, v14
	v_cndmask_b32_e64 v10, v10, v12, s1
	s_delay_alu instid0(VALU_DEP_1) | instskip(NEXT) | instid1(VALU_DEP_1)
	v_mul_f32_e32 v11, 0x37800000, v10
	v_cndmask_b32_e32 v10, v10, v11, vcc_lo
	v_cmp_class_f32_e64 vcc_lo, v4, 0x260
	s_delay_alu instid0(VALU_DEP_2) | instskip(NEXT) | instid1(VALU_DEP_1)
	v_cndmask_b32_e32 v4, v10, v4, vcc_lo
	v_dual_add_f32 v11, v4, v4 :: v_dual_and_b32 v10, 0x7fffffff, v5
	s_delay_alu instid0(VALU_DEP_1) | instskip(SKIP_1) | instid1(VALU_DEP_2)
	v_div_scale_f32 v12, null, v11, v11, v10
	v_div_scale_f32 v10, vcc_lo, v10, v11, v10
	v_rcp_f32_e32 v13, v12
	s_waitcnt_depctr 0xfff
	v_fma_f32 v14, -v12, v13, 1.0
	s_delay_alu instid0(VALU_DEP_1) | instskip(NEXT) | instid1(VALU_DEP_1)
	v_fmac_f32_e32 v13, v14, v13
	v_mul_f32_e32 v14, v10, v13
	s_delay_alu instid0(VALU_DEP_1) | instskip(NEXT) | instid1(VALU_DEP_1)
	v_fma_f32 v15, -v12, v14, v10
	v_fmac_f32_e32 v14, v15, v13
	s_delay_alu instid0(VALU_DEP_1) | instskip(NEXT) | instid1(VALU_DEP_1)
	v_fma_f32 v10, -v12, v14, v10
	v_div_fmas_f32 v10, v10, v13, v14
	s_delay_alu instid0(VALU_DEP_1)
	v_div_fixup_f32 v10, v10, v11, |v5|
	v_bfi_b32 v11, 0x7fffffff, v4, v5
.LBB231_120:
	s_or_b32 exec_lo, exec_lo, s13
                                        ; implicit-def: $vgpr5
	s_and_saveexec_b32 s1, s0
	s_delay_alu instid0(SALU_CYCLE_1)
	s_xor_b32 s0, exec_lo, s1
	s_cbranch_execz .LBB231_122
; %bb.121:
	v_dual_mul_f32 v4, 0.5, v10 :: v_dual_mul_f32 v5, 0.5, v11
	s_delay_alu instid0(VALU_DEP_1) | instskip(NEXT) | instid1(VALU_DEP_2)
	v_cndmask_b32_e64 v4, v10, v4, s12
	v_cndmask_b32_e64 v5, v11, v5, s12
                                        ; implicit-def: $vgpr10
                                        ; implicit-def: $vgpr11
	s_and_not1_saveexec_b32 s0, s0
	s_cbranch_execnz .LBB231_123
	s_branch .LBB231_124
.LBB231_122:
	s_and_not1_saveexec_b32 s0, s0
.LBB231_123:
	v_dual_add_f32 v4, v10, v10 :: v_dual_add_f32 v5, v11, v11
.LBB231_124:
	s_or_b32 exec_lo, exec_lo, s0
.LBB231_125:
	s_and_not1_saveexec_b32 s0, s11
	s_cbranch_execz .LBB231_131
; %bb.126:
	s_delay_alu instid0(VALU_DEP_1)
	v_sub_f32_e32 v10, v5, v5
	s_mov_b32 s1, exec_lo
	v_cmpx_lt_i32_e32 -1, v4
	s_xor_b32 s1, exec_lo, s1
; %bb.127:
	s_delay_alu instid0(VALU_DEP_2)
	v_bfi_b32 v5, 0x7fffffff, v10, v5
                                        ; implicit-def: $vgpr10
; %bb.128:
	s_and_not1_saveexec_b32 s1, s1
; %bb.129:
	v_and_b32_e32 v10, 0x7fffffff, v10
	s_delay_alu instid0(VALU_DEP_2) | instskip(NEXT) | instid1(VALU_DEP_2)
	v_bfi_b32 v5, 0x7fffffff, v4, v5
	v_mov_b32_e32 v4, v10
; %bb.130:
	s_or_b32 exec_lo, exec_lo, s1
.LBB231_131:
	s_delay_alu instid0(SALU_CYCLE_1)
	s_or_b32 exec_lo, exec_lo, s0
.LBB231_132:
	s_and_not1_saveexec_b32 s0, s10
; %bb.133:
	v_sub_f32_e32 v5, v5, v5
	s_delay_alu instid0(VALU_DEP_1) | instskip(NEXT) | instid1(VALU_DEP_1)
	v_div_scale_f32 v10, vcc_lo, v5, v5, v5
	v_rcp_f32_e32 v11, v10
	s_waitcnt_depctr 0xfff
	v_fma_f32 v12, -v10, v11, 1.0
	s_delay_alu instid0(VALU_DEP_1) | instskip(NEXT) | instid1(VALU_DEP_1)
	v_fmac_f32_e32 v11, v12, v11
	v_mul_f32_e32 v12, v10, v11
	s_delay_alu instid0(VALU_DEP_1) | instskip(NEXT) | instid1(VALU_DEP_1)
	v_fma_f32 v13, -v10, v12, v10
	v_fmac_f32_e32 v12, v13, v11
	s_delay_alu instid0(VALU_DEP_1) | instskip(NEXT) | instid1(VALU_DEP_1)
	v_fma_f32 v10, -v10, v12, v10
	v_div_fmas_f32 v10, v10, v11, v12
	s_delay_alu instid0(VALU_DEP_1)
	v_div_fixup_f32 v5, v10, v5, v5
; %bb.134:
	s_or_b32 exec_lo, exec_lo, s0
	v_mov_b32_e32 v10, v4
.LBB231_135:
	s_or_b32 exec_lo, exec_lo, s3
.LBB231_136:
	s_delay_alu instid0(SALU_CYCLE_1) | instskip(SKIP_4) | instid1(VALU_DEP_1)
	s_or_b32 exec_lo, exec_lo, s2
	global_load_b64 v[11:12], v9, s[6:7]
	s_waitcnt vmcnt(0)
	v_cmp_neq_f32_e32 vcc_lo, 0, v11
	v_cmp_neq_f32_e64 s0, 0, v12
	s_or_b32 s0, vcc_lo, s0
	s_delay_alu instid0(SALU_CYCLE_1)
	s_and_saveexec_b32 s2, s0
	s_cbranch_execz .LBB231_166
; %bb.137:
	v_mov_b32_e32 v8, 0x7f800000
	s_mov_b32 s3, exec_lo
	v_cmpx_neq_f32_e64 0x7f800000, |v12|
	s_cbranch_execz .LBB231_165
; %bb.138:
	s_mov_b32 s0, exec_lo
	v_cmpx_o_f32_e32 v11, v11
	s_xor_b32 s10, exec_lo, s0
	s_cbranch_execz .LBB231_162
; %bb.139:
	s_mov_b32 s1, exec_lo
	v_cmpx_neq_f32_e64 0x7f800000, |v11|
	s_xor_b32 s11, exec_lo, s1
	s_cbranch_execz .LBB231_155
; %bb.140:
	v_max_f32_e64 v4, |v12|, |v12|
	v_max_f32_e64 v8, |v11|, |v11|
                                        ; implicit-def: $sgpr12
	s_delay_alu instid0(VALU_DEP_1) | instskip(NEXT) | instid1(VALU_DEP_1)
	v_max_f32_e32 v4, v8, v4
	v_cmp_nle_f32_e64 s0, 0x7ed413cb, v4
	s_delay_alu instid0(VALU_DEP_1) | instskip(NEXT) | instid1(SALU_CYCLE_1)
	s_and_saveexec_b32 s1, s0
	s_xor_b32 s1, exec_lo, s1
	s_cbranch_execz .LBB231_144
; %bb.141:
	v_cmp_ge_f32_e64 s12, 0x1000000, |v11|
	v_cmp_ge_f32_e64 s13, 0x1000000, |v12|
	s_delay_alu instid0(VALU_DEP_1)
	s_and_b32 s14, s12, s13
	s_mov_b32 s12, 0
	s_and_saveexec_b32 s13, s14
; %bb.142:
	v_dual_mul_f32 v11, 4.0, v11 :: v_dual_mul_f32 v12, 4.0, v12
	s_mov_b32 s12, exec_lo
; %bb.143:
	s_or_b32 exec_lo, exec_lo, s13
	s_delay_alu instid0(SALU_CYCLE_1)
	s_and_b32 s12, s12, exec_lo
.LBB231_144:
	s_and_not1_saveexec_b32 s1, s1
; %bb.145:
	v_dual_mul_f32 v11, 0x3e800000, v11 :: v_dual_mul_f32 v12, 0x3e800000, v12
	s_and_not1_b32 s12, s12, exec_lo
; %bb.146:
	s_or_b32 exec_lo, exec_lo, s1
	s_delay_alu instid0(VALU_DEP_1) | instskip(NEXT) | instid1(VALU_DEP_2)
	v_max_f32_e64 v4, |v12|, |v12|
	v_max_f32_e64 v8, |v11|, |v11|
	s_delay_alu instid0(VALU_DEP_1) | instskip(NEXT) | instid1(VALU_DEP_1)
	v_max_f32_e32 v4, v8, v4
	v_cvt_f64_f32_e32 v[8:9], v4
	s_delay_alu instid0(VALU_DEP_1) | instskip(NEXT) | instid1(VALU_DEP_1)
	v_frexp_exp_i32_f64_e32 v8, v[8:9]
	v_sub_nc_u32_e32 v9, 0, v8
	s_delay_alu instid0(VALU_DEP_1) | instskip(SKIP_1) | instid1(VALU_DEP_2)
	v_ldexp_f32 v13, |v12|, v9
	v_ldexp_f32 v9, |v11|, v9
	v_mul_f32_e32 v13, v13, v13
	v_cmp_neq_f32_e64 s1, 0x7f800000, v4
                                        ; implicit-def: $vgpr4
	s_delay_alu instid0(VALU_DEP_2) | instskip(NEXT) | instid1(VALU_DEP_1)
	v_fmac_f32_e32 v13, v9, v9
	v_sqrt_f32_e32 v9, v13
	s_waitcnt_depctr 0xfff
	v_ldexp_f32 v8, v9, v8
	s_delay_alu instid0(VALU_DEP_1)
	v_cndmask_b32_e64 v9, 0x7f800000, v8, s1
                                        ; implicit-def: $vgpr8
	s_mov_b32 s1, exec_lo
	v_cmpx_le_f32_e32 0, v11
	s_xor_b32 s13, exec_lo, s1
	s_cbranch_execz .LBB231_148
; %bb.147:
	v_add_f32_e32 v4, v11, v9
	s_delay_alu instid0(VALU_DEP_1) | instskip(NEXT) | instid1(VALU_DEP_1)
	v_mul_f32_e32 v4, 0.5, v4
	v_mul_f32_e32 v8, 0x4f800000, v4
	v_cmp_gt_f32_e32 vcc_lo, 0xf800000, v4
	s_delay_alu instid0(VALU_DEP_2) | instskip(NEXT) | instid1(VALU_DEP_1)
	v_cndmask_b32_e32 v4, v4, v8, vcc_lo
	v_sqrt_f32_e32 v8, v4
	s_waitcnt_depctr 0xfff
	v_add_nc_u32_e32 v9, -1, v8
	v_add_nc_u32_e32 v11, 1, v8
	s_delay_alu instid0(VALU_DEP_2) | instskip(NEXT) | instid1(VALU_DEP_2)
	v_fma_f32 v13, -v9, v8, v4
	v_fma_f32 v14, -v11, v8, v4
	s_delay_alu instid0(VALU_DEP_2) | instskip(NEXT) | instid1(VALU_DEP_1)
	v_cmp_ge_f32_e64 s1, 0, v13
	v_cndmask_b32_e64 v8, v8, v9, s1
	s_delay_alu instid0(VALU_DEP_3) | instskip(NEXT) | instid1(VALU_DEP_1)
	v_cmp_lt_f32_e64 s1, 0, v14
	v_cndmask_b32_e64 v8, v8, v11, s1
	s_delay_alu instid0(VALU_DEP_1) | instskip(NEXT) | instid1(VALU_DEP_1)
	v_mul_f32_e32 v9, 0x37800000, v8
	v_cndmask_b32_e32 v8, v8, v9, vcc_lo
	v_cmp_class_f32_e64 vcc_lo, v4, 0x260
	s_delay_alu instid0(VALU_DEP_2) | instskip(NEXT) | instid1(VALU_DEP_1)
	v_cndmask_b32_e32 v4, v8, v4, vcc_lo
	v_add_f32_e32 v8, v4, v4
	s_delay_alu instid0(VALU_DEP_1) | instskip(NEXT) | instid1(VALU_DEP_1)
	v_div_scale_f32 v9, null, v8, v8, v12
	v_rcp_f32_e32 v11, v9
	s_waitcnt_depctr 0xfff
	v_fma_f32 v13, -v9, v11, 1.0
	s_delay_alu instid0(VALU_DEP_1) | instskip(SKIP_1) | instid1(VALU_DEP_1)
	v_fmac_f32_e32 v11, v13, v11
	v_div_scale_f32 v13, vcc_lo, v12, v8, v12
	v_mul_f32_e32 v14, v13, v11
	s_delay_alu instid0(VALU_DEP_1) | instskip(NEXT) | instid1(VALU_DEP_1)
	v_fma_f32 v15, -v9, v14, v13
	v_fmac_f32_e32 v14, v15, v11
	s_delay_alu instid0(VALU_DEP_1) | instskip(NEXT) | instid1(VALU_DEP_1)
	v_fma_f32 v9, -v9, v14, v13
	v_div_fmas_f32 v9, v9, v11, v14
                                        ; implicit-def: $vgpr11
	s_delay_alu instid0(VALU_DEP_1)
	v_div_fixup_f32 v8, v9, v8, v12
                                        ; implicit-def: $vgpr9
	s_and_not1_saveexec_b32 s13, s13
	s_cbranch_execz .LBB231_150
	s_branch .LBB231_149
.LBB231_148:
	s_and_not1_saveexec_b32 s13, s13
	s_cbranch_execz .LBB231_150
.LBB231_149:
	v_sub_f32_e32 v4, v9, v11
	s_delay_alu instid0(VALU_DEP_1) | instskip(NEXT) | instid1(VALU_DEP_1)
	v_mul_f32_e32 v4, 0.5, v4
	v_mul_f32_e32 v8, 0x4f800000, v4
	v_cmp_gt_f32_e32 vcc_lo, 0xf800000, v4
	s_delay_alu instid0(VALU_DEP_2) | instskip(NEXT) | instid1(VALU_DEP_1)
	v_cndmask_b32_e32 v4, v4, v8, vcc_lo
	v_sqrt_f32_e32 v8, v4
	s_waitcnt_depctr 0xfff
	v_add_nc_u32_e32 v9, -1, v8
	v_add_nc_u32_e32 v11, 1, v8
	s_delay_alu instid0(VALU_DEP_2) | instskip(NEXT) | instid1(VALU_DEP_2)
	v_fma_f32 v13, -v9, v8, v4
	v_fma_f32 v14, -v11, v8, v4
	s_delay_alu instid0(VALU_DEP_2) | instskip(NEXT) | instid1(VALU_DEP_1)
	v_cmp_ge_f32_e64 s1, 0, v13
	v_cndmask_b32_e64 v8, v8, v9, s1
	s_delay_alu instid0(VALU_DEP_3) | instskip(NEXT) | instid1(VALU_DEP_1)
	v_cmp_lt_f32_e64 s1, 0, v14
	v_cndmask_b32_e64 v8, v8, v11, s1
	s_delay_alu instid0(VALU_DEP_1) | instskip(NEXT) | instid1(VALU_DEP_1)
	v_mul_f32_e32 v9, 0x37800000, v8
	v_cndmask_b32_e32 v8, v8, v9, vcc_lo
	v_cmp_class_f32_e64 vcc_lo, v4, 0x260
	s_delay_alu instid0(VALU_DEP_2) | instskip(SKIP_1) | instid1(VALU_DEP_2)
	v_cndmask_b32_e32 v8, v8, v4, vcc_lo
	v_and_b32_e32 v4, 0x7fffffff, v12
	v_add_f32_e32 v9, v8, v8
	v_bfi_b32 v8, 0x7fffffff, v8, v12
	s_delay_alu instid0(VALU_DEP_2) | instskip(SKIP_1) | instid1(VALU_DEP_2)
	v_div_scale_f32 v11, null, v9, v9, v4
	v_div_scale_f32 v4, vcc_lo, v4, v9, v4
	v_rcp_f32_e32 v13, v11
	s_waitcnt_depctr 0xfff
	v_fma_f32 v14, -v11, v13, 1.0
	s_delay_alu instid0(VALU_DEP_1) | instskip(NEXT) | instid1(VALU_DEP_1)
	v_fmac_f32_e32 v13, v14, v13
	v_mul_f32_e32 v14, v4, v13
	s_delay_alu instid0(VALU_DEP_1) | instskip(NEXT) | instid1(VALU_DEP_1)
	v_fma_f32 v15, -v11, v14, v4
	v_fmac_f32_e32 v14, v15, v13
	s_delay_alu instid0(VALU_DEP_1) | instskip(NEXT) | instid1(VALU_DEP_1)
	v_fma_f32 v4, -v11, v14, v4
	v_div_fmas_f32 v4, v4, v13, v14
	s_delay_alu instid0(VALU_DEP_1)
	v_div_fixup_f32 v4, v4, v9, |v12|
.LBB231_150:
	s_or_b32 exec_lo, exec_lo, s13
                                        ; implicit-def: $vgpr12
	s_and_saveexec_b32 s1, s0
	s_delay_alu instid0(SALU_CYCLE_1)
	s_xor_b32 s0, exec_lo, s1
	s_cbranch_execz .LBB231_152
; %bb.151:
	v_mul_f32_e32 v9, 0.5, v4
	v_mul_f32_e32 v12, 0.5, v8
	s_delay_alu instid0(VALU_DEP_2) | instskip(NEXT) | instid1(VALU_DEP_2)
	v_cndmask_b32_e64 v11, v4, v9, s12
	v_cndmask_b32_e64 v12, v8, v12, s12
                                        ; implicit-def: $vgpr4
                                        ; implicit-def: $vgpr8
	s_and_not1_saveexec_b32 s0, s0
	s_cbranch_execnz .LBB231_153
	s_branch .LBB231_154
.LBB231_152:
	s_and_not1_saveexec_b32 s0, s0
.LBB231_153:
	v_add_f32_e32 v11, v4, v4
	v_add_f32_e32 v12, v8, v8
.LBB231_154:
	s_or_b32 exec_lo, exec_lo, s0
.LBB231_155:
	s_and_not1_saveexec_b32 s0, s11
	s_cbranch_execz .LBB231_161
; %bb.156:
	s_delay_alu instid0(VALU_DEP_1)
	v_sub_f32_e32 v4, v12, v12
	s_mov_b32 s1, exec_lo
	v_cmpx_lt_i32_e32 -1, v11
	s_xor_b32 s1, exec_lo, s1
; %bb.157:
	s_delay_alu instid0(VALU_DEP_2)
	v_bfi_b32 v12, 0x7fffffff, v4, v12
                                        ; implicit-def: $vgpr4
; %bb.158:
	s_and_not1_saveexec_b32 s1, s1
; %bb.159:
	v_and_b32_e32 v4, 0x7fffffff, v4
	s_delay_alu instid0(VALU_DEP_2) | instskip(NEXT) | instid1(VALU_DEP_2)
	v_bfi_b32 v12, 0x7fffffff, v11, v12
	v_mov_b32_e32 v11, v4
; %bb.160:
	s_or_b32 exec_lo, exec_lo, s1
.LBB231_161:
	s_delay_alu instid0(SALU_CYCLE_1)
	s_or_b32 exec_lo, exec_lo, s0
.LBB231_162:
	s_and_not1_saveexec_b32 s0, s10
; %bb.163:
	v_sub_f32_e32 v4, v12, v12
	s_delay_alu instid0(VALU_DEP_1) | instskip(NEXT) | instid1(VALU_DEP_1)
	v_div_scale_f32 v8, vcc_lo, v4, v4, v4
	v_rcp_f32_e32 v9, v8
	s_waitcnt_depctr 0xfff
	v_fma_f32 v12, -v8, v9, 1.0
	s_delay_alu instid0(VALU_DEP_1) | instskip(NEXT) | instid1(VALU_DEP_1)
	v_fmac_f32_e32 v9, v12, v9
	v_mul_f32_e32 v12, v8, v9
	s_delay_alu instid0(VALU_DEP_1) | instskip(NEXT) | instid1(VALU_DEP_1)
	v_fma_f32 v13, -v8, v12, v8
	v_fmac_f32_e32 v12, v13, v9
	s_delay_alu instid0(VALU_DEP_1) | instskip(NEXT) | instid1(VALU_DEP_1)
	v_fma_f32 v8, -v8, v12, v8
	v_div_fmas_f32 v8, v8, v9, v12
	s_delay_alu instid0(VALU_DEP_1)
	v_div_fixup_f32 v12, v8, v4, v4
; %bb.164:
	s_or_b32 exec_lo, exec_lo, s0
	v_mov_b32_e32 v8, v11
.LBB231_165:
	s_or_b32 exec_lo, exec_lo, s3
.LBB231_166:
	s_delay_alu instid0(SALU_CYCLE_1)
	s_or_b32 exec_lo, exec_lo, s2
	global_load_b64 v[13:14], v7, s[6:7]
	v_dual_mov_b32 v15, 0 :: v_dual_mov_b32 v4, 0
	s_waitcnt vmcnt(0)
	v_cmp_neq_f32_e32 vcc_lo, 0, v13
	v_cmp_neq_f32_e64 s0, 0, v14
	s_delay_alu instid0(VALU_DEP_1) | instskip(NEXT) | instid1(SALU_CYCLE_1)
	s_or_b32 s0, vcc_lo, s0
	s_and_saveexec_b32 s2, s0
	s_cbranch_execz .LBB231_196
; %bb.167:
	v_mov_b32_e32 v4, 0x7f800000
	s_mov_b32 s3, exec_lo
	v_cmpx_neq_f32_e64 0x7f800000, |v14|
	s_cbranch_execz .LBB231_195
; %bb.168:
	s_mov_b32 s0, exec_lo
	v_cmpx_o_f32_e32 v13, v13
	s_xor_b32 s10, exec_lo, s0
	s_cbranch_execz .LBB231_192
; %bb.169:
	s_mov_b32 s1, exec_lo
	v_cmpx_neq_f32_e64 0x7f800000, |v13|
	s_xor_b32 s11, exec_lo, s1
	s_cbranch_execz .LBB231_185
; %bb.170:
	v_max_f32_e64 v4, |v14|, |v14|
	v_max_f32_e64 v7, |v13|, |v13|
                                        ; implicit-def: $sgpr12
	s_delay_alu instid0(VALU_DEP_1) | instskip(NEXT) | instid1(VALU_DEP_1)
	v_max_f32_e32 v4, v7, v4
	v_cmp_nle_f32_e64 s0, 0x7ed413cb, v4
	s_delay_alu instid0(VALU_DEP_1) | instskip(NEXT) | instid1(SALU_CYCLE_1)
	s_and_saveexec_b32 s1, s0
	s_xor_b32 s1, exec_lo, s1
	s_cbranch_execz .LBB231_174
; %bb.171:
	v_cmp_ge_f32_e64 s12, 0x1000000, |v13|
	v_cmp_ge_f32_e64 s13, 0x1000000, |v14|
	s_delay_alu instid0(VALU_DEP_1)
	s_and_b32 s14, s12, s13
	s_mov_b32 s12, 0
	s_and_saveexec_b32 s13, s14
; %bb.172:
	v_dual_mul_f32 v13, 4.0, v13 :: v_dual_mul_f32 v14, 4.0, v14
	s_mov_b32 s12, exec_lo
; %bb.173:
	s_or_b32 exec_lo, exec_lo, s13
	s_delay_alu instid0(SALU_CYCLE_1)
	s_and_b32 s12, s12, exec_lo
.LBB231_174:
	s_and_not1_saveexec_b32 s1, s1
; %bb.175:
	v_dual_mul_f32 v13, 0x3e800000, v13 :: v_dual_mul_f32 v14, 0x3e800000, v14
	s_and_not1_b32 s12, s12, exec_lo
; %bb.176:
	s_or_b32 exec_lo, exec_lo, s1
	s_delay_alu instid0(VALU_DEP_1) | instskip(NEXT) | instid1(VALU_DEP_2)
	v_max_f32_e64 v4, |v14|, |v14|
	v_max_f32_e64 v7, |v13|, |v13|
	s_delay_alu instid0(VALU_DEP_1) | instskip(NEXT) | instid1(VALU_DEP_1)
	v_max_f32_e32 v4, v7, v4
	v_cvt_f64_f32_e32 v[16:17], v4
	s_delay_alu instid0(VALU_DEP_1) | instskip(NEXT) | instid1(VALU_DEP_1)
	v_frexp_exp_i32_f64_e32 v7, v[16:17]
	v_sub_nc_u32_e32 v9, 0, v7
	s_delay_alu instid0(VALU_DEP_1) | instskip(SKIP_1) | instid1(VALU_DEP_2)
	v_ldexp_f32 v11, |v14|, v9
	v_ldexp_f32 v9, |v13|, v9
	v_mul_f32_e32 v11, v11, v11
	s_delay_alu instid0(VALU_DEP_1) | instskip(SKIP_1) | instid1(VALU_DEP_2)
	v_fmac_f32_e32 v11, v9, v9
	v_cmp_neq_f32_e64 s1, 0x7f800000, v4
                                        ; implicit-def: $vgpr4
	v_sqrt_f32_e32 v9, v11
	s_waitcnt_depctr 0xfff
	v_ldexp_f32 v7, v9, v7
	s_delay_alu instid0(VALU_DEP_1)
	v_cndmask_b32_e64 v9, 0x7f800000, v7, s1
                                        ; implicit-def: $vgpr7
	s_mov_b32 s1, exec_lo
	v_cmpx_le_f32_e32 0, v13
	s_xor_b32 s13, exec_lo, s1
	s_cbranch_execz .LBB231_178
; %bb.177:
	v_add_f32_e32 v4, v13, v9
	s_delay_alu instid0(VALU_DEP_1) | instskip(NEXT) | instid1(VALU_DEP_1)
	v_mul_f32_e32 v4, 0.5, v4
	v_mul_f32_e32 v7, 0x4f800000, v4
	v_cmp_gt_f32_e32 vcc_lo, 0xf800000, v4
	s_delay_alu instid0(VALU_DEP_2) | instskip(NEXT) | instid1(VALU_DEP_1)
	v_cndmask_b32_e32 v4, v4, v7, vcc_lo
	v_sqrt_f32_e32 v7, v4
	s_waitcnt_depctr 0xfff
	v_add_nc_u32_e32 v9, -1, v7
	v_add_nc_u32_e32 v11, 1, v7
	s_delay_alu instid0(VALU_DEP_2) | instskip(NEXT) | instid1(VALU_DEP_2)
	v_fma_f32 v13, -v9, v7, v4
	v_fma_f32 v16, -v11, v7, v4
	s_delay_alu instid0(VALU_DEP_2) | instskip(NEXT) | instid1(VALU_DEP_1)
	v_cmp_ge_f32_e64 s1, 0, v13
	v_cndmask_b32_e64 v7, v7, v9, s1
	s_delay_alu instid0(VALU_DEP_3) | instskip(NEXT) | instid1(VALU_DEP_1)
	v_cmp_lt_f32_e64 s1, 0, v16
	v_cndmask_b32_e64 v7, v7, v11, s1
	s_delay_alu instid0(VALU_DEP_1) | instskip(NEXT) | instid1(VALU_DEP_1)
	v_mul_f32_e32 v9, 0x37800000, v7
	v_cndmask_b32_e32 v7, v7, v9, vcc_lo
	v_cmp_class_f32_e64 vcc_lo, v4, 0x260
	s_delay_alu instid0(VALU_DEP_2) | instskip(NEXT) | instid1(VALU_DEP_1)
	v_cndmask_b32_e32 v4, v7, v4, vcc_lo
	v_add_f32_e32 v7, v4, v4
	s_delay_alu instid0(VALU_DEP_1) | instskip(NEXT) | instid1(VALU_DEP_1)
	v_div_scale_f32 v9, null, v7, v7, v14
	v_rcp_f32_e32 v11, v9
	s_waitcnt_depctr 0xfff
	v_fma_f32 v13, -v9, v11, 1.0
	s_delay_alu instid0(VALU_DEP_1) | instskip(SKIP_1) | instid1(VALU_DEP_1)
	v_fmac_f32_e32 v11, v13, v11
	v_div_scale_f32 v13, vcc_lo, v14, v7, v14
	v_mul_f32_e32 v16, v13, v11
	s_delay_alu instid0(VALU_DEP_1) | instskip(NEXT) | instid1(VALU_DEP_1)
	v_fma_f32 v17, -v9, v16, v13
	v_fmac_f32_e32 v16, v17, v11
	s_delay_alu instid0(VALU_DEP_1) | instskip(NEXT) | instid1(VALU_DEP_1)
	v_fma_f32 v9, -v9, v16, v13
                                        ; implicit-def: $vgpr13
	v_div_fmas_f32 v9, v9, v11, v16
	s_delay_alu instid0(VALU_DEP_1)
	v_div_fixup_f32 v7, v9, v7, v14
                                        ; implicit-def: $vgpr9
	s_and_not1_saveexec_b32 s13, s13
	s_cbranch_execz .LBB231_180
	s_branch .LBB231_179
.LBB231_178:
	s_and_not1_saveexec_b32 s13, s13
	s_cbranch_execz .LBB231_180
.LBB231_179:
	v_sub_f32_e32 v4, v9, v13
	s_delay_alu instid0(VALU_DEP_1) | instskip(NEXT) | instid1(VALU_DEP_1)
	v_mul_f32_e32 v4, 0.5, v4
	v_mul_f32_e32 v7, 0x4f800000, v4
	v_cmp_gt_f32_e32 vcc_lo, 0xf800000, v4
	s_delay_alu instid0(VALU_DEP_2) | instskip(NEXT) | instid1(VALU_DEP_1)
	v_cndmask_b32_e32 v4, v4, v7, vcc_lo
	v_sqrt_f32_e32 v7, v4
	s_waitcnt_depctr 0xfff
	v_add_nc_u32_e32 v9, -1, v7
	v_add_nc_u32_e32 v11, 1, v7
	s_delay_alu instid0(VALU_DEP_2) | instskip(NEXT) | instid1(VALU_DEP_2)
	v_fma_f32 v13, -v9, v7, v4
	v_fma_f32 v16, -v11, v7, v4
	s_delay_alu instid0(VALU_DEP_2) | instskip(NEXT) | instid1(VALU_DEP_1)
	v_cmp_ge_f32_e64 s1, 0, v13
	v_cndmask_b32_e64 v7, v7, v9, s1
	s_delay_alu instid0(VALU_DEP_3) | instskip(NEXT) | instid1(VALU_DEP_1)
	v_cmp_lt_f32_e64 s1, 0, v16
	v_cndmask_b32_e64 v7, v7, v11, s1
	s_delay_alu instid0(VALU_DEP_1) | instskip(NEXT) | instid1(VALU_DEP_1)
	v_mul_f32_e32 v9, 0x37800000, v7
	v_cndmask_b32_e32 v7, v7, v9, vcc_lo
	v_cmp_class_f32_e64 vcc_lo, v4, 0x260
	s_delay_alu instid0(VALU_DEP_2) | instskip(NEXT) | instid1(VALU_DEP_1)
	v_dual_cndmask_b32 v7, v7, v4 :: v_dual_and_b32 v4, 0x7fffffff, v14
	v_add_f32_e32 v9, v7, v7
	v_bfi_b32 v7, 0x7fffffff, v7, v14
	s_delay_alu instid0(VALU_DEP_2) | instskip(SKIP_1) | instid1(VALU_DEP_2)
	v_div_scale_f32 v11, null, v9, v9, v4
	v_div_scale_f32 v4, vcc_lo, v4, v9, v4
	v_rcp_f32_e32 v13, v11
	s_waitcnt_depctr 0xfff
	v_fma_f32 v16, -v11, v13, 1.0
	s_delay_alu instid0(VALU_DEP_1) | instskip(NEXT) | instid1(VALU_DEP_1)
	v_fmac_f32_e32 v13, v16, v13
	v_mul_f32_e32 v16, v4, v13
	s_delay_alu instid0(VALU_DEP_1) | instskip(NEXT) | instid1(VALU_DEP_1)
	v_fma_f32 v17, -v11, v16, v4
	v_fmac_f32_e32 v16, v17, v13
	s_delay_alu instid0(VALU_DEP_1) | instskip(NEXT) | instid1(VALU_DEP_1)
	v_fma_f32 v4, -v11, v16, v4
	v_div_fmas_f32 v4, v4, v13, v16
	s_delay_alu instid0(VALU_DEP_1)
	v_div_fixup_f32 v4, v4, v9, |v14|
.LBB231_180:
	s_or_b32 exec_lo, exec_lo, s13
                                        ; implicit-def: $vgpr14
	s_and_saveexec_b32 s1, s0
	s_delay_alu instid0(SALU_CYCLE_1)
	s_xor_b32 s0, exec_lo, s1
	s_cbranch_execz .LBB231_182
; %bb.181:
	v_mul_f32_e32 v9, 0.5, v4
	v_mul_f32_e32 v11, 0.5, v7
	s_delay_alu instid0(VALU_DEP_2) | instskip(NEXT) | instid1(VALU_DEP_2)
	v_cndmask_b32_e64 v13, v4, v9, s12
	v_cndmask_b32_e64 v14, v7, v11, s12
                                        ; implicit-def: $vgpr4
                                        ; implicit-def: $vgpr7
	s_and_not1_saveexec_b32 s0, s0
	s_cbranch_execnz .LBB231_183
	s_branch .LBB231_184
.LBB231_182:
	s_and_not1_saveexec_b32 s0, s0
.LBB231_183:
	v_dual_add_f32 v13, v4, v4 :: v_dual_add_f32 v14, v7, v7
.LBB231_184:
	s_or_b32 exec_lo, exec_lo, s0
.LBB231_185:
	s_and_not1_saveexec_b32 s0, s11
	s_cbranch_execz .LBB231_191
; %bb.186:
	s_delay_alu instid0(VALU_DEP_1)
	v_sub_f32_e32 v4, v14, v14
	s_mov_b32 s1, exec_lo
	v_cmpx_lt_i32_e32 -1, v13
	s_xor_b32 s1, exec_lo, s1
; %bb.187:
	s_delay_alu instid0(VALU_DEP_2)
	v_bfi_b32 v14, 0x7fffffff, v4, v14
                                        ; implicit-def: $vgpr4
; %bb.188:
	s_and_not1_saveexec_b32 s1, s1
; %bb.189:
	v_and_b32_e32 v4, 0x7fffffff, v4
	s_delay_alu instid0(VALU_DEP_2) | instskip(NEXT) | instid1(VALU_DEP_2)
	v_bfi_b32 v14, 0x7fffffff, v13, v14
	v_mov_b32_e32 v13, v4
; %bb.190:
	s_or_b32 exec_lo, exec_lo, s1
.LBB231_191:
	s_delay_alu instid0(SALU_CYCLE_1)
	s_or_b32 exec_lo, exec_lo, s0
.LBB231_192:
	s_and_not1_saveexec_b32 s0, s10
; %bb.193:
	v_sub_f32_e32 v4, v14, v14
	s_delay_alu instid0(VALU_DEP_1) | instskip(NEXT) | instid1(VALU_DEP_1)
	v_div_scale_f32 v7, vcc_lo, v4, v4, v4
	v_rcp_f32_e32 v9, v7
	s_waitcnt_depctr 0xfff
	v_fma_f32 v11, -v7, v9, 1.0
	s_delay_alu instid0(VALU_DEP_1) | instskip(NEXT) | instid1(VALU_DEP_1)
	v_fmac_f32_e32 v9, v11, v9
	v_mul_f32_e32 v11, v7, v9
	s_delay_alu instid0(VALU_DEP_1) | instskip(NEXT) | instid1(VALU_DEP_1)
	v_fma_f32 v14, -v7, v11, v7
	v_fmac_f32_e32 v11, v14, v9
	s_delay_alu instid0(VALU_DEP_1) | instskip(NEXT) | instid1(VALU_DEP_1)
	v_fma_f32 v7, -v7, v11, v7
	v_div_fmas_f32 v7, v7, v9, v11
	s_delay_alu instid0(VALU_DEP_1)
	v_div_fixup_f32 v14, v7, v4, v4
; %bb.194:
	s_or_b32 exec_lo, exec_lo, s0
	v_mov_b32_e32 v4, v13
.LBB231_195:
	s_or_b32 exec_lo, exec_lo, s3
.LBB231_196:
	s_delay_alu instid0(SALU_CYCLE_1) | instskip(SKIP_4) | instid1(VALU_DEP_1)
	s_or_b32 exec_lo, exec_lo, s2
	global_load_b64 v[6:7], v6, s[6:7]
	s_waitcnt vmcnt(0)
	v_cmp_neq_f32_e32 vcc_lo, 0, v6
	v_cmp_neq_f32_e64 s0, 0, v7
	s_or_b32 s0, vcc_lo, s0
	s_delay_alu instid0(SALU_CYCLE_1)
	s_and_saveexec_b32 s2, s0
	s_cbranch_execz .LBB231_226
; %bb.197:
	v_mov_b32_e32 v15, 0x7f800000
	s_mov_b32 s3, exec_lo
	v_cmpx_neq_f32_e64 0x7f800000, |v7|
	s_cbranch_execz .LBB231_225
; %bb.198:
	s_mov_b32 s0, exec_lo
	v_cmpx_o_f32_e32 v6, v6
	s_xor_b32 s6, exec_lo, s0
	s_cbranch_execz .LBB231_222
; %bb.199:
	s_mov_b32 s1, exec_lo
	v_cmpx_neq_f32_e64 0x7f800000, |v6|
	s_xor_b32 s7, exec_lo, s1
	s_cbranch_execz .LBB231_215
; %bb.200:
	v_max_f32_e64 v9, |v7|, |v7|
	v_max_f32_e64 v11, |v6|, |v6|
                                        ; implicit-def: $sgpr10
	s_delay_alu instid0(VALU_DEP_1) | instskip(NEXT) | instid1(VALU_DEP_1)
	v_max_f32_e32 v9, v11, v9
	v_cmp_nle_f32_e64 s0, 0x7ed413cb, v9
	s_delay_alu instid0(VALU_DEP_1) | instskip(NEXT) | instid1(SALU_CYCLE_1)
	s_and_saveexec_b32 s1, s0
	s_xor_b32 s1, exec_lo, s1
	s_cbranch_execz .LBB231_204
; %bb.201:
	v_cmp_ge_f32_e64 s10, 0x1000000, |v6|
	v_cmp_ge_f32_e64 s11, 0x1000000, |v7|
	s_delay_alu instid0(VALU_DEP_1)
	s_and_b32 s12, s10, s11
	s_mov_b32 s10, 0
	s_and_saveexec_b32 s11, s12
; %bb.202:
	v_dual_mul_f32 v6, 4.0, v6 :: v_dual_mul_f32 v7, 4.0, v7
	s_mov_b32 s10, exec_lo
; %bb.203:
	s_or_b32 exec_lo, exec_lo, s11
	s_delay_alu instid0(SALU_CYCLE_1)
	s_and_b32 s10, s10, exec_lo
.LBB231_204:
	s_and_not1_saveexec_b32 s1, s1
; %bb.205:
	v_dual_mul_f32 v6, 0x3e800000, v6 :: v_dual_mul_f32 v7, 0x3e800000, v7
	s_and_not1_b32 s10, s10, exec_lo
; %bb.206:
	s_or_b32 exec_lo, exec_lo, s1
	s_delay_alu instid0(VALU_DEP_1) | instskip(NEXT) | instid1(VALU_DEP_2)
	v_max_f32_e64 v9, |v7|, |v7|
	v_max_f32_e64 v11, |v6|, |v6|
	s_delay_alu instid0(VALU_DEP_1) | instskip(NEXT) | instid1(VALU_DEP_1)
	v_max_f32_e32 v9, v11, v9
	v_cvt_f64_f32_e32 v[15:16], v9
	v_cmp_neq_f32_e64 s1, 0x7f800000, v9
                                        ; implicit-def: $vgpr9
	s_delay_alu instid0(VALU_DEP_2) | instskip(NEXT) | instid1(VALU_DEP_1)
	v_frexp_exp_i32_f64_e32 v11, v[15:16]
	v_sub_nc_u32_e32 v13, 0, v11
	s_delay_alu instid0(VALU_DEP_1) | instskip(SKIP_1) | instid1(VALU_DEP_2)
	v_ldexp_f32 v15, |v7|, v13
	v_ldexp_f32 v13, |v6|, v13
	v_mul_f32_e32 v15, v15, v15
	s_delay_alu instid0(VALU_DEP_1) | instskip(NEXT) | instid1(VALU_DEP_1)
	v_fmac_f32_e32 v15, v13, v13
	v_sqrt_f32_e32 v13, v15
	s_waitcnt_depctr 0xfff
	v_ldexp_f32 v11, v13, v11
	s_delay_alu instid0(VALU_DEP_1)
	v_cndmask_b32_e64 v13, 0x7f800000, v11, s1
                                        ; implicit-def: $vgpr11
	s_mov_b32 s1, exec_lo
	v_cmpx_le_f32_e32 0, v6
	s_xor_b32 s11, exec_lo, s1
	s_cbranch_execz .LBB231_208
; %bb.207:
	v_add_f32_e32 v6, v6, v13
	s_delay_alu instid0(VALU_DEP_1) | instskip(NEXT) | instid1(VALU_DEP_1)
	v_mul_f32_e32 v6, 0.5, v6
	v_mul_f32_e32 v9, 0x4f800000, v6
	v_cmp_gt_f32_e32 vcc_lo, 0xf800000, v6
	s_delay_alu instid0(VALU_DEP_2) | instskip(NEXT) | instid1(VALU_DEP_1)
	v_cndmask_b32_e32 v6, v6, v9, vcc_lo
	v_sqrt_f32_e32 v9, v6
	s_waitcnt_depctr 0xfff
	v_add_nc_u32_e32 v11, -1, v9
	v_add_nc_u32_e32 v13, 1, v9
	s_delay_alu instid0(VALU_DEP_2) | instskip(NEXT) | instid1(VALU_DEP_2)
	v_fma_f32 v15, -v11, v9, v6
	v_fma_f32 v16, -v13, v9, v6
	s_delay_alu instid0(VALU_DEP_2) | instskip(NEXT) | instid1(VALU_DEP_1)
	v_cmp_ge_f32_e64 s1, 0, v15
	v_cndmask_b32_e64 v9, v9, v11, s1
	s_delay_alu instid0(VALU_DEP_3) | instskip(NEXT) | instid1(VALU_DEP_1)
	v_cmp_lt_f32_e64 s1, 0, v16
	v_cndmask_b32_e64 v9, v9, v13, s1
	s_delay_alu instid0(VALU_DEP_1) | instskip(NEXT) | instid1(VALU_DEP_1)
	v_mul_f32_e32 v11, 0x37800000, v9
	v_cndmask_b32_e32 v9, v9, v11, vcc_lo
	v_cmp_class_f32_e64 vcc_lo, v6, 0x260
	s_delay_alu instid0(VALU_DEP_2) | instskip(NEXT) | instid1(VALU_DEP_1)
	v_cndmask_b32_e32 v9, v9, v6, vcc_lo
	v_add_f32_e32 v6, v9, v9
	s_delay_alu instid0(VALU_DEP_1) | instskip(NEXT) | instid1(VALU_DEP_1)
	v_div_scale_f32 v11, null, v6, v6, v7
	v_rcp_f32_e32 v13, v11
	s_waitcnt_depctr 0xfff
	v_fma_f32 v15, -v11, v13, 1.0
	s_delay_alu instid0(VALU_DEP_1) | instskip(SKIP_1) | instid1(VALU_DEP_1)
	v_fmac_f32_e32 v13, v15, v13
	v_div_scale_f32 v15, vcc_lo, v7, v6, v7
	v_mul_f32_e32 v16, v15, v13
	s_delay_alu instid0(VALU_DEP_1) | instskip(NEXT) | instid1(VALU_DEP_1)
	v_fma_f32 v17, -v11, v16, v15
	v_fmac_f32_e32 v16, v17, v13
	s_delay_alu instid0(VALU_DEP_1) | instskip(NEXT) | instid1(VALU_DEP_1)
	v_fma_f32 v11, -v11, v16, v15
	v_div_fmas_f32 v11, v11, v13, v16
                                        ; implicit-def: $vgpr13
	s_delay_alu instid0(VALU_DEP_1)
	v_div_fixup_f32 v11, v11, v6, v7
                                        ; implicit-def: $vgpr6
	s_and_not1_saveexec_b32 s11, s11
	s_cbranch_execz .LBB231_210
	s_branch .LBB231_209
.LBB231_208:
	s_and_not1_saveexec_b32 s11, s11
	s_cbranch_execz .LBB231_210
.LBB231_209:
	v_sub_f32_e32 v6, v13, v6
	s_delay_alu instid0(VALU_DEP_1) | instskip(NEXT) | instid1(VALU_DEP_1)
	v_mul_f32_e32 v6, 0.5, v6
	v_mul_f32_e32 v9, 0x4f800000, v6
	v_cmp_gt_f32_e32 vcc_lo, 0xf800000, v6
	s_delay_alu instid0(VALU_DEP_2) | instskip(NEXT) | instid1(VALU_DEP_1)
	v_cndmask_b32_e32 v6, v6, v9, vcc_lo
	v_sqrt_f32_e32 v9, v6
	s_waitcnt_depctr 0xfff
	v_add_nc_u32_e32 v11, -1, v9
	v_add_nc_u32_e32 v13, 1, v9
	s_delay_alu instid0(VALU_DEP_2) | instskip(NEXT) | instid1(VALU_DEP_2)
	v_fma_f32 v15, -v11, v9, v6
	v_fma_f32 v16, -v13, v9, v6
	s_delay_alu instid0(VALU_DEP_2) | instskip(NEXT) | instid1(VALU_DEP_1)
	v_cmp_ge_f32_e64 s1, 0, v15
	v_cndmask_b32_e64 v9, v9, v11, s1
	s_delay_alu instid0(VALU_DEP_3) | instskip(NEXT) | instid1(VALU_DEP_1)
	v_cmp_lt_f32_e64 s1, 0, v16
	v_cndmask_b32_e64 v9, v9, v13, s1
	s_delay_alu instid0(VALU_DEP_1) | instskip(NEXT) | instid1(VALU_DEP_1)
	v_mul_f32_e32 v11, 0x37800000, v9
	v_cndmask_b32_e32 v9, v9, v11, vcc_lo
	v_cmp_class_f32_e64 vcc_lo, v6, 0x260
	s_delay_alu instid0(VALU_DEP_2) | instskip(NEXT) | instid1(VALU_DEP_1)
	v_dual_cndmask_b32 v6, v9, v6 :: v_dual_and_b32 v9, 0x7fffffff, v7
	v_add_f32_e32 v11, v6, v6
	s_delay_alu instid0(VALU_DEP_1) | instskip(SKIP_1) | instid1(VALU_DEP_2)
	v_div_scale_f32 v13, null, v11, v11, v9
	v_div_scale_f32 v9, vcc_lo, v9, v11, v9
	v_rcp_f32_e32 v15, v13
	s_waitcnt_depctr 0xfff
	v_fma_f32 v16, -v13, v15, 1.0
	s_delay_alu instid0(VALU_DEP_1) | instskip(NEXT) | instid1(VALU_DEP_1)
	v_fmac_f32_e32 v15, v16, v15
	v_mul_f32_e32 v16, v9, v15
	s_delay_alu instid0(VALU_DEP_1) | instskip(NEXT) | instid1(VALU_DEP_1)
	v_fma_f32 v17, -v13, v16, v9
	v_fmac_f32_e32 v16, v17, v15
	s_delay_alu instid0(VALU_DEP_1) | instskip(NEXT) | instid1(VALU_DEP_1)
	v_fma_f32 v9, -v13, v16, v9
	v_div_fmas_f32 v9, v9, v15, v16
	s_delay_alu instid0(VALU_DEP_1)
	v_div_fixup_f32 v9, v9, v11, |v7|
	v_bfi_b32 v11, 0x7fffffff, v6, v7
.LBB231_210:
	s_or_b32 exec_lo, exec_lo, s11
                                        ; implicit-def: $vgpr7
	s_and_saveexec_b32 s1, s0
	s_delay_alu instid0(SALU_CYCLE_1)
	s_xor_b32 s0, exec_lo, s1
	s_cbranch_execz .LBB231_212
; %bb.211:
	v_dual_mul_f32 v6, 0.5, v9 :: v_dual_mul_f32 v7, 0.5, v11
	s_delay_alu instid0(VALU_DEP_1) | instskip(NEXT) | instid1(VALU_DEP_2)
	v_cndmask_b32_e64 v6, v9, v6, s10
	v_cndmask_b32_e64 v7, v11, v7, s10
                                        ; implicit-def: $vgpr9
                                        ; implicit-def: $vgpr11
	s_and_not1_saveexec_b32 s0, s0
	s_cbranch_execnz .LBB231_213
	s_branch .LBB231_214
.LBB231_212:
	s_and_not1_saveexec_b32 s0, s0
.LBB231_213:
	v_dual_add_f32 v6, v9, v9 :: v_dual_add_f32 v7, v11, v11
.LBB231_214:
	s_or_b32 exec_lo, exec_lo, s0
.LBB231_215:
	s_and_not1_saveexec_b32 s0, s7
	s_cbranch_execz .LBB231_221
; %bb.216:
	s_delay_alu instid0(VALU_DEP_1)
	v_sub_f32_e32 v9, v7, v7
	s_mov_b32 s1, exec_lo
	v_cmpx_lt_i32_e32 -1, v6
	s_xor_b32 s1, exec_lo, s1
; %bb.217:
	s_delay_alu instid0(VALU_DEP_2)
	v_bfi_b32 v7, 0x7fffffff, v9, v7
                                        ; implicit-def: $vgpr9
; %bb.218:
	s_and_not1_saveexec_b32 s1, s1
; %bb.219:
	v_and_b32_e32 v9, 0x7fffffff, v9
	s_delay_alu instid0(VALU_DEP_2) | instskip(NEXT) | instid1(VALU_DEP_2)
	v_bfi_b32 v7, 0x7fffffff, v6, v7
	v_mov_b32_e32 v6, v9
; %bb.220:
	s_or_b32 exec_lo, exec_lo, s1
.LBB231_221:
	s_delay_alu instid0(SALU_CYCLE_1)
	s_or_b32 exec_lo, exec_lo, s0
.LBB231_222:
	s_and_not1_saveexec_b32 s0, s6
; %bb.223:
	v_sub_f32_e32 v7, v7, v7
	s_delay_alu instid0(VALU_DEP_1) | instskip(NEXT) | instid1(VALU_DEP_1)
	v_div_scale_f32 v9, vcc_lo, v7, v7, v7
	v_rcp_f32_e32 v11, v9
	s_waitcnt_depctr 0xfff
	v_fma_f32 v13, -v9, v11, 1.0
	s_delay_alu instid0(VALU_DEP_1) | instskip(NEXT) | instid1(VALU_DEP_1)
	v_fmac_f32_e32 v11, v13, v11
	v_mul_f32_e32 v13, v9, v11
	s_delay_alu instid0(VALU_DEP_1) | instskip(NEXT) | instid1(VALU_DEP_1)
	v_fma_f32 v15, -v9, v13, v9
	v_fmac_f32_e32 v13, v15, v11
	s_delay_alu instid0(VALU_DEP_1) | instskip(NEXT) | instid1(VALU_DEP_1)
	v_fma_f32 v9, -v9, v13, v9
	v_div_fmas_f32 v9, v9, v11, v13
	s_delay_alu instid0(VALU_DEP_1)
	v_div_fixup_f32 v7, v9, v7, v7
; %bb.224:
	s_or_b32 exec_lo, exec_lo, s0
	v_mov_b32_e32 v15, v6
.LBB231_225:
	s_or_b32 exec_lo, exec_lo, s3
.LBB231_226:
	s_delay_alu instid0(SALU_CYCLE_1)
	s_or_b32 exec_lo, exec_lo, s2
	v_mov_b32_e32 v9, v12
	v_add_co_u32 v12, s0, s4, v3
	v_mov_b32_e32 v11, v5
	v_add_co_ci_u32_e64 v13, null, s5, 0, s0
	v_mov_b32_e32 v5, v14
	s_or_b32 s8, s8, exec_lo
	s_clause 0x3
	global_store_b64 v0, v[10:11], s[4:5]
	global_store_b64 v1, v[8:9], s[4:5]
	global_store_b64 v2, v[4:5], s[4:5]
	global_store_b32 v3, v15, s[4:5]
	s_or_b32 exec_lo, exec_lo, s9
	s_and_saveexec_b32 s0, s8
	s_cbranch_execnz .LBB231_358
.LBB231_227:
	s_nop 0
	s_sendmsg sendmsg(MSG_DEALLOC_VGPRS)
	s_endpgm
.LBB231_228:
	s_and_not1_saveexec_b32 s35, s35
	s_cbranch_execz .LBB231_230
.LBB231_229:
	v_sub_f32_e32 v1, v6, v1
	s_delay_alu instid0(VALU_DEP_1) | instskip(NEXT) | instid1(VALU_DEP_1)
	v_mul_f32_e32 v1, 0.5, v1
	v_mul_f32_e32 v3, 0x4f800000, v1
	v_cmp_gt_f32_e32 vcc_lo, 0xf800000, v1
	s_delay_alu instid0(VALU_DEP_2) | instskip(NEXT) | instid1(VALU_DEP_1)
	v_cndmask_b32_e32 v1, v1, v3, vcc_lo
	v_sqrt_f32_e32 v3, v1
	s_waitcnt_depctr 0xfff
	v_add_nc_u32_e32 v4, -1, v3
	v_add_nc_u32_e32 v6, 1, v3
	s_delay_alu instid0(VALU_DEP_2) | instskip(NEXT) | instid1(VALU_DEP_2)
	v_fma_f32 v7, -v4, v3, v1
	v_fma_f32 v8, -v6, v3, v1
	s_delay_alu instid0(VALU_DEP_2) | instskip(NEXT) | instid1(VALU_DEP_1)
	v_cmp_ge_f32_e64 s3, 0, v7
	v_cndmask_b32_e64 v3, v3, v4, s3
	s_delay_alu instid0(VALU_DEP_3) | instskip(NEXT) | instid1(VALU_DEP_1)
	v_cmp_lt_f32_e64 s3, 0, v8
	v_cndmask_b32_e64 v3, v3, v6, s3
	s_delay_alu instid0(VALU_DEP_1) | instskip(NEXT) | instid1(VALU_DEP_1)
	v_mul_f32_e32 v4, 0x37800000, v3
	v_cndmask_b32_e32 v3, v3, v4, vcc_lo
	v_cmp_class_f32_e64 vcc_lo, v1, 0x260
	s_delay_alu instid0(VALU_DEP_2) | instskip(NEXT) | instid1(VALU_DEP_1)
	v_cndmask_b32_e32 v1, v3, v1, vcc_lo
	v_dual_add_f32 v4, v1, v1 :: v_dual_and_b32 v3, 0x7fffffff, v2
	s_delay_alu instid0(VALU_DEP_1) | instskip(SKIP_1) | instid1(VALU_DEP_2)
	v_div_scale_f32 v6, null, v4, v4, v3
	v_div_scale_f32 v3, vcc_lo, v3, v4, v3
	v_rcp_f32_e32 v7, v6
	s_waitcnt_depctr 0xfff
	v_fma_f32 v8, -v6, v7, 1.0
	s_delay_alu instid0(VALU_DEP_1) | instskip(NEXT) | instid1(VALU_DEP_1)
	v_fmac_f32_e32 v7, v8, v7
	v_mul_f32_e32 v8, v3, v7
	s_delay_alu instid0(VALU_DEP_1) | instskip(NEXT) | instid1(VALU_DEP_1)
	v_fma_f32 v9, -v6, v8, v3
	v_fmac_f32_e32 v8, v9, v7
	s_delay_alu instid0(VALU_DEP_1) | instskip(NEXT) | instid1(VALU_DEP_1)
	v_fma_f32 v3, -v6, v8, v3
	v_div_fmas_f32 v3, v3, v7, v8
	s_delay_alu instid0(VALU_DEP_1)
	v_div_fixup_f32 v3, v3, v4, |v2|
	v_bfi_b32 v4, 0x7fffffff, v1, v2
.LBB231_230:
	s_or_b32 exec_lo, exec_lo, s35
                                        ; implicit-def: $vgpr2
	s_and_saveexec_b32 s3, s2
	s_delay_alu instid0(SALU_CYCLE_1)
	s_xor_b32 s2, exec_lo, s3
	s_cbranch_execz .LBB231_236
; %bb.231:
	v_dual_mul_f32 v1, 0.5, v3 :: v_dual_mul_f32 v2, 0.5, v4
	s_delay_alu instid0(VALU_DEP_1) | instskip(NEXT) | instid1(VALU_DEP_2)
	v_cndmask_b32_e64 v1, v3, v1, s34
	v_cndmask_b32_e64 v2, v4, v2, s34
                                        ; implicit-def: $vgpr3
                                        ; implicit-def: $vgpr4
	s_and_not1_saveexec_b32 s2, s2
	s_cbranch_execnz .LBB231_237
	s_branch .LBB231_238
.LBB231_232:
	s_and_not1_saveexec_b32 s35, s35
	s_cbranch_execz .LBB231_234
.LBB231_233:
	v_sub_f32_e32 v1, v6, v1
	s_delay_alu instid0(VALU_DEP_1) | instskip(NEXT) | instid1(VALU_DEP_1)
	v_mul_f32_e32 v1, 0.5, v1
	v_mul_f32_e32 v3, 0x4f800000, v1
	v_cmp_gt_f32_e32 vcc_lo, 0xf800000, v1
	s_delay_alu instid0(VALU_DEP_2) | instskip(NEXT) | instid1(VALU_DEP_1)
	v_cndmask_b32_e32 v1, v1, v3, vcc_lo
	v_sqrt_f32_e32 v3, v1
	s_waitcnt_depctr 0xfff
	v_add_nc_u32_e32 v4, -1, v3
	v_add_nc_u32_e32 v6, 1, v3
	s_delay_alu instid0(VALU_DEP_2) | instskip(NEXT) | instid1(VALU_DEP_2)
	v_fma_f32 v7, -v4, v3, v1
	v_fma_f32 v8, -v6, v3, v1
	s_delay_alu instid0(VALU_DEP_2) | instskip(NEXT) | instid1(VALU_DEP_1)
	v_cmp_ge_f32_e64 s3, 0, v7
	v_cndmask_b32_e64 v3, v3, v4, s3
	s_delay_alu instid0(VALU_DEP_3) | instskip(NEXT) | instid1(VALU_DEP_1)
	v_cmp_lt_f32_e64 s3, 0, v8
	v_cndmask_b32_e64 v3, v3, v6, s3
	s_delay_alu instid0(VALU_DEP_1) | instskip(NEXT) | instid1(VALU_DEP_1)
	v_mul_f32_e32 v4, 0x37800000, v3
	v_cndmask_b32_e32 v3, v3, v4, vcc_lo
	v_cmp_class_f32_e64 vcc_lo, v1, 0x260
	s_delay_alu instid0(VALU_DEP_2) | instskip(NEXT) | instid1(VALU_DEP_1)
	v_cndmask_b32_e32 v1, v3, v1, vcc_lo
	v_dual_add_f32 v4, v1, v1 :: v_dual_and_b32 v3, 0x7fffffff, v2
	s_delay_alu instid0(VALU_DEP_1) | instskip(SKIP_1) | instid1(VALU_DEP_2)
	v_div_scale_f32 v6, null, v4, v4, v3
	v_div_scale_f32 v3, vcc_lo, v3, v4, v3
	v_rcp_f32_e32 v7, v6
	s_waitcnt_depctr 0xfff
	v_fma_f32 v8, -v6, v7, 1.0
	s_delay_alu instid0(VALU_DEP_1) | instskip(NEXT) | instid1(VALU_DEP_1)
	v_fmac_f32_e32 v7, v8, v7
	v_mul_f32_e32 v8, v3, v7
	s_delay_alu instid0(VALU_DEP_1) | instskip(NEXT) | instid1(VALU_DEP_1)
	v_fma_f32 v9, -v6, v8, v3
	v_fmac_f32_e32 v8, v9, v7
	s_delay_alu instid0(VALU_DEP_1) | instskip(NEXT) | instid1(VALU_DEP_1)
	v_fma_f32 v3, -v6, v8, v3
	v_div_fmas_f32 v3, v3, v7, v8
	s_delay_alu instid0(VALU_DEP_1)
	v_div_fixup_f32 v3, v3, v4, |v2|
	v_bfi_b32 v4, 0x7fffffff, v1, v2
.LBB231_234:
	s_or_b32 exec_lo, exec_lo, s35
                                        ; implicit-def: $vgpr2
	s_and_saveexec_b32 s3, s2
	s_delay_alu instid0(SALU_CYCLE_1)
	s_xor_b32 s2, exec_lo, s3
	s_cbranch_execz .LBB231_252
; %bb.235:
	v_dual_mul_f32 v1, 0.5, v3 :: v_dual_mul_f32 v2, 0.5, v4
	s_delay_alu instid0(VALU_DEP_1) | instskip(NEXT) | instid1(VALU_DEP_2)
	v_cndmask_b32_e64 v1, v3, v1, s34
	v_cndmask_b32_e64 v2, v4, v2, s34
                                        ; implicit-def: $vgpr3
                                        ; implicit-def: $vgpr4
	s_and_not1_saveexec_b32 s2, s2
	s_cbranch_execnz .LBB231_253
	s_branch .LBB231_254
.LBB231_236:
	s_and_not1_saveexec_b32 s2, s2
.LBB231_237:
	v_dual_add_f32 v1, v3, v3 :: v_dual_add_f32 v2, v4, v4
.LBB231_238:
	s_or_b32 exec_lo, exec_lo, s2
.LBB231_239:
	s_and_not1_saveexec_b32 s2, s33
	s_cbranch_execz .LBB231_245
; %bb.240:
	s_delay_alu instid0(VALU_DEP_1)
	v_sub_f32_e32 v3, v2, v2
	s_mov_b32 s3, exec_lo
	v_cmpx_lt_i32_e32 -1, v1
	s_xor_b32 s3, exec_lo, s3
; %bb.241:
	s_delay_alu instid0(VALU_DEP_2)
	v_bfi_b32 v2, 0x7fffffff, v3, v2
                                        ; implicit-def: $vgpr3
; %bb.242:
	s_and_not1_saveexec_b32 s3, s3
; %bb.243:
	v_and_b32_e32 v3, 0x7fffffff, v3
	s_delay_alu instid0(VALU_DEP_2) | instskip(NEXT) | instid1(VALU_DEP_2)
	v_bfi_b32 v2, 0x7fffffff, v1, v2
	v_mov_b32_e32 v1, v3
; %bb.244:
	s_or_b32 exec_lo, exec_lo, s3
.LBB231_245:
	s_delay_alu instid0(SALU_CYCLE_1)
	s_or_b32 exec_lo, exec_lo, s2
.LBB231_246:
	s_and_not1_saveexec_b32 s2, s31
; %bb.247:
	v_sub_f32_e32 v2, v2, v2
	s_delay_alu instid0(VALU_DEP_1) | instskip(NEXT) | instid1(VALU_DEP_1)
	v_div_scale_f32 v3, vcc_lo, v2, v2, v2
	v_rcp_f32_e32 v4, v3
	s_waitcnt_depctr 0xfff
	v_fma_f32 v6, -v3, v4, 1.0
	s_delay_alu instid0(VALU_DEP_1) | instskip(NEXT) | instid1(VALU_DEP_1)
	v_fmac_f32_e32 v4, v6, v4
	v_mul_f32_e32 v6, v3, v4
	s_delay_alu instid0(VALU_DEP_1) | instskip(NEXT) | instid1(VALU_DEP_1)
	v_fma_f32 v7, -v3, v6, v3
	v_fmac_f32_e32 v6, v7, v4
	s_delay_alu instid0(VALU_DEP_1) | instskip(NEXT) | instid1(VALU_DEP_1)
	v_fma_f32 v3, -v3, v6, v3
	v_div_fmas_f32 v3, v3, v4, v6
	s_delay_alu instid0(VALU_DEP_1)
	v_div_fixup_f32 v2, v3, v2, v2
; %bb.248:
	s_or_b32 exec_lo, exec_lo, s2
	v_mov_b32_e32 v3, v1
.LBB231_249:
	s_or_b32 exec_lo, exec_lo, s21
.LBB231_250:
	s_delay_alu instid0(SALU_CYCLE_1) | instskip(SKIP_3) | instid1(SALU_CYCLE_1)
	s_or_b32 exec_lo, exec_lo, s20
	v_dual_mov_b32 v4, v2 :: v_dual_add_nc_u32 v5, 0x80, v5
	global_store_b64 v0, v[3:4], s[4:5]
	s_or_b32 exec_lo, exec_lo, s30
	s_mov_b32 s30, exec_lo
	v_cmpx_gt_i32_e64 s27, v5
	s_cbranch_execnz .LBB231_15
.LBB231_251:
	s_or_b32 exec_lo, exec_lo, s30
	s_delay_alu instid0(SALU_CYCLE_1)
	s_mov_b32 s30, exec_lo
	v_cmpx_gt_i32_e64 s27, v5
	s_cbranch_execnz .LBB231_267
	s_branch .LBB231_311
.LBB231_252:
	s_and_not1_saveexec_b32 s2, s2
.LBB231_253:
	v_dual_add_f32 v1, v3, v3 :: v_dual_add_f32 v2, v4, v4
.LBB231_254:
	s_or_b32 exec_lo, exec_lo, s2
.LBB231_255:
	s_and_not1_saveexec_b32 s2, s33
	s_cbranch_execz .LBB231_261
; %bb.256:
	s_delay_alu instid0(VALU_DEP_1)
	v_sub_f32_e32 v3, v2, v2
	s_mov_b32 s3, exec_lo
	v_cmpx_lt_i32_e32 -1, v1
	s_xor_b32 s3, exec_lo, s3
; %bb.257:
	s_delay_alu instid0(VALU_DEP_2)
	v_bfi_b32 v2, 0x7fffffff, v3, v2
                                        ; implicit-def: $vgpr3
; %bb.258:
	s_and_not1_saveexec_b32 s3, s3
; %bb.259:
	v_and_b32_e32 v3, 0x7fffffff, v3
	s_delay_alu instid0(VALU_DEP_2) | instskip(NEXT) | instid1(VALU_DEP_2)
	v_bfi_b32 v2, 0x7fffffff, v1, v2
	v_mov_b32_e32 v1, v3
; %bb.260:
	s_or_b32 exec_lo, exec_lo, s3
.LBB231_261:
	s_delay_alu instid0(SALU_CYCLE_1)
	s_or_b32 exec_lo, exec_lo, s2
.LBB231_262:
	s_and_not1_saveexec_b32 s2, s31
; %bb.263:
	v_sub_f32_e32 v2, v2, v2
	s_delay_alu instid0(VALU_DEP_1) | instskip(NEXT) | instid1(VALU_DEP_1)
	v_div_scale_f32 v3, vcc_lo, v2, v2, v2
	v_rcp_f32_e32 v4, v3
	s_waitcnt_depctr 0xfff
	v_fma_f32 v6, -v3, v4, 1.0
	s_delay_alu instid0(VALU_DEP_1) | instskip(NEXT) | instid1(VALU_DEP_1)
	v_fmac_f32_e32 v4, v6, v4
	v_mul_f32_e32 v6, v3, v4
	s_delay_alu instid0(VALU_DEP_1) | instskip(NEXT) | instid1(VALU_DEP_1)
	v_fma_f32 v7, -v3, v6, v3
	v_fmac_f32_e32 v6, v7, v4
	s_delay_alu instid0(VALU_DEP_1) | instskip(NEXT) | instid1(VALU_DEP_1)
	v_fma_f32 v3, -v3, v6, v3
	v_div_fmas_f32 v3, v3, v4, v6
	s_delay_alu instid0(VALU_DEP_1)
	v_div_fixup_f32 v2, v3, v2, v2
; %bb.264:
	s_or_b32 exec_lo, exec_lo, s2
	v_mov_b32_e32 v3, v1
.LBB231_265:
	s_or_b32 exec_lo, exec_lo, s21
.LBB231_266:
	s_delay_alu instid0(SALU_CYCLE_1) | instskip(SKIP_3) | instid1(SALU_CYCLE_1)
	s_or_b32 exec_lo, exec_lo, s20
	v_dual_mov_b32 v4, v2 :: v_dual_add_nc_u32 v5, 0x80, v5
	global_store_b64 v0, v[3:4], s[4:5]
	s_or_b32 exec_lo, exec_lo, s30
	s_mov_b32 s30, exec_lo
	v_cmpx_gt_i32_e64 s27, v5
	s_cbranch_execz .LBB231_311
.LBB231_267:
	s_and_not1_b32 vcc_lo, exec_lo, s24
	s_cbranch_vccnz .LBB231_272
; %bb.268:
	v_dual_mov_b32 v0, 0 :: v_dual_mov_b32 v1, 0
	s_and_not1_b32 vcc_lo, exec_lo, s29
	s_mov_b32 s31, 0
	s_cbranch_vccnz .LBB231_277
; %bb.269:
	v_mov_b32_e32 v0, 0
	s_add_i32 s34, s28, 1
	s_cmp_eq_u32 s23, 2
	s_mov_b32 s33, 0
	s_cbranch_scc1 .LBB231_273
; %bb.270:
	v_dual_mov_b32 v1, 0 :: v_dual_mov_b32 v0, 0
	v_mov_b32_e32 v2, v5
	s_and_b32 s33, s34, 28
	s_mov_b32 s35, 0
	s_mov_b64 s[2:3], s[18:19]
	s_mov_b64 s[20:21], s[0:1]
.LBB231_271:                            ; =>This Inner Loop Header: Depth=1
	s_clause 0x1
	s_load_b256 s[36:43], s[20:21], 0x4
	s_load_b128 s[52:55], s[20:21], 0x24
	s_load_b256 s[44:51], s[2:3], 0x0
	s_add_u32 s20, s20, 48
	s_addc_u32 s21, s21, 0
	s_add_i32 s35, s35, 4
	s_add_u32 s2, s2, 32
	s_addc_u32 s3, s3, 0
	s_cmp_eq_u32 s33, s35
	s_waitcnt lgkmcnt(0)
	v_mul_hi_u32 v3, s37, v2
	s_delay_alu instid0(VALU_DEP_1) | instskip(NEXT) | instid1(VALU_DEP_1)
	v_add_nc_u32_e32 v3, v2, v3
	v_lshrrev_b32_e32 v3, s38, v3
	s_delay_alu instid0(VALU_DEP_1) | instskip(SKIP_1) | instid1(VALU_DEP_2)
	v_mul_hi_u32 v4, s40, v3
	v_mul_lo_u32 v7, v3, s36
	v_add_nc_u32_e32 v4, v3, v4
	s_delay_alu instid0(VALU_DEP_2) | instskip(NEXT) | instid1(VALU_DEP_2)
	v_sub_nc_u32_e32 v2, v2, v7
	v_lshrrev_b32_e32 v4, s41, v4
	s_delay_alu instid0(VALU_DEP_2) | instskip(SKIP_1) | instid1(VALU_DEP_3)
	v_mul_lo_u32 v7, v2, s44
	v_mul_lo_u32 v9, v2, s45
	v_mul_hi_u32 v6, s43, v4
	s_delay_alu instid0(VALU_DEP_1) | instskip(NEXT) | instid1(VALU_DEP_1)
	v_add_nc_u32_e32 v6, v4, v6
	v_lshrrev_b32_e32 v6, s52, v6
	s_delay_alu instid0(VALU_DEP_1) | instskip(SKIP_1) | instid1(VALU_DEP_2)
	v_mul_hi_u32 v8, s54, v6
	v_mul_lo_u32 v10, v6, s42
	v_add_nc_u32_e32 v2, v6, v8
	v_mul_lo_u32 v8, v4, s39
	s_delay_alu instid0(VALU_DEP_3) | instskip(NEXT) | instid1(VALU_DEP_3)
	v_sub_nc_u32_e32 v4, v4, v10
	v_lshrrev_b32_e32 v2, s55, v2
	s_delay_alu instid0(VALU_DEP_2) | instskip(SKIP_2) | instid1(VALU_DEP_4)
	v_mul_lo_u32 v10, v4, s48
	v_mul_lo_u32 v4, v4, s49
	v_sub_nc_u32_e32 v3, v3, v8
	v_mul_lo_u32 v11, v2, s53
	s_delay_alu instid0(VALU_DEP_2) | instskip(SKIP_1) | instid1(VALU_DEP_3)
	v_mul_lo_u32 v8, v3, s46
	v_mul_lo_u32 v3, v3, s47
	v_sub_nc_u32_e32 v6, v6, v11
	s_delay_alu instid0(VALU_DEP_3) | instskip(NEXT) | instid1(VALU_DEP_2)
	v_add3_u32 v0, v7, v0, v8
	v_mul_lo_u32 v11, v6, s50
	v_mul_lo_u32 v6, v6, s51
	v_add3_u32 v1, v9, v1, v3
	s_delay_alu instid0(VALU_DEP_3) | instskip(NEXT) | instid1(VALU_DEP_2)
	v_add3_u32 v0, v10, v0, v11
	v_add3_u32 v1, v4, v1, v6
	s_cbranch_scc0 .LBB231_271
	s_branch .LBB231_274
.LBB231_272:
	s_mov_b32 s31, -1
                                        ; implicit-def: $vgpr0
                                        ; implicit-def: $vgpr1
	s_branch .LBB231_277
.LBB231_273:
	v_dual_mov_b32 v2, v5 :: v_dual_mov_b32 v1, 0
.LBB231_274:
	s_and_b32 s34, s34, 3
	s_delay_alu instid0(SALU_CYCLE_1)
	s_cmp_eq_u32 s34, 0
	s_cbranch_scc1 .LBB231_277
; %bb.275:
	s_lshl_b32 s2, s33, 3
	s_mul_i32 s20, s33, 12
	s_add_u32 s2, s2, s0
	s_addc_u32 s3, s1, 0
	s_add_u32 s2, s2, 0xc4
	s_addc_u32 s3, s3, 0
	;; [unrolled: 2-line block ×3, first 2 shown]
	.p2align	6
.LBB231_276:                            ; =>This Inner Loop Header: Depth=1
	s_clause 0x1
	s_load_b64 s[36:37], s[20:21], 0x4
	s_load_b32 s33, s[20:21], 0xc
	s_load_b64 s[38:39], s[2:3], 0x0
	s_add_u32 s20, s20, 12
	s_addc_u32 s21, s21, 0
	s_add_u32 s2, s2, 8
	s_addc_u32 s3, s3, 0
	s_add_i32 s34, s34, -1
	s_delay_alu instid0(SALU_CYCLE_1) | instskip(SKIP_2) | instid1(VALU_DEP_1)
	s_cmp_lg_u32 s34, 0
	s_waitcnt lgkmcnt(0)
	v_mul_hi_u32 v3, s37, v2
	v_add_nc_u32_e32 v3, v2, v3
	s_delay_alu instid0(VALU_DEP_1) | instskip(NEXT) | instid1(VALU_DEP_1)
	v_lshrrev_b32_e32 v8, s33, v3
	v_mul_lo_u32 v3, v8, s36
	s_delay_alu instid0(VALU_DEP_1) | instskip(NEXT) | instid1(VALU_DEP_1)
	v_sub_nc_u32_e32 v2, v2, v3
	v_mad_u64_u32 v[3:4], null, v2, s38, v[0:1]
	v_mad_u64_u32 v[6:7], null, v2, s39, v[1:2]
	v_mov_b32_e32 v2, v8
	s_delay_alu instid0(VALU_DEP_2)
	v_dual_mov_b32 v0, v3 :: v_dual_mov_b32 v1, v6
	s_cbranch_scc1 .LBB231_276
.LBB231_277:
	s_and_not1_b32 vcc_lo, exec_lo, s31
	s_cbranch_vccnz .LBB231_280
; %bb.278:
	s_waitcnt lgkmcnt(0)
	v_mul_hi_u32 v0, s13, v5
	s_and_not1_b32 vcc_lo, exec_lo, s26
	s_delay_alu instid0(VALU_DEP_1) | instskip(NEXT) | instid1(VALU_DEP_1)
	v_add_nc_u32_e32 v0, v5, v0
	v_lshrrev_b32_e32 v2, s14, v0
	s_delay_alu instid0(VALU_DEP_1) | instskip(NEXT) | instid1(VALU_DEP_1)
	v_mul_lo_u32 v0, v2, s12
	v_sub_nc_u32_e32 v1, v5, v0
	s_delay_alu instid0(VALU_DEP_1)
	v_mul_lo_u32 v0, v1, s8
	v_mul_lo_u32 v1, v1, s9
	s_cbranch_vccnz .LBB231_280
; %bb.279:
	v_mul_hi_u32 v3, s16, v2
	s_delay_alu instid0(VALU_DEP_1) | instskip(NEXT) | instid1(VALU_DEP_1)
	v_add_nc_u32_e32 v3, v2, v3
	v_lshrrev_b32_e32 v3, s17, v3
	s_delay_alu instid0(VALU_DEP_1) | instskip(NEXT) | instid1(VALU_DEP_1)
	v_mul_lo_u32 v3, v3, s15
	v_sub_nc_u32_e32 v6, v2, v3
	s_delay_alu instid0(VALU_DEP_1) | instskip(NEXT) | instid1(VALU_DEP_1)
	v_mad_u64_u32 v[2:3], null, v6, s10, v[0:1]
	v_mad_u64_u32 v[3:4], null, v6, s11, v[1:2]
	s_delay_alu instid0(VALU_DEP_1)
	v_dual_mov_b32 v0, v2 :: v_dual_mov_b32 v1, v3
.LBB231_280:
	s_waitcnt lgkmcnt(0)
	global_load_b64 v[1:2], v1, s[6:7]
	v_mov_b32_e32 v3, 0
	s_waitcnt vmcnt(0)
	v_cmp_neq_f32_e32 vcc_lo, 0, v1
	v_cmp_neq_f32_e64 s2, 0, v2
	s_delay_alu instid0(VALU_DEP_1) | instskip(NEXT) | instid1(SALU_CYCLE_1)
	s_or_b32 s2, vcc_lo, s2
	s_and_saveexec_b32 s20, s2
	s_cbranch_execz .LBB231_310
; %bb.281:
	v_mov_b32_e32 v3, 0x7f800000
	s_mov_b32 s21, exec_lo
	v_cmpx_neq_f32_e64 0x7f800000, |v2|
	s_cbranch_execz .LBB231_309
; %bb.282:
	s_mov_b32 s2, exec_lo
	v_cmpx_o_f32_e32 v1, v1
	s_xor_b32 s31, exec_lo, s2
	s_cbranch_execz .LBB231_306
; %bb.283:
	s_mov_b32 s3, exec_lo
	v_cmpx_neq_f32_e64 0x7f800000, |v1|
	s_xor_b32 s33, exec_lo, s3
	s_cbranch_execz .LBB231_299
; %bb.284:
	v_max_f32_e64 v3, |v2|, |v2|
	v_max_f32_e64 v4, |v1|, |v1|
                                        ; implicit-def: $sgpr34
	s_delay_alu instid0(VALU_DEP_1) | instskip(NEXT) | instid1(VALU_DEP_1)
	v_max_f32_e32 v3, v4, v3
	v_cmp_nle_f32_e64 s2, 0x7ed413cb, v3
	s_delay_alu instid0(VALU_DEP_1) | instskip(NEXT) | instid1(SALU_CYCLE_1)
	s_and_saveexec_b32 s3, s2
	s_xor_b32 s3, exec_lo, s3
	s_cbranch_execz .LBB231_288
; %bb.285:
	v_cmp_ge_f32_e64 s34, 0x1000000, |v1|
	v_cmp_ge_f32_e64 s35, 0x1000000, |v2|
	s_delay_alu instid0(VALU_DEP_1)
	s_and_b32 s36, s34, s35
	s_mov_b32 s34, 0
	s_and_saveexec_b32 s35, s36
; %bb.286:
	v_dual_mul_f32 v1, 4.0, v1 :: v_dual_mul_f32 v2, 4.0, v2
	s_mov_b32 s34, exec_lo
; %bb.287:
	s_or_b32 exec_lo, exec_lo, s35
	s_delay_alu instid0(SALU_CYCLE_1)
	s_and_b32 s34, s34, exec_lo
.LBB231_288:
	s_and_not1_saveexec_b32 s3, s3
; %bb.289:
	v_dual_mul_f32 v1, 0x3e800000, v1 :: v_dual_mul_f32 v2, 0x3e800000, v2
	s_and_not1_b32 s34, s34, exec_lo
; %bb.290:
	s_or_b32 exec_lo, exec_lo, s3
	s_delay_alu instid0(VALU_DEP_1) | instskip(NEXT) | instid1(VALU_DEP_2)
	v_max_f32_e64 v3, |v2|, |v2|
	v_max_f32_e64 v4, |v1|, |v1|
	s_delay_alu instid0(VALU_DEP_1) | instskip(NEXT) | instid1(VALU_DEP_1)
	v_max_f32_e32 v6, v4, v3
	v_cvt_f64_f32_e32 v[3:4], v6
	v_cmp_neq_f32_e64 s3, 0x7f800000, v6
	s_delay_alu instid0(VALU_DEP_2) | instskip(NEXT) | instid1(VALU_DEP_1)
	v_frexp_exp_i32_f64_e32 v3, v[3:4]
	v_sub_nc_u32_e32 v4, 0, v3
	s_delay_alu instid0(VALU_DEP_1) | instskip(SKIP_1) | instid1(VALU_DEP_2)
	v_ldexp_f32 v7, |v2|, v4
	v_ldexp_f32 v4, |v1|, v4
	v_mul_f32_e32 v7, v7, v7
	s_delay_alu instid0(VALU_DEP_1) | instskip(NEXT) | instid1(VALU_DEP_1)
	v_fmac_f32_e32 v7, v4, v4
	v_sqrt_f32_e32 v4, v7
	s_waitcnt_depctr 0xfff
	v_ldexp_f32 v3, v4, v3
                                        ; implicit-def: $vgpr4
	s_delay_alu instid0(VALU_DEP_1)
	v_cndmask_b32_e64 v6, 0x7f800000, v3, s3
                                        ; implicit-def: $vgpr3
	s_mov_b32 s3, exec_lo
	v_cmpx_le_f32_e32 0, v1
	s_xor_b32 s35, exec_lo, s3
	s_cbranch_execz .LBB231_292
; %bb.291:
	v_add_f32_e32 v1, v1, v6
	s_delay_alu instid0(VALU_DEP_1) | instskip(NEXT) | instid1(VALU_DEP_1)
	v_mul_f32_e32 v1, 0.5, v1
	v_mul_f32_e32 v3, 0x4f800000, v1
	v_cmp_gt_f32_e32 vcc_lo, 0xf800000, v1
	s_delay_alu instid0(VALU_DEP_2) | instskip(NEXT) | instid1(VALU_DEP_1)
	v_cndmask_b32_e32 v1, v1, v3, vcc_lo
	v_sqrt_f32_e32 v3, v1
	s_waitcnt_depctr 0xfff
	v_add_nc_u32_e32 v4, -1, v3
	v_add_nc_u32_e32 v6, 1, v3
	s_delay_alu instid0(VALU_DEP_2) | instskip(NEXT) | instid1(VALU_DEP_2)
	v_fma_f32 v7, -v4, v3, v1
	v_fma_f32 v8, -v6, v3, v1
	s_delay_alu instid0(VALU_DEP_2) | instskip(NEXT) | instid1(VALU_DEP_1)
	v_cmp_ge_f32_e64 s3, 0, v7
	v_cndmask_b32_e64 v3, v3, v4, s3
	s_delay_alu instid0(VALU_DEP_3) | instskip(NEXT) | instid1(VALU_DEP_1)
	v_cmp_lt_f32_e64 s3, 0, v8
	v_cndmask_b32_e64 v3, v3, v6, s3
	s_delay_alu instid0(VALU_DEP_1) | instskip(NEXT) | instid1(VALU_DEP_1)
	v_mul_f32_e32 v4, 0x37800000, v3
	v_cndmask_b32_e32 v3, v3, v4, vcc_lo
	v_cmp_class_f32_e64 vcc_lo, v1, 0x260
	s_delay_alu instid0(VALU_DEP_2) | instskip(NEXT) | instid1(VALU_DEP_1)
	v_cndmask_b32_e32 v3, v3, v1, vcc_lo
	v_add_f32_e32 v1, v3, v3
	s_delay_alu instid0(VALU_DEP_1) | instskip(NEXT) | instid1(VALU_DEP_1)
	v_div_scale_f32 v4, null, v1, v1, v2
	v_rcp_f32_e32 v6, v4
	s_waitcnt_depctr 0xfff
	v_fma_f32 v7, -v4, v6, 1.0
	s_delay_alu instid0(VALU_DEP_1) | instskip(SKIP_1) | instid1(VALU_DEP_1)
	v_fmac_f32_e32 v6, v7, v6
	v_div_scale_f32 v7, vcc_lo, v2, v1, v2
	v_mul_f32_e32 v8, v7, v6
	s_delay_alu instid0(VALU_DEP_1) | instskip(NEXT) | instid1(VALU_DEP_1)
	v_fma_f32 v9, -v4, v8, v7
	v_fmac_f32_e32 v8, v9, v6
	s_delay_alu instid0(VALU_DEP_1) | instskip(NEXT) | instid1(VALU_DEP_1)
	v_fma_f32 v4, -v4, v8, v7
	v_div_fmas_f32 v4, v4, v6, v8
                                        ; implicit-def: $vgpr6
	s_delay_alu instid0(VALU_DEP_1)
	v_div_fixup_f32 v4, v4, v1, v2
                                        ; implicit-def: $vgpr1
	s_and_not1_saveexec_b32 s35, s35
	s_cbranch_execz .LBB231_294
	s_branch .LBB231_293
.LBB231_292:
	s_and_not1_saveexec_b32 s35, s35
	s_cbranch_execz .LBB231_294
.LBB231_293:
	v_sub_f32_e32 v1, v6, v1
	s_delay_alu instid0(VALU_DEP_1) | instskip(NEXT) | instid1(VALU_DEP_1)
	v_mul_f32_e32 v1, 0.5, v1
	v_mul_f32_e32 v3, 0x4f800000, v1
	v_cmp_gt_f32_e32 vcc_lo, 0xf800000, v1
	s_delay_alu instid0(VALU_DEP_2) | instskip(NEXT) | instid1(VALU_DEP_1)
	v_cndmask_b32_e32 v1, v1, v3, vcc_lo
	v_sqrt_f32_e32 v3, v1
	s_waitcnt_depctr 0xfff
	v_add_nc_u32_e32 v4, -1, v3
	v_add_nc_u32_e32 v6, 1, v3
	s_delay_alu instid0(VALU_DEP_2) | instskip(NEXT) | instid1(VALU_DEP_2)
	v_fma_f32 v7, -v4, v3, v1
	v_fma_f32 v8, -v6, v3, v1
	s_delay_alu instid0(VALU_DEP_2) | instskip(NEXT) | instid1(VALU_DEP_1)
	v_cmp_ge_f32_e64 s3, 0, v7
	v_cndmask_b32_e64 v3, v3, v4, s3
	s_delay_alu instid0(VALU_DEP_3) | instskip(NEXT) | instid1(VALU_DEP_1)
	v_cmp_lt_f32_e64 s3, 0, v8
	v_cndmask_b32_e64 v3, v3, v6, s3
	s_delay_alu instid0(VALU_DEP_1) | instskip(NEXT) | instid1(VALU_DEP_1)
	v_mul_f32_e32 v4, 0x37800000, v3
	v_cndmask_b32_e32 v3, v3, v4, vcc_lo
	v_cmp_class_f32_e64 vcc_lo, v1, 0x260
	s_delay_alu instid0(VALU_DEP_2) | instskip(NEXT) | instid1(VALU_DEP_1)
	v_cndmask_b32_e32 v1, v3, v1, vcc_lo
	v_dual_add_f32 v4, v1, v1 :: v_dual_and_b32 v3, 0x7fffffff, v2
	s_delay_alu instid0(VALU_DEP_1) | instskip(SKIP_1) | instid1(VALU_DEP_2)
	v_div_scale_f32 v6, null, v4, v4, v3
	v_div_scale_f32 v3, vcc_lo, v3, v4, v3
	v_rcp_f32_e32 v7, v6
	s_waitcnt_depctr 0xfff
	v_fma_f32 v8, -v6, v7, 1.0
	s_delay_alu instid0(VALU_DEP_1) | instskip(NEXT) | instid1(VALU_DEP_1)
	v_fmac_f32_e32 v7, v8, v7
	v_mul_f32_e32 v8, v3, v7
	s_delay_alu instid0(VALU_DEP_1) | instskip(NEXT) | instid1(VALU_DEP_1)
	v_fma_f32 v9, -v6, v8, v3
	v_fmac_f32_e32 v8, v9, v7
	s_delay_alu instid0(VALU_DEP_1) | instskip(NEXT) | instid1(VALU_DEP_1)
	v_fma_f32 v3, -v6, v8, v3
	v_div_fmas_f32 v3, v3, v7, v8
	s_delay_alu instid0(VALU_DEP_1)
	v_div_fixup_f32 v3, v3, v4, |v2|
	v_bfi_b32 v4, 0x7fffffff, v1, v2
.LBB231_294:
	s_or_b32 exec_lo, exec_lo, s35
                                        ; implicit-def: $vgpr2
	s_and_saveexec_b32 s3, s2
	s_delay_alu instid0(SALU_CYCLE_1)
	s_xor_b32 s2, exec_lo, s3
	s_cbranch_execz .LBB231_296
; %bb.295:
	v_dual_mul_f32 v1, 0.5, v3 :: v_dual_mul_f32 v2, 0.5, v4
	s_delay_alu instid0(VALU_DEP_1) | instskip(NEXT) | instid1(VALU_DEP_2)
	v_cndmask_b32_e64 v1, v3, v1, s34
	v_cndmask_b32_e64 v2, v4, v2, s34
                                        ; implicit-def: $vgpr3
                                        ; implicit-def: $vgpr4
	s_and_not1_saveexec_b32 s2, s2
	s_cbranch_execnz .LBB231_297
	s_branch .LBB231_298
.LBB231_296:
	s_and_not1_saveexec_b32 s2, s2
.LBB231_297:
	v_dual_add_f32 v1, v3, v3 :: v_dual_add_f32 v2, v4, v4
.LBB231_298:
	s_or_b32 exec_lo, exec_lo, s2
.LBB231_299:
	s_and_not1_saveexec_b32 s2, s33
	s_cbranch_execz .LBB231_305
; %bb.300:
	s_delay_alu instid0(VALU_DEP_1)
	v_sub_f32_e32 v3, v2, v2
	s_mov_b32 s3, exec_lo
	v_cmpx_lt_i32_e32 -1, v1
	s_xor_b32 s3, exec_lo, s3
; %bb.301:
	s_delay_alu instid0(VALU_DEP_2)
	v_bfi_b32 v2, 0x7fffffff, v3, v2
                                        ; implicit-def: $vgpr3
; %bb.302:
	s_and_not1_saveexec_b32 s3, s3
; %bb.303:
	v_and_b32_e32 v3, 0x7fffffff, v3
	s_delay_alu instid0(VALU_DEP_2) | instskip(NEXT) | instid1(VALU_DEP_2)
	v_bfi_b32 v2, 0x7fffffff, v1, v2
	v_mov_b32_e32 v1, v3
; %bb.304:
	s_or_b32 exec_lo, exec_lo, s3
.LBB231_305:
	s_delay_alu instid0(SALU_CYCLE_1)
	s_or_b32 exec_lo, exec_lo, s2
.LBB231_306:
	s_and_not1_saveexec_b32 s2, s31
; %bb.307:
	v_sub_f32_e32 v2, v2, v2
	s_delay_alu instid0(VALU_DEP_1) | instskip(NEXT) | instid1(VALU_DEP_1)
	v_div_scale_f32 v3, vcc_lo, v2, v2, v2
	v_rcp_f32_e32 v4, v3
	s_waitcnt_depctr 0xfff
	v_fma_f32 v6, -v3, v4, 1.0
	s_delay_alu instid0(VALU_DEP_1) | instskip(NEXT) | instid1(VALU_DEP_1)
	v_fmac_f32_e32 v4, v6, v4
	v_mul_f32_e32 v6, v3, v4
	s_delay_alu instid0(VALU_DEP_1) | instskip(NEXT) | instid1(VALU_DEP_1)
	v_fma_f32 v7, -v3, v6, v3
	v_fmac_f32_e32 v6, v7, v4
	s_delay_alu instid0(VALU_DEP_1) | instskip(NEXT) | instid1(VALU_DEP_1)
	v_fma_f32 v3, -v3, v6, v3
	v_div_fmas_f32 v3, v3, v4, v6
	s_delay_alu instid0(VALU_DEP_1)
	v_div_fixup_f32 v2, v3, v2, v2
; %bb.308:
	s_or_b32 exec_lo, exec_lo, s2
	v_mov_b32_e32 v3, v1
.LBB231_309:
	s_or_b32 exec_lo, exec_lo, s21
.LBB231_310:
	s_delay_alu instid0(SALU_CYCLE_1)
	s_or_b32 exec_lo, exec_lo, s20
	v_dual_mov_b32 v4, v2 :: v_dual_add_nc_u32 v5, 0x80, v5
	global_store_b64 v0, v[3:4], s[4:5]
.LBB231_311:
	s_or_b32 exec_lo, exec_lo, s30
	s_mov_b32 s2, 0
	s_mov_b32 s20, exec_lo
                                        ; implicit-def: $vgpr7
                                        ; implicit-def: $vgpr12_vgpr13
	v_cmpx_gt_i32_e64 s27, v5
	s_cbranch_execz .LBB231_356
; %bb.312:
	s_and_not1_b32 vcc_lo, exec_lo, s24
	s_cbranch_vccnz .LBB231_317
; %bb.313:
	v_dual_mov_b32 v0, 0 :: v_dual_mov_b32 v1, 0
	s_and_not1_b32 vcc_lo, exec_lo, s29
	s_mov_b32 s21, 0
	s_cbranch_vccnz .LBB231_322
; %bb.314:
	v_mov_b32_e32 v0, 0
	s_add_i32 s28, s28, 1
	s_cmp_eq_u32 s23, 2
	s_mov_b32 s27, 0
	s_cbranch_scc1 .LBB231_318
; %bb.315:
	v_dual_mov_b32 v1, 0 :: v_dual_mov_b32 v0, 0
	v_mov_b32_e32 v2, v5
	s_and_b32 s27, s28, 28
	s_mov_b32 s29, 0
	s_mov_b64 s[2:3], s[0:1]
.LBB231_316:                            ; =>This Inner Loop Header: Depth=1
	s_clause 0x1
	s_load_b256 s[36:43], s[2:3], 0x4
	s_load_b128 s[52:55], s[2:3], 0x24
	s_load_b256 s[44:51], s[18:19], 0x0
	s_add_u32 s2, s2, 48
	s_addc_u32 s3, s3, 0
	s_add_i32 s29, s29, 4
	s_add_u32 s18, s18, 32
	s_addc_u32 s19, s19, 0
	s_cmp_eq_u32 s27, s29
	s_waitcnt lgkmcnt(0)
	v_mul_hi_u32 v3, s37, v2
	s_delay_alu instid0(VALU_DEP_1) | instskip(NEXT) | instid1(VALU_DEP_1)
	v_add_nc_u32_e32 v3, v2, v3
	v_lshrrev_b32_e32 v3, s38, v3
	s_delay_alu instid0(VALU_DEP_1) | instskip(SKIP_1) | instid1(VALU_DEP_2)
	v_mul_hi_u32 v4, s40, v3
	v_mul_lo_u32 v7, v3, s36
	v_add_nc_u32_e32 v4, v3, v4
	s_delay_alu instid0(VALU_DEP_2) | instskip(NEXT) | instid1(VALU_DEP_2)
	v_sub_nc_u32_e32 v2, v2, v7
	v_lshrrev_b32_e32 v4, s41, v4
	s_delay_alu instid0(VALU_DEP_2) | instskip(SKIP_1) | instid1(VALU_DEP_3)
	v_mul_lo_u32 v7, v2, s44
	v_mul_lo_u32 v9, v2, s45
	v_mul_hi_u32 v6, s43, v4
	s_delay_alu instid0(VALU_DEP_1) | instskip(NEXT) | instid1(VALU_DEP_1)
	v_add_nc_u32_e32 v6, v4, v6
	v_lshrrev_b32_e32 v6, s52, v6
	s_delay_alu instid0(VALU_DEP_1) | instskip(SKIP_1) | instid1(VALU_DEP_2)
	v_mul_hi_u32 v8, s54, v6
	v_mul_lo_u32 v10, v6, s42
	v_add_nc_u32_e32 v2, v6, v8
	v_mul_lo_u32 v8, v4, s39
	s_delay_alu instid0(VALU_DEP_3) | instskip(NEXT) | instid1(VALU_DEP_3)
	v_sub_nc_u32_e32 v4, v4, v10
	v_lshrrev_b32_e32 v2, s55, v2
	s_delay_alu instid0(VALU_DEP_2) | instskip(SKIP_2) | instid1(VALU_DEP_4)
	v_mul_lo_u32 v10, v4, s48
	v_mul_lo_u32 v4, v4, s49
	v_sub_nc_u32_e32 v3, v3, v8
	v_mul_lo_u32 v11, v2, s53
	s_delay_alu instid0(VALU_DEP_2) | instskip(SKIP_1) | instid1(VALU_DEP_3)
	v_mul_lo_u32 v8, v3, s46
	v_mul_lo_u32 v3, v3, s47
	v_sub_nc_u32_e32 v6, v6, v11
	s_delay_alu instid0(VALU_DEP_3) | instskip(NEXT) | instid1(VALU_DEP_2)
	v_add3_u32 v0, v7, v0, v8
	v_mul_lo_u32 v11, v6, s50
	v_mul_lo_u32 v6, v6, s51
	v_add3_u32 v1, v9, v1, v3
	s_delay_alu instid0(VALU_DEP_3) | instskip(NEXT) | instid1(VALU_DEP_2)
	v_add3_u32 v0, v10, v0, v11
	v_add3_u32 v1, v4, v1, v6
	s_cbranch_scc0 .LBB231_316
	s_branch .LBB231_319
.LBB231_317:
	s_mov_b32 s21, -1
                                        ; implicit-def: $vgpr0
                                        ; implicit-def: $vgpr1
	s_branch .LBB231_322
.LBB231_318:
	v_dual_mov_b32 v2, v5 :: v_dual_mov_b32 v1, 0
.LBB231_319:
	s_and_b32 s28, s28, 3
	s_delay_alu instid0(SALU_CYCLE_1)
	s_cmp_eq_u32 s28, 0
	s_cbranch_scc1 .LBB231_322
; %bb.320:
	s_lshl_b32 s2, s27, 3
	s_mul_i32 s18, s27, 12
	s_add_u32 s2, s2, s0
	s_addc_u32 s3, s1, 0
	s_add_u32 s2, s2, 0xc4
	s_addc_u32 s3, s3, 0
	;; [unrolled: 2-line block ×3, first 2 shown]
	.p2align	6
.LBB231_321:                            ; =>This Inner Loop Header: Depth=1
	s_clause 0x1
	s_load_b64 s[30:31], s[18:19], 0x4
	s_load_b32 s27, s[18:19], 0xc
	s_load_b64 s[34:35], s[2:3], 0x0
	s_add_u32 s18, s18, 12
	s_addc_u32 s19, s19, 0
	s_add_u32 s2, s2, 8
	s_addc_u32 s3, s3, 0
	s_add_i32 s28, s28, -1
	s_delay_alu instid0(SALU_CYCLE_1) | instskip(SKIP_2) | instid1(VALU_DEP_1)
	s_cmp_lg_u32 s28, 0
	s_waitcnt lgkmcnt(0)
	v_mul_hi_u32 v3, s31, v2
	v_add_nc_u32_e32 v3, v2, v3
	s_delay_alu instid0(VALU_DEP_1) | instskip(NEXT) | instid1(VALU_DEP_1)
	v_lshrrev_b32_e32 v8, s27, v3
	v_mul_lo_u32 v3, v8, s30
	s_delay_alu instid0(VALU_DEP_1) | instskip(NEXT) | instid1(VALU_DEP_1)
	v_sub_nc_u32_e32 v2, v2, v3
	v_mad_u64_u32 v[3:4], null, v2, s34, v[0:1]
	v_mad_u64_u32 v[6:7], null, v2, s35, v[1:2]
	v_mov_b32_e32 v2, v8
	s_delay_alu instid0(VALU_DEP_2)
	v_dual_mov_b32 v0, v3 :: v_dual_mov_b32 v1, v6
	s_cbranch_scc1 .LBB231_321
.LBB231_322:
	s_and_not1_b32 vcc_lo, exec_lo, s21
	s_cbranch_vccnz .LBB231_325
; %bb.323:
	s_waitcnt lgkmcnt(0)
	v_mul_hi_u32 v0, s13, v5
	s_and_not1_b32 vcc_lo, exec_lo, s26
	s_delay_alu instid0(VALU_DEP_1) | instskip(NEXT) | instid1(VALU_DEP_1)
	v_add_nc_u32_e32 v0, v5, v0
	v_lshrrev_b32_e32 v2, s14, v0
	s_delay_alu instid0(VALU_DEP_1) | instskip(NEXT) | instid1(VALU_DEP_1)
	v_mul_lo_u32 v0, v2, s12
	v_sub_nc_u32_e32 v1, v5, v0
	s_delay_alu instid0(VALU_DEP_1)
	v_mul_lo_u32 v0, v1, s8
	v_mul_lo_u32 v1, v1, s9
	s_cbranch_vccnz .LBB231_325
; %bb.324:
	v_mul_hi_u32 v3, s16, v2
	s_delay_alu instid0(VALU_DEP_1) | instskip(NEXT) | instid1(VALU_DEP_1)
	v_add_nc_u32_e32 v3, v2, v3
	v_lshrrev_b32_e32 v3, s17, v3
	s_delay_alu instid0(VALU_DEP_1) | instskip(NEXT) | instid1(VALU_DEP_1)
	v_mul_lo_u32 v3, v3, s15
	v_sub_nc_u32_e32 v5, v2, v3
	s_delay_alu instid0(VALU_DEP_1) | instskip(NEXT) | instid1(VALU_DEP_1)
	v_mad_u64_u32 v[2:3], null, v5, s10, v[0:1]
	v_mad_u64_u32 v[3:4], null, v5, s11, v[1:2]
	s_delay_alu instid0(VALU_DEP_1)
	v_dual_mov_b32 v0, v2 :: v_dual_mov_b32 v1, v3
.LBB231_325:
	s_waitcnt lgkmcnt(0)
	global_load_b64 v[6:7], v1, s[6:7]
	v_mov_b32_e32 v1, 0
	s_waitcnt vmcnt(0)
	v_cmp_neq_f32_e32 vcc_lo, 0, v6
	v_cmp_neq_f32_e64 s2, 0, v7
	s_delay_alu instid0(VALU_DEP_1) | instskip(NEXT) | instid1(SALU_CYCLE_1)
	s_or_b32 s2, vcc_lo, s2
	s_and_saveexec_b32 s6, s2
	s_cbranch_execz .LBB231_355
; %bb.326:
	v_mov_b32_e32 v1, 0x7f800000
	s_mov_b32 s7, exec_lo
	v_cmpx_neq_f32_e64 0x7f800000, |v7|
	s_cbranch_execz .LBB231_354
; %bb.327:
	s_mov_b32 s2, exec_lo
	v_cmpx_o_f32_e32 v6, v6
	s_xor_b32 s8, exec_lo, s2
	s_cbranch_execz .LBB231_351
; %bb.328:
	s_mov_b32 s3, exec_lo
	v_cmpx_neq_f32_e64 0x7f800000, |v6|
	s_xor_b32 s9, exec_lo, s3
	s_cbranch_execz .LBB231_344
; %bb.329:
	v_max_f32_e64 v1, |v7|, |v7|
	v_max_f32_e64 v2, |v6|, |v6|
                                        ; implicit-def: $sgpr10
	s_delay_alu instid0(VALU_DEP_1) | instskip(NEXT) | instid1(VALU_DEP_1)
	v_max_f32_e32 v1, v2, v1
	v_cmp_nle_f32_e64 s2, 0x7ed413cb, v1
	s_delay_alu instid0(VALU_DEP_1) | instskip(NEXT) | instid1(SALU_CYCLE_1)
	s_and_saveexec_b32 s3, s2
	s_xor_b32 s3, exec_lo, s3
	s_cbranch_execz .LBB231_333
; %bb.330:
	v_cmp_ge_f32_e64 s10, 0x1000000, |v6|
	v_cmp_ge_f32_e64 s11, 0x1000000, |v7|
	s_delay_alu instid0(VALU_DEP_1)
	s_and_b32 s12, s10, s11
	s_mov_b32 s10, 0
	s_and_saveexec_b32 s11, s12
; %bb.331:
	v_dual_mul_f32 v6, 4.0, v6 :: v_dual_mul_f32 v7, 4.0, v7
	s_mov_b32 s10, exec_lo
; %bb.332:
	s_or_b32 exec_lo, exec_lo, s11
	s_delay_alu instid0(SALU_CYCLE_1)
	s_and_b32 s10, s10, exec_lo
.LBB231_333:
	s_and_not1_saveexec_b32 s3, s3
; %bb.334:
	v_dual_mul_f32 v6, 0x3e800000, v6 :: v_dual_mul_f32 v7, 0x3e800000, v7
	s_and_not1_b32 s10, s10, exec_lo
; %bb.335:
	s_or_b32 exec_lo, exec_lo, s3
	s_delay_alu instid0(VALU_DEP_1) | instskip(NEXT) | instid1(VALU_DEP_2)
	v_max_f32_e64 v1, |v7|, |v7|
	v_max_f32_e64 v2, |v6|, |v6|
	s_delay_alu instid0(VALU_DEP_1) | instskip(NEXT) | instid1(VALU_DEP_1)
	v_max_f32_e32 v3, v2, v1
	v_cvt_f64_f32_e32 v[1:2], v3
	s_delay_alu instid0(VALU_DEP_1) | instskip(NEXT) | instid1(VALU_DEP_1)
	v_frexp_exp_i32_f64_e32 v1, v[1:2]
	v_sub_nc_u32_e32 v2, 0, v1
	s_delay_alu instid0(VALU_DEP_1) | instskip(SKIP_1) | instid1(VALU_DEP_2)
	v_ldexp_f32 v4, |v7|, v2
	v_ldexp_f32 v2, |v6|, v2
	v_mul_f32_e32 v4, v4, v4
	v_cmp_neq_f32_e64 s3, 0x7f800000, v3
	s_delay_alu instid0(VALU_DEP_2) | instskip(NEXT) | instid1(VALU_DEP_1)
	v_fmac_f32_e32 v4, v2, v2
	v_sqrt_f32_e32 v2, v4
	s_waitcnt_depctr 0xfff
	v_ldexp_f32 v1, v2, v1
                                        ; implicit-def: $vgpr2
	s_delay_alu instid0(VALU_DEP_1)
	v_cndmask_b32_e64 v3, 0x7f800000, v1, s3
                                        ; implicit-def: $vgpr1
	s_mov_b32 s3, exec_lo
	v_cmpx_le_f32_e32 0, v6
	s_xor_b32 s11, exec_lo, s3
	s_cbranch_execz .LBB231_337
; %bb.336:
	v_add_f32_e32 v1, v6, v3
	s_delay_alu instid0(VALU_DEP_1) | instskip(NEXT) | instid1(VALU_DEP_1)
	v_mul_f32_e32 v1, 0.5, v1
	v_mul_f32_e32 v2, 0x4f800000, v1
	v_cmp_gt_f32_e32 vcc_lo, 0xf800000, v1
	s_delay_alu instid0(VALU_DEP_2) | instskip(NEXT) | instid1(VALU_DEP_1)
	v_cndmask_b32_e32 v1, v1, v2, vcc_lo
	v_sqrt_f32_e32 v2, v1
	s_waitcnt_depctr 0xfff
	v_add_nc_u32_e32 v3, -1, v2
	v_add_nc_u32_e32 v4, 1, v2
	s_delay_alu instid0(VALU_DEP_2) | instskip(NEXT) | instid1(VALU_DEP_2)
	v_fma_f32 v5, -v3, v2, v1
	v_fma_f32 v6, -v4, v2, v1
	s_delay_alu instid0(VALU_DEP_2) | instskip(NEXT) | instid1(VALU_DEP_1)
	v_cmp_ge_f32_e64 s3, 0, v5
	v_cndmask_b32_e64 v2, v2, v3, s3
	s_delay_alu instid0(VALU_DEP_3) | instskip(NEXT) | instid1(VALU_DEP_1)
	v_cmp_lt_f32_e64 s3, 0, v6
	v_cndmask_b32_e64 v2, v2, v4, s3
	s_delay_alu instid0(VALU_DEP_1) | instskip(NEXT) | instid1(VALU_DEP_1)
	v_mul_f32_e32 v3, 0x37800000, v2
	v_cndmask_b32_e32 v2, v2, v3, vcc_lo
	v_cmp_class_f32_e64 vcc_lo, v1, 0x260
	s_delay_alu instid0(VALU_DEP_2) | instskip(NEXT) | instid1(VALU_DEP_1)
	v_cndmask_b32_e32 v1, v2, v1, vcc_lo
	v_add_f32_e32 v2, v1, v1
	s_delay_alu instid0(VALU_DEP_1) | instskip(NEXT) | instid1(VALU_DEP_1)
	v_div_scale_f32 v3, null, v2, v2, v7
	v_rcp_f32_e32 v4, v3
	s_waitcnt_depctr 0xfff
	v_fma_f32 v5, -v3, v4, 1.0
	s_delay_alu instid0(VALU_DEP_1) | instskip(SKIP_1) | instid1(VALU_DEP_1)
	v_fmac_f32_e32 v4, v5, v4
	v_div_scale_f32 v5, vcc_lo, v7, v2, v7
	v_mul_f32_e32 v6, v5, v4
	s_delay_alu instid0(VALU_DEP_1) | instskip(NEXT) | instid1(VALU_DEP_1)
	v_fma_f32 v8, -v3, v6, v5
	v_fmac_f32_e32 v6, v8, v4
	s_delay_alu instid0(VALU_DEP_1) | instskip(NEXT) | instid1(VALU_DEP_1)
	v_fma_f32 v3, -v3, v6, v5
	v_div_fmas_f32 v3, v3, v4, v6
                                        ; implicit-def: $vgpr6
	s_delay_alu instid0(VALU_DEP_1)
	v_div_fixup_f32 v2, v3, v2, v7
                                        ; implicit-def: $vgpr3
	s_and_not1_saveexec_b32 s11, s11
	s_cbranch_execz .LBB231_339
	s_branch .LBB231_338
.LBB231_337:
	s_and_not1_saveexec_b32 s11, s11
	s_cbranch_execz .LBB231_339
.LBB231_338:
	v_sub_f32_e32 v1, v3, v6
	s_delay_alu instid0(VALU_DEP_1) | instskip(NEXT) | instid1(VALU_DEP_1)
	v_mul_f32_e32 v1, 0.5, v1
	v_mul_f32_e32 v2, 0x4f800000, v1
	v_cmp_gt_f32_e32 vcc_lo, 0xf800000, v1
	s_delay_alu instid0(VALU_DEP_2) | instskip(NEXT) | instid1(VALU_DEP_1)
	v_cndmask_b32_e32 v1, v1, v2, vcc_lo
	v_sqrt_f32_e32 v2, v1
	s_waitcnt_depctr 0xfff
	v_add_nc_u32_e32 v3, -1, v2
	v_add_nc_u32_e32 v4, 1, v2
	s_delay_alu instid0(VALU_DEP_2) | instskip(NEXT) | instid1(VALU_DEP_2)
	v_fma_f32 v5, -v3, v2, v1
	v_fma_f32 v6, -v4, v2, v1
	s_delay_alu instid0(VALU_DEP_2) | instskip(NEXT) | instid1(VALU_DEP_1)
	v_cmp_ge_f32_e64 s3, 0, v5
	v_cndmask_b32_e64 v2, v2, v3, s3
	s_delay_alu instid0(VALU_DEP_3) | instskip(NEXT) | instid1(VALU_DEP_1)
	v_cmp_lt_f32_e64 s3, 0, v6
	v_cndmask_b32_e64 v2, v2, v4, s3
	s_delay_alu instid0(VALU_DEP_1) | instskip(NEXT) | instid1(VALU_DEP_1)
	v_mul_f32_e32 v3, 0x37800000, v2
	v_cndmask_b32_e32 v2, v2, v3, vcc_lo
	v_cmp_class_f32_e64 vcc_lo, v1, 0x260
	s_delay_alu instid0(VALU_DEP_2) | instskip(NEXT) | instid1(VALU_DEP_1)
	v_dual_cndmask_b32 v2, v2, v1 :: v_dual_and_b32 v1, 0x7fffffff, v7
	v_add_f32_e32 v3, v2, v2
	v_bfi_b32 v2, 0x7fffffff, v2, v7
	s_delay_alu instid0(VALU_DEP_2) | instskip(SKIP_1) | instid1(VALU_DEP_2)
	v_div_scale_f32 v4, null, v3, v3, v1
	v_div_scale_f32 v1, vcc_lo, v1, v3, v1
	v_rcp_f32_e32 v5, v4
	s_waitcnt_depctr 0xfff
	v_fma_f32 v6, -v4, v5, 1.0
	s_delay_alu instid0(VALU_DEP_1) | instskip(NEXT) | instid1(VALU_DEP_1)
	v_fmac_f32_e32 v5, v6, v5
	v_mul_f32_e32 v6, v1, v5
	s_delay_alu instid0(VALU_DEP_1) | instskip(NEXT) | instid1(VALU_DEP_1)
	v_fma_f32 v8, -v4, v6, v1
	v_fmac_f32_e32 v6, v8, v5
	s_delay_alu instid0(VALU_DEP_1) | instskip(NEXT) | instid1(VALU_DEP_1)
	v_fma_f32 v1, -v4, v6, v1
	v_div_fmas_f32 v1, v1, v5, v6
	s_delay_alu instid0(VALU_DEP_1)
	v_div_fixup_f32 v1, v1, v3, |v7|
.LBB231_339:
	s_or_b32 exec_lo, exec_lo, s11
                                        ; implicit-def: $vgpr7
	s_and_saveexec_b32 s3, s2
	s_delay_alu instid0(SALU_CYCLE_1)
	s_xor_b32 s2, exec_lo, s3
	s_cbranch_execz .LBB231_341
; %bb.340:
	v_dual_mul_f32 v3, 0.5, v1 :: v_dual_mul_f32 v4, 0.5, v2
	s_delay_alu instid0(VALU_DEP_1) | instskip(NEXT) | instid1(VALU_DEP_2)
	v_cndmask_b32_e64 v6, v1, v3, s10
	v_cndmask_b32_e64 v7, v2, v4, s10
                                        ; implicit-def: $vgpr1
                                        ; implicit-def: $vgpr2
	s_and_not1_saveexec_b32 s2, s2
	s_cbranch_execnz .LBB231_342
	s_branch .LBB231_343
.LBB231_341:
	s_and_not1_saveexec_b32 s2, s2
.LBB231_342:
	v_dual_add_f32 v6, v1, v1 :: v_dual_add_f32 v7, v2, v2
.LBB231_343:
	s_or_b32 exec_lo, exec_lo, s2
.LBB231_344:
	s_and_not1_saveexec_b32 s2, s9
	s_cbranch_execz .LBB231_350
; %bb.345:
	s_delay_alu instid0(VALU_DEP_1)
	v_sub_f32_e32 v1, v7, v7
	s_mov_b32 s3, exec_lo
	v_cmpx_lt_i32_e32 -1, v6
	s_xor_b32 s3, exec_lo, s3
; %bb.346:
	s_delay_alu instid0(VALU_DEP_2)
	v_bfi_b32 v7, 0x7fffffff, v1, v7
                                        ; implicit-def: $vgpr1
; %bb.347:
	s_and_not1_saveexec_b32 s3, s3
; %bb.348:
	v_and_b32_e32 v1, 0x7fffffff, v1
	s_delay_alu instid0(VALU_DEP_2) | instskip(NEXT) | instid1(VALU_DEP_2)
	v_bfi_b32 v7, 0x7fffffff, v6, v7
	v_mov_b32_e32 v6, v1
; %bb.349:
	s_or_b32 exec_lo, exec_lo, s3
.LBB231_350:
	s_delay_alu instid0(SALU_CYCLE_1)
	s_or_b32 exec_lo, exec_lo, s2
.LBB231_351:
	s_and_not1_saveexec_b32 s2, s8
; %bb.352:
	v_sub_f32_e32 v1, v7, v7
	s_delay_alu instid0(VALU_DEP_1) | instskip(NEXT) | instid1(VALU_DEP_1)
	v_div_scale_f32 v2, vcc_lo, v1, v1, v1
	v_rcp_f32_e32 v3, v2
	s_waitcnt_depctr 0xfff
	v_fma_f32 v4, -v2, v3, 1.0
	s_delay_alu instid0(VALU_DEP_1) | instskip(NEXT) | instid1(VALU_DEP_1)
	v_fmac_f32_e32 v3, v4, v3
	v_mul_f32_e32 v4, v2, v3
	s_delay_alu instid0(VALU_DEP_1) | instskip(NEXT) | instid1(VALU_DEP_1)
	v_fma_f32 v5, -v2, v4, v2
	v_fmac_f32_e32 v4, v5, v3
	s_delay_alu instid0(VALU_DEP_1) | instskip(NEXT) | instid1(VALU_DEP_1)
	v_fma_f32 v2, -v2, v4, v2
	v_div_fmas_f32 v2, v2, v3, v4
	s_delay_alu instid0(VALU_DEP_1)
	v_div_fixup_f32 v7, v2, v1, v1
; %bb.353:
	s_or_b32 exec_lo, exec_lo, s2
	v_mov_b32_e32 v1, v6
.LBB231_354:
	s_or_b32 exec_lo, exec_lo, s7
.LBB231_355:
	s_delay_alu instid0(SALU_CYCLE_1) | instskip(SKIP_1) | instid1(VALU_DEP_1)
	s_or_b32 exec_lo, exec_lo, s6
	v_add_co_u32 v12, s3, s4, v0
	v_add_co_ci_u32_e64 v13, null, s5, 0, s3
	s_mov_b32 s2, exec_lo
	global_store_b32 v0, v1, s[4:5]
.LBB231_356:
	s_or_b32 exec_lo, exec_lo, s20
	s_waitcnt lgkmcnt(0)
	s_and_b32 s8, s2, exec_lo
                                        ; implicit-def: $vgpr8
                                        ; implicit-def: $vgpr5
	s_and_not1_saveexec_b32 s9, s25
	s_cbranch_execnz .LBB231_8
.LBB231_357:
	s_or_b32 exec_lo, exec_lo, s9
	s_and_saveexec_b32 s0, s8
	s_cbranch_execz .LBB231_227
.LBB231_358:
	global_store_b32 v[12:13], v7, off offset:4
	s_nop 0
	s_sendmsg sendmsg(MSG_DEALLOC_VGPRS)
	s_endpgm
	.section	.rodata,"a",@progbits
	.p2align	6, 0x0
	.amdhsa_kernel _ZN2at6native32elementwise_kernel_manual_unrollILi128ELi4EZNS0_22gpu_kernel_impl_nocastIZZZNS0_16sqrt_kernel_cudaERNS_18TensorIteratorBaseEENKUlvE_clEvENKUlvE0_clEvEUlN3c107complexIfEEE_EEvS4_RKT_EUlibE_EEviT1_
		.amdhsa_group_segment_fixed_size 0
		.amdhsa_private_segment_fixed_size 0
		.amdhsa_kernarg_size 360
		.amdhsa_user_sgpr_count 15
		.amdhsa_user_sgpr_dispatch_ptr 0
		.amdhsa_user_sgpr_queue_ptr 0
		.amdhsa_user_sgpr_kernarg_segment_ptr 1
		.amdhsa_user_sgpr_dispatch_id 0
		.amdhsa_user_sgpr_private_segment_size 0
		.amdhsa_wavefront_size32 1
		.amdhsa_uses_dynamic_stack 0
		.amdhsa_enable_private_segment 0
		.amdhsa_system_sgpr_workgroup_id_x 1
		.amdhsa_system_sgpr_workgroup_id_y 0
		.amdhsa_system_sgpr_workgroup_id_z 0
		.amdhsa_system_sgpr_workgroup_info 0
		.amdhsa_system_vgpr_workitem_id 0
		.amdhsa_next_free_vgpr 18
		.amdhsa_next_free_sgpr 56
		.amdhsa_reserve_vcc 1
		.amdhsa_float_round_mode_32 0
		.amdhsa_float_round_mode_16_64 0
		.amdhsa_float_denorm_mode_32 3
		.amdhsa_float_denorm_mode_16_64 3
		.amdhsa_dx10_clamp 1
		.amdhsa_ieee_mode 1
		.amdhsa_fp16_overflow 0
		.amdhsa_workgroup_processor_mode 1
		.amdhsa_memory_ordered 1
		.amdhsa_forward_progress 0
		.amdhsa_shared_vgpr_count 0
		.amdhsa_exception_fp_ieee_invalid_op 0
		.amdhsa_exception_fp_denorm_src 0
		.amdhsa_exception_fp_ieee_div_zero 0
		.amdhsa_exception_fp_ieee_overflow 0
		.amdhsa_exception_fp_ieee_underflow 0
		.amdhsa_exception_fp_ieee_inexact 0
		.amdhsa_exception_int_div_zero 0
	.end_amdhsa_kernel
	.section	.text._ZN2at6native32elementwise_kernel_manual_unrollILi128ELi4EZNS0_22gpu_kernel_impl_nocastIZZZNS0_16sqrt_kernel_cudaERNS_18TensorIteratorBaseEENKUlvE_clEvENKUlvE0_clEvEUlN3c107complexIfEEE_EEvS4_RKT_EUlibE_EEviT1_,"axG",@progbits,_ZN2at6native32elementwise_kernel_manual_unrollILi128ELi4EZNS0_22gpu_kernel_impl_nocastIZZZNS0_16sqrt_kernel_cudaERNS_18TensorIteratorBaseEENKUlvE_clEvENKUlvE0_clEvEUlN3c107complexIfEEE_EEvS4_RKT_EUlibE_EEviT1_,comdat
.Lfunc_end231:
	.size	_ZN2at6native32elementwise_kernel_manual_unrollILi128ELi4EZNS0_22gpu_kernel_impl_nocastIZZZNS0_16sqrt_kernel_cudaERNS_18TensorIteratorBaseEENKUlvE_clEvENKUlvE0_clEvEUlN3c107complexIfEEE_EEvS4_RKT_EUlibE_EEviT1_, .Lfunc_end231-_ZN2at6native32elementwise_kernel_manual_unrollILi128ELi4EZNS0_22gpu_kernel_impl_nocastIZZZNS0_16sqrt_kernel_cudaERNS_18TensorIteratorBaseEENKUlvE_clEvENKUlvE0_clEvEUlN3c107complexIfEEE_EEvS4_RKT_EUlibE_EEviT1_
                                        ; -- End function
	.section	.AMDGPU.csdata,"",@progbits
; Kernel info:
; codeLenInByte = 16372
; NumSgprs: 58
; NumVgprs: 18
; ScratchSize: 0
; MemoryBound: 0
; FloatMode: 240
; IeeeMode: 1
; LDSByteSize: 0 bytes/workgroup (compile time only)
; SGPRBlocks: 7
; VGPRBlocks: 2
; NumSGPRsForWavesPerEU: 58
; NumVGPRsForWavesPerEU: 18
; Occupancy: 16
; WaveLimiterHint : 1
; COMPUTE_PGM_RSRC2:SCRATCH_EN: 0
; COMPUTE_PGM_RSRC2:USER_SGPR: 15
; COMPUTE_PGM_RSRC2:TRAP_HANDLER: 0
; COMPUTE_PGM_RSRC2:TGID_X_EN: 1
; COMPUTE_PGM_RSRC2:TGID_Y_EN: 0
; COMPUTE_PGM_RSRC2:TGID_Z_EN: 0
; COMPUTE_PGM_RSRC2:TIDIG_COMP_CNT: 0
	.section	.text._ZN2at6native32elementwise_kernel_manual_unrollILi128ELi4EZNS0_15gpu_kernel_implIZZZNS0_16sqrt_kernel_cudaERNS_18TensorIteratorBaseEENKUlvE_clEvENKUlvE0_clEvEUlN3c107complexIfEEE_EEvS4_RKT_EUlibE_EEviT1_,"axG",@progbits,_ZN2at6native32elementwise_kernel_manual_unrollILi128ELi4EZNS0_15gpu_kernel_implIZZZNS0_16sqrt_kernel_cudaERNS_18TensorIteratorBaseEENKUlvE_clEvENKUlvE0_clEvEUlN3c107complexIfEEE_EEvS4_RKT_EUlibE_EEviT1_,comdat
	.globl	_ZN2at6native32elementwise_kernel_manual_unrollILi128ELi4EZNS0_15gpu_kernel_implIZZZNS0_16sqrt_kernel_cudaERNS_18TensorIteratorBaseEENKUlvE_clEvENKUlvE0_clEvEUlN3c107complexIfEEE_EEvS4_RKT_EUlibE_EEviT1_ ; -- Begin function _ZN2at6native32elementwise_kernel_manual_unrollILi128ELi4EZNS0_15gpu_kernel_implIZZZNS0_16sqrt_kernel_cudaERNS_18TensorIteratorBaseEENKUlvE_clEvENKUlvE0_clEvEUlN3c107complexIfEEE_EEvS4_RKT_EUlibE_EEviT1_
	.p2align	8
	.type	_ZN2at6native32elementwise_kernel_manual_unrollILi128ELi4EZNS0_15gpu_kernel_implIZZZNS0_16sqrt_kernel_cudaERNS_18TensorIteratorBaseEENKUlvE_clEvENKUlvE0_clEvEUlN3c107complexIfEEE_EEvS4_RKT_EUlibE_EEviT1_,@function
_ZN2at6native32elementwise_kernel_manual_unrollILi128ELi4EZNS0_15gpu_kernel_implIZZZNS0_16sqrt_kernel_cudaERNS_18TensorIteratorBaseEENKUlvE_clEvENKUlvE0_clEvEUlN3c107complexIfEEE_EEvS4_RKT_EUlibE_EEviT1_: ; @_ZN2at6native32elementwise_kernel_manual_unrollILi128ELi4EZNS0_15gpu_kernel_implIZZZNS0_16sqrt_kernel_cudaERNS_18TensorIteratorBaseEENKUlvE_clEvENKUlvE0_clEvEUlN3c107complexIfEEE_EEvS4_RKT_EUlibE_EEviT1_
; %bb.0:
	v_mov_b32_e32 v1, 0
	s_clause 0x2
	s_load_b32 s11, s[0:1], 0x0
	s_load_b64 s[2:3], s[0:1], 0x18
	s_load_b128 s[4:7], s[0:1], 0x8
	v_lshl_or_b32 v12, s15, 9, v0
	s_mov_b32 s8, 0
	s_mov_b32 s10, 0
	global_load_u16 v11, v1, s[0:1] offset:33
	s_mov_b32 s0, exec_lo
	v_or_b32_e32 v0, 0x180, v12
	s_waitcnt vmcnt(0)
	v_lshrrev_b16 v13, 8, v11
	s_waitcnt lgkmcnt(0)
	s_delay_alu instid0(VALU_DEP_2)
	v_cmpx_le_i32_e64 s11, v0
	s_xor_b32 s9, exec_lo, s0
	s_cbranch_execz .LBB232_1172
; %bb.1:
	s_mov_b32 s1, -1
	s_mov_b32 s14, 0
	s_mov_b32 s12, 0
	s_mov_b32 s13, exec_lo
	v_cmpx_gt_i32_e64 s11, v12
	s_cbranch_execz .LBB232_286
; %bb.2:
	v_mul_lo_u32 v0, v12, s3
	v_cmp_gt_i16_e32 vcc_lo, 11, v13
	s_delay_alu instid0(VALU_DEP_2) | instskip(SKIP_1) | instid1(VALU_DEP_1)
	v_ashrrev_i32_e32 v1, 31, v0
	v_add_co_u32 v2, s0, s6, v0
	v_add_co_ci_u32_e64 v3, s0, s7, v1, s0
	s_cbranch_vccnz .LBB232_9
; %bb.3:
	v_cmp_lt_i16_e32 vcc_lo, 25, v13
	s_cbranch_vccz .LBB232_23
; %bb.4:
	v_cmp_lt_i16_e32 vcc_lo, 28, v13
	s_cbranch_vccz .LBB232_24
	;; [unrolled: 3-line block ×3, first 2 shown]
; %bb.6:
	v_cmp_lt_i16_e32 vcc_lo, 45, v13
                                        ; implicit-def: $vgpr0
	s_cbranch_vccz .LBB232_57
; %bb.7:
	v_cmp_eq_u16_e32 vcc_lo, 46, v13
	s_mov_b32 s1, 0
	s_cbranch_vccz .LBB232_56
; %bb.8:
	global_load_b32 v0, v[2:3], off
	s_mov_b32 s0, -1
	s_waitcnt vmcnt(0)
	v_and_b32_e32 v1, 0xffff0000, v0
	v_lshlrev_b32_e32 v0, 16, v0
	s_branch .LBB232_58
.LBB232_9:
	s_mov_b32 s0, 0
                                        ; implicit-def: $vgpr1
	s_and_b32 vcc_lo, exec_lo, s1
	s_cbranch_vccnz .LBB232_234
.LBB232_10:
	s_and_not1_b32 vcc_lo, exec_lo, s0
	s_cbranch_vccnz .LBB232_283
.LBB232_11:
	s_waitcnt vmcnt(0)
	s_delay_alu instid0(VALU_DEP_2) | instskip(NEXT) | instid1(VALU_DEP_2)
	v_cmp_neq_f32_e32 vcc_lo, 0, v0
	v_cmp_neq_f32_e64 s0, 0, v1
	v_mov_b32_e32 v2, 0
	s_delay_alu instid0(VALU_DEP_2) | instskip(NEXT) | instid1(SALU_CYCLE_1)
	s_or_b32 s0, vcc_lo, s0
	s_and_saveexec_b32 s10, s0
	s_cbranch_execz .LBB232_44
; %bb.12:
	v_mov_b32_e32 v2, 0x7f800000
	s_mov_b32 s15, exec_lo
	v_cmpx_neq_f32_e64 0x7f800000, |v1|
	s_cbranch_execz .LBB232_43
; %bb.13:
	s_mov_b32 s0, exec_lo
	v_cmpx_o_f32_e32 v0, v0
	s_xor_b32 s16, exec_lo, s0
	s_cbranch_execz .LBB232_40
; %bb.14:
	s_mov_b32 s1, exec_lo
	v_cmpx_neq_f32_e64 0x7f800000, |v0|
	s_xor_b32 s17, exec_lo, s1
	s_cbranch_execz .LBB232_33
; %bb.15:
	v_max_f32_e64 v2, |v1|, |v1|
	v_max_f32_e64 v3, |v0|, |v0|
                                        ; implicit-def: $sgpr18
	s_delay_alu instid0(VALU_DEP_1) | instskip(NEXT) | instid1(VALU_DEP_1)
	v_max_f32_e32 v2, v3, v2
	v_cmp_nle_f32_e64 s0, 0x7ed413cb, v2
	s_delay_alu instid0(VALU_DEP_1) | instskip(NEXT) | instid1(SALU_CYCLE_1)
	s_and_saveexec_b32 s1, s0
	s_xor_b32 s1, exec_lo, s1
	s_cbranch_execz .LBB232_19
; %bb.16:
	v_cmp_ge_f32_e64 s18, 0x1000000, |v0|
	v_cmp_ge_f32_e64 s19, 0x1000000, |v1|
	s_delay_alu instid0(VALU_DEP_1)
	s_and_b32 s20, s18, s19
	s_mov_b32 s18, 0
	s_and_saveexec_b32 s19, s20
; %bb.17:
	v_dual_mul_f32 v0, 4.0, v0 :: v_dual_mul_f32 v1, 4.0, v1
	s_mov_b32 s18, exec_lo
; %bb.18:
	s_or_b32 exec_lo, exec_lo, s19
	s_delay_alu instid0(SALU_CYCLE_1)
	s_and_b32 s18, s18, exec_lo
.LBB232_19:
	s_and_not1_saveexec_b32 s1, s1
; %bb.20:
	v_dual_mul_f32 v0, 0x3e800000, v0 :: v_dual_mul_f32 v1, 0x3e800000, v1
	s_and_not1_b32 s18, s18, exec_lo
; %bb.21:
	s_or_b32 exec_lo, exec_lo, s1
	s_delay_alu instid0(VALU_DEP_1) | instskip(NEXT) | instid1(VALU_DEP_2)
	v_max_f32_e64 v2, |v1|, |v1|
	v_max_f32_e64 v3, |v0|, |v0|
	s_delay_alu instid0(VALU_DEP_1) | instskip(NEXT) | instid1(VALU_DEP_1)
	v_max_f32_e32 v4, v3, v2
	v_cvt_f64_f32_e32 v[2:3], v4
	s_delay_alu instid0(VALU_DEP_1) | instskip(NEXT) | instid1(VALU_DEP_1)
	v_frexp_exp_i32_f64_e32 v2, v[2:3]
	v_sub_nc_u32_e32 v3, 0, v2
	s_delay_alu instid0(VALU_DEP_1) | instskip(SKIP_1) | instid1(VALU_DEP_2)
	v_ldexp_f32 v5, |v1|, v3
	v_ldexp_f32 v3, |v0|, v3
	v_mul_f32_e32 v5, v5, v5
	v_cmp_neq_f32_e64 s1, 0x7f800000, v4
	s_delay_alu instid0(VALU_DEP_2) | instskip(NEXT) | instid1(VALU_DEP_1)
	v_fmac_f32_e32 v5, v3, v3
	v_sqrt_f32_e32 v3, v5
	s_waitcnt_depctr 0xfff
	v_ldexp_f32 v2, v3, v2
                                        ; implicit-def: $vgpr3
	s_delay_alu instid0(VALU_DEP_1)
	v_cndmask_b32_e64 v4, 0x7f800000, v2, s1
                                        ; implicit-def: $vgpr2
	s_mov_b32 s1, exec_lo
	v_cmpx_le_f32_e32 0, v0
	s_xor_b32 s19, exec_lo, s1
	s_cbranch_execz .LBB232_26
; %bb.22:
	v_add_f32_e32 v0, v0, v4
	s_delay_alu instid0(VALU_DEP_1) | instskip(NEXT) | instid1(VALU_DEP_1)
	v_mul_f32_e32 v0, 0.5, v0
	v_mul_f32_e32 v2, 0x4f800000, v0
	v_cmp_gt_f32_e32 vcc_lo, 0xf800000, v0
	s_delay_alu instid0(VALU_DEP_2) | instskip(NEXT) | instid1(VALU_DEP_1)
	v_cndmask_b32_e32 v0, v0, v2, vcc_lo
	v_sqrt_f32_e32 v2, v0
	s_waitcnt_depctr 0xfff
	v_add_nc_u32_e32 v3, -1, v2
	v_add_nc_u32_e32 v4, 1, v2
	s_delay_alu instid0(VALU_DEP_2) | instskip(NEXT) | instid1(VALU_DEP_2)
	v_fma_f32 v5, -v3, v2, v0
	v_fma_f32 v6, -v4, v2, v0
	s_delay_alu instid0(VALU_DEP_2) | instskip(NEXT) | instid1(VALU_DEP_1)
	v_cmp_ge_f32_e64 s1, 0, v5
	v_cndmask_b32_e64 v2, v2, v3, s1
	s_delay_alu instid0(VALU_DEP_3) | instskip(NEXT) | instid1(VALU_DEP_1)
	v_cmp_lt_f32_e64 s1, 0, v6
	v_cndmask_b32_e64 v2, v2, v4, s1
	s_delay_alu instid0(VALU_DEP_1) | instskip(NEXT) | instid1(VALU_DEP_1)
	v_mul_f32_e32 v3, 0x37800000, v2
	v_cndmask_b32_e32 v2, v2, v3, vcc_lo
	v_cmp_class_f32_e64 vcc_lo, v0, 0x260
	s_delay_alu instid0(VALU_DEP_2) | instskip(NEXT) | instid1(VALU_DEP_1)
	v_cndmask_b32_e32 v2, v2, v0, vcc_lo
	v_add_f32_e32 v0, v2, v2
	s_delay_alu instid0(VALU_DEP_1) | instskip(NEXT) | instid1(VALU_DEP_1)
	v_div_scale_f32 v3, null, v0, v0, v1
	v_rcp_f32_e32 v4, v3
	s_waitcnt_depctr 0xfff
	v_fma_f32 v5, -v3, v4, 1.0
	s_delay_alu instid0(VALU_DEP_1) | instskip(SKIP_1) | instid1(VALU_DEP_1)
	v_fmac_f32_e32 v4, v5, v4
	v_div_scale_f32 v5, vcc_lo, v1, v0, v1
	v_mul_f32_e32 v6, v5, v4
	s_delay_alu instid0(VALU_DEP_1) | instskip(NEXT) | instid1(VALU_DEP_1)
	v_fma_f32 v7, -v3, v6, v5
	v_fmac_f32_e32 v6, v7, v4
	s_delay_alu instid0(VALU_DEP_1) | instskip(NEXT) | instid1(VALU_DEP_1)
	v_fma_f32 v3, -v3, v6, v5
	v_div_fmas_f32 v3, v3, v4, v6
                                        ; implicit-def: $vgpr4
	s_delay_alu instid0(VALU_DEP_1)
	v_div_fixup_f32 v3, v3, v0, v1
                                        ; implicit-def: $vgpr0
	s_and_not1_saveexec_b32 s19, s19
	s_cbranch_execz .LBB232_28
	s_branch .LBB232_27
.LBB232_23:
	s_mov_b32 s0, 0
                                        ; implicit-def: $vgpr1
	s_and_b32 vcc_lo, exec_lo, s1
	s_cbranch_vccnz .LBB232_200
	s_branch .LBB232_233
.LBB232_24:
	s_mov_b32 s0, 0
                                        ; implicit-def: $vgpr1
	s_branch .LBB232_179
.LBB232_25:
	s_mov_b32 s0, 0
                                        ; implicit-def: $vgpr1
	s_branch .LBB232_173
.LBB232_26:
	s_and_not1_saveexec_b32 s19, s19
	s_cbranch_execz .LBB232_28
.LBB232_27:
	v_sub_f32_e32 v0, v4, v0
	s_delay_alu instid0(VALU_DEP_1) | instskip(NEXT) | instid1(VALU_DEP_1)
	v_mul_f32_e32 v0, 0.5, v0
	v_mul_f32_e32 v2, 0x4f800000, v0
	v_cmp_gt_f32_e32 vcc_lo, 0xf800000, v0
	s_delay_alu instid0(VALU_DEP_2) | instskip(NEXT) | instid1(VALU_DEP_1)
	v_cndmask_b32_e32 v0, v0, v2, vcc_lo
	v_sqrt_f32_e32 v2, v0
	s_waitcnt_depctr 0xfff
	v_add_nc_u32_e32 v3, -1, v2
	v_add_nc_u32_e32 v4, 1, v2
	s_delay_alu instid0(VALU_DEP_2) | instskip(NEXT) | instid1(VALU_DEP_2)
	v_fma_f32 v5, -v3, v2, v0
	v_fma_f32 v6, -v4, v2, v0
	s_delay_alu instid0(VALU_DEP_2) | instskip(NEXT) | instid1(VALU_DEP_1)
	v_cmp_ge_f32_e64 s1, 0, v5
	v_cndmask_b32_e64 v2, v2, v3, s1
	s_delay_alu instid0(VALU_DEP_3) | instskip(NEXT) | instid1(VALU_DEP_1)
	v_cmp_lt_f32_e64 s1, 0, v6
	v_cndmask_b32_e64 v2, v2, v4, s1
	s_delay_alu instid0(VALU_DEP_1) | instskip(NEXT) | instid1(VALU_DEP_1)
	v_mul_f32_e32 v3, 0x37800000, v2
	v_cndmask_b32_e32 v2, v2, v3, vcc_lo
	v_cmp_class_f32_e64 vcc_lo, v0, 0x260
	s_delay_alu instid0(VALU_DEP_2) | instskip(NEXT) | instid1(VALU_DEP_1)
	v_cndmask_b32_e32 v0, v2, v0, vcc_lo
	v_dual_add_f32 v3, v0, v0 :: v_dual_and_b32 v2, 0x7fffffff, v1
	s_delay_alu instid0(VALU_DEP_1) | instskip(SKIP_1) | instid1(VALU_DEP_2)
	v_div_scale_f32 v4, null, v3, v3, v2
	v_div_scale_f32 v2, vcc_lo, v2, v3, v2
	v_rcp_f32_e32 v5, v4
	s_waitcnt_depctr 0xfff
	v_fma_f32 v6, -v4, v5, 1.0
	s_delay_alu instid0(VALU_DEP_1) | instskip(NEXT) | instid1(VALU_DEP_1)
	v_fmac_f32_e32 v5, v6, v5
	v_mul_f32_e32 v6, v2, v5
	s_delay_alu instid0(VALU_DEP_1) | instskip(NEXT) | instid1(VALU_DEP_1)
	v_fma_f32 v7, -v4, v6, v2
	v_fmac_f32_e32 v6, v7, v5
	s_delay_alu instid0(VALU_DEP_1) | instskip(NEXT) | instid1(VALU_DEP_1)
	v_fma_f32 v2, -v4, v6, v2
	v_div_fmas_f32 v2, v2, v5, v6
	s_delay_alu instid0(VALU_DEP_1)
	v_div_fixup_f32 v2, v2, v3, |v1|
	v_bfi_b32 v3, 0x7fffffff, v0, v1
.LBB232_28:
	s_or_b32 exec_lo, exec_lo, s19
                                        ; implicit-def: $vgpr1
	s_and_saveexec_b32 s1, s0
	s_delay_alu instid0(SALU_CYCLE_1)
	s_xor_b32 s0, exec_lo, s1
	s_cbranch_execz .LBB232_30
; %bb.29:
	v_dual_mul_f32 v0, 0.5, v2 :: v_dual_mul_f32 v1, 0.5, v3
	s_delay_alu instid0(VALU_DEP_1) | instskip(NEXT) | instid1(VALU_DEP_2)
	v_cndmask_b32_e64 v0, v2, v0, s18
	v_cndmask_b32_e64 v1, v3, v1, s18
                                        ; implicit-def: $vgpr2
                                        ; implicit-def: $vgpr3
	s_and_not1_saveexec_b32 s0, s0
	s_cbranch_execnz .LBB232_31
	s_branch .LBB232_32
.LBB232_30:
	s_and_not1_saveexec_b32 s0, s0
.LBB232_31:
	v_dual_add_f32 v0, v2, v2 :: v_dual_add_f32 v1, v3, v3
.LBB232_32:
	s_or_b32 exec_lo, exec_lo, s0
.LBB232_33:
	s_and_not1_saveexec_b32 s0, s17
	s_cbranch_execz .LBB232_39
; %bb.34:
	s_delay_alu instid0(VALU_DEP_1)
	v_sub_f32_e32 v2, v1, v1
	s_mov_b32 s1, exec_lo
	v_cmpx_lt_i32_e32 -1, v0
	s_xor_b32 s1, exec_lo, s1
; %bb.35:
	s_delay_alu instid0(VALU_DEP_2)
	v_bfi_b32 v1, 0x7fffffff, v2, v1
                                        ; implicit-def: $vgpr2
; %bb.36:
	s_and_not1_saveexec_b32 s1, s1
; %bb.37:
	v_and_b32_e32 v2, 0x7fffffff, v2
	s_delay_alu instid0(VALU_DEP_2) | instskip(NEXT) | instid1(VALU_DEP_2)
	v_bfi_b32 v1, 0x7fffffff, v0, v1
	v_mov_b32_e32 v0, v2
; %bb.38:
	s_or_b32 exec_lo, exec_lo, s1
.LBB232_39:
	s_delay_alu instid0(SALU_CYCLE_1)
	s_or_b32 exec_lo, exec_lo, s0
.LBB232_40:
	s_and_not1_saveexec_b32 s0, s16
; %bb.41:
	v_sub_f32_e32 v1, v1, v1
	s_delay_alu instid0(VALU_DEP_1) | instskip(NEXT) | instid1(VALU_DEP_1)
	v_div_scale_f32 v2, vcc_lo, v1, v1, v1
	v_rcp_f32_e32 v3, v2
	s_waitcnt_depctr 0xfff
	v_fma_f32 v4, -v2, v3, 1.0
	s_delay_alu instid0(VALU_DEP_1) | instskip(NEXT) | instid1(VALU_DEP_1)
	v_fmac_f32_e32 v3, v4, v3
	v_mul_f32_e32 v4, v2, v3
	s_delay_alu instid0(VALU_DEP_1) | instskip(NEXT) | instid1(VALU_DEP_1)
	v_fma_f32 v5, -v2, v4, v2
	v_fmac_f32_e32 v4, v5, v3
	s_delay_alu instid0(VALU_DEP_1) | instskip(NEXT) | instid1(VALU_DEP_1)
	v_fma_f32 v2, -v2, v4, v2
	v_div_fmas_f32 v2, v2, v3, v4
	s_delay_alu instid0(VALU_DEP_1)
	v_div_fixup_f32 v1, v2, v1, v1
; %bb.42:
	s_or_b32 exec_lo, exec_lo, s0
	v_mov_b32_e32 v2, v0
.LBB232_43:
	s_or_b32 exec_lo, exec_lo, s15
.LBB232_44:
	s_delay_alu instid0(SALU_CYCLE_1) | instskip(SKIP_2) | instid1(VALU_DEP_1)
	s_or_b32 exec_lo, exec_lo, s10
	v_mul_lo_u32 v3, v12, s2
	v_and_b32_e32 v0, 0xff, v11
	v_cmp_gt_i16_e32 vcc_lo, 11, v0
	s_delay_alu instid0(VALU_DEP_3) | instskip(SKIP_1) | instid1(VALU_DEP_1)
	v_ashrrev_i32_e32 v5, 31, v3
	v_add_co_u32 v4, s0, s4, v3
	v_add_co_ci_u32_e64 v5, s0, s5, v5, s0
	s_cbranch_vccnz .LBB232_51
; %bb.45:
	v_cmp_lt_i16_e32 vcc_lo, 25, v0
	s_cbranch_vccz .LBB232_53
; %bb.46:
	v_cmp_lt_i16_e32 vcc_lo, 28, v0
	s_cbranch_vccz .LBB232_54
	;; [unrolled: 3-line block ×4, first 2 shown]
; %bb.49:
	v_cmp_eq_u16_e32 vcc_lo, 46, v0
	s_mov_b32 s10, 0
	s_mov_b32 s0, -1
	s_mov_b32 s1, 0
	s_cbranch_vccz .LBB232_62
; %bb.50:
	v_bfe_u32 v3, v1, 16, 1
	v_bfe_u32 v6, v2, 16, 1
	v_cmp_o_f32_e32 vcc_lo, v1, v1
	s_mov_b32 s1, -1
	s_mov_b32 s0, 0
	v_add3_u32 v3, v1, v3, 0x7fff
	v_add3_u32 v6, v2, v6, 0x7fff
	s_delay_alu instid0(VALU_DEP_2) | instskip(NEXT) | instid1(VALU_DEP_2)
	v_and_b32_e32 v3, 0xffff0000, v3
	v_lshrrev_b32_e32 v6, 16, v6
	s_delay_alu instid0(VALU_DEP_2) | instskip(SKIP_1) | instid1(VALU_DEP_3)
	v_cndmask_b32_e32 v3, 0x7fc00000, v3, vcc_lo
	v_cmp_o_f32_e32 vcc_lo, v2, v2
	v_cndmask_b32_e32 v6, 0x7fc0, v6, vcc_lo
	s_delay_alu instid0(VALU_DEP_1)
	v_or_b32_e32 v3, v3, v6
	global_store_b32 v[4:5], v3, off
	s_branch .LBB232_62
.LBB232_51:
	s_mov_b32 s0, 0
	s_mov_b32 s1, 0
	s_cbranch_execnz .LBB232_131
.LBB232_52:
	s_and_not1_b32 vcc_lo, exec_lo, s1
	s_cbranch_vccnz .LBB232_284
	s_branch .LBB232_169
.LBB232_53:
	s_mov_b32 s10, -1
	s_mov_b32 s0, 0
	s_mov_b32 s1, 0
	s_branch .LBB232_89
.LBB232_54:
	s_mov_b32 s10, -1
	s_mov_b32 s0, 0
	s_mov_b32 s1, 0
	s_branch .LBB232_72
.LBB232_55:
	s_mov_b32 s10, -1
	s_mov_b32 s0, 0
	s_mov_b32 s1, 0
	s_branch .LBB232_68
.LBB232_56:
	s_mov_b32 s12, -1
.LBB232_57:
	s_mov_b32 s0, 0
                                        ; implicit-def: $vgpr1
.LBB232_58:
	s_and_b32 vcc_lo, exec_lo, s1
	s_cbranch_vccz .LBB232_172
; %bb.59:
	v_cmp_eq_u16_e32 vcc_lo, 44, v13
	s_cbranch_vccz .LBB232_170
; %bb.60:
	global_load_u8 v0, v[2:3], off
	s_mov_b32 s12, 0
	s_mov_b32 s0, -1
	s_waitcnt vmcnt(0)
	v_lshlrev_b32_e32 v1, 23, v0
	v_cmp_ne_u32_e32 vcc_lo, 0xff, v0
	s_delay_alu instid0(VALU_DEP_2) | instskip(SKIP_1) | instid1(VALU_DEP_2)
	v_cndmask_b32_e32 v1, 0x7f800001, v1, vcc_lo
	v_cmp_ne_u32_e32 vcc_lo, 0, v0
	v_cndmask_b32_e32 v0, 0x400000, v1, vcc_lo
	s_branch .LBB232_171
.LBB232_61:
	s_mov_b32 s10, -1
	s_mov_b32 s0, 0
	s_mov_b32 s1, 0
.LBB232_62:
	s_and_b32 vcc_lo, exec_lo, s10
	s_cbranch_vccz .LBB232_67
; %bb.63:
	v_cmp_eq_u16_e32 vcc_lo, 44, v0
	s_mov_b32 s0, -1
	s_cbranch_vccz .LBB232_67
; %bb.64:
	v_bfe_u32 v6, v2, 23, 8
	v_mov_b32_e32 v3, 0xff
	s_mov_b32 s1, exec_lo
	s_delay_alu instid0(VALU_DEP_2)
	v_cmpx_ne_u32_e32 0xff, v6
; %bb.65:
	v_and_b32_e32 v3, 0x400000, v2
	v_and_or_b32 v6, 0x3fffff, v2, v6
	s_delay_alu instid0(VALU_DEP_2) | instskip(NEXT) | instid1(VALU_DEP_2)
	v_cmp_ne_u32_e32 vcc_lo, 0, v3
	v_cmp_ne_u32_e64 s0, 0, v6
	v_lshrrev_b32_e32 v3, 23, v2
	s_delay_alu instid0(VALU_DEP_2) | instskip(NEXT) | instid1(SALU_CYCLE_1)
	s_and_b32 s0, vcc_lo, s0
	v_cndmask_b32_e64 v6, 0, 1, s0
	s_delay_alu instid0(VALU_DEP_1)
	v_add_nc_u32_e32 v3, v3, v6
; %bb.66:
	s_or_b32 exec_lo, exec_lo, s1
	s_mov_b32 s1, -1
	s_mov_b32 s0, 0
	global_store_b8 v[4:5], v3, off
.LBB232_67:
	s_mov_b32 s10, 0
.LBB232_68:
	s_delay_alu instid0(SALU_CYCLE_1)
	s_and_b32 vcc_lo, exec_lo, s10
	s_cbranch_vccz .LBB232_71
; %bb.69:
	v_cmp_eq_u16_e32 vcc_lo, 29, v0
	s_mov_b32 s0, -1
	s_cbranch_vccz .LBB232_71
; %bb.70:
	v_trunc_f32_e32 v3, v2
	s_mov_b32 s1, -1
	s_mov_b32 s0, 0
	s_mov_b32 s10, 0
	s_delay_alu instid0(VALU_DEP_1) | instskip(NEXT) | instid1(VALU_DEP_1)
	v_mul_f32_e32 v6, 0x2f800000, v3
	v_floor_f32_e32 v6, v6
	s_delay_alu instid0(VALU_DEP_1) | instskip(SKIP_1) | instid1(VALU_DEP_2)
	v_fmamk_f32 v3, v6, 0xcf800000, v3
	v_cvt_u32_f32_e32 v7, v6
	v_cvt_u32_f32_e32 v6, v3
	global_store_b64 v[4:5], v[6:7], off
	s_branch .LBB232_72
.LBB232_71:
	s_mov_b32 s10, 0
.LBB232_72:
	s_delay_alu instid0(SALU_CYCLE_1)
	s_and_b32 vcc_lo, exec_lo, s10
	s_cbranch_vccz .LBB232_88
; %bb.73:
	v_cmp_gt_i16_e32 vcc_lo, 27, v0
	s_mov_b32 s1, -1
	s_cbranch_vccnz .LBB232_79
; %bb.74:
	v_cmp_lt_i16_e32 vcc_lo, 27, v0
	s_cbranch_vccz .LBB232_76
; %bb.75:
	v_cvt_u32_f32_e32 v3, v2
	s_mov_b32 s1, 0
	global_store_b32 v[4:5], v3, off
.LBB232_76:
	s_and_not1_b32 vcc_lo, exec_lo, s1
	s_cbranch_vccnz .LBB232_78
; %bb.77:
	v_cvt_u32_f32_e32 v3, v2
	global_store_b16 v[4:5], v3, off
.LBB232_78:
	s_mov_b32 s1, 0
.LBB232_79:
	s_delay_alu instid0(SALU_CYCLE_1)
	s_and_not1_b32 vcc_lo, exec_lo, s1
	s_cbranch_vccnz .LBB232_87
; %bb.80:
	v_and_b32_e32 v3, 0x7fffffff, v2
	v_mov_b32_e32 v6, 0x80
	s_mov_b32 s1, exec_lo
	s_delay_alu instid0(VALU_DEP_2)
	v_cmpx_gt_u32_e32 0x43800000, v3
	s_cbranch_execz .LBB232_86
; %bb.81:
	v_cmp_lt_u32_e32 vcc_lo, 0x3bffffff, v3
	s_mov_b32 s10, 0
                                        ; implicit-def: $vgpr3
	s_and_saveexec_b32 s15, vcc_lo
	s_delay_alu instid0(SALU_CYCLE_1)
	s_xor_b32 s15, exec_lo, s15
	s_cbranch_execz .LBB232_312
; %bb.82:
	v_bfe_u32 v3, v2, 20, 1
	s_mov_b32 s10, exec_lo
	s_delay_alu instid0(VALU_DEP_1) | instskip(NEXT) | instid1(VALU_DEP_1)
	v_add3_u32 v3, v2, v3, 0x487ffff
	v_lshrrev_b32_e32 v3, 20, v3
	s_or_saveexec_b32 s15, s15
                                        ; implicit-def: $sgpr16
	s_delay_alu instid0(SALU_CYCLE_1)
	s_xor_b32 exec_lo, exec_lo, s15
	s_cbranch_execnz .LBB232_313
.LBB232_83:
	s_or_b32 exec_lo, exec_lo, s15
	v_mov_b32_e32 v6, s16
	s_and_saveexec_b32 s15, s10
.LBB232_84:
	v_lshrrev_b32_e32 v6, 24, v2
	s_delay_alu instid0(VALU_DEP_1)
	v_and_or_b32 v6, 0x80, v6, v3
.LBB232_85:
	s_or_b32 exec_lo, exec_lo, s15
.LBB232_86:
	s_delay_alu instid0(SALU_CYCLE_1)
	s_or_b32 exec_lo, exec_lo, s1
	global_store_b8 v[4:5], v6, off
.LBB232_87:
	s_mov_b32 s1, -1
.LBB232_88:
	s_mov_b32 s10, 0
.LBB232_89:
	s_delay_alu instid0(SALU_CYCLE_1)
	s_and_b32 vcc_lo, exec_lo, s10
	s_cbranch_vccz .LBB232_130
; %bb.90:
	v_cmp_lt_i16_e32 vcc_lo, 22, v0
	s_mov_b32 s10, -1
	s_cbranch_vccz .LBB232_122
; %bb.91:
	v_cmp_gt_i16_e32 vcc_lo, 24, v0
	s_mov_b32 s1, -1
	s_cbranch_vccnz .LBB232_111
; %bb.92:
	v_cmp_lt_i16_e32 vcc_lo, 24, v0
	s_cbranch_vccz .LBB232_100
; %bb.93:
	v_and_b32_e32 v3, 0x7fffffff, v2
	v_mov_b32_e32 v6, 0x80
	s_mov_b32 s1, exec_lo
	s_delay_alu instid0(VALU_DEP_2)
	v_cmpx_gt_u32_e32 0x47800000, v3
	s_cbranch_execz .LBB232_99
; %bb.94:
	v_cmp_lt_u32_e32 vcc_lo, 0x37ffffff, v3
	s_mov_b32 s10, 0
                                        ; implicit-def: $vgpr3
	s_and_saveexec_b32 s15, vcc_lo
	s_delay_alu instid0(SALU_CYCLE_1)
	s_xor_b32 s15, exec_lo, s15
	s_cbranch_execz .LBB232_344
; %bb.95:
	v_bfe_u32 v3, v2, 21, 1
	s_mov_b32 s10, exec_lo
	s_delay_alu instid0(VALU_DEP_1) | instskip(NEXT) | instid1(VALU_DEP_1)
	v_add3_u32 v3, v2, v3, 0x88fffff
	v_lshrrev_b32_e32 v3, 21, v3
	s_or_saveexec_b32 s15, s15
                                        ; implicit-def: $sgpr16
	s_delay_alu instid0(SALU_CYCLE_1)
	s_xor_b32 exec_lo, exec_lo, s15
	s_cbranch_execnz .LBB232_345
.LBB232_96:
	s_or_b32 exec_lo, exec_lo, s15
	v_mov_b32_e32 v6, s16
	s_and_saveexec_b32 s15, s10
.LBB232_97:
	v_lshrrev_b32_e32 v6, 24, v2
	s_delay_alu instid0(VALU_DEP_1)
	v_and_or_b32 v6, 0x80, v6, v3
.LBB232_98:
	s_or_b32 exec_lo, exec_lo, s15
.LBB232_99:
	s_delay_alu instid0(SALU_CYCLE_1)
	s_or_b32 exec_lo, exec_lo, s1
	s_mov_b32 s1, 0
	global_store_b8 v[4:5], v6, off
.LBB232_100:
	s_and_b32 vcc_lo, exec_lo, s1
	s_cbranch_vccz .LBB232_110
; %bb.101:
	v_and_b32_e32 v6, 0x7fffffff, v2
	s_mov_b32 s1, exec_lo
                                        ; implicit-def: $vgpr3
	s_delay_alu instid0(VALU_DEP_1)
	v_cmpx_gt_u32_e32 0x43f00000, v6
	s_xor_b32 s1, exec_lo, s1
	s_cbranch_execz .LBB232_107
; %bb.102:
	s_mov_b32 s10, exec_lo
                                        ; implicit-def: $vgpr3
	v_cmpx_lt_u32_e32 0x3c7fffff, v6
	s_xor_b32 s10, exec_lo, s10
; %bb.103:
	v_bfe_u32 v3, v2, 20, 1
	s_delay_alu instid0(VALU_DEP_1) | instskip(NEXT) | instid1(VALU_DEP_1)
	v_add3_u32 v3, v2, v3, 0x407ffff
	v_and_b32_e32 v6, 0xff00000, v3
	v_lshrrev_b32_e32 v3, 20, v3
	s_delay_alu instid0(VALU_DEP_2) | instskip(NEXT) | instid1(VALU_DEP_2)
	v_cmp_ne_u32_e32 vcc_lo, 0x7f00000, v6
	v_cndmask_b32_e32 v3, 0x7e, v3, vcc_lo
; %bb.104:
	s_and_not1_saveexec_b32 s10, s10
; %bb.105:
	v_add_f32_e64 v3, 0x46800000, |v2|
; %bb.106:
	s_or_b32 exec_lo, exec_lo, s10
                                        ; implicit-def: $vgpr6
.LBB232_107:
	s_and_not1_saveexec_b32 s1, s1
; %bb.108:
	v_mov_b32_e32 v3, 0x7f
	v_cmp_lt_u32_e32 vcc_lo, 0x7f800000, v6
	s_delay_alu instid0(VALU_DEP_2)
	v_cndmask_b32_e32 v3, 0x7e, v3, vcc_lo
; %bb.109:
	s_or_b32 exec_lo, exec_lo, s1
	v_lshrrev_b32_e32 v6, 24, v2
	s_delay_alu instid0(VALU_DEP_1)
	v_and_or_b32 v3, 0x80, v6, v3
	global_store_b8 v[4:5], v3, off
.LBB232_110:
	s_mov_b32 s1, 0
.LBB232_111:
	s_delay_alu instid0(SALU_CYCLE_1)
	s_and_not1_b32 vcc_lo, exec_lo, s1
	s_cbranch_vccnz .LBB232_121
; %bb.112:
	v_and_b32_e32 v6, 0x7fffffff, v2
	s_mov_b32 s1, exec_lo
                                        ; implicit-def: $vgpr3
	s_delay_alu instid0(VALU_DEP_1)
	v_cmpx_gt_u32_e32 0x47800000, v6
	s_xor_b32 s1, exec_lo, s1
	s_cbranch_execz .LBB232_118
; %bb.113:
	s_mov_b32 s10, exec_lo
                                        ; implicit-def: $vgpr3
	v_cmpx_lt_u32_e32 0x387fffff, v6
	s_xor_b32 s10, exec_lo, s10
; %bb.114:
	v_bfe_u32 v3, v2, 21, 1
	s_delay_alu instid0(VALU_DEP_1) | instskip(NEXT) | instid1(VALU_DEP_1)
	v_add3_u32 v3, v2, v3, 0x80fffff
	v_lshrrev_b32_e32 v3, 21, v3
; %bb.115:
	s_and_not1_saveexec_b32 s10, s10
; %bb.116:
	v_add_f32_e64 v3, 0x43000000, |v2|
; %bb.117:
	s_or_b32 exec_lo, exec_lo, s10
                                        ; implicit-def: $vgpr6
.LBB232_118:
	s_and_not1_saveexec_b32 s1, s1
; %bb.119:
	v_mov_b32_e32 v3, 0x7f
	v_cmp_lt_u32_e32 vcc_lo, 0x7f800000, v6
	s_delay_alu instid0(VALU_DEP_2)
	v_cndmask_b32_e32 v3, 0x7c, v3, vcc_lo
; %bb.120:
	s_or_b32 exec_lo, exec_lo, s1
	v_lshrrev_b32_e32 v6, 24, v2
	s_delay_alu instid0(VALU_DEP_1)
	v_and_or_b32 v3, 0x80, v6, v3
	global_store_b8 v[4:5], v3, off
.LBB232_121:
	s_mov_b32 s10, 0
	s_mov_b32 s1, -1
.LBB232_122:
	s_and_not1_b32 vcc_lo, exec_lo, s10
	s_cbranch_vccnz .LBB232_130
; %bb.123:
	v_cmp_lt_i16_e32 vcc_lo, 14, v0
	s_mov_b32 s10, -1
	s_cbranch_vccz .LBB232_127
; %bb.124:
	v_cmp_eq_u16_e32 vcc_lo, 15, v0
	s_mov_b32 s0, -1
	s_cbranch_vccz .LBB232_126
; %bb.125:
	v_bfe_u32 v3, v2, 16, 1
	v_cmp_o_f32_e32 vcc_lo, v2, v2
	s_mov_b32 s1, -1
	s_mov_b32 s0, 0
	s_delay_alu instid0(VALU_DEP_2) | instskip(NEXT) | instid1(VALU_DEP_1)
	v_add3_u32 v3, v2, v3, 0x7fff
	v_lshrrev_b32_e32 v3, 16, v3
	s_delay_alu instid0(VALU_DEP_1)
	v_cndmask_b32_e32 v3, 0x7fc0, v3, vcc_lo
	global_store_b16 v[4:5], v3, off
.LBB232_126:
	s_mov_b32 s10, 0
.LBB232_127:
	s_delay_alu instid0(SALU_CYCLE_1)
	s_and_b32 vcc_lo, exec_lo, s10
	s_cbranch_vccz .LBB232_130
; %bb.128:
	v_cmp_eq_u16_e32 vcc_lo, 11, v0
	s_mov_b32 s0, -1
	s_cbranch_vccz .LBB232_130
; %bb.129:
	v_cmp_neq_f32_e32 vcc_lo, 0, v2
	v_cmp_neq_f32_e64 s0, 0, v1
	s_mov_b32 s1, -1
	s_delay_alu instid0(VALU_DEP_1) | instskip(NEXT) | instid1(SALU_CYCLE_1)
	s_or_b32 s0, vcc_lo, s0
	v_cndmask_b32_e64 v3, 0, 1, s0
	s_mov_b32 s0, 0
	global_store_b8 v[4:5], v3, off
.LBB232_130:
	s_branch .LBB232_52
.LBB232_131:
	v_cmp_gt_i16_e32 vcc_lo, 5, v0
	s_mov_b32 s1, -1
	s_cbranch_vccnz .LBB232_152
; %bb.132:
	v_cmp_gt_i16_e32 vcc_lo, 8, v0
	s_cbranch_vccnz .LBB232_142
; %bb.133:
	v_cmp_gt_i16_e32 vcc_lo, 9, v0
	s_cbranch_vccnz .LBB232_139
; %bb.134:
	v_cmp_lt_i16_e32 vcc_lo, 9, v0
	s_cbranch_vccz .LBB232_136
; %bb.135:
	v_cvt_f64_f32_e32 v[6:7], v2
	v_cvt_f64_f32_e32 v[8:9], v1
	s_mov_b32 s1, 0
	global_store_b128 v[4:5], v[6:9], off
.LBB232_136:
	s_and_not1_b32 vcc_lo, exec_lo, s1
	s_cbranch_vccnz .LBB232_138
; %bb.137:
	v_mov_b32_e32 v3, v1
	global_store_b64 v[4:5], v[2:3], off
.LBB232_138:
	s_mov_b32 s1, 0
.LBB232_139:
	s_delay_alu instid0(SALU_CYCLE_1)
	s_and_not1_b32 vcc_lo, exec_lo, s1
	s_cbranch_vccnz .LBB232_141
; %bb.140:
	v_cvt_f16_f32_e32 v1, v1
	v_cvt_f16_f32_e32 v3, v2
	s_delay_alu instid0(VALU_DEP_2) | instskip(NEXT) | instid1(VALU_DEP_2)
	v_lshlrev_b32_e32 v1, 16, v1
	v_and_b32_e32 v3, 0xffff, v3
	s_delay_alu instid0(VALU_DEP_1)
	v_or_b32_e32 v1, v1, v3
	global_store_b32 v[4:5], v1, off
.LBB232_141:
	s_mov_b32 s1, 0
.LBB232_142:
	s_delay_alu instid0(SALU_CYCLE_1)
	s_and_not1_b32 vcc_lo, exec_lo, s1
	s_cbranch_vccnz .LBB232_151
; %bb.143:
	v_cmp_gt_i16_e32 vcc_lo, 6, v0
	s_mov_b32 s1, -1
	s_cbranch_vccnz .LBB232_149
; %bb.144:
	v_cmp_lt_i16_e32 vcc_lo, 6, v0
	s_cbranch_vccz .LBB232_146
; %bb.145:
	v_cvt_f64_f32_e32 v[6:7], v2
	s_mov_b32 s1, 0
	global_store_b64 v[4:5], v[6:7], off
.LBB232_146:
	s_and_not1_b32 vcc_lo, exec_lo, s1
	s_cbranch_vccnz .LBB232_148
; %bb.147:
	global_store_b32 v[4:5], v2, off
.LBB232_148:
	s_mov_b32 s1, 0
.LBB232_149:
	s_delay_alu instid0(SALU_CYCLE_1)
	s_and_not1_b32 vcc_lo, exec_lo, s1
	s_cbranch_vccnz .LBB232_151
; %bb.150:
	v_cvt_f16_f32_e32 v1, v2
	global_store_b16 v[4:5], v1, off
.LBB232_151:
	s_mov_b32 s1, 0
.LBB232_152:
	s_delay_alu instid0(SALU_CYCLE_1)
	s_and_not1_b32 vcc_lo, exec_lo, s1
	s_cbranch_vccnz .LBB232_168
; %bb.153:
	v_cmp_gt_i16_e32 vcc_lo, 2, v0
	s_mov_b32 s1, -1
	s_cbranch_vccnz .LBB232_163
; %bb.154:
	v_cmp_gt_i16_e32 vcc_lo, 3, v0
	s_cbranch_vccnz .LBB232_160
; %bb.155:
	v_cmp_lt_i16_e32 vcc_lo, 3, v0
	s_cbranch_vccz .LBB232_157
; %bb.156:
	v_trunc_f32_e32 v1, v2
	s_mov_b32 s1, 0
	s_delay_alu instid0(VALU_DEP_1) | instskip(NEXT) | instid1(VALU_DEP_1)
	v_mul_f32_e64 v3, 0x2f800000, |v1|
	v_floor_f32_e32 v3, v3
	s_delay_alu instid0(VALU_DEP_1) | instskip(SKIP_2) | instid1(VALU_DEP_3)
	v_fma_f32 v6, 0xcf800000, v3, |v1|
	v_ashrrev_i32_e32 v1, 31, v1
	v_cvt_u32_f32_e32 v3, v3
	v_cvt_u32_f32_e32 v6, v6
	s_delay_alu instid0(VALU_DEP_2) | instskip(NEXT) | instid1(VALU_DEP_2)
	v_xor_b32_e32 v3, v3, v1
	v_xor_b32_e32 v6, v6, v1
	s_delay_alu instid0(VALU_DEP_1) | instskip(NEXT) | instid1(VALU_DEP_3)
	v_sub_co_u32 v6, vcc_lo, v6, v1
	v_sub_co_ci_u32_e32 v7, vcc_lo, v3, v1, vcc_lo
	global_store_b64 v[4:5], v[6:7], off
.LBB232_157:
	s_and_not1_b32 vcc_lo, exec_lo, s1
	s_cbranch_vccnz .LBB232_159
; %bb.158:
	v_cvt_i32_f32_e32 v1, v2
	global_store_b32 v[4:5], v1, off
.LBB232_159:
	s_mov_b32 s1, 0
.LBB232_160:
	s_delay_alu instid0(SALU_CYCLE_1)
	s_and_not1_b32 vcc_lo, exec_lo, s1
	s_cbranch_vccnz .LBB232_162
; %bb.161:
	v_cvt_i32_f32_e32 v1, v2
	global_store_b16 v[4:5], v1, off
.LBB232_162:
	s_mov_b32 s1, 0
.LBB232_163:
	s_delay_alu instid0(SALU_CYCLE_1)
	s_and_not1_b32 vcc_lo, exec_lo, s1
	s_cbranch_vccnz .LBB232_168
; %bb.164:
	v_cmp_lt_i16_e32 vcc_lo, 0, v0
	s_mov_b32 s1, -1
	s_cbranch_vccz .LBB232_166
; %bb.165:
	v_cvt_i32_f32_e32 v0, v2
	s_mov_b32 s1, 0
	global_store_b8 v[4:5], v0, off
.LBB232_166:
	s_and_not1_b32 vcc_lo, exec_lo, s1
	s_cbranch_vccnz .LBB232_168
; %bb.167:
	v_trunc_f32_e32 v0, v2
	s_delay_alu instid0(VALU_DEP_1) | instskip(NEXT) | instid1(VALU_DEP_1)
	v_mul_f32_e64 v1, 0x2f800000, |v0|
	v_floor_f32_e32 v1, v1
	s_delay_alu instid0(VALU_DEP_1) | instskip(SKIP_1) | instid1(VALU_DEP_2)
	v_fma_f32 v1, 0xcf800000, v1, |v0|
	v_ashrrev_i32_e32 v0, 31, v0
	v_cvt_u32_f32_e32 v1, v1
	s_delay_alu instid0(VALU_DEP_1) | instskip(NEXT) | instid1(VALU_DEP_1)
	v_xor_b32_e32 v1, v1, v0
	v_sub_nc_u32_e32 v0, v1, v0
	global_store_b8 v[4:5], v0, off
.LBB232_168:
.LBB232_169:
	v_add_nc_u32_e32 v12, 0x80, v12
	s_mov_b32 s1, -1
	s_branch .LBB232_285
.LBB232_170:
	s_mov_b32 s12, -1
                                        ; implicit-def: $vgpr0
.LBB232_171:
	s_delay_alu instid0(SALU_CYCLE_1)
	v_mov_b32_e32 v1, s12
.LBB232_172:
	s_mov_b32 s1, 0
.LBB232_173:
	s_delay_alu instid0(SALU_CYCLE_1)
	s_and_b32 vcc_lo, exec_lo, s1
	s_cbranch_vccz .LBB232_178
; %bb.174:
	v_cmp_eq_u16_e32 vcc_lo, 29, v13
	s_cbranch_vccz .LBB232_176
; %bb.175:
	global_load_b64 v[0:1], v[2:3], off
	s_mov_b32 s0, -1
	s_mov_b32 s12, 0
	s_mov_b32 s1, 0
	s_waitcnt vmcnt(0)
	v_clz_i32_u32_e32 v4, v1
	s_delay_alu instid0(VALU_DEP_1) | instskip(NEXT) | instid1(VALU_DEP_1)
	v_min_u32_e32 v4, 32, v4
	v_lshlrev_b64 v[0:1], v4, v[0:1]
	s_delay_alu instid0(VALU_DEP_1) | instskip(NEXT) | instid1(VALU_DEP_1)
	v_min_u32_e32 v0, 1, v0
	v_or_b32_e32 v0, v1, v0
	v_sub_nc_u32_e32 v1, 32, v4
	s_delay_alu instid0(VALU_DEP_2) | instskip(NEXT) | instid1(VALU_DEP_1)
	v_cvt_f32_u32_e32 v0, v0
	v_ldexp_f32 v0, v0, v1
	s_branch .LBB232_177
.LBB232_176:
	s_mov_b32 s12, -1
                                        ; implicit-def: $sgpr1
                                        ; implicit-def: $vgpr0
.LBB232_177:
	v_mov_b32_e32 v1, s1
.LBB232_178:
	s_mov_b32 s1, 0
.LBB232_179:
	s_delay_alu instid0(SALU_CYCLE_1)
	s_and_b32 vcc_lo, exec_lo, s1
	s_cbranch_vccz .LBB232_199
; %bb.180:
	v_cmp_gt_i16_e32 vcc_lo, 27, v13
	s_cbranch_vccnz .LBB232_183
; %bb.181:
	v_cmp_lt_i16_e32 vcc_lo, 27, v13
	s_cbranch_vccz .LBB232_184
; %bb.182:
	global_load_b32 v0, v[2:3], off
	s_mov_b32 s1, 0
	s_mov_b32 s0, 0
	s_waitcnt vmcnt(0)
	v_cvt_f32_u32_e32 v0, v0
	s_branch .LBB232_185
.LBB232_183:
	s_mov_b32 s1, -1
                                        ; implicit-def: $sgpr0
                                        ; implicit-def: $vgpr0
	s_branch .LBB232_188
.LBB232_184:
	s_mov_b32 s1, -1
                                        ; implicit-def: $sgpr0
                                        ; implicit-def: $vgpr0
.LBB232_185:
	s_delay_alu instid0(SALU_CYCLE_1)
	s_and_not1_b32 vcc_lo, exec_lo, s1
	s_cbranch_vccnz .LBB232_187
; %bb.186:
	global_load_u16 v0, v[2:3], off
	s_mov_b32 s0, 0
	s_waitcnt vmcnt(0)
	v_cvt_f32_u32_e32 v0, v0
.LBB232_187:
	s_mov_b32 s1, 0
.LBB232_188:
	v_mov_b32_e32 v1, s0
	s_and_not1_b32 vcc_lo, exec_lo, s1
	s_cbranch_vccnz .LBB232_198
; %bb.189:
	global_load_u8 v4, v[2:3], off
	s_mov_b32 s0, 0
	s_mov_b32 s15, exec_lo
                                        ; implicit-def: $sgpr10
                                        ; implicit-def: $sgpr1
	s_waitcnt vmcnt(0)
	v_cmpx_lt_i16_e32 0x7f, v4
	s_xor_b32 s15, exec_lo, s15
	s_cbranch_execz .LBB232_193
; %bb.190:
	s_mov_b32 s0, -1
	s_mov_b32 s16, exec_lo
                                        ; implicit-def: $sgpr10
                                        ; implicit-def: $sgpr1
	v_cmpx_eq_u16_e32 0x80, v4
; %bb.191:
	s_mov_b32 s1, 0x7f800001
	s_mov_b32 s10, 0
	s_xor_b32 s0, exec_lo, -1
; %bb.192:
	s_or_b32 exec_lo, exec_lo, s16
	s_delay_alu instid0(SALU_CYCLE_1)
	s_and_b32 s0, s0, exec_lo
.LBB232_193:
	s_or_saveexec_b32 s15, s15
	v_dual_mov_b32 v1, s10 :: v_dual_mov_b32 v0, s1
	s_xor_b32 exec_lo, exec_lo, s15
; %bb.194:
	v_mov_b32_e32 v1, 0
	v_cmp_ne_u16_e32 vcc_lo, 0, v4
	s_and_not1_b32 s0, s0, exec_lo
	s_delay_alu instid0(VALU_DEP_2) | instskip(SKIP_1) | instid1(SALU_CYCLE_1)
	v_mov_b32_e32 v0, v1
	s_and_b32 s1, vcc_lo, exec_lo
	s_or_b32 s0, s0, s1
; %bb.195:
	s_or_b32 exec_lo, exec_lo, s15
	s_and_saveexec_b32 s1, s0
	s_cbranch_execz .LBB232_197
; %bb.196:
	v_and_b32_e32 v0, 0xffff, v4
	v_lshlrev_b32_e32 v4, 24, v4
	s_delay_alu instid0(VALU_DEP_2) | instskip(NEXT) | instid1(VALU_DEP_2)
	v_and_b32_e32 v1, 7, v0
	v_and_b32_e32 v4, 0x80000000, v4
	s_delay_alu instid0(VALU_DEP_2) | instskip(NEXT) | instid1(VALU_DEP_1)
	v_clz_i32_u32_e32 v5, v1
	v_min_u32_e32 v5, 32, v5
	s_delay_alu instid0(VALU_DEP_1) | instskip(SKIP_1) | instid1(VALU_DEP_2)
	v_subrev_nc_u32_e32 v6, 28, v5
	v_sub_nc_u32_e32 v5, 29, v5
	v_lshlrev_b32_e32 v6, v6, v0
	v_bfe_u32 v0, v0, 3, 4
	s_delay_alu instid0(VALU_DEP_2) | instskip(NEXT) | instid1(VALU_DEP_2)
	v_and_b32_e32 v6, 7, v6
	v_cmp_eq_u32_e32 vcc_lo, 0, v0
	s_delay_alu instid0(VALU_DEP_2) | instskip(NEXT) | instid1(VALU_DEP_1)
	v_dual_cndmask_b32 v0, v0, v5 :: v_dual_cndmask_b32 v1, v1, v6
	v_lshl_add_u32 v0, v0, 23, 0x3b800000
	s_delay_alu instid0(VALU_DEP_2) | instskip(NEXT) | instid1(VALU_DEP_1)
	v_lshlrev_b32_e32 v1, 20, v1
	v_or3_b32 v0, v4, v0, v1
	v_mov_b32_e32 v1, 0
.LBB232_197:
	s_or_b32 exec_lo, exec_lo, s1
.LBB232_198:
	s_mov_b32 s0, -1
.LBB232_199:
	s_branch .LBB232_233
.LBB232_200:
	v_cmp_lt_i16_e32 vcc_lo, 22, v13
	s_cbranch_vccz .LBB232_212
; %bb.201:
	v_cmp_gt_i16_e32 vcc_lo, 24, v13
	s_cbranch_vccnz .LBB232_213
; %bb.202:
	v_cmp_lt_i16_e32 vcc_lo, 24, v13
	s_cbranch_vccz .LBB232_214
; %bb.203:
	global_load_u8 v4, v[2:3], off
	s_mov_b32 s0, 0
	s_mov_b32 s15, exec_lo
                                        ; implicit-def: $sgpr10
                                        ; implicit-def: $sgpr1
	s_waitcnt vmcnt(0)
	v_cmpx_lt_i16_e32 0x7f, v4
	s_xor_b32 s15, exec_lo, s15
	s_cbranch_execz .LBB232_207
; %bb.204:
	s_mov_b32 s0, -1
	s_mov_b32 s16, exec_lo
                                        ; implicit-def: $sgpr10
                                        ; implicit-def: $sgpr1
	v_cmpx_eq_u16_e32 0x80, v4
; %bb.205:
	s_mov_b32 s1, 0x7f800001
	s_mov_b32 s10, 0
	s_xor_b32 s0, exec_lo, -1
; %bb.206:
	s_or_b32 exec_lo, exec_lo, s16
	s_delay_alu instid0(SALU_CYCLE_1)
	s_and_b32 s0, s0, exec_lo
.LBB232_207:
	s_or_saveexec_b32 s15, s15
	v_dual_mov_b32 v1, s10 :: v_dual_mov_b32 v0, s1
	s_xor_b32 exec_lo, exec_lo, s15
; %bb.208:
	v_mov_b32_e32 v1, 0
	v_cmp_ne_u16_e32 vcc_lo, 0, v4
	s_and_not1_b32 s0, s0, exec_lo
	s_delay_alu instid0(VALU_DEP_2) | instskip(SKIP_1) | instid1(SALU_CYCLE_1)
	v_mov_b32_e32 v0, v1
	s_and_b32 s1, vcc_lo, exec_lo
	s_or_b32 s0, s0, s1
; %bb.209:
	s_or_b32 exec_lo, exec_lo, s15
	s_and_saveexec_b32 s1, s0
	s_cbranch_execz .LBB232_211
; %bb.210:
	v_and_b32_e32 v0, 0xffff, v4
	v_lshlrev_b32_e32 v4, 24, v4
	s_delay_alu instid0(VALU_DEP_2) | instskip(NEXT) | instid1(VALU_DEP_2)
	v_and_b32_e32 v1, 3, v0
	v_and_b32_e32 v4, 0x80000000, v4
	s_delay_alu instid0(VALU_DEP_2) | instskip(NEXT) | instid1(VALU_DEP_1)
	v_clz_i32_u32_e32 v5, v1
	v_min_u32_e32 v5, 32, v5
	s_delay_alu instid0(VALU_DEP_1) | instskip(SKIP_1) | instid1(VALU_DEP_2)
	v_subrev_nc_u32_e32 v6, 29, v5
	v_sub_nc_u32_e32 v5, 30, v5
	v_lshlrev_b32_e32 v6, v6, v0
	v_bfe_u32 v0, v0, 2, 5
	s_delay_alu instid0(VALU_DEP_2) | instskip(NEXT) | instid1(VALU_DEP_2)
	v_and_b32_e32 v6, 3, v6
	v_cmp_eq_u32_e32 vcc_lo, 0, v0
	s_delay_alu instid0(VALU_DEP_2) | instskip(NEXT) | instid1(VALU_DEP_1)
	v_dual_cndmask_b32 v0, v0, v5 :: v_dual_cndmask_b32 v1, v1, v6
	v_lshl_add_u32 v0, v0, 23, 0x37800000
	s_delay_alu instid0(VALU_DEP_2) | instskip(NEXT) | instid1(VALU_DEP_1)
	v_lshlrev_b32_e32 v1, 21, v1
	v_or3_b32 v0, v4, v0, v1
	v_mov_b32_e32 v1, 0
.LBB232_211:
	s_or_b32 exec_lo, exec_lo, s1
	s_mov_b32 s0, 0
	s_branch .LBB232_215
.LBB232_212:
	s_mov_b32 s1, -1
                                        ; implicit-def: $vgpr1
	s_branch .LBB232_221
.LBB232_213:
	s_mov_b32 s0, -1
                                        ; implicit-def: $vgpr1
	s_branch .LBB232_218
.LBB232_214:
	s_mov_b32 s0, -1
                                        ; implicit-def: $vgpr1
.LBB232_215:
	s_delay_alu instid0(SALU_CYCLE_1)
	s_and_b32 vcc_lo, exec_lo, s0
	s_cbranch_vccz .LBB232_217
; %bb.216:
	global_load_u8 v0, v[2:3], off
	s_waitcnt vmcnt(0)
	v_lshlrev_b32_e32 v0, 24, v0
	s_delay_alu instid0(VALU_DEP_1) | instskip(NEXT) | instid1(VALU_DEP_1)
	v_and_b32_e32 v1, 0x7f000000, v0
	v_clz_i32_u32_e32 v4, v1
	v_cmp_ne_u32_e32 vcc_lo, 0, v1
	v_add_nc_u32_e32 v6, 0x1000000, v1
	s_delay_alu instid0(VALU_DEP_3) | instskip(NEXT) | instid1(VALU_DEP_1)
	v_min_u32_e32 v4, 32, v4
	v_sub_nc_u32_e64 v4, v4, 4 clamp
	s_delay_alu instid0(VALU_DEP_1) | instskip(SKIP_1) | instid1(VALU_DEP_2)
	v_lshlrev_b32_e32 v5, v4, v1
	v_lshlrev_b32_e32 v4, 23, v4
	v_lshrrev_b32_e32 v5, 4, v5
	s_delay_alu instid0(VALU_DEP_1) | instskip(SKIP_1) | instid1(VALU_DEP_2)
	v_sub_nc_u32_e32 v4, v5, v4
	v_ashrrev_i32_e32 v5, 8, v6
	v_add_nc_u32_e32 v4, 0x3c000000, v4
	s_delay_alu instid0(VALU_DEP_1) | instskip(NEXT) | instid1(VALU_DEP_1)
	v_and_or_b32 v4, 0x7f800000, v5, v4
	v_cndmask_b32_e32 v1, 0, v4, vcc_lo
	s_delay_alu instid0(VALU_DEP_1)
	v_and_or_b32 v0, 0x80000000, v0, v1
	v_mov_b32_e32 v1, 0
.LBB232_217:
	s_mov_b32 s0, 0
.LBB232_218:
	s_delay_alu instid0(SALU_CYCLE_1)
	s_and_not1_b32 vcc_lo, exec_lo, s0
	s_cbranch_vccnz .LBB232_220
; %bb.219:
	global_load_u8 v0, v[2:3], off
	s_waitcnt vmcnt(0)
	v_lshlrev_b32_e32 v1, 25, v0
	v_lshlrev_b16 v0, 8, v0
	s_delay_alu instid0(VALU_DEP_2) | instskip(NEXT) | instid1(VALU_DEP_2)
	v_lshrrev_b32_e32 v4, 4, v1
	v_and_or_b32 v5, 0x7f00, v0, 0.5
	v_cmp_gt_u32_e32 vcc_lo, 0x8000000, v1
	v_bfe_i32 v0, v0, 0, 16
	s_delay_alu instid0(VALU_DEP_4) | instskip(NEXT) | instid1(VALU_DEP_1)
	v_or_b32_e32 v4, 0x70000000, v4
	v_dual_add_f32 v5, -0.5, v5 :: v_dual_mul_f32 v4, 0x7800000, v4
	s_delay_alu instid0(VALU_DEP_1) | instskip(NEXT) | instid1(VALU_DEP_1)
	v_cndmask_b32_e32 v1, v4, v5, vcc_lo
	v_and_or_b32 v0, 0x80000000, v0, v1
	v_mov_b32_e32 v1, 0
.LBB232_220:
	s_mov_b32 s1, 0
	s_mov_b32 s0, -1
.LBB232_221:
	s_and_not1_b32 vcc_lo, exec_lo, s1
	s_cbranch_vccnz .LBB232_233
; %bb.222:
	v_cmp_lt_i16_e32 vcc_lo, 14, v13
	s_cbranch_vccz .LBB232_225
; %bb.223:
	v_cmp_eq_u16_e32 vcc_lo, 15, v13
	s_cbranch_vccz .LBB232_226
; %bb.224:
	global_load_u16 v0, v[2:3], off
	s_mov_b32 s0, -1
	s_mov_b32 s12, 0
	s_mov_b32 s1, 0
	s_waitcnt vmcnt(0)
	v_lshlrev_b32_e32 v0, 16, v0
	s_branch .LBB232_227
.LBB232_225:
	s_mov_b32 s10, -1
                                        ; implicit-def: $sgpr1
                                        ; implicit-def: $vgpr0
	s_branch .LBB232_228
.LBB232_226:
	s_mov_b32 s12, -1
                                        ; implicit-def: $sgpr1
                                        ; implicit-def: $vgpr0
.LBB232_227:
	s_mov_b32 s10, 0
.LBB232_228:
	s_delay_alu instid0(SALU_CYCLE_1)
	s_and_b32 vcc_lo, exec_lo, s10
	s_cbranch_vccz .LBB232_232
; %bb.229:
	v_cmp_eq_u16_e32 vcc_lo, 11, v13
	s_cbranch_vccz .LBB232_231
; %bb.230:
	global_load_u8 v0, v[2:3], off
	s_mov_b32 s1, 0
	s_mov_b32 s0, -1
	s_mov_b32 s12, 0
	s_waitcnt vmcnt(0)
	v_cmp_ne_u16_e32 vcc_lo, 0, v0
	v_cndmask_b32_e64 v0, 0, 1.0, vcc_lo
	s_branch .LBB232_232
.LBB232_231:
	s_mov_b32 s12, -1
                                        ; implicit-def: $sgpr1
                                        ; implicit-def: $vgpr0
.LBB232_232:
	v_mov_b32_e32 v1, s1
.LBB232_233:
	s_branch .LBB232_10
.LBB232_234:
	v_cmp_gt_i16_e32 vcc_lo, 5, v13
	s_cbranch_vccnz .LBB232_239
; %bb.235:
	v_cmp_gt_i16_e32 vcc_lo, 8, v13
	s_cbranch_vccnz .LBB232_240
; %bb.236:
	;; [unrolled: 3-line block ×3, first 2 shown]
	v_cmp_lt_i16_e32 vcc_lo, 9, v13
	s_cbranch_vccz .LBB232_242
; %bb.238:
	global_load_b128 v[4:7], v[2:3], off
	s_mov_b32 s0, 0
	s_waitcnt vmcnt(0)
	v_cvt_f32_f64_e32 v0, v[4:5]
	v_cvt_f32_f64_e32 v1, v[6:7]
	s_branch .LBB232_243
.LBB232_239:
                                        ; implicit-def: $vgpr1
	s_branch .LBB232_262
.LBB232_240:
	s_mov_b32 s0, -1
                                        ; implicit-def: $vgpr1
	s_branch .LBB232_249
.LBB232_241:
	s_mov_b32 s0, -1
                                        ; implicit-def: $vgpr1
	s_branch .LBB232_246
.LBB232_242:
	s_mov_b32 s0, -1
                                        ; implicit-def: $vgpr1
.LBB232_243:
	s_delay_alu instid0(SALU_CYCLE_1)
	s_and_not1_b32 vcc_lo, exec_lo, s0
	s_cbranch_vccnz .LBB232_245
; %bb.244:
	global_load_b64 v[0:1], v[2:3], off
.LBB232_245:
	s_mov_b32 s0, 0
.LBB232_246:
	s_delay_alu instid0(SALU_CYCLE_1)
	s_and_not1_b32 vcc_lo, exec_lo, s0
	s_cbranch_vccnz .LBB232_248
; %bb.247:
	global_load_b32 v0, v[2:3], off
	s_waitcnt vmcnt(0)
	v_lshrrev_b32_e32 v1, 16, v0
	v_cvt_f32_f16_e32 v0, v0
	s_delay_alu instid0(VALU_DEP_2)
	v_cvt_f32_f16_e32 v1, v1
.LBB232_248:
	s_mov_b32 s0, 0
.LBB232_249:
	s_delay_alu instid0(SALU_CYCLE_1)
	s_and_not1_b32 vcc_lo, exec_lo, s0
	s_cbranch_vccnz .LBB232_261
; %bb.250:
	v_cmp_gt_i16_e32 vcc_lo, 6, v13
	s_cbranch_vccnz .LBB232_253
; %bb.251:
	v_cmp_lt_i16_e32 vcc_lo, 6, v13
	s_cbranch_vccz .LBB232_254
; %bb.252:
	global_load_b64 v[0:1], v[2:3], off
	s_mov_b32 s1, 0
	s_mov_b32 s0, 0
	s_waitcnt vmcnt(0)
	v_cvt_f32_f64_e32 v0, v[0:1]
	s_branch .LBB232_255
.LBB232_253:
	s_mov_b32 s1, -1
                                        ; implicit-def: $sgpr0
                                        ; implicit-def: $vgpr0
	s_branch .LBB232_258
.LBB232_254:
	s_mov_b32 s1, -1
                                        ; implicit-def: $sgpr0
                                        ; implicit-def: $vgpr0
.LBB232_255:
	s_delay_alu instid0(SALU_CYCLE_1)
	s_and_not1_b32 vcc_lo, exec_lo, s1
	s_cbranch_vccnz .LBB232_257
; %bb.256:
	global_load_b32 v0, v[2:3], off
	s_mov_b32 s0, 0
.LBB232_257:
	s_mov_b32 s1, 0
.LBB232_258:
	s_delay_alu instid0(SALU_CYCLE_1)
	s_and_not1_b32 vcc_lo, exec_lo, s1
	s_cbranch_vccnz .LBB232_260
; %bb.259:
	global_load_u16 v0, v[2:3], off
	s_mov_b32 s0, 0
	s_waitcnt vmcnt(0)
	v_cvt_f32_f16_e32 v0, v0
.LBB232_260:
	s_waitcnt vmcnt(0)
	v_mov_b32_e32 v1, s0
.LBB232_261:
	s_cbranch_execnz .LBB232_282
.LBB232_262:
	v_cmp_gt_i16_e32 vcc_lo, 2, v13
	s_cbranch_vccnz .LBB232_266
; %bb.263:
	v_cmp_gt_i16_e32 vcc_lo, 3, v13
	s_cbranch_vccnz .LBB232_267
; %bb.264:
	v_cmp_lt_i16_e32 vcc_lo, 3, v13
	s_cbranch_vccz .LBB232_268
; %bb.265:
	global_load_b64 v[0:1], v[2:3], off
	s_mov_b32 s1, 0
	s_mov_b32 s0, 0
	s_waitcnt vmcnt(0)
	v_xor_b32_e32 v4, v0, v1
	v_cls_i32_e32 v5, v1
	s_delay_alu instid0(VALU_DEP_2) | instskip(NEXT) | instid1(VALU_DEP_2)
	v_ashrrev_i32_e32 v4, 31, v4
	v_add_nc_u32_e32 v5, -1, v5
	s_delay_alu instid0(VALU_DEP_2) | instskip(NEXT) | instid1(VALU_DEP_1)
	v_add_nc_u32_e32 v4, 32, v4
	v_min_u32_e32 v4, v5, v4
	s_delay_alu instid0(VALU_DEP_1) | instskip(NEXT) | instid1(VALU_DEP_1)
	v_lshlrev_b64 v[0:1], v4, v[0:1]
	v_min_u32_e32 v0, 1, v0
	s_delay_alu instid0(VALU_DEP_1) | instskip(SKIP_1) | instid1(VALU_DEP_2)
	v_or_b32_e32 v0, v1, v0
	v_sub_nc_u32_e32 v1, 32, v4
	v_cvt_f32_i32_e32 v0, v0
	s_delay_alu instid0(VALU_DEP_1)
	v_ldexp_f32 v0, v0, v1
	s_branch .LBB232_269
.LBB232_266:
	s_mov_b32 s1, -1
                                        ; implicit-def: $sgpr0
                                        ; implicit-def: $vgpr0
	s_branch .LBB232_275
.LBB232_267:
	s_mov_b32 s1, -1
                                        ; implicit-def: $sgpr0
                                        ; implicit-def: $vgpr0
	s_branch .LBB232_272
.LBB232_268:
	s_mov_b32 s1, -1
                                        ; implicit-def: $sgpr0
                                        ; implicit-def: $vgpr0
.LBB232_269:
	s_delay_alu instid0(SALU_CYCLE_1)
	s_and_not1_b32 vcc_lo, exec_lo, s1
	s_cbranch_vccnz .LBB232_271
; %bb.270:
	global_load_b32 v0, v[2:3], off
	s_mov_b32 s0, 0
	s_waitcnt vmcnt(0)
	v_cvt_f32_i32_e32 v0, v0
.LBB232_271:
	s_mov_b32 s1, 0
.LBB232_272:
	s_delay_alu instid0(SALU_CYCLE_1)
	s_and_not1_b32 vcc_lo, exec_lo, s1
	s_cbranch_vccnz .LBB232_274
; %bb.273:
	global_load_i16 v0, v[2:3], off
	s_mov_b32 s0, 0
	s_waitcnt vmcnt(0)
	v_cvt_f32_i32_e32 v0, v0
.LBB232_274:
	s_mov_b32 s1, 0
.LBB232_275:
	s_delay_alu instid0(SALU_CYCLE_1)
	s_and_not1_b32 vcc_lo, exec_lo, s1
	s_cbranch_vccnz .LBB232_281
; %bb.276:
	v_cmp_lt_i16_e32 vcc_lo, 0, v13
	s_mov_b32 s1, 0
	s_cbranch_vccz .LBB232_278
; %bb.277:
	global_load_i8 v0, v[2:3], off
	s_mov_b32 s0, 0
	s_waitcnt vmcnt(0)
	v_cvt_f32_i32_e32 v0, v0
	s_branch .LBB232_279
.LBB232_278:
	s_mov_b32 s1, -1
                                        ; implicit-def: $sgpr0
                                        ; implicit-def: $vgpr0
.LBB232_279:
	s_delay_alu instid0(SALU_CYCLE_1)
	s_and_not1_b32 vcc_lo, exec_lo, s1
	s_cbranch_vccnz .LBB232_281
; %bb.280:
	global_load_u8 v0, v[2:3], off
	s_mov_b32 s0, 0
	s_waitcnt vmcnt(0)
	v_cvt_f32_ubyte0_e32 v0, v0
.LBB232_281:
	s_waitcnt vmcnt(0)
	v_mov_b32_e32 v1, s0
.LBB232_282:
	s_branch .LBB232_11
.LBB232_283:
	s_mov_b32 s0, 0
.LBB232_284:
	s_mov_b32 s1, 0
                                        ; implicit-def: $vgpr12
.LBB232_285:
	s_and_b32 s10, s0, exec_lo
	s_and_b32 s12, s12, exec_lo
	s_or_not1_b32 s1, s1, exec_lo
.LBB232_286:
	s_or_b32 exec_lo, exec_lo, s13
	s_mov_b32 s15, 0
	s_mov_b32 s0, 0
                                        ; implicit-def: $vgpr2_vgpr3
                                        ; implicit-def: $vgpr1
	s_and_saveexec_b32 s13, s1
	s_cbranch_execz .LBB232_967
; %bb.287:
	s_mov_b32 s18, -1
	s_mov_b32 s14, s12
	s_mov_b32 s15, s10
	s_mov_b32 s16, exec_lo
	v_cmpx_gt_i32_e64 s11, v12
	s_cbranch_execz .LBB232_581
; %bb.288:
	s_waitcnt vmcnt(0)
	v_mul_lo_u32 v0, v12, s3
	v_cmp_gt_i16_e32 vcc_lo, 11, v13
	s_delay_alu instid0(VALU_DEP_2) | instskip(SKIP_1) | instid1(VALU_DEP_1)
	v_ashrrev_i32_e32 v1, 31, v0
	v_add_co_u32 v2, s0, s6, v0
	v_add_co_ci_u32_e64 v3, s0, s7, v1, s0
	s_cbranch_vccnz .LBB232_295
; %bb.289:
	v_cmp_lt_i16_e32 vcc_lo, 25, v13
	s_cbranch_vccz .LBB232_309
; %bb.290:
	v_cmp_lt_i16_e32 vcc_lo, 28, v13
	s_cbranch_vccz .LBB232_310
	;; [unrolled: 3-line block ×4, first 2 shown]
; %bb.293:
	v_cmp_eq_u16_e32 vcc_lo, 46, v13
	s_mov_b32 s1, 0
	s_cbranch_vccz .LBB232_346
; %bb.294:
	global_load_b32 v0, v[2:3], off
	s_mov_b32 s0, -1
	s_mov_b32 s14, 0
	s_waitcnt vmcnt(0)
	v_and_b32_e32 v1, 0xffff0000, v0
	v_lshlrev_b32_e32 v0, 16, v0
	s_branch .LBB232_348
.LBB232_295:
	s_mov_b32 s0, 0
	s_mov_b32 s14, s12
                                        ; implicit-def: $vgpr1
	s_cbranch_execnz .LBB232_528
.LBB232_296:
	s_and_not1_b32 vcc_lo, exec_lo, s0
	s_cbranch_vccnz .LBB232_578
.LBB232_297:
	s_waitcnt vmcnt(0)
	s_delay_alu instid0(VALU_DEP_2) | instskip(NEXT) | instid1(VALU_DEP_2)
	v_cmp_neq_f32_e32 vcc_lo, 0, v0
	v_cmp_neq_f32_e64 s0, 0, v1
	v_mov_b32_e32 v2, 0
	s_delay_alu instid0(VALU_DEP_2) | instskip(NEXT) | instid1(SALU_CYCLE_1)
	s_or_b32 s0, vcc_lo, s0
	s_and_saveexec_b32 s15, s0
	s_cbranch_execz .LBB232_333
; %bb.298:
	v_mov_b32_e32 v2, 0x7f800000
	s_mov_b32 s17, exec_lo
	v_cmpx_neq_f32_e64 0x7f800000, |v1|
	s_cbranch_execz .LBB232_332
; %bb.299:
	s_mov_b32 s0, exec_lo
	v_cmpx_o_f32_e32 v0, v0
	s_xor_b32 s18, exec_lo, s0
	s_cbranch_execz .LBB232_329
; %bb.300:
	s_mov_b32 s1, exec_lo
	v_cmpx_neq_f32_e64 0x7f800000, |v0|
	s_xor_b32 s19, exec_lo, s1
	s_cbranch_execz .LBB232_322
; %bb.301:
	v_max_f32_e64 v2, |v1|, |v1|
	v_max_f32_e64 v3, |v0|, |v0|
                                        ; implicit-def: $sgpr20
	s_delay_alu instid0(VALU_DEP_1) | instskip(NEXT) | instid1(VALU_DEP_1)
	v_max_f32_e32 v2, v3, v2
	v_cmp_nle_f32_e64 s0, 0x7ed413cb, v2
	s_delay_alu instid0(VALU_DEP_1) | instskip(NEXT) | instid1(SALU_CYCLE_1)
	s_and_saveexec_b32 s1, s0
	s_xor_b32 s1, exec_lo, s1
	s_cbranch_execz .LBB232_305
; %bb.302:
	v_cmp_ge_f32_e64 s20, 0x1000000, |v0|
	v_cmp_ge_f32_e64 s21, 0x1000000, |v1|
	s_delay_alu instid0(VALU_DEP_1)
	s_and_b32 s22, s20, s21
	s_mov_b32 s20, 0
	s_and_saveexec_b32 s21, s22
; %bb.303:
	v_dual_mul_f32 v0, 4.0, v0 :: v_dual_mul_f32 v1, 4.0, v1
	s_mov_b32 s20, exec_lo
; %bb.304:
	s_or_b32 exec_lo, exec_lo, s21
	s_delay_alu instid0(SALU_CYCLE_1)
	s_and_b32 s20, s20, exec_lo
.LBB232_305:
	s_and_not1_saveexec_b32 s1, s1
; %bb.306:
	v_dual_mul_f32 v0, 0x3e800000, v0 :: v_dual_mul_f32 v1, 0x3e800000, v1
	s_and_not1_b32 s20, s20, exec_lo
; %bb.307:
	s_or_b32 exec_lo, exec_lo, s1
	s_delay_alu instid0(VALU_DEP_1) | instskip(NEXT) | instid1(VALU_DEP_2)
	v_max_f32_e64 v2, |v1|, |v1|
	v_max_f32_e64 v3, |v0|, |v0|
	s_delay_alu instid0(VALU_DEP_1) | instskip(NEXT) | instid1(VALU_DEP_1)
	v_max_f32_e32 v4, v3, v2
	v_cvt_f64_f32_e32 v[2:3], v4
	s_delay_alu instid0(VALU_DEP_1) | instskip(NEXT) | instid1(VALU_DEP_1)
	v_frexp_exp_i32_f64_e32 v2, v[2:3]
	v_sub_nc_u32_e32 v3, 0, v2
	s_delay_alu instid0(VALU_DEP_1) | instskip(SKIP_1) | instid1(VALU_DEP_2)
	v_ldexp_f32 v5, |v1|, v3
	v_ldexp_f32 v3, |v0|, v3
	v_mul_f32_e32 v5, v5, v5
	v_cmp_neq_f32_e64 s1, 0x7f800000, v4
	s_delay_alu instid0(VALU_DEP_2) | instskip(NEXT) | instid1(VALU_DEP_1)
	v_fmac_f32_e32 v5, v3, v3
	v_sqrt_f32_e32 v3, v5
	s_waitcnt_depctr 0xfff
	v_ldexp_f32 v2, v3, v2
                                        ; implicit-def: $vgpr3
	s_delay_alu instid0(VALU_DEP_1)
	v_cndmask_b32_e64 v4, 0x7f800000, v2, s1
                                        ; implicit-def: $vgpr2
	s_mov_b32 s1, exec_lo
	v_cmpx_le_f32_e32 0, v0
	s_xor_b32 s21, exec_lo, s1
	s_cbranch_execz .LBB232_315
; %bb.308:
	v_add_f32_e32 v0, v0, v4
	s_delay_alu instid0(VALU_DEP_1) | instskip(NEXT) | instid1(VALU_DEP_1)
	v_mul_f32_e32 v0, 0.5, v0
	v_mul_f32_e32 v2, 0x4f800000, v0
	v_cmp_gt_f32_e32 vcc_lo, 0xf800000, v0
	s_delay_alu instid0(VALU_DEP_2) | instskip(NEXT) | instid1(VALU_DEP_1)
	v_cndmask_b32_e32 v0, v0, v2, vcc_lo
	v_sqrt_f32_e32 v2, v0
	s_waitcnt_depctr 0xfff
	v_add_nc_u32_e32 v3, -1, v2
	v_add_nc_u32_e32 v4, 1, v2
	s_delay_alu instid0(VALU_DEP_2) | instskip(NEXT) | instid1(VALU_DEP_2)
	v_fma_f32 v5, -v3, v2, v0
	v_fma_f32 v6, -v4, v2, v0
	s_delay_alu instid0(VALU_DEP_2) | instskip(NEXT) | instid1(VALU_DEP_1)
	v_cmp_ge_f32_e64 s1, 0, v5
	v_cndmask_b32_e64 v2, v2, v3, s1
	s_delay_alu instid0(VALU_DEP_3) | instskip(NEXT) | instid1(VALU_DEP_1)
	v_cmp_lt_f32_e64 s1, 0, v6
	v_cndmask_b32_e64 v2, v2, v4, s1
	s_delay_alu instid0(VALU_DEP_1) | instskip(NEXT) | instid1(VALU_DEP_1)
	v_mul_f32_e32 v3, 0x37800000, v2
	v_cndmask_b32_e32 v2, v2, v3, vcc_lo
	v_cmp_class_f32_e64 vcc_lo, v0, 0x260
	s_delay_alu instid0(VALU_DEP_2) | instskip(NEXT) | instid1(VALU_DEP_1)
	v_cndmask_b32_e32 v2, v2, v0, vcc_lo
	v_add_f32_e32 v0, v2, v2
	s_delay_alu instid0(VALU_DEP_1) | instskip(NEXT) | instid1(VALU_DEP_1)
	v_div_scale_f32 v3, null, v0, v0, v1
	v_rcp_f32_e32 v4, v3
	s_waitcnt_depctr 0xfff
	v_fma_f32 v5, -v3, v4, 1.0
	s_delay_alu instid0(VALU_DEP_1) | instskip(SKIP_1) | instid1(VALU_DEP_1)
	v_fmac_f32_e32 v4, v5, v4
	v_div_scale_f32 v5, vcc_lo, v1, v0, v1
	v_mul_f32_e32 v6, v5, v4
	s_delay_alu instid0(VALU_DEP_1) | instskip(NEXT) | instid1(VALU_DEP_1)
	v_fma_f32 v7, -v3, v6, v5
	v_fmac_f32_e32 v6, v7, v4
	s_delay_alu instid0(VALU_DEP_1) | instskip(NEXT) | instid1(VALU_DEP_1)
	v_fma_f32 v3, -v3, v6, v5
	v_div_fmas_f32 v3, v3, v4, v6
                                        ; implicit-def: $vgpr4
	s_delay_alu instid0(VALU_DEP_1)
	v_div_fixup_f32 v3, v3, v0, v1
                                        ; implicit-def: $vgpr0
	s_and_not1_saveexec_b32 s21, s21
	s_cbranch_execz .LBB232_317
	s_branch .LBB232_316
.LBB232_309:
	s_mov_b32 s1, -1
	s_mov_b32 s0, 0
	s_mov_b32 s14, s12
                                        ; implicit-def: $vgpr1
	s_branch .LBB232_493
.LBB232_310:
	s_mov_b32 s1, -1
	s_mov_b32 s0, 0
	s_mov_b32 s14, s12
                                        ; implicit-def: $vgpr1
	s_branch .LBB232_472
.LBB232_311:
	s_mov_b32 s1, -1
	s_mov_b32 s0, 0
	s_mov_b32 s14, s12
                                        ; implicit-def: $vgpr1
	s_branch .LBB232_466
.LBB232_312:
	s_or_saveexec_b32 s15, s15
                                        ; implicit-def: $sgpr16
	s_delay_alu instid0(SALU_CYCLE_1)
	s_xor_b32 exec_lo, exec_lo, s15
	s_cbranch_execz .LBB232_83
.LBB232_313:
	v_add_f32_e64 v3, 0x46000000, |v2|
	s_and_not1_b32 s10, s10, exec_lo
	s_mov_b32 s16, 0
	s_delay_alu instid0(VALU_DEP_1) | instskip(NEXT) | instid1(VALU_DEP_1)
	v_and_b32_e32 v3, 0xff, v3
	v_cmp_ne_u32_e32 vcc_lo, 0, v3
	s_and_b32 s17, vcc_lo, exec_lo
	s_delay_alu instid0(SALU_CYCLE_1)
	s_or_b32 s10, s10, s17
	s_or_b32 exec_lo, exec_lo, s15
	v_mov_b32_e32 v6, s16
	s_and_saveexec_b32 s15, s10
	s_cbranch_execnz .LBB232_84
	s_branch .LBB232_85
.LBB232_314:
	s_mov_b32 s1, -1
	s_mov_b32 s0, 0
	s_mov_b32 s14, s12
	s_branch .LBB232_347
.LBB232_315:
	s_and_not1_saveexec_b32 s21, s21
	s_cbranch_execz .LBB232_317
.LBB232_316:
	v_sub_f32_e32 v0, v4, v0
	s_delay_alu instid0(VALU_DEP_1) | instskip(NEXT) | instid1(VALU_DEP_1)
	v_mul_f32_e32 v0, 0.5, v0
	v_mul_f32_e32 v2, 0x4f800000, v0
	v_cmp_gt_f32_e32 vcc_lo, 0xf800000, v0
	s_delay_alu instid0(VALU_DEP_2) | instskip(NEXT) | instid1(VALU_DEP_1)
	v_cndmask_b32_e32 v0, v0, v2, vcc_lo
	v_sqrt_f32_e32 v2, v0
	s_waitcnt_depctr 0xfff
	v_add_nc_u32_e32 v3, -1, v2
	v_add_nc_u32_e32 v4, 1, v2
	s_delay_alu instid0(VALU_DEP_2) | instskip(NEXT) | instid1(VALU_DEP_2)
	v_fma_f32 v5, -v3, v2, v0
	v_fma_f32 v6, -v4, v2, v0
	s_delay_alu instid0(VALU_DEP_2) | instskip(NEXT) | instid1(VALU_DEP_1)
	v_cmp_ge_f32_e64 s1, 0, v5
	v_cndmask_b32_e64 v2, v2, v3, s1
	s_delay_alu instid0(VALU_DEP_3) | instskip(NEXT) | instid1(VALU_DEP_1)
	v_cmp_lt_f32_e64 s1, 0, v6
	v_cndmask_b32_e64 v2, v2, v4, s1
	s_delay_alu instid0(VALU_DEP_1) | instskip(NEXT) | instid1(VALU_DEP_1)
	v_mul_f32_e32 v3, 0x37800000, v2
	v_cndmask_b32_e32 v2, v2, v3, vcc_lo
	v_cmp_class_f32_e64 vcc_lo, v0, 0x260
	s_delay_alu instid0(VALU_DEP_2) | instskip(NEXT) | instid1(VALU_DEP_1)
	v_cndmask_b32_e32 v0, v2, v0, vcc_lo
	v_dual_add_f32 v3, v0, v0 :: v_dual_and_b32 v2, 0x7fffffff, v1
	s_delay_alu instid0(VALU_DEP_1) | instskip(SKIP_1) | instid1(VALU_DEP_2)
	v_div_scale_f32 v4, null, v3, v3, v2
	v_div_scale_f32 v2, vcc_lo, v2, v3, v2
	v_rcp_f32_e32 v5, v4
	s_waitcnt_depctr 0xfff
	v_fma_f32 v6, -v4, v5, 1.0
	s_delay_alu instid0(VALU_DEP_1) | instskip(NEXT) | instid1(VALU_DEP_1)
	v_fmac_f32_e32 v5, v6, v5
	v_mul_f32_e32 v6, v2, v5
	s_delay_alu instid0(VALU_DEP_1) | instskip(NEXT) | instid1(VALU_DEP_1)
	v_fma_f32 v7, -v4, v6, v2
	v_fmac_f32_e32 v6, v7, v5
	s_delay_alu instid0(VALU_DEP_1) | instskip(NEXT) | instid1(VALU_DEP_1)
	v_fma_f32 v2, -v4, v6, v2
	v_div_fmas_f32 v2, v2, v5, v6
	s_delay_alu instid0(VALU_DEP_1)
	v_div_fixup_f32 v2, v2, v3, |v1|
	v_bfi_b32 v3, 0x7fffffff, v0, v1
.LBB232_317:
	s_or_b32 exec_lo, exec_lo, s21
                                        ; implicit-def: $vgpr1
	s_and_saveexec_b32 s1, s0
	s_delay_alu instid0(SALU_CYCLE_1)
	s_xor_b32 s0, exec_lo, s1
	s_cbranch_execz .LBB232_319
; %bb.318:
	v_dual_mul_f32 v0, 0.5, v2 :: v_dual_mul_f32 v1, 0.5, v3
	s_delay_alu instid0(VALU_DEP_1) | instskip(NEXT) | instid1(VALU_DEP_2)
	v_cndmask_b32_e64 v0, v2, v0, s20
	v_cndmask_b32_e64 v1, v3, v1, s20
                                        ; implicit-def: $vgpr2
                                        ; implicit-def: $vgpr3
	s_and_not1_saveexec_b32 s0, s0
	s_cbranch_execnz .LBB232_320
	s_branch .LBB232_321
.LBB232_319:
	s_and_not1_saveexec_b32 s0, s0
.LBB232_320:
	v_dual_add_f32 v0, v2, v2 :: v_dual_add_f32 v1, v3, v3
.LBB232_321:
	s_or_b32 exec_lo, exec_lo, s0
.LBB232_322:
	s_and_not1_saveexec_b32 s0, s19
	s_cbranch_execz .LBB232_328
; %bb.323:
	s_delay_alu instid0(VALU_DEP_1)
	v_sub_f32_e32 v2, v1, v1
	s_mov_b32 s1, exec_lo
	v_cmpx_lt_i32_e32 -1, v0
	s_xor_b32 s1, exec_lo, s1
; %bb.324:
	s_delay_alu instid0(VALU_DEP_2)
	v_bfi_b32 v1, 0x7fffffff, v2, v1
                                        ; implicit-def: $vgpr2
; %bb.325:
	s_and_not1_saveexec_b32 s1, s1
; %bb.326:
	v_and_b32_e32 v2, 0x7fffffff, v2
	s_delay_alu instid0(VALU_DEP_2) | instskip(NEXT) | instid1(VALU_DEP_2)
	v_bfi_b32 v1, 0x7fffffff, v0, v1
	v_mov_b32_e32 v0, v2
; %bb.327:
	s_or_b32 exec_lo, exec_lo, s1
.LBB232_328:
	s_delay_alu instid0(SALU_CYCLE_1)
	s_or_b32 exec_lo, exec_lo, s0
.LBB232_329:
	s_and_not1_saveexec_b32 s0, s18
; %bb.330:
	v_sub_f32_e32 v1, v1, v1
	s_delay_alu instid0(VALU_DEP_1) | instskip(NEXT) | instid1(VALU_DEP_1)
	v_div_scale_f32 v2, vcc_lo, v1, v1, v1
	v_rcp_f32_e32 v3, v2
	s_waitcnt_depctr 0xfff
	v_fma_f32 v4, -v2, v3, 1.0
	s_delay_alu instid0(VALU_DEP_1) | instskip(NEXT) | instid1(VALU_DEP_1)
	v_fmac_f32_e32 v3, v4, v3
	v_mul_f32_e32 v4, v2, v3
	s_delay_alu instid0(VALU_DEP_1) | instskip(NEXT) | instid1(VALU_DEP_1)
	v_fma_f32 v5, -v2, v4, v2
	v_fmac_f32_e32 v4, v5, v3
	s_delay_alu instid0(VALU_DEP_1) | instskip(NEXT) | instid1(VALU_DEP_1)
	v_fma_f32 v2, -v2, v4, v2
	v_div_fmas_f32 v2, v2, v3, v4
	s_delay_alu instid0(VALU_DEP_1)
	v_div_fixup_f32 v1, v2, v1, v1
; %bb.331:
	s_or_b32 exec_lo, exec_lo, s0
	v_mov_b32_e32 v2, v0
.LBB232_332:
	s_or_b32 exec_lo, exec_lo, s17
.LBB232_333:
	s_delay_alu instid0(SALU_CYCLE_1) | instskip(SKIP_2) | instid1(VALU_DEP_1)
	s_or_b32 exec_lo, exec_lo, s15
	v_mul_lo_u32 v3, v12, s2
	v_and_b32_e32 v0, 0xff, v11
	v_cmp_gt_i16_e32 vcc_lo, 11, v0
	s_delay_alu instid0(VALU_DEP_3) | instskip(SKIP_1) | instid1(VALU_DEP_1)
	v_ashrrev_i32_e32 v5, 31, v3
	v_add_co_u32 v4, s0, s4, v3
	v_add_co_ci_u32_e64 v5, s0, s5, v5, s0
	s_cbranch_vccnz .LBB232_340
; %bb.334:
	v_cmp_lt_i16_e32 vcc_lo, 25, v0
	s_cbranch_vccz .LBB232_341
; %bb.335:
	v_cmp_lt_i16_e32 vcc_lo, 28, v0
	s_cbranch_vccz .LBB232_342
	;; [unrolled: 3-line block ×4, first 2 shown]
; %bb.338:
	v_cmp_eq_u16_e32 vcc_lo, 46, v0
	s_mov_b32 s15, 0
	s_mov_b32 s0, -1
	s_mov_b32 s1, 0
	s_cbranch_vccz .LBB232_352
; %bb.339:
	v_bfe_u32 v3, v1, 16, 1
	v_bfe_u32 v6, v2, 16, 1
	v_cmp_o_f32_e32 vcc_lo, v1, v1
	s_mov_b32 s1, -1
	s_mov_b32 s0, 0
	v_add3_u32 v3, v1, v3, 0x7fff
	v_add3_u32 v6, v2, v6, 0x7fff
	s_delay_alu instid0(VALU_DEP_2) | instskip(NEXT) | instid1(VALU_DEP_2)
	v_and_b32_e32 v3, 0xffff0000, v3
	v_lshrrev_b32_e32 v6, 16, v6
	s_delay_alu instid0(VALU_DEP_2) | instskip(SKIP_1) | instid1(VALU_DEP_3)
	v_cndmask_b32_e32 v3, 0x7fc00000, v3, vcc_lo
	v_cmp_o_f32_e32 vcc_lo, v2, v2
	v_cndmask_b32_e32 v6, 0x7fc0, v6, vcc_lo
	s_delay_alu instid0(VALU_DEP_1)
	v_or_b32_e32 v3, v3, v6
	global_store_b32 v[4:5], v3, off
	s_branch .LBB232_352
.LBB232_340:
	s_mov_b32 s15, -1
	s_mov_b32 s1, 0
	s_mov_b32 s0, s10
	s_branch .LBB232_421
.LBB232_341:
	s_mov_b32 s15, -1
	s_mov_b32 s1, 0
	s_mov_b32 s0, s10
	s_branch .LBB232_379
.LBB232_342:
	s_mov_b32 s15, -1
	s_mov_b32 s1, 0
	s_mov_b32 s0, s10
	s_branch .LBB232_362
.LBB232_343:
	s_mov_b32 s15, -1
	s_mov_b32 s1, 0
	s_mov_b32 s0, s10
	s_branch .LBB232_358
.LBB232_344:
	s_or_saveexec_b32 s15, s15
                                        ; implicit-def: $sgpr16
	s_delay_alu instid0(SALU_CYCLE_1)
	s_xor_b32 exec_lo, exec_lo, s15
	s_cbranch_execz .LBB232_96
.LBB232_345:
	v_add_f32_e64 v3, 0x42800000, |v2|
	s_and_not1_b32 s10, s10, exec_lo
	s_mov_b32 s16, 0
	s_delay_alu instid0(VALU_DEP_1) | instskip(NEXT) | instid1(VALU_DEP_1)
	v_and_b32_e32 v3, 0xff, v3
	v_cmp_ne_u32_e32 vcc_lo, 0, v3
	s_and_b32 s17, vcc_lo, exec_lo
	s_delay_alu instid0(SALU_CYCLE_1)
	s_or_b32 s10, s10, s17
	s_or_b32 exec_lo, exec_lo, s15
	v_mov_b32_e32 v6, s16
	s_and_saveexec_b32 s15, s10
	s_cbranch_execnz .LBB232_97
	s_branch .LBB232_98
.LBB232_346:
	s_mov_b32 s14, -1
	s_mov_b32 s0, 0
.LBB232_347:
                                        ; implicit-def: $vgpr1
.LBB232_348:
	s_and_b32 vcc_lo, exec_lo, s1
	s_cbranch_vccz .LBB232_465
; %bb.349:
	v_cmp_eq_u16_e32 vcc_lo, 44, v13
	s_cbranch_vccz .LBB232_463
; %bb.350:
	global_load_u8 v0, v[2:3], off
	s_mov_b32 s14, 0
	s_mov_b32 s0, -1
	s_waitcnt vmcnt(0)
	v_lshlrev_b32_e32 v1, 23, v0
	v_cmp_ne_u32_e32 vcc_lo, 0xff, v0
	s_delay_alu instid0(VALU_DEP_2) | instskip(SKIP_1) | instid1(VALU_DEP_2)
	v_cndmask_b32_e32 v1, 0x7f800001, v1, vcc_lo
	v_cmp_ne_u32_e32 vcc_lo, 0, v0
	v_cndmask_b32_e32 v0, 0x400000, v1, vcc_lo
	s_branch .LBB232_464
.LBB232_351:
	s_mov_b32 s15, -1
	s_mov_b32 s1, 0
	s_mov_b32 s0, s10
.LBB232_352:
	s_and_b32 vcc_lo, exec_lo, s15
	s_cbranch_vccz .LBB232_357
; %bb.353:
	v_cmp_eq_u16_e32 vcc_lo, 44, v0
	s_mov_b32 s0, -1
	s_cbranch_vccz .LBB232_357
; %bb.354:
	v_bfe_u32 v6, v2, 23, 8
	v_mov_b32_e32 v3, 0xff
	s_mov_b32 s1, exec_lo
	s_delay_alu instid0(VALU_DEP_2)
	v_cmpx_ne_u32_e32 0xff, v6
; %bb.355:
	v_and_b32_e32 v3, 0x400000, v2
	v_and_or_b32 v6, 0x3fffff, v2, v6
	s_delay_alu instid0(VALU_DEP_2) | instskip(NEXT) | instid1(VALU_DEP_2)
	v_cmp_ne_u32_e32 vcc_lo, 0, v3
	v_cmp_ne_u32_e64 s0, 0, v6
	v_lshrrev_b32_e32 v3, 23, v2
	s_delay_alu instid0(VALU_DEP_2) | instskip(NEXT) | instid1(SALU_CYCLE_1)
	s_and_b32 s0, vcc_lo, s0
	v_cndmask_b32_e64 v6, 0, 1, s0
	s_delay_alu instid0(VALU_DEP_1)
	v_add_nc_u32_e32 v3, v3, v6
; %bb.356:
	s_or_b32 exec_lo, exec_lo, s1
	s_mov_b32 s1, -1
	s_mov_b32 s0, 0
	global_store_b8 v[4:5], v3, off
.LBB232_357:
	s_mov_b32 s15, 0
.LBB232_358:
	s_delay_alu instid0(SALU_CYCLE_1)
	s_and_b32 vcc_lo, exec_lo, s15
	s_cbranch_vccz .LBB232_361
; %bb.359:
	v_cmp_eq_u16_e32 vcc_lo, 29, v0
	s_mov_b32 s0, -1
	s_cbranch_vccz .LBB232_361
; %bb.360:
	v_trunc_f32_e32 v3, v2
	s_mov_b32 s1, -1
	s_mov_b32 s0, 0
	s_mov_b32 s15, 0
	s_delay_alu instid0(VALU_DEP_1) | instskip(NEXT) | instid1(VALU_DEP_1)
	v_mul_f32_e32 v6, 0x2f800000, v3
	v_floor_f32_e32 v6, v6
	s_delay_alu instid0(VALU_DEP_1) | instskip(SKIP_1) | instid1(VALU_DEP_2)
	v_fmamk_f32 v3, v6, 0xcf800000, v3
	v_cvt_u32_f32_e32 v7, v6
	v_cvt_u32_f32_e32 v6, v3
	global_store_b64 v[4:5], v[6:7], off
	s_branch .LBB232_362
.LBB232_361:
	s_mov_b32 s15, 0
.LBB232_362:
	s_delay_alu instid0(SALU_CYCLE_1)
	s_and_b32 vcc_lo, exec_lo, s15
	s_cbranch_vccz .LBB232_378
; %bb.363:
	v_cmp_gt_i16_e32 vcc_lo, 27, v0
	s_mov_b32 s1, -1
	s_cbranch_vccnz .LBB232_369
; %bb.364:
	v_cmp_lt_i16_e32 vcc_lo, 27, v0
	s_cbranch_vccz .LBB232_366
; %bb.365:
	v_cvt_u32_f32_e32 v3, v2
	s_mov_b32 s1, 0
	global_store_b32 v[4:5], v3, off
.LBB232_366:
	s_and_not1_b32 vcc_lo, exec_lo, s1
	s_cbranch_vccnz .LBB232_368
; %bb.367:
	v_cvt_u32_f32_e32 v3, v2
	global_store_b16 v[4:5], v3, off
.LBB232_368:
	s_mov_b32 s1, 0
.LBB232_369:
	s_delay_alu instid0(SALU_CYCLE_1)
	s_and_not1_b32 vcc_lo, exec_lo, s1
	s_cbranch_vccnz .LBB232_377
; %bb.370:
	v_and_b32_e32 v3, 0x7fffffff, v2
	v_mov_b32_e32 v6, 0x80
	s_mov_b32 s1, exec_lo
	s_delay_alu instid0(VALU_DEP_2)
	v_cmpx_gt_u32_e32 0x43800000, v3
	s_cbranch_execz .LBB232_376
; %bb.371:
	v_cmp_lt_u32_e32 vcc_lo, 0x3bffffff, v3
	s_mov_b32 s15, 0
                                        ; implicit-def: $vgpr3
	s_and_saveexec_b32 s17, vcc_lo
	s_delay_alu instid0(SALU_CYCLE_1)
	s_xor_b32 s17, exec_lo, s17
	s_cbranch_execz .LBB232_594
; %bb.372:
	v_bfe_u32 v3, v2, 20, 1
	s_mov_b32 s15, exec_lo
	s_delay_alu instid0(VALU_DEP_1) | instskip(NEXT) | instid1(VALU_DEP_1)
	v_add3_u32 v3, v2, v3, 0x487ffff
	v_lshrrev_b32_e32 v3, 20, v3
	s_or_saveexec_b32 s17, s17
                                        ; implicit-def: $sgpr18
	s_delay_alu instid0(SALU_CYCLE_1)
	s_xor_b32 exec_lo, exec_lo, s17
	s_cbranch_execnz .LBB232_595
.LBB232_373:
	s_or_b32 exec_lo, exec_lo, s17
	v_mov_b32_e32 v6, s18
	s_and_saveexec_b32 s17, s15
.LBB232_374:
	v_lshrrev_b32_e32 v6, 24, v2
	s_delay_alu instid0(VALU_DEP_1)
	v_and_or_b32 v6, 0x80, v6, v3
.LBB232_375:
	s_or_b32 exec_lo, exec_lo, s17
.LBB232_376:
	s_delay_alu instid0(SALU_CYCLE_1)
	s_or_b32 exec_lo, exec_lo, s1
	global_store_b8 v[4:5], v6, off
.LBB232_377:
	s_mov_b32 s1, -1
.LBB232_378:
	s_mov_b32 s15, 0
.LBB232_379:
	s_delay_alu instid0(SALU_CYCLE_1)
	s_and_b32 vcc_lo, exec_lo, s15
	s_cbranch_vccz .LBB232_420
; %bb.380:
	v_cmp_lt_i16_e32 vcc_lo, 22, v0
	s_mov_b32 s15, -1
	s_cbranch_vccz .LBB232_412
; %bb.381:
	v_cmp_gt_i16_e32 vcc_lo, 24, v0
	s_mov_b32 s1, -1
	s_cbranch_vccnz .LBB232_401
; %bb.382:
	v_cmp_lt_i16_e32 vcc_lo, 24, v0
	s_cbranch_vccz .LBB232_390
; %bb.383:
	v_and_b32_e32 v3, 0x7fffffff, v2
	v_mov_b32_e32 v6, 0x80
	s_mov_b32 s1, exec_lo
	s_delay_alu instid0(VALU_DEP_2)
	v_cmpx_gt_u32_e32 0x47800000, v3
	s_cbranch_execz .LBB232_389
; %bb.384:
	v_cmp_lt_u32_e32 vcc_lo, 0x37ffffff, v3
	s_mov_b32 s15, 0
                                        ; implicit-def: $vgpr3
	s_and_saveexec_b32 s17, vcc_lo
	s_delay_alu instid0(SALU_CYCLE_1)
	s_xor_b32 s17, exec_lo, s17
	s_cbranch_execz .LBB232_597
; %bb.385:
	v_bfe_u32 v3, v2, 21, 1
	s_mov_b32 s15, exec_lo
	s_delay_alu instid0(VALU_DEP_1) | instskip(NEXT) | instid1(VALU_DEP_1)
	v_add3_u32 v3, v2, v3, 0x88fffff
	v_lshrrev_b32_e32 v3, 21, v3
	s_or_saveexec_b32 s17, s17
                                        ; implicit-def: $sgpr18
	s_delay_alu instid0(SALU_CYCLE_1)
	s_xor_b32 exec_lo, exec_lo, s17
	s_cbranch_execnz .LBB232_598
.LBB232_386:
	s_or_b32 exec_lo, exec_lo, s17
	v_mov_b32_e32 v6, s18
	s_and_saveexec_b32 s17, s15
.LBB232_387:
	v_lshrrev_b32_e32 v6, 24, v2
	s_delay_alu instid0(VALU_DEP_1)
	v_and_or_b32 v6, 0x80, v6, v3
.LBB232_388:
	s_or_b32 exec_lo, exec_lo, s17
.LBB232_389:
	s_delay_alu instid0(SALU_CYCLE_1)
	s_or_b32 exec_lo, exec_lo, s1
	s_mov_b32 s1, 0
	global_store_b8 v[4:5], v6, off
.LBB232_390:
	s_and_b32 vcc_lo, exec_lo, s1
	s_cbranch_vccz .LBB232_400
; %bb.391:
	v_and_b32_e32 v6, 0x7fffffff, v2
	s_mov_b32 s1, exec_lo
                                        ; implicit-def: $vgpr3
	s_delay_alu instid0(VALU_DEP_1)
	v_cmpx_gt_u32_e32 0x43f00000, v6
	s_xor_b32 s1, exec_lo, s1
	s_cbranch_execz .LBB232_397
; %bb.392:
	s_mov_b32 s15, exec_lo
                                        ; implicit-def: $vgpr3
	v_cmpx_lt_u32_e32 0x3c7fffff, v6
	s_xor_b32 s15, exec_lo, s15
; %bb.393:
	v_bfe_u32 v3, v2, 20, 1
	s_delay_alu instid0(VALU_DEP_1) | instskip(NEXT) | instid1(VALU_DEP_1)
	v_add3_u32 v3, v2, v3, 0x407ffff
	v_and_b32_e32 v6, 0xff00000, v3
	v_lshrrev_b32_e32 v3, 20, v3
	s_delay_alu instid0(VALU_DEP_2) | instskip(NEXT) | instid1(VALU_DEP_2)
	v_cmp_ne_u32_e32 vcc_lo, 0x7f00000, v6
	v_cndmask_b32_e32 v3, 0x7e, v3, vcc_lo
; %bb.394:
	s_and_not1_saveexec_b32 s15, s15
; %bb.395:
	v_add_f32_e64 v3, 0x46800000, |v2|
; %bb.396:
	s_or_b32 exec_lo, exec_lo, s15
                                        ; implicit-def: $vgpr6
.LBB232_397:
	s_and_not1_saveexec_b32 s1, s1
; %bb.398:
	v_mov_b32_e32 v3, 0x7f
	v_cmp_lt_u32_e32 vcc_lo, 0x7f800000, v6
	s_delay_alu instid0(VALU_DEP_2)
	v_cndmask_b32_e32 v3, 0x7e, v3, vcc_lo
; %bb.399:
	s_or_b32 exec_lo, exec_lo, s1
	v_lshrrev_b32_e32 v6, 24, v2
	s_delay_alu instid0(VALU_DEP_1)
	v_and_or_b32 v3, 0x80, v6, v3
	global_store_b8 v[4:5], v3, off
.LBB232_400:
	s_mov_b32 s1, 0
.LBB232_401:
	s_delay_alu instid0(SALU_CYCLE_1)
	s_and_not1_b32 vcc_lo, exec_lo, s1
	s_cbranch_vccnz .LBB232_411
; %bb.402:
	v_and_b32_e32 v6, 0x7fffffff, v2
	s_mov_b32 s1, exec_lo
                                        ; implicit-def: $vgpr3
	s_delay_alu instid0(VALU_DEP_1)
	v_cmpx_gt_u32_e32 0x47800000, v6
	s_xor_b32 s1, exec_lo, s1
	s_cbranch_execz .LBB232_408
; %bb.403:
	s_mov_b32 s15, exec_lo
                                        ; implicit-def: $vgpr3
	v_cmpx_lt_u32_e32 0x387fffff, v6
	s_xor_b32 s15, exec_lo, s15
; %bb.404:
	v_bfe_u32 v3, v2, 21, 1
	s_delay_alu instid0(VALU_DEP_1) | instskip(NEXT) | instid1(VALU_DEP_1)
	v_add3_u32 v3, v2, v3, 0x80fffff
	v_lshrrev_b32_e32 v3, 21, v3
; %bb.405:
	s_and_not1_saveexec_b32 s15, s15
; %bb.406:
	v_add_f32_e64 v3, 0x43000000, |v2|
; %bb.407:
	s_or_b32 exec_lo, exec_lo, s15
                                        ; implicit-def: $vgpr6
.LBB232_408:
	s_and_not1_saveexec_b32 s1, s1
; %bb.409:
	v_mov_b32_e32 v3, 0x7f
	v_cmp_lt_u32_e32 vcc_lo, 0x7f800000, v6
	s_delay_alu instid0(VALU_DEP_2)
	v_cndmask_b32_e32 v3, 0x7c, v3, vcc_lo
; %bb.410:
	s_or_b32 exec_lo, exec_lo, s1
	v_lshrrev_b32_e32 v6, 24, v2
	s_delay_alu instid0(VALU_DEP_1)
	v_and_or_b32 v3, 0x80, v6, v3
	global_store_b8 v[4:5], v3, off
.LBB232_411:
	s_mov_b32 s15, 0
	s_mov_b32 s1, -1
.LBB232_412:
	s_and_not1_b32 vcc_lo, exec_lo, s15
	s_cbranch_vccnz .LBB232_420
; %bb.413:
	v_cmp_lt_i16_e32 vcc_lo, 14, v0
	s_mov_b32 s15, -1
	s_cbranch_vccz .LBB232_417
; %bb.414:
	v_cmp_eq_u16_e32 vcc_lo, 15, v0
	s_mov_b32 s0, -1
	s_cbranch_vccz .LBB232_416
; %bb.415:
	v_bfe_u32 v3, v2, 16, 1
	v_cmp_o_f32_e32 vcc_lo, v2, v2
	s_mov_b32 s1, -1
	s_mov_b32 s0, 0
	s_delay_alu instid0(VALU_DEP_2) | instskip(NEXT) | instid1(VALU_DEP_1)
	v_add3_u32 v3, v2, v3, 0x7fff
	v_lshrrev_b32_e32 v3, 16, v3
	s_delay_alu instid0(VALU_DEP_1)
	v_cndmask_b32_e32 v3, 0x7fc0, v3, vcc_lo
	global_store_b16 v[4:5], v3, off
.LBB232_416:
	s_mov_b32 s15, 0
.LBB232_417:
	s_delay_alu instid0(SALU_CYCLE_1)
	s_and_b32 vcc_lo, exec_lo, s15
	s_cbranch_vccz .LBB232_420
; %bb.418:
	v_cmp_eq_u16_e32 vcc_lo, 11, v0
	s_mov_b32 s0, -1
	s_cbranch_vccz .LBB232_420
; %bb.419:
	v_cmp_neq_f32_e32 vcc_lo, 0, v2
	v_cmp_neq_f32_e64 s0, 0, v1
	s_mov_b32 s1, -1
	s_delay_alu instid0(VALU_DEP_1) | instskip(NEXT) | instid1(SALU_CYCLE_1)
	s_or_b32 s0, vcc_lo, s0
	v_cndmask_b32_e64 v3, 0, 1, s0
	s_mov_b32 s0, 0
	global_store_b8 v[4:5], v3, off
.LBB232_420:
	s_mov_b32 s15, 0
.LBB232_421:
	s_delay_alu instid0(SALU_CYCLE_1)
	s_and_b32 vcc_lo, exec_lo, s15
	s_cbranch_vccz .LBB232_460
; %bb.422:
	v_cmp_gt_i16_e32 vcc_lo, 5, v0
	s_mov_b32 s1, -1
	s_cbranch_vccnz .LBB232_443
; %bb.423:
	v_cmp_gt_i16_e32 vcc_lo, 8, v0
	s_cbranch_vccnz .LBB232_433
; %bb.424:
	v_cmp_gt_i16_e32 vcc_lo, 9, v0
	s_cbranch_vccnz .LBB232_430
; %bb.425:
	v_cmp_lt_i16_e32 vcc_lo, 9, v0
	s_cbranch_vccz .LBB232_427
; %bb.426:
	v_cvt_f64_f32_e32 v[6:7], v2
	v_cvt_f64_f32_e32 v[8:9], v1
	s_mov_b32 s1, 0
	global_store_b128 v[4:5], v[6:9], off
.LBB232_427:
	s_and_not1_b32 vcc_lo, exec_lo, s1
	s_cbranch_vccnz .LBB232_429
; %bb.428:
	v_mov_b32_e32 v3, v1
	global_store_b64 v[4:5], v[2:3], off
.LBB232_429:
	s_mov_b32 s1, 0
.LBB232_430:
	s_delay_alu instid0(SALU_CYCLE_1)
	s_and_not1_b32 vcc_lo, exec_lo, s1
	s_cbranch_vccnz .LBB232_432
; %bb.431:
	v_cvt_f16_f32_e32 v1, v1
	v_cvt_f16_f32_e32 v3, v2
	s_delay_alu instid0(VALU_DEP_2) | instskip(NEXT) | instid1(VALU_DEP_2)
	v_lshlrev_b32_e32 v1, 16, v1
	v_and_b32_e32 v3, 0xffff, v3
	s_delay_alu instid0(VALU_DEP_1)
	v_or_b32_e32 v1, v1, v3
	global_store_b32 v[4:5], v1, off
.LBB232_432:
	s_mov_b32 s1, 0
.LBB232_433:
	s_delay_alu instid0(SALU_CYCLE_1)
	s_and_not1_b32 vcc_lo, exec_lo, s1
	s_cbranch_vccnz .LBB232_442
; %bb.434:
	v_cmp_gt_i16_e32 vcc_lo, 6, v0
	s_mov_b32 s1, -1
	s_cbranch_vccnz .LBB232_440
; %bb.435:
	v_cmp_lt_i16_e32 vcc_lo, 6, v0
	s_cbranch_vccz .LBB232_437
; %bb.436:
	v_cvt_f64_f32_e32 v[6:7], v2
	s_mov_b32 s1, 0
	global_store_b64 v[4:5], v[6:7], off
.LBB232_437:
	s_and_not1_b32 vcc_lo, exec_lo, s1
	s_cbranch_vccnz .LBB232_439
; %bb.438:
	global_store_b32 v[4:5], v2, off
.LBB232_439:
	s_mov_b32 s1, 0
.LBB232_440:
	s_delay_alu instid0(SALU_CYCLE_1)
	s_and_not1_b32 vcc_lo, exec_lo, s1
	s_cbranch_vccnz .LBB232_442
; %bb.441:
	v_cvt_f16_f32_e32 v1, v2
	global_store_b16 v[4:5], v1, off
.LBB232_442:
	s_mov_b32 s1, 0
.LBB232_443:
	s_delay_alu instid0(SALU_CYCLE_1)
	s_and_not1_b32 vcc_lo, exec_lo, s1
	s_cbranch_vccnz .LBB232_459
; %bb.444:
	v_cmp_gt_i16_e32 vcc_lo, 2, v0
	s_mov_b32 s1, -1
	s_cbranch_vccnz .LBB232_454
; %bb.445:
	v_cmp_gt_i16_e32 vcc_lo, 3, v0
	s_cbranch_vccnz .LBB232_451
; %bb.446:
	v_cmp_lt_i16_e32 vcc_lo, 3, v0
	s_cbranch_vccz .LBB232_448
; %bb.447:
	v_trunc_f32_e32 v1, v2
	s_mov_b32 s1, 0
	s_delay_alu instid0(VALU_DEP_1) | instskip(NEXT) | instid1(VALU_DEP_1)
	v_mul_f32_e64 v3, 0x2f800000, |v1|
	v_floor_f32_e32 v3, v3
	s_delay_alu instid0(VALU_DEP_1) | instskip(SKIP_2) | instid1(VALU_DEP_3)
	v_fma_f32 v6, 0xcf800000, v3, |v1|
	v_ashrrev_i32_e32 v1, 31, v1
	v_cvt_u32_f32_e32 v3, v3
	v_cvt_u32_f32_e32 v6, v6
	s_delay_alu instid0(VALU_DEP_2) | instskip(NEXT) | instid1(VALU_DEP_2)
	v_xor_b32_e32 v3, v3, v1
	v_xor_b32_e32 v6, v6, v1
	s_delay_alu instid0(VALU_DEP_1) | instskip(NEXT) | instid1(VALU_DEP_3)
	v_sub_co_u32 v6, vcc_lo, v6, v1
	v_sub_co_ci_u32_e32 v7, vcc_lo, v3, v1, vcc_lo
	global_store_b64 v[4:5], v[6:7], off
.LBB232_448:
	s_and_not1_b32 vcc_lo, exec_lo, s1
	s_cbranch_vccnz .LBB232_450
; %bb.449:
	v_cvt_i32_f32_e32 v1, v2
	global_store_b32 v[4:5], v1, off
.LBB232_450:
	s_mov_b32 s1, 0
.LBB232_451:
	s_delay_alu instid0(SALU_CYCLE_1)
	s_and_not1_b32 vcc_lo, exec_lo, s1
	s_cbranch_vccnz .LBB232_453
; %bb.452:
	v_cvt_i32_f32_e32 v1, v2
	global_store_b16 v[4:5], v1, off
.LBB232_453:
	s_mov_b32 s1, 0
.LBB232_454:
	s_delay_alu instid0(SALU_CYCLE_1)
	s_and_not1_b32 vcc_lo, exec_lo, s1
	s_cbranch_vccnz .LBB232_459
; %bb.455:
	v_cmp_lt_i16_e32 vcc_lo, 0, v0
	s_mov_b32 s1, -1
	s_cbranch_vccz .LBB232_457
; %bb.456:
	v_cvt_i32_f32_e32 v0, v2
	s_mov_b32 s1, 0
	global_store_b8 v[4:5], v0, off
.LBB232_457:
	s_and_not1_b32 vcc_lo, exec_lo, s1
	s_cbranch_vccnz .LBB232_459
; %bb.458:
	v_trunc_f32_e32 v0, v2
	s_delay_alu instid0(VALU_DEP_1) | instskip(NEXT) | instid1(VALU_DEP_1)
	v_mul_f32_e64 v1, 0x2f800000, |v0|
	v_floor_f32_e32 v1, v1
	s_delay_alu instid0(VALU_DEP_1) | instskip(SKIP_1) | instid1(VALU_DEP_2)
	v_fma_f32 v1, 0xcf800000, v1, |v0|
	v_ashrrev_i32_e32 v0, 31, v0
	v_cvt_u32_f32_e32 v1, v1
	s_delay_alu instid0(VALU_DEP_1) | instskip(NEXT) | instid1(VALU_DEP_1)
	v_xor_b32_e32 v1, v1, v0
	v_sub_nc_u32_e32 v0, v1, v0
	global_store_b8 v[4:5], v0, off
.LBB232_459:
	s_mov_b32 s1, -1
.LBB232_460:
	s_delay_alu instid0(SALU_CYCLE_1)
	s_and_not1_b32 vcc_lo, exec_lo, s1
	s_cbranch_vccnz .LBB232_462
; %bb.461:
	v_add_nc_u32_e32 v12, 0x80, v12
	s_mov_b32 s1, -1
	s_branch .LBB232_580
.LBB232_462:
	s_mov_b32 s1, 0
	s_branch .LBB232_579
.LBB232_463:
	s_mov_b32 s14, -1
                                        ; implicit-def: $vgpr0
.LBB232_464:
	s_delay_alu instid0(SALU_CYCLE_1)
	v_mov_b32_e32 v1, s14
.LBB232_465:
	s_mov_b32 s1, 0
.LBB232_466:
	s_delay_alu instid0(SALU_CYCLE_1)
	s_and_b32 vcc_lo, exec_lo, s1
	s_cbranch_vccz .LBB232_471
; %bb.467:
	v_cmp_eq_u16_e32 vcc_lo, 29, v13
	s_cbranch_vccz .LBB232_469
; %bb.468:
	global_load_b64 v[0:1], v[2:3], off
	s_mov_b32 s0, -1
	s_mov_b32 s14, 0
	s_mov_b32 s1, 0
	s_waitcnt vmcnt(0)
	v_clz_i32_u32_e32 v4, v1
	s_delay_alu instid0(VALU_DEP_1) | instskip(NEXT) | instid1(VALU_DEP_1)
	v_min_u32_e32 v4, 32, v4
	v_lshlrev_b64 v[0:1], v4, v[0:1]
	s_delay_alu instid0(VALU_DEP_1) | instskip(NEXT) | instid1(VALU_DEP_1)
	v_min_u32_e32 v0, 1, v0
	v_or_b32_e32 v0, v1, v0
	v_sub_nc_u32_e32 v1, 32, v4
	s_delay_alu instid0(VALU_DEP_2) | instskip(NEXT) | instid1(VALU_DEP_1)
	v_cvt_f32_u32_e32 v0, v0
	v_ldexp_f32 v0, v0, v1
	s_branch .LBB232_470
.LBB232_469:
	s_mov_b32 s14, -1
                                        ; implicit-def: $sgpr1
                                        ; implicit-def: $vgpr0
.LBB232_470:
	v_mov_b32_e32 v1, s1
.LBB232_471:
	s_mov_b32 s1, 0
.LBB232_472:
	s_delay_alu instid0(SALU_CYCLE_1)
	s_and_b32 vcc_lo, exec_lo, s1
	s_cbranch_vccz .LBB232_492
; %bb.473:
	v_cmp_gt_i16_e32 vcc_lo, 27, v13
	s_cbranch_vccnz .LBB232_476
; %bb.474:
	v_cmp_lt_i16_e32 vcc_lo, 27, v13
	s_cbranch_vccz .LBB232_477
; %bb.475:
	global_load_b32 v0, v[2:3], off
	s_mov_b32 s1, 0
	s_mov_b32 s0, 0
	s_waitcnt vmcnt(0)
	v_cvt_f32_u32_e32 v0, v0
	s_branch .LBB232_478
.LBB232_476:
	s_mov_b32 s1, -1
                                        ; implicit-def: $sgpr0
                                        ; implicit-def: $vgpr0
	s_branch .LBB232_481
.LBB232_477:
	s_mov_b32 s1, -1
                                        ; implicit-def: $sgpr0
                                        ; implicit-def: $vgpr0
.LBB232_478:
	s_delay_alu instid0(SALU_CYCLE_1)
	s_and_not1_b32 vcc_lo, exec_lo, s1
	s_cbranch_vccnz .LBB232_480
; %bb.479:
	global_load_u16 v0, v[2:3], off
	s_mov_b32 s0, 0
	s_waitcnt vmcnt(0)
	v_cvt_f32_u32_e32 v0, v0
.LBB232_480:
	s_mov_b32 s1, 0
.LBB232_481:
	v_mov_b32_e32 v1, s0
	s_and_not1_b32 vcc_lo, exec_lo, s1
	s_cbranch_vccnz .LBB232_491
; %bb.482:
	global_load_u8 v4, v[2:3], off
	s_mov_b32 s0, 0
	s_mov_b32 s17, exec_lo
                                        ; implicit-def: $sgpr15
                                        ; implicit-def: $sgpr1
	s_waitcnt vmcnt(0)
	v_cmpx_lt_i16_e32 0x7f, v4
	s_xor_b32 s17, exec_lo, s17
	s_cbranch_execz .LBB232_486
; %bb.483:
	s_mov_b32 s0, -1
	s_mov_b32 s18, exec_lo
                                        ; implicit-def: $sgpr15
                                        ; implicit-def: $sgpr1
	v_cmpx_eq_u16_e32 0x80, v4
; %bb.484:
	s_mov_b32 s1, 0x7f800001
	s_mov_b32 s15, 0
	s_xor_b32 s0, exec_lo, -1
; %bb.485:
	s_or_b32 exec_lo, exec_lo, s18
	s_delay_alu instid0(SALU_CYCLE_1)
	s_and_b32 s0, s0, exec_lo
.LBB232_486:
	s_or_saveexec_b32 s17, s17
	v_dual_mov_b32 v1, s15 :: v_dual_mov_b32 v0, s1
	s_xor_b32 exec_lo, exec_lo, s17
; %bb.487:
	v_cmp_ne_u16_e32 vcc_lo, 0, v4
	v_dual_mov_b32 v1, 0 :: v_dual_mov_b32 v0, 0
	s_and_not1_b32 s0, s0, exec_lo
	s_and_b32 s1, vcc_lo, exec_lo
	s_delay_alu instid0(SALU_CYCLE_1)
	s_or_b32 s0, s0, s1
; %bb.488:
	s_or_b32 exec_lo, exec_lo, s17
	s_and_saveexec_b32 s1, s0
	s_cbranch_execz .LBB232_490
; %bb.489:
	v_and_b32_e32 v0, 0xffff, v4
	v_lshlrev_b32_e32 v4, 24, v4
	s_delay_alu instid0(VALU_DEP_2) | instskip(NEXT) | instid1(VALU_DEP_2)
	v_and_b32_e32 v1, 7, v0
	v_and_b32_e32 v4, 0x80000000, v4
	s_delay_alu instid0(VALU_DEP_2) | instskip(NEXT) | instid1(VALU_DEP_1)
	v_clz_i32_u32_e32 v5, v1
	v_min_u32_e32 v5, 32, v5
	s_delay_alu instid0(VALU_DEP_1) | instskip(SKIP_1) | instid1(VALU_DEP_2)
	v_subrev_nc_u32_e32 v6, 28, v5
	v_sub_nc_u32_e32 v5, 29, v5
	v_lshlrev_b32_e32 v6, v6, v0
	v_bfe_u32 v0, v0, 3, 4
	s_delay_alu instid0(VALU_DEP_2) | instskip(NEXT) | instid1(VALU_DEP_2)
	v_and_b32_e32 v6, 7, v6
	v_cmp_eq_u32_e32 vcc_lo, 0, v0
	s_delay_alu instid0(VALU_DEP_2) | instskip(NEXT) | instid1(VALU_DEP_1)
	v_dual_cndmask_b32 v0, v0, v5 :: v_dual_cndmask_b32 v1, v1, v6
	v_lshl_add_u32 v0, v0, 23, 0x3b800000
	s_delay_alu instid0(VALU_DEP_2) | instskip(NEXT) | instid1(VALU_DEP_1)
	v_lshlrev_b32_e32 v1, 20, v1
	v_or3_b32 v0, v4, v0, v1
	v_mov_b32_e32 v1, 0
.LBB232_490:
	s_or_b32 exec_lo, exec_lo, s1
.LBB232_491:
	s_mov_b32 s0, -1
.LBB232_492:
	s_mov_b32 s1, 0
.LBB232_493:
	s_delay_alu instid0(SALU_CYCLE_1)
	s_and_b32 vcc_lo, exec_lo, s1
	s_cbranch_vccz .LBB232_527
; %bb.494:
	v_cmp_lt_i16_e32 vcc_lo, 22, v13
	s_cbranch_vccz .LBB232_506
; %bb.495:
	v_cmp_gt_i16_e32 vcc_lo, 24, v13
	s_cbranch_vccnz .LBB232_507
; %bb.496:
	v_cmp_lt_i16_e32 vcc_lo, 24, v13
	s_cbranch_vccz .LBB232_508
; %bb.497:
	global_load_u8 v4, v[2:3], off
	s_mov_b32 s0, 0
	s_mov_b32 s17, exec_lo
                                        ; implicit-def: $sgpr15
                                        ; implicit-def: $sgpr1
	s_waitcnt vmcnt(0)
	v_cmpx_lt_i16_e32 0x7f, v4
	s_xor_b32 s17, exec_lo, s17
	s_cbranch_execz .LBB232_501
; %bb.498:
	s_mov_b32 s0, -1
	s_mov_b32 s18, exec_lo
                                        ; implicit-def: $sgpr15
                                        ; implicit-def: $sgpr1
	v_cmpx_eq_u16_e32 0x80, v4
; %bb.499:
	s_mov_b32 s1, 0x7f800001
	s_mov_b32 s15, 0
	s_xor_b32 s0, exec_lo, -1
; %bb.500:
	s_or_b32 exec_lo, exec_lo, s18
	s_delay_alu instid0(SALU_CYCLE_1)
	s_and_b32 s0, s0, exec_lo
.LBB232_501:
	s_or_saveexec_b32 s17, s17
	v_dual_mov_b32 v1, s15 :: v_dual_mov_b32 v0, s1
	s_xor_b32 exec_lo, exec_lo, s17
; %bb.502:
	v_cmp_ne_u16_e32 vcc_lo, 0, v4
	v_dual_mov_b32 v1, 0 :: v_dual_mov_b32 v0, 0
	s_and_not1_b32 s0, s0, exec_lo
	s_and_b32 s1, vcc_lo, exec_lo
	s_delay_alu instid0(SALU_CYCLE_1)
	s_or_b32 s0, s0, s1
; %bb.503:
	s_or_b32 exec_lo, exec_lo, s17
	s_and_saveexec_b32 s1, s0
	s_cbranch_execz .LBB232_505
; %bb.504:
	v_and_b32_e32 v0, 0xffff, v4
	v_lshlrev_b32_e32 v4, 24, v4
	s_delay_alu instid0(VALU_DEP_2) | instskip(NEXT) | instid1(VALU_DEP_2)
	v_and_b32_e32 v1, 3, v0
	v_and_b32_e32 v4, 0x80000000, v4
	s_delay_alu instid0(VALU_DEP_2) | instskip(NEXT) | instid1(VALU_DEP_1)
	v_clz_i32_u32_e32 v5, v1
	v_min_u32_e32 v5, 32, v5
	s_delay_alu instid0(VALU_DEP_1) | instskip(SKIP_1) | instid1(VALU_DEP_2)
	v_subrev_nc_u32_e32 v6, 29, v5
	v_sub_nc_u32_e32 v5, 30, v5
	v_lshlrev_b32_e32 v6, v6, v0
	v_bfe_u32 v0, v0, 2, 5
	s_delay_alu instid0(VALU_DEP_2) | instskip(NEXT) | instid1(VALU_DEP_2)
	v_and_b32_e32 v6, 3, v6
	v_cmp_eq_u32_e32 vcc_lo, 0, v0
	s_delay_alu instid0(VALU_DEP_2) | instskip(NEXT) | instid1(VALU_DEP_1)
	v_dual_cndmask_b32 v0, v0, v5 :: v_dual_cndmask_b32 v1, v1, v6
	v_lshl_add_u32 v0, v0, 23, 0x37800000
	s_delay_alu instid0(VALU_DEP_2) | instskip(NEXT) | instid1(VALU_DEP_1)
	v_lshlrev_b32_e32 v1, 21, v1
	v_or3_b32 v0, v4, v0, v1
	v_mov_b32_e32 v1, 0
.LBB232_505:
	s_or_b32 exec_lo, exec_lo, s1
	s_mov_b32 s0, 0
	s_branch .LBB232_509
.LBB232_506:
	s_mov_b32 s1, -1
                                        ; implicit-def: $vgpr1
	s_branch .LBB232_515
.LBB232_507:
	s_mov_b32 s0, -1
                                        ; implicit-def: $vgpr1
	s_branch .LBB232_512
.LBB232_508:
	s_mov_b32 s0, -1
                                        ; implicit-def: $vgpr1
.LBB232_509:
	s_delay_alu instid0(SALU_CYCLE_1)
	s_and_b32 vcc_lo, exec_lo, s0
	s_cbranch_vccz .LBB232_511
; %bb.510:
	global_load_u8 v0, v[2:3], off
	s_waitcnt vmcnt(0)
	v_lshlrev_b32_e32 v0, 24, v0
	s_delay_alu instid0(VALU_DEP_1) | instskip(NEXT) | instid1(VALU_DEP_1)
	v_and_b32_e32 v1, 0x7f000000, v0
	v_clz_i32_u32_e32 v4, v1
	v_cmp_ne_u32_e32 vcc_lo, 0, v1
	v_add_nc_u32_e32 v6, 0x1000000, v1
	s_delay_alu instid0(VALU_DEP_3) | instskip(NEXT) | instid1(VALU_DEP_1)
	v_min_u32_e32 v4, 32, v4
	v_sub_nc_u32_e64 v4, v4, 4 clamp
	s_delay_alu instid0(VALU_DEP_1) | instskip(SKIP_1) | instid1(VALU_DEP_2)
	v_lshlrev_b32_e32 v5, v4, v1
	v_lshlrev_b32_e32 v4, 23, v4
	v_lshrrev_b32_e32 v5, 4, v5
	s_delay_alu instid0(VALU_DEP_1) | instskip(SKIP_1) | instid1(VALU_DEP_2)
	v_sub_nc_u32_e32 v4, v5, v4
	v_ashrrev_i32_e32 v5, 8, v6
	v_add_nc_u32_e32 v4, 0x3c000000, v4
	s_delay_alu instid0(VALU_DEP_1) | instskip(NEXT) | instid1(VALU_DEP_1)
	v_and_or_b32 v4, 0x7f800000, v5, v4
	v_cndmask_b32_e32 v1, 0, v4, vcc_lo
	s_delay_alu instid0(VALU_DEP_1)
	v_and_or_b32 v0, 0x80000000, v0, v1
	v_mov_b32_e32 v1, 0
.LBB232_511:
	s_mov_b32 s0, 0
.LBB232_512:
	s_delay_alu instid0(SALU_CYCLE_1)
	s_and_not1_b32 vcc_lo, exec_lo, s0
	s_cbranch_vccnz .LBB232_514
; %bb.513:
	global_load_u8 v0, v[2:3], off
	s_waitcnt vmcnt(0)
	v_lshlrev_b32_e32 v1, 25, v0
	v_lshlrev_b16 v0, 8, v0
	s_delay_alu instid0(VALU_DEP_2) | instskip(NEXT) | instid1(VALU_DEP_2)
	v_lshrrev_b32_e32 v4, 4, v1
	v_and_or_b32 v5, 0x7f00, v0, 0.5
	v_cmp_gt_u32_e32 vcc_lo, 0x8000000, v1
	v_bfe_i32 v0, v0, 0, 16
	s_delay_alu instid0(VALU_DEP_4) | instskip(NEXT) | instid1(VALU_DEP_1)
	v_or_b32_e32 v4, 0x70000000, v4
	v_dual_add_f32 v5, -0.5, v5 :: v_dual_mul_f32 v4, 0x7800000, v4
	s_delay_alu instid0(VALU_DEP_1) | instskip(NEXT) | instid1(VALU_DEP_1)
	v_cndmask_b32_e32 v1, v4, v5, vcc_lo
	v_and_or_b32 v0, 0x80000000, v0, v1
	v_mov_b32_e32 v1, 0
.LBB232_514:
	s_mov_b32 s1, 0
	s_mov_b32 s0, -1
.LBB232_515:
	s_and_not1_b32 vcc_lo, exec_lo, s1
	s_cbranch_vccnz .LBB232_527
; %bb.516:
	v_cmp_lt_i16_e32 vcc_lo, 14, v13
	s_cbranch_vccz .LBB232_519
; %bb.517:
	v_cmp_eq_u16_e32 vcc_lo, 15, v13
	s_cbranch_vccz .LBB232_520
; %bb.518:
	global_load_u16 v0, v[2:3], off
	s_mov_b32 s0, -1
	s_mov_b32 s14, 0
	s_mov_b32 s1, 0
	s_waitcnt vmcnt(0)
	v_lshlrev_b32_e32 v0, 16, v0
	s_branch .LBB232_521
.LBB232_519:
	s_mov_b32 s15, -1
                                        ; implicit-def: $sgpr1
                                        ; implicit-def: $vgpr0
	s_branch .LBB232_522
.LBB232_520:
	s_mov_b32 s14, -1
                                        ; implicit-def: $sgpr1
                                        ; implicit-def: $vgpr0
.LBB232_521:
	s_mov_b32 s15, 0
.LBB232_522:
	s_delay_alu instid0(SALU_CYCLE_1)
	s_and_b32 vcc_lo, exec_lo, s15
	s_cbranch_vccz .LBB232_526
; %bb.523:
	v_cmp_eq_u16_e32 vcc_lo, 11, v13
	s_cbranch_vccz .LBB232_525
; %bb.524:
	global_load_u8 v0, v[2:3], off
	s_mov_b32 s1, 0
	s_mov_b32 s0, -1
	s_mov_b32 s14, 0
	s_waitcnt vmcnt(0)
	v_cmp_ne_u16_e32 vcc_lo, 0, v0
	v_cndmask_b32_e64 v0, 0, 1.0, vcc_lo
	s_branch .LBB232_526
.LBB232_525:
	s_mov_b32 s14, -1
                                        ; implicit-def: $sgpr1
                                        ; implicit-def: $vgpr0
.LBB232_526:
	v_mov_b32_e32 v1, s1
.LBB232_527:
	s_branch .LBB232_296
.LBB232_528:
	v_cmp_gt_i16_e32 vcc_lo, 5, v13
	s_cbranch_vccnz .LBB232_533
; %bb.529:
	v_cmp_gt_i16_e32 vcc_lo, 8, v13
	s_cbranch_vccnz .LBB232_534
; %bb.530:
	;; [unrolled: 3-line block ×3, first 2 shown]
	v_cmp_lt_i16_e32 vcc_lo, 9, v13
	s_cbranch_vccz .LBB232_536
; %bb.532:
	global_load_b128 v[4:7], v[2:3], off
	s_mov_b32 s0, 0
	s_waitcnt vmcnt(0)
	v_cvt_f32_f64_e32 v0, v[4:5]
	v_cvt_f32_f64_e32 v1, v[6:7]
	s_branch .LBB232_537
.LBB232_533:
	s_mov_b32 s0, -1
                                        ; implicit-def: $vgpr1
	s_branch .LBB232_556
.LBB232_534:
	s_mov_b32 s0, -1
                                        ; implicit-def: $vgpr1
	s_branch .LBB232_543
.LBB232_535:
	s_mov_b32 s0, -1
                                        ; implicit-def: $vgpr1
	s_branch .LBB232_540
.LBB232_536:
	s_mov_b32 s0, -1
                                        ; implicit-def: $vgpr1
.LBB232_537:
	s_delay_alu instid0(SALU_CYCLE_1)
	s_and_not1_b32 vcc_lo, exec_lo, s0
	s_cbranch_vccnz .LBB232_539
; %bb.538:
	global_load_b64 v[0:1], v[2:3], off
.LBB232_539:
	s_mov_b32 s0, 0
.LBB232_540:
	s_delay_alu instid0(SALU_CYCLE_1)
	s_and_not1_b32 vcc_lo, exec_lo, s0
	s_cbranch_vccnz .LBB232_542
; %bb.541:
	global_load_b32 v0, v[2:3], off
	s_waitcnt vmcnt(0)
	v_lshrrev_b32_e32 v1, 16, v0
	v_cvt_f32_f16_e32 v0, v0
	s_delay_alu instid0(VALU_DEP_2)
	v_cvt_f32_f16_e32 v1, v1
.LBB232_542:
	s_mov_b32 s0, 0
.LBB232_543:
	s_delay_alu instid0(SALU_CYCLE_1)
	s_and_not1_b32 vcc_lo, exec_lo, s0
	s_cbranch_vccnz .LBB232_555
; %bb.544:
	v_cmp_gt_i16_e32 vcc_lo, 6, v13
	s_cbranch_vccnz .LBB232_547
; %bb.545:
	v_cmp_lt_i16_e32 vcc_lo, 6, v13
	s_cbranch_vccz .LBB232_548
; %bb.546:
	global_load_b64 v[0:1], v[2:3], off
	s_mov_b32 s1, 0
	s_mov_b32 s0, 0
	s_waitcnt vmcnt(0)
	v_cvt_f32_f64_e32 v0, v[0:1]
	s_branch .LBB232_549
.LBB232_547:
	s_mov_b32 s1, -1
                                        ; implicit-def: $sgpr0
                                        ; implicit-def: $vgpr0
	s_branch .LBB232_552
.LBB232_548:
	s_mov_b32 s1, -1
                                        ; implicit-def: $sgpr0
                                        ; implicit-def: $vgpr0
.LBB232_549:
	s_delay_alu instid0(SALU_CYCLE_1)
	s_and_not1_b32 vcc_lo, exec_lo, s1
	s_cbranch_vccnz .LBB232_551
; %bb.550:
	global_load_b32 v0, v[2:3], off
	s_mov_b32 s0, 0
.LBB232_551:
	s_mov_b32 s1, 0
.LBB232_552:
	s_delay_alu instid0(SALU_CYCLE_1)
	s_and_not1_b32 vcc_lo, exec_lo, s1
	s_cbranch_vccnz .LBB232_554
; %bb.553:
	global_load_u16 v0, v[2:3], off
	s_mov_b32 s0, 0
	s_waitcnt vmcnt(0)
	v_cvt_f32_f16_e32 v0, v0
.LBB232_554:
	s_waitcnt vmcnt(0)
	v_mov_b32_e32 v1, s0
.LBB232_555:
	s_mov_b32 s0, 0
.LBB232_556:
	s_delay_alu instid0(SALU_CYCLE_1)
	s_and_not1_b32 vcc_lo, exec_lo, s0
	s_cbranch_vccnz .LBB232_577
; %bb.557:
	v_cmp_gt_i16_e32 vcc_lo, 2, v13
	s_cbranch_vccnz .LBB232_561
; %bb.558:
	v_cmp_gt_i16_e32 vcc_lo, 3, v13
	s_cbranch_vccnz .LBB232_562
; %bb.559:
	v_cmp_lt_i16_e32 vcc_lo, 3, v13
	s_cbranch_vccz .LBB232_563
; %bb.560:
	global_load_b64 v[0:1], v[2:3], off
	s_mov_b32 s1, 0
	s_mov_b32 s0, 0
	s_waitcnt vmcnt(0)
	v_xor_b32_e32 v4, v0, v1
	v_cls_i32_e32 v5, v1
	s_delay_alu instid0(VALU_DEP_2) | instskip(NEXT) | instid1(VALU_DEP_2)
	v_ashrrev_i32_e32 v4, 31, v4
	v_add_nc_u32_e32 v5, -1, v5
	s_delay_alu instid0(VALU_DEP_2) | instskip(NEXT) | instid1(VALU_DEP_1)
	v_add_nc_u32_e32 v4, 32, v4
	v_min_u32_e32 v4, v5, v4
	s_delay_alu instid0(VALU_DEP_1) | instskip(NEXT) | instid1(VALU_DEP_1)
	v_lshlrev_b64 v[0:1], v4, v[0:1]
	v_min_u32_e32 v0, 1, v0
	s_delay_alu instid0(VALU_DEP_1) | instskip(SKIP_1) | instid1(VALU_DEP_2)
	v_or_b32_e32 v0, v1, v0
	v_sub_nc_u32_e32 v1, 32, v4
	v_cvt_f32_i32_e32 v0, v0
	s_delay_alu instid0(VALU_DEP_1)
	v_ldexp_f32 v0, v0, v1
	s_branch .LBB232_564
.LBB232_561:
	s_mov_b32 s1, -1
                                        ; implicit-def: $sgpr0
                                        ; implicit-def: $vgpr0
	s_branch .LBB232_570
.LBB232_562:
	s_mov_b32 s1, -1
                                        ; implicit-def: $sgpr0
                                        ; implicit-def: $vgpr0
	s_branch .LBB232_567
.LBB232_563:
	s_mov_b32 s1, -1
                                        ; implicit-def: $sgpr0
                                        ; implicit-def: $vgpr0
.LBB232_564:
	s_delay_alu instid0(SALU_CYCLE_1)
	s_and_not1_b32 vcc_lo, exec_lo, s1
	s_cbranch_vccnz .LBB232_566
; %bb.565:
	global_load_b32 v0, v[2:3], off
	s_mov_b32 s0, 0
	s_waitcnt vmcnt(0)
	v_cvt_f32_i32_e32 v0, v0
.LBB232_566:
	s_mov_b32 s1, 0
.LBB232_567:
	s_delay_alu instid0(SALU_CYCLE_1)
	s_and_not1_b32 vcc_lo, exec_lo, s1
	s_cbranch_vccnz .LBB232_569
; %bb.568:
	global_load_i16 v0, v[2:3], off
	s_mov_b32 s0, 0
	s_waitcnt vmcnt(0)
	v_cvt_f32_i32_e32 v0, v0
.LBB232_569:
	s_mov_b32 s1, 0
.LBB232_570:
	s_delay_alu instid0(SALU_CYCLE_1)
	s_and_not1_b32 vcc_lo, exec_lo, s1
	s_cbranch_vccnz .LBB232_576
; %bb.571:
	v_cmp_lt_i16_e32 vcc_lo, 0, v13
	s_mov_b32 s1, 0
	s_cbranch_vccz .LBB232_573
; %bb.572:
	global_load_i8 v0, v[2:3], off
	s_mov_b32 s0, 0
	s_waitcnt vmcnt(0)
	v_cvt_f32_i32_e32 v0, v0
	s_branch .LBB232_574
.LBB232_573:
	s_mov_b32 s1, -1
                                        ; implicit-def: $sgpr0
                                        ; implicit-def: $vgpr0
.LBB232_574:
	s_delay_alu instid0(SALU_CYCLE_1)
	s_and_not1_b32 vcc_lo, exec_lo, s1
	s_cbranch_vccnz .LBB232_576
; %bb.575:
	global_load_u8 v0, v[2:3], off
	s_mov_b32 s0, 0
	s_waitcnt vmcnt(0)
	v_cvt_f32_ubyte0_e32 v0, v0
.LBB232_576:
	s_waitcnt vmcnt(0)
	v_mov_b32_e32 v1, s0
.LBB232_577:
	s_branch .LBB232_297
.LBB232_578:
	s_mov_b32 s1, 0
	s_mov_b32 s0, s10
.LBB232_579:
                                        ; implicit-def: $vgpr12
.LBB232_580:
	s_and_not1_b32 s15, s10, exec_lo
	s_and_b32 s0, s0, exec_lo
	s_and_not1_b32 s17, s12, exec_lo
	s_and_b32 s14, s14, exec_lo
	s_or_b32 s15, s15, s0
	s_or_b32 s14, s17, s14
	s_or_not1_b32 s18, s1, exec_lo
.LBB232_581:
	s_or_b32 exec_lo, exec_lo, s16
	s_mov_b32 s1, 0
	s_mov_b32 s17, 0
	s_mov_b32 s0, 0
                                        ; implicit-def: $vgpr2_vgpr3
                                        ; implicit-def: $vgpr1
	s_and_saveexec_b32 s16, s18
	s_cbranch_execz .LBB232_966
; %bb.582:
	s_mov_b32 s0, -1
	s_mov_b32 s1, s14
	s_mov_b32 s18, s15
	s_mov_b32 s17, exec_lo
	v_cmpx_gt_i32_e64 s11, v12
	s_cbranch_execz .LBB232_877
; %bb.583:
	s_waitcnt vmcnt(0)
	v_mul_lo_u32 v0, v12, s3
	v_cmp_gt_i16_e32 vcc_lo, 11, v13
	s_delay_alu instid0(VALU_DEP_2) | instskip(SKIP_1) | instid1(VALU_DEP_1)
	v_ashrrev_i32_e32 v1, 31, v0
	v_add_co_u32 v2, s0, s6, v0
	v_add_co_ci_u32_e64 v3, s0, s7, v1, s0
	s_cbranch_vccnz .LBB232_590
; %bb.584:
	v_cmp_lt_i16_e32 vcc_lo, 25, v13
	s_cbranch_vccz .LBB232_591
; %bb.585:
	v_cmp_lt_i16_e32 vcc_lo, 28, v13
	s_cbranch_vccz .LBB232_592
	;; [unrolled: 3-line block ×4, first 2 shown]
; %bb.588:
	v_cmp_eq_u16_e32 vcc_lo, 46, v13
	s_mov_b32 s1, 0
	s_cbranch_vccz .LBB232_599
; %bb.589:
	global_load_b32 v0, v[2:3], off
	s_mov_b32 s0, -1
	s_mov_b32 s18, 0
	s_waitcnt vmcnt(0)
	v_and_b32_e32 v1, 0xffff0000, v0
	v_lshlrev_b32_e32 v0, 16, v0
	s_branch .LBB232_601
.LBB232_590:
	s_mov_b32 s1, -1
	s_mov_b32 s0, 0
	s_mov_b32 s18, s14
                                        ; implicit-def: $vgpr1
	s_branch .LBB232_669
.LBB232_591:
	s_mov_b32 s1, -1
	s_mov_b32 s0, 0
	s_mov_b32 s18, s14
                                        ; implicit-def: $vgpr1
	s_branch .LBB232_634
.LBB232_592:
	s_mov_b32 s1, -1
	s_mov_b32 s0, 0
	s_mov_b32 s18, s14
                                        ; implicit-def: $vgpr1
	s_branch .LBB232_613
.LBB232_593:
	s_mov_b32 s1, -1
	s_mov_b32 s0, 0
	s_mov_b32 s18, s14
                                        ; implicit-def: $vgpr1
	s_branch .LBB232_607
.LBB232_594:
	s_or_saveexec_b32 s17, s17
                                        ; implicit-def: $sgpr18
	s_delay_alu instid0(SALU_CYCLE_1)
	s_xor_b32 exec_lo, exec_lo, s17
	s_cbranch_execz .LBB232_373
.LBB232_595:
	v_add_f32_e64 v3, 0x46000000, |v2|
	s_and_not1_b32 s15, s15, exec_lo
	s_mov_b32 s18, 0
	s_delay_alu instid0(VALU_DEP_1) | instskip(NEXT) | instid1(VALU_DEP_1)
	v_and_b32_e32 v3, 0xff, v3
	v_cmp_ne_u32_e32 vcc_lo, 0, v3
	s_and_b32 s19, vcc_lo, exec_lo
	s_delay_alu instid0(SALU_CYCLE_1)
	s_or_b32 s15, s15, s19
	s_or_b32 exec_lo, exec_lo, s17
	v_mov_b32_e32 v6, s18
	s_and_saveexec_b32 s17, s15
	s_cbranch_execnz .LBB232_374
	s_branch .LBB232_375
.LBB232_596:
	s_mov_b32 s1, -1
	s_mov_b32 s0, 0
	s_mov_b32 s18, s14
	s_branch .LBB232_600
.LBB232_597:
	s_or_saveexec_b32 s17, s17
                                        ; implicit-def: $sgpr18
	s_delay_alu instid0(SALU_CYCLE_1)
	s_xor_b32 exec_lo, exec_lo, s17
	s_cbranch_execz .LBB232_386
.LBB232_598:
	v_add_f32_e64 v3, 0x42800000, |v2|
	s_and_not1_b32 s15, s15, exec_lo
	s_mov_b32 s18, 0
	s_delay_alu instid0(VALU_DEP_1) | instskip(NEXT) | instid1(VALU_DEP_1)
	v_and_b32_e32 v3, 0xff, v3
	v_cmp_ne_u32_e32 vcc_lo, 0, v3
	s_and_b32 s19, vcc_lo, exec_lo
	s_delay_alu instid0(SALU_CYCLE_1)
	s_or_b32 s15, s15, s19
	s_or_b32 exec_lo, exec_lo, s17
	v_mov_b32_e32 v6, s18
	s_and_saveexec_b32 s17, s15
	s_cbranch_execnz .LBB232_387
	s_branch .LBB232_388
.LBB232_599:
	s_mov_b32 s18, -1
	s_mov_b32 s0, 0
.LBB232_600:
                                        ; implicit-def: $vgpr1
.LBB232_601:
	s_and_b32 vcc_lo, exec_lo, s1
	s_cbranch_vccz .LBB232_606
; %bb.602:
	v_cmp_eq_u16_e32 vcc_lo, 44, v13
	s_cbranch_vccz .LBB232_604
; %bb.603:
	global_load_u8 v0, v[2:3], off
	s_mov_b32 s18, 0
	s_mov_b32 s0, -1
	s_waitcnt vmcnt(0)
	v_lshlrev_b32_e32 v1, 23, v0
	v_cmp_ne_u32_e32 vcc_lo, 0xff, v0
	s_delay_alu instid0(VALU_DEP_2) | instskip(SKIP_1) | instid1(VALU_DEP_2)
	v_cndmask_b32_e32 v1, 0x7f800001, v1, vcc_lo
	v_cmp_ne_u32_e32 vcc_lo, 0, v0
	v_cndmask_b32_e32 v0, 0x400000, v1, vcc_lo
	s_branch .LBB232_605
.LBB232_604:
	s_mov_b32 s18, -1
                                        ; implicit-def: $vgpr0
.LBB232_605:
	s_delay_alu instid0(SALU_CYCLE_1)
	v_mov_b32_e32 v1, s18
.LBB232_606:
	s_mov_b32 s1, 0
.LBB232_607:
	s_delay_alu instid0(SALU_CYCLE_1)
	s_and_b32 vcc_lo, exec_lo, s1
	s_cbranch_vccz .LBB232_612
; %bb.608:
	v_cmp_eq_u16_e32 vcc_lo, 29, v13
	s_cbranch_vccz .LBB232_610
; %bb.609:
	global_load_b64 v[0:1], v[2:3], off
	s_mov_b32 s0, -1
	s_mov_b32 s18, 0
	s_mov_b32 s1, 0
	s_waitcnt vmcnt(0)
	v_clz_i32_u32_e32 v4, v1
	s_delay_alu instid0(VALU_DEP_1) | instskip(NEXT) | instid1(VALU_DEP_1)
	v_min_u32_e32 v4, 32, v4
	v_lshlrev_b64 v[0:1], v4, v[0:1]
	s_delay_alu instid0(VALU_DEP_1) | instskip(NEXT) | instid1(VALU_DEP_1)
	v_min_u32_e32 v0, 1, v0
	v_or_b32_e32 v0, v1, v0
	v_sub_nc_u32_e32 v1, 32, v4
	s_delay_alu instid0(VALU_DEP_2) | instskip(NEXT) | instid1(VALU_DEP_1)
	v_cvt_f32_u32_e32 v0, v0
	v_ldexp_f32 v0, v0, v1
	s_branch .LBB232_611
.LBB232_610:
	s_mov_b32 s18, -1
                                        ; implicit-def: $sgpr1
                                        ; implicit-def: $vgpr0
.LBB232_611:
	v_mov_b32_e32 v1, s1
.LBB232_612:
	s_mov_b32 s1, 0
.LBB232_613:
	s_delay_alu instid0(SALU_CYCLE_1)
	s_and_b32 vcc_lo, exec_lo, s1
	s_cbranch_vccz .LBB232_633
; %bb.614:
	v_cmp_gt_i16_e32 vcc_lo, 27, v13
	s_cbranch_vccnz .LBB232_617
; %bb.615:
	v_cmp_lt_i16_e32 vcc_lo, 27, v13
	s_cbranch_vccz .LBB232_618
; %bb.616:
	global_load_b32 v0, v[2:3], off
	s_mov_b32 s1, 0
	s_mov_b32 s0, 0
	s_waitcnt vmcnt(0)
	v_cvt_f32_u32_e32 v0, v0
	s_branch .LBB232_619
.LBB232_617:
	s_mov_b32 s1, -1
                                        ; implicit-def: $sgpr0
                                        ; implicit-def: $vgpr0
	s_branch .LBB232_622
.LBB232_618:
	s_mov_b32 s1, -1
                                        ; implicit-def: $sgpr0
                                        ; implicit-def: $vgpr0
.LBB232_619:
	s_delay_alu instid0(SALU_CYCLE_1)
	s_and_not1_b32 vcc_lo, exec_lo, s1
	s_cbranch_vccnz .LBB232_621
; %bb.620:
	global_load_u16 v0, v[2:3], off
	s_mov_b32 s0, 0
	s_waitcnt vmcnt(0)
	v_cvt_f32_u32_e32 v0, v0
.LBB232_621:
	s_mov_b32 s1, 0
.LBB232_622:
	v_mov_b32_e32 v1, s0
	s_and_not1_b32 vcc_lo, exec_lo, s1
	s_cbranch_vccnz .LBB232_632
; %bb.623:
	global_load_u8 v4, v[2:3], off
	s_mov_b32 s0, 0
	s_mov_b32 s20, exec_lo
                                        ; implicit-def: $sgpr19
                                        ; implicit-def: $sgpr1
	s_waitcnt vmcnt(0)
	v_cmpx_lt_i16_e32 0x7f, v4
	s_xor_b32 s20, exec_lo, s20
	s_cbranch_execz .LBB232_627
; %bb.624:
	s_mov_b32 s0, -1
	s_mov_b32 s21, exec_lo
                                        ; implicit-def: $sgpr19
                                        ; implicit-def: $sgpr1
	v_cmpx_eq_u16_e32 0x80, v4
; %bb.625:
	s_mov_b32 s1, 0x7f800001
	s_mov_b32 s19, 0
	s_xor_b32 s0, exec_lo, -1
; %bb.626:
	s_or_b32 exec_lo, exec_lo, s21
	s_delay_alu instid0(SALU_CYCLE_1)
	s_and_b32 s0, s0, exec_lo
.LBB232_627:
	s_or_saveexec_b32 s20, s20
	v_dual_mov_b32 v1, s19 :: v_dual_mov_b32 v0, s1
	s_xor_b32 exec_lo, exec_lo, s20
; %bb.628:
	v_cmp_ne_u16_e32 vcc_lo, 0, v4
	v_dual_mov_b32 v1, 0 :: v_dual_mov_b32 v0, 0
	s_and_not1_b32 s0, s0, exec_lo
	s_and_b32 s1, vcc_lo, exec_lo
	s_delay_alu instid0(SALU_CYCLE_1)
	s_or_b32 s0, s0, s1
; %bb.629:
	s_or_b32 exec_lo, exec_lo, s20
	s_and_saveexec_b32 s1, s0
	s_cbranch_execz .LBB232_631
; %bb.630:
	v_and_b32_e32 v0, 0xffff, v4
	v_lshlrev_b32_e32 v4, 24, v4
	s_delay_alu instid0(VALU_DEP_2) | instskip(NEXT) | instid1(VALU_DEP_2)
	v_and_b32_e32 v1, 7, v0
	v_and_b32_e32 v4, 0x80000000, v4
	s_delay_alu instid0(VALU_DEP_2) | instskip(NEXT) | instid1(VALU_DEP_1)
	v_clz_i32_u32_e32 v5, v1
	v_min_u32_e32 v5, 32, v5
	s_delay_alu instid0(VALU_DEP_1) | instskip(SKIP_1) | instid1(VALU_DEP_2)
	v_subrev_nc_u32_e32 v6, 28, v5
	v_sub_nc_u32_e32 v5, 29, v5
	v_lshlrev_b32_e32 v6, v6, v0
	v_bfe_u32 v0, v0, 3, 4
	s_delay_alu instid0(VALU_DEP_2) | instskip(NEXT) | instid1(VALU_DEP_2)
	v_and_b32_e32 v6, 7, v6
	v_cmp_eq_u32_e32 vcc_lo, 0, v0
	s_delay_alu instid0(VALU_DEP_2) | instskip(NEXT) | instid1(VALU_DEP_1)
	v_dual_cndmask_b32 v0, v0, v5 :: v_dual_cndmask_b32 v1, v1, v6
	v_lshl_add_u32 v0, v0, 23, 0x3b800000
	s_delay_alu instid0(VALU_DEP_2) | instskip(NEXT) | instid1(VALU_DEP_1)
	v_lshlrev_b32_e32 v1, 20, v1
	v_or3_b32 v0, v4, v0, v1
	v_mov_b32_e32 v1, 0
.LBB232_631:
	s_or_b32 exec_lo, exec_lo, s1
.LBB232_632:
	s_mov_b32 s0, -1
.LBB232_633:
	s_mov_b32 s1, 0
.LBB232_634:
	s_delay_alu instid0(SALU_CYCLE_1)
	s_and_b32 vcc_lo, exec_lo, s1
	s_cbranch_vccz .LBB232_668
; %bb.635:
	v_cmp_lt_i16_e32 vcc_lo, 22, v13
	s_cbranch_vccz .LBB232_647
; %bb.636:
	v_cmp_gt_i16_e32 vcc_lo, 24, v13
	s_cbranch_vccnz .LBB232_648
; %bb.637:
	v_cmp_lt_i16_e32 vcc_lo, 24, v13
	s_cbranch_vccz .LBB232_649
; %bb.638:
	global_load_u8 v4, v[2:3], off
	s_mov_b32 s0, 0
	s_mov_b32 s20, exec_lo
                                        ; implicit-def: $sgpr19
                                        ; implicit-def: $sgpr1
	s_waitcnt vmcnt(0)
	v_cmpx_lt_i16_e32 0x7f, v4
	s_xor_b32 s20, exec_lo, s20
	s_cbranch_execz .LBB232_642
; %bb.639:
	s_mov_b32 s0, -1
	s_mov_b32 s21, exec_lo
                                        ; implicit-def: $sgpr19
                                        ; implicit-def: $sgpr1
	v_cmpx_eq_u16_e32 0x80, v4
; %bb.640:
	s_mov_b32 s1, 0x7f800001
	s_mov_b32 s19, 0
	s_xor_b32 s0, exec_lo, -1
; %bb.641:
	s_or_b32 exec_lo, exec_lo, s21
	s_delay_alu instid0(SALU_CYCLE_1)
	s_and_b32 s0, s0, exec_lo
.LBB232_642:
	s_or_saveexec_b32 s20, s20
	v_dual_mov_b32 v1, s19 :: v_dual_mov_b32 v0, s1
	s_xor_b32 exec_lo, exec_lo, s20
; %bb.643:
	v_cmp_ne_u16_e32 vcc_lo, 0, v4
	v_dual_mov_b32 v1, 0 :: v_dual_mov_b32 v0, 0
	s_and_not1_b32 s0, s0, exec_lo
	s_and_b32 s1, vcc_lo, exec_lo
	s_delay_alu instid0(SALU_CYCLE_1)
	s_or_b32 s0, s0, s1
; %bb.644:
	s_or_b32 exec_lo, exec_lo, s20
	s_and_saveexec_b32 s1, s0
	s_cbranch_execz .LBB232_646
; %bb.645:
	v_and_b32_e32 v0, 0xffff, v4
	v_lshlrev_b32_e32 v4, 24, v4
	s_delay_alu instid0(VALU_DEP_2) | instskip(NEXT) | instid1(VALU_DEP_2)
	v_and_b32_e32 v1, 3, v0
	v_and_b32_e32 v4, 0x80000000, v4
	s_delay_alu instid0(VALU_DEP_2) | instskip(NEXT) | instid1(VALU_DEP_1)
	v_clz_i32_u32_e32 v5, v1
	v_min_u32_e32 v5, 32, v5
	s_delay_alu instid0(VALU_DEP_1) | instskip(SKIP_1) | instid1(VALU_DEP_2)
	v_subrev_nc_u32_e32 v6, 29, v5
	v_sub_nc_u32_e32 v5, 30, v5
	v_lshlrev_b32_e32 v6, v6, v0
	v_bfe_u32 v0, v0, 2, 5
	s_delay_alu instid0(VALU_DEP_2) | instskip(NEXT) | instid1(VALU_DEP_2)
	v_and_b32_e32 v6, 3, v6
	v_cmp_eq_u32_e32 vcc_lo, 0, v0
	s_delay_alu instid0(VALU_DEP_2) | instskip(NEXT) | instid1(VALU_DEP_1)
	v_dual_cndmask_b32 v0, v0, v5 :: v_dual_cndmask_b32 v1, v1, v6
	v_lshl_add_u32 v0, v0, 23, 0x37800000
	s_delay_alu instid0(VALU_DEP_2) | instskip(NEXT) | instid1(VALU_DEP_1)
	v_lshlrev_b32_e32 v1, 21, v1
	v_or3_b32 v0, v4, v0, v1
	v_mov_b32_e32 v1, 0
.LBB232_646:
	s_or_b32 exec_lo, exec_lo, s1
	s_mov_b32 s0, 0
	s_branch .LBB232_650
.LBB232_647:
	s_mov_b32 s1, -1
                                        ; implicit-def: $vgpr1
	s_branch .LBB232_656
.LBB232_648:
	s_mov_b32 s0, -1
                                        ; implicit-def: $vgpr1
	s_branch .LBB232_653
.LBB232_649:
	s_mov_b32 s0, -1
                                        ; implicit-def: $vgpr1
.LBB232_650:
	s_delay_alu instid0(SALU_CYCLE_1)
	s_and_b32 vcc_lo, exec_lo, s0
	s_cbranch_vccz .LBB232_652
; %bb.651:
	global_load_u8 v0, v[2:3], off
	s_waitcnt vmcnt(0)
	v_lshlrev_b32_e32 v0, 24, v0
	s_delay_alu instid0(VALU_DEP_1) | instskip(NEXT) | instid1(VALU_DEP_1)
	v_and_b32_e32 v1, 0x7f000000, v0
	v_clz_i32_u32_e32 v4, v1
	v_cmp_ne_u32_e32 vcc_lo, 0, v1
	v_add_nc_u32_e32 v6, 0x1000000, v1
	s_delay_alu instid0(VALU_DEP_3) | instskip(NEXT) | instid1(VALU_DEP_1)
	v_min_u32_e32 v4, 32, v4
	v_sub_nc_u32_e64 v4, v4, 4 clamp
	s_delay_alu instid0(VALU_DEP_1) | instskip(SKIP_1) | instid1(VALU_DEP_2)
	v_lshlrev_b32_e32 v5, v4, v1
	v_lshlrev_b32_e32 v4, 23, v4
	v_lshrrev_b32_e32 v5, 4, v5
	s_delay_alu instid0(VALU_DEP_1) | instskip(SKIP_1) | instid1(VALU_DEP_2)
	v_sub_nc_u32_e32 v4, v5, v4
	v_ashrrev_i32_e32 v5, 8, v6
	v_add_nc_u32_e32 v4, 0x3c000000, v4
	s_delay_alu instid0(VALU_DEP_1) | instskip(NEXT) | instid1(VALU_DEP_1)
	v_and_or_b32 v4, 0x7f800000, v5, v4
	v_cndmask_b32_e32 v1, 0, v4, vcc_lo
	s_delay_alu instid0(VALU_DEP_1)
	v_and_or_b32 v0, 0x80000000, v0, v1
	v_mov_b32_e32 v1, 0
.LBB232_652:
	s_mov_b32 s0, 0
.LBB232_653:
	s_delay_alu instid0(SALU_CYCLE_1)
	s_and_not1_b32 vcc_lo, exec_lo, s0
	s_cbranch_vccnz .LBB232_655
; %bb.654:
	global_load_u8 v0, v[2:3], off
	s_waitcnt vmcnt(0)
	v_lshlrev_b32_e32 v1, 25, v0
	v_lshlrev_b16 v0, 8, v0
	s_delay_alu instid0(VALU_DEP_2) | instskip(NEXT) | instid1(VALU_DEP_2)
	v_lshrrev_b32_e32 v4, 4, v1
	v_and_or_b32 v5, 0x7f00, v0, 0.5
	v_cmp_gt_u32_e32 vcc_lo, 0x8000000, v1
	v_bfe_i32 v0, v0, 0, 16
	s_delay_alu instid0(VALU_DEP_4) | instskip(NEXT) | instid1(VALU_DEP_1)
	v_or_b32_e32 v4, 0x70000000, v4
	v_dual_add_f32 v5, -0.5, v5 :: v_dual_mul_f32 v4, 0x7800000, v4
	s_delay_alu instid0(VALU_DEP_1) | instskip(NEXT) | instid1(VALU_DEP_1)
	v_cndmask_b32_e32 v1, v4, v5, vcc_lo
	v_and_or_b32 v0, 0x80000000, v0, v1
	v_mov_b32_e32 v1, 0
.LBB232_655:
	s_mov_b32 s1, 0
	s_mov_b32 s0, -1
.LBB232_656:
	s_and_not1_b32 vcc_lo, exec_lo, s1
	s_cbranch_vccnz .LBB232_668
; %bb.657:
	v_cmp_lt_i16_e32 vcc_lo, 14, v13
	s_cbranch_vccz .LBB232_660
; %bb.658:
	v_cmp_eq_u16_e32 vcc_lo, 15, v13
	s_cbranch_vccz .LBB232_661
; %bb.659:
	global_load_u16 v0, v[2:3], off
	s_mov_b32 s0, -1
	s_mov_b32 s18, 0
	s_mov_b32 s1, 0
	s_waitcnt vmcnt(0)
	v_lshlrev_b32_e32 v0, 16, v0
	s_branch .LBB232_662
.LBB232_660:
	s_mov_b32 s19, -1
                                        ; implicit-def: $sgpr1
                                        ; implicit-def: $vgpr0
	s_branch .LBB232_663
.LBB232_661:
	s_mov_b32 s18, -1
                                        ; implicit-def: $sgpr1
                                        ; implicit-def: $vgpr0
.LBB232_662:
	s_mov_b32 s19, 0
.LBB232_663:
	s_delay_alu instid0(SALU_CYCLE_1)
	s_and_b32 vcc_lo, exec_lo, s19
	s_cbranch_vccz .LBB232_667
; %bb.664:
	v_cmp_eq_u16_e32 vcc_lo, 11, v13
	s_cbranch_vccz .LBB232_666
; %bb.665:
	global_load_u8 v0, v[2:3], off
	s_mov_b32 s1, 0
	s_mov_b32 s0, -1
	s_mov_b32 s18, 0
	s_waitcnt vmcnt(0)
	v_cmp_ne_u16_e32 vcc_lo, 0, v0
	v_cndmask_b32_e64 v0, 0, 1.0, vcc_lo
	s_branch .LBB232_667
.LBB232_666:
	s_mov_b32 s18, -1
                                        ; implicit-def: $sgpr1
                                        ; implicit-def: $vgpr0
.LBB232_667:
	v_mov_b32_e32 v1, s1
.LBB232_668:
	s_mov_b32 s1, 0
.LBB232_669:
	s_delay_alu instid0(SALU_CYCLE_1)
	s_and_b32 vcc_lo, exec_lo, s1
	s_cbranch_vccz .LBB232_720
; %bb.670:
	v_cmp_gt_i16_e32 vcc_lo, 5, v13
	s_cbranch_vccnz .LBB232_675
; %bb.671:
	v_cmp_gt_i16_e32 vcc_lo, 8, v13
	s_cbranch_vccnz .LBB232_676
	;; [unrolled: 3-line block ×3, first 2 shown]
; %bb.673:
	v_cmp_lt_i16_e32 vcc_lo, 9, v13
	s_cbranch_vccz .LBB232_678
; %bb.674:
	global_load_b128 v[4:7], v[2:3], off
	s_mov_b32 s0, 0
	s_waitcnt vmcnt(0)
	v_cvt_f32_f64_e32 v0, v[4:5]
	v_cvt_f32_f64_e32 v1, v[6:7]
	s_branch .LBB232_679
.LBB232_675:
	s_mov_b32 s0, -1
                                        ; implicit-def: $vgpr1
	s_branch .LBB232_698
.LBB232_676:
	s_mov_b32 s0, -1
                                        ; implicit-def: $vgpr1
	s_branch .LBB232_685
.LBB232_677:
	s_mov_b32 s0, -1
                                        ; implicit-def: $vgpr1
	s_branch .LBB232_682
.LBB232_678:
	s_mov_b32 s0, -1
                                        ; implicit-def: $vgpr1
.LBB232_679:
	s_delay_alu instid0(SALU_CYCLE_1)
	s_and_not1_b32 vcc_lo, exec_lo, s0
	s_cbranch_vccnz .LBB232_681
; %bb.680:
	global_load_b64 v[0:1], v[2:3], off
.LBB232_681:
	s_mov_b32 s0, 0
.LBB232_682:
	s_delay_alu instid0(SALU_CYCLE_1)
	s_and_not1_b32 vcc_lo, exec_lo, s0
	s_cbranch_vccnz .LBB232_684
; %bb.683:
	global_load_b32 v0, v[2:3], off
	s_waitcnt vmcnt(0)
	v_lshrrev_b32_e32 v1, 16, v0
	v_cvt_f32_f16_e32 v0, v0
	s_delay_alu instid0(VALU_DEP_2)
	v_cvt_f32_f16_e32 v1, v1
.LBB232_684:
	s_mov_b32 s0, 0
.LBB232_685:
	s_delay_alu instid0(SALU_CYCLE_1)
	s_and_not1_b32 vcc_lo, exec_lo, s0
	s_cbranch_vccnz .LBB232_697
; %bb.686:
	v_cmp_gt_i16_e32 vcc_lo, 6, v13
	s_cbranch_vccnz .LBB232_689
; %bb.687:
	v_cmp_lt_i16_e32 vcc_lo, 6, v13
	s_cbranch_vccz .LBB232_690
; %bb.688:
	global_load_b64 v[0:1], v[2:3], off
	s_mov_b32 s1, 0
	s_mov_b32 s0, 0
	s_waitcnt vmcnt(0)
	v_cvt_f32_f64_e32 v0, v[0:1]
	s_branch .LBB232_691
.LBB232_689:
	s_mov_b32 s1, -1
                                        ; implicit-def: $sgpr0
                                        ; implicit-def: $vgpr0
	s_branch .LBB232_694
.LBB232_690:
	s_mov_b32 s1, -1
                                        ; implicit-def: $sgpr0
                                        ; implicit-def: $vgpr0
.LBB232_691:
	s_delay_alu instid0(SALU_CYCLE_1)
	s_and_not1_b32 vcc_lo, exec_lo, s1
	s_cbranch_vccnz .LBB232_693
; %bb.692:
	global_load_b32 v0, v[2:3], off
	s_mov_b32 s0, 0
.LBB232_693:
	s_mov_b32 s1, 0
.LBB232_694:
	s_delay_alu instid0(SALU_CYCLE_1)
	s_and_not1_b32 vcc_lo, exec_lo, s1
	s_cbranch_vccnz .LBB232_696
; %bb.695:
	global_load_u16 v0, v[2:3], off
	s_mov_b32 s0, 0
	s_waitcnt vmcnt(0)
	v_cvt_f32_f16_e32 v0, v0
.LBB232_696:
	s_waitcnt vmcnt(0)
	v_mov_b32_e32 v1, s0
.LBB232_697:
	s_mov_b32 s0, 0
.LBB232_698:
	s_delay_alu instid0(SALU_CYCLE_1)
	s_and_not1_b32 vcc_lo, exec_lo, s0
	s_cbranch_vccnz .LBB232_719
; %bb.699:
	v_cmp_gt_i16_e32 vcc_lo, 2, v13
	s_cbranch_vccnz .LBB232_703
; %bb.700:
	v_cmp_gt_i16_e32 vcc_lo, 3, v13
	s_cbranch_vccnz .LBB232_704
; %bb.701:
	v_cmp_lt_i16_e32 vcc_lo, 3, v13
	s_cbranch_vccz .LBB232_705
; %bb.702:
	global_load_b64 v[0:1], v[2:3], off
	s_mov_b32 s1, 0
	s_mov_b32 s0, 0
	s_waitcnt vmcnt(0)
	v_xor_b32_e32 v4, v0, v1
	v_cls_i32_e32 v5, v1
	s_delay_alu instid0(VALU_DEP_2) | instskip(NEXT) | instid1(VALU_DEP_2)
	v_ashrrev_i32_e32 v4, 31, v4
	v_add_nc_u32_e32 v5, -1, v5
	s_delay_alu instid0(VALU_DEP_2) | instskip(NEXT) | instid1(VALU_DEP_1)
	v_add_nc_u32_e32 v4, 32, v4
	v_min_u32_e32 v4, v5, v4
	s_delay_alu instid0(VALU_DEP_1) | instskip(NEXT) | instid1(VALU_DEP_1)
	v_lshlrev_b64 v[0:1], v4, v[0:1]
	v_min_u32_e32 v0, 1, v0
	s_delay_alu instid0(VALU_DEP_1) | instskip(SKIP_1) | instid1(VALU_DEP_2)
	v_or_b32_e32 v0, v1, v0
	v_sub_nc_u32_e32 v1, 32, v4
	v_cvt_f32_i32_e32 v0, v0
	s_delay_alu instid0(VALU_DEP_1)
	v_ldexp_f32 v0, v0, v1
	s_branch .LBB232_706
.LBB232_703:
	s_mov_b32 s1, -1
                                        ; implicit-def: $sgpr0
                                        ; implicit-def: $vgpr0
	s_branch .LBB232_712
.LBB232_704:
	s_mov_b32 s1, -1
                                        ; implicit-def: $sgpr0
                                        ; implicit-def: $vgpr0
	s_branch .LBB232_709
.LBB232_705:
	s_mov_b32 s1, -1
                                        ; implicit-def: $sgpr0
                                        ; implicit-def: $vgpr0
.LBB232_706:
	s_delay_alu instid0(SALU_CYCLE_1)
	s_and_not1_b32 vcc_lo, exec_lo, s1
	s_cbranch_vccnz .LBB232_708
; %bb.707:
	global_load_b32 v0, v[2:3], off
	s_mov_b32 s0, 0
	s_waitcnt vmcnt(0)
	v_cvt_f32_i32_e32 v0, v0
.LBB232_708:
	s_mov_b32 s1, 0
.LBB232_709:
	s_delay_alu instid0(SALU_CYCLE_1)
	s_and_not1_b32 vcc_lo, exec_lo, s1
	s_cbranch_vccnz .LBB232_711
; %bb.710:
	global_load_i16 v0, v[2:3], off
	s_mov_b32 s0, 0
	s_waitcnt vmcnt(0)
	v_cvt_f32_i32_e32 v0, v0
.LBB232_711:
	s_mov_b32 s1, 0
.LBB232_712:
	s_delay_alu instid0(SALU_CYCLE_1)
	s_and_not1_b32 vcc_lo, exec_lo, s1
	s_cbranch_vccnz .LBB232_718
; %bb.713:
	v_cmp_lt_i16_e32 vcc_lo, 0, v13
	s_mov_b32 s1, 0
	s_cbranch_vccz .LBB232_715
; %bb.714:
	global_load_i8 v0, v[2:3], off
	s_mov_b32 s0, 0
	s_waitcnt vmcnt(0)
	v_cvt_f32_i32_e32 v0, v0
	s_branch .LBB232_716
.LBB232_715:
	s_mov_b32 s1, -1
                                        ; implicit-def: $sgpr0
                                        ; implicit-def: $vgpr0
.LBB232_716:
	s_delay_alu instid0(SALU_CYCLE_1)
	s_and_not1_b32 vcc_lo, exec_lo, s1
	s_cbranch_vccnz .LBB232_718
; %bb.717:
	global_load_u8 v0, v[2:3], off
	s_mov_b32 s0, 0
	s_waitcnt vmcnt(0)
	v_cvt_f32_ubyte0_e32 v0, v0
.LBB232_718:
	s_waitcnt vmcnt(0)
	v_mov_b32_e32 v1, s0
.LBB232_719:
	s_mov_b32 s0, -1
.LBB232_720:
	s_delay_alu instid0(SALU_CYCLE_1)
	s_and_not1_b32 vcc_lo, exec_lo, s0
	s_cbranch_vccnz .LBB232_733
; %bb.721:
	s_waitcnt vmcnt(0)
	s_delay_alu instid0(VALU_DEP_2) | instskip(NEXT) | instid1(VALU_DEP_2)
	v_cmp_neq_f32_e32 vcc_lo, 0, v0
	v_cmp_neq_f32_e64 s0, 0, v1
	v_mov_b32_e32 v2, 0
	s_delay_alu instid0(VALU_DEP_2) | instskip(NEXT) | instid1(SALU_CYCLE_1)
	s_or_b32 s0, vcc_lo, s0
	s_and_saveexec_b32 s19, s0
	s_cbranch_execz .LBB232_752
; %bb.722:
	v_mov_b32_e32 v2, 0x7f800000
	s_mov_b32 s20, exec_lo
	v_cmpx_neq_f32_e64 0x7f800000, |v1|
	s_cbranch_execz .LBB232_751
; %bb.723:
	s_mov_b32 s0, exec_lo
	v_cmpx_o_f32_e32 v0, v0
	s_xor_b32 s21, exec_lo, s0
	s_cbranch_execz .LBB232_748
; %bb.724:
	s_mov_b32 s1, exec_lo
	v_cmpx_neq_f32_e64 0x7f800000, |v0|
	s_xor_b32 s22, exec_lo, s1
	s_cbranch_execz .LBB232_741
; %bb.725:
	v_max_f32_e64 v2, |v1|, |v1|
	v_max_f32_e64 v3, |v0|, |v0|
                                        ; implicit-def: $sgpr23
	s_delay_alu instid0(VALU_DEP_1) | instskip(NEXT) | instid1(VALU_DEP_1)
	v_max_f32_e32 v2, v3, v2
	v_cmp_nle_f32_e64 s0, 0x7ed413cb, v2
	s_delay_alu instid0(VALU_DEP_1) | instskip(NEXT) | instid1(SALU_CYCLE_1)
	s_and_saveexec_b32 s1, s0
	s_xor_b32 s1, exec_lo, s1
	s_cbranch_execz .LBB232_729
; %bb.726:
	v_cmp_ge_f32_e64 s23, 0x1000000, |v0|
	v_cmp_ge_f32_e64 s24, 0x1000000, |v1|
	s_delay_alu instid0(VALU_DEP_1)
	s_and_b32 s25, s23, s24
	s_mov_b32 s23, 0
	s_and_saveexec_b32 s24, s25
; %bb.727:
	v_dual_mul_f32 v0, 4.0, v0 :: v_dual_mul_f32 v1, 4.0, v1
	s_mov_b32 s23, exec_lo
; %bb.728:
	s_or_b32 exec_lo, exec_lo, s24
	s_delay_alu instid0(SALU_CYCLE_1)
	s_and_b32 s23, s23, exec_lo
.LBB232_729:
	s_and_not1_saveexec_b32 s1, s1
; %bb.730:
	v_dual_mul_f32 v0, 0x3e800000, v0 :: v_dual_mul_f32 v1, 0x3e800000, v1
	s_and_not1_b32 s23, s23, exec_lo
; %bb.731:
	s_or_b32 exec_lo, exec_lo, s1
	s_delay_alu instid0(VALU_DEP_1) | instskip(NEXT) | instid1(VALU_DEP_2)
	v_max_f32_e64 v2, |v1|, |v1|
	v_max_f32_e64 v3, |v0|, |v0|
	s_delay_alu instid0(VALU_DEP_1) | instskip(NEXT) | instid1(VALU_DEP_1)
	v_max_f32_e32 v4, v3, v2
	v_cvt_f64_f32_e32 v[2:3], v4
	s_delay_alu instid0(VALU_DEP_1) | instskip(NEXT) | instid1(VALU_DEP_1)
	v_frexp_exp_i32_f64_e32 v2, v[2:3]
	v_sub_nc_u32_e32 v3, 0, v2
	s_delay_alu instid0(VALU_DEP_1) | instskip(SKIP_1) | instid1(VALU_DEP_2)
	v_ldexp_f32 v5, |v1|, v3
	v_ldexp_f32 v3, |v0|, v3
	v_mul_f32_e32 v5, v5, v5
	v_cmp_neq_f32_e64 s1, 0x7f800000, v4
	s_delay_alu instid0(VALU_DEP_2) | instskip(NEXT) | instid1(VALU_DEP_1)
	v_fmac_f32_e32 v5, v3, v3
	v_sqrt_f32_e32 v3, v5
	s_waitcnt_depctr 0xfff
	v_ldexp_f32 v2, v3, v2
                                        ; implicit-def: $vgpr3
	s_delay_alu instid0(VALU_DEP_1)
	v_cndmask_b32_e64 v4, 0x7f800000, v2, s1
                                        ; implicit-def: $vgpr2
	s_mov_b32 s1, exec_lo
	v_cmpx_le_f32_e32 0, v0
	s_xor_b32 s24, exec_lo, s1
	s_cbranch_execz .LBB232_734
; %bb.732:
	v_add_f32_e32 v0, v0, v4
	s_delay_alu instid0(VALU_DEP_1) | instskip(NEXT) | instid1(VALU_DEP_1)
	v_mul_f32_e32 v0, 0.5, v0
	v_mul_f32_e32 v2, 0x4f800000, v0
	v_cmp_gt_f32_e32 vcc_lo, 0xf800000, v0
	s_delay_alu instid0(VALU_DEP_2) | instskip(NEXT) | instid1(VALU_DEP_1)
	v_cndmask_b32_e32 v0, v0, v2, vcc_lo
	v_sqrt_f32_e32 v2, v0
	s_waitcnt_depctr 0xfff
	v_add_nc_u32_e32 v3, -1, v2
	v_add_nc_u32_e32 v4, 1, v2
	s_delay_alu instid0(VALU_DEP_2) | instskip(NEXT) | instid1(VALU_DEP_2)
	v_fma_f32 v5, -v3, v2, v0
	v_fma_f32 v6, -v4, v2, v0
	s_delay_alu instid0(VALU_DEP_2) | instskip(NEXT) | instid1(VALU_DEP_1)
	v_cmp_ge_f32_e64 s1, 0, v5
	v_cndmask_b32_e64 v2, v2, v3, s1
	s_delay_alu instid0(VALU_DEP_3) | instskip(NEXT) | instid1(VALU_DEP_1)
	v_cmp_lt_f32_e64 s1, 0, v6
	v_cndmask_b32_e64 v2, v2, v4, s1
	s_delay_alu instid0(VALU_DEP_1) | instskip(NEXT) | instid1(VALU_DEP_1)
	v_mul_f32_e32 v3, 0x37800000, v2
	v_cndmask_b32_e32 v2, v2, v3, vcc_lo
	v_cmp_class_f32_e64 vcc_lo, v0, 0x260
	s_delay_alu instid0(VALU_DEP_2) | instskip(NEXT) | instid1(VALU_DEP_1)
	v_cndmask_b32_e32 v2, v2, v0, vcc_lo
	v_add_f32_e32 v0, v2, v2
	s_delay_alu instid0(VALU_DEP_1) | instskip(NEXT) | instid1(VALU_DEP_1)
	v_div_scale_f32 v3, null, v0, v0, v1
	v_rcp_f32_e32 v4, v3
	s_waitcnt_depctr 0xfff
	v_fma_f32 v5, -v3, v4, 1.0
	s_delay_alu instid0(VALU_DEP_1) | instskip(SKIP_1) | instid1(VALU_DEP_1)
	v_fmac_f32_e32 v4, v5, v4
	v_div_scale_f32 v5, vcc_lo, v1, v0, v1
	v_mul_f32_e32 v6, v5, v4
	s_delay_alu instid0(VALU_DEP_1) | instskip(NEXT) | instid1(VALU_DEP_1)
	v_fma_f32 v7, -v3, v6, v5
	v_fmac_f32_e32 v6, v7, v4
	s_delay_alu instid0(VALU_DEP_1) | instskip(NEXT) | instid1(VALU_DEP_1)
	v_fma_f32 v3, -v3, v6, v5
	v_div_fmas_f32 v3, v3, v4, v6
                                        ; implicit-def: $vgpr4
	s_delay_alu instid0(VALU_DEP_1)
	v_div_fixup_f32 v3, v3, v0, v1
                                        ; implicit-def: $vgpr0
	s_and_not1_saveexec_b32 s24, s24
	s_cbranch_execz .LBB232_736
	s_branch .LBB232_735
.LBB232_733:
	s_mov_b32 s19, 0
	s_mov_b32 s0, s15
	s_branch .LBB232_875
.LBB232_734:
	s_and_not1_saveexec_b32 s24, s24
	s_cbranch_execz .LBB232_736
.LBB232_735:
	v_sub_f32_e32 v0, v4, v0
	s_delay_alu instid0(VALU_DEP_1) | instskip(NEXT) | instid1(VALU_DEP_1)
	v_mul_f32_e32 v0, 0.5, v0
	v_mul_f32_e32 v2, 0x4f800000, v0
	v_cmp_gt_f32_e32 vcc_lo, 0xf800000, v0
	s_delay_alu instid0(VALU_DEP_2) | instskip(NEXT) | instid1(VALU_DEP_1)
	v_cndmask_b32_e32 v0, v0, v2, vcc_lo
	v_sqrt_f32_e32 v2, v0
	s_waitcnt_depctr 0xfff
	v_add_nc_u32_e32 v3, -1, v2
	v_add_nc_u32_e32 v4, 1, v2
	s_delay_alu instid0(VALU_DEP_2) | instskip(NEXT) | instid1(VALU_DEP_2)
	v_fma_f32 v5, -v3, v2, v0
	v_fma_f32 v6, -v4, v2, v0
	s_delay_alu instid0(VALU_DEP_2) | instskip(NEXT) | instid1(VALU_DEP_1)
	v_cmp_ge_f32_e64 s1, 0, v5
	v_cndmask_b32_e64 v2, v2, v3, s1
	s_delay_alu instid0(VALU_DEP_3) | instskip(NEXT) | instid1(VALU_DEP_1)
	v_cmp_lt_f32_e64 s1, 0, v6
	v_cndmask_b32_e64 v2, v2, v4, s1
	s_delay_alu instid0(VALU_DEP_1) | instskip(NEXT) | instid1(VALU_DEP_1)
	v_mul_f32_e32 v3, 0x37800000, v2
	v_cndmask_b32_e32 v2, v2, v3, vcc_lo
	v_cmp_class_f32_e64 vcc_lo, v0, 0x260
	s_delay_alu instid0(VALU_DEP_2) | instskip(NEXT) | instid1(VALU_DEP_1)
	v_cndmask_b32_e32 v0, v2, v0, vcc_lo
	v_dual_add_f32 v3, v0, v0 :: v_dual_and_b32 v2, 0x7fffffff, v1
	s_delay_alu instid0(VALU_DEP_1) | instskip(SKIP_1) | instid1(VALU_DEP_2)
	v_div_scale_f32 v4, null, v3, v3, v2
	v_div_scale_f32 v2, vcc_lo, v2, v3, v2
	v_rcp_f32_e32 v5, v4
	s_waitcnt_depctr 0xfff
	v_fma_f32 v6, -v4, v5, 1.0
	s_delay_alu instid0(VALU_DEP_1) | instskip(NEXT) | instid1(VALU_DEP_1)
	v_fmac_f32_e32 v5, v6, v5
	v_mul_f32_e32 v6, v2, v5
	s_delay_alu instid0(VALU_DEP_1) | instskip(NEXT) | instid1(VALU_DEP_1)
	v_fma_f32 v7, -v4, v6, v2
	v_fmac_f32_e32 v6, v7, v5
	s_delay_alu instid0(VALU_DEP_1) | instskip(NEXT) | instid1(VALU_DEP_1)
	v_fma_f32 v2, -v4, v6, v2
	v_div_fmas_f32 v2, v2, v5, v6
	s_delay_alu instid0(VALU_DEP_1)
	v_div_fixup_f32 v2, v2, v3, |v1|
	v_bfi_b32 v3, 0x7fffffff, v0, v1
.LBB232_736:
	s_or_b32 exec_lo, exec_lo, s24
                                        ; implicit-def: $vgpr1
	s_and_saveexec_b32 s1, s0
	s_delay_alu instid0(SALU_CYCLE_1)
	s_xor_b32 s0, exec_lo, s1
	s_cbranch_execz .LBB232_738
; %bb.737:
	v_dual_mul_f32 v0, 0.5, v2 :: v_dual_mul_f32 v1, 0.5, v3
	s_delay_alu instid0(VALU_DEP_1) | instskip(NEXT) | instid1(VALU_DEP_2)
	v_cndmask_b32_e64 v0, v2, v0, s23
	v_cndmask_b32_e64 v1, v3, v1, s23
                                        ; implicit-def: $vgpr2
                                        ; implicit-def: $vgpr3
	s_and_not1_saveexec_b32 s0, s0
	s_cbranch_execnz .LBB232_739
	s_branch .LBB232_740
.LBB232_738:
	s_and_not1_saveexec_b32 s0, s0
.LBB232_739:
	v_dual_add_f32 v0, v2, v2 :: v_dual_add_f32 v1, v3, v3
.LBB232_740:
	s_or_b32 exec_lo, exec_lo, s0
.LBB232_741:
	s_and_not1_saveexec_b32 s0, s22
	s_cbranch_execz .LBB232_747
; %bb.742:
	s_delay_alu instid0(VALU_DEP_1)
	v_sub_f32_e32 v2, v1, v1
	s_mov_b32 s1, exec_lo
	v_cmpx_lt_i32_e32 -1, v0
	s_xor_b32 s1, exec_lo, s1
; %bb.743:
	s_delay_alu instid0(VALU_DEP_2)
	v_bfi_b32 v1, 0x7fffffff, v2, v1
                                        ; implicit-def: $vgpr2
; %bb.744:
	s_and_not1_saveexec_b32 s1, s1
; %bb.745:
	v_and_b32_e32 v2, 0x7fffffff, v2
	s_delay_alu instid0(VALU_DEP_2) | instskip(NEXT) | instid1(VALU_DEP_2)
	v_bfi_b32 v1, 0x7fffffff, v0, v1
	v_mov_b32_e32 v0, v2
; %bb.746:
	s_or_b32 exec_lo, exec_lo, s1
.LBB232_747:
	s_delay_alu instid0(SALU_CYCLE_1)
	s_or_b32 exec_lo, exec_lo, s0
.LBB232_748:
	s_and_not1_saveexec_b32 s0, s21
; %bb.749:
	v_sub_f32_e32 v1, v1, v1
	s_delay_alu instid0(VALU_DEP_1) | instskip(NEXT) | instid1(VALU_DEP_1)
	v_div_scale_f32 v2, vcc_lo, v1, v1, v1
	v_rcp_f32_e32 v3, v2
	s_waitcnt_depctr 0xfff
	v_fma_f32 v4, -v2, v3, 1.0
	s_delay_alu instid0(VALU_DEP_1) | instskip(NEXT) | instid1(VALU_DEP_1)
	v_fmac_f32_e32 v3, v4, v3
	v_mul_f32_e32 v4, v2, v3
	s_delay_alu instid0(VALU_DEP_1) | instskip(NEXT) | instid1(VALU_DEP_1)
	v_fma_f32 v5, -v2, v4, v2
	v_fmac_f32_e32 v4, v5, v3
	s_delay_alu instid0(VALU_DEP_1) | instskip(NEXT) | instid1(VALU_DEP_1)
	v_fma_f32 v2, -v2, v4, v2
	v_div_fmas_f32 v2, v2, v3, v4
	s_delay_alu instid0(VALU_DEP_1)
	v_div_fixup_f32 v1, v2, v1, v1
; %bb.750:
	s_or_b32 exec_lo, exec_lo, s0
	v_mov_b32_e32 v2, v0
.LBB232_751:
	s_or_b32 exec_lo, exec_lo, s20
.LBB232_752:
	s_delay_alu instid0(SALU_CYCLE_1) | instskip(SKIP_2) | instid1(VALU_DEP_1)
	s_or_b32 exec_lo, exec_lo, s19
	v_mul_lo_u32 v3, v12, s2
	v_and_b32_e32 v0, 0xff, v11
	v_cmp_gt_i16_e32 vcc_lo, 11, v0
	s_delay_alu instid0(VALU_DEP_3) | instskip(SKIP_1) | instid1(VALU_DEP_1)
	v_ashrrev_i32_e32 v5, 31, v3
	v_add_co_u32 v4, s0, s4, v3
	v_add_co_ci_u32_e64 v5, s0, s5, v5, s0
	s_cbranch_vccnz .LBB232_759
; %bb.753:
	v_cmp_lt_i16_e32 vcc_lo, 25, v0
	s_cbranch_vccz .LBB232_760
; %bb.754:
	v_cmp_lt_i16_e32 vcc_lo, 28, v0
	s_cbranch_vccz .LBB232_761
	;; [unrolled: 3-line block ×4, first 2 shown]
; %bb.757:
	v_cmp_eq_u16_e32 vcc_lo, 46, v0
	s_mov_b32 s19, 0
	s_mov_b32 s0, -1
	s_mov_b32 s1, 0
	s_cbranch_vccz .LBB232_764
; %bb.758:
	v_bfe_u32 v3, v1, 16, 1
	v_bfe_u32 v6, v2, 16, 1
	v_cmp_o_f32_e32 vcc_lo, v1, v1
	s_mov_b32 s1, -1
	s_mov_b32 s0, 0
	v_add3_u32 v3, v1, v3, 0x7fff
	v_add3_u32 v6, v2, v6, 0x7fff
	s_delay_alu instid0(VALU_DEP_2) | instskip(NEXT) | instid1(VALU_DEP_2)
	v_and_b32_e32 v3, 0xffff0000, v3
	v_lshrrev_b32_e32 v6, 16, v6
	s_delay_alu instid0(VALU_DEP_2) | instskip(SKIP_1) | instid1(VALU_DEP_3)
	v_cndmask_b32_e32 v3, 0x7fc00000, v3, vcc_lo
	v_cmp_o_f32_e32 vcc_lo, v2, v2
	v_cndmask_b32_e32 v6, 0x7fc0, v6, vcc_lo
	s_delay_alu instid0(VALU_DEP_1)
	v_or_b32_e32 v3, v3, v6
	global_store_b32 v[4:5], v3, off
	s_branch .LBB232_764
.LBB232_759:
	s_mov_b32 s19, -1
	s_mov_b32 s1, 0
	s_mov_b32 s0, s15
	s_branch .LBB232_833
.LBB232_760:
	s_mov_b32 s19, -1
	s_mov_b32 s1, 0
	s_mov_b32 s0, s15
	s_branch .LBB232_791
.LBB232_761:
	s_mov_b32 s19, -1
	s_mov_b32 s1, 0
	s_mov_b32 s0, s15
	s_branch .LBB232_774
.LBB232_762:
	s_mov_b32 s19, -1
	s_mov_b32 s1, 0
	s_mov_b32 s0, s15
	s_branch .LBB232_770
.LBB232_763:
	s_mov_b32 s19, -1
	s_mov_b32 s1, 0
	s_mov_b32 s0, s15
.LBB232_764:
	s_and_b32 vcc_lo, exec_lo, s19
	s_cbranch_vccz .LBB232_769
; %bb.765:
	v_cmp_eq_u16_e32 vcc_lo, 44, v0
	s_mov_b32 s0, -1
	s_cbranch_vccz .LBB232_769
; %bb.766:
	v_bfe_u32 v6, v2, 23, 8
	v_mov_b32_e32 v3, 0xff
	s_mov_b32 s1, exec_lo
	s_delay_alu instid0(VALU_DEP_2)
	v_cmpx_ne_u32_e32 0xff, v6
; %bb.767:
	v_and_b32_e32 v3, 0x400000, v2
	v_and_or_b32 v6, 0x3fffff, v2, v6
	s_delay_alu instid0(VALU_DEP_2) | instskip(NEXT) | instid1(VALU_DEP_2)
	v_cmp_ne_u32_e32 vcc_lo, 0, v3
	v_cmp_ne_u32_e64 s0, 0, v6
	v_lshrrev_b32_e32 v3, 23, v2
	s_delay_alu instid0(VALU_DEP_2) | instskip(NEXT) | instid1(SALU_CYCLE_1)
	s_and_b32 s0, vcc_lo, s0
	v_cndmask_b32_e64 v6, 0, 1, s0
	s_delay_alu instid0(VALU_DEP_1)
	v_add_nc_u32_e32 v3, v3, v6
; %bb.768:
	s_or_b32 exec_lo, exec_lo, s1
	s_mov_b32 s1, -1
	s_mov_b32 s0, 0
	global_store_b8 v[4:5], v3, off
.LBB232_769:
	s_mov_b32 s19, 0
.LBB232_770:
	s_delay_alu instid0(SALU_CYCLE_1)
	s_and_b32 vcc_lo, exec_lo, s19
	s_cbranch_vccz .LBB232_773
; %bb.771:
	v_cmp_eq_u16_e32 vcc_lo, 29, v0
	s_mov_b32 s0, -1
	s_cbranch_vccz .LBB232_773
; %bb.772:
	v_trunc_f32_e32 v3, v2
	s_mov_b32 s1, -1
	s_mov_b32 s0, 0
	s_mov_b32 s19, 0
	s_delay_alu instid0(VALU_DEP_1) | instskip(NEXT) | instid1(VALU_DEP_1)
	v_mul_f32_e32 v6, 0x2f800000, v3
	v_floor_f32_e32 v6, v6
	s_delay_alu instid0(VALU_DEP_1) | instskip(SKIP_1) | instid1(VALU_DEP_2)
	v_fmamk_f32 v3, v6, 0xcf800000, v3
	v_cvt_u32_f32_e32 v7, v6
	v_cvt_u32_f32_e32 v6, v3
	global_store_b64 v[4:5], v[6:7], off
	s_branch .LBB232_774
.LBB232_773:
	s_mov_b32 s19, 0
.LBB232_774:
	s_delay_alu instid0(SALU_CYCLE_1)
	s_and_b32 vcc_lo, exec_lo, s19
	s_cbranch_vccz .LBB232_790
; %bb.775:
	v_cmp_gt_i16_e32 vcc_lo, 27, v0
	s_mov_b32 s1, -1
	s_cbranch_vccnz .LBB232_781
; %bb.776:
	v_cmp_lt_i16_e32 vcc_lo, 27, v0
	s_cbranch_vccz .LBB232_778
; %bb.777:
	v_cvt_u32_f32_e32 v3, v2
	s_mov_b32 s1, 0
	global_store_b32 v[4:5], v3, off
.LBB232_778:
	s_and_not1_b32 vcc_lo, exec_lo, s1
	s_cbranch_vccnz .LBB232_780
; %bb.779:
	v_cvt_u32_f32_e32 v3, v2
	global_store_b16 v[4:5], v3, off
.LBB232_780:
	s_mov_b32 s1, 0
.LBB232_781:
	s_delay_alu instid0(SALU_CYCLE_1)
	s_and_not1_b32 vcc_lo, exec_lo, s1
	s_cbranch_vccnz .LBB232_789
; %bb.782:
	v_and_b32_e32 v3, 0x7fffffff, v2
	v_mov_b32_e32 v6, 0x80
	s_mov_b32 s1, exec_lo
	s_delay_alu instid0(VALU_DEP_2)
	v_cmpx_gt_u32_e32 0x43800000, v3
	s_cbranch_execz .LBB232_788
; %bb.783:
	v_cmp_lt_u32_e32 vcc_lo, 0x3bffffff, v3
	s_mov_b32 s19, 0
                                        ; implicit-def: $vgpr3
	s_and_saveexec_b32 s20, vcc_lo
	s_delay_alu instid0(SALU_CYCLE_1)
	s_xor_b32 s20, exec_lo, s20
	s_cbranch_execz .LBB232_890
; %bb.784:
	v_bfe_u32 v3, v2, 20, 1
	s_mov_b32 s19, exec_lo
	s_delay_alu instid0(VALU_DEP_1) | instskip(NEXT) | instid1(VALU_DEP_1)
	v_add3_u32 v3, v2, v3, 0x487ffff
	v_lshrrev_b32_e32 v3, 20, v3
	s_or_saveexec_b32 s20, s20
                                        ; implicit-def: $sgpr21
	s_delay_alu instid0(SALU_CYCLE_1)
	s_xor_b32 exec_lo, exec_lo, s20
	s_cbranch_execnz .LBB232_891
.LBB232_785:
	s_or_b32 exec_lo, exec_lo, s20
	v_mov_b32_e32 v6, s21
	s_and_saveexec_b32 s20, s19
.LBB232_786:
	v_lshrrev_b32_e32 v6, 24, v2
	s_delay_alu instid0(VALU_DEP_1)
	v_and_or_b32 v6, 0x80, v6, v3
.LBB232_787:
	s_or_b32 exec_lo, exec_lo, s20
.LBB232_788:
	s_delay_alu instid0(SALU_CYCLE_1)
	s_or_b32 exec_lo, exec_lo, s1
	global_store_b8 v[4:5], v6, off
.LBB232_789:
	s_mov_b32 s1, -1
.LBB232_790:
	s_mov_b32 s19, 0
.LBB232_791:
	s_delay_alu instid0(SALU_CYCLE_1)
	s_and_b32 vcc_lo, exec_lo, s19
	s_cbranch_vccz .LBB232_832
; %bb.792:
	v_cmp_lt_i16_e32 vcc_lo, 22, v0
	s_mov_b32 s19, -1
	s_cbranch_vccz .LBB232_824
; %bb.793:
	v_cmp_gt_i16_e32 vcc_lo, 24, v0
	s_mov_b32 s1, -1
	s_cbranch_vccnz .LBB232_813
; %bb.794:
	v_cmp_lt_i16_e32 vcc_lo, 24, v0
	s_cbranch_vccz .LBB232_802
; %bb.795:
	v_and_b32_e32 v3, 0x7fffffff, v2
	v_mov_b32_e32 v6, 0x80
	s_mov_b32 s1, exec_lo
	s_delay_alu instid0(VALU_DEP_2)
	v_cmpx_gt_u32_e32 0x47800000, v3
	s_cbranch_execz .LBB232_801
; %bb.796:
	v_cmp_lt_u32_e32 vcc_lo, 0x37ffffff, v3
	s_mov_b32 s19, 0
                                        ; implicit-def: $vgpr3
	s_and_saveexec_b32 s20, vcc_lo
	s_delay_alu instid0(SALU_CYCLE_1)
	s_xor_b32 s20, exec_lo, s20
	s_cbranch_execz .LBB232_893
; %bb.797:
	v_bfe_u32 v3, v2, 21, 1
	s_mov_b32 s19, exec_lo
	s_delay_alu instid0(VALU_DEP_1) | instskip(NEXT) | instid1(VALU_DEP_1)
	v_add3_u32 v3, v2, v3, 0x88fffff
	v_lshrrev_b32_e32 v3, 21, v3
	s_or_saveexec_b32 s20, s20
                                        ; implicit-def: $sgpr21
	s_delay_alu instid0(SALU_CYCLE_1)
	s_xor_b32 exec_lo, exec_lo, s20
	s_cbranch_execnz .LBB232_894
.LBB232_798:
	s_or_b32 exec_lo, exec_lo, s20
	v_mov_b32_e32 v6, s21
	s_and_saveexec_b32 s20, s19
.LBB232_799:
	v_lshrrev_b32_e32 v6, 24, v2
	s_delay_alu instid0(VALU_DEP_1)
	v_and_or_b32 v6, 0x80, v6, v3
.LBB232_800:
	s_or_b32 exec_lo, exec_lo, s20
.LBB232_801:
	s_delay_alu instid0(SALU_CYCLE_1)
	s_or_b32 exec_lo, exec_lo, s1
	s_mov_b32 s1, 0
	global_store_b8 v[4:5], v6, off
.LBB232_802:
	s_and_b32 vcc_lo, exec_lo, s1
	s_cbranch_vccz .LBB232_812
; %bb.803:
	v_and_b32_e32 v6, 0x7fffffff, v2
	s_mov_b32 s1, exec_lo
                                        ; implicit-def: $vgpr3
	s_delay_alu instid0(VALU_DEP_1)
	v_cmpx_gt_u32_e32 0x43f00000, v6
	s_xor_b32 s1, exec_lo, s1
	s_cbranch_execz .LBB232_809
; %bb.804:
	s_mov_b32 s19, exec_lo
                                        ; implicit-def: $vgpr3
	v_cmpx_lt_u32_e32 0x3c7fffff, v6
	s_xor_b32 s19, exec_lo, s19
; %bb.805:
	v_bfe_u32 v3, v2, 20, 1
	s_delay_alu instid0(VALU_DEP_1) | instskip(NEXT) | instid1(VALU_DEP_1)
	v_add3_u32 v3, v2, v3, 0x407ffff
	v_and_b32_e32 v6, 0xff00000, v3
	v_lshrrev_b32_e32 v3, 20, v3
	s_delay_alu instid0(VALU_DEP_2) | instskip(NEXT) | instid1(VALU_DEP_2)
	v_cmp_ne_u32_e32 vcc_lo, 0x7f00000, v6
	v_cndmask_b32_e32 v3, 0x7e, v3, vcc_lo
; %bb.806:
	s_and_not1_saveexec_b32 s19, s19
; %bb.807:
	v_add_f32_e64 v3, 0x46800000, |v2|
; %bb.808:
	s_or_b32 exec_lo, exec_lo, s19
                                        ; implicit-def: $vgpr6
.LBB232_809:
	s_and_not1_saveexec_b32 s1, s1
; %bb.810:
	v_mov_b32_e32 v3, 0x7f
	v_cmp_lt_u32_e32 vcc_lo, 0x7f800000, v6
	s_delay_alu instid0(VALU_DEP_2)
	v_cndmask_b32_e32 v3, 0x7e, v3, vcc_lo
; %bb.811:
	s_or_b32 exec_lo, exec_lo, s1
	v_lshrrev_b32_e32 v6, 24, v2
	s_delay_alu instid0(VALU_DEP_1)
	v_and_or_b32 v3, 0x80, v6, v3
	global_store_b8 v[4:5], v3, off
.LBB232_812:
	s_mov_b32 s1, 0
.LBB232_813:
	s_delay_alu instid0(SALU_CYCLE_1)
	s_and_not1_b32 vcc_lo, exec_lo, s1
	s_cbranch_vccnz .LBB232_823
; %bb.814:
	v_and_b32_e32 v6, 0x7fffffff, v2
	s_mov_b32 s1, exec_lo
                                        ; implicit-def: $vgpr3
	s_delay_alu instid0(VALU_DEP_1)
	v_cmpx_gt_u32_e32 0x47800000, v6
	s_xor_b32 s1, exec_lo, s1
	s_cbranch_execz .LBB232_820
; %bb.815:
	s_mov_b32 s19, exec_lo
                                        ; implicit-def: $vgpr3
	v_cmpx_lt_u32_e32 0x387fffff, v6
	s_xor_b32 s19, exec_lo, s19
; %bb.816:
	v_bfe_u32 v3, v2, 21, 1
	s_delay_alu instid0(VALU_DEP_1) | instskip(NEXT) | instid1(VALU_DEP_1)
	v_add3_u32 v3, v2, v3, 0x80fffff
	v_lshrrev_b32_e32 v3, 21, v3
; %bb.817:
	s_and_not1_saveexec_b32 s19, s19
; %bb.818:
	v_add_f32_e64 v3, 0x43000000, |v2|
; %bb.819:
	s_or_b32 exec_lo, exec_lo, s19
                                        ; implicit-def: $vgpr6
.LBB232_820:
	s_and_not1_saveexec_b32 s1, s1
; %bb.821:
	v_mov_b32_e32 v3, 0x7f
	v_cmp_lt_u32_e32 vcc_lo, 0x7f800000, v6
	s_delay_alu instid0(VALU_DEP_2)
	v_cndmask_b32_e32 v3, 0x7c, v3, vcc_lo
; %bb.822:
	s_or_b32 exec_lo, exec_lo, s1
	v_lshrrev_b32_e32 v6, 24, v2
	s_delay_alu instid0(VALU_DEP_1)
	v_and_or_b32 v3, 0x80, v6, v3
	global_store_b8 v[4:5], v3, off
.LBB232_823:
	s_mov_b32 s19, 0
	s_mov_b32 s1, -1
.LBB232_824:
	s_and_not1_b32 vcc_lo, exec_lo, s19
	s_cbranch_vccnz .LBB232_832
; %bb.825:
	v_cmp_lt_i16_e32 vcc_lo, 14, v0
	s_mov_b32 s19, -1
	s_cbranch_vccz .LBB232_829
; %bb.826:
	v_cmp_eq_u16_e32 vcc_lo, 15, v0
	s_mov_b32 s0, -1
	s_cbranch_vccz .LBB232_828
; %bb.827:
	v_bfe_u32 v3, v2, 16, 1
	v_cmp_o_f32_e32 vcc_lo, v2, v2
	s_mov_b32 s1, -1
	s_mov_b32 s0, 0
	s_delay_alu instid0(VALU_DEP_2) | instskip(NEXT) | instid1(VALU_DEP_1)
	v_add3_u32 v3, v2, v3, 0x7fff
	v_lshrrev_b32_e32 v3, 16, v3
	s_delay_alu instid0(VALU_DEP_1)
	v_cndmask_b32_e32 v3, 0x7fc0, v3, vcc_lo
	global_store_b16 v[4:5], v3, off
.LBB232_828:
	s_mov_b32 s19, 0
.LBB232_829:
	s_delay_alu instid0(SALU_CYCLE_1)
	s_and_b32 vcc_lo, exec_lo, s19
	s_cbranch_vccz .LBB232_832
; %bb.830:
	v_cmp_eq_u16_e32 vcc_lo, 11, v0
	s_mov_b32 s0, -1
	s_cbranch_vccz .LBB232_832
; %bb.831:
	v_cmp_neq_f32_e32 vcc_lo, 0, v2
	v_cmp_neq_f32_e64 s0, 0, v1
	s_mov_b32 s1, -1
	s_delay_alu instid0(VALU_DEP_1) | instskip(NEXT) | instid1(SALU_CYCLE_1)
	s_or_b32 s0, vcc_lo, s0
	v_cndmask_b32_e64 v3, 0, 1, s0
	s_mov_b32 s0, 0
	global_store_b8 v[4:5], v3, off
.LBB232_832:
	s_mov_b32 s19, 0
.LBB232_833:
	s_delay_alu instid0(SALU_CYCLE_1)
	s_and_b32 vcc_lo, exec_lo, s19
	s_cbranch_vccz .LBB232_872
; %bb.834:
	v_cmp_gt_i16_e32 vcc_lo, 5, v0
	s_mov_b32 s1, -1
	s_cbranch_vccnz .LBB232_855
; %bb.835:
	v_cmp_gt_i16_e32 vcc_lo, 8, v0
	s_cbranch_vccnz .LBB232_845
; %bb.836:
	v_cmp_gt_i16_e32 vcc_lo, 9, v0
	s_cbranch_vccnz .LBB232_842
; %bb.837:
	v_cmp_lt_i16_e32 vcc_lo, 9, v0
	s_cbranch_vccz .LBB232_839
; %bb.838:
	v_cvt_f64_f32_e32 v[6:7], v2
	v_cvt_f64_f32_e32 v[8:9], v1
	s_mov_b32 s1, 0
	global_store_b128 v[4:5], v[6:9], off
.LBB232_839:
	s_and_not1_b32 vcc_lo, exec_lo, s1
	s_cbranch_vccnz .LBB232_841
; %bb.840:
	v_mov_b32_e32 v3, v1
	global_store_b64 v[4:5], v[2:3], off
.LBB232_841:
	s_mov_b32 s1, 0
.LBB232_842:
	s_delay_alu instid0(SALU_CYCLE_1)
	s_and_not1_b32 vcc_lo, exec_lo, s1
	s_cbranch_vccnz .LBB232_844
; %bb.843:
	v_cvt_f16_f32_e32 v1, v1
	v_cvt_f16_f32_e32 v3, v2
	s_delay_alu instid0(VALU_DEP_2) | instskip(NEXT) | instid1(VALU_DEP_2)
	v_lshlrev_b32_e32 v1, 16, v1
	v_and_b32_e32 v3, 0xffff, v3
	s_delay_alu instid0(VALU_DEP_1)
	v_or_b32_e32 v1, v1, v3
	global_store_b32 v[4:5], v1, off
.LBB232_844:
	s_mov_b32 s1, 0
.LBB232_845:
	s_delay_alu instid0(SALU_CYCLE_1)
	s_and_not1_b32 vcc_lo, exec_lo, s1
	s_cbranch_vccnz .LBB232_854
; %bb.846:
	v_cmp_gt_i16_e32 vcc_lo, 6, v0
	s_mov_b32 s1, -1
	s_cbranch_vccnz .LBB232_852
; %bb.847:
	v_cmp_lt_i16_e32 vcc_lo, 6, v0
	s_cbranch_vccz .LBB232_849
; %bb.848:
	v_cvt_f64_f32_e32 v[6:7], v2
	s_mov_b32 s1, 0
	global_store_b64 v[4:5], v[6:7], off
.LBB232_849:
	s_and_not1_b32 vcc_lo, exec_lo, s1
	s_cbranch_vccnz .LBB232_851
; %bb.850:
	global_store_b32 v[4:5], v2, off
.LBB232_851:
	s_mov_b32 s1, 0
.LBB232_852:
	s_delay_alu instid0(SALU_CYCLE_1)
	s_and_not1_b32 vcc_lo, exec_lo, s1
	s_cbranch_vccnz .LBB232_854
; %bb.853:
	v_cvt_f16_f32_e32 v1, v2
	global_store_b16 v[4:5], v1, off
.LBB232_854:
	s_mov_b32 s1, 0
.LBB232_855:
	s_delay_alu instid0(SALU_CYCLE_1)
	s_and_not1_b32 vcc_lo, exec_lo, s1
	s_cbranch_vccnz .LBB232_871
; %bb.856:
	v_cmp_gt_i16_e32 vcc_lo, 2, v0
	s_mov_b32 s1, -1
	s_cbranch_vccnz .LBB232_866
; %bb.857:
	v_cmp_gt_i16_e32 vcc_lo, 3, v0
	s_cbranch_vccnz .LBB232_863
; %bb.858:
	v_cmp_lt_i16_e32 vcc_lo, 3, v0
	s_cbranch_vccz .LBB232_860
; %bb.859:
	v_trunc_f32_e32 v1, v2
	s_mov_b32 s1, 0
	s_delay_alu instid0(VALU_DEP_1) | instskip(NEXT) | instid1(VALU_DEP_1)
	v_mul_f32_e64 v3, 0x2f800000, |v1|
	v_floor_f32_e32 v3, v3
	s_delay_alu instid0(VALU_DEP_1) | instskip(SKIP_2) | instid1(VALU_DEP_3)
	v_fma_f32 v6, 0xcf800000, v3, |v1|
	v_ashrrev_i32_e32 v1, 31, v1
	v_cvt_u32_f32_e32 v3, v3
	v_cvt_u32_f32_e32 v6, v6
	s_delay_alu instid0(VALU_DEP_2) | instskip(NEXT) | instid1(VALU_DEP_2)
	v_xor_b32_e32 v3, v3, v1
	v_xor_b32_e32 v6, v6, v1
	s_delay_alu instid0(VALU_DEP_1) | instskip(NEXT) | instid1(VALU_DEP_3)
	v_sub_co_u32 v6, vcc_lo, v6, v1
	v_sub_co_ci_u32_e32 v7, vcc_lo, v3, v1, vcc_lo
	global_store_b64 v[4:5], v[6:7], off
.LBB232_860:
	s_and_not1_b32 vcc_lo, exec_lo, s1
	s_cbranch_vccnz .LBB232_862
; %bb.861:
	v_cvt_i32_f32_e32 v1, v2
	global_store_b32 v[4:5], v1, off
.LBB232_862:
	s_mov_b32 s1, 0
.LBB232_863:
	s_delay_alu instid0(SALU_CYCLE_1)
	s_and_not1_b32 vcc_lo, exec_lo, s1
	s_cbranch_vccnz .LBB232_865
; %bb.864:
	v_cvt_i32_f32_e32 v1, v2
	global_store_b16 v[4:5], v1, off
.LBB232_865:
	s_mov_b32 s1, 0
.LBB232_866:
	s_delay_alu instid0(SALU_CYCLE_1)
	s_and_not1_b32 vcc_lo, exec_lo, s1
	s_cbranch_vccnz .LBB232_871
; %bb.867:
	v_cmp_lt_i16_e32 vcc_lo, 0, v0
	s_mov_b32 s1, -1
	s_cbranch_vccz .LBB232_869
; %bb.868:
	v_cvt_i32_f32_e32 v0, v2
	s_mov_b32 s1, 0
	global_store_b8 v[4:5], v0, off
.LBB232_869:
	s_and_not1_b32 vcc_lo, exec_lo, s1
	s_cbranch_vccnz .LBB232_871
; %bb.870:
	v_trunc_f32_e32 v0, v2
	s_delay_alu instid0(VALU_DEP_1) | instskip(NEXT) | instid1(VALU_DEP_1)
	v_mul_f32_e64 v1, 0x2f800000, |v0|
	v_floor_f32_e32 v1, v1
	s_delay_alu instid0(VALU_DEP_1) | instskip(SKIP_1) | instid1(VALU_DEP_2)
	v_fma_f32 v1, 0xcf800000, v1, |v0|
	v_ashrrev_i32_e32 v0, 31, v0
	v_cvt_u32_f32_e32 v1, v1
	s_delay_alu instid0(VALU_DEP_1) | instskip(NEXT) | instid1(VALU_DEP_1)
	v_xor_b32_e32 v1, v1, v0
	v_sub_nc_u32_e32 v0, v1, v0
	global_store_b8 v[4:5], v0, off
.LBB232_871:
	s_mov_b32 s1, -1
.LBB232_872:
	s_delay_alu instid0(SALU_CYCLE_1)
	s_and_not1_b32 vcc_lo, exec_lo, s1
	s_cbranch_vccnz .LBB232_874
; %bb.873:
	v_add_nc_u32_e32 v12, 0x80, v12
	s_mov_b32 s19, -1
	s_branch .LBB232_876
.LBB232_874:
	s_mov_b32 s19, 0
.LBB232_875:
                                        ; implicit-def: $vgpr12
.LBB232_876:
	s_and_not1_b32 s1, s15, exec_lo
	s_and_b32 s0, s0, exec_lo
	s_and_not1_b32 s20, s14, exec_lo
	s_and_b32 s21, s18, exec_lo
	s_or_b32 s18, s1, s0
	s_or_b32 s1, s20, s21
	s_or_not1_b32 s0, s19, exec_lo
.LBB232_877:
	s_or_b32 exec_lo, exec_lo, s17
	s_mov_b32 s19, 0
	s_mov_b32 s20, 0
	;; [unrolled: 1-line block ×3, first 2 shown]
                                        ; implicit-def: $vgpr2_vgpr3
                                        ; implicit-def: $vgpr1
	s_and_saveexec_b32 s17, s0
	s_cbranch_execz .LBB232_965
; %bb.878:
	v_cmp_gt_i32_e32 vcc_lo, s11, v12
	s_mov_b32 s0, 0
	s_mov_b32 s19, s1
                                        ; implicit-def: $vgpr2_vgpr3
                                        ; implicit-def: $vgpr1
	s_and_saveexec_b32 s11, vcc_lo
	s_cbranch_execz .LBB232_964
; %bb.879:
	s_waitcnt vmcnt(0)
	v_mul_lo_u32 v0, v12, s3
	v_cmp_gt_i16_e32 vcc_lo, 11, v13
	s_delay_alu instid0(VALU_DEP_2) | instskip(SKIP_1) | instid1(VALU_DEP_1)
	v_ashrrev_i32_e32 v1, 31, v0
	v_add_co_u32 v2, s0, s6, v0
	v_add_co_ci_u32_e64 v3, s0, s7, v1, s0
	s_cbranch_vccnz .LBB232_886
; %bb.880:
	v_cmp_lt_i16_e32 vcc_lo, 25, v13
	s_mov_b32 s19, 0
	s_cbranch_vccz .LBB232_887
; %bb.881:
	v_cmp_lt_i16_e32 vcc_lo, 28, v13
	s_cbranch_vccz .LBB232_888
; %bb.882:
	v_cmp_lt_i16_e32 vcc_lo, 43, v13
	;; [unrolled: 3-line block ×3, first 2 shown]
	s_cbranch_vccz .LBB232_892
; %bb.884:
	v_cmp_eq_u16_e32 vcc_lo, 46, v13
	s_cbranch_vccz .LBB232_895
; %bb.885:
	global_load_b32 v0, v[2:3], off
	s_mov_b32 s0, 0
	s_mov_b32 s20, -1
	s_waitcnt vmcnt(0)
	v_and_b32_e32 v1, 0xffff0000, v0
	v_lshlrev_b32_e32 v0, 16, v0
	s_branch .LBB232_897
.LBB232_886:
	s_mov_b32 s22, -1
	s_mov_b32 s19, 0
	s_mov_b32 s0, s1
                                        ; implicit-def: $vgpr1
	s_branch .LBB232_963
.LBB232_887:
	s_mov_b32 s21, -1
	s_mov_b32 s0, s1
                                        ; implicit-def: $vgpr1
	s_branch .LBB232_930
.LBB232_888:
	s_mov_b32 s21, -1
	s_mov_b32 s0, s1
                                        ; implicit-def: $vgpr1
	s_branch .LBB232_909
.LBB232_889:
	s_mov_b32 s21, -1
	s_mov_b32 s0, s1
                                        ; implicit-def: $vgpr1
	s_branch .LBB232_903
.LBB232_890:
	s_or_saveexec_b32 s20, s20
                                        ; implicit-def: $sgpr21
	s_delay_alu instid0(SALU_CYCLE_1)
	s_xor_b32 exec_lo, exec_lo, s20
	s_cbranch_execz .LBB232_785
.LBB232_891:
	v_add_f32_e64 v3, 0x46000000, |v2|
	s_and_not1_b32 s19, s19, exec_lo
	s_mov_b32 s21, 0
	s_delay_alu instid0(VALU_DEP_1) | instskip(NEXT) | instid1(VALU_DEP_1)
	v_and_b32_e32 v3, 0xff, v3
	v_cmp_ne_u32_e32 vcc_lo, 0, v3
	s_and_b32 s22, vcc_lo, exec_lo
	s_delay_alu instid0(SALU_CYCLE_1)
	s_or_b32 s19, s19, s22
	s_or_b32 exec_lo, exec_lo, s20
	v_mov_b32_e32 v6, s21
	s_and_saveexec_b32 s20, s19
	s_cbranch_execnz .LBB232_786
	s_branch .LBB232_787
.LBB232_892:
	s_mov_b32 s21, -1
	s_mov_b32 s0, s1
	s_branch .LBB232_896
.LBB232_893:
	s_or_saveexec_b32 s20, s20
                                        ; implicit-def: $sgpr21
	s_delay_alu instid0(SALU_CYCLE_1)
	s_xor_b32 exec_lo, exec_lo, s20
	s_cbranch_execz .LBB232_798
.LBB232_894:
	v_add_f32_e64 v3, 0x42800000, |v2|
	s_and_not1_b32 s19, s19, exec_lo
	s_mov_b32 s21, 0
	s_delay_alu instid0(VALU_DEP_1) | instskip(NEXT) | instid1(VALU_DEP_1)
	v_and_b32_e32 v3, 0xff, v3
	v_cmp_ne_u32_e32 vcc_lo, 0, v3
	s_and_b32 s22, vcc_lo, exec_lo
	s_delay_alu instid0(SALU_CYCLE_1)
	s_or_b32 s19, s19, s22
	s_or_b32 exec_lo, exec_lo, s20
	v_mov_b32_e32 v6, s21
	s_and_saveexec_b32 s20, s19
	s_cbranch_execnz .LBB232_799
	s_branch .LBB232_800
.LBB232_895:
	s_mov_b32 s0, -1
.LBB232_896:
                                        ; implicit-def: $vgpr1
.LBB232_897:
	s_and_b32 vcc_lo, exec_lo, s21
	s_cbranch_vccz .LBB232_902
; %bb.898:
	v_cmp_eq_u16_e32 vcc_lo, 44, v13
	s_cbranch_vccz .LBB232_900
; %bb.899:
	global_load_u8 v0, v[2:3], off
	s_mov_b32 s0, 0
	s_mov_b32 s20, -1
	s_waitcnt vmcnt(0)
	v_lshlrev_b32_e32 v1, 23, v0
	v_cmp_ne_u32_e32 vcc_lo, 0xff, v0
	s_delay_alu instid0(VALU_DEP_2) | instskip(SKIP_1) | instid1(VALU_DEP_2)
	v_cndmask_b32_e32 v1, 0x7f800001, v1, vcc_lo
	v_cmp_ne_u32_e32 vcc_lo, 0, v0
	v_cndmask_b32_e32 v0, 0x400000, v1, vcc_lo
	s_branch .LBB232_901
.LBB232_900:
	s_mov_b32 s0, -1
                                        ; implicit-def: $vgpr0
.LBB232_901:
	s_delay_alu instid0(SALU_CYCLE_1)
	v_mov_b32_e32 v1, s0
.LBB232_902:
	s_mov_b32 s21, 0
.LBB232_903:
	s_delay_alu instid0(SALU_CYCLE_1)
	s_and_b32 vcc_lo, exec_lo, s21
	s_cbranch_vccz .LBB232_908
; %bb.904:
	v_cmp_eq_u16_e32 vcc_lo, 29, v13
	s_cbranch_vccz .LBB232_906
; %bb.905:
	global_load_b64 v[0:1], v[2:3], off
	s_mov_b32 s0, 0
	s_mov_b32 s20, -1
	s_mov_b32 s21, 0
	s_waitcnt vmcnt(0)
	v_clz_i32_u32_e32 v4, v1
	s_delay_alu instid0(VALU_DEP_1) | instskip(NEXT) | instid1(VALU_DEP_1)
	v_min_u32_e32 v4, 32, v4
	v_lshlrev_b64 v[0:1], v4, v[0:1]
	s_delay_alu instid0(VALU_DEP_1) | instskip(NEXT) | instid1(VALU_DEP_1)
	v_min_u32_e32 v0, 1, v0
	v_or_b32_e32 v0, v1, v0
	v_sub_nc_u32_e32 v1, 32, v4
	s_delay_alu instid0(VALU_DEP_2) | instskip(NEXT) | instid1(VALU_DEP_1)
	v_cvt_f32_u32_e32 v0, v0
	v_ldexp_f32 v0, v0, v1
	s_branch .LBB232_907
.LBB232_906:
	s_mov_b32 s0, -1
                                        ; implicit-def: $sgpr21
                                        ; implicit-def: $vgpr0
.LBB232_907:
	v_mov_b32_e32 v1, s21
.LBB232_908:
	s_mov_b32 s21, 0
.LBB232_909:
	s_delay_alu instid0(SALU_CYCLE_1)
	s_and_b32 vcc_lo, exec_lo, s21
	s_cbranch_vccz .LBB232_929
; %bb.910:
	v_cmp_gt_i16_e32 vcc_lo, 27, v13
	s_cbranch_vccnz .LBB232_913
; %bb.911:
	v_cmp_lt_i16_e32 vcc_lo, 27, v13
	s_cbranch_vccz .LBB232_914
; %bb.912:
	global_load_b32 v0, v[2:3], off
	s_mov_b32 s21, 0
	s_mov_b32 s20, 0
	s_waitcnt vmcnt(0)
	v_cvt_f32_u32_e32 v0, v0
	s_branch .LBB232_915
.LBB232_913:
	s_mov_b32 s21, -1
                                        ; implicit-def: $sgpr20
                                        ; implicit-def: $vgpr0
	s_branch .LBB232_918
.LBB232_914:
	s_mov_b32 s21, -1
                                        ; implicit-def: $sgpr20
                                        ; implicit-def: $vgpr0
.LBB232_915:
	s_delay_alu instid0(SALU_CYCLE_1)
	s_and_not1_b32 vcc_lo, exec_lo, s21
	s_cbranch_vccnz .LBB232_917
; %bb.916:
	global_load_u16 v0, v[2:3], off
	s_mov_b32 s20, 0
	s_waitcnt vmcnt(0)
	v_cvt_f32_u32_e32 v0, v0
.LBB232_917:
	s_mov_b32 s21, 0
.LBB232_918:
	v_mov_b32_e32 v1, s20
	s_and_not1_b32 vcc_lo, exec_lo, s21
	s_cbranch_vccnz .LBB232_928
; %bb.919:
	global_load_u8 v4, v[2:3], off
	s_mov_b32 s20, 0
	s_mov_b32 s23, exec_lo
                                        ; implicit-def: $sgpr22
                                        ; implicit-def: $sgpr21
	s_waitcnt vmcnt(0)
	v_cmpx_lt_i16_e32 0x7f, v4
	s_xor_b32 s23, exec_lo, s23
	s_cbranch_execz .LBB232_923
; %bb.920:
	s_mov_b32 s20, -1
	s_mov_b32 s24, exec_lo
                                        ; implicit-def: $sgpr22
                                        ; implicit-def: $sgpr21
	v_cmpx_eq_u16_e32 0x80, v4
; %bb.921:
	s_mov_b32 s21, 0x7f800001
	s_mov_b32 s22, 0
	s_xor_b32 s20, exec_lo, -1
; %bb.922:
	s_or_b32 exec_lo, exec_lo, s24
	s_delay_alu instid0(SALU_CYCLE_1)
	s_and_b32 s20, s20, exec_lo
.LBB232_923:
	s_or_saveexec_b32 s23, s23
	v_dual_mov_b32 v1, s22 :: v_dual_mov_b32 v0, s21
	s_xor_b32 exec_lo, exec_lo, s23
; %bb.924:
	v_cmp_ne_u16_e32 vcc_lo, 0, v4
	v_dual_mov_b32 v1, 0 :: v_dual_mov_b32 v0, 0
	s_and_not1_b32 s20, s20, exec_lo
	s_and_b32 s21, vcc_lo, exec_lo
	s_delay_alu instid0(SALU_CYCLE_1)
	s_or_b32 s20, s20, s21
; %bb.925:
	s_or_b32 exec_lo, exec_lo, s23
	s_and_saveexec_b32 s21, s20
	s_cbranch_execz .LBB232_927
; %bb.926:
	v_and_b32_e32 v0, 0xffff, v4
	v_lshlrev_b32_e32 v4, 24, v4
	s_delay_alu instid0(VALU_DEP_2) | instskip(NEXT) | instid1(VALU_DEP_2)
	v_and_b32_e32 v1, 7, v0
	v_and_b32_e32 v4, 0x80000000, v4
	s_delay_alu instid0(VALU_DEP_2) | instskip(NEXT) | instid1(VALU_DEP_1)
	v_clz_i32_u32_e32 v5, v1
	v_min_u32_e32 v5, 32, v5
	s_delay_alu instid0(VALU_DEP_1) | instskip(SKIP_1) | instid1(VALU_DEP_2)
	v_subrev_nc_u32_e32 v6, 28, v5
	v_sub_nc_u32_e32 v5, 29, v5
	v_lshlrev_b32_e32 v6, v6, v0
	v_bfe_u32 v0, v0, 3, 4
	s_delay_alu instid0(VALU_DEP_2) | instskip(NEXT) | instid1(VALU_DEP_2)
	v_and_b32_e32 v6, 7, v6
	v_cmp_eq_u32_e32 vcc_lo, 0, v0
	s_delay_alu instid0(VALU_DEP_2) | instskip(NEXT) | instid1(VALU_DEP_1)
	v_dual_cndmask_b32 v0, v0, v5 :: v_dual_cndmask_b32 v1, v1, v6
	v_lshl_add_u32 v0, v0, 23, 0x3b800000
	s_delay_alu instid0(VALU_DEP_2) | instskip(NEXT) | instid1(VALU_DEP_1)
	v_lshlrev_b32_e32 v1, 20, v1
	v_or3_b32 v0, v4, v0, v1
	v_mov_b32_e32 v1, 0
.LBB232_927:
	s_or_b32 exec_lo, exec_lo, s21
.LBB232_928:
	s_mov_b32 s20, -1
.LBB232_929:
	s_mov_b32 s21, 0
.LBB232_930:
	s_delay_alu instid0(SALU_CYCLE_1)
	s_and_b32 vcc_lo, exec_lo, s21
	s_cbranch_vccz .LBB232_962
; %bb.931:
	v_cmp_lt_i16_e32 vcc_lo, 22, v13
	s_cbranch_vccz .LBB232_943
; %bb.932:
	v_cmp_gt_i16_e32 vcc_lo, 24, v13
	s_cbranch_vccnz .LBB232_944
; %bb.933:
	v_cmp_lt_i16_e32 vcc_lo, 24, v13
	s_cbranch_vccz .LBB232_945
; %bb.934:
	global_load_u8 v4, v[2:3], off
	s_mov_b32 s22, exec_lo
                                        ; implicit-def: $sgpr21
                                        ; implicit-def: $sgpr20
	s_waitcnt vmcnt(0)
	v_cmpx_lt_i16_e32 0x7f, v4
	s_xor_b32 s22, exec_lo, s22
	s_cbranch_execz .LBB232_938
; %bb.935:
	s_mov_b32 s19, -1
	s_mov_b32 s23, exec_lo
                                        ; implicit-def: $sgpr21
                                        ; implicit-def: $sgpr20
	v_cmpx_eq_u16_e32 0x80, v4
; %bb.936:
	s_mov_b32 s20, 0x7f800001
	s_mov_b32 s21, 0
	s_xor_b32 s19, exec_lo, -1
; %bb.937:
	s_or_b32 exec_lo, exec_lo, s23
	s_delay_alu instid0(SALU_CYCLE_1)
	s_and_b32 s19, s19, exec_lo
.LBB232_938:
	s_or_saveexec_b32 s22, s22
	v_dual_mov_b32 v1, s21 :: v_dual_mov_b32 v0, s20
	s_xor_b32 exec_lo, exec_lo, s22
; %bb.939:
	v_cmp_ne_u16_e32 vcc_lo, 0, v4
	v_dual_mov_b32 v1, 0 :: v_dual_mov_b32 v0, 0
	s_and_not1_b32 s19, s19, exec_lo
	s_and_b32 s20, vcc_lo, exec_lo
	s_delay_alu instid0(SALU_CYCLE_1)
	s_or_b32 s19, s19, s20
; %bb.940:
	s_or_b32 exec_lo, exec_lo, s22
	s_and_saveexec_b32 s20, s19
	s_cbranch_execz .LBB232_942
; %bb.941:
	v_and_b32_e32 v0, 0xffff, v4
	v_lshlrev_b32_e32 v4, 24, v4
	s_delay_alu instid0(VALU_DEP_2) | instskip(NEXT) | instid1(VALU_DEP_2)
	v_and_b32_e32 v1, 3, v0
	v_and_b32_e32 v4, 0x80000000, v4
	s_delay_alu instid0(VALU_DEP_2) | instskip(NEXT) | instid1(VALU_DEP_1)
	v_clz_i32_u32_e32 v5, v1
	v_min_u32_e32 v5, 32, v5
	s_delay_alu instid0(VALU_DEP_1) | instskip(SKIP_1) | instid1(VALU_DEP_2)
	v_subrev_nc_u32_e32 v6, 29, v5
	v_sub_nc_u32_e32 v5, 30, v5
	v_lshlrev_b32_e32 v6, v6, v0
	v_bfe_u32 v0, v0, 2, 5
	s_delay_alu instid0(VALU_DEP_2) | instskip(NEXT) | instid1(VALU_DEP_2)
	v_and_b32_e32 v6, 3, v6
	v_cmp_eq_u32_e32 vcc_lo, 0, v0
	s_delay_alu instid0(VALU_DEP_2) | instskip(NEXT) | instid1(VALU_DEP_1)
	v_dual_cndmask_b32 v0, v0, v5 :: v_dual_cndmask_b32 v1, v1, v6
	v_lshl_add_u32 v0, v0, 23, 0x37800000
	s_delay_alu instid0(VALU_DEP_2) | instskip(NEXT) | instid1(VALU_DEP_1)
	v_lshlrev_b32_e32 v1, 21, v1
	v_or3_b32 v0, v4, v0, v1
	v_mov_b32_e32 v1, 0
.LBB232_942:
	s_or_b32 exec_lo, exec_lo, s20
	s_mov_b32 s19, 0
	s_branch .LBB232_946
.LBB232_943:
	s_mov_b32 s19, -1
                                        ; implicit-def: $vgpr1
	s_branch .LBB232_952
.LBB232_944:
	s_mov_b32 s19, -1
                                        ; implicit-def: $vgpr1
	s_branch .LBB232_949
.LBB232_945:
	s_mov_b32 s19, -1
                                        ; implicit-def: $vgpr1
.LBB232_946:
	s_delay_alu instid0(SALU_CYCLE_1)
	s_and_b32 vcc_lo, exec_lo, s19
	s_cbranch_vccz .LBB232_948
; %bb.947:
	global_load_u8 v0, v[2:3], off
	s_waitcnt vmcnt(0)
	v_lshlrev_b32_e32 v0, 24, v0
	s_delay_alu instid0(VALU_DEP_1) | instskip(NEXT) | instid1(VALU_DEP_1)
	v_and_b32_e32 v1, 0x7f000000, v0
	v_clz_i32_u32_e32 v4, v1
	v_cmp_ne_u32_e32 vcc_lo, 0, v1
	v_add_nc_u32_e32 v6, 0x1000000, v1
	s_delay_alu instid0(VALU_DEP_3) | instskip(NEXT) | instid1(VALU_DEP_1)
	v_min_u32_e32 v4, 32, v4
	v_sub_nc_u32_e64 v4, v4, 4 clamp
	s_delay_alu instid0(VALU_DEP_1) | instskip(SKIP_1) | instid1(VALU_DEP_2)
	v_lshlrev_b32_e32 v5, v4, v1
	v_lshlrev_b32_e32 v4, 23, v4
	v_lshrrev_b32_e32 v5, 4, v5
	s_delay_alu instid0(VALU_DEP_1) | instskip(SKIP_1) | instid1(VALU_DEP_2)
	v_sub_nc_u32_e32 v4, v5, v4
	v_ashrrev_i32_e32 v5, 8, v6
	v_add_nc_u32_e32 v4, 0x3c000000, v4
	s_delay_alu instid0(VALU_DEP_1) | instskip(NEXT) | instid1(VALU_DEP_1)
	v_and_or_b32 v4, 0x7f800000, v5, v4
	v_cndmask_b32_e32 v1, 0, v4, vcc_lo
	s_delay_alu instid0(VALU_DEP_1)
	v_and_or_b32 v0, 0x80000000, v0, v1
	v_mov_b32_e32 v1, 0
.LBB232_948:
	s_mov_b32 s19, 0
.LBB232_949:
	s_delay_alu instid0(SALU_CYCLE_1)
	s_and_not1_b32 vcc_lo, exec_lo, s19
	s_cbranch_vccnz .LBB232_951
; %bb.950:
	global_load_u8 v0, v[2:3], off
	s_waitcnt vmcnt(0)
	v_lshlrev_b32_e32 v1, 25, v0
	v_lshlrev_b16 v0, 8, v0
	s_delay_alu instid0(VALU_DEP_2) | instskip(NEXT) | instid1(VALU_DEP_2)
	v_lshrrev_b32_e32 v4, 4, v1
	v_and_or_b32 v5, 0x7f00, v0, 0.5
	v_cmp_gt_u32_e32 vcc_lo, 0x8000000, v1
	v_bfe_i32 v0, v0, 0, 16
	s_delay_alu instid0(VALU_DEP_4) | instskip(NEXT) | instid1(VALU_DEP_1)
	v_or_b32_e32 v4, 0x70000000, v4
	v_dual_add_f32 v5, -0.5, v5 :: v_dual_mul_f32 v4, 0x7800000, v4
	s_delay_alu instid0(VALU_DEP_1) | instskip(NEXT) | instid1(VALU_DEP_1)
	v_cndmask_b32_e32 v1, v4, v5, vcc_lo
	v_and_or_b32 v0, 0x80000000, v0, v1
	v_mov_b32_e32 v1, 0
.LBB232_951:
	s_mov_b32 s19, 0
	s_mov_b32 s20, -1
.LBB232_952:
	s_and_not1_b32 vcc_lo, exec_lo, s19
	s_mov_b32 s19, 0
	s_cbranch_vccnz .LBB232_962
; %bb.953:
	v_cmp_lt_i16_e32 vcc_lo, 14, v13
	s_cbranch_vccz .LBB232_956
; %bb.954:
	v_cmp_eq_u16_e32 vcc_lo, 15, v13
	s_cbranch_vccz .LBB232_957
; %bb.955:
	global_load_u16 v0, v[2:3], off
	s_mov_b32 s0, 0
	s_mov_b32 s20, -1
	s_mov_b32 s21, 0
	s_waitcnt vmcnt(0)
	v_lshlrev_b32_e32 v0, 16, v0
	s_branch .LBB232_959
.LBB232_956:
	s_mov_b32 s19, -1
	s_branch .LBB232_958
.LBB232_957:
	s_mov_b32 s0, -1
.LBB232_958:
                                        ; implicit-def: $sgpr21
                                        ; implicit-def: $vgpr0
.LBB232_959:
	s_and_b32 vcc_lo, exec_lo, s19
	s_mov_b32 s19, 0
	s_cbranch_vccz .LBB232_961
; %bb.960:
	v_cmp_ne_u16_e32 vcc_lo, 11, v13
	s_and_not1_b32 s0, s0, exec_lo
	s_mov_b32 s19, -1
                                        ; implicit-def: $vgpr0
	s_and_b32 s21, vcc_lo, exec_lo
	s_delay_alu instid0(SALU_CYCLE_1)
	s_or_b32 s0, s0, s21
                                        ; implicit-def: $sgpr21
.LBB232_961:
	v_mov_b32_e32 v1, s21
.LBB232_962:
	s_mov_b32 s22, 0
.LBB232_963:
	s_and_b32 s21, s20, exec_lo
	s_and_b32 s20, s22, exec_lo
	s_and_not1_b32 s22, s1, exec_lo
	s_and_b32 s23, s0, exec_lo
	s_and_b32 s0, s19, exec_lo
	s_or_b32 s19, s22, s23
.LBB232_964:
	s_or_b32 exec_lo, exec_lo, s11
	s_delay_alu instid0(SALU_CYCLE_1)
	s_and_not1_b32 s1, s1, exec_lo
	s_and_b32 s11, s19, exec_lo
	s_and_b32 s21, s21, exec_lo
	;; [unrolled: 1-line block ×4, first 2 shown]
	s_or_b32 s1, s1, s11
.LBB232_965:
	s_or_b32 exec_lo, exec_lo, s17
	s_delay_alu instid0(SALU_CYCLE_1)
	s_and_not1_b32 s0, s15, exec_lo
	s_and_b32 s11, s18, exec_lo
	s_and_b32 s17, s20, exec_lo
	s_or_b32 s15, s0, s11
	s_and_not1_b32 s11, s14, exec_lo
	s_and_b32 s14, s1, exec_lo
	s_and_b32 s0, s21, exec_lo
	;; [unrolled: 1-line block ×3, first 2 shown]
	s_or_b32 s14, s11, s14
.LBB232_966:
	s_or_b32 exec_lo, exec_lo, s16
	s_delay_alu instid0(SALU_CYCLE_1)
	s_and_not1_b32 s10, s10, exec_lo
	s_and_b32 s11, s15, exec_lo
	s_and_b32 s0, s0, exec_lo
	s_or_b32 s10, s10, s11
	s_and_not1_b32 s11, s12, exec_lo
	s_and_b32 s12, s14, exec_lo
	s_and_b32 s15, s17, exec_lo
	;; [unrolled: 1-line block ×3, first 2 shown]
	s_or_b32 s12, s11, s12
.LBB232_967:
	s_or_b32 exec_lo, exec_lo, s13
	s_mov_b32 s11, 0
	s_and_saveexec_b32 s1, s12
	s_cbranch_execnz .LBB232_979
; %bb.968:
	s_or_b32 exec_lo, exec_lo, s1
	s_and_saveexec_b32 s1, s14
	s_delay_alu instid0(SALU_CYCLE_1)
	s_xor_b32 s1, exec_lo, s1
	s_cbranch_execz .LBB232_970
.LBB232_969:
	global_load_u8 v0, v[2:3], off
	s_waitcnt vmcnt(1)
	v_mov_b32_e32 v1, 0
	s_or_b32 s0, s0, exec_lo
	s_waitcnt vmcnt(0)
	v_cmp_ne_u16_e32 vcc_lo, 0, v0
	v_cndmask_b32_e64 v0, 0, 1.0, vcc_lo
.LBB232_970:
	s_or_b32 exec_lo, exec_lo, s1
	s_and_saveexec_b32 s1, s15
	s_cbranch_execz .LBB232_1020
; %bb.971:
	v_cmp_gt_i16_e32 vcc_lo, 5, v13
	s_cbranch_vccnz .LBB232_976
; %bb.972:
	v_cmp_gt_i16_e32 vcc_lo, 8, v13
	s_cbranch_vccnz .LBB232_977
	;; [unrolled: 3-line block ×3, first 2 shown]
; %bb.974:
	v_cmp_lt_i16_e32 vcc_lo, 9, v13
	s_cbranch_vccz .LBB232_981
; %bb.975:
	global_load_b128 v[4:7], v[2:3], off
	s_mov_b32 s12, 0
	s_waitcnt vmcnt(0)
	v_cvt_f32_f64_e32 v0, v[4:5]
	v_cvt_f32_f64_e32 v1, v[6:7]
	s_branch .LBB232_982
.LBB232_976:
                                        ; implicit-def: $vgpr1
	s_branch .LBB232_1000
.LBB232_977:
                                        ; implicit-def: $vgpr1
	s_branch .LBB232_988
.LBB232_978:
	s_mov_b32 s12, -1
                                        ; implicit-def: $vgpr1
	s_branch .LBB232_985
.LBB232_979:
	s_cbranch_execnz .LBB232_1059
; %bb.980:
	s_mov_b32 s11, exec_lo
	s_and_not1_b32 s14, s14, exec_lo
                                        ; implicit-def: $vgpr1
	s_or_b32 exec_lo, exec_lo, s1
	s_and_saveexec_b32 s1, s14
	s_delay_alu instid0(SALU_CYCLE_1)
	s_xor_b32 s1, exec_lo, s1
	s_cbranch_execnz .LBB232_969
	s_branch .LBB232_970
.LBB232_981:
	s_mov_b32 s12, -1
                                        ; implicit-def: $vgpr1
.LBB232_982:
	s_delay_alu instid0(SALU_CYCLE_1)
	s_and_not1_b32 vcc_lo, exec_lo, s12
	s_cbranch_vccnz .LBB232_984
; %bb.983:
	global_load_b64 v[0:1], v[2:3], off
.LBB232_984:
	s_mov_b32 s12, 0
.LBB232_985:
	s_delay_alu instid0(SALU_CYCLE_1)
	s_and_not1_b32 vcc_lo, exec_lo, s12
	s_cbranch_vccnz .LBB232_987
; %bb.986:
	global_load_b32 v0, v[2:3], off
	s_waitcnt vmcnt(0)
	v_lshrrev_b32_e32 v1, 16, v0
	v_cvt_f32_f16_e32 v0, v0
	s_delay_alu instid0(VALU_DEP_2)
	v_cvt_f32_f16_e32 v1, v1
.LBB232_987:
	s_cbranch_execnz .LBB232_999
.LBB232_988:
	v_cmp_gt_i16_e32 vcc_lo, 6, v13
	s_cbranch_vccnz .LBB232_991
; %bb.989:
	v_cmp_lt_i16_e32 vcc_lo, 6, v13
	s_cbranch_vccz .LBB232_992
; %bb.990:
	global_load_b64 v[0:1], v[2:3], off
	s_mov_b32 s13, 0
	s_mov_b32 s12, 0
	s_waitcnt vmcnt(0)
	v_cvt_f32_f64_e32 v0, v[0:1]
	s_branch .LBB232_993
.LBB232_991:
	s_mov_b32 s13, -1
                                        ; implicit-def: $sgpr12
                                        ; implicit-def: $vgpr0
	s_branch .LBB232_996
.LBB232_992:
	s_mov_b32 s13, -1
                                        ; implicit-def: $sgpr12
                                        ; implicit-def: $vgpr0
.LBB232_993:
	s_delay_alu instid0(SALU_CYCLE_1)
	s_and_not1_b32 vcc_lo, exec_lo, s13
	s_cbranch_vccnz .LBB232_995
; %bb.994:
	global_load_b32 v0, v[2:3], off
	s_mov_b32 s12, 0
.LBB232_995:
	s_mov_b32 s13, 0
.LBB232_996:
	s_delay_alu instid0(SALU_CYCLE_1)
	s_and_not1_b32 vcc_lo, exec_lo, s13
	s_cbranch_vccnz .LBB232_998
; %bb.997:
	global_load_u16 v0, v[2:3], off
	s_mov_b32 s12, 0
	s_waitcnt vmcnt(0)
	v_cvt_f32_f16_e32 v0, v0
.LBB232_998:
	s_waitcnt vmcnt(0)
	v_mov_b32_e32 v1, s12
.LBB232_999:
	s_cbranch_execnz .LBB232_1019
.LBB232_1000:
	v_cmp_gt_i16_e32 vcc_lo, 2, v13
	s_cbranch_vccnz .LBB232_1004
; %bb.1001:
	v_cmp_gt_i16_e32 vcc_lo, 3, v13
	s_cbranch_vccnz .LBB232_1005
; %bb.1002:
	v_cmp_lt_i16_e32 vcc_lo, 3, v13
	s_cbranch_vccz .LBB232_1006
; %bb.1003:
	global_load_b64 v[0:1], v[2:3], off
	s_mov_b32 s13, 0
	s_mov_b32 s12, 0
	s_waitcnt vmcnt(0)
	v_xor_b32_e32 v4, v0, v1
	v_cls_i32_e32 v5, v1
	s_delay_alu instid0(VALU_DEP_2) | instskip(NEXT) | instid1(VALU_DEP_2)
	v_ashrrev_i32_e32 v4, 31, v4
	v_add_nc_u32_e32 v5, -1, v5
	s_delay_alu instid0(VALU_DEP_2) | instskip(NEXT) | instid1(VALU_DEP_1)
	v_add_nc_u32_e32 v4, 32, v4
	v_min_u32_e32 v4, v5, v4
	s_delay_alu instid0(VALU_DEP_1) | instskip(NEXT) | instid1(VALU_DEP_1)
	v_lshlrev_b64 v[0:1], v4, v[0:1]
	v_min_u32_e32 v0, 1, v0
	s_delay_alu instid0(VALU_DEP_1) | instskip(SKIP_1) | instid1(VALU_DEP_2)
	v_or_b32_e32 v0, v1, v0
	v_sub_nc_u32_e32 v1, 32, v4
	v_cvt_f32_i32_e32 v0, v0
	s_delay_alu instid0(VALU_DEP_1)
	v_ldexp_f32 v0, v0, v1
	s_branch .LBB232_1007
.LBB232_1004:
                                        ; implicit-def: $sgpr12
                                        ; implicit-def: $vgpr0
	s_branch .LBB232_1013
.LBB232_1005:
	s_mov_b32 s13, -1
                                        ; implicit-def: $sgpr12
                                        ; implicit-def: $vgpr0
	s_branch .LBB232_1010
.LBB232_1006:
	s_mov_b32 s13, -1
                                        ; implicit-def: $sgpr12
                                        ; implicit-def: $vgpr0
.LBB232_1007:
	s_delay_alu instid0(SALU_CYCLE_1)
	s_and_not1_b32 vcc_lo, exec_lo, s13
	s_cbranch_vccnz .LBB232_1009
; %bb.1008:
	global_load_b32 v0, v[2:3], off
	s_mov_b32 s12, 0
	s_waitcnt vmcnt(0)
	v_cvt_f32_i32_e32 v0, v0
.LBB232_1009:
	s_mov_b32 s13, 0
.LBB232_1010:
	s_delay_alu instid0(SALU_CYCLE_1)
	s_and_not1_b32 vcc_lo, exec_lo, s13
	s_cbranch_vccnz .LBB232_1012
; %bb.1011:
	global_load_i16 v0, v[2:3], off
	s_mov_b32 s12, 0
	s_waitcnt vmcnt(0)
	v_cvt_f32_i32_e32 v0, v0
.LBB232_1012:
	s_cbranch_execnz .LBB232_1018
.LBB232_1013:
	v_cmp_lt_i16_e32 vcc_lo, 0, v13
	s_mov_b32 s13, 0
	s_cbranch_vccz .LBB232_1015
; %bb.1014:
	global_load_i8 v0, v[2:3], off
	s_mov_b32 s12, 0
	s_waitcnt vmcnt(0)
	v_cvt_f32_i32_e32 v0, v0
	s_branch .LBB232_1016
.LBB232_1015:
	s_mov_b32 s13, -1
                                        ; implicit-def: $sgpr12
                                        ; implicit-def: $vgpr0
.LBB232_1016:
	s_delay_alu instid0(SALU_CYCLE_1)
	s_and_not1_b32 vcc_lo, exec_lo, s13
	s_cbranch_vccnz .LBB232_1018
; %bb.1017:
	global_load_u8 v0, v[2:3], off
	s_mov_b32 s12, 0
	s_waitcnt vmcnt(0)
	v_cvt_f32_ubyte0_e32 v0, v0
.LBB232_1018:
	s_waitcnt vmcnt(0)
	v_mov_b32_e32 v1, s12
.LBB232_1019:
	s_or_b32 s0, s0, exec_lo
.LBB232_1020:
	s_or_b32 exec_lo, exec_lo, s1
	s_mov_b32 s13, 0
	s_mov_b32 s1, 0
                                        ; implicit-def: $vgpr6
                                        ; implicit-def: $vgpr4_vgpr5
                                        ; implicit-def: $vgpr2
	s_and_saveexec_b32 s12, s0
	s_cbranch_execz .LBB232_1130
; %bb.1021:
	s_waitcnt vmcnt(0)
	s_delay_alu instid0(VALU_DEP_1) | instskip(NEXT) | instid1(VALU_DEP_2)
	v_cmp_neq_f32_e32 vcc_lo, 0, v0
	v_cmp_neq_f32_e64 s0, 0, v1
	v_mov_b32_e32 v2, 0
	s_delay_alu instid0(VALU_DEP_2) | instskip(NEXT) | instid1(SALU_CYCLE_1)
	s_or_b32 s0, vcc_lo, s0
	s_and_saveexec_b32 s13, s0
	s_cbranch_execz .LBB232_1051
; %bb.1022:
	v_mov_b32_e32 v2, 0x7f800000
	s_mov_b32 s14, exec_lo
	v_cmpx_neq_f32_e64 0x7f800000, |v1|
	s_cbranch_execz .LBB232_1050
; %bb.1023:
	s_mov_b32 s0, exec_lo
	v_cmpx_o_f32_e32 v0, v0
	s_xor_b32 s15, exec_lo, s0
	s_cbranch_execz .LBB232_1047
; %bb.1024:
	s_mov_b32 s1, exec_lo
	v_cmpx_neq_f32_e64 0x7f800000, |v0|
	s_xor_b32 s16, exec_lo, s1
	s_cbranch_execz .LBB232_1040
; %bb.1025:
	v_max_f32_e64 v2, |v1|, |v1|
	v_max_f32_e64 v3, |v0|, |v0|
                                        ; implicit-def: $sgpr17
	s_delay_alu instid0(VALU_DEP_1) | instskip(NEXT) | instid1(VALU_DEP_1)
	v_max_f32_e32 v2, v3, v2
	v_cmp_nle_f32_e64 s0, 0x7ed413cb, v2
	s_delay_alu instid0(VALU_DEP_1) | instskip(NEXT) | instid1(SALU_CYCLE_1)
	s_and_saveexec_b32 s1, s0
	s_xor_b32 s1, exec_lo, s1
	s_cbranch_execz .LBB232_1029
; %bb.1026:
	v_cmp_ge_f32_e64 s17, 0x1000000, |v0|
	v_cmp_ge_f32_e64 s18, 0x1000000, |v1|
	s_delay_alu instid0(VALU_DEP_1)
	s_and_b32 s19, s17, s18
	s_mov_b32 s17, 0
	s_and_saveexec_b32 s18, s19
; %bb.1027:
	v_dual_mul_f32 v0, 4.0, v0 :: v_dual_mul_f32 v1, 4.0, v1
	s_mov_b32 s17, exec_lo
; %bb.1028:
	s_or_b32 exec_lo, exec_lo, s18
	s_delay_alu instid0(SALU_CYCLE_1)
	s_and_b32 s17, s17, exec_lo
.LBB232_1029:
	s_and_not1_saveexec_b32 s1, s1
; %bb.1030:
	v_dual_mul_f32 v0, 0x3e800000, v0 :: v_dual_mul_f32 v1, 0x3e800000, v1
	s_and_not1_b32 s17, s17, exec_lo
; %bb.1031:
	s_or_b32 exec_lo, exec_lo, s1
	s_delay_alu instid0(VALU_DEP_1) | instskip(NEXT) | instid1(VALU_DEP_2)
	v_max_f32_e64 v2, |v1|, |v1|
	v_max_f32_e64 v3, |v0|, |v0|
	s_delay_alu instid0(VALU_DEP_1) | instskip(NEXT) | instid1(VALU_DEP_1)
	v_max_f32_e32 v4, v3, v2
	v_cvt_f64_f32_e32 v[2:3], v4
	s_delay_alu instid0(VALU_DEP_1) | instskip(NEXT) | instid1(VALU_DEP_1)
	v_frexp_exp_i32_f64_e32 v2, v[2:3]
	v_sub_nc_u32_e32 v3, 0, v2
	s_delay_alu instid0(VALU_DEP_1) | instskip(SKIP_1) | instid1(VALU_DEP_2)
	v_ldexp_f32 v5, |v1|, v3
	v_ldexp_f32 v3, |v0|, v3
	v_mul_f32_e32 v5, v5, v5
	v_cmp_neq_f32_e64 s1, 0x7f800000, v4
	s_delay_alu instid0(VALU_DEP_2) | instskip(NEXT) | instid1(VALU_DEP_1)
	v_fmac_f32_e32 v5, v3, v3
	v_sqrt_f32_e32 v3, v5
	s_waitcnt_depctr 0xfff
	v_ldexp_f32 v2, v3, v2
                                        ; implicit-def: $vgpr3
	s_delay_alu instid0(VALU_DEP_1)
	v_cndmask_b32_e64 v4, 0x7f800000, v2, s1
                                        ; implicit-def: $vgpr2
	s_mov_b32 s1, exec_lo
	v_cmpx_le_f32_e32 0, v0
	s_xor_b32 s18, exec_lo, s1
	s_cbranch_execz .LBB232_1033
; %bb.1032:
	v_add_f32_e32 v0, v0, v4
	s_delay_alu instid0(VALU_DEP_1) | instskip(NEXT) | instid1(VALU_DEP_1)
	v_mul_f32_e32 v0, 0.5, v0
	v_mul_f32_e32 v2, 0x4f800000, v0
	v_cmp_gt_f32_e32 vcc_lo, 0xf800000, v0
	s_delay_alu instid0(VALU_DEP_2) | instskip(NEXT) | instid1(VALU_DEP_1)
	v_cndmask_b32_e32 v0, v0, v2, vcc_lo
	v_sqrt_f32_e32 v2, v0
	s_waitcnt_depctr 0xfff
	v_add_nc_u32_e32 v3, -1, v2
	v_add_nc_u32_e32 v4, 1, v2
	s_delay_alu instid0(VALU_DEP_2) | instskip(NEXT) | instid1(VALU_DEP_2)
	v_fma_f32 v5, -v3, v2, v0
	v_fma_f32 v6, -v4, v2, v0
	s_delay_alu instid0(VALU_DEP_2) | instskip(NEXT) | instid1(VALU_DEP_1)
	v_cmp_ge_f32_e64 s1, 0, v5
	v_cndmask_b32_e64 v2, v2, v3, s1
	s_delay_alu instid0(VALU_DEP_3) | instskip(NEXT) | instid1(VALU_DEP_1)
	v_cmp_lt_f32_e64 s1, 0, v6
	v_cndmask_b32_e64 v2, v2, v4, s1
	s_delay_alu instid0(VALU_DEP_1) | instskip(NEXT) | instid1(VALU_DEP_1)
	v_mul_f32_e32 v3, 0x37800000, v2
	v_cndmask_b32_e32 v2, v2, v3, vcc_lo
	v_cmp_class_f32_e64 vcc_lo, v0, 0x260
	s_delay_alu instid0(VALU_DEP_2) | instskip(NEXT) | instid1(VALU_DEP_1)
	v_cndmask_b32_e32 v2, v2, v0, vcc_lo
	v_add_f32_e32 v0, v2, v2
	s_delay_alu instid0(VALU_DEP_1) | instskip(NEXT) | instid1(VALU_DEP_1)
	v_div_scale_f32 v3, null, v0, v0, v1
	v_rcp_f32_e32 v4, v3
	s_waitcnt_depctr 0xfff
	v_fma_f32 v5, -v3, v4, 1.0
	s_delay_alu instid0(VALU_DEP_1) | instskip(SKIP_1) | instid1(VALU_DEP_1)
	v_fmac_f32_e32 v4, v5, v4
	v_div_scale_f32 v5, vcc_lo, v1, v0, v1
	v_mul_f32_e32 v6, v5, v4
	s_delay_alu instid0(VALU_DEP_1) | instskip(NEXT) | instid1(VALU_DEP_1)
	v_fma_f32 v7, -v3, v6, v5
	v_fmac_f32_e32 v6, v7, v4
	s_delay_alu instid0(VALU_DEP_1) | instskip(NEXT) | instid1(VALU_DEP_1)
	v_fma_f32 v3, -v3, v6, v5
	v_div_fmas_f32 v3, v3, v4, v6
                                        ; implicit-def: $vgpr4
	s_delay_alu instid0(VALU_DEP_1)
	v_div_fixup_f32 v3, v3, v0, v1
                                        ; implicit-def: $vgpr0
	s_and_not1_saveexec_b32 s18, s18
	s_cbranch_execz .LBB232_1035
	s_branch .LBB232_1034
.LBB232_1033:
	s_and_not1_saveexec_b32 s18, s18
	s_cbranch_execz .LBB232_1035
.LBB232_1034:
	v_sub_f32_e32 v0, v4, v0
	s_delay_alu instid0(VALU_DEP_1) | instskip(NEXT) | instid1(VALU_DEP_1)
	v_mul_f32_e32 v0, 0.5, v0
	v_mul_f32_e32 v2, 0x4f800000, v0
	v_cmp_gt_f32_e32 vcc_lo, 0xf800000, v0
	s_delay_alu instid0(VALU_DEP_2) | instskip(NEXT) | instid1(VALU_DEP_1)
	v_cndmask_b32_e32 v0, v0, v2, vcc_lo
	v_sqrt_f32_e32 v2, v0
	s_waitcnt_depctr 0xfff
	v_add_nc_u32_e32 v3, -1, v2
	v_add_nc_u32_e32 v4, 1, v2
	s_delay_alu instid0(VALU_DEP_2) | instskip(NEXT) | instid1(VALU_DEP_2)
	v_fma_f32 v5, -v3, v2, v0
	v_fma_f32 v6, -v4, v2, v0
	s_delay_alu instid0(VALU_DEP_2) | instskip(NEXT) | instid1(VALU_DEP_1)
	v_cmp_ge_f32_e64 s1, 0, v5
	v_cndmask_b32_e64 v2, v2, v3, s1
	s_delay_alu instid0(VALU_DEP_3) | instskip(NEXT) | instid1(VALU_DEP_1)
	v_cmp_lt_f32_e64 s1, 0, v6
	v_cndmask_b32_e64 v2, v2, v4, s1
	s_delay_alu instid0(VALU_DEP_1) | instskip(NEXT) | instid1(VALU_DEP_1)
	v_mul_f32_e32 v3, 0x37800000, v2
	v_cndmask_b32_e32 v2, v2, v3, vcc_lo
	v_cmp_class_f32_e64 vcc_lo, v0, 0x260
	s_delay_alu instid0(VALU_DEP_2) | instskip(NEXT) | instid1(VALU_DEP_1)
	v_cndmask_b32_e32 v0, v2, v0, vcc_lo
	v_dual_add_f32 v3, v0, v0 :: v_dual_and_b32 v2, 0x7fffffff, v1
	s_delay_alu instid0(VALU_DEP_1) | instskip(SKIP_1) | instid1(VALU_DEP_2)
	v_div_scale_f32 v4, null, v3, v3, v2
	v_div_scale_f32 v2, vcc_lo, v2, v3, v2
	v_rcp_f32_e32 v5, v4
	s_waitcnt_depctr 0xfff
	v_fma_f32 v6, -v4, v5, 1.0
	s_delay_alu instid0(VALU_DEP_1) | instskip(NEXT) | instid1(VALU_DEP_1)
	v_fmac_f32_e32 v5, v6, v5
	v_mul_f32_e32 v6, v2, v5
	s_delay_alu instid0(VALU_DEP_1) | instskip(NEXT) | instid1(VALU_DEP_1)
	v_fma_f32 v7, -v4, v6, v2
	v_fmac_f32_e32 v6, v7, v5
	s_delay_alu instid0(VALU_DEP_1) | instskip(NEXT) | instid1(VALU_DEP_1)
	v_fma_f32 v2, -v4, v6, v2
	v_div_fmas_f32 v2, v2, v5, v6
	s_delay_alu instid0(VALU_DEP_1)
	v_div_fixup_f32 v2, v2, v3, |v1|
	v_bfi_b32 v3, 0x7fffffff, v0, v1
.LBB232_1035:
	s_or_b32 exec_lo, exec_lo, s18
                                        ; implicit-def: $vgpr1
	s_and_saveexec_b32 s1, s0
	s_delay_alu instid0(SALU_CYCLE_1)
	s_xor_b32 s0, exec_lo, s1
	s_cbranch_execz .LBB232_1037
; %bb.1036:
	v_dual_mul_f32 v0, 0.5, v2 :: v_dual_mul_f32 v1, 0.5, v3
	s_delay_alu instid0(VALU_DEP_1) | instskip(NEXT) | instid1(VALU_DEP_2)
	v_cndmask_b32_e64 v0, v2, v0, s17
	v_cndmask_b32_e64 v1, v3, v1, s17
                                        ; implicit-def: $vgpr2
                                        ; implicit-def: $vgpr3
	s_and_not1_saveexec_b32 s0, s0
	s_cbranch_execnz .LBB232_1038
	s_branch .LBB232_1039
.LBB232_1037:
	s_and_not1_saveexec_b32 s0, s0
.LBB232_1038:
	v_dual_add_f32 v0, v2, v2 :: v_dual_add_f32 v1, v3, v3
.LBB232_1039:
	s_or_b32 exec_lo, exec_lo, s0
.LBB232_1040:
	s_and_not1_saveexec_b32 s0, s16
	s_cbranch_execz .LBB232_1046
; %bb.1041:
	s_delay_alu instid0(VALU_DEP_1)
	v_sub_f32_e32 v2, v1, v1
	s_mov_b32 s1, exec_lo
	v_cmpx_lt_i32_e32 -1, v0
	s_xor_b32 s1, exec_lo, s1
; %bb.1042:
	s_delay_alu instid0(VALU_DEP_2)
	v_bfi_b32 v1, 0x7fffffff, v2, v1
                                        ; implicit-def: $vgpr2
; %bb.1043:
	s_and_not1_saveexec_b32 s1, s1
; %bb.1044:
	v_and_b32_e32 v2, 0x7fffffff, v2
	s_delay_alu instid0(VALU_DEP_2) | instskip(NEXT) | instid1(VALU_DEP_2)
	v_bfi_b32 v1, 0x7fffffff, v0, v1
	v_mov_b32_e32 v0, v2
; %bb.1045:
	s_or_b32 exec_lo, exec_lo, s1
.LBB232_1046:
	s_delay_alu instid0(SALU_CYCLE_1)
	s_or_b32 exec_lo, exec_lo, s0
.LBB232_1047:
	s_and_not1_saveexec_b32 s0, s15
; %bb.1048:
	v_sub_f32_e32 v1, v1, v1
	s_delay_alu instid0(VALU_DEP_1) | instskip(NEXT) | instid1(VALU_DEP_1)
	v_div_scale_f32 v2, vcc_lo, v1, v1, v1
	v_rcp_f32_e32 v3, v2
	s_waitcnt_depctr 0xfff
	v_fma_f32 v4, -v2, v3, 1.0
	s_delay_alu instid0(VALU_DEP_1) | instskip(NEXT) | instid1(VALU_DEP_1)
	v_fmac_f32_e32 v3, v4, v3
	v_mul_f32_e32 v4, v2, v3
	s_delay_alu instid0(VALU_DEP_1) | instskip(NEXT) | instid1(VALU_DEP_1)
	v_fma_f32 v5, -v2, v4, v2
	v_fmac_f32_e32 v4, v5, v3
	s_delay_alu instid0(VALU_DEP_1) | instskip(NEXT) | instid1(VALU_DEP_1)
	v_fma_f32 v2, -v2, v4, v2
	v_div_fmas_f32 v2, v2, v3, v4
	s_delay_alu instid0(VALU_DEP_1)
	v_div_fixup_f32 v1, v2, v1, v1
; %bb.1049:
	s_or_b32 exec_lo, exec_lo, s0
	v_mov_b32_e32 v2, v0
.LBB232_1050:
	s_or_b32 exec_lo, exec_lo, s14
.LBB232_1051:
	s_delay_alu instid0(SALU_CYCLE_1) | instskip(SKIP_2) | instid1(VALU_DEP_1)
	s_or_b32 exec_lo, exec_lo, s13
	v_mul_lo_u32 v0, v12, s2
	v_and_b32_e32 v6, 0xff, v11
	v_cmp_gt_i16_e32 vcc_lo, 11, v6
	s_delay_alu instid0(VALU_DEP_3) | instskip(SKIP_1) | instid1(VALU_DEP_1)
	v_ashrrev_i32_e32 v3, 31, v0
	v_add_co_u32 v4, s0, s4, v0
	v_add_co_ci_u32_e64 v5, s0, s5, v3, s0
	s_cbranch_vccnz .LBB232_1058
; %bb.1052:
	v_cmp_lt_i16_e32 vcc_lo, 25, v6
	s_mov_b32 s1, -1
	s_mov_b32 s0, s10
	s_cbranch_vccz .LBB232_1088
; %bb.1053:
	v_cmp_lt_i16_e32 vcc_lo, 28, v6
	s_mov_b32 s0, s10
	s_cbranch_vccz .LBB232_1072
; %bb.1054:
	v_cmp_lt_i16_e32 vcc_lo, 43, v6
	;; [unrolled: 4-line block ×3, first 2 shown]
	s_mov_b32 s0, s10
	s_cbranch_vccz .LBB232_1062
; %bb.1056:
	v_cmp_eq_u16_e32 vcc_lo, 46, v6
	s_mov_b32 s0, -1
	s_cbranch_vccz .LBB232_1061
; %bb.1057:
	v_bfe_u32 v0, v1, 16, 1
	v_bfe_u32 v3, v2, 16, 1
	v_cmp_o_f32_e32 vcc_lo, v1, v1
	s_mov_b32 s0, 0
	s_mov_b32 s1, 0
	v_add3_u32 v0, v1, v0, 0x7fff
	v_add3_u32 v3, v2, v3, 0x7fff
	s_delay_alu instid0(VALU_DEP_2) | instskip(NEXT) | instid1(VALU_DEP_2)
	v_and_b32_e32 v0, 0xffff0000, v0
	v_lshrrev_b32_e32 v3, 16, v3
	s_delay_alu instid0(VALU_DEP_2) | instskip(SKIP_1) | instid1(VALU_DEP_3)
	v_cndmask_b32_e32 v0, 0x7fc00000, v0, vcc_lo
	v_cmp_o_f32_e32 vcc_lo, v2, v2
	v_cndmask_b32_e32 v3, 0x7fc0, v3, vcc_lo
	s_delay_alu instid0(VALU_DEP_1)
	v_or_b32_e32 v0, v0, v3
	global_store_b32 v[4:5], v0, off
	s_branch .LBB232_1062
.LBB232_1058:
	s_mov_b32 s13, 0
	s_mov_b32 s1, -1
	s_mov_b32 s0, s10
	s_branch .LBB232_1129
.LBB232_1059:
	s_trap 2
	s_sendmsg_rtn_b32 s0, sendmsg(MSG_RTN_GET_DOORBELL)
	s_mov_b32 ttmp2, m0
	s_waitcnt lgkmcnt(0)
	s_and_b32 s0, s0, 0x3ff
	s_delay_alu instid0(SALU_CYCLE_1) | instskip(NEXT) | instid1(SALU_CYCLE_1)
	s_bitset1_b32 s0, 10
	s_mov_b32 m0, s0
	s_sendmsg sendmsg(MSG_INTERRUPT)
	s_mov_b32 m0, ttmp2
.LBB232_1060:                           ; =>This Inner Loop Header: Depth=1
	s_sethalt 5
	s_branch .LBB232_1060
.LBB232_1061:
	s_mov_b32 s1, 0
.LBB232_1062:
	s_delay_alu instid0(SALU_CYCLE_1)
	s_and_b32 vcc_lo, exec_lo, s1
	s_cbranch_vccz .LBB232_1067
; %bb.1063:
	v_cmp_eq_u16_e32 vcc_lo, 44, v6
	s_mov_b32 s0, -1
	s_cbranch_vccz .LBB232_1067
; %bb.1064:
	v_bfe_u32 v3, v2, 23, 8
	v_mov_b32_e32 v0, 0xff
	s_mov_b32 s1, exec_lo
	s_delay_alu instid0(VALU_DEP_2)
	v_cmpx_ne_u32_e32 0xff, v3
; %bb.1065:
	v_and_b32_e32 v0, 0x400000, v2
	v_and_or_b32 v3, 0x3fffff, v2, v3
	s_delay_alu instid0(VALU_DEP_2) | instskip(NEXT) | instid1(VALU_DEP_2)
	v_cmp_ne_u32_e32 vcc_lo, 0, v0
	v_cmp_ne_u32_e64 s0, 0, v3
	v_lshrrev_b32_e32 v0, 23, v2
	s_delay_alu instid0(VALU_DEP_2) | instskip(NEXT) | instid1(SALU_CYCLE_1)
	s_and_b32 s0, vcc_lo, s0
	v_cndmask_b32_e64 v3, 0, 1, s0
	s_delay_alu instid0(VALU_DEP_1)
	v_add_nc_u32_e32 v0, v0, v3
; %bb.1066:
	s_or_b32 exec_lo, exec_lo, s1
	s_mov_b32 s0, 0
	global_store_b8 v[4:5], v0, off
.LBB232_1067:
	s_mov_b32 s1, 0
.LBB232_1068:
	s_delay_alu instid0(SALU_CYCLE_1)
	s_and_b32 vcc_lo, exec_lo, s1
	s_cbranch_vccz .LBB232_1071
; %bb.1069:
	v_cmp_eq_u16_e32 vcc_lo, 29, v6
	s_mov_b32 s0, -1
	s_cbranch_vccz .LBB232_1071
; %bb.1070:
	v_trunc_f32_e32 v0, v2
	s_mov_b32 s0, 0
	s_mov_b32 s1, 0
	s_delay_alu instid0(VALU_DEP_1) | instskip(NEXT) | instid1(VALU_DEP_1)
	v_mul_f32_e32 v3, 0x2f800000, v0
	v_floor_f32_e32 v3, v3
	s_delay_alu instid0(VALU_DEP_1) | instskip(SKIP_1) | instid1(VALU_DEP_2)
	v_fmamk_f32 v0, v3, 0xcf800000, v0
	v_cvt_u32_f32_e32 v8, v3
	v_cvt_u32_f32_e32 v7, v0
	global_store_b64 v[4:5], v[7:8], off
	s_branch .LBB232_1072
.LBB232_1071:
	s_mov_b32 s1, 0
.LBB232_1072:
	s_delay_alu instid0(SALU_CYCLE_1)
	s_and_b32 vcc_lo, exec_lo, s1
	s_cbranch_vccz .LBB232_1087
; %bb.1073:
	v_cmp_gt_i16_e32 vcc_lo, 27, v6
	s_mov_b32 s1, -1
	s_cbranch_vccnz .LBB232_1079
; %bb.1074:
	v_cmp_lt_i16_e32 vcc_lo, 27, v6
	v_cvt_u32_f32_e32 v0, v2
	s_cbranch_vccz .LBB232_1076
; %bb.1075:
	s_mov_b32 s1, 0
	global_store_b32 v[4:5], v0, off
.LBB232_1076:
	s_and_not1_b32 vcc_lo, exec_lo, s1
	s_cbranch_vccnz .LBB232_1078
; %bb.1077:
	global_store_b16 v[4:5], v0, off
.LBB232_1078:
	s_mov_b32 s1, 0
.LBB232_1079:
	s_delay_alu instid0(SALU_CYCLE_1)
	s_and_not1_b32 vcc_lo, exec_lo, s1
	s_cbranch_vccnz .LBB232_1087
; %bb.1080:
	v_and_b32_e32 v0, 0x7fffffff, v2
	v_mov_b32_e32 v3, 0x80
	s_mov_b32 s1, exec_lo
	s_delay_alu instid0(VALU_DEP_2)
	v_cmpx_gt_u32_e32 0x43800000, v0
	s_cbranch_execz .LBB232_1086
; %bb.1081:
	v_cmp_lt_u32_e32 vcc_lo, 0x3bffffff, v0
	s_mov_b32 s13, 0
                                        ; implicit-def: $vgpr0
	s_and_saveexec_b32 s14, vcc_lo
	s_delay_alu instid0(SALU_CYCLE_1)
	s_xor_b32 s14, exec_lo, s14
	s_cbranch_execz .LBB232_1357
; %bb.1082:
	v_bfe_u32 v0, v2, 20, 1
	s_mov_b32 s13, exec_lo
	s_delay_alu instid0(VALU_DEP_1) | instskip(NEXT) | instid1(VALU_DEP_1)
	v_add3_u32 v0, v2, v0, 0x487ffff
	v_lshrrev_b32_e32 v0, 20, v0
	s_or_saveexec_b32 s14, s14
                                        ; implicit-def: $sgpr15
	s_delay_alu instid0(SALU_CYCLE_1)
	s_xor_b32 exec_lo, exec_lo, s14
	s_cbranch_execnz .LBB232_1358
.LBB232_1083:
	s_or_b32 exec_lo, exec_lo, s14
	v_mov_b32_e32 v3, s15
	s_and_saveexec_b32 s14, s13
.LBB232_1084:
	v_lshrrev_b32_e32 v3, 24, v2
	s_delay_alu instid0(VALU_DEP_1)
	v_and_or_b32 v3, 0x80, v3, v0
.LBB232_1085:
	s_or_b32 exec_lo, exec_lo, s14
.LBB232_1086:
	s_delay_alu instid0(SALU_CYCLE_1)
	s_or_b32 exec_lo, exec_lo, s1
	global_store_b8 v[4:5], v3, off
.LBB232_1087:
	s_mov_b32 s1, 0
.LBB232_1088:
	s_delay_alu instid0(SALU_CYCLE_1)
	s_and_b32 vcc_lo, exec_lo, s1
	s_mov_b32 s1, 0
	s_cbranch_vccz .LBB232_1128
; %bb.1089:
	v_cmp_lt_i16_e32 vcc_lo, 22, v6
	s_mov_b32 s13, -1
	s_cbranch_vccz .LBB232_1121
; %bb.1090:
	v_cmp_gt_i16_e32 vcc_lo, 24, v6
	s_cbranch_vccnz .LBB232_1110
; %bb.1091:
	v_cmp_lt_i16_e32 vcc_lo, 24, v6
	s_cbranch_vccz .LBB232_1099
; %bb.1092:
	v_and_b32_e32 v0, 0x7fffffff, v2
	v_mov_b32_e32 v3, 0x80
	s_mov_b32 s13, exec_lo
	s_delay_alu instid0(VALU_DEP_2)
	v_cmpx_gt_u32_e32 0x47800000, v0
	s_cbranch_execz .LBB232_1098
; %bb.1093:
	v_cmp_lt_u32_e32 vcc_lo, 0x37ffffff, v0
	s_mov_b32 s14, 0
                                        ; implicit-def: $vgpr0
	s_and_saveexec_b32 s15, vcc_lo
	s_delay_alu instid0(SALU_CYCLE_1)
	s_xor_b32 s15, exec_lo, s15
	s_cbranch_execz .LBB232_1402
; %bb.1094:
	v_bfe_u32 v0, v2, 21, 1
	s_mov_b32 s14, exec_lo
	s_delay_alu instid0(VALU_DEP_1) | instskip(NEXT) | instid1(VALU_DEP_1)
	v_add3_u32 v0, v2, v0, 0x88fffff
	v_lshrrev_b32_e32 v0, 21, v0
	s_or_saveexec_b32 s15, s15
                                        ; implicit-def: $sgpr16
	s_delay_alu instid0(SALU_CYCLE_1)
	s_xor_b32 exec_lo, exec_lo, s15
	s_cbranch_execnz .LBB232_1403
.LBB232_1095:
	s_or_b32 exec_lo, exec_lo, s15
	v_mov_b32_e32 v3, s16
	s_and_saveexec_b32 s15, s14
.LBB232_1096:
	v_lshrrev_b32_e32 v3, 24, v2
	s_delay_alu instid0(VALU_DEP_1)
	v_and_or_b32 v3, 0x80, v3, v0
.LBB232_1097:
	s_or_b32 exec_lo, exec_lo, s15
.LBB232_1098:
	s_delay_alu instid0(SALU_CYCLE_1)
	s_or_b32 exec_lo, exec_lo, s13
	s_mov_b32 s13, 0
	global_store_b8 v[4:5], v3, off
.LBB232_1099:
	s_and_b32 vcc_lo, exec_lo, s13
	s_cbranch_vccz .LBB232_1109
; %bb.1100:
	v_and_b32_e32 v3, 0x7fffffff, v2
	s_mov_b32 s13, exec_lo
                                        ; implicit-def: $vgpr0
	s_delay_alu instid0(VALU_DEP_1)
	v_cmpx_gt_u32_e32 0x43f00000, v3
	s_xor_b32 s13, exec_lo, s13
	s_cbranch_execz .LBB232_1106
; %bb.1101:
	s_mov_b32 s14, exec_lo
                                        ; implicit-def: $vgpr0
	v_cmpx_lt_u32_e32 0x3c7fffff, v3
	s_xor_b32 s14, exec_lo, s14
; %bb.1102:
	v_bfe_u32 v0, v2, 20, 1
	s_delay_alu instid0(VALU_DEP_1) | instskip(NEXT) | instid1(VALU_DEP_1)
	v_add3_u32 v0, v2, v0, 0x407ffff
	v_and_b32_e32 v3, 0xff00000, v0
	v_lshrrev_b32_e32 v0, 20, v0
	s_delay_alu instid0(VALU_DEP_2) | instskip(NEXT) | instid1(VALU_DEP_2)
	v_cmp_ne_u32_e32 vcc_lo, 0x7f00000, v3
	v_cndmask_b32_e32 v0, 0x7e, v0, vcc_lo
; %bb.1103:
	s_and_not1_saveexec_b32 s14, s14
; %bb.1104:
	v_add_f32_e64 v0, 0x46800000, |v2|
; %bb.1105:
	s_or_b32 exec_lo, exec_lo, s14
                                        ; implicit-def: $vgpr3
.LBB232_1106:
	s_and_not1_saveexec_b32 s13, s13
; %bb.1107:
	v_mov_b32_e32 v0, 0x7f
	v_cmp_lt_u32_e32 vcc_lo, 0x7f800000, v3
	s_delay_alu instid0(VALU_DEP_2)
	v_cndmask_b32_e32 v0, 0x7e, v0, vcc_lo
; %bb.1108:
	s_or_b32 exec_lo, exec_lo, s13
	v_lshrrev_b32_e32 v3, 24, v2
	s_delay_alu instid0(VALU_DEP_1)
	v_and_or_b32 v0, 0x80, v3, v0
	global_store_b8 v[4:5], v0, off
.LBB232_1109:
	s_mov_b32 s13, 0
.LBB232_1110:
	s_delay_alu instid0(SALU_CYCLE_1)
	s_and_not1_b32 vcc_lo, exec_lo, s13
	s_cbranch_vccnz .LBB232_1120
; %bb.1111:
	v_and_b32_e32 v3, 0x7fffffff, v2
	s_mov_b32 s13, exec_lo
                                        ; implicit-def: $vgpr0
	s_delay_alu instid0(VALU_DEP_1)
	v_cmpx_gt_u32_e32 0x47800000, v3
	s_xor_b32 s13, exec_lo, s13
	s_cbranch_execz .LBB232_1117
; %bb.1112:
	s_mov_b32 s14, exec_lo
                                        ; implicit-def: $vgpr0
	v_cmpx_lt_u32_e32 0x387fffff, v3
	s_xor_b32 s14, exec_lo, s14
; %bb.1113:
	v_bfe_u32 v0, v2, 21, 1
	s_delay_alu instid0(VALU_DEP_1) | instskip(NEXT) | instid1(VALU_DEP_1)
	v_add3_u32 v0, v2, v0, 0x80fffff
	v_lshrrev_b32_e32 v0, 21, v0
; %bb.1114:
	s_and_not1_saveexec_b32 s14, s14
; %bb.1115:
	v_add_f32_e64 v0, 0x43000000, |v2|
; %bb.1116:
	s_or_b32 exec_lo, exec_lo, s14
                                        ; implicit-def: $vgpr3
.LBB232_1117:
	s_and_not1_saveexec_b32 s13, s13
; %bb.1118:
	v_mov_b32_e32 v0, 0x7f
	v_cmp_lt_u32_e32 vcc_lo, 0x7f800000, v3
	s_delay_alu instid0(VALU_DEP_2)
	v_cndmask_b32_e32 v0, 0x7c, v0, vcc_lo
; %bb.1119:
	s_or_b32 exec_lo, exec_lo, s13
	v_lshrrev_b32_e32 v3, 24, v2
	s_delay_alu instid0(VALU_DEP_1)
	v_and_or_b32 v0, 0x80, v3, v0
	global_store_b8 v[4:5], v0, off
.LBB232_1120:
	s_mov_b32 s13, 0
.LBB232_1121:
	s_delay_alu instid0(SALU_CYCLE_1)
	s_and_not1_b32 vcc_lo, exec_lo, s13
	s_mov_b32 s13, 0
	s_cbranch_vccnz .LBB232_1129
; %bb.1122:
	v_cmp_lt_i16_e32 vcc_lo, 14, v6
	s_mov_b32 s13, -1
	s_cbranch_vccz .LBB232_1126
; %bb.1123:
	v_cmp_eq_u16_e32 vcc_lo, 15, v6
	s_mov_b32 s0, -1
	s_cbranch_vccz .LBB232_1125
; %bb.1124:
	v_bfe_u32 v0, v2, 16, 1
	v_cmp_o_f32_e32 vcc_lo, v2, v2
	s_mov_b32 s0, 0
	s_delay_alu instid0(VALU_DEP_2) | instskip(NEXT) | instid1(VALU_DEP_1)
	v_add3_u32 v0, v2, v0, 0x7fff
	v_lshrrev_b32_e32 v0, 16, v0
	s_delay_alu instid0(VALU_DEP_1)
	v_cndmask_b32_e32 v0, 0x7fc0, v0, vcc_lo
	global_store_b16 v[4:5], v0, off
.LBB232_1125:
	s_mov_b32 s13, 0
.LBB232_1126:
	s_delay_alu instid0(SALU_CYCLE_1)
	s_and_b32 vcc_lo, exec_lo, s13
	s_mov_b32 s13, 0
	s_cbranch_vccz .LBB232_1129
; %bb.1127:
	v_cmp_ne_u16_e32 vcc_lo, 11, v6
	s_and_not1_b32 s0, s0, exec_lo
	s_mov_b32 s13, -1
	s_and_b32 s14, vcc_lo, exec_lo
	s_delay_alu instid0(SALU_CYCLE_1)
	s_or_b32 s0, s0, s14
	s_branch .LBB232_1129
.LBB232_1128:
	s_mov_b32 s13, 0
.LBB232_1129:
	s_and_not1_b32 s10, s10, exec_lo
	s_and_b32 s0, s0, exec_lo
	s_and_b32 s1, s1, exec_lo
	;; [unrolled: 1-line block ×3, first 2 shown]
	s_or_b32 s10, s10, s0
.LBB232_1130:
	s_or_b32 exec_lo, exec_lo, s12
	s_and_saveexec_b32 s0, s10
	s_cbranch_execnz .LBB232_1193
; %bb.1131:
	s_or_b32 exec_lo, exec_lo, s0
	s_and_saveexec_b32 s0, s13
	s_delay_alu instid0(SALU_CYCLE_1)
	s_xor_b32 s10, exec_lo, s0
	s_cbranch_execz .LBB232_1133
.LBB232_1132:
	v_cmp_neq_f32_e32 vcc_lo, 0, v2
	s_waitcnt vmcnt(0)
	s_delay_alu instid0(VALU_DEP_2) | instskip(NEXT) | instid1(VALU_DEP_1)
	v_cmp_neq_f32_e64 s0, 0, v1
	s_or_b32 s0, vcc_lo, s0
	s_delay_alu instid0(SALU_CYCLE_1)
	v_cndmask_b32_e64 v0, 0, 1, s0
	global_store_b8 v[4:5], v0, off
.LBB232_1133:
	s_or_b32 exec_lo, exec_lo, s10
	s_and_saveexec_b32 s0, s1
	s_delay_alu instid0(SALU_CYCLE_1)
	s_xor_b32 s0, exec_lo, s0
	s_cbranch_execz .LBB232_1171
; %bb.1134:
	v_cmp_gt_i16_e32 vcc_lo, 5, v6
	s_mov_b32 s1, -1
	s_cbranch_vccnz .LBB232_1155
; %bb.1135:
	v_cmp_gt_i16_e32 vcc_lo, 8, v6
	s_cbranch_vccnz .LBB232_1145
; %bb.1136:
	v_cmp_gt_i16_e32 vcc_lo, 9, v6
	s_cbranch_vccnz .LBB232_1142
; %bb.1137:
	v_cmp_lt_i16_e32 vcc_lo, 9, v6
	s_cbranch_vccz .LBB232_1139
; %bb.1138:
	v_cvt_f64_f32_e32 v[7:8], v2
	s_waitcnt vmcnt(0)
	v_cvt_f64_f32_e32 v[9:10], v1
	s_mov_b32 s1, 0
	global_store_b128 v[4:5], v[7:10], off
.LBB232_1139:
	s_and_not1_b32 vcc_lo, exec_lo, s1
	s_cbranch_vccnz .LBB232_1141
; %bb.1140:
	s_waitcnt vmcnt(0)
	v_mov_b32_e32 v3, v1
	global_store_b64 v[4:5], v[2:3], off
.LBB232_1141:
	s_mov_b32 s1, 0
.LBB232_1142:
	s_delay_alu instid0(SALU_CYCLE_1)
	s_and_not1_b32 vcc_lo, exec_lo, s1
	s_cbranch_vccnz .LBB232_1144
; %bb.1143:
	s_waitcnt vmcnt(0)
	s_delay_alu instid0(VALU_DEP_4) | instskip(SKIP_1) | instid1(VALU_DEP_2)
	v_cvt_f16_f32_e32 v0, v1
	v_cvt_f16_f32_e32 v1, v2
	v_lshlrev_b32_e32 v0, 16, v0
	s_delay_alu instid0(VALU_DEP_2) | instskip(NEXT) | instid1(VALU_DEP_1)
	v_and_b32_e32 v1, 0xffff, v1
	v_or_b32_e32 v0, v0, v1
	global_store_b32 v[4:5], v0, off
.LBB232_1144:
	s_mov_b32 s1, 0
.LBB232_1145:
	s_delay_alu instid0(SALU_CYCLE_1)
	s_and_not1_b32 vcc_lo, exec_lo, s1
	s_cbranch_vccnz .LBB232_1154
; %bb.1146:
	v_cmp_gt_i16_e32 vcc_lo, 6, v6
	s_mov_b32 s1, -1
	s_cbranch_vccnz .LBB232_1152
; %bb.1147:
	v_cmp_lt_i16_e32 vcc_lo, 6, v6
	s_cbranch_vccz .LBB232_1149
; %bb.1148:
	s_waitcnt vmcnt(0)
	v_cvt_f64_f32_e32 v[0:1], v2
	s_mov_b32 s1, 0
	global_store_b64 v[4:5], v[0:1], off
.LBB232_1149:
	s_and_not1_b32 vcc_lo, exec_lo, s1
	s_cbranch_vccnz .LBB232_1151
; %bb.1150:
	global_store_b32 v[4:5], v2, off
.LBB232_1151:
	s_mov_b32 s1, 0
.LBB232_1152:
	s_delay_alu instid0(SALU_CYCLE_1)
	s_and_not1_b32 vcc_lo, exec_lo, s1
	s_cbranch_vccnz .LBB232_1154
; %bb.1153:
	s_waitcnt vmcnt(0)
	v_cvt_f16_f32_e32 v0, v2
	global_store_b16 v[4:5], v0, off
.LBB232_1154:
	s_mov_b32 s1, 0
.LBB232_1155:
	s_delay_alu instid0(SALU_CYCLE_1)
	s_and_not1_b32 vcc_lo, exec_lo, s1
	s_cbranch_vccnz .LBB232_1171
; %bb.1156:
	v_cmp_gt_i16_e32 vcc_lo, 2, v6
	s_mov_b32 s1, -1
	s_cbranch_vccnz .LBB232_1166
; %bb.1157:
	v_cmp_gt_i16_e32 vcc_lo, 3, v6
	s_cbranch_vccnz .LBB232_1163
; %bb.1158:
	v_cmp_lt_i16_e32 vcc_lo, 3, v6
	s_cbranch_vccz .LBB232_1160
; %bb.1159:
	s_waitcnt vmcnt(0)
	v_trunc_f32_e32 v0, v2
	s_mov_b32 s1, 0
	s_delay_alu instid0(VALU_DEP_1) | instskip(SKIP_1) | instid1(VALU_DEP_2)
	v_mul_f32_e64 v1, 0x2f800000, |v0|
	v_ashrrev_i32_e32 v7, 31, v0
	v_floor_f32_e32 v1, v1
	s_delay_alu instid0(VALU_DEP_1) | instskip(SKIP_1) | instid1(VALU_DEP_2)
	v_fma_f32 v3, 0xcf800000, v1, |v0|
	v_cvt_u32_f32_e32 v1, v1
	v_cvt_u32_f32_e32 v0, v3
	s_delay_alu instid0(VALU_DEP_2) | instskip(NEXT) | instid1(VALU_DEP_2)
	v_xor_b32_e32 v1, v1, v7
	v_xor_b32_e32 v0, v0, v7
	s_delay_alu instid0(VALU_DEP_1) | instskip(NEXT) | instid1(VALU_DEP_3)
	v_sub_co_u32 v0, vcc_lo, v0, v7
	v_sub_co_ci_u32_e32 v1, vcc_lo, v1, v7, vcc_lo
	global_store_b64 v[4:5], v[0:1], off
.LBB232_1160:
	s_and_not1_b32 vcc_lo, exec_lo, s1
	s_cbranch_vccnz .LBB232_1162
; %bb.1161:
	s_waitcnt vmcnt(0)
	v_cvt_i32_f32_e32 v0, v2
	global_store_b32 v[4:5], v0, off
.LBB232_1162:
	s_mov_b32 s1, 0
.LBB232_1163:
	s_delay_alu instid0(SALU_CYCLE_1)
	s_and_not1_b32 vcc_lo, exec_lo, s1
	s_cbranch_vccnz .LBB232_1165
; %bb.1164:
	s_waitcnt vmcnt(0)
	v_cvt_i32_f32_e32 v0, v2
	global_store_b16 v[4:5], v0, off
.LBB232_1165:
	s_mov_b32 s1, 0
.LBB232_1166:
	s_delay_alu instid0(SALU_CYCLE_1)
	s_and_not1_b32 vcc_lo, exec_lo, s1
	s_cbranch_vccnz .LBB232_1171
; %bb.1167:
	v_cmp_lt_i16_e32 vcc_lo, 0, v6
	s_mov_b32 s1, -1
	s_cbranch_vccz .LBB232_1169
; %bb.1168:
	s_waitcnt vmcnt(0)
	v_cvt_i32_f32_e32 v0, v2
	s_mov_b32 s1, 0
	global_store_b8 v[4:5], v0, off
.LBB232_1169:
	s_and_not1_b32 vcc_lo, exec_lo, s1
	s_cbranch_vccnz .LBB232_1171
; %bb.1170:
	s_waitcnt vmcnt(0)
	v_trunc_f32_e32 v0, v2
	s_delay_alu instid0(VALU_DEP_1) | instskip(NEXT) | instid1(VALU_DEP_1)
	v_mul_f32_e64 v1, 0x2f800000, |v0|
	v_floor_f32_e32 v1, v1
	s_delay_alu instid0(VALU_DEP_1) | instskip(SKIP_1) | instid1(VALU_DEP_2)
	v_fma_f32 v1, 0xcf800000, v1, |v0|
	v_ashrrev_i32_e32 v0, 31, v0
	v_cvt_u32_f32_e32 v1, v1
	s_delay_alu instid0(VALU_DEP_1) | instskip(NEXT) | instid1(VALU_DEP_1)
	v_xor_b32_e32 v1, v1, v0
	v_sub_nc_u32_e32 v0, v1, v0
	global_store_b8 v[4:5], v0, off
.LBB232_1171:
	s_or_b32 exec_lo, exec_lo, s0
	s_delay_alu instid0(SALU_CYCLE_1)
	s_and_b32 s10, s11, exec_lo
                                        ; implicit-def: $vgpr12
                                        ; implicit-def: $vgpr13
                                        ; implicit-def: $vgpr11
.LBB232_1172:
	s_or_saveexec_b32 s9, s9
	s_mov_b32 s11, 0
                                        ; implicit-def: $vgpr7
                                        ; implicit-def: $vgpr0_vgpr1
                                        ; implicit-def: $vgpr8
                                        ; implicit-def: $vgpr9
	s_xor_b32 exec_lo, exec_lo, s9
	s_cbranch_execz .LBB232_1826
; %bb.1173:
	v_mul_lo_u32 v5, s3, v12
	v_cmp_gt_i16_e32 vcc_lo, 11, v13
	s_and_b32 vcc_lo, exec_lo, vcc_lo
	s_waitcnt vmcnt(0)
	s_delay_alu instid0(VALU_DEP_2) | instskip(SKIP_1) | instid1(VALU_DEP_1)
	v_ashrrev_i32_e32 v0, 31, v5
	v_add_co_u32 v2, s0, s6, v5
	v_add_co_ci_u32_e64 v3, s0, s7, v0, s0
	s_cbranch_vccnz .LBB232_1180
; %bb.1174:
	v_cmp_lt_i16_e32 vcc_lo, 25, v13
	s_mov_b32 s1, 0
	s_cbranch_vccz .LBB232_1186
; %bb.1175:
	v_cmp_lt_i16_e32 vcc_lo, 28, v13
	s_cbranch_vccz .LBB232_1189
; %bb.1176:
	v_cmp_lt_i16_e32 vcc_lo, 43, v13
	;; [unrolled: 3-line block ×3, first 2 shown]
	s_cbranch_vccz .LBB232_1195
; %bb.1178:
	v_cmp_eq_u16_e32 vcc_lo, 46, v13
	s_cbranch_vccz .LBB232_1236
; %bb.1179:
	global_load_b32 v0, v[2:3], off
	s_mov_b32 s0, 0
	s_mov_b32 s11, -1
	s_waitcnt vmcnt(0)
	v_and_b32_e32 v1, 0xffff0000, v0
	v_lshlrev_b32_e32 v0, 16, v0
	s_branch .LBB232_1238
.LBB232_1180:
	s_mov_b32 s8, s10
                                        ; implicit-def: $vgpr1
	s_cbranch_execz .LBB232_1304
; %bb.1181:
	v_cmp_gt_i16_e32 vcc_lo, 5, v13
	s_cbranch_vccnz .LBB232_1187
; %bb.1182:
	v_cmp_gt_i16_e32 vcc_lo, 8, v13
	s_cbranch_vccnz .LBB232_1190
	;; [unrolled: 3-line block ×3, first 2 shown]
; %bb.1184:
	v_cmp_lt_i16_e32 vcc_lo, 9, v13
	s_cbranch_vccz .LBB232_1196
; %bb.1185:
	global_load_b128 v[6:9], v[2:3], off
	s_mov_b32 s0, 0
	s_waitcnt vmcnt(0)
	v_cvt_f32_f64_e32 v0, v[6:7]
	v_cvt_f32_f64_e32 v1, v[8:9]
	s_branch .LBB232_1197
.LBB232_1186:
	s_mov_b32 s0, 0
                                        ; implicit-def: $vgpr1
	s_cbranch_execnz .LBB232_1270
	s_branch .LBB232_1300
.LBB232_1187:
                                        ; implicit-def: $vgpr1
	s_branch .LBB232_1215
.LBB232_1188:
	s_branch .LBB232_1305
.LBB232_1189:
	s_mov_b32 s0, 0
                                        ; implicit-def: $vgpr1
	s_cbranch_execnz .LBB232_1250
	s_branch .LBB232_1269
.LBB232_1190:
                                        ; implicit-def: $vgpr1
	s_branch .LBB232_1203
.LBB232_1191:
	s_mov_b32 s8, -1
	s_mov_b32 s0, 0
                                        ; implicit-def: $vgpr1
	s_branch .LBB232_1244
.LBB232_1192:
	s_mov_b32 s0, -1
                                        ; implicit-def: $vgpr1
	s_branch .LBB232_1200
.LBB232_1193:
	s_cbranch_execnz .LBB232_1234
; %bb.1194:
	s_or_b32 s11, s11, exec_lo
	s_and_not1_b32 s13, s13, exec_lo
	s_or_b32 exec_lo, exec_lo, s0
	s_and_saveexec_b32 s0, s13
	s_delay_alu instid0(SALU_CYCLE_1)
	s_xor_b32 s10, exec_lo, s0
	s_cbranch_execnz .LBB232_1132
	s_branch .LBB232_1133
.LBB232_1195:
	s_mov_b32 s8, -1
	s_mov_b32 s0, 0
	s_branch .LBB232_1237
.LBB232_1196:
	s_mov_b32 s0, -1
                                        ; implicit-def: $vgpr1
.LBB232_1197:
	s_delay_alu instid0(SALU_CYCLE_1)
	s_and_not1_b32 vcc_lo, exec_lo, s0
	s_cbranch_vccnz .LBB232_1199
; %bb.1198:
	global_load_b64 v[0:1], v[2:3], off
.LBB232_1199:
	s_mov_b32 s0, 0
.LBB232_1200:
	s_delay_alu instid0(SALU_CYCLE_1)
	s_and_not1_b32 vcc_lo, exec_lo, s0
	s_cbranch_vccnz .LBB232_1202
; %bb.1201:
	global_load_b32 v0, v[2:3], off
	s_waitcnt vmcnt(0)
	v_lshrrev_b32_e32 v1, 16, v0
	v_cvt_f32_f16_e32 v0, v0
	s_delay_alu instid0(VALU_DEP_2)
	v_cvt_f32_f16_e32 v1, v1
.LBB232_1202:
	s_cbranch_execnz .LBB232_1214
.LBB232_1203:
	v_cmp_gt_i16_e32 vcc_lo, 6, v13
	s_cbranch_vccnz .LBB232_1206
; %bb.1204:
	v_cmp_lt_i16_e32 vcc_lo, 6, v13
	s_cbranch_vccz .LBB232_1207
; %bb.1205:
	global_load_b64 v[0:1], v[2:3], off
	s_mov_b32 s1, 0
	s_mov_b32 s0, 0
	s_waitcnt vmcnt(0)
	v_cvt_f32_f64_e32 v0, v[0:1]
	s_branch .LBB232_1208
.LBB232_1206:
	s_mov_b32 s1, -1
                                        ; implicit-def: $sgpr0
                                        ; implicit-def: $vgpr0
	s_branch .LBB232_1211
.LBB232_1207:
	s_mov_b32 s1, -1
                                        ; implicit-def: $sgpr0
                                        ; implicit-def: $vgpr0
.LBB232_1208:
	s_delay_alu instid0(SALU_CYCLE_1)
	s_and_not1_b32 vcc_lo, exec_lo, s1
	s_cbranch_vccnz .LBB232_1210
; %bb.1209:
	global_load_b32 v0, v[2:3], off
	s_mov_b32 s0, 0
.LBB232_1210:
	s_mov_b32 s1, 0
.LBB232_1211:
	s_delay_alu instid0(SALU_CYCLE_1)
	s_and_not1_b32 vcc_lo, exec_lo, s1
	s_cbranch_vccnz .LBB232_1213
; %bb.1212:
	global_load_u16 v0, v[2:3], off
	s_mov_b32 s0, 0
	s_waitcnt vmcnt(0)
	v_cvt_f32_f16_e32 v0, v0
.LBB232_1213:
	s_waitcnt vmcnt(0)
	v_mov_b32_e32 v1, s0
.LBB232_1214:
	s_cbranch_execnz .LBB232_1188
.LBB232_1215:
	v_cmp_gt_i16_e32 vcc_lo, 2, v13
	s_cbranch_vccnz .LBB232_1219
; %bb.1216:
	v_cmp_gt_i16_e32 vcc_lo, 3, v13
	s_cbranch_vccnz .LBB232_1220
; %bb.1217:
	v_cmp_lt_i16_e32 vcc_lo, 3, v13
	s_cbranch_vccz .LBB232_1221
; %bb.1218:
	global_load_b64 v[0:1], v[2:3], off
	s_mov_b32 s1, 0
	s_mov_b32 s0, 0
	s_waitcnt vmcnt(0)
	v_xor_b32_e32 v4, v0, v1
	v_cls_i32_e32 v6, v1
	s_delay_alu instid0(VALU_DEP_2) | instskip(NEXT) | instid1(VALU_DEP_2)
	v_ashrrev_i32_e32 v4, 31, v4
	v_add_nc_u32_e32 v6, -1, v6
	s_delay_alu instid0(VALU_DEP_2) | instskip(NEXT) | instid1(VALU_DEP_1)
	v_add_nc_u32_e32 v4, 32, v4
	v_min_u32_e32 v4, v6, v4
	s_delay_alu instid0(VALU_DEP_1) | instskip(NEXT) | instid1(VALU_DEP_1)
	v_lshlrev_b64 v[0:1], v4, v[0:1]
	v_min_u32_e32 v0, 1, v0
	s_delay_alu instid0(VALU_DEP_1) | instskip(SKIP_1) | instid1(VALU_DEP_2)
	v_or_b32_e32 v0, v1, v0
	v_sub_nc_u32_e32 v1, 32, v4
	v_cvt_f32_i32_e32 v0, v0
	s_delay_alu instid0(VALU_DEP_1)
	v_ldexp_f32 v0, v0, v1
	s_branch .LBB232_1222
.LBB232_1219:
                                        ; implicit-def: $sgpr0
                                        ; implicit-def: $vgpr0
	s_branch .LBB232_1228
.LBB232_1220:
	s_mov_b32 s1, -1
                                        ; implicit-def: $sgpr0
                                        ; implicit-def: $vgpr0
	s_branch .LBB232_1225
.LBB232_1221:
	s_mov_b32 s1, -1
                                        ; implicit-def: $sgpr0
                                        ; implicit-def: $vgpr0
.LBB232_1222:
	s_delay_alu instid0(SALU_CYCLE_1)
	s_and_not1_b32 vcc_lo, exec_lo, s1
	s_cbranch_vccnz .LBB232_1224
; %bb.1223:
	global_load_b32 v0, v[2:3], off
	s_mov_b32 s0, 0
	s_waitcnt vmcnt(0)
	v_cvt_f32_i32_e32 v0, v0
.LBB232_1224:
	s_mov_b32 s1, 0
.LBB232_1225:
	s_delay_alu instid0(SALU_CYCLE_1)
	s_and_not1_b32 vcc_lo, exec_lo, s1
	s_cbranch_vccnz .LBB232_1227
; %bb.1226:
	global_load_i16 v0, v[2:3], off
	s_mov_b32 s0, 0
	s_waitcnt vmcnt(0)
	v_cvt_f32_i32_e32 v0, v0
.LBB232_1227:
	s_cbranch_execnz .LBB232_1233
.LBB232_1228:
	v_cmp_lt_i16_e32 vcc_lo, 0, v13
	s_mov_b32 s1, 0
	s_cbranch_vccz .LBB232_1230
; %bb.1229:
	global_load_i8 v0, v[2:3], off
	s_mov_b32 s0, 0
	s_waitcnt vmcnt(0)
	v_cvt_f32_i32_e32 v0, v0
	s_branch .LBB232_1231
.LBB232_1230:
	s_mov_b32 s1, -1
                                        ; implicit-def: $sgpr0
                                        ; implicit-def: $vgpr0
.LBB232_1231:
	s_delay_alu instid0(SALU_CYCLE_1)
	s_and_not1_b32 vcc_lo, exec_lo, s1
	s_cbranch_vccnz .LBB232_1233
; %bb.1232:
	global_load_u8 v0, v[2:3], off
	s_mov_b32 s0, 0
	s_waitcnt vmcnt(0)
	v_cvt_f32_ubyte0_e32 v0, v0
.LBB232_1233:
	s_waitcnt vmcnt(0)
	v_mov_b32_e32 v1, s0
	s_branch .LBB232_1305
.LBB232_1234:
	s_trap 2
	s_sendmsg_rtn_b32 s0, sendmsg(MSG_RTN_GET_DOORBELL)
	s_mov_b32 ttmp2, m0
	s_waitcnt lgkmcnt(0)
	s_and_b32 s0, s0, 0x3ff
	s_delay_alu instid0(SALU_CYCLE_1) | instskip(NEXT) | instid1(SALU_CYCLE_1)
	s_bitset1_b32 s0, 10
	s_mov_b32 m0, s0
	s_sendmsg sendmsg(MSG_INTERRUPT)
	s_mov_b32 m0, ttmp2
.LBB232_1235:                           ; =>This Inner Loop Header: Depth=1
	s_sethalt 5
	s_branch .LBB232_1235
.LBB232_1236:
	s_mov_b32 s0, -1
.LBB232_1237:
                                        ; implicit-def: $vgpr1
.LBB232_1238:
	s_and_b32 vcc_lo, exec_lo, s8
	s_cbranch_vccz .LBB232_1243
; %bb.1239:
	v_cmp_eq_u16_e32 vcc_lo, 44, v13
	s_cbranch_vccz .LBB232_1241
; %bb.1240:
	global_load_u8 v0, v[2:3], off
	s_mov_b32 s0, 0
	s_mov_b32 s11, -1
	s_waitcnt vmcnt(0)
	v_lshlrev_b32_e32 v1, 23, v0
	v_cmp_ne_u32_e32 vcc_lo, 0xff, v0
	s_delay_alu instid0(VALU_DEP_2) | instskip(SKIP_1) | instid1(VALU_DEP_2)
	v_cndmask_b32_e32 v1, 0x7f800001, v1, vcc_lo
	v_cmp_ne_u32_e32 vcc_lo, 0, v0
	v_cndmask_b32_e32 v0, 0x400000, v1, vcc_lo
	s_branch .LBB232_1242
.LBB232_1241:
	s_mov_b32 s0, -1
                                        ; implicit-def: $vgpr0
.LBB232_1242:
	s_delay_alu instid0(SALU_CYCLE_1)
	v_mov_b32_e32 v1, s0
.LBB232_1243:
	s_mov_b32 s8, 0
.LBB232_1244:
	s_delay_alu instid0(SALU_CYCLE_1)
	s_and_b32 vcc_lo, exec_lo, s8
	s_cbranch_vccz .LBB232_1249
; %bb.1245:
	v_cmp_eq_u16_e32 vcc_lo, 29, v13
	s_cbranch_vccz .LBB232_1247
; %bb.1246:
	global_load_b64 v[0:1], v[2:3], off
	s_mov_b32 s0, 0
	s_mov_b32 s11, -1
	s_mov_b32 s8, 0
	s_waitcnt vmcnt(0)
	v_clz_i32_u32_e32 v4, v1
	s_delay_alu instid0(VALU_DEP_1) | instskip(NEXT) | instid1(VALU_DEP_1)
	v_min_u32_e32 v4, 32, v4
	v_lshlrev_b64 v[0:1], v4, v[0:1]
	s_delay_alu instid0(VALU_DEP_1) | instskip(NEXT) | instid1(VALU_DEP_1)
	v_min_u32_e32 v0, 1, v0
	v_or_b32_e32 v0, v1, v0
	v_sub_nc_u32_e32 v1, 32, v4
	s_delay_alu instid0(VALU_DEP_2) | instskip(NEXT) | instid1(VALU_DEP_1)
	v_cvt_f32_u32_e32 v0, v0
	v_ldexp_f32 v0, v0, v1
	s_branch .LBB232_1248
.LBB232_1247:
	s_mov_b32 s0, -1
                                        ; implicit-def: $sgpr8
                                        ; implicit-def: $vgpr0
.LBB232_1248:
	v_mov_b32_e32 v1, s8
.LBB232_1249:
	s_branch .LBB232_1269
.LBB232_1250:
	v_cmp_gt_i16_e32 vcc_lo, 27, v13
	s_cbranch_vccnz .LBB232_1253
; %bb.1251:
	v_cmp_lt_i16_e32 vcc_lo, 27, v13
	s_cbranch_vccz .LBB232_1254
; %bb.1252:
	global_load_b32 v0, v[2:3], off
	s_mov_b32 s11, 0
	s_mov_b32 s8, 0
	s_waitcnt vmcnt(0)
	v_cvt_f32_u32_e32 v0, v0
	s_branch .LBB232_1255
.LBB232_1253:
	s_mov_b32 s11, -1
                                        ; implicit-def: $sgpr8
                                        ; implicit-def: $vgpr0
	s_branch .LBB232_1258
.LBB232_1254:
	s_mov_b32 s11, -1
                                        ; implicit-def: $sgpr8
                                        ; implicit-def: $vgpr0
.LBB232_1255:
	s_delay_alu instid0(SALU_CYCLE_1)
	s_and_not1_b32 vcc_lo, exec_lo, s11
	s_cbranch_vccnz .LBB232_1257
; %bb.1256:
	global_load_u16 v0, v[2:3], off
	s_mov_b32 s8, 0
	s_waitcnt vmcnt(0)
	v_cvt_f32_u32_e32 v0, v0
.LBB232_1257:
	s_mov_b32 s11, 0
.LBB232_1258:
	v_mov_b32_e32 v1, s8
	s_and_not1_b32 vcc_lo, exec_lo, s11
	s_cbranch_vccnz .LBB232_1268
; %bb.1259:
	global_load_u8 v4, v[2:3], off
	s_mov_b32 s8, 0
	s_mov_b32 s13, exec_lo
                                        ; implicit-def: $sgpr12
                                        ; implicit-def: $sgpr11
	s_waitcnt vmcnt(0)
	v_cmpx_lt_i16_e32 0x7f, v4
	s_xor_b32 s13, exec_lo, s13
	s_cbranch_execz .LBB232_1263
; %bb.1260:
	s_mov_b32 s8, -1
	s_mov_b32 s14, exec_lo
                                        ; implicit-def: $sgpr12
                                        ; implicit-def: $sgpr11
	v_cmpx_eq_u16_e32 0x80, v4
; %bb.1261:
	s_mov_b32 s11, 0x7f800001
	s_mov_b32 s12, 0
	s_xor_b32 s8, exec_lo, -1
; %bb.1262:
	s_or_b32 exec_lo, exec_lo, s14
	s_delay_alu instid0(SALU_CYCLE_1)
	s_and_b32 s8, s8, exec_lo
.LBB232_1263:
	s_or_saveexec_b32 s13, s13
	v_dual_mov_b32 v1, s12 :: v_dual_mov_b32 v0, s11
	s_xor_b32 exec_lo, exec_lo, s13
; %bb.1264:
	v_mov_b32_e32 v1, 0
	v_cmp_ne_u16_e32 vcc_lo, 0, v4
	s_and_not1_b32 s8, s8, exec_lo
	s_delay_alu instid0(VALU_DEP_2) | instskip(SKIP_1) | instid1(SALU_CYCLE_1)
	v_mov_b32_e32 v0, v1
	s_and_b32 s11, vcc_lo, exec_lo
	s_or_b32 s8, s8, s11
; %bb.1265:
	s_or_b32 exec_lo, exec_lo, s13
	s_and_saveexec_b32 s11, s8
	s_cbranch_execz .LBB232_1267
; %bb.1266:
	v_and_b32_e32 v0, 0xffff, v4
	v_lshlrev_b32_e32 v4, 24, v4
	s_delay_alu instid0(VALU_DEP_2) | instskip(NEXT) | instid1(VALU_DEP_2)
	v_and_b32_e32 v1, 7, v0
	v_and_b32_e32 v4, 0x80000000, v4
	s_delay_alu instid0(VALU_DEP_2) | instskip(NEXT) | instid1(VALU_DEP_1)
	v_clz_i32_u32_e32 v6, v1
	v_min_u32_e32 v6, 32, v6
	s_delay_alu instid0(VALU_DEP_1) | instskip(SKIP_1) | instid1(VALU_DEP_2)
	v_subrev_nc_u32_e32 v7, 28, v6
	v_sub_nc_u32_e32 v6, 29, v6
	v_lshlrev_b32_e32 v7, v7, v0
	v_bfe_u32 v0, v0, 3, 4
	s_delay_alu instid0(VALU_DEP_2) | instskip(NEXT) | instid1(VALU_DEP_2)
	v_and_b32_e32 v7, 7, v7
	v_cmp_eq_u32_e32 vcc_lo, 0, v0
	s_delay_alu instid0(VALU_DEP_2) | instskip(NEXT) | instid1(VALU_DEP_1)
	v_dual_cndmask_b32 v0, v0, v6 :: v_dual_cndmask_b32 v1, v1, v7
	v_lshl_add_u32 v0, v0, 23, 0x3b800000
	s_delay_alu instid0(VALU_DEP_2) | instskip(NEXT) | instid1(VALU_DEP_1)
	v_lshlrev_b32_e32 v1, 20, v1
	v_or3_b32 v0, v4, v0, v1
	v_mov_b32_e32 v1, 0
.LBB232_1267:
	s_or_b32 exec_lo, exec_lo, s11
.LBB232_1268:
	s_mov_b32 s11, -1
.LBB232_1269:
	s_branch .LBB232_1300
.LBB232_1270:
	v_cmp_lt_i16_e32 vcc_lo, 22, v13
	s_cbranch_vccz .LBB232_1282
; %bb.1271:
	v_cmp_gt_i16_e32 vcc_lo, 24, v13
	s_cbranch_vccnz .LBB232_1283
; %bb.1272:
	v_cmp_lt_i16_e32 vcc_lo, 24, v13
	s_cbranch_vccz .LBB232_1284
; %bb.1273:
	global_load_u8 v4, v[2:3], off
	s_mov_b32 s12, exec_lo
                                        ; implicit-def: $sgpr11
                                        ; implicit-def: $sgpr8
	s_waitcnt vmcnt(0)
	v_cmpx_lt_i16_e32 0x7f, v4
	s_xor_b32 s12, exec_lo, s12
	s_cbranch_execz .LBB232_1277
; %bb.1274:
	s_mov_b32 s1, -1
	s_mov_b32 s13, exec_lo
                                        ; implicit-def: $sgpr11
                                        ; implicit-def: $sgpr8
	v_cmpx_eq_u16_e32 0x80, v4
; %bb.1275:
	s_mov_b32 s8, 0x7f800001
	s_mov_b32 s11, 0
	s_xor_b32 s1, exec_lo, -1
; %bb.1276:
	s_or_b32 exec_lo, exec_lo, s13
	s_delay_alu instid0(SALU_CYCLE_1)
	s_and_b32 s1, s1, exec_lo
.LBB232_1277:
	s_or_saveexec_b32 s12, s12
	v_dual_mov_b32 v1, s11 :: v_dual_mov_b32 v0, s8
	s_xor_b32 exec_lo, exec_lo, s12
; %bb.1278:
	v_mov_b32_e32 v1, 0
	v_cmp_ne_u16_e32 vcc_lo, 0, v4
	s_and_not1_b32 s1, s1, exec_lo
	s_delay_alu instid0(VALU_DEP_2) | instskip(SKIP_1) | instid1(SALU_CYCLE_1)
	v_mov_b32_e32 v0, v1
	s_and_b32 s8, vcc_lo, exec_lo
	s_or_b32 s1, s1, s8
; %bb.1279:
	s_or_b32 exec_lo, exec_lo, s12
	s_and_saveexec_b32 s8, s1
	s_cbranch_execz .LBB232_1281
; %bb.1280:
	v_and_b32_e32 v0, 0xffff, v4
	v_lshlrev_b32_e32 v4, 24, v4
	s_delay_alu instid0(VALU_DEP_2) | instskip(NEXT) | instid1(VALU_DEP_2)
	v_and_b32_e32 v1, 3, v0
	v_and_b32_e32 v4, 0x80000000, v4
	s_delay_alu instid0(VALU_DEP_2) | instskip(NEXT) | instid1(VALU_DEP_1)
	v_clz_i32_u32_e32 v6, v1
	v_min_u32_e32 v6, 32, v6
	s_delay_alu instid0(VALU_DEP_1) | instskip(SKIP_1) | instid1(VALU_DEP_2)
	v_subrev_nc_u32_e32 v7, 29, v6
	v_sub_nc_u32_e32 v6, 30, v6
	v_lshlrev_b32_e32 v7, v7, v0
	v_bfe_u32 v0, v0, 2, 5
	s_delay_alu instid0(VALU_DEP_2) | instskip(NEXT) | instid1(VALU_DEP_2)
	v_and_b32_e32 v7, 3, v7
	v_cmp_eq_u32_e32 vcc_lo, 0, v0
	s_delay_alu instid0(VALU_DEP_2) | instskip(NEXT) | instid1(VALU_DEP_1)
	v_dual_cndmask_b32 v0, v0, v6 :: v_dual_cndmask_b32 v1, v1, v7
	v_lshl_add_u32 v0, v0, 23, 0x37800000
	s_delay_alu instid0(VALU_DEP_2) | instskip(NEXT) | instid1(VALU_DEP_1)
	v_lshlrev_b32_e32 v1, 21, v1
	v_or3_b32 v0, v4, v0, v1
	v_mov_b32_e32 v1, 0
.LBB232_1281:
	s_or_b32 exec_lo, exec_lo, s8
	s_mov_b32 s1, 0
	s_branch .LBB232_1285
.LBB232_1282:
                                        ; implicit-def: $vgpr1
	s_mov_b32 s1, 0
	s_branch .LBB232_1291
.LBB232_1283:
	s_mov_b32 s1, -1
                                        ; implicit-def: $vgpr1
	s_branch .LBB232_1288
.LBB232_1284:
	s_mov_b32 s1, -1
                                        ; implicit-def: $vgpr1
.LBB232_1285:
	s_delay_alu instid0(SALU_CYCLE_1)
	s_and_b32 vcc_lo, exec_lo, s1
	s_cbranch_vccz .LBB232_1287
; %bb.1286:
	global_load_u8 v0, v[2:3], off
	s_waitcnt vmcnt(0)
	v_lshlrev_b32_e32 v0, 24, v0
	s_delay_alu instid0(VALU_DEP_1) | instskip(NEXT) | instid1(VALU_DEP_1)
	v_and_b32_e32 v1, 0x7f000000, v0
	v_clz_i32_u32_e32 v4, v1
	v_cmp_ne_u32_e32 vcc_lo, 0, v1
	v_add_nc_u32_e32 v7, 0x1000000, v1
	s_delay_alu instid0(VALU_DEP_3) | instskip(NEXT) | instid1(VALU_DEP_1)
	v_min_u32_e32 v4, 32, v4
	v_sub_nc_u32_e64 v4, v4, 4 clamp
	s_delay_alu instid0(VALU_DEP_1) | instskip(SKIP_1) | instid1(VALU_DEP_2)
	v_lshlrev_b32_e32 v6, v4, v1
	v_lshlrev_b32_e32 v4, 23, v4
	v_lshrrev_b32_e32 v6, 4, v6
	s_delay_alu instid0(VALU_DEP_1) | instskip(SKIP_1) | instid1(VALU_DEP_2)
	v_sub_nc_u32_e32 v4, v6, v4
	v_ashrrev_i32_e32 v6, 8, v7
	v_add_nc_u32_e32 v4, 0x3c000000, v4
	s_delay_alu instid0(VALU_DEP_1) | instskip(NEXT) | instid1(VALU_DEP_1)
	v_and_or_b32 v4, 0x7f800000, v6, v4
	v_cndmask_b32_e32 v1, 0, v4, vcc_lo
	s_delay_alu instid0(VALU_DEP_1)
	v_and_or_b32 v0, 0x80000000, v0, v1
	v_mov_b32_e32 v1, 0
.LBB232_1287:
	s_mov_b32 s1, 0
.LBB232_1288:
	s_delay_alu instid0(SALU_CYCLE_1)
	s_and_not1_b32 vcc_lo, exec_lo, s1
	s_cbranch_vccnz .LBB232_1290
; %bb.1289:
	global_load_u8 v0, v[2:3], off
	s_waitcnt vmcnt(0)
	v_lshlrev_b32_e32 v1, 25, v0
	v_lshlrev_b16 v0, 8, v0
	s_delay_alu instid0(VALU_DEP_1) | instskip(SKIP_1) | instid1(VALU_DEP_2)
	v_and_or_b32 v6, 0x7f00, v0, 0.5
	v_bfe_i32 v0, v0, 0, 16
	v_add_f32_e32 v6, -0.5, v6
	v_lshrrev_b32_e32 v4, 4, v1
	v_cmp_gt_u32_e32 vcc_lo, 0x8000000, v1
	s_delay_alu instid0(VALU_DEP_2) | instskip(NEXT) | instid1(VALU_DEP_1)
	v_or_b32_e32 v4, 0x70000000, v4
	v_mul_f32_e32 v4, 0x7800000, v4
	s_delay_alu instid0(VALU_DEP_1) | instskip(NEXT) | instid1(VALU_DEP_1)
	v_cndmask_b32_e32 v1, v4, v6, vcc_lo
	v_and_or_b32 v0, 0x80000000, v0, v1
	v_mov_b32_e32 v1, 0
.LBB232_1290:
	s_mov_b32 s11, -1
	s_mov_b32 s1, 0
	s_cbranch_execnz .LBB232_1300
.LBB232_1291:
	v_cmp_lt_i16_e32 vcc_lo, 14, v13
	s_cbranch_vccz .LBB232_1294
; %bb.1292:
	v_cmp_eq_u16_e32 vcc_lo, 15, v13
	s_cbranch_vccz .LBB232_1295
; %bb.1293:
	global_load_u16 v0, v[2:3], off
	s_mov_b32 s0, 0
	s_mov_b32 s11, -1
	s_mov_b32 s8, 0
	s_waitcnt vmcnt(0)
	v_lshlrev_b32_e32 v0, 16, v0
	s_branch .LBB232_1297
.LBB232_1294:
	s_mov_b32 s1, -1
	s_branch .LBB232_1296
.LBB232_1295:
	s_mov_b32 s0, -1
.LBB232_1296:
                                        ; implicit-def: $sgpr8
                                        ; implicit-def: $vgpr0
.LBB232_1297:
	s_and_b32 vcc_lo, exec_lo, s1
	s_mov_b32 s1, 0
	s_cbranch_vccz .LBB232_1299
; %bb.1298:
	v_cmp_ne_u16_e64 s0, 11, v13
	s_mov_b32 s1, -1
                                        ; implicit-def: $sgpr8
                                        ; implicit-def: $vgpr0
.LBB232_1299:
	v_mov_b32_e32 v1, s8
.LBB232_1300:
	s_delay_alu instid0(VALU_DEP_2)
	s_and_b32 vcc_lo, exec_lo, s0
	s_mov_b32 s8, s10
	s_cbranch_vccnz .LBB232_1355
; %bb.1301:
	s_and_not1_b32 vcc_lo, exec_lo, s1
	s_cbranch_vccnz .LBB232_1303
.LBB232_1302:
	global_load_u8 v0, v[2:3], off
	v_mov_b32_e32 v1, 0
	s_mov_b32 s11, -1
	s_waitcnt vmcnt(0)
	v_cmp_ne_u16_e32 vcc_lo, 0, v0
	v_cndmask_b32_e64 v0, 0, 1.0, vcc_lo
.LBB232_1303:
.LBB232_1304:
	s_and_not1_b32 vcc_lo, exec_lo, s11
	s_cbranch_vccnz .LBB232_1824
.LBB232_1305:
	s_waitcnt vmcnt(0)
	s_delay_alu instid0(VALU_DEP_1) | instskip(NEXT) | instid1(VALU_DEP_2)
	v_cmp_neq_f32_e32 vcc_lo, 0, v0
	v_cmp_neq_f32_e64 s0, 0, v1
	v_mov_b32_e32 v4, 0
	s_delay_alu instid0(VALU_DEP_2) | instskip(NEXT) | instid1(SALU_CYCLE_1)
	s_or_b32 s0, vcc_lo, s0
	s_and_saveexec_b32 s11, s0
	s_cbranch_execz .LBB232_1335
; %bb.1306:
	v_mov_b32_e32 v4, 0x7f800000
	s_mov_b32 s12, exec_lo
	v_cmpx_neq_f32_e64 0x7f800000, |v1|
	s_cbranch_execz .LBB232_1334
; %bb.1307:
	s_mov_b32 s0, exec_lo
	v_cmpx_o_f32_e32 v0, v0
	s_xor_b32 s13, exec_lo, s0
	s_cbranch_execz .LBB232_1331
; %bb.1308:
	s_mov_b32 s1, exec_lo
	v_cmpx_neq_f32_e64 0x7f800000, |v0|
	s_xor_b32 s14, exec_lo, s1
	s_cbranch_execz .LBB232_1324
; %bb.1309:
	v_max_f32_e64 v2, |v1|, |v1|
	v_max_f32_e64 v3, |v0|, |v0|
                                        ; implicit-def: $sgpr15
	s_delay_alu instid0(VALU_DEP_1) | instskip(NEXT) | instid1(VALU_DEP_1)
	v_max_f32_e32 v2, v3, v2
	v_cmp_nle_f32_e64 s0, 0x7ed413cb, v2
	s_delay_alu instid0(VALU_DEP_1) | instskip(NEXT) | instid1(SALU_CYCLE_1)
	s_and_saveexec_b32 s1, s0
	s_xor_b32 s1, exec_lo, s1
	s_cbranch_execz .LBB232_1313
; %bb.1310:
	v_cmp_ge_f32_e64 s15, 0x1000000, |v0|
	v_cmp_ge_f32_e64 s16, 0x1000000, |v1|
	s_delay_alu instid0(VALU_DEP_1)
	s_and_b32 s17, s15, s16
	s_mov_b32 s15, 0
	s_and_saveexec_b32 s16, s17
; %bb.1311:
	v_dual_mul_f32 v0, 4.0, v0 :: v_dual_mul_f32 v1, 4.0, v1
	s_mov_b32 s15, exec_lo
; %bb.1312:
	s_or_b32 exec_lo, exec_lo, s16
	s_delay_alu instid0(SALU_CYCLE_1)
	s_and_b32 s15, s15, exec_lo
.LBB232_1313:
	s_and_not1_saveexec_b32 s1, s1
; %bb.1314:
	v_dual_mul_f32 v0, 0x3e800000, v0 :: v_dual_mul_f32 v1, 0x3e800000, v1
	s_and_not1_b32 s15, s15, exec_lo
; %bb.1315:
	s_or_b32 exec_lo, exec_lo, s1
	s_delay_alu instid0(VALU_DEP_1) | instskip(NEXT) | instid1(VALU_DEP_2)
	v_max_f32_e64 v2, |v1|, |v1|
	v_max_f32_e64 v3, |v0|, |v0|
	s_delay_alu instid0(VALU_DEP_1) | instskip(NEXT) | instid1(VALU_DEP_1)
	v_max_f32_e32 v4, v3, v2
	v_cvt_f64_f32_e32 v[2:3], v4
	v_cmp_neq_f32_e64 s1, 0x7f800000, v4
	s_delay_alu instid0(VALU_DEP_2) | instskip(NEXT) | instid1(VALU_DEP_1)
	v_frexp_exp_i32_f64_e32 v2, v[2:3]
	v_sub_nc_u32_e32 v3, 0, v2
	s_delay_alu instid0(VALU_DEP_1) | instskip(SKIP_1) | instid1(VALU_DEP_2)
	v_ldexp_f32 v6, |v1|, v3
	v_ldexp_f32 v3, |v0|, v3
	v_mul_f32_e32 v6, v6, v6
	s_delay_alu instid0(VALU_DEP_1) | instskip(NEXT) | instid1(VALU_DEP_1)
	v_fmac_f32_e32 v6, v3, v3
	v_sqrt_f32_e32 v3, v6
	s_waitcnt_depctr 0xfff
	v_ldexp_f32 v2, v3, v2
                                        ; implicit-def: $vgpr3
	s_delay_alu instid0(VALU_DEP_1)
	v_cndmask_b32_e64 v4, 0x7f800000, v2, s1
                                        ; implicit-def: $vgpr2
	s_mov_b32 s1, exec_lo
	v_cmpx_le_f32_e32 0, v0
	s_xor_b32 s16, exec_lo, s1
	s_cbranch_execz .LBB232_1317
; %bb.1316:
	v_add_f32_e32 v0, v0, v4
	s_delay_alu instid0(VALU_DEP_1) | instskip(NEXT) | instid1(VALU_DEP_1)
	v_mul_f32_e32 v0, 0.5, v0
	v_mul_f32_e32 v2, 0x4f800000, v0
	v_cmp_gt_f32_e32 vcc_lo, 0xf800000, v0
	s_delay_alu instid0(VALU_DEP_2) | instskip(NEXT) | instid1(VALU_DEP_1)
	v_cndmask_b32_e32 v0, v0, v2, vcc_lo
	v_sqrt_f32_e32 v2, v0
	s_waitcnt_depctr 0xfff
	v_add_nc_u32_e32 v3, -1, v2
	v_add_nc_u32_e32 v4, 1, v2
	s_delay_alu instid0(VALU_DEP_2) | instskip(NEXT) | instid1(VALU_DEP_2)
	v_fma_f32 v6, -v3, v2, v0
	v_fma_f32 v7, -v4, v2, v0
	s_delay_alu instid0(VALU_DEP_2) | instskip(NEXT) | instid1(VALU_DEP_1)
	v_cmp_ge_f32_e64 s1, 0, v6
	v_cndmask_b32_e64 v2, v2, v3, s1
	s_delay_alu instid0(VALU_DEP_3) | instskip(NEXT) | instid1(VALU_DEP_1)
	v_cmp_lt_f32_e64 s1, 0, v7
	v_cndmask_b32_e64 v2, v2, v4, s1
	s_delay_alu instid0(VALU_DEP_1) | instskip(NEXT) | instid1(VALU_DEP_1)
	v_mul_f32_e32 v3, 0x37800000, v2
	v_cndmask_b32_e32 v2, v2, v3, vcc_lo
	v_cmp_class_f32_e64 vcc_lo, v0, 0x260
	s_delay_alu instid0(VALU_DEP_2) | instskip(NEXT) | instid1(VALU_DEP_1)
	v_cndmask_b32_e32 v2, v2, v0, vcc_lo
	v_add_f32_e32 v0, v2, v2
	s_delay_alu instid0(VALU_DEP_1) | instskip(NEXT) | instid1(VALU_DEP_1)
	v_div_scale_f32 v3, null, v0, v0, v1
	v_rcp_f32_e32 v4, v3
	s_waitcnt_depctr 0xfff
	v_fma_f32 v6, -v3, v4, 1.0
	s_delay_alu instid0(VALU_DEP_1) | instskip(SKIP_1) | instid1(VALU_DEP_1)
	v_fmac_f32_e32 v4, v6, v4
	v_div_scale_f32 v6, vcc_lo, v1, v0, v1
	v_mul_f32_e32 v7, v6, v4
	s_delay_alu instid0(VALU_DEP_1) | instskip(NEXT) | instid1(VALU_DEP_1)
	v_fma_f32 v8, -v3, v7, v6
	v_fmac_f32_e32 v7, v8, v4
	s_delay_alu instid0(VALU_DEP_1) | instskip(NEXT) | instid1(VALU_DEP_1)
	v_fma_f32 v3, -v3, v7, v6
	v_div_fmas_f32 v3, v3, v4, v7
                                        ; implicit-def: $vgpr4
	s_delay_alu instid0(VALU_DEP_1)
	v_div_fixup_f32 v3, v3, v0, v1
                                        ; implicit-def: $vgpr0
	s_and_not1_saveexec_b32 s16, s16
	s_cbranch_execz .LBB232_1319
	s_branch .LBB232_1318
.LBB232_1317:
	s_and_not1_saveexec_b32 s16, s16
	s_cbranch_execz .LBB232_1319
.LBB232_1318:
	v_sub_f32_e32 v0, v4, v0
	s_delay_alu instid0(VALU_DEP_1) | instskip(NEXT) | instid1(VALU_DEP_1)
	v_mul_f32_e32 v0, 0.5, v0
	v_mul_f32_e32 v2, 0x4f800000, v0
	v_cmp_gt_f32_e32 vcc_lo, 0xf800000, v0
	s_delay_alu instid0(VALU_DEP_2) | instskip(NEXT) | instid1(VALU_DEP_1)
	v_cndmask_b32_e32 v0, v0, v2, vcc_lo
	v_sqrt_f32_e32 v2, v0
	s_waitcnt_depctr 0xfff
	v_add_nc_u32_e32 v3, -1, v2
	v_add_nc_u32_e32 v4, 1, v2
	s_delay_alu instid0(VALU_DEP_2) | instskip(NEXT) | instid1(VALU_DEP_2)
	v_fma_f32 v6, -v3, v2, v0
	v_fma_f32 v7, -v4, v2, v0
	s_delay_alu instid0(VALU_DEP_2) | instskip(NEXT) | instid1(VALU_DEP_1)
	v_cmp_ge_f32_e64 s1, 0, v6
	v_cndmask_b32_e64 v2, v2, v3, s1
	s_delay_alu instid0(VALU_DEP_3) | instskip(NEXT) | instid1(VALU_DEP_1)
	v_cmp_lt_f32_e64 s1, 0, v7
	v_cndmask_b32_e64 v2, v2, v4, s1
	s_delay_alu instid0(VALU_DEP_1) | instskip(NEXT) | instid1(VALU_DEP_1)
	v_mul_f32_e32 v3, 0x37800000, v2
	v_cndmask_b32_e32 v2, v2, v3, vcc_lo
	v_cmp_class_f32_e64 vcc_lo, v0, 0x260
	s_delay_alu instid0(VALU_DEP_2) | instskip(NEXT) | instid1(VALU_DEP_1)
	v_cndmask_b32_e32 v0, v2, v0, vcc_lo
	v_dual_add_f32 v3, v0, v0 :: v_dual_and_b32 v2, 0x7fffffff, v1
	s_delay_alu instid0(VALU_DEP_1) | instskip(SKIP_1) | instid1(VALU_DEP_2)
	v_div_scale_f32 v4, null, v3, v3, v2
	v_div_scale_f32 v2, vcc_lo, v2, v3, v2
	v_rcp_f32_e32 v6, v4
	s_waitcnt_depctr 0xfff
	v_fma_f32 v7, -v4, v6, 1.0
	s_delay_alu instid0(VALU_DEP_1) | instskip(NEXT) | instid1(VALU_DEP_1)
	v_fmac_f32_e32 v6, v7, v6
	v_mul_f32_e32 v7, v2, v6
	s_delay_alu instid0(VALU_DEP_1) | instskip(NEXT) | instid1(VALU_DEP_1)
	v_fma_f32 v8, -v4, v7, v2
	v_fmac_f32_e32 v7, v8, v6
	s_delay_alu instid0(VALU_DEP_1) | instskip(NEXT) | instid1(VALU_DEP_1)
	v_fma_f32 v2, -v4, v7, v2
	v_div_fmas_f32 v2, v2, v6, v7
	s_delay_alu instid0(VALU_DEP_1)
	v_div_fixup_f32 v2, v2, v3, |v1|
	v_bfi_b32 v3, 0x7fffffff, v0, v1
.LBB232_1319:
	s_or_b32 exec_lo, exec_lo, s16
                                        ; implicit-def: $vgpr1
	s_and_saveexec_b32 s1, s0
	s_delay_alu instid0(SALU_CYCLE_1)
	s_xor_b32 s0, exec_lo, s1
	s_cbranch_execz .LBB232_1321
; %bb.1320:
	v_dual_mul_f32 v0, 0.5, v2 :: v_dual_mul_f32 v1, 0.5, v3
	s_delay_alu instid0(VALU_DEP_1) | instskip(NEXT) | instid1(VALU_DEP_2)
	v_cndmask_b32_e64 v0, v2, v0, s15
	v_cndmask_b32_e64 v1, v3, v1, s15
                                        ; implicit-def: $vgpr2
                                        ; implicit-def: $vgpr3
	s_and_not1_saveexec_b32 s0, s0
	s_cbranch_execnz .LBB232_1322
	s_branch .LBB232_1323
.LBB232_1321:
	s_and_not1_saveexec_b32 s0, s0
.LBB232_1322:
	v_dual_add_f32 v0, v2, v2 :: v_dual_add_f32 v1, v3, v3
.LBB232_1323:
	s_or_b32 exec_lo, exec_lo, s0
.LBB232_1324:
	s_and_not1_saveexec_b32 s0, s14
	s_cbranch_execz .LBB232_1330
; %bb.1325:
	s_delay_alu instid0(VALU_DEP_1)
	v_sub_f32_e32 v2, v1, v1
	s_mov_b32 s1, exec_lo
	v_cmpx_lt_i32_e32 -1, v0
	s_xor_b32 s1, exec_lo, s1
; %bb.1326:
	s_delay_alu instid0(VALU_DEP_2)
	v_bfi_b32 v1, 0x7fffffff, v2, v1
                                        ; implicit-def: $vgpr2
; %bb.1327:
	s_and_not1_saveexec_b32 s1, s1
; %bb.1328:
	v_and_b32_e32 v2, 0x7fffffff, v2
	s_delay_alu instid0(VALU_DEP_2) | instskip(NEXT) | instid1(VALU_DEP_2)
	v_bfi_b32 v1, 0x7fffffff, v0, v1
	v_mov_b32_e32 v0, v2
; %bb.1329:
	s_or_b32 exec_lo, exec_lo, s1
.LBB232_1330:
	s_delay_alu instid0(SALU_CYCLE_1)
	s_or_b32 exec_lo, exec_lo, s0
.LBB232_1331:
	s_and_not1_saveexec_b32 s0, s13
; %bb.1332:
	v_sub_f32_e32 v1, v1, v1
	s_delay_alu instid0(VALU_DEP_1) | instskip(NEXT) | instid1(VALU_DEP_1)
	v_div_scale_f32 v2, vcc_lo, v1, v1, v1
	v_rcp_f32_e32 v3, v2
	s_waitcnt_depctr 0xfff
	v_fma_f32 v4, -v2, v3, 1.0
	s_delay_alu instid0(VALU_DEP_1) | instskip(NEXT) | instid1(VALU_DEP_1)
	v_fmac_f32_e32 v3, v4, v3
	v_mul_f32_e32 v4, v2, v3
	s_delay_alu instid0(VALU_DEP_1) | instskip(NEXT) | instid1(VALU_DEP_1)
	v_fma_f32 v6, -v2, v4, v2
	v_fmac_f32_e32 v4, v6, v3
	s_delay_alu instid0(VALU_DEP_1) | instskip(NEXT) | instid1(VALU_DEP_1)
	v_fma_f32 v2, -v2, v4, v2
	v_div_fmas_f32 v2, v2, v3, v4
	s_delay_alu instid0(VALU_DEP_1)
	v_div_fixup_f32 v1, v2, v1, v1
; %bb.1333:
	s_or_b32 exec_lo, exec_lo, s0
	v_mov_b32_e32 v4, v0
.LBB232_1334:
	s_or_b32 exec_lo, exec_lo, s12
.LBB232_1335:
	s_delay_alu instid0(SALU_CYCLE_1) | instskip(SKIP_3) | instid1(VALU_DEP_1)
	s_or_b32 exec_lo, exec_lo, s11
	s_lshl_b32 s3, s3, 7
	v_cmp_gt_i16_e32 vcc_lo, 11, v13
	v_add_nc_u32_e32 v7, s3, v5
	v_ashrrev_i32_e32 v0, 31, v7
	v_add_co_u32 v5, s0, s6, v7
	s_delay_alu instid0(VALU_DEP_1)
	v_add_co_ci_u32_e64 v6, s0, s7, v0, s0
	s_cbranch_vccnz .LBB232_1342
; %bb.1336:
	v_cmp_lt_i16_e32 vcc_lo, 25, v13
	s_mov_b32 s1, 0
	s_cbranch_vccz .LBB232_1348
; %bb.1337:
	v_cmp_lt_i16_e32 vcc_lo, 28, v13
	s_cbranch_vccz .LBB232_1351
; %bb.1338:
	v_cmp_lt_i16_e32 vcc_lo, 43, v13
	;; [unrolled: 3-line block ×3, first 2 shown]
	s_cbranch_vccz .LBB232_1359
; %bb.1340:
	v_cmp_eq_u16_e32 vcc_lo, 46, v13
	s_mov_b32 s12, 0
	s_cbranch_vccz .LBB232_1404
; %bb.1341:
	global_load_b32 v0, v[5:6], off
	s_mov_b32 s0, 0
	s_mov_b32 s11, -1
	s_waitcnt vmcnt(0)
	v_and_b32_e32 v3, 0xffff0000, v0
	v_lshlrev_b32_e32 v2, 16, v0
	s_branch .LBB232_1406
.LBB232_1342:
	s_mov_b32 s11, 0
                                        ; implicit-def: $vgpr3
	s_cbranch_execz .LBB232_1474
; %bb.1343:
	v_cmp_gt_i16_e32 vcc_lo, 5, v13
	s_cbranch_vccnz .LBB232_1349
; %bb.1344:
	v_cmp_gt_i16_e32 vcc_lo, 8, v13
	s_cbranch_vccnz .LBB232_1352
	;; [unrolled: 3-line block ×3, first 2 shown]
; %bb.1346:
	v_cmp_lt_i16_e32 vcc_lo, 9, v13
	s_cbranch_vccz .LBB232_1360
; %bb.1347:
	global_load_b128 v[14:17], v[5:6], off
	s_mov_b32 s0, 0
	s_waitcnt vmcnt(0)
	v_cvt_f32_f64_e32 v2, v[14:15]
	v_cvt_f32_f64_e32 v3, v[16:17]
	s_branch .LBB232_1361
.LBB232_1348:
	s_mov_b32 s11, 0
	s_mov_b32 s0, 0
                                        ; implicit-def: $vgpr3
	s_cbranch_execnz .LBB232_1439
	s_branch .LBB232_1470
.LBB232_1349:
                                        ; implicit-def: $vgpr3
	s_branch .LBB232_1380
.LBB232_1350:
	s_branch .LBB232_1475
.LBB232_1351:
	s_mov_b32 s12, -1
	s_mov_b32 s11, 0
	s_mov_b32 s0, 0
                                        ; implicit-def: $vgpr3
	s_branch .LBB232_1418
.LBB232_1352:
	s_mov_b32 s0, -1
                                        ; implicit-def: $vgpr3
	s_branch .LBB232_1367
.LBB232_1353:
	s_mov_b32 s12, -1
	s_mov_b32 s11, 0
	s_mov_b32 s0, 0
                                        ; implicit-def: $vgpr3
	s_branch .LBB232_1412
.LBB232_1354:
	s_mov_b32 s0, -1
                                        ; implicit-def: $vgpr3
	s_branch .LBB232_1364
.LBB232_1355:
	s_cbranch_execnz .LBB232_1400
; %bb.1356:
	s_or_b32 s8, s10, exec_lo
                                        ; implicit-def: $vgpr1
	s_cbranch_execz .LBB232_1302
	s_branch .LBB232_1303
.LBB232_1357:
	s_or_saveexec_b32 s14, s14
                                        ; implicit-def: $sgpr15
	s_delay_alu instid0(SALU_CYCLE_1)
	s_xor_b32 exec_lo, exec_lo, s14
	s_cbranch_execz .LBB232_1083
.LBB232_1358:
	v_add_f32_e64 v0, 0x46000000, |v2|
	s_and_not1_b32 s13, s13, exec_lo
	s_mov_b32 s15, 0
	s_delay_alu instid0(VALU_DEP_1) | instskip(NEXT) | instid1(VALU_DEP_1)
	v_and_b32_e32 v0, 0xff, v0
	v_cmp_ne_u32_e32 vcc_lo, 0, v0
	s_and_b32 s16, vcc_lo, exec_lo
	s_delay_alu instid0(SALU_CYCLE_1)
	s_or_b32 s13, s13, s16
	s_or_b32 exec_lo, exec_lo, s14
	v_mov_b32_e32 v3, s15
	s_and_saveexec_b32 s14, s13
	s_cbranch_execnz .LBB232_1084
	s_branch .LBB232_1085
.LBB232_1359:
	s_mov_b32 s12, -1
	s_mov_b32 s11, 0
	s_mov_b32 s0, 0
	s_branch .LBB232_1405
.LBB232_1360:
	s_mov_b32 s0, -1
                                        ; implicit-def: $vgpr3
.LBB232_1361:
	s_delay_alu instid0(SALU_CYCLE_1)
	s_and_not1_b32 vcc_lo, exec_lo, s0
	s_cbranch_vccnz .LBB232_1363
; %bb.1362:
	global_load_b64 v[2:3], v[5:6], off
.LBB232_1363:
	s_mov_b32 s0, 0
.LBB232_1364:
	s_delay_alu instid0(SALU_CYCLE_1)
	s_and_not1_b32 vcc_lo, exec_lo, s0
	s_cbranch_vccnz .LBB232_1366
; %bb.1365:
	global_load_b32 v0, v[5:6], off
	s_waitcnt vmcnt(0)
	v_lshrrev_b32_e32 v3, 16, v0
	v_cvt_f32_f16_e32 v2, v0
	s_delay_alu instid0(VALU_DEP_2)
	v_cvt_f32_f16_e32 v3, v3
.LBB232_1366:
	s_mov_b32 s0, 0
.LBB232_1367:
	s_delay_alu instid0(SALU_CYCLE_1)
	s_and_not1_b32 vcc_lo, exec_lo, s0
	s_cbranch_vccnz .LBB232_1379
; %bb.1368:
	v_cmp_gt_i16_e32 vcc_lo, 6, v13
	s_cbranch_vccnz .LBB232_1371
; %bb.1369:
	v_cmp_lt_i16_e32 vcc_lo, 6, v13
	s_cbranch_vccz .LBB232_1372
; %bb.1370:
	global_load_b64 v[2:3], v[5:6], off
	s_mov_b32 s1, 0
	s_mov_b32 s0, 0
	s_waitcnt vmcnt(0)
	v_cvt_f32_f64_e32 v2, v[2:3]
	s_branch .LBB232_1373
.LBB232_1371:
	s_mov_b32 s1, -1
                                        ; implicit-def: $sgpr0
                                        ; implicit-def: $vgpr2
	s_branch .LBB232_1376
.LBB232_1372:
	s_mov_b32 s1, -1
                                        ; implicit-def: $sgpr0
                                        ; implicit-def: $vgpr2
.LBB232_1373:
	s_delay_alu instid0(SALU_CYCLE_1)
	s_and_not1_b32 vcc_lo, exec_lo, s1
	s_cbranch_vccnz .LBB232_1375
; %bb.1374:
	global_load_b32 v2, v[5:6], off
	s_mov_b32 s0, 0
.LBB232_1375:
	s_mov_b32 s1, 0
.LBB232_1376:
	s_delay_alu instid0(SALU_CYCLE_1)
	s_and_not1_b32 vcc_lo, exec_lo, s1
	s_cbranch_vccnz .LBB232_1378
; %bb.1377:
	global_load_u16 v0, v[5:6], off
	s_mov_b32 s0, 0
	s_waitcnt vmcnt(0)
	v_cvt_f32_f16_e32 v2, v0
.LBB232_1378:
	s_waitcnt vmcnt(0)
	v_mov_b32_e32 v3, s0
.LBB232_1379:
	s_cbranch_execnz .LBB232_1350
.LBB232_1380:
	v_cmp_gt_i16_e32 vcc_lo, 2, v13
	s_cbranch_vccnz .LBB232_1384
; %bb.1381:
	v_cmp_gt_i16_e32 vcc_lo, 3, v13
	s_cbranch_vccnz .LBB232_1385
; %bb.1382:
	v_cmp_lt_i16_e32 vcc_lo, 3, v13
	s_cbranch_vccz .LBB232_1386
; %bb.1383:
	global_load_b64 v[2:3], v[5:6], off
	s_mov_b32 s1, 0
	s_mov_b32 s0, 0
	s_waitcnt vmcnt(0)
	v_xor_b32_e32 v0, v2, v3
	v_cls_i32_e32 v8, v3
	s_delay_alu instid0(VALU_DEP_2) | instskip(NEXT) | instid1(VALU_DEP_2)
	v_ashrrev_i32_e32 v0, 31, v0
	v_add_nc_u32_e32 v8, -1, v8
	s_delay_alu instid0(VALU_DEP_2) | instskip(NEXT) | instid1(VALU_DEP_1)
	v_add_nc_u32_e32 v0, 32, v0
	v_min_u32_e32 v0, v8, v0
	s_delay_alu instid0(VALU_DEP_1) | instskip(SKIP_1) | instid1(VALU_DEP_2)
	v_lshlrev_b64 v[2:3], v0, v[2:3]
	v_sub_nc_u32_e32 v0, 32, v0
	v_min_u32_e32 v2, 1, v2
	s_delay_alu instid0(VALU_DEP_1) | instskip(NEXT) | instid1(VALU_DEP_1)
	v_or_b32_e32 v2, v3, v2
	v_cvt_f32_i32_e32 v2, v2
	s_delay_alu instid0(VALU_DEP_1)
	v_ldexp_f32 v2, v2, v0
	s_branch .LBB232_1387
.LBB232_1384:
	s_mov_b32 s1, -1
                                        ; implicit-def: $sgpr0
                                        ; implicit-def: $vgpr2
	s_branch .LBB232_1393
.LBB232_1385:
	s_mov_b32 s1, -1
                                        ; implicit-def: $sgpr0
                                        ; implicit-def: $vgpr2
	s_branch .LBB232_1390
.LBB232_1386:
	s_mov_b32 s1, -1
                                        ; implicit-def: $sgpr0
                                        ; implicit-def: $vgpr2
.LBB232_1387:
	s_delay_alu instid0(SALU_CYCLE_1)
	s_and_not1_b32 vcc_lo, exec_lo, s1
	s_cbranch_vccnz .LBB232_1389
; %bb.1388:
	global_load_b32 v0, v[5:6], off
	s_mov_b32 s0, 0
	s_waitcnt vmcnt(0)
	v_cvt_f32_i32_e32 v2, v0
.LBB232_1389:
	s_mov_b32 s1, 0
.LBB232_1390:
	s_delay_alu instid0(SALU_CYCLE_1)
	s_and_not1_b32 vcc_lo, exec_lo, s1
	s_cbranch_vccnz .LBB232_1392
; %bb.1391:
	global_load_i16 v0, v[5:6], off
	s_mov_b32 s0, 0
	s_waitcnt vmcnt(0)
	v_cvt_f32_i32_e32 v2, v0
.LBB232_1392:
	s_mov_b32 s1, 0
.LBB232_1393:
	s_delay_alu instid0(SALU_CYCLE_1)
	s_and_not1_b32 vcc_lo, exec_lo, s1
	s_cbranch_vccnz .LBB232_1399
; %bb.1394:
	v_cmp_lt_i16_e32 vcc_lo, 0, v13
	s_mov_b32 s1, 0
	s_cbranch_vccz .LBB232_1396
; %bb.1395:
	global_load_i8 v0, v[5:6], off
	s_mov_b32 s0, 0
	s_waitcnt vmcnt(0)
	v_cvt_f32_i32_e32 v2, v0
	s_branch .LBB232_1397
.LBB232_1396:
	s_mov_b32 s1, -1
                                        ; implicit-def: $sgpr0
                                        ; implicit-def: $vgpr2
.LBB232_1397:
	s_delay_alu instid0(SALU_CYCLE_1)
	s_and_not1_b32 vcc_lo, exec_lo, s1
	s_cbranch_vccnz .LBB232_1399
; %bb.1398:
	global_load_u8 v0, v[5:6], off
	s_mov_b32 s0, 0
	s_waitcnt vmcnt(0)
	v_cvt_f32_ubyte0_e32 v2, v0
.LBB232_1399:
	s_waitcnt vmcnt(0)
	v_mov_b32_e32 v3, s0
	s_branch .LBB232_1475
.LBB232_1400:
	s_trap 2
	s_sendmsg_rtn_b32 s0, sendmsg(MSG_RTN_GET_DOORBELL)
	s_mov_b32 ttmp2, m0
	s_waitcnt lgkmcnt(0)
	s_and_b32 s0, s0, 0x3ff
	s_delay_alu instid0(SALU_CYCLE_1) | instskip(NEXT) | instid1(SALU_CYCLE_1)
	s_bitset1_b32 s0, 10
	s_mov_b32 m0, s0
	s_sendmsg sendmsg(MSG_INTERRUPT)
	s_mov_b32 m0, ttmp2
.LBB232_1401:                           ; =>This Inner Loop Header: Depth=1
	s_sethalt 5
	s_branch .LBB232_1401
.LBB232_1402:
	s_or_saveexec_b32 s15, s15
                                        ; implicit-def: $sgpr16
	s_delay_alu instid0(SALU_CYCLE_1)
	s_xor_b32 exec_lo, exec_lo, s15
	s_cbranch_execz .LBB232_1095
.LBB232_1403:
	v_add_f32_e64 v0, 0x42800000, |v2|
	s_and_not1_b32 s14, s14, exec_lo
	s_mov_b32 s16, 0
	s_delay_alu instid0(VALU_DEP_1) | instskip(NEXT) | instid1(VALU_DEP_1)
	v_and_b32_e32 v0, 0xff, v0
	v_cmp_ne_u32_e32 vcc_lo, 0, v0
	s_and_b32 s17, vcc_lo, exec_lo
	s_delay_alu instid0(SALU_CYCLE_1)
	s_or_b32 s14, s14, s17
	s_or_b32 exec_lo, exec_lo, s15
	v_mov_b32_e32 v3, s16
	s_and_saveexec_b32 s15, s14
	s_cbranch_execnz .LBB232_1096
	s_branch .LBB232_1097
.LBB232_1404:
	s_mov_b32 s0, -1
	s_mov_b32 s11, 0
.LBB232_1405:
                                        ; implicit-def: $vgpr3
.LBB232_1406:
	s_and_b32 vcc_lo, exec_lo, s12
	s_cbranch_vccz .LBB232_1411
; %bb.1407:
	v_cmp_eq_u16_e32 vcc_lo, 44, v13
	s_cbranch_vccz .LBB232_1409
; %bb.1408:
	global_load_u8 v0, v[5:6], off
	s_mov_b32 s0, 0
	s_mov_b32 s11, -1
	s_waitcnt vmcnt(0)
	v_lshlrev_b32_e32 v2, 23, v0
	v_cmp_ne_u32_e32 vcc_lo, 0xff, v0
	s_delay_alu instid0(VALU_DEP_2) | instskip(SKIP_1) | instid1(VALU_DEP_2)
	v_cndmask_b32_e32 v2, 0x7f800001, v2, vcc_lo
	v_cmp_ne_u32_e32 vcc_lo, 0, v0
	v_cndmask_b32_e32 v2, 0x400000, v2, vcc_lo
	s_branch .LBB232_1410
.LBB232_1409:
	s_mov_b32 s0, -1
                                        ; implicit-def: $vgpr2
.LBB232_1410:
	s_delay_alu instid0(SALU_CYCLE_1)
	v_mov_b32_e32 v3, s0
.LBB232_1411:
	s_mov_b32 s12, 0
.LBB232_1412:
	s_delay_alu instid0(SALU_CYCLE_1)
	s_and_b32 vcc_lo, exec_lo, s12
	s_cbranch_vccz .LBB232_1417
; %bb.1413:
	v_cmp_eq_u16_e32 vcc_lo, 29, v13
	s_cbranch_vccz .LBB232_1415
; %bb.1414:
	global_load_b64 v[2:3], v[5:6], off
	s_mov_b32 s0, 0
	s_mov_b32 s11, -1
	s_mov_b32 s12, 0
	s_waitcnt vmcnt(0)
	v_clz_i32_u32_e32 v0, v3
	s_delay_alu instid0(VALU_DEP_1) | instskip(NEXT) | instid1(VALU_DEP_1)
	v_min_u32_e32 v0, 32, v0
	v_lshlrev_b64 v[2:3], v0, v[2:3]
	v_sub_nc_u32_e32 v0, 32, v0
	s_delay_alu instid0(VALU_DEP_2) | instskip(NEXT) | instid1(VALU_DEP_1)
	v_min_u32_e32 v2, 1, v2
	v_or_b32_e32 v2, v3, v2
	s_delay_alu instid0(VALU_DEP_1) | instskip(NEXT) | instid1(VALU_DEP_1)
	v_cvt_f32_u32_e32 v2, v2
	v_ldexp_f32 v2, v2, v0
	s_branch .LBB232_1416
.LBB232_1415:
	s_mov_b32 s0, -1
                                        ; implicit-def: $sgpr12
                                        ; implicit-def: $vgpr2
.LBB232_1416:
	v_mov_b32_e32 v3, s12
.LBB232_1417:
	s_mov_b32 s12, 0
.LBB232_1418:
	s_delay_alu instid0(SALU_CYCLE_1)
	s_and_b32 vcc_lo, exec_lo, s12
	s_cbranch_vccz .LBB232_1438
; %bb.1419:
	v_cmp_gt_i16_e32 vcc_lo, 27, v13
	s_cbranch_vccnz .LBB232_1422
; %bb.1420:
	v_cmp_lt_i16_e32 vcc_lo, 27, v13
	s_cbranch_vccz .LBB232_1423
; %bb.1421:
	global_load_b32 v0, v[5:6], off
	s_mov_b32 s12, 0
	s_mov_b32 s11, 0
	s_waitcnt vmcnt(0)
	v_cvt_f32_u32_e32 v2, v0
	s_branch .LBB232_1424
.LBB232_1422:
	s_mov_b32 s12, -1
                                        ; implicit-def: $sgpr11
                                        ; implicit-def: $vgpr2
	s_branch .LBB232_1427
.LBB232_1423:
	s_mov_b32 s12, -1
                                        ; implicit-def: $sgpr11
                                        ; implicit-def: $vgpr2
.LBB232_1424:
	s_delay_alu instid0(SALU_CYCLE_1)
	s_and_not1_b32 vcc_lo, exec_lo, s12
	s_cbranch_vccnz .LBB232_1426
; %bb.1425:
	global_load_u16 v0, v[5:6], off
	s_mov_b32 s11, 0
	s_waitcnt vmcnt(0)
	v_cvt_f32_u32_e32 v2, v0
.LBB232_1426:
	s_mov_b32 s12, 0
.LBB232_1427:
	v_mov_b32_e32 v3, s11
	s_and_not1_b32 vcc_lo, exec_lo, s12
	s_cbranch_vccnz .LBB232_1437
; %bb.1428:
	global_load_u8 v0, v[5:6], off
	s_mov_b32 s11, 0
	s_mov_b32 s14, exec_lo
                                        ; implicit-def: $sgpr13
                                        ; implicit-def: $sgpr12
	s_waitcnt vmcnt(0)
	v_cmpx_lt_i16_e32 0x7f, v0
	s_xor_b32 s14, exec_lo, s14
	s_cbranch_execz .LBB232_1432
; %bb.1429:
	s_mov_b32 s11, -1
	s_mov_b32 s15, exec_lo
                                        ; implicit-def: $sgpr13
                                        ; implicit-def: $sgpr12
	v_cmpx_eq_u16_e32 0x80, v0
; %bb.1430:
	s_mov_b32 s12, 0x7f800001
	s_mov_b32 s13, 0
	s_xor_b32 s11, exec_lo, -1
; %bb.1431:
	s_or_b32 exec_lo, exec_lo, s15
	s_delay_alu instid0(SALU_CYCLE_1)
	s_and_b32 s11, s11, exec_lo
.LBB232_1432:
	s_or_saveexec_b32 s14, s14
	v_dual_mov_b32 v3, s13 :: v_dual_mov_b32 v2, s12
	s_xor_b32 exec_lo, exec_lo, s14
; %bb.1433:
	v_mov_b32_e32 v3, 0
	v_cmp_ne_u16_e32 vcc_lo, 0, v0
	s_and_not1_b32 s11, s11, exec_lo
	s_delay_alu instid0(VALU_DEP_2) | instskip(SKIP_1) | instid1(SALU_CYCLE_1)
	v_mov_b32_e32 v2, v3
	s_and_b32 s12, vcc_lo, exec_lo
	s_or_b32 s11, s11, s12
; %bb.1434:
	s_or_b32 exec_lo, exec_lo, s14
	s_and_saveexec_b32 s12, s11
	s_cbranch_execz .LBB232_1436
; %bb.1435:
	v_and_b32_e32 v2, 0xffff, v0
	v_lshlrev_b32_e32 v0, 24, v0
	s_delay_alu instid0(VALU_DEP_2) | instskip(NEXT) | instid1(VALU_DEP_2)
	v_and_b32_e32 v3, 7, v2
	v_and_b32_e32 v0, 0x80000000, v0
	s_delay_alu instid0(VALU_DEP_2) | instskip(NEXT) | instid1(VALU_DEP_1)
	v_clz_i32_u32_e32 v8, v3
	v_min_u32_e32 v8, 32, v8
	s_delay_alu instid0(VALU_DEP_1) | instskip(SKIP_1) | instid1(VALU_DEP_2)
	v_subrev_nc_u32_e32 v9, 28, v8
	v_sub_nc_u32_e32 v8, 29, v8
	v_lshlrev_b32_e32 v9, v9, v2
	v_bfe_u32 v2, v2, 3, 4
	s_delay_alu instid0(VALU_DEP_2) | instskip(NEXT) | instid1(VALU_DEP_2)
	v_and_b32_e32 v9, 7, v9
	v_cmp_eq_u32_e32 vcc_lo, 0, v2
	s_delay_alu instid0(VALU_DEP_2) | instskip(NEXT) | instid1(VALU_DEP_1)
	v_dual_cndmask_b32 v2, v2, v8 :: v_dual_cndmask_b32 v3, v3, v9
	v_lshl_add_u32 v2, v2, 23, 0x3b800000
	s_delay_alu instid0(VALU_DEP_2) | instskip(NEXT) | instid1(VALU_DEP_1)
	v_lshlrev_b32_e32 v3, 20, v3
	v_or3_b32 v2, v0, v2, v3
	v_mov_b32_e32 v3, 0
.LBB232_1436:
	s_or_b32 exec_lo, exec_lo, s12
.LBB232_1437:
	s_mov_b32 s11, -1
.LBB232_1438:
	s_branch .LBB232_1470
.LBB232_1439:
	v_cmp_lt_i16_e32 vcc_lo, 22, v13
	s_cbranch_vccz .LBB232_1451
; %bb.1440:
	v_cmp_gt_i16_e32 vcc_lo, 24, v13
	s_cbranch_vccnz .LBB232_1452
; %bb.1441:
	v_cmp_lt_i16_e32 vcc_lo, 24, v13
	s_cbranch_vccz .LBB232_1453
; %bb.1442:
	global_load_u8 v0, v[5:6], off
	s_mov_b32 s13, exec_lo
                                        ; implicit-def: $sgpr12
                                        ; implicit-def: $sgpr11
	s_waitcnt vmcnt(0)
	v_cmpx_lt_i16_e32 0x7f, v0
	s_xor_b32 s13, exec_lo, s13
	s_cbranch_execz .LBB232_1446
; %bb.1443:
	s_mov_b32 s1, -1
	s_mov_b32 s14, exec_lo
                                        ; implicit-def: $sgpr12
                                        ; implicit-def: $sgpr11
	v_cmpx_eq_u16_e32 0x80, v0
; %bb.1444:
	s_mov_b32 s11, 0x7f800001
	s_mov_b32 s12, 0
	s_xor_b32 s1, exec_lo, -1
; %bb.1445:
	s_or_b32 exec_lo, exec_lo, s14
	s_delay_alu instid0(SALU_CYCLE_1)
	s_and_b32 s1, s1, exec_lo
.LBB232_1446:
	s_or_saveexec_b32 s13, s13
	v_dual_mov_b32 v3, s12 :: v_dual_mov_b32 v2, s11
	s_xor_b32 exec_lo, exec_lo, s13
; %bb.1447:
	v_mov_b32_e32 v3, 0
	v_cmp_ne_u16_e32 vcc_lo, 0, v0
	s_and_not1_b32 s1, s1, exec_lo
	s_delay_alu instid0(VALU_DEP_2) | instskip(SKIP_1) | instid1(SALU_CYCLE_1)
	v_mov_b32_e32 v2, v3
	s_and_b32 s11, vcc_lo, exec_lo
	s_or_b32 s1, s1, s11
; %bb.1448:
	s_or_b32 exec_lo, exec_lo, s13
	s_and_saveexec_b32 s11, s1
	s_cbranch_execz .LBB232_1450
; %bb.1449:
	v_and_b32_e32 v2, 0xffff, v0
	v_lshlrev_b32_e32 v0, 24, v0
	s_delay_alu instid0(VALU_DEP_2) | instskip(NEXT) | instid1(VALU_DEP_2)
	v_and_b32_e32 v3, 3, v2
	v_and_b32_e32 v0, 0x80000000, v0
	s_delay_alu instid0(VALU_DEP_2) | instskip(NEXT) | instid1(VALU_DEP_1)
	v_clz_i32_u32_e32 v8, v3
	v_min_u32_e32 v8, 32, v8
	s_delay_alu instid0(VALU_DEP_1) | instskip(SKIP_1) | instid1(VALU_DEP_2)
	v_subrev_nc_u32_e32 v9, 29, v8
	v_sub_nc_u32_e32 v8, 30, v8
	v_lshlrev_b32_e32 v9, v9, v2
	v_bfe_u32 v2, v2, 2, 5
	s_delay_alu instid0(VALU_DEP_2) | instskip(NEXT) | instid1(VALU_DEP_2)
	v_and_b32_e32 v9, 3, v9
	v_cmp_eq_u32_e32 vcc_lo, 0, v2
	s_delay_alu instid0(VALU_DEP_2) | instskip(NEXT) | instid1(VALU_DEP_1)
	v_dual_cndmask_b32 v2, v2, v8 :: v_dual_cndmask_b32 v3, v3, v9
	v_lshl_add_u32 v2, v2, 23, 0x37800000
	s_delay_alu instid0(VALU_DEP_2) | instskip(NEXT) | instid1(VALU_DEP_1)
	v_lshlrev_b32_e32 v3, 21, v3
	v_or3_b32 v2, v0, v2, v3
	v_mov_b32_e32 v3, 0
.LBB232_1450:
	s_or_b32 exec_lo, exec_lo, s11
	s_mov_b32 s1, 0
	s_branch .LBB232_1454
.LBB232_1451:
	s_mov_b32 s1, -1
                                        ; implicit-def: $vgpr3
	s_branch .LBB232_1460
.LBB232_1452:
	s_mov_b32 s1, -1
                                        ; implicit-def: $vgpr3
	s_branch .LBB232_1457
.LBB232_1453:
	s_mov_b32 s1, -1
                                        ; implicit-def: $vgpr3
.LBB232_1454:
	s_delay_alu instid0(SALU_CYCLE_1)
	s_and_b32 vcc_lo, exec_lo, s1
	s_cbranch_vccz .LBB232_1456
; %bb.1455:
	global_load_u8 v0, v[5:6], off
	s_waitcnt vmcnt(0)
	v_lshlrev_b32_e32 v0, 24, v0
	s_delay_alu instid0(VALU_DEP_1) | instskip(NEXT) | instid1(VALU_DEP_1)
	v_and_b32_e32 v2, 0x7f000000, v0
	v_clz_i32_u32_e32 v3, v2
	v_cmp_ne_u32_e32 vcc_lo, 0, v2
	v_add_nc_u32_e32 v9, 0x1000000, v2
	s_delay_alu instid0(VALU_DEP_3) | instskip(NEXT) | instid1(VALU_DEP_1)
	v_min_u32_e32 v3, 32, v3
	v_sub_nc_u32_e64 v3, v3, 4 clamp
	s_delay_alu instid0(VALU_DEP_1) | instskip(SKIP_1) | instid1(VALU_DEP_2)
	v_lshlrev_b32_e32 v8, v3, v2
	v_lshlrev_b32_e32 v3, 23, v3
	v_lshrrev_b32_e32 v8, 4, v8
	s_delay_alu instid0(VALU_DEP_1) | instskip(SKIP_1) | instid1(VALU_DEP_2)
	v_sub_nc_u32_e32 v3, v8, v3
	v_ashrrev_i32_e32 v8, 8, v9
	v_add_nc_u32_e32 v3, 0x3c000000, v3
	s_delay_alu instid0(VALU_DEP_1) | instskip(NEXT) | instid1(VALU_DEP_1)
	v_and_or_b32 v3, 0x7f800000, v8, v3
	v_dual_cndmask_b32 v2, 0, v3 :: v_dual_mov_b32 v3, 0
	s_delay_alu instid0(VALU_DEP_1)
	v_and_or_b32 v2, 0x80000000, v0, v2
.LBB232_1456:
	s_mov_b32 s1, 0
.LBB232_1457:
	s_delay_alu instid0(SALU_CYCLE_1)
	s_and_not1_b32 vcc_lo, exec_lo, s1
	s_cbranch_vccnz .LBB232_1459
; %bb.1458:
	global_load_u8 v0, v[5:6], off
	s_waitcnt vmcnt(0)
	v_lshlrev_b32_e32 v2, 25, v0
	v_lshlrev_b16 v0, 8, v0
	s_delay_alu instid0(VALU_DEP_2) | instskip(NEXT) | instid1(VALU_DEP_2)
	v_lshrrev_b32_e32 v3, 4, v2
	v_and_or_b32 v8, 0x7f00, v0, 0.5
	v_bfe_i32 v0, v0, 0, 16
	s_delay_alu instid0(VALU_DEP_3) | instskip(NEXT) | instid1(VALU_DEP_1)
	v_or_b32_e32 v3, 0x70000000, v3
	v_dual_add_f32 v8, -0.5, v8 :: v_dual_mul_f32 v3, 0x7800000, v3
	v_cmp_gt_u32_e32 vcc_lo, 0x8000000, v2
	s_delay_alu instid0(VALU_DEP_2) | instskip(NEXT) | instid1(VALU_DEP_1)
	v_dual_cndmask_b32 v2, v3, v8 :: v_dual_mov_b32 v3, 0
	v_and_or_b32 v2, 0x80000000, v0, v2
.LBB232_1459:
	s_mov_b32 s1, 0
	s_mov_b32 s11, -1
.LBB232_1460:
	s_and_not1_b32 vcc_lo, exec_lo, s1
	s_mov_b32 s1, 0
	s_cbranch_vccnz .LBB232_1470
; %bb.1461:
	v_cmp_lt_i16_e32 vcc_lo, 14, v13
	s_cbranch_vccz .LBB232_1464
; %bb.1462:
	v_cmp_eq_u16_e32 vcc_lo, 15, v13
	s_cbranch_vccz .LBB232_1465
; %bb.1463:
	global_load_u16 v0, v[5:6], off
	s_mov_b32 s0, 0
	s_mov_b32 s11, -1
	s_mov_b32 s12, 0
	s_waitcnt vmcnt(0)
	v_lshlrev_b32_e32 v2, 16, v0
	s_branch .LBB232_1467
.LBB232_1464:
	s_mov_b32 s1, -1
	s_branch .LBB232_1466
.LBB232_1465:
	s_mov_b32 s0, -1
.LBB232_1466:
                                        ; implicit-def: $sgpr12
                                        ; implicit-def: $vgpr2
.LBB232_1467:
	s_and_b32 vcc_lo, exec_lo, s1
	s_mov_b32 s1, 0
	s_cbranch_vccz .LBB232_1469
; %bb.1468:
	v_cmp_ne_u16_e64 s0, 11, v13
	s_mov_b32 s1, -1
                                        ; implicit-def: $sgpr12
                                        ; implicit-def: $vgpr2
.LBB232_1469:
	v_mov_b32_e32 v3, s12
.LBB232_1470:
	s_delay_alu instid0(VALU_DEP_2)
	s_and_b32 vcc_lo, exec_lo, s0
	s_cbranch_vccnz .LBB232_1524
; %bb.1471:
	s_and_not1_b32 vcc_lo, exec_lo, s1
	s_cbranch_vccnz .LBB232_1473
.LBB232_1472:
	global_load_u8 v0, v[5:6], off
	v_mov_b32_e32 v3, 0
	s_mov_b32 s11, -1
	s_waitcnt vmcnt(0)
	v_cmp_ne_u16_e32 vcc_lo, 0, v0
	v_cndmask_b32_e64 v2, 0, 1.0, vcc_lo
.LBB232_1473:
.LBB232_1474:
	s_and_not1_b32 vcc_lo, exec_lo, s11
	s_cbranch_vccnz .LBB232_1824
.LBB232_1475:
	s_waitcnt vmcnt(0)
	s_delay_alu instid0(VALU_DEP_1) | instskip(NEXT) | instid1(VALU_DEP_2)
	v_cmp_neq_f32_e32 vcc_lo, 0, v2
	v_cmp_neq_f32_e64 s0, 0, v3
	v_mov_b32_e32 v0, 0
	s_delay_alu instid0(VALU_DEP_2) | instskip(NEXT) | instid1(SALU_CYCLE_1)
	s_or_b32 s0, vcc_lo, s0
	s_and_saveexec_b32 s11, s0
	s_cbranch_execz .LBB232_1505
; %bb.1476:
	v_mov_b32_e32 v0, 0x7f800000
	s_mov_b32 s12, exec_lo
	v_cmpx_neq_f32_e64 0x7f800000, |v3|
	s_cbranch_execz .LBB232_1504
; %bb.1477:
	s_mov_b32 s0, exec_lo
	v_cmpx_o_f32_e32 v2, v2
	s_xor_b32 s13, exec_lo, s0
	s_cbranch_execz .LBB232_1501
; %bb.1478:
	s_mov_b32 s1, exec_lo
	v_cmpx_neq_f32_e64 0x7f800000, |v2|
	s_xor_b32 s14, exec_lo, s1
	s_cbranch_execz .LBB232_1494
; %bb.1479:
	v_max_f32_e64 v0, |v3|, |v3|
	v_max_f32_e64 v5, |v2|, |v2|
                                        ; implicit-def: $sgpr15
	s_delay_alu instid0(VALU_DEP_1) | instskip(NEXT) | instid1(VALU_DEP_1)
	v_max_f32_e32 v0, v5, v0
	v_cmp_nle_f32_e64 s0, 0x7ed413cb, v0
	s_delay_alu instid0(VALU_DEP_1) | instskip(NEXT) | instid1(SALU_CYCLE_1)
	s_and_saveexec_b32 s1, s0
	s_xor_b32 s1, exec_lo, s1
	s_cbranch_execz .LBB232_1483
; %bb.1480:
	v_cmp_ge_f32_e64 s15, 0x1000000, |v2|
	v_cmp_ge_f32_e64 s16, 0x1000000, |v3|
	s_delay_alu instid0(VALU_DEP_1)
	s_and_b32 s17, s15, s16
	s_mov_b32 s15, 0
	s_and_saveexec_b32 s16, s17
; %bb.1481:
	v_dual_mul_f32 v2, 4.0, v2 :: v_dual_mul_f32 v3, 4.0, v3
	s_mov_b32 s15, exec_lo
; %bb.1482:
	s_or_b32 exec_lo, exec_lo, s16
	s_delay_alu instid0(SALU_CYCLE_1)
	s_and_b32 s15, s15, exec_lo
.LBB232_1483:
	s_and_not1_saveexec_b32 s1, s1
; %bb.1484:
	v_dual_mul_f32 v2, 0x3e800000, v2 :: v_dual_mul_f32 v3, 0x3e800000, v3
	s_and_not1_b32 s15, s15, exec_lo
; %bb.1485:
	s_or_b32 exec_lo, exec_lo, s1
	s_delay_alu instid0(VALU_DEP_1) | instskip(NEXT) | instid1(VALU_DEP_2)
	v_max_f32_e64 v0, |v3|, |v3|
	v_max_f32_e64 v5, |v2|, |v2|
	s_delay_alu instid0(VALU_DEP_1) | instskip(NEXT) | instid1(VALU_DEP_1)
	v_max_f32_e32 v0, v5, v0
	v_cvt_f64_f32_e32 v[5:6], v0
	v_cmp_neq_f32_e64 s1, 0x7f800000, v0
                                        ; implicit-def: $vgpr0
	s_delay_alu instid0(VALU_DEP_2) | instskip(NEXT) | instid1(VALU_DEP_1)
	v_frexp_exp_i32_f64_e32 v5, v[5:6]
	v_sub_nc_u32_e32 v6, 0, v5
	s_delay_alu instid0(VALU_DEP_1) | instskip(SKIP_1) | instid1(VALU_DEP_2)
	v_ldexp_f32 v8, |v3|, v6
	v_ldexp_f32 v6, |v2|, v6
	v_mul_f32_e32 v8, v8, v8
	s_delay_alu instid0(VALU_DEP_1) | instskip(NEXT) | instid1(VALU_DEP_1)
	v_fmac_f32_e32 v8, v6, v6
	v_sqrt_f32_e32 v6, v8
	s_waitcnt_depctr 0xfff
	v_ldexp_f32 v5, v6, v5
	s_delay_alu instid0(VALU_DEP_1)
	v_cndmask_b32_e64 v6, 0x7f800000, v5, s1
                                        ; implicit-def: $vgpr5
	s_mov_b32 s1, exec_lo
	v_cmpx_le_f32_e32 0, v2
	s_xor_b32 s16, exec_lo, s1
	s_cbranch_execz .LBB232_1487
; %bb.1486:
	v_add_f32_e32 v0, v2, v6
	s_delay_alu instid0(VALU_DEP_1) | instskip(NEXT) | instid1(VALU_DEP_1)
	v_mul_f32_e32 v0, 0.5, v0
	v_mul_f32_e32 v2, 0x4f800000, v0
	v_cmp_gt_f32_e32 vcc_lo, 0xf800000, v0
	s_delay_alu instid0(VALU_DEP_2) | instskip(NEXT) | instid1(VALU_DEP_1)
	v_cndmask_b32_e32 v0, v0, v2, vcc_lo
	v_sqrt_f32_e32 v2, v0
	s_waitcnt_depctr 0xfff
	v_add_nc_u32_e32 v5, -1, v2
	v_add_nc_u32_e32 v6, 1, v2
	s_delay_alu instid0(VALU_DEP_2) | instskip(NEXT) | instid1(VALU_DEP_2)
	v_fma_f32 v8, -v5, v2, v0
	v_fma_f32 v9, -v6, v2, v0
	s_delay_alu instid0(VALU_DEP_2) | instskip(NEXT) | instid1(VALU_DEP_1)
	v_cmp_ge_f32_e64 s1, 0, v8
	v_cndmask_b32_e64 v2, v2, v5, s1
	s_delay_alu instid0(VALU_DEP_3) | instskip(NEXT) | instid1(VALU_DEP_1)
	v_cmp_lt_f32_e64 s1, 0, v9
	v_cndmask_b32_e64 v2, v2, v6, s1
	s_delay_alu instid0(VALU_DEP_1) | instskip(NEXT) | instid1(VALU_DEP_1)
	v_mul_f32_e32 v5, 0x37800000, v2
	v_cndmask_b32_e32 v2, v2, v5, vcc_lo
	v_cmp_class_f32_e64 vcc_lo, v0, 0x260
	s_delay_alu instid0(VALU_DEP_2) | instskip(NEXT) | instid1(VALU_DEP_1)
	v_cndmask_b32_e32 v0, v2, v0, vcc_lo
	v_add_f32_e32 v2, v0, v0
	s_delay_alu instid0(VALU_DEP_1) | instskip(NEXT) | instid1(VALU_DEP_1)
	v_div_scale_f32 v5, null, v2, v2, v3
	v_rcp_f32_e32 v6, v5
	s_waitcnt_depctr 0xfff
	v_fma_f32 v8, -v5, v6, 1.0
	s_delay_alu instid0(VALU_DEP_1) | instskip(SKIP_1) | instid1(VALU_DEP_1)
	v_fmac_f32_e32 v6, v8, v6
	v_div_scale_f32 v8, vcc_lo, v3, v2, v3
	v_mul_f32_e32 v9, v8, v6
	s_delay_alu instid0(VALU_DEP_1) | instskip(NEXT) | instid1(VALU_DEP_1)
	v_fma_f32 v10, -v5, v9, v8
	v_fmac_f32_e32 v9, v10, v6
	s_delay_alu instid0(VALU_DEP_1) | instskip(NEXT) | instid1(VALU_DEP_1)
	v_fma_f32 v5, -v5, v9, v8
	v_div_fmas_f32 v5, v5, v6, v9
                                        ; implicit-def: $vgpr6
	s_delay_alu instid0(VALU_DEP_1)
	v_div_fixup_f32 v5, v5, v2, v3
                                        ; implicit-def: $vgpr2
	s_and_not1_saveexec_b32 s16, s16
	s_cbranch_execz .LBB232_1489
	s_branch .LBB232_1488
.LBB232_1487:
	s_and_not1_saveexec_b32 s16, s16
	s_cbranch_execz .LBB232_1489
.LBB232_1488:
	v_sub_f32_e32 v0, v6, v2
	s_delay_alu instid0(VALU_DEP_1) | instskip(NEXT) | instid1(VALU_DEP_1)
	v_mul_f32_e32 v0, 0.5, v0
	v_mul_f32_e32 v2, 0x4f800000, v0
	v_cmp_gt_f32_e32 vcc_lo, 0xf800000, v0
	s_delay_alu instid0(VALU_DEP_2) | instskip(NEXT) | instid1(VALU_DEP_1)
	v_cndmask_b32_e32 v0, v0, v2, vcc_lo
	v_sqrt_f32_e32 v2, v0
	s_waitcnt_depctr 0xfff
	v_add_nc_u32_e32 v5, -1, v2
	v_add_nc_u32_e32 v6, 1, v2
	s_delay_alu instid0(VALU_DEP_2) | instskip(NEXT) | instid1(VALU_DEP_2)
	v_fma_f32 v8, -v5, v2, v0
	v_fma_f32 v9, -v6, v2, v0
	s_delay_alu instid0(VALU_DEP_2) | instskip(NEXT) | instid1(VALU_DEP_1)
	v_cmp_ge_f32_e64 s1, 0, v8
	v_cndmask_b32_e64 v2, v2, v5, s1
	s_delay_alu instid0(VALU_DEP_3) | instskip(NEXT) | instid1(VALU_DEP_1)
	v_cmp_lt_f32_e64 s1, 0, v9
	v_cndmask_b32_e64 v2, v2, v6, s1
	s_delay_alu instid0(VALU_DEP_1) | instskip(NEXT) | instid1(VALU_DEP_1)
	v_mul_f32_e32 v5, 0x37800000, v2
	v_cndmask_b32_e32 v2, v2, v5, vcc_lo
	v_cmp_class_f32_e64 vcc_lo, v0, 0x260
	s_delay_alu instid0(VALU_DEP_2) | instskip(NEXT) | instid1(VALU_DEP_1)
	v_cndmask_b32_e32 v2, v2, v0, vcc_lo
	v_dual_add_f32 v5, v2, v2 :: v_dual_and_b32 v0, 0x7fffffff, v3
	s_delay_alu instid0(VALU_DEP_1) | instskip(SKIP_1) | instid1(VALU_DEP_2)
	v_div_scale_f32 v6, null, v5, v5, v0
	v_div_scale_f32 v0, vcc_lo, v0, v5, v0
	v_rcp_f32_e32 v8, v6
	s_waitcnt_depctr 0xfff
	v_fma_f32 v9, -v6, v8, 1.0
	s_delay_alu instid0(VALU_DEP_1) | instskip(NEXT) | instid1(VALU_DEP_1)
	v_fmac_f32_e32 v8, v9, v8
	v_mul_f32_e32 v9, v0, v8
	s_delay_alu instid0(VALU_DEP_1) | instskip(NEXT) | instid1(VALU_DEP_1)
	v_fma_f32 v10, -v6, v9, v0
	v_fmac_f32_e32 v9, v10, v8
	s_delay_alu instid0(VALU_DEP_1) | instskip(NEXT) | instid1(VALU_DEP_1)
	v_fma_f32 v0, -v6, v9, v0
	v_div_fmas_f32 v0, v0, v8, v9
	s_delay_alu instid0(VALU_DEP_1)
	v_div_fixup_f32 v0, v0, v5, |v3|
	v_bfi_b32 v5, 0x7fffffff, v2, v3
.LBB232_1489:
	s_or_b32 exec_lo, exec_lo, s16
                                        ; implicit-def: $vgpr3
	s_and_saveexec_b32 s1, s0
	s_delay_alu instid0(SALU_CYCLE_1)
	s_xor_b32 s0, exec_lo, s1
	s_cbranch_execz .LBB232_1491
; %bb.1490:
	v_dual_mul_f32 v2, 0.5, v0 :: v_dual_mul_f32 v3, 0.5, v5
	s_delay_alu instid0(VALU_DEP_1) | instskip(NEXT) | instid1(VALU_DEP_2)
	v_cndmask_b32_e64 v2, v0, v2, s15
	v_cndmask_b32_e64 v3, v5, v3, s15
                                        ; implicit-def: $vgpr0
                                        ; implicit-def: $vgpr5
	s_and_not1_saveexec_b32 s0, s0
	s_cbranch_execnz .LBB232_1492
	s_branch .LBB232_1493
.LBB232_1491:
	s_and_not1_saveexec_b32 s0, s0
.LBB232_1492:
	v_dual_add_f32 v2, v0, v0 :: v_dual_add_f32 v3, v5, v5
.LBB232_1493:
	s_or_b32 exec_lo, exec_lo, s0
.LBB232_1494:
	s_and_not1_saveexec_b32 s0, s14
	s_cbranch_execz .LBB232_1500
; %bb.1495:
	s_delay_alu instid0(VALU_DEP_1)
	v_sub_f32_e32 v0, v3, v3
	s_mov_b32 s1, exec_lo
	v_cmpx_lt_i32_e32 -1, v2
	s_xor_b32 s1, exec_lo, s1
; %bb.1496:
	s_delay_alu instid0(VALU_DEP_2)
	v_bfi_b32 v3, 0x7fffffff, v0, v3
                                        ; implicit-def: $vgpr0
; %bb.1497:
	s_and_not1_saveexec_b32 s1, s1
; %bb.1498:
	v_and_b32_e32 v0, 0x7fffffff, v0
	s_delay_alu instid0(VALU_DEP_2) | instskip(NEXT) | instid1(VALU_DEP_2)
	v_bfi_b32 v3, 0x7fffffff, v2, v3
	v_mov_b32_e32 v2, v0
; %bb.1499:
	s_or_b32 exec_lo, exec_lo, s1
.LBB232_1500:
	s_delay_alu instid0(SALU_CYCLE_1)
	s_or_b32 exec_lo, exec_lo, s0
.LBB232_1501:
	s_and_not1_saveexec_b32 s0, s13
; %bb.1502:
	v_sub_f32_e32 v0, v3, v3
	s_delay_alu instid0(VALU_DEP_1) | instskip(NEXT) | instid1(VALU_DEP_1)
	v_div_scale_f32 v3, vcc_lo, v0, v0, v0
	v_rcp_f32_e32 v5, v3
	s_waitcnt_depctr 0xfff
	v_fma_f32 v6, -v3, v5, 1.0
	s_delay_alu instid0(VALU_DEP_1) | instskip(NEXT) | instid1(VALU_DEP_1)
	v_fmac_f32_e32 v5, v6, v5
	v_mul_f32_e32 v6, v3, v5
	s_delay_alu instid0(VALU_DEP_1) | instskip(NEXT) | instid1(VALU_DEP_1)
	v_fma_f32 v8, -v3, v6, v3
	v_fmac_f32_e32 v6, v8, v5
	s_delay_alu instid0(VALU_DEP_1) | instskip(NEXT) | instid1(VALU_DEP_1)
	v_fma_f32 v3, -v3, v6, v3
	v_div_fmas_f32 v3, v3, v5, v6
	s_delay_alu instid0(VALU_DEP_1)
	v_div_fixup_f32 v3, v3, v0, v0
; %bb.1503:
	s_or_b32 exec_lo, exec_lo, s0
	v_mov_b32_e32 v0, v2
.LBB232_1504:
	s_or_b32 exec_lo, exec_lo, s12
.LBB232_1505:
	s_delay_alu instid0(SALU_CYCLE_1) | instskip(SKIP_2) | instid1(VALU_DEP_2)
	s_or_b32 exec_lo, exec_lo, s11
	v_add_nc_u32_e32 v9, s3, v7
	v_cmp_gt_i16_e32 vcc_lo, 11, v13
	v_ashrrev_i32_e32 v2, 31, v9
	v_add_co_u32 v7, s0, s6, v9
	s_delay_alu instid0(VALU_DEP_1)
	v_add_co_ci_u32_e64 v8, s0, s7, v2, s0
	s_cbranch_vccnz .LBB232_1512
; %bb.1506:
	v_cmp_lt_i16_e32 vcc_lo, 25, v13
	s_mov_b32 s1, 0
	s_cbranch_vccz .LBB232_1518
; %bb.1507:
	v_cmp_lt_i16_e32 vcc_lo, 28, v13
	s_cbranch_vccz .LBB232_1520
; %bb.1508:
	v_cmp_lt_i16_e32 vcc_lo, 43, v13
	;; [unrolled: 3-line block ×3, first 2 shown]
	s_cbranch_vccz .LBB232_1526
; %bb.1510:
	v_cmp_eq_u16_e32 vcc_lo, 46, v13
	s_mov_b32 s12, 0
	s_cbranch_vccz .LBB232_1571
; %bb.1511:
	global_load_b32 v2, v[7:8], off
	s_mov_b32 s0, 0
	s_mov_b32 s11, -1
	s_waitcnt vmcnt(0)
	v_and_b32_e32 v6, 0xffff0000, v2
	v_lshlrev_b32_e32 v5, 16, v2
	s_branch .LBB232_1573
.LBB232_1512:
	s_mov_b32 s11, 0
                                        ; implicit-def: $vgpr6
	s_cbranch_execz .LBB232_1642
; %bb.1513:
	v_cmp_gt_i16_e32 vcc_lo, 5, v13
	s_cbranch_vccnz .LBB232_1519
; %bb.1514:
	v_cmp_gt_i16_e32 vcc_lo, 8, v13
	s_cbranch_vccnz .LBB232_1521
	;; [unrolled: 3-line block ×3, first 2 shown]
; %bb.1516:
	v_cmp_lt_i16_e32 vcc_lo, 9, v13
	s_cbranch_vccz .LBB232_1527
; %bb.1517:
	global_load_b128 v[14:17], v[7:8], off
	s_mov_b32 s0, 0
	s_waitcnt vmcnt(0)
	v_cvt_f32_f64_e32 v5, v[14:15]
	v_cvt_f32_f64_e32 v6, v[16:17]
	s_branch .LBB232_1528
.LBB232_1518:
	s_mov_b32 s12, -1
	s_mov_b32 s11, 0
	s_mov_b32 s0, 0
                                        ; implicit-def: $vgpr6
	s_branch .LBB232_1606
.LBB232_1519:
	s_mov_b32 s0, -1
                                        ; implicit-def: $vgpr6
	s_branch .LBB232_1547
.LBB232_1520:
	s_mov_b32 s12, -1
	s_mov_b32 s11, 0
	s_mov_b32 s0, 0
                                        ; implicit-def: $vgpr6
	s_branch .LBB232_1585
.LBB232_1521:
	s_mov_b32 s0, -1
                                        ; implicit-def: $vgpr6
	s_branch .LBB232_1534
.LBB232_1522:
	s_mov_b32 s12, -1
	s_mov_b32 s11, 0
	s_mov_b32 s0, 0
                                        ; implicit-def: $vgpr6
	s_branch .LBB232_1579
.LBB232_1523:
	s_mov_b32 s0, -1
                                        ; implicit-def: $vgpr6
	s_branch .LBB232_1531
.LBB232_1524:
	s_cbranch_execnz .LBB232_1569
; %bb.1525:
	s_or_b32 s8, s8, exec_lo
                                        ; implicit-def: $vgpr3
	s_cbranch_execz .LBB232_1472
	s_branch .LBB232_1473
.LBB232_1526:
	s_mov_b32 s12, -1
	s_mov_b32 s11, 0
	s_mov_b32 s0, 0
	s_branch .LBB232_1572
.LBB232_1527:
	s_mov_b32 s0, -1
                                        ; implicit-def: $vgpr6
.LBB232_1528:
	s_delay_alu instid0(SALU_CYCLE_1)
	s_and_not1_b32 vcc_lo, exec_lo, s0
	s_cbranch_vccnz .LBB232_1530
; %bb.1529:
	global_load_b64 v[5:6], v[7:8], off
.LBB232_1530:
	s_mov_b32 s0, 0
.LBB232_1531:
	s_delay_alu instid0(SALU_CYCLE_1)
	s_and_not1_b32 vcc_lo, exec_lo, s0
	s_cbranch_vccnz .LBB232_1533
; %bb.1532:
	global_load_b32 v2, v[7:8], off
	s_waitcnt vmcnt(0)
	v_lshrrev_b32_e32 v6, 16, v2
	v_cvt_f32_f16_e32 v5, v2
	s_delay_alu instid0(VALU_DEP_2)
	v_cvt_f32_f16_e32 v6, v6
.LBB232_1533:
	s_mov_b32 s0, 0
.LBB232_1534:
	s_delay_alu instid0(SALU_CYCLE_1)
	s_and_not1_b32 vcc_lo, exec_lo, s0
	s_cbranch_vccnz .LBB232_1546
; %bb.1535:
	v_cmp_gt_i16_e32 vcc_lo, 6, v13
	s_cbranch_vccnz .LBB232_1538
; %bb.1536:
	v_cmp_lt_i16_e32 vcc_lo, 6, v13
	s_cbranch_vccz .LBB232_1539
; %bb.1537:
	global_load_b64 v[5:6], v[7:8], off
	s_mov_b32 s1, 0
	s_mov_b32 s0, 0
	s_waitcnt vmcnt(0)
	v_cvt_f32_f64_e32 v5, v[5:6]
	s_branch .LBB232_1540
.LBB232_1538:
	s_mov_b32 s1, -1
                                        ; implicit-def: $sgpr0
                                        ; implicit-def: $vgpr5
	s_branch .LBB232_1543
.LBB232_1539:
	s_mov_b32 s1, -1
                                        ; implicit-def: $sgpr0
                                        ; implicit-def: $vgpr5
.LBB232_1540:
	s_delay_alu instid0(SALU_CYCLE_1)
	s_and_not1_b32 vcc_lo, exec_lo, s1
	s_cbranch_vccnz .LBB232_1542
; %bb.1541:
	global_load_b32 v5, v[7:8], off
	s_mov_b32 s0, 0
.LBB232_1542:
	s_mov_b32 s1, 0
.LBB232_1543:
	s_delay_alu instid0(SALU_CYCLE_1)
	s_and_not1_b32 vcc_lo, exec_lo, s1
	s_cbranch_vccnz .LBB232_1545
; %bb.1544:
	global_load_u16 v2, v[7:8], off
	s_mov_b32 s0, 0
	s_waitcnt vmcnt(0)
	v_cvt_f32_f16_e32 v5, v2
.LBB232_1545:
	s_waitcnt vmcnt(0)
	v_mov_b32_e32 v6, s0
.LBB232_1546:
	s_mov_b32 s0, 0
.LBB232_1547:
	s_delay_alu instid0(SALU_CYCLE_1)
	s_and_not1_b32 vcc_lo, exec_lo, s0
	s_cbranch_vccnz .LBB232_1568
; %bb.1548:
	v_cmp_gt_i16_e32 vcc_lo, 2, v13
	s_cbranch_vccnz .LBB232_1552
; %bb.1549:
	v_cmp_gt_i16_e32 vcc_lo, 3, v13
	s_cbranch_vccnz .LBB232_1553
; %bb.1550:
	v_cmp_lt_i16_e32 vcc_lo, 3, v13
	s_cbranch_vccz .LBB232_1554
; %bb.1551:
	global_load_b64 v[5:6], v[7:8], off
	s_mov_b32 s1, 0
	s_mov_b32 s0, 0
	s_waitcnt vmcnt(0)
	v_xor_b32_e32 v2, v5, v6
	v_cls_i32_e32 v10, v6
	s_delay_alu instid0(VALU_DEP_2) | instskip(NEXT) | instid1(VALU_DEP_2)
	v_ashrrev_i32_e32 v2, 31, v2
	v_add_nc_u32_e32 v10, -1, v10
	s_delay_alu instid0(VALU_DEP_2) | instskip(NEXT) | instid1(VALU_DEP_1)
	v_add_nc_u32_e32 v2, 32, v2
	v_min_u32_e32 v2, v10, v2
	s_delay_alu instid0(VALU_DEP_1) | instskip(SKIP_1) | instid1(VALU_DEP_2)
	v_lshlrev_b64 v[5:6], v2, v[5:6]
	v_sub_nc_u32_e32 v2, 32, v2
	v_min_u32_e32 v5, 1, v5
	s_delay_alu instid0(VALU_DEP_1) | instskip(NEXT) | instid1(VALU_DEP_1)
	v_or_b32_e32 v5, v6, v5
	v_cvt_f32_i32_e32 v5, v5
	s_delay_alu instid0(VALU_DEP_1)
	v_ldexp_f32 v5, v5, v2
	s_branch .LBB232_1555
.LBB232_1552:
	s_mov_b32 s1, -1
                                        ; implicit-def: $sgpr0
                                        ; implicit-def: $vgpr5
	s_branch .LBB232_1561
.LBB232_1553:
	s_mov_b32 s1, -1
                                        ; implicit-def: $sgpr0
                                        ; implicit-def: $vgpr5
	s_branch .LBB232_1558
.LBB232_1554:
	s_mov_b32 s1, -1
                                        ; implicit-def: $sgpr0
                                        ; implicit-def: $vgpr5
.LBB232_1555:
	s_delay_alu instid0(SALU_CYCLE_1)
	s_and_not1_b32 vcc_lo, exec_lo, s1
	s_cbranch_vccnz .LBB232_1557
; %bb.1556:
	global_load_b32 v2, v[7:8], off
	s_mov_b32 s0, 0
	s_waitcnt vmcnt(0)
	v_cvt_f32_i32_e32 v5, v2
.LBB232_1557:
	s_mov_b32 s1, 0
.LBB232_1558:
	s_delay_alu instid0(SALU_CYCLE_1)
	s_and_not1_b32 vcc_lo, exec_lo, s1
	s_cbranch_vccnz .LBB232_1560
; %bb.1559:
	global_load_i16 v2, v[7:8], off
	s_mov_b32 s0, 0
	s_waitcnt vmcnt(0)
	v_cvt_f32_i32_e32 v5, v2
.LBB232_1560:
	s_mov_b32 s1, 0
.LBB232_1561:
	s_delay_alu instid0(SALU_CYCLE_1)
	s_and_not1_b32 vcc_lo, exec_lo, s1
	s_cbranch_vccnz .LBB232_1567
; %bb.1562:
	v_cmp_lt_i16_e32 vcc_lo, 0, v13
	s_mov_b32 s1, 0
	s_cbranch_vccz .LBB232_1564
; %bb.1563:
	global_load_i8 v2, v[7:8], off
	s_mov_b32 s0, 0
	s_waitcnt vmcnt(0)
	v_cvt_f32_i32_e32 v5, v2
	s_branch .LBB232_1565
.LBB232_1564:
	s_mov_b32 s1, -1
                                        ; implicit-def: $sgpr0
                                        ; implicit-def: $vgpr5
.LBB232_1565:
	s_delay_alu instid0(SALU_CYCLE_1)
	s_and_not1_b32 vcc_lo, exec_lo, s1
	s_cbranch_vccnz .LBB232_1567
; %bb.1566:
	global_load_u8 v2, v[7:8], off
	s_mov_b32 s0, 0
	s_waitcnt vmcnt(0)
	v_cvt_f32_ubyte0_e32 v5, v2
.LBB232_1567:
	s_waitcnt vmcnt(0)
	v_mov_b32_e32 v6, s0
.LBB232_1568:
	s_branch .LBB232_1643
.LBB232_1569:
	s_trap 2
	s_sendmsg_rtn_b32 s0, sendmsg(MSG_RTN_GET_DOORBELL)
	s_mov_b32 ttmp2, m0
	s_waitcnt lgkmcnt(0)
	s_and_b32 s0, s0, 0x3ff
	s_delay_alu instid0(SALU_CYCLE_1) | instskip(NEXT) | instid1(SALU_CYCLE_1)
	s_bitset1_b32 s0, 10
	s_mov_b32 m0, s0
	s_sendmsg sendmsg(MSG_INTERRUPT)
	s_mov_b32 m0, ttmp2
.LBB232_1570:                           ; =>This Inner Loop Header: Depth=1
	s_sethalt 5
	s_branch .LBB232_1570
.LBB232_1571:
	s_mov_b32 s0, -1
	s_mov_b32 s11, 0
.LBB232_1572:
                                        ; implicit-def: $vgpr6
.LBB232_1573:
	s_and_b32 vcc_lo, exec_lo, s12
	s_cbranch_vccz .LBB232_1578
; %bb.1574:
	v_cmp_eq_u16_e32 vcc_lo, 44, v13
	s_cbranch_vccz .LBB232_1576
; %bb.1575:
	global_load_u8 v2, v[7:8], off
	s_mov_b32 s0, 0
	s_mov_b32 s11, -1
	s_waitcnt vmcnt(0)
	v_lshlrev_b32_e32 v5, 23, v2
	v_cmp_ne_u32_e32 vcc_lo, 0xff, v2
	s_delay_alu instid0(VALU_DEP_2) | instskip(SKIP_1) | instid1(VALU_DEP_2)
	v_cndmask_b32_e32 v5, 0x7f800001, v5, vcc_lo
	v_cmp_ne_u32_e32 vcc_lo, 0, v2
	v_cndmask_b32_e32 v5, 0x400000, v5, vcc_lo
	s_branch .LBB232_1577
.LBB232_1576:
	s_mov_b32 s0, -1
                                        ; implicit-def: $vgpr5
.LBB232_1577:
	s_delay_alu instid0(SALU_CYCLE_1)
	v_mov_b32_e32 v6, s0
.LBB232_1578:
	s_mov_b32 s12, 0
.LBB232_1579:
	s_delay_alu instid0(SALU_CYCLE_1)
	s_and_b32 vcc_lo, exec_lo, s12
	s_cbranch_vccz .LBB232_1584
; %bb.1580:
	v_cmp_eq_u16_e32 vcc_lo, 29, v13
	s_cbranch_vccz .LBB232_1582
; %bb.1581:
	global_load_b64 v[5:6], v[7:8], off
	s_mov_b32 s0, 0
	s_mov_b32 s11, -1
	s_mov_b32 s12, 0
	s_waitcnt vmcnt(0)
	v_clz_i32_u32_e32 v2, v6
	s_delay_alu instid0(VALU_DEP_1) | instskip(NEXT) | instid1(VALU_DEP_1)
	v_min_u32_e32 v2, 32, v2
	v_lshlrev_b64 v[5:6], v2, v[5:6]
	v_sub_nc_u32_e32 v2, 32, v2
	s_delay_alu instid0(VALU_DEP_2) | instskip(NEXT) | instid1(VALU_DEP_1)
	v_min_u32_e32 v5, 1, v5
	v_or_b32_e32 v5, v6, v5
	s_delay_alu instid0(VALU_DEP_1) | instskip(NEXT) | instid1(VALU_DEP_1)
	v_cvt_f32_u32_e32 v5, v5
	v_ldexp_f32 v5, v5, v2
	s_branch .LBB232_1583
.LBB232_1582:
	s_mov_b32 s0, -1
                                        ; implicit-def: $sgpr12
                                        ; implicit-def: $vgpr5
.LBB232_1583:
	v_mov_b32_e32 v6, s12
.LBB232_1584:
	s_mov_b32 s12, 0
.LBB232_1585:
	s_delay_alu instid0(SALU_CYCLE_1)
	s_and_b32 vcc_lo, exec_lo, s12
	s_cbranch_vccz .LBB232_1605
; %bb.1586:
	v_cmp_gt_i16_e32 vcc_lo, 27, v13
	s_cbranch_vccnz .LBB232_1589
; %bb.1587:
	v_cmp_lt_i16_e32 vcc_lo, 27, v13
	s_cbranch_vccz .LBB232_1590
; %bb.1588:
	global_load_b32 v2, v[7:8], off
	s_mov_b32 s12, 0
	s_mov_b32 s11, 0
	s_waitcnt vmcnt(0)
	v_cvt_f32_u32_e32 v5, v2
	s_branch .LBB232_1591
.LBB232_1589:
	s_mov_b32 s12, -1
                                        ; implicit-def: $sgpr11
                                        ; implicit-def: $vgpr5
	s_branch .LBB232_1594
.LBB232_1590:
	s_mov_b32 s12, -1
                                        ; implicit-def: $sgpr11
                                        ; implicit-def: $vgpr5
.LBB232_1591:
	s_delay_alu instid0(SALU_CYCLE_1)
	s_and_not1_b32 vcc_lo, exec_lo, s12
	s_cbranch_vccnz .LBB232_1593
; %bb.1592:
	global_load_u16 v2, v[7:8], off
	s_mov_b32 s11, 0
	s_waitcnt vmcnt(0)
	v_cvt_f32_u32_e32 v5, v2
.LBB232_1593:
	s_mov_b32 s12, 0
.LBB232_1594:
	v_mov_b32_e32 v6, s11
	s_and_not1_b32 vcc_lo, exec_lo, s12
	s_cbranch_vccnz .LBB232_1604
; %bb.1595:
	global_load_u8 v2, v[7:8], off
	s_mov_b32 s11, 0
	s_mov_b32 s14, exec_lo
                                        ; implicit-def: $sgpr13
                                        ; implicit-def: $sgpr12
	s_waitcnt vmcnt(0)
	v_cmpx_lt_i16_e32 0x7f, v2
	s_xor_b32 s14, exec_lo, s14
	s_cbranch_execz .LBB232_1599
; %bb.1596:
	s_mov_b32 s11, -1
	s_mov_b32 s15, exec_lo
                                        ; implicit-def: $sgpr13
                                        ; implicit-def: $sgpr12
	v_cmpx_eq_u16_e32 0x80, v2
; %bb.1597:
	s_mov_b32 s12, 0x7f800001
	s_mov_b32 s13, 0
	s_xor_b32 s11, exec_lo, -1
; %bb.1598:
	s_or_b32 exec_lo, exec_lo, s15
	s_delay_alu instid0(SALU_CYCLE_1)
	s_and_b32 s11, s11, exec_lo
.LBB232_1599:
	s_or_saveexec_b32 s14, s14
	v_dual_mov_b32 v6, s13 :: v_dual_mov_b32 v5, s12
	s_xor_b32 exec_lo, exec_lo, s14
; %bb.1600:
	v_mov_b32_e32 v6, 0
	v_cmp_ne_u16_e32 vcc_lo, 0, v2
	s_and_not1_b32 s11, s11, exec_lo
	s_delay_alu instid0(VALU_DEP_2) | instskip(SKIP_1) | instid1(SALU_CYCLE_1)
	v_mov_b32_e32 v5, v6
	s_and_b32 s12, vcc_lo, exec_lo
	s_or_b32 s11, s11, s12
; %bb.1601:
	s_or_b32 exec_lo, exec_lo, s14
	s_and_saveexec_b32 s12, s11
	s_cbranch_execz .LBB232_1603
; %bb.1602:
	v_and_b32_e32 v5, 0xffff, v2
	v_lshlrev_b32_e32 v2, 24, v2
	s_delay_alu instid0(VALU_DEP_2) | instskip(NEXT) | instid1(VALU_DEP_2)
	v_and_b32_e32 v6, 7, v5
	v_and_b32_e32 v2, 0x80000000, v2
	s_delay_alu instid0(VALU_DEP_2) | instskip(NEXT) | instid1(VALU_DEP_1)
	v_clz_i32_u32_e32 v10, v6
	v_min_u32_e32 v10, 32, v10
	s_delay_alu instid0(VALU_DEP_1) | instskip(SKIP_1) | instid1(VALU_DEP_2)
	v_subrev_nc_u32_e32 v14, 28, v10
	v_sub_nc_u32_e32 v10, 29, v10
	v_lshlrev_b32_e32 v14, v14, v5
	v_bfe_u32 v5, v5, 3, 4
	s_delay_alu instid0(VALU_DEP_2) | instskip(NEXT) | instid1(VALU_DEP_2)
	v_and_b32_e32 v14, 7, v14
	v_cmp_eq_u32_e32 vcc_lo, 0, v5
	v_cndmask_b32_e32 v5, v5, v10, vcc_lo
	s_delay_alu instid0(VALU_DEP_3) | instskip(NEXT) | instid1(VALU_DEP_2)
	v_cndmask_b32_e32 v6, v6, v14, vcc_lo
	v_lshl_add_u32 v5, v5, 23, 0x3b800000
	s_delay_alu instid0(VALU_DEP_2) | instskip(NEXT) | instid1(VALU_DEP_1)
	v_lshlrev_b32_e32 v6, 20, v6
	v_or3_b32 v5, v2, v5, v6
	v_mov_b32_e32 v6, 0
.LBB232_1603:
	s_or_b32 exec_lo, exec_lo, s12
.LBB232_1604:
	s_mov_b32 s11, -1
.LBB232_1605:
	s_mov_b32 s12, 0
.LBB232_1606:
	s_delay_alu instid0(SALU_CYCLE_1)
	s_and_b32 vcc_lo, exec_lo, s12
	s_cbranch_vccz .LBB232_1638
; %bb.1607:
	v_cmp_lt_i16_e32 vcc_lo, 22, v13
	s_cbranch_vccz .LBB232_1619
; %bb.1608:
	v_cmp_gt_i16_e32 vcc_lo, 24, v13
	s_cbranch_vccnz .LBB232_1620
; %bb.1609:
	v_cmp_lt_i16_e32 vcc_lo, 24, v13
	s_cbranch_vccz .LBB232_1621
; %bb.1610:
	global_load_u8 v2, v[7:8], off
	s_mov_b32 s13, exec_lo
                                        ; implicit-def: $sgpr12
                                        ; implicit-def: $sgpr11
	s_waitcnt vmcnt(0)
	v_cmpx_lt_i16_e32 0x7f, v2
	s_xor_b32 s13, exec_lo, s13
	s_cbranch_execz .LBB232_1614
; %bb.1611:
	s_mov_b32 s1, -1
	s_mov_b32 s14, exec_lo
                                        ; implicit-def: $sgpr12
                                        ; implicit-def: $sgpr11
	v_cmpx_eq_u16_e32 0x80, v2
; %bb.1612:
	s_mov_b32 s11, 0x7f800001
	s_mov_b32 s12, 0
	s_xor_b32 s1, exec_lo, -1
; %bb.1613:
	s_or_b32 exec_lo, exec_lo, s14
	s_delay_alu instid0(SALU_CYCLE_1)
	s_and_b32 s1, s1, exec_lo
.LBB232_1614:
	s_or_saveexec_b32 s13, s13
	v_dual_mov_b32 v6, s12 :: v_dual_mov_b32 v5, s11
	s_xor_b32 exec_lo, exec_lo, s13
; %bb.1615:
	v_mov_b32_e32 v6, 0
	v_cmp_ne_u16_e32 vcc_lo, 0, v2
	s_and_not1_b32 s1, s1, exec_lo
	s_delay_alu instid0(VALU_DEP_2) | instskip(SKIP_1) | instid1(SALU_CYCLE_1)
	v_mov_b32_e32 v5, v6
	s_and_b32 s11, vcc_lo, exec_lo
	s_or_b32 s1, s1, s11
; %bb.1616:
	s_or_b32 exec_lo, exec_lo, s13
	s_and_saveexec_b32 s11, s1
	s_cbranch_execz .LBB232_1618
; %bb.1617:
	v_and_b32_e32 v5, 0xffff, v2
	v_lshlrev_b32_e32 v2, 24, v2
	s_delay_alu instid0(VALU_DEP_2) | instskip(NEXT) | instid1(VALU_DEP_2)
	v_and_b32_e32 v6, 3, v5
	v_and_b32_e32 v2, 0x80000000, v2
	s_delay_alu instid0(VALU_DEP_2) | instskip(NEXT) | instid1(VALU_DEP_1)
	v_clz_i32_u32_e32 v10, v6
	v_min_u32_e32 v10, 32, v10
	s_delay_alu instid0(VALU_DEP_1) | instskip(SKIP_1) | instid1(VALU_DEP_2)
	v_subrev_nc_u32_e32 v14, 29, v10
	v_sub_nc_u32_e32 v10, 30, v10
	v_lshlrev_b32_e32 v14, v14, v5
	v_bfe_u32 v5, v5, 2, 5
	s_delay_alu instid0(VALU_DEP_2) | instskip(NEXT) | instid1(VALU_DEP_2)
	v_and_b32_e32 v14, 3, v14
	v_cmp_eq_u32_e32 vcc_lo, 0, v5
	v_cndmask_b32_e32 v5, v5, v10, vcc_lo
	s_delay_alu instid0(VALU_DEP_3) | instskip(NEXT) | instid1(VALU_DEP_2)
	v_cndmask_b32_e32 v6, v6, v14, vcc_lo
	v_lshl_add_u32 v5, v5, 23, 0x37800000
	s_delay_alu instid0(VALU_DEP_2) | instskip(NEXT) | instid1(VALU_DEP_1)
	v_lshlrev_b32_e32 v6, 21, v6
	v_or3_b32 v5, v2, v5, v6
	v_mov_b32_e32 v6, 0
.LBB232_1618:
	s_or_b32 exec_lo, exec_lo, s11
	s_mov_b32 s1, 0
	s_branch .LBB232_1622
.LBB232_1619:
	s_mov_b32 s1, -1
                                        ; implicit-def: $vgpr6
	s_branch .LBB232_1628
.LBB232_1620:
	s_mov_b32 s1, -1
                                        ; implicit-def: $vgpr6
	s_branch .LBB232_1625
.LBB232_1621:
	s_mov_b32 s1, -1
                                        ; implicit-def: $vgpr6
.LBB232_1622:
	s_delay_alu instid0(SALU_CYCLE_1)
	s_and_b32 vcc_lo, exec_lo, s1
	s_cbranch_vccz .LBB232_1624
; %bb.1623:
	global_load_u8 v2, v[7:8], off
	s_waitcnt vmcnt(0)
	v_lshlrev_b32_e32 v2, 24, v2
	s_delay_alu instid0(VALU_DEP_1) | instskip(NEXT) | instid1(VALU_DEP_1)
	v_and_b32_e32 v5, 0x7f000000, v2
	v_clz_i32_u32_e32 v6, v5
	v_cmp_ne_u32_e32 vcc_lo, 0, v5
	v_add_nc_u32_e32 v14, 0x1000000, v5
	s_delay_alu instid0(VALU_DEP_3) | instskip(NEXT) | instid1(VALU_DEP_1)
	v_min_u32_e32 v6, 32, v6
	v_sub_nc_u32_e64 v6, v6, 4 clamp
	s_delay_alu instid0(VALU_DEP_1) | instskip(SKIP_1) | instid1(VALU_DEP_2)
	v_lshlrev_b32_e32 v10, v6, v5
	v_lshlrev_b32_e32 v6, 23, v6
	v_lshrrev_b32_e32 v10, 4, v10
	s_delay_alu instid0(VALU_DEP_1) | instskip(SKIP_1) | instid1(VALU_DEP_2)
	v_sub_nc_u32_e32 v6, v10, v6
	v_ashrrev_i32_e32 v10, 8, v14
	v_add_nc_u32_e32 v6, 0x3c000000, v6
	s_delay_alu instid0(VALU_DEP_1) | instskip(NEXT) | instid1(VALU_DEP_1)
	v_and_or_b32 v6, 0x7f800000, v10, v6
	v_dual_cndmask_b32 v5, 0, v6 :: v_dual_mov_b32 v6, 0
	s_delay_alu instid0(VALU_DEP_1)
	v_and_or_b32 v5, 0x80000000, v2, v5
.LBB232_1624:
	s_mov_b32 s1, 0
.LBB232_1625:
	s_delay_alu instid0(SALU_CYCLE_1)
	s_and_not1_b32 vcc_lo, exec_lo, s1
	s_cbranch_vccnz .LBB232_1627
; %bb.1626:
	global_load_u8 v2, v[7:8], off
	s_waitcnt vmcnt(0)
	v_lshlrev_b32_e32 v5, 25, v2
	v_lshlrev_b16 v2, 8, v2
	s_delay_alu instid0(VALU_DEP_2) | instskip(NEXT) | instid1(VALU_DEP_2)
	v_lshrrev_b32_e32 v6, 4, v5
	v_and_or_b32 v10, 0x7f00, v2, 0.5
	v_cmp_gt_u32_e32 vcc_lo, 0x8000000, v5
	v_bfe_i32 v2, v2, 0, 16
	s_delay_alu instid0(VALU_DEP_4) | instskip(NEXT) | instid1(VALU_DEP_4)
	v_or_b32_e32 v6, 0x70000000, v6
	v_add_f32_e32 v10, -0.5, v10
	s_delay_alu instid0(VALU_DEP_2) | instskip(NEXT) | instid1(VALU_DEP_1)
	v_mul_f32_e32 v6, 0x7800000, v6
	v_dual_cndmask_b32 v5, v6, v10 :: v_dual_mov_b32 v6, 0
	s_delay_alu instid0(VALU_DEP_1)
	v_and_or_b32 v5, 0x80000000, v2, v5
.LBB232_1627:
	s_mov_b32 s1, 0
	s_mov_b32 s11, -1
.LBB232_1628:
	s_and_not1_b32 vcc_lo, exec_lo, s1
	s_mov_b32 s1, 0
	s_cbranch_vccnz .LBB232_1638
; %bb.1629:
	v_cmp_lt_i16_e32 vcc_lo, 14, v13
	s_cbranch_vccz .LBB232_1632
; %bb.1630:
	v_cmp_eq_u16_e32 vcc_lo, 15, v13
	s_cbranch_vccz .LBB232_1633
; %bb.1631:
	global_load_u16 v2, v[7:8], off
	s_mov_b32 s0, 0
	s_mov_b32 s11, -1
	s_mov_b32 s12, 0
	s_waitcnt vmcnt(0)
	v_lshlrev_b32_e32 v5, 16, v2
	s_branch .LBB232_1635
.LBB232_1632:
	s_mov_b32 s1, -1
	s_branch .LBB232_1634
.LBB232_1633:
	s_mov_b32 s0, -1
.LBB232_1634:
                                        ; implicit-def: $sgpr12
                                        ; implicit-def: $vgpr5
.LBB232_1635:
	s_and_b32 vcc_lo, exec_lo, s1
	s_mov_b32 s1, 0
	s_cbranch_vccz .LBB232_1637
; %bb.1636:
	v_cmp_ne_u16_e64 s0, 11, v13
	s_mov_b32 s1, -1
                                        ; implicit-def: $sgpr12
                                        ; implicit-def: $vgpr5
.LBB232_1637:
	v_mov_b32_e32 v6, s12
.LBB232_1638:
	s_delay_alu instid0(VALU_DEP_2)
	s_and_b32 vcc_lo, exec_lo, s0
	s_cbranch_vccnz .LBB232_1684
; %bb.1639:
	s_and_not1_b32 vcc_lo, exec_lo, s1
	s_cbranch_vccnz .LBB232_1641
.LBB232_1640:
	global_load_u8 v2, v[7:8], off
	v_mov_b32_e32 v6, 0
	s_mov_b32 s11, -1
	s_waitcnt vmcnt(0)
	v_cmp_ne_u16_e32 vcc_lo, 0, v2
	v_cndmask_b32_e64 v5, 0, 1.0, vcc_lo
.LBB232_1641:
.LBB232_1642:
	s_and_not1_b32 vcc_lo, exec_lo, s11
	s_cbranch_vccnz .LBB232_1824
.LBB232_1643:
	s_waitcnt vmcnt(0)
	s_delay_alu instid0(VALU_DEP_1) | instskip(NEXT) | instid1(VALU_DEP_2)
	v_cmp_neq_f32_e32 vcc_lo, 0, v5
	v_cmp_neq_f32_e64 s0, 0, v6
	v_mov_b32_e32 v2, 0
	s_delay_alu instid0(VALU_DEP_2) | instskip(NEXT) | instid1(SALU_CYCLE_1)
	s_or_b32 s0, vcc_lo, s0
	s_and_saveexec_b32 s11, s0
	s_cbranch_execz .LBB232_1673
; %bb.1644:
	v_mov_b32_e32 v2, 0x7f800000
	s_mov_b32 s12, exec_lo
	v_cmpx_neq_f32_e64 0x7f800000, |v6|
	s_cbranch_execz .LBB232_1672
; %bb.1645:
	s_mov_b32 s0, exec_lo
	v_cmpx_o_f32_e32 v5, v5
	s_xor_b32 s13, exec_lo, s0
	s_cbranch_execz .LBB232_1669
; %bb.1646:
	s_mov_b32 s1, exec_lo
	v_cmpx_neq_f32_e64 0x7f800000, |v5|
	s_xor_b32 s14, exec_lo, s1
	s_cbranch_execz .LBB232_1662
; %bb.1647:
	v_max_f32_e64 v2, |v6|, |v6|
	v_max_f32_e64 v7, |v5|, |v5|
                                        ; implicit-def: $sgpr15
	s_delay_alu instid0(VALU_DEP_1) | instskip(NEXT) | instid1(VALU_DEP_1)
	v_max_f32_e32 v2, v7, v2
	v_cmp_nle_f32_e64 s0, 0x7ed413cb, v2
	s_delay_alu instid0(VALU_DEP_1) | instskip(NEXT) | instid1(SALU_CYCLE_1)
	s_and_saveexec_b32 s1, s0
	s_xor_b32 s1, exec_lo, s1
	s_cbranch_execz .LBB232_1651
; %bb.1648:
	v_cmp_ge_f32_e64 s15, 0x1000000, |v5|
	v_cmp_ge_f32_e64 s16, 0x1000000, |v6|
	s_delay_alu instid0(VALU_DEP_1)
	s_and_b32 s17, s15, s16
	s_mov_b32 s15, 0
	s_and_saveexec_b32 s16, s17
; %bb.1649:
	v_dual_mul_f32 v5, 4.0, v5 :: v_dual_mul_f32 v6, 4.0, v6
	s_mov_b32 s15, exec_lo
; %bb.1650:
	s_or_b32 exec_lo, exec_lo, s16
	s_delay_alu instid0(SALU_CYCLE_1)
	s_and_b32 s15, s15, exec_lo
.LBB232_1651:
	s_and_not1_saveexec_b32 s1, s1
; %bb.1652:
	v_dual_mul_f32 v5, 0x3e800000, v5 :: v_dual_mul_f32 v6, 0x3e800000, v6
	s_and_not1_b32 s15, s15, exec_lo
; %bb.1653:
	s_or_b32 exec_lo, exec_lo, s1
	s_delay_alu instid0(VALU_DEP_1) | instskip(NEXT) | instid1(VALU_DEP_2)
	v_max_f32_e64 v2, |v6|, |v6|
	v_max_f32_e64 v7, |v5|, |v5|
	s_delay_alu instid0(VALU_DEP_1) | instskip(NEXT) | instid1(VALU_DEP_1)
	v_max_f32_e32 v2, v7, v2
	v_cvt_f64_f32_e32 v[7:8], v2
	v_cmp_neq_f32_e64 s1, 0x7f800000, v2
                                        ; implicit-def: $vgpr2
	s_delay_alu instid0(VALU_DEP_2) | instskip(NEXT) | instid1(VALU_DEP_1)
	v_frexp_exp_i32_f64_e32 v7, v[7:8]
	v_sub_nc_u32_e32 v8, 0, v7
	s_delay_alu instid0(VALU_DEP_1) | instskip(SKIP_1) | instid1(VALU_DEP_2)
	v_ldexp_f32 v10, |v6|, v8
	v_ldexp_f32 v8, |v5|, v8
	v_mul_f32_e32 v10, v10, v10
	s_delay_alu instid0(VALU_DEP_1) | instskip(NEXT) | instid1(VALU_DEP_1)
	v_fmac_f32_e32 v10, v8, v8
	v_sqrt_f32_e32 v8, v10
	s_waitcnt_depctr 0xfff
	v_ldexp_f32 v7, v8, v7
	s_delay_alu instid0(VALU_DEP_1)
	v_cndmask_b32_e64 v8, 0x7f800000, v7, s1
                                        ; implicit-def: $vgpr7
	s_mov_b32 s1, exec_lo
	v_cmpx_le_f32_e32 0, v5
	s_xor_b32 s16, exec_lo, s1
	s_cbranch_execz .LBB232_1655
; %bb.1654:
	v_add_f32_e32 v2, v5, v8
	s_delay_alu instid0(VALU_DEP_1) | instskip(NEXT) | instid1(VALU_DEP_1)
	v_mul_f32_e32 v2, 0.5, v2
	v_mul_f32_e32 v5, 0x4f800000, v2
	v_cmp_gt_f32_e32 vcc_lo, 0xf800000, v2
	s_delay_alu instid0(VALU_DEP_2) | instskip(NEXT) | instid1(VALU_DEP_1)
	v_cndmask_b32_e32 v2, v2, v5, vcc_lo
	v_sqrt_f32_e32 v5, v2
	s_waitcnt_depctr 0xfff
	v_add_nc_u32_e32 v7, -1, v5
	v_add_nc_u32_e32 v8, 1, v5
	s_delay_alu instid0(VALU_DEP_2) | instskip(NEXT) | instid1(VALU_DEP_2)
	v_fma_f32 v10, -v7, v5, v2
	v_fma_f32 v14, -v8, v5, v2
	s_delay_alu instid0(VALU_DEP_2) | instskip(NEXT) | instid1(VALU_DEP_1)
	v_cmp_ge_f32_e64 s1, 0, v10
	v_cndmask_b32_e64 v5, v5, v7, s1
	s_delay_alu instid0(VALU_DEP_3) | instskip(NEXT) | instid1(VALU_DEP_1)
	v_cmp_lt_f32_e64 s1, 0, v14
	v_cndmask_b32_e64 v5, v5, v8, s1
	s_delay_alu instid0(VALU_DEP_1) | instskip(NEXT) | instid1(VALU_DEP_1)
	v_mul_f32_e32 v7, 0x37800000, v5
	v_cndmask_b32_e32 v5, v5, v7, vcc_lo
	v_cmp_class_f32_e64 vcc_lo, v2, 0x260
	s_delay_alu instid0(VALU_DEP_2) | instskip(NEXT) | instid1(VALU_DEP_1)
	v_cndmask_b32_e32 v2, v5, v2, vcc_lo
	v_add_f32_e32 v5, v2, v2
	s_delay_alu instid0(VALU_DEP_1) | instskip(NEXT) | instid1(VALU_DEP_1)
	v_div_scale_f32 v7, null, v5, v5, v6
	v_rcp_f32_e32 v8, v7
	s_waitcnt_depctr 0xfff
	v_fma_f32 v10, -v7, v8, 1.0
	s_delay_alu instid0(VALU_DEP_1) | instskip(SKIP_1) | instid1(VALU_DEP_1)
	v_fmac_f32_e32 v8, v10, v8
	v_div_scale_f32 v10, vcc_lo, v6, v5, v6
	v_mul_f32_e32 v14, v10, v8
	s_delay_alu instid0(VALU_DEP_1) | instskip(NEXT) | instid1(VALU_DEP_1)
	v_fma_f32 v15, -v7, v14, v10
	v_fmac_f32_e32 v14, v15, v8
	s_delay_alu instid0(VALU_DEP_1) | instskip(NEXT) | instid1(VALU_DEP_1)
	v_fma_f32 v7, -v7, v14, v10
	v_div_fmas_f32 v7, v7, v8, v14
                                        ; implicit-def: $vgpr8
	s_delay_alu instid0(VALU_DEP_1)
	v_div_fixup_f32 v7, v7, v5, v6
                                        ; implicit-def: $vgpr5
	s_and_not1_saveexec_b32 s16, s16
	s_cbranch_execz .LBB232_1657
	s_branch .LBB232_1656
.LBB232_1655:
	s_and_not1_saveexec_b32 s16, s16
	s_cbranch_execz .LBB232_1657
.LBB232_1656:
	v_sub_f32_e32 v2, v8, v5
	s_delay_alu instid0(VALU_DEP_1) | instskip(NEXT) | instid1(VALU_DEP_1)
	v_mul_f32_e32 v2, 0.5, v2
	v_mul_f32_e32 v5, 0x4f800000, v2
	v_cmp_gt_f32_e32 vcc_lo, 0xf800000, v2
	s_delay_alu instid0(VALU_DEP_2) | instskip(NEXT) | instid1(VALU_DEP_1)
	v_cndmask_b32_e32 v2, v2, v5, vcc_lo
	v_sqrt_f32_e32 v5, v2
	s_waitcnt_depctr 0xfff
	v_add_nc_u32_e32 v7, -1, v5
	v_add_nc_u32_e32 v8, 1, v5
	s_delay_alu instid0(VALU_DEP_2) | instskip(NEXT) | instid1(VALU_DEP_2)
	v_fma_f32 v10, -v7, v5, v2
	v_fma_f32 v14, -v8, v5, v2
	s_delay_alu instid0(VALU_DEP_2) | instskip(NEXT) | instid1(VALU_DEP_1)
	v_cmp_ge_f32_e64 s1, 0, v10
	v_cndmask_b32_e64 v5, v5, v7, s1
	s_delay_alu instid0(VALU_DEP_3) | instskip(NEXT) | instid1(VALU_DEP_1)
	v_cmp_lt_f32_e64 s1, 0, v14
	v_cndmask_b32_e64 v5, v5, v8, s1
	s_delay_alu instid0(VALU_DEP_1) | instskip(NEXT) | instid1(VALU_DEP_1)
	v_mul_f32_e32 v7, 0x37800000, v5
	v_cndmask_b32_e32 v5, v5, v7, vcc_lo
	v_cmp_class_f32_e64 vcc_lo, v2, 0x260
	s_delay_alu instid0(VALU_DEP_2) | instskip(NEXT) | instid1(VALU_DEP_1)
	v_cndmask_b32_e32 v5, v5, v2, vcc_lo
	v_dual_add_f32 v7, v5, v5 :: v_dual_and_b32 v2, 0x7fffffff, v6
	s_delay_alu instid0(VALU_DEP_1) | instskip(SKIP_1) | instid1(VALU_DEP_2)
	v_div_scale_f32 v8, null, v7, v7, v2
	v_div_scale_f32 v2, vcc_lo, v2, v7, v2
	v_rcp_f32_e32 v10, v8
	s_waitcnt_depctr 0xfff
	v_fma_f32 v14, -v8, v10, 1.0
	s_delay_alu instid0(VALU_DEP_1) | instskip(NEXT) | instid1(VALU_DEP_1)
	v_fmac_f32_e32 v10, v14, v10
	v_mul_f32_e32 v14, v2, v10
	s_delay_alu instid0(VALU_DEP_1) | instskip(NEXT) | instid1(VALU_DEP_1)
	v_fma_f32 v15, -v8, v14, v2
	v_fmac_f32_e32 v14, v15, v10
	s_delay_alu instid0(VALU_DEP_1) | instskip(NEXT) | instid1(VALU_DEP_1)
	v_fma_f32 v2, -v8, v14, v2
	v_div_fmas_f32 v2, v2, v10, v14
	s_delay_alu instid0(VALU_DEP_1)
	v_div_fixup_f32 v2, v2, v7, |v6|
	v_bfi_b32 v7, 0x7fffffff, v5, v6
.LBB232_1657:
	s_or_b32 exec_lo, exec_lo, s16
                                        ; implicit-def: $vgpr6
	s_and_saveexec_b32 s1, s0
	s_delay_alu instid0(SALU_CYCLE_1)
	s_xor_b32 s0, exec_lo, s1
	s_cbranch_execz .LBB232_1659
; %bb.1658:
	v_dual_mul_f32 v5, 0.5, v2 :: v_dual_mul_f32 v6, 0.5, v7
	s_delay_alu instid0(VALU_DEP_1) | instskip(NEXT) | instid1(VALU_DEP_2)
	v_cndmask_b32_e64 v5, v2, v5, s15
	v_cndmask_b32_e64 v6, v7, v6, s15
                                        ; implicit-def: $vgpr2
                                        ; implicit-def: $vgpr7
	s_and_not1_saveexec_b32 s0, s0
	s_cbranch_execnz .LBB232_1660
	s_branch .LBB232_1661
.LBB232_1659:
	s_and_not1_saveexec_b32 s0, s0
.LBB232_1660:
	v_dual_add_f32 v5, v2, v2 :: v_dual_add_f32 v6, v7, v7
.LBB232_1661:
	s_or_b32 exec_lo, exec_lo, s0
.LBB232_1662:
	s_and_not1_saveexec_b32 s0, s14
	s_cbranch_execz .LBB232_1668
; %bb.1663:
	s_delay_alu instid0(VALU_DEP_1)
	v_sub_f32_e32 v2, v6, v6
	s_mov_b32 s1, exec_lo
	v_cmpx_lt_i32_e32 -1, v5
	s_xor_b32 s1, exec_lo, s1
; %bb.1664:
	s_delay_alu instid0(VALU_DEP_2)
	v_bfi_b32 v6, 0x7fffffff, v2, v6
                                        ; implicit-def: $vgpr2
; %bb.1665:
	s_and_not1_saveexec_b32 s1, s1
; %bb.1666:
	v_and_b32_e32 v2, 0x7fffffff, v2
	s_delay_alu instid0(VALU_DEP_2) | instskip(NEXT) | instid1(VALU_DEP_2)
	v_bfi_b32 v6, 0x7fffffff, v5, v6
	v_mov_b32_e32 v5, v2
; %bb.1667:
	s_or_b32 exec_lo, exec_lo, s1
.LBB232_1668:
	s_delay_alu instid0(SALU_CYCLE_1)
	s_or_b32 exec_lo, exec_lo, s0
.LBB232_1669:
	s_and_not1_saveexec_b32 s0, s13
; %bb.1670:
	v_sub_f32_e32 v2, v6, v6
	s_delay_alu instid0(VALU_DEP_1) | instskip(NEXT) | instid1(VALU_DEP_1)
	v_div_scale_f32 v6, vcc_lo, v2, v2, v2
	v_rcp_f32_e32 v7, v6
	s_waitcnt_depctr 0xfff
	v_fma_f32 v8, -v6, v7, 1.0
	s_delay_alu instid0(VALU_DEP_1) | instskip(NEXT) | instid1(VALU_DEP_1)
	v_fmac_f32_e32 v7, v8, v7
	v_mul_f32_e32 v8, v6, v7
	s_delay_alu instid0(VALU_DEP_1) | instskip(NEXT) | instid1(VALU_DEP_1)
	v_fma_f32 v10, -v6, v8, v6
	v_fmac_f32_e32 v8, v10, v7
	s_delay_alu instid0(VALU_DEP_1) | instskip(NEXT) | instid1(VALU_DEP_1)
	v_fma_f32 v6, -v6, v8, v6
	v_div_fmas_f32 v6, v6, v7, v8
	s_delay_alu instid0(VALU_DEP_1)
	v_div_fixup_f32 v6, v6, v2, v2
; %bb.1671:
	s_or_b32 exec_lo, exec_lo, s0
	v_mov_b32_e32 v2, v5
.LBB232_1672:
	s_or_b32 exec_lo, exec_lo, s12
.LBB232_1673:
	s_delay_alu instid0(SALU_CYCLE_1) | instskip(SKIP_2) | instid1(VALU_DEP_2)
	s_or_b32 exec_lo, exec_lo, s11
	v_add_nc_u32_e32 v5, s3, v9
	v_cmp_gt_i16_e32 vcc_lo, 11, v13
	v_ashrrev_i32_e32 v7, 31, v5
	v_add_co_u32 v9, s0, s6, v5
	s_delay_alu instid0(VALU_DEP_1)
	v_add_co_ci_u32_e64 v10, s0, s7, v7, s0
	s_cbranch_vccnz .LBB232_1680
; %bb.1674:
	v_cmp_lt_i16_e32 vcc_lo, 25, v13
	s_mov_b32 s1, 0
	s_cbranch_vccz .LBB232_1681
; %bb.1675:
	v_cmp_lt_i16_e32 vcc_lo, 28, v13
	s_cbranch_vccz .LBB232_1682
; %bb.1676:
	v_cmp_lt_i16_e32 vcc_lo, 43, v13
	;; [unrolled: 3-line block ×3, first 2 shown]
	s_cbranch_vccz .LBB232_1686
; %bb.1678:
	v_cmp_eq_u16_e32 vcc_lo, 46, v13
	s_mov_b32 s6, 0
	s_cbranch_vccz .LBB232_1689
; %bb.1679:
	global_load_b32 v5, v[9:10], off
	s_mov_b32 s0, 0
	s_mov_b32 s3, -1
	s_waitcnt vmcnt(0)
	v_and_b32_e32 v8, 0xffff0000, v5
	v_lshlrev_b32_e32 v7, 16, v5
	s_branch .LBB232_1691
.LBB232_1680:
	s_mov_b32 s0, -1
	s_mov_b32 s3, 0
                                        ; implicit-def: $vgpr8
	s_branch .LBB232_1760
.LBB232_1681:
	s_mov_b32 s6, -1
	s_mov_b32 s3, 0
	s_mov_b32 s0, 0
                                        ; implicit-def: $vgpr8
	s_branch .LBB232_1724
.LBB232_1682:
	s_mov_b32 s6, -1
	s_mov_b32 s3, 0
	s_mov_b32 s0, 0
                                        ; implicit-def: $vgpr8
	s_branch .LBB232_1703
.LBB232_1683:
	s_mov_b32 s6, -1
	s_mov_b32 s3, 0
	s_mov_b32 s0, 0
                                        ; implicit-def: $vgpr8
	s_branch .LBB232_1697
.LBB232_1684:
	s_cbranch_execnz .LBB232_1687
; %bb.1685:
	s_or_b32 s8, s8, exec_lo
                                        ; implicit-def: $vgpr6
	s_cbranch_execz .LBB232_1640
	s_branch .LBB232_1641
.LBB232_1686:
	s_mov_b32 s6, -1
	s_mov_b32 s3, 0
	s_mov_b32 s0, 0
	s_branch .LBB232_1690
.LBB232_1687:
	s_trap 2
	s_sendmsg_rtn_b32 s0, sendmsg(MSG_RTN_GET_DOORBELL)
	s_mov_b32 ttmp2, m0
	s_waitcnt lgkmcnt(0)
	s_and_b32 s0, s0, 0x3ff
	s_delay_alu instid0(SALU_CYCLE_1) | instskip(NEXT) | instid1(SALU_CYCLE_1)
	s_bitset1_b32 s0, 10
	s_mov_b32 m0, s0
	s_sendmsg sendmsg(MSG_INTERRUPT)
	s_mov_b32 m0, ttmp2
.LBB232_1688:                           ; =>This Inner Loop Header: Depth=1
	s_sethalt 5
	s_branch .LBB232_1688
.LBB232_1689:
	s_mov_b32 s0, -1
	s_mov_b32 s3, 0
.LBB232_1690:
                                        ; implicit-def: $vgpr8
.LBB232_1691:
	s_and_b32 vcc_lo, exec_lo, s6
	s_cbranch_vccz .LBB232_1696
; %bb.1692:
	v_cmp_eq_u16_e32 vcc_lo, 44, v13
	s_cbranch_vccz .LBB232_1694
; %bb.1693:
	global_load_u8 v5, v[9:10], off
	s_mov_b32 s0, 0
	s_mov_b32 s3, -1
	s_waitcnt vmcnt(0)
	v_lshlrev_b32_e32 v7, 23, v5
	v_cmp_ne_u32_e32 vcc_lo, 0xff, v5
	s_delay_alu instid0(VALU_DEP_2) | instskip(SKIP_1) | instid1(VALU_DEP_2)
	v_cndmask_b32_e32 v7, 0x7f800001, v7, vcc_lo
	v_cmp_ne_u32_e32 vcc_lo, 0, v5
	v_cndmask_b32_e32 v7, 0x400000, v7, vcc_lo
	s_branch .LBB232_1695
.LBB232_1694:
	s_mov_b32 s0, -1
                                        ; implicit-def: $vgpr7
.LBB232_1695:
	s_delay_alu instid0(SALU_CYCLE_1)
	v_mov_b32_e32 v8, s0
.LBB232_1696:
	s_mov_b32 s6, 0
.LBB232_1697:
	s_delay_alu instid0(SALU_CYCLE_1)
	s_and_b32 vcc_lo, exec_lo, s6
	s_cbranch_vccz .LBB232_1702
; %bb.1698:
	v_cmp_eq_u16_e32 vcc_lo, 29, v13
	s_cbranch_vccz .LBB232_1700
; %bb.1699:
	global_load_b64 v[7:8], v[9:10], off
	s_mov_b32 s0, 0
	s_mov_b32 s3, -1
	s_mov_b32 s6, 0
	s_waitcnt vmcnt(0)
	v_clz_i32_u32_e32 v5, v8
	s_delay_alu instid0(VALU_DEP_1) | instskip(NEXT) | instid1(VALU_DEP_1)
	v_min_u32_e32 v5, 32, v5
	v_lshlrev_b64 v[7:8], v5, v[7:8]
	v_sub_nc_u32_e32 v5, 32, v5
	s_delay_alu instid0(VALU_DEP_2) | instskip(NEXT) | instid1(VALU_DEP_1)
	v_min_u32_e32 v7, 1, v7
	v_or_b32_e32 v7, v8, v7
	s_delay_alu instid0(VALU_DEP_1) | instskip(NEXT) | instid1(VALU_DEP_1)
	v_cvt_f32_u32_e32 v7, v7
	v_ldexp_f32 v7, v7, v5
	s_branch .LBB232_1701
.LBB232_1700:
	s_mov_b32 s0, -1
                                        ; implicit-def: $sgpr6
                                        ; implicit-def: $vgpr7
.LBB232_1701:
	v_mov_b32_e32 v8, s6
.LBB232_1702:
	s_mov_b32 s6, 0
.LBB232_1703:
	s_delay_alu instid0(SALU_CYCLE_1)
	s_and_b32 vcc_lo, exec_lo, s6
	s_cbranch_vccz .LBB232_1723
; %bb.1704:
	v_cmp_gt_i16_e32 vcc_lo, 27, v13
	s_cbranch_vccnz .LBB232_1707
; %bb.1705:
	v_cmp_lt_i16_e32 vcc_lo, 27, v13
	s_cbranch_vccz .LBB232_1708
; %bb.1706:
	global_load_b32 v5, v[9:10], off
	s_mov_b32 s6, 0
	s_mov_b32 s3, 0
	s_waitcnt vmcnt(0)
	v_cvt_f32_u32_e32 v7, v5
	s_branch .LBB232_1709
.LBB232_1707:
	s_mov_b32 s6, -1
                                        ; implicit-def: $sgpr3
                                        ; implicit-def: $vgpr7
	s_branch .LBB232_1712
.LBB232_1708:
	s_mov_b32 s6, -1
                                        ; implicit-def: $sgpr3
                                        ; implicit-def: $vgpr7
.LBB232_1709:
	s_delay_alu instid0(SALU_CYCLE_1)
	s_and_not1_b32 vcc_lo, exec_lo, s6
	s_cbranch_vccnz .LBB232_1711
; %bb.1710:
	global_load_u16 v5, v[9:10], off
	s_mov_b32 s3, 0
	s_waitcnt vmcnt(0)
	v_cvt_f32_u32_e32 v7, v5
.LBB232_1711:
	s_mov_b32 s6, 0
.LBB232_1712:
	v_mov_b32_e32 v8, s3
	s_and_not1_b32 vcc_lo, exec_lo, s6
	s_cbranch_vccnz .LBB232_1722
; %bb.1713:
	global_load_u8 v5, v[9:10], off
	s_mov_b32 s3, 0
	s_mov_b32 s11, exec_lo
                                        ; implicit-def: $sgpr7
                                        ; implicit-def: $sgpr6
	s_waitcnt vmcnt(0)
	v_cmpx_lt_i16_e32 0x7f, v5
	s_xor_b32 s11, exec_lo, s11
	s_cbranch_execz .LBB232_1717
; %bb.1714:
	s_mov_b32 s3, -1
	s_mov_b32 s12, exec_lo
                                        ; implicit-def: $sgpr7
                                        ; implicit-def: $sgpr6
	v_cmpx_eq_u16_e32 0x80, v5
; %bb.1715:
	s_mov_b32 s6, 0x7f800001
	s_mov_b32 s7, 0
	s_xor_b32 s3, exec_lo, -1
; %bb.1716:
	s_or_b32 exec_lo, exec_lo, s12
	s_delay_alu instid0(SALU_CYCLE_1)
	s_and_b32 s3, s3, exec_lo
.LBB232_1717:
	s_or_saveexec_b32 s11, s11
	v_dual_mov_b32 v8, s7 :: v_dual_mov_b32 v7, s6
	s_xor_b32 exec_lo, exec_lo, s11
; %bb.1718:
	v_mov_b32_e32 v8, 0
	v_cmp_ne_u16_e32 vcc_lo, 0, v5
	s_and_not1_b32 s3, s3, exec_lo
	s_delay_alu instid0(VALU_DEP_2) | instskip(SKIP_1) | instid1(SALU_CYCLE_1)
	v_mov_b32_e32 v7, v8
	s_and_b32 s6, vcc_lo, exec_lo
	s_or_b32 s3, s3, s6
; %bb.1719:
	s_or_b32 exec_lo, exec_lo, s11
	s_and_saveexec_b32 s6, s3
	s_cbranch_execz .LBB232_1721
; %bb.1720:
	v_and_b32_e32 v7, 0xffff, v5
	v_lshlrev_b32_e32 v5, 24, v5
	s_delay_alu instid0(VALU_DEP_2) | instskip(NEXT) | instid1(VALU_DEP_2)
	v_and_b32_e32 v8, 7, v7
	v_and_b32_e32 v5, 0x80000000, v5
	s_delay_alu instid0(VALU_DEP_2) | instskip(NEXT) | instid1(VALU_DEP_1)
	v_clz_i32_u32_e32 v14, v8
	v_min_u32_e32 v14, 32, v14
	s_delay_alu instid0(VALU_DEP_1) | instskip(SKIP_1) | instid1(VALU_DEP_2)
	v_subrev_nc_u32_e32 v15, 28, v14
	v_sub_nc_u32_e32 v14, 29, v14
	v_lshlrev_b32_e32 v15, v15, v7
	v_bfe_u32 v7, v7, 3, 4
	s_delay_alu instid0(VALU_DEP_2) | instskip(NEXT) | instid1(VALU_DEP_2)
	v_and_b32_e32 v15, 7, v15
	v_cmp_eq_u32_e32 vcc_lo, 0, v7
	s_delay_alu instid0(VALU_DEP_2) | instskip(NEXT) | instid1(VALU_DEP_1)
	v_dual_cndmask_b32 v7, v7, v14 :: v_dual_cndmask_b32 v8, v8, v15
	v_lshl_add_u32 v7, v7, 23, 0x3b800000
	s_delay_alu instid0(VALU_DEP_2) | instskip(NEXT) | instid1(VALU_DEP_1)
	v_lshlrev_b32_e32 v8, 20, v8
	v_or3_b32 v7, v5, v7, v8
	v_mov_b32_e32 v8, 0
.LBB232_1721:
	s_or_b32 exec_lo, exec_lo, s6
.LBB232_1722:
	s_mov_b32 s3, -1
.LBB232_1723:
	s_mov_b32 s6, 0
.LBB232_1724:
	s_delay_alu instid0(SALU_CYCLE_1)
	s_and_b32 vcc_lo, exec_lo, s6
	s_cbranch_vccz .LBB232_1756
; %bb.1725:
	v_cmp_lt_i16_e32 vcc_lo, 22, v13
	s_cbranch_vccz .LBB232_1737
; %bb.1726:
	v_cmp_gt_i16_e32 vcc_lo, 24, v13
	s_cbranch_vccnz .LBB232_1738
; %bb.1727:
	v_cmp_lt_i16_e32 vcc_lo, 24, v13
	s_cbranch_vccz .LBB232_1739
; %bb.1728:
	global_load_u8 v5, v[9:10], off
	s_mov_b32 s7, exec_lo
                                        ; implicit-def: $sgpr6
                                        ; implicit-def: $sgpr3
	s_waitcnt vmcnt(0)
	v_cmpx_lt_i16_e32 0x7f, v5
	s_xor_b32 s7, exec_lo, s7
	s_cbranch_execz .LBB232_1732
; %bb.1729:
	s_mov_b32 s1, -1
	s_mov_b32 s11, exec_lo
                                        ; implicit-def: $sgpr6
                                        ; implicit-def: $sgpr3
	v_cmpx_eq_u16_e32 0x80, v5
; %bb.1730:
	s_mov_b32 s3, 0x7f800001
	s_mov_b32 s6, 0
	s_xor_b32 s1, exec_lo, -1
; %bb.1731:
	s_or_b32 exec_lo, exec_lo, s11
	s_delay_alu instid0(SALU_CYCLE_1)
	s_and_b32 s1, s1, exec_lo
.LBB232_1732:
	s_or_saveexec_b32 s7, s7
	v_dual_mov_b32 v8, s6 :: v_dual_mov_b32 v7, s3
	s_xor_b32 exec_lo, exec_lo, s7
; %bb.1733:
	v_mov_b32_e32 v8, 0
	v_cmp_ne_u16_e32 vcc_lo, 0, v5
	s_and_not1_b32 s1, s1, exec_lo
	s_delay_alu instid0(VALU_DEP_2) | instskip(SKIP_1) | instid1(SALU_CYCLE_1)
	v_mov_b32_e32 v7, v8
	s_and_b32 s3, vcc_lo, exec_lo
	s_or_b32 s1, s1, s3
; %bb.1734:
	s_or_b32 exec_lo, exec_lo, s7
	s_and_saveexec_b32 s3, s1
	s_cbranch_execz .LBB232_1736
; %bb.1735:
	v_and_b32_e32 v7, 0xffff, v5
	v_lshlrev_b32_e32 v5, 24, v5
	s_delay_alu instid0(VALU_DEP_2) | instskip(NEXT) | instid1(VALU_DEP_2)
	v_and_b32_e32 v8, 3, v7
	v_and_b32_e32 v5, 0x80000000, v5
	s_delay_alu instid0(VALU_DEP_2) | instskip(NEXT) | instid1(VALU_DEP_1)
	v_clz_i32_u32_e32 v14, v8
	v_min_u32_e32 v14, 32, v14
	s_delay_alu instid0(VALU_DEP_1) | instskip(SKIP_1) | instid1(VALU_DEP_2)
	v_subrev_nc_u32_e32 v15, 29, v14
	v_sub_nc_u32_e32 v14, 30, v14
	v_lshlrev_b32_e32 v15, v15, v7
	v_bfe_u32 v7, v7, 2, 5
	s_delay_alu instid0(VALU_DEP_2) | instskip(NEXT) | instid1(VALU_DEP_2)
	v_and_b32_e32 v15, 3, v15
	v_cmp_eq_u32_e32 vcc_lo, 0, v7
	s_delay_alu instid0(VALU_DEP_2) | instskip(NEXT) | instid1(VALU_DEP_1)
	v_dual_cndmask_b32 v7, v7, v14 :: v_dual_cndmask_b32 v8, v8, v15
	v_lshl_add_u32 v7, v7, 23, 0x37800000
	s_delay_alu instid0(VALU_DEP_2) | instskip(NEXT) | instid1(VALU_DEP_1)
	v_lshlrev_b32_e32 v8, 21, v8
	v_or3_b32 v7, v5, v7, v8
	v_mov_b32_e32 v8, 0
.LBB232_1736:
	s_or_b32 exec_lo, exec_lo, s3
	s_mov_b32 s1, 0
	s_branch .LBB232_1740
.LBB232_1737:
	s_mov_b32 s1, -1
                                        ; implicit-def: $vgpr8
	s_branch .LBB232_1746
.LBB232_1738:
	s_mov_b32 s1, -1
                                        ; implicit-def: $vgpr8
	s_branch .LBB232_1743
.LBB232_1739:
	s_mov_b32 s1, -1
                                        ; implicit-def: $vgpr8
.LBB232_1740:
	s_delay_alu instid0(SALU_CYCLE_1)
	s_and_b32 vcc_lo, exec_lo, s1
	s_cbranch_vccz .LBB232_1742
; %bb.1741:
	global_load_u8 v5, v[9:10], off
	s_waitcnt vmcnt(0)
	v_lshlrev_b32_e32 v5, 24, v5
	s_delay_alu instid0(VALU_DEP_1) | instskip(NEXT) | instid1(VALU_DEP_1)
	v_and_b32_e32 v7, 0x7f000000, v5
	v_clz_i32_u32_e32 v8, v7
	v_cmp_ne_u32_e32 vcc_lo, 0, v7
	v_add_nc_u32_e32 v15, 0x1000000, v7
	s_delay_alu instid0(VALU_DEP_3) | instskip(NEXT) | instid1(VALU_DEP_1)
	v_min_u32_e32 v8, 32, v8
	v_sub_nc_u32_e64 v8, v8, 4 clamp
	s_delay_alu instid0(VALU_DEP_1) | instskip(SKIP_1) | instid1(VALU_DEP_2)
	v_lshlrev_b32_e32 v14, v8, v7
	v_lshlrev_b32_e32 v8, 23, v8
	v_lshrrev_b32_e32 v14, 4, v14
	s_delay_alu instid0(VALU_DEP_1) | instskip(SKIP_1) | instid1(VALU_DEP_2)
	v_sub_nc_u32_e32 v8, v14, v8
	v_ashrrev_i32_e32 v14, 8, v15
	v_add_nc_u32_e32 v8, 0x3c000000, v8
	s_delay_alu instid0(VALU_DEP_1) | instskip(NEXT) | instid1(VALU_DEP_1)
	v_and_or_b32 v8, 0x7f800000, v14, v8
	v_dual_cndmask_b32 v7, 0, v8 :: v_dual_mov_b32 v8, 0
	s_delay_alu instid0(VALU_DEP_1)
	v_and_or_b32 v7, 0x80000000, v5, v7
.LBB232_1742:
	s_mov_b32 s1, 0
.LBB232_1743:
	s_delay_alu instid0(SALU_CYCLE_1)
	s_and_not1_b32 vcc_lo, exec_lo, s1
	s_cbranch_vccnz .LBB232_1745
; %bb.1744:
	global_load_u8 v5, v[9:10], off
	s_waitcnt vmcnt(0)
	v_lshlrev_b32_e32 v7, 25, v5
	v_lshlrev_b16 v5, 8, v5
	s_delay_alu instid0(VALU_DEP_1) | instskip(SKIP_1) | instid1(VALU_DEP_2)
	v_and_or_b32 v14, 0x7f00, v5, 0.5
	v_bfe_i32 v5, v5, 0, 16
	v_add_f32_e32 v14, -0.5, v14
	v_lshrrev_b32_e32 v8, 4, v7
	v_cmp_gt_u32_e32 vcc_lo, 0x8000000, v7
	s_delay_alu instid0(VALU_DEP_2) | instskip(NEXT) | instid1(VALU_DEP_1)
	v_or_b32_e32 v8, 0x70000000, v8
	v_mul_f32_e32 v8, 0x7800000, v8
	s_delay_alu instid0(VALU_DEP_1) | instskip(NEXT) | instid1(VALU_DEP_1)
	v_dual_cndmask_b32 v7, v8, v14 :: v_dual_mov_b32 v8, 0
	v_and_or_b32 v7, 0x80000000, v5, v7
.LBB232_1745:
	s_mov_b32 s1, 0
	s_mov_b32 s3, -1
.LBB232_1746:
	s_and_not1_b32 vcc_lo, exec_lo, s1
	s_mov_b32 s1, 0
	s_cbranch_vccnz .LBB232_1756
; %bb.1747:
	v_cmp_lt_i16_e32 vcc_lo, 14, v13
	s_cbranch_vccz .LBB232_1750
; %bb.1748:
	v_cmp_eq_u16_e32 vcc_lo, 15, v13
	s_cbranch_vccz .LBB232_1751
; %bb.1749:
	global_load_u16 v5, v[9:10], off
	s_mov_b32 s0, 0
	s_mov_b32 s3, -1
	s_mov_b32 s6, 0
	s_waitcnt vmcnt(0)
	v_lshlrev_b32_e32 v7, 16, v5
	s_branch .LBB232_1753
.LBB232_1750:
	s_mov_b32 s1, -1
	s_branch .LBB232_1752
.LBB232_1751:
	s_mov_b32 s0, -1
.LBB232_1752:
                                        ; implicit-def: $sgpr6
                                        ; implicit-def: $vgpr7
.LBB232_1753:
	s_and_b32 vcc_lo, exec_lo, s1
	s_mov_b32 s1, 0
	s_cbranch_vccz .LBB232_1755
; %bb.1754:
	v_cmp_ne_u16_e64 s0, 11, v13
	s_mov_b32 s1, -1
                                        ; implicit-def: $sgpr6
                                        ; implicit-def: $vgpr7
.LBB232_1755:
	v_mov_b32_e32 v8, s6
.LBB232_1756:
	s_delay_alu instid0(VALU_DEP_2)
	s_and_b32 vcc_lo, exec_lo, s0
	s_cbranch_vccnz .LBB232_2322
; %bb.1757:
	s_and_not1_b32 vcc_lo, exec_lo, s1
	s_cbranch_vccnz .LBB232_1759
.LBB232_1758:
	global_load_u8 v5, v[9:10], off
	v_mov_b32_e32 v8, 0
	s_mov_b32 s3, -1
	s_waitcnt vmcnt(0)
	v_cmp_ne_u16_e32 vcc_lo, 0, v5
	v_cndmask_b32_e64 v7, 0, 1.0, vcc_lo
.LBB232_1759:
	s_mov_b32 s0, 0
.LBB232_1760:
	s_delay_alu instid0(SALU_CYCLE_1)
	s_and_b32 vcc_lo, exec_lo, s0
	s_cbranch_vccz .LBB232_1811
; %bb.1761:
	v_cmp_gt_i16_e32 vcc_lo, 5, v13
	s_cbranch_vccnz .LBB232_1766
; %bb.1762:
	v_cmp_gt_i16_e32 vcc_lo, 8, v13
	s_cbranch_vccnz .LBB232_1767
	;; [unrolled: 3-line block ×3, first 2 shown]
; %bb.1764:
	v_cmp_lt_i16_e32 vcc_lo, 9, v13
	s_cbranch_vccz .LBB232_1769
; %bb.1765:
	global_load_b128 v[14:17], v[9:10], off
	s_mov_b32 s0, 0
	s_waitcnt vmcnt(0)
	v_cvt_f32_f64_e32 v7, v[14:15]
	v_cvt_f32_f64_e32 v8, v[16:17]
	s_branch .LBB232_1770
.LBB232_1766:
	s_mov_b32 s0, -1
                                        ; implicit-def: $vgpr8
	s_branch .LBB232_1789
.LBB232_1767:
	s_mov_b32 s0, -1
                                        ; implicit-def: $vgpr8
	s_branch .LBB232_1776
.LBB232_1768:
	s_mov_b32 s0, -1
                                        ; implicit-def: $vgpr8
	s_branch .LBB232_1773
.LBB232_1769:
	s_mov_b32 s0, -1
                                        ; implicit-def: $vgpr8
.LBB232_1770:
	s_delay_alu instid0(SALU_CYCLE_1)
	s_and_not1_b32 vcc_lo, exec_lo, s0
	s_cbranch_vccnz .LBB232_1772
; %bb.1771:
	global_load_b64 v[7:8], v[9:10], off
.LBB232_1772:
	s_mov_b32 s0, 0
.LBB232_1773:
	s_delay_alu instid0(SALU_CYCLE_1)
	s_and_not1_b32 vcc_lo, exec_lo, s0
	s_cbranch_vccnz .LBB232_1775
; %bb.1774:
	global_load_b32 v5, v[9:10], off
	s_waitcnt vmcnt(0)
	v_lshrrev_b32_e32 v8, 16, v5
	v_cvt_f32_f16_e32 v7, v5
	s_delay_alu instid0(VALU_DEP_2)
	v_cvt_f32_f16_e32 v8, v8
.LBB232_1775:
	s_mov_b32 s0, 0
.LBB232_1776:
	s_delay_alu instid0(SALU_CYCLE_1)
	s_and_not1_b32 vcc_lo, exec_lo, s0
	s_cbranch_vccnz .LBB232_1788
; %bb.1777:
	v_cmp_gt_i16_e32 vcc_lo, 6, v13
	s_cbranch_vccnz .LBB232_1780
; %bb.1778:
	v_cmp_lt_i16_e32 vcc_lo, 6, v13
	s_cbranch_vccz .LBB232_1781
; %bb.1779:
	global_load_b64 v[7:8], v[9:10], off
	s_mov_b32 s1, 0
	s_mov_b32 s0, 0
	s_waitcnt vmcnt(0)
	v_cvt_f32_f64_e32 v7, v[7:8]
	s_branch .LBB232_1782
.LBB232_1780:
	s_mov_b32 s1, -1
                                        ; implicit-def: $sgpr0
                                        ; implicit-def: $vgpr7
	s_branch .LBB232_1785
.LBB232_1781:
	s_mov_b32 s1, -1
                                        ; implicit-def: $sgpr0
                                        ; implicit-def: $vgpr7
.LBB232_1782:
	s_delay_alu instid0(SALU_CYCLE_1)
	s_and_not1_b32 vcc_lo, exec_lo, s1
	s_cbranch_vccnz .LBB232_1784
; %bb.1783:
	global_load_b32 v7, v[9:10], off
	s_mov_b32 s0, 0
.LBB232_1784:
	s_mov_b32 s1, 0
.LBB232_1785:
	s_delay_alu instid0(SALU_CYCLE_1)
	s_and_not1_b32 vcc_lo, exec_lo, s1
	s_cbranch_vccnz .LBB232_1787
; %bb.1786:
	global_load_u16 v5, v[9:10], off
	s_mov_b32 s0, 0
	s_waitcnt vmcnt(0)
	v_cvt_f32_f16_e32 v7, v5
.LBB232_1787:
	s_waitcnt vmcnt(0)
	v_mov_b32_e32 v8, s0
.LBB232_1788:
	s_mov_b32 s0, 0
.LBB232_1789:
	s_delay_alu instid0(SALU_CYCLE_1)
	s_and_not1_b32 vcc_lo, exec_lo, s0
	s_cbranch_vccnz .LBB232_1810
; %bb.1790:
	v_cmp_gt_i16_e32 vcc_lo, 2, v13
	s_cbranch_vccnz .LBB232_1794
; %bb.1791:
	v_cmp_gt_i16_e32 vcc_lo, 3, v13
	s_cbranch_vccnz .LBB232_1795
; %bb.1792:
	v_cmp_lt_i16_e32 vcc_lo, 3, v13
	s_cbranch_vccz .LBB232_1796
; %bb.1793:
	global_load_b64 v[7:8], v[9:10], off
	s_mov_b32 s1, 0
	s_mov_b32 s0, 0
	s_waitcnt vmcnt(0)
	v_xor_b32_e32 v5, v7, v8
	v_cls_i32_e32 v14, v8
	s_delay_alu instid0(VALU_DEP_2) | instskip(NEXT) | instid1(VALU_DEP_2)
	v_ashrrev_i32_e32 v5, 31, v5
	v_add_nc_u32_e32 v14, -1, v14
	s_delay_alu instid0(VALU_DEP_2) | instskip(NEXT) | instid1(VALU_DEP_1)
	v_add_nc_u32_e32 v5, 32, v5
	v_min_u32_e32 v5, v14, v5
	s_delay_alu instid0(VALU_DEP_1) | instskip(SKIP_1) | instid1(VALU_DEP_2)
	v_lshlrev_b64 v[7:8], v5, v[7:8]
	v_sub_nc_u32_e32 v5, 32, v5
	v_min_u32_e32 v7, 1, v7
	s_delay_alu instid0(VALU_DEP_1) | instskip(NEXT) | instid1(VALU_DEP_1)
	v_or_b32_e32 v7, v8, v7
	v_cvt_f32_i32_e32 v7, v7
	s_delay_alu instid0(VALU_DEP_1)
	v_ldexp_f32 v7, v7, v5
	s_branch .LBB232_1797
.LBB232_1794:
	s_mov_b32 s1, -1
                                        ; implicit-def: $sgpr0
                                        ; implicit-def: $vgpr7
	s_branch .LBB232_1803
.LBB232_1795:
	s_mov_b32 s1, -1
                                        ; implicit-def: $sgpr0
                                        ; implicit-def: $vgpr7
	s_branch .LBB232_1800
.LBB232_1796:
	s_mov_b32 s1, -1
                                        ; implicit-def: $sgpr0
                                        ; implicit-def: $vgpr7
.LBB232_1797:
	s_delay_alu instid0(SALU_CYCLE_1)
	s_and_not1_b32 vcc_lo, exec_lo, s1
	s_cbranch_vccnz .LBB232_1799
; %bb.1798:
	global_load_b32 v5, v[9:10], off
	s_mov_b32 s0, 0
	s_waitcnt vmcnt(0)
	v_cvt_f32_i32_e32 v7, v5
.LBB232_1799:
	s_mov_b32 s1, 0
.LBB232_1800:
	s_delay_alu instid0(SALU_CYCLE_1)
	s_and_not1_b32 vcc_lo, exec_lo, s1
	s_cbranch_vccnz .LBB232_1802
; %bb.1801:
	global_load_i16 v5, v[9:10], off
	s_mov_b32 s0, 0
	s_waitcnt vmcnt(0)
	v_cvt_f32_i32_e32 v7, v5
.LBB232_1802:
	s_mov_b32 s1, 0
.LBB232_1803:
	s_delay_alu instid0(SALU_CYCLE_1)
	s_and_not1_b32 vcc_lo, exec_lo, s1
	s_cbranch_vccnz .LBB232_1809
; %bb.1804:
	v_cmp_lt_i16_e32 vcc_lo, 0, v13
	s_mov_b32 s1, 0
	s_cbranch_vccz .LBB232_1806
; %bb.1805:
	global_load_i8 v5, v[9:10], off
	s_mov_b32 s0, 0
	s_waitcnt vmcnt(0)
	v_cvt_f32_i32_e32 v7, v5
	s_branch .LBB232_1807
.LBB232_1806:
	s_mov_b32 s1, -1
                                        ; implicit-def: $sgpr0
                                        ; implicit-def: $vgpr7
.LBB232_1807:
	s_delay_alu instid0(SALU_CYCLE_1)
	s_and_not1_b32 vcc_lo, exec_lo, s1
	s_cbranch_vccnz .LBB232_1809
; %bb.1808:
	global_load_u8 v5, v[9:10], off
	s_mov_b32 s0, 0
	s_waitcnt vmcnt(0)
	v_cvt_f32_ubyte0_e32 v7, v5
.LBB232_1809:
	s_waitcnt vmcnt(0)
	v_mov_b32_e32 v8, s0
.LBB232_1810:
	s_mov_b32 s3, -1
.LBB232_1811:
	s_delay_alu instid0(SALU_CYCLE_1)
	s_and_not1_b32 vcc_lo, exec_lo, s3
	s_cbranch_vccnz .LBB232_1824
; %bb.1812:
	s_waitcnt vmcnt(0)
	s_delay_alu instid0(VALU_DEP_1) | instskip(NEXT) | instid1(VALU_DEP_2)
	v_cmp_neq_f32_e32 vcc_lo, 0, v7
	v_cmp_neq_f32_e64 s0, 0, v8
	v_mov_b32_e32 v9, 0
	s_delay_alu instid0(VALU_DEP_2) | instskip(NEXT) | instid1(SALU_CYCLE_1)
	s_or_b32 s0, vcc_lo, s0
	s_and_saveexec_b32 s3, s0
	s_cbranch_execz .LBB232_1887
; %bb.1813:
	v_mov_b32_e32 v9, 0x7f800000
	s_mov_b32 s6, exec_lo
	v_cmpx_neq_f32_e64 0x7f800000, |v8|
	s_cbranch_execz .LBB232_1886
; %bb.1814:
	s_mov_b32 s0, exec_lo
	v_cmpx_o_f32_e32 v7, v7
	s_xor_b32 s7, exec_lo, s0
	s_cbranch_execz .LBB232_1883
; %bb.1815:
	s_mov_b32 s1, exec_lo
	v_cmpx_neq_f32_e64 0x7f800000, |v7|
	s_xor_b32 s11, exec_lo, s1
	s_cbranch_execz .LBB232_1876
; %bb.1816:
	v_max_f32_e64 v5, |v8|, |v8|
	v_max_f32_e64 v9, |v7|, |v7|
                                        ; implicit-def: $sgpr12
	s_delay_alu instid0(VALU_DEP_1) | instskip(NEXT) | instid1(VALU_DEP_1)
	v_max_f32_e32 v5, v9, v5
	v_cmp_nle_f32_e64 s0, 0x7ed413cb, v5
	s_delay_alu instid0(VALU_DEP_1) | instskip(NEXT) | instid1(SALU_CYCLE_1)
	s_and_saveexec_b32 s1, s0
	s_xor_b32 s1, exec_lo, s1
	s_cbranch_execz .LBB232_1820
; %bb.1817:
	v_cmp_ge_f32_e64 s12, 0x1000000, |v7|
	v_cmp_ge_f32_e64 s13, 0x1000000, |v8|
	s_delay_alu instid0(VALU_DEP_1)
	s_and_b32 s14, s12, s13
	s_mov_b32 s12, 0
	s_and_saveexec_b32 s13, s14
; %bb.1818:
	v_dual_mul_f32 v7, 4.0, v7 :: v_dual_mul_f32 v8, 4.0, v8
	s_mov_b32 s12, exec_lo
; %bb.1819:
	s_or_b32 exec_lo, exec_lo, s13
	s_delay_alu instid0(SALU_CYCLE_1)
	s_and_b32 s12, s12, exec_lo
.LBB232_1820:
	s_and_not1_saveexec_b32 s1, s1
; %bb.1821:
	v_dual_mul_f32 v7, 0x3e800000, v7 :: v_dual_mul_f32 v8, 0x3e800000, v8
	s_and_not1_b32 s12, s12, exec_lo
; %bb.1822:
	s_or_b32 exec_lo, exec_lo, s1
	s_delay_alu instid0(VALU_DEP_1) | instskip(NEXT) | instid1(VALU_DEP_2)
	v_max_f32_e64 v5, |v8|, |v8|
	v_max_f32_e64 v9, |v7|, |v7|
	s_delay_alu instid0(VALU_DEP_1) | instskip(NEXT) | instid1(VALU_DEP_1)
	v_max_f32_e32 v5, v9, v5
	v_cvt_f64_f32_e32 v[9:10], v5
	v_cmp_neq_f32_e64 s1, 0x7f800000, v5
                                        ; implicit-def: $vgpr5
	s_delay_alu instid0(VALU_DEP_2) | instskip(NEXT) | instid1(VALU_DEP_1)
	v_frexp_exp_i32_f64_e32 v9, v[9:10]
	v_sub_nc_u32_e32 v10, 0, v9
	s_delay_alu instid0(VALU_DEP_1) | instskip(SKIP_1) | instid1(VALU_DEP_2)
	v_ldexp_f32 v13, |v8|, v10
	v_ldexp_f32 v10, |v7|, v10
	v_mul_f32_e32 v13, v13, v13
	s_delay_alu instid0(VALU_DEP_1) | instskip(NEXT) | instid1(VALU_DEP_1)
	v_fmac_f32_e32 v13, v10, v10
	v_sqrt_f32_e32 v10, v13
	s_waitcnt_depctr 0xfff
	v_ldexp_f32 v9, v10, v9
	s_delay_alu instid0(VALU_DEP_1)
	v_cndmask_b32_e64 v10, 0x7f800000, v9, s1
                                        ; implicit-def: $vgpr9
	s_mov_b32 s1, exec_lo
	v_cmpx_le_f32_e32 0, v7
	s_xor_b32 s13, exec_lo, s1
	s_cbranch_execz .LBB232_1869
; %bb.1823:
	v_add_f32_e32 v5, v7, v10
	s_delay_alu instid0(VALU_DEP_1) | instskip(NEXT) | instid1(VALU_DEP_1)
	v_mul_f32_e32 v5, 0.5, v5
	v_mul_f32_e32 v7, 0x4f800000, v5
	v_cmp_gt_f32_e32 vcc_lo, 0xf800000, v5
	s_delay_alu instid0(VALU_DEP_2) | instskip(NEXT) | instid1(VALU_DEP_1)
	v_cndmask_b32_e32 v5, v5, v7, vcc_lo
	v_sqrt_f32_e32 v7, v5
	s_waitcnt_depctr 0xfff
	v_add_nc_u32_e32 v9, -1, v7
	v_add_nc_u32_e32 v10, 1, v7
	s_delay_alu instid0(VALU_DEP_2) | instskip(NEXT) | instid1(VALU_DEP_2)
	v_fma_f32 v13, -v9, v7, v5
	v_fma_f32 v14, -v10, v7, v5
	s_delay_alu instid0(VALU_DEP_2) | instskip(NEXT) | instid1(VALU_DEP_1)
	v_cmp_ge_f32_e64 s1, 0, v13
	v_cndmask_b32_e64 v7, v7, v9, s1
	s_delay_alu instid0(VALU_DEP_3) | instskip(NEXT) | instid1(VALU_DEP_1)
	v_cmp_lt_f32_e64 s1, 0, v14
	v_cndmask_b32_e64 v7, v7, v10, s1
	s_delay_alu instid0(VALU_DEP_1) | instskip(NEXT) | instid1(VALU_DEP_1)
	v_mul_f32_e32 v9, 0x37800000, v7
	v_cndmask_b32_e32 v7, v7, v9, vcc_lo
	v_cmp_class_f32_e64 vcc_lo, v5, 0x260
	s_delay_alu instid0(VALU_DEP_2) | instskip(NEXT) | instid1(VALU_DEP_1)
	v_cndmask_b32_e32 v5, v7, v5, vcc_lo
	v_add_f32_e32 v7, v5, v5
	s_delay_alu instid0(VALU_DEP_1) | instskip(NEXT) | instid1(VALU_DEP_1)
	v_div_scale_f32 v9, null, v7, v7, v8
	v_rcp_f32_e32 v10, v9
	s_waitcnt_depctr 0xfff
	v_fma_f32 v13, -v9, v10, 1.0
	s_delay_alu instid0(VALU_DEP_1) | instskip(SKIP_1) | instid1(VALU_DEP_1)
	v_fmac_f32_e32 v10, v13, v10
	v_div_scale_f32 v13, vcc_lo, v8, v7, v8
	v_mul_f32_e32 v14, v13, v10
	s_delay_alu instid0(VALU_DEP_1) | instskip(NEXT) | instid1(VALU_DEP_1)
	v_fma_f32 v15, -v9, v14, v13
	v_fmac_f32_e32 v14, v15, v10
	s_delay_alu instid0(VALU_DEP_1) | instskip(NEXT) | instid1(VALU_DEP_1)
	v_fma_f32 v9, -v9, v14, v13
	v_div_fmas_f32 v9, v9, v10, v14
                                        ; implicit-def: $vgpr10
	s_delay_alu instid0(VALU_DEP_1)
	v_div_fixup_f32 v9, v9, v7, v8
                                        ; implicit-def: $vgpr7
	s_and_not1_saveexec_b32 s13, s13
	s_cbranch_execz .LBB232_1871
	s_branch .LBB232_1870
.LBB232_1824:
	s_mov_b32 s0, 0
	s_mov_b32 s1, 0
                                        ; implicit-def: $vgpr7
                                        ; implicit-def: $vgpr0_vgpr1
                                        ; implicit-def: $vgpr8
                                        ; implicit-def: $vgpr9
.LBB232_1825:
	s_and_b32 s11, s0, exec_lo
	s_and_not1_b32 s0, s10, exec_lo
	s_and_b32 s2, s8, exec_lo
	s_and_b32 s8, s1, exec_lo
	s_or_b32 s10, s0, s2
.LBB232_1826:
	s_or_b32 exec_lo, exec_lo, s9
	s_and_saveexec_b32 s0, s10
	s_cbranch_execz .LBB232_1829
; %bb.1827:
	; divergent unreachable
	s_or_b32 exec_lo, exec_lo, s0
	s_and_saveexec_b32 s0, s8
	s_delay_alu instid0(SALU_CYCLE_1)
	s_xor_b32 s1, exec_lo, s0
	s_cbranch_execnz .LBB232_1830
.LBB232_1828:
	s_or_b32 exec_lo, exec_lo, s1
	s_and_saveexec_b32 s0, s11
	s_cbranch_execnz .LBB232_1831
	s_branch .LBB232_1868
.LBB232_1829:
	s_or_b32 exec_lo, exec_lo, s0
	s_and_saveexec_b32 s0, s8
	s_delay_alu instid0(SALU_CYCLE_1)
	s_xor_b32 s1, exec_lo, s0
	s_cbranch_execz .LBB232_1828
.LBB232_1830:
	v_cmp_neq_f32_e32 vcc_lo, 0, v9
	s_waitcnt vmcnt(0)
	s_delay_alu instid0(VALU_DEP_2) | instskip(NEXT) | instid1(VALU_DEP_1)
	v_cmp_neq_f32_e64 s0, 0, v8
	s_or_b32 s0, vcc_lo, s0
	s_delay_alu instid0(SALU_CYCLE_1)
	v_cndmask_b32_e64 v2, 0, 1, s0
	global_store_b8 v[0:1], v2, off
	s_or_b32 exec_lo, exec_lo, s1
	s_and_saveexec_b32 s0, s11
	s_cbranch_execz .LBB232_1868
.LBB232_1831:
	s_waitcnt vmcnt(0)
	s_delay_alu instid0(VALU_DEP_1)
	v_cmp_gt_i16_e32 vcc_lo, 5, v7
	s_mov_b32 s0, -1
	s_cbranch_vccnz .LBB232_1852
; %bb.1832:
	v_cmp_gt_i16_e32 vcc_lo, 8, v7
	s_cbranch_vccnz .LBB232_1842
; %bb.1833:
	v_cmp_gt_i16_e32 vcc_lo, 9, v7
	s_cbranch_vccnz .LBB232_1839
; %bb.1834:
	v_cmp_lt_i16_e32 vcc_lo, 9, v7
	s_cbranch_vccz .LBB232_1836
; %bb.1835:
	v_cvt_f64_f32_e32 v[2:3], v9
	v_cvt_f64_f32_e32 v[4:5], v8
	s_mov_b32 s0, 0
	global_store_b128 v[0:1], v[2:5], off
.LBB232_1836:
	s_and_not1_b32 vcc_lo, exec_lo, s0
	s_cbranch_vccnz .LBB232_1838
; %bb.1837:
	v_mov_b32_e32 v10, v8
	global_store_b64 v[0:1], v[9:10], off
.LBB232_1838:
	s_mov_b32 s0, 0
.LBB232_1839:
	s_delay_alu instid0(SALU_CYCLE_1)
	s_and_not1_b32 vcc_lo, exec_lo, s0
	s_cbranch_vccnz .LBB232_1841
; %bb.1840:
	v_cvt_f16_f32_e32 v2, v8
	v_cvt_f16_f32_e32 v3, v9
	s_delay_alu instid0(VALU_DEP_2) | instskip(NEXT) | instid1(VALU_DEP_2)
	v_lshlrev_b32_e32 v2, 16, v2
	v_and_b32_e32 v3, 0xffff, v3
	s_delay_alu instid0(VALU_DEP_1)
	v_or_b32_e32 v2, v2, v3
	global_store_b32 v[0:1], v2, off
.LBB232_1841:
	s_mov_b32 s0, 0
.LBB232_1842:
	s_delay_alu instid0(SALU_CYCLE_1)
	s_and_not1_b32 vcc_lo, exec_lo, s0
	s_cbranch_vccnz .LBB232_1851
; %bb.1843:
	v_cmp_gt_i16_e32 vcc_lo, 6, v7
	s_mov_b32 s0, -1
	s_cbranch_vccnz .LBB232_1849
; %bb.1844:
	v_cmp_lt_i16_e32 vcc_lo, 6, v7
	s_cbranch_vccz .LBB232_1846
; %bb.1845:
	v_cvt_f64_f32_e32 v[2:3], v9
	s_mov_b32 s0, 0
	global_store_b64 v[0:1], v[2:3], off
.LBB232_1846:
	s_and_not1_b32 vcc_lo, exec_lo, s0
	s_cbranch_vccnz .LBB232_1848
; %bb.1847:
	global_store_b32 v[0:1], v9, off
.LBB232_1848:
	s_mov_b32 s0, 0
.LBB232_1849:
	s_delay_alu instid0(SALU_CYCLE_1)
	s_and_not1_b32 vcc_lo, exec_lo, s0
	s_cbranch_vccnz .LBB232_1851
; %bb.1850:
	v_cvt_f16_f32_e32 v2, v9
	global_store_b16 v[0:1], v2, off
.LBB232_1851:
	s_mov_b32 s0, 0
.LBB232_1852:
	s_delay_alu instid0(SALU_CYCLE_1)
	s_and_not1_b32 vcc_lo, exec_lo, s0
	s_cbranch_vccnz .LBB232_1868
; %bb.1853:
	v_cmp_gt_i16_e32 vcc_lo, 2, v7
	s_mov_b32 s0, -1
	s_cbranch_vccnz .LBB232_1863
; %bb.1854:
	v_cmp_gt_i16_e32 vcc_lo, 3, v7
	s_cbranch_vccnz .LBB232_1860
; %bb.1855:
	v_cmp_lt_i16_e32 vcc_lo, 3, v7
	s_cbranch_vccz .LBB232_1857
; %bb.1856:
	v_trunc_f32_e32 v2, v9
	s_mov_b32 s0, 0
	s_delay_alu instid0(VALU_DEP_1) | instskip(SKIP_1) | instid1(VALU_DEP_2)
	v_mul_f32_e64 v3, 0x2f800000, |v2|
	v_ashrrev_i32_e32 v5, 31, v2
	v_floor_f32_e32 v3, v3
	s_delay_alu instid0(VALU_DEP_1) | instskip(SKIP_1) | instid1(VALU_DEP_2)
	v_fma_f32 v4, 0xcf800000, v3, |v2|
	v_cvt_u32_f32_e32 v3, v3
	v_cvt_u32_f32_e32 v2, v4
	s_delay_alu instid0(VALU_DEP_2) | instskip(NEXT) | instid1(VALU_DEP_2)
	v_xor_b32_e32 v3, v3, v5
	v_xor_b32_e32 v2, v2, v5
	s_delay_alu instid0(VALU_DEP_1) | instskip(NEXT) | instid1(VALU_DEP_3)
	v_sub_co_u32 v2, vcc_lo, v2, v5
	v_sub_co_ci_u32_e32 v3, vcc_lo, v3, v5, vcc_lo
	global_store_b64 v[0:1], v[2:3], off
.LBB232_1857:
	s_and_not1_b32 vcc_lo, exec_lo, s0
	s_cbranch_vccnz .LBB232_1859
; %bb.1858:
	v_cvt_i32_f32_e32 v2, v9
	global_store_b32 v[0:1], v2, off
.LBB232_1859:
	s_mov_b32 s0, 0
.LBB232_1860:
	s_delay_alu instid0(SALU_CYCLE_1)
	s_and_not1_b32 vcc_lo, exec_lo, s0
	s_cbranch_vccnz .LBB232_1862
; %bb.1861:
	v_cvt_i32_f32_e32 v2, v9
	global_store_b16 v[0:1], v2, off
.LBB232_1862:
	s_mov_b32 s0, 0
.LBB232_1863:
	s_delay_alu instid0(SALU_CYCLE_1)
	s_and_not1_b32 vcc_lo, exec_lo, s0
	s_cbranch_vccnz .LBB232_1868
; %bb.1864:
	v_cmp_lt_i16_e32 vcc_lo, 0, v7
	s_mov_b32 s0, -1
	s_cbranch_vccz .LBB232_1866
; %bb.1865:
	v_cvt_i32_f32_e32 v2, v9
	s_mov_b32 s0, 0
	global_store_b8 v[0:1], v2, off
.LBB232_1866:
	s_and_not1_b32 vcc_lo, exec_lo, s0
	s_cbranch_vccnz .LBB232_1868
; %bb.1867:
	v_trunc_f32_e32 v2, v9
	s_delay_alu instid0(VALU_DEP_1) | instskip(NEXT) | instid1(VALU_DEP_1)
	v_mul_f32_e64 v3, 0x2f800000, |v2|
	v_floor_f32_e32 v3, v3
	s_delay_alu instid0(VALU_DEP_1) | instskip(SKIP_1) | instid1(VALU_DEP_2)
	v_fma_f32 v3, 0xcf800000, v3, |v2|
	v_ashrrev_i32_e32 v2, 31, v2
	v_cvt_u32_f32_e32 v3, v3
	s_delay_alu instid0(VALU_DEP_1) | instskip(NEXT) | instid1(VALU_DEP_1)
	v_xor_b32_e32 v3, v3, v2
	v_sub_nc_u32_e32 v2, v3, v2
	global_store_b8 v[0:1], v2, off
	s_nop 0
	s_sendmsg sendmsg(MSG_DEALLOC_VGPRS)
	s_endpgm
.LBB232_1868:
	s_nop 0
	s_sendmsg sendmsg(MSG_DEALLOC_VGPRS)
	s_endpgm
.LBB232_1869:
	s_and_not1_saveexec_b32 s13, s13
	s_cbranch_execz .LBB232_1871
.LBB232_1870:
	v_sub_f32_e32 v5, v10, v7
	s_delay_alu instid0(VALU_DEP_1) | instskip(NEXT) | instid1(VALU_DEP_1)
	v_mul_f32_e32 v5, 0.5, v5
	v_mul_f32_e32 v7, 0x4f800000, v5
	v_cmp_gt_f32_e32 vcc_lo, 0xf800000, v5
	s_delay_alu instid0(VALU_DEP_2) | instskip(NEXT) | instid1(VALU_DEP_1)
	v_cndmask_b32_e32 v5, v5, v7, vcc_lo
	v_sqrt_f32_e32 v7, v5
	s_waitcnt_depctr 0xfff
	v_add_nc_u32_e32 v10, 1, v7
	v_add_nc_u32_e32 v9, -1, v7
	s_delay_alu instid0(VALU_DEP_2) | instskip(NEXT) | instid1(VALU_DEP_2)
	v_fma_f32 v14, -v10, v7, v5
	v_fma_f32 v13, -v9, v7, v5
	s_delay_alu instid0(VALU_DEP_1) | instskip(NEXT) | instid1(VALU_DEP_1)
	v_cmp_ge_f32_e64 s1, 0, v13
	v_cndmask_b32_e64 v7, v7, v9, s1
	s_delay_alu instid0(VALU_DEP_4) | instskip(NEXT) | instid1(VALU_DEP_1)
	v_cmp_lt_f32_e64 s1, 0, v14
	v_cndmask_b32_e64 v7, v7, v10, s1
	s_delay_alu instid0(VALU_DEP_1) | instskip(NEXT) | instid1(VALU_DEP_1)
	v_mul_f32_e32 v9, 0x37800000, v7
	v_cndmask_b32_e32 v7, v7, v9, vcc_lo
	v_cmp_class_f32_e64 vcc_lo, v5, 0x260
	s_delay_alu instid0(VALU_DEP_2) | instskip(SKIP_1) | instid1(VALU_DEP_2)
	v_cndmask_b32_e32 v7, v7, v5, vcc_lo
	v_and_b32_e32 v5, 0x7fffffff, v8
	v_add_f32_e32 v9, v7, v7
	s_delay_alu instid0(VALU_DEP_1) | instskip(SKIP_1) | instid1(VALU_DEP_2)
	v_div_scale_f32 v10, null, v9, v9, v5
	v_div_scale_f32 v5, vcc_lo, v5, v9, v5
	v_rcp_f32_e32 v13, v10
	s_waitcnt_depctr 0xfff
	v_fma_f32 v14, -v10, v13, 1.0
	s_delay_alu instid0(VALU_DEP_1) | instskip(NEXT) | instid1(VALU_DEP_1)
	v_fmac_f32_e32 v13, v14, v13
	v_mul_f32_e32 v14, v5, v13
	s_delay_alu instid0(VALU_DEP_1) | instskip(NEXT) | instid1(VALU_DEP_1)
	v_fma_f32 v15, -v10, v14, v5
	v_fmac_f32_e32 v14, v15, v13
	s_delay_alu instid0(VALU_DEP_1) | instskip(NEXT) | instid1(VALU_DEP_1)
	v_fma_f32 v5, -v10, v14, v5
	v_div_fmas_f32 v5, v5, v13, v14
	s_delay_alu instid0(VALU_DEP_1)
	v_div_fixup_f32 v5, v5, v9, |v8|
	v_bfi_b32 v9, 0x7fffffff, v7, v8
.LBB232_1871:
	s_or_b32 exec_lo, exec_lo, s13
                                        ; implicit-def: $vgpr8
	s_and_saveexec_b32 s1, s0
	s_delay_alu instid0(SALU_CYCLE_1)
	s_xor_b32 s0, exec_lo, s1
	s_cbranch_execz .LBB232_1873
; %bb.1872:
	v_mul_f32_e32 v7, 0.5, v5
	v_mul_f32_e32 v8, 0.5, v9
	s_delay_alu instid0(VALU_DEP_2) | instskip(NEXT) | instid1(VALU_DEP_2)
	v_cndmask_b32_e64 v7, v5, v7, s12
	v_cndmask_b32_e64 v8, v9, v8, s12
                                        ; implicit-def: $vgpr5
                                        ; implicit-def: $vgpr9
	s_and_not1_saveexec_b32 s0, s0
	s_cbranch_execnz .LBB232_1874
	s_branch .LBB232_1875
.LBB232_1873:
	s_and_not1_saveexec_b32 s0, s0
.LBB232_1874:
	v_add_f32_e32 v7, v5, v5
	v_add_f32_e32 v8, v9, v9
.LBB232_1875:
	s_or_b32 exec_lo, exec_lo, s0
.LBB232_1876:
	s_and_not1_saveexec_b32 s0, s11
	s_cbranch_execz .LBB232_1882
; %bb.1877:
	s_delay_alu instid0(VALU_DEP_1)
	v_sub_f32_e32 v5, v8, v8
	s_mov_b32 s1, exec_lo
	v_cmpx_lt_i32_e32 -1, v7
	s_xor_b32 s1, exec_lo, s1
; %bb.1878:
	s_delay_alu instid0(VALU_DEP_2)
	v_bfi_b32 v8, 0x7fffffff, v5, v8
                                        ; implicit-def: $vgpr5
; %bb.1879:
	s_and_not1_saveexec_b32 s1, s1
; %bb.1880:
	v_and_b32_e32 v5, 0x7fffffff, v5
	s_delay_alu instid0(VALU_DEP_2) | instskip(NEXT) | instid1(VALU_DEP_2)
	v_bfi_b32 v8, 0x7fffffff, v7, v8
	v_mov_b32_e32 v7, v5
; %bb.1881:
	s_or_b32 exec_lo, exec_lo, s1
.LBB232_1882:
	s_delay_alu instid0(SALU_CYCLE_1)
	s_or_b32 exec_lo, exec_lo, s0
.LBB232_1883:
	s_and_not1_saveexec_b32 s0, s7
; %bb.1884:
	v_sub_f32_e32 v5, v8, v8
	s_delay_alu instid0(VALU_DEP_1) | instskip(NEXT) | instid1(VALU_DEP_1)
	v_div_scale_f32 v8, vcc_lo, v5, v5, v5
	v_rcp_f32_e32 v9, v8
	s_waitcnt_depctr 0xfff
	v_fma_f32 v10, -v8, v9, 1.0
	s_delay_alu instid0(VALU_DEP_1) | instskip(NEXT) | instid1(VALU_DEP_1)
	v_fmac_f32_e32 v9, v10, v9
	v_mul_f32_e32 v10, v8, v9
	s_delay_alu instid0(VALU_DEP_1) | instskip(NEXT) | instid1(VALU_DEP_1)
	v_fma_f32 v13, -v8, v10, v8
	v_fmac_f32_e32 v10, v13, v9
	s_delay_alu instid0(VALU_DEP_1) | instskip(NEXT) | instid1(VALU_DEP_1)
	v_fma_f32 v8, -v8, v10, v8
	v_div_fmas_f32 v8, v8, v9, v10
	s_delay_alu instid0(VALU_DEP_1)
	v_div_fixup_f32 v8, v8, v5, v5
; %bb.1885:
	s_or_b32 exec_lo, exec_lo, s0
	v_mov_b32_e32 v9, v7
.LBB232_1886:
	s_or_b32 exec_lo, exec_lo, s6
.LBB232_1887:
	s_delay_alu instid0(SALU_CYCLE_1) | instskip(SKIP_2) | instid1(VALU_DEP_1)
	s_or_b32 exec_lo, exec_lo, s3
	v_mul_lo_u32 v12, s2, v12
	v_and_b32_e32 v7, 0xff, v11
	v_cmp_gt_i16_e32 vcc_lo, 11, v7
	s_delay_alu instid0(VALU_DEP_3) | instskip(SKIP_1) | instid1(VALU_DEP_1)
	v_ashrrev_i32_e32 v5, 31, v12
	v_add_co_u32 v10, s0, s4, v12
	v_add_co_ci_u32_e64 v11, s0, s5, v5, s0
	s_cbranch_vccnz .LBB232_1965
; %bb.1888:
	v_cmp_lt_i16_e32 vcc_lo, 25, v7
	s_mov_b32 s6, -1
	s_mov_b32 s1, 0
	s_mov_b32 s3, 0
	;; [unrolled: 1-line block ×3, first 2 shown]
	s_cbranch_vccz .LBB232_1921
; %bb.1889:
	v_cmp_lt_i16_e32 vcc_lo, 28, v7
	s_cbranch_vccz .LBB232_1904
; %bb.1890:
	v_cmp_lt_i16_e32 vcc_lo, 43, v7
	;; [unrolled: 3-line block ×3, first 2 shown]
	s_cbranch_vccz .LBB232_1894
; %bb.1892:
	v_cmp_eq_u16_e32 vcc_lo, 46, v7
	s_mov_b32 s0, -1
	s_mov_b32 s6, 0
	s_cbranch_vccz .LBB232_1894
; %bb.1893:
	v_bfe_u32 v5, v1, 16, 1
	v_bfe_u32 v13, v4, 16, 1
	v_cmp_o_f32_e32 vcc_lo, v1, v1
	s_mov_b32 s0, 0
	s_mov_b32 s3, -1
	v_add3_u32 v5, v1, v5, 0x7fff
	v_add3_u32 v13, v4, v13, 0x7fff
	s_delay_alu instid0(VALU_DEP_2) | instskip(NEXT) | instid1(VALU_DEP_2)
	v_and_b32_e32 v5, 0xffff0000, v5
	v_lshrrev_b32_e32 v13, 16, v13
	s_delay_alu instid0(VALU_DEP_2) | instskip(SKIP_1) | instid1(VALU_DEP_3)
	v_cndmask_b32_e32 v5, 0x7fc00000, v5, vcc_lo
	v_cmp_o_f32_e32 vcc_lo, v4, v4
	v_cndmask_b32_e32 v13, 0x7fc0, v13, vcc_lo
	s_delay_alu instid0(VALU_DEP_1)
	v_or_b32_e32 v5, v5, v13
	global_store_b32 v[10:11], v5, off
.LBB232_1894:
	s_and_b32 vcc_lo, exec_lo, s6
	s_cbranch_vccz .LBB232_1899
; %bb.1895:
	v_cmp_eq_u16_e32 vcc_lo, 44, v7
	s_mov_b32 s0, -1
	s_cbranch_vccz .LBB232_1899
; %bb.1896:
	v_bfe_u32 v13, v4, 23, 8
	v_mov_b32_e32 v5, 0xff
	s_mov_b32 s3, exec_lo
	s_delay_alu instid0(VALU_DEP_2)
	v_cmpx_ne_u32_e32 0xff, v13
; %bb.1897:
	v_and_b32_e32 v5, 0x400000, v4
	v_and_or_b32 v13, 0x3fffff, v4, v13
	s_delay_alu instid0(VALU_DEP_2) | instskip(NEXT) | instid1(VALU_DEP_2)
	v_cmp_ne_u32_e32 vcc_lo, 0, v5
	v_cmp_ne_u32_e64 s0, 0, v13
	v_lshrrev_b32_e32 v5, 23, v4
	s_delay_alu instid0(VALU_DEP_2) | instskip(NEXT) | instid1(SALU_CYCLE_1)
	s_and_b32 s0, vcc_lo, s0
	v_cndmask_b32_e64 v13, 0, 1, s0
	s_delay_alu instid0(VALU_DEP_1)
	v_add_nc_u32_e32 v5, v5, v13
; %bb.1898:
	s_or_b32 exec_lo, exec_lo, s3
	s_mov_b32 s0, 0
	s_mov_b32 s3, -1
	global_store_b8 v[10:11], v5, off
.LBB232_1899:
	s_mov_b32 s6, 0
.LBB232_1900:
	s_delay_alu instid0(SALU_CYCLE_1)
	s_and_b32 vcc_lo, exec_lo, s6
	s_cbranch_vccz .LBB232_1903
; %bb.1901:
	v_cmp_eq_u16_e32 vcc_lo, 29, v7
	s_mov_b32 s0, -1
	s_cbranch_vccz .LBB232_1903
; %bb.1902:
	v_trunc_f32_e32 v5, v4
	s_mov_b32 s0, 0
	s_mov_b32 s3, -1
	s_delay_alu instid0(VALU_DEP_1) | instskip(NEXT) | instid1(VALU_DEP_1)
	v_mul_f32_e32 v13, 0x2f800000, v5
	v_floor_f32_e32 v13, v13
	s_delay_alu instid0(VALU_DEP_1) | instskip(SKIP_1) | instid1(VALU_DEP_2)
	v_fmamk_f32 v5, v13, 0xcf800000, v5
	v_cvt_u32_f32_e32 v14, v13
	v_cvt_u32_f32_e32 v13, v5
	global_store_b64 v[10:11], v[13:14], off
.LBB232_1903:
	s_mov_b32 s6, 0
.LBB232_1904:
	s_delay_alu instid0(SALU_CYCLE_1)
	s_and_b32 vcc_lo, exec_lo, s6
	s_cbranch_vccz .LBB232_1920
; %bb.1905:
	v_cmp_gt_i16_e32 vcc_lo, 27, v7
	s_mov_b32 s3, -1
	s_cbranch_vccnz .LBB232_1911
; %bb.1906:
	v_cmp_lt_i16_e32 vcc_lo, 27, v7
	v_cvt_u32_f32_e32 v5, v4
	s_cbranch_vccz .LBB232_1908
; %bb.1907:
	s_mov_b32 s3, 0
	global_store_b32 v[10:11], v5, off
.LBB232_1908:
	s_and_not1_b32 vcc_lo, exec_lo, s3
	s_cbranch_vccnz .LBB232_1910
; %bb.1909:
	global_store_b16 v[10:11], v5, off
.LBB232_1910:
	s_mov_b32 s3, 0
.LBB232_1911:
	s_delay_alu instid0(SALU_CYCLE_1)
	s_and_not1_b32 vcc_lo, exec_lo, s3
	s_cbranch_vccnz .LBB232_1919
; %bb.1912:
	v_and_b32_e32 v5, 0x7fffffff, v4
	v_mov_b32_e32 v13, 0x80
	s_mov_b32 s3, exec_lo
	s_delay_alu instid0(VALU_DEP_2)
	v_cmpx_gt_u32_e32 0x43800000, v5
	s_cbranch_execz .LBB232_1918
; %bb.1913:
	v_cmp_lt_u32_e32 vcc_lo, 0x3bffffff, v5
	s_mov_b32 s6, 0
                                        ; implicit-def: $vgpr5
	s_and_saveexec_b32 s7, vcc_lo
	s_delay_alu instid0(SALU_CYCLE_1)
	s_xor_b32 s7, exec_lo, s7
	s_cbranch_execz .LBB232_2324
; %bb.1914:
	v_bfe_u32 v5, v4, 20, 1
	s_mov_b32 s6, exec_lo
	s_delay_alu instid0(VALU_DEP_1) | instskip(NEXT) | instid1(VALU_DEP_1)
	v_add3_u32 v5, v4, v5, 0x487ffff
	v_lshrrev_b32_e32 v5, 20, v5
	s_or_saveexec_b32 s7, s7
                                        ; implicit-def: $sgpr11
	s_delay_alu instid0(SALU_CYCLE_1)
	s_xor_b32 exec_lo, exec_lo, s7
	s_cbranch_execnz .LBB232_2325
.LBB232_1915:
	s_or_b32 exec_lo, exec_lo, s7
	v_mov_b32_e32 v13, s11
	s_and_saveexec_b32 s7, s6
.LBB232_1916:
	v_lshrrev_b32_e32 v13, 24, v4
	s_delay_alu instid0(VALU_DEP_1)
	v_and_or_b32 v13, 0x80, v13, v5
.LBB232_1917:
	s_or_b32 exec_lo, exec_lo, s7
.LBB232_1918:
	s_delay_alu instid0(SALU_CYCLE_1)
	s_or_b32 exec_lo, exec_lo, s3
	global_store_b8 v[10:11], v13, off
.LBB232_1919:
	s_mov_b32 s3, -1
.LBB232_1920:
	s_mov_b32 s6, 0
.LBB232_1921:
	s_delay_alu instid0(SALU_CYCLE_1)
	s_and_b32 vcc_lo, exec_lo, s6
	s_cbranch_vccz .LBB232_1961
; %bb.1922:
	v_cmp_lt_i16_e32 vcc_lo, 22, v7
	s_mov_b32 s1, -1
	s_cbranch_vccz .LBB232_1954
; %bb.1923:
	v_cmp_gt_i16_e32 vcc_lo, 24, v7
	s_cbranch_vccnz .LBB232_1943
; %bb.1924:
	v_cmp_lt_i16_e32 vcc_lo, 24, v7
	s_cbranch_vccz .LBB232_1932
; %bb.1925:
	v_and_b32_e32 v5, 0x7fffffff, v4
	v_mov_b32_e32 v13, 0x80
	s_mov_b32 s1, exec_lo
	s_delay_alu instid0(VALU_DEP_2)
	v_cmpx_gt_u32_e32 0x47800000, v5
	s_cbranch_execz .LBB232_1931
; %bb.1926:
	v_cmp_lt_u32_e32 vcc_lo, 0x37ffffff, v5
	s_mov_b32 s3, 0
                                        ; implicit-def: $vgpr5
	s_and_saveexec_b32 s6, vcc_lo
	s_delay_alu instid0(SALU_CYCLE_1)
	s_xor_b32 s6, exec_lo, s6
	s_cbranch_execz .LBB232_2330
; %bb.1927:
	v_bfe_u32 v5, v4, 21, 1
	s_mov_b32 s3, exec_lo
	s_delay_alu instid0(VALU_DEP_1) | instskip(NEXT) | instid1(VALU_DEP_1)
	v_add3_u32 v5, v4, v5, 0x88fffff
	v_lshrrev_b32_e32 v5, 21, v5
	s_or_saveexec_b32 s6, s6
                                        ; implicit-def: $sgpr7
	s_delay_alu instid0(SALU_CYCLE_1)
	s_xor_b32 exec_lo, exec_lo, s6
	s_cbranch_execnz .LBB232_2331
.LBB232_1928:
	s_or_b32 exec_lo, exec_lo, s6
	v_mov_b32_e32 v13, s7
	s_and_saveexec_b32 s6, s3
.LBB232_1929:
	v_lshrrev_b32_e32 v13, 24, v4
	s_delay_alu instid0(VALU_DEP_1)
	v_and_or_b32 v13, 0x80, v13, v5
.LBB232_1930:
	s_or_b32 exec_lo, exec_lo, s6
.LBB232_1931:
	s_delay_alu instid0(SALU_CYCLE_1)
	s_or_b32 exec_lo, exec_lo, s1
	s_mov_b32 s1, 0
	global_store_b8 v[10:11], v13, off
.LBB232_1932:
	s_and_b32 vcc_lo, exec_lo, s1
	s_cbranch_vccz .LBB232_1942
; %bb.1933:
	v_and_b32_e32 v13, 0x7fffffff, v4
	s_mov_b32 s1, exec_lo
                                        ; implicit-def: $vgpr5
	s_delay_alu instid0(VALU_DEP_1)
	v_cmpx_gt_u32_e32 0x43f00000, v13
	s_xor_b32 s1, exec_lo, s1
	s_cbranch_execz .LBB232_1939
; %bb.1934:
	s_mov_b32 s3, exec_lo
                                        ; implicit-def: $vgpr5
	v_cmpx_lt_u32_e32 0x3c7fffff, v13
	s_xor_b32 s3, exec_lo, s3
; %bb.1935:
	v_bfe_u32 v5, v4, 20, 1
	s_delay_alu instid0(VALU_DEP_1) | instskip(NEXT) | instid1(VALU_DEP_1)
	v_add3_u32 v5, v4, v5, 0x407ffff
	v_and_b32_e32 v13, 0xff00000, v5
	v_lshrrev_b32_e32 v5, 20, v5
	s_delay_alu instid0(VALU_DEP_2) | instskip(NEXT) | instid1(VALU_DEP_2)
	v_cmp_ne_u32_e32 vcc_lo, 0x7f00000, v13
	v_cndmask_b32_e32 v5, 0x7e, v5, vcc_lo
; %bb.1936:
	s_and_not1_saveexec_b32 s3, s3
; %bb.1937:
	v_add_f32_e64 v5, 0x46800000, |v4|
; %bb.1938:
	s_or_b32 exec_lo, exec_lo, s3
                                        ; implicit-def: $vgpr13
.LBB232_1939:
	s_and_not1_saveexec_b32 s1, s1
; %bb.1940:
	v_mov_b32_e32 v5, 0x7f
	v_cmp_lt_u32_e32 vcc_lo, 0x7f800000, v13
	s_delay_alu instid0(VALU_DEP_2)
	v_cndmask_b32_e32 v5, 0x7e, v5, vcc_lo
; %bb.1941:
	s_or_b32 exec_lo, exec_lo, s1
	v_lshrrev_b32_e32 v13, 24, v4
	s_delay_alu instid0(VALU_DEP_1)
	v_and_or_b32 v5, 0x80, v13, v5
	global_store_b8 v[10:11], v5, off
.LBB232_1942:
	s_mov_b32 s1, 0
.LBB232_1943:
	s_delay_alu instid0(SALU_CYCLE_1)
	s_and_not1_b32 vcc_lo, exec_lo, s1
	s_cbranch_vccnz .LBB232_1953
; %bb.1944:
	v_and_b32_e32 v13, 0x7fffffff, v4
	s_mov_b32 s1, exec_lo
                                        ; implicit-def: $vgpr5
	s_delay_alu instid0(VALU_DEP_1)
	v_cmpx_gt_u32_e32 0x47800000, v13
	s_xor_b32 s1, exec_lo, s1
	s_cbranch_execz .LBB232_1950
; %bb.1945:
	s_mov_b32 s3, exec_lo
                                        ; implicit-def: $vgpr5
	v_cmpx_lt_u32_e32 0x387fffff, v13
	s_xor_b32 s3, exec_lo, s3
; %bb.1946:
	v_bfe_u32 v5, v4, 21, 1
	s_delay_alu instid0(VALU_DEP_1) | instskip(NEXT) | instid1(VALU_DEP_1)
	v_add3_u32 v5, v4, v5, 0x80fffff
	v_lshrrev_b32_e32 v5, 21, v5
; %bb.1947:
	s_and_not1_saveexec_b32 s3, s3
; %bb.1948:
	v_add_f32_e64 v5, 0x43000000, |v4|
; %bb.1949:
	s_or_b32 exec_lo, exec_lo, s3
                                        ; implicit-def: $vgpr13
.LBB232_1950:
	s_and_not1_saveexec_b32 s1, s1
; %bb.1951:
	v_mov_b32_e32 v5, 0x7f
	v_cmp_lt_u32_e32 vcc_lo, 0x7f800000, v13
	s_delay_alu instid0(VALU_DEP_2)
	v_cndmask_b32_e32 v5, 0x7c, v5, vcc_lo
; %bb.1952:
	s_or_b32 exec_lo, exec_lo, s1
	v_lshrrev_b32_e32 v13, 24, v4
	s_delay_alu instid0(VALU_DEP_1)
	v_and_or_b32 v5, 0x80, v13, v5
	global_store_b8 v[10:11], v5, off
.LBB232_1953:
	s_mov_b32 s1, 0
	s_mov_b32 s3, -1
.LBB232_1954:
	s_and_not1_b32 vcc_lo, exec_lo, s1
	s_mov_b32 s1, 0
	s_cbranch_vccnz .LBB232_1961
; %bb.1955:
	v_cmp_lt_i16_e32 vcc_lo, 14, v7
	s_mov_b32 s1, -1
	s_cbranch_vccz .LBB232_1959
; %bb.1956:
	v_cmp_eq_u16_e32 vcc_lo, 15, v7
	s_mov_b32 s0, -1
	s_cbranch_vccz .LBB232_1958
; %bb.1957:
	v_bfe_u32 v5, v4, 16, 1
	v_cmp_o_f32_e32 vcc_lo, v4, v4
	s_mov_b32 s0, 0
	s_mov_b32 s3, -1
	s_delay_alu instid0(VALU_DEP_2) | instskip(NEXT) | instid1(VALU_DEP_1)
	v_add3_u32 v5, v4, v5, 0x7fff
	v_lshrrev_b32_e32 v5, 16, v5
	s_delay_alu instid0(VALU_DEP_1)
	v_cndmask_b32_e32 v5, 0x7fc0, v5, vcc_lo
	global_store_b16 v[10:11], v5, off
.LBB232_1958:
	s_mov_b32 s1, 0
.LBB232_1959:
	s_delay_alu instid0(SALU_CYCLE_1)
	s_and_b32 vcc_lo, exec_lo, s1
	s_mov_b32 s1, 0
	s_cbranch_vccz .LBB232_1961
; %bb.1960:
	v_cmp_ne_u16_e64 s0, 11, v7
	s_mov_b32 s1, -1
.LBB232_1961:
	s_delay_alu instid0(VALU_DEP_1)
	s_and_b32 vcc_lo, exec_lo, s0
	s_cbranch_vccnz .LBB232_2328
; %bb.1962:
	s_and_not1_b32 vcc_lo, exec_lo, s1
	s_cbranch_vccnz .LBB232_1964
.LBB232_1963:
	v_cmp_neq_f32_e32 vcc_lo, 0, v4
	v_cmp_neq_f32_e64 s0, 0, v1
	s_mov_b32 s3, -1
	s_delay_alu instid0(VALU_DEP_1) | instskip(NEXT) | instid1(SALU_CYCLE_1)
	s_or_b32 s0, vcc_lo, s0
	v_cndmask_b32_e64 v5, 0, 1, s0
	global_store_b8 v[10:11], v5, off
.LBB232_1964:
	s_mov_b32 s0, 0
	s_branch .LBB232_1966
.LBB232_1965:
	s_mov_b32 s0, -1
	s_mov_b32 s3, 0
.LBB232_1966:
	s_and_b32 vcc_lo, exec_lo, s0
	s_cbranch_vccz .LBB232_2005
; %bb.1967:
	v_cmp_gt_i16_e32 vcc_lo, 5, v7
	s_mov_b32 s0, -1
	s_cbranch_vccnz .LBB232_1988
; %bb.1968:
	v_cmp_gt_i16_e32 vcc_lo, 8, v7
	s_cbranch_vccnz .LBB232_1978
; %bb.1969:
	v_cmp_gt_i16_e32 vcc_lo, 9, v7
	s_cbranch_vccnz .LBB232_1975
; %bb.1970:
	v_cmp_lt_i16_e32 vcc_lo, 9, v7
	s_cbranch_vccz .LBB232_1972
; %bb.1971:
	v_cvt_f64_f32_e32 v[13:14], v4
	v_cvt_f64_f32_e32 v[15:16], v1
	s_mov_b32 s0, 0
	global_store_b128 v[10:11], v[13:16], off
.LBB232_1972:
	s_and_not1_b32 vcc_lo, exec_lo, s0
	s_cbranch_vccnz .LBB232_1974
; %bb.1973:
	v_mov_b32_e32 v5, v1
	global_store_b64 v[10:11], v[4:5], off
.LBB232_1974:
	s_mov_b32 s0, 0
.LBB232_1975:
	s_delay_alu instid0(SALU_CYCLE_1)
	s_and_not1_b32 vcc_lo, exec_lo, s0
	s_cbranch_vccnz .LBB232_1977
; %bb.1976:
	v_cvt_f16_f32_e32 v1, v1
	v_cvt_f16_f32_e32 v5, v4
	s_delay_alu instid0(VALU_DEP_2) | instskip(NEXT) | instid1(VALU_DEP_2)
	v_lshlrev_b32_e32 v1, 16, v1
	v_and_b32_e32 v5, 0xffff, v5
	s_delay_alu instid0(VALU_DEP_1)
	v_or_b32_e32 v1, v1, v5
	global_store_b32 v[10:11], v1, off
.LBB232_1977:
	s_mov_b32 s0, 0
.LBB232_1978:
	s_delay_alu instid0(SALU_CYCLE_1)
	s_and_not1_b32 vcc_lo, exec_lo, s0
	s_cbranch_vccnz .LBB232_1987
; %bb.1979:
	v_cmp_gt_i16_e32 vcc_lo, 6, v7
	s_mov_b32 s0, -1
	s_cbranch_vccnz .LBB232_1985
; %bb.1980:
	v_cmp_lt_i16_e32 vcc_lo, 6, v7
	s_cbranch_vccz .LBB232_1982
; %bb.1981:
	v_cvt_f64_f32_e32 v[13:14], v4
	s_mov_b32 s0, 0
	global_store_b64 v[10:11], v[13:14], off
.LBB232_1982:
	s_and_not1_b32 vcc_lo, exec_lo, s0
	s_cbranch_vccnz .LBB232_1984
; %bb.1983:
	global_store_b32 v[10:11], v4, off
.LBB232_1984:
	s_mov_b32 s0, 0
.LBB232_1985:
	s_delay_alu instid0(SALU_CYCLE_1)
	s_and_not1_b32 vcc_lo, exec_lo, s0
	s_cbranch_vccnz .LBB232_1987
; %bb.1986:
	v_cvt_f16_f32_e32 v1, v4
	global_store_b16 v[10:11], v1, off
.LBB232_1987:
	s_mov_b32 s0, 0
.LBB232_1988:
	s_delay_alu instid0(SALU_CYCLE_1)
	s_and_not1_b32 vcc_lo, exec_lo, s0
	s_cbranch_vccnz .LBB232_2004
; %bb.1989:
	v_cmp_gt_i16_e32 vcc_lo, 2, v7
	s_mov_b32 s0, -1
	s_cbranch_vccnz .LBB232_1999
; %bb.1990:
	v_cmp_gt_i16_e32 vcc_lo, 3, v7
	s_cbranch_vccnz .LBB232_1996
; %bb.1991:
	v_cmp_lt_i16_e32 vcc_lo, 3, v7
	s_cbranch_vccz .LBB232_1993
; %bb.1992:
	v_trunc_f32_e32 v1, v4
	s_mov_b32 s0, 0
	s_delay_alu instid0(VALU_DEP_1) | instskip(NEXT) | instid1(VALU_DEP_1)
	v_mul_f32_e64 v5, 0x2f800000, |v1|
	v_floor_f32_e32 v5, v5
	s_delay_alu instid0(VALU_DEP_1) | instskip(SKIP_2) | instid1(VALU_DEP_3)
	v_fma_f32 v13, 0xcf800000, v5, |v1|
	v_ashrrev_i32_e32 v1, 31, v1
	v_cvt_u32_f32_e32 v5, v5
	v_cvt_u32_f32_e32 v13, v13
	s_delay_alu instid0(VALU_DEP_2) | instskip(NEXT) | instid1(VALU_DEP_2)
	v_xor_b32_e32 v5, v5, v1
	v_xor_b32_e32 v13, v13, v1
	s_delay_alu instid0(VALU_DEP_1) | instskip(NEXT) | instid1(VALU_DEP_3)
	v_sub_co_u32 v13, vcc_lo, v13, v1
	v_sub_co_ci_u32_e32 v14, vcc_lo, v5, v1, vcc_lo
	global_store_b64 v[10:11], v[13:14], off
.LBB232_1993:
	s_and_not1_b32 vcc_lo, exec_lo, s0
	s_cbranch_vccnz .LBB232_1995
; %bb.1994:
	v_cvt_i32_f32_e32 v1, v4
	global_store_b32 v[10:11], v1, off
.LBB232_1995:
	s_mov_b32 s0, 0
.LBB232_1996:
	s_delay_alu instid0(SALU_CYCLE_1)
	s_and_not1_b32 vcc_lo, exec_lo, s0
	s_cbranch_vccnz .LBB232_1998
; %bb.1997:
	v_cvt_i32_f32_e32 v1, v4
	global_store_b16 v[10:11], v1, off
.LBB232_1998:
	s_mov_b32 s0, 0
.LBB232_1999:
	s_delay_alu instid0(SALU_CYCLE_1)
	s_and_not1_b32 vcc_lo, exec_lo, s0
	s_cbranch_vccnz .LBB232_2004
; %bb.2000:
	v_cmp_lt_i16_e32 vcc_lo, 0, v7
	s_mov_b32 s0, -1
	s_cbranch_vccz .LBB232_2002
; %bb.2001:
	v_cvt_i32_f32_e32 v1, v4
	s_mov_b32 s0, 0
	global_store_b8 v[10:11], v1, off
.LBB232_2002:
	s_and_not1_b32 vcc_lo, exec_lo, s0
	s_cbranch_vccnz .LBB232_2004
; %bb.2003:
	v_trunc_f32_e32 v1, v4
	s_delay_alu instid0(VALU_DEP_1) | instskip(NEXT) | instid1(VALU_DEP_1)
	v_mul_f32_e64 v4, 0x2f800000, |v1|
	v_floor_f32_e32 v4, v4
	s_delay_alu instid0(VALU_DEP_1) | instskip(SKIP_1) | instid1(VALU_DEP_2)
	v_fma_f32 v4, 0xcf800000, v4, |v1|
	v_ashrrev_i32_e32 v1, 31, v1
	v_cvt_u32_f32_e32 v4, v4
	s_delay_alu instid0(VALU_DEP_1) | instskip(NEXT) | instid1(VALU_DEP_1)
	v_xor_b32_e32 v4, v4, v1
	v_sub_nc_u32_e32 v1, v4, v1
	global_store_b8 v[10:11], v1, off
.LBB232_2004:
	s_mov_b32 s3, -1
.LBB232_2005:
	s_delay_alu instid0(SALU_CYCLE_1)
	s_and_not1_b32 vcc_lo, exec_lo, s3
	s_cbranch_vccnz .LBB232_2320
; %bb.2006:
	s_lshl_b32 s1, s2, 7
	v_cmp_gt_i16_e32 vcc_lo, 11, v7
	v_add_nc_u32_e32 v10, s1, v12
	s_delay_alu instid0(VALU_DEP_1) | instskip(SKIP_1) | instid1(VALU_DEP_1)
	v_ashrrev_i32_e32 v1, 31, v10
	v_add_co_u32 v4, s0, s4, v10
	v_add_co_ci_u32_e64 v5, s0, s5, v1, s0
	s_cbranch_vccnz .LBB232_2084
; %bb.2007:
	v_cmp_lt_i16_e32 vcc_lo, 25, v7
	s_mov_b32 s6, -1
	s_mov_b32 s2, 0
	s_mov_b32 s3, 0
	;; [unrolled: 1-line block ×3, first 2 shown]
	s_cbranch_vccz .LBB232_2040
; %bb.2008:
	v_cmp_lt_i16_e32 vcc_lo, 28, v7
	s_cbranch_vccz .LBB232_2023
; %bb.2009:
	v_cmp_lt_i16_e32 vcc_lo, 43, v7
	s_cbranch_vccz .LBB232_2019
; %bb.2010:
	v_cmp_lt_i16_e32 vcc_lo, 45, v7
	s_cbranch_vccz .LBB232_2013
; %bb.2011:
	v_cmp_eq_u16_e32 vcc_lo, 46, v7
	s_mov_b32 s0, -1
	s_mov_b32 s6, 0
	s_cbranch_vccz .LBB232_2013
; %bb.2012:
	v_bfe_u32 v1, v3, 16, 1
	v_bfe_u32 v11, v0, 16, 1
	v_cmp_o_f32_e32 vcc_lo, v3, v3
	s_mov_b32 s0, 0
	s_mov_b32 s3, -1
	v_add3_u32 v1, v3, v1, 0x7fff
	v_add3_u32 v11, v0, v11, 0x7fff
	s_delay_alu instid0(VALU_DEP_2) | instskip(NEXT) | instid1(VALU_DEP_2)
	v_and_b32_e32 v1, 0xffff0000, v1
	v_lshrrev_b32_e32 v11, 16, v11
	s_delay_alu instid0(VALU_DEP_2) | instskip(SKIP_1) | instid1(VALU_DEP_3)
	v_cndmask_b32_e32 v1, 0x7fc00000, v1, vcc_lo
	v_cmp_o_f32_e32 vcc_lo, v0, v0
	v_cndmask_b32_e32 v11, 0x7fc0, v11, vcc_lo
	s_delay_alu instid0(VALU_DEP_1)
	v_or_b32_e32 v1, v1, v11
	global_store_b32 v[4:5], v1, off
.LBB232_2013:
	s_and_b32 vcc_lo, exec_lo, s6
	s_cbranch_vccz .LBB232_2018
; %bb.2014:
	v_cmp_eq_u16_e32 vcc_lo, 44, v7
	s_mov_b32 s0, -1
	s_cbranch_vccz .LBB232_2018
; %bb.2015:
	v_bfe_u32 v11, v0, 23, 8
	v_mov_b32_e32 v1, 0xff
	s_mov_b32 s3, exec_lo
	s_delay_alu instid0(VALU_DEP_2)
	v_cmpx_ne_u32_e32 0xff, v11
; %bb.2016:
	v_and_b32_e32 v1, 0x400000, v0
	v_and_or_b32 v11, 0x3fffff, v0, v11
	s_delay_alu instid0(VALU_DEP_2) | instskip(NEXT) | instid1(VALU_DEP_2)
	v_cmp_ne_u32_e32 vcc_lo, 0, v1
	v_cmp_ne_u32_e64 s0, 0, v11
	v_lshrrev_b32_e32 v1, 23, v0
	s_delay_alu instid0(VALU_DEP_2) | instskip(NEXT) | instid1(SALU_CYCLE_1)
	s_and_b32 s0, vcc_lo, s0
	v_cndmask_b32_e64 v11, 0, 1, s0
	s_delay_alu instid0(VALU_DEP_1)
	v_add_nc_u32_e32 v1, v1, v11
; %bb.2017:
	s_or_b32 exec_lo, exec_lo, s3
	s_mov_b32 s0, 0
	s_mov_b32 s3, -1
	global_store_b8 v[4:5], v1, off
.LBB232_2018:
	s_mov_b32 s6, 0
.LBB232_2019:
	s_delay_alu instid0(SALU_CYCLE_1)
	s_and_b32 vcc_lo, exec_lo, s6
	s_cbranch_vccz .LBB232_2022
; %bb.2020:
	v_cmp_eq_u16_e32 vcc_lo, 29, v7
	s_mov_b32 s0, -1
	s_cbranch_vccz .LBB232_2022
; %bb.2021:
	v_trunc_f32_e32 v1, v0
	s_mov_b32 s0, 0
	s_mov_b32 s3, -1
	s_delay_alu instid0(VALU_DEP_1) | instskip(NEXT) | instid1(VALU_DEP_1)
	v_mul_f32_e32 v11, 0x2f800000, v1
	v_floor_f32_e32 v11, v11
	s_delay_alu instid0(VALU_DEP_1) | instskip(SKIP_1) | instid1(VALU_DEP_2)
	v_fmamk_f32 v1, v11, 0xcf800000, v1
	v_cvt_u32_f32_e32 v12, v11
	v_cvt_u32_f32_e32 v11, v1
	global_store_b64 v[4:5], v[11:12], off
.LBB232_2022:
	s_mov_b32 s6, 0
.LBB232_2023:
	s_delay_alu instid0(SALU_CYCLE_1)
	s_and_b32 vcc_lo, exec_lo, s6
	s_cbranch_vccz .LBB232_2039
; %bb.2024:
	v_cmp_gt_i16_e32 vcc_lo, 27, v7
	s_mov_b32 s3, -1
	s_cbranch_vccnz .LBB232_2030
; %bb.2025:
	v_cmp_lt_i16_e32 vcc_lo, 27, v7
	v_cvt_u32_f32_e32 v1, v0
	s_cbranch_vccz .LBB232_2027
; %bb.2026:
	s_mov_b32 s3, 0
	global_store_b32 v[4:5], v1, off
.LBB232_2027:
	s_and_not1_b32 vcc_lo, exec_lo, s3
	s_cbranch_vccnz .LBB232_2029
; %bb.2028:
	global_store_b16 v[4:5], v1, off
.LBB232_2029:
	s_mov_b32 s3, 0
.LBB232_2030:
	s_delay_alu instid0(SALU_CYCLE_1)
	s_and_not1_b32 vcc_lo, exec_lo, s3
	s_cbranch_vccnz .LBB232_2038
; %bb.2031:
	v_and_b32_e32 v1, 0x7fffffff, v0
	v_mov_b32_e32 v11, 0x80
	s_mov_b32 s3, exec_lo
	s_delay_alu instid0(VALU_DEP_2)
	v_cmpx_gt_u32_e32 0x43800000, v1
	s_cbranch_execz .LBB232_2037
; %bb.2032:
	v_cmp_lt_u32_e32 vcc_lo, 0x3bffffff, v1
	s_mov_b32 s6, 0
                                        ; implicit-def: $vgpr1
	s_and_saveexec_b32 s7, vcc_lo
	s_delay_alu instid0(SALU_CYCLE_1)
	s_xor_b32 s7, exec_lo, s7
	s_cbranch_execz .LBB232_2332
; %bb.2033:
	v_bfe_u32 v1, v0, 20, 1
	s_mov_b32 s6, exec_lo
	s_delay_alu instid0(VALU_DEP_1) | instskip(NEXT) | instid1(VALU_DEP_1)
	v_add3_u32 v1, v0, v1, 0x487ffff
	v_lshrrev_b32_e32 v1, 20, v1
	s_or_saveexec_b32 s7, s7
                                        ; implicit-def: $sgpr11
	s_delay_alu instid0(SALU_CYCLE_1)
	s_xor_b32 exec_lo, exec_lo, s7
	s_cbranch_execnz .LBB232_2333
.LBB232_2034:
	s_or_b32 exec_lo, exec_lo, s7
	v_mov_b32_e32 v11, s11
	s_and_saveexec_b32 s7, s6
.LBB232_2035:
	v_lshrrev_b32_e32 v11, 24, v0
	s_delay_alu instid0(VALU_DEP_1)
	v_and_or_b32 v11, 0x80, v11, v1
.LBB232_2036:
	s_or_b32 exec_lo, exec_lo, s7
.LBB232_2037:
	s_delay_alu instid0(SALU_CYCLE_1)
	s_or_b32 exec_lo, exec_lo, s3
	global_store_b8 v[4:5], v11, off
.LBB232_2038:
	s_mov_b32 s3, -1
.LBB232_2039:
	s_mov_b32 s6, 0
.LBB232_2040:
	s_delay_alu instid0(SALU_CYCLE_1)
	s_and_b32 vcc_lo, exec_lo, s6
	s_cbranch_vccz .LBB232_2080
; %bb.2041:
	v_cmp_lt_i16_e32 vcc_lo, 22, v7
	s_mov_b32 s2, -1
	s_cbranch_vccz .LBB232_2073
; %bb.2042:
	v_cmp_gt_i16_e32 vcc_lo, 24, v7
	s_cbranch_vccnz .LBB232_2062
; %bb.2043:
	v_cmp_lt_i16_e32 vcc_lo, 24, v7
	s_cbranch_vccz .LBB232_2051
; %bb.2044:
	v_and_b32_e32 v1, 0x7fffffff, v0
	v_mov_b32_e32 v11, 0x80
	s_mov_b32 s2, exec_lo
	s_delay_alu instid0(VALU_DEP_2)
	v_cmpx_gt_u32_e32 0x47800000, v1
	s_cbranch_execz .LBB232_2050
; %bb.2045:
	v_cmp_lt_u32_e32 vcc_lo, 0x37ffffff, v1
	s_mov_b32 s3, 0
                                        ; implicit-def: $vgpr1
	s_and_saveexec_b32 s6, vcc_lo
	s_delay_alu instid0(SALU_CYCLE_1)
	s_xor_b32 s6, exec_lo, s6
	s_cbranch_execz .LBB232_2338
; %bb.2046:
	v_bfe_u32 v1, v0, 21, 1
	s_mov_b32 s3, exec_lo
	s_delay_alu instid0(VALU_DEP_1) | instskip(NEXT) | instid1(VALU_DEP_1)
	v_add3_u32 v1, v0, v1, 0x88fffff
	v_lshrrev_b32_e32 v1, 21, v1
	s_or_saveexec_b32 s6, s6
                                        ; implicit-def: $sgpr7
	s_delay_alu instid0(SALU_CYCLE_1)
	s_xor_b32 exec_lo, exec_lo, s6
	s_cbranch_execnz .LBB232_2339
.LBB232_2047:
	s_or_b32 exec_lo, exec_lo, s6
	v_mov_b32_e32 v11, s7
	s_and_saveexec_b32 s6, s3
.LBB232_2048:
	v_lshrrev_b32_e32 v11, 24, v0
	s_delay_alu instid0(VALU_DEP_1)
	v_and_or_b32 v11, 0x80, v11, v1
.LBB232_2049:
	s_or_b32 exec_lo, exec_lo, s6
.LBB232_2050:
	s_delay_alu instid0(SALU_CYCLE_1)
	s_or_b32 exec_lo, exec_lo, s2
	s_mov_b32 s2, 0
	global_store_b8 v[4:5], v11, off
.LBB232_2051:
	s_and_b32 vcc_lo, exec_lo, s2
	s_cbranch_vccz .LBB232_2061
; %bb.2052:
	v_and_b32_e32 v11, 0x7fffffff, v0
	s_mov_b32 s2, exec_lo
                                        ; implicit-def: $vgpr1
	s_delay_alu instid0(VALU_DEP_1)
	v_cmpx_gt_u32_e32 0x43f00000, v11
	s_xor_b32 s2, exec_lo, s2
	s_cbranch_execz .LBB232_2058
; %bb.2053:
	s_mov_b32 s3, exec_lo
                                        ; implicit-def: $vgpr1
	v_cmpx_lt_u32_e32 0x3c7fffff, v11
	s_xor_b32 s3, exec_lo, s3
; %bb.2054:
	v_bfe_u32 v1, v0, 20, 1
	s_delay_alu instid0(VALU_DEP_1) | instskip(NEXT) | instid1(VALU_DEP_1)
	v_add3_u32 v1, v0, v1, 0x407ffff
	v_and_b32_e32 v11, 0xff00000, v1
	v_lshrrev_b32_e32 v1, 20, v1
	s_delay_alu instid0(VALU_DEP_2) | instskip(NEXT) | instid1(VALU_DEP_2)
	v_cmp_ne_u32_e32 vcc_lo, 0x7f00000, v11
	v_cndmask_b32_e32 v1, 0x7e, v1, vcc_lo
; %bb.2055:
	s_and_not1_saveexec_b32 s3, s3
; %bb.2056:
	v_add_f32_e64 v1, 0x46800000, |v0|
; %bb.2057:
	s_or_b32 exec_lo, exec_lo, s3
                                        ; implicit-def: $vgpr11
.LBB232_2058:
	s_and_not1_saveexec_b32 s2, s2
; %bb.2059:
	v_mov_b32_e32 v1, 0x7f
	v_cmp_lt_u32_e32 vcc_lo, 0x7f800000, v11
	s_delay_alu instid0(VALU_DEP_2)
	v_cndmask_b32_e32 v1, 0x7e, v1, vcc_lo
; %bb.2060:
	s_or_b32 exec_lo, exec_lo, s2
	v_lshrrev_b32_e32 v11, 24, v0
	s_delay_alu instid0(VALU_DEP_1)
	v_and_or_b32 v1, 0x80, v11, v1
	global_store_b8 v[4:5], v1, off
.LBB232_2061:
	s_mov_b32 s2, 0
.LBB232_2062:
	s_delay_alu instid0(SALU_CYCLE_1)
	s_and_not1_b32 vcc_lo, exec_lo, s2
	s_cbranch_vccnz .LBB232_2072
; %bb.2063:
	v_and_b32_e32 v11, 0x7fffffff, v0
	s_mov_b32 s2, exec_lo
                                        ; implicit-def: $vgpr1
	s_delay_alu instid0(VALU_DEP_1)
	v_cmpx_gt_u32_e32 0x47800000, v11
	s_xor_b32 s2, exec_lo, s2
	s_cbranch_execz .LBB232_2069
; %bb.2064:
	s_mov_b32 s3, exec_lo
                                        ; implicit-def: $vgpr1
	v_cmpx_lt_u32_e32 0x387fffff, v11
	s_xor_b32 s3, exec_lo, s3
; %bb.2065:
	v_bfe_u32 v1, v0, 21, 1
	s_delay_alu instid0(VALU_DEP_1) | instskip(NEXT) | instid1(VALU_DEP_1)
	v_add3_u32 v1, v0, v1, 0x80fffff
	v_lshrrev_b32_e32 v1, 21, v1
; %bb.2066:
	s_and_not1_saveexec_b32 s3, s3
; %bb.2067:
	v_add_f32_e64 v1, 0x43000000, |v0|
; %bb.2068:
	s_or_b32 exec_lo, exec_lo, s3
                                        ; implicit-def: $vgpr11
.LBB232_2069:
	s_and_not1_saveexec_b32 s2, s2
; %bb.2070:
	v_mov_b32_e32 v1, 0x7f
	v_cmp_lt_u32_e32 vcc_lo, 0x7f800000, v11
	s_delay_alu instid0(VALU_DEP_2)
	v_cndmask_b32_e32 v1, 0x7c, v1, vcc_lo
; %bb.2071:
	s_or_b32 exec_lo, exec_lo, s2
	v_lshrrev_b32_e32 v11, 24, v0
	s_delay_alu instid0(VALU_DEP_1)
	v_and_or_b32 v1, 0x80, v11, v1
	global_store_b8 v[4:5], v1, off
.LBB232_2072:
	s_mov_b32 s2, 0
	s_mov_b32 s3, -1
.LBB232_2073:
	s_and_not1_b32 vcc_lo, exec_lo, s2
	s_mov_b32 s2, 0
	s_cbranch_vccnz .LBB232_2080
; %bb.2074:
	v_cmp_lt_i16_e32 vcc_lo, 14, v7
	s_mov_b32 s2, -1
	s_cbranch_vccz .LBB232_2078
; %bb.2075:
	v_cmp_eq_u16_e32 vcc_lo, 15, v7
	s_mov_b32 s0, -1
	s_cbranch_vccz .LBB232_2077
; %bb.2076:
	v_bfe_u32 v1, v0, 16, 1
	v_cmp_o_f32_e32 vcc_lo, v0, v0
	s_mov_b32 s0, 0
	s_mov_b32 s3, -1
	s_delay_alu instid0(VALU_DEP_2) | instskip(NEXT) | instid1(VALU_DEP_1)
	v_add3_u32 v1, v0, v1, 0x7fff
	v_lshrrev_b32_e32 v1, 16, v1
	s_delay_alu instid0(VALU_DEP_1)
	v_cndmask_b32_e32 v1, 0x7fc0, v1, vcc_lo
	global_store_b16 v[4:5], v1, off
.LBB232_2077:
	s_mov_b32 s2, 0
.LBB232_2078:
	s_delay_alu instid0(SALU_CYCLE_1)
	s_and_b32 vcc_lo, exec_lo, s2
	s_mov_b32 s2, 0
	s_cbranch_vccz .LBB232_2080
; %bb.2079:
	v_cmp_ne_u16_e64 s0, 11, v7
	s_mov_b32 s2, -1
.LBB232_2080:
	s_delay_alu instid0(VALU_DEP_1)
	s_and_b32 vcc_lo, exec_lo, s0
	s_cbranch_vccnz .LBB232_2336
; %bb.2081:
	s_and_not1_b32 vcc_lo, exec_lo, s2
	s_cbranch_vccnz .LBB232_2083
.LBB232_2082:
	v_cmp_neq_f32_e32 vcc_lo, 0, v0
	v_cmp_neq_f32_e64 s0, 0, v3
	s_mov_b32 s3, -1
	s_delay_alu instid0(VALU_DEP_1) | instskip(NEXT) | instid1(SALU_CYCLE_1)
	s_or_b32 s0, vcc_lo, s0
	v_cndmask_b32_e64 v1, 0, 1, s0
	global_store_b8 v[4:5], v1, off
.LBB232_2083:
	s_mov_b32 s0, 0
	s_branch .LBB232_2085
.LBB232_2084:
	s_mov_b32 s0, -1
	s_mov_b32 s3, 0
.LBB232_2085:
	s_and_b32 vcc_lo, exec_lo, s0
	s_cbranch_vccz .LBB232_2124
; %bb.2086:
	v_cmp_gt_i16_e32 vcc_lo, 5, v7
	s_mov_b32 s0, -1
	s_cbranch_vccnz .LBB232_2107
; %bb.2087:
	v_cmp_gt_i16_e32 vcc_lo, 8, v7
	s_cbranch_vccnz .LBB232_2097
; %bb.2088:
	v_cmp_gt_i16_e32 vcc_lo, 9, v7
	s_cbranch_vccnz .LBB232_2094
; %bb.2089:
	v_cmp_lt_i16_e32 vcc_lo, 9, v7
	s_cbranch_vccz .LBB232_2091
; %bb.2090:
	v_cvt_f64_f32_e32 v[11:12], v0
	v_cvt_f64_f32_e32 v[13:14], v3
	s_mov_b32 s0, 0
	global_store_b128 v[4:5], v[11:14], off
.LBB232_2091:
	s_and_not1_b32 vcc_lo, exec_lo, s0
	s_cbranch_vccnz .LBB232_2093
; %bb.2092:
	v_mov_b32_e32 v1, v3
	global_store_b64 v[4:5], v[0:1], off
.LBB232_2093:
	s_mov_b32 s0, 0
.LBB232_2094:
	s_delay_alu instid0(SALU_CYCLE_1)
	s_and_not1_b32 vcc_lo, exec_lo, s0
	s_cbranch_vccnz .LBB232_2096
; %bb.2095:
	v_cvt_f16_f32_e32 v1, v3
	v_cvt_f16_f32_e32 v3, v0
	s_delay_alu instid0(VALU_DEP_2) | instskip(NEXT) | instid1(VALU_DEP_2)
	v_lshlrev_b32_e32 v1, 16, v1
	v_and_b32_e32 v3, 0xffff, v3
	s_delay_alu instid0(VALU_DEP_1)
	v_or_b32_e32 v1, v1, v3
	global_store_b32 v[4:5], v1, off
.LBB232_2096:
	s_mov_b32 s0, 0
.LBB232_2097:
	s_delay_alu instid0(SALU_CYCLE_1)
	s_and_not1_b32 vcc_lo, exec_lo, s0
	s_cbranch_vccnz .LBB232_2106
; %bb.2098:
	v_cmp_gt_i16_e32 vcc_lo, 6, v7
	s_mov_b32 s0, -1
	s_cbranch_vccnz .LBB232_2104
; %bb.2099:
	v_cmp_lt_i16_e32 vcc_lo, 6, v7
	s_cbranch_vccz .LBB232_2101
; %bb.2100:
	v_cvt_f64_f32_e32 v[11:12], v0
	s_mov_b32 s0, 0
	global_store_b64 v[4:5], v[11:12], off
.LBB232_2101:
	s_and_not1_b32 vcc_lo, exec_lo, s0
	s_cbranch_vccnz .LBB232_2103
; %bb.2102:
	global_store_b32 v[4:5], v0, off
.LBB232_2103:
	s_mov_b32 s0, 0
.LBB232_2104:
	s_delay_alu instid0(SALU_CYCLE_1)
	s_and_not1_b32 vcc_lo, exec_lo, s0
	s_cbranch_vccnz .LBB232_2106
; %bb.2105:
	v_cvt_f16_f32_e32 v1, v0
	global_store_b16 v[4:5], v1, off
.LBB232_2106:
	s_mov_b32 s0, 0
.LBB232_2107:
	s_delay_alu instid0(SALU_CYCLE_1)
	s_and_not1_b32 vcc_lo, exec_lo, s0
	s_cbranch_vccnz .LBB232_2123
; %bb.2108:
	v_cmp_gt_i16_e32 vcc_lo, 2, v7
	s_mov_b32 s0, -1
	s_cbranch_vccnz .LBB232_2118
; %bb.2109:
	v_cmp_gt_i16_e32 vcc_lo, 3, v7
	s_cbranch_vccnz .LBB232_2115
; %bb.2110:
	v_cmp_lt_i16_e32 vcc_lo, 3, v7
	s_cbranch_vccz .LBB232_2112
; %bb.2111:
	v_trunc_f32_e32 v1, v0
	s_mov_b32 s0, 0
	s_delay_alu instid0(VALU_DEP_1) | instskip(NEXT) | instid1(VALU_DEP_1)
	v_mul_f32_e64 v3, 0x2f800000, |v1|
	v_floor_f32_e32 v3, v3
	s_delay_alu instid0(VALU_DEP_1) | instskip(SKIP_2) | instid1(VALU_DEP_3)
	v_fma_f32 v11, 0xcf800000, v3, |v1|
	v_ashrrev_i32_e32 v1, 31, v1
	v_cvt_u32_f32_e32 v3, v3
	v_cvt_u32_f32_e32 v11, v11
	s_delay_alu instid0(VALU_DEP_2) | instskip(NEXT) | instid1(VALU_DEP_2)
	v_xor_b32_e32 v3, v3, v1
	v_xor_b32_e32 v11, v11, v1
	s_delay_alu instid0(VALU_DEP_1) | instskip(NEXT) | instid1(VALU_DEP_3)
	v_sub_co_u32 v11, vcc_lo, v11, v1
	v_sub_co_ci_u32_e32 v12, vcc_lo, v3, v1, vcc_lo
	global_store_b64 v[4:5], v[11:12], off
.LBB232_2112:
	s_and_not1_b32 vcc_lo, exec_lo, s0
	s_cbranch_vccnz .LBB232_2114
; %bb.2113:
	v_cvt_i32_f32_e32 v1, v0
	global_store_b32 v[4:5], v1, off
.LBB232_2114:
	s_mov_b32 s0, 0
.LBB232_2115:
	s_delay_alu instid0(SALU_CYCLE_1)
	s_and_not1_b32 vcc_lo, exec_lo, s0
	s_cbranch_vccnz .LBB232_2117
; %bb.2116:
	v_cvt_i32_f32_e32 v1, v0
	global_store_b16 v[4:5], v1, off
.LBB232_2117:
	s_mov_b32 s0, 0
.LBB232_2118:
	s_delay_alu instid0(SALU_CYCLE_1)
	s_and_not1_b32 vcc_lo, exec_lo, s0
	s_cbranch_vccnz .LBB232_2123
; %bb.2119:
	v_cmp_lt_i16_e32 vcc_lo, 0, v7
	s_mov_b32 s0, -1
	s_cbranch_vccz .LBB232_2121
; %bb.2120:
	v_cvt_i32_f32_e32 v1, v0
	s_mov_b32 s0, 0
	global_store_b8 v[4:5], v1, off
.LBB232_2121:
	s_and_not1_b32 vcc_lo, exec_lo, s0
	s_cbranch_vccnz .LBB232_2123
; %bb.2122:
	v_trunc_f32_e32 v0, v0
	s_delay_alu instid0(VALU_DEP_1) | instskip(NEXT) | instid1(VALU_DEP_1)
	v_mul_f32_e64 v1, 0x2f800000, |v0|
	v_floor_f32_e32 v1, v1
	s_delay_alu instid0(VALU_DEP_1) | instskip(SKIP_1) | instid1(VALU_DEP_2)
	v_fma_f32 v1, 0xcf800000, v1, |v0|
	v_ashrrev_i32_e32 v0, 31, v0
	v_cvt_u32_f32_e32 v1, v1
	s_delay_alu instid0(VALU_DEP_1) | instskip(NEXT) | instid1(VALU_DEP_1)
	v_xor_b32_e32 v1, v1, v0
	v_sub_nc_u32_e32 v0, v1, v0
	global_store_b8 v[4:5], v0, off
.LBB232_2123:
	s_mov_b32 s3, -1
.LBB232_2124:
	s_delay_alu instid0(SALU_CYCLE_1)
	s_and_not1_b32 vcc_lo, exec_lo, s3
	s_cbranch_vccnz .LBB232_2320
; %bb.2125:
	v_add_nc_u32_e32 v4, s1, v10
	v_cmp_gt_i16_e32 vcc_lo, 11, v7
	s_delay_alu instid0(VALU_DEP_2) | instskip(SKIP_1) | instid1(VALU_DEP_1)
	v_ashrrev_i32_e32 v1, 31, v4
	v_add_co_u32 v0, s0, s4, v4
	v_add_co_ci_u32_e64 v1, s0, s5, v1, s0
	s_cbranch_vccnz .LBB232_2203
; %bb.2126:
	v_cmp_lt_i16_e32 vcc_lo, 25, v7
	s_mov_b32 s6, -1
	s_mov_b32 s2, 0
	s_mov_b32 s3, 0
	;; [unrolled: 1-line block ×3, first 2 shown]
	s_cbranch_vccz .LBB232_2159
; %bb.2127:
	v_cmp_lt_i16_e32 vcc_lo, 28, v7
	s_cbranch_vccz .LBB232_2142
; %bb.2128:
	v_cmp_lt_i16_e32 vcc_lo, 43, v7
	;; [unrolled: 3-line block ×3, first 2 shown]
	s_cbranch_vccz .LBB232_2132
; %bb.2130:
	v_cmp_eq_u16_e32 vcc_lo, 46, v7
	s_mov_b32 s0, -1
	s_mov_b32 s6, 0
	s_cbranch_vccz .LBB232_2132
; %bb.2131:
	v_bfe_u32 v3, v6, 16, 1
	v_bfe_u32 v5, v2, 16, 1
	v_cmp_o_f32_e32 vcc_lo, v6, v6
	s_mov_b32 s0, 0
	s_mov_b32 s3, -1
	v_add3_u32 v3, v6, v3, 0x7fff
	v_add3_u32 v5, v2, v5, 0x7fff
	s_delay_alu instid0(VALU_DEP_2) | instskip(NEXT) | instid1(VALU_DEP_2)
	v_and_b32_e32 v3, 0xffff0000, v3
	v_lshrrev_b32_e32 v5, 16, v5
	s_delay_alu instid0(VALU_DEP_2) | instskip(SKIP_1) | instid1(VALU_DEP_3)
	v_cndmask_b32_e32 v3, 0x7fc00000, v3, vcc_lo
	v_cmp_o_f32_e32 vcc_lo, v2, v2
	v_cndmask_b32_e32 v5, 0x7fc0, v5, vcc_lo
	s_delay_alu instid0(VALU_DEP_1)
	v_or_b32_e32 v3, v3, v5
	global_store_b32 v[0:1], v3, off
.LBB232_2132:
	s_and_b32 vcc_lo, exec_lo, s6
	s_cbranch_vccz .LBB232_2137
; %bb.2133:
	v_cmp_eq_u16_e32 vcc_lo, 44, v7
	s_mov_b32 s0, -1
	s_cbranch_vccz .LBB232_2137
; %bb.2134:
	v_bfe_u32 v5, v2, 23, 8
	v_mov_b32_e32 v3, 0xff
	s_mov_b32 s3, exec_lo
	s_delay_alu instid0(VALU_DEP_2)
	v_cmpx_ne_u32_e32 0xff, v5
; %bb.2135:
	v_and_b32_e32 v3, 0x400000, v2
	v_and_or_b32 v5, 0x3fffff, v2, v5
	s_delay_alu instid0(VALU_DEP_2) | instskip(NEXT) | instid1(VALU_DEP_2)
	v_cmp_ne_u32_e32 vcc_lo, 0, v3
	v_cmp_ne_u32_e64 s0, 0, v5
	v_lshrrev_b32_e32 v3, 23, v2
	s_delay_alu instid0(VALU_DEP_2) | instskip(NEXT) | instid1(SALU_CYCLE_1)
	s_and_b32 s0, vcc_lo, s0
	v_cndmask_b32_e64 v5, 0, 1, s0
	s_delay_alu instid0(VALU_DEP_1)
	v_add_nc_u32_e32 v3, v3, v5
; %bb.2136:
	s_or_b32 exec_lo, exec_lo, s3
	s_mov_b32 s0, 0
	s_mov_b32 s3, -1
	global_store_b8 v[0:1], v3, off
.LBB232_2137:
	s_mov_b32 s6, 0
.LBB232_2138:
	s_delay_alu instid0(SALU_CYCLE_1)
	s_and_b32 vcc_lo, exec_lo, s6
	s_cbranch_vccz .LBB232_2141
; %bb.2139:
	v_cmp_eq_u16_e32 vcc_lo, 29, v7
	s_mov_b32 s0, -1
	s_cbranch_vccz .LBB232_2141
; %bb.2140:
	v_trunc_f32_e32 v3, v2
	s_mov_b32 s0, 0
	s_mov_b32 s3, -1
	s_delay_alu instid0(VALU_DEP_1) | instskip(NEXT) | instid1(VALU_DEP_1)
	v_mul_f32_e32 v5, 0x2f800000, v3
	v_floor_f32_e32 v5, v5
	s_delay_alu instid0(VALU_DEP_1) | instskip(SKIP_1) | instid1(VALU_DEP_2)
	v_fmamk_f32 v3, v5, 0xcf800000, v3
	v_cvt_u32_f32_e32 v11, v5
	v_cvt_u32_f32_e32 v10, v3
	global_store_b64 v[0:1], v[10:11], off
.LBB232_2141:
	s_mov_b32 s6, 0
.LBB232_2142:
	s_delay_alu instid0(SALU_CYCLE_1)
	s_and_b32 vcc_lo, exec_lo, s6
	s_cbranch_vccz .LBB232_2158
; %bb.2143:
	v_cmp_gt_i16_e32 vcc_lo, 27, v7
	s_mov_b32 s3, -1
	s_cbranch_vccnz .LBB232_2149
; %bb.2144:
	v_cmp_lt_i16_e32 vcc_lo, 27, v7
	v_cvt_u32_f32_e32 v3, v2
	s_cbranch_vccz .LBB232_2146
; %bb.2145:
	s_mov_b32 s3, 0
	global_store_b32 v[0:1], v3, off
.LBB232_2146:
	s_and_not1_b32 vcc_lo, exec_lo, s3
	s_cbranch_vccnz .LBB232_2148
; %bb.2147:
	global_store_b16 v[0:1], v3, off
.LBB232_2148:
	s_mov_b32 s3, 0
.LBB232_2149:
	s_delay_alu instid0(SALU_CYCLE_1)
	s_and_not1_b32 vcc_lo, exec_lo, s3
	s_cbranch_vccnz .LBB232_2157
; %bb.2150:
	v_and_b32_e32 v3, 0x7fffffff, v2
	v_mov_b32_e32 v5, 0x80
	s_mov_b32 s3, exec_lo
	s_delay_alu instid0(VALU_DEP_2)
	v_cmpx_gt_u32_e32 0x43800000, v3
	s_cbranch_execz .LBB232_2156
; %bb.2151:
	v_cmp_lt_u32_e32 vcc_lo, 0x3bffffff, v3
	s_mov_b32 s6, 0
                                        ; implicit-def: $vgpr3
	s_and_saveexec_b32 s7, vcc_lo
	s_delay_alu instid0(SALU_CYCLE_1)
	s_xor_b32 s7, exec_lo, s7
	s_cbranch_execz .LBB232_2340
; %bb.2152:
	v_bfe_u32 v3, v2, 20, 1
	s_mov_b32 s6, exec_lo
	s_delay_alu instid0(VALU_DEP_1) | instskip(NEXT) | instid1(VALU_DEP_1)
	v_add3_u32 v3, v2, v3, 0x487ffff
	v_lshrrev_b32_e32 v3, 20, v3
	s_or_saveexec_b32 s7, s7
                                        ; implicit-def: $sgpr11
	s_delay_alu instid0(SALU_CYCLE_1)
	s_xor_b32 exec_lo, exec_lo, s7
	s_cbranch_execnz .LBB232_2341
.LBB232_2153:
	s_or_b32 exec_lo, exec_lo, s7
	v_mov_b32_e32 v5, s11
	s_and_saveexec_b32 s7, s6
.LBB232_2154:
	v_lshrrev_b32_e32 v5, 24, v2
	s_delay_alu instid0(VALU_DEP_1)
	v_and_or_b32 v5, 0x80, v5, v3
.LBB232_2155:
	s_or_b32 exec_lo, exec_lo, s7
.LBB232_2156:
	s_delay_alu instid0(SALU_CYCLE_1)
	s_or_b32 exec_lo, exec_lo, s3
	global_store_b8 v[0:1], v5, off
.LBB232_2157:
	s_mov_b32 s3, -1
.LBB232_2158:
	s_mov_b32 s6, 0
.LBB232_2159:
	s_delay_alu instid0(SALU_CYCLE_1)
	s_and_b32 vcc_lo, exec_lo, s6
	s_cbranch_vccz .LBB232_2199
; %bb.2160:
	v_cmp_lt_i16_e32 vcc_lo, 22, v7
	s_mov_b32 s2, -1
	s_cbranch_vccz .LBB232_2192
; %bb.2161:
	v_cmp_gt_i16_e32 vcc_lo, 24, v7
	s_cbranch_vccnz .LBB232_2181
; %bb.2162:
	v_cmp_lt_i16_e32 vcc_lo, 24, v7
	s_cbranch_vccz .LBB232_2170
; %bb.2163:
	v_and_b32_e32 v3, 0x7fffffff, v2
	v_mov_b32_e32 v5, 0x80
	s_mov_b32 s2, exec_lo
	s_delay_alu instid0(VALU_DEP_2)
	v_cmpx_gt_u32_e32 0x47800000, v3
	s_cbranch_execz .LBB232_2169
; %bb.2164:
	v_cmp_lt_u32_e32 vcc_lo, 0x37ffffff, v3
	s_mov_b32 s3, 0
                                        ; implicit-def: $vgpr3
	s_and_saveexec_b32 s6, vcc_lo
	s_delay_alu instid0(SALU_CYCLE_1)
	s_xor_b32 s6, exec_lo, s6
	s_cbranch_execz .LBB232_2346
; %bb.2165:
	v_bfe_u32 v3, v2, 21, 1
	s_mov_b32 s3, exec_lo
	s_delay_alu instid0(VALU_DEP_1) | instskip(NEXT) | instid1(VALU_DEP_1)
	v_add3_u32 v3, v2, v3, 0x88fffff
	v_lshrrev_b32_e32 v3, 21, v3
	s_or_saveexec_b32 s6, s6
                                        ; implicit-def: $sgpr7
	s_delay_alu instid0(SALU_CYCLE_1)
	s_xor_b32 exec_lo, exec_lo, s6
	s_cbranch_execnz .LBB232_2347
.LBB232_2166:
	s_or_b32 exec_lo, exec_lo, s6
	v_mov_b32_e32 v5, s7
	s_and_saveexec_b32 s6, s3
.LBB232_2167:
	v_lshrrev_b32_e32 v5, 24, v2
	s_delay_alu instid0(VALU_DEP_1)
	v_and_or_b32 v5, 0x80, v5, v3
.LBB232_2168:
	s_or_b32 exec_lo, exec_lo, s6
.LBB232_2169:
	s_delay_alu instid0(SALU_CYCLE_1)
	s_or_b32 exec_lo, exec_lo, s2
	s_mov_b32 s2, 0
	global_store_b8 v[0:1], v5, off
.LBB232_2170:
	s_and_b32 vcc_lo, exec_lo, s2
	s_cbranch_vccz .LBB232_2180
; %bb.2171:
	v_and_b32_e32 v5, 0x7fffffff, v2
	s_mov_b32 s2, exec_lo
                                        ; implicit-def: $vgpr3
	s_delay_alu instid0(VALU_DEP_1)
	v_cmpx_gt_u32_e32 0x43f00000, v5
	s_xor_b32 s2, exec_lo, s2
	s_cbranch_execz .LBB232_2177
; %bb.2172:
	s_mov_b32 s3, exec_lo
                                        ; implicit-def: $vgpr3
	v_cmpx_lt_u32_e32 0x3c7fffff, v5
	s_xor_b32 s3, exec_lo, s3
; %bb.2173:
	v_bfe_u32 v3, v2, 20, 1
	s_delay_alu instid0(VALU_DEP_1) | instskip(NEXT) | instid1(VALU_DEP_1)
	v_add3_u32 v3, v2, v3, 0x407ffff
	v_and_b32_e32 v5, 0xff00000, v3
	v_lshrrev_b32_e32 v3, 20, v3
	s_delay_alu instid0(VALU_DEP_2) | instskip(NEXT) | instid1(VALU_DEP_2)
	v_cmp_ne_u32_e32 vcc_lo, 0x7f00000, v5
	v_cndmask_b32_e32 v3, 0x7e, v3, vcc_lo
; %bb.2174:
	s_and_not1_saveexec_b32 s3, s3
; %bb.2175:
	v_add_f32_e64 v3, 0x46800000, |v2|
; %bb.2176:
	s_or_b32 exec_lo, exec_lo, s3
                                        ; implicit-def: $vgpr5
.LBB232_2177:
	s_and_not1_saveexec_b32 s2, s2
; %bb.2178:
	v_mov_b32_e32 v3, 0x7f
	v_cmp_lt_u32_e32 vcc_lo, 0x7f800000, v5
	s_delay_alu instid0(VALU_DEP_2)
	v_cndmask_b32_e32 v3, 0x7e, v3, vcc_lo
; %bb.2179:
	s_or_b32 exec_lo, exec_lo, s2
	v_lshrrev_b32_e32 v5, 24, v2
	s_delay_alu instid0(VALU_DEP_1)
	v_and_or_b32 v3, 0x80, v5, v3
	global_store_b8 v[0:1], v3, off
.LBB232_2180:
	s_mov_b32 s2, 0
.LBB232_2181:
	s_delay_alu instid0(SALU_CYCLE_1)
	s_and_not1_b32 vcc_lo, exec_lo, s2
	s_cbranch_vccnz .LBB232_2191
; %bb.2182:
	v_and_b32_e32 v5, 0x7fffffff, v2
	s_mov_b32 s2, exec_lo
                                        ; implicit-def: $vgpr3
	s_delay_alu instid0(VALU_DEP_1)
	v_cmpx_gt_u32_e32 0x47800000, v5
	s_xor_b32 s2, exec_lo, s2
	s_cbranch_execz .LBB232_2188
; %bb.2183:
	s_mov_b32 s3, exec_lo
                                        ; implicit-def: $vgpr3
	v_cmpx_lt_u32_e32 0x387fffff, v5
	s_xor_b32 s3, exec_lo, s3
; %bb.2184:
	v_bfe_u32 v3, v2, 21, 1
	s_delay_alu instid0(VALU_DEP_1) | instskip(NEXT) | instid1(VALU_DEP_1)
	v_add3_u32 v3, v2, v3, 0x80fffff
	v_lshrrev_b32_e32 v3, 21, v3
; %bb.2185:
	s_and_not1_saveexec_b32 s3, s3
; %bb.2186:
	v_add_f32_e64 v3, 0x43000000, |v2|
; %bb.2187:
	s_or_b32 exec_lo, exec_lo, s3
                                        ; implicit-def: $vgpr5
.LBB232_2188:
	s_and_not1_saveexec_b32 s2, s2
; %bb.2189:
	v_mov_b32_e32 v3, 0x7f
	v_cmp_lt_u32_e32 vcc_lo, 0x7f800000, v5
	s_delay_alu instid0(VALU_DEP_2)
	v_cndmask_b32_e32 v3, 0x7c, v3, vcc_lo
; %bb.2190:
	s_or_b32 exec_lo, exec_lo, s2
	v_lshrrev_b32_e32 v5, 24, v2
	s_delay_alu instid0(VALU_DEP_1)
	v_and_or_b32 v3, 0x80, v5, v3
	global_store_b8 v[0:1], v3, off
.LBB232_2191:
	s_mov_b32 s2, 0
	s_mov_b32 s3, -1
.LBB232_2192:
	s_and_not1_b32 vcc_lo, exec_lo, s2
	s_mov_b32 s2, 0
	s_cbranch_vccnz .LBB232_2199
; %bb.2193:
	v_cmp_lt_i16_e32 vcc_lo, 14, v7
	s_mov_b32 s2, -1
	s_cbranch_vccz .LBB232_2197
; %bb.2194:
	v_cmp_eq_u16_e32 vcc_lo, 15, v7
	s_mov_b32 s0, -1
	s_cbranch_vccz .LBB232_2196
; %bb.2195:
	v_bfe_u32 v3, v2, 16, 1
	v_cmp_o_f32_e32 vcc_lo, v2, v2
	s_mov_b32 s0, 0
	s_mov_b32 s3, -1
	s_delay_alu instid0(VALU_DEP_2) | instskip(NEXT) | instid1(VALU_DEP_1)
	v_add3_u32 v3, v2, v3, 0x7fff
	v_lshrrev_b32_e32 v3, 16, v3
	s_delay_alu instid0(VALU_DEP_1)
	v_cndmask_b32_e32 v3, 0x7fc0, v3, vcc_lo
	global_store_b16 v[0:1], v3, off
.LBB232_2196:
	s_mov_b32 s2, 0
.LBB232_2197:
	s_delay_alu instid0(SALU_CYCLE_1)
	s_and_b32 vcc_lo, exec_lo, s2
	s_mov_b32 s2, 0
	s_cbranch_vccz .LBB232_2199
; %bb.2198:
	v_cmp_ne_u16_e64 s0, 11, v7
	s_mov_b32 s2, -1
.LBB232_2199:
	s_delay_alu instid0(VALU_DEP_1)
	s_and_b32 vcc_lo, exec_lo, s0
	s_cbranch_vccnz .LBB232_2344
; %bb.2200:
	s_and_not1_b32 vcc_lo, exec_lo, s2
	s_cbranch_vccnz .LBB232_2202
.LBB232_2201:
	v_cmp_neq_f32_e32 vcc_lo, 0, v2
	v_cmp_neq_f32_e64 s0, 0, v6
	s_mov_b32 s3, -1
	s_delay_alu instid0(VALU_DEP_1) | instskip(NEXT) | instid1(SALU_CYCLE_1)
	s_or_b32 s0, vcc_lo, s0
	v_cndmask_b32_e64 v3, 0, 1, s0
	global_store_b8 v[0:1], v3, off
.LBB232_2202:
	s_mov_b32 s0, 0
	s_branch .LBB232_2204
.LBB232_2203:
	s_mov_b32 s0, -1
	s_mov_b32 s3, 0
.LBB232_2204:
	s_and_b32 vcc_lo, exec_lo, s0
	s_cbranch_vccz .LBB232_2243
; %bb.2205:
	v_cmp_gt_i16_e32 vcc_lo, 5, v7
	s_mov_b32 s0, -1
	s_cbranch_vccnz .LBB232_2226
; %bb.2206:
	v_cmp_gt_i16_e32 vcc_lo, 8, v7
	s_cbranch_vccnz .LBB232_2216
; %bb.2207:
	v_cmp_gt_i16_e32 vcc_lo, 9, v7
	s_cbranch_vccnz .LBB232_2213
; %bb.2208:
	v_cmp_lt_i16_e32 vcc_lo, 9, v7
	s_cbranch_vccz .LBB232_2210
; %bb.2209:
	v_cvt_f64_f32_e32 v[10:11], v2
	v_cvt_f64_f32_e32 v[12:13], v6
	s_mov_b32 s0, 0
	global_store_b128 v[0:1], v[10:13], off
.LBB232_2210:
	s_and_not1_b32 vcc_lo, exec_lo, s0
	s_cbranch_vccnz .LBB232_2212
; %bb.2211:
	v_mov_b32_e32 v3, v6
	global_store_b64 v[0:1], v[2:3], off
.LBB232_2212:
	s_mov_b32 s0, 0
.LBB232_2213:
	s_delay_alu instid0(SALU_CYCLE_1)
	s_and_not1_b32 vcc_lo, exec_lo, s0
	s_cbranch_vccnz .LBB232_2215
; %bb.2214:
	v_cvt_f16_f32_e32 v3, v6
	v_cvt_f16_f32_e32 v5, v2
	s_delay_alu instid0(VALU_DEP_2) | instskip(NEXT) | instid1(VALU_DEP_2)
	v_lshlrev_b32_e32 v3, 16, v3
	v_and_b32_e32 v5, 0xffff, v5
	s_delay_alu instid0(VALU_DEP_1)
	v_or_b32_e32 v3, v3, v5
	global_store_b32 v[0:1], v3, off
.LBB232_2215:
	s_mov_b32 s0, 0
.LBB232_2216:
	s_delay_alu instid0(SALU_CYCLE_1)
	s_and_not1_b32 vcc_lo, exec_lo, s0
	s_cbranch_vccnz .LBB232_2225
; %bb.2217:
	v_cmp_gt_i16_e32 vcc_lo, 6, v7
	s_mov_b32 s0, -1
	s_cbranch_vccnz .LBB232_2223
; %bb.2218:
	v_cmp_lt_i16_e32 vcc_lo, 6, v7
	s_cbranch_vccz .LBB232_2220
; %bb.2219:
	v_cvt_f64_f32_e32 v[5:6], v2
	s_mov_b32 s0, 0
	global_store_b64 v[0:1], v[5:6], off
.LBB232_2220:
	s_and_not1_b32 vcc_lo, exec_lo, s0
	s_cbranch_vccnz .LBB232_2222
; %bb.2221:
	global_store_b32 v[0:1], v2, off
.LBB232_2222:
	s_mov_b32 s0, 0
.LBB232_2223:
	s_delay_alu instid0(SALU_CYCLE_1)
	s_and_not1_b32 vcc_lo, exec_lo, s0
	s_cbranch_vccnz .LBB232_2225
; %bb.2224:
	v_cvt_f16_f32_e32 v3, v2
	global_store_b16 v[0:1], v3, off
.LBB232_2225:
	s_mov_b32 s0, 0
.LBB232_2226:
	s_delay_alu instid0(SALU_CYCLE_1)
	s_and_not1_b32 vcc_lo, exec_lo, s0
	s_cbranch_vccnz .LBB232_2242
; %bb.2227:
	v_cmp_gt_i16_e32 vcc_lo, 2, v7
	s_mov_b32 s0, -1
	s_cbranch_vccnz .LBB232_2237
; %bb.2228:
	v_cmp_gt_i16_e32 vcc_lo, 3, v7
	s_cbranch_vccnz .LBB232_2234
; %bb.2229:
	v_cmp_lt_i16_e32 vcc_lo, 3, v7
	s_cbranch_vccz .LBB232_2231
; %bb.2230:
	v_trunc_f32_e32 v3, v2
	s_mov_b32 s0, 0
	s_delay_alu instid0(VALU_DEP_1) | instskip(NEXT) | instid1(VALU_DEP_1)
	v_mul_f32_e64 v5, 0x2f800000, |v3|
	v_floor_f32_e32 v5, v5
	s_delay_alu instid0(VALU_DEP_1) | instskip(SKIP_2) | instid1(VALU_DEP_3)
	v_fma_f32 v6, 0xcf800000, v5, |v3|
	v_ashrrev_i32_e32 v3, 31, v3
	v_cvt_u32_f32_e32 v5, v5
	v_cvt_u32_f32_e32 v6, v6
	s_delay_alu instid0(VALU_DEP_2) | instskip(NEXT) | instid1(VALU_DEP_2)
	v_xor_b32_e32 v10, v5, v3
	v_xor_b32_e32 v6, v6, v3
	s_delay_alu instid0(VALU_DEP_1) | instskip(NEXT) | instid1(VALU_DEP_3)
	v_sub_co_u32 v5, vcc_lo, v6, v3
	v_sub_co_ci_u32_e32 v6, vcc_lo, v10, v3, vcc_lo
	global_store_b64 v[0:1], v[5:6], off
.LBB232_2231:
	s_and_not1_b32 vcc_lo, exec_lo, s0
	s_cbranch_vccnz .LBB232_2233
; %bb.2232:
	v_cvt_i32_f32_e32 v3, v2
	global_store_b32 v[0:1], v3, off
.LBB232_2233:
	s_mov_b32 s0, 0
.LBB232_2234:
	s_delay_alu instid0(SALU_CYCLE_1)
	s_and_not1_b32 vcc_lo, exec_lo, s0
	s_cbranch_vccnz .LBB232_2236
; %bb.2235:
	v_cvt_i32_f32_e32 v3, v2
	global_store_b16 v[0:1], v3, off
.LBB232_2236:
	s_mov_b32 s0, 0
.LBB232_2237:
	s_delay_alu instid0(SALU_CYCLE_1)
	s_and_not1_b32 vcc_lo, exec_lo, s0
	s_cbranch_vccnz .LBB232_2242
; %bb.2238:
	v_cmp_lt_i16_e32 vcc_lo, 0, v7
	s_mov_b32 s0, -1
	s_cbranch_vccz .LBB232_2240
; %bb.2239:
	v_cvt_i32_f32_e32 v3, v2
	s_mov_b32 s0, 0
	global_store_b8 v[0:1], v3, off
.LBB232_2240:
	s_and_not1_b32 vcc_lo, exec_lo, s0
	s_cbranch_vccnz .LBB232_2242
; %bb.2241:
	v_trunc_f32_e32 v2, v2
	s_delay_alu instid0(VALU_DEP_1) | instskip(NEXT) | instid1(VALU_DEP_1)
	v_mul_f32_e64 v3, 0x2f800000, |v2|
	v_floor_f32_e32 v3, v3
	s_delay_alu instid0(VALU_DEP_1) | instskip(SKIP_1) | instid1(VALU_DEP_2)
	v_fma_f32 v3, 0xcf800000, v3, |v2|
	v_ashrrev_i32_e32 v2, 31, v2
	v_cvt_u32_f32_e32 v3, v3
	s_delay_alu instid0(VALU_DEP_1) | instskip(NEXT) | instid1(VALU_DEP_1)
	v_xor_b32_e32 v3, v3, v2
	v_sub_nc_u32_e32 v2, v3, v2
	global_store_b8 v[0:1], v2, off
.LBB232_2242:
	s_mov_b32 s3, -1
.LBB232_2243:
	s_delay_alu instid0(SALU_CYCLE_1)
	s_and_not1_b32 vcc_lo, exec_lo, s3
	s_cbranch_vccnz .LBB232_2320
; %bb.2244:
	v_add_nc_u32_e32 v0, s1, v4
	v_cmp_gt_i16_e32 vcc_lo, 11, v7
	s_delay_alu instid0(VALU_DEP_2) | instskip(SKIP_1) | instid1(VALU_DEP_1)
	v_ashrrev_i32_e32 v1, 31, v0
	v_add_co_u32 v0, s0, s4, v0
	v_add_co_ci_u32_e64 v1, s0, s5, v1, s0
	s_cbranch_vccnz .LBB232_2321
; %bb.2245:
	v_cmp_lt_i16_e32 vcc_lo, 25, v7
	s_mov_b32 s2, -1
	s_mov_b32 s1, 0
	s_mov_b32 s0, 0
	s_cbranch_vccz .LBB232_2278
; %bb.2246:
	v_cmp_lt_i16_e32 vcc_lo, 28, v7
	s_cbranch_vccz .LBB232_2262
; %bb.2247:
	v_cmp_lt_i16_e32 vcc_lo, 43, v7
	;; [unrolled: 3-line block ×3, first 2 shown]
	s_cbranch_vccz .LBB232_2252
; %bb.2249:
	v_cmp_eq_u16_e32 vcc_lo, 46, v7
	s_mov_b32 s0, -1
	s_cbranch_vccz .LBB232_2251
; %bb.2250:
	v_bfe_u32 v2, v8, 16, 1
	v_bfe_u32 v3, v9, 16, 1
	v_cmp_o_f32_e32 vcc_lo, v8, v8
	s_mov_b32 s0, 0
	s_delay_alu instid0(VALU_DEP_3) | instskip(NEXT) | instid1(VALU_DEP_3)
	v_add3_u32 v2, v8, v2, 0x7fff
	v_add3_u32 v3, v9, v3, 0x7fff
	s_delay_alu instid0(VALU_DEP_2) | instskip(NEXT) | instid1(VALU_DEP_2)
	v_and_b32_e32 v2, 0xffff0000, v2
	v_lshrrev_b32_e32 v3, 16, v3
	s_delay_alu instid0(VALU_DEP_2) | instskip(SKIP_1) | instid1(VALU_DEP_3)
	v_cndmask_b32_e32 v2, 0x7fc00000, v2, vcc_lo
	v_cmp_o_f32_e32 vcc_lo, v9, v9
	v_cndmask_b32_e32 v3, 0x7fc0, v3, vcc_lo
	s_delay_alu instid0(VALU_DEP_1)
	v_or_b32_e32 v2, v2, v3
	global_store_b32 v[0:1], v2, off
.LBB232_2251:
	s_mov_b32 s2, 0
.LBB232_2252:
	s_delay_alu instid0(SALU_CYCLE_1)
	s_and_b32 vcc_lo, exec_lo, s2
	s_cbranch_vccz .LBB232_2257
; %bb.2253:
	v_cmp_eq_u16_e32 vcc_lo, 44, v7
	s_mov_b32 s0, -1
	s_cbranch_vccz .LBB232_2257
; %bb.2254:
	v_bfe_u32 v3, v9, 23, 8
	v_mov_b32_e32 v2, 0xff
	s_mov_b32 s2, exec_lo
	s_delay_alu instid0(VALU_DEP_2)
	v_cmpx_ne_u32_e32 0xff, v3
; %bb.2255:
	v_and_b32_e32 v2, 0x400000, v9
	v_and_or_b32 v3, 0x3fffff, v9, v3
	s_delay_alu instid0(VALU_DEP_2) | instskip(NEXT) | instid1(VALU_DEP_2)
	v_cmp_ne_u32_e32 vcc_lo, 0, v2
	v_cmp_ne_u32_e64 s0, 0, v3
	v_lshrrev_b32_e32 v2, 23, v9
	s_delay_alu instid0(VALU_DEP_2) | instskip(NEXT) | instid1(SALU_CYCLE_1)
	s_and_b32 s0, vcc_lo, s0
	v_cndmask_b32_e64 v3, 0, 1, s0
	s_delay_alu instid0(VALU_DEP_1)
	v_add_nc_u32_e32 v2, v2, v3
; %bb.2256:
	s_or_b32 exec_lo, exec_lo, s2
	s_mov_b32 s0, 0
	global_store_b8 v[0:1], v2, off
.LBB232_2257:
	s_mov_b32 s2, 0
.LBB232_2258:
	s_delay_alu instid0(SALU_CYCLE_1)
	s_and_b32 vcc_lo, exec_lo, s2
	s_cbranch_vccz .LBB232_2261
; %bb.2259:
	v_cmp_eq_u16_e32 vcc_lo, 29, v7
	s_mov_b32 s0, -1
	s_cbranch_vccz .LBB232_2261
; %bb.2260:
	v_trunc_f32_e32 v2, v9
	s_mov_b32 s0, 0
	s_delay_alu instid0(VALU_DEP_1) | instskip(NEXT) | instid1(VALU_DEP_1)
	v_mul_f32_e32 v3, 0x2f800000, v2
	v_floor_f32_e32 v3, v3
	s_delay_alu instid0(VALU_DEP_1) | instskip(SKIP_1) | instid1(VALU_DEP_2)
	v_fmamk_f32 v2, v3, 0xcf800000, v2
	v_cvt_u32_f32_e32 v3, v3
	v_cvt_u32_f32_e32 v2, v2
	global_store_b64 v[0:1], v[2:3], off
.LBB232_2261:
	s_mov_b32 s2, 0
.LBB232_2262:
	s_delay_alu instid0(SALU_CYCLE_1)
	s_and_b32 vcc_lo, exec_lo, s2
	s_cbranch_vccz .LBB232_2277
; %bb.2263:
	v_cmp_gt_i16_e32 vcc_lo, 27, v7
	s_mov_b32 s2, -1
	s_cbranch_vccnz .LBB232_2269
; %bb.2264:
	v_cmp_lt_i16_e32 vcc_lo, 27, v7
	v_cvt_u32_f32_e32 v2, v9
	s_cbranch_vccz .LBB232_2266
; %bb.2265:
	s_mov_b32 s2, 0
	global_store_b32 v[0:1], v2, off
.LBB232_2266:
	s_and_not1_b32 vcc_lo, exec_lo, s2
	s_cbranch_vccnz .LBB232_2268
; %bb.2267:
	global_store_b16 v[0:1], v2, off
.LBB232_2268:
	s_mov_b32 s2, 0
.LBB232_2269:
	s_delay_alu instid0(SALU_CYCLE_1)
	s_and_not1_b32 vcc_lo, exec_lo, s2
	s_cbranch_vccnz .LBB232_2277
; %bb.2270:
	v_and_b32_e32 v2, 0x7fffffff, v9
	v_mov_b32_e32 v3, 0x80
	s_mov_b32 s2, exec_lo
	s_delay_alu instid0(VALU_DEP_2)
	v_cmpx_gt_u32_e32 0x43800000, v2
	s_cbranch_execz .LBB232_2276
; %bb.2271:
	v_cmp_lt_u32_e32 vcc_lo, 0x3bffffff, v2
	s_mov_b32 s3, 0
                                        ; implicit-def: $vgpr2
	s_and_saveexec_b32 s4, vcc_lo
	s_delay_alu instid0(SALU_CYCLE_1)
	s_xor_b32 s4, exec_lo, s4
	s_cbranch_execz .LBB232_2348
; %bb.2272:
	v_bfe_u32 v2, v9, 20, 1
	s_mov_b32 s3, exec_lo
	s_delay_alu instid0(VALU_DEP_1) | instskip(NEXT) | instid1(VALU_DEP_1)
	v_add3_u32 v2, v9, v2, 0x487ffff
	v_lshrrev_b32_e32 v2, 20, v2
	s_or_saveexec_b32 s4, s4
                                        ; implicit-def: $sgpr5
	s_delay_alu instid0(SALU_CYCLE_1)
	s_xor_b32 exec_lo, exec_lo, s4
	s_cbranch_execnz .LBB232_2349
.LBB232_2273:
	s_or_b32 exec_lo, exec_lo, s4
	v_mov_b32_e32 v3, s5
	s_and_saveexec_b32 s4, s3
.LBB232_2274:
	v_lshrrev_b32_e32 v3, 24, v9
	s_delay_alu instid0(VALU_DEP_1)
	v_and_or_b32 v3, 0x80, v3, v2
.LBB232_2275:
	s_or_b32 exec_lo, exec_lo, s4
.LBB232_2276:
	s_delay_alu instid0(SALU_CYCLE_1)
	s_or_b32 exec_lo, exec_lo, s2
	global_store_b8 v[0:1], v3, off
.LBB232_2277:
	s_mov_b32 s2, 0
.LBB232_2278:
	s_delay_alu instid0(SALU_CYCLE_1)
	s_and_b32 vcc_lo, exec_lo, s2
	s_cbranch_vccz .LBB232_2318
; %bb.2279:
	v_cmp_lt_i16_e32 vcc_lo, 22, v7
	s_mov_b32 s1, -1
	s_cbranch_vccz .LBB232_2311
; %bb.2280:
	v_cmp_gt_i16_e32 vcc_lo, 24, v7
	s_cbranch_vccnz .LBB232_2300
; %bb.2281:
	v_cmp_lt_i16_e32 vcc_lo, 24, v7
	s_cbranch_vccz .LBB232_2289
; %bb.2282:
	v_and_b32_e32 v2, 0x7fffffff, v9
	v_mov_b32_e32 v3, 0x80
	s_mov_b32 s1, exec_lo
	s_delay_alu instid0(VALU_DEP_2)
	v_cmpx_gt_u32_e32 0x47800000, v2
	s_cbranch_execz .LBB232_2288
; %bb.2283:
	v_cmp_lt_u32_e32 vcc_lo, 0x37ffffff, v2
	s_mov_b32 s2, 0
                                        ; implicit-def: $vgpr2
	s_and_saveexec_b32 s3, vcc_lo
	s_delay_alu instid0(SALU_CYCLE_1)
	s_xor_b32 s3, exec_lo, s3
	s_cbranch_execz .LBB232_2354
; %bb.2284:
	v_bfe_u32 v2, v9, 21, 1
	s_mov_b32 s2, exec_lo
	s_delay_alu instid0(VALU_DEP_1) | instskip(NEXT) | instid1(VALU_DEP_1)
	v_add3_u32 v2, v9, v2, 0x88fffff
	v_lshrrev_b32_e32 v2, 21, v2
	s_or_saveexec_b32 s3, s3
                                        ; implicit-def: $sgpr4
	s_delay_alu instid0(SALU_CYCLE_1)
	s_xor_b32 exec_lo, exec_lo, s3
	s_cbranch_execnz .LBB232_2355
.LBB232_2285:
	s_or_b32 exec_lo, exec_lo, s3
	v_mov_b32_e32 v3, s4
	s_and_saveexec_b32 s3, s2
.LBB232_2286:
	v_lshrrev_b32_e32 v3, 24, v9
	s_delay_alu instid0(VALU_DEP_1)
	v_and_or_b32 v3, 0x80, v3, v2
.LBB232_2287:
	s_or_b32 exec_lo, exec_lo, s3
.LBB232_2288:
	s_delay_alu instid0(SALU_CYCLE_1)
	s_or_b32 exec_lo, exec_lo, s1
	s_mov_b32 s1, 0
	global_store_b8 v[0:1], v3, off
.LBB232_2289:
	s_and_b32 vcc_lo, exec_lo, s1
	s_cbranch_vccz .LBB232_2299
; %bb.2290:
	v_and_b32_e32 v3, 0x7fffffff, v9
	s_mov_b32 s1, exec_lo
                                        ; implicit-def: $vgpr2
	s_delay_alu instid0(VALU_DEP_1)
	v_cmpx_gt_u32_e32 0x43f00000, v3
	s_xor_b32 s1, exec_lo, s1
	s_cbranch_execz .LBB232_2296
; %bb.2291:
	s_mov_b32 s2, exec_lo
                                        ; implicit-def: $vgpr2
	v_cmpx_lt_u32_e32 0x3c7fffff, v3
	s_xor_b32 s2, exec_lo, s2
; %bb.2292:
	v_bfe_u32 v2, v9, 20, 1
	s_delay_alu instid0(VALU_DEP_1) | instskip(NEXT) | instid1(VALU_DEP_1)
	v_add3_u32 v2, v9, v2, 0x407ffff
	v_and_b32_e32 v3, 0xff00000, v2
	v_lshrrev_b32_e32 v2, 20, v2
	s_delay_alu instid0(VALU_DEP_2) | instskip(NEXT) | instid1(VALU_DEP_2)
	v_cmp_ne_u32_e32 vcc_lo, 0x7f00000, v3
	v_cndmask_b32_e32 v2, 0x7e, v2, vcc_lo
; %bb.2293:
	s_and_not1_saveexec_b32 s2, s2
; %bb.2294:
	v_add_f32_e64 v2, 0x46800000, |v9|
; %bb.2295:
	s_or_b32 exec_lo, exec_lo, s2
                                        ; implicit-def: $vgpr3
.LBB232_2296:
	s_and_not1_saveexec_b32 s1, s1
; %bb.2297:
	v_mov_b32_e32 v2, 0x7f
	v_cmp_lt_u32_e32 vcc_lo, 0x7f800000, v3
	s_delay_alu instid0(VALU_DEP_2)
	v_cndmask_b32_e32 v2, 0x7e, v2, vcc_lo
; %bb.2298:
	s_or_b32 exec_lo, exec_lo, s1
	v_lshrrev_b32_e32 v3, 24, v9
	s_delay_alu instid0(VALU_DEP_1)
	v_and_or_b32 v2, 0x80, v3, v2
	global_store_b8 v[0:1], v2, off
.LBB232_2299:
	s_mov_b32 s1, 0
.LBB232_2300:
	s_delay_alu instid0(SALU_CYCLE_1)
	s_and_not1_b32 vcc_lo, exec_lo, s1
	s_cbranch_vccnz .LBB232_2310
; %bb.2301:
	v_and_b32_e32 v3, 0x7fffffff, v9
	s_mov_b32 s1, exec_lo
                                        ; implicit-def: $vgpr2
	s_delay_alu instid0(VALU_DEP_1)
	v_cmpx_gt_u32_e32 0x47800000, v3
	s_xor_b32 s1, exec_lo, s1
	s_cbranch_execz .LBB232_2307
; %bb.2302:
	s_mov_b32 s2, exec_lo
                                        ; implicit-def: $vgpr2
	v_cmpx_lt_u32_e32 0x387fffff, v3
	s_xor_b32 s2, exec_lo, s2
; %bb.2303:
	v_bfe_u32 v2, v9, 21, 1
	s_delay_alu instid0(VALU_DEP_1) | instskip(NEXT) | instid1(VALU_DEP_1)
	v_add3_u32 v2, v9, v2, 0x80fffff
	v_lshrrev_b32_e32 v2, 21, v2
; %bb.2304:
	s_and_not1_saveexec_b32 s2, s2
; %bb.2305:
	v_add_f32_e64 v2, 0x43000000, |v9|
; %bb.2306:
	s_or_b32 exec_lo, exec_lo, s2
                                        ; implicit-def: $vgpr3
.LBB232_2307:
	s_and_not1_saveexec_b32 s1, s1
; %bb.2308:
	v_mov_b32_e32 v2, 0x7f
	v_cmp_lt_u32_e32 vcc_lo, 0x7f800000, v3
	s_delay_alu instid0(VALU_DEP_2)
	v_cndmask_b32_e32 v2, 0x7c, v2, vcc_lo
; %bb.2309:
	s_or_b32 exec_lo, exec_lo, s1
	v_lshrrev_b32_e32 v3, 24, v9
	s_delay_alu instid0(VALU_DEP_1)
	v_and_or_b32 v2, 0x80, v3, v2
	global_store_b8 v[0:1], v2, off
.LBB232_2310:
	s_mov_b32 s1, 0
.LBB232_2311:
	s_delay_alu instid0(SALU_CYCLE_1)
	s_and_not1_b32 vcc_lo, exec_lo, s1
	s_mov_b32 s1, 0
	s_cbranch_vccnz .LBB232_2318
; %bb.2312:
	v_cmp_lt_i16_e32 vcc_lo, 14, v7
	s_mov_b32 s1, -1
	s_cbranch_vccz .LBB232_2316
; %bb.2313:
	v_cmp_eq_u16_e32 vcc_lo, 15, v7
	s_mov_b32 s0, -1
	s_cbranch_vccz .LBB232_2315
; %bb.2314:
	v_bfe_u32 v2, v9, 16, 1
	v_cmp_o_f32_e32 vcc_lo, v9, v9
	s_mov_b32 s0, 0
	s_delay_alu instid0(VALU_DEP_2) | instskip(NEXT) | instid1(VALU_DEP_1)
	v_add3_u32 v2, v9, v2, 0x7fff
	v_lshrrev_b32_e32 v2, 16, v2
	s_delay_alu instid0(VALU_DEP_1)
	v_cndmask_b32_e32 v2, 0x7fc0, v2, vcc_lo
	global_store_b16 v[0:1], v2, off
.LBB232_2315:
	s_mov_b32 s1, 0
.LBB232_2316:
	s_delay_alu instid0(SALU_CYCLE_1)
	s_and_b32 vcc_lo, exec_lo, s1
	s_mov_b32 s1, 0
	s_cbranch_vccz .LBB232_2318
; %bb.2317:
	v_cmp_ne_u16_e64 s0, 11, v7
	s_mov_b32 s1, -1
.LBB232_2318:
	s_delay_alu instid0(VALU_DEP_1)
	s_and_b32 vcc_lo, exec_lo, s0
	s_cbranch_vccnz .LBB232_2352
.LBB232_2319:
	s_mov_b32 s0, 0
	s_branch .LBB232_1825
.LBB232_2320:
	s_mov_b32 s0, 0
	s_mov_b32 s1, 0
                                        ; implicit-def: $vgpr7
                                        ; implicit-def: $vgpr0_vgpr1
	s_branch .LBB232_1825
.LBB232_2321:
	s_mov_b32 s1, 0
	s_mov_b32 s0, -1
	s_branch .LBB232_1825
.LBB232_2322:
	s_cbranch_execnz .LBB232_2326
; %bb.2323:
	s_or_b32 s8, s8, exec_lo
                                        ; implicit-def: $vgpr8
	s_cbranch_execz .LBB232_1758
	s_branch .LBB232_1759
.LBB232_2324:
	s_or_saveexec_b32 s7, s7
                                        ; implicit-def: $sgpr11
	s_delay_alu instid0(SALU_CYCLE_1)
	s_xor_b32 exec_lo, exec_lo, s7
	s_cbranch_execz .LBB232_1915
.LBB232_2325:
	v_add_f32_e64 v5, 0x46000000, |v4|
	s_and_not1_b32 s6, s6, exec_lo
	s_mov_b32 s11, 0
	s_delay_alu instid0(VALU_DEP_1) | instskip(NEXT) | instid1(VALU_DEP_1)
	v_and_b32_e32 v5, 0xff, v5
	v_cmp_ne_u32_e32 vcc_lo, 0, v5
	s_and_b32 s12, vcc_lo, exec_lo
	s_delay_alu instid0(SALU_CYCLE_1)
	s_or_b32 s6, s6, s12
	s_or_b32 exec_lo, exec_lo, s7
	v_mov_b32_e32 v13, s11
	s_and_saveexec_b32 s7, s6
	s_cbranch_execnz .LBB232_1916
	s_branch .LBB232_1917
.LBB232_2326:
	s_trap 2
	s_sendmsg_rtn_b32 s0, sendmsg(MSG_RTN_GET_DOORBELL)
	s_mov_b32 ttmp2, m0
	s_waitcnt lgkmcnt(0)
	s_and_b32 s0, s0, 0x3ff
	s_delay_alu instid0(SALU_CYCLE_1) | instskip(NEXT) | instid1(SALU_CYCLE_1)
	s_bitset1_b32 s0, 10
	s_mov_b32 m0, s0
	s_sendmsg sendmsg(MSG_INTERRUPT)
	s_mov_b32 m0, ttmp2
.LBB232_2327:                           ; =>This Inner Loop Header: Depth=1
	s_sethalt 5
	s_branch .LBB232_2327
.LBB232_2328:
	s_cbranch_execnz .LBB232_2334
; %bb.2329:
	s_or_b32 s8, s8, exec_lo
	s_cbranch_execz .LBB232_1963
	s_branch .LBB232_1964
.LBB232_2330:
	s_or_saveexec_b32 s6, s6
                                        ; implicit-def: $sgpr7
	s_delay_alu instid0(SALU_CYCLE_1)
	s_xor_b32 exec_lo, exec_lo, s6
	s_cbranch_execz .LBB232_1928
.LBB232_2331:
	v_add_f32_e64 v5, 0x42800000, |v4|
	s_and_not1_b32 s3, s3, exec_lo
	s_mov_b32 s7, 0
	s_delay_alu instid0(VALU_DEP_1) | instskip(NEXT) | instid1(VALU_DEP_1)
	v_and_b32_e32 v5, 0xff, v5
	v_cmp_ne_u32_e32 vcc_lo, 0, v5
	s_and_b32 s11, vcc_lo, exec_lo
	s_delay_alu instid0(SALU_CYCLE_1)
	s_or_b32 s3, s3, s11
	s_or_b32 exec_lo, exec_lo, s6
	v_mov_b32_e32 v13, s7
	s_and_saveexec_b32 s6, s3
	s_cbranch_execnz .LBB232_1929
	s_branch .LBB232_1930
.LBB232_2332:
	s_or_saveexec_b32 s7, s7
                                        ; implicit-def: $sgpr11
	s_delay_alu instid0(SALU_CYCLE_1)
	s_xor_b32 exec_lo, exec_lo, s7
	s_cbranch_execz .LBB232_2034
.LBB232_2333:
	v_add_f32_e64 v1, 0x46000000, |v0|
	s_and_not1_b32 s6, s6, exec_lo
	s_mov_b32 s11, 0
	s_delay_alu instid0(VALU_DEP_1) | instskip(NEXT) | instid1(VALU_DEP_1)
	v_and_b32_e32 v1, 0xff, v1
	v_cmp_ne_u32_e32 vcc_lo, 0, v1
	s_and_b32 s12, vcc_lo, exec_lo
	s_delay_alu instid0(SALU_CYCLE_1)
	s_or_b32 s6, s6, s12
	s_or_b32 exec_lo, exec_lo, s7
	v_mov_b32_e32 v11, s11
	s_and_saveexec_b32 s7, s6
	s_cbranch_execnz .LBB232_2035
	s_branch .LBB232_2036
.LBB232_2334:
	s_trap 2
	s_sendmsg_rtn_b32 s0, sendmsg(MSG_RTN_GET_DOORBELL)
	s_mov_b32 ttmp2, m0
	s_waitcnt lgkmcnt(0)
	s_and_b32 s0, s0, 0x3ff
	s_delay_alu instid0(SALU_CYCLE_1) | instskip(NEXT) | instid1(SALU_CYCLE_1)
	s_bitset1_b32 s0, 10
	s_mov_b32 m0, s0
	s_sendmsg sendmsg(MSG_INTERRUPT)
	s_mov_b32 m0, ttmp2
.LBB232_2335:                           ; =>This Inner Loop Header: Depth=1
	s_sethalt 5
	s_branch .LBB232_2335
.LBB232_2336:
	s_cbranch_execnz .LBB232_2342
; %bb.2337:
	s_or_b32 s8, s8, exec_lo
	s_cbranch_execz .LBB232_2082
	s_branch .LBB232_2083
.LBB232_2338:
	s_or_saveexec_b32 s6, s6
                                        ; implicit-def: $sgpr7
	s_delay_alu instid0(SALU_CYCLE_1)
	s_xor_b32 exec_lo, exec_lo, s6
	s_cbranch_execz .LBB232_2047
.LBB232_2339:
	v_add_f32_e64 v1, 0x42800000, |v0|
	s_and_not1_b32 s3, s3, exec_lo
	s_mov_b32 s7, 0
	s_delay_alu instid0(VALU_DEP_1) | instskip(NEXT) | instid1(VALU_DEP_1)
	v_and_b32_e32 v1, 0xff, v1
	v_cmp_ne_u32_e32 vcc_lo, 0, v1
	s_and_b32 s11, vcc_lo, exec_lo
	s_delay_alu instid0(SALU_CYCLE_1)
	s_or_b32 s3, s3, s11
	s_or_b32 exec_lo, exec_lo, s6
	v_mov_b32_e32 v11, s7
	s_and_saveexec_b32 s6, s3
	s_cbranch_execnz .LBB232_2048
	s_branch .LBB232_2049
.LBB232_2340:
	s_or_saveexec_b32 s7, s7
                                        ; implicit-def: $sgpr11
	s_delay_alu instid0(SALU_CYCLE_1)
	s_xor_b32 exec_lo, exec_lo, s7
	s_cbranch_execz .LBB232_2153
.LBB232_2341:
	v_add_f32_e64 v3, 0x46000000, |v2|
	s_and_not1_b32 s6, s6, exec_lo
	s_mov_b32 s11, 0
	s_delay_alu instid0(VALU_DEP_1) | instskip(NEXT) | instid1(VALU_DEP_1)
	v_and_b32_e32 v3, 0xff, v3
	v_cmp_ne_u32_e32 vcc_lo, 0, v3
	s_and_b32 s12, vcc_lo, exec_lo
	s_delay_alu instid0(SALU_CYCLE_1)
	s_or_b32 s6, s6, s12
	s_or_b32 exec_lo, exec_lo, s7
	v_mov_b32_e32 v5, s11
	s_and_saveexec_b32 s7, s6
	s_cbranch_execnz .LBB232_2154
	s_branch .LBB232_2155
.LBB232_2342:
	s_trap 2
	s_sendmsg_rtn_b32 s0, sendmsg(MSG_RTN_GET_DOORBELL)
	s_mov_b32 ttmp2, m0
	s_waitcnt lgkmcnt(0)
	s_and_b32 s0, s0, 0x3ff
	s_delay_alu instid0(SALU_CYCLE_1) | instskip(NEXT) | instid1(SALU_CYCLE_1)
	s_bitset1_b32 s0, 10
	s_mov_b32 m0, s0
	s_sendmsg sendmsg(MSG_INTERRUPT)
	s_mov_b32 m0, ttmp2
.LBB232_2343:                           ; =>This Inner Loop Header: Depth=1
	s_sethalt 5
	s_branch .LBB232_2343
.LBB232_2344:
	s_cbranch_execnz .LBB232_2350
; %bb.2345:
	s_or_b32 s8, s8, exec_lo
	s_cbranch_execz .LBB232_2201
	s_branch .LBB232_2202
.LBB232_2346:
	s_or_saveexec_b32 s6, s6
                                        ; implicit-def: $sgpr7
	s_delay_alu instid0(SALU_CYCLE_1)
	s_xor_b32 exec_lo, exec_lo, s6
	s_cbranch_execz .LBB232_2166
.LBB232_2347:
	v_add_f32_e64 v3, 0x42800000, |v2|
	s_and_not1_b32 s3, s3, exec_lo
	s_mov_b32 s7, 0
	s_delay_alu instid0(VALU_DEP_1) | instskip(NEXT) | instid1(VALU_DEP_1)
	v_and_b32_e32 v3, 0xff, v3
	v_cmp_ne_u32_e32 vcc_lo, 0, v3
	s_and_b32 s11, vcc_lo, exec_lo
	s_delay_alu instid0(SALU_CYCLE_1)
	s_or_b32 s3, s3, s11
	s_or_b32 exec_lo, exec_lo, s6
	v_mov_b32_e32 v5, s7
	s_and_saveexec_b32 s6, s3
	s_cbranch_execnz .LBB232_2167
	s_branch .LBB232_2168
.LBB232_2348:
	s_or_saveexec_b32 s4, s4
                                        ; implicit-def: $sgpr5
	s_delay_alu instid0(SALU_CYCLE_1)
	s_xor_b32 exec_lo, exec_lo, s4
	s_cbranch_execz .LBB232_2273
.LBB232_2349:
	v_add_f32_e64 v2, 0x46000000, |v9|
	s_and_not1_b32 s3, s3, exec_lo
	s_mov_b32 s5, 0
	s_delay_alu instid0(VALU_DEP_1) | instskip(NEXT) | instid1(VALU_DEP_1)
	v_and_b32_e32 v2, 0xff, v2
	v_cmp_ne_u32_e32 vcc_lo, 0, v2
	s_and_b32 s6, vcc_lo, exec_lo
	s_delay_alu instid0(SALU_CYCLE_1)
	s_or_b32 s3, s3, s6
	s_or_b32 exec_lo, exec_lo, s4
	v_mov_b32_e32 v3, s5
	s_and_saveexec_b32 s4, s3
	s_cbranch_execnz .LBB232_2274
	s_branch .LBB232_2275
.LBB232_2350:
	s_trap 2
	s_sendmsg_rtn_b32 s0, sendmsg(MSG_RTN_GET_DOORBELL)
	s_mov_b32 ttmp2, m0
	s_waitcnt lgkmcnt(0)
	s_and_b32 s0, s0, 0x3ff
	s_delay_alu instid0(SALU_CYCLE_1) | instskip(NEXT) | instid1(SALU_CYCLE_1)
	s_bitset1_b32 s0, 10
	s_mov_b32 m0, s0
	s_sendmsg sendmsg(MSG_INTERRUPT)
	s_mov_b32 m0, ttmp2
.LBB232_2351:                           ; =>This Inner Loop Header: Depth=1
	s_sethalt 5
	s_branch .LBB232_2351
.LBB232_2352:
	s_cbranch_execnz .LBB232_2356
; %bb.2353:
	s_mov_b32 s1, 0
	s_or_b32 s8, s8, exec_lo
	s_branch .LBB232_2319
.LBB232_2354:
	s_or_saveexec_b32 s3, s3
                                        ; implicit-def: $sgpr4
	s_delay_alu instid0(SALU_CYCLE_1)
	s_xor_b32 exec_lo, exec_lo, s3
	s_cbranch_execz .LBB232_2285
.LBB232_2355:
	v_add_f32_e64 v2, 0x42800000, |v9|
	s_and_not1_b32 s2, s2, exec_lo
	s_mov_b32 s4, 0
	s_delay_alu instid0(VALU_DEP_1) | instskip(NEXT) | instid1(VALU_DEP_1)
	v_and_b32_e32 v2, 0xff, v2
	v_cmp_ne_u32_e32 vcc_lo, 0, v2
	s_and_b32 s5, vcc_lo, exec_lo
	s_delay_alu instid0(SALU_CYCLE_1)
	s_or_b32 s2, s2, s5
	s_or_b32 exec_lo, exec_lo, s3
	v_mov_b32_e32 v3, s4
	s_and_saveexec_b32 s3, s2
	s_cbranch_execnz .LBB232_2286
	s_branch .LBB232_2287
.LBB232_2356:
	s_trap 2
	s_sendmsg_rtn_b32 s0, sendmsg(MSG_RTN_GET_DOORBELL)
	s_mov_b32 ttmp2, m0
	s_waitcnt lgkmcnt(0)
	s_and_b32 s0, s0, 0x3ff
	s_delay_alu instid0(SALU_CYCLE_1) | instskip(NEXT) | instid1(SALU_CYCLE_1)
	s_bitset1_b32 s0, 10
	s_mov_b32 m0, s0
	s_sendmsg sendmsg(MSG_INTERRUPT)
	s_mov_b32 m0, ttmp2
.LBB232_2357:                           ; =>This Inner Loop Header: Depth=1
	s_sethalt 5
	s_branch .LBB232_2357
	.section	.rodata,"a",@progbits
	.p2align	6, 0x0
	.amdhsa_kernel _ZN2at6native32elementwise_kernel_manual_unrollILi128ELi4EZNS0_15gpu_kernel_implIZZZNS0_16sqrt_kernel_cudaERNS_18TensorIteratorBaseEENKUlvE_clEvENKUlvE0_clEvEUlN3c107complexIfEEE_EEvS4_RKT_EUlibE_EEviT1_
		.amdhsa_group_segment_fixed_size 0
		.amdhsa_private_segment_fixed_size 0
		.amdhsa_kernarg_size 40
		.amdhsa_user_sgpr_count 15
		.amdhsa_user_sgpr_dispatch_ptr 0
		.amdhsa_user_sgpr_queue_ptr 0
		.amdhsa_user_sgpr_kernarg_segment_ptr 1
		.amdhsa_user_sgpr_dispatch_id 0
		.amdhsa_user_sgpr_private_segment_size 0
		.amdhsa_wavefront_size32 1
		.amdhsa_uses_dynamic_stack 0
		.amdhsa_enable_private_segment 0
		.amdhsa_system_sgpr_workgroup_id_x 1
		.amdhsa_system_sgpr_workgroup_id_y 0
		.amdhsa_system_sgpr_workgroup_id_z 0
		.amdhsa_system_sgpr_workgroup_info 0
		.amdhsa_system_vgpr_workitem_id 0
		.amdhsa_next_free_vgpr 18
		.amdhsa_next_free_sgpr 26
		.amdhsa_reserve_vcc 1
		.amdhsa_float_round_mode_32 0
		.amdhsa_float_round_mode_16_64 0
		.amdhsa_float_denorm_mode_32 3
		.amdhsa_float_denorm_mode_16_64 3
		.amdhsa_dx10_clamp 1
		.amdhsa_ieee_mode 1
		.amdhsa_fp16_overflow 0
		.amdhsa_workgroup_processor_mode 1
		.amdhsa_memory_ordered 1
		.amdhsa_forward_progress 0
		.amdhsa_shared_vgpr_count 0
		.amdhsa_exception_fp_ieee_invalid_op 0
		.amdhsa_exception_fp_denorm_src 0
		.amdhsa_exception_fp_ieee_div_zero 0
		.amdhsa_exception_fp_ieee_overflow 0
		.amdhsa_exception_fp_ieee_underflow 0
		.amdhsa_exception_fp_ieee_inexact 0
		.amdhsa_exception_int_div_zero 0
	.end_amdhsa_kernel
	.section	.text._ZN2at6native32elementwise_kernel_manual_unrollILi128ELi4EZNS0_15gpu_kernel_implIZZZNS0_16sqrt_kernel_cudaERNS_18TensorIteratorBaseEENKUlvE_clEvENKUlvE0_clEvEUlN3c107complexIfEEE_EEvS4_RKT_EUlibE_EEviT1_,"axG",@progbits,_ZN2at6native32elementwise_kernel_manual_unrollILi128ELi4EZNS0_15gpu_kernel_implIZZZNS0_16sqrt_kernel_cudaERNS_18TensorIteratorBaseEENKUlvE_clEvENKUlvE0_clEvEUlN3c107complexIfEEE_EEvS4_RKT_EUlibE_EEviT1_,comdat
.Lfunc_end232:
	.size	_ZN2at6native32elementwise_kernel_manual_unrollILi128ELi4EZNS0_15gpu_kernel_implIZZZNS0_16sqrt_kernel_cudaERNS_18TensorIteratorBaseEENKUlvE_clEvENKUlvE0_clEvEUlN3c107complexIfEEE_EEvS4_RKT_EUlibE_EEviT1_, .Lfunc_end232-_ZN2at6native32elementwise_kernel_manual_unrollILi128ELi4EZNS0_15gpu_kernel_implIZZZNS0_16sqrt_kernel_cudaERNS_18TensorIteratorBaseEENKUlvE_clEvENKUlvE0_clEvEUlN3c107complexIfEEE_EEvS4_RKT_EUlibE_EEviT1_
                                        ; -- End function
	.section	.AMDGPU.csdata,"",@progbits
; Kernel info:
; codeLenInByte = 46172
; NumSgprs: 28
; NumVgprs: 18
; ScratchSize: 0
; MemoryBound: 1
; FloatMode: 240
; IeeeMode: 1
; LDSByteSize: 0 bytes/workgroup (compile time only)
; SGPRBlocks: 3
; VGPRBlocks: 2
; NumSGPRsForWavesPerEU: 28
; NumVGPRsForWavesPerEU: 18
; Occupancy: 16
; WaveLimiterHint : 0
; COMPUTE_PGM_RSRC2:SCRATCH_EN: 0
; COMPUTE_PGM_RSRC2:USER_SGPR: 15
; COMPUTE_PGM_RSRC2:TRAP_HANDLER: 0
; COMPUTE_PGM_RSRC2:TGID_X_EN: 1
; COMPUTE_PGM_RSRC2:TGID_Y_EN: 0
; COMPUTE_PGM_RSRC2:TGID_Z_EN: 0
; COMPUTE_PGM_RSRC2:TIDIG_COMP_CNT: 0
	.section	.text._ZN2at6native32elementwise_kernel_manual_unrollILi128ELi4EZNS0_15gpu_kernel_implIZZZNS0_16sqrt_kernel_cudaERNS_18TensorIteratorBaseEENKUlvE_clEvENKUlvE0_clEvEUlN3c107complexIfEEE_EEvS4_RKT_EUlibE0_EEviT1_,"axG",@progbits,_ZN2at6native32elementwise_kernel_manual_unrollILi128ELi4EZNS0_15gpu_kernel_implIZZZNS0_16sqrt_kernel_cudaERNS_18TensorIteratorBaseEENKUlvE_clEvENKUlvE0_clEvEUlN3c107complexIfEEE_EEvS4_RKT_EUlibE0_EEviT1_,comdat
	.globl	_ZN2at6native32elementwise_kernel_manual_unrollILi128ELi4EZNS0_15gpu_kernel_implIZZZNS0_16sqrt_kernel_cudaERNS_18TensorIteratorBaseEENKUlvE_clEvENKUlvE0_clEvEUlN3c107complexIfEEE_EEvS4_RKT_EUlibE0_EEviT1_ ; -- Begin function _ZN2at6native32elementwise_kernel_manual_unrollILi128ELi4EZNS0_15gpu_kernel_implIZZZNS0_16sqrt_kernel_cudaERNS_18TensorIteratorBaseEENKUlvE_clEvENKUlvE0_clEvEUlN3c107complexIfEEE_EEvS4_RKT_EUlibE0_EEviT1_
	.p2align	8
	.type	_ZN2at6native32elementwise_kernel_manual_unrollILi128ELi4EZNS0_15gpu_kernel_implIZZZNS0_16sqrt_kernel_cudaERNS_18TensorIteratorBaseEENKUlvE_clEvENKUlvE0_clEvEUlN3c107complexIfEEE_EEvS4_RKT_EUlibE0_EEviT1_,@function
_ZN2at6native32elementwise_kernel_manual_unrollILi128ELi4EZNS0_15gpu_kernel_implIZZZNS0_16sqrt_kernel_cudaERNS_18TensorIteratorBaseEENKUlvE_clEvENKUlvE0_clEvEUlN3c107complexIfEEE_EEvS4_RKT_EUlibE0_EEviT1_: ; @_ZN2at6native32elementwise_kernel_manual_unrollILi128ELi4EZNS0_15gpu_kernel_implIZZZNS0_16sqrt_kernel_cudaERNS_18TensorIteratorBaseEENKUlvE_clEvENKUlvE0_clEvEUlN3c107complexIfEEE_EEvS4_RKT_EUlibE0_EEviT1_
; %bb.0:
	s_clause 0x1
	s_load_b32 s24, s[0:1], 0x8
	s_load_b32 s30, s[0:1], 0x0
	v_lshl_or_b32 v9, s15, 9, v0
	s_or_b32 s16, s0, 8
	s_mov_b32 s3, -1
	s_mov_b32 s26, 0
	s_mov_b32 s17, s1
	v_or_b32_e32 v5, 0x180, v9
	s_mov_b32 s8, 0
	s_mov_b32 s2, exec_lo
	s_waitcnt lgkmcnt(0)
	s_add_i32 s25, s24, -1
	s_delay_alu instid0(SALU_CYCLE_1)
	s_cmp_gt_u32 s25, 1
	s_cselect_b32 s27, -1, 0
	v_cmpx_le_i32_e64 s30, v5
	s_xor_b32 s28, exec_lo, s2
	s_cbranch_execz .LBB233_1216
; %bb.1:
	v_mov_b32_e32 v0, 0
	s_clause 0x3
	s_load_b128 s[12:15], s[16:17], 0x4
	s_load_b64 s[18:19], s[16:17], 0x14
	s_load_b128 s[8:11], s[16:17], 0xc4
	s_load_b128 s[4:7], s[16:17], 0x148
	s_cmp_lg_u32 s24, 0
	s_mov_b32 s37, 0
	s_cselect_b32 s33, -1, 0
	global_load_u16 v7, v0, s[16:17] offset:345
	s_add_u32 s20, s16, 0xc4
	s_addc_u32 s21, s17, 0
	s_min_u32 s31, s25, 15
	s_cmp_gt_u32 s24, 1
	s_mov_b32 s35, 0
	s_cselect_b32 s29, -1, 0
	s_mov_b32 s34, 0
	s_mov_b32 s36, exec_lo
	s_waitcnt vmcnt(0)
	v_lshrrev_b16 v8, 8, v7
	v_cmpx_gt_i32_e64 s30, v9
	s_cbranch_execz .LBB233_298
; %bb.2:
	s_and_not1_b32 vcc_lo, exec_lo, s27
	s_cbranch_vccnz .LBB233_7
; %bb.3:
	v_mov_b32_e32 v2, 0
	v_mov_b32_e32 v0, 0
	s_and_not1_b32 vcc_lo, exec_lo, s33
	s_cbranch_vccnz .LBB233_12
; %bb.4:
	v_mov_b32_e32 v2, 0
	s_add_i32 s38, s31, 1
	s_cmp_eq_u32 s25, 2
	s_cbranch_scc1 .LBB233_8
; %bb.5:
	v_dual_mov_b32 v0, 0 :: v_dual_mov_b32 v1, v9
	v_mov_b32_e32 v2, 0
	s_and_b32 s35, s38, 28
	s_mov_b32 s39, 0
	s_mov_b64 s[2:3], s[20:21]
	s_mov_b64 s[22:23], s[16:17]
.LBB233_6:                              ; =>This Inner Loop Header: Depth=1
	s_clause 0x1
	s_load_b256 s[40:47], s[22:23], 0x4
	s_load_b128 s[56:59], s[22:23], 0x24
	s_load_b256 s[48:55], s[2:3], 0x0
	s_add_u32 s22, s22, 48
	s_addc_u32 s23, s23, 0
	s_add_i32 s39, s39, 4
	s_add_u32 s2, s2, 32
	s_addc_u32 s3, s3, 0
	s_cmp_lg_u32 s35, s39
	s_waitcnt lgkmcnt(0)
	v_mul_hi_u32 v3, s41, v1
	s_delay_alu instid0(VALU_DEP_1) | instskip(NEXT) | instid1(VALU_DEP_1)
	v_add_nc_u32_e32 v3, v1, v3
	v_lshrrev_b32_e32 v3, s42, v3
	s_delay_alu instid0(VALU_DEP_1) | instskip(SKIP_1) | instid1(VALU_DEP_2)
	v_mul_hi_u32 v4, s44, v3
	v_mul_lo_u32 v6, v3, s40
	v_add_nc_u32_e32 v4, v3, v4
	s_delay_alu instid0(VALU_DEP_2) | instskip(NEXT) | instid1(VALU_DEP_2)
	v_sub_nc_u32_e32 v1, v1, v6
	v_lshrrev_b32_e32 v4, s45, v4
	s_delay_alu instid0(VALU_DEP_2) | instskip(SKIP_1) | instid1(VALU_DEP_3)
	v_mul_lo_u32 v6, v1, s48
	v_mul_lo_u32 v11, v1, s49
	v_mul_hi_u32 v5, s47, v4
	s_delay_alu instid0(VALU_DEP_1) | instskip(NEXT) | instid1(VALU_DEP_1)
	v_add_nc_u32_e32 v5, v4, v5
	v_lshrrev_b32_e32 v5, s56, v5
	s_delay_alu instid0(VALU_DEP_1) | instskip(SKIP_1) | instid1(VALU_DEP_2)
	v_mul_hi_u32 v10, s58, v5
	v_mul_lo_u32 v12, v5, s46
	v_add_nc_u32_e32 v1, v5, v10
	v_mul_lo_u32 v10, v4, s43
	s_delay_alu instid0(VALU_DEP_3) | instskip(NEXT) | instid1(VALU_DEP_3)
	v_sub_nc_u32_e32 v4, v4, v12
	v_lshrrev_b32_e32 v1, s59, v1
	s_delay_alu instid0(VALU_DEP_2) | instskip(SKIP_2) | instid1(VALU_DEP_4)
	v_mul_lo_u32 v12, v4, s52
	v_mul_lo_u32 v4, v4, s53
	v_sub_nc_u32_e32 v3, v3, v10
	v_mul_lo_u32 v13, v1, s57
	s_delay_alu instid0(VALU_DEP_2) | instskip(SKIP_1) | instid1(VALU_DEP_3)
	v_mul_lo_u32 v10, v3, s50
	v_mul_lo_u32 v3, v3, s51
	v_sub_nc_u32_e32 v5, v5, v13
	s_delay_alu instid0(VALU_DEP_3) | instskip(NEXT) | instid1(VALU_DEP_2)
	v_add3_u32 v2, v6, v2, v10
	v_mul_lo_u32 v13, v5, s54
	v_mul_lo_u32 v5, v5, s55
	v_add3_u32 v0, v11, v0, v3
	s_delay_alu instid0(VALU_DEP_3) | instskip(NEXT) | instid1(VALU_DEP_2)
	v_add3_u32 v2, v12, v2, v13
	v_add3_u32 v0, v4, v0, v5
	s_cbranch_scc1 .LBB233_6
	s_branch .LBB233_9
.LBB233_7:
	s_mov_b32 s34, -1
                                        ; implicit-def: $vgpr2
                                        ; implicit-def: $vgpr0
	s_branch .LBB233_12
.LBB233_8:
	v_dual_mov_b32 v1, v9 :: v_dual_mov_b32 v0, 0
.LBB233_9:
	s_and_b32 s38, s38, 3
	s_delay_alu instid0(SALU_CYCLE_1)
	s_cmp_eq_u32 s38, 0
	s_cbranch_scc1 .LBB233_12
; %bb.10:
	s_lshl_b32 s2, s35, 3
	s_mul_i32 s22, s35, 12
	s_add_u32 s2, s2, s16
	s_addc_u32 s3, s17, 0
	s_add_u32 s2, s2, 0xc4
	s_addc_u32 s3, s3, 0
	s_add_u32 s22, s16, s22
	s_addc_u32 s23, s17, 0
	.p2align	6
.LBB233_11:                             ; =>This Inner Loop Header: Depth=1
	s_clause 0x1
	s_load_b64 s[40:41], s[22:23], 0x4
	s_load_b32 s35, s[22:23], 0xc
	s_load_b64 s[42:43], s[2:3], 0x0
	s_add_u32 s22, s22, 12
	s_addc_u32 s23, s23, 0
	s_add_u32 s2, s2, 8
	s_addc_u32 s3, s3, 0
	s_add_i32 s38, s38, -1
	s_delay_alu instid0(SALU_CYCLE_1) | instskip(SKIP_2) | instid1(VALU_DEP_1)
	s_cmp_lg_u32 s38, 0
	s_waitcnt lgkmcnt(0)
	v_mul_hi_u32 v3, s41, v1
	v_add_nc_u32_e32 v3, v1, v3
	s_delay_alu instid0(VALU_DEP_1) | instskip(NEXT) | instid1(VALU_DEP_1)
	v_lshrrev_b32_e32 v6, s35, v3
	v_mul_lo_u32 v3, v6, s40
	s_delay_alu instid0(VALU_DEP_1) | instskip(NEXT) | instid1(VALU_DEP_1)
	v_sub_nc_u32_e32 v1, v1, v3
	v_mad_u64_u32 v[3:4], null, v1, s42, v[2:3]
	v_mad_u64_u32 v[4:5], null, v1, s43, v[0:1]
	s_delay_alu instid0(VALU_DEP_2) | instskip(NEXT) | instid1(VALU_DEP_2)
	v_dual_mov_b32 v1, v6 :: v_dual_mov_b32 v2, v3
	v_mov_b32_e32 v0, v4
	s_cbranch_scc1 .LBB233_11
.LBB233_12:
	s_and_not1_b32 vcc_lo, exec_lo, s34
	s_cbranch_vccnz .LBB233_15
; %bb.13:
	s_waitcnt lgkmcnt(0)
	v_mul_hi_u32 v0, s13, v9
	s_and_not1_b32 vcc_lo, exec_lo, s29
	s_delay_alu instid0(VALU_DEP_1) | instskip(NEXT) | instid1(VALU_DEP_1)
	v_add_nc_u32_e32 v0, v9, v0
	v_lshrrev_b32_e32 v1, s14, v0
	s_delay_alu instid0(VALU_DEP_1) | instskip(NEXT) | instid1(VALU_DEP_1)
	v_mul_lo_u32 v0, v1, s12
	v_sub_nc_u32_e32 v0, v9, v0
	s_delay_alu instid0(VALU_DEP_1)
	v_mul_lo_u32 v2, v0, s8
	v_mul_lo_u32 v0, v0, s9
	s_cbranch_vccnz .LBB233_15
; %bb.14:
	v_mul_hi_u32 v3, s18, v1
	s_delay_alu instid0(VALU_DEP_1) | instskip(NEXT) | instid1(VALU_DEP_1)
	v_add_nc_u32_e32 v3, v1, v3
	v_lshrrev_b32_e32 v3, s19, v3
	s_delay_alu instid0(VALU_DEP_1) | instskip(NEXT) | instid1(VALU_DEP_1)
	v_mul_lo_u32 v3, v3, s15
	v_sub_nc_u32_e32 v5, v1, v3
	s_delay_alu instid0(VALU_DEP_1) | instskip(SKIP_1) | instid1(VALU_DEP_2)
	v_mad_u64_u32 v[3:4], null, v5, s10, v[2:3]
	v_mad_u64_u32 v[1:2], null, v5, s11, v[0:1]
	v_mov_b32_e32 v2, v3
	s_delay_alu instid0(VALU_DEP_2)
	v_mov_b32_e32 v0, v1
.LBB233_15:
	v_cmp_gt_i16_e32 vcc_lo, 11, v8
	s_waitcnt lgkmcnt(0)
	s_delay_alu instid0(VALU_DEP_2) | instskip(NEXT) | instid1(VALU_DEP_1)
	v_add_co_u32 v3, s2, s6, v0
	v_add_co_ci_u32_e64 v4, null, s7, 0, s2
	s_mov_b32 s22, 0
	s_cbranch_vccnz .LBB233_22
; %bb.16:
	v_cmp_lt_i16_e32 vcc_lo, 25, v8
	s_cbranch_vccz .LBB233_36
; %bb.17:
	v_cmp_lt_i16_e32 vcc_lo, 28, v8
	s_cbranch_vccz .LBB233_37
	;; [unrolled: 3-line block ×4, first 2 shown]
; %bb.20:
	v_cmp_eq_u16_e32 vcc_lo, 46, v8
	s_mov_b32 s3, 0
	s_cbranch_vccz .LBB233_175
; %bb.21:
	global_load_b32 v0, v[3:4], off
	s_mov_b32 s2, -1
	s_waitcnt vmcnt(0)
	v_and_b32_e32 v1, 0xffff0000, v0
	v_lshlrev_b32_e32 v0, 16, v0
	s_branch .LBB233_177
.LBB233_22:
	s_mov_b32 s2, 0
                                        ; implicit-def: $vgpr1
	s_cbranch_execnz .LBB233_246
.LBB233_23:
	s_and_not1_b32 vcc_lo, exec_lo, s2
	s_cbranch_vccnz .LBB233_295
.LBB233_24:
	s_waitcnt vmcnt(0)
	s_delay_alu instid0(VALU_DEP_2) | instskip(NEXT) | instid1(VALU_DEP_2)
	v_cmp_neq_f32_e32 vcc_lo, 0, v0
	v_cmp_neq_f32_e64 s2, 0, v1
	v_mov_b32_e32 v3, 0
	s_delay_alu instid0(VALU_DEP_2) | instskip(NEXT) | instid1(SALU_CYCLE_1)
	s_or_b32 s2, vcc_lo, s2
	s_and_saveexec_b32 s23, s2
	s_cbranch_execz .LBB233_58
; %bb.25:
	v_mov_b32_e32 v3, 0x7f800000
	s_mov_b32 s34, exec_lo
	v_cmpx_neq_f32_e64 0x7f800000, |v1|
	s_cbranch_execz .LBB233_57
; %bb.26:
	s_mov_b32 s2, exec_lo
	v_cmpx_o_f32_e32 v0, v0
	s_xor_b32 s35, exec_lo, s2
	s_cbranch_execz .LBB233_54
; %bb.27:
	s_mov_b32 s3, exec_lo
	v_cmpx_neq_f32_e64 0x7f800000, |v0|
	s_xor_b32 s38, exec_lo, s3
	s_cbranch_execz .LBB233_47
; %bb.28:
	v_max_f32_e64 v3, |v1|, |v1|
	v_max_f32_e64 v4, |v0|, |v0|
                                        ; implicit-def: $sgpr39
	s_delay_alu instid0(VALU_DEP_1) | instskip(NEXT) | instid1(VALU_DEP_1)
	v_max_f32_e32 v3, v4, v3
	v_cmp_nle_f32_e64 s2, 0x7ed413cb, v3
	s_delay_alu instid0(VALU_DEP_1) | instskip(NEXT) | instid1(SALU_CYCLE_1)
	s_and_saveexec_b32 s3, s2
	s_xor_b32 s3, exec_lo, s3
	s_cbranch_execz .LBB233_32
; %bb.29:
	v_cmp_ge_f32_e64 s39, 0x1000000, |v0|
	v_cmp_ge_f32_e64 s40, 0x1000000, |v1|
	s_delay_alu instid0(VALU_DEP_1)
	s_and_b32 s41, s39, s40
	s_mov_b32 s39, 0
	s_and_saveexec_b32 s40, s41
; %bb.30:
	v_dual_mul_f32 v0, 4.0, v0 :: v_dual_mul_f32 v1, 4.0, v1
	s_mov_b32 s39, exec_lo
; %bb.31:
	s_or_b32 exec_lo, exec_lo, s40
	s_delay_alu instid0(SALU_CYCLE_1)
	s_and_b32 s39, s39, exec_lo
.LBB233_32:
	s_and_not1_saveexec_b32 s3, s3
; %bb.33:
	v_dual_mul_f32 v0, 0x3e800000, v0 :: v_dual_mul_f32 v1, 0x3e800000, v1
	s_and_not1_b32 s39, s39, exec_lo
; %bb.34:
	s_or_b32 exec_lo, exec_lo, s3
	s_delay_alu instid0(VALU_DEP_1) | instskip(NEXT) | instid1(VALU_DEP_2)
	v_max_f32_e64 v3, |v1|, |v1|
	v_max_f32_e64 v4, |v0|, |v0|
	s_delay_alu instid0(VALU_DEP_1) | instskip(NEXT) | instid1(VALU_DEP_1)
	v_max_f32_e32 v5, v4, v3
	v_cvt_f64_f32_e32 v[3:4], v5
	s_delay_alu instid0(VALU_DEP_1) | instskip(NEXT) | instid1(VALU_DEP_1)
	v_frexp_exp_i32_f64_e32 v3, v[3:4]
	v_sub_nc_u32_e32 v4, 0, v3
	s_delay_alu instid0(VALU_DEP_1) | instskip(SKIP_1) | instid1(VALU_DEP_2)
	v_ldexp_f32 v6, |v1|, v4
	v_ldexp_f32 v4, |v0|, v4
	v_mul_f32_e32 v6, v6, v6
	v_cmp_neq_f32_e64 s3, 0x7f800000, v5
	s_delay_alu instid0(VALU_DEP_2) | instskip(NEXT) | instid1(VALU_DEP_1)
	v_fmac_f32_e32 v6, v4, v4
	v_sqrt_f32_e32 v4, v6
	s_waitcnt_depctr 0xfff
	v_ldexp_f32 v3, v4, v3
                                        ; implicit-def: $vgpr4
	s_delay_alu instid0(VALU_DEP_1)
	v_cndmask_b32_e64 v5, 0x7f800000, v3, s3
                                        ; implicit-def: $vgpr3
	s_mov_b32 s3, exec_lo
	v_cmpx_le_f32_e32 0, v0
	s_xor_b32 s40, exec_lo, s3
	s_cbranch_execz .LBB233_40
; %bb.35:
	v_add_f32_e32 v0, v0, v5
	s_delay_alu instid0(VALU_DEP_1) | instskip(NEXT) | instid1(VALU_DEP_1)
	v_mul_f32_e32 v0, 0.5, v0
	v_mul_f32_e32 v3, 0x4f800000, v0
	v_cmp_gt_f32_e32 vcc_lo, 0xf800000, v0
	s_delay_alu instid0(VALU_DEP_2) | instskip(NEXT) | instid1(VALU_DEP_1)
	v_cndmask_b32_e32 v0, v0, v3, vcc_lo
	v_sqrt_f32_e32 v3, v0
	s_waitcnt_depctr 0xfff
	v_add_nc_u32_e32 v4, -1, v3
	v_add_nc_u32_e32 v5, 1, v3
	s_delay_alu instid0(VALU_DEP_2) | instskip(NEXT) | instid1(VALU_DEP_2)
	v_fma_f32 v6, -v4, v3, v0
	v_fma_f32 v10, -v5, v3, v0
	s_delay_alu instid0(VALU_DEP_2) | instskip(NEXT) | instid1(VALU_DEP_1)
	v_cmp_ge_f32_e64 s3, 0, v6
	v_cndmask_b32_e64 v3, v3, v4, s3
	s_delay_alu instid0(VALU_DEP_3) | instskip(NEXT) | instid1(VALU_DEP_1)
	v_cmp_lt_f32_e64 s3, 0, v10
	v_cndmask_b32_e64 v3, v3, v5, s3
	s_delay_alu instid0(VALU_DEP_1) | instskip(NEXT) | instid1(VALU_DEP_1)
	v_mul_f32_e32 v4, 0x37800000, v3
	v_cndmask_b32_e32 v3, v3, v4, vcc_lo
	v_cmp_class_f32_e64 vcc_lo, v0, 0x260
	s_delay_alu instid0(VALU_DEP_2) | instskip(NEXT) | instid1(VALU_DEP_1)
	v_cndmask_b32_e32 v3, v3, v0, vcc_lo
	v_add_f32_e32 v0, v3, v3
	s_delay_alu instid0(VALU_DEP_1) | instskip(NEXT) | instid1(VALU_DEP_1)
	v_div_scale_f32 v4, null, v0, v0, v1
	v_rcp_f32_e32 v5, v4
	s_waitcnt_depctr 0xfff
	v_fma_f32 v6, -v4, v5, 1.0
	s_delay_alu instid0(VALU_DEP_1) | instskip(SKIP_1) | instid1(VALU_DEP_1)
	v_fmac_f32_e32 v5, v6, v5
	v_div_scale_f32 v6, vcc_lo, v1, v0, v1
	v_mul_f32_e32 v10, v6, v5
	s_delay_alu instid0(VALU_DEP_1) | instskip(NEXT) | instid1(VALU_DEP_1)
	v_fma_f32 v11, -v4, v10, v6
	v_fmac_f32_e32 v10, v11, v5
	s_delay_alu instid0(VALU_DEP_1) | instskip(NEXT) | instid1(VALU_DEP_1)
	v_fma_f32 v4, -v4, v10, v6
	v_div_fmas_f32 v4, v4, v5, v10
                                        ; implicit-def: $vgpr5
	s_delay_alu instid0(VALU_DEP_1)
	v_div_fixup_f32 v4, v4, v0, v1
                                        ; implicit-def: $vgpr0
	s_and_not1_saveexec_b32 s40, s40
	s_cbranch_execz .LBB233_42
	s_branch .LBB233_41
.LBB233_36:
	s_mov_b32 s2, 0
                                        ; implicit-def: $vgpr1
	s_cbranch_execnz .LBB233_212
	s_branch .LBB233_245
.LBB233_37:
	s_mov_b32 s3, -1
	s_mov_b32 s2, 0
                                        ; implicit-def: $vgpr1
	s_branch .LBB233_191
.LBB233_38:
	s_mov_b32 s3, -1
	s_mov_b32 s2, 0
                                        ; implicit-def: $vgpr1
	s_branch .LBB233_185
.LBB233_39:
	s_mov_b32 s3, -1
	s_branch .LBB233_176
.LBB233_40:
	s_and_not1_saveexec_b32 s40, s40
	s_cbranch_execz .LBB233_42
.LBB233_41:
	v_sub_f32_e32 v0, v5, v0
	s_delay_alu instid0(VALU_DEP_1) | instskip(NEXT) | instid1(VALU_DEP_1)
	v_mul_f32_e32 v0, 0.5, v0
	v_mul_f32_e32 v3, 0x4f800000, v0
	v_cmp_gt_f32_e32 vcc_lo, 0xf800000, v0
	s_delay_alu instid0(VALU_DEP_2) | instskip(NEXT) | instid1(VALU_DEP_1)
	v_cndmask_b32_e32 v0, v0, v3, vcc_lo
	v_sqrt_f32_e32 v3, v0
	s_waitcnt_depctr 0xfff
	v_add_nc_u32_e32 v4, -1, v3
	v_add_nc_u32_e32 v5, 1, v3
	s_delay_alu instid0(VALU_DEP_2) | instskip(NEXT) | instid1(VALU_DEP_2)
	v_fma_f32 v6, -v4, v3, v0
	v_fma_f32 v10, -v5, v3, v0
	s_delay_alu instid0(VALU_DEP_2) | instskip(NEXT) | instid1(VALU_DEP_1)
	v_cmp_ge_f32_e64 s3, 0, v6
	v_cndmask_b32_e64 v3, v3, v4, s3
	s_delay_alu instid0(VALU_DEP_3) | instskip(NEXT) | instid1(VALU_DEP_1)
	v_cmp_lt_f32_e64 s3, 0, v10
	v_cndmask_b32_e64 v3, v3, v5, s3
	s_delay_alu instid0(VALU_DEP_1) | instskip(NEXT) | instid1(VALU_DEP_1)
	v_mul_f32_e32 v4, 0x37800000, v3
	v_cndmask_b32_e32 v3, v3, v4, vcc_lo
	v_cmp_class_f32_e64 vcc_lo, v0, 0x260
	s_delay_alu instid0(VALU_DEP_2) | instskip(NEXT) | instid1(VALU_DEP_1)
	v_dual_cndmask_b32 v0, v3, v0 :: v_dual_and_b32 v3, 0x7fffffff, v1
	v_add_f32_e32 v4, v0, v0
	s_delay_alu instid0(VALU_DEP_1) | instskip(SKIP_1) | instid1(VALU_DEP_2)
	v_div_scale_f32 v5, null, v4, v4, v3
	v_div_scale_f32 v3, vcc_lo, v3, v4, v3
	v_rcp_f32_e32 v6, v5
	s_waitcnt_depctr 0xfff
	v_fma_f32 v10, -v5, v6, 1.0
	s_delay_alu instid0(VALU_DEP_1) | instskip(NEXT) | instid1(VALU_DEP_1)
	v_fmac_f32_e32 v6, v10, v6
	v_mul_f32_e32 v10, v3, v6
	s_delay_alu instid0(VALU_DEP_1) | instskip(NEXT) | instid1(VALU_DEP_1)
	v_fma_f32 v11, -v5, v10, v3
	v_fmac_f32_e32 v10, v11, v6
	s_delay_alu instid0(VALU_DEP_1) | instskip(NEXT) | instid1(VALU_DEP_1)
	v_fma_f32 v3, -v5, v10, v3
	v_div_fmas_f32 v3, v3, v6, v10
	s_delay_alu instid0(VALU_DEP_1)
	v_div_fixup_f32 v3, v3, v4, |v1|
	v_bfi_b32 v4, 0x7fffffff, v0, v1
.LBB233_42:
	s_or_b32 exec_lo, exec_lo, s40
                                        ; implicit-def: $vgpr1
	s_and_saveexec_b32 s3, s2
	s_delay_alu instid0(SALU_CYCLE_1)
	s_xor_b32 s2, exec_lo, s3
	s_cbranch_execz .LBB233_44
; %bb.43:
	v_dual_mul_f32 v0, 0.5, v3 :: v_dual_mul_f32 v1, 0.5, v4
	s_delay_alu instid0(VALU_DEP_1) | instskip(NEXT) | instid1(VALU_DEP_2)
	v_cndmask_b32_e64 v0, v3, v0, s39
	v_cndmask_b32_e64 v1, v4, v1, s39
                                        ; implicit-def: $vgpr3
                                        ; implicit-def: $vgpr4
	s_and_not1_saveexec_b32 s2, s2
	s_cbranch_execnz .LBB233_45
	s_branch .LBB233_46
.LBB233_44:
	s_and_not1_saveexec_b32 s2, s2
.LBB233_45:
	v_dual_add_f32 v0, v3, v3 :: v_dual_add_f32 v1, v4, v4
.LBB233_46:
	s_or_b32 exec_lo, exec_lo, s2
.LBB233_47:
	s_and_not1_saveexec_b32 s2, s38
	s_cbranch_execz .LBB233_53
; %bb.48:
	s_delay_alu instid0(VALU_DEP_1)
	v_sub_f32_e32 v3, v1, v1
	s_mov_b32 s3, exec_lo
	v_cmpx_lt_i32_e32 -1, v0
	s_xor_b32 s3, exec_lo, s3
; %bb.49:
	s_delay_alu instid0(VALU_DEP_2)
	v_bfi_b32 v1, 0x7fffffff, v3, v1
                                        ; implicit-def: $vgpr3
; %bb.50:
	s_and_not1_saveexec_b32 s3, s3
; %bb.51:
	v_and_b32_e32 v3, 0x7fffffff, v3
	s_delay_alu instid0(VALU_DEP_2) | instskip(NEXT) | instid1(VALU_DEP_2)
	v_bfi_b32 v1, 0x7fffffff, v0, v1
	v_mov_b32_e32 v0, v3
; %bb.52:
	s_or_b32 exec_lo, exec_lo, s3
.LBB233_53:
	s_delay_alu instid0(SALU_CYCLE_1)
	s_or_b32 exec_lo, exec_lo, s2
.LBB233_54:
	s_and_not1_saveexec_b32 s2, s35
; %bb.55:
	v_sub_f32_e32 v1, v1, v1
	s_delay_alu instid0(VALU_DEP_1) | instskip(NEXT) | instid1(VALU_DEP_1)
	v_div_scale_f32 v3, vcc_lo, v1, v1, v1
	v_rcp_f32_e32 v4, v3
	s_waitcnt_depctr 0xfff
	v_fma_f32 v5, -v3, v4, 1.0
	s_delay_alu instid0(VALU_DEP_1) | instskip(NEXT) | instid1(VALU_DEP_1)
	v_fmac_f32_e32 v4, v5, v4
	v_mul_f32_e32 v5, v3, v4
	s_delay_alu instid0(VALU_DEP_1) | instskip(NEXT) | instid1(VALU_DEP_1)
	v_fma_f32 v6, -v3, v5, v3
	v_fmac_f32_e32 v5, v6, v4
	s_delay_alu instid0(VALU_DEP_1) | instskip(NEXT) | instid1(VALU_DEP_1)
	v_fma_f32 v3, -v3, v5, v3
	v_div_fmas_f32 v3, v3, v4, v5
	s_delay_alu instid0(VALU_DEP_1)
	v_div_fixup_f32 v1, v3, v1, v1
; %bb.56:
	s_or_b32 exec_lo, exec_lo, s2
	v_mov_b32_e32 v3, v0
.LBB233_57:
	s_or_b32 exec_lo, exec_lo, s34
.LBB233_58:
	s_delay_alu instid0(SALU_CYCLE_1) | instskip(SKIP_2) | instid1(VALU_DEP_1)
	s_or_b32 exec_lo, exec_lo, s23
	v_and_b32_e32 v0, 0xff, v7
	v_add_co_u32 v5, s3, s4, v2
	v_add_co_ci_u32_e64 v6, null, s5, 0, s3
	s_delay_alu instid0(VALU_DEP_3)
	v_cmp_gt_i16_e32 vcc_lo, 11, v0
	s_mov_b32 s2, 0
	s_mov_b32 s23, -1
	s_mov_b32 s3, 0
	s_cbranch_vccnz .LBB233_135
; %bb.59:
	v_cmp_lt_i16_e32 vcc_lo, 25, v0
	s_cbranch_vccz .LBB233_92
; %bb.60:
	v_cmp_lt_i16_e32 vcc_lo, 28, v0
	s_cbranch_vccz .LBB233_75
; %bb.61:
	v_cmp_lt_i16_e32 vcc_lo, 43, v0
	s_cbranch_vccz .LBB233_71
; %bb.62:
	v_cmp_lt_i16_e32 vcc_lo, 45, v0
	s_cbranch_vccz .LBB233_65
; %bb.63:
	v_cmp_eq_u16_e32 vcc_lo, 46, v0
	s_mov_b32 s23, 0
	s_mov_b32 s2, -1
	s_cbranch_vccz .LBB233_65
; %bb.64:
	v_bfe_u32 v2, v1, 16, 1
	v_bfe_u32 v4, v3, 16, 1
	v_cmp_o_f32_e32 vcc_lo, v1, v1
	s_mov_b32 s3, -1
	s_mov_b32 s2, 0
	v_add3_u32 v2, v1, v2, 0x7fff
	v_add3_u32 v4, v3, v4, 0x7fff
	s_delay_alu instid0(VALU_DEP_2) | instskip(NEXT) | instid1(VALU_DEP_2)
	v_and_b32_e32 v2, 0xffff0000, v2
	v_lshrrev_b32_e32 v4, 16, v4
	s_delay_alu instid0(VALU_DEP_2) | instskip(SKIP_1) | instid1(VALU_DEP_3)
	v_cndmask_b32_e32 v2, 0x7fc00000, v2, vcc_lo
	v_cmp_o_f32_e32 vcc_lo, v3, v3
	v_cndmask_b32_e32 v4, 0x7fc0, v4, vcc_lo
	s_delay_alu instid0(VALU_DEP_1)
	v_or_b32_e32 v2, v2, v4
	global_store_b32 v[5:6], v2, off
.LBB233_65:
	s_and_b32 vcc_lo, exec_lo, s23
	s_cbranch_vccz .LBB233_70
; %bb.66:
	v_cmp_eq_u16_e32 vcc_lo, 44, v0
	s_mov_b32 s2, -1
	s_cbranch_vccz .LBB233_70
; %bb.67:
	v_bfe_u32 v4, v3, 23, 8
	v_mov_b32_e32 v2, 0xff
	s_mov_b32 s3, exec_lo
	s_delay_alu instid0(VALU_DEP_2)
	v_cmpx_ne_u32_e32 0xff, v4
; %bb.68:
	v_and_b32_e32 v2, 0x400000, v3
	v_and_or_b32 v4, 0x3fffff, v3, v4
	s_delay_alu instid0(VALU_DEP_2) | instskip(NEXT) | instid1(VALU_DEP_2)
	v_cmp_ne_u32_e32 vcc_lo, 0, v2
	v_cmp_ne_u32_e64 s2, 0, v4
	v_lshrrev_b32_e32 v2, 23, v3
	s_delay_alu instid0(VALU_DEP_2) | instskip(NEXT) | instid1(SALU_CYCLE_1)
	s_and_b32 s2, vcc_lo, s2
	v_cndmask_b32_e64 v4, 0, 1, s2
	s_delay_alu instid0(VALU_DEP_1)
	v_add_nc_u32_e32 v2, v2, v4
; %bb.69:
	s_or_b32 exec_lo, exec_lo, s3
	s_mov_b32 s3, -1
	s_mov_b32 s2, 0
	global_store_b8 v[5:6], v2, off
.LBB233_70:
	s_mov_b32 s23, 0
.LBB233_71:
	s_delay_alu instid0(SALU_CYCLE_1)
	s_and_b32 vcc_lo, exec_lo, s23
	s_cbranch_vccz .LBB233_74
; %bb.72:
	v_cmp_eq_u16_e32 vcc_lo, 29, v0
	s_mov_b32 s2, -1
	s_cbranch_vccz .LBB233_74
; %bb.73:
	v_trunc_f32_e32 v2, v3
	s_mov_b32 s3, -1
	s_mov_b32 s2, 0
	s_delay_alu instid0(VALU_DEP_1) | instskip(NEXT) | instid1(VALU_DEP_1)
	v_mul_f32_e32 v4, 0x2f800000, v2
	v_floor_f32_e32 v4, v4
	s_delay_alu instid0(VALU_DEP_1) | instskip(SKIP_1) | instid1(VALU_DEP_2)
	v_fmamk_f32 v2, v4, 0xcf800000, v2
	v_cvt_u32_f32_e32 v11, v4
	v_cvt_u32_f32_e32 v10, v2
	global_store_b64 v[5:6], v[10:11], off
.LBB233_74:
	s_mov_b32 s23, 0
.LBB233_75:
	s_delay_alu instid0(SALU_CYCLE_1)
	s_and_b32 vcc_lo, exec_lo, s23
	s_cbranch_vccz .LBB233_91
; %bb.76:
	v_cmp_gt_i16_e32 vcc_lo, 27, v0
	s_mov_b32 s3, -1
	s_cbranch_vccnz .LBB233_82
; %bb.77:
	v_cmp_lt_i16_e32 vcc_lo, 27, v0
	s_cbranch_vccz .LBB233_79
; %bb.78:
	v_cvt_u32_f32_e32 v2, v3
	s_mov_b32 s3, 0
	global_store_b32 v[5:6], v2, off
.LBB233_79:
	s_and_not1_b32 vcc_lo, exec_lo, s3
	s_cbranch_vccnz .LBB233_81
; %bb.80:
	v_cvt_u32_f32_e32 v2, v3
	global_store_b16 v[5:6], v2, off
.LBB233_81:
	s_mov_b32 s3, 0
.LBB233_82:
	s_delay_alu instid0(SALU_CYCLE_1)
	s_and_not1_b32 vcc_lo, exec_lo, s3
	s_cbranch_vccnz .LBB233_90
; %bb.83:
	v_and_b32_e32 v2, 0x7fffffff, v3
	v_mov_b32_e32 v4, 0x80
	s_mov_b32 s3, exec_lo
	s_delay_alu instid0(VALU_DEP_2)
	v_cmpx_gt_u32_e32 0x43800000, v2
	s_cbranch_execz .LBB233_89
; %bb.84:
	v_cmp_lt_u32_e32 vcc_lo, 0x3bffffff, v2
	s_mov_b32 s23, 0
                                        ; implicit-def: $vgpr2
	s_and_saveexec_b32 s34, vcc_lo
	s_delay_alu instid0(SALU_CYCLE_1)
	s_xor_b32 s34, exec_lo, s34
	s_cbranch_execz .LBB233_180
; %bb.85:
	v_bfe_u32 v2, v3, 20, 1
	s_mov_b32 s23, exec_lo
	s_delay_alu instid0(VALU_DEP_1) | instskip(NEXT) | instid1(VALU_DEP_1)
	v_add3_u32 v2, v3, v2, 0x487ffff
	v_lshrrev_b32_e32 v2, 20, v2
	s_or_saveexec_b32 s34, s34
                                        ; implicit-def: $sgpr35
	s_delay_alu instid0(SALU_CYCLE_1)
	s_xor_b32 exec_lo, exec_lo, s34
	s_cbranch_execnz .LBB233_181
.LBB233_86:
	s_or_b32 exec_lo, exec_lo, s34
	v_mov_b32_e32 v4, s35
	s_and_saveexec_b32 s34, s23
.LBB233_87:
	v_lshrrev_b32_e32 v4, 24, v3
	s_delay_alu instid0(VALU_DEP_1)
	v_and_or_b32 v4, 0x80, v4, v2
.LBB233_88:
	s_or_b32 exec_lo, exec_lo, s34
.LBB233_89:
	s_delay_alu instid0(SALU_CYCLE_1)
	s_or_b32 exec_lo, exec_lo, s3
	global_store_b8 v[5:6], v4, off
.LBB233_90:
	s_mov_b32 s3, -1
.LBB233_91:
	s_mov_b32 s23, 0
.LBB233_92:
	s_delay_alu instid0(SALU_CYCLE_1)
	s_and_b32 vcc_lo, exec_lo, s23
	s_cbranch_vccz .LBB233_133
; %bb.93:
	v_cmp_lt_i16_e32 vcc_lo, 22, v0
	s_mov_b32 s23, -1
	s_cbranch_vccz .LBB233_125
; %bb.94:
	v_cmp_gt_i16_e32 vcc_lo, 24, v0
	s_mov_b32 s3, -1
	s_cbranch_vccnz .LBB233_114
; %bb.95:
	v_cmp_lt_i16_e32 vcc_lo, 24, v0
	s_cbranch_vccz .LBB233_103
; %bb.96:
	v_and_b32_e32 v2, 0x7fffffff, v3
	v_mov_b32_e32 v4, 0x80
	s_mov_b32 s3, exec_lo
	s_delay_alu instid0(VALU_DEP_2)
	v_cmpx_gt_u32_e32 0x47800000, v2
	s_cbranch_execz .LBB233_102
; %bb.97:
	v_cmp_lt_u32_e32 vcc_lo, 0x37ffffff, v2
	s_mov_b32 s23, 0
                                        ; implicit-def: $vgpr2
	s_and_saveexec_b32 s34, vcc_lo
	s_delay_alu instid0(SALU_CYCLE_1)
	s_xor_b32 s34, exec_lo, s34
	s_cbranch_execz .LBB233_406
; %bb.98:
	v_bfe_u32 v2, v3, 21, 1
	s_mov_b32 s23, exec_lo
	s_delay_alu instid0(VALU_DEP_1) | instskip(NEXT) | instid1(VALU_DEP_1)
	v_add3_u32 v2, v3, v2, 0x88fffff
	v_lshrrev_b32_e32 v2, 21, v2
	s_or_saveexec_b32 s34, s34
                                        ; implicit-def: $sgpr35
	s_delay_alu instid0(SALU_CYCLE_1)
	s_xor_b32 exec_lo, exec_lo, s34
	s_cbranch_execnz .LBB233_407
.LBB233_99:
	s_or_b32 exec_lo, exec_lo, s34
	v_mov_b32_e32 v4, s35
	s_and_saveexec_b32 s34, s23
.LBB233_100:
	v_lshrrev_b32_e32 v4, 24, v3
	s_delay_alu instid0(VALU_DEP_1)
	v_and_or_b32 v4, 0x80, v4, v2
.LBB233_101:
	s_or_b32 exec_lo, exec_lo, s34
.LBB233_102:
	s_delay_alu instid0(SALU_CYCLE_1)
	s_or_b32 exec_lo, exec_lo, s3
	s_mov_b32 s3, 0
	global_store_b8 v[5:6], v4, off
.LBB233_103:
	s_and_b32 vcc_lo, exec_lo, s3
	s_cbranch_vccz .LBB233_113
; %bb.104:
	v_and_b32_e32 v4, 0x7fffffff, v3
	s_mov_b32 s3, exec_lo
                                        ; implicit-def: $vgpr2
	s_delay_alu instid0(VALU_DEP_1)
	v_cmpx_gt_u32_e32 0x43f00000, v4
	s_xor_b32 s3, exec_lo, s3
	s_cbranch_execz .LBB233_110
; %bb.105:
	s_mov_b32 s23, exec_lo
                                        ; implicit-def: $vgpr2
	v_cmpx_lt_u32_e32 0x3c7fffff, v4
	s_xor_b32 s23, exec_lo, s23
; %bb.106:
	v_bfe_u32 v2, v3, 20, 1
	s_delay_alu instid0(VALU_DEP_1) | instskip(NEXT) | instid1(VALU_DEP_1)
	v_add3_u32 v2, v3, v2, 0x407ffff
	v_and_b32_e32 v4, 0xff00000, v2
	v_lshrrev_b32_e32 v2, 20, v2
	s_delay_alu instid0(VALU_DEP_2) | instskip(NEXT) | instid1(VALU_DEP_2)
	v_cmp_ne_u32_e32 vcc_lo, 0x7f00000, v4
	v_cndmask_b32_e32 v2, 0x7e, v2, vcc_lo
; %bb.107:
	s_and_not1_saveexec_b32 s23, s23
; %bb.108:
	v_add_f32_e64 v2, 0x46800000, |v3|
; %bb.109:
	s_or_b32 exec_lo, exec_lo, s23
                                        ; implicit-def: $vgpr4
.LBB233_110:
	s_and_not1_saveexec_b32 s3, s3
; %bb.111:
	v_mov_b32_e32 v2, 0x7f
	v_cmp_lt_u32_e32 vcc_lo, 0x7f800000, v4
	s_delay_alu instid0(VALU_DEP_2)
	v_cndmask_b32_e32 v2, 0x7e, v2, vcc_lo
; %bb.112:
	s_or_b32 exec_lo, exec_lo, s3
	v_lshrrev_b32_e32 v4, 24, v3
	s_delay_alu instid0(VALU_DEP_1)
	v_and_or_b32 v2, 0x80, v4, v2
	global_store_b8 v[5:6], v2, off
.LBB233_113:
	s_mov_b32 s3, 0
.LBB233_114:
	s_delay_alu instid0(SALU_CYCLE_1)
	s_and_not1_b32 vcc_lo, exec_lo, s3
	s_cbranch_vccnz .LBB233_124
; %bb.115:
	v_and_b32_e32 v4, 0x7fffffff, v3
	s_mov_b32 s3, exec_lo
                                        ; implicit-def: $vgpr2
	s_delay_alu instid0(VALU_DEP_1)
	v_cmpx_gt_u32_e32 0x47800000, v4
	s_xor_b32 s3, exec_lo, s3
	s_cbranch_execz .LBB233_121
; %bb.116:
	s_mov_b32 s23, exec_lo
                                        ; implicit-def: $vgpr2
	v_cmpx_lt_u32_e32 0x387fffff, v4
	s_xor_b32 s23, exec_lo, s23
; %bb.117:
	v_bfe_u32 v2, v3, 21, 1
	s_delay_alu instid0(VALU_DEP_1) | instskip(NEXT) | instid1(VALU_DEP_1)
	v_add3_u32 v2, v3, v2, 0x80fffff
	v_lshrrev_b32_e32 v2, 21, v2
; %bb.118:
	s_and_not1_saveexec_b32 s23, s23
; %bb.119:
	v_add_f32_e64 v2, 0x43000000, |v3|
; %bb.120:
	s_or_b32 exec_lo, exec_lo, s23
                                        ; implicit-def: $vgpr4
.LBB233_121:
	s_and_not1_saveexec_b32 s3, s3
; %bb.122:
	v_mov_b32_e32 v2, 0x7f
	v_cmp_lt_u32_e32 vcc_lo, 0x7f800000, v4
	s_delay_alu instid0(VALU_DEP_2)
	v_cndmask_b32_e32 v2, 0x7c, v2, vcc_lo
; %bb.123:
	s_or_b32 exec_lo, exec_lo, s3
	v_lshrrev_b32_e32 v4, 24, v3
	s_delay_alu instid0(VALU_DEP_1)
	v_and_or_b32 v2, 0x80, v4, v2
	global_store_b8 v[5:6], v2, off
.LBB233_124:
	s_mov_b32 s23, 0
	s_mov_b32 s3, -1
.LBB233_125:
	s_and_not1_b32 vcc_lo, exec_lo, s23
	s_cbranch_vccnz .LBB233_133
; %bb.126:
	v_cmp_lt_i16_e32 vcc_lo, 14, v0
	s_mov_b32 s23, -1
	s_cbranch_vccz .LBB233_130
; %bb.127:
	v_cmp_eq_u16_e32 vcc_lo, 15, v0
	s_mov_b32 s2, -1
	s_cbranch_vccz .LBB233_129
; %bb.128:
	v_bfe_u32 v2, v3, 16, 1
	v_cmp_o_f32_e32 vcc_lo, v3, v3
	s_mov_b32 s3, -1
	s_mov_b32 s2, 0
	s_delay_alu instid0(VALU_DEP_2) | instskip(NEXT) | instid1(VALU_DEP_1)
	v_add3_u32 v2, v3, v2, 0x7fff
	v_lshrrev_b32_e32 v2, 16, v2
	s_delay_alu instid0(VALU_DEP_1)
	v_cndmask_b32_e32 v2, 0x7fc0, v2, vcc_lo
	global_store_b16 v[5:6], v2, off
.LBB233_129:
	s_mov_b32 s23, 0
.LBB233_130:
	s_delay_alu instid0(SALU_CYCLE_1)
	s_and_b32 vcc_lo, exec_lo, s23
	s_cbranch_vccz .LBB233_133
; %bb.131:
	v_cmp_eq_u16_e32 vcc_lo, 11, v0
	s_mov_b32 s2, -1
	s_cbranch_vccz .LBB233_133
; %bb.132:
	v_cmp_neq_f32_e32 vcc_lo, 0, v3
	v_cmp_neq_f32_e64 s2, 0, v1
	s_mov_b32 s3, -1
	s_delay_alu instid0(VALU_DEP_1) | instskip(NEXT) | instid1(SALU_CYCLE_1)
	s_or_b32 s2, vcc_lo, s2
	v_cndmask_b32_e64 v2, 0, 1, s2
	s_mov_b32 s2, 0
	global_store_b8 v[5:6], v2, off
.LBB233_133:
.LBB233_134:
	s_and_not1_b32 vcc_lo, exec_lo, s3
	s_cbranch_vccz .LBB233_174
	s_branch .LBB233_296
.LBB233_135:
	s_and_b32 vcc_lo, exec_lo, s23
	s_cbranch_vccz .LBB233_134
; %bb.136:
	v_cmp_gt_i16_e32 vcc_lo, 5, v0
	s_mov_b32 s3, -1
	s_cbranch_vccnz .LBB233_157
; %bb.137:
	v_cmp_gt_i16_e32 vcc_lo, 8, v0
	s_cbranch_vccnz .LBB233_147
; %bb.138:
	v_cmp_gt_i16_e32 vcc_lo, 9, v0
	s_cbranch_vccnz .LBB233_144
; %bb.139:
	v_cmp_lt_i16_e32 vcc_lo, 9, v0
	s_cbranch_vccz .LBB233_141
; %bb.140:
	v_cvt_f64_f32_e32 v[10:11], v3
	v_cvt_f64_f32_e32 v[12:13], v1
	s_mov_b32 s3, 0
	global_store_b128 v[5:6], v[10:13], off
.LBB233_141:
	s_and_not1_b32 vcc_lo, exec_lo, s3
	s_cbranch_vccnz .LBB233_143
; %bb.142:
	v_mov_b32_e32 v4, v1
	global_store_b64 v[5:6], v[3:4], off
.LBB233_143:
	s_mov_b32 s3, 0
.LBB233_144:
	s_delay_alu instid0(SALU_CYCLE_1)
	s_and_not1_b32 vcc_lo, exec_lo, s3
	s_cbranch_vccnz .LBB233_146
; %bb.145:
	v_cvt_f16_f32_e32 v1, v1
	v_cvt_f16_f32_e32 v2, v3
	s_delay_alu instid0(VALU_DEP_2) | instskip(NEXT) | instid1(VALU_DEP_2)
	v_lshlrev_b32_e32 v1, 16, v1
	v_and_b32_e32 v2, 0xffff, v2
	s_delay_alu instid0(VALU_DEP_1)
	v_or_b32_e32 v1, v1, v2
	global_store_b32 v[5:6], v1, off
.LBB233_146:
	s_mov_b32 s3, 0
.LBB233_147:
	s_delay_alu instid0(SALU_CYCLE_1)
	s_and_not1_b32 vcc_lo, exec_lo, s3
	s_cbranch_vccnz .LBB233_156
; %bb.148:
	v_cmp_gt_i16_e32 vcc_lo, 6, v0
	s_mov_b32 s3, -1
	s_cbranch_vccnz .LBB233_154
; %bb.149:
	v_cmp_lt_i16_e32 vcc_lo, 6, v0
	s_cbranch_vccz .LBB233_151
; %bb.150:
	v_cvt_f64_f32_e32 v[1:2], v3
	s_mov_b32 s3, 0
	global_store_b64 v[5:6], v[1:2], off
.LBB233_151:
	s_and_not1_b32 vcc_lo, exec_lo, s3
	s_cbranch_vccnz .LBB233_153
; %bb.152:
	global_store_b32 v[5:6], v3, off
.LBB233_153:
	s_mov_b32 s3, 0
.LBB233_154:
	s_delay_alu instid0(SALU_CYCLE_1)
	s_and_not1_b32 vcc_lo, exec_lo, s3
	s_cbranch_vccnz .LBB233_156
; %bb.155:
	v_cvt_f16_f32_e32 v1, v3
	global_store_b16 v[5:6], v1, off
.LBB233_156:
	s_mov_b32 s3, 0
.LBB233_157:
	s_delay_alu instid0(SALU_CYCLE_1)
	s_and_not1_b32 vcc_lo, exec_lo, s3
	s_cbranch_vccnz .LBB233_173
; %bb.158:
	v_cmp_gt_i16_e32 vcc_lo, 2, v0
	s_mov_b32 s3, -1
	s_cbranch_vccnz .LBB233_168
; %bb.159:
	v_cmp_gt_i16_e32 vcc_lo, 3, v0
	s_cbranch_vccnz .LBB233_165
; %bb.160:
	v_cmp_lt_i16_e32 vcc_lo, 3, v0
	s_cbranch_vccz .LBB233_162
; %bb.161:
	v_trunc_f32_e32 v1, v3
	s_mov_b32 s3, 0
	s_delay_alu instid0(VALU_DEP_1) | instskip(SKIP_1) | instid1(VALU_DEP_2)
	v_mul_f32_e64 v2, 0x2f800000, |v1|
	v_ashrrev_i32_e32 v10, 31, v1
	v_floor_f32_e32 v2, v2
	s_delay_alu instid0(VALU_DEP_1) | instskip(SKIP_1) | instid1(VALU_DEP_2)
	v_fma_f32 v4, 0xcf800000, v2, |v1|
	v_cvt_u32_f32_e32 v2, v2
	v_cvt_u32_f32_e32 v1, v4
	s_delay_alu instid0(VALU_DEP_2) | instskip(NEXT) | instid1(VALU_DEP_2)
	v_xor_b32_e32 v2, v2, v10
	v_xor_b32_e32 v1, v1, v10
	s_delay_alu instid0(VALU_DEP_1) | instskip(NEXT) | instid1(VALU_DEP_3)
	v_sub_co_u32 v1, vcc_lo, v1, v10
	v_sub_co_ci_u32_e32 v2, vcc_lo, v2, v10, vcc_lo
	global_store_b64 v[5:6], v[1:2], off
.LBB233_162:
	s_and_not1_b32 vcc_lo, exec_lo, s3
	s_cbranch_vccnz .LBB233_164
; %bb.163:
	v_cvt_i32_f32_e32 v1, v3
	global_store_b32 v[5:6], v1, off
.LBB233_164:
	s_mov_b32 s3, 0
.LBB233_165:
	s_delay_alu instid0(SALU_CYCLE_1)
	s_and_not1_b32 vcc_lo, exec_lo, s3
	s_cbranch_vccnz .LBB233_167
; %bb.166:
	v_cvt_i32_f32_e32 v1, v3
	global_store_b16 v[5:6], v1, off
.LBB233_167:
	s_mov_b32 s3, 0
.LBB233_168:
	s_delay_alu instid0(SALU_CYCLE_1)
	s_and_not1_b32 vcc_lo, exec_lo, s3
	s_cbranch_vccnz .LBB233_173
; %bb.169:
	v_cmp_lt_i16_e32 vcc_lo, 0, v0
	s_mov_b32 s3, -1
	s_cbranch_vccz .LBB233_171
; %bb.170:
	v_cvt_i32_f32_e32 v0, v3
	s_mov_b32 s3, 0
	global_store_b8 v[5:6], v0, off
.LBB233_171:
	s_and_not1_b32 vcc_lo, exec_lo, s3
	s_cbranch_vccnz .LBB233_173
; %bb.172:
	v_trunc_f32_e32 v0, v3
	s_delay_alu instid0(VALU_DEP_1) | instskip(NEXT) | instid1(VALU_DEP_1)
	v_mul_f32_e64 v1, 0x2f800000, |v0|
	v_floor_f32_e32 v1, v1
	s_delay_alu instid0(VALU_DEP_1) | instskip(SKIP_1) | instid1(VALU_DEP_2)
	v_fma_f32 v1, 0xcf800000, v1, |v0|
	v_ashrrev_i32_e32 v0, 31, v0
	v_cvt_u32_f32_e32 v1, v1
	s_delay_alu instid0(VALU_DEP_1) | instskip(NEXT) | instid1(VALU_DEP_1)
	v_xor_b32_e32 v1, v1, v0
	v_sub_nc_u32_e32 v0, v1, v0
	global_store_b8 v[5:6], v0, off
.LBB233_173:
.LBB233_174:
	v_add_nc_u32_e32 v9, 0x80, v9
	s_mov_b32 s3, -1
	s_branch .LBB233_297
.LBB233_175:
	s_mov_b32 s22, -1
.LBB233_176:
	s_mov_b32 s2, 0
                                        ; implicit-def: $vgpr1
.LBB233_177:
	s_and_b32 vcc_lo, exec_lo, s3
	s_cbranch_vccz .LBB233_184
; %bb.178:
	v_cmp_eq_u16_e32 vcc_lo, 44, v8
	s_cbranch_vccz .LBB233_182
; %bb.179:
	global_load_u8 v0, v[3:4], off
	s_mov_b32 s22, 0
	s_mov_b32 s2, -1
	s_waitcnt vmcnt(0)
	v_lshlrev_b32_e32 v1, 23, v0
	v_cmp_ne_u32_e32 vcc_lo, 0xff, v0
	s_delay_alu instid0(VALU_DEP_2) | instskip(SKIP_1) | instid1(VALU_DEP_2)
	v_cndmask_b32_e32 v1, 0x7f800001, v1, vcc_lo
	v_cmp_ne_u32_e32 vcc_lo, 0, v0
	v_cndmask_b32_e32 v0, 0x400000, v1, vcc_lo
	s_branch .LBB233_183
.LBB233_180:
	s_or_saveexec_b32 s34, s34
                                        ; implicit-def: $sgpr35
	s_delay_alu instid0(SALU_CYCLE_1)
	s_xor_b32 exec_lo, exec_lo, s34
	s_cbranch_execz .LBB233_86
.LBB233_181:
	v_add_f32_e64 v2, 0x46000000, |v3|
	s_and_not1_b32 s23, s23, exec_lo
	s_mov_b32 s35, 0
	s_delay_alu instid0(VALU_DEP_1) | instskip(NEXT) | instid1(VALU_DEP_1)
	v_and_b32_e32 v2, 0xff, v2
	v_cmp_ne_u32_e32 vcc_lo, 0, v2
	s_and_b32 s38, vcc_lo, exec_lo
	s_delay_alu instid0(SALU_CYCLE_1)
	s_or_b32 s23, s23, s38
	s_or_b32 exec_lo, exec_lo, s34
	v_mov_b32_e32 v4, s35
	s_and_saveexec_b32 s34, s23
	s_cbranch_execnz .LBB233_87
	s_branch .LBB233_88
.LBB233_182:
	s_mov_b32 s22, -1
                                        ; implicit-def: $vgpr0
.LBB233_183:
	s_delay_alu instid0(SALU_CYCLE_1)
	v_mov_b32_e32 v1, s22
.LBB233_184:
	s_mov_b32 s3, 0
.LBB233_185:
	s_delay_alu instid0(SALU_CYCLE_1)
	s_and_b32 vcc_lo, exec_lo, s3
	s_cbranch_vccz .LBB233_190
; %bb.186:
	v_cmp_eq_u16_e32 vcc_lo, 29, v8
	s_cbranch_vccz .LBB233_188
; %bb.187:
	global_load_b64 v[0:1], v[3:4], off
	s_mov_b32 s2, -1
	s_mov_b32 s22, 0
	s_mov_b32 s3, 0
	s_waitcnt vmcnt(0)
	v_clz_i32_u32_e32 v5, v1
	s_delay_alu instid0(VALU_DEP_1) | instskip(NEXT) | instid1(VALU_DEP_1)
	v_min_u32_e32 v5, 32, v5
	v_lshlrev_b64 v[0:1], v5, v[0:1]
	s_delay_alu instid0(VALU_DEP_1) | instskip(NEXT) | instid1(VALU_DEP_1)
	v_min_u32_e32 v0, 1, v0
	v_or_b32_e32 v0, v1, v0
	v_sub_nc_u32_e32 v1, 32, v5
	s_delay_alu instid0(VALU_DEP_2) | instskip(NEXT) | instid1(VALU_DEP_1)
	v_cvt_f32_u32_e32 v0, v0
	v_ldexp_f32 v0, v0, v1
	s_branch .LBB233_189
.LBB233_188:
	s_mov_b32 s22, -1
                                        ; implicit-def: $sgpr3
                                        ; implicit-def: $vgpr0
.LBB233_189:
	v_mov_b32_e32 v1, s3
.LBB233_190:
	s_mov_b32 s3, 0
.LBB233_191:
	s_delay_alu instid0(SALU_CYCLE_1)
	s_and_b32 vcc_lo, exec_lo, s3
	s_cbranch_vccz .LBB233_211
; %bb.192:
	v_cmp_gt_i16_e32 vcc_lo, 27, v8
	s_cbranch_vccnz .LBB233_195
; %bb.193:
	v_cmp_lt_i16_e32 vcc_lo, 27, v8
	s_cbranch_vccz .LBB233_196
; %bb.194:
	global_load_b32 v0, v[3:4], off
	s_mov_b32 s3, 0
	s_mov_b32 s2, 0
	s_waitcnt vmcnt(0)
	v_cvt_f32_u32_e32 v0, v0
	s_branch .LBB233_197
.LBB233_195:
	s_mov_b32 s3, -1
                                        ; implicit-def: $sgpr2
                                        ; implicit-def: $vgpr0
	s_branch .LBB233_200
.LBB233_196:
	s_mov_b32 s3, -1
                                        ; implicit-def: $sgpr2
                                        ; implicit-def: $vgpr0
.LBB233_197:
	s_delay_alu instid0(SALU_CYCLE_1)
	s_and_not1_b32 vcc_lo, exec_lo, s3
	s_cbranch_vccnz .LBB233_199
; %bb.198:
	global_load_u16 v0, v[3:4], off
	s_mov_b32 s2, 0
	s_waitcnt vmcnt(0)
	v_cvt_f32_u32_e32 v0, v0
.LBB233_199:
	s_mov_b32 s3, 0
.LBB233_200:
	v_mov_b32_e32 v1, s2
	s_and_not1_b32 vcc_lo, exec_lo, s3
	s_cbranch_vccnz .LBB233_210
; %bb.201:
	global_load_u8 v5, v[3:4], off
	s_mov_b32 s2, 0
	s_mov_b32 s34, exec_lo
                                        ; implicit-def: $sgpr23
                                        ; implicit-def: $sgpr3
	s_waitcnt vmcnt(0)
	v_cmpx_lt_i16_e32 0x7f, v5
	s_xor_b32 s34, exec_lo, s34
	s_cbranch_execz .LBB233_205
; %bb.202:
	s_mov_b32 s2, -1
	s_mov_b32 s35, exec_lo
                                        ; implicit-def: $sgpr23
                                        ; implicit-def: $sgpr3
	v_cmpx_eq_u16_e32 0x80, v5
; %bb.203:
	s_mov_b32 s3, 0x7f800001
	s_mov_b32 s23, 0
	s_xor_b32 s2, exec_lo, -1
; %bb.204:
	s_or_b32 exec_lo, exec_lo, s35
	s_delay_alu instid0(SALU_CYCLE_1)
	s_and_b32 s2, s2, exec_lo
.LBB233_205:
	s_or_saveexec_b32 s34, s34
	v_dual_mov_b32 v1, s23 :: v_dual_mov_b32 v0, s3
	s_xor_b32 exec_lo, exec_lo, s34
; %bb.206:
	v_mov_b32_e32 v1, 0
	v_cmp_ne_u16_e32 vcc_lo, 0, v5
	s_and_not1_b32 s2, s2, exec_lo
	s_delay_alu instid0(VALU_DEP_2) | instskip(SKIP_1) | instid1(SALU_CYCLE_1)
	v_mov_b32_e32 v0, v1
	s_and_b32 s3, vcc_lo, exec_lo
	s_or_b32 s2, s2, s3
; %bb.207:
	s_or_b32 exec_lo, exec_lo, s34
	s_and_saveexec_b32 s3, s2
	s_cbranch_execz .LBB233_209
; %bb.208:
	v_and_b32_e32 v0, 0xffff, v5
	v_lshlrev_b32_e32 v5, 24, v5
	s_delay_alu instid0(VALU_DEP_2) | instskip(NEXT) | instid1(VALU_DEP_2)
	v_and_b32_e32 v1, 7, v0
	v_and_b32_e32 v5, 0x80000000, v5
	s_delay_alu instid0(VALU_DEP_2) | instskip(NEXT) | instid1(VALU_DEP_1)
	v_clz_i32_u32_e32 v6, v1
	v_min_u32_e32 v6, 32, v6
	s_delay_alu instid0(VALU_DEP_1) | instskip(SKIP_1) | instid1(VALU_DEP_2)
	v_subrev_nc_u32_e32 v10, 28, v6
	v_sub_nc_u32_e32 v6, 29, v6
	v_lshlrev_b32_e32 v10, v10, v0
	v_bfe_u32 v0, v0, 3, 4
	s_delay_alu instid0(VALU_DEP_2) | instskip(NEXT) | instid1(VALU_DEP_2)
	v_and_b32_e32 v10, 7, v10
	v_cmp_eq_u32_e32 vcc_lo, 0, v0
	v_cndmask_b32_e32 v0, v0, v6, vcc_lo
	s_delay_alu instid0(VALU_DEP_3) | instskip(NEXT) | instid1(VALU_DEP_2)
	v_cndmask_b32_e32 v1, v1, v10, vcc_lo
	v_lshl_add_u32 v0, v0, 23, 0x3b800000
	s_delay_alu instid0(VALU_DEP_2) | instskip(NEXT) | instid1(VALU_DEP_1)
	v_lshlrev_b32_e32 v1, 20, v1
	v_or3_b32 v0, v5, v0, v1
	v_mov_b32_e32 v1, 0
.LBB233_209:
	s_or_b32 exec_lo, exec_lo, s3
.LBB233_210:
	s_mov_b32 s2, -1
.LBB233_211:
	s_branch .LBB233_245
.LBB233_212:
	v_cmp_lt_i16_e32 vcc_lo, 22, v8
	s_cbranch_vccz .LBB233_224
; %bb.213:
	v_cmp_gt_i16_e32 vcc_lo, 24, v8
	s_cbranch_vccnz .LBB233_225
; %bb.214:
	v_cmp_lt_i16_e32 vcc_lo, 24, v8
	s_cbranch_vccz .LBB233_226
; %bb.215:
	global_load_u8 v5, v[3:4], off
	s_mov_b32 s2, 0
	s_mov_b32 s34, exec_lo
                                        ; implicit-def: $sgpr23
                                        ; implicit-def: $sgpr3
	s_waitcnt vmcnt(0)
	v_cmpx_lt_i16_e32 0x7f, v5
	s_xor_b32 s34, exec_lo, s34
	s_cbranch_execz .LBB233_219
; %bb.216:
	s_mov_b32 s2, -1
	s_mov_b32 s35, exec_lo
                                        ; implicit-def: $sgpr23
                                        ; implicit-def: $sgpr3
	v_cmpx_eq_u16_e32 0x80, v5
; %bb.217:
	s_mov_b32 s3, 0x7f800001
	s_mov_b32 s23, 0
	s_xor_b32 s2, exec_lo, -1
; %bb.218:
	s_or_b32 exec_lo, exec_lo, s35
	s_delay_alu instid0(SALU_CYCLE_1)
	s_and_b32 s2, s2, exec_lo
.LBB233_219:
	s_or_saveexec_b32 s34, s34
	v_dual_mov_b32 v1, s23 :: v_dual_mov_b32 v0, s3
	s_xor_b32 exec_lo, exec_lo, s34
; %bb.220:
	v_mov_b32_e32 v1, 0
	v_cmp_ne_u16_e32 vcc_lo, 0, v5
	s_and_not1_b32 s2, s2, exec_lo
	s_delay_alu instid0(VALU_DEP_2) | instskip(SKIP_1) | instid1(SALU_CYCLE_1)
	v_mov_b32_e32 v0, v1
	s_and_b32 s3, vcc_lo, exec_lo
	s_or_b32 s2, s2, s3
; %bb.221:
	s_or_b32 exec_lo, exec_lo, s34
	s_and_saveexec_b32 s3, s2
	s_cbranch_execz .LBB233_223
; %bb.222:
	v_and_b32_e32 v0, 0xffff, v5
	v_lshlrev_b32_e32 v5, 24, v5
	s_delay_alu instid0(VALU_DEP_2) | instskip(NEXT) | instid1(VALU_DEP_2)
	v_and_b32_e32 v1, 3, v0
	v_and_b32_e32 v5, 0x80000000, v5
	s_delay_alu instid0(VALU_DEP_2) | instskip(NEXT) | instid1(VALU_DEP_1)
	v_clz_i32_u32_e32 v6, v1
	v_min_u32_e32 v6, 32, v6
	s_delay_alu instid0(VALU_DEP_1) | instskip(SKIP_1) | instid1(VALU_DEP_2)
	v_subrev_nc_u32_e32 v10, 29, v6
	v_sub_nc_u32_e32 v6, 30, v6
	v_lshlrev_b32_e32 v10, v10, v0
	v_bfe_u32 v0, v0, 2, 5
	s_delay_alu instid0(VALU_DEP_2) | instskip(NEXT) | instid1(VALU_DEP_2)
	v_and_b32_e32 v10, 3, v10
	v_cmp_eq_u32_e32 vcc_lo, 0, v0
	v_cndmask_b32_e32 v0, v0, v6, vcc_lo
	s_delay_alu instid0(VALU_DEP_3) | instskip(NEXT) | instid1(VALU_DEP_2)
	v_cndmask_b32_e32 v1, v1, v10, vcc_lo
	v_lshl_add_u32 v0, v0, 23, 0x37800000
	s_delay_alu instid0(VALU_DEP_2) | instskip(NEXT) | instid1(VALU_DEP_1)
	v_lshlrev_b32_e32 v1, 21, v1
	v_or3_b32 v0, v5, v0, v1
	v_mov_b32_e32 v1, 0
.LBB233_223:
	s_or_b32 exec_lo, exec_lo, s3
	s_mov_b32 s2, 0
	s_branch .LBB233_227
.LBB233_224:
	s_mov_b32 s3, -1
                                        ; implicit-def: $vgpr1
	s_branch .LBB233_233
.LBB233_225:
	s_mov_b32 s2, -1
                                        ; implicit-def: $vgpr1
	s_branch .LBB233_230
.LBB233_226:
	s_mov_b32 s2, -1
                                        ; implicit-def: $vgpr1
.LBB233_227:
	s_delay_alu instid0(SALU_CYCLE_1)
	s_and_b32 vcc_lo, exec_lo, s2
	s_cbranch_vccz .LBB233_229
; %bb.228:
	global_load_u8 v0, v[3:4], off
	s_waitcnt vmcnt(0)
	v_lshlrev_b32_e32 v0, 24, v0
	s_delay_alu instid0(VALU_DEP_1) | instskip(NEXT) | instid1(VALU_DEP_1)
	v_and_b32_e32 v1, 0x7f000000, v0
	v_clz_i32_u32_e32 v5, v1
	v_add_nc_u32_e32 v10, 0x1000000, v1
	v_cmp_ne_u32_e32 vcc_lo, 0, v1
	s_delay_alu instid0(VALU_DEP_3) | instskip(NEXT) | instid1(VALU_DEP_1)
	v_min_u32_e32 v5, 32, v5
	v_sub_nc_u32_e64 v5, v5, 4 clamp
	s_delay_alu instid0(VALU_DEP_1) | instskip(SKIP_1) | instid1(VALU_DEP_2)
	v_lshlrev_b32_e32 v6, v5, v1
	v_lshlrev_b32_e32 v5, 23, v5
	v_lshrrev_b32_e32 v6, 4, v6
	s_delay_alu instid0(VALU_DEP_1) | instskip(SKIP_1) | instid1(VALU_DEP_2)
	v_sub_nc_u32_e32 v5, v6, v5
	v_ashrrev_i32_e32 v6, 8, v10
	v_add_nc_u32_e32 v5, 0x3c000000, v5
	s_delay_alu instid0(VALU_DEP_1) | instskip(NEXT) | instid1(VALU_DEP_1)
	v_and_or_b32 v5, 0x7f800000, v6, v5
	v_cndmask_b32_e32 v1, 0, v5, vcc_lo
	s_delay_alu instid0(VALU_DEP_1)
	v_and_or_b32 v0, 0x80000000, v0, v1
	v_mov_b32_e32 v1, 0
.LBB233_229:
	s_mov_b32 s2, 0
.LBB233_230:
	s_delay_alu instid0(SALU_CYCLE_1)
	s_and_not1_b32 vcc_lo, exec_lo, s2
	s_cbranch_vccnz .LBB233_232
; %bb.231:
	global_load_u8 v0, v[3:4], off
	s_waitcnt vmcnt(0)
	v_lshlrev_b32_e32 v1, 25, v0
	v_lshlrev_b16 v0, 8, v0
	s_delay_alu instid0(VALU_DEP_1) | instskip(SKIP_1) | instid1(VALU_DEP_2)
	v_and_or_b32 v6, 0x7f00, v0, 0.5
	v_bfe_i32 v0, v0, 0, 16
	v_add_f32_e32 v6, -0.5, v6
	v_lshrrev_b32_e32 v5, 4, v1
	v_cmp_gt_u32_e32 vcc_lo, 0x8000000, v1
	s_delay_alu instid0(VALU_DEP_2) | instskip(NEXT) | instid1(VALU_DEP_1)
	v_or_b32_e32 v5, 0x70000000, v5
	v_mul_f32_e32 v5, 0x7800000, v5
	s_delay_alu instid0(VALU_DEP_1) | instskip(NEXT) | instid1(VALU_DEP_1)
	v_cndmask_b32_e32 v1, v5, v6, vcc_lo
	v_and_or_b32 v0, 0x80000000, v0, v1
	v_mov_b32_e32 v1, 0
.LBB233_232:
	s_mov_b32 s3, 0
	s_mov_b32 s2, -1
.LBB233_233:
	s_and_not1_b32 vcc_lo, exec_lo, s3
	s_cbranch_vccnz .LBB233_245
; %bb.234:
	v_cmp_lt_i16_e32 vcc_lo, 14, v8
	s_cbranch_vccz .LBB233_237
; %bb.235:
	v_cmp_eq_u16_e32 vcc_lo, 15, v8
	s_cbranch_vccz .LBB233_238
; %bb.236:
	global_load_u16 v0, v[3:4], off
	s_mov_b32 s2, -1
	s_mov_b32 s22, 0
	s_mov_b32 s3, 0
	s_waitcnt vmcnt(0)
	v_lshlrev_b32_e32 v0, 16, v0
	s_branch .LBB233_239
.LBB233_237:
	s_mov_b32 s23, -1
                                        ; implicit-def: $sgpr3
                                        ; implicit-def: $vgpr0
	s_branch .LBB233_240
.LBB233_238:
	s_mov_b32 s22, -1
                                        ; implicit-def: $sgpr3
                                        ; implicit-def: $vgpr0
.LBB233_239:
	s_mov_b32 s23, 0
.LBB233_240:
	s_delay_alu instid0(SALU_CYCLE_1)
	s_and_b32 vcc_lo, exec_lo, s23
	s_cbranch_vccz .LBB233_244
; %bb.241:
	v_cmp_eq_u16_e32 vcc_lo, 11, v8
	s_cbranch_vccz .LBB233_243
; %bb.242:
	global_load_u8 v0, v[3:4], off
	s_mov_b32 s3, 0
	s_mov_b32 s2, -1
	s_mov_b32 s22, 0
	s_waitcnt vmcnt(0)
	v_cmp_ne_u16_e32 vcc_lo, 0, v0
	v_cndmask_b32_e64 v0, 0, 1.0, vcc_lo
	s_branch .LBB233_244
.LBB233_243:
	s_mov_b32 s22, -1
                                        ; implicit-def: $sgpr3
                                        ; implicit-def: $vgpr0
.LBB233_244:
	v_mov_b32_e32 v1, s3
.LBB233_245:
	s_branch .LBB233_23
.LBB233_246:
	v_cmp_gt_i16_e32 vcc_lo, 5, v8
	s_cbranch_vccnz .LBB233_251
; %bb.247:
	v_cmp_gt_i16_e32 vcc_lo, 8, v8
	s_cbranch_vccnz .LBB233_252
; %bb.248:
	;; [unrolled: 3-line block ×3, first 2 shown]
	v_cmp_lt_i16_e32 vcc_lo, 9, v8
	s_cbranch_vccz .LBB233_254
; %bb.250:
	global_load_b128 v[10:13], v[3:4], off
	s_mov_b32 s2, 0
	s_waitcnt vmcnt(0)
	v_cvt_f32_f64_e32 v0, v[10:11]
	v_cvt_f32_f64_e32 v1, v[12:13]
	s_branch .LBB233_255
.LBB233_251:
                                        ; implicit-def: $vgpr1
	s_branch .LBB233_274
.LBB233_252:
	s_mov_b32 s2, -1
                                        ; implicit-def: $vgpr1
	s_branch .LBB233_261
.LBB233_253:
	s_mov_b32 s2, -1
                                        ; implicit-def: $vgpr1
	s_branch .LBB233_258
.LBB233_254:
	s_mov_b32 s2, -1
                                        ; implicit-def: $vgpr1
.LBB233_255:
	s_delay_alu instid0(SALU_CYCLE_1)
	s_and_not1_b32 vcc_lo, exec_lo, s2
	s_cbranch_vccnz .LBB233_257
; %bb.256:
	global_load_b64 v[0:1], v[3:4], off
.LBB233_257:
	s_mov_b32 s2, 0
.LBB233_258:
	s_delay_alu instid0(SALU_CYCLE_1)
	s_and_not1_b32 vcc_lo, exec_lo, s2
	s_cbranch_vccnz .LBB233_260
; %bb.259:
	global_load_b32 v0, v[3:4], off
	s_waitcnt vmcnt(0)
	v_lshrrev_b32_e32 v1, 16, v0
	v_cvt_f32_f16_e32 v0, v0
	s_delay_alu instid0(VALU_DEP_2)
	v_cvt_f32_f16_e32 v1, v1
.LBB233_260:
	s_mov_b32 s2, 0
.LBB233_261:
	s_delay_alu instid0(SALU_CYCLE_1)
	s_and_not1_b32 vcc_lo, exec_lo, s2
	s_cbranch_vccnz .LBB233_273
; %bb.262:
	v_cmp_gt_i16_e32 vcc_lo, 6, v8
	s_cbranch_vccnz .LBB233_265
; %bb.263:
	v_cmp_lt_i16_e32 vcc_lo, 6, v8
	s_cbranch_vccz .LBB233_266
; %bb.264:
	global_load_b64 v[0:1], v[3:4], off
	s_mov_b32 s3, 0
	s_mov_b32 s2, 0
	s_waitcnt vmcnt(0)
	v_cvt_f32_f64_e32 v0, v[0:1]
	s_branch .LBB233_267
.LBB233_265:
	s_mov_b32 s3, -1
                                        ; implicit-def: $sgpr2
                                        ; implicit-def: $vgpr0
	s_branch .LBB233_270
.LBB233_266:
	s_mov_b32 s3, -1
                                        ; implicit-def: $sgpr2
                                        ; implicit-def: $vgpr0
.LBB233_267:
	s_delay_alu instid0(SALU_CYCLE_1)
	s_and_not1_b32 vcc_lo, exec_lo, s3
	s_cbranch_vccnz .LBB233_269
; %bb.268:
	global_load_b32 v0, v[3:4], off
	s_mov_b32 s2, 0
.LBB233_269:
	s_mov_b32 s3, 0
.LBB233_270:
	s_delay_alu instid0(SALU_CYCLE_1)
	s_and_not1_b32 vcc_lo, exec_lo, s3
	s_cbranch_vccnz .LBB233_272
; %bb.271:
	global_load_u16 v0, v[3:4], off
	s_mov_b32 s2, 0
	s_waitcnt vmcnt(0)
	v_cvt_f32_f16_e32 v0, v0
.LBB233_272:
	s_waitcnt vmcnt(0)
	v_mov_b32_e32 v1, s2
.LBB233_273:
	s_cbranch_execnz .LBB233_294
.LBB233_274:
	v_cmp_gt_i16_e32 vcc_lo, 2, v8
	s_cbranch_vccnz .LBB233_278
; %bb.275:
	v_cmp_gt_i16_e32 vcc_lo, 3, v8
	s_cbranch_vccnz .LBB233_279
; %bb.276:
	v_cmp_lt_i16_e32 vcc_lo, 3, v8
	s_cbranch_vccz .LBB233_280
; %bb.277:
	global_load_b64 v[0:1], v[3:4], off
	s_mov_b32 s3, 0
	s_mov_b32 s2, 0
	s_waitcnt vmcnt(0)
	v_xor_b32_e32 v5, v0, v1
	v_cls_i32_e32 v6, v1
	s_delay_alu instid0(VALU_DEP_2) | instskip(NEXT) | instid1(VALU_DEP_2)
	v_ashrrev_i32_e32 v5, 31, v5
	v_add_nc_u32_e32 v6, -1, v6
	s_delay_alu instid0(VALU_DEP_2) | instskip(NEXT) | instid1(VALU_DEP_1)
	v_add_nc_u32_e32 v5, 32, v5
	v_min_u32_e32 v5, v6, v5
	s_delay_alu instid0(VALU_DEP_1) | instskip(NEXT) | instid1(VALU_DEP_1)
	v_lshlrev_b64 v[0:1], v5, v[0:1]
	v_min_u32_e32 v0, 1, v0
	s_delay_alu instid0(VALU_DEP_1) | instskip(SKIP_1) | instid1(VALU_DEP_2)
	v_or_b32_e32 v0, v1, v0
	v_sub_nc_u32_e32 v1, 32, v5
	v_cvt_f32_i32_e32 v0, v0
	s_delay_alu instid0(VALU_DEP_1)
	v_ldexp_f32 v0, v0, v1
	s_branch .LBB233_281
.LBB233_278:
	s_mov_b32 s3, -1
                                        ; implicit-def: $sgpr2
                                        ; implicit-def: $vgpr0
	s_branch .LBB233_287
.LBB233_279:
	s_mov_b32 s3, -1
                                        ; implicit-def: $sgpr2
                                        ; implicit-def: $vgpr0
	s_branch .LBB233_284
.LBB233_280:
	s_mov_b32 s3, -1
                                        ; implicit-def: $sgpr2
                                        ; implicit-def: $vgpr0
.LBB233_281:
	s_delay_alu instid0(SALU_CYCLE_1)
	s_and_not1_b32 vcc_lo, exec_lo, s3
	s_cbranch_vccnz .LBB233_283
; %bb.282:
	global_load_b32 v0, v[3:4], off
	s_mov_b32 s2, 0
	s_waitcnt vmcnt(0)
	v_cvt_f32_i32_e32 v0, v0
.LBB233_283:
	s_mov_b32 s3, 0
.LBB233_284:
	s_delay_alu instid0(SALU_CYCLE_1)
	s_and_not1_b32 vcc_lo, exec_lo, s3
	s_cbranch_vccnz .LBB233_286
; %bb.285:
	global_load_i16 v0, v[3:4], off
	s_mov_b32 s2, 0
	s_waitcnt vmcnt(0)
	v_cvt_f32_i32_e32 v0, v0
.LBB233_286:
	s_mov_b32 s3, 0
.LBB233_287:
	s_delay_alu instid0(SALU_CYCLE_1)
	s_and_not1_b32 vcc_lo, exec_lo, s3
	s_cbranch_vccnz .LBB233_293
; %bb.288:
	v_cmp_lt_i16_e32 vcc_lo, 0, v8
	s_mov_b32 s3, 0
	s_cbranch_vccz .LBB233_290
; %bb.289:
	global_load_i8 v0, v[3:4], off
	s_mov_b32 s2, 0
	s_waitcnt vmcnt(0)
	v_cvt_f32_i32_e32 v0, v0
	s_branch .LBB233_291
.LBB233_290:
	s_mov_b32 s3, -1
                                        ; implicit-def: $sgpr2
                                        ; implicit-def: $vgpr0
.LBB233_291:
	s_delay_alu instid0(SALU_CYCLE_1)
	s_and_not1_b32 vcc_lo, exec_lo, s3
	s_cbranch_vccnz .LBB233_293
; %bb.292:
	global_load_u8 v0, v[3:4], off
	s_mov_b32 s2, 0
	s_waitcnt vmcnt(0)
	v_cvt_f32_ubyte0_e32 v0, v0
.LBB233_293:
	s_waitcnt vmcnt(0)
	v_mov_b32_e32 v1, s2
.LBB233_294:
	s_branch .LBB233_24
.LBB233_295:
	s_mov_b32 s2, 0
.LBB233_296:
	s_mov_b32 s3, 0
                                        ; implicit-def: $vgpr9
.LBB233_297:
	s_and_b32 s34, s2, exec_lo
	s_and_b32 s35, s22, exec_lo
	s_or_not1_b32 s3, s3, exec_lo
.LBB233_298:
	s_or_b32 exec_lo, exec_lo, s36
	s_mov_b32 s22, 0
	s_mov_b32 s2, 0
                                        ; implicit-def: $vgpr3_vgpr4
                                        ; implicit-def: $vgpr2
                                        ; implicit-def: $vgpr1
	s_and_saveexec_b32 s36, s3
	s_cbranch_execz .LBB233_1014
; %bb.299:
	s_mov_b32 s2, -1
	s_mov_b32 s37, s35
	s_mov_b32 s38, s34
	s_mov_b32 s39, exec_lo
	v_cmpx_gt_i32_e64 s30, v9
	s_cbranch_execz .LBB233_603
; %bb.300:
	s_and_not1_b32 vcc_lo, exec_lo, s27
	s_cbranch_vccnz .LBB233_305
; %bb.301:
	v_mov_b32_e32 v2, 0
	s_waitcnt vmcnt(0)
	v_mov_b32_e32 v0, 0
	s_and_not1_b32 vcc_lo, exec_lo, s33
	s_mov_b32 s37, 0
	s_cbranch_vccnz .LBB233_310
; %bb.302:
	v_mov_b32_e32 v2, 0
	s_add_i32 s40, s31, 1
	s_cmp_eq_u32 s25, 2
	s_mov_b32 s38, 0
	s_cbranch_scc1 .LBB233_306
; %bb.303:
	v_dual_mov_b32 v0, 0 :: v_dual_mov_b32 v1, v9
	v_mov_b32_e32 v2, 0
	s_and_b32 s38, s40, 28
	s_mov_b32 s41, 0
	s_mov_b64 s[2:3], s[20:21]
	s_mov_b64 s[22:23], s[16:17]
.LBB233_304:                            ; =>This Inner Loop Header: Depth=1
	s_clause 0x1
	s_load_b256 s[44:51], s[22:23], 0x4
	s_load_b128 s[60:63], s[22:23], 0x24
	s_load_b256 s[52:59], s[2:3], 0x0
	s_add_u32 s22, s22, 48
	s_addc_u32 s23, s23, 0
	s_add_i32 s41, s41, 4
	s_add_u32 s2, s2, 32
	s_addc_u32 s3, s3, 0
	s_cmp_eq_u32 s38, s41
	s_waitcnt lgkmcnt(0)
	v_mul_hi_u32 v3, s45, v1
	s_delay_alu instid0(VALU_DEP_1) | instskip(NEXT) | instid1(VALU_DEP_1)
	v_add_nc_u32_e32 v3, v1, v3
	v_lshrrev_b32_e32 v3, s46, v3
	s_delay_alu instid0(VALU_DEP_1) | instskip(SKIP_1) | instid1(VALU_DEP_2)
	v_mul_hi_u32 v4, s48, v3
	v_mul_lo_u32 v6, v3, s44
	v_add_nc_u32_e32 v4, v3, v4
	s_delay_alu instid0(VALU_DEP_2) | instskip(NEXT) | instid1(VALU_DEP_2)
	v_sub_nc_u32_e32 v1, v1, v6
	v_lshrrev_b32_e32 v4, s49, v4
	s_delay_alu instid0(VALU_DEP_2) | instskip(SKIP_1) | instid1(VALU_DEP_3)
	v_mul_lo_u32 v6, v1, s52
	v_mul_lo_u32 v11, v1, s53
	v_mul_hi_u32 v5, s51, v4
	s_delay_alu instid0(VALU_DEP_1) | instskip(NEXT) | instid1(VALU_DEP_1)
	v_add_nc_u32_e32 v5, v4, v5
	v_lshrrev_b32_e32 v5, s60, v5
	s_delay_alu instid0(VALU_DEP_1) | instskip(SKIP_1) | instid1(VALU_DEP_2)
	v_mul_hi_u32 v10, s62, v5
	v_mul_lo_u32 v12, v5, s50
	v_add_nc_u32_e32 v1, v5, v10
	v_mul_lo_u32 v10, v4, s47
	s_delay_alu instid0(VALU_DEP_3) | instskip(NEXT) | instid1(VALU_DEP_3)
	v_sub_nc_u32_e32 v4, v4, v12
	v_lshrrev_b32_e32 v1, s63, v1
	s_delay_alu instid0(VALU_DEP_2) | instskip(SKIP_2) | instid1(VALU_DEP_4)
	v_mul_lo_u32 v12, v4, s56
	v_mul_lo_u32 v4, v4, s57
	v_sub_nc_u32_e32 v3, v3, v10
	v_mul_lo_u32 v13, v1, s61
	s_delay_alu instid0(VALU_DEP_2) | instskip(SKIP_1) | instid1(VALU_DEP_3)
	v_mul_lo_u32 v10, v3, s54
	v_mul_lo_u32 v3, v3, s55
	v_sub_nc_u32_e32 v5, v5, v13
	s_delay_alu instid0(VALU_DEP_3) | instskip(NEXT) | instid1(VALU_DEP_2)
	v_add3_u32 v2, v6, v2, v10
	v_mul_lo_u32 v13, v5, s58
	v_mul_lo_u32 v5, v5, s59
	v_add3_u32 v0, v11, v0, v3
	s_delay_alu instid0(VALU_DEP_3) | instskip(NEXT) | instid1(VALU_DEP_2)
	v_add3_u32 v2, v12, v2, v13
	v_add3_u32 v0, v4, v0, v5
	s_cbranch_scc0 .LBB233_304
	s_branch .LBB233_307
.LBB233_305:
	s_mov_b32 s37, -1
                                        ; implicit-def: $vgpr2
                                        ; implicit-def: $vgpr0
	s_branch .LBB233_310
.LBB233_306:
	v_dual_mov_b32 v1, v9 :: v_dual_mov_b32 v0, 0
.LBB233_307:
	s_and_b32 s40, s40, 3
	s_delay_alu instid0(SALU_CYCLE_1)
	s_cmp_eq_u32 s40, 0
	s_cbranch_scc1 .LBB233_310
; %bb.308:
	s_lshl_b32 s2, s38, 3
	s_mul_i32 s22, s38, 12
	s_add_u32 s2, s2, s16
	s_addc_u32 s3, s17, 0
	s_add_u32 s2, s2, 0xc4
	s_addc_u32 s3, s3, 0
	;; [unrolled: 2-line block ×3, first 2 shown]
	.p2align	6
.LBB233_309:                            ; =>This Inner Loop Header: Depth=1
	s_clause 0x1
	s_load_b64 s[42:43], s[22:23], 0x4
	s_load_b32 s38, s[22:23], 0xc
	s_load_b64 s[44:45], s[2:3], 0x0
	s_add_u32 s22, s22, 12
	s_addc_u32 s23, s23, 0
	s_add_u32 s2, s2, 8
	s_addc_u32 s3, s3, 0
	s_add_i32 s40, s40, -1
	s_delay_alu instid0(SALU_CYCLE_1) | instskip(SKIP_2) | instid1(VALU_DEP_1)
	s_cmp_lg_u32 s40, 0
	s_waitcnt lgkmcnt(0)
	v_mul_hi_u32 v3, s43, v1
	v_add_nc_u32_e32 v3, v1, v3
	s_delay_alu instid0(VALU_DEP_1) | instskip(NEXT) | instid1(VALU_DEP_1)
	v_lshrrev_b32_e32 v6, s38, v3
	v_mul_lo_u32 v3, v6, s42
	s_delay_alu instid0(VALU_DEP_1) | instskip(NEXT) | instid1(VALU_DEP_1)
	v_sub_nc_u32_e32 v1, v1, v3
	v_mad_u64_u32 v[3:4], null, v1, s44, v[2:3]
	v_mad_u64_u32 v[4:5], null, v1, s45, v[0:1]
	s_delay_alu instid0(VALU_DEP_2) | instskip(NEXT) | instid1(VALU_DEP_2)
	v_dual_mov_b32 v1, v6 :: v_dual_mov_b32 v2, v3
	v_mov_b32_e32 v0, v4
	s_cbranch_scc1 .LBB233_309
.LBB233_310:
	s_and_not1_b32 vcc_lo, exec_lo, s37
	s_cbranch_vccnz .LBB233_313
; %bb.311:
	s_waitcnt vmcnt(0) lgkmcnt(0)
	v_mul_hi_u32 v0, s13, v9
	s_and_not1_b32 vcc_lo, exec_lo, s29
	s_delay_alu instid0(VALU_DEP_1) | instskip(NEXT) | instid1(VALU_DEP_1)
	v_add_nc_u32_e32 v0, v9, v0
	v_lshrrev_b32_e32 v1, s14, v0
	s_delay_alu instid0(VALU_DEP_1) | instskip(NEXT) | instid1(VALU_DEP_1)
	v_mul_lo_u32 v0, v1, s12
	v_sub_nc_u32_e32 v0, v9, v0
	s_delay_alu instid0(VALU_DEP_1)
	v_mul_lo_u32 v2, v0, s8
	v_mul_lo_u32 v0, v0, s9
	s_cbranch_vccnz .LBB233_313
; %bb.312:
	v_mul_hi_u32 v3, s18, v1
	s_delay_alu instid0(VALU_DEP_1) | instskip(NEXT) | instid1(VALU_DEP_1)
	v_add_nc_u32_e32 v3, v1, v3
	v_lshrrev_b32_e32 v3, s19, v3
	s_delay_alu instid0(VALU_DEP_1) | instskip(NEXT) | instid1(VALU_DEP_1)
	v_mul_lo_u32 v3, v3, s15
	v_sub_nc_u32_e32 v5, v1, v3
	s_delay_alu instid0(VALU_DEP_1) | instskip(SKIP_1) | instid1(VALU_DEP_2)
	v_mad_u64_u32 v[3:4], null, v5, s10, v[2:3]
	v_mad_u64_u32 v[1:2], null, v5, s11, v[0:1]
	v_mov_b32_e32 v2, v3
	s_delay_alu instid0(VALU_DEP_2)
	v_mov_b32_e32 v0, v1
.LBB233_313:
	v_cmp_gt_i16_e32 vcc_lo, 11, v8
	s_waitcnt vmcnt(0) lgkmcnt(0)
	s_delay_alu instid0(VALU_DEP_2) | instskip(NEXT) | instid1(VALU_DEP_1)
	v_add_co_u32 v3, s2, s6, v0
	v_add_co_ci_u32_e64 v4, null, s7, 0, s2
	s_mov_b32 s2, 0
	s_cbranch_vccnz .LBB233_320
; %bb.314:
	v_cmp_lt_i16_e32 vcc_lo, 25, v8
	s_cbranch_vccz .LBB233_334
; %bb.315:
	v_cmp_lt_i16_e32 vcc_lo, 28, v8
	s_cbranch_vccz .LBB233_335
	;; [unrolled: 3-line block ×4, first 2 shown]
; %bb.318:
	v_cmp_eq_u16_e32 vcc_lo, 46, v8
	s_mov_b32 s3, 0
	s_cbranch_vccz .LBB233_408
; %bb.319:
	global_load_b32 v0, v[3:4], off
	s_mov_b32 s2, -1
	s_mov_b32 s22, 0
	s_waitcnt vmcnt(0)
	v_and_b32_e32 v1, 0xffff0000, v0
	v_lshlrev_b32_e32 v0, 16, v0
	s_branch .LBB233_410
.LBB233_320:
	s_mov_b32 s22, s35
                                        ; implicit-def: $vgpr1
	s_cbranch_execnz .LBB233_550
.LBB233_321:
	s_and_not1_b32 vcc_lo, exec_lo, s2
	s_cbranch_vccnz .LBB233_600
.LBB233_322:
	s_waitcnt vmcnt(0)
	s_delay_alu instid0(VALU_DEP_2) | instskip(NEXT) | instid1(VALU_DEP_2)
	v_cmp_neq_f32_e32 vcc_lo, 0, v0
	v_cmp_neq_f32_e64 s2, 0, v1
	v_mov_b32_e32 v3, 0
	s_delay_alu instid0(VALU_DEP_2) | instskip(NEXT) | instid1(SALU_CYCLE_1)
	s_or_b32 s2, vcc_lo, s2
	s_and_saveexec_b32 s23, s2
	s_cbranch_execz .LBB233_356
; %bb.323:
	v_mov_b32_e32 v3, 0x7f800000
	s_mov_b32 s37, exec_lo
	v_cmpx_neq_f32_e64 0x7f800000, |v1|
	s_cbranch_execz .LBB233_355
; %bb.324:
	s_mov_b32 s2, exec_lo
	v_cmpx_o_f32_e32 v0, v0
	s_xor_b32 s38, exec_lo, s2
	s_cbranch_execz .LBB233_352
; %bb.325:
	s_mov_b32 s3, exec_lo
	v_cmpx_neq_f32_e64 0x7f800000, |v0|
	s_xor_b32 s40, exec_lo, s3
	s_cbranch_execz .LBB233_345
; %bb.326:
	v_max_f32_e64 v3, |v1|, |v1|
	v_max_f32_e64 v4, |v0|, |v0|
                                        ; implicit-def: $sgpr41
	s_delay_alu instid0(VALU_DEP_1) | instskip(NEXT) | instid1(VALU_DEP_1)
	v_max_f32_e32 v3, v4, v3
	v_cmp_nle_f32_e64 s2, 0x7ed413cb, v3
	s_delay_alu instid0(VALU_DEP_1) | instskip(NEXT) | instid1(SALU_CYCLE_1)
	s_and_saveexec_b32 s3, s2
	s_xor_b32 s3, exec_lo, s3
	s_cbranch_execz .LBB233_330
; %bb.327:
	v_cmp_ge_f32_e64 s41, 0x1000000, |v0|
	v_cmp_ge_f32_e64 s42, 0x1000000, |v1|
	s_delay_alu instid0(VALU_DEP_1)
	s_and_b32 s43, s41, s42
	s_mov_b32 s41, 0
	s_and_saveexec_b32 s42, s43
; %bb.328:
	v_dual_mul_f32 v0, 4.0, v0 :: v_dual_mul_f32 v1, 4.0, v1
	s_mov_b32 s41, exec_lo
; %bb.329:
	s_or_b32 exec_lo, exec_lo, s42
	s_delay_alu instid0(SALU_CYCLE_1)
	s_and_b32 s41, s41, exec_lo
.LBB233_330:
	s_and_not1_saveexec_b32 s3, s3
; %bb.331:
	v_dual_mul_f32 v0, 0x3e800000, v0 :: v_dual_mul_f32 v1, 0x3e800000, v1
	s_and_not1_b32 s41, s41, exec_lo
; %bb.332:
	s_or_b32 exec_lo, exec_lo, s3
	s_delay_alu instid0(VALU_DEP_1) | instskip(NEXT) | instid1(VALU_DEP_2)
	v_max_f32_e64 v3, |v1|, |v1|
	v_max_f32_e64 v4, |v0|, |v0|
	s_delay_alu instid0(VALU_DEP_1) | instskip(NEXT) | instid1(VALU_DEP_1)
	v_max_f32_e32 v5, v4, v3
	v_cvt_f64_f32_e32 v[3:4], v5
	s_delay_alu instid0(VALU_DEP_1) | instskip(NEXT) | instid1(VALU_DEP_1)
	v_frexp_exp_i32_f64_e32 v3, v[3:4]
	v_sub_nc_u32_e32 v4, 0, v3
	s_delay_alu instid0(VALU_DEP_1) | instskip(SKIP_1) | instid1(VALU_DEP_2)
	v_ldexp_f32 v6, |v1|, v4
	v_ldexp_f32 v4, |v0|, v4
	v_mul_f32_e32 v6, v6, v6
	v_cmp_neq_f32_e64 s3, 0x7f800000, v5
	s_delay_alu instid0(VALU_DEP_2) | instskip(NEXT) | instid1(VALU_DEP_1)
	v_fmac_f32_e32 v6, v4, v4
	v_sqrt_f32_e32 v4, v6
	s_waitcnt_depctr 0xfff
	v_ldexp_f32 v3, v4, v3
                                        ; implicit-def: $vgpr4
	s_delay_alu instid0(VALU_DEP_1)
	v_cndmask_b32_e64 v5, 0x7f800000, v3, s3
                                        ; implicit-def: $vgpr3
	s_mov_b32 s3, exec_lo
	v_cmpx_le_f32_e32 0, v0
	s_xor_b32 s42, exec_lo, s3
	s_cbranch_execz .LBB233_338
; %bb.333:
	v_add_f32_e32 v0, v0, v5
	s_delay_alu instid0(VALU_DEP_1) | instskip(NEXT) | instid1(VALU_DEP_1)
	v_mul_f32_e32 v0, 0.5, v0
	v_mul_f32_e32 v3, 0x4f800000, v0
	v_cmp_gt_f32_e32 vcc_lo, 0xf800000, v0
	s_delay_alu instid0(VALU_DEP_2) | instskip(NEXT) | instid1(VALU_DEP_1)
	v_cndmask_b32_e32 v0, v0, v3, vcc_lo
	v_sqrt_f32_e32 v3, v0
	s_waitcnt_depctr 0xfff
	v_add_nc_u32_e32 v4, -1, v3
	v_add_nc_u32_e32 v5, 1, v3
	s_delay_alu instid0(VALU_DEP_2) | instskip(NEXT) | instid1(VALU_DEP_2)
	v_fma_f32 v6, -v4, v3, v0
	v_fma_f32 v10, -v5, v3, v0
	s_delay_alu instid0(VALU_DEP_2) | instskip(NEXT) | instid1(VALU_DEP_1)
	v_cmp_ge_f32_e64 s3, 0, v6
	v_cndmask_b32_e64 v3, v3, v4, s3
	s_delay_alu instid0(VALU_DEP_3) | instskip(NEXT) | instid1(VALU_DEP_1)
	v_cmp_lt_f32_e64 s3, 0, v10
	v_cndmask_b32_e64 v3, v3, v5, s3
	s_delay_alu instid0(VALU_DEP_1) | instskip(NEXT) | instid1(VALU_DEP_1)
	v_mul_f32_e32 v4, 0x37800000, v3
	v_cndmask_b32_e32 v3, v3, v4, vcc_lo
	v_cmp_class_f32_e64 vcc_lo, v0, 0x260
	s_delay_alu instid0(VALU_DEP_2) | instskip(NEXT) | instid1(VALU_DEP_1)
	v_cndmask_b32_e32 v3, v3, v0, vcc_lo
	v_add_f32_e32 v0, v3, v3
	s_delay_alu instid0(VALU_DEP_1) | instskip(NEXT) | instid1(VALU_DEP_1)
	v_div_scale_f32 v4, null, v0, v0, v1
	v_rcp_f32_e32 v5, v4
	s_waitcnt_depctr 0xfff
	v_fma_f32 v6, -v4, v5, 1.0
	s_delay_alu instid0(VALU_DEP_1) | instskip(SKIP_1) | instid1(VALU_DEP_1)
	v_fmac_f32_e32 v5, v6, v5
	v_div_scale_f32 v6, vcc_lo, v1, v0, v1
	v_mul_f32_e32 v10, v6, v5
	s_delay_alu instid0(VALU_DEP_1) | instskip(NEXT) | instid1(VALU_DEP_1)
	v_fma_f32 v11, -v4, v10, v6
	v_fmac_f32_e32 v10, v11, v5
	s_delay_alu instid0(VALU_DEP_1) | instskip(NEXT) | instid1(VALU_DEP_1)
	v_fma_f32 v4, -v4, v10, v6
	v_div_fmas_f32 v4, v4, v5, v10
                                        ; implicit-def: $vgpr5
	s_delay_alu instid0(VALU_DEP_1)
	v_div_fixup_f32 v4, v4, v0, v1
                                        ; implicit-def: $vgpr0
	s_and_not1_saveexec_b32 s42, s42
	s_cbranch_execz .LBB233_340
	s_branch .LBB233_339
.LBB233_334:
	s_mov_b32 s3, -1
	s_mov_b32 s22, s35
                                        ; implicit-def: $vgpr1
	s_branch .LBB233_515
.LBB233_335:
	s_mov_b32 s3, -1
	s_mov_b32 s22, s35
                                        ; implicit-def: $vgpr1
	s_branch .LBB233_494
.LBB233_336:
	s_mov_b32 s3, -1
	s_mov_b32 s22, s35
                                        ; implicit-def: $vgpr1
	s_branch .LBB233_488
.LBB233_337:
	s_mov_b32 s3, -1
	s_mov_b32 s22, s35
	s_branch .LBB233_409
.LBB233_338:
	s_and_not1_saveexec_b32 s42, s42
	s_cbranch_execz .LBB233_340
.LBB233_339:
	v_sub_f32_e32 v0, v5, v0
	s_delay_alu instid0(VALU_DEP_1) | instskip(NEXT) | instid1(VALU_DEP_1)
	v_mul_f32_e32 v0, 0.5, v0
	v_mul_f32_e32 v3, 0x4f800000, v0
	v_cmp_gt_f32_e32 vcc_lo, 0xf800000, v0
	s_delay_alu instid0(VALU_DEP_2) | instskip(NEXT) | instid1(VALU_DEP_1)
	v_cndmask_b32_e32 v0, v0, v3, vcc_lo
	v_sqrt_f32_e32 v3, v0
	s_waitcnt_depctr 0xfff
	v_add_nc_u32_e32 v4, -1, v3
	v_add_nc_u32_e32 v5, 1, v3
	s_delay_alu instid0(VALU_DEP_2) | instskip(NEXT) | instid1(VALU_DEP_2)
	v_fma_f32 v6, -v4, v3, v0
	v_fma_f32 v10, -v5, v3, v0
	s_delay_alu instid0(VALU_DEP_2) | instskip(NEXT) | instid1(VALU_DEP_1)
	v_cmp_ge_f32_e64 s3, 0, v6
	v_cndmask_b32_e64 v3, v3, v4, s3
	s_delay_alu instid0(VALU_DEP_3) | instskip(NEXT) | instid1(VALU_DEP_1)
	v_cmp_lt_f32_e64 s3, 0, v10
	v_cndmask_b32_e64 v3, v3, v5, s3
	s_delay_alu instid0(VALU_DEP_1) | instskip(NEXT) | instid1(VALU_DEP_1)
	v_mul_f32_e32 v4, 0x37800000, v3
	v_cndmask_b32_e32 v3, v3, v4, vcc_lo
	v_cmp_class_f32_e64 vcc_lo, v0, 0x260
	s_delay_alu instid0(VALU_DEP_2) | instskip(NEXT) | instid1(VALU_DEP_1)
	v_dual_cndmask_b32 v0, v3, v0 :: v_dual_and_b32 v3, 0x7fffffff, v1
	v_add_f32_e32 v4, v0, v0
	s_delay_alu instid0(VALU_DEP_1) | instskip(SKIP_1) | instid1(VALU_DEP_2)
	v_div_scale_f32 v5, null, v4, v4, v3
	v_div_scale_f32 v3, vcc_lo, v3, v4, v3
	v_rcp_f32_e32 v6, v5
	s_waitcnt_depctr 0xfff
	v_fma_f32 v10, -v5, v6, 1.0
	s_delay_alu instid0(VALU_DEP_1) | instskip(NEXT) | instid1(VALU_DEP_1)
	v_fmac_f32_e32 v6, v10, v6
	v_mul_f32_e32 v10, v3, v6
	s_delay_alu instid0(VALU_DEP_1) | instskip(NEXT) | instid1(VALU_DEP_1)
	v_fma_f32 v11, -v5, v10, v3
	v_fmac_f32_e32 v10, v11, v6
	s_delay_alu instid0(VALU_DEP_1) | instskip(NEXT) | instid1(VALU_DEP_1)
	v_fma_f32 v3, -v5, v10, v3
	v_div_fmas_f32 v3, v3, v6, v10
	s_delay_alu instid0(VALU_DEP_1)
	v_div_fixup_f32 v3, v3, v4, |v1|
	v_bfi_b32 v4, 0x7fffffff, v0, v1
.LBB233_340:
	s_or_b32 exec_lo, exec_lo, s42
                                        ; implicit-def: $vgpr1
	s_and_saveexec_b32 s3, s2
	s_delay_alu instid0(SALU_CYCLE_1)
	s_xor_b32 s2, exec_lo, s3
	s_cbranch_execz .LBB233_342
; %bb.341:
	v_dual_mul_f32 v0, 0.5, v3 :: v_dual_mul_f32 v1, 0.5, v4
	s_delay_alu instid0(VALU_DEP_1) | instskip(NEXT) | instid1(VALU_DEP_2)
	v_cndmask_b32_e64 v0, v3, v0, s41
	v_cndmask_b32_e64 v1, v4, v1, s41
                                        ; implicit-def: $vgpr3
                                        ; implicit-def: $vgpr4
	s_and_not1_saveexec_b32 s2, s2
	s_cbranch_execnz .LBB233_343
	s_branch .LBB233_344
.LBB233_342:
	s_and_not1_saveexec_b32 s2, s2
.LBB233_343:
	v_dual_add_f32 v0, v3, v3 :: v_dual_add_f32 v1, v4, v4
.LBB233_344:
	s_or_b32 exec_lo, exec_lo, s2
.LBB233_345:
	s_and_not1_saveexec_b32 s2, s40
	s_cbranch_execz .LBB233_351
; %bb.346:
	s_delay_alu instid0(VALU_DEP_1)
	v_sub_f32_e32 v3, v1, v1
	s_mov_b32 s3, exec_lo
	v_cmpx_lt_i32_e32 -1, v0
	s_xor_b32 s3, exec_lo, s3
; %bb.347:
	s_delay_alu instid0(VALU_DEP_2)
	v_bfi_b32 v1, 0x7fffffff, v3, v1
                                        ; implicit-def: $vgpr3
; %bb.348:
	s_and_not1_saveexec_b32 s3, s3
; %bb.349:
	v_and_b32_e32 v3, 0x7fffffff, v3
	s_delay_alu instid0(VALU_DEP_2) | instskip(NEXT) | instid1(VALU_DEP_2)
	v_bfi_b32 v1, 0x7fffffff, v0, v1
	v_mov_b32_e32 v0, v3
; %bb.350:
	s_or_b32 exec_lo, exec_lo, s3
.LBB233_351:
	s_delay_alu instid0(SALU_CYCLE_1)
	s_or_b32 exec_lo, exec_lo, s2
.LBB233_352:
	s_and_not1_saveexec_b32 s2, s38
; %bb.353:
	v_sub_f32_e32 v1, v1, v1
	s_delay_alu instid0(VALU_DEP_1) | instskip(NEXT) | instid1(VALU_DEP_1)
	v_div_scale_f32 v3, vcc_lo, v1, v1, v1
	v_rcp_f32_e32 v4, v3
	s_waitcnt_depctr 0xfff
	v_fma_f32 v5, -v3, v4, 1.0
	s_delay_alu instid0(VALU_DEP_1) | instskip(NEXT) | instid1(VALU_DEP_1)
	v_fmac_f32_e32 v4, v5, v4
	v_mul_f32_e32 v5, v3, v4
	s_delay_alu instid0(VALU_DEP_1) | instskip(NEXT) | instid1(VALU_DEP_1)
	v_fma_f32 v6, -v3, v5, v3
	v_fmac_f32_e32 v5, v6, v4
	s_delay_alu instid0(VALU_DEP_1) | instskip(NEXT) | instid1(VALU_DEP_1)
	v_fma_f32 v3, -v3, v5, v3
	v_div_fmas_f32 v3, v3, v4, v5
	s_delay_alu instid0(VALU_DEP_1)
	v_div_fixup_f32 v1, v3, v1, v1
; %bb.354:
	s_or_b32 exec_lo, exec_lo, s2
	v_mov_b32_e32 v3, v0
.LBB233_355:
	s_or_b32 exec_lo, exec_lo, s37
.LBB233_356:
	s_delay_alu instid0(SALU_CYCLE_1) | instskip(SKIP_2) | instid1(VALU_DEP_1)
	s_or_b32 exec_lo, exec_lo, s23
	v_and_b32_e32 v0, 0xff, v7
	v_add_co_u32 v5, s2, s4, v2
	v_add_co_ci_u32_e64 v6, null, s5, 0, s2
	s_delay_alu instid0(VALU_DEP_3)
	v_cmp_gt_i16_e32 vcc_lo, 11, v0
	s_mov_b32 s3, 0
	s_mov_b32 s23, -1
	s_mov_b32 s2, s34
	s_cbranch_vccnz .LBB233_363
; %bb.357:
	v_cmp_lt_i16_e32 vcc_lo, 25, v0
	s_cbranch_vccz .LBB233_403
; %bb.358:
	v_cmp_lt_i16_e32 vcc_lo, 28, v0
	s_cbranch_vccz .LBB233_404
; %bb.359:
	v_cmp_lt_i16_e32 vcc_lo, 43, v0
	s_cbranch_vccz .LBB233_405
; %bb.360:
	v_cmp_lt_i16_e32 vcc_lo, 45, v0
	s_cbranch_vccz .LBB233_413
; %bb.361:
	v_cmp_eq_u16_e32 vcc_lo, 46, v0
	s_mov_b32 s23, 0
	s_mov_b32 s2, -1
	s_cbranch_vccz .LBB233_414
; %bb.362:
	v_bfe_u32 v2, v1, 16, 1
	v_bfe_u32 v4, v3, 16, 1
	v_cmp_o_f32_e32 vcc_lo, v1, v1
	s_mov_b32 s3, -1
	s_mov_b32 s2, 0
	v_add3_u32 v2, v1, v2, 0x7fff
	v_add3_u32 v4, v3, v4, 0x7fff
	s_delay_alu instid0(VALU_DEP_2) | instskip(NEXT) | instid1(VALU_DEP_2)
	v_and_b32_e32 v2, 0xffff0000, v2
	v_lshrrev_b32_e32 v4, 16, v4
	s_delay_alu instid0(VALU_DEP_2) | instskip(SKIP_1) | instid1(VALU_DEP_3)
	v_cndmask_b32_e32 v2, 0x7fc00000, v2, vcc_lo
	v_cmp_o_f32_e32 vcc_lo, v3, v3
	v_cndmask_b32_e32 v4, 0x7fc0, v4, vcc_lo
	s_delay_alu instid0(VALU_DEP_1)
	v_or_b32_e32 v2, v2, v4
	global_store_b32 v[5:6], v2, off
	s_branch .LBB233_414
.LBB233_363:
	s_and_b32 vcc_lo, exec_lo, s23
	s_cbranch_vccz .LBB233_483
; %bb.364:
	v_cmp_gt_i16_e32 vcc_lo, 5, v0
	s_mov_b32 s3, -1
	s_cbranch_vccnz .LBB233_385
; %bb.365:
	v_cmp_gt_i16_e32 vcc_lo, 8, v0
	s_cbranch_vccnz .LBB233_375
; %bb.366:
	v_cmp_gt_i16_e32 vcc_lo, 9, v0
	s_cbranch_vccnz .LBB233_372
; %bb.367:
	v_cmp_lt_i16_e32 vcc_lo, 9, v0
	s_cbranch_vccz .LBB233_369
; %bb.368:
	v_cvt_f64_f32_e32 v[10:11], v3
	v_cvt_f64_f32_e32 v[12:13], v1
	s_mov_b32 s3, 0
	global_store_b128 v[5:6], v[10:13], off
.LBB233_369:
	s_and_not1_b32 vcc_lo, exec_lo, s3
	s_cbranch_vccnz .LBB233_371
; %bb.370:
	v_mov_b32_e32 v4, v1
	global_store_b64 v[5:6], v[3:4], off
.LBB233_371:
	s_mov_b32 s3, 0
.LBB233_372:
	s_delay_alu instid0(SALU_CYCLE_1)
	s_and_not1_b32 vcc_lo, exec_lo, s3
	s_cbranch_vccnz .LBB233_374
; %bb.373:
	v_cvt_f16_f32_e32 v1, v1
	v_cvt_f16_f32_e32 v2, v3
	s_delay_alu instid0(VALU_DEP_2) | instskip(NEXT) | instid1(VALU_DEP_2)
	v_lshlrev_b32_e32 v1, 16, v1
	v_and_b32_e32 v2, 0xffff, v2
	s_delay_alu instid0(VALU_DEP_1)
	v_or_b32_e32 v1, v1, v2
	global_store_b32 v[5:6], v1, off
.LBB233_374:
	s_mov_b32 s3, 0
.LBB233_375:
	s_delay_alu instid0(SALU_CYCLE_1)
	s_and_not1_b32 vcc_lo, exec_lo, s3
	s_cbranch_vccnz .LBB233_384
; %bb.376:
	v_cmp_gt_i16_e32 vcc_lo, 6, v0
	s_mov_b32 s3, -1
	s_cbranch_vccnz .LBB233_382
; %bb.377:
	v_cmp_lt_i16_e32 vcc_lo, 6, v0
	s_cbranch_vccz .LBB233_379
; %bb.378:
	v_cvt_f64_f32_e32 v[1:2], v3
	s_mov_b32 s3, 0
	global_store_b64 v[5:6], v[1:2], off
.LBB233_379:
	s_and_not1_b32 vcc_lo, exec_lo, s3
	s_cbranch_vccnz .LBB233_381
; %bb.380:
	global_store_b32 v[5:6], v3, off
.LBB233_381:
	s_mov_b32 s3, 0
.LBB233_382:
	s_delay_alu instid0(SALU_CYCLE_1)
	s_and_not1_b32 vcc_lo, exec_lo, s3
	s_cbranch_vccnz .LBB233_384
; %bb.383:
	v_cvt_f16_f32_e32 v1, v3
	global_store_b16 v[5:6], v1, off
.LBB233_384:
	s_mov_b32 s3, 0
.LBB233_385:
	s_delay_alu instid0(SALU_CYCLE_1)
	s_and_not1_b32 vcc_lo, exec_lo, s3
	s_cbranch_vccnz .LBB233_401
; %bb.386:
	v_cmp_gt_i16_e32 vcc_lo, 2, v0
	s_mov_b32 s3, -1
	s_cbranch_vccnz .LBB233_396
; %bb.387:
	v_cmp_gt_i16_e32 vcc_lo, 3, v0
	s_cbranch_vccnz .LBB233_393
; %bb.388:
	v_cmp_lt_i16_e32 vcc_lo, 3, v0
	s_cbranch_vccz .LBB233_390
; %bb.389:
	v_trunc_f32_e32 v1, v3
	s_mov_b32 s3, 0
	s_delay_alu instid0(VALU_DEP_1) | instskip(SKIP_1) | instid1(VALU_DEP_2)
	v_mul_f32_e64 v2, 0x2f800000, |v1|
	v_ashrrev_i32_e32 v10, 31, v1
	v_floor_f32_e32 v2, v2
	s_delay_alu instid0(VALU_DEP_1) | instskip(SKIP_1) | instid1(VALU_DEP_2)
	v_fma_f32 v4, 0xcf800000, v2, |v1|
	v_cvt_u32_f32_e32 v2, v2
	v_cvt_u32_f32_e32 v1, v4
	s_delay_alu instid0(VALU_DEP_2) | instskip(NEXT) | instid1(VALU_DEP_2)
	v_xor_b32_e32 v2, v2, v10
	v_xor_b32_e32 v1, v1, v10
	s_delay_alu instid0(VALU_DEP_1) | instskip(NEXT) | instid1(VALU_DEP_3)
	v_sub_co_u32 v1, vcc_lo, v1, v10
	v_sub_co_ci_u32_e32 v2, vcc_lo, v2, v10, vcc_lo
	global_store_b64 v[5:6], v[1:2], off
.LBB233_390:
	s_and_not1_b32 vcc_lo, exec_lo, s3
	s_cbranch_vccnz .LBB233_392
; %bb.391:
	v_cvt_i32_f32_e32 v1, v3
	global_store_b32 v[5:6], v1, off
.LBB233_392:
	s_mov_b32 s3, 0
.LBB233_393:
	s_delay_alu instid0(SALU_CYCLE_1)
	s_and_not1_b32 vcc_lo, exec_lo, s3
	s_cbranch_vccnz .LBB233_395
; %bb.394:
	v_cvt_i32_f32_e32 v1, v3
	global_store_b16 v[5:6], v1, off
.LBB233_395:
	s_mov_b32 s3, 0
.LBB233_396:
	s_delay_alu instid0(SALU_CYCLE_1)
	s_and_not1_b32 vcc_lo, exec_lo, s3
	s_cbranch_vccnz .LBB233_401
; %bb.397:
	v_cmp_lt_i16_e32 vcc_lo, 0, v0
	s_mov_b32 s3, -1
	s_cbranch_vccz .LBB233_399
; %bb.398:
	v_cvt_i32_f32_e32 v0, v3
	s_mov_b32 s3, 0
	global_store_b8 v[5:6], v0, off
.LBB233_399:
	s_and_not1_b32 vcc_lo, exec_lo, s3
	s_cbranch_vccnz .LBB233_401
; %bb.400:
	v_trunc_f32_e32 v0, v3
	s_delay_alu instid0(VALU_DEP_1) | instskip(NEXT) | instid1(VALU_DEP_1)
	v_mul_f32_e64 v1, 0x2f800000, |v0|
	v_floor_f32_e32 v1, v1
	s_delay_alu instid0(VALU_DEP_1) | instskip(SKIP_1) | instid1(VALU_DEP_2)
	v_fma_f32 v1, 0xcf800000, v1, |v0|
	v_ashrrev_i32_e32 v0, 31, v0
	v_cvt_u32_f32_e32 v1, v1
	s_delay_alu instid0(VALU_DEP_1) | instskip(NEXT) | instid1(VALU_DEP_1)
	v_xor_b32_e32 v1, v1, v0
	v_sub_nc_u32_e32 v0, v1, v0
	global_store_b8 v[5:6], v0, off
.LBB233_401:
	s_branch .LBB233_484
.LBB233_402:
	s_mov_b32 s3, 0
	s_branch .LBB233_601
.LBB233_403:
	s_mov_b32 s2, s34
	s_branch .LBB233_441
.LBB233_404:
	s_mov_b32 s2, s34
	s_branch .LBB233_424
.LBB233_405:
	s_mov_b32 s2, s34
	s_branch .LBB233_420
.LBB233_406:
	s_or_saveexec_b32 s34, s34
                                        ; implicit-def: $sgpr35
	s_delay_alu instid0(SALU_CYCLE_1)
	s_xor_b32 exec_lo, exec_lo, s34
	s_cbranch_execz .LBB233_99
.LBB233_407:
	v_add_f32_e64 v2, 0x42800000, |v3|
	s_and_not1_b32 s23, s23, exec_lo
	s_mov_b32 s35, 0
	s_delay_alu instid0(VALU_DEP_1) | instskip(NEXT) | instid1(VALU_DEP_1)
	v_and_b32_e32 v2, 0xff, v2
	v_cmp_ne_u32_e32 vcc_lo, 0, v2
	s_and_b32 s38, vcc_lo, exec_lo
	s_delay_alu instid0(SALU_CYCLE_1)
	s_or_b32 s23, s23, s38
	s_or_b32 exec_lo, exec_lo, s34
	v_mov_b32_e32 v4, s35
	s_and_saveexec_b32 s34, s23
	s_cbranch_execnz .LBB233_100
	s_branch .LBB233_101
.LBB233_408:
	s_mov_b32 s22, -1
.LBB233_409:
                                        ; implicit-def: $vgpr1
.LBB233_410:
	s_and_b32 vcc_lo, exec_lo, s3
	s_cbranch_vccz .LBB233_487
; %bb.411:
	v_cmp_eq_u16_e32 vcc_lo, 44, v8
	s_cbranch_vccz .LBB233_485
; %bb.412:
	global_load_u8 v0, v[3:4], off
	s_mov_b32 s22, 0
	s_mov_b32 s2, -1
	s_waitcnt vmcnt(0)
	v_lshlrev_b32_e32 v1, 23, v0
	v_cmp_ne_u32_e32 vcc_lo, 0xff, v0
	s_delay_alu instid0(VALU_DEP_2) | instskip(SKIP_1) | instid1(VALU_DEP_2)
	v_cndmask_b32_e32 v1, 0x7f800001, v1, vcc_lo
	v_cmp_ne_u32_e32 vcc_lo, 0, v0
	v_cndmask_b32_e32 v0, 0x400000, v1, vcc_lo
	s_branch .LBB233_486
.LBB233_413:
	s_mov_b32 s2, s34
.LBB233_414:
	s_and_b32 vcc_lo, exec_lo, s23
	s_cbranch_vccz .LBB233_419
; %bb.415:
	v_cmp_eq_u16_e32 vcc_lo, 44, v0
	s_mov_b32 s2, -1
	s_cbranch_vccz .LBB233_419
; %bb.416:
	v_bfe_u32 v4, v3, 23, 8
	v_mov_b32_e32 v2, 0xff
	s_mov_b32 s3, exec_lo
	s_delay_alu instid0(VALU_DEP_2)
	v_cmpx_ne_u32_e32 0xff, v4
; %bb.417:
	v_and_b32_e32 v2, 0x400000, v3
	v_and_or_b32 v4, 0x3fffff, v3, v4
	s_delay_alu instid0(VALU_DEP_2) | instskip(NEXT) | instid1(VALU_DEP_2)
	v_cmp_ne_u32_e32 vcc_lo, 0, v2
	v_cmp_ne_u32_e64 s2, 0, v4
	v_lshrrev_b32_e32 v2, 23, v3
	s_delay_alu instid0(VALU_DEP_2) | instskip(NEXT) | instid1(SALU_CYCLE_1)
	s_and_b32 s2, vcc_lo, s2
	v_cndmask_b32_e64 v4, 0, 1, s2
	s_delay_alu instid0(VALU_DEP_1)
	v_add_nc_u32_e32 v2, v2, v4
; %bb.418:
	s_or_b32 exec_lo, exec_lo, s3
	s_mov_b32 s3, -1
	s_mov_b32 s2, 0
	global_store_b8 v[5:6], v2, off
.LBB233_419:
	s_mov_b32 s23, 0
.LBB233_420:
	s_delay_alu instid0(SALU_CYCLE_1)
	s_and_b32 vcc_lo, exec_lo, s23
	s_cbranch_vccz .LBB233_423
; %bb.421:
	v_cmp_eq_u16_e32 vcc_lo, 29, v0
	s_mov_b32 s2, -1
	s_cbranch_vccz .LBB233_423
; %bb.422:
	v_trunc_f32_e32 v2, v3
	s_mov_b32 s3, -1
	s_mov_b32 s2, 0
	s_mov_b32 s23, 0
	s_delay_alu instid0(VALU_DEP_1) | instskip(NEXT) | instid1(VALU_DEP_1)
	v_mul_f32_e32 v4, 0x2f800000, v2
	v_floor_f32_e32 v4, v4
	s_delay_alu instid0(VALU_DEP_1) | instskip(SKIP_1) | instid1(VALU_DEP_2)
	v_fmamk_f32 v2, v4, 0xcf800000, v2
	v_cvt_u32_f32_e32 v11, v4
	v_cvt_u32_f32_e32 v10, v2
	global_store_b64 v[5:6], v[10:11], off
	s_branch .LBB233_424
.LBB233_423:
	s_mov_b32 s23, 0
.LBB233_424:
	s_delay_alu instid0(SALU_CYCLE_1)
	s_and_b32 vcc_lo, exec_lo, s23
	s_cbranch_vccz .LBB233_440
; %bb.425:
	v_cmp_gt_i16_e32 vcc_lo, 27, v0
	s_mov_b32 s3, -1
	s_cbranch_vccnz .LBB233_431
; %bb.426:
	v_cmp_lt_i16_e32 vcc_lo, 27, v0
	s_cbranch_vccz .LBB233_428
; %bb.427:
	v_cvt_u32_f32_e32 v2, v3
	s_mov_b32 s3, 0
	global_store_b32 v[5:6], v2, off
.LBB233_428:
	s_and_not1_b32 vcc_lo, exec_lo, s3
	s_cbranch_vccnz .LBB233_430
; %bb.429:
	v_cvt_u32_f32_e32 v2, v3
	global_store_b16 v[5:6], v2, off
.LBB233_430:
	s_mov_b32 s3, 0
.LBB233_431:
	s_delay_alu instid0(SALU_CYCLE_1)
	s_and_not1_b32 vcc_lo, exec_lo, s3
	s_cbranch_vccnz .LBB233_439
; %bb.432:
	v_and_b32_e32 v2, 0x7fffffff, v3
	v_mov_b32_e32 v4, 0x80
	s_mov_b32 s3, exec_lo
	s_delay_alu instid0(VALU_DEP_2)
	v_cmpx_gt_u32_e32 0x43800000, v2
	s_cbranch_execz .LBB233_438
; %bb.433:
	v_cmp_lt_u32_e32 vcc_lo, 0x3bffffff, v2
	s_mov_b32 s23, 0
                                        ; implicit-def: $vgpr2
	s_and_saveexec_b32 s37, vcc_lo
	s_delay_alu instid0(SALU_CYCLE_1)
	s_xor_b32 s37, exec_lo, s37
	s_cbranch_execz .LBB233_629
; %bb.434:
	v_bfe_u32 v2, v3, 20, 1
	s_mov_b32 s23, exec_lo
	s_delay_alu instid0(VALU_DEP_1) | instskip(NEXT) | instid1(VALU_DEP_1)
	v_add3_u32 v2, v3, v2, 0x487ffff
	v_lshrrev_b32_e32 v2, 20, v2
	s_or_saveexec_b32 s37, s37
                                        ; implicit-def: $sgpr38
	s_delay_alu instid0(SALU_CYCLE_1)
	s_xor_b32 exec_lo, exec_lo, s37
	s_cbranch_execnz .LBB233_630
.LBB233_435:
	s_or_b32 exec_lo, exec_lo, s37
	v_mov_b32_e32 v4, s38
	s_and_saveexec_b32 s37, s23
.LBB233_436:
	v_lshrrev_b32_e32 v4, 24, v3
	s_delay_alu instid0(VALU_DEP_1)
	v_and_or_b32 v4, 0x80, v4, v2
.LBB233_437:
	s_or_b32 exec_lo, exec_lo, s37
.LBB233_438:
	s_delay_alu instid0(SALU_CYCLE_1)
	s_or_b32 exec_lo, exec_lo, s3
	global_store_b8 v[5:6], v4, off
.LBB233_439:
	s_mov_b32 s3, -1
.LBB233_440:
	s_mov_b32 s23, 0
.LBB233_441:
	s_delay_alu instid0(SALU_CYCLE_1)
	s_and_b32 vcc_lo, exec_lo, s23
	s_cbranch_vccz .LBB233_482
; %bb.442:
	v_cmp_lt_i16_e32 vcc_lo, 22, v0
	s_mov_b32 s23, -1
	s_cbranch_vccz .LBB233_474
; %bb.443:
	v_cmp_gt_i16_e32 vcc_lo, 24, v0
	s_mov_b32 s3, -1
	s_cbranch_vccnz .LBB233_463
; %bb.444:
	v_cmp_lt_i16_e32 vcc_lo, 24, v0
	s_cbranch_vccz .LBB233_452
; %bb.445:
	v_and_b32_e32 v2, 0x7fffffff, v3
	v_mov_b32_e32 v4, 0x80
	s_mov_b32 s3, exec_lo
	s_delay_alu instid0(VALU_DEP_2)
	v_cmpx_gt_u32_e32 0x47800000, v2
	s_cbranch_execz .LBB233_451
; %bb.446:
	v_cmp_lt_u32_e32 vcc_lo, 0x37ffffff, v2
	s_mov_b32 s23, 0
                                        ; implicit-def: $vgpr2
	s_and_saveexec_b32 s37, vcc_lo
	s_delay_alu instid0(SALU_CYCLE_1)
	s_xor_b32 s37, exec_lo, s37
	s_cbranch_execz .LBB233_632
; %bb.447:
	v_bfe_u32 v2, v3, 21, 1
	s_mov_b32 s23, exec_lo
	s_delay_alu instid0(VALU_DEP_1) | instskip(NEXT) | instid1(VALU_DEP_1)
	v_add3_u32 v2, v3, v2, 0x88fffff
	v_lshrrev_b32_e32 v2, 21, v2
	s_or_saveexec_b32 s37, s37
                                        ; implicit-def: $sgpr38
	s_delay_alu instid0(SALU_CYCLE_1)
	s_xor_b32 exec_lo, exec_lo, s37
	s_cbranch_execnz .LBB233_633
.LBB233_448:
	s_or_b32 exec_lo, exec_lo, s37
	v_mov_b32_e32 v4, s38
	s_and_saveexec_b32 s37, s23
.LBB233_449:
	v_lshrrev_b32_e32 v4, 24, v3
	s_delay_alu instid0(VALU_DEP_1)
	v_and_or_b32 v4, 0x80, v4, v2
.LBB233_450:
	s_or_b32 exec_lo, exec_lo, s37
.LBB233_451:
	s_delay_alu instid0(SALU_CYCLE_1)
	s_or_b32 exec_lo, exec_lo, s3
	s_mov_b32 s3, 0
	global_store_b8 v[5:6], v4, off
.LBB233_452:
	s_and_b32 vcc_lo, exec_lo, s3
	s_cbranch_vccz .LBB233_462
; %bb.453:
	v_and_b32_e32 v4, 0x7fffffff, v3
	s_mov_b32 s3, exec_lo
                                        ; implicit-def: $vgpr2
	s_delay_alu instid0(VALU_DEP_1)
	v_cmpx_gt_u32_e32 0x43f00000, v4
	s_xor_b32 s3, exec_lo, s3
	s_cbranch_execz .LBB233_459
; %bb.454:
	s_mov_b32 s23, exec_lo
                                        ; implicit-def: $vgpr2
	v_cmpx_lt_u32_e32 0x3c7fffff, v4
	s_xor_b32 s23, exec_lo, s23
; %bb.455:
	v_bfe_u32 v2, v3, 20, 1
	s_delay_alu instid0(VALU_DEP_1) | instskip(NEXT) | instid1(VALU_DEP_1)
	v_add3_u32 v2, v3, v2, 0x407ffff
	v_and_b32_e32 v4, 0xff00000, v2
	v_lshrrev_b32_e32 v2, 20, v2
	s_delay_alu instid0(VALU_DEP_2) | instskip(NEXT) | instid1(VALU_DEP_2)
	v_cmp_ne_u32_e32 vcc_lo, 0x7f00000, v4
	v_cndmask_b32_e32 v2, 0x7e, v2, vcc_lo
; %bb.456:
	s_and_not1_saveexec_b32 s23, s23
; %bb.457:
	v_add_f32_e64 v2, 0x46800000, |v3|
; %bb.458:
	s_or_b32 exec_lo, exec_lo, s23
                                        ; implicit-def: $vgpr4
.LBB233_459:
	s_and_not1_saveexec_b32 s3, s3
; %bb.460:
	v_mov_b32_e32 v2, 0x7f
	v_cmp_lt_u32_e32 vcc_lo, 0x7f800000, v4
	s_delay_alu instid0(VALU_DEP_2)
	v_cndmask_b32_e32 v2, 0x7e, v2, vcc_lo
; %bb.461:
	s_or_b32 exec_lo, exec_lo, s3
	v_lshrrev_b32_e32 v4, 24, v3
	s_delay_alu instid0(VALU_DEP_1)
	v_and_or_b32 v2, 0x80, v4, v2
	global_store_b8 v[5:6], v2, off
.LBB233_462:
	s_mov_b32 s3, 0
.LBB233_463:
	s_delay_alu instid0(SALU_CYCLE_1)
	s_and_not1_b32 vcc_lo, exec_lo, s3
	s_cbranch_vccnz .LBB233_473
; %bb.464:
	v_and_b32_e32 v4, 0x7fffffff, v3
	s_mov_b32 s3, exec_lo
                                        ; implicit-def: $vgpr2
	s_delay_alu instid0(VALU_DEP_1)
	v_cmpx_gt_u32_e32 0x47800000, v4
	s_xor_b32 s3, exec_lo, s3
	s_cbranch_execz .LBB233_470
; %bb.465:
	s_mov_b32 s23, exec_lo
                                        ; implicit-def: $vgpr2
	v_cmpx_lt_u32_e32 0x387fffff, v4
	s_xor_b32 s23, exec_lo, s23
; %bb.466:
	v_bfe_u32 v2, v3, 21, 1
	s_delay_alu instid0(VALU_DEP_1) | instskip(NEXT) | instid1(VALU_DEP_1)
	v_add3_u32 v2, v3, v2, 0x80fffff
	v_lshrrev_b32_e32 v2, 21, v2
; %bb.467:
	s_and_not1_saveexec_b32 s23, s23
; %bb.468:
	v_add_f32_e64 v2, 0x43000000, |v3|
; %bb.469:
	s_or_b32 exec_lo, exec_lo, s23
                                        ; implicit-def: $vgpr4
.LBB233_470:
	s_and_not1_saveexec_b32 s3, s3
; %bb.471:
	v_mov_b32_e32 v2, 0x7f
	v_cmp_lt_u32_e32 vcc_lo, 0x7f800000, v4
	s_delay_alu instid0(VALU_DEP_2)
	v_cndmask_b32_e32 v2, 0x7c, v2, vcc_lo
; %bb.472:
	s_or_b32 exec_lo, exec_lo, s3
	v_lshrrev_b32_e32 v4, 24, v3
	s_delay_alu instid0(VALU_DEP_1)
	v_and_or_b32 v2, 0x80, v4, v2
	global_store_b8 v[5:6], v2, off
.LBB233_473:
	s_mov_b32 s23, 0
	s_mov_b32 s3, -1
.LBB233_474:
	s_and_not1_b32 vcc_lo, exec_lo, s23
	s_cbranch_vccnz .LBB233_482
; %bb.475:
	v_cmp_lt_i16_e32 vcc_lo, 14, v0
	s_mov_b32 s23, -1
	s_cbranch_vccz .LBB233_479
; %bb.476:
	v_cmp_eq_u16_e32 vcc_lo, 15, v0
	s_mov_b32 s2, -1
	s_cbranch_vccz .LBB233_478
; %bb.477:
	v_bfe_u32 v2, v3, 16, 1
	v_cmp_o_f32_e32 vcc_lo, v3, v3
	s_mov_b32 s3, -1
	s_mov_b32 s2, 0
	s_delay_alu instid0(VALU_DEP_2) | instskip(NEXT) | instid1(VALU_DEP_1)
	v_add3_u32 v2, v3, v2, 0x7fff
	v_lshrrev_b32_e32 v2, 16, v2
	s_delay_alu instid0(VALU_DEP_1)
	v_cndmask_b32_e32 v2, 0x7fc0, v2, vcc_lo
	global_store_b16 v[5:6], v2, off
.LBB233_478:
	s_mov_b32 s23, 0
.LBB233_479:
	s_delay_alu instid0(SALU_CYCLE_1)
	s_and_b32 vcc_lo, exec_lo, s23
	s_cbranch_vccz .LBB233_482
; %bb.480:
	v_cmp_eq_u16_e32 vcc_lo, 11, v0
	s_mov_b32 s2, -1
	s_cbranch_vccz .LBB233_482
; %bb.481:
	v_cmp_neq_f32_e32 vcc_lo, 0, v3
	v_cmp_neq_f32_e64 s2, 0, v1
	s_mov_b32 s3, -1
	s_delay_alu instid0(VALU_DEP_1) | instskip(NEXT) | instid1(SALU_CYCLE_1)
	s_or_b32 s2, vcc_lo, s2
	v_cndmask_b32_e64 v2, 0, 1, s2
	s_mov_b32 s2, 0
	global_store_b8 v[5:6], v2, off
.LBB233_482:
.LBB233_483:
	s_and_not1_b32 vcc_lo, exec_lo, s3
	s_cbranch_vccnz .LBB233_402
.LBB233_484:
	v_add_nc_u32_e32 v9, 0x80, v9
	s_mov_b32 s3, -1
	s_branch .LBB233_602
.LBB233_485:
	s_mov_b32 s22, -1
                                        ; implicit-def: $vgpr0
.LBB233_486:
	s_delay_alu instid0(SALU_CYCLE_1)
	v_mov_b32_e32 v1, s22
.LBB233_487:
	s_mov_b32 s3, 0
.LBB233_488:
	s_delay_alu instid0(SALU_CYCLE_1)
	s_and_b32 vcc_lo, exec_lo, s3
	s_cbranch_vccz .LBB233_493
; %bb.489:
	v_cmp_eq_u16_e32 vcc_lo, 29, v8
	s_cbranch_vccz .LBB233_491
; %bb.490:
	global_load_b64 v[0:1], v[3:4], off
	s_mov_b32 s2, -1
	s_mov_b32 s22, 0
	s_mov_b32 s3, 0
	s_waitcnt vmcnt(0)
	v_clz_i32_u32_e32 v5, v1
	s_delay_alu instid0(VALU_DEP_1) | instskip(NEXT) | instid1(VALU_DEP_1)
	v_min_u32_e32 v5, 32, v5
	v_lshlrev_b64 v[0:1], v5, v[0:1]
	s_delay_alu instid0(VALU_DEP_1) | instskip(NEXT) | instid1(VALU_DEP_1)
	v_min_u32_e32 v0, 1, v0
	v_or_b32_e32 v0, v1, v0
	v_sub_nc_u32_e32 v1, 32, v5
	s_delay_alu instid0(VALU_DEP_2) | instskip(NEXT) | instid1(VALU_DEP_1)
	v_cvt_f32_u32_e32 v0, v0
	v_ldexp_f32 v0, v0, v1
	s_branch .LBB233_492
.LBB233_491:
	s_mov_b32 s22, -1
                                        ; implicit-def: $sgpr3
                                        ; implicit-def: $vgpr0
.LBB233_492:
	v_mov_b32_e32 v1, s3
.LBB233_493:
	s_mov_b32 s3, 0
.LBB233_494:
	s_delay_alu instid0(SALU_CYCLE_1)
	s_and_b32 vcc_lo, exec_lo, s3
	s_cbranch_vccz .LBB233_514
; %bb.495:
	v_cmp_gt_i16_e32 vcc_lo, 27, v8
	s_cbranch_vccnz .LBB233_498
; %bb.496:
	v_cmp_lt_i16_e32 vcc_lo, 27, v8
	s_cbranch_vccz .LBB233_499
; %bb.497:
	global_load_b32 v0, v[3:4], off
	s_mov_b32 s3, 0
	s_mov_b32 s2, 0
	s_waitcnt vmcnt(0)
	v_cvt_f32_u32_e32 v0, v0
	s_branch .LBB233_500
.LBB233_498:
	s_mov_b32 s3, -1
                                        ; implicit-def: $sgpr2
                                        ; implicit-def: $vgpr0
	s_branch .LBB233_503
.LBB233_499:
	s_mov_b32 s3, -1
                                        ; implicit-def: $sgpr2
                                        ; implicit-def: $vgpr0
.LBB233_500:
	s_delay_alu instid0(SALU_CYCLE_1)
	s_and_not1_b32 vcc_lo, exec_lo, s3
	s_cbranch_vccnz .LBB233_502
; %bb.501:
	global_load_u16 v0, v[3:4], off
	s_mov_b32 s2, 0
	s_waitcnt vmcnt(0)
	v_cvt_f32_u32_e32 v0, v0
.LBB233_502:
	s_mov_b32 s3, 0
.LBB233_503:
	v_mov_b32_e32 v1, s2
	s_and_not1_b32 vcc_lo, exec_lo, s3
	s_cbranch_vccnz .LBB233_513
; %bb.504:
	global_load_u8 v5, v[3:4], off
	s_mov_b32 s2, 0
	s_mov_b32 s37, exec_lo
                                        ; implicit-def: $sgpr23
                                        ; implicit-def: $sgpr3
	s_waitcnt vmcnt(0)
	v_cmpx_lt_i16_e32 0x7f, v5
	s_xor_b32 s37, exec_lo, s37
	s_cbranch_execz .LBB233_508
; %bb.505:
	s_mov_b32 s2, -1
	s_mov_b32 s38, exec_lo
                                        ; implicit-def: $sgpr23
                                        ; implicit-def: $sgpr3
	v_cmpx_eq_u16_e32 0x80, v5
; %bb.506:
	s_mov_b32 s3, 0x7f800001
	s_mov_b32 s23, 0
	s_xor_b32 s2, exec_lo, -1
; %bb.507:
	s_or_b32 exec_lo, exec_lo, s38
	s_delay_alu instid0(SALU_CYCLE_1)
	s_and_b32 s2, s2, exec_lo
.LBB233_508:
	s_or_saveexec_b32 s37, s37
	v_dual_mov_b32 v1, s23 :: v_dual_mov_b32 v0, s3
	s_xor_b32 exec_lo, exec_lo, s37
; %bb.509:
	v_cmp_ne_u16_e32 vcc_lo, 0, v5
	v_dual_mov_b32 v1, 0 :: v_dual_mov_b32 v0, 0
	s_and_not1_b32 s2, s2, exec_lo
	s_and_b32 s3, vcc_lo, exec_lo
	s_delay_alu instid0(SALU_CYCLE_1)
	s_or_b32 s2, s2, s3
; %bb.510:
	s_or_b32 exec_lo, exec_lo, s37
	s_and_saveexec_b32 s3, s2
	s_cbranch_execz .LBB233_512
; %bb.511:
	v_and_b32_e32 v0, 0xffff, v5
	v_lshlrev_b32_e32 v5, 24, v5
	s_delay_alu instid0(VALU_DEP_2) | instskip(NEXT) | instid1(VALU_DEP_2)
	v_and_b32_e32 v1, 7, v0
	v_and_b32_e32 v5, 0x80000000, v5
	s_delay_alu instid0(VALU_DEP_2) | instskip(NEXT) | instid1(VALU_DEP_1)
	v_clz_i32_u32_e32 v6, v1
	v_min_u32_e32 v6, 32, v6
	s_delay_alu instid0(VALU_DEP_1) | instskip(SKIP_1) | instid1(VALU_DEP_2)
	v_subrev_nc_u32_e32 v10, 28, v6
	v_sub_nc_u32_e32 v6, 29, v6
	v_lshlrev_b32_e32 v10, v10, v0
	v_bfe_u32 v0, v0, 3, 4
	s_delay_alu instid0(VALU_DEP_2) | instskip(NEXT) | instid1(VALU_DEP_2)
	v_and_b32_e32 v10, 7, v10
	v_cmp_eq_u32_e32 vcc_lo, 0, v0
	v_cndmask_b32_e32 v0, v0, v6, vcc_lo
	s_delay_alu instid0(VALU_DEP_3) | instskip(NEXT) | instid1(VALU_DEP_2)
	v_cndmask_b32_e32 v1, v1, v10, vcc_lo
	v_lshl_add_u32 v0, v0, 23, 0x3b800000
	s_delay_alu instid0(VALU_DEP_2) | instskip(NEXT) | instid1(VALU_DEP_1)
	v_lshlrev_b32_e32 v1, 20, v1
	v_or3_b32 v0, v5, v0, v1
	v_mov_b32_e32 v1, 0
.LBB233_512:
	s_or_b32 exec_lo, exec_lo, s3
.LBB233_513:
	s_mov_b32 s2, -1
.LBB233_514:
	s_mov_b32 s3, 0
.LBB233_515:
	s_delay_alu instid0(SALU_CYCLE_1)
	s_and_b32 vcc_lo, exec_lo, s3
	s_cbranch_vccz .LBB233_549
; %bb.516:
	v_cmp_lt_i16_e32 vcc_lo, 22, v8
	s_cbranch_vccz .LBB233_528
; %bb.517:
	v_cmp_gt_i16_e32 vcc_lo, 24, v8
	s_cbranch_vccnz .LBB233_529
; %bb.518:
	v_cmp_lt_i16_e32 vcc_lo, 24, v8
	s_cbranch_vccz .LBB233_530
; %bb.519:
	global_load_u8 v5, v[3:4], off
	s_mov_b32 s2, 0
	s_mov_b32 s37, exec_lo
                                        ; implicit-def: $sgpr23
                                        ; implicit-def: $sgpr3
	s_waitcnt vmcnt(0)
	v_cmpx_lt_i16_e32 0x7f, v5
	s_xor_b32 s37, exec_lo, s37
	s_cbranch_execz .LBB233_523
; %bb.520:
	s_mov_b32 s2, -1
	s_mov_b32 s38, exec_lo
                                        ; implicit-def: $sgpr23
                                        ; implicit-def: $sgpr3
	v_cmpx_eq_u16_e32 0x80, v5
; %bb.521:
	s_mov_b32 s3, 0x7f800001
	s_mov_b32 s23, 0
	s_xor_b32 s2, exec_lo, -1
; %bb.522:
	s_or_b32 exec_lo, exec_lo, s38
	s_delay_alu instid0(SALU_CYCLE_1)
	s_and_b32 s2, s2, exec_lo
.LBB233_523:
	s_or_saveexec_b32 s37, s37
	v_dual_mov_b32 v1, s23 :: v_dual_mov_b32 v0, s3
	s_xor_b32 exec_lo, exec_lo, s37
; %bb.524:
	v_cmp_ne_u16_e32 vcc_lo, 0, v5
	v_dual_mov_b32 v1, 0 :: v_dual_mov_b32 v0, 0
	s_and_not1_b32 s2, s2, exec_lo
	s_and_b32 s3, vcc_lo, exec_lo
	s_delay_alu instid0(SALU_CYCLE_1)
	s_or_b32 s2, s2, s3
; %bb.525:
	s_or_b32 exec_lo, exec_lo, s37
	s_and_saveexec_b32 s3, s2
	s_cbranch_execz .LBB233_527
; %bb.526:
	v_and_b32_e32 v0, 0xffff, v5
	v_lshlrev_b32_e32 v5, 24, v5
	s_delay_alu instid0(VALU_DEP_2) | instskip(NEXT) | instid1(VALU_DEP_2)
	v_and_b32_e32 v1, 3, v0
	v_and_b32_e32 v5, 0x80000000, v5
	s_delay_alu instid0(VALU_DEP_2) | instskip(NEXT) | instid1(VALU_DEP_1)
	v_clz_i32_u32_e32 v6, v1
	v_min_u32_e32 v6, 32, v6
	s_delay_alu instid0(VALU_DEP_1) | instskip(SKIP_1) | instid1(VALU_DEP_2)
	v_subrev_nc_u32_e32 v10, 29, v6
	v_sub_nc_u32_e32 v6, 30, v6
	v_lshlrev_b32_e32 v10, v10, v0
	v_bfe_u32 v0, v0, 2, 5
	s_delay_alu instid0(VALU_DEP_2) | instskip(NEXT) | instid1(VALU_DEP_2)
	v_and_b32_e32 v10, 3, v10
	v_cmp_eq_u32_e32 vcc_lo, 0, v0
	v_cndmask_b32_e32 v0, v0, v6, vcc_lo
	s_delay_alu instid0(VALU_DEP_3) | instskip(NEXT) | instid1(VALU_DEP_2)
	v_cndmask_b32_e32 v1, v1, v10, vcc_lo
	v_lshl_add_u32 v0, v0, 23, 0x37800000
	s_delay_alu instid0(VALU_DEP_2) | instskip(NEXT) | instid1(VALU_DEP_1)
	v_lshlrev_b32_e32 v1, 21, v1
	v_or3_b32 v0, v5, v0, v1
	v_mov_b32_e32 v1, 0
.LBB233_527:
	s_or_b32 exec_lo, exec_lo, s3
	s_mov_b32 s2, 0
	s_branch .LBB233_531
.LBB233_528:
	s_mov_b32 s3, -1
                                        ; implicit-def: $vgpr1
	s_branch .LBB233_537
.LBB233_529:
	s_mov_b32 s2, -1
                                        ; implicit-def: $vgpr1
	s_branch .LBB233_534
.LBB233_530:
	s_mov_b32 s2, -1
                                        ; implicit-def: $vgpr1
.LBB233_531:
	s_delay_alu instid0(SALU_CYCLE_1)
	s_and_b32 vcc_lo, exec_lo, s2
	s_cbranch_vccz .LBB233_533
; %bb.532:
	global_load_u8 v0, v[3:4], off
	s_waitcnt vmcnt(0)
	v_lshlrev_b32_e32 v0, 24, v0
	s_delay_alu instid0(VALU_DEP_1) | instskip(NEXT) | instid1(VALU_DEP_1)
	v_and_b32_e32 v1, 0x7f000000, v0
	v_clz_i32_u32_e32 v5, v1
	v_add_nc_u32_e32 v10, 0x1000000, v1
	v_cmp_ne_u32_e32 vcc_lo, 0, v1
	s_delay_alu instid0(VALU_DEP_3) | instskip(NEXT) | instid1(VALU_DEP_1)
	v_min_u32_e32 v5, 32, v5
	v_sub_nc_u32_e64 v5, v5, 4 clamp
	s_delay_alu instid0(VALU_DEP_1) | instskip(SKIP_1) | instid1(VALU_DEP_2)
	v_lshlrev_b32_e32 v6, v5, v1
	v_lshlrev_b32_e32 v5, 23, v5
	v_lshrrev_b32_e32 v6, 4, v6
	s_delay_alu instid0(VALU_DEP_1) | instskip(SKIP_1) | instid1(VALU_DEP_2)
	v_sub_nc_u32_e32 v5, v6, v5
	v_ashrrev_i32_e32 v6, 8, v10
	v_add_nc_u32_e32 v5, 0x3c000000, v5
	s_delay_alu instid0(VALU_DEP_1) | instskip(NEXT) | instid1(VALU_DEP_1)
	v_and_or_b32 v5, 0x7f800000, v6, v5
	v_cndmask_b32_e32 v1, 0, v5, vcc_lo
	s_delay_alu instid0(VALU_DEP_1)
	v_and_or_b32 v0, 0x80000000, v0, v1
	v_mov_b32_e32 v1, 0
.LBB233_533:
	s_mov_b32 s2, 0
.LBB233_534:
	s_delay_alu instid0(SALU_CYCLE_1)
	s_and_not1_b32 vcc_lo, exec_lo, s2
	s_cbranch_vccnz .LBB233_536
; %bb.535:
	global_load_u8 v0, v[3:4], off
	s_waitcnt vmcnt(0)
	v_lshlrev_b32_e32 v1, 25, v0
	v_lshlrev_b16 v0, 8, v0
	s_delay_alu instid0(VALU_DEP_1) | instskip(SKIP_1) | instid1(VALU_DEP_2)
	v_and_or_b32 v6, 0x7f00, v0, 0.5
	v_bfe_i32 v0, v0, 0, 16
	v_add_f32_e32 v6, -0.5, v6
	v_lshrrev_b32_e32 v5, 4, v1
	v_cmp_gt_u32_e32 vcc_lo, 0x8000000, v1
	s_delay_alu instid0(VALU_DEP_2) | instskip(NEXT) | instid1(VALU_DEP_1)
	v_or_b32_e32 v5, 0x70000000, v5
	v_mul_f32_e32 v5, 0x7800000, v5
	s_delay_alu instid0(VALU_DEP_1) | instskip(NEXT) | instid1(VALU_DEP_1)
	v_cndmask_b32_e32 v1, v5, v6, vcc_lo
	v_and_or_b32 v0, 0x80000000, v0, v1
	v_mov_b32_e32 v1, 0
.LBB233_536:
	s_mov_b32 s3, 0
	s_mov_b32 s2, -1
.LBB233_537:
	s_and_not1_b32 vcc_lo, exec_lo, s3
	s_cbranch_vccnz .LBB233_549
; %bb.538:
	v_cmp_lt_i16_e32 vcc_lo, 14, v8
	s_cbranch_vccz .LBB233_541
; %bb.539:
	v_cmp_eq_u16_e32 vcc_lo, 15, v8
	s_cbranch_vccz .LBB233_542
; %bb.540:
	global_load_u16 v0, v[3:4], off
	s_mov_b32 s2, -1
	s_mov_b32 s22, 0
	s_mov_b32 s3, 0
	s_waitcnt vmcnt(0)
	v_lshlrev_b32_e32 v0, 16, v0
	s_branch .LBB233_543
.LBB233_541:
	s_mov_b32 s23, -1
                                        ; implicit-def: $sgpr3
                                        ; implicit-def: $vgpr0
	s_branch .LBB233_544
.LBB233_542:
	s_mov_b32 s22, -1
                                        ; implicit-def: $sgpr3
                                        ; implicit-def: $vgpr0
.LBB233_543:
	s_mov_b32 s23, 0
.LBB233_544:
	s_delay_alu instid0(SALU_CYCLE_1)
	s_and_b32 vcc_lo, exec_lo, s23
	s_cbranch_vccz .LBB233_548
; %bb.545:
	v_cmp_eq_u16_e32 vcc_lo, 11, v8
	s_cbranch_vccz .LBB233_547
; %bb.546:
	global_load_u8 v0, v[3:4], off
	s_mov_b32 s3, 0
	s_mov_b32 s2, -1
	s_mov_b32 s22, 0
	s_waitcnt vmcnt(0)
	v_cmp_ne_u16_e32 vcc_lo, 0, v0
	v_cndmask_b32_e64 v0, 0, 1.0, vcc_lo
	s_branch .LBB233_548
.LBB233_547:
	s_mov_b32 s22, -1
                                        ; implicit-def: $sgpr3
                                        ; implicit-def: $vgpr0
.LBB233_548:
	v_mov_b32_e32 v1, s3
.LBB233_549:
	s_branch .LBB233_321
.LBB233_550:
	v_cmp_gt_i16_e32 vcc_lo, 5, v8
	s_cbranch_vccnz .LBB233_555
; %bb.551:
	v_cmp_gt_i16_e32 vcc_lo, 8, v8
	s_cbranch_vccnz .LBB233_556
; %bb.552:
	;; [unrolled: 3-line block ×3, first 2 shown]
	v_cmp_lt_i16_e32 vcc_lo, 9, v8
	s_cbranch_vccz .LBB233_558
; %bb.554:
	global_load_b128 v[10:13], v[3:4], off
	s_mov_b32 s2, 0
	s_waitcnt vmcnt(0)
	v_cvt_f32_f64_e32 v0, v[10:11]
	v_cvt_f32_f64_e32 v1, v[12:13]
	s_branch .LBB233_559
.LBB233_555:
	s_mov_b32 s2, -1
                                        ; implicit-def: $vgpr1
	s_branch .LBB233_578
.LBB233_556:
	s_mov_b32 s2, -1
                                        ; implicit-def: $vgpr1
	s_branch .LBB233_565
.LBB233_557:
	s_mov_b32 s2, -1
                                        ; implicit-def: $vgpr1
	s_branch .LBB233_562
.LBB233_558:
	s_mov_b32 s2, -1
                                        ; implicit-def: $vgpr1
.LBB233_559:
	s_delay_alu instid0(SALU_CYCLE_1)
	s_and_not1_b32 vcc_lo, exec_lo, s2
	s_cbranch_vccnz .LBB233_561
; %bb.560:
	global_load_b64 v[0:1], v[3:4], off
.LBB233_561:
	s_mov_b32 s2, 0
.LBB233_562:
	s_delay_alu instid0(SALU_CYCLE_1)
	s_and_not1_b32 vcc_lo, exec_lo, s2
	s_cbranch_vccnz .LBB233_564
; %bb.563:
	global_load_b32 v0, v[3:4], off
	s_waitcnt vmcnt(0)
	v_lshrrev_b32_e32 v1, 16, v0
	v_cvt_f32_f16_e32 v0, v0
	s_delay_alu instid0(VALU_DEP_2)
	v_cvt_f32_f16_e32 v1, v1
.LBB233_564:
	s_mov_b32 s2, 0
.LBB233_565:
	s_delay_alu instid0(SALU_CYCLE_1)
	s_and_not1_b32 vcc_lo, exec_lo, s2
	s_cbranch_vccnz .LBB233_577
; %bb.566:
	v_cmp_gt_i16_e32 vcc_lo, 6, v8
	s_cbranch_vccnz .LBB233_569
; %bb.567:
	v_cmp_lt_i16_e32 vcc_lo, 6, v8
	s_cbranch_vccz .LBB233_570
; %bb.568:
	global_load_b64 v[0:1], v[3:4], off
	s_mov_b32 s3, 0
	s_mov_b32 s2, 0
	s_waitcnt vmcnt(0)
	v_cvt_f32_f64_e32 v0, v[0:1]
	s_branch .LBB233_571
.LBB233_569:
	s_mov_b32 s3, -1
                                        ; implicit-def: $sgpr2
                                        ; implicit-def: $vgpr0
	s_branch .LBB233_574
.LBB233_570:
	s_mov_b32 s3, -1
                                        ; implicit-def: $sgpr2
                                        ; implicit-def: $vgpr0
.LBB233_571:
	s_delay_alu instid0(SALU_CYCLE_1)
	s_and_not1_b32 vcc_lo, exec_lo, s3
	s_cbranch_vccnz .LBB233_573
; %bb.572:
	global_load_b32 v0, v[3:4], off
	s_mov_b32 s2, 0
.LBB233_573:
	s_mov_b32 s3, 0
.LBB233_574:
	s_delay_alu instid0(SALU_CYCLE_1)
	s_and_not1_b32 vcc_lo, exec_lo, s3
	s_cbranch_vccnz .LBB233_576
; %bb.575:
	global_load_u16 v0, v[3:4], off
	s_mov_b32 s2, 0
	s_waitcnt vmcnt(0)
	v_cvt_f32_f16_e32 v0, v0
.LBB233_576:
	s_waitcnt vmcnt(0)
	v_mov_b32_e32 v1, s2
.LBB233_577:
	s_mov_b32 s2, 0
.LBB233_578:
	s_delay_alu instid0(SALU_CYCLE_1)
	s_and_not1_b32 vcc_lo, exec_lo, s2
	s_cbranch_vccnz .LBB233_599
; %bb.579:
	v_cmp_gt_i16_e32 vcc_lo, 2, v8
	s_cbranch_vccnz .LBB233_583
; %bb.580:
	v_cmp_gt_i16_e32 vcc_lo, 3, v8
	s_cbranch_vccnz .LBB233_584
; %bb.581:
	v_cmp_lt_i16_e32 vcc_lo, 3, v8
	s_cbranch_vccz .LBB233_585
; %bb.582:
	global_load_b64 v[0:1], v[3:4], off
	s_mov_b32 s3, 0
	s_mov_b32 s2, 0
	s_waitcnt vmcnt(0)
	v_xor_b32_e32 v5, v0, v1
	v_cls_i32_e32 v6, v1
	s_delay_alu instid0(VALU_DEP_2) | instskip(NEXT) | instid1(VALU_DEP_2)
	v_ashrrev_i32_e32 v5, 31, v5
	v_add_nc_u32_e32 v6, -1, v6
	s_delay_alu instid0(VALU_DEP_2) | instskip(NEXT) | instid1(VALU_DEP_1)
	v_add_nc_u32_e32 v5, 32, v5
	v_min_u32_e32 v5, v6, v5
	s_delay_alu instid0(VALU_DEP_1) | instskip(NEXT) | instid1(VALU_DEP_1)
	v_lshlrev_b64 v[0:1], v5, v[0:1]
	v_min_u32_e32 v0, 1, v0
	s_delay_alu instid0(VALU_DEP_1) | instskip(SKIP_1) | instid1(VALU_DEP_2)
	v_or_b32_e32 v0, v1, v0
	v_sub_nc_u32_e32 v1, 32, v5
	v_cvt_f32_i32_e32 v0, v0
	s_delay_alu instid0(VALU_DEP_1)
	v_ldexp_f32 v0, v0, v1
	s_branch .LBB233_586
.LBB233_583:
	s_mov_b32 s3, -1
                                        ; implicit-def: $sgpr2
                                        ; implicit-def: $vgpr0
	s_branch .LBB233_592
.LBB233_584:
	s_mov_b32 s3, -1
                                        ; implicit-def: $sgpr2
                                        ; implicit-def: $vgpr0
	s_branch .LBB233_589
.LBB233_585:
	s_mov_b32 s3, -1
                                        ; implicit-def: $sgpr2
                                        ; implicit-def: $vgpr0
.LBB233_586:
	s_delay_alu instid0(SALU_CYCLE_1)
	s_and_not1_b32 vcc_lo, exec_lo, s3
	s_cbranch_vccnz .LBB233_588
; %bb.587:
	global_load_b32 v0, v[3:4], off
	s_mov_b32 s2, 0
	s_waitcnt vmcnt(0)
	v_cvt_f32_i32_e32 v0, v0
.LBB233_588:
	s_mov_b32 s3, 0
.LBB233_589:
	s_delay_alu instid0(SALU_CYCLE_1)
	s_and_not1_b32 vcc_lo, exec_lo, s3
	s_cbranch_vccnz .LBB233_591
; %bb.590:
	global_load_i16 v0, v[3:4], off
	s_mov_b32 s2, 0
	s_waitcnt vmcnt(0)
	v_cvt_f32_i32_e32 v0, v0
.LBB233_591:
	s_mov_b32 s3, 0
.LBB233_592:
	s_delay_alu instid0(SALU_CYCLE_1)
	s_and_not1_b32 vcc_lo, exec_lo, s3
	s_cbranch_vccnz .LBB233_598
; %bb.593:
	v_cmp_lt_i16_e32 vcc_lo, 0, v8
	s_mov_b32 s3, 0
	s_cbranch_vccz .LBB233_595
; %bb.594:
	global_load_i8 v0, v[3:4], off
	s_mov_b32 s2, 0
	s_waitcnt vmcnt(0)
	v_cvt_f32_i32_e32 v0, v0
	s_branch .LBB233_596
.LBB233_595:
	s_mov_b32 s3, -1
                                        ; implicit-def: $sgpr2
                                        ; implicit-def: $vgpr0
.LBB233_596:
	s_delay_alu instid0(SALU_CYCLE_1)
	s_and_not1_b32 vcc_lo, exec_lo, s3
	s_cbranch_vccnz .LBB233_598
; %bb.597:
	global_load_u8 v0, v[3:4], off
	s_mov_b32 s2, 0
	s_waitcnt vmcnt(0)
	v_cvt_f32_ubyte0_e32 v0, v0
.LBB233_598:
	s_waitcnt vmcnt(0)
	v_mov_b32_e32 v1, s2
.LBB233_599:
	s_branch .LBB233_322
.LBB233_600:
	s_mov_b32 s3, 0
	s_mov_b32 s2, s34
.LBB233_601:
                                        ; implicit-def: $vgpr9
.LBB233_602:
	s_and_not1_b32 s23, s34, exec_lo
	s_and_b32 s2, s2, exec_lo
	s_and_not1_b32 s37, s35, exec_lo
	s_and_b32 s22, s22, exec_lo
	s_or_b32 s38, s23, s2
	s_or_b32 s37, s37, s22
	s_or_not1_b32 s2, s3, exec_lo
.LBB233_603:
	s_or_b32 exec_lo, exec_lo, s39
	s_mov_b32 s3, 0
	s_mov_b32 s23, 0
	;; [unrolled: 1-line block ×3, first 2 shown]
                                        ; implicit-def: $vgpr3_vgpr4
                                        ; implicit-def: $vgpr2
                                        ; implicit-def: $vgpr1
	s_and_saveexec_b32 s39, s2
	s_cbranch_execz .LBB233_1013
; %bb.604:
	s_mov_b32 s42, -1
	s_mov_b32 s22, s37
	s_mov_b32 s23, s38
	s_mov_b32 s40, exec_lo
	v_cmpx_gt_i32_e64 s30, v9
	s_cbranch_execz .LBB233_911
; %bb.605:
	s_and_not1_b32 vcc_lo, exec_lo, s27
	s_cbranch_vccnz .LBB233_610
; %bb.606:
	v_mov_b32_e32 v2, 0
	s_waitcnt vmcnt(0)
	v_mov_b32_e32 v0, 0
	s_and_not1_b32 vcc_lo, exec_lo, s33
	s_mov_b32 s41, 0
	s_cbranch_vccnz .LBB233_615
; %bb.607:
	v_mov_b32_e32 v2, 0
	s_add_i32 s43, s31, 1
	s_cmp_eq_u32 s25, 2
	s_mov_b32 s42, 0
	s_cbranch_scc1 .LBB233_611
; %bb.608:
	v_dual_mov_b32 v0, 0 :: v_dual_mov_b32 v1, v9
	v_mov_b32_e32 v2, 0
	s_and_b32 s42, s43, 28
	s_mov_b32 s44, 0
	s_mov_b64 s[2:3], s[20:21]
	s_mov_b64 s[22:23], s[16:17]
.LBB233_609:                            ; =>This Inner Loop Header: Depth=1
	s_clause 0x1
	s_load_b256 s[48:55], s[22:23], 0x4
	s_load_b128 s[64:67], s[22:23], 0x24
	s_load_b256 s[56:63], s[2:3], 0x0
	s_add_u32 s22, s22, 48
	s_addc_u32 s23, s23, 0
	s_add_i32 s44, s44, 4
	s_add_u32 s2, s2, 32
	s_addc_u32 s3, s3, 0
	s_cmp_eq_u32 s42, s44
	s_waitcnt lgkmcnt(0)
	v_mul_hi_u32 v3, s49, v1
	s_delay_alu instid0(VALU_DEP_1) | instskip(NEXT) | instid1(VALU_DEP_1)
	v_add_nc_u32_e32 v3, v1, v3
	v_lshrrev_b32_e32 v3, s50, v3
	s_delay_alu instid0(VALU_DEP_1) | instskip(SKIP_1) | instid1(VALU_DEP_2)
	v_mul_hi_u32 v4, s52, v3
	v_mul_lo_u32 v6, v3, s48
	v_add_nc_u32_e32 v4, v3, v4
	s_delay_alu instid0(VALU_DEP_2) | instskip(NEXT) | instid1(VALU_DEP_2)
	v_sub_nc_u32_e32 v1, v1, v6
	v_lshrrev_b32_e32 v4, s53, v4
	s_delay_alu instid0(VALU_DEP_2) | instskip(SKIP_1) | instid1(VALU_DEP_3)
	v_mul_lo_u32 v6, v1, s56
	v_mul_lo_u32 v11, v1, s57
	v_mul_hi_u32 v5, s55, v4
	s_delay_alu instid0(VALU_DEP_1) | instskip(NEXT) | instid1(VALU_DEP_1)
	v_add_nc_u32_e32 v5, v4, v5
	v_lshrrev_b32_e32 v5, s64, v5
	s_delay_alu instid0(VALU_DEP_1) | instskip(SKIP_1) | instid1(VALU_DEP_2)
	v_mul_hi_u32 v10, s66, v5
	v_mul_lo_u32 v12, v5, s54
	v_add_nc_u32_e32 v1, v5, v10
	v_mul_lo_u32 v10, v4, s51
	s_delay_alu instid0(VALU_DEP_3) | instskip(NEXT) | instid1(VALU_DEP_3)
	v_sub_nc_u32_e32 v4, v4, v12
	v_lshrrev_b32_e32 v1, s67, v1
	s_delay_alu instid0(VALU_DEP_2) | instskip(SKIP_2) | instid1(VALU_DEP_4)
	v_mul_lo_u32 v12, v4, s60
	v_mul_lo_u32 v4, v4, s61
	v_sub_nc_u32_e32 v3, v3, v10
	v_mul_lo_u32 v13, v1, s65
	s_delay_alu instid0(VALU_DEP_2) | instskip(SKIP_1) | instid1(VALU_DEP_3)
	v_mul_lo_u32 v10, v3, s58
	v_mul_lo_u32 v3, v3, s59
	v_sub_nc_u32_e32 v5, v5, v13
	s_delay_alu instid0(VALU_DEP_3) | instskip(NEXT) | instid1(VALU_DEP_2)
	v_add3_u32 v2, v6, v2, v10
	v_mul_lo_u32 v13, v5, s62
	v_mul_lo_u32 v5, v5, s63
	v_add3_u32 v0, v11, v0, v3
	s_delay_alu instid0(VALU_DEP_3) | instskip(NEXT) | instid1(VALU_DEP_2)
	v_add3_u32 v2, v12, v2, v13
	v_add3_u32 v0, v4, v0, v5
	s_cbranch_scc0 .LBB233_609
	s_branch .LBB233_612
.LBB233_610:
	s_mov_b32 s41, -1
                                        ; implicit-def: $vgpr2
                                        ; implicit-def: $vgpr0
	s_branch .LBB233_615
.LBB233_611:
	v_dual_mov_b32 v1, v9 :: v_dual_mov_b32 v0, 0
.LBB233_612:
	s_and_b32 s43, s43, 3
	s_delay_alu instid0(SALU_CYCLE_1)
	s_cmp_eq_u32 s43, 0
	s_cbranch_scc1 .LBB233_615
; %bb.613:
	s_lshl_b32 s2, s42, 3
	s_mul_i32 s22, s42, 12
	s_add_u32 s2, s2, s16
	s_addc_u32 s3, s17, 0
	s_add_u32 s2, s2, 0xc4
	s_addc_u32 s3, s3, 0
	;; [unrolled: 2-line block ×3, first 2 shown]
	.p2align	6
.LBB233_614:                            ; =>This Inner Loop Header: Depth=1
	s_clause 0x1
	s_load_b64 s[44:45], s[22:23], 0x4
	s_load_b32 s42, s[22:23], 0xc
	s_load_b64 s[46:47], s[2:3], 0x0
	s_add_u32 s22, s22, 12
	s_addc_u32 s23, s23, 0
	s_add_u32 s2, s2, 8
	s_addc_u32 s3, s3, 0
	s_add_i32 s43, s43, -1
	s_delay_alu instid0(SALU_CYCLE_1) | instskip(SKIP_2) | instid1(VALU_DEP_1)
	s_cmp_lg_u32 s43, 0
	s_waitcnt lgkmcnt(0)
	v_mul_hi_u32 v3, s45, v1
	v_add_nc_u32_e32 v3, v1, v3
	s_delay_alu instid0(VALU_DEP_1) | instskip(NEXT) | instid1(VALU_DEP_1)
	v_lshrrev_b32_e32 v6, s42, v3
	v_mul_lo_u32 v3, v6, s44
	s_delay_alu instid0(VALU_DEP_1) | instskip(NEXT) | instid1(VALU_DEP_1)
	v_sub_nc_u32_e32 v1, v1, v3
	v_mad_u64_u32 v[3:4], null, v1, s46, v[2:3]
	v_mad_u64_u32 v[4:5], null, v1, s47, v[0:1]
	s_delay_alu instid0(VALU_DEP_2) | instskip(NEXT) | instid1(VALU_DEP_2)
	v_dual_mov_b32 v1, v6 :: v_dual_mov_b32 v2, v3
	v_mov_b32_e32 v0, v4
	s_cbranch_scc1 .LBB233_614
.LBB233_615:
	s_and_not1_b32 vcc_lo, exec_lo, s41
	s_cbranch_vccnz .LBB233_618
; %bb.616:
	s_waitcnt vmcnt(0) lgkmcnt(0)
	v_mul_hi_u32 v0, s13, v9
	s_and_not1_b32 vcc_lo, exec_lo, s29
	s_delay_alu instid0(VALU_DEP_1) | instskip(NEXT) | instid1(VALU_DEP_1)
	v_add_nc_u32_e32 v0, v9, v0
	v_lshrrev_b32_e32 v1, s14, v0
	s_delay_alu instid0(VALU_DEP_1) | instskip(NEXT) | instid1(VALU_DEP_1)
	v_mul_lo_u32 v0, v1, s12
	v_sub_nc_u32_e32 v0, v9, v0
	s_delay_alu instid0(VALU_DEP_1)
	v_mul_lo_u32 v2, v0, s8
	v_mul_lo_u32 v0, v0, s9
	s_cbranch_vccnz .LBB233_618
; %bb.617:
	v_mul_hi_u32 v3, s18, v1
	s_delay_alu instid0(VALU_DEP_1) | instskip(NEXT) | instid1(VALU_DEP_1)
	v_add_nc_u32_e32 v3, v1, v3
	v_lshrrev_b32_e32 v3, s19, v3
	s_delay_alu instid0(VALU_DEP_1) | instskip(NEXT) | instid1(VALU_DEP_1)
	v_mul_lo_u32 v3, v3, s15
	v_sub_nc_u32_e32 v5, v1, v3
	s_delay_alu instid0(VALU_DEP_1) | instskip(SKIP_1) | instid1(VALU_DEP_2)
	v_mad_u64_u32 v[3:4], null, v5, s10, v[2:3]
	v_mad_u64_u32 v[1:2], null, v5, s11, v[0:1]
	v_mov_b32_e32 v2, v3
	s_delay_alu instid0(VALU_DEP_2)
	v_mov_b32_e32 v0, v1
.LBB233_618:
	v_cmp_gt_i16_e32 vcc_lo, 11, v8
	s_waitcnt vmcnt(0) lgkmcnt(0)
	s_delay_alu instid0(VALU_DEP_2) | instskip(NEXT) | instid1(VALU_DEP_1)
	v_add_co_u32 v3, s2, s6, v0
	v_add_co_ci_u32_e64 v4, null, s7, 0, s2
	s_mov_b32 s2, 0
	s_cbranch_vccnz .LBB233_625
; %bb.619:
	v_cmp_lt_i16_e32 vcc_lo, 25, v8
	s_cbranch_vccz .LBB233_626
; %bb.620:
	v_cmp_lt_i16_e32 vcc_lo, 28, v8
	s_cbranch_vccz .LBB233_627
	;; [unrolled: 3-line block ×4, first 2 shown]
; %bb.623:
	v_cmp_eq_u16_e32 vcc_lo, 46, v8
	s_mov_b32 s3, 0
	s_cbranch_vccz .LBB233_634
; %bb.624:
	global_load_b32 v0, v[3:4], off
	s_mov_b32 s2, -1
	s_mov_b32 s22, 0
	s_waitcnt vmcnt(0)
	v_and_b32_e32 v1, 0xffff0000, v0
	v_lshlrev_b32_e32 v0, 16, v0
	s_branch .LBB233_636
.LBB233_625:
	s_mov_b32 s3, -1
	s_mov_b32 s22, s37
                                        ; implicit-def: $vgpr1
	s_branch .LBB233_704
.LBB233_626:
	s_mov_b32 s3, -1
	s_mov_b32 s22, s37
                                        ; implicit-def: $vgpr1
	s_branch .LBB233_669
.LBB233_627:
	s_mov_b32 s3, -1
	s_mov_b32 s22, s37
                                        ; implicit-def: $vgpr1
	s_branch .LBB233_648
.LBB233_628:
	s_mov_b32 s3, -1
	s_mov_b32 s22, s37
                                        ; implicit-def: $vgpr1
	s_branch .LBB233_642
.LBB233_629:
	s_or_saveexec_b32 s37, s37
                                        ; implicit-def: $sgpr38
	s_delay_alu instid0(SALU_CYCLE_1)
	s_xor_b32 exec_lo, exec_lo, s37
	s_cbranch_execz .LBB233_435
.LBB233_630:
	v_add_f32_e64 v2, 0x46000000, |v3|
	s_and_not1_b32 s23, s23, exec_lo
	s_mov_b32 s38, 0
	s_delay_alu instid0(VALU_DEP_1) | instskip(NEXT) | instid1(VALU_DEP_1)
	v_and_b32_e32 v2, 0xff, v2
	v_cmp_ne_u32_e32 vcc_lo, 0, v2
	s_and_b32 s40, vcc_lo, exec_lo
	s_delay_alu instid0(SALU_CYCLE_1)
	s_or_b32 s23, s23, s40
	s_or_b32 exec_lo, exec_lo, s37
	v_mov_b32_e32 v4, s38
	s_and_saveexec_b32 s37, s23
	s_cbranch_execnz .LBB233_436
	s_branch .LBB233_437
.LBB233_631:
	s_mov_b32 s3, -1
	s_mov_b32 s22, s37
	s_branch .LBB233_635
.LBB233_632:
	s_or_saveexec_b32 s37, s37
                                        ; implicit-def: $sgpr38
	s_delay_alu instid0(SALU_CYCLE_1)
	s_xor_b32 exec_lo, exec_lo, s37
	s_cbranch_execz .LBB233_448
.LBB233_633:
	v_add_f32_e64 v2, 0x42800000, |v3|
	s_and_not1_b32 s23, s23, exec_lo
	s_mov_b32 s38, 0
	s_delay_alu instid0(VALU_DEP_1) | instskip(NEXT) | instid1(VALU_DEP_1)
	v_and_b32_e32 v2, 0xff, v2
	v_cmp_ne_u32_e32 vcc_lo, 0, v2
	s_and_b32 s40, vcc_lo, exec_lo
	s_delay_alu instid0(SALU_CYCLE_1)
	s_or_b32 s23, s23, s40
	s_or_b32 exec_lo, exec_lo, s37
	v_mov_b32_e32 v4, s38
	s_and_saveexec_b32 s37, s23
	s_cbranch_execnz .LBB233_449
	s_branch .LBB233_450
.LBB233_634:
	s_mov_b32 s22, -1
.LBB233_635:
                                        ; implicit-def: $vgpr1
.LBB233_636:
	s_and_b32 vcc_lo, exec_lo, s3
	s_cbranch_vccz .LBB233_641
; %bb.637:
	v_cmp_eq_u16_e32 vcc_lo, 44, v8
	s_cbranch_vccz .LBB233_639
; %bb.638:
	global_load_u8 v0, v[3:4], off
	s_mov_b32 s22, 0
	s_mov_b32 s2, -1
	s_waitcnt vmcnt(0)
	v_lshlrev_b32_e32 v1, 23, v0
	v_cmp_ne_u32_e32 vcc_lo, 0xff, v0
	s_delay_alu instid0(VALU_DEP_2) | instskip(SKIP_1) | instid1(VALU_DEP_2)
	v_cndmask_b32_e32 v1, 0x7f800001, v1, vcc_lo
	v_cmp_ne_u32_e32 vcc_lo, 0, v0
	v_cndmask_b32_e32 v0, 0x400000, v1, vcc_lo
	s_branch .LBB233_640
.LBB233_639:
	s_mov_b32 s22, -1
                                        ; implicit-def: $vgpr0
.LBB233_640:
	s_delay_alu instid0(SALU_CYCLE_1)
	v_mov_b32_e32 v1, s22
.LBB233_641:
	s_mov_b32 s3, 0
.LBB233_642:
	s_delay_alu instid0(SALU_CYCLE_1)
	s_and_b32 vcc_lo, exec_lo, s3
	s_cbranch_vccz .LBB233_647
; %bb.643:
	v_cmp_eq_u16_e32 vcc_lo, 29, v8
	s_cbranch_vccz .LBB233_645
; %bb.644:
	global_load_b64 v[0:1], v[3:4], off
	s_mov_b32 s2, -1
	s_mov_b32 s22, 0
	s_mov_b32 s3, 0
	s_waitcnt vmcnt(0)
	v_clz_i32_u32_e32 v5, v1
	s_delay_alu instid0(VALU_DEP_1) | instskip(NEXT) | instid1(VALU_DEP_1)
	v_min_u32_e32 v5, 32, v5
	v_lshlrev_b64 v[0:1], v5, v[0:1]
	s_delay_alu instid0(VALU_DEP_1) | instskip(NEXT) | instid1(VALU_DEP_1)
	v_min_u32_e32 v0, 1, v0
	v_or_b32_e32 v0, v1, v0
	v_sub_nc_u32_e32 v1, 32, v5
	s_delay_alu instid0(VALU_DEP_2) | instskip(NEXT) | instid1(VALU_DEP_1)
	v_cvt_f32_u32_e32 v0, v0
	v_ldexp_f32 v0, v0, v1
	s_branch .LBB233_646
.LBB233_645:
	s_mov_b32 s22, -1
                                        ; implicit-def: $sgpr3
                                        ; implicit-def: $vgpr0
.LBB233_646:
	v_mov_b32_e32 v1, s3
.LBB233_647:
	s_mov_b32 s3, 0
.LBB233_648:
	s_delay_alu instid0(SALU_CYCLE_1)
	s_and_b32 vcc_lo, exec_lo, s3
	s_cbranch_vccz .LBB233_668
; %bb.649:
	v_cmp_gt_i16_e32 vcc_lo, 27, v8
	s_cbranch_vccnz .LBB233_652
; %bb.650:
	v_cmp_lt_i16_e32 vcc_lo, 27, v8
	s_cbranch_vccz .LBB233_653
; %bb.651:
	global_load_b32 v0, v[3:4], off
	s_mov_b32 s3, 0
	s_mov_b32 s2, 0
	s_waitcnt vmcnt(0)
	v_cvt_f32_u32_e32 v0, v0
	s_branch .LBB233_654
.LBB233_652:
	s_mov_b32 s3, -1
                                        ; implicit-def: $sgpr2
                                        ; implicit-def: $vgpr0
	s_branch .LBB233_657
.LBB233_653:
	s_mov_b32 s3, -1
                                        ; implicit-def: $sgpr2
                                        ; implicit-def: $vgpr0
.LBB233_654:
	s_delay_alu instid0(SALU_CYCLE_1)
	s_and_not1_b32 vcc_lo, exec_lo, s3
	s_cbranch_vccnz .LBB233_656
; %bb.655:
	global_load_u16 v0, v[3:4], off
	s_mov_b32 s2, 0
	s_waitcnt vmcnt(0)
	v_cvt_f32_u32_e32 v0, v0
.LBB233_656:
	s_mov_b32 s3, 0
.LBB233_657:
	v_mov_b32_e32 v1, s2
	s_and_not1_b32 vcc_lo, exec_lo, s3
	s_cbranch_vccnz .LBB233_667
; %bb.658:
	global_load_u8 v5, v[3:4], off
	s_mov_b32 s2, 0
	s_mov_b32 s41, exec_lo
                                        ; implicit-def: $sgpr23
                                        ; implicit-def: $sgpr3
	s_waitcnt vmcnt(0)
	v_cmpx_lt_i16_e32 0x7f, v5
	s_xor_b32 s41, exec_lo, s41
	s_cbranch_execz .LBB233_662
; %bb.659:
	s_mov_b32 s2, -1
	s_mov_b32 s42, exec_lo
                                        ; implicit-def: $sgpr23
                                        ; implicit-def: $sgpr3
	v_cmpx_eq_u16_e32 0x80, v5
; %bb.660:
	s_mov_b32 s3, 0x7f800001
	s_mov_b32 s23, 0
	s_xor_b32 s2, exec_lo, -1
; %bb.661:
	s_or_b32 exec_lo, exec_lo, s42
	s_delay_alu instid0(SALU_CYCLE_1)
	s_and_b32 s2, s2, exec_lo
.LBB233_662:
	s_or_saveexec_b32 s41, s41
	v_dual_mov_b32 v1, s23 :: v_dual_mov_b32 v0, s3
	s_xor_b32 exec_lo, exec_lo, s41
; %bb.663:
	v_cmp_ne_u16_e32 vcc_lo, 0, v5
	v_dual_mov_b32 v1, 0 :: v_dual_mov_b32 v0, 0
	s_and_not1_b32 s2, s2, exec_lo
	s_and_b32 s3, vcc_lo, exec_lo
	s_delay_alu instid0(SALU_CYCLE_1)
	s_or_b32 s2, s2, s3
; %bb.664:
	s_or_b32 exec_lo, exec_lo, s41
	s_and_saveexec_b32 s3, s2
	s_cbranch_execz .LBB233_666
; %bb.665:
	v_and_b32_e32 v0, 0xffff, v5
	v_lshlrev_b32_e32 v5, 24, v5
	s_delay_alu instid0(VALU_DEP_2) | instskip(NEXT) | instid1(VALU_DEP_2)
	v_and_b32_e32 v1, 7, v0
	v_and_b32_e32 v5, 0x80000000, v5
	s_delay_alu instid0(VALU_DEP_2) | instskip(NEXT) | instid1(VALU_DEP_1)
	v_clz_i32_u32_e32 v6, v1
	v_min_u32_e32 v6, 32, v6
	s_delay_alu instid0(VALU_DEP_1) | instskip(SKIP_1) | instid1(VALU_DEP_2)
	v_subrev_nc_u32_e32 v10, 28, v6
	v_sub_nc_u32_e32 v6, 29, v6
	v_lshlrev_b32_e32 v10, v10, v0
	v_bfe_u32 v0, v0, 3, 4
	s_delay_alu instid0(VALU_DEP_2) | instskip(NEXT) | instid1(VALU_DEP_2)
	v_and_b32_e32 v10, 7, v10
	v_cmp_eq_u32_e32 vcc_lo, 0, v0
	v_cndmask_b32_e32 v0, v0, v6, vcc_lo
	s_delay_alu instid0(VALU_DEP_3) | instskip(NEXT) | instid1(VALU_DEP_2)
	v_cndmask_b32_e32 v1, v1, v10, vcc_lo
	v_lshl_add_u32 v0, v0, 23, 0x3b800000
	s_delay_alu instid0(VALU_DEP_2) | instskip(NEXT) | instid1(VALU_DEP_1)
	v_lshlrev_b32_e32 v1, 20, v1
	v_or3_b32 v0, v5, v0, v1
	v_mov_b32_e32 v1, 0
.LBB233_666:
	s_or_b32 exec_lo, exec_lo, s3
.LBB233_667:
	s_mov_b32 s2, -1
.LBB233_668:
	s_mov_b32 s3, 0
.LBB233_669:
	s_delay_alu instid0(SALU_CYCLE_1)
	s_and_b32 vcc_lo, exec_lo, s3
	s_cbranch_vccz .LBB233_703
; %bb.670:
	v_cmp_lt_i16_e32 vcc_lo, 22, v8
	s_cbranch_vccz .LBB233_682
; %bb.671:
	v_cmp_gt_i16_e32 vcc_lo, 24, v8
	s_cbranch_vccnz .LBB233_683
; %bb.672:
	v_cmp_lt_i16_e32 vcc_lo, 24, v8
	s_cbranch_vccz .LBB233_684
; %bb.673:
	global_load_u8 v5, v[3:4], off
	s_mov_b32 s2, 0
	s_mov_b32 s41, exec_lo
                                        ; implicit-def: $sgpr23
                                        ; implicit-def: $sgpr3
	s_waitcnt vmcnt(0)
	v_cmpx_lt_i16_e32 0x7f, v5
	s_xor_b32 s41, exec_lo, s41
	s_cbranch_execz .LBB233_677
; %bb.674:
	s_mov_b32 s2, -1
	s_mov_b32 s42, exec_lo
                                        ; implicit-def: $sgpr23
                                        ; implicit-def: $sgpr3
	v_cmpx_eq_u16_e32 0x80, v5
; %bb.675:
	s_mov_b32 s3, 0x7f800001
	s_mov_b32 s23, 0
	s_xor_b32 s2, exec_lo, -1
; %bb.676:
	s_or_b32 exec_lo, exec_lo, s42
	s_delay_alu instid0(SALU_CYCLE_1)
	s_and_b32 s2, s2, exec_lo
.LBB233_677:
	s_or_saveexec_b32 s41, s41
	v_dual_mov_b32 v1, s23 :: v_dual_mov_b32 v0, s3
	s_xor_b32 exec_lo, exec_lo, s41
; %bb.678:
	v_cmp_ne_u16_e32 vcc_lo, 0, v5
	v_dual_mov_b32 v1, 0 :: v_dual_mov_b32 v0, 0
	s_and_not1_b32 s2, s2, exec_lo
	s_and_b32 s3, vcc_lo, exec_lo
	s_delay_alu instid0(SALU_CYCLE_1)
	s_or_b32 s2, s2, s3
; %bb.679:
	s_or_b32 exec_lo, exec_lo, s41
	s_and_saveexec_b32 s3, s2
	s_cbranch_execz .LBB233_681
; %bb.680:
	v_and_b32_e32 v0, 0xffff, v5
	v_lshlrev_b32_e32 v5, 24, v5
	s_delay_alu instid0(VALU_DEP_2) | instskip(NEXT) | instid1(VALU_DEP_2)
	v_and_b32_e32 v1, 3, v0
	v_and_b32_e32 v5, 0x80000000, v5
	s_delay_alu instid0(VALU_DEP_2) | instskip(NEXT) | instid1(VALU_DEP_1)
	v_clz_i32_u32_e32 v6, v1
	v_min_u32_e32 v6, 32, v6
	s_delay_alu instid0(VALU_DEP_1) | instskip(SKIP_1) | instid1(VALU_DEP_2)
	v_subrev_nc_u32_e32 v10, 29, v6
	v_sub_nc_u32_e32 v6, 30, v6
	v_lshlrev_b32_e32 v10, v10, v0
	v_bfe_u32 v0, v0, 2, 5
	s_delay_alu instid0(VALU_DEP_2) | instskip(NEXT) | instid1(VALU_DEP_2)
	v_and_b32_e32 v10, 3, v10
	v_cmp_eq_u32_e32 vcc_lo, 0, v0
	v_cndmask_b32_e32 v0, v0, v6, vcc_lo
	s_delay_alu instid0(VALU_DEP_3) | instskip(NEXT) | instid1(VALU_DEP_2)
	v_cndmask_b32_e32 v1, v1, v10, vcc_lo
	v_lshl_add_u32 v0, v0, 23, 0x37800000
	s_delay_alu instid0(VALU_DEP_2) | instskip(NEXT) | instid1(VALU_DEP_1)
	v_lshlrev_b32_e32 v1, 21, v1
	v_or3_b32 v0, v5, v0, v1
	v_mov_b32_e32 v1, 0
.LBB233_681:
	s_or_b32 exec_lo, exec_lo, s3
	s_mov_b32 s2, 0
	s_branch .LBB233_685
.LBB233_682:
	s_mov_b32 s3, -1
                                        ; implicit-def: $vgpr1
	s_branch .LBB233_691
.LBB233_683:
	s_mov_b32 s2, -1
                                        ; implicit-def: $vgpr1
	s_branch .LBB233_688
.LBB233_684:
	s_mov_b32 s2, -1
                                        ; implicit-def: $vgpr1
.LBB233_685:
	s_delay_alu instid0(SALU_CYCLE_1)
	s_and_b32 vcc_lo, exec_lo, s2
	s_cbranch_vccz .LBB233_687
; %bb.686:
	global_load_u8 v0, v[3:4], off
	s_waitcnt vmcnt(0)
	v_lshlrev_b32_e32 v0, 24, v0
	s_delay_alu instid0(VALU_DEP_1) | instskip(NEXT) | instid1(VALU_DEP_1)
	v_and_b32_e32 v1, 0x7f000000, v0
	v_clz_i32_u32_e32 v5, v1
	v_add_nc_u32_e32 v10, 0x1000000, v1
	v_cmp_ne_u32_e32 vcc_lo, 0, v1
	s_delay_alu instid0(VALU_DEP_3) | instskip(NEXT) | instid1(VALU_DEP_1)
	v_min_u32_e32 v5, 32, v5
	v_sub_nc_u32_e64 v5, v5, 4 clamp
	s_delay_alu instid0(VALU_DEP_1) | instskip(SKIP_1) | instid1(VALU_DEP_2)
	v_lshlrev_b32_e32 v6, v5, v1
	v_lshlrev_b32_e32 v5, 23, v5
	v_lshrrev_b32_e32 v6, 4, v6
	s_delay_alu instid0(VALU_DEP_1) | instskip(SKIP_1) | instid1(VALU_DEP_2)
	v_sub_nc_u32_e32 v5, v6, v5
	v_ashrrev_i32_e32 v6, 8, v10
	v_add_nc_u32_e32 v5, 0x3c000000, v5
	s_delay_alu instid0(VALU_DEP_1) | instskip(NEXT) | instid1(VALU_DEP_1)
	v_and_or_b32 v5, 0x7f800000, v6, v5
	v_cndmask_b32_e32 v1, 0, v5, vcc_lo
	s_delay_alu instid0(VALU_DEP_1)
	v_and_or_b32 v0, 0x80000000, v0, v1
	v_mov_b32_e32 v1, 0
.LBB233_687:
	s_mov_b32 s2, 0
.LBB233_688:
	s_delay_alu instid0(SALU_CYCLE_1)
	s_and_not1_b32 vcc_lo, exec_lo, s2
	s_cbranch_vccnz .LBB233_690
; %bb.689:
	global_load_u8 v0, v[3:4], off
	s_waitcnt vmcnt(0)
	v_lshlrev_b32_e32 v1, 25, v0
	v_lshlrev_b16 v0, 8, v0
	s_delay_alu instid0(VALU_DEP_1) | instskip(SKIP_1) | instid1(VALU_DEP_2)
	v_and_or_b32 v6, 0x7f00, v0, 0.5
	v_bfe_i32 v0, v0, 0, 16
	v_add_f32_e32 v6, -0.5, v6
	v_lshrrev_b32_e32 v5, 4, v1
	v_cmp_gt_u32_e32 vcc_lo, 0x8000000, v1
	s_delay_alu instid0(VALU_DEP_2) | instskip(NEXT) | instid1(VALU_DEP_1)
	v_or_b32_e32 v5, 0x70000000, v5
	v_mul_f32_e32 v5, 0x7800000, v5
	s_delay_alu instid0(VALU_DEP_1) | instskip(NEXT) | instid1(VALU_DEP_1)
	v_cndmask_b32_e32 v1, v5, v6, vcc_lo
	v_and_or_b32 v0, 0x80000000, v0, v1
	v_mov_b32_e32 v1, 0
.LBB233_690:
	s_mov_b32 s3, 0
	s_mov_b32 s2, -1
.LBB233_691:
	s_and_not1_b32 vcc_lo, exec_lo, s3
	s_cbranch_vccnz .LBB233_703
; %bb.692:
	v_cmp_lt_i16_e32 vcc_lo, 14, v8
	s_cbranch_vccz .LBB233_695
; %bb.693:
	v_cmp_eq_u16_e32 vcc_lo, 15, v8
	s_cbranch_vccz .LBB233_696
; %bb.694:
	global_load_u16 v0, v[3:4], off
	s_mov_b32 s2, -1
	s_mov_b32 s22, 0
	s_mov_b32 s3, 0
	s_waitcnt vmcnt(0)
	v_lshlrev_b32_e32 v0, 16, v0
	s_branch .LBB233_697
.LBB233_695:
	s_mov_b32 s23, -1
                                        ; implicit-def: $sgpr3
                                        ; implicit-def: $vgpr0
	s_branch .LBB233_698
.LBB233_696:
	s_mov_b32 s22, -1
                                        ; implicit-def: $sgpr3
                                        ; implicit-def: $vgpr0
.LBB233_697:
	s_mov_b32 s23, 0
.LBB233_698:
	s_delay_alu instid0(SALU_CYCLE_1)
	s_and_b32 vcc_lo, exec_lo, s23
	s_cbranch_vccz .LBB233_702
; %bb.699:
	v_cmp_eq_u16_e32 vcc_lo, 11, v8
	s_cbranch_vccz .LBB233_701
; %bb.700:
	global_load_u8 v0, v[3:4], off
	s_mov_b32 s3, 0
	s_mov_b32 s2, -1
	s_mov_b32 s22, 0
	s_waitcnt vmcnt(0)
	v_cmp_ne_u16_e32 vcc_lo, 0, v0
	v_cndmask_b32_e64 v0, 0, 1.0, vcc_lo
	s_branch .LBB233_702
.LBB233_701:
	s_mov_b32 s22, -1
                                        ; implicit-def: $sgpr3
                                        ; implicit-def: $vgpr0
.LBB233_702:
	v_mov_b32_e32 v1, s3
.LBB233_703:
	s_mov_b32 s3, 0
.LBB233_704:
	s_delay_alu instid0(SALU_CYCLE_1)
	s_and_b32 vcc_lo, exec_lo, s3
	s_cbranch_vccz .LBB233_755
; %bb.705:
	v_cmp_gt_i16_e32 vcc_lo, 5, v8
	s_cbranch_vccnz .LBB233_710
; %bb.706:
	v_cmp_gt_i16_e32 vcc_lo, 8, v8
	s_cbranch_vccnz .LBB233_711
; %bb.707:
	v_cmp_gt_i16_e32 vcc_lo, 9, v8
	s_cbranch_vccnz .LBB233_712
; %bb.708:
	v_cmp_lt_i16_e32 vcc_lo, 9, v8
	s_cbranch_vccz .LBB233_713
; %bb.709:
	global_load_b128 v[10:13], v[3:4], off
	s_mov_b32 s2, 0
	s_waitcnt vmcnt(0)
	v_cvt_f32_f64_e32 v0, v[10:11]
	v_cvt_f32_f64_e32 v1, v[12:13]
	s_branch .LBB233_714
.LBB233_710:
	s_mov_b32 s2, -1
                                        ; implicit-def: $vgpr1
	s_branch .LBB233_733
.LBB233_711:
	s_mov_b32 s2, -1
                                        ; implicit-def: $vgpr1
	s_branch .LBB233_720
.LBB233_712:
	s_mov_b32 s2, -1
                                        ; implicit-def: $vgpr1
	s_branch .LBB233_717
.LBB233_713:
	s_mov_b32 s2, -1
                                        ; implicit-def: $vgpr1
.LBB233_714:
	s_delay_alu instid0(SALU_CYCLE_1)
	s_and_not1_b32 vcc_lo, exec_lo, s2
	s_cbranch_vccnz .LBB233_716
; %bb.715:
	global_load_b64 v[0:1], v[3:4], off
.LBB233_716:
	s_mov_b32 s2, 0
.LBB233_717:
	s_delay_alu instid0(SALU_CYCLE_1)
	s_and_not1_b32 vcc_lo, exec_lo, s2
	s_cbranch_vccnz .LBB233_719
; %bb.718:
	global_load_b32 v0, v[3:4], off
	s_waitcnt vmcnt(0)
	v_lshrrev_b32_e32 v1, 16, v0
	v_cvt_f32_f16_e32 v0, v0
	s_delay_alu instid0(VALU_DEP_2)
	v_cvt_f32_f16_e32 v1, v1
.LBB233_719:
	s_mov_b32 s2, 0
.LBB233_720:
	s_delay_alu instid0(SALU_CYCLE_1)
	s_and_not1_b32 vcc_lo, exec_lo, s2
	s_cbranch_vccnz .LBB233_732
; %bb.721:
	v_cmp_gt_i16_e32 vcc_lo, 6, v8
	s_cbranch_vccnz .LBB233_724
; %bb.722:
	v_cmp_lt_i16_e32 vcc_lo, 6, v8
	s_cbranch_vccz .LBB233_725
; %bb.723:
	global_load_b64 v[0:1], v[3:4], off
	s_mov_b32 s3, 0
	s_mov_b32 s2, 0
	s_waitcnt vmcnt(0)
	v_cvt_f32_f64_e32 v0, v[0:1]
	s_branch .LBB233_726
.LBB233_724:
	s_mov_b32 s3, -1
                                        ; implicit-def: $sgpr2
                                        ; implicit-def: $vgpr0
	s_branch .LBB233_729
.LBB233_725:
	s_mov_b32 s3, -1
                                        ; implicit-def: $sgpr2
                                        ; implicit-def: $vgpr0
.LBB233_726:
	s_delay_alu instid0(SALU_CYCLE_1)
	s_and_not1_b32 vcc_lo, exec_lo, s3
	s_cbranch_vccnz .LBB233_728
; %bb.727:
	global_load_b32 v0, v[3:4], off
	s_mov_b32 s2, 0
.LBB233_728:
	s_mov_b32 s3, 0
.LBB233_729:
	s_delay_alu instid0(SALU_CYCLE_1)
	s_and_not1_b32 vcc_lo, exec_lo, s3
	s_cbranch_vccnz .LBB233_731
; %bb.730:
	global_load_u16 v0, v[3:4], off
	s_mov_b32 s2, 0
	s_waitcnt vmcnt(0)
	v_cvt_f32_f16_e32 v0, v0
.LBB233_731:
	s_waitcnt vmcnt(0)
	v_mov_b32_e32 v1, s2
.LBB233_732:
	s_mov_b32 s2, 0
.LBB233_733:
	s_delay_alu instid0(SALU_CYCLE_1)
	s_and_not1_b32 vcc_lo, exec_lo, s2
	s_cbranch_vccnz .LBB233_754
; %bb.734:
	v_cmp_gt_i16_e32 vcc_lo, 2, v8
	s_cbranch_vccnz .LBB233_738
; %bb.735:
	v_cmp_gt_i16_e32 vcc_lo, 3, v8
	s_cbranch_vccnz .LBB233_739
; %bb.736:
	v_cmp_lt_i16_e32 vcc_lo, 3, v8
	s_cbranch_vccz .LBB233_740
; %bb.737:
	global_load_b64 v[0:1], v[3:4], off
	s_mov_b32 s3, 0
	s_mov_b32 s2, 0
	s_waitcnt vmcnt(0)
	v_xor_b32_e32 v5, v0, v1
	v_cls_i32_e32 v6, v1
	s_delay_alu instid0(VALU_DEP_2) | instskip(NEXT) | instid1(VALU_DEP_2)
	v_ashrrev_i32_e32 v5, 31, v5
	v_add_nc_u32_e32 v6, -1, v6
	s_delay_alu instid0(VALU_DEP_2) | instskip(NEXT) | instid1(VALU_DEP_1)
	v_add_nc_u32_e32 v5, 32, v5
	v_min_u32_e32 v5, v6, v5
	s_delay_alu instid0(VALU_DEP_1) | instskip(NEXT) | instid1(VALU_DEP_1)
	v_lshlrev_b64 v[0:1], v5, v[0:1]
	v_min_u32_e32 v0, 1, v0
	s_delay_alu instid0(VALU_DEP_1) | instskip(SKIP_1) | instid1(VALU_DEP_2)
	v_or_b32_e32 v0, v1, v0
	v_sub_nc_u32_e32 v1, 32, v5
	v_cvt_f32_i32_e32 v0, v0
	s_delay_alu instid0(VALU_DEP_1)
	v_ldexp_f32 v0, v0, v1
	s_branch .LBB233_741
.LBB233_738:
	s_mov_b32 s3, -1
                                        ; implicit-def: $sgpr2
                                        ; implicit-def: $vgpr0
	s_branch .LBB233_747
.LBB233_739:
	s_mov_b32 s3, -1
                                        ; implicit-def: $sgpr2
                                        ; implicit-def: $vgpr0
	s_branch .LBB233_744
.LBB233_740:
	s_mov_b32 s3, -1
                                        ; implicit-def: $sgpr2
                                        ; implicit-def: $vgpr0
.LBB233_741:
	s_delay_alu instid0(SALU_CYCLE_1)
	s_and_not1_b32 vcc_lo, exec_lo, s3
	s_cbranch_vccnz .LBB233_743
; %bb.742:
	global_load_b32 v0, v[3:4], off
	s_mov_b32 s2, 0
	s_waitcnt vmcnt(0)
	v_cvt_f32_i32_e32 v0, v0
.LBB233_743:
	s_mov_b32 s3, 0
.LBB233_744:
	s_delay_alu instid0(SALU_CYCLE_1)
	s_and_not1_b32 vcc_lo, exec_lo, s3
	s_cbranch_vccnz .LBB233_746
; %bb.745:
	global_load_i16 v0, v[3:4], off
	s_mov_b32 s2, 0
	s_waitcnt vmcnt(0)
	v_cvt_f32_i32_e32 v0, v0
.LBB233_746:
	s_mov_b32 s3, 0
.LBB233_747:
	s_delay_alu instid0(SALU_CYCLE_1)
	s_and_not1_b32 vcc_lo, exec_lo, s3
	s_cbranch_vccnz .LBB233_753
; %bb.748:
	v_cmp_lt_i16_e32 vcc_lo, 0, v8
	s_mov_b32 s3, 0
	s_cbranch_vccz .LBB233_750
; %bb.749:
	global_load_i8 v0, v[3:4], off
	s_mov_b32 s2, 0
	s_waitcnt vmcnt(0)
	v_cvt_f32_i32_e32 v0, v0
	s_branch .LBB233_751
.LBB233_750:
	s_mov_b32 s3, -1
                                        ; implicit-def: $sgpr2
                                        ; implicit-def: $vgpr0
.LBB233_751:
	s_delay_alu instid0(SALU_CYCLE_1)
	s_and_not1_b32 vcc_lo, exec_lo, s3
	s_cbranch_vccnz .LBB233_753
; %bb.752:
	global_load_u8 v0, v[3:4], off
	s_mov_b32 s2, 0
	s_waitcnt vmcnt(0)
	v_cvt_f32_ubyte0_e32 v0, v0
.LBB233_753:
	s_waitcnt vmcnt(0)
	v_mov_b32_e32 v1, s2
.LBB233_754:
	s_mov_b32 s2, -1
.LBB233_755:
	s_delay_alu instid0(SALU_CYCLE_1)
	s_and_not1_b32 vcc_lo, exec_lo, s2
	s_cbranch_vccnz .LBB233_768
; %bb.756:
	s_waitcnt vmcnt(0)
	s_delay_alu instid0(VALU_DEP_2) | instskip(NEXT) | instid1(VALU_DEP_2)
	v_cmp_neq_f32_e32 vcc_lo, 0, v0
	v_cmp_neq_f32_e64 s2, 0, v1
	v_mov_b32_e32 v3, 0
	s_delay_alu instid0(VALU_DEP_2) | instskip(NEXT) | instid1(SALU_CYCLE_1)
	s_or_b32 s2, vcc_lo, s2
	s_and_saveexec_b32 s23, s2
	s_cbranch_execz .LBB233_787
; %bb.757:
	v_mov_b32_e32 v3, 0x7f800000
	s_mov_b32 s41, exec_lo
	v_cmpx_neq_f32_e64 0x7f800000, |v1|
	s_cbranch_execz .LBB233_786
; %bb.758:
	s_mov_b32 s2, exec_lo
	v_cmpx_o_f32_e32 v0, v0
	s_xor_b32 s42, exec_lo, s2
	s_cbranch_execz .LBB233_783
; %bb.759:
	s_mov_b32 s3, exec_lo
	v_cmpx_neq_f32_e64 0x7f800000, |v0|
	s_xor_b32 s43, exec_lo, s3
	s_cbranch_execz .LBB233_776
; %bb.760:
	v_max_f32_e64 v3, |v1|, |v1|
	v_max_f32_e64 v4, |v0|, |v0|
                                        ; implicit-def: $sgpr44
	s_delay_alu instid0(VALU_DEP_1) | instskip(NEXT) | instid1(VALU_DEP_1)
	v_max_f32_e32 v3, v4, v3
	v_cmp_nle_f32_e64 s2, 0x7ed413cb, v3
	s_delay_alu instid0(VALU_DEP_1) | instskip(NEXT) | instid1(SALU_CYCLE_1)
	s_and_saveexec_b32 s3, s2
	s_xor_b32 s3, exec_lo, s3
	s_cbranch_execz .LBB233_764
; %bb.761:
	v_cmp_ge_f32_e64 s44, 0x1000000, |v0|
	v_cmp_ge_f32_e64 s45, 0x1000000, |v1|
	s_delay_alu instid0(VALU_DEP_1)
	s_and_b32 s46, s44, s45
	s_mov_b32 s44, 0
	s_and_saveexec_b32 s45, s46
; %bb.762:
	v_dual_mul_f32 v0, 4.0, v0 :: v_dual_mul_f32 v1, 4.0, v1
	s_mov_b32 s44, exec_lo
; %bb.763:
	s_or_b32 exec_lo, exec_lo, s45
	s_delay_alu instid0(SALU_CYCLE_1)
	s_and_b32 s44, s44, exec_lo
.LBB233_764:
	s_and_not1_saveexec_b32 s3, s3
; %bb.765:
	v_dual_mul_f32 v0, 0x3e800000, v0 :: v_dual_mul_f32 v1, 0x3e800000, v1
	s_and_not1_b32 s44, s44, exec_lo
; %bb.766:
	s_or_b32 exec_lo, exec_lo, s3
	s_delay_alu instid0(VALU_DEP_1) | instskip(NEXT) | instid1(VALU_DEP_2)
	v_max_f32_e64 v3, |v1|, |v1|
	v_max_f32_e64 v4, |v0|, |v0|
	s_delay_alu instid0(VALU_DEP_1) | instskip(NEXT) | instid1(VALU_DEP_1)
	v_max_f32_e32 v5, v4, v3
	v_cvt_f64_f32_e32 v[3:4], v5
	s_delay_alu instid0(VALU_DEP_1) | instskip(NEXT) | instid1(VALU_DEP_1)
	v_frexp_exp_i32_f64_e32 v3, v[3:4]
	v_sub_nc_u32_e32 v4, 0, v3
	s_delay_alu instid0(VALU_DEP_1) | instskip(SKIP_1) | instid1(VALU_DEP_2)
	v_ldexp_f32 v6, |v1|, v4
	v_ldexp_f32 v4, |v0|, v4
	v_mul_f32_e32 v6, v6, v6
	v_cmp_neq_f32_e64 s3, 0x7f800000, v5
	s_delay_alu instid0(VALU_DEP_2) | instskip(NEXT) | instid1(VALU_DEP_1)
	v_fmac_f32_e32 v6, v4, v4
	v_sqrt_f32_e32 v4, v6
	s_waitcnt_depctr 0xfff
	v_ldexp_f32 v3, v4, v3
                                        ; implicit-def: $vgpr4
	s_delay_alu instid0(VALU_DEP_1)
	v_cndmask_b32_e64 v5, 0x7f800000, v3, s3
                                        ; implicit-def: $vgpr3
	s_mov_b32 s3, exec_lo
	v_cmpx_le_f32_e32 0, v0
	s_xor_b32 s45, exec_lo, s3
	s_cbranch_execz .LBB233_769
; %bb.767:
	v_add_f32_e32 v0, v0, v5
	s_delay_alu instid0(VALU_DEP_1) | instskip(NEXT) | instid1(VALU_DEP_1)
	v_mul_f32_e32 v0, 0.5, v0
	v_mul_f32_e32 v3, 0x4f800000, v0
	v_cmp_gt_f32_e32 vcc_lo, 0xf800000, v0
	s_delay_alu instid0(VALU_DEP_2) | instskip(NEXT) | instid1(VALU_DEP_1)
	v_cndmask_b32_e32 v0, v0, v3, vcc_lo
	v_sqrt_f32_e32 v3, v0
	s_waitcnt_depctr 0xfff
	v_add_nc_u32_e32 v4, -1, v3
	v_add_nc_u32_e32 v5, 1, v3
	s_delay_alu instid0(VALU_DEP_2) | instskip(NEXT) | instid1(VALU_DEP_2)
	v_fma_f32 v6, -v4, v3, v0
	v_fma_f32 v10, -v5, v3, v0
	s_delay_alu instid0(VALU_DEP_2) | instskip(NEXT) | instid1(VALU_DEP_1)
	v_cmp_ge_f32_e64 s3, 0, v6
	v_cndmask_b32_e64 v3, v3, v4, s3
	s_delay_alu instid0(VALU_DEP_3) | instskip(NEXT) | instid1(VALU_DEP_1)
	v_cmp_lt_f32_e64 s3, 0, v10
	v_cndmask_b32_e64 v3, v3, v5, s3
	s_delay_alu instid0(VALU_DEP_1) | instskip(NEXT) | instid1(VALU_DEP_1)
	v_mul_f32_e32 v4, 0x37800000, v3
	v_cndmask_b32_e32 v3, v3, v4, vcc_lo
	v_cmp_class_f32_e64 vcc_lo, v0, 0x260
	s_delay_alu instid0(VALU_DEP_2) | instskip(NEXT) | instid1(VALU_DEP_1)
	v_cndmask_b32_e32 v3, v3, v0, vcc_lo
	v_add_f32_e32 v0, v3, v3
	s_delay_alu instid0(VALU_DEP_1) | instskip(NEXT) | instid1(VALU_DEP_1)
	v_div_scale_f32 v4, null, v0, v0, v1
	v_rcp_f32_e32 v5, v4
	s_waitcnt_depctr 0xfff
	v_fma_f32 v6, -v4, v5, 1.0
	s_delay_alu instid0(VALU_DEP_1) | instskip(SKIP_1) | instid1(VALU_DEP_1)
	v_fmac_f32_e32 v5, v6, v5
	v_div_scale_f32 v6, vcc_lo, v1, v0, v1
	v_mul_f32_e32 v10, v6, v5
	s_delay_alu instid0(VALU_DEP_1) | instskip(NEXT) | instid1(VALU_DEP_1)
	v_fma_f32 v11, -v4, v10, v6
	v_fmac_f32_e32 v10, v11, v5
	s_delay_alu instid0(VALU_DEP_1) | instskip(NEXT) | instid1(VALU_DEP_1)
	v_fma_f32 v4, -v4, v10, v6
	v_div_fmas_f32 v4, v4, v5, v10
                                        ; implicit-def: $vgpr5
	s_delay_alu instid0(VALU_DEP_1)
	v_div_fixup_f32 v4, v4, v0, v1
                                        ; implicit-def: $vgpr0
	s_and_not1_saveexec_b32 s45, s45
	s_cbranch_execz .LBB233_771
	s_branch .LBB233_770
.LBB233_768:
	s_mov_b32 s3, 0
	s_mov_b32 s2, s38
	s_branch .LBB233_834
.LBB233_769:
	s_and_not1_saveexec_b32 s45, s45
	s_cbranch_execz .LBB233_771
.LBB233_770:
	v_sub_f32_e32 v0, v5, v0
	s_delay_alu instid0(VALU_DEP_1) | instskip(NEXT) | instid1(VALU_DEP_1)
	v_mul_f32_e32 v0, 0.5, v0
	v_mul_f32_e32 v3, 0x4f800000, v0
	v_cmp_gt_f32_e32 vcc_lo, 0xf800000, v0
	s_delay_alu instid0(VALU_DEP_2) | instskip(NEXT) | instid1(VALU_DEP_1)
	v_cndmask_b32_e32 v0, v0, v3, vcc_lo
	v_sqrt_f32_e32 v3, v0
	s_waitcnt_depctr 0xfff
	v_add_nc_u32_e32 v4, -1, v3
	v_add_nc_u32_e32 v5, 1, v3
	s_delay_alu instid0(VALU_DEP_2) | instskip(NEXT) | instid1(VALU_DEP_2)
	v_fma_f32 v6, -v4, v3, v0
	v_fma_f32 v10, -v5, v3, v0
	s_delay_alu instid0(VALU_DEP_2) | instskip(NEXT) | instid1(VALU_DEP_1)
	v_cmp_ge_f32_e64 s3, 0, v6
	v_cndmask_b32_e64 v3, v3, v4, s3
	s_delay_alu instid0(VALU_DEP_3) | instskip(NEXT) | instid1(VALU_DEP_1)
	v_cmp_lt_f32_e64 s3, 0, v10
	v_cndmask_b32_e64 v3, v3, v5, s3
	s_delay_alu instid0(VALU_DEP_1) | instskip(NEXT) | instid1(VALU_DEP_1)
	v_mul_f32_e32 v4, 0x37800000, v3
	v_cndmask_b32_e32 v3, v3, v4, vcc_lo
	v_cmp_class_f32_e64 vcc_lo, v0, 0x260
	s_delay_alu instid0(VALU_DEP_2) | instskip(NEXT) | instid1(VALU_DEP_1)
	v_dual_cndmask_b32 v0, v3, v0 :: v_dual_and_b32 v3, 0x7fffffff, v1
	v_add_f32_e32 v4, v0, v0
	s_delay_alu instid0(VALU_DEP_1) | instskip(SKIP_1) | instid1(VALU_DEP_2)
	v_div_scale_f32 v5, null, v4, v4, v3
	v_div_scale_f32 v3, vcc_lo, v3, v4, v3
	v_rcp_f32_e32 v6, v5
	s_waitcnt_depctr 0xfff
	v_fma_f32 v10, -v5, v6, 1.0
	s_delay_alu instid0(VALU_DEP_1) | instskip(NEXT) | instid1(VALU_DEP_1)
	v_fmac_f32_e32 v6, v10, v6
	v_mul_f32_e32 v10, v3, v6
	s_delay_alu instid0(VALU_DEP_1) | instskip(NEXT) | instid1(VALU_DEP_1)
	v_fma_f32 v11, -v5, v10, v3
	v_fmac_f32_e32 v10, v11, v6
	s_delay_alu instid0(VALU_DEP_1) | instskip(NEXT) | instid1(VALU_DEP_1)
	v_fma_f32 v3, -v5, v10, v3
	v_div_fmas_f32 v3, v3, v6, v10
	s_delay_alu instid0(VALU_DEP_1)
	v_div_fixup_f32 v3, v3, v4, |v1|
	v_bfi_b32 v4, 0x7fffffff, v0, v1
.LBB233_771:
	s_or_b32 exec_lo, exec_lo, s45
                                        ; implicit-def: $vgpr1
	s_and_saveexec_b32 s3, s2
	s_delay_alu instid0(SALU_CYCLE_1)
	s_xor_b32 s2, exec_lo, s3
	s_cbranch_execz .LBB233_773
; %bb.772:
	v_dual_mul_f32 v0, 0.5, v3 :: v_dual_mul_f32 v1, 0.5, v4
	s_delay_alu instid0(VALU_DEP_1) | instskip(NEXT) | instid1(VALU_DEP_2)
	v_cndmask_b32_e64 v0, v3, v0, s44
	v_cndmask_b32_e64 v1, v4, v1, s44
                                        ; implicit-def: $vgpr3
                                        ; implicit-def: $vgpr4
	s_and_not1_saveexec_b32 s2, s2
	s_cbranch_execnz .LBB233_774
	s_branch .LBB233_775
.LBB233_773:
	s_and_not1_saveexec_b32 s2, s2
.LBB233_774:
	v_dual_add_f32 v0, v3, v3 :: v_dual_add_f32 v1, v4, v4
.LBB233_775:
	s_or_b32 exec_lo, exec_lo, s2
.LBB233_776:
	s_and_not1_saveexec_b32 s2, s43
	s_cbranch_execz .LBB233_782
; %bb.777:
	s_delay_alu instid0(VALU_DEP_1)
	v_sub_f32_e32 v3, v1, v1
	s_mov_b32 s3, exec_lo
	v_cmpx_lt_i32_e32 -1, v0
	s_xor_b32 s3, exec_lo, s3
; %bb.778:
	s_delay_alu instid0(VALU_DEP_2)
	v_bfi_b32 v1, 0x7fffffff, v3, v1
                                        ; implicit-def: $vgpr3
; %bb.779:
	s_and_not1_saveexec_b32 s3, s3
; %bb.780:
	v_and_b32_e32 v3, 0x7fffffff, v3
	s_delay_alu instid0(VALU_DEP_2) | instskip(NEXT) | instid1(VALU_DEP_2)
	v_bfi_b32 v1, 0x7fffffff, v0, v1
	v_mov_b32_e32 v0, v3
; %bb.781:
	s_or_b32 exec_lo, exec_lo, s3
.LBB233_782:
	s_delay_alu instid0(SALU_CYCLE_1)
	s_or_b32 exec_lo, exec_lo, s2
.LBB233_783:
	s_and_not1_saveexec_b32 s2, s42
; %bb.784:
	v_sub_f32_e32 v1, v1, v1
	s_delay_alu instid0(VALU_DEP_1) | instskip(NEXT) | instid1(VALU_DEP_1)
	v_div_scale_f32 v3, vcc_lo, v1, v1, v1
	v_rcp_f32_e32 v4, v3
	s_waitcnt_depctr 0xfff
	v_fma_f32 v5, -v3, v4, 1.0
	s_delay_alu instid0(VALU_DEP_1) | instskip(NEXT) | instid1(VALU_DEP_1)
	v_fmac_f32_e32 v4, v5, v4
	v_mul_f32_e32 v5, v3, v4
	s_delay_alu instid0(VALU_DEP_1) | instskip(NEXT) | instid1(VALU_DEP_1)
	v_fma_f32 v6, -v3, v5, v3
	v_fmac_f32_e32 v5, v6, v4
	s_delay_alu instid0(VALU_DEP_1) | instskip(NEXT) | instid1(VALU_DEP_1)
	v_fma_f32 v3, -v3, v5, v3
	v_div_fmas_f32 v3, v3, v4, v5
	s_delay_alu instid0(VALU_DEP_1)
	v_div_fixup_f32 v1, v3, v1, v1
; %bb.785:
	s_or_b32 exec_lo, exec_lo, s2
	v_mov_b32_e32 v3, v0
.LBB233_786:
	s_or_b32 exec_lo, exec_lo, s41
.LBB233_787:
	s_delay_alu instid0(SALU_CYCLE_1) | instskip(SKIP_2) | instid1(VALU_DEP_1)
	s_or_b32 exec_lo, exec_lo, s23
	v_and_b32_e32 v0, 0xff, v7
	v_add_co_u32 v5, s2, s4, v2
	v_add_co_ci_u32_e64 v6, null, s5, 0, s2
	s_delay_alu instid0(VALU_DEP_3)
	v_cmp_gt_i16_e32 vcc_lo, 11, v0
	s_mov_b32 s3, 0
	s_mov_b32 s23, -1
	s_mov_b32 s2, s38
	s_cbranch_vccnz .LBB233_794
; %bb.788:
	v_cmp_lt_i16_e32 vcc_lo, 25, v0
	s_cbranch_vccz .LBB233_835
; %bb.789:
	v_cmp_lt_i16_e32 vcc_lo, 28, v0
	s_cbranch_vccz .LBB233_836
	;; [unrolled: 3-line block ×4, first 2 shown]
; %bb.792:
	v_cmp_eq_u16_e32 vcc_lo, 46, v0
	s_mov_b32 s23, 0
	s_mov_b32 s2, -1
	s_cbranch_vccz .LBB233_839
; %bb.793:
	v_bfe_u32 v2, v1, 16, 1
	v_bfe_u32 v4, v3, 16, 1
	v_cmp_o_f32_e32 vcc_lo, v1, v1
	s_mov_b32 s3, -1
	s_mov_b32 s2, 0
	v_add3_u32 v2, v1, v2, 0x7fff
	v_add3_u32 v4, v3, v4, 0x7fff
	s_delay_alu instid0(VALU_DEP_2) | instskip(NEXT) | instid1(VALU_DEP_2)
	v_and_b32_e32 v2, 0xffff0000, v2
	v_lshrrev_b32_e32 v4, 16, v4
	s_delay_alu instid0(VALU_DEP_2) | instskip(SKIP_1) | instid1(VALU_DEP_3)
	v_cndmask_b32_e32 v2, 0x7fc00000, v2, vcc_lo
	v_cmp_o_f32_e32 vcc_lo, v3, v3
	v_cndmask_b32_e32 v4, 0x7fc0, v4, vcc_lo
	s_delay_alu instid0(VALU_DEP_1)
	v_or_b32_e32 v2, v2, v4
	global_store_b32 v[5:6], v2, off
	s_branch .LBB233_839
.LBB233_794:
	s_and_b32 vcc_lo, exec_lo, s23
	s_cbranch_vccz .LBB233_908
; %bb.795:
	v_cmp_gt_i16_e32 vcc_lo, 5, v0
	s_mov_b32 s3, -1
	s_cbranch_vccnz .LBB233_816
; %bb.796:
	v_cmp_gt_i16_e32 vcc_lo, 8, v0
	s_cbranch_vccnz .LBB233_806
; %bb.797:
	v_cmp_gt_i16_e32 vcc_lo, 9, v0
	s_cbranch_vccnz .LBB233_803
; %bb.798:
	v_cmp_lt_i16_e32 vcc_lo, 9, v0
	s_cbranch_vccz .LBB233_800
; %bb.799:
	v_cvt_f64_f32_e32 v[10:11], v3
	v_cvt_f64_f32_e32 v[12:13], v1
	s_mov_b32 s3, 0
	global_store_b128 v[5:6], v[10:13], off
.LBB233_800:
	s_and_not1_b32 vcc_lo, exec_lo, s3
	s_cbranch_vccnz .LBB233_802
; %bb.801:
	v_mov_b32_e32 v4, v1
	global_store_b64 v[5:6], v[3:4], off
.LBB233_802:
	s_mov_b32 s3, 0
.LBB233_803:
	s_delay_alu instid0(SALU_CYCLE_1)
	s_and_not1_b32 vcc_lo, exec_lo, s3
	s_cbranch_vccnz .LBB233_805
; %bb.804:
	v_cvt_f16_f32_e32 v1, v1
	v_cvt_f16_f32_e32 v2, v3
	s_delay_alu instid0(VALU_DEP_2) | instskip(NEXT) | instid1(VALU_DEP_2)
	v_lshlrev_b32_e32 v1, 16, v1
	v_and_b32_e32 v2, 0xffff, v2
	s_delay_alu instid0(VALU_DEP_1)
	v_or_b32_e32 v1, v1, v2
	global_store_b32 v[5:6], v1, off
.LBB233_805:
	s_mov_b32 s3, 0
.LBB233_806:
	s_delay_alu instid0(SALU_CYCLE_1)
	s_and_not1_b32 vcc_lo, exec_lo, s3
	s_cbranch_vccnz .LBB233_815
; %bb.807:
	v_cmp_gt_i16_e32 vcc_lo, 6, v0
	s_mov_b32 s3, -1
	s_cbranch_vccnz .LBB233_813
; %bb.808:
	v_cmp_lt_i16_e32 vcc_lo, 6, v0
	s_cbranch_vccz .LBB233_810
; %bb.809:
	v_cvt_f64_f32_e32 v[1:2], v3
	s_mov_b32 s3, 0
	global_store_b64 v[5:6], v[1:2], off
.LBB233_810:
	s_and_not1_b32 vcc_lo, exec_lo, s3
	s_cbranch_vccnz .LBB233_812
; %bb.811:
	global_store_b32 v[5:6], v3, off
.LBB233_812:
	s_mov_b32 s3, 0
.LBB233_813:
	s_delay_alu instid0(SALU_CYCLE_1)
	s_and_not1_b32 vcc_lo, exec_lo, s3
	s_cbranch_vccnz .LBB233_815
; %bb.814:
	v_cvt_f16_f32_e32 v1, v3
	global_store_b16 v[5:6], v1, off
.LBB233_815:
	s_mov_b32 s3, 0
.LBB233_816:
	s_delay_alu instid0(SALU_CYCLE_1)
	s_and_not1_b32 vcc_lo, exec_lo, s3
	s_cbranch_vccnz .LBB233_832
; %bb.817:
	v_cmp_gt_i16_e32 vcc_lo, 2, v0
	s_mov_b32 s3, -1
	s_cbranch_vccnz .LBB233_827
; %bb.818:
	v_cmp_gt_i16_e32 vcc_lo, 3, v0
	s_cbranch_vccnz .LBB233_824
; %bb.819:
	v_cmp_lt_i16_e32 vcc_lo, 3, v0
	s_cbranch_vccz .LBB233_821
; %bb.820:
	v_trunc_f32_e32 v1, v3
	s_mov_b32 s3, 0
	s_delay_alu instid0(VALU_DEP_1) | instskip(SKIP_1) | instid1(VALU_DEP_2)
	v_mul_f32_e64 v2, 0x2f800000, |v1|
	v_ashrrev_i32_e32 v10, 31, v1
	v_floor_f32_e32 v2, v2
	s_delay_alu instid0(VALU_DEP_1) | instskip(SKIP_1) | instid1(VALU_DEP_2)
	v_fma_f32 v4, 0xcf800000, v2, |v1|
	v_cvt_u32_f32_e32 v2, v2
	v_cvt_u32_f32_e32 v1, v4
	s_delay_alu instid0(VALU_DEP_2) | instskip(NEXT) | instid1(VALU_DEP_2)
	v_xor_b32_e32 v2, v2, v10
	v_xor_b32_e32 v1, v1, v10
	s_delay_alu instid0(VALU_DEP_1) | instskip(NEXT) | instid1(VALU_DEP_3)
	v_sub_co_u32 v1, vcc_lo, v1, v10
	v_sub_co_ci_u32_e32 v2, vcc_lo, v2, v10, vcc_lo
	global_store_b64 v[5:6], v[1:2], off
.LBB233_821:
	s_and_not1_b32 vcc_lo, exec_lo, s3
	s_cbranch_vccnz .LBB233_823
; %bb.822:
	v_cvt_i32_f32_e32 v1, v3
	global_store_b32 v[5:6], v1, off
.LBB233_823:
	s_mov_b32 s3, 0
.LBB233_824:
	s_delay_alu instid0(SALU_CYCLE_1)
	s_and_not1_b32 vcc_lo, exec_lo, s3
	s_cbranch_vccnz .LBB233_826
; %bb.825:
	v_cvt_i32_f32_e32 v1, v3
	global_store_b16 v[5:6], v1, off
.LBB233_826:
	s_mov_b32 s3, 0
.LBB233_827:
	s_delay_alu instid0(SALU_CYCLE_1)
	s_and_not1_b32 vcc_lo, exec_lo, s3
	s_cbranch_vccnz .LBB233_832
; %bb.828:
	v_cmp_lt_i16_e32 vcc_lo, 0, v0
	s_mov_b32 s3, -1
	s_cbranch_vccz .LBB233_830
; %bb.829:
	v_cvt_i32_f32_e32 v0, v3
	s_mov_b32 s3, 0
	global_store_b8 v[5:6], v0, off
.LBB233_830:
	s_and_not1_b32 vcc_lo, exec_lo, s3
	s_cbranch_vccnz .LBB233_832
; %bb.831:
	v_trunc_f32_e32 v0, v3
	s_delay_alu instid0(VALU_DEP_1) | instskip(NEXT) | instid1(VALU_DEP_1)
	v_mul_f32_e64 v1, 0x2f800000, |v0|
	v_floor_f32_e32 v1, v1
	s_delay_alu instid0(VALU_DEP_1) | instskip(SKIP_1) | instid1(VALU_DEP_2)
	v_fma_f32 v1, 0xcf800000, v1, |v0|
	v_ashrrev_i32_e32 v0, 31, v0
	v_cvt_u32_f32_e32 v1, v1
	s_delay_alu instid0(VALU_DEP_1) | instskip(NEXT) | instid1(VALU_DEP_1)
	v_xor_b32_e32 v1, v1, v0
	v_sub_nc_u32_e32 v0, v1, v0
	global_store_b8 v[5:6], v0, off
.LBB233_832:
	s_branch .LBB233_909
.LBB233_833:
	s_mov_b32 s3, 0
.LBB233_834:
                                        ; implicit-def: $vgpr9
	s_branch .LBB233_910
.LBB233_835:
	s_mov_b32 s2, s38
	s_branch .LBB233_866
.LBB233_836:
	s_mov_b32 s2, s38
	s_branch .LBB233_849
.LBB233_837:
	s_mov_b32 s2, s38
	s_branch .LBB233_845
.LBB233_838:
	s_mov_b32 s2, s38
.LBB233_839:
	s_and_b32 vcc_lo, exec_lo, s23
	s_cbranch_vccz .LBB233_844
; %bb.840:
	v_cmp_eq_u16_e32 vcc_lo, 44, v0
	s_mov_b32 s2, -1
	s_cbranch_vccz .LBB233_844
; %bb.841:
	v_bfe_u32 v4, v3, 23, 8
	v_mov_b32_e32 v2, 0xff
	s_mov_b32 s3, exec_lo
	s_delay_alu instid0(VALU_DEP_2)
	v_cmpx_ne_u32_e32 0xff, v4
; %bb.842:
	v_and_b32_e32 v2, 0x400000, v3
	v_and_or_b32 v4, 0x3fffff, v3, v4
	s_delay_alu instid0(VALU_DEP_2) | instskip(NEXT) | instid1(VALU_DEP_2)
	v_cmp_ne_u32_e32 vcc_lo, 0, v2
	v_cmp_ne_u32_e64 s2, 0, v4
	v_lshrrev_b32_e32 v2, 23, v3
	s_delay_alu instid0(VALU_DEP_2) | instskip(NEXT) | instid1(SALU_CYCLE_1)
	s_and_b32 s2, vcc_lo, s2
	v_cndmask_b32_e64 v4, 0, 1, s2
	s_delay_alu instid0(VALU_DEP_1)
	v_add_nc_u32_e32 v2, v2, v4
; %bb.843:
	s_or_b32 exec_lo, exec_lo, s3
	s_mov_b32 s3, -1
	s_mov_b32 s2, 0
	global_store_b8 v[5:6], v2, off
.LBB233_844:
	s_mov_b32 s23, 0
.LBB233_845:
	s_delay_alu instid0(SALU_CYCLE_1)
	s_and_b32 vcc_lo, exec_lo, s23
	s_cbranch_vccz .LBB233_848
; %bb.846:
	v_cmp_eq_u16_e32 vcc_lo, 29, v0
	s_mov_b32 s2, -1
	s_cbranch_vccz .LBB233_848
; %bb.847:
	v_trunc_f32_e32 v2, v3
	s_mov_b32 s3, -1
	s_mov_b32 s2, 0
	s_mov_b32 s23, 0
	s_delay_alu instid0(VALU_DEP_1) | instskip(NEXT) | instid1(VALU_DEP_1)
	v_mul_f32_e32 v4, 0x2f800000, v2
	v_floor_f32_e32 v4, v4
	s_delay_alu instid0(VALU_DEP_1) | instskip(SKIP_1) | instid1(VALU_DEP_2)
	v_fmamk_f32 v2, v4, 0xcf800000, v2
	v_cvt_u32_f32_e32 v11, v4
	v_cvt_u32_f32_e32 v10, v2
	global_store_b64 v[5:6], v[10:11], off
	s_branch .LBB233_849
.LBB233_848:
	s_mov_b32 s23, 0
.LBB233_849:
	s_delay_alu instid0(SALU_CYCLE_1)
	s_and_b32 vcc_lo, exec_lo, s23
	s_cbranch_vccz .LBB233_865
; %bb.850:
	v_cmp_gt_i16_e32 vcc_lo, 27, v0
	s_mov_b32 s3, -1
	s_cbranch_vccnz .LBB233_856
; %bb.851:
	v_cmp_lt_i16_e32 vcc_lo, 27, v0
	s_cbranch_vccz .LBB233_853
; %bb.852:
	v_cvt_u32_f32_e32 v2, v3
	s_mov_b32 s3, 0
	global_store_b32 v[5:6], v2, off
.LBB233_853:
	s_and_not1_b32 vcc_lo, exec_lo, s3
	s_cbranch_vccnz .LBB233_855
; %bb.854:
	v_cvt_u32_f32_e32 v2, v3
	global_store_b16 v[5:6], v2, off
.LBB233_855:
	s_mov_b32 s3, 0
.LBB233_856:
	s_delay_alu instid0(SALU_CYCLE_1)
	s_and_not1_b32 vcc_lo, exec_lo, s3
	s_cbranch_vccnz .LBB233_864
; %bb.857:
	v_and_b32_e32 v2, 0x7fffffff, v3
	v_mov_b32_e32 v4, 0x80
	s_mov_b32 s3, exec_lo
	s_delay_alu instid0(VALU_DEP_2)
	v_cmpx_gt_u32_e32 0x43800000, v2
	s_cbranch_execz .LBB233_863
; %bb.858:
	v_cmp_lt_u32_e32 vcc_lo, 0x3bffffff, v2
	s_mov_b32 s23, 0
                                        ; implicit-def: $vgpr2
	s_and_saveexec_b32 s41, vcc_lo
	s_delay_alu instid0(SALU_CYCLE_1)
	s_xor_b32 s41, exec_lo, s41
	s_cbranch_execz .LBB233_937
; %bb.859:
	v_bfe_u32 v2, v3, 20, 1
	s_mov_b32 s23, exec_lo
	s_delay_alu instid0(VALU_DEP_1) | instskip(NEXT) | instid1(VALU_DEP_1)
	v_add3_u32 v2, v3, v2, 0x487ffff
	v_lshrrev_b32_e32 v2, 20, v2
	s_or_saveexec_b32 s41, s41
                                        ; implicit-def: $sgpr42
	s_delay_alu instid0(SALU_CYCLE_1)
	s_xor_b32 exec_lo, exec_lo, s41
	s_cbranch_execnz .LBB233_938
.LBB233_860:
	s_or_b32 exec_lo, exec_lo, s41
	v_mov_b32_e32 v4, s42
	s_and_saveexec_b32 s41, s23
.LBB233_861:
	v_lshrrev_b32_e32 v4, 24, v3
	s_delay_alu instid0(VALU_DEP_1)
	v_and_or_b32 v4, 0x80, v4, v2
.LBB233_862:
	s_or_b32 exec_lo, exec_lo, s41
.LBB233_863:
	s_delay_alu instid0(SALU_CYCLE_1)
	s_or_b32 exec_lo, exec_lo, s3
	global_store_b8 v[5:6], v4, off
.LBB233_864:
	s_mov_b32 s3, -1
.LBB233_865:
	s_mov_b32 s23, 0
.LBB233_866:
	s_delay_alu instid0(SALU_CYCLE_1)
	s_and_b32 vcc_lo, exec_lo, s23
	s_cbranch_vccz .LBB233_907
; %bb.867:
	v_cmp_lt_i16_e32 vcc_lo, 22, v0
	s_mov_b32 s23, -1
	s_cbranch_vccz .LBB233_899
; %bb.868:
	v_cmp_gt_i16_e32 vcc_lo, 24, v0
	s_mov_b32 s3, -1
	s_cbranch_vccnz .LBB233_888
; %bb.869:
	v_cmp_lt_i16_e32 vcc_lo, 24, v0
	s_cbranch_vccz .LBB233_877
; %bb.870:
	v_and_b32_e32 v2, 0x7fffffff, v3
	v_mov_b32_e32 v4, 0x80
	s_mov_b32 s3, exec_lo
	s_delay_alu instid0(VALU_DEP_2)
	v_cmpx_gt_u32_e32 0x47800000, v2
	s_cbranch_execz .LBB233_876
; %bb.871:
	v_cmp_lt_u32_e32 vcc_lo, 0x37ffffff, v2
	s_mov_b32 s23, 0
                                        ; implicit-def: $vgpr2
	s_and_saveexec_b32 s41, vcc_lo
	s_delay_alu instid0(SALU_CYCLE_1)
	s_xor_b32 s41, exec_lo, s41
	s_cbranch_execz .LBB233_940
; %bb.872:
	v_bfe_u32 v2, v3, 21, 1
	s_mov_b32 s23, exec_lo
	s_delay_alu instid0(VALU_DEP_1) | instskip(NEXT) | instid1(VALU_DEP_1)
	v_add3_u32 v2, v3, v2, 0x88fffff
	v_lshrrev_b32_e32 v2, 21, v2
	s_or_saveexec_b32 s41, s41
                                        ; implicit-def: $sgpr42
	s_delay_alu instid0(SALU_CYCLE_1)
	s_xor_b32 exec_lo, exec_lo, s41
	s_cbranch_execnz .LBB233_941
.LBB233_873:
	s_or_b32 exec_lo, exec_lo, s41
	v_mov_b32_e32 v4, s42
	s_and_saveexec_b32 s41, s23
.LBB233_874:
	v_lshrrev_b32_e32 v4, 24, v3
	s_delay_alu instid0(VALU_DEP_1)
	v_and_or_b32 v4, 0x80, v4, v2
.LBB233_875:
	s_or_b32 exec_lo, exec_lo, s41
.LBB233_876:
	s_delay_alu instid0(SALU_CYCLE_1)
	s_or_b32 exec_lo, exec_lo, s3
	s_mov_b32 s3, 0
	global_store_b8 v[5:6], v4, off
.LBB233_877:
	s_and_b32 vcc_lo, exec_lo, s3
	s_cbranch_vccz .LBB233_887
; %bb.878:
	v_and_b32_e32 v4, 0x7fffffff, v3
	s_mov_b32 s3, exec_lo
                                        ; implicit-def: $vgpr2
	s_delay_alu instid0(VALU_DEP_1)
	v_cmpx_gt_u32_e32 0x43f00000, v4
	s_xor_b32 s3, exec_lo, s3
	s_cbranch_execz .LBB233_884
; %bb.879:
	s_mov_b32 s23, exec_lo
                                        ; implicit-def: $vgpr2
	v_cmpx_lt_u32_e32 0x3c7fffff, v4
	s_xor_b32 s23, exec_lo, s23
; %bb.880:
	v_bfe_u32 v2, v3, 20, 1
	s_delay_alu instid0(VALU_DEP_1) | instskip(NEXT) | instid1(VALU_DEP_1)
	v_add3_u32 v2, v3, v2, 0x407ffff
	v_and_b32_e32 v4, 0xff00000, v2
	v_lshrrev_b32_e32 v2, 20, v2
	s_delay_alu instid0(VALU_DEP_2) | instskip(NEXT) | instid1(VALU_DEP_2)
	v_cmp_ne_u32_e32 vcc_lo, 0x7f00000, v4
	v_cndmask_b32_e32 v2, 0x7e, v2, vcc_lo
; %bb.881:
	s_and_not1_saveexec_b32 s23, s23
; %bb.882:
	v_add_f32_e64 v2, 0x46800000, |v3|
; %bb.883:
	s_or_b32 exec_lo, exec_lo, s23
                                        ; implicit-def: $vgpr4
.LBB233_884:
	s_and_not1_saveexec_b32 s3, s3
; %bb.885:
	v_mov_b32_e32 v2, 0x7f
	v_cmp_lt_u32_e32 vcc_lo, 0x7f800000, v4
	s_delay_alu instid0(VALU_DEP_2)
	v_cndmask_b32_e32 v2, 0x7e, v2, vcc_lo
; %bb.886:
	s_or_b32 exec_lo, exec_lo, s3
	v_lshrrev_b32_e32 v4, 24, v3
	s_delay_alu instid0(VALU_DEP_1)
	v_and_or_b32 v2, 0x80, v4, v2
	global_store_b8 v[5:6], v2, off
.LBB233_887:
	s_mov_b32 s3, 0
.LBB233_888:
	s_delay_alu instid0(SALU_CYCLE_1)
	s_and_not1_b32 vcc_lo, exec_lo, s3
	s_cbranch_vccnz .LBB233_898
; %bb.889:
	v_and_b32_e32 v4, 0x7fffffff, v3
	s_mov_b32 s3, exec_lo
                                        ; implicit-def: $vgpr2
	s_delay_alu instid0(VALU_DEP_1)
	v_cmpx_gt_u32_e32 0x47800000, v4
	s_xor_b32 s3, exec_lo, s3
	s_cbranch_execz .LBB233_895
; %bb.890:
	s_mov_b32 s23, exec_lo
                                        ; implicit-def: $vgpr2
	v_cmpx_lt_u32_e32 0x387fffff, v4
	s_xor_b32 s23, exec_lo, s23
; %bb.891:
	v_bfe_u32 v2, v3, 21, 1
	s_delay_alu instid0(VALU_DEP_1) | instskip(NEXT) | instid1(VALU_DEP_1)
	v_add3_u32 v2, v3, v2, 0x80fffff
	v_lshrrev_b32_e32 v2, 21, v2
; %bb.892:
	s_and_not1_saveexec_b32 s23, s23
; %bb.893:
	v_add_f32_e64 v2, 0x43000000, |v3|
; %bb.894:
	s_or_b32 exec_lo, exec_lo, s23
                                        ; implicit-def: $vgpr4
.LBB233_895:
	s_and_not1_saveexec_b32 s3, s3
; %bb.896:
	v_mov_b32_e32 v2, 0x7f
	v_cmp_lt_u32_e32 vcc_lo, 0x7f800000, v4
	s_delay_alu instid0(VALU_DEP_2)
	v_cndmask_b32_e32 v2, 0x7c, v2, vcc_lo
; %bb.897:
	s_or_b32 exec_lo, exec_lo, s3
	v_lshrrev_b32_e32 v4, 24, v3
	s_delay_alu instid0(VALU_DEP_1)
	v_and_or_b32 v2, 0x80, v4, v2
	global_store_b8 v[5:6], v2, off
.LBB233_898:
	s_mov_b32 s23, 0
	s_mov_b32 s3, -1
.LBB233_899:
	s_and_not1_b32 vcc_lo, exec_lo, s23
	s_cbranch_vccnz .LBB233_907
; %bb.900:
	v_cmp_lt_i16_e32 vcc_lo, 14, v0
	s_mov_b32 s23, -1
	s_cbranch_vccz .LBB233_904
; %bb.901:
	v_cmp_eq_u16_e32 vcc_lo, 15, v0
	s_mov_b32 s2, -1
	s_cbranch_vccz .LBB233_903
; %bb.902:
	v_bfe_u32 v2, v3, 16, 1
	v_cmp_o_f32_e32 vcc_lo, v3, v3
	s_mov_b32 s3, -1
	s_mov_b32 s2, 0
	s_delay_alu instid0(VALU_DEP_2) | instskip(NEXT) | instid1(VALU_DEP_1)
	v_add3_u32 v2, v3, v2, 0x7fff
	v_lshrrev_b32_e32 v2, 16, v2
	s_delay_alu instid0(VALU_DEP_1)
	v_cndmask_b32_e32 v2, 0x7fc0, v2, vcc_lo
	global_store_b16 v[5:6], v2, off
.LBB233_903:
	s_mov_b32 s23, 0
.LBB233_904:
	s_delay_alu instid0(SALU_CYCLE_1)
	s_and_b32 vcc_lo, exec_lo, s23
	s_cbranch_vccz .LBB233_907
; %bb.905:
	v_cmp_eq_u16_e32 vcc_lo, 11, v0
	s_mov_b32 s2, -1
	s_cbranch_vccz .LBB233_907
; %bb.906:
	v_cmp_neq_f32_e32 vcc_lo, 0, v3
	v_cmp_neq_f32_e64 s2, 0, v1
	s_mov_b32 s3, -1
	s_delay_alu instid0(VALU_DEP_1) | instskip(NEXT) | instid1(SALU_CYCLE_1)
	s_or_b32 s2, vcc_lo, s2
	v_cndmask_b32_e64 v2, 0, 1, s2
	s_mov_b32 s2, 0
	global_store_b8 v[5:6], v2, off
.LBB233_907:
.LBB233_908:
	s_and_not1_b32 vcc_lo, exec_lo, s3
	s_cbranch_vccnz .LBB233_833
.LBB233_909:
	v_add_nc_u32_e32 v9, 0x80, v9
	s_mov_b32 s3, -1
.LBB233_910:
	s_and_not1_b32 s23, s38, exec_lo
	s_and_b32 s2, s2, exec_lo
	s_and_not1_b32 s41, s37, exec_lo
	s_and_b32 s22, s22, exec_lo
	s_or_b32 s23, s23, s2
	s_or_b32 s22, s41, s22
	s_or_not1_b32 s42, s3, exec_lo
.LBB233_911:
	s_or_b32 exec_lo, exec_lo, s40
	s_mov_b32 s2, 0
	s_mov_b32 s3, 0
	;; [unrolled: 1-line block ×3, first 2 shown]
                                        ; implicit-def: $vgpr3_vgpr4
                                        ; implicit-def: $vgpr2
                                        ; implicit-def: $vgpr1
	s_and_saveexec_b32 s40, s42
	s_cbranch_execz .LBB233_1012
; %bb.912:
	v_cmp_gt_i32_e32 vcc_lo, s30, v9
	s_mov_b32 s43, s22
	s_mov_b32 s42, 0
                                        ; implicit-def: $vgpr3_vgpr4
                                        ; implicit-def: $vgpr2
                                        ; implicit-def: $vgpr1
	s_and_saveexec_b32 s30, vcc_lo
	s_cbranch_execz .LBB233_1011
; %bb.913:
	s_and_not1_b32 vcc_lo, exec_lo, s27
	s_cbranch_vccnz .LBB233_918
; %bb.914:
	v_mov_b32_e32 v2, 0
	s_waitcnt vmcnt(0)
	v_mov_b32_e32 v0, 0
	s_and_not1_b32 vcc_lo, exec_lo, s33
	s_mov_b32 s33, 0
	s_cbranch_vccnz .LBB233_923
; %bb.915:
	v_mov_b32_e32 v2, 0
	s_add_i32 s41, s31, 1
	s_cmp_eq_u32 s25, 2
	s_mov_b32 s31, 0
	s_cbranch_scc1 .LBB233_919
; %bb.916:
	v_dual_mov_b32 v0, 0 :: v_dual_mov_b32 v1, v9
	v_mov_b32_e32 v2, 0
	s_and_b32 s31, s41, 28
	s_mov_b64 s[2:3], s[16:17]
.LBB233_917:                            ; =>This Inner Loop Header: Depth=1
	s_clause 0x1
	s_load_b256 s[44:51], s[2:3], 0x4
	s_load_b128 s[60:63], s[2:3], 0x24
	s_load_b256 s[52:59], s[20:21], 0x0
	s_add_u32 s2, s2, 48
	s_addc_u32 s3, s3, 0
	s_add_i32 s42, s42, 4
	s_add_u32 s20, s20, 32
	s_addc_u32 s21, s21, 0
	s_cmp_eq_u32 s31, s42
	s_waitcnt lgkmcnt(0)
	v_mul_hi_u32 v3, s45, v1
	s_delay_alu instid0(VALU_DEP_1) | instskip(NEXT) | instid1(VALU_DEP_1)
	v_add_nc_u32_e32 v3, v1, v3
	v_lshrrev_b32_e32 v3, s46, v3
	s_delay_alu instid0(VALU_DEP_1) | instskip(SKIP_1) | instid1(VALU_DEP_2)
	v_mul_hi_u32 v4, s48, v3
	v_mul_lo_u32 v6, v3, s44
	v_add_nc_u32_e32 v4, v3, v4
	s_delay_alu instid0(VALU_DEP_2) | instskip(NEXT) | instid1(VALU_DEP_2)
	v_sub_nc_u32_e32 v1, v1, v6
	v_lshrrev_b32_e32 v4, s49, v4
	s_delay_alu instid0(VALU_DEP_2) | instskip(SKIP_1) | instid1(VALU_DEP_3)
	v_mul_lo_u32 v6, v1, s52
	v_mul_lo_u32 v11, v1, s53
	v_mul_hi_u32 v5, s51, v4
	s_delay_alu instid0(VALU_DEP_1) | instskip(NEXT) | instid1(VALU_DEP_1)
	v_add_nc_u32_e32 v5, v4, v5
	v_lshrrev_b32_e32 v5, s60, v5
	s_delay_alu instid0(VALU_DEP_1) | instskip(SKIP_1) | instid1(VALU_DEP_2)
	v_mul_hi_u32 v10, s62, v5
	v_mul_lo_u32 v12, v5, s50
	v_add_nc_u32_e32 v1, v5, v10
	v_mul_lo_u32 v10, v4, s47
	s_delay_alu instid0(VALU_DEP_3) | instskip(NEXT) | instid1(VALU_DEP_3)
	v_sub_nc_u32_e32 v4, v4, v12
	v_lshrrev_b32_e32 v1, s63, v1
	s_delay_alu instid0(VALU_DEP_2) | instskip(SKIP_2) | instid1(VALU_DEP_4)
	v_mul_lo_u32 v12, v4, s56
	v_mul_lo_u32 v4, v4, s57
	v_sub_nc_u32_e32 v3, v3, v10
	v_mul_lo_u32 v13, v1, s61
	s_delay_alu instid0(VALU_DEP_2) | instskip(SKIP_1) | instid1(VALU_DEP_3)
	v_mul_lo_u32 v10, v3, s54
	v_mul_lo_u32 v3, v3, s55
	v_sub_nc_u32_e32 v5, v5, v13
	s_delay_alu instid0(VALU_DEP_3) | instskip(NEXT) | instid1(VALU_DEP_2)
	v_add3_u32 v2, v6, v2, v10
	v_mul_lo_u32 v13, v5, s58
	v_mul_lo_u32 v5, v5, s59
	v_add3_u32 v0, v11, v0, v3
	s_delay_alu instid0(VALU_DEP_3) | instskip(NEXT) | instid1(VALU_DEP_2)
	v_add3_u32 v2, v12, v2, v13
	v_add3_u32 v0, v4, v0, v5
	s_cbranch_scc0 .LBB233_917
	s_branch .LBB233_920
.LBB233_918:
	s_mov_b32 s33, -1
                                        ; implicit-def: $vgpr2
                                        ; implicit-def: $vgpr0
	s_branch .LBB233_923
.LBB233_919:
	v_dual_mov_b32 v1, v9 :: v_dual_mov_b32 v0, 0
.LBB233_920:
	s_and_b32 s41, s41, 3
	s_delay_alu instid0(SALU_CYCLE_1)
	s_cmp_eq_u32 s41, 0
	s_cbranch_scc1 .LBB233_923
; %bb.921:
	s_lshl_b32 s2, s31, 3
	s_mul_i32 s20, s31, 12
	s_add_u32 s2, s2, s16
	s_addc_u32 s3, s17, 0
	s_add_u32 s2, s2, 0xc4
	s_addc_u32 s3, s3, 0
	;; [unrolled: 2-line block ×3, first 2 shown]
.LBB233_922:                            ; =>This Inner Loop Header: Depth=1
	s_clause 0x1
	s_load_b64 s[42:43], s[20:21], 0x4
	s_load_b32 s31, s[20:21], 0xc
	s_load_b64 s[44:45], s[2:3], 0x0
	s_add_u32 s20, s20, 12
	s_addc_u32 s21, s21, 0
	s_add_u32 s2, s2, 8
	s_addc_u32 s3, s3, 0
	s_add_i32 s41, s41, -1
	s_delay_alu instid0(SALU_CYCLE_1) | instskip(SKIP_2) | instid1(VALU_DEP_1)
	s_cmp_lg_u32 s41, 0
	s_waitcnt lgkmcnt(0)
	v_mul_hi_u32 v3, s43, v1
	v_add_nc_u32_e32 v3, v1, v3
	s_delay_alu instid0(VALU_DEP_1) | instskip(NEXT) | instid1(VALU_DEP_1)
	v_lshrrev_b32_e32 v6, s31, v3
	v_mul_lo_u32 v3, v6, s42
	s_delay_alu instid0(VALU_DEP_1) | instskip(NEXT) | instid1(VALU_DEP_1)
	v_sub_nc_u32_e32 v1, v1, v3
	v_mad_u64_u32 v[3:4], null, v1, s44, v[2:3]
	v_mad_u64_u32 v[4:5], null, v1, s45, v[0:1]
	s_delay_alu instid0(VALU_DEP_2) | instskip(NEXT) | instid1(VALU_DEP_2)
	v_dual_mov_b32 v1, v6 :: v_dual_mov_b32 v2, v3
	v_mov_b32_e32 v0, v4
	s_cbranch_scc1 .LBB233_922
.LBB233_923:
	s_and_not1_b32 vcc_lo, exec_lo, s33
	s_cbranch_vccnz .LBB233_926
; %bb.924:
	s_waitcnt vmcnt(0) lgkmcnt(0)
	v_mul_hi_u32 v0, s13, v9
	s_and_not1_b32 vcc_lo, exec_lo, s29
	s_delay_alu instid0(VALU_DEP_1) | instskip(NEXT) | instid1(VALU_DEP_1)
	v_add_nc_u32_e32 v0, v9, v0
	v_lshrrev_b32_e32 v1, s14, v0
	s_delay_alu instid0(VALU_DEP_1) | instskip(NEXT) | instid1(VALU_DEP_1)
	v_mul_lo_u32 v0, v1, s12
	v_sub_nc_u32_e32 v0, v9, v0
	s_delay_alu instid0(VALU_DEP_1)
	v_mul_lo_u32 v2, v0, s8
	v_mul_lo_u32 v0, v0, s9
	s_cbranch_vccnz .LBB233_926
; %bb.925:
	v_mul_hi_u32 v3, s18, v1
	s_delay_alu instid0(VALU_DEP_1) | instskip(NEXT) | instid1(VALU_DEP_1)
	v_add_nc_u32_e32 v3, v1, v3
	v_lshrrev_b32_e32 v3, s19, v3
	s_delay_alu instid0(VALU_DEP_1) | instskip(NEXT) | instid1(VALU_DEP_1)
	v_mul_lo_u32 v3, v3, s15
	v_sub_nc_u32_e32 v5, v1, v3
	s_delay_alu instid0(VALU_DEP_1) | instskip(SKIP_1) | instid1(VALU_DEP_2)
	v_mad_u64_u32 v[3:4], null, v5, s10, v[2:3]
	v_mad_u64_u32 v[1:2], null, v5, s11, v[0:1]
	v_mov_b32_e32 v2, v3
	s_delay_alu instid0(VALU_DEP_2)
	v_mov_b32_e32 v0, v1
.LBB233_926:
	v_cmp_gt_i16_e32 vcc_lo, 11, v8
	s_waitcnt vmcnt(0) lgkmcnt(0)
	s_delay_alu instid0(VALU_DEP_2) | instskip(NEXT) | instid1(VALU_DEP_1)
	v_add_co_u32 v3, s2, s6, v0
	v_add_co_ci_u32_e64 v4, null, s7, 0, s2
	s_mov_b32 s6, 0
	s_cbranch_vccnz .LBB233_933
; %bb.927:
	v_cmp_lt_i16_e32 vcc_lo, 25, v8
	s_mov_b32 s3, 0
	s_cbranch_vccz .LBB233_934
; %bb.928:
	v_cmp_lt_i16_e32 vcc_lo, 28, v8
	s_cbranch_vccz .LBB233_935
; %bb.929:
	v_cmp_lt_i16_e32 vcc_lo, 43, v8
	;; [unrolled: 3-line block ×3, first 2 shown]
	s_cbranch_vccz .LBB233_939
; %bb.931:
	v_cmp_eq_u16_e32 vcc_lo, 46, v8
	s_mov_b32 s7, 0
	s_cbranch_vccz .LBB233_942
; %bb.932:
	global_load_b32 v0, v[3:4], off
	s_mov_b32 s2, 0
	s_mov_b32 s6, -1
	s_waitcnt vmcnt(0)
	v_and_b32_e32 v1, 0xffff0000, v0
	v_lshlrev_b32_e32 v0, 16, v0
	s_branch .LBB233_944
.LBB233_933:
	s_mov_b32 s7, -1
	s_mov_b32 s3, 0
	s_mov_b32 s2, s22
                                        ; implicit-def: $vgpr1
	s_branch .LBB233_1010
.LBB233_934:
	s_mov_b32 s7, -1
	s_mov_b32 s2, s22
                                        ; implicit-def: $vgpr1
	s_branch .LBB233_977
.LBB233_935:
	s_mov_b32 s7, -1
	s_mov_b32 s2, s22
                                        ; implicit-def: $vgpr1
	s_branch .LBB233_956
.LBB233_936:
	s_mov_b32 s7, -1
	s_mov_b32 s2, s22
                                        ; implicit-def: $vgpr1
	s_branch .LBB233_950
.LBB233_937:
	s_or_saveexec_b32 s41, s41
                                        ; implicit-def: $sgpr42
	s_delay_alu instid0(SALU_CYCLE_1)
	s_xor_b32 exec_lo, exec_lo, s41
	s_cbranch_execz .LBB233_860
.LBB233_938:
	v_add_f32_e64 v2, 0x46000000, |v3|
	s_and_not1_b32 s23, s23, exec_lo
	s_mov_b32 s42, 0
	s_delay_alu instid0(VALU_DEP_1) | instskip(NEXT) | instid1(VALU_DEP_1)
	v_and_b32_e32 v2, 0xff, v2
	v_cmp_ne_u32_e32 vcc_lo, 0, v2
	s_and_b32 s43, vcc_lo, exec_lo
	s_delay_alu instid0(SALU_CYCLE_1)
	s_or_b32 s23, s23, s43
	s_or_b32 exec_lo, exec_lo, s41
	v_mov_b32_e32 v4, s42
	s_and_saveexec_b32 s41, s23
	s_cbranch_execnz .LBB233_861
	s_branch .LBB233_862
.LBB233_939:
	s_mov_b32 s7, -1
	s_mov_b32 s2, s22
	s_branch .LBB233_943
.LBB233_940:
	s_or_saveexec_b32 s41, s41
                                        ; implicit-def: $sgpr42
	s_delay_alu instid0(SALU_CYCLE_1)
	s_xor_b32 exec_lo, exec_lo, s41
	s_cbranch_execz .LBB233_873
.LBB233_941:
	v_add_f32_e64 v2, 0x42800000, |v3|
	s_and_not1_b32 s23, s23, exec_lo
	s_mov_b32 s42, 0
	s_delay_alu instid0(VALU_DEP_1) | instskip(NEXT) | instid1(VALU_DEP_1)
	v_and_b32_e32 v2, 0xff, v2
	v_cmp_ne_u32_e32 vcc_lo, 0, v2
	s_and_b32 s43, vcc_lo, exec_lo
	s_delay_alu instid0(SALU_CYCLE_1)
	s_or_b32 s23, s23, s43
	s_or_b32 exec_lo, exec_lo, s41
	v_mov_b32_e32 v4, s42
	s_and_saveexec_b32 s41, s23
	s_cbranch_execnz .LBB233_874
	s_branch .LBB233_875
.LBB233_942:
	s_mov_b32 s2, -1
.LBB233_943:
                                        ; implicit-def: $vgpr1
.LBB233_944:
	s_and_b32 vcc_lo, exec_lo, s7
	s_cbranch_vccz .LBB233_949
; %bb.945:
	v_cmp_eq_u16_e32 vcc_lo, 44, v8
	s_cbranch_vccz .LBB233_947
; %bb.946:
	global_load_u8 v0, v[3:4], off
	s_mov_b32 s2, 0
	s_mov_b32 s6, -1
	s_waitcnt vmcnt(0)
	v_lshlrev_b32_e32 v1, 23, v0
	v_cmp_ne_u32_e32 vcc_lo, 0xff, v0
	s_delay_alu instid0(VALU_DEP_2) | instskip(SKIP_1) | instid1(VALU_DEP_2)
	v_cndmask_b32_e32 v1, 0x7f800001, v1, vcc_lo
	v_cmp_ne_u32_e32 vcc_lo, 0, v0
	v_cndmask_b32_e32 v0, 0x400000, v1, vcc_lo
	s_branch .LBB233_948
.LBB233_947:
	s_mov_b32 s2, -1
                                        ; implicit-def: $vgpr0
.LBB233_948:
	s_delay_alu instid0(SALU_CYCLE_1)
	v_mov_b32_e32 v1, s2
.LBB233_949:
	s_mov_b32 s7, 0
.LBB233_950:
	s_delay_alu instid0(SALU_CYCLE_1)
	s_and_b32 vcc_lo, exec_lo, s7
	s_cbranch_vccz .LBB233_955
; %bb.951:
	v_cmp_eq_u16_e32 vcc_lo, 29, v8
	s_cbranch_vccz .LBB233_953
; %bb.952:
	global_load_b64 v[0:1], v[3:4], off
	s_mov_b32 s2, 0
	s_mov_b32 s6, -1
	s_mov_b32 s7, 0
	s_waitcnt vmcnt(0)
	v_clz_i32_u32_e32 v5, v1
	s_delay_alu instid0(VALU_DEP_1) | instskip(NEXT) | instid1(VALU_DEP_1)
	v_min_u32_e32 v5, 32, v5
	v_lshlrev_b64 v[0:1], v5, v[0:1]
	s_delay_alu instid0(VALU_DEP_1) | instskip(NEXT) | instid1(VALU_DEP_1)
	v_min_u32_e32 v0, 1, v0
	v_or_b32_e32 v0, v1, v0
	v_sub_nc_u32_e32 v1, 32, v5
	s_delay_alu instid0(VALU_DEP_2) | instskip(NEXT) | instid1(VALU_DEP_1)
	v_cvt_f32_u32_e32 v0, v0
	v_ldexp_f32 v0, v0, v1
	s_branch .LBB233_954
.LBB233_953:
	s_mov_b32 s2, -1
                                        ; implicit-def: $sgpr7
                                        ; implicit-def: $vgpr0
.LBB233_954:
	v_mov_b32_e32 v1, s7
.LBB233_955:
	s_mov_b32 s7, 0
.LBB233_956:
	s_delay_alu instid0(SALU_CYCLE_1)
	s_and_b32 vcc_lo, exec_lo, s7
	s_cbranch_vccz .LBB233_976
; %bb.957:
	v_cmp_gt_i16_e32 vcc_lo, 27, v8
	s_cbranch_vccnz .LBB233_960
; %bb.958:
	v_cmp_lt_i16_e32 vcc_lo, 27, v8
	s_cbranch_vccz .LBB233_961
; %bb.959:
	global_load_b32 v0, v[3:4], off
	s_mov_b32 s7, 0
	s_mov_b32 s6, 0
	s_waitcnt vmcnt(0)
	v_cvt_f32_u32_e32 v0, v0
	s_branch .LBB233_962
.LBB233_960:
	s_mov_b32 s7, -1
                                        ; implicit-def: $sgpr6
                                        ; implicit-def: $vgpr0
	s_branch .LBB233_965
.LBB233_961:
	s_mov_b32 s7, -1
                                        ; implicit-def: $sgpr6
                                        ; implicit-def: $vgpr0
.LBB233_962:
	s_delay_alu instid0(SALU_CYCLE_1)
	s_and_not1_b32 vcc_lo, exec_lo, s7
	s_cbranch_vccnz .LBB233_964
; %bb.963:
	global_load_u16 v0, v[3:4], off
	s_mov_b32 s6, 0
	s_waitcnt vmcnt(0)
	v_cvt_f32_u32_e32 v0, v0
.LBB233_964:
	s_mov_b32 s7, 0
.LBB233_965:
	v_mov_b32_e32 v1, s6
	s_and_not1_b32 vcc_lo, exec_lo, s7
	s_cbranch_vccnz .LBB233_975
; %bb.966:
	global_load_u8 v5, v[3:4], off
	s_mov_b32 s6, 0
	s_mov_b32 s9, exec_lo
                                        ; implicit-def: $sgpr8
                                        ; implicit-def: $sgpr7
	s_waitcnt vmcnt(0)
	v_cmpx_lt_i16_e32 0x7f, v5
	s_xor_b32 s9, exec_lo, s9
	s_cbranch_execz .LBB233_970
; %bb.967:
	s_mov_b32 s6, -1
	s_mov_b32 s10, exec_lo
                                        ; implicit-def: $sgpr8
                                        ; implicit-def: $sgpr7
	v_cmpx_eq_u16_e32 0x80, v5
; %bb.968:
	s_mov_b32 s7, 0x7f800001
	s_mov_b32 s8, 0
	s_xor_b32 s6, exec_lo, -1
; %bb.969:
	s_or_b32 exec_lo, exec_lo, s10
	s_delay_alu instid0(SALU_CYCLE_1)
	s_and_b32 s6, s6, exec_lo
.LBB233_970:
	s_or_saveexec_b32 s9, s9
	v_dual_mov_b32 v1, s8 :: v_dual_mov_b32 v0, s7
	s_xor_b32 exec_lo, exec_lo, s9
; %bb.971:
	v_cmp_ne_u16_e32 vcc_lo, 0, v5
	v_dual_mov_b32 v1, 0 :: v_dual_mov_b32 v0, 0
	s_and_not1_b32 s6, s6, exec_lo
	s_and_b32 s7, vcc_lo, exec_lo
	s_delay_alu instid0(SALU_CYCLE_1)
	s_or_b32 s6, s6, s7
; %bb.972:
	s_or_b32 exec_lo, exec_lo, s9
	s_and_saveexec_b32 s7, s6
	s_cbranch_execz .LBB233_974
; %bb.973:
	v_and_b32_e32 v0, 0xffff, v5
	v_lshlrev_b32_e32 v5, 24, v5
	s_delay_alu instid0(VALU_DEP_2) | instskip(NEXT) | instid1(VALU_DEP_2)
	v_and_b32_e32 v1, 7, v0
	v_and_b32_e32 v5, 0x80000000, v5
	s_delay_alu instid0(VALU_DEP_2) | instskip(NEXT) | instid1(VALU_DEP_1)
	v_clz_i32_u32_e32 v6, v1
	v_min_u32_e32 v6, 32, v6
	s_delay_alu instid0(VALU_DEP_1) | instskip(SKIP_1) | instid1(VALU_DEP_2)
	v_subrev_nc_u32_e32 v9, 28, v6
	v_sub_nc_u32_e32 v6, 29, v6
	v_lshlrev_b32_e32 v9, v9, v0
	v_bfe_u32 v0, v0, 3, 4
	s_delay_alu instid0(VALU_DEP_2) | instskip(NEXT) | instid1(VALU_DEP_2)
	v_and_b32_e32 v9, 7, v9
	v_cmp_eq_u32_e32 vcc_lo, 0, v0
	s_delay_alu instid0(VALU_DEP_2) | instskip(NEXT) | instid1(VALU_DEP_1)
	v_dual_cndmask_b32 v0, v0, v6 :: v_dual_cndmask_b32 v1, v1, v9
	v_lshl_add_u32 v0, v0, 23, 0x3b800000
	s_delay_alu instid0(VALU_DEP_2) | instskip(NEXT) | instid1(VALU_DEP_1)
	v_lshlrev_b32_e32 v1, 20, v1
	v_or3_b32 v0, v5, v0, v1
	v_mov_b32_e32 v1, 0
.LBB233_974:
	s_or_b32 exec_lo, exec_lo, s7
.LBB233_975:
	s_mov_b32 s6, -1
.LBB233_976:
	s_mov_b32 s7, 0
.LBB233_977:
	s_delay_alu instid0(SALU_CYCLE_1)
	s_and_b32 vcc_lo, exec_lo, s7
	s_cbranch_vccz .LBB233_1009
; %bb.978:
	v_cmp_lt_i16_e32 vcc_lo, 22, v8
	s_cbranch_vccz .LBB233_990
; %bb.979:
	v_cmp_gt_i16_e32 vcc_lo, 24, v8
	s_cbranch_vccnz .LBB233_991
; %bb.980:
	v_cmp_lt_i16_e32 vcc_lo, 24, v8
	s_cbranch_vccz .LBB233_992
; %bb.981:
	global_load_u8 v5, v[3:4], off
	s_mov_b32 s8, exec_lo
                                        ; implicit-def: $sgpr7
                                        ; implicit-def: $sgpr6
	s_waitcnt vmcnt(0)
	v_cmpx_lt_i16_e32 0x7f, v5
	s_xor_b32 s8, exec_lo, s8
	s_cbranch_execz .LBB233_985
; %bb.982:
	s_mov_b32 s3, -1
	s_mov_b32 s9, exec_lo
                                        ; implicit-def: $sgpr7
                                        ; implicit-def: $sgpr6
	v_cmpx_eq_u16_e32 0x80, v5
; %bb.983:
	s_mov_b32 s6, 0x7f800001
	s_mov_b32 s7, 0
	s_xor_b32 s3, exec_lo, -1
; %bb.984:
	s_or_b32 exec_lo, exec_lo, s9
	s_delay_alu instid0(SALU_CYCLE_1)
	s_and_b32 s3, s3, exec_lo
.LBB233_985:
	s_or_saveexec_b32 s8, s8
	v_dual_mov_b32 v1, s7 :: v_dual_mov_b32 v0, s6
	s_xor_b32 exec_lo, exec_lo, s8
; %bb.986:
	v_cmp_ne_u16_e32 vcc_lo, 0, v5
	v_dual_mov_b32 v1, 0 :: v_dual_mov_b32 v0, 0
	s_and_not1_b32 s3, s3, exec_lo
	s_and_b32 s6, vcc_lo, exec_lo
	s_delay_alu instid0(SALU_CYCLE_1)
	s_or_b32 s3, s3, s6
; %bb.987:
	s_or_b32 exec_lo, exec_lo, s8
	s_and_saveexec_b32 s6, s3
	s_cbranch_execz .LBB233_989
; %bb.988:
	v_and_b32_e32 v0, 0xffff, v5
	v_lshlrev_b32_e32 v5, 24, v5
	s_delay_alu instid0(VALU_DEP_2) | instskip(NEXT) | instid1(VALU_DEP_2)
	v_and_b32_e32 v1, 3, v0
	v_and_b32_e32 v5, 0x80000000, v5
	s_delay_alu instid0(VALU_DEP_2) | instskip(NEXT) | instid1(VALU_DEP_1)
	v_clz_i32_u32_e32 v6, v1
	v_min_u32_e32 v6, 32, v6
	s_delay_alu instid0(VALU_DEP_1) | instskip(SKIP_1) | instid1(VALU_DEP_2)
	v_subrev_nc_u32_e32 v9, 29, v6
	v_sub_nc_u32_e32 v6, 30, v6
	v_lshlrev_b32_e32 v9, v9, v0
	v_bfe_u32 v0, v0, 2, 5
	s_delay_alu instid0(VALU_DEP_2) | instskip(NEXT) | instid1(VALU_DEP_2)
	v_and_b32_e32 v9, 3, v9
	v_cmp_eq_u32_e32 vcc_lo, 0, v0
	s_delay_alu instid0(VALU_DEP_2) | instskip(NEXT) | instid1(VALU_DEP_1)
	v_dual_cndmask_b32 v0, v0, v6 :: v_dual_cndmask_b32 v1, v1, v9
	v_lshl_add_u32 v0, v0, 23, 0x37800000
	s_delay_alu instid0(VALU_DEP_2) | instskip(NEXT) | instid1(VALU_DEP_1)
	v_lshlrev_b32_e32 v1, 21, v1
	v_or3_b32 v0, v5, v0, v1
	v_mov_b32_e32 v1, 0
.LBB233_989:
	s_or_b32 exec_lo, exec_lo, s6
	s_mov_b32 s3, 0
	s_branch .LBB233_993
.LBB233_990:
	s_mov_b32 s3, -1
                                        ; implicit-def: $vgpr1
	s_branch .LBB233_999
.LBB233_991:
	s_mov_b32 s3, -1
                                        ; implicit-def: $vgpr1
	s_branch .LBB233_996
.LBB233_992:
	s_mov_b32 s3, -1
                                        ; implicit-def: $vgpr1
.LBB233_993:
	s_delay_alu instid0(SALU_CYCLE_1)
	s_and_b32 vcc_lo, exec_lo, s3
	s_cbranch_vccz .LBB233_995
; %bb.994:
	global_load_u8 v0, v[3:4], off
	s_waitcnt vmcnt(0)
	v_lshlrev_b32_e32 v0, 24, v0
	s_delay_alu instid0(VALU_DEP_1) | instskip(NEXT) | instid1(VALU_DEP_1)
	v_and_b32_e32 v1, 0x7f000000, v0
	v_clz_i32_u32_e32 v5, v1
	v_add_nc_u32_e32 v9, 0x1000000, v1
	v_cmp_ne_u32_e32 vcc_lo, 0, v1
	s_delay_alu instid0(VALU_DEP_3) | instskip(NEXT) | instid1(VALU_DEP_1)
	v_min_u32_e32 v5, 32, v5
	v_sub_nc_u32_e64 v5, v5, 4 clamp
	s_delay_alu instid0(VALU_DEP_1) | instskip(SKIP_1) | instid1(VALU_DEP_2)
	v_lshlrev_b32_e32 v6, v5, v1
	v_lshlrev_b32_e32 v5, 23, v5
	v_lshrrev_b32_e32 v6, 4, v6
	s_delay_alu instid0(VALU_DEP_1) | instskip(SKIP_1) | instid1(VALU_DEP_2)
	v_sub_nc_u32_e32 v5, v6, v5
	v_ashrrev_i32_e32 v6, 8, v9
	v_add_nc_u32_e32 v5, 0x3c000000, v5
	s_delay_alu instid0(VALU_DEP_1) | instskip(NEXT) | instid1(VALU_DEP_1)
	v_and_or_b32 v5, 0x7f800000, v6, v5
	v_cndmask_b32_e32 v1, 0, v5, vcc_lo
	s_delay_alu instid0(VALU_DEP_1)
	v_and_or_b32 v0, 0x80000000, v0, v1
	v_mov_b32_e32 v1, 0
.LBB233_995:
	s_mov_b32 s3, 0
.LBB233_996:
	s_delay_alu instid0(SALU_CYCLE_1)
	s_and_not1_b32 vcc_lo, exec_lo, s3
	s_cbranch_vccnz .LBB233_998
; %bb.997:
	global_load_u8 v0, v[3:4], off
	s_waitcnt vmcnt(0)
	v_lshlrev_b32_e32 v1, 25, v0
	v_lshlrev_b16 v0, 8, v0
	s_delay_alu instid0(VALU_DEP_1) | instskip(SKIP_1) | instid1(VALU_DEP_2)
	v_and_or_b32 v6, 0x7f00, v0, 0.5
	v_bfe_i32 v0, v0, 0, 16
	v_add_f32_e32 v6, -0.5, v6
	v_lshrrev_b32_e32 v5, 4, v1
	v_cmp_gt_u32_e32 vcc_lo, 0x8000000, v1
	s_delay_alu instid0(VALU_DEP_2) | instskip(NEXT) | instid1(VALU_DEP_1)
	v_or_b32_e32 v5, 0x70000000, v5
	v_mul_f32_e32 v5, 0x7800000, v5
	s_delay_alu instid0(VALU_DEP_1) | instskip(NEXT) | instid1(VALU_DEP_1)
	v_cndmask_b32_e32 v1, v5, v6, vcc_lo
	v_and_or_b32 v0, 0x80000000, v0, v1
	v_mov_b32_e32 v1, 0
.LBB233_998:
	s_mov_b32 s3, 0
	s_mov_b32 s6, -1
.LBB233_999:
	s_and_not1_b32 vcc_lo, exec_lo, s3
	s_mov_b32 s3, 0
	s_cbranch_vccnz .LBB233_1009
; %bb.1000:
	v_cmp_lt_i16_e32 vcc_lo, 14, v8
	s_cbranch_vccz .LBB233_1003
; %bb.1001:
	v_cmp_eq_u16_e32 vcc_lo, 15, v8
	s_cbranch_vccz .LBB233_1004
; %bb.1002:
	global_load_u16 v0, v[3:4], off
	s_mov_b32 s2, 0
	s_mov_b32 s6, -1
	s_mov_b32 s7, 0
	s_waitcnt vmcnt(0)
	v_lshlrev_b32_e32 v0, 16, v0
	s_branch .LBB233_1006
.LBB233_1003:
	s_mov_b32 s3, -1
	s_branch .LBB233_1005
.LBB233_1004:
	s_mov_b32 s2, -1
.LBB233_1005:
                                        ; implicit-def: $sgpr7
                                        ; implicit-def: $vgpr0
.LBB233_1006:
	s_and_b32 vcc_lo, exec_lo, s3
	s_mov_b32 s3, 0
	s_cbranch_vccz .LBB233_1008
; %bb.1007:
	v_cmp_ne_u16_e32 vcc_lo, 11, v8
	s_and_not1_b32 s2, s2, exec_lo
	s_mov_b32 s3, -1
                                        ; implicit-def: $vgpr0
	s_and_b32 s7, vcc_lo, exec_lo
	s_delay_alu instid0(SALU_CYCLE_1)
	s_or_b32 s2, s2, s7
                                        ; implicit-def: $sgpr7
.LBB233_1008:
	v_mov_b32_e32 v1, s7
.LBB233_1009:
	s_mov_b32 s7, 0
.LBB233_1010:
	s_and_b32 s41, s6, exec_lo
	s_and_b32 s42, s7, exec_lo
	s_and_not1_b32 s6, s22, exec_lo
	s_and_b32 s7, s2, exec_lo
	s_and_b32 s2, s3, exec_lo
	s_or_b32 s43, s6, s7
.LBB233_1011:
	s_or_b32 exec_lo, exec_lo, s30
	s_waitcnt lgkmcnt(0)
	s_and_not1_b32 s6, s22, exec_lo
	s_and_b32 s7, s43, exec_lo
	s_and_b32 s41, s41, exec_lo
	;; [unrolled: 1-line block ×4, first 2 shown]
	s_or_b32 s22, s6, s7
.LBB233_1012:
	s_or_b32 exec_lo, exec_lo, s40
	s_waitcnt lgkmcnt(0)
	s_and_not1_b32 s6, s38, exec_lo
	s_and_b32 s7, s23, exec_lo
	s_and_b32 s40, s41, exec_lo
	s_or_b32 s38, s6, s7
	s_and_not1_b32 s6, s37, exec_lo
	s_and_b32 s7, s22, exec_lo
	s_and_b32 s23, s3, exec_lo
	;; [unrolled: 1-line block ×3, first 2 shown]
	s_or_b32 s37, s6, s7
.LBB233_1013:
	s_or_b32 exec_lo, exec_lo, s39
	s_delay_alu instid0(SALU_CYCLE_1)
	s_and_not1_b32 s2, s34, exec_lo
	s_waitcnt lgkmcnt(0)
	s_and_b32 s6, s38, exec_lo
	s_and_b32 s7, s37, exec_lo
	s_or_b32 s34, s2, s6
	s_and_not1_b32 s6, s35, exec_lo
	s_and_b32 s2, s40, exec_lo
	s_and_b32 s22, s23, exec_lo
	;; [unrolled: 1-line block ×3, first 2 shown]
	s_or_b32 s35, s6, s7
.LBB233_1014:
	s_or_b32 exec_lo, exec_lo, s36
	s_waitcnt lgkmcnt(0)
	s_mov_b32 s6, 0
	s_and_saveexec_b32 s3, s35
	s_cbranch_execnz .LBB233_1026
; %bb.1015:
	s_or_b32 exec_lo, exec_lo, s3
	s_and_saveexec_b32 s3, s37
	s_delay_alu instid0(SALU_CYCLE_1)
	s_xor_b32 s3, exec_lo, s3
	s_cbranch_execz .LBB233_1017
.LBB233_1016:
	global_load_u8 v0, v[3:4], off
	s_waitcnt vmcnt(1)
	v_mov_b32_e32 v1, 0
	s_or_b32 s2, s2, exec_lo
	s_waitcnt vmcnt(0)
	v_cmp_ne_u16_e32 vcc_lo, 0, v0
	v_cndmask_b32_e64 v0, 0, 1.0, vcc_lo
.LBB233_1017:
	s_or_b32 exec_lo, exec_lo, s3
	s_and_saveexec_b32 s3, s22
	s_cbranch_execz .LBB233_1067
; %bb.1018:
	v_cmp_gt_i16_e32 vcc_lo, 5, v8
	s_cbranch_vccnz .LBB233_1023
; %bb.1019:
	v_cmp_gt_i16_e32 vcc_lo, 8, v8
	s_cbranch_vccnz .LBB233_1024
	;; [unrolled: 3-line block ×3, first 2 shown]
; %bb.1021:
	v_cmp_lt_i16_e32 vcc_lo, 9, v8
	s_cbranch_vccz .LBB233_1028
; %bb.1022:
	global_load_b128 v[9:12], v[3:4], off
	s_mov_b32 s7, 0
	s_waitcnt vmcnt(0)
	v_cvt_f32_f64_e32 v0, v[9:10]
	v_cvt_f32_f64_e32 v1, v[11:12]
	s_branch .LBB233_1029
.LBB233_1023:
                                        ; implicit-def: $vgpr1
	s_branch .LBB233_1047
.LBB233_1024:
                                        ; implicit-def: $vgpr1
	s_branch .LBB233_1035
.LBB233_1025:
	s_mov_b32 s7, -1
                                        ; implicit-def: $vgpr1
	s_branch .LBB233_1032
.LBB233_1026:
	s_cbranch_execnz .LBB233_1330
; %bb.1027:
	s_mov_b32 s6, exec_lo
	s_and_not1_b32 s37, s37, exec_lo
                                        ; implicit-def: $vgpr1
	s_or_b32 exec_lo, exec_lo, s3
	s_and_saveexec_b32 s3, s37
	s_delay_alu instid0(SALU_CYCLE_1)
	s_xor_b32 s3, exec_lo, s3
	s_cbranch_execnz .LBB233_1016
	s_branch .LBB233_1017
.LBB233_1028:
	s_mov_b32 s7, -1
                                        ; implicit-def: $vgpr1
.LBB233_1029:
	s_delay_alu instid0(SALU_CYCLE_1)
	s_and_not1_b32 vcc_lo, exec_lo, s7
	s_cbranch_vccnz .LBB233_1031
; %bb.1030:
	global_load_b64 v[0:1], v[3:4], off
.LBB233_1031:
	s_mov_b32 s7, 0
.LBB233_1032:
	s_delay_alu instid0(SALU_CYCLE_1)
	s_and_not1_b32 vcc_lo, exec_lo, s7
	s_cbranch_vccnz .LBB233_1034
; %bb.1033:
	global_load_b32 v0, v[3:4], off
	s_waitcnt vmcnt(0)
	v_lshrrev_b32_e32 v1, 16, v0
	v_cvt_f32_f16_e32 v0, v0
	s_delay_alu instid0(VALU_DEP_2)
	v_cvt_f32_f16_e32 v1, v1
.LBB233_1034:
	s_cbranch_execnz .LBB233_1046
.LBB233_1035:
	v_cmp_gt_i16_e32 vcc_lo, 6, v8
	s_cbranch_vccnz .LBB233_1038
; %bb.1036:
	v_cmp_lt_i16_e32 vcc_lo, 6, v8
	s_cbranch_vccz .LBB233_1039
; %bb.1037:
	global_load_b64 v[0:1], v[3:4], off
	s_mov_b32 s8, 0
	s_mov_b32 s7, 0
	s_waitcnt vmcnt(0)
	v_cvt_f32_f64_e32 v0, v[0:1]
	s_branch .LBB233_1040
.LBB233_1038:
	s_mov_b32 s8, -1
                                        ; implicit-def: $sgpr7
                                        ; implicit-def: $vgpr0
	s_branch .LBB233_1043
.LBB233_1039:
	s_mov_b32 s8, -1
                                        ; implicit-def: $sgpr7
                                        ; implicit-def: $vgpr0
.LBB233_1040:
	s_delay_alu instid0(SALU_CYCLE_1)
	s_and_not1_b32 vcc_lo, exec_lo, s8
	s_cbranch_vccnz .LBB233_1042
; %bb.1041:
	global_load_b32 v0, v[3:4], off
	s_mov_b32 s7, 0
.LBB233_1042:
	s_mov_b32 s8, 0
.LBB233_1043:
	s_delay_alu instid0(SALU_CYCLE_1)
	s_and_not1_b32 vcc_lo, exec_lo, s8
	s_cbranch_vccnz .LBB233_1045
; %bb.1044:
	global_load_u16 v0, v[3:4], off
	s_mov_b32 s7, 0
	s_waitcnt vmcnt(0)
	v_cvt_f32_f16_e32 v0, v0
.LBB233_1045:
	s_waitcnt vmcnt(0)
	v_mov_b32_e32 v1, s7
.LBB233_1046:
	s_cbranch_execnz .LBB233_1066
.LBB233_1047:
	v_cmp_gt_i16_e32 vcc_lo, 2, v8
	s_cbranch_vccnz .LBB233_1051
; %bb.1048:
	v_cmp_gt_i16_e32 vcc_lo, 3, v8
	s_cbranch_vccnz .LBB233_1052
; %bb.1049:
	v_cmp_lt_i16_e32 vcc_lo, 3, v8
	s_cbranch_vccz .LBB233_1053
; %bb.1050:
	global_load_b64 v[0:1], v[3:4], off
	s_mov_b32 s8, 0
	s_mov_b32 s7, 0
	s_waitcnt vmcnt(0)
	v_xor_b32_e32 v5, v0, v1
	v_cls_i32_e32 v6, v1
	s_delay_alu instid0(VALU_DEP_2) | instskip(NEXT) | instid1(VALU_DEP_2)
	v_ashrrev_i32_e32 v5, 31, v5
	v_add_nc_u32_e32 v6, -1, v6
	s_delay_alu instid0(VALU_DEP_2) | instskip(NEXT) | instid1(VALU_DEP_1)
	v_add_nc_u32_e32 v5, 32, v5
	v_min_u32_e32 v5, v6, v5
	s_delay_alu instid0(VALU_DEP_1) | instskip(NEXT) | instid1(VALU_DEP_1)
	v_lshlrev_b64 v[0:1], v5, v[0:1]
	v_min_u32_e32 v0, 1, v0
	s_delay_alu instid0(VALU_DEP_1) | instskip(SKIP_1) | instid1(VALU_DEP_2)
	v_or_b32_e32 v0, v1, v0
	v_sub_nc_u32_e32 v1, 32, v5
	v_cvt_f32_i32_e32 v0, v0
	s_delay_alu instid0(VALU_DEP_1)
	v_ldexp_f32 v0, v0, v1
	s_branch .LBB233_1054
.LBB233_1051:
                                        ; implicit-def: $sgpr7
                                        ; implicit-def: $vgpr0
	s_branch .LBB233_1060
.LBB233_1052:
	s_mov_b32 s8, -1
                                        ; implicit-def: $sgpr7
                                        ; implicit-def: $vgpr0
	s_branch .LBB233_1057
.LBB233_1053:
	s_mov_b32 s8, -1
                                        ; implicit-def: $sgpr7
                                        ; implicit-def: $vgpr0
.LBB233_1054:
	s_delay_alu instid0(SALU_CYCLE_1)
	s_and_not1_b32 vcc_lo, exec_lo, s8
	s_cbranch_vccnz .LBB233_1056
; %bb.1055:
	global_load_b32 v0, v[3:4], off
	s_mov_b32 s7, 0
	s_waitcnt vmcnt(0)
	v_cvt_f32_i32_e32 v0, v0
.LBB233_1056:
	s_mov_b32 s8, 0
.LBB233_1057:
	s_delay_alu instid0(SALU_CYCLE_1)
	s_and_not1_b32 vcc_lo, exec_lo, s8
	s_cbranch_vccnz .LBB233_1059
; %bb.1058:
	global_load_i16 v0, v[3:4], off
	s_mov_b32 s7, 0
	s_waitcnt vmcnt(0)
	v_cvt_f32_i32_e32 v0, v0
.LBB233_1059:
	s_cbranch_execnz .LBB233_1065
.LBB233_1060:
	v_cmp_lt_i16_e32 vcc_lo, 0, v8
	s_mov_b32 s8, 0
	s_cbranch_vccz .LBB233_1062
; %bb.1061:
	global_load_i8 v0, v[3:4], off
	s_mov_b32 s7, 0
	s_waitcnt vmcnt(0)
	v_cvt_f32_i32_e32 v0, v0
	s_branch .LBB233_1063
.LBB233_1062:
	s_mov_b32 s8, -1
                                        ; implicit-def: $sgpr7
                                        ; implicit-def: $vgpr0
.LBB233_1063:
	s_delay_alu instid0(SALU_CYCLE_1)
	s_and_not1_b32 vcc_lo, exec_lo, s8
	s_cbranch_vccnz .LBB233_1065
; %bb.1064:
	global_load_u8 v0, v[3:4], off
	s_mov_b32 s7, 0
	s_waitcnt vmcnt(0)
	v_cvt_f32_ubyte0_e32 v0, v0
.LBB233_1065:
	s_waitcnt vmcnt(0)
	v_mov_b32_e32 v1, s7
.LBB233_1066:
	s_or_b32 s2, s2, exec_lo
.LBB233_1067:
	s_or_b32 exec_lo, exec_lo, s3
	s_mov_b32 s8, 0
	s_mov_b32 s3, 0
                                        ; implicit-def: $vgpr8
                                        ; implicit-def: $vgpr5_vgpr6
                                        ; implicit-def: $vgpr3
	s_and_saveexec_b32 s7, s2
	s_cbranch_execz .LBB233_1174
; %bb.1068:
	s_waitcnt vmcnt(0)
	s_delay_alu instid0(VALU_DEP_1) | instskip(NEXT) | instid1(VALU_DEP_2)
	v_cmp_neq_f32_e32 vcc_lo, 0, v0
	v_cmp_neq_f32_e64 s2, 0, v1
	v_mov_b32_e32 v3, 0
	s_delay_alu instid0(VALU_DEP_2) | instskip(NEXT) | instid1(SALU_CYCLE_1)
	s_or_b32 s2, vcc_lo, s2
	s_and_saveexec_b32 s8, s2
	s_cbranch_execz .LBB233_1098
; %bb.1069:
	v_mov_b32_e32 v3, 0x7f800000
	s_mov_b32 s9, exec_lo
	v_cmpx_neq_f32_e64 0x7f800000, |v1|
	s_cbranch_execz .LBB233_1097
; %bb.1070:
	s_mov_b32 s2, exec_lo
	v_cmpx_o_f32_e32 v0, v0
	s_xor_b32 s10, exec_lo, s2
	s_cbranch_execz .LBB233_1094
; %bb.1071:
	s_mov_b32 s3, exec_lo
	v_cmpx_neq_f32_e64 0x7f800000, |v0|
	s_xor_b32 s11, exec_lo, s3
	s_cbranch_execz .LBB233_1087
; %bb.1072:
	v_max_f32_e64 v3, |v1|, |v1|
	v_max_f32_e64 v4, |v0|, |v0|
                                        ; implicit-def: $sgpr12
	s_delay_alu instid0(VALU_DEP_1) | instskip(NEXT) | instid1(VALU_DEP_1)
	v_max_f32_e32 v3, v4, v3
	v_cmp_nle_f32_e64 s2, 0x7ed413cb, v3
	s_delay_alu instid0(VALU_DEP_1) | instskip(NEXT) | instid1(SALU_CYCLE_1)
	s_and_saveexec_b32 s3, s2
	s_xor_b32 s3, exec_lo, s3
	s_cbranch_execz .LBB233_1076
; %bb.1073:
	v_cmp_ge_f32_e64 s12, 0x1000000, |v0|
	v_cmp_ge_f32_e64 s13, 0x1000000, |v1|
	s_delay_alu instid0(VALU_DEP_1)
	s_and_b32 s14, s12, s13
	s_mov_b32 s12, 0
	s_and_saveexec_b32 s13, s14
; %bb.1074:
	v_dual_mul_f32 v0, 4.0, v0 :: v_dual_mul_f32 v1, 4.0, v1
	s_mov_b32 s12, exec_lo
; %bb.1075:
	s_or_b32 exec_lo, exec_lo, s13
	s_delay_alu instid0(SALU_CYCLE_1)
	s_and_b32 s12, s12, exec_lo
.LBB233_1076:
	s_and_not1_saveexec_b32 s3, s3
; %bb.1077:
	v_dual_mul_f32 v0, 0x3e800000, v0 :: v_dual_mul_f32 v1, 0x3e800000, v1
	s_and_not1_b32 s12, s12, exec_lo
; %bb.1078:
	s_or_b32 exec_lo, exec_lo, s3
	s_delay_alu instid0(VALU_DEP_1) | instskip(NEXT) | instid1(VALU_DEP_2)
	v_max_f32_e64 v3, |v1|, |v1|
	v_max_f32_e64 v4, |v0|, |v0|
	s_delay_alu instid0(VALU_DEP_1) | instskip(NEXT) | instid1(VALU_DEP_1)
	v_max_f32_e32 v5, v4, v3
	v_cvt_f64_f32_e32 v[3:4], v5
	s_delay_alu instid0(VALU_DEP_1) | instskip(NEXT) | instid1(VALU_DEP_1)
	v_frexp_exp_i32_f64_e32 v3, v[3:4]
	v_sub_nc_u32_e32 v4, 0, v3
	s_delay_alu instid0(VALU_DEP_1) | instskip(SKIP_1) | instid1(VALU_DEP_2)
	v_ldexp_f32 v6, |v1|, v4
	v_ldexp_f32 v4, |v0|, v4
	v_mul_f32_e32 v6, v6, v6
	v_cmp_neq_f32_e64 s3, 0x7f800000, v5
	s_delay_alu instid0(VALU_DEP_2) | instskip(NEXT) | instid1(VALU_DEP_1)
	v_fmac_f32_e32 v6, v4, v4
	v_sqrt_f32_e32 v4, v6
	s_waitcnt_depctr 0xfff
	v_ldexp_f32 v3, v4, v3
                                        ; implicit-def: $vgpr4
	s_delay_alu instid0(VALU_DEP_1)
	v_cndmask_b32_e64 v5, 0x7f800000, v3, s3
                                        ; implicit-def: $vgpr3
	s_mov_b32 s3, exec_lo
	v_cmpx_le_f32_e32 0, v0
	s_xor_b32 s13, exec_lo, s3
	s_cbranch_execz .LBB233_1080
; %bb.1079:
	v_add_f32_e32 v0, v0, v5
	s_delay_alu instid0(VALU_DEP_1) | instskip(NEXT) | instid1(VALU_DEP_1)
	v_mul_f32_e32 v0, 0.5, v0
	v_mul_f32_e32 v3, 0x4f800000, v0
	v_cmp_gt_f32_e32 vcc_lo, 0xf800000, v0
	s_delay_alu instid0(VALU_DEP_2) | instskip(NEXT) | instid1(VALU_DEP_1)
	v_cndmask_b32_e32 v0, v0, v3, vcc_lo
	v_sqrt_f32_e32 v3, v0
	s_waitcnt_depctr 0xfff
	v_add_nc_u32_e32 v4, -1, v3
	v_add_nc_u32_e32 v5, 1, v3
	s_delay_alu instid0(VALU_DEP_2) | instskip(NEXT) | instid1(VALU_DEP_2)
	v_fma_f32 v6, -v4, v3, v0
	v_fma_f32 v8, -v5, v3, v0
	s_delay_alu instid0(VALU_DEP_2) | instskip(NEXT) | instid1(VALU_DEP_1)
	v_cmp_ge_f32_e64 s3, 0, v6
	v_cndmask_b32_e64 v3, v3, v4, s3
	s_delay_alu instid0(VALU_DEP_3) | instskip(NEXT) | instid1(VALU_DEP_1)
	v_cmp_lt_f32_e64 s3, 0, v8
	v_cndmask_b32_e64 v3, v3, v5, s3
	s_delay_alu instid0(VALU_DEP_1) | instskip(NEXT) | instid1(VALU_DEP_1)
	v_mul_f32_e32 v4, 0x37800000, v3
	v_cndmask_b32_e32 v3, v3, v4, vcc_lo
	v_cmp_class_f32_e64 vcc_lo, v0, 0x260
	s_delay_alu instid0(VALU_DEP_2) | instskip(NEXT) | instid1(VALU_DEP_1)
	v_cndmask_b32_e32 v3, v3, v0, vcc_lo
	v_add_f32_e32 v0, v3, v3
	s_delay_alu instid0(VALU_DEP_1) | instskip(NEXT) | instid1(VALU_DEP_1)
	v_div_scale_f32 v4, null, v0, v0, v1
	v_rcp_f32_e32 v5, v4
	s_waitcnt_depctr 0xfff
	v_fma_f32 v6, -v4, v5, 1.0
	s_delay_alu instid0(VALU_DEP_1) | instskip(SKIP_1) | instid1(VALU_DEP_1)
	v_fmac_f32_e32 v5, v6, v5
	v_div_scale_f32 v6, vcc_lo, v1, v0, v1
	v_mul_f32_e32 v8, v6, v5
	s_delay_alu instid0(VALU_DEP_1) | instskip(NEXT) | instid1(VALU_DEP_1)
	v_fma_f32 v9, -v4, v8, v6
	v_fmac_f32_e32 v8, v9, v5
	s_delay_alu instid0(VALU_DEP_1) | instskip(NEXT) | instid1(VALU_DEP_1)
	v_fma_f32 v4, -v4, v8, v6
	v_div_fmas_f32 v4, v4, v5, v8
                                        ; implicit-def: $vgpr5
	s_delay_alu instid0(VALU_DEP_1)
	v_div_fixup_f32 v4, v4, v0, v1
                                        ; implicit-def: $vgpr0
	s_and_not1_saveexec_b32 s13, s13
	s_cbranch_execz .LBB233_1082
	s_branch .LBB233_1081
.LBB233_1080:
	s_and_not1_saveexec_b32 s13, s13
	s_cbranch_execz .LBB233_1082
.LBB233_1081:
	v_sub_f32_e32 v0, v5, v0
	s_delay_alu instid0(VALU_DEP_1) | instskip(NEXT) | instid1(VALU_DEP_1)
	v_mul_f32_e32 v0, 0.5, v0
	v_mul_f32_e32 v3, 0x4f800000, v0
	v_cmp_gt_f32_e32 vcc_lo, 0xf800000, v0
	s_delay_alu instid0(VALU_DEP_2) | instskip(NEXT) | instid1(VALU_DEP_1)
	v_cndmask_b32_e32 v0, v0, v3, vcc_lo
	v_sqrt_f32_e32 v3, v0
	s_waitcnt_depctr 0xfff
	v_add_nc_u32_e32 v4, -1, v3
	v_add_nc_u32_e32 v5, 1, v3
	s_delay_alu instid0(VALU_DEP_2) | instskip(NEXT) | instid1(VALU_DEP_2)
	v_fma_f32 v6, -v4, v3, v0
	v_fma_f32 v8, -v5, v3, v0
	s_delay_alu instid0(VALU_DEP_2) | instskip(NEXT) | instid1(VALU_DEP_1)
	v_cmp_ge_f32_e64 s3, 0, v6
	v_cndmask_b32_e64 v3, v3, v4, s3
	s_delay_alu instid0(VALU_DEP_3) | instskip(NEXT) | instid1(VALU_DEP_1)
	v_cmp_lt_f32_e64 s3, 0, v8
	v_cndmask_b32_e64 v3, v3, v5, s3
	s_delay_alu instid0(VALU_DEP_1) | instskip(NEXT) | instid1(VALU_DEP_1)
	v_mul_f32_e32 v4, 0x37800000, v3
	v_cndmask_b32_e32 v3, v3, v4, vcc_lo
	v_cmp_class_f32_e64 vcc_lo, v0, 0x260
	s_delay_alu instid0(VALU_DEP_2) | instskip(NEXT) | instid1(VALU_DEP_1)
	v_dual_cndmask_b32 v0, v3, v0 :: v_dual_and_b32 v3, 0x7fffffff, v1
	v_add_f32_e32 v4, v0, v0
	s_delay_alu instid0(VALU_DEP_1) | instskip(SKIP_1) | instid1(VALU_DEP_2)
	v_div_scale_f32 v5, null, v4, v4, v3
	v_div_scale_f32 v3, vcc_lo, v3, v4, v3
	v_rcp_f32_e32 v6, v5
	s_waitcnt_depctr 0xfff
	v_fma_f32 v8, -v5, v6, 1.0
	s_delay_alu instid0(VALU_DEP_1) | instskip(NEXT) | instid1(VALU_DEP_1)
	v_fmac_f32_e32 v6, v8, v6
	v_mul_f32_e32 v8, v3, v6
	s_delay_alu instid0(VALU_DEP_1) | instskip(NEXT) | instid1(VALU_DEP_1)
	v_fma_f32 v9, -v5, v8, v3
	v_fmac_f32_e32 v8, v9, v6
	s_delay_alu instid0(VALU_DEP_1) | instskip(NEXT) | instid1(VALU_DEP_1)
	v_fma_f32 v3, -v5, v8, v3
	v_div_fmas_f32 v3, v3, v6, v8
	s_delay_alu instid0(VALU_DEP_1)
	v_div_fixup_f32 v3, v3, v4, |v1|
	v_bfi_b32 v4, 0x7fffffff, v0, v1
.LBB233_1082:
	s_or_b32 exec_lo, exec_lo, s13
                                        ; implicit-def: $vgpr1
	s_and_saveexec_b32 s3, s2
	s_delay_alu instid0(SALU_CYCLE_1)
	s_xor_b32 s2, exec_lo, s3
	s_cbranch_execz .LBB233_1084
; %bb.1083:
	v_dual_mul_f32 v0, 0.5, v3 :: v_dual_mul_f32 v1, 0.5, v4
	s_delay_alu instid0(VALU_DEP_1) | instskip(NEXT) | instid1(VALU_DEP_2)
	v_cndmask_b32_e64 v0, v3, v0, s12
	v_cndmask_b32_e64 v1, v4, v1, s12
                                        ; implicit-def: $vgpr3
                                        ; implicit-def: $vgpr4
	s_and_not1_saveexec_b32 s2, s2
	s_cbranch_execnz .LBB233_1085
	s_branch .LBB233_1086
.LBB233_1084:
	s_and_not1_saveexec_b32 s2, s2
.LBB233_1085:
	v_dual_add_f32 v0, v3, v3 :: v_dual_add_f32 v1, v4, v4
.LBB233_1086:
	s_or_b32 exec_lo, exec_lo, s2
.LBB233_1087:
	s_and_not1_saveexec_b32 s2, s11
	s_cbranch_execz .LBB233_1093
; %bb.1088:
	s_delay_alu instid0(VALU_DEP_1)
	v_sub_f32_e32 v3, v1, v1
	s_mov_b32 s3, exec_lo
	v_cmpx_lt_i32_e32 -1, v0
	s_xor_b32 s3, exec_lo, s3
; %bb.1089:
	s_delay_alu instid0(VALU_DEP_2)
	v_bfi_b32 v1, 0x7fffffff, v3, v1
                                        ; implicit-def: $vgpr3
; %bb.1090:
	s_and_not1_saveexec_b32 s3, s3
; %bb.1091:
	v_and_b32_e32 v3, 0x7fffffff, v3
	s_delay_alu instid0(VALU_DEP_2) | instskip(NEXT) | instid1(VALU_DEP_2)
	v_bfi_b32 v1, 0x7fffffff, v0, v1
	v_mov_b32_e32 v0, v3
; %bb.1092:
	s_or_b32 exec_lo, exec_lo, s3
.LBB233_1093:
	s_delay_alu instid0(SALU_CYCLE_1)
	s_or_b32 exec_lo, exec_lo, s2
.LBB233_1094:
	s_and_not1_saveexec_b32 s2, s10
; %bb.1095:
	v_sub_f32_e32 v1, v1, v1
	s_delay_alu instid0(VALU_DEP_1) | instskip(NEXT) | instid1(VALU_DEP_1)
	v_div_scale_f32 v3, vcc_lo, v1, v1, v1
	v_rcp_f32_e32 v4, v3
	s_waitcnt_depctr 0xfff
	v_fma_f32 v5, -v3, v4, 1.0
	s_delay_alu instid0(VALU_DEP_1) | instskip(NEXT) | instid1(VALU_DEP_1)
	v_fmac_f32_e32 v4, v5, v4
	v_mul_f32_e32 v5, v3, v4
	s_delay_alu instid0(VALU_DEP_1) | instskip(NEXT) | instid1(VALU_DEP_1)
	v_fma_f32 v6, -v3, v5, v3
	v_fmac_f32_e32 v5, v6, v4
	s_delay_alu instid0(VALU_DEP_1) | instskip(NEXT) | instid1(VALU_DEP_1)
	v_fma_f32 v3, -v3, v5, v3
	v_div_fmas_f32 v3, v3, v4, v5
	s_delay_alu instid0(VALU_DEP_1)
	v_div_fixup_f32 v1, v3, v1, v1
; %bb.1096:
	s_or_b32 exec_lo, exec_lo, s2
	v_mov_b32_e32 v3, v0
.LBB233_1097:
	s_or_b32 exec_lo, exec_lo, s9
.LBB233_1098:
	s_delay_alu instid0(SALU_CYCLE_1) | instskip(SKIP_2) | instid1(VALU_DEP_1)
	s_or_b32 exec_lo, exec_lo, s8
	v_and_b32_e32 v8, 0xff, v7
	v_add_co_u32 v5, s2, s4, v2
	v_add_co_ci_u32_e64 v6, null, s5, 0, s2
	s_delay_alu instid0(VALU_DEP_3)
	v_cmp_gt_i16_e32 vcc_lo, 11, v8
	s_mov_b32 s8, 0
	s_mov_b32 s3, -1
	s_mov_b32 s2, s34
	s_cbranch_vccnz .LBB233_1173
; %bb.1099:
	v_cmp_lt_i16_e32 vcc_lo, 25, v8
	s_mov_b32 s2, s34
	s_cbranch_vccz .LBB233_1132
; %bb.1100:
	v_cmp_lt_i16_e32 vcc_lo, 28, v8
	s_mov_b32 s2, s34
	s_cbranch_vccz .LBB233_1116
	;; [unrolled: 4-line block ×4, first 2 shown]
; %bb.1103:
	v_cmp_eq_u16_e32 vcc_lo, 46, v8
	s_mov_b32 s2, -1
	s_cbranch_vccz .LBB233_1105
; %bb.1104:
	v_bfe_u32 v0, v1, 16, 1
	v_bfe_u32 v2, v3, 16, 1
	v_cmp_o_f32_e32 vcc_lo, v1, v1
	s_mov_b32 s2, 0
	s_delay_alu instid0(VALU_DEP_3) | instskip(NEXT) | instid1(VALU_DEP_3)
	v_add3_u32 v0, v1, v0, 0x7fff
	v_add3_u32 v2, v3, v2, 0x7fff
	s_delay_alu instid0(VALU_DEP_2) | instskip(NEXT) | instid1(VALU_DEP_2)
	v_and_b32_e32 v0, 0xffff0000, v0
	v_lshrrev_b32_e32 v2, 16, v2
	s_delay_alu instid0(VALU_DEP_2) | instskip(SKIP_1) | instid1(VALU_DEP_3)
	v_cndmask_b32_e32 v0, 0x7fc00000, v0, vcc_lo
	v_cmp_o_f32_e32 vcc_lo, v3, v3
	v_cndmask_b32_e32 v2, 0x7fc0, v2, vcc_lo
	s_delay_alu instid0(VALU_DEP_1)
	v_or_b32_e32 v0, v0, v2
	global_store_b32 v[5:6], v0, off
.LBB233_1105:
	s_mov_b32 s3, 0
.LBB233_1106:
	s_delay_alu instid0(SALU_CYCLE_1)
	s_and_b32 vcc_lo, exec_lo, s3
	s_cbranch_vccz .LBB233_1111
; %bb.1107:
	v_cmp_eq_u16_e32 vcc_lo, 44, v8
	s_mov_b32 s2, -1
	s_cbranch_vccz .LBB233_1111
; %bb.1108:
	v_bfe_u32 v2, v3, 23, 8
	v_mov_b32_e32 v0, 0xff
	s_mov_b32 s3, exec_lo
	s_delay_alu instid0(VALU_DEP_2)
	v_cmpx_ne_u32_e32 0xff, v2
; %bb.1109:
	v_and_b32_e32 v0, 0x400000, v3
	v_and_or_b32 v2, 0x3fffff, v3, v2
	s_delay_alu instid0(VALU_DEP_2) | instskip(NEXT) | instid1(VALU_DEP_2)
	v_cmp_ne_u32_e32 vcc_lo, 0, v0
	v_cmp_ne_u32_e64 s2, 0, v2
	v_lshrrev_b32_e32 v0, 23, v3
	s_delay_alu instid0(VALU_DEP_2) | instskip(NEXT) | instid1(SALU_CYCLE_1)
	s_and_b32 s2, vcc_lo, s2
	v_cndmask_b32_e64 v2, 0, 1, s2
	s_delay_alu instid0(VALU_DEP_1)
	v_add_nc_u32_e32 v0, v0, v2
; %bb.1110:
	s_or_b32 exec_lo, exec_lo, s3
	s_mov_b32 s2, 0
	global_store_b8 v[5:6], v0, off
.LBB233_1111:
	s_mov_b32 s3, 0
.LBB233_1112:
	s_delay_alu instid0(SALU_CYCLE_1)
	s_and_b32 vcc_lo, exec_lo, s3
	s_cbranch_vccz .LBB233_1115
; %bb.1113:
	v_cmp_eq_u16_e32 vcc_lo, 29, v8
	s_mov_b32 s2, -1
	s_cbranch_vccz .LBB233_1115
; %bb.1114:
	v_trunc_f32_e32 v0, v3
	s_mov_b32 s2, 0
	s_delay_alu instid0(VALU_DEP_1) | instskip(NEXT) | instid1(VALU_DEP_1)
	v_mul_f32_e32 v2, 0x2f800000, v0
	v_floor_f32_e32 v2, v2
	s_delay_alu instid0(VALU_DEP_1) | instskip(SKIP_1) | instid1(VALU_DEP_2)
	v_fmamk_f32 v0, v2, 0xcf800000, v0
	v_cvt_u32_f32_e32 v10, v2
	v_cvt_u32_f32_e32 v9, v0
	global_store_b64 v[5:6], v[9:10], off
.LBB233_1115:
	s_mov_b32 s3, 0
.LBB233_1116:
	s_delay_alu instid0(SALU_CYCLE_1)
	s_and_b32 vcc_lo, exec_lo, s3
	s_cbranch_vccz .LBB233_1131
; %bb.1117:
	v_cmp_gt_i16_e32 vcc_lo, 27, v8
	s_mov_b32 s3, -1
	s_cbranch_vccnz .LBB233_1123
; %bb.1118:
	v_cmp_lt_i16_e32 vcc_lo, 27, v8
	v_cvt_u32_f32_e32 v0, v3
	s_cbranch_vccz .LBB233_1120
; %bb.1119:
	s_mov_b32 s3, 0
	global_store_b32 v[5:6], v0, off
.LBB233_1120:
	s_and_not1_b32 vcc_lo, exec_lo, s3
	s_cbranch_vccnz .LBB233_1122
; %bb.1121:
	global_store_b16 v[5:6], v0, off
.LBB233_1122:
	s_mov_b32 s3, 0
.LBB233_1123:
	s_delay_alu instid0(SALU_CYCLE_1)
	s_and_not1_b32 vcc_lo, exec_lo, s3
	s_cbranch_vccnz .LBB233_1131
; %bb.1124:
	v_and_b32_e32 v0, 0x7fffffff, v3
	v_mov_b32_e32 v2, 0x80
	s_mov_b32 s3, exec_lo
	s_delay_alu instid0(VALU_DEP_2)
	v_cmpx_gt_u32_e32 0x43800000, v0
	s_cbranch_execz .LBB233_1130
; %bb.1125:
	v_cmp_lt_u32_e32 vcc_lo, 0x3bffffff, v0
	s_mov_b32 s4, 0
                                        ; implicit-def: $vgpr0
	s_and_saveexec_b32 s5, vcc_lo
	s_delay_alu instid0(SALU_CYCLE_1)
	s_xor_b32 s5, exec_lo, s5
	s_cbranch_execz .LBB233_1455
; %bb.1126:
	v_bfe_u32 v0, v3, 20, 1
	s_mov_b32 s4, exec_lo
	s_delay_alu instid0(VALU_DEP_1) | instskip(NEXT) | instid1(VALU_DEP_1)
	v_add3_u32 v0, v3, v0, 0x487ffff
	v_lshrrev_b32_e32 v0, 20, v0
	s_or_saveexec_b32 s5, s5
                                        ; implicit-def: $sgpr8
	s_delay_alu instid0(SALU_CYCLE_1)
	s_xor_b32 exec_lo, exec_lo, s5
	s_cbranch_execnz .LBB233_1456
.LBB233_1127:
	s_or_b32 exec_lo, exec_lo, s5
	v_mov_b32_e32 v2, s8
	s_and_saveexec_b32 s5, s4
.LBB233_1128:
	v_lshrrev_b32_e32 v2, 24, v3
	s_delay_alu instid0(VALU_DEP_1)
	v_and_or_b32 v2, 0x80, v2, v0
.LBB233_1129:
	s_or_b32 exec_lo, exec_lo, s5
.LBB233_1130:
	s_delay_alu instid0(SALU_CYCLE_1)
	s_or_b32 exec_lo, exec_lo, s3
	global_store_b8 v[5:6], v2, off
.LBB233_1131:
	s_mov_b32 s3, 0
.LBB233_1132:
	s_delay_alu instid0(SALU_CYCLE_1)
	s_and_b32 vcc_lo, exec_lo, s3
	s_mov_b32 s3, 0
	s_cbranch_vccz .LBB233_1172
; %bb.1133:
	v_cmp_lt_i16_e32 vcc_lo, 22, v8
	s_mov_b32 s4, -1
	s_cbranch_vccz .LBB233_1165
; %bb.1134:
	v_cmp_gt_i16_e32 vcc_lo, 24, v8
	s_cbranch_vccnz .LBB233_1154
; %bb.1135:
	v_cmp_lt_i16_e32 vcc_lo, 24, v8
	s_cbranch_vccz .LBB233_1143
; %bb.1136:
	v_and_b32_e32 v0, 0x7fffffff, v3
	v_mov_b32_e32 v2, 0x80
	s_mov_b32 s4, exec_lo
	s_delay_alu instid0(VALU_DEP_2)
	v_cmpx_gt_u32_e32 0x47800000, v0
	s_cbranch_execz .LBB233_1142
; %bb.1137:
	v_cmp_lt_u32_e32 vcc_lo, 0x37ffffff, v0
	s_mov_b32 s5, 0
                                        ; implicit-def: $vgpr0
	s_and_saveexec_b32 s8, vcc_lo
	s_delay_alu instid0(SALU_CYCLE_1)
	s_xor_b32 s8, exec_lo, s8
	s_cbranch_execz .LBB233_1500
; %bb.1138:
	v_bfe_u32 v0, v3, 21, 1
	s_mov_b32 s5, exec_lo
	s_delay_alu instid0(VALU_DEP_1) | instskip(NEXT) | instid1(VALU_DEP_1)
	v_add3_u32 v0, v3, v0, 0x88fffff
	v_lshrrev_b32_e32 v0, 21, v0
	s_or_saveexec_b32 s8, s8
                                        ; implicit-def: $sgpr9
	s_delay_alu instid0(SALU_CYCLE_1)
	s_xor_b32 exec_lo, exec_lo, s8
	s_cbranch_execnz .LBB233_1501
.LBB233_1139:
	s_or_b32 exec_lo, exec_lo, s8
	v_mov_b32_e32 v2, s9
	s_and_saveexec_b32 s8, s5
.LBB233_1140:
	v_lshrrev_b32_e32 v2, 24, v3
	s_delay_alu instid0(VALU_DEP_1)
	v_and_or_b32 v2, 0x80, v2, v0
.LBB233_1141:
	s_or_b32 exec_lo, exec_lo, s8
.LBB233_1142:
	s_delay_alu instid0(SALU_CYCLE_1)
	s_or_b32 exec_lo, exec_lo, s4
	s_mov_b32 s4, 0
	global_store_b8 v[5:6], v2, off
.LBB233_1143:
	s_and_b32 vcc_lo, exec_lo, s4
	s_cbranch_vccz .LBB233_1153
; %bb.1144:
	v_and_b32_e32 v2, 0x7fffffff, v3
	s_mov_b32 s4, exec_lo
                                        ; implicit-def: $vgpr0
	s_delay_alu instid0(VALU_DEP_1)
	v_cmpx_gt_u32_e32 0x43f00000, v2
	s_xor_b32 s4, exec_lo, s4
	s_cbranch_execz .LBB233_1150
; %bb.1145:
	s_mov_b32 s5, exec_lo
                                        ; implicit-def: $vgpr0
	v_cmpx_lt_u32_e32 0x3c7fffff, v2
	s_xor_b32 s5, exec_lo, s5
; %bb.1146:
	v_bfe_u32 v0, v3, 20, 1
	s_delay_alu instid0(VALU_DEP_1) | instskip(NEXT) | instid1(VALU_DEP_1)
	v_add3_u32 v0, v3, v0, 0x407ffff
	v_and_b32_e32 v2, 0xff00000, v0
	v_lshrrev_b32_e32 v0, 20, v0
	s_delay_alu instid0(VALU_DEP_2) | instskip(NEXT) | instid1(VALU_DEP_2)
	v_cmp_ne_u32_e32 vcc_lo, 0x7f00000, v2
	v_cndmask_b32_e32 v0, 0x7e, v0, vcc_lo
; %bb.1147:
	s_and_not1_saveexec_b32 s5, s5
; %bb.1148:
	v_add_f32_e64 v0, 0x46800000, |v3|
; %bb.1149:
	s_or_b32 exec_lo, exec_lo, s5
                                        ; implicit-def: $vgpr2
.LBB233_1150:
	s_and_not1_saveexec_b32 s4, s4
; %bb.1151:
	v_mov_b32_e32 v0, 0x7f
	v_cmp_lt_u32_e32 vcc_lo, 0x7f800000, v2
	s_delay_alu instid0(VALU_DEP_2)
	v_cndmask_b32_e32 v0, 0x7e, v0, vcc_lo
; %bb.1152:
	s_or_b32 exec_lo, exec_lo, s4
	v_lshrrev_b32_e32 v2, 24, v3
	s_delay_alu instid0(VALU_DEP_1)
	v_and_or_b32 v0, 0x80, v2, v0
	global_store_b8 v[5:6], v0, off
.LBB233_1153:
	s_mov_b32 s4, 0
.LBB233_1154:
	s_delay_alu instid0(SALU_CYCLE_1)
	s_and_not1_b32 vcc_lo, exec_lo, s4
	s_cbranch_vccnz .LBB233_1164
; %bb.1155:
	v_and_b32_e32 v2, 0x7fffffff, v3
	s_mov_b32 s4, exec_lo
                                        ; implicit-def: $vgpr0
	s_delay_alu instid0(VALU_DEP_1)
	v_cmpx_gt_u32_e32 0x47800000, v2
	s_xor_b32 s4, exec_lo, s4
	s_cbranch_execz .LBB233_1161
; %bb.1156:
	s_mov_b32 s5, exec_lo
                                        ; implicit-def: $vgpr0
	v_cmpx_lt_u32_e32 0x387fffff, v2
	s_xor_b32 s5, exec_lo, s5
; %bb.1157:
	v_bfe_u32 v0, v3, 21, 1
	s_delay_alu instid0(VALU_DEP_1) | instskip(NEXT) | instid1(VALU_DEP_1)
	v_add3_u32 v0, v3, v0, 0x80fffff
	v_lshrrev_b32_e32 v0, 21, v0
; %bb.1158:
	s_and_not1_saveexec_b32 s5, s5
; %bb.1159:
	v_add_f32_e64 v0, 0x43000000, |v3|
; %bb.1160:
	s_or_b32 exec_lo, exec_lo, s5
                                        ; implicit-def: $vgpr2
.LBB233_1161:
	s_and_not1_saveexec_b32 s4, s4
; %bb.1162:
	v_mov_b32_e32 v0, 0x7f
	v_cmp_lt_u32_e32 vcc_lo, 0x7f800000, v2
	s_delay_alu instid0(VALU_DEP_2)
	v_cndmask_b32_e32 v0, 0x7c, v0, vcc_lo
; %bb.1163:
	s_or_b32 exec_lo, exec_lo, s4
	v_lshrrev_b32_e32 v2, 24, v3
	s_delay_alu instid0(VALU_DEP_1)
	v_and_or_b32 v0, 0x80, v2, v0
	global_store_b8 v[5:6], v0, off
.LBB233_1164:
	s_mov_b32 s4, 0
.LBB233_1165:
	s_delay_alu instid0(SALU_CYCLE_1)
	s_and_not1_b32 vcc_lo, exec_lo, s4
	s_mov_b32 s8, 0
	s_cbranch_vccnz .LBB233_1173
; %bb.1166:
	v_cmp_lt_i16_e32 vcc_lo, 14, v8
	s_mov_b32 s4, -1
	s_cbranch_vccz .LBB233_1170
; %bb.1167:
	v_cmp_eq_u16_e32 vcc_lo, 15, v8
	s_mov_b32 s2, -1
	s_cbranch_vccz .LBB233_1169
; %bb.1168:
	v_bfe_u32 v0, v3, 16, 1
	v_cmp_o_f32_e32 vcc_lo, v3, v3
	s_mov_b32 s2, 0
	s_delay_alu instid0(VALU_DEP_2) | instskip(NEXT) | instid1(VALU_DEP_1)
	v_add3_u32 v0, v3, v0, 0x7fff
	v_lshrrev_b32_e32 v0, 16, v0
	s_delay_alu instid0(VALU_DEP_1)
	v_cndmask_b32_e32 v0, 0x7fc0, v0, vcc_lo
	global_store_b16 v[5:6], v0, off
.LBB233_1169:
	s_mov_b32 s4, 0
.LBB233_1170:
	s_delay_alu instid0(SALU_CYCLE_1)
	s_and_b32 vcc_lo, exec_lo, s4
	s_cbranch_vccz .LBB233_1173
; %bb.1171:
	v_cmp_ne_u16_e32 vcc_lo, 11, v8
	s_and_not1_b32 s2, s2, exec_lo
	s_mov_b32 s8, -1
	s_and_b32 s4, vcc_lo, exec_lo
	s_delay_alu instid0(SALU_CYCLE_1)
	s_or_b32 s2, s2, s4
	s_branch .LBB233_1173
.LBB233_1172:
	s_mov_b32 s8, 0
.LBB233_1173:
	s_and_not1_b32 s4, s34, exec_lo
	s_and_b32 s2, s2, exec_lo
	s_and_b32 s3, s3, exec_lo
	;; [unrolled: 1-line block ×3, first 2 shown]
	s_or_b32 s34, s4, s2
.LBB233_1174:
	s_or_b32 exec_lo, exec_lo, s7
	s_and_saveexec_b32 s2, s34
	s_cbranch_execnz .LBB233_1289
; %bb.1175:
	s_or_b32 exec_lo, exec_lo, s2
	s_and_saveexec_b32 s2, s8
	s_delay_alu instid0(SALU_CYCLE_1)
	s_xor_b32 s4, exec_lo, s2
	s_cbranch_execz .LBB233_1177
.LBB233_1176:
	v_cmp_neq_f32_e32 vcc_lo, 0, v3
	s_waitcnt vmcnt(0)
	s_delay_alu instid0(VALU_DEP_2) | instskip(NEXT) | instid1(VALU_DEP_1)
	v_cmp_neq_f32_e64 s2, 0, v1
	s_or_b32 s2, vcc_lo, s2
	s_delay_alu instid0(SALU_CYCLE_1)
	v_cndmask_b32_e64 v0, 0, 1, s2
	global_store_b8 v[5:6], v0, off
.LBB233_1177:
	s_or_b32 exec_lo, exec_lo, s4
	s_and_saveexec_b32 s2, s3
	s_delay_alu instid0(SALU_CYCLE_1)
	s_xor_b32 s2, exec_lo, s2
	s_cbranch_execz .LBB233_1215
; %bb.1178:
	v_cmp_gt_i16_e32 vcc_lo, 5, v8
	s_mov_b32 s3, -1
	s_cbranch_vccnz .LBB233_1199
; %bb.1179:
	v_cmp_gt_i16_e32 vcc_lo, 8, v8
	s_cbranch_vccnz .LBB233_1189
; %bb.1180:
	v_cmp_gt_i16_e32 vcc_lo, 9, v8
	s_cbranch_vccnz .LBB233_1186
; %bb.1181:
	v_cmp_lt_i16_e32 vcc_lo, 9, v8
	s_cbranch_vccz .LBB233_1183
; %bb.1182:
	v_cvt_f64_f32_e32 v[9:10], v3
	s_waitcnt vmcnt(0)
	v_cvt_f64_f32_e32 v[11:12], v1
	s_mov_b32 s3, 0
	global_store_b128 v[5:6], v[9:12], off
.LBB233_1183:
	s_and_not1_b32 vcc_lo, exec_lo, s3
	s_cbranch_vccnz .LBB233_1185
; %bb.1184:
	s_waitcnt vmcnt(0)
	v_mov_b32_e32 v4, v1
	global_store_b64 v[5:6], v[3:4], off
.LBB233_1185:
	s_mov_b32 s3, 0
.LBB233_1186:
	s_delay_alu instid0(SALU_CYCLE_1)
	s_and_not1_b32 vcc_lo, exec_lo, s3
	s_cbranch_vccnz .LBB233_1188
; %bb.1187:
	s_waitcnt vmcnt(0)
	s_delay_alu instid0(VALU_DEP_4) | instskip(SKIP_1) | instid1(VALU_DEP_2)
	v_cvt_f16_f32_e32 v0, v1
	v_cvt_f16_f32_e32 v1, v3
	v_lshlrev_b32_e32 v0, 16, v0
	s_delay_alu instid0(VALU_DEP_2) | instskip(NEXT) | instid1(VALU_DEP_1)
	v_and_b32_e32 v1, 0xffff, v1
	v_or_b32_e32 v0, v0, v1
	global_store_b32 v[5:6], v0, off
.LBB233_1188:
	s_mov_b32 s3, 0
.LBB233_1189:
	s_delay_alu instid0(SALU_CYCLE_1)
	s_and_not1_b32 vcc_lo, exec_lo, s3
	s_cbranch_vccnz .LBB233_1198
; %bb.1190:
	v_cmp_gt_i16_e32 vcc_lo, 6, v8
	s_mov_b32 s3, -1
	s_cbranch_vccnz .LBB233_1196
; %bb.1191:
	v_cmp_lt_i16_e32 vcc_lo, 6, v8
	s_cbranch_vccz .LBB233_1193
; %bb.1192:
	s_waitcnt vmcnt(0)
	v_cvt_f64_f32_e32 v[0:1], v3
	s_mov_b32 s3, 0
	global_store_b64 v[5:6], v[0:1], off
.LBB233_1193:
	s_and_not1_b32 vcc_lo, exec_lo, s3
	s_cbranch_vccnz .LBB233_1195
; %bb.1194:
	global_store_b32 v[5:6], v3, off
.LBB233_1195:
	s_mov_b32 s3, 0
.LBB233_1196:
	s_delay_alu instid0(SALU_CYCLE_1)
	s_and_not1_b32 vcc_lo, exec_lo, s3
	s_cbranch_vccnz .LBB233_1198
; %bb.1197:
	s_waitcnt vmcnt(0)
	v_cvt_f16_f32_e32 v0, v3
	global_store_b16 v[5:6], v0, off
.LBB233_1198:
	s_mov_b32 s3, 0
.LBB233_1199:
	s_delay_alu instid0(SALU_CYCLE_1)
	s_and_not1_b32 vcc_lo, exec_lo, s3
	s_cbranch_vccnz .LBB233_1215
; %bb.1200:
	v_cmp_gt_i16_e32 vcc_lo, 2, v8
	s_mov_b32 s3, -1
	s_cbranch_vccnz .LBB233_1210
; %bb.1201:
	v_cmp_gt_i16_e32 vcc_lo, 3, v8
	s_cbranch_vccnz .LBB233_1207
; %bb.1202:
	v_cmp_lt_i16_e32 vcc_lo, 3, v8
	s_cbranch_vccz .LBB233_1204
; %bb.1203:
	s_waitcnt vmcnt(0)
	v_trunc_f32_e32 v0, v3
	s_mov_b32 s3, 0
	s_delay_alu instid0(VALU_DEP_1) | instskip(SKIP_1) | instid1(VALU_DEP_2)
	v_mul_f32_e64 v1, 0x2f800000, |v0|
	v_ashrrev_i32_e32 v4, 31, v0
	v_floor_f32_e32 v1, v1
	s_delay_alu instid0(VALU_DEP_1) | instskip(SKIP_1) | instid1(VALU_DEP_2)
	v_fma_f32 v2, 0xcf800000, v1, |v0|
	v_cvt_u32_f32_e32 v1, v1
	v_cvt_u32_f32_e32 v0, v2
	s_delay_alu instid0(VALU_DEP_2) | instskip(NEXT) | instid1(VALU_DEP_2)
	v_xor_b32_e32 v1, v1, v4
	v_xor_b32_e32 v0, v0, v4
	s_delay_alu instid0(VALU_DEP_1) | instskip(NEXT) | instid1(VALU_DEP_3)
	v_sub_co_u32 v0, vcc_lo, v0, v4
	v_sub_co_ci_u32_e32 v1, vcc_lo, v1, v4, vcc_lo
	global_store_b64 v[5:6], v[0:1], off
.LBB233_1204:
	s_and_not1_b32 vcc_lo, exec_lo, s3
	s_cbranch_vccnz .LBB233_1206
; %bb.1205:
	s_waitcnt vmcnt(0)
	v_cvt_i32_f32_e32 v0, v3
	global_store_b32 v[5:6], v0, off
.LBB233_1206:
	s_mov_b32 s3, 0
.LBB233_1207:
	s_delay_alu instid0(SALU_CYCLE_1)
	s_and_not1_b32 vcc_lo, exec_lo, s3
	s_cbranch_vccnz .LBB233_1209
; %bb.1208:
	s_waitcnt vmcnt(0)
	v_cvt_i32_f32_e32 v0, v3
	global_store_b16 v[5:6], v0, off
.LBB233_1209:
	s_mov_b32 s3, 0
.LBB233_1210:
	s_delay_alu instid0(SALU_CYCLE_1)
	s_and_not1_b32 vcc_lo, exec_lo, s3
	s_cbranch_vccnz .LBB233_1215
; %bb.1211:
	v_cmp_lt_i16_e32 vcc_lo, 0, v8
	s_mov_b32 s3, -1
	s_cbranch_vccz .LBB233_1213
; %bb.1212:
	s_waitcnt vmcnt(0)
	v_cvt_i32_f32_e32 v0, v3
	s_mov_b32 s3, 0
	global_store_b8 v[5:6], v0, off
.LBB233_1213:
	s_and_not1_b32 vcc_lo, exec_lo, s3
	s_cbranch_vccnz .LBB233_1215
; %bb.1214:
	s_waitcnt vmcnt(0)
	v_trunc_f32_e32 v0, v3
	s_delay_alu instid0(VALU_DEP_1) | instskip(NEXT) | instid1(VALU_DEP_1)
	v_mul_f32_e64 v1, 0x2f800000, |v0|
	v_floor_f32_e32 v1, v1
	s_delay_alu instid0(VALU_DEP_1) | instskip(SKIP_1) | instid1(VALU_DEP_2)
	v_fma_f32 v1, 0xcf800000, v1, |v0|
	v_ashrrev_i32_e32 v0, 31, v0
	v_cvt_u32_f32_e32 v1, v1
	s_delay_alu instid0(VALU_DEP_1) | instskip(NEXT) | instid1(VALU_DEP_1)
	v_xor_b32_e32 v1, v1, v0
	v_sub_nc_u32_e32 v0, v1, v0
	global_store_b8 v[5:6], v0, off
.LBB233_1215:
	s_or_b32 exec_lo, exec_lo, s2
	s_delay_alu instid0(SALU_CYCLE_1)
	s_and_b32 s8, s6, exec_lo
                                        ; implicit-def: $vgpr5
                                        ; implicit-def: $vgpr9
.LBB233_1216:
	s_or_saveexec_b32 s9, s28
	s_mov_b32 s3, 0
                                        ; implicit-def: $vgpr0_vgpr1
                                        ; implicit-def: $vgpr11
                                        ; implicit-def: $vgpr12
                                        ; implicit-def: $vgpr13
	s_xor_b32 exec_lo, exec_lo, s9
	s_cbranch_execz .LBB233_1924
; %bb.1217:
	s_waitcnt vmcnt(0)
	v_cndmask_b32_e64 v0, 0, 1, s27
	s_and_not1_b32 vcc_lo, exec_lo, s27
	s_cbranch_vccnz .LBB233_1223
; %bb.1218:
	v_dual_mov_b32 v3, 0 :: v_dual_mov_b32 v4, 0
	s_cmp_lg_u32 s24, 0
	s_mov_b32 s6, 0
	s_cbranch_scc0 .LBB233_1227
; %bb.1219:
	s_min_u32 s7, s25, 15
	v_mov_b32_e32 v3, 0
	s_add_i32 s7, s7, 1
	s_cmp_eq_u32 s25, 2
	s_mov_b32 s10, 0
	s_cbranch_scc1 .LBB233_1224
; %bb.1220:
	v_dual_mov_b32 v4, 0 :: v_dual_mov_b32 v3, 0
	v_mov_b32_e32 v1, v9
	s_add_u32 s2, s16, 0xc4
	s_addc_u32 s3, s17, 0
	s_and_b32 s10, s7, 28
	s_mov_b32 s11, 0
	s_mov_b64 s[4:5], s[16:17]
.LBB233_1221:                           ; =>This Inner Loop Header: Depth=1
	s_clause 0x1
	s_load_b256 s[36:43], s[4:5], 0x4
	s_load_b128 s[12:15], s[4:5], 0x24
	s_load_b256 s[44:51], s[2:3], 0x0
	s_add_u32 s4, s4, 48
	s_addc_u32 s5, s5, 0
	s_add_i32 s11, s11, 4
	s_add_u32 s2, s2, 32
	s_addc_u32 s3, s3, 0
	s_cmp_lg_u32 s10, s11
	s_waitcnt lgkmcnt(0)
	v_mul_hi_u32 v2, s37, v1
	s_delay_alu instid0(VALU_DEP_1) | instskip(NEXT) | instid1(VALU_DEP_1)
	v_add_nc_u32_e32 v2, v1, v2
	v_lshrrev_b32_e32 v2, s38, v2
	s_delay_alu instid0(VALU_DEP_1) | instskip(SKIP_1) | instid1(VALU_DEP_2)
	v_mul_hi_u32 v6, s40, v2
	v_mul_lo_u32 v8, v2, s36
	v_add_nc_u32_e32 v6, v2, v6
	s_delay_alu instid0(VALU_DEP_2) | instskip(NEXT) | instid1(VALU_DEP_2)
	v_sub_nc_u32_e32 v1, v1, v8
	v_lshrrev_b32_e32 v6, s41, v6
	s_delay_alu instid0(VALU_DEP_2) | instskip(SKIP_1) | instid1(VALU_DEP_3)
	v_mul_lo_u32 v8, v1, s44
	v_mul_lo_u32 v11, v1, s45
	v_mul_hi_u32 v7, s43, v6
	s_delay_alu instid0(VALU_DEP_1) | instskip(NEXT) | instid1(VALU_DEP_1)
	v_add_nc_u32_e32 v7, v6, v7
	v_lshrrev_b32_e32 v7, s12, v7
	s_delay_alu instid0(VALU_DEP_1) | instskip(SKIP_1) | instid1(VALU_DEP_2)
	v_mul_hi_u32 v10, s14, v7
	v_mul_lo_u32 v12, v7, s42
	v_add_nc_u32_e32 v1, v7, v10
	v_mul_lo_u32 v10, v6, s39
	s_delay_alu instid0(VALU_DEP_3) | instskip(NEXT) | instid1(VALU_DEP_3)
	v_sub_nc_u32_e32 v6, v6, v12
	v_lshrrev_b32_e32 v1, s15, v1
	s_delay_alu instid0(VALU_DEP_2) | instskip(SKIP_2) | instid1(VALU_DEP_4)
	v_mul_lo_u32 v12, v6, s48
	v_mul_lo_u32 v6, v6, s49
	v_sub_nc_u32_e32 v2, v2, v10
	v_mul_lo_u32 v13, v1, s13
	s_delay_alu instid0(VALU_DEP_2) | instskip(SKIP_1) | instid1(VALU_DEP_3)
	v_mul_lo_u32 v10, v2, s46
	v_mul_lo_u32 v2, v2, s47
	v_sub_nc_u32_e32 v7, v7, v13
	s_delay_alu instid0(VALU_DEP_3) | instskip(NEXT) | instid1(VALU_DEP_2)
	v_add3_u32 v3, v8, v3, v10
	v_mul_lo_u32 v13, v7, s50
	v_mul_lo_u32 v7, v7, s51
	v_add3_u32 v2, v11, v4, v2
	s_delay_alu instid0(VALU_DEP_3) | instskip(NEXT) | instid1(VALU_DEP_2)
	v_add3_u32 v3, v12, v3, v13
	v_add3_u32 v4, v6, v2, v7
	s_cbranch_scc1 .LBB233_1221
; %bb.1222:
	s_and_b32 s7, s7, 3
	s_delay_alu instid0(SALU_CYCLE_1)
	s_cmp_eq_u32 s7, 0
	s_cbranch_scc0 .LBB233_1225
	s_branch .LBB233_1227
.LBB233_1223:
	s_mov_b32 s6, -1
                                        ; implicit-def: $vgpr3
                                        ; implicit-def: $vgpr4
	s_branch .LBB233_1227
.LBB233_1224:
	v_dual_mov_b32 v1, v9 :: v_dual_mov_b32 v4, 0
	s_and_b32 s7, s7, 3
	s_delay_alu instid0(SALU_CYCLE_1)
	s_cmp_eq_u32 s7, 0
	s_cbranch_scc1 .LBB233_1227
.LBB233_1225:
	s_lshl_b32 s2, s10, 3
	s_mul_i32 s4, s10, 12
	s_add_u32 s2, s2, s16
	s_addc_u32 s3, 0, s17
	s_add_u32 s2, s2, 0xc4
	s_addc_u32 s3, s3, 0
	;; [unrolled: 2-line block ×3, first 2 shown]
	.p2align	6
.LBB233_1226:                           ; =>This Inner Loop Header: Depth=1
	s_clause 0x1
	s_load_b64 s[10:11], s[4:5], 0x4
	s_load_b32 s14, s[4:5], 0xc
	s_load_b64 s[12:13], s[2:3], 0x0
	s_add_u32 s4, s4, 12
	s_addc_u32 s5, s5, 0
	s_add_u32 s2, s2, 8
	s_addc_u32 s3, s3, 0
	s_add_i32 s7, s7, -1
	s_delay_alu instid0(SALU_CYCLE_1) | instskip(SKIP_2) | instid1(VALU_DEP_1)
	s_cmp_lg_u32 s7, 0
	s_waitcnt lgkmcnt(0)
	v_mul_hi_u32 v2, s11, v1
	v_add_nc_u32_e32 v2, v1, v2
	s_delay_alu instid0(VALU_DEP_1) | instskip(NEXT) | instid1(VALU_DEP_1)
	v_lshrrev_b32_e32 v8, s14, v2
	v_mul_lo_u32 v2, v8, s10
	s_delay_alu instid0(VALU_DEP_1) | instskip(NEXT) | instid1(VALU_DEP_1)
	v_sub_nc_u32_e32 v1, v1, v2
	v_mad_u64_u32 v[6:7], null, v1, s12, v[3:4]
	v_mad_u64_u32 v[2:3], null, v1, s13, v[4:5]
	v_mov_b32_e32 v1, v8
	s_delay_alu instid0(VALU_DEP_3) | instskip(NEXT) | instid1(VALU_DEP_3)
	v_mov_b32_e32 v3, v6
	v_mov_b32_e32 v4, v2
	s_cbranch_scc1 .LBB233_1226
.LBB233_1227:
	s_and_not1_b32 vcc_lo, exec_lo, s6
	s_cbranch_vccnz .LBB233_1230
; %bb.1228:
	s_clause 0x1
	s_load_b128 s[4:7], s[16:17], 0x4
	s_load_b64 s[2:3], s[16:17], 0xc4
	s_cmp_lt_u32 s24, 2
	s_waitcnt lgkmcnt(0)
	v_mul_hi_u32 v1, s5, v9
	s_delay_alu instid0(VALU_DEP_1) | instskip(NEXT) | instid1(VALU_DEP_1)
	v_add_nc_u32_e32 v1, v9, v1
	v_lshrrev_b32_e32 v1, s6, v1
	s_delay_alu instid0(VALU_DEP_1) | instskip(NEXT) | instid1(VALU_DEP_1)
	v_mul_lo_u32 v2, v1, s4
	v_sub_nc_u32_e32 v2, v9, v2
	s_delay_alu instid0(VALU_DEP_1)
	v_mul_lo_u32 v3, v2, s2
	v_mul_lo_u32 v4, v2, s3
	s_cbranch_scc1 .LBB233_1230
; %bb.1229:
	s_clause 0x1
	s_load_b128 s[4:7], s[16:17], 0x10
	s_load_b64 s[2:3], s[16:17], 0xcc
	s_waitcnt lgkmcnt(0)
	v_mul_hi_u32 v2, s5, v1
	s_delay_alu instid0(VALU_DEP_1) | instskip(NEXT) | instid1(VALU_DEP_1)
	v_add_nc_u32_e32 v2, v1, v2
	v_lshrrev_b32_e32 v2, s6, v2
	s_delay_alu instid0(VALU_DEP_1) | instskip(NEXT) | instid1(VALU_DEP_1)
	v_mul_lo_u32 v2, v2, s4
	v_sub_nc_u32_e32 v6, v1, v2
	s_delay_alu instid0(VALU_DEP_1) | instskip(SKIP_1) | instid1(VALU_DEP_1)
	v_mad_u64_u32 v[1:2], null, v6, s2, v[3:4]
	v_mad_u64_u32 v[2:3], null, v6, s3, v[4:5]
	v_dual_mov_b32 v3, v1 :: v_dual_mov_b32 v4, v2
.LBB233_1230:
	v_cmp_ne_u32_e32 vcc_lo, 1, v0
	v_add_nc_u32_e32 v1, 0x80, v9
	s_cbranch_vccnz .LBB233_1236
; %bb.1231:
	v_mov_b32_e32 v2, 0
	v_mov_b32_e32 v6, 0
	s_cmp_lg_u32 s24, 0
	s_mov_b32 s6, 0
	s_cbranch_scc0 .LBB233_1240
; %bb.1232:
	s_min_u32 s7, s25, 15
	v_mov_b32_e32 v2, 0
	s_add_i32 s7, s7, 1
	s_cmp_eq_u32 s25, 2
	s_mov_b32 s10, 0
	s_cbranch_scc1 .LBB233_1237
; %bb.1233:
	v_dual_mov_b32 v6, 0 :: v_dual_mov_b32 v7, v1
	v_mov_b32_e32 v2, 0
	s_add_u32 s2, s16, 0xc4
	s_addc_u32 s3, s17, 0
	s_and_b32 s10, s7, 28
	s_mov_b32 s11, 0
	s_mov_b64 s[4:5], s[16:17]
.LBB233_1234:                           ; =>This Inner Loop Header: Depth=1
	s_clause 0x1
	s_load_b256 s[36:43], s[4:5], 0x4
	s_load_b128 s[12:15], s[4:5], 0x24
	s_load_b256 s[44:51], s[2:3], 0x0
	s_add_u32 s4, s4, 48
	s_addc_u32 s5, s5, 0
	s_add_i32 s11, s11, 4
	s_add_u32 s2, s2, 32
	s_addc_u32 s3, s3, 0
	s_cmp_lg_u32 s10, s11
	s_waitcnt lgkmcnt(0)
	v_mul_hi_u32 v8, s37, v7
	s_delay_alu instid0(VALU_DEP_1) | instskip(NEXT) | instid1(VALU_DEP_1)
	v_add_nc_u32_e32 v8, v7, v8
	v_lshrrev_b32_e32 v8, s38, v8
	s_delay_alu instid0(VALU_DEP_1) | instskip(SKIP_1) | instid1(VALU_DEP_2)
	v_mul_hi_u32 v10, s40, v8
	v_mul_lo_u32 v12, v8, s36
	v_add_nc_u32_e32 v10, v8, v10
	s_delay_alu instid0(VALU_DEP_2) | instskip(NEXT) | instid1(VALU_DEP_2)
	v_sub_nc_u32_e32 v7, v7, v12
	v_lshrrev_b32_e32 v10, s41, v10
	s_delay_alu instid0(VALU_DEP_2) | instskip(SKIP_1) | instid1(VALU_DEP_3)
	v_mul_lo_u32 v12, v7, s44
	v_mul_lo_u32 v14, v7, s45
	v_mul_hi_u32 v11, s43, v10
	s_delay_alu instid0(VALU_DEP_1) | instskip(NEXT) | instid1(VALU_DEP_1)
	v_add_nc_u32_e32 v11, v10, v11
	v_lshrrev_b32_e32 v11, s12, v11
	s_delay_alu instid0(VALU_DEP_1) | instskip(SKIP_1) | instid1(VALU_DEP_2)
	v_mul_hi_u32 v13, s14, v11
	v_mul_lo_u32 v15, v11, s42
	v_add_nc_u32_e32 v7, v11, v13
	v_mul_lo_u32 v13, v10, s39
	s_delay_alu instid0(VALU_DEP_3) | instskip(NEXT) | instid1(VALU_DEP_3)
	v_sub_nc_u32_e32 v10, v10, v15
	v_lshrrev_b32_e32 v7, s15, v7
	s_delay_alu instid0(VALU_DEP_2) | instskip(SKIP_2) | instid1(VALU_DEP_4)
	v_mul_lo_u32 v15, v10, s48
	v_mul_lo_u32 v10, v10, s49
	v_sub_nc_u32_e32 v8, v8, v13
	v_mul_lo_u32 v16, v7, s13
	s_delay_alu instid0(VALU_DEP_2) | instskip(SKIP_1) | instid1(VALU_DEP_3)
	v_mul_lo_u32 v13, v8, s46
	v_mul_lo_u32 v8, v8, s47
	v_sub_nc_u32_e32 v11, v11, v16
	s_delay_alu instid0(VALU_DEP_3) | instskip(NEXT) | instid1(VALU_DEP_2)
	v_add3_u32 v2, v12, v2, v13
	v_mul_lo_u32 v16, v11, s50
	v_mul_lo_u32 v11, v11, s51
	v_add3_u32 v6, v14, v6, v8
	s_delay_alu instid0(VALU_DEP_3) | instskip(NEXT) | instid1(VALU_DEP_2)
	v_add3_u32 v2, v15, v2, v16
	v_add3_u32 v6, v10, v6, v11
	s_cbranch_scc1 .LBB233_1234
; %bb.1235:
	s_and_b32 s7, s7, 3
	s_delay_alu instid0(SALU_CYCLE_1)
	s_cmp_eq_u32 s7, 0
	s_cbranch_scc0 .LBB233_1238
	s_branch .LBB233_1240
.LBB233_1236:
	s_mov_b32 s6, -1
                                        ; implicit-def: $vgpr2
                                        ; implicit-def: $vgpr6
	s_branch .LBB233_1240
.LBB233_1237:
	v_dual_mov_b32 v7, v1 :: v_dual_mov_b32 v6, 0
	s_and_b32 s7, s7, 3
	s_delay_alu instid0(SALU_CYCLE_1)
	s_cmp_eq_u32 s7, 0
	s_cbranch_scc1 .LBB233_1240
.LBB233_1238:
	s_lshl_b32 s2, s10, 3
	s_mul_i32 s4, s10, 12
	s_add_u32 s2, s2, s16
	s_addc_u32 s3, 0, s17
	s_add_u32 s2, s2, 0xc4
	s_addc_u32 s3, s3, 0
	;; [unrolled: 2-line block ×3, first 2 shown]
	.p2align	6
.LBB233_1239:                           ; =>This Inner Loop Header: Depth=1
	s_clause 0x1
	s_load_b64 s[10:11], s[4:5], 0x4
	s_load_b32 s14, s[4:5], 0xc
	s_load_b64 s[12:13], s[2:3], 0x0
	s_add_u32 s4, s4, 12
	s_addc_u32 s5, s5, 0
	s_add_u32 s2, s2, 8
	s_addc_u32 s3, s3, 0
	s_add_i32 s7, s7, -1
	s_delay_alu instid0(SALU_CYCLE_1) | instskip(SKIP_2) | instid1(VALU_DEP_1)
	s_cmp_lg_u32 s7, 0
	s_waitcnt lgkmcnt(0)
	v_mul_hi_u32 v8, s11, v7
	v_add_nc_u32_e32 v8, v7, v8
	s_delay_alu instid0(VALU_DEP_1) | instskip(NEXT) | instid1(VALU_DEP_1)
	v_lshrrev_b32_e32 v8, s14, v8
	v_mul_lo_u32 v10, v8, s10
	s_delay_alu instid0(VALU_DEP_1) | instskip(NEXT) | instid1(VALU_DEP_1)
	v_sub_nc_u32_e32 v7, v7, v10
	v_mad_u64_u32 v[10:11], null, v7, s12, v[2:3]
	v_mad_u64_u32 v[11:12], null, v7, s13, v[6:7]
	s_delay_alu instid0(VALU_DEP_2) | instskip(NEXT) | instid1(VALU_DEP_2)
	v_dual_mov_b32 v7, v8 :: v_dual_mov_b32 v2, v10
	v_mov_b32_e32 v6, v11
	s_cbranch_scc1 .LBB233_1239
.LBB233_1240:
	s_and_not1_b32 vcc_lo, exec_lo, s6
	s_cbranch_vccnz .LBB233_1243
; %bb.1241:
	s_clause 0x1
	s_load_b128 s[4:7], s[16:17], 0x4
	s_load_b64 s[2:3], s[16:17], 0xc4
	s_cmp_lt_u32 s24, 2
	s_waitcnt lgkmcnt(0)
	v_mul_hi_u32 v2, s5, v1
	s_delay_alu instid0(VALU_DEP_1) | instskip(NEXT) | instid1(VALU_DEP_1)
	v_add_nc_u32_e32 v2, v1, v2
	v_lshrrev_b32_e32 v7, s6, v2
	s_delay_alu instid0(VALU_DEP_1) | instskip(NEXT) | instid1(VALU_DEP_1)
	v_mul_lo_u32 v2, v7, s4
	v_sub_nc_u32_e32 v1, v1, v2
	s_delay_alu instid0(VALU_DEP_1)
	v_mul_lo_u32 v2, v1, s2
	v_mul_lo_u32 v6, v1, s3
	s_cbranch_scc1 .LBB233_1243
; %bb.1242:
	s_clause 0x1
	s_load_b128 s[4:7], s[16:17], 0x10
	s_load_b64 s[2:3], s[16:17], 0xcc
	s_waitcnt lgkmcnt(0)
	v_mul_hi_u32 v1, s5, v7
	s_delay_alu instid0(VALU_DEP_1) | instskip(NEXT) | instid1(VALU_DEP_1)
	v_add_nc_u32_e32 v1, v7, v1
	v_lshrrev_b32_e32 v1, s6, v1
	s_delay_alu instid0(VALU_DEP_1) | instskip(NEXT) | instid1(VALU_DEP_1)
	v_mul_lo_u32 v1, v1, s4
	v_sub_nc_u32_e32 v10, v7, v1
	s_delay_alu instid0(VALU_DEP_1) | instskip(NEXT) | instid1(VALU_DEP_1)
	v_mad_u64_u32 v[7:8], null, v10, s2, v[2:3]
	v_mad_u64_u32 v[1:2], null, v10, s3, v[6:7]
	v_mov_b32_e32 v2, v7
	s_delay_alu instid0(VALU_DEP_2)
	v_mov_b32_e32 v6, v1
.LBB233_1243:
	v_cmp_ne_u32_e32 vcc_lo, 1, v0
	v_add_nc_u32_e32 v7, 0x100, v9
	s_cbranch_vccnz .LBB233_1249
; %bb.1244:
	v_mov_b32_e32 v1, 0
	v_mov_b32_e32 v9, 0
	s_cmp_lg_u32 s24, 0
	s_mov_b32 s6, 0
	s_cbranch_scc0 .LBB233_1253
; %bb.1245:
	s_min_u32 s7, s25, 15
	v_mov_b32_e32 v1, 0
	s_add_i32 s7, s7, 1
	s_cmp_eq_u32 s25, 2
	s_mov_b32 s10, 0
	s_cbranch_scc1 .LBB233_1250
; %bb.1246:
	v_dual_mov_b32 v9, 0 :: v_dual_mov_b32 v8, v7
	v_mov_b32_e32 v1, 0
	s_add_u32 s2, s16, 0xc4
	s_addc_u32 s3, s17, 0
	s_and_b32 s10, s7, 28
	s_mov_b32 s11, 0
	s_mov_b64 s[4:5], s[16:17]
.LBB233_1247:                           ; =>This Inner Loop Header: Depth=1
	s_clause 0x1
	s_load_b256 s[36:43], s[4:5], 0x4
	s_load_b128 s[12:15], s[4:5], 0x24
	s_load_b256 s[44:51], s[2:3], 0x0
	s_add_u32 s4, s4, 48
	s_addc_u32 s5, s5, 0
	s_add_i32 s11, s11, 4
	s_add_u32 s2, s2, 32
	s_addc_u32 s3, s3, 0
	s_cmp_lg_u32 s10, s11
	s_waitcnt lgkmcnt(0)
	v_mul_hi_u32 v10, s37, v8
	s_delay_alu instid0(VALU_DEP_1) | instskip(NEXT) | instid1(VALU_DEP_1)
	v_add_nc_u32_e32 v10, v8, v10
	v_lshrrev_b32_e32 v10, s38, v10
	s_delay_alu instid0(VALU_DEP_1) | instskip(SKIP_1) | instid1(VALU_DEP_2)
	v_mul_hi_u32 v11, s40, v10
	v_mul_lo_u32 v13, v10, s36
	v_add_nc_u32_e32 v11, v10, v11
	s_delay_alu instid0(VALU_DEP_2) | instskip(NEXT) | instid1(VALU_DEP_2)
	v_sub_nc_u32_e32 v8, v8, v13
	v_lshrrev_b32_e32 v11, s41, v11
	s_delay_alu instid0(VALU_DEP_2) | instskip(SKIP_1) | instid1(VALU_DEP_3)
	v_mul_lo_u32 v13, v8, s44
	v_mul_lo_u32 v15, v8, s45
	v_mul_hi_u32 v12, s43, v11
	s_delay_alu instid0(VALU_DEP_1) | instskip(NEXT) | instid1(VALU_DEP_1)
	v_add_nc_u32_e32 v12, v11, v12
	v_lshrrev_b32_e32 v12, s12, v12
	s_delay_alu instid0(VALU_DEP_1) | instskip(SKIP_1) | instid1(VALU_DEP_2)
	v_mul_hi_u32 v14, s14, v12
	v_mul_lo_u32 v16, v12, s42
	v_add_nc_u32_e32 v8, v12, v14
	v_mul_lo_u32 v14, v11, s39
	s_delay_alu instid0(VALU_DEP_3) | instskip(NEXT) | instid1(VALU_DEP_3)
	v_sub_nc_u32_e32 v11, v11, v16
	v_lshrrev_b32_e32 v8, s15, v8
	s_delay_alu instid0(VALU_DEP_2) | instskip(SKIP_2) | instid1(VALU_DEP_4)
	v_mul_lo_u32 v16, v11, s48
	v_mul_lo_u32 v11, v11, s49
	v_sub_nc_u32_e32 v10, v10, v14
	v_mul_lo_u32 v17, v8, s13
	s_delay_alu instid0(VALU_DEP_2) | instskip(SKIP_1) | instid1(VALU_DEP_3)
	v_mul_lo_u32 v14, v10, s46
	v_mul_lo_u32 v10, v10, s47
	v_sub_nc_u32_e32 v12, v12, v17
	s_delay_alu instid0(VALU_DEP_3) | instskip(NEXT) | instid1(VALU_DEP_2)
	v_add3_u32 v1, v13, v1, v14
	v_mul_lo_u32 v17, v12, s50
	v_mul_lo_u32 v12, v12, s51
	v_add3_u32 v9, v15, v9, v10
	s_delay_alu instid0(VALU_DEP_3) | instskip(NEXT) | instid1(VALU_DEP_2)
	v_add3_u32 v1, v16, v1, v17
	v_add3_u32 v9, v11, v9, v12
	s_cbranch_scc1 .LBB233_1247
; %bb.1248:
	s_and_b32 s7, s7, 3
	s_delay_alu instid0(SALU_CYCLE_1)
	s_cmp_eq_u32 s7, 0
	s_cbranch_scc0 .LBB233_1251
	s_branch .LBB233_1253
.LBB233_1249:
	s_mov_b32 s6, -1
                                        ; implicit-def: $vgpr1
                                        ; implicit-def: $vgpr9
	s_branch .LBB233_1253
.LBB233_1250:
	v_dual_mov_b32 v8, v7 :: v_dual_mov_b32 v9, 0
	s_and_b32 s7, s7, 3
	s_delay_alu instid0(SALU_CYCLE_1)
	s_cmp_eq_u32 s7, 0
	s_cbranch_scc1 .LBB233_1253
.LBB233_1251:
	s_lshl_b32 s2, s10, 3
	s_mul_i32 s4, s10, 12
	s_add_u32 s2, s2, s16
	s_addc_u32 s3, 0, s17
	s_add_u32 s2, s2, 0xc4
	s_addc_u32 s3, s3, 0
	;; [unrolled: 2-line block ×3, first 2 shown]
	.p2align	6
.LBB233_1252:                           ; =>This Inner Loop Header: Depth=1
	s_clause 0x1
	s_load_b64 s[10:11], s[4:5], 0x4
	s_load_b32 s14, s[4:5], 0xc
	s_load_b64 s[12:13], s[2:3], 0x0
	s_add_u32 s4, s4, 12
	s_addc_u32 s5, s5, 0
	s_add_u32 s2, s2, 8
	s_addc_u32 s3, s3, 0
	s_add_i32 s7, s7, -1
	s_delay_alu instid0(SALU_CYCLE_1) | instskip(SKIP_2) | instid1(VALU_DEP_1)
	s_cmp_lg_u32 s7, 0
	s_waitcnt lgkmcnt(0)
	v_mul_hi_u32 v10, s11, v8
	v_add_nc_u32_e32 v10, v8, v10
	s_delay_alu instid0(VALU_DEP_1) | instskip(NEXT) | instid1(VALU_DEP_1)
	v_lshrrev_b32_e32 v13, s14, v10
	v_mul_lo_u32 v10, v13, s10
	s_delay_alu instid0(VALU_DEP_1) | instskip(NEXT) | instid1(VALU_DEP_1)
	v_sub_nc_u32_e32 v8, v8, v10
	v_mad_u64_u32 v[10:11], null, v8, s12, v[1:2]
	s_delay_alu instid0(VALU_DEP_1) | instskip(SKIP_1) | instid1(VALU_DEP_2)
	v_mad_u64_u32 v[11:12], null, v8, s13, v[9:10]
	v_dual_mov_b32 v8, v13 :: v_dual_mov_b32 v1, v10
	v_mov_b32_e32 v9, v11
	s_cbranch_scc1 .LBB233_1252
.LBB233_1253:
	s_and_not1_b32 vcc_lo, exec_lo, s6
	s_cbranch_vccnz .LBB233_1256
; %bb.1254:
	s_clause 0x1
	s_load_b128 s[4:7], s[16:17], 0x4
	s_load_b64 s[2:3], s[16:17], 0xc4
	s_cmp_lt_u32 s24, 2
	s_waitcnt lgkmcnt(0)
	v_mul_hi_u32 v1, s5, v7
	s_delay_alu instid0(VALU_DEP_1) | instskip(NEXT) | instid1(VALU_DEP_1)
	v_add_nc_u32_e32 v1, v7, v1
	v_lshrrev_b32_e32 v8, s6, v1
	s_delay_alu instid0(VALU_DEP_1) | instskip(NEXT) | instid1(VALU_DEP_1)
	v_mul_lo_u32 v1, v8, s4
	v_sub_nc_u32_e32 v7, v7, v1
	s_delay_alu instid0(VALU_DEP_1)
	v_mul_lo_u32 v1, v7, s2
	v_mul_lo_u32 v9, v7, s3
	s_cbranch_scc1 .LBB233_1256
; %bb.1255:
	s_clause 0x1
	s_load_b128 s[4:7], s[16:17], 0x10
	s_load_b64 s[2:3], s[16:17], 0xcc
	s_waitcnt lgkmcnt(0)
	v_mul_hi_u32 v7, s5, v8
	s_delay_alu instid0(VALU_DEP_1) | instskip(NEXT) | instid1(VALU_DEP_1)
	v_add_nc_u32_e32 v7, v8, v7
	v_lshrrev_b32_e32 v7, s6, v7
	s_delay_alu instid0(VALU_DEP_1) | instskip(NEXT) | instid1(VALU_DEP_1)
	v_mul_lo_u32 v7, v7, s4
	v_sub_nc_u32_e32 v12, v8, v7
	s_delay_alu instid0(VALU_DEP_1) | instskip(SKIP_1) | instid1(VALU_DEP_2)
	v_mad_u64_u32 v[7:8], null, v12, s2, v[1:2]
	v_mad_u64_u32 v[10:11], null, v12, s3, v[9:10]
	v_mov_b32_e32 v1, v7
	s_delay_alu instid0(VALU_DEP_2)
	v_mov_b32_e32 v9, v10
.LBB233_1256:
	v_cmp_ne_u32_e32 vcc_lo, 1, v0
	s_cbranch_vccnz .LBB233_1262
; %bb.1257:
	v_dual_mov_b32 v0, 0 :: v_dual_mov_b32 v11, 0
	s_cmp_lg_u32 s24, 0
	s_mov_b32 s6, 0
	s_cbranch_scc0 .LBB233_1266
; %bb.1258:
	s_min_u32 s7, s25, 15
	v_mov_b32_e32 v0, 0
	s_add_i32 s7, s7, 1
	s_cmp_eq_u32 s25, 2
	s_mov_b32 s10, 0
	s_cbranch_scc1 .LBB233_1263
; %bb.1259:
	v_dual_mov_b32 v11, 0 :: v_dual_mov_b32 v0, 0
	v_mov_b32_e32 v7, v5
	s_add_u32 s2, s16, 0xc4
	s_addc_u32 s3, s17, 0
	s_and_b32 s10, s7, 28
	s_mov_b32 s11, 0
	s_mov_b64 s[4:5], s[16:17]
.LBB233_1260:                           ; =>This Inner Loop Header: Depth=1
	s_clause 0x1
	s_load_b256 s[36:43], s[4:5], 0x4
	s_load_b128 s[12:15], s[4:5], 0x24
	s_load_b256 s[44:51], s[2:3], 0x0
	s_add_u32 s4, s4, 48
	s_addc_u32 s5, s5, 0
	s_add_i32 s11, s11, 4
	s_add_u32 s2, s2, 32
	s_addc_u32 s3, s3, 0
	s_cmp_lg_u32 s10, s11
	s_waitcnt lgkmcnt(0)
	v_mul_hi_u32 v8, s37, v7
	s_delay_alu instid0(VALU_DEP_1) | instskip(NEXT) | instid1(VALU_DEP_1)
	v_add_nc_u32_e32 v8, v7, v8
	v_lshrrev_b32_e32 v8, s38, v8
	s_delay_alu instid0(VALU_DEP_1) | instskip(SKIP_1) | instid1(VALU_DEP_2)
	v_mul_hi_u32 v10, s40, v8
	v_mul_lo_u32 v13, v8, s36
	v_add_nc_u32_e32 v10, v8, v10
	s_delay_alu instid0(VALU_DEP_2) | instskip(NEXT) | instid1(VALU_DEP_2)
	v_sub_nc_u32_e32 v7, v7, v13
	v_lshrrev_b32_e32 v10, s41, v10
	s_delay_alu instid0(VALU_DEP_2) | instskip(SKIP_1) | instid1(VALU_DEP_3)
	v_mul_lo_u32 v13, v7, s44
	v_mul_lo_u32 v15, v7, s45
	v_mul_hi_u32 v12, s43, v10
	s_delay_alu instid0(VALU_DEP_1) | instskip(NEXT) | instid1(VALU_DEP_1)
	v_add_nc_u32_e32 v12, v10, v12
	v_lshrrev_b32_e32 v12, s12, v12
	s_delay_alu instid0(VALU_DEP_1) | instskip(SKIP_1) | instid1(VALU_DEP_2)
	v_mul_hi_u32 v14, s14, v12
	v_mul_lo_u32 v16, v12, s42
	v_add_nc_u32_e32 v7, v12, v14
	v_mul_lo_u32 v14, v10, s39
	s_delay_alu instid0(VALU_DEP_3) | instskip(NEXT) | instid1(VALU_DEP_3)
	v_sub_nc_u32_e32 v10, v10, v16
	v_lshrrev_b32_e32 v7, s15, v7
	s_delay_alu instid0(VALU_DEP_2) | instskip(SKIP_2) | instid1(VALU_DEP_4)
	v_mul_lo_u32 v16, v10, s48
	v_mul_lo_u32 v10, v10, s49
	v_sub_nc_u32_e32 v8, v8, v14
	v_mul_lo_u32 v17, v7, s13
	s_delay_alu instid0(VALU_DEP_2) | instskip(SKIP_1) | instid1(VALU_DEP_3)
	v_mul_lo_u32 v14, v8, s46
	v_mul_lo_u32 v8, v8, s47
	v_sub_nc_u32_e32 v12, v12, v17
	s_delay_alu instid0(VALU_DEP_3) | instskip(NEXT) | instid1(VALU_DEP_2)
	v_add3_u32 v0, v13, v0, v14
	v_mul_lo_u32 v17, v12, s50
	v_mul_lo_u32 v12, v12, s51
	v_add3_u32 v8, v15, v11, v8
	s_delay_alu instid0(VALU_DEP_3) | instskip(NEXT) | instid1(VALU_DEP_2)
	v_add3_u32 v0, v16, v0, v17
	v_add3_u32 v11, v10, v8, v12
	s_cbranch_scc1 .LBB233_1260
; %bb.1261:
	s_and_b32 s7, s7, 3
	s_delay_alu instid0(SALU_CYCLE_1)
	s_cmp_eq_u32 s7, 0
	s_cbranch_scc0 .LBB233_1264
	s_branch .LBB233_1266
.LBB233_1262:
	s_mov_b32 s6, -1
                                        ; implicit-def: $vgpr0
                                        ; implicit-def: $vgpr11
	s_branch .LBB233_1266
.LBB233_1263:
	v_mov_b32_e32 v7, v5
	v_mov_b32_e32 v11, 0
	s_and_b32 s7, s7, 3
	s_delay_alu instid0(SALU_CYCLE_1)
	s_cmp_eq_u32 s7, 0
	s_cbranch_scc1 .LBB233_1266
.LBB233_1264:
	s_lshl_b32 s2, s10, 3
	s_mul_i32 s4, s10, 12
	s_add_u32 s2, s2, s16
	s_addc_u32 s3, 0, s17
	s_add_u32 s2, s2, 0xc4
	s_addc_u32 s3, s3, 0
	;; [unrolled: 2-line block ×3, first 2 shown]
	.p2align	6
.LBB233_1265:                           ; =>This Inner Loop Header: Depth=1
	s_clause 0x1
	s_load_b64 s[10:11], s[4:5], 0x4
	s_load_b32 s14, s[4:5], 0xc
	s_load_b64 s[12:13], s[2:3], 0x0
	s_add_u32 s4, s4, 12
	s_addc_u32 s5, s5, 0
	s_add_u32 s2, s2, 8
	s_addc_u32 s3, s3, 0
	s_add_i32 s7, s7, -1
	s_delay_alu instid0(SALU_CYCLE_1) | instskip(SKIP_2) | instid1(VALU_DEP_1)
	s_cmp_lg_u32 s7, 0
	s_waitcnt lgkmcnt(0)
	v_mul_hi_u32 v8, s11, v7
	v_add_nc_u32_e32 v8, v7, v8
	s_delay_alu instid0(VALU_DEP_1) | instskip(NEXT) | instid1(VALU_DEP_1)
	v_lshrrev_b32_e32 v8, s14, v8
	v_mul_lo_u32 v10, v8, s10
	s_delay_alu instid0(VALU_DEP_1) | instskip(NEXT) | instid1(VALU_DEP_1)
	v_sub_nc_u32_e32 v7, v7, v10
	v_mad_u64_u32 v[12:13], null, v7, s12, v[0:1]
	s_delay_alu instid0(VALU_DEP_1) | instskip(SKIP_1) | instid1(VALU_DEP_2)
	v_mad_u64_u32 v[13:14], null, v7, s13, v[11:12]
	v_mov_b32_e32 v7, v8
	v_dual_mov_b32 v0, v12 :: v_dual_mov_b32 v11, v13
	s_cbranch_scc1 .LBB233_1265
.LBB233_1266:
	s_and_not1_b32 vcc_lo, exec_lo, s6
	s_cbranch_vccnz .LBB233_1269
; %bb.1267:
	s_clause 0x1
	s_load_b128 s[4:7], s[16:17], 0x4
	s_load_b64 s[2:3], s[16:17], 0xc4
	s_cmp_lt_u32 s24, 2
	s_waitcnt lgkmcnt(0)
	v_mul_hi_u32 v0, s5, v5
	s_delay_alu instid0(VALU_DEP_1) | instskip(NEXT) | instid1(VALU_DEP_1)
	v_add_nc_u32_e32 v0, v5, v0
	v_lshrrev_b32_e32 v7, s6, v0
	s_delay_alu instid0(VALU_DEP_1) | instskip(NEXT) | instid1(VALU_DEP_1)
	v_mul_lo_u32 v0, v7, s4
	v_sub_nc_u32_e32 v5, v5, v0
	s_delay_alu instid0(VALU_DEP_1)
	v_mul_lo_u32 v0, v5, s2
	v_mul_lo_u32 v11, v5, s3
	s_cbranch_scc1 .LBB233_1269
; %bb.1268:
	s_clause 0x1
	s_load_b128 s[4:7], s[16:17], 0x10
	s_load_b64 s[2:3], s[16:17], 0xcc
	s_waitcnt lgkmcnt(0)
	v_mul_hi_u32 v5, s5, v7
	s_delay_alu instid0(VALU_DEP_1) | instskip(NEXT) | instid1(VALU_DEP_1)
	v_add_nc_u32_e32 v5, v7, v5
	v_lshrrev_b32_e32 v5, s6, v5
	s_delay_alu instid0(VALU_DEP_1) | instskip(NEXT) | instid1(VALU_DEP_1)
	v_mul_lo_u32 v5, v5, s4
	v_sub_nc_u32_e32 v5, v7, v5
	s_delay_alu instid0(VALU_DEP_1) | instskip(SKIP_1) | instid1(VALU_DEP_1)
	v_mad_u64_u32 v[7:8], null, v5, s2, v[0:1]
	v_mad_u64_u32 v[12:13], null, v5, s3, v[11:12]
	v_dual_mov_b32 v0, v7 :: v_dual_mov_b32 v11, v12
.LBB233_1269:
	s_clause 0x1
	s_load_b32 s3, s[0:1], 0x160
	s_load_b128 s[4:7], s[16:17], 0x148
	s_mov_b32 s10, 0
	s_waitcnt lgkmcnt(0)
	s_lshr_b32 s0, s3, 16
	s_delay_alu instid0(SALU_CYCLE_1) | instskip(SKIP_1) | instid1(VALU_DEP_1)
	v_and_b32_e64 v15, 0xff, s0
	v_add_co_u32 v7, s0, s6, v4
	v_add_co_ci_u32_e64 v8, null, s7, 0, s0
	s_delay_alu instid0(VALU_DEP_3)
	v_cmp_gt_i16_e32 vcc_lo, 11, v15
	s_cbranch_vccnz .LBB233_1276
; %bb.1270:
	v_cmp_lt_i16_e32 vcc_lo, 25, v15
	s_mov_b32 s1, 0
	s_cbranch_vccz .LBB233_1282
; %bb.1271:
	v_cmp_lt_i16_e32 vcc_lo, 28, v15
	s_cbranch_vccz .LBB233_1285
; %bb.1272:
	v_cmp_lt_i16_e32 vcc_lo, 43, v15
	;; [unrolled: 3-line block ×3, first 2 shown]
	s_cbranch_vccz .LBB233_1291
; %bb.1274:
	v_cmp_eq_u16_e32 vcc_lo, 46, v15
	s_mov_b32 s2, 0
	s_cbranch_vccz .LBB233_1334
; %bb.1275:
	global_load_b32 v4, v[7:8], off
	s_mov_b32 s0, 0
	s_mov_b32 s10, -1
	s_waitcnt vmcnt(0)
	v_and_b32_e32 v5, 0xffff0000, v4
	v_lshlrev_b32_e32 v4, 16, v4
	s_branch .LBB233_1336
.LBB233_1276:
	s_mov_b32 s2, s8
                                        ; implicit-def: $vgpr5
	s_cbranch_execz .LBB233_1402
; %bb.1277:
	v_cmp_gt_i16_e32 vcc_lo, 5, v15
	s_cbranch_vccnz .LBB233_1283
; %bb.1278:
	v_cmp_gt_i16_e32 vcc_lo, 8, v15
	s_cbranch_vccnz .LBB233_1286
; %bb.1279:
	v_cmp_gt_i16_e32 vcc_lo, 9, v15
	s_cbranch_vccnz .LBB233_1288
; %bb.1280:
	v_cmp_lt_i16_e32 vcc_lo, 9, v15
	s_cbranch_vccz .LBB233_1292
; %bb.1281:
	global_load_b128 v[16:19], v[7:8], off
	s_mov_b32 s0, 0
	s_waitcnt vmcnt(0)
	v_cvt_f32_f64_e32 v4, v[16:17]
	v_cvt_f32_f64_e32 v5, v[18:19]
	s_branch .LBB233_1293
.LBB233_1282:
	s_mov_b32 s0, 0
                                        ; implicit-def: $vgpr5
	s_cbranch_execnz .LBB233_1368
	s_branch .LBB233_1398
.LBB233_1283:
                                        ; implicit-def: $vgpr5
	s_branch .LBB233_1311
.LBB233_1284:
	s_branch .LBB233_1403
.LBB233_1285:
	s_mov_b32 s0, 0
                                        ; implicit-def: $vgpr5
	s_cbranch_execnz .LBB233_1348
	s_branch .LBB233_1367
.LBB233_1286:
                                        ; implicit-def: $vgpr5
	s_branch .LBB233_1299
.LBB233_1287:
	s_mov_b32 s2, -1
	s_mov_b32 s0, 0
                                        ; implicit-def: $vgpr5
	s_branch .LBB233_1342
.LBB233_1288:
	s_mov_b32 s0, -1
                                        ; implicit-def: $vgpr5
	s_branch .LBB233_1296
.LBB233_1289:
	s_cbranch_execnz .LBB233_1332
; %bb.1290:
	s_or_b32 s6, s6, exec_lo
	s_and_not1_b32 s8, s8, exec_lo
	s_or_b32 exec_lo, exec_lo, s2
	s_and_saveexec_b32 s2, s8
	s_delay_alu instid0(SALU_CYCLE_1)
	s_xor_b32 s4, exec_lo, s2
	s_cbranch_execnz .LBB233_1176
	s_branch .LBB233_1177
.LBB233_1291:
	s_mov_b32 s2, -1
	s_mov_b32 s0, 0
	s_branch .LBB233_1335
.LBB233_1292:
	s_mov_b32 s0, -1
                                        ; implicit-def: $vgpr5
.LBB233_1293:
	s_delay_alu instid0(SALU_CYCLE_1)
	s_and_not1_b32 vcc_lo, exec_lo, s0
	s_cbranch_vccnz .LBB233_1295
; %bb.1294:
	global_load_b64 v[4:5], v[7:8], off
.LBB233_1295:
	s_mov_b32 s0, 0
.LBB233_1296:
	s_delay_alu instid0(SALU_CYCLE_1)
	s_and_not1_b32 vcc_lo, exec_lo, s0
	s_cbranch_vccnz .LBB233_1298
; %bb.1297:
	global_load_b32 v4, v[7:8], off
	s_waitcnt vmcnt(0)
	v_lshrrev_b32_e32 v5, 16, v4
	v_cvt_f32_f16_e32 v4, v4
	s_delay_alu instid0(VALU_DEP_2)
	v_cvt_f32_f16_e32 v5, v5
.LBB233_1298:
	s_cbranch_execnz .LBB233_1310
.LBB233_1299:
	v_cmp_gt_i16_e32 vcc_lo, 6, v15
	s_cbranch_vccnz .LBB233_1302
; %bb.1300:
	v_cmp_lt_i16_e32 vcc_lo, 6, v15
	s_cbranch_vccz .LBB233_1303
; %bb.1301:
	global_load_b64 v[4:5], v[7:8], off
	s_mov_b32 s1, 0
	s_mov_b32 s0, 0
	s_waitcnt vmcnt(0)
	v_cvt_f32_f64_e32 v4, v[4:5]
	s_branch .LBB233_1304
.LBB233_1302:
	s_mov_b32 s1, -1
                                        ; implicit-def: $sgpr0
                                        ; implicit-def: $vgpr4
	s_branch .LBB233_1307
.LBB233_1303:
	s_mov_b32 s1, -1
                                        ; implicit-def: $sgpr0
                                        ; implicit-def: $vgpr4
.LBB233_1304:
	s_delay_alu instid0(SALU_CYCLE_1)
	s_and_not1_b32 vcc_lo, exec_lo, s1
	s_cbranch_vccnz .LBB233_1306
; %bb.1305:
	global_load_b32 v4, v[7:8], off
	s_mov_b32 s0, 0
.LBB233_1306:
	s_mov_b32 s1, 0
.LBB233_1307:
	s_delay_alu instid0(SALU_CYCLE_1)
	s_and_not1_b32 vcc_lo, exec_lo, s1
	s_cbranch_vccnz .LBB233_1309
; %bb.1308:
	global_load_u16 v4, v[7:8], off
	s_mov_b32 s0, 0
	s_waitcnt vmcnt(0)
	v_cvt_f32_f16_e32 v4, v4
.LBB233_1309:
	s_waitcnt vmcnt(0)
	v_mov_b32_e32 v5, s0
.LBB233_1310:
	s_cbranch_execnz .LBB233_1284
.LBB233_1311:
	v_cmp_gt_i16_e32 vcc_lo, 2, v15
	s_cbranch_vccnz .LBB233_1315
; %bb.1312:
	v_cmp_gt_i16_e32 vcc_lo, 3, v15
	s_cbranch_vccnz .LBB233_1316
; %bb.1313:
	v_cmp_lt_i16_e32 vcc_lo, 3, v15
	s_cbranch_vccz .LBB233_1317
; %bb.1314:
	global_load_b64 v[4:5], v[7:8], off
	s_mov_b32 s1, 0
	s_mov_b32 s0, 0
	s_waitcnt vmcnt(0)
	v_xor_b32_e32 v10, v4, v5
	v_cls_i32_e32 v12, v5
	s_delay_alu instid0(VALU_DEP_2) | instskip(NEXT) | instid1(VALU_DEP_2)
	v_ashrrev_i32_e32 v10, 31, v10
	v_add_nc_u32_e32 v12, -1, v12
	s_delay_alu instid0(VALU_DEP_2) | instskip(NEXT) | instid1(VALU_DEP_1)
	v_add_nc_u32_e32 v10, 32, v10
	v_min_u32_e32 v10, v12, v10
	s_delay_alu instid0(VALU_DEP_1) | instskip(NEXT) | instid1(VALU_DEP_1)
	v_lshlrev_b64 v[4:5], v10, v[4:5]
	v_min_u32_e32 v4, 1, v4
	s_delay_alu instid0(VALU_DEP_1) | instskip(SKIP_1) | instid1(VALU_DEP_2)
	v_or_b32_e32 v4, v5, v4
	v_sub_nc_u32_e32 v5, 32, v10
	v_cvt_f32_i32_e32 v4, v4
	s_delay_alu instid0(VALU_DEP_1)
	v_ldexp_f32 v4, v4, v5
	s_branch .LBB233_1318
.LBB233_1315:
                                        ; implicit-def: $sgpr0
                                        ; implicit-def: $vgpr4
	s_branch .LBB233_1324
.LBB233_1316:
	s_mov_b32 s1, -1
                                        ; implicit-def: $sgpr0
                                        ; implicit-def: $vgpr4
	s_branch .LBB233_1321
.LBB233_1317:
	s_mov_b32 s1, -1
                                        ; implicit-def: $sgpr0
                                        ; implicit-def: $vgpr4
.LBB233_1318:
	s_delay_alu instid0(SALU_CYCLE_1)
	s_and_not1_b32 vcc_lo, exec_lo, s1
	s_cbranch_vccnz .LBB233_1320
; %bb.1319:
	global_load_b32 v4, v[7:8], off
	s_mov_b32 s0, 0
	s_waitcnt vmcnt(0)
	v_cvt_f32_i32_e32 v4, v4
.LBB233_1320:
	s_mov_b32 s1, 0
.LBB233_1321:
	s_delay_alu instid0(SALU_CYCLE_1)
	s_and_not1_b32 vcc_lo, exec_lo, s1
	s_cbranch_vccnz .LBB233_1323
; %bb.1322:
	global_load_i16 v4, v[7:8], off
	s_mov_b32 s0, 0
	s_waitcnt vmcnt(0)
	v_cvt_f32_i32_e32 v4, v4
.LBB233_1323:
	s_cbranch_execnz .LBB233_1329
.LBB233_1324:
	v_cmp_lt_i16_e32 vcc_lo, 0, v15
	s_mov_b32 s1, 0
	s_cbranch_vccz .LBB233_1326
; %bb.1325:
	global_load_i8 v4, v[7:8], off
	s_mov_b32 s0, 0
	s_waitcnt vmcnt(0)
	v_cvt_f32_i32_e32 v4, v4
	s_branch .LBB233_1327
.LBB233_1326:
	s_mov_b32 s1, -1
                                        ; implicit-def: $sgpr0
                                        ; implicit-def: $vgpr4
.LBB233_1327:
	s_delay_alu instid0(SALU_CYCLE_1)
	s_and_not1_b32 vcc_lo, exec_lo, s1
	s_cbranch_vccnz .LBB233_1329
; %bb.1328:
	global_load_u8 v4, v[7:8], off
	s_mov_b32 s0, 0
	s_waitcnt vmcnt(0)
	v_cvt_f32_ubyte0_e32 v4, v4
.LBB233_1329:
	s_waitcnt vmcnt(0)
	v_mov_b32_e32 v5, s0
	s_branch .LBB233_1403
.LBB233_1330:
	s_trap 2
	s_sendmsg_rtn_b32 s0, sendmsg(MSG_RTN_GET_DOORBELL)
	s_mov_b32 ttmp2, m0
	s_waitcnt lgkmcnt(0)
	s_and_b32 s0, s0, 0x3ff
	s_delay_alu instid0(SALU_CYCLE_1) | instskip(NEXT) | instid1(SALU_CYCLE_1)
	s_bitset1_b32 s0, 10
	s_mov_b32 m0, s0
	s_sendmsg sendmsg(MSG_INTERRUPT)
	s_mov_b32 m0, ttmp2
.LBB233_1331:                           ; =>This Inner Loop Header: Depth=1
	s_sethalt 5
	s_branch .LBB233_1331
.LBB233_1332:
	s_trap 2
	s_sendmsg_rtn_b32 s0, sendmsg(MSG_RTN_GET_DOORBELL)
	s_mov_b32 ttmp2, m0
	s_waitcnt lgkmcnt(0)
	s_and_b32 s0, s0, 0x3ff
	s_delay_alu instid0(SALU_CYCLE_1) | instskip(NEXT) | instid1(SALU_CYCLE_1)
	s_bitset1_b32 s0, 10
	s_mov_b32 m0, s0
	s_sendmsg sendmsg(MSG_INTERRUPT)
	s_mov_b32 m0, ttmp2
.LBB233_1333:                           ; =>This Inner Loop Header: Depth=1
	s_sethalt 5
	s_branch .LBB233_1333
.LBB233_1334:
	s_mov_b32 s0, -1
.LBB233_1335:
                                        ; implicit-def: $vgpr5
.LBB233_1336:
	s_and_b32 vcc_lo, exec_lo, s2
	s_cbranch_vccz .LBB233_1341
; %bb.1337:
	v_cmp_eq_u16_e32 vcc_lo, 44, v15
	s_cbranch_vccz .LBB233_1339
; %bb.1338:
	global_load_u8 v4, v[7:8], off
	s_mov_b32 s0, 0
	s_mov_b32 s10, -1
	s_waitcnt vmcnt(0)
	v_lshlrev_b32_e32 v5, 23, v4
	v_cmp_ne_u32_e32 vcc_lo, 0xff, v4
	s_delay_alu instid0(VALU_DEP_2) | instskip(SKIP_1) | instid1(VALU_DEP_2)
	v_cndmask_b32_e32 v5, 0x7f800001, v5, vcc_lo
	v_cmp_ne_u32_e32 vcc_lo, 0, v4
	v_cndmask_b32_e32 v4, 0x400000, v5, vcc_lo
	s_branch .LBB233_1340
.LBB233_1339:
	s_mov_b32 s0, -1
                                        ; implicit-def: $vgpr4
.LBB233_1340:
	s_delay_alu instid0(SALU_CYCLE_1)
	v_mov_b32_e32 v5, s0
.LBB233_1341:
	s_mov_b32 s2, 0
.LBB233_1342:
	s_delay_alu instid0(SALU_CYCLE_1)
	s_and_b32 vcc_lo, exec_lo, s2
	s_cbranch_vccz .LBB233_1347
; %bb.1343:
	v_cmp_eq_u16_e32 vcc_lo, 29, v15
	s_cbranch_vccz .LBB233_1345
; %bb.1344:
	global_load_b64 v[4:5], v[7:8], off
	s_mov_b32 s0, 0
	s_mov_b32 s10, -1
	s_mov_b32 s2, 0
	s_waitcnt vmcnt(0)
	v_clz_i32_u32_e32 v10, v5
	s_delay_alu instid0(VALU_DEP_1) | instskip(NEXT) | instid1(VALU_DEP_1)
	v_min_u32_e32 v10, 32, v10
	v_lshlrev_b64 v[4:5], v10, v[4:5]
	s_delay_alu instid0(VALU_DEP_1) | instskip(NEXT) | instid1(VALU_DEP_1)
	v_min_u32_e32 v4, 1, v4
	v_or_b32_e32 v4, v5, v4
	v_sub_nc_u32_e32 v5, 32, v10
	s_delay_alu instid0(VALU_DEP_2) | instskip(NEXT) | instid1(VALU_DEP_1)
	v_cvt_f32_u32_e32 v4, v4
	v_ldexp_f32 v4, v4, v5
	s_branch .LBB233_1346
.LBB233_1345:
	s_mov_b32 s0, -1
                                        ; implicit-def: $sgpr2
                                        ; implicit-def: $vgpr4
.LBB233_1346:
	v_mov_b32_e32 v5, s2
.LBB233_1347:
	s_branch .LBB233_1367
.LBB233_1348:
	v_cmp_gt_i16_e32 vcc_lo, 27, v15
	s_cbranch_vccnz .LBB233_1351
; %bb.1349:
	v_cmp_lt_i16_e32 vcc_lo, 27, v15
	s_cbranch_vccz .LBB233_1352
; %bb.1350:
	global_load_b32 v4, v[7:8], off
	s_mov_b32 s10, 0
	s_mov_b32 s2, 0
	s_waitcnt vmcnt(0)
	v_cvt_f32_u32_e32 v4, v4
	s_branch .LBB233_1353
.LBB233_1351:
	s_mov_b32 s10, -1
                                        ; implicit-def: $sgpr2
                                        ; implicit-def: $vgpr4
	s_branch .LBB233_1356
.LBB233_1352:
	s_mov_b32 s10, -1
                                        ; implicit-def: $sgpr2
                                        ; implicit-def: $vgpr4
.LBB233_1353:
	s_delay_alu instid0(SALU_CYCLE_1)
	s_and_not1_b32 vcc_lo, exec_lo, s10
	s_cbranch_vccnz .LBB233_1355
; %bb.1354:
	global_load_u16 v4, v[7:8], off
	s_mov_b32 s2, 0
	s_waitcnt vmcnt(0)
	v_cvt_f32_u32_e32 v4, v4
.LBB233_1355:
	s_mov_b32 s10, 0
.LBB233_1356:
	v_mov_b32_e32 v5, s2
	s_and_not1_b32 vcc_lo, exec_lo, s10
	s_cbranch_vccnz .LBB233_1366
; %bb.1357:
	global_load_u8 v10, v[7:8], off
	s_mov_b32 s2, 0
	s_mov_b32 s12, exec_lo
                                        ; implicit-def: $sgpr11
                                        ; implicit-def: $sgpr10
	s_waitcnt vmcnt(0)
	v_cmpx_lt_i16_e32 0x7f, v10
	s_xor_b32 s12, exec_lo, s12
	s_cbranch_execz .LBB233_1361
; %bb.1358:
	s_mov_b32 s2, -1
	s_mov_b32 s13, exec_lo
                                        ; implicit-def: $sgpr11
                                        ; implicit-def: $sgpr10
	v_cmpx_eq_u16_e32 0x80, v10
; %bb.1359:
	s_mov_b32 s10, 0x7f800001
	s_mov_b32 s11, 0
	s_xor_b32 s2, exec_lo, -1
; %bb.1360:
	s_or_b32 exec_lo, exec_lo, s13
	s_delay_alu instid0(SALU_CYCLE_1)
	s_and_b32 s2, s2, exec_lo
.LBB233_1361:
	s_or_saveexec_b32 s12, s12
	v_dual_mov_b32 v5, s11 :: v_dual_mov_b32 v4, s10
	s_xor_b32 exec_lo, exec_lo, s12
; %bb.1362:
	v_mov_b32_e32 v5, 0
	v_cmp_ne_u16_e32 vcc_lo, 0, v10
	s_and_not1_b32 s2, s2, exec_lo
	s_delay_alu instid0(VALU_DEP_2) | instskip(SKIP_1) | instid1(SALU_CYCLE_1)
	v_mov_b32_e32 v4, v5
	s_and_b32 s10, vcc_lo, exec_lo
	s_or_b32 s2, s2, s10
; %bb.1363:
	s_or_b32 exec_lo, exec_lo, s12
	s_and_saveexec_b32 s10, s2
	s_cbranch_execz .LBB233_1365
; %bb.1364:
	v_and_b32_e32 v4, 0xffff, v10
	v_lshlrev_b32_e32 v10, 24, v10
	s_delay_alu instid0(VALU_DEP_2) | instskip(NEXT) | instid1(VALU_DEP_2)
	v_and_b32_e32 v5, 7, v4
	v_and_b32_e32 v10, 0x80000000, v10
	s_delay_alu instid0(VALU_DEP_2) | instskip(NEXT) | instid1(VALU_DEP_1)
	v_clz_i32_u32_e32 v12, v5
	v_min_u32_e32 v12, 32, v12
	s_delay_alu instid0(VALU_DEP_1) | instskip(SKIP_1) | instid1(VALU_DEP_2)
	v_subrev_nc_u32_e32 v13, 28, v12
	v_sub_nc_u32_e32 v12, 29, v12
	v_lshlrev_b32_e32 v13, v13, v4
	v_bfe_u32 v4, v4, 3, 4
	s_delay_alu instid0(VALU_DEP_1) | instskip(NEXT) | instid1(VALU_DEP_3)
	v_cmp_eq_u32_e32 vcc_lo, 0, v4
	v_dual_cndmask_b32 v4, v4, v12 :: v_dual_and_b32 v13, 7, v13
	s_delay_alu instid0(VALU_DEP_1) | instskip(NEXT) | instid1(VALU_DEP_2)
	v_cndmask_b32_e32 v5, v5, v13, vcc_lo
	v_lshl_add_u32 v4, v4, 23, 0x3b800000
	s_delay_alu instid0(VALU_DEP_2) | instskip(NEXT) | instid1(VALU_DEP_1)
	v_lshlrev_b32_e32 v5, 20, v5
	v_or3_b32 v4, v10, v4, v5
	v_mov_b32_e32 v5, 0
.LBB233_1365:
	s_or_b32 exec_lo, exec_lo, s10
.LBB233_1366:
	s_mov_b32 s10, -1
.LBB233_1367:
	s_branch .LBB233_1398
.LBB233_1368:
	v_cmp_lt_i16_e32 vcc_lo, 22, v15
	s_cbranch_vccz .LBB233_1380
; %bb.1369:
	v_cmp_gt_i16_e32 vcc_lo, 24, v15
	s_cbranch_vccnz .LBB233_1381
; %bb.1370:
	v_cmp_lt_i16_e32 vcc_lo, 24, v15
	s_cbranch_vccz .LBB233_1382
; %bb.1371:
	global_load_u8 v10, v[7:8], off
	s_mov_b32 s11, exec_lo
                                        ; implicit-def: $sgpr10
                                        ; implicit-def: $sgpr2
	s_waitcnt vmcnt(0)
	v_cmpx_lt_i16_e32 0x7f, v10
	s_xor_b32 s11, exec_lo, s11
	s_cbranch_execz .LBB233_1375
; %bb.1372:
	s_mov_b32 s1, -1
	s_mov_b32 s12, exec_lo
                                        ; implicit-def: $sgpr10
                                        ; implicit-def: $sgpr2
	v_cmpx_eq_u16_e32 0x80, v10
; %bb.1373:
	s_mov_b32 s2, 0x7f800001
	s_mov_b32 s10, 0
	s_xor_b32 s1, exec_lo, -1
; %bb.1374:
	s_or_b32 exec_lo, exec_lo, s12
	s_delay_alu instid0(SALU_CYCLE_1)
	s_and_b32 s1, s1, exec_lo
.LBB233_1375:
	s_or_saveexec_b32 s11, s11
	v_dual_mov_b32 v5, s10 :: v_dual_mov_b32 v4, s2
	s_xor_b32 exec_lo, exec_lo, s11
; %bb.1376:
	v_mov_b32_e32 v5, 0
	v_cmp_ne_u16_e32 vcc_lo, 0, v10
	s_and_not1_b32 s1, s1, exec_lo
	s_delay_alu instid0(VALU_DEP_2) | instskip(SKIP_1) | instid1(SALU_CYCLE_1)
	v_mov_b32_e32 v4, v5
	s_and_b32 s2, vcc_lo, exec_lo
	s_or_b32 s1, s1, s2
; %bb.1377:
	s_or_b32 exec_lo, exec_lo, s11
	s_and_saveexec_b32 s2, s1
	s_cbranch_execz .LBB233_1379
; %bb.1378:
	v_and_b32_e32 v4, 0xffff, v10
	v_lshlrev_b32_e32 v10, 24, v10
	s_delay_alu instid0(VALU_DEP_2) | instskip(NEXT) | instid1(VALU_DEP_2)
	v_and_b32_e32 v5, 3, v4
	v_and_b32_e32 v10, 0x80000000, v10
	s_delay_alu instid0(VALU_DEP_2) | instskip(NEXT) | instid1(VALU_DEP_1)
	v_clz_i32_u32_e32 v12, v5
	v_min_u32_e32 v12, 32, v12
	s_delay_alu instid0(VALU_DEP_1) | instskip(SKIP_1) | instid1(VALU_DEP_2)
	v_subrev_nc_u32_e32 v13, 29, v12
	v_sub_nc_u32_e32 v12, 30, v12
	v_lshlrev_b32_e32 v13, v13, v4
	v_bfe_u32 v4, v4, 2, 5
	s_delay_alu instid0(VALU_DEP_1) | instskip(NEXT) | instid1(VALU_DEP_3)
	v_cmp_eq_u32_e32 vcc_lo, 0, v4
	v_dual_cndmask_b32 v4, v4, v12 :: v_dual_and_b32 v13, 3, v13
	s_delay_alu instid0(VALU_DEP_1) | instskip(NEXT) | instid1(VALU_DEP_2)
	v_cndmask_b32_e32 v5, v5, v13, vcc_lo
	v_lshl_add_u32 v4, v4, 23, 0x37800000
	s_delay_alu instid0(VALU_DEP_2) | instskip(NEXT) | instid1(VALU_DEP_1)
	v_lshlrev_b32_e32 v5, 21, v5
	v_or3_b32 v4, v10, v4, v5
	v_mov_b32_e32 v5, 0
.LBB233_1379:
	s_or_b32 exec_lo, exec_lo, s2
	s_mov_b32 s1, 0
	s_branch .LBB233_1383
.LBB233_1380:
                                        ; implicit-def: $vgpr5
	s_mov_b32 s1, 0
	s_branch .LBB233_1389
.LBB233_1381:
	s_mov_b32 s1, -1
                                        ; implicit-def: $vgpr5
	s_branch .LBB233_1386
.LBB233_1382:
	s_mov_b32 s1, -1
                                        ; implicit-def: $vgpr5
.LBB233_1383:
	s_delay_alu instid0(SALU_CYCLE_1)
	s_and_b32 vcc_lo, exec_lo, s1
	s_cbranch_vccz .LBB233_1385
; %bb.1384:
	global_load_u8 v4, v[7:8], off
	s_waitcnt vmcnt(0)
	v_lshlrev_b32_e32 v4, 24, v4
	s_delay_alu instid0(VALU_DEP_1) | instskip(NEXT) | instid1(VALU_DEP_1)
	v_and_b32_e32 v5, 0x7f000000, v4
	v_clz_i32_u32_e32 v10, v5
	v_add_nc_u32_e32 v13, 0x1000000, v5
	v_cmp_ne_u32_e32 vcc_lo, 0, v5
	s_delay_alu instid0(VALU_DEP_3) | instskip(NEXT) | instid1(VALU_DEP_1)
	v_min_u32_e32 v10, 32, v10
	v_sub_nc_u32_e64 v10, v10, 4 clamp
	s_delay_alu instid0(VALU_DEP_1) | instskip(SKIP_1) | instid1(VALU_DEP_2)
	v_lshlrev_b32_e32 v12, v10, v5
	v_lshlrev_b32_e32 v10, 23, v10
	v_lshrrev_b32_e32 v12, 4, v12
	s_delay_alu instid0(VALU_DEP_1) | instskip(SKIP_1) | instid1(VALU_DEP_2)
	v_sub_nc_u32_e32 v10, v12, v10
	v_ashrrev_i32_e32 v12, 8, v13
	v_add_nc_u32_e32 v10, 0x3c000000, v10
	s_delay_alu instid0(VALU_DEP_1) | instskip(NEXT) | instid1(VALU_DEP_1)
	v_and_or_b32 v10, 0x7f800000, v12, v10
	v_cndmask_b32_e32 v5, 0, v10, vcc_lo
	s_delay_alu instid0(VALU_DEP_1)
	v_and_or_b32 v4, 0x80000000, v4, v5
	v_mov_b32_e32 v5, 0
.LBB233_1385:
	s_mov_b32 s1, 0
.LBB233_1386:
	s_delay_alu instid0(SALU_CYCLE_1)
	s_and_not1_b32 vcc_lo, exec_lo, s1
	s_cbranch_vccnz .LBB233_1388
; %bb.1387:
	global_load_u8 v4, v[7:8], off
	s_waitcnt vmcnt(0)
	v_lshlrev_b32_e32 v5, 25, v4
	v_lshlrev_b16 v4, 8, v4
	s_delay_alu instid0(VALU_DEP_2) | instskip(NEXT) | instid1(VALU_DEP_2)
	v_lshrrev_b32_e32 v10, 4, v5
	v_and_or_b32 v12, 0x7f00, v4, 0.5
	v_bfe_i32 v4, v4, 0, 16
	s_delay_alu instid0(VALU_DEP_3) | instskip(NEXT) | instid1(VALU_DEP_3)
	v_or_b32_e32 v10, 0x70000000, v10
	v_add_f32_e32 v12, -0.5, v12
	s_delay_alu instid0(VALU_DEP_2) | instskip(SKIP_1) | instid1(VALU_DEP_2)
	v_mul_f32_e32 v10, 0x7800000, v10
	v_cmp_gt_u32_e32 vcc_lo, 0x8000000, v5
	v_cndmask_b32_e32 v5, v10, v12, vcc_lo
	s_delay_alu instid0(VALU_DEP_1)
	v_and_or_b32 v4, 0x80000000, v4, v5
	v_mov_b32_e32 v5, 0
.LBB233_1388:
	s_mov_b32 s10, -1
	s_mov_b32 s1, 0
	s_cbranch_execnz .LBB233_1398
.LBB233_1389:
	v_cmp_lt_i16_e32 vcc_lo, 14, v15
	s_cbranch_vccz .LBB233_1392
; %bb.1390:
	v_cmp_eq_u16_e32 vcc_lo, 15, v15
	s_cbranch_vccz .LBB233_1393
; %bb.1391:
	global_load_u16 v4, v[7:8], off
	s_mov_b32 s0, 0
	s_mov_b32 s10, -1
	s_mov_b32 s2, 0
	s_waitcnt vmcnt(0)
	v_lshlrev_b32_e32 v4, 16, v4
	s_branch .LBB233_1395
.LBB233_1392:
	s_mov_b32 s1, -1
	s_branch .LBB233_1394
.LBB233_1393:
	s_mov_b32 s0, -1
.LBB233_1394:
                                        ; implicit-def: $sgpr2
                                        ; implicit-def: $vgpr4
.LBB233_1395:
	s_and_b32 vcc_lo, exec_lo, s1
	s_mov_b32 s1, 0
	s_cbranch_vccz .LBB233_1397
; %bb.1396:
	v_cmp_ne_u16_e64 s0, 11, v15
	s_mov_b32 s1, -1
                                        ; implicit-def: $sgpr2
                                        ; implicit-def: $vgpr4
.LBB233_1397:
	v_mov_b32_e32 v5, s2
.LBB233_1398:
	s_delay_alu instid0(VALU_DEP_2)
	s_and_b32 vcc_lo, exec_lo, s0
	s_mov_b32 s2, s8
	s_cbranch_vccnz .LBB233_1453
; %bb.1399:
	s_and_not1_b32 vcc_lo, exec_lo, s1
	s_cbranch_vccnz .LBB233_1401
.LBB233_1400:
	global_load_u8 v4, v[7:8], off
	v_mov_b32_e32 v5, 0
	s_mov_b32 s10, -1
	s_waitcnt vmcnt(0)
	v_cmp_ne_u16_e32 vcc_lo, 0, v4
	v_cndmask_b32_e64 v4, 0, 1.0, vcc_lo
.LBB233_1401:
.LBB233_1402:
	s_and_not1_b32 vcc_lo, exec_lo, s10
	s_cbranch_vccnz .LBB233_1922
.LBB233_1403:
	s_waitcnt vmcnt(0)
	s_delay_alu instid0(VALU_DEP_1) | instskip(NEXT) | instid1(VALU_DEP_2)
	v_cmp_neq_f32_e32 vcc_lo, 0, v4
	v_cmp_neq_f32_e64 s0, 0, v5
	v_mov_b32_e32 v8, 0
	s_delay_alu instid0(VALU_DEP_2) | instskip(NEXT) | instid1(SALU_CYCLE_1)
	s_or_b32 s0, vcc_lo, s0
	s_and_saveexec_b32 s10, s0
	s_cbranch_execz .LBB233_1433
; %bb.1404:
	v_mov_b32_e32 v8, 0x7f800000
	s_mov_b32 s11, exec_lo
	v_cmpx_neq_f32_e64 0x7f800000, |v5|
	s_cbranch_execz .LBB233_1432
; %bb.1405:
	s_mov_b32 s0, exec_lo
	v_cmpx_o_f32_e32 v4, v4
	s_xor_b32 s12, exec_lo, s0
	s_cbranch_execz .LBB233_1429
; %bb.1406:
	s_mov_b32 s1, exec_lo
	v_cmpx_neq_f32_e64 0x7f800000, |v4|
	s_xor_b32 s13, exec_lo, s1
	s_cbranch_execz .LBB233_1422
; %bb.1407:
	v_max_f32_e64 v7, |v5|, |v5|
	v_max_f32_e64 v8, |v4|, |v4|
                                        ; implicit-def: $sgpr14
	s_delay_alu instid0(VALU_DEP_1) | instskip(NEXT) | instid1(VALU_DEP_1)
	v_max_f32_e32 v7, v8, v7
	v_cmp_nle_f32_e64 s0, 0x7ed413cb, v7
	s_delay_alu instid0(VALU_DEP_1) | instskip(NEXT) | instid1(SALU_CYCLE_1)
	s_and_saveexec_b32 s1, s0
	s_xor_b32 s1, exec_lo, s1
	s_cbranch_execz .LBB233_1411
; %bb.1408:
	v_cmp_ge_f32_e64 s14, 0x1000000, |v4|
	v_cmp_ge_f32_e64 s15, 0x1000000, |v5|
	s_delay_alu instid0(VALU_DEP_1)
	s_and_b32 s16, s14, s15
	s_mov_b32 s14, 0
	s_and_saveexec_b32 s15, s16
; %bb.1409:
	v_dual_mul_f32 v4, 4.0, v4 :: v_dual_mul_f32 v5, 4.0, v5
	s_mov_b32 s14, exec_lo
; %bb.1410:
	s_or_b32 exec_lo, exec_lo, s15
	s_delay_alu instid0(SALU_CYCLE_1)
	s_and_b32 s14, s14, exec_lo
.LBB233_1411:
	s_and_not1_saveexec_b32 s1, s1
; %bb.1412:
	v_dual_mul_f32 v4, 0x3e800000, v4 :: v_dual_mul_f32 v5, 0x3e800000, v5
	s_and_not1_b32 s14, s14, exec_lo
; %bb.1413:
	s_or_b32 exec_lo, exec_lo, s1
	s_delay_alu instid0(VALU_DEP_1) | instskip(NEXT) | instid1(VALU_DEP_2)
	v_max_f32_e64 v7, |v5|, |v5|
	v_max_f32_e64 v8, |v4|, |v4|
	s_delay_alu instid0(VALU_DEP_1) | instskip(NEXT) | instid1(VALU_DEP_1)
	v_max_f32_e32 v10, v8, v7
	v_cvt_f64_f32_e32 v[7:8], v10
	v_cmp_neq_f32_e64 s1, 0x7f800000, v10
	s_delay_alu instid0(VALU_DEP_2) | instskip(NEXT) | instid1(VALU_DEP_1)
	v_frexp_exp_i32_f64_e32 v7, v[7:8]
	v_sub_nc_u32_e32 v8, 0, v7
	s_delay_alu instid0(VALU_DEP_1) | instskip(SKIP_1) | instid1(VALU_DEP_2)
	v_ldexp_f32 v12, |v5|, v8
	v_ldexp_f32 v8, |v4|, v8
	v_mul_f32_e32 v12, v12, v12
	s_delay_alu instid0(VALU_DEP_1) | instskip(NEXT) | instid1(VALU_DEP_1)
	v_fmac_f32_e32 v12, v8, v8
	v_sqrt_f32_e32 v8, v12
	s_waitcnt_depctr 0xfff
	v_ldexp_f32 v7, v8, v7
                                        ; implicit-def: $vgpr8
	s_delay_alu instid0(VALU_DEP_1)
	v_cndmask_b32_e64 v10, 0x7f800000, v7, s1
                                        ; implicit-def: $vgpr7
	s_mov_b32 s1, exec_lo
	v_cmpx_le_f32_e32 0, v4
	s_xor_b32 s15, exec_lo, s1
	s_cbranch_execz .LBB233_1415
; %bb.1414:
	v_add_f32_e32 v4, v4, v10
	s_delay_alu instid0(VALU_DEP_1) | instskip(NEXT) | instid1(VALU_DEP_1)
	v_mul_f32_e32 v4, 0.5, v4
	v_mul_f32_e32 v7, 0x4f800000, v4
	v_cmp_gt_f32_e32 vcc_lo, 0xf800000, v4
	s_delay_alu instid0(VALU_DEP_2) | instskip(NEXT) | instid1(VALU_DEP_1)
	v_cndmask_b32_e32 v4, v4, v7, vcc_lo
	v_sqrt_f32_e32 v7, v4
	s_waitcnt_depctr 0xfff
	v_add_nc_u32_e32 v8, -1, v7
	v_add_nc_u32_e32 v10, 1, v7
	s_delay_alu instid0(VALU_DEP_2) | instskip(NEXT) | instid1(VALU_DEP_2)
	v_fma_f32 v12, -v8, v7, v4
	v_fma_f32 v13, -v10, v7, v4
	s_delay_alu instid0(VALU_DEP_2) | instskip(NEXT) | instid1(VALU_DEP_1)
	v_cmp_ge_f32_e64 s1, 0, v12
	v_cndmask_b32_e64 v7, v7, v8, s1
	s_delay_alu instid0(VALU_DEP_3) | instskip(NEXT) | instid1(VALU_DEP_1)
	v_cmp_lt_f32_e64 s1, 0, v13
	v_cndmask_b32_e64 v7, v7, v10, s1
	s_delay_alu instid0(VALU_DEP_1) | instskip(NEXT) | instid1(VALU_DEP_1)
	v_mul_f32_e32 v8, 0x37800000, v7
	v_cndmask_b32_e32 v7, v7, v8, vcc_lo
	v_cmp_class_f32_e64 vcc_lo, v4, 0x260
	s_delay_alu instid0(VALU_DEP_2) | instskip(NEXT) | instid1(VALU_DEP_1)
	v_cndmask_b32_e32 v7, v7, v4, vcc_lo
	v_add_f32_e32 v4, v7, v7
	s_delay_alu instid0(VALU_DEP_1) | instskip(NEXT) | instid1(VALU_DEP_1)
	v_div_scale_f32 v8, null, v4, v4, v5
	v_rcp_f32_e32 v10, v8
	s_waitcnt_depctr 0xfff
	v_fma_f32 v12, -v8, v10, 1.0
	s_delay_alu instid0(VALU_DEP_1) | instskip(SKIP_1) | instid1(VALU_DEP_1)
	v_fmac_f32_e32 v10, v12, v10
	v_div_scale_f32 v12, vcc_lo, v5, v4, v5
	v_mul_f32_e32 v13, v12, v10
	s_delay_alu instid0(VALU_DEP_1) | instskip(NEXT) | instid1(VALU_DEP_1)
	v_fma_f32 v14, -v8, v13, v12
	v_fmac_f32_e32 v13, v14, v10
	s_delay_alu instid0(VALU_DEP_1) | instskip(NEXT) | instid1(VALU_DEP_1)
	v_fma_f32 v8, -v8, v13, v12
	v_div_fmas_f32 v8, v8, v10, v13
                                        ; implicit-def: $vgpr10
	s_delay_alu instid0(VALU_DEP_1)
	v_div_fixup_f32 v8, v8, v4, v5
                                        ; implicit-def: $vgpr4
	s_and_not1_saveexec_b32 s15, s15
	s_cbranch_execz .LBB233_1417
	s_branch .LBB233_1416
.LBB233_1415:
	s_and_not1_saveexec_b32 s15, s15
	s_cbranch_execz .LBB233_1417
.LBB233_1416:
	v_sub_f32_e32 v4, v10, v4
	s_delay_alu instid0(VALU_DEP_1) | instskip(NEXT) | instid1(VALU_DEP_1)
	v_mul_f32_e32 v4, 0.5, v4
	v_mul_f32_e32 v7, 0x4f800000, v4
	v_cmp_gt_f32_e32 vcc_lo, 0xf800000, v4
	s_delay_alu instid0(VALU_DEP_2) | instskip(NEXT) | instid1(VALU_DEP_1)
	v_cndmask_b32_e32 v4, v4, v7, vcc_lo
	v_sqrt_f32_e32 v7, v4
	s_waitcnt_depctr 0xfff
	v_add_nc_u32_e32 v8, -1, v7
	v_add_nc_u32_e32 v10, 1, v7
	s_delay_alu instid0(VALU_DEP_2) | instskip(NEXT) | instid1(VALU_DEP_2)
	v_fma_f32 v12, -v8, v7, v4
	v_fma_f32 v13, -v10, v7, v4
	s_delay_alu instid0(VALU_DEP_2) | instskip(NEXT) | instid1(VALU_DEP_1)
	v_cmp_ge_f32_e64 s1, 0, v12
	v_cndmask_b32_e64 v7, v7, v8, s1
	s_delay_alu instid0(VALU_DEP_3) | instskip(NEXT) | instid1(VALU_DEP_1)
	v_cmp_lt_f32_e64 s1, 0, v13
	v_cndmask_b32_e64 v7, v7, v10, s1
	s_delay_alu instid0(VALU_DEP_1) | instskip(NEXT) | instid1(VALU_DEP_1)
	v_mul_f32_e32 v8, 0x37800000, v7
	v_cndmask_b32_e32 v7, v7, v8, vcc_lo
	v_cmp_class_f32_e64 vcc_lo, v4, 0x260
	s_delay_alu instid0(VALU_DEP_2) | instskip(NEXT) | instid1(VALU_DEP_1)
	v_dual_cndmask_b32 v4, v7, v4 :: v_dual_and_b32 v7, 0x7fffffff, v5
	v_add_f32_e32 v8, v4, v4
	s_delay_alu instid0(VALU_DEP_1) | instskip(SKIP_1) | instid1(VALU_DEP_2)
	v_div_scale_f32 v10, null, v8, v8, v7
	v_div_scale_f32 v7, vcc_lo, v7, v8, v7
	v_rcp_f32_e32 v12, v10
	s_waitcnt_depctr 0xfff
	v_fma_f32 v13, -v10, v12, 1.0
	s_delay_alu instid0(VALU_DEP_1) | instskip(NEXT) | instid1(VALU_DEP_1)
	v_fmac_f32_e32 v12, v13, v12
	v_mul_f32_e32 v13, v7, v12
	s_delay_alu instid0(VALU_DEP_1) | instskip(NEXT) | instid1(VALU_DEP_1)
	v_fma_f32 v14, -v10, v13, v7
	v_fmac_f32_e32 v13, v14, v12
	s_delay_alu instid0(VALU_DEP_1) | instskip(NEXT) | instid1(VALU_DEP_1)
	v_fma_f32 v7, -v10, v13, v7
	v_div_fmas_f32 v7, v7, v12, v13
	s_delay_alu instid0(VALU_DEP_1)
	v_div_fixup_f32 v7, v7, v8, |v5|
	v_bfi_b32 v8, 0x7fffffff, v4, v5
.LBB233_1417:
	s_or_b32 exec_lo, exec_lo, s15
                                        ; implicit-def: $vgpr5
	s_and_saveexec_b32 s1, s0
	s_delay_alu instid0(SALU_CYCLE_1)
	s_xor_b32 s0, exec_lo, s1
	s_cbranch_execz .LBB233_1419
; %bb.1418:
	v_dual_mul_f32 v4, 0.5, v7 :: v_dual_mul_f32 v5, 0.5, v8
	s_delay_alu instid0(VALU_DEP_1) | instskip(NEXT) | instid1(VALU_DEP_2)
	v_cndmask_b32_e64 v4, v7, v4, s14
	v_cndmask_b32_e64 v5, v8, v5, s14
                                        ; implicit-def: $vgpr7
                                        ; implicit-def: $vgpr8
	s_and_not1_saveexec_b32 s0, s0
	s_cbranch_execnz .LBB233_1420
	s_branch .LBB233_1421
.LBB233_1419:
	s_and_not1_saveexec_b32 s0, s0
.LBB233_1420:
	v_dual_add_f32 v4, v7, v7 :: v_dual_add_f32 v5, v8, v8
.LBB233_1421:
	s_or_b32 exec_lo, exec_lo, s0
.LBB233_1422:
	s_and_not1_saveexec_b32 s0, s13
	s_cbranch_execz .LBB233_1428
; %bb.1423:
	s_delay_alu instid0(VALU_DEP_1)
	v_sub_f32_e32 v7, v5, v5
	s_mov_b32 s1, exec_lo
	v_cmpx_lt_i32_e32 -1, v4
	s_xor_b32 s1, exec_lo, s1
; %bb.1424:
	s_delay_alu instid0(VALU_DEP_2)
	v_bfi_b32 v5, 0x7fffffff, v7, v5
                                        ; implicit-def: $vgpr7
; %bb.1425:
	s_and_not1_saveexec_b32 s1, s1
; %bb.1426:
	v_and_b32_e32 v7, 0x7fffffff, v7
	s_delay_alu instid0(VALU_DEP_2) | instskip(NEXT) | instid1(VALU_DEP_2)
	v_bfi_b32 v5, 0x7fffffff, v4, v5
	v_mov_b32_e32 v4, v7
; %bb.1427:
	s_or_b32 exec_lo, exec_lo, s1
.LBB233_1428:
	s_delay_alu instid0(SALU_CYCLE_1)
	s_or_b32 exec_lo, exec_lo, s0
.LBB233_1429:
	s_and_not1_saveexec_b32 s0, s12
; %bb.1430:
	v_sub_f32_e32 v5, v5, v5
	s_delay_alu instid0(VALU_DEP_1) | instskip(NEXT) | instid1(VALU_DEP_1)
	v_div_scale_f32 v7, vcc_lo, v5, v5, v5
	v_rcp_f32_e32 v8, v7
	s_waitcnt_depctr 0xfff
	v_fma_f32 v10, -v7, v8, 1.0
	s_delay_alu instid0(VALU_DEP_1) | instskip(NEXT) | instid1(VALU_DEP_1)
	v_fmac_f32_e32 v8, v10, v8
	v_mul_f32_e32 v10, v7, v8
	s_delay_alu instid0(VALU_DEP_1) | instskip(NEXT) | instid1(VALU_DEP_1)
	v_fma_f32 v12, -v7, v10, v7
	v_fmac_f32_e32 v10, v12, v8
	s_delay_alu instid0(VALU_DEP_1) | instskip(NEXT) | instid1(VALU_DEP_1)
	v_fma_f32 v7, -v7, v10, v7
	v_div_fmas_f32 v7, v7, v8, v10
	s_delay_alu instid0(VALU_DEP_1)
	v_div_fixup_f32 v5, v7, v5, v5
; %bb.1431:
	s_or_b32 exec_lo, exec_lo, s0
	v_mov_b32_e32 v8, v4
.LBB233_1432:
	s_or_b32 exec_lo, exec_lo, s11
.LBB233_1433:
	s_delay_alu instid0(SALU_CYCLE_1) | instskip(SKIP_2) | instid1(VALU_DEP_1)
	s_or_b32 exec_lo, exec_lo, s10
	v_cmp_gt_i16_e32 vcc_lo, 11, v15
	v_add_co_u32 v12, s0, s6, v6
	v_add_co_ci_u32_e64 v13, null, s7, 0, s0
	s_mov_b32 s10, 0
	s_cbranch_vccnz .LBB233_1440
; %bb.1434:
	v_cmp_lt_i16_e32 vcc_lo, 25, v15
	s_mov_b32 s1, 0
	s_cbranch_vccz .LBB233_1446
; %bb.1435:
	v_cmp_lt_i16_e32 vcc_lo, 28, v15
	s_cbranch_vccz .LBB233_1449
; %bb.1436:
	v_cmp_lt_i16_e32 vcc_lo, 43, v15
	;; [unrolled: 3-line block ×3, first 2 shown]
	s_cbranch_vccz .LBB233_1457
; %bb.1438:
	v_cmp_eq_u16_e32 vcc_lo, 46, v15
	s_mov_b32 s11, 0
	s_cbranch_vccz .LBB233_1502
; %bb.1439:
	global_load_b32 v4, v[12:13], off
	s_mov_b32 s0, 0
	s_mov_b32 s10, -1
	s_waitcnt vmcnt(0)
	v_and_b32_e32 v7, 0xffff0000, v4
	v_lshlrev_b32_e32 v6, 16, v4
	s_branch .LBB233_1504
.LBB233_1440:
                                        ; implicit-def: $vgpr7
	s_cbranch_execz .LBB233_1572
; %bb.1441:
	v_cmp_gt_i16_e32 vcc_lo, 5, v15
	s_cbranch_vccnz .LBB233_1447
; %bb.1442:
	v_cmp_gt_i16_e32 vcc_lo, 8, v15
	s_cbranch_vccnz .LBB233_1450
; %bb.1443:
	v_cmp_gt_i16_e32 vcc_lo, 9, v15
	s_cbranch_vccnz .LBB233_1452
; %bb.1444:
	v_cmp_lt_i16_e32 vcc_lo, 9, v15
	s_cbranch_vccz .LBB233_1458
; %bb.1445:
	global_load_b128 v[16:19], v[12:13], off
	s_mov_b32 s0, 0
	s_waitcnt vmcnt(0)
	v_cvt_f32_f64_e32 v6, v[16:17]
	v_cvt_f32_f64_e32 v7, v[18:19]
	s_branch .LBB233_1459
.LBB233_1446:
	s_mov_b32 s0, 0
                                        ; implicit-def: $vgpr7
	s_cbranch_execnz .LBB233_1537
	s_branch .LBB233_1568
.LBB233_1447:
                                        ; implicit-def: $vgpr7
	s_branch .LBB233_1478
.LBB233_1448:
	s_branch .LBB233_1573
.LBB233_1449:
	s_mov_b32 s11, -1
	s_mov_b32 s0, 0
                                        ; implicit-def: $vgpr7
	s_branch .LBB233_1516
.LBB233_1450:
	s_mov_b32 s0, -1
                                        ; implicit-def: $vgpr7
	s_branch .LBB233_1465
.LBB233_1451:
	s_mov_b32 s11, -1
	s_mov_b32 s0, 0
                                        ; implicit-def: $vgpr7
	s_branch .LBB233_1510
.LBB233_1452:
	s_mov_b32 s0, -1
                                        ; implicit-def: $vgpr7
	s_branch .LBB233_1462
.LBB233_1453:
	s_cbranch_execnz .LBB233_1498
; %bb.1454:
	s_or_b32 s2, s8, exec_lo
                                        ; implicit-def: $vgpr5
	s_cbranch_execz .LBB233_1400
	s_branch .LBB233_1401
.LBB233_1455:
	s_or_saveexec_b32 s5, s5
                                        ; implicit-def: $sgpr8
	s_delay_alu instid0(SALU_CYCLE_1)
	s_xor_b32 exec_lo, exec_lo, s5
	s_cbranch_execz .LBB233_1127
.LBB233_1456:
	v_add_f32_e64 v0, 0x46000000, |v3|
	s_and_not1_b32 s4, s4, exec_lo
	s_mov_b32 s8, 0
	s_delay_alu instid0(VALU_DEP_1) | instskip(NEXT) | instid1(VALU_DEP_1)
	v_and_b32_e32 v0, 0xff, v0
	v_cmp_ne_u32_e32 vcc_lo, 0, v0
	s_and_b32 s9, vcc_lo, exec_lo
	s_delay_alu instid0(SALU_CYCLE_1)
	s_or_b32 s4, s4, s9
	s_or_b32 exec_lo, exec_lo, s5
	v_mov_b32_e32 v2, s8
	s_and_saveexec_b32 s5, s4
	s_cbranch_execnz .LBB233_1128
	s_branch .LBB233_1129
.LBB233_1457:
	s_mov_b32 s11, -1
	s_mov_b32 s0, 0
	s_branch .LBB233_1503
.LBB233_1458:
	s_mov_b32 s0, -1
                                        ; implicit-def: $vgpr7
.LBB233_1459:
	s_delay_alu instid0(SALU_CYCLE_1)
	s_and_not1_b32 vcc_lo, exec_lo, s0
	s_cbranch_vccnz .LBB233_1461
; %bb.1460:
	global_load_b64 v[6:7], v[12:13], off
.LBB233_1461:
	s_mov_b32 s0, 0
.LBB233_1462:
	s_delay_alu instid0(SALU_CYCLE_1)
	s_and_not1_b32 vcc_lo, exec_lo, s0
	s_cbranch_vccnz .LBB233_1464
; %bb.1463:
	global_load_b32 v4, v[12:13], off
	s_waitcnt vmcnt(0)
	v_lshrrev_b32_e32 v7, 16, v4
	v_cvt_f32_f16_e32 v6, v4
	s_delay_alu instid0(VALU_DEP_2)
	v_cvt_f32_f16_e32 v7, v7
.LBB233_1464:
	s_mov_b32 s0, 0
.LBB233_1465:
	s_delay_alu instid0(SALU_CYCLE_1)
	s_and_not1_b32 vcc_lo, exec_lo, s0
	s_cbranch_vccnz .LBB233_1477
; %bb.1466:
	v_cmp_gt_i16_e32 vcc_lo, 6, v15
	s_cbranch_vccnz .LBB233_1469
; %bb.1467:
	v_cmp_lt_i16_e32 vcc_lo, 6, v15
	s_cbranch_vccz .LBB233_1470
; %bb.1468:
	global_load_b64 v[6:7], v[12:13], off
	s_mov_b32 s1, 0
	s_mov_b32 s0, 0
	s_waitcnt vmcnt(0)
	v_cvt_f32_f64_e32 v6, v[6:7]
	s_branch .LBB233_1471
.LBB233_1469:
	s_mov_b32 s1, -1
                                        ; implicit-def: $sgpr0
                                        ; implicit-def: $vgpr6
	s_branch .LBB233_1474
.LBB233_1470:
	s_mov_b32 s1, -1
                                        ; implicit-def: $sgpr0
                                        ; implicit-def: $vgpr6
.LBB233_1471:
	s_delay_alu instid0(SALU_CYCLE_1)
	s_and_not1_b32 vcc_lo, exec_lo, s1
	s_cbranch_vccnz .LBB233_1473
; %bb.1472:
	global_load_b32 v6, v[12:13], off
	s_mov_b32 s0, 0
.LBB233_1473:
	s_mov_b32 s1, 0
.LBB233_1474:
	s_delay_alu instid0(SALU_CYCLE_1)
	s_and_not1_b32 vcc_lo, exec_lo, s1
	s_cbranch_vccnz .LBB233_1476
; %bb.1475:
	global_load_u16 v4, v[12:13], off
	s_mov_b32 s0, 0
	s_waitcnt vmcnt(0)
	v_cvt_f32_f16_e32 v6, v4
.LBB233_1476:
	s_waitcnt vmcnt(0)
	v_mov_b32_e32 v7, s0
.LBB233_1477:
	s_cbranch_execnz .LBB233_1448
.LBB233_1478:
	v_cmp_gt_i16_e32 vcc_lo, 2, v15
	s_cbranch_vccnz .LBB233_1482
; %bb.1479:
	v_cmp_gt_i16_e32 vcc_lo, 3, v15
	s_cbranch_vccnz .LBB233_1483
; %bb.1480:
	v_cmp_lt_i16_e32 vcc_lo, 3, v15
	s_cbranch_vccz .LBB233_1484
; %bb.1481:
	global_load_b64 v[6:7], v[12:13], off
	s_mov_b32 s1, 0
	s_mov_b32 s0, 0
	s_waitcnt vmcnt(0)
	v_xor_b32_e32 v4, v6, v7
	v_cls_i32_e32 v10, v7
	s_delay_alu instid0(VALU_DEP_2) | instskip(NEXT) | instid1(VALU_DEP_2)
	v_ashrrev_i32_e32 v4, 31, v4
	v_add_nc_u32_e32 v10, -1, v10
	s_delay_alu instid0(VALU_DEP_2) | instskip(NEXT) | instid1(VALU_DEP_1)
	v_add_nc_u32_e32 v4, 32, v4
	v_min_u32_e32 v4, v10, v4
	s_delay_alu instid0(VALU_DEP_1) | instskip(SKIP_1) | instid1(VALU_DEP_2)
	v_lshlrev_b64 v[6:7], v4, v[6:7]
	v_sub_nc_u32_e32 v4, 32, v4
	v_min_u32_e32 v6, 1, v6
	s_delay_alu instid0(VALU_DEP_1) | instskip(NEXT) | instid1(VALU_DEP_1)
	v_or_b32_e32 v6, v7, v6
	v_cvt_f32_i32_e32 v6, v6
	s_delay_alu instid0(VALU_DEP_1)
	v_ldexp_f32 v6, v6, v4
	s_branch .LBB233_1485
.LBB233_1482:
	s_mov_b32 s1, -1
                                        ; implicit-def: $sgpr0
                                        ; implicit-def: $vgpr6
	s_branch .LBB233_1491
.LBB233_1483:
	s_mov_b32 s1, -1
                                        ; implicit-def: $sgpr0
                                        ; implicit-def: $vgpr6
	s_branch .LBB233_1488
.LBB233_1484:
	s_mov_b32 s1, -1
                                        ; implicit-def: $sgpr0
                                        ; implicit-def: $vgpr6
.LBB233_1485:
	s_delay_alu instid0(SALU_CYCLE_1)
	s_and_not1_b32 vcc_lo, exec_lo, s1
	s_cbranch_vccnz .LBB233_1487
; %bb.1486:
	global_load_b32 v4, v[12:13], off
	s_mov_b32 s0, 0
	s_waitcnt vmcnt(0)
	v_cvt_f32_i32_e32 v6, v4
.LBB233_1487:
	s_mov_b32 s1, 0
.LBB233_1488:
	s_delay_alu instid0(SALU_CYCLE_1)
	s_and_not1_b32 vcc_lo, exec_lo, s1
	s_cbranch_vccnz .LBB233_1490
; %bb.1489:
	global_load_i16 v4, v[12:13], off
	s_mov_b32 s0, 0
	s_waitcnt vmcnt(0)
	v_cvt_f32_i32_e32 v6, v4
.LBB233_1490:
	s_mov_b32 s1, 0
.LBB233_1491:
	s_delay_alu instid0(SALU_CYCLE_1)
	s_and_not1_b32 vcc_lo, exec_lo, s1
	s_cbranch_vccnz .LBB233_1497
; %bb.1492:
	v_cmp_lt_i16_e32 vcc_lo, 0, v15
	s_mov_b32 s1, 0
	s_cbranch_vccz .LBB233_1494
; %bb.1493:
	global_load_i8 v4, v[12:13], off
	s_mov_b32 s0, 0
	s_waitcnt vmcnt(0)
	v_cvt_f32_i32_e32 v6, v4
	s_branch .LBB233_1495
.LBB233_1494:
	s_mov_b32 s1, -1
                                        ; implicit-def: $sgpr0
                                        ; implicit-def: $vgpr6
.LBB233_1495:
	s_delay_alu instid0(SALU_CYCLE_1)
	s_and_not1_b32 vcc_lo, exec_lo, s1
	s_cbranch_vccnz .LBB233_1497
; %bb.1496:
	global_load_u8 v4, v[12:13], off
	s_mov_b32 s0, 0
	s_waitcnt vmcnt(0)
	v_cvt_f32_ubyte0_e32 v6, v4
.LBB233_1497:
	s_waitcnt vmcnt(0)
	v_mov_b32_e32 v7, s0
	s_branch .LBB233_1573
.LBB233_1498:
	s_trap 2
	s_sendmsg_rtn_b32 s0, sendmsg(MSG_RTN_GET_DOORBELL)
	s_mov_b32 ttmp2, m0
	s_waitcnt lgkmcnt(0)
	s_and_b32 s0, s0, 0x3ff
	s_delay_alu instid0(SALU_CYCLE_1) | instskip(NEXT) | instid1(SALU_CYCLE_1)
	s_bitset1_b32 s0, 10
	s_mov_b32 m0, s0
	s_sendmsg sendmsg(MSG_INTERRUPT)
	s_mov_b32 m0, ttmp2
.LBB233_1499:                           ; =>This Inner Loop Header: Depth=1
	s_sethalt 5
	s_branch .LBB233_1499
.LBB233_1500:
	s_or_saveexec_b32 s8, s8
                                        ; implicit-def: $sgpr9
	s_delay_alu instid0(SALU_CYCLE_1)
	s_xor_b32 exec_lo, exec_lo, s8
	s_cbranch_execz .LBB233_1139
.LBB233_1501:
	v_add_f32_e64 v0, 0x42800000, |v3|
	s_and_not1_b32 s5, s5, exec_lo
	s_mov_b32 s9, 0
	s_delay_alu instid0(VALU_DEP_1) | instskip(NEXT) | instid1(VALU_DEP_1)
	v_and_b32_e32 v0, 0xff, v0
	v_cmp_ne_u32_e32 vcc_lo, 0, v0
	s_and_b32 s10, vcc_lo, exec_lo
	s_delay_alu instid0(SALU_CYCLE_1)
	s_or_b32 s5, s5, s10
	s_or_b32 exec_lo, exec_lo, s8
	v_mov_b32_e32 v2, s9
	s_and_saveexec_b32 s8, s5
	s_cbranch_execnz .LBB233_1140
	s_branch .LBB233_1141
.LBB233_1502:
	s_mov_b32 s0, -1
.LBB233_1503:
                                        ; implicit-def: $vgpr7
.LBB233_1504:
	s_and_b32 vcc_lo, exec_lo, s11
	s_cbranch_vccz .LBB233_1509
; %bb.1505:
	v_cmp_eq_u16_e32 vcc_lo, 44, v15
	s_cbranch_vccz .LBB233_1507
; %bb.1506:
	global_load_u8 v4, v[12:13], off
	s_mov_b32 s0, 0
	s_mov_b32 s10, -1
	s_waitcnt vmcnt(0)
	v_lshlrev_b32_e32 v6, 23, v4
	v_cmp_ne_u32_e32 vcc_lo, 0xff, v4
	s_delay_alu instid0(VALU_DEP_2) | instskip(SKIP_1) | instid1(VALU_DEP_2)
	v_cndmask_b32_e32 v6, 0x7f800001, v6, vcc_lo
	v_cmp_ne_u32_e32 vcc_lo, 0, v4
	v_cndmask_b32_e32 v6, 0x400000, v6, vcc_lo
	s_branch .LBB233_1508
.LBB233_1507:
	s_mov_b32 s0, -1
                                        ; implicit-def: $vgpr6
.LBB233_1508:
	s_delay_alu instid0(SALU_CYCLE_1)
	v_mov_b32_e32 v7, s0
.LBB233_1509:
	s_mov_b32 s11, 0
.LBB233_1510:
	s_delay_alu instid0(SALU_CYCLE_1)
	s_and_b32 vcc_lo, exec_lo, s11
	s_cbranch_vccz .LBB233_1515
; %bb.1511:
	v_cmp_eq_u16_e32 vcc_lo, 29, v15
	s_cbranch_vccz .LBB233_1513
; %bb.1512:
	global_load_b64 v[6:7], v[12:13], off
	s_mov_b32 s0, 0
	s_mov_b32 s10, -1
	s_mov_b32 s11, 0
	s_waitcnt vmcnt(0)
	v_clz_i32_u32_e32 v4, v7
	s_delay_alu instid0(VALU_DEP_1) | instskip(NEXT) | instid1(VALU_DEP_1)
	v_min_u32_e32 v4, 32, v4
	v_lshlrev_b64 v[6:7], v4, v[6:7]
	v_sub_nc_u32_e32 v4, 32, v4
	s_delay_alu instid0(VALU_DEP_2) | instskip(NEXT) | instid1(VALU_DEP_1)
	v_min_u32_e32 v6, 1, v6
	v_or_b32_e32 v6, v7, v6
	s_delay_alu instid0(VALU_DEP_1) | instskip(NEXT) | instid1(VALU_DEP_1)
	v_cvt_f32_u32_e32 v6, v6
	v_ldexp_f32 v6, v6, v4
	s_branch .LBB233_1514
.LBB233_1513:
	s_mov_b32 s0, -1
                                        ; implicit-def: $sgpr11
                                        ; implicit-def: $vgpr6
.LBB233_1514:
	v_mov_b32_e32 v7, s11
.LBB233_1515:
	s_mov_b32 s11, 0
.LBB233_1516:
	s_delay_alu instid0(SALU_CYCLE_1)
	s_and_b32 vcc_lo, exec_lo, s11
	s_cbranch_vccz .LBB233_1536
; %bb.1517:
	v_cmp_gt_i16_e32 vcc_lo, 27, v15
	s_cbranch_vccnz .LBB233_1520
; %bb.1518:
	v_cmp_lt_i16_e32 vcc_lo, 27, v15
	s_cbranch_vccz .LBB233_1521
; %bb.1519:
	global_load_b32 v4, v[12:13], off
	s_mov_b32 s11, 0
	s_mov_b32 s10, 0
	s_waitcnt vmcnt(0)
	v_cvt_f32_u32_e32 v6, v4
	s_branch .LBB233_1522
.LBB233_1520:
	s_mov_b32 s11, -1
                                        ; implicit-def: $sgpr10
                                        ; implicit-def: $vgpr6
	s_branch .LBB233_1525
.LBB233_1521:
	s_mov_b32 s11, -1
                                        ; implicit-def: $sgpr10
                                        ; implicit-def: $vgpr6
.LBB233_1522:
	s_delay_alu instid0(SALU_CYCLE_1)
	s_and_not1_b32 vcc_lo, exec_lo, s11
	s_cbranch_vccnz .LBB233_1524
; %bb.1523:
	global_load_u16 v4, v[12:13], off
	s_mov_b32 s10, 0
	s_waitcnt vmcnt(0)
	v_cvt_f32_u32_e32 v6, v4
.LBB233_1524:
	s_mov_b32 s11, 0
.LBB233_1525:
	v_mov_b32_e32 v7, s10
	s_and_not1_b32 vcc_lo, exec_lo, s11
	s_cbranch_vccnz .LBB233_1535
; %bb.1526:
	global_load_u8 v4, v[12:13], off
	s_mov_b32 s10, 0
	s_mov_b32 s13, exec_lo
                                        ; implicit-def: $sgpr12
                                        ; implicit-def: $sgpr11
	s_waitcnt vmcnt(0)
	v_cmpx_lt_i16_e32 0x7f, v4
	s_xor_b32 s13, exec_lo, s13
	s_cbranch_execz .LBB233_1530
; %bb.1527:
	s_mov_b32 s10, -1
	s_mov_b32 s14, exec_lo
                                        ; implicit-def: $sgpr12
                                        ; implicit-def: $sgpr11
	v_cmpx_eq_u16_e32 0x80, v4
; %bb.1528:
	s_mov_b32 s11, 0x7f800001
	s_mov_b32 s12, 0
	s_xor_b32 s10, exec_lo, -1
; %bb.1529:
	s_or_b32 exec_lo, exec_lo, s14
	s_delay_alu instid0(SALU_CYCLE_1)
	s_and_b32 s10, s10, exec_lo
.LBB233_1530:
	s_or_saveexec_b32 s13, s13
	v_dual_mov_b32 v7, s12 :: v_dual_mov_b32 v6, s11
	s_xor_b32 exec_lo, exec_lo, s13
; %bb.1531:
	v_mov_b32_e32 v7, 0
	v_cmp_ne_u16_e32 vcc_lo, 0, v4
	s_and_not1_b32 s10, s10, exec_lo
	s_delay_alu instid0(VALU_DEP_2) | instskip(SKIP_1) | instid1(SALU_CYCLE_1)
	v_mov_b32_e32 v6, v7
	s_and_b32 s11, vcc_lo, exec_lo
	s_or_b32 s10, s10, s11
; %bb.1532:
	s_or_b32 exec_lo, exec_lo, s13
	s_and_saveexec_b32 s11, s10
	s_cbranch_execz .LBB233_1534
; %bb.1533:
	v_and_b32_e32 v6, 0xffff, v4
	v_lshlrev_b32_e32 v4, 24, v4
	s_delay_alu instid0(VALU_DEP_2) | instskip(NEXT) | instid1(VALU_DEP_2)
	v_and_b32_e32 v7, 7, v6
	v_and_b32_e32 v4, 0x80000000, v4
	s_delay_alu instid0(VALU_DEP_2) | instskip(NEXT) | instid1(VALU_DEP_1)
	v_clz_i32_u32_e32 v10, v7
	v_min_u32_e32 v10, 32, v10
	s_delay_alu instid0(VALU_DEP_1) | instskip(SKIP_1) | instid1(VALU_DEP_2)
	v_subrev_nc_u32_e32 v14, 28, v10
	v_sub_nc_u32_e32 v10, 29, v10
	v_lshlrev_b32_e32 v14, v14, v6
	v_bfe_u32 v6, v6, 3, 4
	s_delay_alu instid0(VALU_DEP_2) | instskip(NEXT) | instid1(VALU_DEP_2)
	v_and_b32_e32 v14, 7, v14
	v_cmp_eq_u32_e32 vcc_lo, 0, v6
	s_delay_alu instid0(VALU_DEP_2) | instskip(NEXT) | instid1(VALU_DEP_1)
	v_cndmask_b32_e32 v7, v7, v14, vcc_lo
	v_dual_cndmask_b32 v6, v6, v10 :: v_dual_lshlrev_b32 v7, 20, v7
	s_delay_alu instid0(VALU_DEP_1) | instskip(NEXT) | instid1(VALU_DEP_1)
	v_lshl_add_u32 v6, v6, 23, 0x3b800000
	v_or3_b32 v6, v4, v6, v7
	v_mov_b32_e32 v7, 0
.LBB233_1534:
	s_or_b32 exec_lo, exec_lo, s11
.LBB233_1535:
	s_mov_b32 s10, -1
.LBB233_1536:
	s_branch .LBB233_1568
.LBB233_1537:
	v_cmp_lt_i16_e32 vcc_lo, 22, v15
	s_cbranch_vccz .LBB233_1549
; %bb.1538:
	v_cmp_gt_i16_e32 vcc_lo, 24, v15
	s_cbranch_vccnz .LBB233_1550
; %bb.1539:
	v_cmp_lt_i16_e32 vcc_lo, 24, v15
	s_cbranch_vccz .LBB233_1551
; %bb.1540:
	global_load_u8 v4, v[12:13], off
	s_mov_b32 s12, exec_lo
                                        ; implicit-def: $sgpr11
                                        ; implicit-def: $sgpr10
	s_waitcnt vmcnt(0)
	v_cmpx_lt_i16_e32 0x7f, v4
	s_xor_b32 s12, exec_lo, s12
	s_cbranch_execz .LBB233_1544
; %bb.1541:
	s_mov_b32 s1, -1
	s_mov_b32 s13, exec_lo
                                        ; implicit-def: $sgpr11
                                        ; implicit-def: $sgpr10
	v_cmpx_eq_u16_e32 0x80, v4
; %bb.1542:
	s_mov_b32 s10, 0x7f800001
	s_mov_b32 s11, 0
	s_xor_b32 s1, exec_lo, -1
; %bb.1543:
	s_or_b32 exec_lo, exec_lo, s13
	s_delay_alu instid0(SALU_CYCLE_1)
	s_and_b32 s1, s1, exec_lo
.LBB233_1544:
	s_or_saveexec_b32 s12, s12
	v_dual_mov_b32 v7, s11 :: v_dual_mov_b32 v6, s10
	s_xor_b32 exec_lo, exec_lo, s12
; %bb.1545:
	v_mov_b32_e32 v7, 0
	v_cmp_ne_u16_e32 vcc_lo, 0, v4
	s_and_not1_b32 s1, s1, exec_lo
	s_delay_alu instid0(VALU_DEP_2) | instskip(SKIP_1) | instid1(SALU_CYCLE_1)
	v_mov_b32_e32 v6, v7
	s_and_b32 s10, vcc_lo, exec_lo
	s_or_b32 s1, s1, s10
; %bb.1546:
	s_or_b32 exec_lo, exec_lo, s12
	s_and_saveexec_b32 s10, s1
	s_cbranch_execz .LBB233_1548
; %bb.1547:
	v_and_b32_e32 v6, 0xffff, v4
	v_lshlrev_b32_e32 v4, 24, v4
	s_delay_alu instid0(VALU_DEP_2) | instskip(NEXT) | instid1(VALU_DEP_2)
	v_and_b32_e32 v7, 3, v6
	v_and_b32_e32 v4, 0x80000000, v4
	s_delay_alu instid0(VALU_DEP_2) | instskip(NEXT) | instid1(VALU_DEP_1)
	v_clz_i32_u32_e32 v10, v7
	v_min_u32_e32 v10, 32, v10
	s_delay_alu instid0(VALU_DEP_1) | instskip(SKIP_1) | instid1(VALU_DEP_2)
	v_subrev_nc_u32_e32 v14, 29, v10
	v_sub_nc_u32_e32 v10, 30, v10
	v_lshlrev_b32_e32 v14, v14, v6
	v_bfe_u32 v6, v6, 2, 5
	s_delay_alu instid0(VALU_DEP_2) | instskip(NEXT) | instid1(VALU_DEP_2)
	v_and_b32_e32 v14, 3, v14
	v_cmp_eq_u32_e32 vcc_lo, 0, v6
	s_delay_alu instid0(VALU_DEP_2) | instskip(NEXT) | instid1(VALU_DEP_1)
	v_cndmask_b32_e32 v7, v7, v14, vcc_lo
	v_dual_cndmask_b32 v6, v6, v10 :: v_dual_lshlrev_b32 v7, 21, v7
	s_delay_alu instid0(VALU_DEP_1) | instskip(NEXT) | instid1(VALU_DEP_1)
	v_lshl_add_u32 v6, v6, 23, 0x37800000
	v_or3_b32 v6, v4, v6, v7
	v_mov_b32_e32 v7, 0
.LBB233_1548:
	s_or_b32 exec_lo, exec_lo, s10
	s_mov_b32 s1, 0
	s_branch .LBB233_1552
.LBB233_1549:
	s_mov_b32 s1, -1
                                        ; implicit-def: $vgpr7
	s_branch .LBB233_1558
.LBB233_1550:
	s_mov_b32 s1, -1
                                        ; implicit-def: $vgpr7
	s_branch .LBB233_1555
.LBB233_1551:
	s_mov_b32 s1, -1
                                        ; implicit-def: $vgpr7
.LBB233_1552:
	s_delay_alu instid0(SALU_CYCLE_1)
	s_and_b32 vcc_lo, exec_lo, s1
	s_cbranch_vccz .LBB233_1554
; %bb.1553:
	global_load_u8 v4, v[12:13], off
	s_waitcnt vmcnt(0)
	v_lshlrev_b32_e32 v4, 24, v4
	s_delay_alu instid0(VALU_DEP_1) | instskip(NEXT) | instid1(VALU_DEP_1)
	v_and_b32_e32 v6, 0x7f000000, v4
	v_clz_i32_u32_e32 v7, v6
	v_add_nc_u32_e32 v14, 0x1000000, v6
	v_cmp_ne_u32_e32 vcc_lo, 0, v6
	s_delay_alu instid0(VALU_DEP_3) | instskip(NEXT) | instid1(VALU_DEP_1)
	v_min_u32_e32 v7, 32, v7
	v_sub_nc_u32_e64 v7, v7, 4 clamp
	s_delay_alu instid0(VALU_DEP_1) | instskip(SKIP_1) | instid1(VALU_DEP_2)
	v_lshlrev_b32_e32 v10, v7, v6
	v_lshlrev_b32_e32 v7, 23, v7
	v_lshrrev_b32_e32 v10, 4, v10
	s_delay_alu instid0(VALU_DEP_1) | instskip(SKIP_1) | instid1(VALU_DEP_2)
	v_sub_nc_u32_e32 v7, v10, v7
	v_ashrrev_i32_e32 v10, 8, v14
	v_add_nc_u32_e32 v7, 0x3c000000, v7
	s_delay_alu instid0(VALU_DEP_1) | instskip(NEXT) | instid1(VALU_DEP_1)
	v_and_or_b32 v7, 0x7f800000, v10, v7
	v_dual_cndmask_b32 v6, 0, v7 :: v_dual_mov_b32 v7, 0
	s_delay_alu instid0(VALU_DEP_1)
	v_and_or_b32 v6, 0x80000000, v4, v6
.LBB233_1554:
	s_mov_b32 s1, 0
.LBB233_1555:
	s_delay_alu instid0(SALU_CYCLE_1)
	s_and_not1_b32 vcc_lo, exec_lo, s1
	s_cbranch_vccnz .LBB233_1557
; %bb.1556:
	global_load_u8 v4, v[12:13], off
	s_waitcnt vmcnt(0)
	v_lshlrev_b32_e32 v6, 25, v4
	v_lshlrev_b16 v4, 8, v4
	s_delay_alu instid0(VALU_DEP_2) | instskip(NEXT) | instid1(VALU_DEP_2)
	v_lshrrev_b32_e32 v7, 4, v6
	v_and_or_b32 v10, 0x7f00, v4, 0.5
	v_bfe_i32 v4, v4, 0, 16
	s_delay_alu instid0(VALU_DEP_3) | instskip(NEXT) | instid1(VALU_DEP_1)
	v_or_b32_e32 v7, 0x70000000, v7
	v_dual_add_f32 v10, -0.5, v10 :: v_dual_mul_f32 v7, 0x7800000, v7
	v_cmp_gt_u32_e32 vcc_lo, 0x8000000, v6
	s_delay_alu instid0(VALU_DEP_2) | instskip(NEXT) | instid1(VALU_DEP_1)
	v_dual_cndmask_b32 v6, v7, v10 :: v_dual_mov_b32 v7, 0
	v_and_or_b32 v6, 0x80000000, v4, v6
.LBB233_1557:
	s_mov_b32 s1, 0
	s_mov_b32 s10, -1
.LBB233_1558:
	s_and_not1_b32 vcc_lo, exec_lo, s1
	s_mov_b32 s1, 0
	s_cbranch_vccnz .LBB233_1568
; %bb.1559:
	v_cmp_lt_i16_e32 vcc_lo, 14, v15
	s_cbranch_vccz .LBB233_1562
; %bb.1560:
	v_cmp_eq_u16_e32 vcc_lo, 15, v15
	s_cbranch_vccz .LBB233_1563
; %bb.1561:
	global_load_u16 v4, v[12:13], off
	s_mov_b32 s0, 0
	s_mov_b32 s10, -1
	s_mov_b32 s11, 0
	s_waitcnt vmcnt(0)
	v_lshlrev_b32_e32 v6, 16, v4
	s_branch .LBB233_1565
.LBB233_1562:
	s_mov_b32 s1, -1
	s_branch .LBB233_1564
.LBB233_1563:
	s_mov_b32 s0, -1
.LBB233_1564:
                                        ; implicit-def: $sgpr11
                                        ; implicit-def: $vgpr6
.LBB233_1565:
	s_and_b32 vcc_lo, exec_lo, s1
	s_mov_b32 s1, 0
	s_cbranch_vccz .LBB233_1567
; %bb.1566:
	v_cmp_ne_u16_e64 s0, 11, v15
	s_mov_b32 s1, -1
                                        ; implicit-def: $sgpr11
                                        ; implicit-def: $vgpr6
.LBB233_1567:
	v_mov_b32_e32 v7, s11
.LBB233_1568:
	s_delay_alu instid0(VALU_DEP_2)
	s_and_b32 vcc_lo, exec_lo, s0
	s_cbranch_vccnz .LBB233_1622
; %bb.1569:
	s_and_not1_b32 vcc_lo, exec_lo, s1
	s_cbranch_vccnz .LBB233_1571
.LBB233_1570:
	global_load_u8 v4, v[12:13], off
	v_mov_b32_e32 v7, 0
	s_mov_b32 s10, -1
	s_waitcnt vmcnt(0)
	v_cmp_ne_u16_e32 vcc_lo, 0, v4
	v_cndmask_b32_e64 v6, 0, 1.0, vcc_lo
.LBB233_1571:
.LBB233_1572:
	s_and_not1_b32 vcc_lo, exec_lo, s10
	s_cbranch_vccnz .LBB233_1922
.LBB233_1573:
	s_waitcnt vmcnt(0)
	s_delay_alu instid0(VALU_DEP_1) | instskip(NEXT) | instid1(VALU_DEP_2)
	v_cmp_neq_f32_e32 vcc_lo, 0, v6
	v_cmp_neq_f32_e64 s0, 0, v7
	v_mov_b32_e32 v4, 0
	s_delay_alu instid0(VALU_DEP_2) | instskip(NEXT) | instid1(SALU_CYCLE_1)
	s_or_b32 s0, vcc_lo, s0
	s_and_saveexec_b32 s10, s0
	s_cbranch_execz .LBB233_1603
; %bb.1574:
	v_mov_b32_e32 v4, 0x7f800000
	s_mov_b32 s11, exec_lo
	v_cmpx_neq_f32_e64 0x7f800000, |v7|
	s_cbranch_execz .LBB233_1602
; %bb.1575:
	s_mov_b32 s0, exec_lo
	v_cmpx_o_f32_e32 v6, v6
	s_xor_b32 s12, exec_lo, s0
	s_cbranch_execz .LBB233_1599
; %bb.1576:
	s_mov_b32 s1, exec_lo
	v_cmpx_neq_f32_e64 0x7f800000, |v6|
	s_xor_b32 s13, exec_lo, s1
	s_cbranch_execz .LBB233_1592
; %bb.1577:
	v_max_f32_e64 v4, |v7|, |v7|
	v_max_f32_e64 v10, |v6|, |v6|
                                        ; implicit-def: $sgpr14
	s_delay_alu instid0(VALU_DEP_1) | instskip(NEXT) | instid1(VALU_DEP_1)
	v_max_f32_e32 v4, v10, v4
	v_cmp_nle_f32_e64 s0, 0x7ed413cb, v4
	s_delay_alu instid0(VALU_DEP_1) | instskip(NEXT) | instid1(SALU_CYCLE_1)
	s_and_saveexec_b32 s1, s0
	s_xor_b32 s1, exec_lo, s1
	s_cbranch_execz .LBB233_1581
; %bb.1578:
	v_cmp_ge_f32_e64 s14, 0x1000000, |v6|
	v_cmp_ge_f32_e64 s15, 0x1000000, |v7|
	s_delay_alu instid0(VALU_DEP_1)
	s_and_b32 s16, s14, s15
	s_mov_b32 s14, 0
	s_and_saveexec_b32 s15, s16
; %bb.1579:
	v_dual_mul_f32 v6, 4.0, v6 :: v_dual_mul_f32 v7, 4.0, v7
	s_mov_b32 s14, exec_lo
; %bb.1580:
	s_or_b32 exec_lo, exec_lo, s15
	s_delay_alu instid0(SALU_CYCLE_1)
	s_and_b32 s14, s14, exec_lo
.LBB233_1581:
	s_and_not1_saveexec_b32 s1, s1
; %bb.1582:
	v_dual_mul_f32 v6, 0x3e800000, v6 :: v_dual_mul_f32 v7, 0x3e800000, v7
	s_and_not1_b32 s14, s14, exec_lo
; %bb.1583:
	s_or_b32 exec_lo, exec_lo, s1
	s_delay_alu instid0(VALU_DEP_1) | instskip(NEXT) | instid1(VALU_DEP_2)
	v_max_f32_e64 v4, |v7|, |v7|
	v_max_f32_e64 v10, |v6|, |v6|
	s_delay_alu instid0(VALU_DEP_1) | instskip(NEXT) | instid1(VALU_DEP_1)
	v_max_f32_e32 v4, v10, v4
	v_cvt_f64_f32_e32 v[12:13], v4
	s_delay_alu instid0(VALU_DEP_1) | instskip(NEXT) | instid1(VALU_DEP_1)
	v_frexp_exp_i32_f64_e32 v10, v[12:13]
	v_sub_nc_u32_e32 v12, 0, v10
	s_delay_alu instid0(VALU_DEP_1) | instskip(SKIP_1) | instid1(VALU_DEP_2)
	v_ldexp_f32 v13, |v7|, v12
	v_ldexp_f32 v12, |v6|, v12
	v_mul_f32_e32 v13, v13, v13
	v_cmp_neq_f32_e64 s1, 0x7f800000, v4
                                        ; implicit-def: $vgpr4
	s_delay_alu instid0(VALU_DEP_2) | instskip(NEXT) | instid1(VALU_DEP_1)
	v_fmac_f32_e32 v13, v12, v12
	v_sqrt_f32_e32 v12, v13
	s_waitcnt_depctr 0xfff
	v_ldexp_f32 v10, v12, v10
	s_delay_alu instid0(VALU_DEP_1)
	v_cndmask_b32_e64 v12, 0x7f800000, v10, s1
                                        ; implicit-def: $vgpr10
	s_mov_b32 s1, exec_lo
	v_cmpx_le_f32_e32 0, v6
	s_xor_b32 s15, exec_lo, s1
	s_cbranch_execz .LBB233_1585
; %bb.1584:
	v_add_f32_e32 v4, v6, v12
	s_delay_alu instid0(VALU_DEP_1) | instskip(NEXT) | instid1(VALU_DEP_1)
	v_mul_f32_e32 v4, 0.5, v4
	v_mul_f32_e32 v6, 0x4f800000, v4
	v_cmp_gt_f32_e32 vcc_lo, 0xf800000, v4
	s_delay_alu instid0(VALU_DEP_2) | instskip(NEXT) | instid1(VALU_DEP_1)
	v_cndmask_b32_e32 v4, v4, v6, vcc_lo
	v_sqrt_f32_e32 v6, v4
	s_waitcnt_depctr 0xfff
	v_add_nc_u32_e32 v10, -1, v6
	v_add_nc_u32_e32 v12, 1, v6
	s_delay_alu instid0(VALU_DEP_2) | instskip(NEXT) | instid1(VALU_DEP_2)
	v_fma_f32 v13, -v10, v6, v4
	v_fma_f32 v14, -v12, v6, v4
	s_delay_alu instid0(VALU_DEP_2) | instskip(NEXT) | instid1(VALU_DEP_1)
	v_cmp_ge_f32_e64 s1, 0, v13
	v_cndmask_b32_e64 v6, v6, v10, s1
	s_delay_alu instid0(VALU_DEP_3) | instskip(NEXT) | instid1(VALU_DEP_1)
	v_cmp_lt_f32_e64 s1, 0, v14
	v_cndmask_b32_e64 v6, v6, v12, s1
	s_delay_alu instid0(VALU_DEP_1) | instskip(NEXT) | instid1(VALU_DEP_1)
	v_mul_f32_e32 v10, 0x37800000, v6
	v_cndmask_b32_e32 v6, v6, v10, vcc_lo
	v_cmp_class_f32_e64 vcc_lo, v4, 0x260
	s_delay_alu instid0(VALU_DEP_2) | instskip(NEXT) | instid1(VALU_DEP_1)
	v_cndmask_b32_e32 v4, v6, v4, vcc_lo
	v_add_f32_e32 v6, v4, v4
	s_delay_alu instid0(VALU_DEP_1) | instskip(NEXT) | instid1(VALU_DEP_1)
	v_div_scale_f32 v10, null, v6, v6, v7
	v_rcp_f32_e32 v12, v10
	s_waitcnt_depctr 0xfff
	v_fma_f32 v13, -v10, v12, 1.0
	s_delay_alu instid0(VALU_DEP_1) | instskip(SKIP_1) | instid1(VALU_DEP_1)
	v_fmac_f32_e32 v12, v13, v12
	v_div_scale_f32 v13, vcc_lo, v7, v6, v7
	v_mul_f32_e32 v14, v13, v12
	s_delay_alu instid0(VALU_DEP_1) | instskip(NEXT) | instid1(VALU_DEP_1)
	v_fma_f32 v16, -v10, v14, v13
	v_fmac_f32_e32 v14, v16, v12
	s_delay_alu instid0(VALU_DEP_1) | instskip(NEXT) | instid1(VALU_DEP_1)
	v_fma_f32 v10, -v10, v14, v13
	v_div_fmas_f32 v10, v10, v12, v14
                                        ; implicit-def: $vgpr12
	s_delay_alu instid0(VALU_DEP_1)
	v_div_fixup_f32 v10, v10, v6, v7
                                        ; implicit-def: $vgpr6
	s_and_not1_saveexec_b32 s15, s15
	s_cbranch_execz .LBB233_1587
	s_branch .LBB233_1586
.LBB233_1585:
	s_and_not1_saveexec_b32 s15, s15
	s_cbranch_execz .LBB233_1587
.LBB233_1586:
	v_sub_f32_e32 v4, v12, v6
	s_delay_alu instid0(VALU_DEP_1) | instskip(NEXT) | instid1(VALU_DEP_1)
	v_mul_f32_e32 v4, 0.5, v4
	v_mul_f32_e32 v6, 0x4f800000, v4
	v_cmp_gt_f32_e32 vcc_lo, 0xf800000, v4
	s_delay_alu instid0(VALU_DEP_2) | instskip(NEXT) | instid1(VALU_DEP_1)
	v_cndmask_b32_e32 v4, v4, v6, vcc_lo
	v_sqrt_f32_e32 v6, v4
	s_waitcnt_depctr 0xfff
	v_add_nc_u32_e32 v10, -1, v6
	v_add_nc_u32_e32 v12, 1, v6
	s_delay_alu instid0(VALU_DEP_2) | instskip(NEXT) | instid1(VALU_DEP_2)
	v_fma_f32 v13, -v10, v6, v4
	v_fma_f32 v14, -v12, v6, v4
	s_delay_alu instid0(VALU_DEP_2) | instskip(NEXT) | instid1(VALU_DEP_1)
	v_cmp_ge_f32_e64 s1, 0, v13
	v_cndmask_b32_e64 v6, v6, v10, s1
	s_delay_alu instid0(VALU_DEP_3) | instskip(NEXT) | instid1(VALU_DEP_1)
	v_cmp_lt_f32_e64 s1, 0, v14
	v_cndmask_b32_e64 v6, v6, v12, s1
	s_delay_alu instid0(VALU_DEP_1) | instskip(NEXT) | instid1(VALU_DEP_1)
	v_mul_f32_e32 v10, 0x37800000, v6
	v_cndmask_b32_e32 v6, v6, v10, vcc_lo
	v_cmp_class_f32_e64 vcc_lo, v4, 0x260
	s_delay_alu instid0(VALU_DEP_2) | instskip(SKIP_1) | instid1(VALU_DEP_2)
	v_cndmask_b32_e32 v6, v6, v4, vcc_lo
	v_and_b32_e32 v4, 0x7fffffff, v7
	v_add_f32_e32 v10, v6, v6
	s_delay_alu instid0(VALU_DEP_1) | instskip(SKIP_1) | instid1(VALU_DEP_2)
	v_div_scale_f32 v12, null, v10, v10, v4
	v_div_scale_f32 v4, vcc_lo, v4, v10, v4
	v_rcp_f32_e32 v13, v12
	s_waitcnt_depctr 0xfff
	v_fma_f32 v14, -v12, v13, 1.0
	s_delay_alu instid0(VALU_DEP_1) | instskip(NEXT) | instid1(VALU_DEP_1)
	v_fmac_f32_e32 v13, v14, v13
	v_mul_f32_e32 v14, v4, v13
	s_delay_alu instid0(VALU_DEP_1) | instskip(NEXT) | instid1(VALU_DEP_1)
	v_fma_f32 v16, -v12, v14, v4
	v_fmac_f32_e32 v14, v16, v13
	s_delay_alu instid0(VALU_DEP_1) | instskip(NEXT) | instid1(VALU_DEP_1)
	v_fma_f32 v4, -v12, v14, v4
	v_div_fmas_f32 v4, v4, v13, v14
	s_delay_alu instid0(VALU_DEP_1)
	v_div_fixup_f32 v4, v4, v10, |v7|
	v_bfi_b32 v10, 0x7fffffff, v6, v7
.LBB233_1587:
	s_or_b32 exec_lo, exec_lo, s15
                                        ; implicit-def: $vgpr7
	s_and_saveexec_b32 s1, s0
	s_delay_alu instid0(SALU_CYCLE_1)
	s_xor_b32 s0, exec_lo, s1
	s_cbranch_execz .LBB233_1589
; %bb.1588:
	v_dual_mul_f32 v6, 0.5, v4 :: v_dual_mul_f32 v7, 0.5, v10
	s_delay_alu instid0(VALU_DEP_1) | instskip(NEXT) | instid1(VALU_DEP_2)
	v_cndmask_b32_e64 v6, v4, v6, s14
	v_cndmask_b32_e64 v7, v10, v7, s14
                                        ; implicit-def: $vgpr4
                                        ; implicit-def: $vgpr10
	s_and_not1_saveexec_b32 s0, s0
	s_cbranch_execnz .LBB233_1590
	s_branch .LBB233_1591
.LBB233_1589:
	s_and_not1_saveexec_b32 s0, s0
.LBB233_1590:
	v_dual_add_f32 v6, v4, v4 :: v_dual_add_f32 v7, v10, v10
.LBB233_1591:
	s_or_b32 exec_lo, exec_lo, s0
.LBB233_1592:
	s_and_not1_saveexec_b32 s0, s13
	s_cbranch_execz .LBB233_1598
; %bb.1593:
	s_delay_alu instid0(VALU_DEP_1)
	v_sub_f32_e32 v4, v7, v7
	s_mov_b32 s1, exec_lo
	v_cmpx_lt_i32_e32 -1, v6
	s_xor_b32 s1, exec_lo, s1
; %bb.1594:
	s_delay_alu instid0(VALU_DEP_2)
	v_bfi_b32 v7, 0x7fffffff, v4, v7
                                        ; implicit-def: $vgpr4
; %bb.1595:
	s_and_not1_saveexec_b32 s1, s1
; %bb.1596:
	v_and_b32_e32 v4, 0x7fffffff, v4
	s_delay_alu instid0(VALU_DEP_2) | instskip(NEXT) | instid1(VALU_DEP_2)
	v_bfi_b32 v7, 0x7fffffff, v6, v7
	v_mov_b32_e32 v6, v4
; %bb.1597:
	s_or_b32 exec_lo, exec_lo, s1
.LBB233_1598:
	s_delay_alu instid0(SALU_CYCLE_1)
	s_or_b32 exec_lo, exec_lo, s0
.LBB233_1599:
	s_and_not1_saveexec_b32 s0, s12
; %bb.1600:
	v_sub_f32_e32 v4, v7, v7
	s_delay_alu instid0(VALU_DEP_1) | instskip(NEXT) | instid1(VALU_DEP_1)
	v_div_scale_f32 v7, vcc_lo, v4, v4, v4
	v_rcp_f32_e32 v10, v7
	s_waitcnt_depctr 0xfff
	v_fma_f32 v12, -v7, v10, 1.0
	s_delay_alu instid0(VALU_DEP_1) | instskip(NEXT) | instid1(VALU_DEP_1)
	v_fmac_f32_e32 v10, v12, v10
	v_mul_f32_e32 v12, v7, v10
	s_delay_alu instid0(VALU_DEP_1) | instskip(NEXT) | instid1(VALU_DEP_1)
	v_fma_f32 v13, -v7, v12, v7
	v_fmac_f32_e32 v12, v13, v10
	s_delay_alu instid0(VALU_DEP_1) | instskip(NEXT) | instid1(VALU_DEP_1)
	v_fma_f32 v7, -v7, v12, v7
	v_div_fmas_f32 v7, v7, v10, v12
	s_delay_alu instid0(VALU_DEP_1)
	v_div_fixup_f32 v7, v7, v4, v4
; %bb.1601:
	s_or_b32 exec_lo, exec_lo, s0
	v_mov_b32_e32 v4, v6
.LBB233_1602:
	s_or_b32 exec_lo, exec_lo, s11
.LBB233_1603:
	s_delay_alu instid0(SALU_CYCLE_1) | instskip(SKIP_2) | instid1(VALU_DEP_1)
	s_or_b32 exec_lo, exec_lo, s10
	v_cmp_gt_i16_e32 vcc_lo, 11, v15
	v_add_co_u32 v12, s0, s6, v9
	v_add_co_ci_u32_e64 v13, null, s7, 0, s0
	s_mov_b32 s10, 0
	s_cbranch_vccnz .LBB233_1610
; %bb.1604:
	v_cmp_lt_i16_e32 vcc_lo, 25, v15
	s_mov_b32 s1, 0
	s_cbranch_vccz .LBB233_1616
; %bb.1605:
	v_cmp_lt_i16_e32 vcc_lo, 28, v15
	s_cbranch_vccz .LBB233_1618
; %bb.1606:
	v_cmp_lt_i16_e32 vcc_lo, 43, v15
	;; [unrolled: 3-line block ×3, first 2 shown]
	s_cbranch_vccz .LBB233_1624
; %bb.1608:
	v_cmp_eq_u16_e32 vcc_lo, 46, v15
	s_mov_b32 s11, 0
	s_cbranch_vccz .LBB233_1669
; %bb.1609:
	global_load_b32 v6, v[12:13], off
	s_mov_b32 s0, 0
	s_mov_b32 s10, -1
	s_waitcnt vmcnt(0)
	v_and_b32_e32 v10, 0xffff0000, v6
	v_lshlrev_b32_e32 v9, 16, v6
	s_branch .LBB233_1671
.LBB233_1610:
                                        ; implicit-def: $vgpr10
	s_cbranch_execz .LBB233_1740
; %bb.1611:
	v_cmp_gt_i16_e32 vcc_lo, 5, v15
	s_cbranch_vccnz .LBB233_1617
; %bb.1612:
	v_cmp_gt_i16_e32 vcc_lo, 8, v15
	s_cbranch_vccnz .LBB233_1619
	;; [unrolled: 3-line block ×3, first 2 shown]
; %bb.1614:
	v_cmp_lt_i16_e32 vcc_lo, 9, v15
	s_cbranch_vccz .LBB233_1625
; %bb.1615:
	global_load_b128 v[16:19], v[12:13], off
	s_mov_b32 s0, 0
	s_waitcnt vmcnt(0)
	v_cvt_f32_f64_e32 v9, v[16:17]
	v_cvt_f32_f64_e32 v10, v[18:19]
	s_branch .LBB233_1626
.LBB233_1616:
	s_mov_b32 s11, -1
	s_mov_b32 s0, 0
                                        ; implicit-def: $vgpr10
	s_branch .LBB233_1704
.LBB233_1617:
	s_mov_b32 s0, -1
                                        ; implicit-def: $vgpr10
	s_branch .LBB233_1645
.LBB233_1618:
	s_mov_b32 s11, -1
	s_mov_b32 s0, 0
                                        ; implicit-def: $vgpr10
	s_branch .LBB233_1683
.LBB233_1619:
	s_mov_b32 s0, -1
                                        ; implicit-def: $vgpr10
	s_branch .LBB233_1632
.LBB233_1620:
	s_mov_b32 s11, -1
	s_mov_b32 s0, 0
                                        ; implicit-def: $vgpr10
	s_branch .LBB233_1677
.LBB233_1621:
	s_mov_b32 s0, -1
                                        ; implicit-def: $vgpr10
	s_branch .LBB233_1629
.LBB233_1622:
	s_cbranch_execnz .LBB233_1667
; %bb.1623:
	s_or_b32 s2, s2, exec_lo
                                        ; implicit-def: $vgpr7
	s_cbranch_execz .LBB233_1570
	s_branch .LBB233_1571
.LBB233_1624:
	s_mov_b32 s11, -1
	s_mov_b32 s0, 0
	s_branch .LBB233_1670
.LBB233_1625:
	s_mov_b32 s0, -1
                                        ; implicit-def: $vgpr10
.LBB233_1626:
	s_delay_alu instid0(SALU_CYCLE_1)
	s_and_not1_b32 vcc_lo, exec_lo, s0
	s_cbranch_vccnz .LBB233_1628
; %bb.1627:
	global_load_b64 v[9:10], v[12:13], off
.LBB233_1628:
	s_mov_b32 s0, 0
.LBB233_1629:
	s_delay_alu instid0(SALU_CYCLE_1)
	s_and_not1_b32 vcc_lo, exec_lo, s0
	s_cbranch_vccnz .LBB233_1631
; %bb.1630:
	global_load_b32 v6, v[12:13], off
	s_waitcnt vmcnt(0)
	v_lshrrev_b32_e32 v10, 16, v6
	v_cvt_f32_f16_e32 v9, v6
	s_delay_alu instid0(VALU_DEP_2)
	v_cvt_f32_f16_e32 v10, v10
.LBB233_1631:
	s_mov_b32 s0, 0
.LBB233_1632:
	s_delay_alu instid0(SALU_CYCLE_1)
	s_and_not1_b32 vcc_lo, exec_lo, s0
	s_cbranch_vccnz .LBB233_1644
; %bb.1633:
	v_cmp_gt_i16_e32 vcc_lo, 6, v15
	s_cbranch_vccnz .LBB233_1636
; %bb.1634:
	v_cmp_lt_i16_e32 vcc_lo, 6, v15
	s_cbranch_vccz .LBB233_1637
; %bb.1635:
	global_load_b64 v[9:10], v[12:13], off
	s_mov_b32 s1, 0
	s_mov_b32 s0, 0
	s_waitcnt vmcnt(0)
	v_cvt_f32_f64_e32 v9, v[9:10]
	s_branch .LBB233_1638
.LBB233_1636:
	s_mov_b32 s1, -1
                                        ; implicit-def: $sgpr0
                                        ; implicit-def: $vgpr9
	s_branch .LBB233_1641
.LBB233_1637:
	s_mov_b32 s1, -1
                                        ; implicit-def: $sgpr0
                                        ; implicit-def: $vgpr9
.LBB233_1638:
	s_delay_alu instid0(SALU_CYCLE_1)
	s_and_not1_b32 vcc_lo, exec_lo, s1
	s_cbranch_vccnz .LBB233_1640
; %bb.1639:
	global_load_b32 v9, v[12:13], off
	s_mov_b32 s0, 0
.LBB233_1640:
	s_mov_b32 s1, 0
.LBB233_1641:
	s_delay_alu instid0(SALU_CYCLE_1)
	s_and_not1_b32 vcc_lo, exec_lo, s1
	s_cbranch_vccnz .LBB233_1643
; %bb.1642:
	global_load_u16 v6, v[12:13], off
	s_mov_b32 s0, 0
	s_waitcnt vmcnt(0)
	v_cvt_f32_f16_e32 v9, v6
.LBB233_1643:
	s_waitcnt vmcnt(0)
	v_mov_b32_e32 v10, s0
.LBB233_1644:
	s_mov_b32 s0, 0
.LBB233_1645:
	s_delay_alu instid0(SALU_CYCLE_1)
	s_and_not1_b32 vcc_lo, exec_lo, s0
	s_cbranch_vccnz .LBB233_1666
; %bb.1646:
	v_cmp_gt_i16_e32 vcc_lo, 2, v15
	s_cbranch_vccnz .LBB233_1650
; %bb.1647:
	v_cmp_gt_i16_e32 vcc_lo, 3, v15
	s_cbranch_vccnz .LBB233_1651
; %bb.1648:
	v_cmp_lt_i16_e32 vcc_lo, 3, v15
	s_cbranch_vccz .LBB233_1652
; %bb.1649:
	global_load_b64 v[9:10], v[12:13], off
	s_mov_b32 s1, 0
	s_mov_b32 s0, 0
	s_waitcnt vmcnt(0)
	v_xor_b32_e32 v6, v9, v10
	v_cls_i32_e32 v14, v10
	s_delay_alu instid0(VALU_DEP_2) | instskip(NEXT) | instid1(VALU_DEP_2)
	v_ashrrev_i32_e32 v6, 31, v6
	v_add_nc_u32_e32 v14, -1, v14
	s_delay_alu instid0(VALU_DEP_2) | instskip(NEXT) | instid1(VALU_DEP_1)
	v_add_nc_u32_e32 v6, 32, v6
	v_min_u32_e32 v6, v14, v6
	s_delay_alu instid0(VALU_DEP_1) | instskip(SKIP_1) | instid1(VALU_DEP_2)
	v_lshlrev_b64 v[9:10], v6, v[9:10]
	v_sub_nc_u32_e32 v6, 32, v6
	v_min_u32_e32 v9, 1, v9
	s_delay_alu instid0(VALU_DEP_1) | instskip(NEXT) | instid1(VALU_DEP_1)
	v_or_b32_e32 v9, v10, v9
	v_cvt_f32_i32_e32 v9, v9
	s_delay_alu instid0(VALU_DEP_1)
	v_ldexp_f32 v9, v9, v6
	s_branch .LBB233_1653
.LBB233_1650:
	s_mov_b32 s1, -1
                                        ; implicit-def: $sgpr0
                                        ; implicit-def: $vgpr9
	s_branch .LBB233_1659
.LBB233_1651:
	s_mov_b32 s1, -1
                                        ; implicit-def: $sgpr0
                                        ; implicit-def: $vgpr9
	s_branch .LBB233_1656
.LBB233_1652:
	s_mov_b32 s1, -1
                                        ; implicit-def: $sgpr0
                                        ; implicit-def: $vgpr9
.LBB233_1653:
	s_delay_alu instid0(SALU_CYCLE_1)
	s_and_not1_b32 vcc_lo, exec_lo, s1
	s_cbranch_vccnz .LBB233_1655
; %bb.1654:
	global_load_b32 v6, v[12:13], off
	s_mov_b32 s0, 0
	s_waitcnt vmcnt(0)
	v_cvt_f32_i32_e32 v9, v6
.LBB233_1655:
	s_mov_b32 s1, 0
.LBB233_1656:
	s_delay_alu instid0(SALU_CYCLE_1)
	s_and_not1_b32 vcc_lo, exec_lo, s1
	s_cbranch_vccnz .LBB233_1658
; %bb.1657:
	global_load_i16 v6, v[12:13], off
	s_mov_b32 s0, 0
	s_waitcnt vmcnt(0)
	v_cvt_f32_i32_e32 v9, v6
.LBB233_1658:
	s_mov_b32 s1, 0
.LBB233_1659:
	s_delay_alu instid0(SALU_CYCLE_1)
	s_and_not1_b32 vcc_lo, exec_lo, s1
	s_cbranch_vccnz .LBB233_1665
; %bb.1660:
	v_cmp_lt_i16_e32 vcc_lo, 0, v15
	s_mov_b32 s1, 0
	s_cbranch_vccz .LBB233_1662
; %bb.1661:
	global_load_i8 v6, v[12:13], off
	s_mov_b32 s0, 0
	s_waitcnt vmcnt(0)
	v_cvt_f32_i32_e32 v9, v6
	s_branch .LBB233_1663
.LBB233_1662:
	s_mov_b32 s1, -1
                                        ; implicit-def: $sgpr0
                                        ; implicit-def: $vgpr9
.LBB233_1663:
	s_delay_alu instid0(SALU_CYCLE_1)
	s_and_not1_b32 vcc_lo, exec_lo, s1
	s_cbranch_vccnz .LBB233_1665
; %bb.1664:
	global_load_u8 v6, v[12:13], off
	s_mov_b32 s0, 0
	s_waitcnt vmcnt(0)
	v_cvt_f32_ubyte0_e32 v9, v6
.LBB233_1665:
	s_waitcnt vmcnt(0)
	v_mov_b32_e32 v10, s0
.LBB233_1666:
	s_branch .LBB233_1741
.LBB233_1667:
	s_trap 2
	s_sendmsg_rtn_b32 s0, sendmsg(MSG_RTN_GET_DOORBELL)
	s_mov_b32 ttmp2, m0
	s_waitcnt lgkmcnt(0)
	s_and_b32 s0, s0, 0x3ff
	s_delay_alu instid0(SALU_CYCLE_1) | instskip(NEXT) | instid1(SALU_CYCLE_1)
	s_bitset1_b32 s0, 10
	s_mov_b32 m0, s0
	s_sendmsg sendmsg(MSG_INTERRUPT)
	s_mov_b32 m0, ttmp2
.LBB233_1668:                           ; =>This Inner Loop Header: Depth=1
	s_sethalt 5
	s_branch .LBB233_1668
.LBB233_1669:
	s_mov_b32 s0, -1
.LBB233_1670:
                                        ; implicit-def: $vgpr10
.LBB233_1671:
	s_and_b32 vcc_lo, exec_lo, s11
	s_cbranch_vccz .LBB233_1676
; %bb.1672:
	v_cmp_eq_u16_e32 vcc_lo, 44, v15
	s_cbranch_vccz .LBB233_1674
; %bb.1673:
	global_load_u8 v6, v[12:13], off
	s_mov_b32 s0, 0
	s_mov_b32 s10, -1
	s_waitcnt vmcnt(0)
	v_lshlrev_b32_e32 v9, 23, v6
	v_cmp_ne_u32_e32 vcc_lo, 0xff, v6
	s_delay_alu instid0(VALU_DEP_2) | instskip(SKIP_1) | instid1(VALU_DEP_2)
	v_cndmask_b32_e32 v9, 0x7f800001, v9, vcc_lo
	v_cmp_ne_u32_e32 vcc_lo, 0, v6
	v_cndmask_b32_e32 v9, 0x400000, v9, vcc_lo
	s_branch .LBB233_1675
.LBB233_1674:
	s_mov_b32 s0, -1
                                        ; implicit-def: $vgpr9
.LBB233_1675:
	s_delay_alu instid0(SALU_CYCLE_1)
	v_mov_b32_e32 v10, s0
.LBB233_1676:
	s_mov_b32 s11, 0
.LBB233_1677:
	s_delay_alu instid0(SALU_CYCLE_1)
	s_and_b32 vcc_lo, exec_lo, s11
	s_cbranch_vccz .LBB233_1682
; %bb.1678:
	v_cmp_eq_u16_e32 vcc_lo, 29, v15
	s_cbranch_vccz .LBB233_1680
; %bb.1679:
	global_load_b64 v[9:10], v[12:13], off
	s_mov_b32 s0, 0
	s_mov_b32 s10, -1
	s_mov_b32 s11, 0
	s_waitcnt vmcnt(0)
	v_clz_i32_u32_e32 v6, v10
	s_delay_alu instid0(VALU_DEP_1) | instskip(NEXT) | instid1(VALU_DEP_1)
	v_min_u32_e32 v6, 32, v6
	v_lshlrev_b64 v[9:10], v6, v[9:10]
	v_sub_nc_u32_e32 v6, 32, v6
	s_delay_alu instid0(VALU_DEP_2) | instskip(NEXT) | instid1(VALU_DEP_1)
	v_min_u32_e32 v9, 1, v9
	v_or_b32_e32 v9, v10, v9
	s_delay_alu instid0(VALU_DEP_1) | instskip(NEXT) | instid1(VALU_DEP_1)
	v_cvt_f32_u32_e32 v9, v9
	v_ldexp_f32 v9, v9, v6
	s_branch .LBB233_1681
.LBB233_1680:
	s_mov_b32 s0, -1
                                        ; implicit-def: $sgpr11
                                        ; implicit-def: $vgpr9
.LBB233_1681:
	v_mov_b32_e32 v10, s11
.LBB233_1682:
	s_mov_b32 s11, 0
.LBB233_1683:
	s_delay_alu instid0(SALU_CYCLE_1)
	s_and_b32 vcc_lo, exec_lo, s11
	s_cbranch_vccz .LBB233_1703
; %bb.1684:
	v_cmp_gt_i16_e32 vcc_lo, 27, v15
	s_cbranch_vccnz .LBB233_1687
; %bb.1685:
	v_cmp_lt_i16_e32 vcc_lo, 27, v15
	s_cbranch_vccz .LBB233_1688
; %bb.1686:
	global_load_b32 v6, v[12:13], off
	s_mov_b32 s11, 0
	s_mov_b32 s10, 0
	s_waitcnt vmcnt(0)
	v_cvt_f32_u32_e32 v9, v6
	s_branch .LBB233_1689
.LBB233_1687:
	s_mov_b32 s11, -1
                                        ; implicit-def: $sgpr10
                                        ; implicit-def: $vgpr9
	s_branch .LBB233_1692
.LBB233_1688:
	s_mov_b32 s11, -1
                                        ; implicit-def: $sgpr10
                                        ; implicit-def: $vgpr9
.LBB233_1689:
	s_delay_alu instid0(SALU_CYCLE_1)
	s_and_not1_b32 vcc_lo, exec_lo, s11
	s_cbranch_vccnz .LBB233_1691
; %bb.1690:
	global_load_u16 v6, v[12:13], off
	s_mov_b32 s10, 0
	s_waitcnt vmcnt(0)
	v_cvt_f32_u32_e32 v9, v6
.LBB233_1691:
	s_mov_b32 s11, 0
.LBB233_1692:
	v_mov_b32_e32 v10, s10
	s_and_not1_b32 vcc_lo, exec_lo, s11
	s_cbranch_vccnz .LBB233_1702
; %bb.1693:
	global_load_u8 v6, v[12:13], off
	s_mov_b32 s10, 0
	s_mov_b32 s13, exec_lo
                                        ; implicit-def: $sgpr12
                                        ; implicit-def: $sgpr11
	s_waitcnt vmcnt(0)
	v_cmpx_lt_i16_e32 0x7f, v6
	s_xor_b32 s13, exec_lo, s13
	s_cbranch_execz .LBB233_1697
; %bb.1694:
	s_mov_b32 s10, -1
	s_mov_b32 s14, exec_lo
                                        ; implicit-def: $sgpr12
                                        ; implicit-def: $sgpr11
	v_cmpx_eq_u16_e32 0x80, v6
; %bb.1695:
	s_mov_b32 s11, 0x7f800001
	s_mov_b32 s12, 0
	s_xor_b32 s10, exec_lo, -1
; %bb.1696:
	s_or_b32 exec_lo, exec_lo, s14
	s_delay_alu instid0(SALU_CYCLE_1)
	s_and_b32 s10, s10, exec_lo
.LBB233_1697:
	s_or_saveexec_b32 s13, s13
	v_dual_mov_b32 v10, s12 :: v_dual_mov_b32 v9, s11
	s_xor_b32 exec_lo, exec_lo, s13
; %bb.1698:
	v_mov_b32_e32 v10, 0
	v_cmp_ne_u16_e32 vcc_lo, 0, v6
	s_and_not1_b32 s10, s10, exec_lo
	s_delay_alu instid0(VALU_DEP_2) | instskip(SKIP_1) | instid1(SALU_CYCLE_1)
	v_mov_b32_e32 v9, v10
	s_and_b32 s11, vcc_lo, exec_lo
	s_or_b32 s10, s10, s11
; %bb.1699:
	s_or_b32 exec_lo, exec_lo, s13
	s_and_saveexec_b32 s11, s10
	s_cbranch_execz .LBB233_1701
; %bb.1700:
	v_and_b32_e32 v9, 0xffff, v6
	v_lshlrev_b32_e32 v6, 24, v6
	s_delay_alu instid0(VALU_DEP_2) | instskip(NEXT) | instid1(VALU_DEP_2)
	v_and_b32_e32 v10, 7, v9
	v_and_b32_e32 v6, 0x80000000, v6
	s_delay_alu instid0(VALU_DEP_2) | instskip(NEXT) | instid1(VALU_DEP_1)
	v_clz_i32_u32_e32 v14, v10
	v_min_u32_e32 v14, 32, v14
	s_delay_alu instid0(VALU_DEP_1) | instskip(SKIP_1) | instid1(VALU_DEP_2)
	v_subrev_nc_u32_e32 v16, 28, v14
	v_sub_nc_u32_e32 v14, 29, v14
	v_lshlrev_b32_e32 v16, v16, v9
	v_bfe_u32 v9, v9, 3, 4
	s_delay_alu instid0(VALU_DEP_2) | instskip(NEXT) | instid1(VALU_DEP_2)
	v_and_b32_e32 v16, 7, v16
	v_cmp_eq_u32_e32 vcc_lo, 0, v9
	s_delay_alu instid0(VALU_DEP_2) | instskip(NEXT) | instid1(VALU_DEP_1)
	v_dual_cndmask_b32 v9, v9, v14 :: v_dual_cndmask_b32 v10, v10, v16
	v_lshl_add_u32 v9, v9, 23, 0x3b800000
	s_delay_alu instid0(VALU_DEP_2) | instskip(NEXT) | instid1(VALU_DEP_1)
	v_lshlrev_b32_e32 v10, 20, v10
	v_or3_b32 v9, v6, v9, v10
	v_mov_b32_e32 v10, 0
.LBB233_1701:
	s_or_b32 exec_lo, exec_lo, s11
.LBB233_1702:
	s_mov_b32 s10, -1
.LBB233_1703:
	s_mov_b32 s11, 0
.LBB233_1704:
	s_delay_alu instid0(SALU_CYCLE_1)
	s_and_b32 vcc_lo, exec_lo, s11
	s_cbranch_vccz .LBB233_1736
; %bb.1705:
	v_cmp_lt_i16_e32 vcc_lo, 22, v15
	s_cbranch_vccz .LBB233_1717
; %bb.1706:
	v_cmp_gt_i16_e32 vcc_lo, 24, v15
	s_cbranch_vccnz .LBB233_1718
; %bb.1707:
	v_cmp_lt_i16_e32 vcc_lo, 24, v15
	s_cbranch_vccz .LBB233_1719
; %bb.1708:
	global_load_u8 v6, v[12:13], off
	s_mov_b32 s12, exec_lo
                                        ; implicit-def: $sgpr11
                                        ; implicit-def: $sgpr10
	s_waitcnt vmcnt(0)
	v_cmpx_lt_i16_e32 0x7f, v6
	s_xor_b32 s12, exec_lo, s12
	s_cbranch_execz .LBB233_1712
; %bb.1709:
	s_mov_b32 s1, -1
	s_mov_b32 s13, exec_lo
                                        ; implicit-def: $sgpr11
                                        ; implicit-def: $sgpr10
	v_cmpx_eq_u16_e32 0x80, v6
; %bb.1710:
	s_mov_b32 s10, 0x7f800001
	s_mov_b32 s11, 0
	s_xor_b32 s1, exec_lo, -1
; %bb.1711:
	s_or_b32 exec_lo, exec_lo, s13
	s_delay_alu instid0(SALU_CYCLE_1)
	s_and_b32 s1, s1, exec_lo
.LBB233_1712:
	s_or_saveexec_b32 s12, s12
	v_dual_mov_b32 v10, s11 :: v_dual_mov_b32 v9, s10
	s_xor_b32 exec_lo, exec_lo, s12
; %bb.1713:
	v_mov_b32_e32 v10, 0
	v_cmp_ne_u16_e32 vcc_lo, 0, v6
	s_and_not1_b32 s1, s1, exec_lo
	s_delay_alu instid0(VALU_DEP_2) | instskip(SKIP_1) | instid1(SALU_CYCLE_1)
	v_mov_b32_e32 v9, v10
	s_and_b32 s10, vcc_lo, exec_lo
	s_or_b32 s1, s1, s10
; %bb.1714:
	s_or_b32 exec_lo, exec_lo, s12
	s_and_saveexec_b32 s10, s1
	s_cbranch_execz .LBB233_1716
; %bb.1715:
	v_and_b32_e32 v9, 0xffff, v6
	v_lshlrev_b32_e32 v6, 24, v6
	s_delay_alu instid0(VALU_DEP_2) | instskip(NEXT) | instid1(VALU_DEP_2)
	v_and_b32_e32 v10, 3, v9
	v_and_b32_e32 v6, 0x80000000, v6
	s_delay_alu instid0(VALU_DEP_2) | instskip(NEXT) | instid1(VALU_DEP_1)
	v_clz_i32_u32_e32 v14, v10
	v_min_u32_e32 v14, 32, v14
	s_delay_alu instid0(VALU_DEP_1) | instskip(SKIP_1) | instid1(VALU_DEP_2)
	v_subrev_nc_u32_e32 v16, 29, v14
	v_sub_nc_u32_e32 v14, 30, v14
	v_lshlrev_b32_e32 v16, v16, v9
	v_bfe_u32 v9, v9, 2, 5
	s_delay_alu instid0(VALU_DEP_2) | instskip(NEXT) | instid1(VALU_DEP_2)
	v_and_b32_e32 v16, 3, v16
	v_cmp_eq_u32_e32 vcc_lo, 0, v9
	s_delay_alu instid0(VALU_DEP_2) | instskip(NEXT) | instid1(VALU_DEP_1)
	v_dual_cndmask_b32 v9, v9, v14 :: v_dual_cndmask_b32 v10, v10, v16
	v_lshl_add_u32 v9, v9, 23, 0x37800000
	s_delay_alu instid0(VALU_DEP_2) | instskip(NEXT) | instid1(VALU_DEP_1)
	v_lshlrev_b32_e32 v10, 21, v10
	v_or3_b32 v9, v6, v9, v10
	v_mov_b32_e32 v10, 0
.LBB233_1716:
	s_or_b32 exec_lo, exec_lo, s10
	s_mov_b32 s1, 0
	s_branch .LBB233_1720
.LBB233_1717:
	s_mov_b32 s1, -1
                                        ; implicit-def: $vgpr10
	s_branch .LBB233_1726
.LBB233_1718:
	s_mov_b32 s1, -1
                                        ; implicit-def: $vgpr10
	s_branch .LBB233_1723
.LBB233_1719:
	s_mov_b32 s1, -1
                                        ; implicit-def: $vgpr10
.LBB233_1720:
	s_delay_alu instid0(SALU_CYCLE_1)
	s_and_b32 vcc_lo, exec_lo, s1
	s_cbranch_vccz .LBB233_1722
; %bb.1721:
	global_load_u8 v6, v[12:13], off
	s_waitcnt vmcnt(0)
	v_lshlrev_b32_e32 v6, 24, v6
	s_delay_alu instid0(VALU_DEP_1) | instskip(NEXT) | instid1(VALU_DEP_1)
	v_and_b32_e32 v9, 0x7f000000, v6
	v_clz_i32_u32_e32 v10, v9
	v_cmp_ne_u32_e32 vcc_lo, 0, v9
	v_add_nc_u32_e32 v16, 0x1000000, v9
	s_delay_alu instid0(VALU_DEP_3) | instskip(NEXT) | instid1(VALU_DEP_1)
	v_min_u32_e32 v10, 32, v10
	v_sub_nc_u32_e64 v10, v10, 4 clamp
	s_delay_alu instid0(VALU_DEP_1) | instskip(SKIP_1) | instid1(VALU_DEP_2)
	v_lshlrev_b32_e32 v14, v10, v9
	v_lshlrev_b32_e32 v10, 23, v10
	v_lshrrev_b32_e32 v14, 4, v14
	s_delay_alu instid0(VALU_DEP_1) | instskip(SKIP_1) | instid1(VALU_DEP_2)
	v_sub_nc_u32_e32 v10, v14, v10
	v_ashrrev_i32_e32 v14, 8, v16
	v_add_nc_u32_e32 v10, 0x3c000000, v10
	s_delay_alu instid0(VALU_DEP_1) | instskip(NEXT) | instid1(VALU_DEP_1)
	v_and_or_b32 v10, 0x7f800000, v14, v10
	v_dual_cndmask_b32 v9, 0, v10 :: v_dual_mov_b32 v10, 0
	s_delay_alu instid0(VALU_DEP_1)
	v_and_or_b32 v9, 0x80000000, v6, v9
.LBB233_1722:
	s_mov_b32 s1, 0
.LBB233_1723:
	s_delay_alu instid0(SALU_CYCLE_1)
	s_and_not1_b32 vcc_lo, exec_lo, s1
	s_cbranch_vccnz .LBB233_1725
; %bb.1724:
	global_load_u8 v6, v[12:13], off
	s_waitcnt vmcnt(0)
	v_lshlrev_b32_e32 v9, 25, v6
	v_lshlrev_b16 v6, 8, v6
	s_delay_alu instid0(VALU_DEP_2) | instskip(NEXT) | instid1(VALU_DEP_2)
	v_lshrrev_b32_e32 v10, 4, v9
	v_and_or_b32 v14, 0x7f00, v6, 0.5
	v_cmp_gt_u32_e32 vcc_lo, 0x8000000, v9
	v_bfe_i32 v6, v6, 0, 16
	s_delay_alu instid0(VALU_DEP_4) | instskip(NEXT) | instid1(VALU_DEP_4)
	v_or_b32_e32 v10, 0x70000000, v10
	v_add_f32_e32 v14, -0.5, v14
	s_delay_alu instid0(VALU_DEP_2) | instskip(NEXT) | instid1(VALU_DEP_1)
	v_mul_f32_e32 v10, 0x7800000, v10
	v_dual_cndmask_b32 v9, v10, v14 :: v_dual_mov_b32 v10, 0
	s_delay_alu instid0(VALU_DEP_1)
	v_and_or_b32 v9, 0x80000000, v6, v9
.LBB233_1725:
	s_mov_b32 s1, 0
	s_mov_b32 s10, -1
.LBB233_1726:
	s_and_not1_b32 vcc_lo, exec_lo, s1
	s_mov_b32 s1, 0
	s_cbranch_vccnz .LBB233_1736
; %bb.1727:
	v_cmp_lt_i16_e32 vcc_lo, 14, v15
	s_cbranch_vccz .LBB233_1730
; %bb.1728:
	v_cmp_eq_u16_e32 vcc_lo, 15, v15
	s_cbranch_vccz .LBB233_1731
; %bb.1729:
	global_load_u16 v6, v[12:13], off
	s_mov_b32 s0, 0
	s_mov_b32 s10, -1
	s_mov_b32 s11, 0
	s_waitcnt vmcnt(0)
	v_lshlrev_b32_e32 v9, 16, v6
	s_branch .LBB233_1733
.LBB233_1730:
	s_mov_b32 s1, -1
	s_branch .LBB233_1732
.LBB233_1731:
	s_mov_b32 s0, -1
.LBB233_1732:
                                        ; implicit-def: $sgpr11
                                        ; implicit-def: $vgpr9
.LBB233_1733:
	s_and_b32 vcc_lo, exec_lo, s1
	s_mov_b32 s1, 0
	s_cbranch_vccz .LBB233_1735
; %bb.1734:
	v_cmp_ne_u16_e64 s0, 11, v15
	s_mov_b32 s1, -1
                                        ; implicit-def: $sgpr11
                                        ; implicit-def: $vgpr9
.LBB233_1735:
	v_mov_b32_e32 v10, s11
.LBB233_1736:
	s_delay_alu instid0(VALU_DEP_2)
	s_and_b32 vcc_lo, exec_lo, s0
	s_cbranch_vccnz .LBB233_1782
; %bb.1737:
	s_and_not1_b32 vcc_lo, exec_lo, s1
	s_cbranch_vccnz .LBB233_1739
.LBB233_1738:
	global_load_u8 v6, v[12:13], off
	v_mov_b32_e32 v10, 0
	s_mov_b32 s10, -1
	s_waitcnt vmcnt(0)
	v_cmp_ne_u16_e32 vcc_lo, 0, v6
	v_cndmask_b32_e64 v9, 0, 1.0, vcc_lo
.LBB233_1739:
.LBB233_1740:
	s_and_not1_b32 vcc_lo, exec_lo, s10
	s_cbranch_vccnz .LBB233_1922
.LBB233_1741:
	s_waitcnt vmcnt(0)
	s_delay_alu instid0(VALU_DEP_1) | instskip(NEXT) | instid1(VALU_DEP_2)
	v_cmp_neq_f32_e32 vcc_lo, 0, v9
	v_cmp_neq_f32_e64 s0, 0, v10
	v_mov_b32_e32 v6, 0
	s_delay_alu instid0(VALU_DEP_2) | instskip(NEXT) | instid1(SALU_CYCLE_1)
	s_or_b32 s0, vcc_lo, s0
	s_and_saveexec_b32 s10, s0
	s_cbranch_execz .LBB233_1771
; %bb.1742:
	v_mov_b32_e32 v6, 0x7f800000
	s_mov_b32 s11, exec_lo
	v_cmpx_neq_f32_e64 0x7f800000, |v10|
	s_cbranch_execz .LBB233_1770
; %bb.1743:
	s_mov_b32 s0, exec_lo
	v_cmpx_o_f32_e32 v9, v9
	s_xor_b32 s12, exec_lo, s0
	s_cbranch_execz .LBB233_1767
; %bb.1744:
	s_mov_b32 s1, exec_lo
	v_cmpx_neq_f32_e64 0x7f800000, |v9|
	s_xor_b32 s13, exec_lo, s1
	s_cbranch_execz .LBB233_1760
; %bb.1745:
	v_max_f32_e64 v6, |v10|, |v10|
	v_max_f32_e64 v12, |v9|, |v9|
                                        ; implicit-def: $sgpr14
	s_delay_alu instid0(VALU_DEP_1) | instskip(NEXT) | instid1(VALU_DEP_1)
	v_max_f32_e32 v6, v12, v6
	v_cmp_nle_f32_e64 s0, 0x7ed413cb, v6
	s_delay_alu instid0(VALU_DEP_1) | instskip(NEXT) | instid1(SALU_CYCLE_1)
	s_and_saveexec_b32 s1, s0
	s_xor_b32 s1, exec_lo, s1
	s_cbranch_execz .LBB233_1749
; %bb.1746:
	v_cmp_ge_f32_e64 s14, 0x1000000, |v9|
	v_cmp_ge_f32_e64 s15, 0x1000000, |v10|
	s_delay_alu instid0(VALU_DEP_1)
	s_and_b32 s16, s14, s15
	s_mov_b32 s14, 0
	s_and_saveexec_b32 s15, s16
; %bb.1747:
	v_dual_mul_f32 v9, 4.0, v9 :: v_dual_mul_f32 v10, 4.0, v10
	s_mov_b32 s14, exec_lo
; %bb.1748:
	s_or_b32 exec_lo, exec_lo, s15
	s_delay_alu instid0(SALU_CYCLE_1)
	s_and_b32 s14, s14, exec_lo
.LBB233_1749:
	s_and_not1_saveexec_b32 s1, s1
; %bb.1750:
	v_dual_mul_f32 v9, 0x3e800000, v9 :: v_dual_mul_f32 v10, 0x3e800000, v10
	s_and_not1_b32 s14, s14, exec_lo
; %bb.1751:
	s_or_b32 exec_lo, exec_lo, s1
	s_delay_alu instid0(VALU_DEP_1) | instskip(NEXT) | instid1(VALU_DEP_2)
	v_max_f32_e64 v6, |v10|, |v10|
	v_max_f32_e64 v12, |v9|, |v9|
	s_delay_alu instid0(VALU_DEP_1) | instskip(NEXT) | instid1(VALU_DEP_1)
	v_max_f32_e32 v6, v12, v6
	v_cvt_f64_f32_e32 v[12:13], v6
	v_cmp_neq_f32_e64 s1, 0x7f800000, v6
                                        ; implicit-def: $vgpr6
	s_delay_alu instid0(VALU_DEP_2) | instskip(NEXT) | instid1(VALU_DEP_1)
	v_frexp_exp_i32_f64_e32 v12, v[12:13]
	v_sub_nc_u32_e32 v13, 0, v12
	s_delay_alu instid0(VALU_DEP_1) | instskip(SKIP_1) | instid1(VALU_DEP_2)
	v_ldexp_f32 v14, |v10|, v13
	v_ldexp_f32 v13, |v9|, v13
	v_mul_f32_e32 v14, v14, v14
	s_delay_alu instid0(VALU_DEP_1) | instskip(NEXT) | instid1(VALU_DEP_1)
	v_fmac_f32_e32 v14, v13, v13
	v_sqrt_f32_e32 v13, v14
	s_waitcnt_depctr 0xfff
	v_ldexp_f32 v12, v13, v12
	s_delay_alu instid0(VALU_DEP_1)
	v_cndmask_b32_e64 v13, 0x7f800000, v12, s1
                                        ; implicit-def: $vgpr12
	s_mov_b32 s1, exec_lo
	v_cmpx_le_f32_e32 0, v9
	s_xor_b32 s15, exec_lo, s1
	s_cbranch_execz .LBB233_1753
; %bb.1752:
	v_add_f32_e32 v6, v9, v13
	s_delay_alu instid0(VALU_DEP_1) | instskip(NEXT) | instid1(VALU_DEP_1)
	v_mul_f32_e32 v6, 0.5, v6
	v_mul_f32_e32 v9, 0x4f800000, v6
	v_cmp_gt_f32_e32 vcc_lo, 0xf800000, v6
	s_delay_alu instid0(VALU_DEP_2) | instskip(NEXT) | instid1(VALU_DEP_1)
	v_cndmask_b32_e32 v6, v6, v9, vcc_lo
	v_sqrt_f32_e32 v9, v6
	s_waitcnt_depctr 0xfff
	v_add_nc_u32_e32 v12, -1, v9
	v_add_nc_u32_e32 v13, 1, v9
	s_delay_alu instid0(VALU_DEP_2) | instskip(NEXT) | instid1(VALU_DEP_2)
	v_fma_f32 v14, -v12, v9, v6
	v_fma_f32 v16, -v13, v9, v6
	s_delay_alu instid0(VALU_DEP_2) | instskip(NEXT) | instid1(VALU_DEP_1)
	v_cmp_ge_f32_e64 s1, 0, v14
	v_cndmask_b32_e64 v9, v9, v12, s1
	s_delay_alu instid0(VALU_DEP_3) | instskip(NEXT) | instid1(VALU_DEP_1)
	v_cmp_lt_f32_e64 s1, 0, v16
	v_cndmask_b32_e64 v9, v9, v13, s1
	s_delay_alu instid0(VALU_DEP_1) | instskip(NEXT) | instid1(VALU_DEP_1)
	v_mul_f32_e32 v12, 0x37800000, v9
	v_cndmask_b32_e32 v9, v9, v12, vcc_lo
	v_cmp_class_f32_e64 vcc_lo, v6, 0x260
	s_delay_alu instid0(VALU_DEP_2) | instskip(NEXT) | instid1(VALU_DEP_1)
	v_cndmask_b32_e32 v6, v9, v6, vcc_lo
	v_add_f32_e32 v9, v6, v6
	s_delay_alu instid0(VALU_DEP_1) | instskip(NEXT) | instid1(VALU_DEP_1)
	v_div_scale_f32 v12, null, v9, v9, v10
	v_rcp_f32_e32 v13, v12
	s_waitcnt_depctr 0xfff
	v_fma_f32 v14, -v12, v13, 1.0
	s_delay_alu instid0(VALU_DEP_1) | instskip(SKIP_1) | instid1(VALU_DEP_1)
	v_fmac_f32_e32 v13, v14, v13
	v_div_scale_f32 v14, vcc_lo, v10, v9, v10
	v_mul_f32_e32 v16, v14, v13
	s_delay_alu instid0(VALU_DEP_1) | instskip(NEXT) | instid1(VALU_DEP_1)
	v_fma_f32 v17, -v12, v16, v14
	v_fmac_f32_e32 v16, v17, v13
	s_delay_alu instid0(VALU_DEP_1) | instskip(NEXT) | instid1(VALU_DEP_1)
	v_fma_f32 v12, -v12, v16, v14
	v_div_fmas_f32 v12, v12, v13, v16
                                        ; implicit-def: $vgpr13
	s_delay_alu instid0(VALU_DEP_1)
	v_div_fixup_f32 v12, v12, v9, v10
                                        ; implicit-def: $vgpr9
	s_and_not1_saveexec_b32 s15, s15
	s_cbranch_execz .LBB233_1755
	s_branch .LBB233_1754
.LBB233_1753:
	s_and_not1_saveexec_b32 s15, s15
	s_cbranch_execz .LBB233_1755
.LBB233_1754:
	v_sub_f32_e32 v6, v13, v9
	s_delay_alu instid0(VALU_DEP_1) | instskip(NEXT) | instid1(VALU_DEP_1)
	v_mul_f32_e32 v6, 0.5, v6
	v_mul_f32_e32 v9, 0x4f800000, v6
	v_cmp_gt_f32_e32 vcc_lo, 0xf800000, v6
	s_delay_alu instid0(VALU_DEP_2) | instskip(NEXT) | instid1(VALU_DEP_1)
	v_cndmask_b32_e32 v6, v6, v9, vcc_lo
	v_sqrt_f32_e32 v9, v6
	s_waitcnt_depctr 0xfff
	v_add_nc_u32_e32 v12, -1, v9
	v_add_nc_u32_e32 v13, 1, v9
	s_delay_alu instid0(VALU_DEP_2) | instskip(NEXT) | instid1(VALU_DEP_2)
	v_fma_f32 v14, -v12, v9, v6
	v_fma_f32 v16, -v13, v9, v6
	s_delay_alu instid0(VALU_DEP_2) | instskip(NEXT) | instid1(VALU_DEP_1)
	v_cmp_ge_f32_e64 s1, 0, v14
	v_cndmask_b32_e64 v9, v9, v12, s1
	s_delay_alu instid0(VALU_DEP_3) | instskip(NEXT) | instid1(VALU_DEP_1)
	v_cmp_lt_f32_e64 s1, 0, v16
	v_cndmask_b32_e64 v9, v9, v13, s1
	s_delay_alu instid0(VALU_DEP_1) | instskip(NEXT) | instid1(VALU_DEP_1)
	v_mul_f32_e32 v12, 0x37800000, v9
	v_cndmask_b32_e32 v9, v9, v12, vcc_lo
	v_cmp_class_f32_e64 vcc_lo, v6, 0x260
	s_delay_alu instid0(VALU_DEP_2) | instskip(SKIP_1) | instid1(VALU_DEP_2)
	v_cndmask_b32_e32 v9, v9, v6, vcc_lo
	v_and_b32_e32 v6, 0x7fffffff, v10
	v_add_f32_e32 v12, v9, v9
	s_delay_alu instid0(VALU_DEP_1) | instskip(SKIP_1) | instid1(VALU_DEP_2)
	v_div_scale_f32 v13, null, v12, v12, v6
	v_div_scale_f32 v6, vcc_lo, v6, v12, v6
	v_rcp_f32_e32 v14, v13
	s_waitcnt_depctr 0xfff
	v_fma_f32 v16, -v13, v14, 1.0
	s_delay_alu instid0(VALU_DEP_1) | instskip(NEXT) | instid1(VALU_DEP_1)
	v_fmac_f32_e32 v14, v16, v14
	v_mul_f32_e32 v16, v6, v14
	s_delay_alu instid0(VALU_DEP_1) | instskip(NEXT) | instid1(VALU_DEP_1)
	v_fma_f32 v17, -v13, v16, v6
	v_fmac_f32_e32 v16, v17, v14
	s_delay_alu instid0(VALU_DEP_1) | instskip(NEXT) | instid1(VALU_DEP_1)
	v_fma_f32 v6, -v13, v16, v6
	v_div_fmas_f32 v6, v6, v14, v16
	s_delay_alu instid0(VALU_DEP_1)
	v_div_fixup_f32 v6, v6, v12, |v10|
	v_bfi_b32 v12, 0x7fffffff, v9, v10
.LBB233_1755:
	s_or_b32 exec_lo, exec_lo, s15
                                        ; implicit-def: $vgpr10
	s_and_saveexec_b32 s1, s0
	s_delay_alu instid0(SALU_CYCLE_1)
	s_xor_b32 s0, exec_lo, s1
	s_cbranch_execz .LBB233_1757
; %bb.1756:
	v_dual_mul_f32 v9, 0.5, v6 :: v_dual_mul_f32 v10, 0.5, v12
	s_delay_alu instid0(VALU_DEP_1) | instskip(NEXT) | instid1(VALU_DEP_2)
	v_cndmask_b32_e64 v9, v6, v9, s14
	v_cndmask_b32_e64 v10, v12, v10, s14
                                        ; implicit-def: $vgpr6
                                        ; implicit-def: $vgpr12
	s_and_not1_saveexec_b32 s0, s0
	s_cbranch_execnz .LBB233_1758
	s_branch .LBB233_1759
.LBB233_1757:
	s_and_not1_saveexec_b32 s0, s0
.LBB233_1758:
	v_dual_add_f32 v9, v6, v6 :: v_dual_add_f32 v10, v12, v12
.LBB233_1759:
	s_or_b32 exec_lo, exec_lo, s0
.LBB233_1760:
	s_and_not1_saveexec_b32 s0, s13
	s_cbranch_execz .LBB233_1766
; %bb.1761:
	s_delay_alu instid0(VALU_DEP_1)
	v_sub_f32_e32 v6, v10, v10
	s_mov_b32 s1, exec_lo
	v_cmpx_lt_i32_e32 -1, v9
	s_xor_b32 s1, exec_lo, s1
; %bb.1762:
	s_delay_alu instid0(VALU_DEP_2)
	v_bfi_b32 v10, 0x7fffffff, v6, v10
                                        ; implicit-def: $vgpr6
; %bb.1763:
	s_and_not1_saveexec_b32 s1, s1
; %bb.1764:
	v_and_b32_e32 v6, 0x7fffffff, v6
	s_delay_alu instid0(VALU_DEP_2) | instskip(NEXT) | instid1(VALU_DEP_2)
	v_bfi_b32 v10, 0x7fffffff, v9, v10
	v_mov_b32_e32 v9, v6
; %bb.1765:
	s_or_b32 exec_lo, exec_lo, s1
.LBB233_1766:
	s_delay_alu instid0(SALU_CYCLE_1)
	s_or_b32 exec_lo, exec_lo, s0
.LBB233_1767:
	s_and_not1_saveexec_b32 s0, s12
; %bb.1768:
	v_sub_f32_e32 v6, v10, v10
	s_delay_alu instid0(VALU_DEP_1) | instskip(NEXT) | instid1(VALU_DEP_1)
	v_div_scale_f32 v10, vcc_lo, v6, v6, v6
	v_rcp_f32_e32 v12, v10
	s_waitcnt_depctr 0xfff
	v_fma_f32 v13, -v10, v12, 1.0
	s_delay_alu instid0(VALU_DEP_1) | instskip(NEXT) | instid1(VALU_DEP_1)
	v_fmac_f32_e32 v12, v13, v12
	v_mul_f32_e32 v13, v10, v12
	s_delay_alu instid0(VALU_DEP_1) | instskip(NEXT) | instid1(VALU_DEP_1)
	v_fma_f32 v14, -v10, v13, v10
	v_fmac_f32_e32 v13, v14, v12
	s_delay_alu instid0(VALU_DEP_1) | instskip(NEXT) | instid1(VALU_DEP_1)
	v_fma_f32 v10, -v10, v13, v10
	v_div_fmas_f32 v10, v10, v12, v13
	s_delay_alu instid0(VALU_DEP_1)
	v_div_fixup_f32 v10, v10, v6, v6
; %bb.1769:
	s_or_b32 exec_lo, exec_lo, s0
	v_mov_b32_e32 v6, v9
.LBB233_1770:
	s_or_b32 exec_lo, exec_lo, s11
.LBB233_1771:
	s_delay_alu instid0(SALU_CYCLE_1) | instskip(SKIP_2) | instid1(VALU_DEP_1)
	s_or_b32 exec_lo, exec_lo, s10
	v_cmp_gt_i16_e32 vcc_lo, 11, v15
	v_add_co_u32 v13, s0, s6, v11
	v_add_co_ci_u32_e64 v14, null, s7, 0, s0
	s_mov_b32 s6, 0
	s_cbranch_vccnz .LBB233_1778
; %bb.1772:
	v_cmp_lt_i16_e32 vcc_lo, 25, v15
	s_mov_b32 s1, 0
	s_cbranch_vccz .LBB233_1779
; %bb.1773:
	v_cmp_lt_i16_e32 vcc_lo, 28, v15
	s_cbranch_vccz .LBB233_1780
; %bb.1774:
	v_cmp_lt_i16_e32 vcc_lo, 43, v15
	;; [unrolled: 3-line block ×3, first 2 shown]
	s_cbranch_vccz .LBB233_1784
; %bb.1776:
	v_cmp_eq_u16_e32 vcc_lo, 46, v15
	s_mov_b32 s7, 0
	s_cbranch_vccz .LBB233_1787
; %bb.1777:
	global_load_b32 v9, v[13:14], off
	s_mov_b32 s0, 0
	s_mov_b32 s6, -1
	s_waitcnt vmcnt(0)
	v_and_b32_e32 v12, 0xffff0000, v9
	v_lshlrev_b32_e32 v11, 16, v9
	s_branch .LBB233_1789
.LBB233_1778:
	s_mov_b32 s0, -1
                                        ; implicit-def: $vgpr12
	s_branch .LBB233_1858
.LBB233_1779:
	s_mov_b32 s7, -1
	s_mov_b32 s0, 0
                                        ; implicit-def: $vgpr12
	s_branch .LBB233_1822
.LBB233_1780:
	s_mov_b32 s7, -1
	s_mov_b32 s0, 0
                                        ; implicit-def: $vgpr12
	s_branch .LBB233_1801
.LBB233_1781:
	s_mov_b32 s7, -1
	s_mov_b32 s0, 0
                                        ; implicit-def: $vgpr12
	s_branch .LBB233_1795
.LBB233_1782:
	s_cbranch_execnz .LBB233_1785
; %bb.1783:
	s_or_b32 s2, s2, exec_lo
                                        ; implicit-def: $vgpr10
	s_cbranch_execz .LBB233_1738
	s_branch .LBB233_1739
.LBB233_1784:
	s_mov_b32 s7, -1
	s_mov_b32 s0, 0
	s_branch .LBB233_1788
.LBB233_1785:
	s_trap 2
	s_sendmsg_rtn_b32 s0, sendmsg(MSG_RTN_GET_DOORBELL)
	s_mov_b32 ttmp2, m0
	s_waitcnt lgkmcnt(0)
	s_and_b32 s0, s0, 0x3ff
	s_delay_alu instid0(SALU_CYCLE_1) | instskip(NEXT) | instid1(SALU_CYCLE_1)
	s_bitset1_b32 s0, 10
	s_mov_b32 m0, s0
	s_sendmsg sendmsg(MSG_INTERRUPT)
	s_mov_b32 m0, ttmp2
.LBB233_1786:                           ; =>This Inner Loop Header: Depth=1
	s_sethalt 5
	s_branch .LBB233_1786
.LBB233_1787:
	s_mov_b32 s0, -1
.LBB233_1788:
                                        ; implicit-def: $vgpr12
.LBB233_1789:
	s_and_b32 vcc_lo, exec_lo, s7
	s_cbranch_vccz .LBB233_1794
; %bb.1790:
	v_cmp_eq_u16_e32 vcc_lo, 44, v15
	s_cbranch_vccz .LBB233_1792
; %bb.1791:
	global_load_u8 v9, v[13:14], off
	s_mov_b32 s0, 0
	s_mov_b32 s6, -1
	s_waitcnt vmcnt(0)
	v_lshlrev_b32_e32 v11, 23, v9
	v_cmp_ne_u32_e32 vcc_lo, 0xff, v9
	s_delay_alu instid0(VALU_DEP_2) | instskip(SKIP_1) | instid1(VALU_DEP_2)
	v_cndmask_b32_e32 v11, 0x7f800001, v11, vcc_lo
	v_cmp_ne_u32_e32 vcc_lo, 0, v9
	v_cndmask_b32_e32 v11, 0x400000, v11, vcc_lo
	s_branch .LBB233_1793
.LBB233_1792:
	s_mov_b32 s0, -1
                                        ; implicit-def: $vgpr11
.LBB233_1793:
	s_delay_alu instid0(SALU_CYCLE_1)
	v_mov_b32_e32 v12, s0
.LBB233_1794:
	s_mov_b32 s7, 0
.LBB233_1795:
	s_delay_alu instid0(SALU_CYCLE_1)
	s_and_b32 vcc_lo, exec_lo, s7
	s_cbranch_vccz .LBB233_1800
; %bb.1796:
	v_cmp_eq_u16_e32 vcc_lo, 29, v15
	s_cbranch_vccz .LBB233_1798
; %bb.1797:
	global_load_b64 v[11:12], v[13:14], off
	s_mov_b32 s0, 0
	s_mov_b32 s6, -1
	s_mov_b32 s7, 0
	s_waitcnt vmcnt(0)
	v_clz_i32_u32_e32 v9, v12
	s_delay_alu instid0(VALU_DEP_1) | instskip(NEXT) | instid1(VALU_DEP_1)
	v_min_u32_e32 v9, 32, v9
	v_lshlrev_b64 v[11:12], v9, v[11:12]
	v_sub_nc_u32_e32 v9, 32, v9
	s_delay_alu instid0(VALU_DEP_2) | instskip(NEXT) | instid1(VALU_DEP_1)
	v_min_u32_e32 v11, 1, v11
	v_or_b32_e32 v11, v12, v11
	s_delay_alu instid0(VALU_DEP_1) | instskip(NEXT) | instid1(VALU_DEP_1)
	v_cvt_f32_u32_e32 v11, v11
	v_ldexp_f32 v11, v11, v9
	s_branch .LBB233_1799
.LBB233_1798:
	s_mov_b32 s0, -1
                                        ; implicit-def: $sgpr7
                                        ; implicit-def: $vgpr11
.LBB233_1799:
	v_mov_b32_e32 v12, s7
.LBB233_1800:
	s_mov_b32 s7, 0
.LBB233_1801:
	s_delay_alu instid0(SALU_CYCLE_1)
	s_and_b32 vcc_lo, exec_lo, s7
	s_cbranch_vccz .LBB233_1821
; %bb.1802:
	v_cmp_gt_i16_e32 vcc_lo, 27, v15
	s_cbranch_vccnz .LBB233_1805
; %bb.1803:
	v_cmp_lt_i16_e32 vcc_lo, 27, v15
	s_cbranch_vccz .LBB233_1806
; %bb.1804:
	global_load_b32 v9, v[13:14], off
	s_mov_b32 s7, 0
	s_mov_b32 s6, 0
	s_waitcnt vmcnt(0)
	v_cvt_f32_u32_e32 v11, v9
	s_branch .LBB233_1807
.LBB233_1805:
	s_mov_b32 s7, -1
                                        ; implicit-def: $sgpr6
                                        ; implicit-def: $vgpr11
	s_branch .LBB233_1810
.LBB233_1806:
	s_mov_b32 s7, -1
                                        ; implicit-def: $sgpr6
                                        ; implicit-def: $vgpr11
.LBB233_1807:
	s_delay_alu instid0(SALU_CYCLE_1)
	s_and_not1_b32 vcc_lo, exec_lo, s7
	s_cbranch_vccnz .LBB233_1809
; %bb.1808:
	global_load_u16 v9, v[13:14], off
	s_mov_b32 s6, 0
	s_waitcnt vmcnt(0)
	v_cvt_f32_u32_e32 v11, v9
.LBB233_1809:
	s_mov_b32 s7, 0
.LBB233_1810:
	v_mov_b32_e32 v12, s6
	s_and_not1_b32 vcc_lo, exec_lo, s7
	s_cbranch_vccnz .LBB233_1820
; %bb.1811:
	global_load_u8 v9, v[13:14], off
	s_mov_b32 s6, 0
	s_mov_b32 s11, exec_lo
                                        ; implicit-def: $sgpr10
                                        ; implicit-def: $sgpr7
	s_waitcnt vmcnt(0)
	v_cmpx_lt_i16_e32 0x7f, v9
	s_xor_b32 s11, exec_lo, s11
	s_cbranch_execz .LBB233_1815
; %bb.1812:
	s_mov_b32 s6, -1
	s_mov_b32 s12, exec_lo
                                        ; implicit-def: $sgpr10
                                        ; implicit-def: $sgpr7
	v_cmpx_eq_u16_e32 0x80, v9
; %bb.1813:
	s_mov_b32 s7, 0x7f800001
	s_mov_b32 s10, 0
	s_xor_b32 s6, exec_lo, -1
; %bb.1814:
	s_or_b32 exec_lo, exec_lo, s12
	s_delay_alu instid0(SALU_CYCLE_1)
	s_and_b32 s6, s6, exec_lo
.LBB233_1815:
	s_or_saveexec_b32 s11, s11
	v_dual_mov_b32 v12, s10 :: v_dual_mov_b32 v11, s7
	s_xor_b32 exec_lo, exec_lo, s11
; %bb.1816:
	v_mov_b32_e32 v12, 0
	v_cmp_ne_u16_e32 vcc_lo, 0, v9
	s_and_not1_b32 s6, s6, exec_lo
	s_delay_alu instid0(VALU_DEP_2) | instskip(SKIP_1) | instid1(SALU_CYCLE_1)
	v_mov_b32_e32 v11, v12
	s_and_b32 s7, vcc_lo, exec_lo
	s_or_b32 s6, s6, s7
; %bb.1817:
	s_or_b32 exec_lo, exec_lo, s11
	s_and_saveexec_b32 s7, s6
	s_cbranch_execz .LBB233_1819
; %bb.1818:
	v_and_b32_e32 v11, 0xffff, v9
	v_lshlrev_b32_e32 v9, 24, v9
	s_delay_alu instid0(VALU_DEP_2) | instskip(NEXT) | instid1(VALU_DEP_2)
	v_and_b32_e32 v12, 7, v11
	v_and_b32_e32 v9, 0x80000000, v9
	s_delay_alu instid0(VALU_DEP_2) | instskip(NEXT) | instid1(VALU_DEP_1)
	v_clz_i32_u32_e32 v16, v12
	v_min_u32_e32 v16, 32, v16
	s_delay_alu instid0(VALU_DEP_1) | instskip(SKIP_1) | instid1(VALU_DEP_2)
	v_subrev_nc_u32_e32 v17, 28, v16
	v_sub_nc_u32_e32 v16, 29, v16
	v_lshlrev_b32_e32 v17, v17, v11
	v_bfe_u32 v11, v11, 3, 4
	s_delay_alu instid0(VALU_DEP_2) | instskip(NEXT) | instid1(VALU_DEP_2)
	v_and_b32_e32 v17, 7, v17
	v_cmp_eq_u32_e32 vcc_lo, 0, v11
	s_delay_alu instid0(VALU_DEP_2) | instskip(NEXT) | instid1(VALU_DEP_1)
	v_dual_cndmask_b32 v11, v11, v16 :: v_dual_cndmask_b32 v12, v12, v17
	v_lshl_add_u32 v11, v11, 23, 0x3b800000
	s_delay_alu instid0(VALU_DEP_2) | instskip(NEXT) | instid1(VALU_DEP_1)
	v_lshlrev_b32_e32 v12, 20, v12
	v_or3_b32 v11, v9, v11, v12
	v_mov_b32_e32 v12, 0
.LBB233_1819:
	s_or_b32 exec_lo, exec_lo, s7
.LBB233_1820:
	s_mov_b32 s6, -1
.LBB233_1821:
	s_mov_b32 s7, 0
.LBB233_1822:
	s_delay_alu instid0(SALU_CYCLE_1)
	s_and_b32 vcc_lo, exec_lo, s7
	s_cbranch_vccz .LBB233_1854
; %bb.1823:
	v_cmp_lt_i16_e32 vcc_lo, 22, v15
	s_cbranch_vccz .LBB233_1835
; %bb.1824:
	v_cmp_gt_i16_e32 vcc_lo, 24, v15
	s_cbranch_vccnz .LBB233_1836
; %bb.1825:
	v_cmp_lt_i16_e32 vcc_lo, 24, v15
	s_cbranch_vccz .LBB233_1837
; %bb.1826:
	global_load_u8 v9, v[13:14], off
	s_mov_b32 s10, exec_lo
                                        ; implicit-def: $sgpr7
                                        ; implicit-def: $sgpr6
	s_waitcnt vmcnt(0)
	v_cmpx_lt_i16_e32 0x7f, v9
	s_xor_b32 s10, exec_lo, s10
	s_cbranch_execz .LBB233_1830
; %bb.1827:
	s_mov_b32 s1, -1
	s_mov_b32 s11, exec_lo
                                        ; implicit-def: $sgpr7
                                        ; implicit-def: $sgpr6
	v_cmpx_eq_u16_e32 0x80, v9
; %bb.1828:
	s_mov_b32 s6, 0x7f800001
	s_mov_b32 s7, 0
	s_xor_b32 s1, exec_lo, -1
; %bb.1829:
	s_or_b32 exec_lo, exec_lo, s11
	s_delay_alu instid0(SALU_CYCLE_1)
	s_and_b32 s1, s1, exec_lo
.LBB233_1830:
	s_or_saveexec_b32 s10, s10
	v_dual_mov_b32 v12, s7 :: v_dual_mov_b32 v11, s6
	s_xor_b32 exec_lo, exec_lo, s10
; %bb.1831:
	v_mov_b32_e32 v12, 0
	v_cmp_ne_u16_e32 vcc_lo, 0, v9
	s_and_not1_b32 s1, s1, exec_lo
	s_delay_alu instid0(VALU_DEP_2) | instskip(SKIP_1) | instid1(SALU_CYCLE_1)
	v_mov_b32_e32 v11, v12
	s_and_b32 s6, vcc_lo, exec_lo
	s_or_b32 s1, s1, s6
; %bb.1832:
	s_or_b32 exec_lo, exec_lo, s10
	s_and_saveexec_b32 s6, s1
	s_cbranch_execz .LBB233_1834
; %bb.1833:
	v_and_b32_e32 v11, 0xffff, v9
	v_lshlrev_b32_e32 v9, 24, v9
	s_delay_alu instid0(VALU_DEP_2) | instskip(NEXT) | instid1(VALU_DEP_2)
	v_and_b32_e32 v12, 3, v11
	v_and_b32_e32 v9, 0x80000000, v9
	s_delay_alu instid0(VALU_DEP_2) | instskip(NEXT) | instid1(VALU_DEP_1)
	v_clz_i32_u32_e32 v16, v12
	v_min_u32_e32 v16, 32, v16
	s_delay_alu instid0(VALU_DEP_1) | instskip(SKIP_1) | instid1(VALU_DEP_2)
	v_subrev_nc_u32_e32 v17, 29, v16
	v_sub_nc_u32_e32 v16, 30, v16
	v_lshlrev_b32_e32 v17, v17, v11
	v_bfe_u32 v11, v11, 2, 5
	s_delay_alu instid0(VALU_DEP_2) | instskip(NEXT) | instid1(VALU_DEP_2)
	v_and_b32_e32 v17, 3, v17
	v_cmp_eq_u32_e32 vcc_lo, 0, v11
	s_delay_alu instid0(VALU_DEP_2) | instskip(NEXT) | instid1(VALU_DEP_1)
	v_dual_cndmask_b32 v11, v11, v16 :: v_dual_cndmask_b32 v12, v12, v17
	v_lshl_add_u32 v11, v11, 23, 0x37800000
	s_delay_alu instid0(VALU_DEP_2) | instskip(NEXT) | instid1(VALU_DEP_1)
	v_lshlrev_b32_e32 v12, 21, v12
	v_or3_b32 v11, v9, v11, v12
	v_mov_b32_e32 v12, 0
.LBB233_1834:
	s_or_b32 exec_lo, exec_lo, s6
	s_mov_b32 s1, 0
	s_branch .LBB233_1838
.LBB233_1835:
	s_mov_b32 s1, -1
                                        ; implicit-def: $vgpr12
	s_branch .LBB233_1844
.LBB233_1836:
	s_mov_b32 s1, -1
                                        ; implicit-def: $vgpr12
	s_branch .LBB233_1841
.LBB233_1837:
	s_mov_b32 s1, -1
                                        ; implicit-def: $vgpr12
.LBB233_1838:
	s_delay_alu instid0(SALU_CYCLE_1)
	s_and_b32 vcc_lo, exec_lo, s1
	s_cbranch_vccz .LBB233_1840
; %bb.1839:
	global_load_u8 v9, v[13:14], off
	s_waitcnt vmcnt(0)
	v_lshlrev_b32_e32 v9, 24, v9
	s_delay_alu instid0(VALU_DEP_1) | instskip(NEXT) | instid1(VALU_DEP_1)
	v_and_b32_e32 v11, 0x7f000000, v9
	v_clz_i32_u32_e32 v12, v11
	v_cmp_ne_u32_e32 vcc_lo, 0, v11
	v_add_nc_u32_e32 v17, 0x1000000, v11
	s_delay_alu instid0(VALU_DEP_3) | instskip(NEXT) | instid1(VALU_DEP_1)
	v_min_u32_e32 v12, 32, v12
	v_sub_nc_u32_e64 v12, v12, 4 clamp
	s_delay_alu instid0(VALU_DEP_1) | instskip(SKIP_1) | instid1(VALU_DEP_2)
	v_lshlrev_b32_e32 v16, v12, v11
	v_lshlrev_b32_e32 v12, 23, v12
	v_lshrrev_b32_e32 v16, 4, v16
	s_delay_alu instid0(VALU_DEP_1) | instskip(SKIP_1) | instid1(VALU_DEP_2)
	v_sub_nc_u32_e32 v12, v16, v12
	v_ashrrev_i32_e32 v16, 8, v17
	v_add_nc_u32_e32 v12, 0x3c000000, v12
	s_delay_alu instid0(VALU_DEP_1) | instskip(NEXT) | instid1(VALU_DEP_1)
	v_and_or_b32 v12, 0x7f800000, v16, v12
	v_dual_cndmask_b32 v11, 0, v12 :: v_dual_mov_b32 v12, 0
	s_delay_alu instid0(VALU_DEP_1)
	v_and_or_b32 v11, 0x80000000, v9, v11
.LBB233_1840:
	s_mov_b32 s1, 0
.LBB233_1841:
	s_delay_alu instid0(SALU_CYCLE_1)
	s_and_not1_b32 vcc_lo, exec_lo, s1
	s_cbranch_vccnz .LBB233_1843
; %bb.1842:
	global_load_u8 v9, v[13:14], off
	s_waitcnt vmcnt(0)
	v_lshlrev_b32_e32 v11, 25, v9
	v_lshlrev_b16 v9, 8, v9
	s_delay_alu instid0(VALU_DEP_1) | instskip(SKIP_1) | instid1(VALU_DEP_2)
	v_and_or_b32 v16, 0x7f00, v9, 0.5
	v_bfe_i32 v9, v9, 0, 16
	v_add_f32_e32 v16, -0.5, v16
	v_lshrrev_b32_e32 v12, 4, v11
	v_cmp_gt_u32_e32 vcc_lo, 0x8000000, v11
	s_delay_alu instid0(VALU_DEP_2) | instskip(NEXT) | instid1(VALU_DEP_1)
	v_or_b32_e32 v12, 0x70000000, v12
	v_mul_f32_e32 v12, 0x7800000, v12
	s_delay_alu instid0(VALU_DEP_1) | instskip(NEXT) | instid1(VALU_DEP_1)
	v_dual_cndmask_b32 v11, v12, v16 :: v_dual_mov_b32 v12, 0
	v_and_or_b32 v11, 0x80000000, v9, v11
.LBB233_1843:
	s_mov_b32 s1, 0
	s_mov_b32 s6, -1
.LBB233_1844:
	s_and_not1_b32 vcc_lo, exec_lo, s1
	s_mov_b32 s1, 0
	s_cbranch_vccnz .LBB233_1854
; %bb.1845:
	v_cmp_lt_i16_e32 vcc_lo, 14, v15
	s_cbranch_vccz .LBB233_1848
; %bb.1846:
	v_cmp_eq_u16_e32 vcc_lo, 15, v15
	s_cbranch_vccz .LBB233_1849
; %bb.1847:
	global_load_u16 v9, v[13:14], off
	s_mov_b32 s0, 0
	s_mov_b32 s6, -1
	s_mov_b32 s7, 0
	s_waitcnt vmcnt(0)
	v_lshlrev_b32_e32 v11, 16, v9
	s_branch .LBB233_1851
.LBB233_1848:
	s_mov_b32 s1, -1
	s_branch .LBB233_1850
.LBB233_1849:
	s_mov_b32 s0, -1
.LBB233_1850:
                                        ; implicit-def: $sgpr7
                                        ; implicit-def: $vgpr11
.LBB233_1851:
	s_and_b32 vcc_lo, exec_lo, s1
	s_mov_b32 s1, 0
	s_cbranch_vccz .LBB233_1853
; %bb.1852:
	v_cmp_ne_u16_e64 s0, 11, v15
	s_mov_b32 s1, -1
                                        ; implicit-def: $sgpr7
                                        ; implicit-def: $vgpr11
.LBB233_1853:
	v_mov_b32_e32 v12, s7
.LBB233_1854:
	s_delay_alu instid0(VALU_DEP_2)
	s_and_b32 vcc_lo, exec_lo, s0
	s_cbranch_vccnz .LBB233_2416
; %bb.1855:
	s_and_not1_b32 vcc_lo, exec_lo, s1
	s_cbranch_vccnz .LBB233_1857
.LBB233_1856:
	global_load_u8 v9, v[13:14], off
	v_mov_b32_e32 v12, 0
	s_mov_b32 s6, -1
	s_waitcnt vmcnt(0)
	v_cmp_ne_u16_e32 vcc_lo, 0, v9
	v_cndmask_b32_e64 v11, 0, 1.0, vcc_lo
.LBB233_1857:
	s_mov_b32 s0, 0
.LBB233_1858:
	s_delay_alu instid0(SALU_CYCLE_1)
	s_and_b32 vcc_lo, exec_lo, s0
	s_cbranch_vccz .LBB233_1909
; %bb.1859:
	v_cmp_gt_i16_e32 vcc_lo, 5, v15
	s_cbranch_vccnz .LBB233_1864
; %bb.1860:
	v_cmp_gt_i16_e32 vcc_lo, 8, v15
	s_cbranch_vccnz .LBB233_1865
	;; [unrolled: 3-line block ×3, first 2 shown]
; %bb.1862:
	v_cmp_lt_i16_e32 vcc_lo, 9, v15
	s_cbranch_vccz .LBB233_1867
; %bb.1863:
	global_load_b128 v[16:19], v[13:14], off
	s_mov_b32 s0, 0
	s_waitcnt vmcnt(0)
	v_cvt_f32_f64_e32 v11, v[16:17]
	v_cvt_f32_f64_e32 v12, v[18:19]
	s_branch .LBB233_1868
.LBB233_1864:
	s_mov_b32 s0, -1
                                        ; implicit-def: $vgpr12
	s_branch .LBB233_1887
.LBB233_1865:
	s_mov_b32 s0, -1
                                        ; implicit-def: $vgpr12
	s_branch .LBB233_1874
.LBB233_1866:
	s_mov_b32 s0, -1
                                        ; implicit-def: $vgpr12
	s_branch .LBB233_1871
.LBB233_1867:
	s_mov_b32 s0, -1
                                        ; implicit-def: $vgpr12
.LBB233_1868:
	s_delay_alu instid0(SALU_CYCLE_1)
	s_and_not1_b32 vcc_lo, exec_lo, s0
	s_cbranch_vccnz .LBB233_1870
; %bb.1869:
	global_load_b64 v[11:12], v[13:14], off
.LBB233_1870:
	s_mov_b32 s0, 0
.LBB233_1871:
	s_delay_alu instid0(SALU_CYCLE_1)
	s_and_not1_b32 vcc_lo, exec_lo, s0
	s_cbranch_vccnz .LBB233_1873
; %bb.1872:
	global_load_b32 v9, v[13:14], off
	s_waitcnt vmcnt(0)
	v_lshrrev_b32_e32 v12, 16, v9
	v_cvt_f32_f16_e32 v11, v9
	s_delay_alu instid0(VALU_DEP_2)
	v_cvt_f32_f16_e32 v12, v12
.LBB233_1873:
	s_mov_b32 s0, 0
.LBB233_1874:
	s_delay_alu instid0(SALU_CYCLE_1)
	s_and_not1_b32 vcc_lo, exec_lo, s0
	s_cbranch_vccnz .LBB233_1886
; %bb.1875:
	v_cmp_gt_i16_e32 vcc_lo, 6, v15
	s_cbranch_vccnz .LBB233_1878
; %bb.1876:
	v_cmp_lt_i16_e32 vcc_lo, 6, v15
	s_cbranch_vccz .LBB233_1879
; %bb.1877:
	global_load_b64 v[11:12], v[13:14], off
	s_mov_b32 s1, 0
	s_mov_b32 s0, 0
	s_waitcnt vmcnt(0)
	v_cvt_f32_f64_e32 v11, v[11:12]
	s_branch .LBB233_1880
.LBB233_1878:
	s_mov_b32 s1, -1
                                        ; implicit-def: $sgpr0
                                        ; implicit-def: $vgpr11
	s_branch .LBB233_1883
.LBB233_1879:
	s_mov_b32 s1, -1
                                        ; implicit-def: $sgpr0
                                        ; implicit-def: $vgpr11
.LBB233_1880:
	s_delay_alu instid0(SALU_CYCLE_1)
	s_and_not1_b32 vcc_lo, exec_lo, s1
	s_cbranch_vccnz .LBB233_1882
; %bb.1881:
	global_load_b32 v11, v[13:14], off
	s_mov_b32 s0, 0
.LBB233_1882:
	s_mov_b32 s1, 0
.LBB233_1883:
	s_delay_alu instid0(SALU_CYCLE_1)
	s_and_not1_b32 vcc_lo, exec_lo, s1
	s_cbranch_vccnz .LBB233_1885
; %bb.1884:
	global_load_u16 v9, v[13:14], off
	s_mov_b32 s0, 0
	s_waitcnt vmcnt(0)
	v_cvt_f32_f16_e32 v11, v9
.LBB233_1885:
	s_waitcnt vmcnt(0)
	v_mov_b32_e32 v12, s0
.LBB233_1886:
	s_mov_b32 s0, 0
.LBB233_1887:
	s_delay_alu instid0(SALU_CYCLE_1)
	s_and_not1_b32 vcc_lo, exec_lo, s0
	s_cbranch_vccnz .LBB233_1908
; %bb.1888:
	v_cmp_gt_i16_e32 vcc_lo, 2, v15
	s_cbranch_vccnz .LBB233_1892
; %bb.1889:
	v_cmp_gt_i16_e32 vcc_lo, 3, v15
	s_cbranch_vccnz .LBB233_1893
; %bb.1890:
	v_cmp_lt_i16_e32 vcc_lo, 3, v15
	s_cbranch_vccz .LBB233_1894
; %bb.1891:
	global_load_b64 v[11:12], v[13:14], off
	s_mov_b32 s1, 0
	s_mov_b32 s0, 0
	s_waitcnt vmcnt(0)
	v_xor_b32_e32 v9, v11, v12
	v_cls_i32_e32 v16, v12
	s_delay_alu instid0(VALU_DEP_2) | instskip(NEXT) | instid1(VALU_DEP_2)
	v_ashrrev_i32_e32 v9, 31, v9
	v_add_nc_u32_e32 v16, -1, v16
	s_delay_alu instid0(VALU_DEP_2) | instskip(NEXT) | instid1(VALU_DEP_1)
	v_add_nc_u32_e32 v9, 32, v9
	v_min_u32_e32 v9, v16, v9
	s_delay_alu instid0(VALU_DEP_1) | instskip(SKIP_1) | instid1(VALU_DEP_2)
	v_lshlrev_b64 v[11:12], v9, v[11:12]
	v_sub_nc_u32_e32 v9, 32, v9
	v_min_u32_e32 v11, 1, v11
	s_delay_alu instid0(VALU_DEP_1) | instskip(NEXT) | instid1(VALU_DEP_1)
	v_or_b32_e32 v11, v12, v11
	v_cvt_f32_i32_e32 v11, v11
	s_delay_alu instid0(VALU_DEP_1)
	v_ldexp_f32 v11, v11, v9
	s_branch .LBB233_1895
.LBB233_1892:
	s_mov_b32 s1, -1
                                        ; implicit-def: $sgpr0
                                        ; implicit-def: $vgpr11
	s_branch .LBB233_1901
.LBB233_1893:
	s_mov_b32 s1, -1
                                        ; implicit-def: $sgpr0
                                        ; implicit-def: $vgpr11
	s_branch .LBB233_1898
.LBB233_1894:
	s_mov_b32 s1, -1
                                        ; implicit-def: $sgpr0
                                        ; implicit-def: $vgpr11
.LBB233_1895:
	s_delay_alu instid0(SALU_CYCLE_1)
	s_and_not1_b32 vcc_lo, exec_lo, s1
	s_cbranch_vccnz .LBB233_1897
; %bb.1896:
	global_load_b32 v9, v[13:14], off
	s_mov_b32 s0, 0
	s_waitcnt vmcnt(0)
	v_cvt_f32_i32_e32 v11, v9
.LBB233_1897:
	s_mov_b32 s1, 0
.LBB233_1898:
	s_delay_alu instid0(SALU_CYCLE_1)
	s_and_not1_b32 vcc_lo, exec_lo, s1
	s_cbranch_vccnz .LBB233_1900
; %bb.1899:
	global_load_i16 v9, v[13:14], off
	s_mov_b32 s0, 0
	s_waitcnt vmcnt(0)
	v_cvt_f32_i32_e32 v11, v9
.LBB233_1900:
	s_mov_b32 s1, 0
.LBB233_1901:
	s_delay_alu instid0(SALU_CYCLE_1)
	s_and_not1_b32 vcc_lo, exec_lo, s1
	s_cbranch_vccnz .LBB233_1907
; %bb.1902:
	v_cmp_lt_i16_e32 vcc_lo, 0, v15
	s_mov_b32 s1, 0
	s_cbranch_vccz .LBB233_1904
; %bb.1903:
	global_load_i8 v9, v[13:14], off
	s_mov_b32 s0, 0
	s_waitcnt vmcnt(0)
	v_cvt_f32_i32_e32 v11, v9
	s_branch .LBB233_1905
.LBB233_1904:
	s_mov_b32 s1, -1
                                        ; implicit-def: $sgpr0
                                        ; implicit-def: $vgpr11
.LBB233_1905:
	s_delay_alu instid0(SALU_CYCLE_1)
	s_and_not1_b32 vcc_lo, exec_lo, s1
	s_cbranch_vccnz .LBB233_1907
; %bb.1906:
	global_load_u8 v9, v[13:14], off
	s_mov_b32 s0, 0
	s_waitcnt vmcnt(0)
	v_cvt_f32_ubyte0_e32 v11, v9
.LBB233_1907:
	s_waitcnt vmcnt(0)
	v_mov_b32_e32 v12, s0
.LBB233_1908:
	s_mov_b32 s6, -1
.LBB233_1909:
	s_delay_alu instid0(SALU_CYCLE_1)
	s_and_not1_b32 vcc_lo, exec_lo, s6
	s_cbranch_vccnz .LBB233_1922
; %bb.1910:
	s_waitcnt vmcnt(0)
	s_delay_alu instid0(VALU_DEP_1) | instskip(NEXT) | instid1(VALU_DEP_2)
	v_cmp_neq_f32_e32 vcc_lo, 0, v11
	v_cmp_neq_f32_e64 s0, 0, v12
	v_mov_b32_e32 v13, 0
	s_delay_alu instid0(VALU_DEP_2) | instskip(NEXT) | instid1(SALU_CYCLE_1)
	s_or_b32 s0, vcc_lo, s0
	s_and_saveexec_b32 s6, s0
	s_cbranch_execz .LBB233_1985
; %bb.1911:
	v_mov_b32_e32 v13, 0x7f800000
	s_mov_b32 s7, exec_lo
	v_cmpx_neq_f32_e64 0x7f800000, |v12|
	s_cbranch_execz .LBB233_1984
; %bb.1912:
	s_mov_b32 s0, exec_lo
	v_cmpx_o_f32_e32 v11, v11
	s_xor_b32 s10, exec_lo, s0
	s_cbranch_execz .LBB233_1981
; %bb.1913:
	s_mov_b32 s1, exec_lo
	v_cmpx_neq_f32_e64 0x7f800000, |v11|
	s_xor_b32 s11, exec_lo, s1
	s_cbranch_execz .LBB233_1974
; %bb.1914:
	v_max_f32_e64 v9, |v12|, |v12|
	v_max_f32_e64 v13, |v11|, |v11|
                                        ; implicit-def: $sgpr12
	s_delay_alu instid0(VALU_DEP_1) | instskip(NEXT) | instid1(VALU_DEP_1)
	v_max_f32_e32 v9, v13, v9
	v_cmp_nle_f32_e64 s0, 0x7ed413cb, v9
	s_delay_alu instid0(VALU_DEP_1) | instskip(NEXT) | instid1(SALU_CYCLE_1)
	s_and_saveexec_b32 s1, s0
	s_xor_b32 s1, exec_lo, s1
	s_cbranch_execz .LBB233_1918
; %bb.1915:
	v_cmp_ge_f32_e64 s12, 0x1000000, |v11|
	v_cmp_ge_f32_e64 s13, 0x1000000, |v12|
	s_delay_alu instid0(VALU_DEP_1)
	s_and_b32 s14, s12, s13
	s_mov_b32 s12, 0
	s_and_saveexec_b32 s13, s14
; %bb.1916:
	v_dual_mul_f32 v11, 4.0, v11 :: v_dual_mul_f32 v12, 4.0, v12
	s_mov_b32 s12, exec_lo
; %bb.1917:
	s_or_b32 exec_lo, exec_lo, s13
	s_delay_alu instid0(SALU_CYCLE_1)
	s_and_b32 s12, s12, exec_lo
.LBB233_1918:
	s_and_not1_saveexec_b32 s1, s1
; %bb.1919:
	v_dual_mul_f32 v11, 0x3e800000, v11 :: v_dual_mul_f32 v12, 0x3e800000, v12
	s_and_not1_b32 s12, s12, exec_lo
; %bb.1920:
	s_or_b32 exec_lo, exec_lo, s1
	s_delay_alu instid0(VALU_DEP_1) | instskip(NEXT) | instid1(VALU_DEP_2)
	v_max_f32_e64 v9, |v12|, |v12|
	v_max_f32_e64 v13, |v11|, |v11|
	s_delay_alu instid0(VALU_DEP_1) | instskip(NEXT) | instid1(VALU_DEP_1)
	v_max_f32_e32 v9, v13, v9
	v_cvt_f64_f32_e32 v[13:14], v9
	v_cmp_neq_f32_e64 s1, 0x7f800000, v9
                                        ; implicit-def: $vgpr9
	s_delay_alu instid0(VALU_DEP_2) | instskip(NEXT) | instid1(VALU_DEP_1)
	v_frexp_exp_i32_f64_e32 v13, v[13:14]
	v_sub_nc_u32_e32 v14, 0, v13
	s_delay_alu instid0(VALU_DEP_1) | instskip(SKIP_1) | instid1(VALU_DEP_2)
	v_ldexp_f32 v15, |v12|, v14
	v_ldexp_f32 v14, |v11|, v14
	v_mul_f32_e32 v15, v15, v15
	s_delay_alu instid0(VALU_DEP_1) | instskip(NEXT) | instid1(VALU_DEP_1)
	v_fmac_f32_e32 v15, v14, v14
	v_sqrt_f32_e32 v14, v15
	s_waitcnt_depctr 0xfff
	v_ldexp_f32 v13, v14, v13
	s_delay_alu instid0(VALU_DEP_1)
	v_cndmask_b32_e64 v14, 0x7f800000, v13, s1
                                        ; implicit-def: $vgpr13
	s_mov_b32 s1, exec_lo
	v_cmpx_le_f32_e32 0, v11
	s_xor_b32 s13, exec_lo, s1
	s_cbranch_execz .LBB233_1967
; %bb.1921:
	v_add_f32_e32 v9, v11, v14
	s_delay_alu instid0(VALU_DEP_1) | instskip(NEXT) | instid1(VALU_DEP_1)
	v_mul_f32_e32 v9, 0.5, v9
	v_mul_f32_e32 v11, 0x4f800000, v9
	v_cmp_gt_f32_e32 vcc_lo, 0xf800000, v9
	s_delay_alu instid0(VALU_DEP_2) | instskip(NEXT) | instid1(VALU_DEP_1)
	v_cndmask_b32_e32 v9, v9, v11, vcc_lo
	v_sqrt_f32_e32 v11, v9
	s_waitcnt_depctr 0xfff
	v_add_nc_u32_e32 v13, -1, v11
	v_add_nc_u32_e32 v14, 1, v11
	s_delay_alu instid0(VALU_DEP_2) | instskip(NEXT) | instid1(VALU_DEP_2)
	v_fma_f32 v15, -v13, v11, v9
	v_fma_f32 v16, -v14, v11, v9
	s_delay_alu instid0(VALU_DEP_2) | instskip(NEXT) | instid1(VALU_DEP_1)
	v_cmp_ge_f32_e64 s1, 0, v15
	v_cndmask_b32_e64 v11, v11, v13, s1
	s_delay_alu instid0(VALU_DEP_3) | instskip(NEXT) | instid1(VALU_DEP_1)
	v_cmp_lt_f32_e64 s1, 0, v16
	v_cndmask_b32_e64 v11, v11, v14, s1
	s_delay_alu instid0(VALU_DEP_1) | instskip(NEXT) | instid1(VALU_DEP_1)
	v_mul_f32_e32 v13, 0x37800000, v11
	v_cndmask_b32_e32 v11, v11, v13, vcc_lo
	v_cmp_class_f32_e64 vcc_lo, v9, 0x260
	s_delay_alu instid0(VALU_DEP_2) | instskip(NEXT) | instid1(VALU_DEP_1)
	v_cndmask_b32_e32 v9, v11, v9, vcc_lo
	v_add_f32_e32 v11, v9, v9
	s_delay_alu instid0(VALU_DEP_1) | instskip(NEXT) | instid1(VALU_DEP_1)
	v_div_scale_f32 v13, null, v11, v11, v12
	v_rcp_f32_e32 v14, v13
	s_waitcnt_depctr 0xfff
	v_fma_f32 v15, -v13, v14, 1.0
	s_delay_alu instid0(VALU_DEP_1) | instskip(SKIP_1) | instid1(VALU_DEP_1)
	v_fmac_f32_e32 v14, v15, v14
	v_div_scale_f32 v15, vcc_lo, v12, v11, v12
	v_mul_f32_e32 v16, v15, v14
	s_delay_alu instid0(VALU_DEP_1) | instskip(NEXT) | instid1(VALU_DEP_1)
	v_fma_f32 v17, -v13, v16, v15
	v_fmac_f32_e32 v16, v17, v14
	s_delay_alu instid0(VALU_DEP_1) | instskip(NEXT) | instid1(VALU_DEP_1)
	v_fma_f32 v13, -v13, v16, v15
	v_div_fmas_f32 v13, v13, v14, v16
                                        ; implicit-def: $vgpr14
	s_delay_alu instid0(VALU_DEP_1)
	v_div_fixup_f32 v13, v13, v11, v12
                                        ; implicit-def: $vgpr11
	s_and_not1_saveexec_b32 s13, s13
	s_cbranch_execz .LBB233_1969
	s_branch .LBB233_1968
.LBB233_1922:
	s_mov_b32 s0, 0
	s_mov_b32 s1, 0
                                        ; implicit-def: $vgpr0_vgpr1
                                        ; implicit-def: $vgpr11
                                        ; implicit-def: $vgpr12
                                        ; implicit-def: $vgpr13
.LBB233_1923:
	s_and_b32 s3, s0, exec_lo
	s_and_not1_b32 s0, s8, exec_lo
	s_and_b32 s2, s2, exec_lo
	s_and_b32 s26, s1, exec_lo
	s_or_b32 s8, s0, s2
.LBB233_1924:
	s_or_b32 exec_lo, exec_lo, s9
	s_and_saveexec_b32 s0, s8
	s_cbranch_execz .LBB233_1927
; %bb.1925:
	; divergent unreachable
	s_or_b32 exec_lo, exec_lo, s0
	s_and_saveexec_b32 s0, s26
	s_delay_alu instid0(SALU_CYCLE_1)
	s_xor_b32 s1, exec_lo, s0
	s_cbranch_execnz .LBB233_1928
.LBB233_1926:
	s_or_b32 exec_lo, exec_lo, s1
	s_and_saveexec_b32 s0, s3
	s_cbranch_execnz .LBB233_1929
	s_branch .LBB233_1966
.LBB233_1927:
	s_or_b32 exec_lo, exec_lo, s0
	s_and_saveexec_b32 s0, s26
	s_delay_alu instid0(SALU_CYCLE_1)
	s_xor_b32 s1, exec_lo, s0
	s_cbranch_execz .LBB233_1926
.LBB233_1928:
	v_cmp_neq_f32_e32 vcc_lo, 0, v13
	s_waitcnt vmcnt(0)
	s_delay_alu instid0(VALU_DEP_2) | instskip(NEXT) | instid1(VALU_DEP_1)
	v_cmp_neq_f32_e64 s0, 0, v12
	s_or_b32 s0, vcc_lo, s0
	s_delay_alu instid0(SALU_CYCLE_1)
	v_cndmask_b32_e64 v2, 0, 1, s0
	global_store_b8 v[0:1], v2, off
	s_or_b32 exec_lo, exec_lo, s1
	s_and_saveexec_b32 s0, s3
	s_cbranch_execz .LBB233_1966
.LBB233_1929:
	s_waitcnt vmcnt(0)
	s_delay_alu instid0(VALU_DEP_1)
	v_cmp_gt_i16_e32 vcc_lo, 5, v11
	s_mov_b32 s0, -1
	s_cbranch_vccnz .LBB233_1950
; %bb.1930:
	v_cmp_gt_i16_e32 vcc_lo, 8, v11
	s_cbranch_vccnz .LBB233_1940
; %bb.1931:
	v_cmp_gt_i16_e32 vcc_lo, 9, v11
	s_cbranch_vccnz .LBB233_1937
; %bb.1932:
	v_cmp_lt_i16_e32 vcc_lo, 9, v11
	s_cbranch_vccz .LBB233_1934
; %bb.1933:
	v_cvt_f64_f32_e32 v[2:3], v13
	v_cvt_f64_f32_e32 v[4:5], v12
	s_mov_b32 s0, 0
	global_store_b128 v[0:1], v[2:5], off
.LBB233_1934:
	s_and_not1_b32 vcc_lo, exec_lo, s0
	s_cbranch_vccnz .LBB233_1936
; %bb.1935:
	v_mov_b32_e32 v14, v12
	global_store_b64 v[0:1], v[13:14], off
.LBB233_1936:
	s_mov_b32 s0, 0
.LBB233_1937:
	s_delay_alu instid0(SALU_CYCLE_1)
	s_and_not1_b32 vcc_lo, exec_lo, s0
	s_cbranch_vccnz .LBB233_1939
; %bb.1938:
	v_cvt_f16_f32_e32 v2, v12
	v_cvt_f16_f32_e32 v3, v13
	s_delay_alu instid0(VALU_DEP_2) | instskip(NEXT) | instid1(VALU_DEP_2)
	v_lshlrev_b32_e32 v2, 16, v2
	v_and_b32_e32 v3, 0xffff, v3
	s_delay_alu instid0(VALU_DEP_1)
	v_or_b32_e32 v2, v2, v3
	global_store_b32 v[0:1], v2, off
.LBB233_1939:
	s_mov_b32 s0, 0
.LBB233_1940:
	s_delay_alu instid0(SALU_CYCLE_1)
	s_and_not1_b32 vcc_lo, exec_lo, s0
	s_cbranch_vccnz .LBB233_1949
; %bb.1941:
	v_cmp_gt_i16_e32 vcc_lo, 6, v11
	s_mov_b32 s0, -1
	s_cbranch_vccnz .LBB233_1947
; %bb.1942:
	v_cmp_lt_i16_e32 vcc_lo, 6, v11
	s_cbranch_vccz .LBB233_1944
; %bb.1943:
	v_cvt_f64_f32_e32 v[2:3], v13
	s_mov_b32 s0, 0
	global_store_b64 v[0:1], v[2:3], off
.LBB233_1944:
	s_and_not1_b32 vcc_lo, exec_lo, s0
	s_cbranch_vccnz .LBB233_1946
; %bb.1945:
	global_store_b32 v[0:1], v13, off
.LBB233_1946:
	s_mov_b32 s0, 0
.LBB233_1947:
	s_delay_alu instid0(SALU_CYCLE_1)
	s_and_not1_b32 vcc_lo, exec_lo, s0
	s_cbranch_vccnz .LBB233_1949
; %bb.1948:
	v_cvt_f16_f32_e32 v2, v13
	global_store_b16 v[0:1], v2, off
.LBB233_1949:
	s_mov_b32 s0, 0
.LBB233_1950:
	s_delay_alu instid0(SALU_CYCLE_1)
	s_and_not1_b32 vcc_lo, exec_lo, s0
	s_cbranch_vccnz .LBB233_1966
; %bb.1951:
	v_cmp_gt_i16_e32 vcc_lo, 2, v11
	s_mov_b32 s0, -1
	s_cbranch_vccnz .LBB233_1961
; %bb.1952:
	v_cmp_gt_i16_e32 vcc_lo, 3, v11
	s_cbranch_vccnz .LBB233_1958
; %bb.1953:
	v_cmp_lt_i16_e32 vcc_lo, 3, v11
	s_cbranch_vccz .LBB233_1955
; %bb.1954:
	v_trunc_f32_e32 v2, v13
	s_mov_b32 s0, 0
	s_delay_alu instid0(VALU_DEP_1) | instskip(SKIP_1) | instid1(VALU_DEP_2)
	v_mul_f32_e64 v3, 0x2f800000, |v2|
	v_ashrrev_i32_e32 v5, 31, v2
	v_floor_f32_e32 v3, v3
	s_delay_alu instid0(VALU_DEP_1) | instskip(SKIP_1) | instid1(VALU_DEP_2)
	v_fma_f32 v4, 0xcf800000, v3, |v2|
	v_cvt_u32_f32_e32 v3, v3
	v_cvt_u32_f32_e32 v2, v4
	s_delay_alu instid0(VALU_DEP_2) | instskip(NEXT) | instid1(VALU_DEP_2)
	v_xor_b32_e32 v3, v3, v5
	v_xor_b32_e32 v2, v2, v5
	s_delay_alu instid0(VALU_DEP_1) | instskip(NEXT) | instid1(VALU_DEP_3)
	v_sub_co_u32 v2, vcc_lo, v2, v5
	v_sub_co_ci_u32_e32 v3, vcc_lo, v3, v5, vcc_lo
	global_store_b64 v[0:1], v[2:3], off
.LBB233_1955:
	s_and_not1_b32 vcc_lo, exec_lo, s0
	s_cbranch_vccnz .LBB233_1957
; %bb.1956:
	v_cvt_i32_f32_e32 v2, v13
	global_store_b32 v[0:1], v2, off
.LBB233_1957:
	s_mov_b32 s0, 0
.LBB233_1958:
	s_delay_alu instid0(SALU_CYCLE_1)
	s_and_not1_b32 vcc_lo, exec_lo, s0
	s_cbranch_vccnz .LBB233_1960
; %bb.1959:
	v_cvt_i32_f32_e32 v2, v13
	global_store_b16 v[0:1], v2, off
.LBB233_1960:
	s_mov_b32 s0, 0
.LBB233_1961:
	s_delay_alu instid0(SALU_CYCLE_1)
	s_and_not1_b32 vcc_lo, exec_lo, s0
	s_cbranch_vccnz .LBB233_1966
; %bb.1962:
	v_cmp_lt_i16_e32 vcc_lo, 0, v11
	s_mov_b32 s0, -1
	s_cbranch_vccz .LBB233_1964
; %bb.1963:
	v_cvt_i32_f32_e32 v2, v13
	s_mov_b32 s0, 0
	global_store_b8 v[0:1], v2, off
.LBB233_1964:
	s_and_not1_b32 vcc_lo, exec_lo, s0
	s_cbranch_vccnz .LBB233_1966
; %bb.1965:
	v_trunc_f32_e32 v2, v13
	s_delay_alu instid0(VALU_DEP_1) | instskip(NEXT) | instid1(VALU_DEP_1)
	v_mul_f32_e64 v3, 0x2f800000, |v2|
	v_floor_f32_e32 v3, v3
	s_delay_alu instid0(VALU_DEP_1) | instskip(SKIP_1) | instid1(VALU_DEP_2)
	v_fma_f32 v3, 0xcf800000, v3, |v2|
	v_ashrrev_i32_e32 v2, 31, v2
	v_cvt_u32_f32_e32 v3, v3
	s_delay_alu instid0(VALU_DEP_1) | instskip(NEXT) | instid1(VALU_DEP_1)
	v_xor_b32_e32 v3, v3, v2
	v_sub_nc_u32_e32 v2, v3, v2
	global_store_b8 v[0:1], v2, off
	s_nop 0
	s_sendmsg sendmsg(MSG_DEALLOC_VGPRS)
	s_endpgm
.LBB233_1966:
	s_nop 0
	s_sendmsg sendmsg(MSG_DEALLOC_VGPRS)
	s_endpgm
.LBB233_1967:
	s_and_not1_saveexec_b32 s13, s13
	s_cbranch_execz .LBB233_1969
.LBB233_1968:
	v_sub_f32_e32 v9, v14, v11
	s_delay_alu instid0(VALU_DEP_1) | instskip(NEXT) | instid1(VALU_DEP_1)
	v_mul_f32_e32 v9, 0.5, v9
	v_mul_f32_e32 v11, 0x4f800000, v9
	v_cmp_gt_f32_e32 vcc_lo, 0xf800000, v9
	s_delay_alu instid0(VALU_DEP_2) | instskip(NEXT) | instid1(VALU_DEP_1)
	v_cndmask_b32_e32 v9, v9, v11, vcc_lo
	v_sqrt_f32_e32 v11, v9
	s_waitcnt_depctr 0xfff
	v_add_nc_u32_e32 v13, -1, v11
	v_add_nc_u32_e32 v14, 1, v11
	s_delay_alu instid0(VALU_DEP_2) | instskip(NEXT) | instid1(VALU_DEP_2)
	v_fma_f32 v15, -v13, v11, v9
	v_fma_f32 v16, -v14, v11, v9
	s_delay_alu instid0(VALU_DEP_2) | instskip(NEXT) | instid1(VALU_DEP_1)
	v_cmp_ge_f32_e64 s1, 0, v15
	v_cndmask_b32_e64 v11, v11, v13, s1
	s_delay_alu instid0(VALU_DEP_3) | instskip(NEXT) | instid1(VALU_DEP_1)
	v_cmp_lt_f32_e64 s1, 0, v16
	v_cndmask_b32_e64 v11, v11, v14, s1
	s_delay_alu instid0(VALU_DEP_1) | instskip(NEXT) | instid1(VALU_DEP_1)
	v_mul_f32_e32 v13, 0x37800000, v11
	v_cndmask_b32_e32 v11, v11, v13, vcc_lo
	v_cmp_class_f32_e64 vcc_lo, v9, 0x260
	s_delay_alu instid0(VALU_DEP_2) | instskip(SKIP_1) | instid1(VALU_DEP_2)
	v_cndmask_b32_e32 v11, v11, v9, vcc_lo
	v_and_b32_e32 v9, 0x7fffffff, v12
	v_add_f32_e32 v13, v11, v11
	s_delay_alu instid0(VALU_DEP_1) | instskip(SKIP_1) | instid1(VALU_DEP_2)
	v_div_scale_f32 v14, null, v13, v13, v9
	v_div_scale_f32 v9, vcc_lo, v9, v13, v9
	v_rcp_f32_e32 v15, v14
	s_waitcnt_depctr 0xfff
	v_fma_f32 v16, -v14, v15, 1.0
	s_delay_alu instid0(VALU_DEP_1) | instskip(NEXT) | instid1(VALU_DEP_1)
	v_fmac_f32_e32 v15, v16, v15
	v_mul_f32_e32 v16, v9, v15
	s_delay_alu instid0(VALU_DEP_1) | instskip(NEXT) | instid1(VALU_DEP_1)
	v_fma_f32 v17, -v14, v16, v9
	v_fmac_f32_e32 v16, v17, v15
	s_delay_alu instid0(VALU_DEP_1) | instskip(NEXT) | instid1(VALU_DEP_1)
	v_fma_f32 v9, -v14, v16, v9
	v_div_fmas_f32 v9, v9, v15, v16
	s_delay_alu instid0(VALU_DEP_1)
	v_div_fixup_f32 v9, v9, v13, |v12|
	v_bfi_b32 v13, 0x7fffffff, v11, v12
.LBB233_1969:
	s_or_b32 exec_lo, exec_lo, s13
                                        ; implicit-def: $vgpr12
	s_and_saveexec_b32 s1, s0
	s_delay_alu instid0(SALU_CYCLE_1)
	s_xor_b32 s0, exec_lo, s1
	s_cbranch_execz .LBB233_1971
; %bb.1970:
	v_mul_f32_e32 v11, 0.5, v9
	v_mul_f32_e32 v12, 0.5, v13
	s_delay_alu instid0(VALU_DEP_2) | instskip(NEXT) | instid1(VALU_DEP_2)
	v_cndmask_b32_e64 v11, v9, v11, s12
	v_cndmask_b32_e64 v12, v13, v12, s12
                                        ; implicit-def: $vgpr9
                                        ; implicit-def: $vgpr13
	s_and_not1_saveexec_b32 s0, s0
	s_cbranch_execnz .LBB233_1972
	s_branch .LBB233_1973
.LBB233_1971:
	s_and_not1_saveexec_b32 s0, s0
.LBB233_1972:
	v_add_f32_e32 v11, v9, v9
	v_add_f32_e32 v12, v13, v13
.LBB233_1973:
	s_or_b32 exec_lo, exec_lo, s0
.LBB233_1974:
	s_and_not1_saveexec_b32 s0, s11
	s_cbranch_execz .LBB233_1980
; %bb.1975:
	s_delay_alu instid0(VALU_DEP_1)
	v_sub_f32_e32 v9, v12, v12
	s_mov_b32 s1, exec_lo
	v_cmpx_lt_i32_e32 -1, v11
	s_xor_b32 s1, exec_lo, s1
; %bb.1976:
	s_delay_alu instid0(VALU_DEP_2)
	v_bfi_b32 v12, 0x7fffffff, v9, v12
                                        ; implicit-def: $vgpr9
; %bb.1977:
	s_and_not1_saveexec_b32 s1, s1
; %bb.1978:
	v_and_b32_e32 v9, 0x7fffffff, v9
	s_delay_alu instid0(VALU_DEP_2) | instskip(NEXT) | instid1(VALU_DEP_2)
	v_bfi_b32 v12, 0x7fffffff, v11, v12
	v_mov_b32_e32 v11, v9
; %bb.1979:
	s_or_b32 exec_lo, exec_lo, s1
.LBB233_1980:
	s_delay_alu instid0(SALU_CYCLE_1)
	s_or_b32 exec_lo, exec_lo, s0
.LBB233_1981:
	s_and_not1_saveexec_b32 s0, s10
; %bb.1982:
	v_sub_f32_e32 v9, v12, v12
	s_delay_alu instid0(VALU_DEP_1) | instskip(NEXT) | instid1(VALU_DEP_1)
	v_div_scale_f32 v12, vcc_lo, v9, v9, v9
	v_rcp_f32_e32 v13, v12
	s_waitcnt_depctr 0xfff
	v_fma_f32 v14, -v12, v13, 1.0
	s_delay_alu instid0(VALU_DEP_1) | instskip(NEXT) | instid1(VALU_DEP_1)
	v_fmac_f32_e32 v13, v14, v13
	v_mul_f32_e32 v14, v12, v13
	s_delay_alu instid0(VALU_DEP_1) | instskip(NEXT) | instid1(VALU_DEP_1)
	v_fma_f32 v15, -v12, v14, v12
	v_fmac_f32_e32 v14, v15, v13
	s_delay_alu instid0(VALU_DEP_1) | instskip(NEXT) | instid1(VALU_DEP_1)
	v_fma_f32 v12, -v12, v14, v12
	v_div_fmas_f32 v12, v12, v13, v14
	s_delay_alu instid0(VALU_DEP_1)
	v_div_fixup_f32 v12, v12, v9, v9
; %bb.1983:
	s_or_b32 exec_lo, exec_lo, s0
	v_mov_b32_e32 v13, v11
.LBB233_1984:
	s_or_b32 exec_lo, exec_lo, s7
.LBB233_1985:
	s_delay_alu instid0(SALU_CYCLE_1) | instskip(SKIP_4) | instid1(VALU_DEP_1)
	s_or_b32 exec_lo, exec_lo, s6
	s_lshr_b32 s0, s3, 8
	s_mov_b32 s3, 0
	v_and_b32_e64 v11, 0xff, s0
	v_add_co_u32 v14, s0, s4, v3
	v_add_co_ci_u32_e64 v15, null, s5, 0, s0
	s_delay_alu instid0(VALU_DEP_3)
	v_cmp_gt_i16_e32 vcc_lo, 11, v11
	s_mov_b32 s0, -1
	s_cbranch_vccnz .LBB233_2063
; %bb.1986:
	v_cmp_lt_i16_e32 vcc_lo, 25, v11
	s_mov_b32 s6, -1
	s_mov_b32 s1, 0
	s_mov_b32 s0, 0
	s_cbranch_vccz .LBB233_2019
; %bb.1987:
	v_cmp_lt_i16_e32 vcc_lo, 28, v11
	s_cbranch_vccz .LBB233_2002
; %bb.1988:
	v_cmp_lt_i16_e32 vcc_lo, 43, v11
	;; [unrolled: 3-line block ×3, first 2 shown]
	s_cbranch_vccz .LBB233_1992
; %bb.1990:
	v_cmp_eq_u16_e32 vcc_lo, 46, v11
	s_mov_b32 s0, -1
	s_mov_b32 s6, 0
	s_cbranch_vccz .LBB233_1992
; %bb.1991:
	v_bfe_u32 v3, v5, 16, 1
	v_bfe_u32 v9, v8, 16, 1
	v_cmp_o_f32_e32 vcc_lo, v5, v5
	s_mov_b32 s0, 0
	s_mov_b32 s3, -1
	v_add3_u32 v3, v5, v3, 0x7fff
	v_add3_u32 v9, v8, v9, 0x7fff
	s_delay_alu instid0(VALU_DEP_2) | instskip(NEXT) | instid1(VALU_DEP_2)
	v_and_b32_e32 v3, 0xffff0000, v3
	v_lshrrev_b32_e32 v9, 16, v9
	s_delay_alu instid0(VALU_DEP_2) | instskip(SKIP_1) | instid1(VALU_DEP_3)
	v_cndmask_b32_e32 v3, 0x7fc00000, v3, vcc_lo
	v_cmp_o_f32_e32 vcc_lo, v8, v8
	v_cndmask_b32_e32 v9, 0x7fc0, v9, vcc_lo
	s_delay_alu instid0(VALU_DEP_1)
	v_or_b32_e32 v3, v3, v9
	global_store_b32 v[14:15], v3, off
.LBB233_1992:
	s_and_b32 vcc_lo, exec_lo, s6
	s_cbranch_vccz .LBB233_1997
; %bb.1993:
	v_cmp_eq_u16_e32 vcc_lo, 44, v11
	s_mov_b32 s0, -1
	s_cbranch_vccz .LBB233_1997
; %bb.1994:
	v_bfe_u32 v9, v8, 23, 8
	v_mov_b32_e32 v3, 0xff
	s_mov_b32 s3, exec_lo
	s_delay_alu instid0(VALU_DEP_2)
	v_cmpx_ne_u32_e32 0xff, v9
; %bb.1995:
	v_and_b32_e32 v3, 0x400000, v8
	v_and_or_b32 v9, 0x3fffff, v8, v9
	s_delay_alu instid0(VALU_DEP_2) | instskip(NEXT) | instid1(VALU_DEP_2)
	v_cmp_ne_u32_e32 vcc_lo, 0, v3
	v_cmp_ne_u32_e64 s0, 0, v9
	v_lshrrev_b32_e32 v3, 23, v8
	s_delay_alu instid0(VALU_DEP_2) | instskip(NEXT) | instid1(SALU_CYCLE_1)
	s_and_b32 s0, vcc_lo, s0
	v_cndmask_b32_e64 v9, 0, 1, s0
	s_delay_alu instid0(VALU_DEP_1)
	v_add_nc_u32_e32 v3, v3, v9
; %bb.1996:
	s_or_b32 exec_lo, exec_lo, s3
	s_mov_b32 s0, 0
	s_mov_b32 s3, -1
	global_store_b8 v[14:15], v3, off
.LBB233_1997:
	s_mov_b32 s6, 0
.LBB233_1998:
	s_delay_alu instid0(SALU_CYCLE_1)
	s_and_b32 vcc_lo, exec_lo, s6
	s_cbranch_vccz .LBB233_2001
; %bb.1999:
	v_cmp_eq_u16_e32 vcc_lo, 29, v11
	s_mov_b32 s0, -1
	s_cbranch_vccz .LBB233_2001
; %bb.2000:
	v_trunc_f32_e32 v3, v8
	s_mov_b32 s0, 0
	s_mov_b32 s3, -1
	s_delay_alu instid0(VALU_DEP_1) | instskip(NEXT) | instid1(VALU_DEP_1)
	v_mul_f32_e32 v9, 0x2f800000, v3
	v_floor_f32_e32 v9, v9
	s_delay_alu instid0(VALU_DEP_1) | instskip(SKIP_1) | instid1(VALU_DEP_2)
	v_fmamk_f32 v3, v9, 0xcf800000, v3
	v_cvt_u32_f32_e32 v17, v9
	v_cvt_u32_f32_e32 v16, v3
	global_store_b64 v[14:15], v[16:17], off
.LBB233_2001:
	s_mov_b32 s6, 0
.LBB233_2002:
	s_delay_alu instid0(SALU_CYCLE_1)
	s_and_b32 vcc_lo, exec_lo, s6
	s_cbranch_vccz .LBB233_2018
; %bb.2003:
	v_cmp_gt_i16_e32 vcc_lo, 27, v11
	s_mov_b32 s3, -1
	s_cbranch_vccnz .LBB233_2009
; %bb.2004:
	v_cmp_lt_i16_e32 vcc_lo, 27, v11
	v_cvt_u32_f32_e32 v3, v8
	s_cbranch_vccz .LBB233_2006
; %bb.2005:
	s_mov_b32 s3, 0
	global_store_b32 v[14:15], v3, off
.LBB233_2006:
	s_and_not1_b32 vcc_lo, exec_lo, s3
	s_cbranch_vccnz .LBB233_2008
; %bb.2007:
	global_store_b16 v[14:15], v3, off
.LBB233_2008:
	s_mov_b32 s3, 0
.LBB233_2009:
	s_delay_alu instid0(SALU_CYCLE_1)
	s_and_not1_b32 vcc_lo, exec_lo, s3
	s_cbranch_vccnz .LBB233_2017
; %bb.2010:
	v_and_b32_e32 v3, 0x7fffffff, v8
	v_mov_b32_e32 v9, 0x80
	s_mov_b32 s3, exec_lo
	s_delay_alu instid0(VALU_DEP_2)
	v_cmpx_gt_u32_e32 0x43800000, v3
	s_cbranch_execz .LBB233_2016
; %bb.2011:
	v_cmp_lt_u32_e32 vcc_lo, 0x3bffffff, v3
	s_mov_b32 s6, 0
                                        ; implicit-def: $vgpr3
	s_and_saveexec_b32 s7, vcc_lo
	s_delay_alu instid0(SALU_CYCLE_1)
	s_xor_b32 s7, exec_lo, s7
	s_cbranch_execz .LBB233_2418
; %bb.2012:
	v_bfe_u32 v3, v8, 20, 1
	s_mov_b32 s6, exec_lo
	s_delay_alu instid0(VALU_DEP_1) | instskip(NEXT) | instid1(VALU_DEP_1)
	v_add3_u32 v3, v8, v3, 0x487ffff
	v_lshrrev_b32_e32 v3, 20, v3
	s_or_saveexec_b32 s7, s7
                                        ; implicit-def: $sgpr10
	s_delay_alu instid0(SALU_CYCLE_1)
	s_xor_b32 exec_lo, exec_lo, s7
	s_cbranch_execnz .LBB233_2419
.LBB233_2013:
	s_or_b32 exec_lo, exec_lo, s7
	v_mov_b32_e32 v9, s10
	s_and_saveexec_b32 s7, s6
.LBB233_2014:
	v_lshrrev_b32_e32 v9, 24, v8
	s_delay_alu instid0(VALU_DEP_1)
	v_and_or_b32 v9, 0x80, v9, v3
.LBB233_2015:
	s_or_b32 exec_lo, exec_lo, s7
.LBB233_2016:
	s_delay_alu instid0(SALU_CYCLE_1)
	s_or_b32 exec_lo, exec_lo, s3
	global_store_b8 v[14:15], v9, off
.LBB233_2017:
	s_mov_b32 s3, -1
.LBB233_2018:
	s_mov_b32 s6, 0
.LBB233_2019:
	s_delay_alu instid0(SALU_CYCLE_1)
	s_and_b32 vcc_lo, exec_lo, s6
	s_cbranch_vccz .LBB233_2059
; %bb.2020:
	v_cmp_lt_i16_e32 vcc_lo, 22, v11
	s_mov_b32 s1, -1
	s_cbranch_vccz .LBB233_2052
; %bb.2021:
	v_cmp_gt_i16_e32 vcc_lo, 24, v11
	s_cbranch_vccnz .LBB233_2041
; %bb.2022:
	v_cmp_lt_i16_e32 vcc_lo, 24, v11
	s_cbranch_vccz .LBB233_2030
; %bb.2023:
	v_and_b32_e32 v3, 0x7fffffff, v8
	v_mov_b32_e32 v9, 0x80
	s_mov_b32 s1, exec_lo
	s_delay_alu instid0(VALU_DEP_2)
	v_cmpx_gt_u32_e32 0x47800000, v3
	s_cbranch_execz .LBB233_2029
; %bb.2024:
	v_cmp_lt_u32_e32 vcc_lo, 0x37ffffff, v3
	s_mov_b32 s3, 0
                                        ; implicit-def: $vgpr3
	s_and_saveexec_b32 s6, vcc_lo
	s_delay_alu instid0(SALU_CYCLE_1)
	s_xor_b32 s6, exec_lo, s6
	s_cbranch_execz .LBB233_2424
; %bb.2025:
	v_bfe_u32 v3, v8, 21, 1
	s_mov_b32 s3, exec_lo
	s_delay_alu instid0(VALU_DEP_1) | instskip(NEXT) | instid1(VALU_DEP_1)
	v_add3_u32 v3, v8, v3, 0x88fffff
	v_lshrrev_b32_e32 v3, 21, v3
	s_or_saveexec_b32 s6, s6
                                        ; implicit-def: $sgpr7
	s_delay_alu instid0(SALU_CYCLE_1)
	s_xor_b32 exec_lo, exec_lo, s6
	s_cbranch_execnz .LBB233_2425
.LBB233_2026:
	s_or_b32 exec_lo, exec_lo, s6
	v_mov_b32_e32 v9, s7
	s_and_saveexec_b32 s6, s3
.LBB233_2027:
	v_lshrrev_b32_e32 v9, 24, v8
	s_delay_alu instid0(VALU_DEP_1)
	v_and_or_b32 v9, 0x80, v9, v3
.LBB233_2028:
	s_or_b32 exec_lo, exec_lo, s6
.LBB233_2029:
	s_delay_alu instid0(SALU_CYCLE_1)
	s_or_b32 exec_lo, exec_lo, s1
	s_mov_b32 s1, 0
	global_store_b8 v[14:15], v9, off
.LBB233_2030:
	s_and_b32 vcc_lo, exec_lo, s1
	s_cbranch_vccz .LBB233_2040
; %bb.2031:
	v_and_b32_e32 v9, 0x7fffffff, v8
	s_mov_b32 s1, exec_lo
                                        ; implicit-def: $vgpr3
	s_delay_alu instid0(VALU_DEP_1)
	v_cmpx_gt_u32_e32 0x43f00000, v9
	s_xor_b32 s1, exec_lo, s1
	s_cbranch_execz .LBB233_2037
; %bb.2032:
	s_mov_b32 s3, exec_lo
                                        ; implicit-def: $vgpr3
	v_cmpx_lt_u32_e32 0x3c7fffff, v9
	s_xor_b32 s3, exec_lo, s3
; %bb.2033:
	v_bfe_u32 v3, v8, 20, 1
	s_delay_alu instid0(VALU_DEP_1) | instskip(NEXT) | instid1(VALU_DEP_1)
	v_add3_u32 v3, v8, v3, 0x407ffff
	v_and_b32_e32 v9, 0xff00000, v3
	v_lshrrev_b32_e32 v3, 20, v3
	s_delay_alu instid0(VALU_DEP_2) | instskip(NEXT) | instid1(VALU_DEP_2)
	v_cmp_ne_u32_e32 vcc_lo, 0x7f00000, v9
	v_cndmask_b32_e32 v3, 0x7e, v3, vcc_lo
; %bb.2034:
	s_and_not1_saveexec_b32 s3, s3
; %bb.2035:
	v_add_f32_e64 v3, 0x46800000, |v8|
; %bb.2036:
	s_or_b32 exec_lo, exec_lo, s3
                                        ; implicit-def: $vgpr9
.LBB233_2037:
	s_and_not1_saveexec_b32 s1, s1
; %bb.2038:
	v_mov_b32_e32 v3, 0x7f
	v_cmp_lt_u32_e32 vcc_lo, 0x7f800000, v9
	s_delay_alu instid0(VALU_DEP_2)
	v_cndmask_b32_e32 v3, 0x7e, v3, vcc_lo
; %bb.2039:
	s_or_b32 exec_lo, exec_lo, s1
	v_lshrrev_b32_e32 v9, 24, v8
	s_delay_alu instid0(VALU_DEP_1)
	v_and_or_b32 v3, 0x80, v9, v3
	global_store_b8 v[14:15], v3, off
.LBB233_2040:
	s_mov_b32 s1, 0
.LBB233_2041:
	s_delay_alu instid0(SALU_CYCLE_1)
	s_and_not1_b32 vcc_lo, exec_lo, s1
	s_cbranch_vccnz .LBB233_2051
; %bb.2042:
	v_and_b32_e32 v9, 0x7fffffff, v8
	s_mov_b32 s1, exec_lo
                                        ; implicit-def: $vgpr3
	s_delay_alu instid0(VALU_DEP_1)
	v_cmpx_gt_u32_e32 0x47800000, v9
	s_xor_b32 s1, exec_lo, s1
	s_cbranch_execz .LBB233_2048
; %bb.2043:
	s_mov_b32 s3, exec_lo
                                        ; implicit-def: $vgpr3
	v_cmpx_lt_u32_e32 0x387fffff, v9
	s_xor_b32 s3, exec_lo, s3
; %bb.2044:
	v_bfe_u32 v3, v8, 21, 1
	s_delay_alu instid0(VALU_DEP_1) | instskip(NEXT) | instid1(VALU_DEP_1)
	v_add3_u32 v3, v8, v3, 0x80fffff
	v_lshrrev_b32_e32 v3, 21, v3
; %bb.2045:
	s_and_not1_saveexec_b32 s3, s3
; %bb.2046:
	v_add_f32_e64 v3, 0x43000000, |v8|
; %bb.2047:
	s_or_b32 exec_lo, exec_lo, s3
                                        ; implicit-def: $vgpr9
.LBB233_2048:
	s_and_not1_saveexec_b32 s1, s1
; %bb.2049:
	v_mov_b32_e32 v3, 0x7f
	v_cmp_lt_u32_e32 vcc_lo, 0x7f800000, v9
	s_delay_alu instid0(VALU_DEP_2)
	v_cndmask_b32_e32 v3, 0x7c, v3, vcc_lo
; %bb.2050:
	s_or_b32 exec_lo, exec_lo, s1
	v_lshrrev_b32_e32 v9, 24, v8
	s_delay_alu instid0(VALU_DEP_1)
	v_and_or_b32 v3, 0x80, v9, v3
	global_store_b8 v[14:15], v3, off
.LBB233_2051:
	s_mov_b32 s1, 0
	s_mov_b32 s3, -1
.LBB233_2052:
	s_and_not1_b32 vcc_lo, exec_lo, s1
	s_mov_b32 s1, 0
	s_cbranch_vccnz .LBB233_2059
; %bb.2053:
	v_cmp_lt_i16_e32 vcc_lo, 14, v11
	s_mov_b32 s1, -1
	s_cbranch_vccz .LBB233_2057
; %bb.2054:
	v_cmp_eq_u16_e32 vcc_lo, 15, v11
	s_mov_b32 s0, -1
	s_cbranch_vccz .LBB233_2056
; %bb.2055:
	v_bfe_u32 v3, v8, 16, 1
	v_cmp_o_f32_e32 vcc_lo, v8, v8
	s_mov_b32 s0, 0
	s_mov_b32 s3, -1
	s_delay_alu instid0(VALU_DEP_2) | instskip(NEXT) | instid1(VALU_DEP_1)
	v_add3_u32 v3, v8, v3, 0x7fff
	v_lshrrev_b32_e32 v3, 16, v3
	s_delay_alu instid0(VALU_DEP_1)
	v_cndmask_b32_e32 v3, 0x7fc0, v3, vcc_lo
	global_store_b16 v[14:15], v3, off
.LBB233_2056:
	s_mov_b32 s1, 0
.LBB233_2057:
	s_delay_alu instid0(SALU_CYCLE_1)
	s_and_b32 vcc_lo, exec_lo, s1
	s_mov_b32 s1, 0
	s_cbranch_vccz .LBB233_2059
; %bb.2058:
	v_cmp_ne_u16_e64 s0, 11, v11
	s_mov_b32 s1, -1
.LBB233_2059:
	s_delay_alu instid0(VALU_DEP_1)
	s_and_b32 vcc_lo, exec_lo, s0
	s_cbranch_vccnz .LBB233_2422
; %bb.2060:
	s_and_not1_b32 vcc_lo, exec_lo, s1
	s_cbranch_vccnz .LBB233_2062
.LBB233_2061:
	v_cmp_neq_f32_e32 vcc_lo, 0, v8
	v_cmp_neq_f32_e64 s0, 0, v5
	s_mov_b32 s3, -1
	s_delay_alu instid0(VALU_DEP_1) | instskip(NEXT) | instid1(SALU_CYCLE_1)
	s_or_b32 s0, vcc_lo, s0
	v_cndmask_b32_e64 v3, 0, 1, s0
	global_store_b8 v[14:15], v3, off
.LBB233_2062:
	s_mov_b32 s0, 0
.LBB233_2063:
	s_delay_alu instid0(SALU_CYCLE_1)
	s_and_b32 vcc_lo, exec_lo, s0
	s_cbranch_vccz .LBB233_2102
; %bb.2064:
	v_cmp_gt_i16_e32 vcc_lo, 5, v11
	s_mov_b32 s0, -1
	s_cbranch_vccnz .LBB233_2085
; %bb.2065:
	v_cmp_gt_i16_e32 vcc_lo, 8, v11
	s_cbranch_vccnz .LBB233_2075
; %bb.2066:
	v_cmp_gt_i16_e32 vcc_lo, 9, v11
	s_cbranch_vccnz .LBB233_2072
; %bb.2067:
	v_cmp_lt_i16_e32 vcc_lo, 9, v11
	s_cbranch_vccz .LBB233_2069
; %bb.2068:
	v_cvt_f64_f32_e32 v[16:17], v8
	v_cvt_f64_f32_e32 v[18:19], v5
	s_mov_b32 s0, 0
	global_store_b128 v[14:15], v[16:19], off
.LBB233_2069:
	s_and_not1_b32 vcc_lo, exec_lo, s0
	s_cbranch_vccnz .LBB233_2071
; %bb.2070:
	v_mov_b32_e32 v9, v5
	global_store_b64 v[14:15], v[8:9], off
.LBB233_2071:
	s_mov_b32 s0, 0
.LBB233_2072:
	s_delay_alu instid0(SALU_CYCLE_1)
	s_and_not1_b32 vcc_lo, exec_lo, s0
	s_cbranch_vccnz .LBB233_2074
; %bb.2073:
	v_cvt_f16_f32_e32 v3, v5
	v_cvt_f16_f32_e32 v5, v8
	s_delay_alu instid0(VALU_DEP_2) | instskip(NEXT) | instid1(VALU_DEP_2)
	v_lshlrev_b32_e32 v3, 16, v3
	v_and_b32_e32 v5, 0xffff, v5
	s_delay_alu instid0(VALU_DEP_1)
	v_or_b32_e32 v3, v3, v5
	global_store_b32 v[14:15], v3, off
.LBB233_2074:
	s_mov_b32 s0, 0
.LBB233_2075:
	s_delay_alu instid0(SALU_CYCLE_1)
	s_and_not1_b32 vcc_lo, exec_lo, s0
	s_cbranch_vccnz .LBB233_2084
; %bb.2076:
	v_cmp_gt_i16_e32 vcc_lo, 6, v11
	s_mov_b32 s0, -1
	s_cbranch_vccnz .LBB233_2082
; %bb.2077:
	v_cmp_lt_i16_e32 vcc_lo, 6, v11
	s_cbranch_vccz .LBB233_2079
; %bb.2078:
	v_cvt_f64_f32_e32 v[16:17], v8
	s_mov_b32 s0, 0
	global_store_b64 v[14:15], v[16:17], off
.LBB233_2079:
	s_and_not1_b32 vcc_lo, exec_lo, s0
	s_cbranch_vccnz .LBB233_2081
; %bb.2080:
	global_store_b32 v[14:15], v8, off
.LBB233_2081:
	s_mov_b32 s0, 0
.LBB233_2082:
	s_delay_alu instid0(SALU_CYCLE_1)
	s_and_not1_b32 vcc_lo, exec_lo, s0
	s_cbranch_vccnz .LBB233_2084
; %bb.2083:
	v_cvt_f16_f32_e32 v3, v8
	global_store_b16 v[14:15], v3, off
.LBB233_2084:
	s_mov_b32 s0, 0
.LBB233_2085:
	s_delay_alu instid0(SALU_CYCLE_1)
	s_and_not1_b32 vcc_lo, exec_lo, s0
	s_cbranch_vccnz .LBB233_2101
; %bb.2086:
	v_cmp_gt_i16_e32 vcc_lo, 2, v11
	s_mov_b32 s0, -1
	s_cbranch_vccnz .LBB233_2096
; %bb.2087:
	v_cmp_gt_i16_e32 vcc_lo, 3, v11
	s_cbranch_vccnz .LBB233_2093
; %bb.2088:
	v_cmp_lt_i16_e32 vcc_lo, 3, v11
	s_cbranch_vccz .LBB233_2090
; %bb.2089:
	v_trunc_f32_e32 v3, v8
	s_mov_b32 s0, 0
	s_delay_alu instid0(VALU_DEP_1) | instskip(NEXT) | instid1(VALU_DEP_1)
	v_mul_f32_e64 v5, 0x2f800000, |v3|
	v_floor_f32_e32 v5, v5
	s_delay_alu instid0(VALU_DEP_1) | instskip(SKIP_2) | instid1(VALU_DEP_3)
	v_fma_f32 v9, 0xcf800000, v5, |v3|
	v_ashrrev_i32_e32 v3, 31, v3
	v_cvt_u32_f32_e32 v5, v5
	v_cvt_u32_f32_e32 v9, v9
	s_delay_alu instid0(VALU_DEP_2) | instskip(NEXT) | instid1(VALU_DEP_2)
	v_xor_b32_e32 v5, v5, v3
	v_xor_b32_e32 v9, v9, v3
	s_delay_alu instid0(VALU_DEP_1) | instskip(NEXT) | instid1(VALU_DEP_3)
	v_sub_co_u32 v16, vcc_lo, v9, v3
	v_sub_co_ci_u32_e32 v17, vcc_lo, v5, v3, vcc_lo
	global_store_b64 v[14:15], v[16:17], off
.LBB233_2090:
	s_and_not1_b32 vcc_lo, exec_lo, s0
	s_cbranch_vccnz .LBB233_2092
; %bb.2091:
	v_cvt_i32_f32_e32 v3, v8
	global_store_b32 v[14:15], v3, off
.LBB233_2092:
	s_mov_b32 s0, 0
.LBB233_2093:
	s_delay_alu instid0(SALU_CYCLE_1)
	s_and_not1_b32 vcc_lo, exec_lo, s0
	s_cbranch_vccnz .LBB233_2095
; %bb.2094:
	v_cvt_i32_f32_e32 v3, v8
	global_store_b16 v[14:15], v3, off
.LBB233_2095:
	s_mov_b32 s0, 0
.LBB233_2096:
	s_delay_alu instid0(SALU_CYCLE_1)
	s_and_not1_b32 vcc_lo, exec_lo, s0
	s_cbranch_vccnz .LBB233_2101
; %bb.2097:
	v_cmp_lt_i16_e32 vcc_lo, 0, v11
	s_mov_b32 s0, -1
	s_cbranch_vccz .LBB233_2099
; %bb.2098:
	v_cvt_i32_f32_e32 v3, v8
	s_mov_b32 s0, 0
	global_store_b8 v[14:15], v3, off
.LBB233_2099:
	s_and_not1_b32 vcc_lo, exec_lo, s0
	s_cbranch_vccnz .LBB233_2101
; %bb.2100:
	v_trunc_f32_e32 v3, v8
	s_delay_alu instid0(VALU_DEP_1) | instskip(NEXT) | instid1(VALU_DEP_1)
	v_mul_f32_e64 v5, 0x2f800000, |v3|
	v_floor_f32_e32 v5, v5
	s_delay_alu instid0(VALU_DEP_1) | instskip(SKIP_1) | instid1(VALU_DEP_2)
	v_fma_f32 v5, 0xcf800000, v5, |v3|
	v_ashrrev_i32_e32 v3, 31, v3
	v_cvt_u32_f32_e32 v5, v5
	s_delay_alu instid0(VALU_DEP_1) | instskip(NEXT) | instid1(VALU_DEP_1)
	v_xor_b32_e32 v5, v5, v3
	v_sub_nc_u32_e32 v3, v5, v3
	global_store_b8 v[14:15], v3, off
.LBB233_2101:
	s_mov_b32 s3, -1
.LBB233_2102:
	s_delay_alu instid0(SALU_CYCLE_1)
	s_and_not1_b32 vcc_lo, exec_lo, s3
	s_cbranch_vccnz .LBB233_2415
; %bb.2103:
	v_cmp_gt_i16_e32 vcc_lo, 11, v11
	v_add_co_u32 v2, s0, s4, v2
	s_delay_alu instid0(VALU_DEP_1)
	v_add_co_ci_u32_e64 v3, null, s5, 0, s0
	s_mov_b32 s3, 0
	s_mov_b32 s0, -1
	s_cbranch_vccnz .LBB233_2181
; %bb.2104:
	v_cmp_lt_i16_e32 vcc_lo, 25, v11
	s_mov_b32 s6, -1
	s_mov_b32 s1, 0
	s_mov_b32 s0, 0
	s_cbranch_vccz .LBB233_2137
; %bb.2105:
	v_cmp_lt_i16_e32 vcc_lo, 28, v11
	s_cbranch_vccz .LBB233_2120
; %bb.2106:
	v_cmp_lt_i16_e32 vcc_lo, 43, v11
	s_cbranch_vccz .LBB233_2116
; %bb.2107:
	v_cmp_lt_i16_e32 vcc_lo, 45, v11
	s_cbranch_vccz .LBB233_2110
; %bb.2108:
	v_cmp_eq_u16_e32 vcc_lo, 46, v11
	s_mov_b32 s0, -1
	s_mov_b32 s6, 0
	s_cbranch_vccz .LBB233_2110
; %bb.2109:
	v_bfe_u32 v5, v7, 16, 1
	v_bfe_u32 v8, v4, 16, 1
	v_cmp_o_f32_e32 vcc_lo, v7, v7
	s_mov_b32 s0, 0
	s_mov_b32 s3, -1
	v_add3_u32 v5, v7, v5, 0x7fff
	v_add3_u32 v8, v4, v8, 0x7fff
	s_delay_alu instid0(VALU_DEP_2) | instskip(NEXT) | instid1(VALU_DEP_2)
	v_and_b32_e32 v5, 0xffff0000, v5
	v_lshrrev_b32_e32 v8, 16, v8
	s_delay_alu instid0(VALU_DEP_2) | instskip(SKIP_1) | instid1(VALU_DEP_3)
	v_cndmask_b32_e32 v5, 0x7fc00000, v5, vcc_lo
	v_cmp_o_f32_e32 vcc_lo, v4, v4
	v_cndmask_b32_e32 v8, 0x7fc0, v8, vcc_lo
	s_delay_alu instid0(VALU_DEP_1)
	v_or_b32_e32 v5, v5, v8
	global_store_b32 v[2:3], v5, off
.LBB233_2110:
	s_and_b32 vcc_lo, exec_lo, s6
	s_cbranch_vccz .LBB233_2115
; %bb.2111:
	v_cmp_eq_u16_e32 vcc_lo, 44, v11
	s_mov_b32 s0, -1
	s_cbranch_vccz .LBB233_2115
; %bb.2112:
	v_bfe_u32 v8, v4, 23, 8
	v_mov_b32_e32 v5, 0xff
	s_mov_b32 s3, exec_lo
	s_delay_alu instid0(VALU_DEP_2)
	v_cmpx_ne_u32_e32 0xff, v8
; %bb.2113:
	v_and_b32_e32 v5, 0x400000, v4
	v_and_or_b32 v8, 0x3fffff, v4, v8
	s_delay_alu instid0(VALU_DEP_2) | instskip(NEXT) | instid1(VALU_DEP_2)
	v_cmp_ne_u32_e32 vcc_lo, 0, v5
	v_cmp_ne_u32_e64 s0, 0, v8
	v_lshrrev_b32_e32 v5, 23, v4
	s_delay_alu instid0(VALU_DEP_2) | instskip(NEXT) | instid1(SALU_CYCLE_1)
	s_and_b32 s0, vcc_lo, s0
	v_cndmask_b32_e64 v8, 0, 1, s0
	s_delay_alu instid0(VALU_DEP_1)
	v_add_nc_u32_e32 v5, v5, v8
; %bb.2114:
	s_or_b32 exec_lo, exec_lo, s3
	s_mov_b32 s0, 0
	s_mov_b32 s3, -1
	global_store_b8 v[2:3], v5, off
.LBB233_2115:
	s_mov_b32 s6, 0
.LBB233_2116:
	s_delay_alu instid0(SALU_CYCLE_1)
	s_and_b32 vcc_lo, exec_lo, s6
	s_cbranch_vccz .LBB233_2119
; %bb.2117:
	v_cmp_eq_u16_e32 vcc_lo, 29, v11
	s_mov_b32 s0, -1
	s_cbranch_vccz .LBB233_2119
; %bb.2118:
	v_trunc_f32_e32 v5, v4
	s_mov_b32 s0, 0
	s_mov_b32 s3, -1
	s_delay_alu instid0(VALU_DEP_1) | instskip(NEXT) | instid1(VALU_DEP_1)
	v_mul_f32_e32 v8, 0x2f800000, v5
	v_floor_f32_e32 v8, v8
	s_delay_alu instid0(VALU_DEP_1) | instskip(SKIP_1) | instid1(VALU_DEP_2)
	v_fmamk_f32 v5, v8, 0xcf800000, v5
	v_cvt_u32_f32_e32 v9, v8
	v_cvt_u32_f32_e32 v8, v5
	global_store_b64 v[2:3], v[8:9], off
.LBB233_2119:
	s_mov_b32 s6, 0
.LBB233_2120:
	s_delay_alu instid0(SALU_CYCLE_1)
	s_and_b32 vcc_lo, exec_lo, s6
	s_cbranch_vccz .LBB233_2136
; %bb.2121:
	v_cmp_gt_i16_e32 vcc_lo, 27, v11
	s_mov_b32 s3, -1
	s_cbranch_vccnz .LBB233_2127
; %bb.2122:
	v_cmp_lt_i16_e32 vcc_lo, 27, v11
	v_cvt_u32_f32_e32 v5, v4
	s_cbranch_vccz .LBB233_2124
; %bb.2123:
	s_mov_b32 s3, 0
	global_store_b32 v[2:3], v5, off
.LBB233_2124:
	s_and_not1_b32 vcc_lo, exec_lo, s3
	s_cbranch_vccnz .LBB233_2126
; %bb.2125:
	global_store_b16 v[2:3], v5, off
.LBB233_2126:
	s_mov_b32 s3, 0
.LBB233_2127:
	s_delay_alu instid0(SALU_CYCLE_1)
	s_and_not1_b32 vcc_lo, exec_lo, s3
	s_cbranch_vccnz .LBB233_2135
; %bb.2128:
	v_and_b32_e32 v5, 0x7fffffff, v4
	v_mov_b32_e32 v8, 0x80
	s_mov_b32 s3, exec_lo
	s_delay_alu instid0(VALU_DEP_2)
	v_cmpx_gt_u32_e32 0x43800000, v5
	s_cbranch_execz .LBB233_2134
; %bb.2129:
	v_cmp_lt_u32_e32 vcc_lo, 0x3bffffff, v5
	s_mov_b32 s6, 0
                                        ; implicit-def: $vgpr5
	s_and_saveexec_b32 s7, vcc_lo
	s_delay_alu instid0(SALU_CYCLE_1)
	s_xor_b32 s7, exec_lo, s7
	s_cbranch_execz .LBB233_2426
; %bb.2130:
	v_bfe_u32 v5, v4, 20, 1
	s_mov_b32 s6, exec_lo
	s_delay_alu instid0(VALU_DEP_1) | instskip(NEXT) | instid1(VALU_DEP_1)
	v_add3_u32 v5, v4, v5, 0x487ffff
	v_lshrrev_b32_e32 v5, 20, v5
	s_or_saveexec_b32 s7, s7
                                        ; implicit-def: $sgpr10
	s_delay_alu instid0(SALU_CYCLE_1)
	s_xor_b32 exec_lo, exec_lo, s7
	s_cbranch_execnz .LBB233_2427
.LBB233_2131:
	s_or_b32 exec_lo, exec_lo, s7
	v_mov_b32_e32 v8, s10
	s_and_saveexec_b32 s7, s6
.LBB233_2132:
	v_lshrrev_b32_e32 v8, 24, v4
	s_delay_alu instid0(VALU_DEP_1)
	v_and_or_b32 v8, 0x80, v8, v5
.LBB233_2133:
	s_or_b32 exec_lo, exec_lo, s7
.LBB233_2134:
	s_delay_alu instid0(SALU_CYCLE_1)
	s_or_b32 exec_lo, exec_lo, s3
	global_store_b8 v[2:3], v8, off
.LBB233_2135:
	s_mov_b32 s3, -1
.LBB233_2136:
	s_mov_b32 s6, 0
.LBB233_2137:
	s_delay_alu instid0(SALU_CYCLE_1)
	s_and_b32 vcc_lo, exec_lo, s6
	s_cbranch_vccz .LBB233_2177
; %bb.2138:
	v_cmp_lt_i16_e32 vcc_lo, 22, v11
	s_mov_b32 s1, -1
	s_cbranch_vccz .LBB233_2170
; %bb.2139:
	v_cmp_gt_i16_e32 vcc_lo, 24, v11
	s_cbranch_vccnz .LBB233_2159
; %bb.2140:
	v_cmp_lt_i16_e32 vcc_lo, 24, v11
	s_cbranch_vccz .LBB233_2148
; %bb.2141:
	v_and_b32_e32 v5, 0x7fffffff, v4
	v_mov_b32_e32 v8, 0x80
	s_mov_b32 s1, exec_lo
	s_delay_alu instid0(VALU_DEP_2)
	v_cmpx_gt_u32_e32 0x47800000, v5
	s_cbranch_execz .LBB233_2147
; %bb.2142:
	v_cmp_lt_u32_e32 vcc_lo, 0x37ffffff, v5
	s_mov_b32 s3, 0
                                        ; implicit-def: $vgpr5
	s_and_saveexec_b32 s6, vcc_lo
	s_delay_alu instid0(SALU_CYCLE_1)
	s_xor_b32 s6, exec_lo, s6
	s_cbranch_execz .LBB233_2432
; %bb.2143:
	v_bfe_u32 v5, v4, 21, 1
	s_mov_b32 s3, exec_lo
	s_delay_alu instid0(VALU_DEP_1) | instskip(NEXT) | instid1(VALU_DEP_1)
	v_add3_u32 v5, v4, v5, 0x88fffff
	v_lshrrev_b32_e32 v5, 21, v5
	s_or_saveexec_b32 s6, s6
                                        ; implicit-def: $sgpr7
	s_delay_alu instid0(SALU_CYCLE_1)
	s_xor_b32 exec_lo, exec_lo, s6
	s_cbranch_execnz .LBB233_2433
.LBB233_2144:
	s_or_b32 exec_lo, exec_lo, s6
	v_mov_b32_e32 v8, s7
	s_and_saveexec_b32 s6, s3
.LBB233_2145:
	v_lshrrev_b32_e32 v8, 24, v4
	s_delay_alu instid0(VALU_DEP_1)
	v_and_or_b32 v8, 0x80, v8, v5
.LBB233_2146:
	s_or_b32 exec_lo, exec_lo, s6
.LBB233_2147:
	s_delay_alu instid0(SALU_CYCLE_1)
	s_or_b32 exec_lo, exec_lo, s1
	s_mov_b32 s1, 0
	global_store_b8 v[2:3], v8, off
.LBB233_2148:
	s_and_b32 vcc_lo, exec_lo, s1
	s_cbranch_vccz .LBB233_2158
; %bb.2149:
	v_and_b32_e32 v8, 0x7fffffff, v4
	s_mov_b32 s1, exec_lo
                                        ; implicit-def: $vgpr5
	s_delay_alu instid0(VALU_DEP_1)
	v_cmpx_gt_u32_e32 0x43f00000, v8
	s_xor_b32 s1, exec_lo, s1
	s_cbranch_execz .LBB233_2155
; %bb.2150:
	s_mov_b32 s3, exec_lo
                                        ; implicit-def: $vgpr5
	v_cmpx_lt_u32_e32 0x3c7fffff, v8
	s_xor_b32 s3, exec_lo, s3
; %bb.2151:
	v_bfe_u32 v5, v4, 20, 1
	s_delay_alu instid0(VALU_DEP_1) | instskip(NEXT) | instid1(VALU_DEP_1)
	v_add3_u32 v5, v4, v5, 0x407ffff
	v_and_b32_e32 v8, 0xff00000, v5
	v_lshrrev_b32_e32 v5, 20, v5
	s_delay_alu instid0(VALU_DEP_2) | instskip(NEXT) | instid1(VALU_DEP_2)
	v_cmp_ne_u32_e32 vcc_lo, 0x7f00000, v8
	v_cndmask_b32_e32 v5, 0x7e, v5, vcc_lo
; %bb.2152:
	s_and_not1_saveexec_b32 s3, s3
; %bb.2153:
	v_add_f32_e64 v5, 0x46800000, |v4|
; %bb.2154:
	s_or_b32 exec_lo, exec_lo, s3
                                        ; implicit-def: $vgpr8
.LBB233_2155:
	s_and_not1_saveexec_b32 s1, s1
; %bb.2156:
	v_mov_b32_e32 v5, 0x7f
	v_cmp_lt_u32_e32 vcc_lo, 0x7f800000, v8
	s_delay_alu instid0(VALU_DEP_2)
	v_cndmask_b32_e32 v5, 0x7e, v5, vcc_lo
; %bb.2157:
	s_or_b32 exec_lo, exec_lo, s1
	v_lshrrev_b32_e32 v8, 24, v4
	s_delay_alu instid0(VALU_DEP_1)
	v_and_or_b32 v5, 0x80, v8, v5
	global_store_b8 v[2:3], v5, off
.LBB233_2158:
	s_mov_b32 s1, 0
.LBB233_2159:
	s_delay_alu instid0(SALU_CYCLE_1)
	s_and_not1_b32 vcc_lo, exec_lo, s1
	s_cbranch_vccnz .LBB233_2169
; %bb.2160:
	v_and_b32_e32 v8, 0x7fffffff, v4
	s_mov_b32 s1, exec_lo
                                        ; implicit-def: $vgpr5
	s_delay_alu instid0(VALU_DEP_1)
	v_cmpx_gt_u32_e32 0x47800000, v8
	s_xor_b32 s1, exec_lo, s1
	s_cbranch_execz .LBB233_2166
; %bb.2161:
	s_mov_b32 s3, exec_lo
                                        ; implicit-def: $vgpr5
	v_cmpx_lt_u32_e32 0x387fffff, v8
	s_xor_b32 s3, exec_lo, s3
; %bb.2162:
	v_bfe_u32 v5, v4, 21, 1
	s_delay_alu instid0(VALU_DEP_1) | instskip(NEXT) | instid1(VALU_DEP_1)
	v_add3_u32 v5, v4, v5, 0x80fffff
	v_lshrrev_b32_e32 v5, 21, v5
; %bb.2163:
	s_and_not1_saveexec_b32 s3, s3
; %bb.2164:
	v_add_f32_e64 v5, 0x43000000, |v4|
; %bb.2165:
	s_or_b32 exec_lo, exec_lo, s3
                                        ; implicit-def: $vgpr8
.LBB233_2166:
	s_and_not1_saveexec_b32 s1, s1
; %bb.2167:
	v_mov_b32_e32 v5, 0x7f
	v_cmp_lt_u32_e32 vcc_lo, 0x7f800000, v8
	s_delay_alu instid0(VALU_DEP_2)
	v_cndmask_b32_e32 v5, 0x7c, v5, vcc_lo
; %bb.2168:
	s_or_b32 exec_lo, exec_lo, s1
	v_lshrrev_b32_e32 v8, 24, v4
	s_delay_alu instid0(VALU_DEP_1)
	v_and_or_b32 v5, 0x80, v8, v5
	global_store_b8 v[2:3], v5, off
.LBB233_2169:
	s_mov_b32 s1, 0
	s_mov_b32 s3, -1
.LBB233_2170:
	s_and_not1_b32 vcc_lo, exec_lo, s1
	s_mov_b32 s1, 0
	s_cbranch_vccnz .LBB233_2177
; %bb.2171:
	v_cmp_lt_i16_e32 vcc_lo, 14, v11
	s_mov_b32 s1, -1
	s_cbranch_vccz .LBB233_2175
; %bb.2172:
	v_cmp_eq_u16_e32 vcc_lo, 15, v11
	s_mov_b32 s0, -1
	s_cbranch_vccz .LBB233_2174
; %bb.2173:
	v_bfe_u32 v5, v4, 16, 1
	v_cmp_o_f32_e32 vcc_lo, v4, v4
	s_mov_b32 s0, 0
	s_mov_b32 s3, -1
	s_delay_alu instid0(VALU_DEP_2) | instskip(NEXT) | instid1(VALU_DEP_1)
	v_add3_u32 v5, v4, v5, 0x7fff
	v_lshrrev_b32_e32 v5, 16, v5
	s_delay_alu instid0(VALU_DEP_1)
	v_cndmask_b32_e32 v5, 0x7fc0, v5, vcc_lo
	global_store_b16 v[2:3], v5, off
.LBB233_2174:
	s_mov_b32 s1, 0
.LBB233_2175:
	s_delay_alu instid0(SALU_CYCLE_1)
	s_and_b32 vcc_lo, exec_lo, s1
	s_mov_b32 s1, 0
	s_cbranch_vccz .LBB233_2177
; %bb.2176:
	v_cmp_ne_u16_e64 s0, 11, v11
	s_mov_b32 s1, -1
.LBB233_2177:
	s_delay_alu instid0(VALU_DEP_1)
	s_and_b32 vcc_lo, exec_lo, s0
	s_cbranch_vccnz .LBB233_2430
; %bb.2178:
	s_and_not1_b32 vcc_lo, exec_lo, s1
	s_cbranch_vccnz .LBB233_2180
.LBB233_2179:
	v_cmp_neq_f32_e32 vcc_lo, 0, v4
	v_cmp_neq_f32_e64 s0, 0, v7
	s_mov_b32 s3, -1
	s_delay_alu instid0(VALU_DEP_1) | instskip(NEXT) | instid1(SALU_CYCLE_1)
	s_or_b32 s0, vcc_lo, s0
	v_cndmask_b32_e64 v5, 0, 1, s0
	global_store_b8 v[2:3], v5, off
.LBB233_2180:
	s_mov_b32 s0, 0
.LBB233_2181:
	s_delay_alu instid0(SALU_CYCLE_1)
	s_and_b32 vcc_lo, exec_lo, s0
	s_cbranch_vccz .LBB233_2220
; %bb.2182:
	v_cmp_gt_i16_e32 vcc_lo, 5, v11
	s_mov_b32 s0, -1
	s_cbranch_vccnz .LBB233_2203
; %bb.2183:
	v_cmp_gt_i16_e32 vcc_lo, 8, v11
	s_cbranch_vccnz .LBB233_2193
; %bb.2184:
	v_cmp_gt_i16_e32 vcc_lo, 9, v11
	s_cbranch_vccnz .LBB233_2190
; %bb.2185:
	v_cmp_lt_i16_e32 vcc_lo, 9, v11
	s_cbranch_vccz .LBB233_2187
; %bb.2186:
	v_cvt_f64_f32_e32 v[14:15], v4
	v_cvt_f64_f32_e32 v[16:17], v7
	s_mov_b32 s0, 0
	global_store_b128 v[2:3], v[14:17], off
.LBB233_2187:
	s_and_not1_b32 vcc_lo, exec_lo, s0
	s_cbranch_vccnz .LBB233_2189
; %bb.2188:
	v_mov_b32_e32 v5, v7
	global_store_b64 v[2:3], v[4:5], off
.LBB233_2189:
	s_mov_b32 s0, 0
.LBB233_2190:
	s_delay_alu instid0(SALU_CYCLE_1)
	s_and_not1_b32 vcc_lo, exec_lo, s0
	s_cbranch_vccnz .LBB233_2192
; %bb.2191:
	v_cvt_f16_f32_e32 v5, v7
	v_cvt_f16_f32_e32 v7, v4
	s_delay_alu instid0(VALU_DEP_2) | instskip(NEXT) | instid1(VALU_DEP_2)
	v_lshlrev_b32_e32 v5, 16, v5
	v_and_b32_e32 v7, 0xffff, v7
	s_delay_alu instid0(VALU_DEP_1)
	v_or_b32_e32 v5, v5, v7
	global_store_b32 v[2:3], v5, off
.LBB233_2192:
	s_mov_b32 s0, 0
.LBB233_2193:
	s_delay_alu instid0(SALU_CYCLE_1)
	s_and_not1_b32 vcc_lo, exec_lo, s0
	s_cbranch_vccnz .LBB233_2202
; %bb.2194:
	v_cmp_gt_i16_e32 vcc_lo, 6, v11
	s_mov_b32 s0, -1
	s_cbranch_vccnz .LBB233_2200
; %bb.2195:
	v_cmp_lt_i16_e32 vcc_lo, 6, v11
	s_cbranch_vccz .LBB233_2197
; %bb.2196:
	v_cvt_f64_f32_e32 v[7:8], v4
	s_mov_b32 s0, 0
	global_store_b64 v[2:3], v[7:8], off
.LBB233_2197:
	s_and_not1_b32 vcc_lo, exec_lo, s0
	s_cbranch_vccnz .LBB233_2199
; %bb.2198:
	global_store_b32 v[2:3], v4, off
.LBB233_2199:
	s_mov_b32 s0, 0
.LBB233_2200:
	s_delay_alu instid0(SALU_CYCLE_1)
	s_and_not1_b32 vcc_lo, exec_lo, s0
	s_cbranch_vccnz .LBB233_2202
; %bb.2201:
	v_cvt_f16_f32_e32 v5, v4
	global_store_b16 v[2:3], v5, off
.LBB233_2202:
	s_mov_b32 s0, 0
.LBB233_2203:
	s_delay_alu instid0(SALU_CYCLE_1)
	s_and_not1_b32 vcc_lo, exec_lo, s0
	s_cbranch_vccnz .LBB233_2219
; %bb.2204:
	v_cmp_gt_i16_e32 vcc_lo, 2, v11
	s_mov_b32 s0, -1
	s_cbranch_vccnz .LBB233_2214
; %bb.2205:
	v_cmp_gt_i16_e32 vcc_lo, 3, v11
	s_cbranch_vccnz .LBB233_2211
; %bb.2206:
	v_cmp_lt_i16_e32 vcc_lo, 3, v11
	s_cbranch_vccz .LBB233_2208
; %bb.2207:
	v_trunc_f32_e32 v5, v4
	s_mov_b32 s0, 0
	s_delay_alu instid0(VALU_DEP_1) | instskip(NEXT) | instid1(VALU_DEP_1)
	v_mul_f32_e64 v7, 0x2f800000, |v5|
	v_floor_f32_e32 v7, v7
	s_delay_alu instid0(VALU_DEP_1) | instskip(SKIP_2) | instid1(VALU_DEP_3)
	v_fma_f32 v8, 0xcf800000, v7, |v5|
	v_ashrrev_i32_e32 v5, 31, v5
	v_cvt_u32_f32_e32 v7, v7
	v_cvt_u32_f32_e32 v8, v8
	s_delay_alu instid0(VALU_DEP_2) | instskip(NEXT) | instid1(VALU_DEP_2)
	v_xor_b32_e32 v9, v7, v5
	v_xor_b32_e32 v8, v8, v5
	s_delay_alu instid0(VALU_DEP_1) | instskip(NEXT) | instid1(VALU_DEP_3)
	v_sub_co_u32 v7, vcc_lo, v8, v5
	v_sub_co_ci_u32_e32 v8, vcc_lo, v9, v5, vcc_lo
	global_store_b64 v[2:3], v[7:8], off
.LBB233_2208:
	s_and_not1_b32 vcc_lo, exec_lo, s0
	s_cbranch_vccnz .LBB233_2210
; %bb.2209:
	v_cvt_i32_f32_e32 v5, v4
	global_store_b32 v[2:3], v5, off
.LBB233_2210:
	s_mov_b32 s0, 0
.LBB233_2211:
	s_delay_alu instid0(SALU_CYCLE_1)
	s_and_not1_b32 vcc_lo, exec_lo, s0
	s_cbranch_vccnz .LBB233_2213
; %bb.2212:
	v_cvt_i32_f32_e32 v5, v4
	global_store_b16 v[2:3], v5, off
.LBB233_2213:
	s_mov_b32 s0, 0
.LBB233_2214:
	s_delay_alu instid0(SALU_CYCLE_1)
	s_and_not1_b32 vcc_lo, exec_lo, s0
	s_cbranch_vccnz .LBB233_2219
; %bb.2215:
	v_cmp_lt_i16_e32 vcc_lo, 0, v11
	s_mov_b32 s0, -1
	s_cbranch_vccz .LBB233_2217
; %bb.2216:
	v_cvt_i32_f32_e32 v5, v4
	s_mov_b32 s0, 0
	global_store_b8 v[2:3], v5, off
.LBB233_2217:
	s_and_not1_b32 vcc_lo, exec_lo, s0
	s_cbranch_vccnz .LBB233_2219
; %bb.2218:
	v_trunc_f32_e32 v4, v4
	s_delay_alu instid0(VALU_DEP_1) | instskip(NEXT) | instid1(VALU_DEP_1)
	v_mul_f32_e64 v5, 0x2f800000, |v4|
	v_floor_f32_e32 v5, v5
	s_delay_alu instid0(VALU_DEP_1) | instskip(SKIP_1) | instid1(VALU_DEP_2)
	v_fma_f32 v5, 0xcf800000, v5, |v4|
	v_ashrrev_i32_e32 v4, 31, v4
	v_cvt_u32_f32_e32 v5, v5
	s_delay_alu instid0(VALU_DEP_1) | instskip(NEXT) | instid1(VALU_DEP_1)
	v_xor_b32_e32 v5, v5, v4
	v_sub_nc_u32_e32 v4, v5, v4
	global_store_b8 v[2:3], v4, off
.LBB233_2219:
	s_mov_b32 s3, -1
.LBB233_2220:
	s_delay_alu instid0(SALU_CYCLE_1)
	s_and_not1_b32 vcc_lo, exec_lo, s3
	s_cbranch_vccnz .LBB233_2415
; %bb.2221:
	v_cmp_gt_i16_e32 vcc_lo, 11, v11
	v_add_co_u32 v1, s0, s4, v1
	s_delay_alu instid0(VALU_DEP_1)
	v_add_co_ci_u32_e64 v2, null, s5, 0, s0
	s_mov_b32 s3, 0
	s_mov_b32 s0, -1
	s_cbranch_vccnz .LBB233_2299
; %bb.2222:
	v_cmp_lt_i16_e32 vcc_lo, 25, v11
	s_mov_b32 s6, -1
	s_mov_b32 s1, 0
	s_mov_b32 s0, 0
	s_cbranch_vccz .LBB233_2255
; %bb.2223:
	v_cmp_lt_i16_e32 vcc_lo, 28, v11
	s_cbranch_vccz .LBB233_2238
; %bb.2224:
	v_cmp_lt_i16_e32 vcc_lo, 43, v11
	s_cbranch_vccz .LBB233_2234
; %bb.2225:
	v_cmp_lt_i16_e32 vcc_lo, 45, v11
	s_cbranch_vccz .LBB233_2228
; %bb.2226:
	v_cmp_eq_u16_e32 vcc_lo, 46, v11
	s_mov_b32 s0, -1
	s_mov_b32 s6, 0
	s_cbranch_vccz .LBB233_2228
; %bb.2227:
	v_bfe_u32 v3, v10, 16, 1
	v_bfe_u32 v4, v6, 16, 1
	v_cmp_o_f32_e32 vcc_lo, v10, v10
	s_mov_b32 s0, 0
	s_mov_b32 s3, -1
	v_add3_u32 v3, v10, v3, 0x7fff
	v_add3_u32 v4, v6, v4, 0x7fff
	s_delay_alu instid0(VALU_DEP_2) | instskip(NEXT) | instid1(VALU_DEP_2)
	v_and_b32_e32 v3, 0xffff0000, v3
	v_lshrrev_b32_e32 v4, 16, v4
	s_delay_alu instid0(VALU_DEP_2) | instskip(SKIP_1) | instid1(VALU_DEP_3)
	v_cndmask_b32_e32 v3, 0x7fc00000, v3, vcc_lo
	v_cmp_o_f32_e32 vcc_lo, v6, v6
	v_cndmask_b32_e32 v4, 0x7fc0, v4, vcc_lo
	s_delay_alu instid0(VALU_DEP_1)
	v_or_b32_e32 v3, v3, v4
	global_store_b32 v[1:2], v3, off
.LBB233_2228:
	s_and_b32 vcc_lo, exec_lo, s6
	s_cbranch_vccz .LBB233_2233
; %bb.2229:
	v_cmp_eq_u16_e32 vcc_lo, 44, v11
	s_mov_b32 s0, -1
	s_cbranch_vccz .LBB233_2233
; %bb.2230:
	v_bfe_u32 v4, v6, 23, 8
	v_mov_b32_e32 v3, 0xff
	s_mov_b32 s3, exec_lo
	s_delay_alu instid0(VALU_DEP_2)
	v_cmpx_ne_u32_e32 0xff, v4
; %bb.2231:
	v_and_b32_e32 v3, 0x400000, v6
	v_and_or_b32 v4, 0x3fffff, v6, v4
	s_delay_alu instid0(VALU_DEP_2) | instskip(NEXT) | instid1(VALU_DEP_2)
	v_cmp_ne_u32_e32 vcc_lo, 0, v3
	v_cmp_ne_u32_e64 s0, 0, v4
	v_lshrrev_b32_e32 v3, 23, v6
	s_delay_alu instid0(VALU_DEP_2) | instskip(NEXT) | instid1(SALU_CYCLE_1)
	s_and_b32 s0, vcc_lo, s0
	v_cndmask_b32_e64 v4, 0, 1, s0
	s_delay_alu instid0(VALU_DEP_1)
	v_add_nc_u32_e32 v3, v3, v4
; %bb.2232:
	s_or_b32 exec_lo, exec_lo, s3
	s_mov_b32 s0, 0
	s_mov_b32 s3, -1
	global_store_b8 v[1:2], v3, off
.LBB233_2233:
	s_mov_b32 s6, 0
.LBB233_2234:
	s_delay_alu instid0(SALU_CYCLE_1)
	s_and_b32 vcc_lo, exec_lo, s6
	s_cbranch_vccz .LBB233_2237
; %bb.2235:
	v_cmp_eq_u16_e32 vcc_lo, 29, v11
	s_mov_b32 s0, -1
	s_cbranch_vccz .LBB233_2237
; %bb.2236:
	v_trunc_f32_e32 v3, v6
	s_mov_b32 s0, 0
	s_mov_b32 s3, -1
	s_delay_alu instid0(VALU_DEP_1) | instskip(NEXT) | instid1(VALU_DEP_1)
	v_mul_f32_e32 v4, 0x2f800000, v3
	v_floor_f32_e32 v4, v4
	s_delay_alu instid0(VALU_DEP_1) | instskip(SKIP_1) | instid1(VALU_DEP_2)
	v_fmamk_f32 v3, v4, 0xcf800000, v3
	v_cvt_u32_f32_e32 v4, v4
	v_cvt_u32_f32_e32 v3, v3
	global_store_b64 v[1:2], v[3:4], off
.LBB233_2237:
	s_mov_b32 s6, 0
.LBB233_2238:
	s_delay_alu instid0(SALU_CYCLE_1)
	s_and_b32 vcc_lo, exec_lo, s6
	s_cbranch_vccz .LBB233_2254
; %bb.2239:
	v_cmp_gt_i16_e32 vcc_lo, 27, v11
	s_mov_b32 s3, -1
	s_cbranch_vccnz .LBB233_2245
; %bb.2240:
	v_cmp_lt_i16_e32 vcc_lo, 27, v11
	v_cvt_u32_f32_e32 v3, v6
	s_cbranch_vccz .LBB233_2242
; %bb.2241:
	s_mov_b32 s3, 0
	global_store_b32 v[1:2], v3, off
.LBB233_2242:
	s_and_not1_b32 vcc_lo, exec_lo, s3
	s_cbranch_vccnz .LBB233_2244
; %bb.2243:
	global_store_b16 v[1:2], v3, off
.LBB233_2244:
	s_mov_b32 s3, 0
.LBB233_2245:
	s_delay_alu instid0(SALU_CYCLE_1)
	s_and_not1_b32 vcc_lo, exec_lo, s3
	s_cbranch_vccnz .LBB233_2253
; %bb.2246:
	v_and_b32_e32 v3, 0x7fffffff, v6
	v_mov_b32_e32 v4, 0x80
	s_mov_b32 s3, exec_lo
	s_delay_alu instid0(VALU_DEP_2)
	v_cmpx_gt_u32_e32 0x43800000, v3
	s_cbranch_execz .LBB233_2252
; %bb.2247:
	v_cmp_lt_u32_e32 vcc_lo, 0x3bffffff, v3
	s_mov_b32 s6, 0
                                        ; implicit-def: $vgpr3
	s_and_saveexec_b32 s7, vcc_lo
	s_delay_alu instid0(SALU_CYCLE_1)
	s_xor_b32 s7, exec_lo, s7
	s_cbranch_execz .LBB233_2434
; %bb.2248:
	v_bfe_u32 v3, v6, 20, 1
	s_mov_b32 s6, exec_lo
	s_delay_alu instid0(VALU_DEP_1) | instskip(NEXT) | instid1(VALU_DEP_1)
	v_add3_u32 v3, v6, v3, 0x487ffff
	v_lshrrev_b32_e32 v3, 20, v3
	s_or_saveexec_b32 s7, s7
                                        ; implicit-def: $sgpr10
	s_delay_alu instid0(SALU_CYCLE_1)
	s_xor_b32 exec_lo, exec_lo, s7
	s_cbranch_execnz .LBB233_2435
.LBB233_2249:
	s_or_b32 exec_lo, exec_lo, s7
	v_mov_b32_e32 v4, s10
	s_and_saveexec_b32 s7, s6
.LBB233_2250:
	v_lshrrev_b32_e32 v4, 24, v6
	s_delay_alu instid0(VALU_DEP_1)
	v_and_or_b32 v4, 0x80, v4, v3
.LBB233_2251:
	s_or_b32 exec_lo, exec_lo, s7
.LBB233_2252:
	s_delay_alu instid0(SALU_CYCLE_1)
	s_or_b32 exec_lo, exec_lo, s3
	global_store_b8 v[1:2], v4, off
.LBB233_2253:
	s_mov_b32 s3, -1
.LBB233_2254:
	s_mov_b32 s6, 0
.LBB233_2255:
	s_delay_alu instid0(SALU_CYCLE_1)
	s_and_b32 vcc_lo, exec_lo, s6
	s_cbranch_vccz .LBB233_2295
; %bb.2256:
	v_cmp_lt_i16_e32 vcc_lo, 22, v11
	s_mov_b32 s1, -1
	s_cbranch_vccz .LBB233_2288
; %bb.2257:
	v_cmp_gt_i16_e32 vcc_lo, 24, v11
	s_cbranch_vccnz .LBB233_2277
; %bb.2258:
	v_cmp_lt_i16_e32 vcc_lo, 24, v11
	s_cbranch_vccz .LBB233_2266
; %bb.2259:
	v_and_b32_e32 v3, 0x7fffffff, v6
	v_mov_b32_e32 v4, 0x80
	s_mov_b32 s1, exec_lo
	s_delay_alu instid0(VALU_DEP_2)
	v_cmpx_gt_u32_e32 0x47800000, v3
	s_cbranch_execz .LBB233_2265
; %bb.2260:
	v_cmp_lt_u32_e32 vcc_lo, 0x37ffffff, v3
	s_mov_b32 s3, 0
                                        ; implicit-def: $vgpr3
	s_and_saveexec_b32 s6, vcc_lo
	s_delay_alu instid0(SALU_CYCLE_1)
	s_xor_b32 s6, exec_lo, s6
	s_cbranch_execz .LBB233_2440
; %bb.2261:
	v_bfe_u32 v3, v6, 21, 1
	s_mov_b32 s3, exec_lo
	s_delay_alu instid0(VALU_DEP_1) | instskip(NEXT) | instid1(VALU_DEP_1)
	v_add3_u32 v3, v6, v3, 0x88fffff
	v_lshrrev_b32_e32 v3, 21, v3
	s_or_saveexec_b32 s6, s6
                                        ; implicit-def: $sgpr7
	s_delay_alu instid0(SALU_CYCLE_1)
	s_xor_b32 exec_lo, exec_lo, s6
	s_cbranch_execnz .LBB233_2441
.LBB233_2262:
	s_or_b32 exec_lo, exec_lo, s6
	v_mov_b32_e32 v4, s7
	s_and_saveexec_b32 s6, s3
.LBB233_2263:
	v_lshrrev_b32_e32 v4, 24, v6
	s_delay_alu instid0(VALU_DEP_1)
	v_and_or_b32 v4, 0x80, v4, v3
.LBB233_2264:
	s_or_b32 exec_lo, exec_lo, s6
.LBB233_2265:
	s_delay_alu instid0(SALU_CYCLE_1)
	s_or_b32 exec_lo, exec_lo, s1
	s_mov_b32 s1, 0
	global_store_b8 v[1:2], v4, off
.LBB233_2266:
	s_and_b32 vcc_lo, exec_lo, s1
	s_cbranch_vccz .LBB233_2276
; %bb.2267:
	v_and_b32_e32 v4, 0x7fffffff, v6
	s_mov_b32 s1, exec_lo
                                        ; implicit-def: $vgpr3
	s_delay_alu instid0(VALU_DEP_1)
	v_cmpx_gt_u32_e32 0x43f00000, v4
	s_xor_b32 s1, exec_lo, s1
	s_cbranch_execz .LBB233_2273
; %bb.2268:
	s_mov_b32 s3, exec_lo
                                        ; implicit-def: $vgpr3
	v_cmpx_lt_u32_e32 0x3c7fffff, v4
	s_xor_b32 s3, exec_lo, s3
; %bb.2269:
	v_bfe_u32 v3, v6, 20, 1
	s_delay_alu instid0(VALU_DEP_1) | instskip(NEXT) | instid1(VALU_DEP_1)
	v_add3_u32 v3, v6, v3, 0x407ffff
	v_and_b32_e32 v4, 0xff00000, v3
	v_lshrrev_b32_e32 v3, 20, v3
	s_delay_alu instid0(VALU_DEP_2) | instskip(NEXT) | instid1(VALU_DEP_2)
	v_cmp_ne_u32_e32 vcc_lo, 0x7f00000, v4
	v_cndmask_b32_e32 v3, 0x7e, v3, vcc_lo
; %bb.2270:
	s_and_not1_saveexec_b32 s3, s3
; %bb.2271:
	v_add_f32_e64 v3, 0x46800000, |v6|
; %bb.2272:
	s_or_b32 exec_lo, exec_lo, s3
                                        ; implicit-def: $vgpr4
.LBB233_2273:
	s_and_not1_saveexec_b32 s1, s1
; %bb.2274:
	v_mov_b32_e32 v3, 0x7f
	v_cmp_lt_u32_e32 vcc_lo, 0x7f800000, v4
	s_delay_alu instid0(VALU_DEP_2)
	v_cndmask_b32_e32 v3, 0x7e, v3, vcc_lo
; %bb.2275:
	s_or_b32 exec_lo, exec_lo, s1
	v_lshrrev_b32_e32 v4, 24, v6
	s_delay_alu instid0(VALU_DEP_1)
	v_and_or_b32 v3, 0x80, v4, v3
	global_store_b8 v[1:2], v3, off
.LBB233_2276:
	s_mov_b32 s1, 0
.LBB233_2277:
	s_delay_alu instid0(SALU_CYCLE_1)
	s_and_not1_b32 vcc_lo, exec_lo, s1
	s_cbranch_vccnz .LBB233_2287
; %bb.2278:
	v_and_b32_e32 v4, 0x7fffffff, v6
	s_mov_b32 s1, exec_lo
                                        ; implicit-def: $vgpr3
	s_delay_alu instid0(VALU_DEP_1)
	v_cmpx_gt_u32_e32 0x47800000, v4
	s_xor_b32 s1, exec_lo, s1
	s_cbranch_execz .LBB233_2284
; %bb.2279:
	s_mov_b32 s3, exec_lo
                                        ; implicit-def: $vgpr3
	v_cmpx_lt_u32_e32 0x387fffff, v4
	s_xor_b32 s3, exec_lo, s3
; %bb.2280:
	v_bfe_u32 v3, v6, 21, 1
	s_delay_alu instid0(VALU_DEP_1) | instskip(NEXT) | instid1(VALU_DEP_1)
	v_add3_u32 v3, v6, v3, 0x80fffff
	v_lshrrev_b32_e32 v3, 21, v3
; %bb.2281:
	s_and_not1_saveexec_b32 s3, s3
; %bb.2282:
	v_add_f32_e64 v3, 0x43000000, |v6|
; %bb.2283:
	s_or_b32 exec_lo, exec_lo, s3
                                        ; implicit-def: $vgpr4
.LBB233_2284:
	s_and_not1_saveexec_b32 s1, s1
; %bb.2285:
	v_mov_b32_e32 v3, 0x7f
	v_cmp_lt_u32_e32 vcc_lo, 0x7f800000, v4
	s_delay_alu instid0(VALU_DEP_2)
	v_cndmask_b32_e32 v3, 0x7c, v3, vcc_lo
; %bb.2286:
	s_or_b32 exec_lo, exec_lo, s1
	v_lshrrev_b32_e32 v4, 24, v6
	s_delay_alu instid0(VALU_DEP_1)
	v_and_or_b32 v3, 0x80, v4, v3
	global_store_b8 v[1:2], v3, off
.LBB233_2287:
	s_mov_b32 s1, 0
	s_mov_b32 s3, -1
.LBB233_2288:
	s_and_not1_b32 vcc_lo, exec_lo, s1
	s_mov_b32 s1, 0
	s_cbranch_vccnz .LBB233_2295
; %bb.2289:
	v_cmp_lt_i16_e32 vcc_lo, 14, v11
	s_mov_b32 s1, -1
	s_cbranch_vccz .LBB233_2293
; %bb.2290:
	v_cmp_eq_u16_e32 vcc_lo, 15, v11
	s_mov_b32 s0, -1
	s_cbranch_vccz .LBB233_2292
; %bb.2291:
	v_bfe_u32 v3, v6, 16, 1
	v_cmp_o_f32_e32 vcc_lo, v6, v6
	s_mov_b32 s0, 0
	s_mov_b32 s3, -1
	s_delay_alu instid0(VALU_DEP_2) | instskip(NEXT) | instid1(VALU_DEP_1)
	v_add3_u32 v3, v6, v3, 0x7fff
	v_lshrrev_b32_e32 v3, 16, v3
	s_delay_alu instid0(VALU_DEP_1)
	v_cndmask_b32_e32 v3, 0x7fc0, v3, vcc_lo
	global_store_b16 v[1:2], v3, off
.LBB233_2292:
	s_mov_b32 s1, 0
.LBB233_2293:
	s_delay_alu instid0(SALU_CYCLE_1)
	s_and_b32 vcc_lo, exec_lo, s1
	s_mov_b32 s1, 0
	s_cbranch_vccz .LBB233_2295
; %bb.2294:
	v_cmp_ne_u16_e64 s0, 11, v11
	s_mov_b32 s1, -1
.LBB233_2295:
	s_delay_alu instid0(VALU_DEP_1)
	s_and_b32 vcc_lo, exec_lo, s0
	s_cbranch_vccnz .LBB233_2438
; %bb.2296:
	s_and_not1_b32 vcc_lo, exec_lo, s1
	s_cbranch_vccnz .LBB233_2298
.LBB233_2297:
	v_cmp_neq_f32_e32 vcc_lo, 0, v6
	v_cmp_neq_f32_e64 s0, 0, v10
	s_mov_b32 s3, -1
	s_delay_alu instid0(VALU_DEP_1) | instskip(NEXT) | instid1(SALU_CYCLE_1)
	s_or_b32 s0, vcc_lo, s0
	v_cndmask_b32_e64 v3, 0, 1, s0
	global_store_b8 v[1:2], v3, off
.LBB233_2298:
	s_mov_b32 s0, 0
.LBB233_2299:
	s_delay_alu instid0(SALU_CYCLE_1)
	s_and_b32 vcc_lo, exec_lo, s0
	s_cbranch_vccz .LBB233_2338
; %bb.2300:
	v_cmp_gt_i16_e32 vcc_lo, 5, v11
	s_mov_b32 s0, -1
	s_cbranch_vccnz .LBB233_2321
; %bb.2301:
	v_cmp_gt_i16_e32 vcc_lo, 8, v11
	s_cbranch_vccnz .LBB233_2311
; %bb.2302:
	v_cmp_gt_i16_e32 vcc_lo, 9, v11
	s_cbranch_vccnz .LBB233_2308
; %bb.2303:
	v_cmp_lt_i16_e32 vcc_lo, 9, v11
	s_cbranch_vccz .LBB233_2305
; %bb.2304:
	v_cvt_f64_f32_e32 v[14:15], v6
	v_cvt_f64_f32_e32 v[16:17], v10
	s_mov_b32 s0, 0
	global_store_b128 v[1:2], v[14:17], off
.LBB233_2305:
	s_and_not1_b32 vcc_lo, exec_lo, s0
	s_cbranch_vccnz .LBB233_2307
; %bb.2306:
	v_mov_b32_e32 v7, v10
	global_store_b64 v[1:2], v[6:7], off
.LBB233_2307:
	s_mov_b32 s0, 0
.LBB233_2308:
	s_delay_alu instid0(SALU_CYCLE_1)
	s_and_not1_b32 vcc_lo, exec_lo, s0
	s_cbranch_vccnz .LBB233_2310
; %bb.2309:
	v_cvt_f16_f32_e32 v3, v10
	v_cvt_f16_f32_e32 v4, v6
	s_delay_alu instid0(VALU_DEP_2) | instskip(NEXT) | instid1(VALU_DEP_2)
	v_lshlrev_b32_e32 v3, 16, v3
	v_and_b32_e32 v4, 0xffff, v4
	s_delay_alu instid0(VALU_DEP_1)
	v_or_b32_e32 v3, v3, v4
	global_store_b32 v[1:2], v3, off
.LBB233_2310:
	s_mov_b32 s0, 0
.LBB233_2311:
	s_delay_alu instid0(SALU_CYCLE_1)
	s_and_not1_b32 vcc_lo, exec_lo, s0
	s_cbranch_vccnz .LBB233_2320
; %bb.2312:
	v_cmp_gt_i16_e32 vcc_lo, 6, v11
	s_mov_b32 s0, -1
	s_cbranch_vccnz .LBB233_2318
; %bb.2313:
	v_cmp_lt_i16_e32 vcc_lo, 6, v11
	s_cbranch_vccz .LBB233_2315
; %bb.2314:
	v_cvt_f64_f32_e32 v[3:4], v6
	s_mov_b32 s0, 0
	global_store_b64 v[1:2], v[3:4], off
.LBB233_2315:
	s_and_not1_b32 vcc_lo, exec_lo, s0
	s_cbranch_vccnz .LBB233_2317
; %bb.2316:
	global_store_b32 v[1:2], v6, off
.LBB233_2317:
	s_mov_b32 s0, 0
.LBB233_2318:
	s_delay_alu instid0(SALU_CYCLE_1)
	s_and_not1_b32 vcc_lo, exec_lo, s0
	s_cbranch_vccnz .LBB233_2320
; %bb.2319:
	v_cvt_f16_f32_e32 v3, v6
	global_store_b16 v[1:2], v3, off
.LBB233_2320:
	s_mov_b32 s0, 0
.LBB233_2321:
	s_delay_alu instid0(SALU_CYCLE_1)
	s_and_not1_b32 vcc_lo, exec_lo, s0
	s_cbranch_vccnz .LBB233_2337
; %bb.2322:
	v_cmp_gt_i16_e32 vcc_lo, 2, v11
	s_mov_b32 s0, -1
	s_cbranch_vccnz .LBB233_2332
; %bb.2323:
	v_cmp_gt_i16_e32 vcc_lo, 3, v11
	s_cbranch_vccnz .LBB233_2329
; %bb.2324:
	v_cmp_lt_i16_e32 vcc_lo, 3, v11
	s_cbranch_vccz .LBB233_2326
; %bb.2325:
	v_trunc_f32_e32 v3, v6
	s_mov_b32 s0, 0
	s_delay_alu instid0(VALU_DEP_1) | instskip(SKIP_1) | instid1(VALU_DEP_2)
	v_mul_f32_e64 v4, 0x2f800000, |v3|
	v_ashrrev_i32_e32 v7, 31, v3
	v_floor_f32_e32 v4, v4
	s_delay_alu instid0(VALU_DEP_1) | instskip(SKIP_1) | instid1(VALU_DEP_2)
	v_fma_f32 v5, 0xcf800000, v4, |v3|
	v_cvt_u32_f32_e32 v4, v4
	v_cvt_u32_f32_e32 v3, v5
	s_delay_alu instid0(VALU_DEP_2) | instskip(NEXT) | instid1(VALU_DEP_2)
	v_xor_b32_e32 v4, v4, v7
	v_xor_b32_e32 v3, v3, v7
	s_delay_alu instid0(VALU_DEP_1) | instskip(NEXT) | instid1(VALU_DEP_3)
	v_sub_co_u32 v3, vcc_lo, v3, v7
	v_sub_co_ci_u32_e32 v4, vcc_lo, v4, v7, vcc_lo
	global_store_b64 v[1:2], v[3:4], off
.LBB233_2326:
	s_and_not1_b32 vcc_lo, exec_lo, s0
	s_cbranch_vccnz .LBB233_2328
; %bb.2327:
	v_cvt_i32_f32_e32 v3, v6
	global_store_b32 v[1:2], v3, off
.LBB233_2328:
	s_mov_b32 s0, 0
.LBB233_2329:
	s_delay_alu instid0(SALU_CYCLE_1)
	s_and_not1_b32 vcc_lo, exec_lo, s0
	s_cbranch_vccnz .LBB233_2331
; %bb.2330:
	v_cvt_i32_f32_e32 v3, v6
	global_store_b16 v[1:2], v3, off
.LBB233_2331:
	s_mov_b32 s0, 0
.LBB233_2332:
	s_delay_alu instid0(SALU_CYCLE_1)
	s_and_not1_b32 vcc_lo, exec_lo, s0
	s_cbranch_vccnz .LBB233_2337
; %bb.2333:
	v_cmp_lt_i16_e32 vcc_lo, 0, v11
	s_mov_b32 s0, -1
	s_cbranch_vccz .LBB233_2335
; %bb.2334:
	v_cvt_i32_f32_e32 v3, v6
	s_mov_b32 s0, 0
	global_store_b8 v[1:2], v3, off
.LBB233_2335:
	s_and_not1_b32 vcc_lo, exec_lo, s0
	s_cbranch_vccnz .LBB233_2337
; %bb.2336:
	v_trunc_f32_e32 v3, v6
	s_delay_alu instid0(VALU_DEP_1) | instskip(NEXT) | instid1(VALU_DEP_1)
	v_mul_f32_e64 v4, 0x2f800000, |v3|
	v_floor_f32_e32 v4, v4
	s_delay_alu instid0(VALU_DEP_1) | instskip(SKIP_1) | instid1(VALU_DEP_2)
	v_fma_f32 v4, 0xcf800000, v4, |v3|
	v_ashrrev_i32_e32 v3, 31, v3
	v_cvt_u32_f32_e32 v4, v4
	s_delay_alu instid0(VALU_DEP_1) | instskip(NEXT) | instid1(VALU_DEP_1)
	v_xor_b32_e32 v4, v4, v3
	v_sub_nc_u32_e32 v3, v4, v3
	global_store_b8 v[1:2], v3, off
.LBB233_2337:
	s_mov_b32 s3, -1
.LBB233_2338:
	s_delay_alu instid0(SALU_CYCLE_1)
	s_and_not1_b32 vcc_lo, exec_lo, s3
	s_cbranch_vccnz .LBB233_2415
; %bb.2339:
	v_cmp_gt_i16_e32 vcc_lo, 11, v11
	v_add_co_u32 v0, s0, s4, v0
	s_delay_alu instid0(VALU_DEP_1)
	v_add_co_ci_u32_e64 v1, null, s5, 0, s0
	s_mov_b32 s1, 0
	s_mov_b32 s0, -1
	s_cbranch_vccnz .LBB233_1923
; %bb.2340:
	v_cmp_lt_i16_e32 vcc_lo, 25, v11
	s_mov_b32 s3, -1
	s_mov_b32 s0, 0
	s_cbranch_vccz .LBB233_2373
; %bb.2341:
	v_cmp_lt_i16_e32 vcc_lo, 28, v11
	s_cbranch_vccz .LBB233_2357
; %bb.2342:
	v_cmp_lt_i16_e32 vcc_lo, 43, v11
	;; [unrolled: 3-line block ×3, first 2 shown]
	s_cbranch_vccz .LBB233_2347
; %bb.2344:
	v_cmp_eq_u16_e32 vcc_lo, 46, v11
	s_mov_b32 s0, -1
	s_cbranch_vccz .LBB233_2346
; %bb.2345:
	v_bfe_u32 v2, v12, 16, 1
	v_bfe_u32 v3, v13, 16, 1
	v_cmp_o_f32_e32 vcc_lo, v12, v12
	s_mov_b32 s0, 0
	s_delay_alu instid0(VALU_DEP_3) | instskip(NEXT) | instid1(VALU_DEP_3)
	v_add3_u32 v2, v12, v2, 0x7fff
	v_add3_u32 v3, v13, v3, 0x7fff
	s_delay_alu instid0(VALU_DEP_2) | instskip(NEXT) | instid1(VALU_DEP_2)
	v_and_b32_e32 v2, 0xffff0000, v2
	v_lshrrev_b32_e32 v3, 16, v3
	s_delay_alu instid0(VALU_DEP_2) | instskip(SKIP_1) | instid1(VALU_DEP_3)
	v_cndmask_b32_e32 v2, 0x7fc00000, v2, vcc_lo
	v_cmp_o_f32_e32 vcc_lo, v13, v13
	v_cndmask_b32_e32 v3, 0x7fc0, v3, vcc_lo
	s_delay_alu instid0(VALU_DEP_1)
	v_or_b32_e32 v2, v2, v3
	global_store_b32 v[0:1], v2, off
.LBB233_2346:
	s_mov_b32 s3, 0
.LBB233_2347:
	s_delay_alu instid0(SALU_CYCLE_1)
	s_and_b32 vcc_lo, exec_lo, s3
	s_cbranch_vccz .LBB233_2352
; %bb.2348:
	v_cmp_eq_u16_e32 vcc_lo, 44, v11
	s_mov_b32 s0, -1
	s_cbranch_vccz .LBB233_2352
; %bb.2349:
	v_bfe_u32 v3, v13, 23, 8
	v_mov_b32_e32 v2, 0xff
	s_mov_b32 s3, exec_lo
	s_delay_alu instid0(VALU_DEP_2)
	v_cmpx_ne_u32_e32 0xff, v3
; %bb.2350:
	v_and_b32_e32 v2, 0x400000, v13
	v_and_or_b32 v3, 0x3fffff, v13, v3
	s_delay_alu instid0(VALU_DEP_2) | instskip(NEXT) | instid1(VALU_DEP_2)
	v_cmp_ne_u32_e32 vcc_lo, 0, v2
	v_cmp_ne_u32_e64 s0, 0, v3
	v_lshrrev_b32_e32 v2, 23, v13
	s_delay_alu instid0(VALU_DEP_2) | instskip(NEXT) | instid1(SALU_CYCLE_1)
	s_and_b32 s0, vcc_lo, s0
	v_cndmask_b32_e64 v3, 0, 1, s0
	s_delay_alu instid0(VALU_DEP_1)
	v_add_nc_u32_e32 v2, v2, v3
; %bb.2351:
	s_or_b32 exec_lo, exec_lo, s3
	s_mov_b32 s0, 0
	global_store_b8 v[0:1], v2, off
.LBB233_2352:
	s_mov_b32 s3, 0
.LBB233_2353:
	s_delay_alu instid0(SALU_CYCLE_1)
	s_and_b32 vcc_lo, exec_lo, s3
	s_cbranch_vccz .LBB233_2356
; %bb.2354:
	v_cmp_eq_u16_e32 vcc_lo, 29, v11
	s_mov_b32 s0, -1
	s_cbranch_vccz .LBB233_2356
; %bb.2355:
	v_trunc_f32_e32 v2, v13
	s_mov_b32 s0, 0
	s_delay_alu instid0(VALU_DEP_1) | instskip(NEXT) | instid1(VALU_DEP_1)
	v_mul_f32_e32 v3, 0x2f800000, v2
	v_floor_f32_e32 v3, v3
	s_delay_alu instid0(VALU_DEP_1) | instskip(SKIP_1) | instid1(VALU_DEP_2)
	v_fmamk_f32 v2, v3, 0xcf800000, v2
	v_cvt_u32_f32_e32 v3, v3
	v_cvt_u32_f32_e32 v2, v2
	global_store_b64 v[0:1], v[2:3], off
.LBB233_2356:
	s_mov_b32 s3, 0
.LBB233_2357:
	s_delay_alu instid0(SALU_CYCLE_1)
	s_and_b32 vcc_lo, exec_lo, s3
	s_cbranch_vccz .LBB233_2372
; %bb.2358:
	v_cmp_gt_i16_e32 vcc_lo, 27, v11
	s_mov_b32 s3, -1
	s_cbranch_vccnz .LBB233_2364
; %bb.2359:
	v_cmp_lt_i16_e32 vcc_lo, 27, v11
	v_cvt_u32_f32_e32 v2, v13
	s_cbranch_vccz .LBB233_2361
; %bb.2360:
	s_mov_b32 s3, 0
	global_store_b32 v[0:1], v2, off
.LBB233_2361:
	s_and_not1_b32 vcc_lo, exec_lo, s3
	s_cbranch_vccnz .LBB233_2363
; %bb.2362:
	global_store_b16 v[0:1], v2, off
.LBB233_2363:
	s_mov_b32 s3, 0
.LBB233_2364:
	s_delay_alu instid0(SALU_CYCLE_1)
	s_and_not1_b32 vcc_lo, exec_lo, s3
	s_cbranch_vccnz .LBB233_2372
; %bb.2365:
	v_and_b32_e32 v2, 0x7fffffff, v13
	v_mov_b32_e32 v3, 0x80
	s_mov_b32 s3, exec_lo
	s_delay_alu instid0(VALU_DEP_2)
	v_cmpx_gt_u32_e32 0x43800000, v2
	s_cbranch_execz .LBB233_2371
; %bb.2366:
	v_cmp_lt_u32_e32 vcc_lo, 0x3bffffff, v2
	s_mov_b32 s4, 0
                                        ; implicit-def: $vgpr2
	s_and_saveexec_b32 s5, vcc_lo
	s_delay_alu instid0(SALU_CYCLE_1)
	s_xor_b32 s5, exec_lo, s5
	s_cbranch_execz .LBB233_2442
; %bb.2367:
	v_bfe_u32 v2, v13, 20, 1
	s_mov_b32 s4, exec_lo
	s_delay_alu instid0(VALU_DEP_1) | instskip(NEXT) | instid1(VALU_DEP_1)
	v_add3_u32 v2, v13, v2, 0x487ffff
	v_lshrrev_b32_e32 v2, 20, v2
	s_or_saveexec_b32 s5, s5
                                        ; implicit-def: $sgpr6
	s_delay_alu instid0(SALU_CYCLE_1)
	s_xor_b32 exec_lo, exec_lo, s5
	s_cbranch_execnz .LBB233_2443
.LBB233_2368:
	s_or_b32 exec_lo, exec_lo, s5
	v_mov_b32_e32 v3, s6
	s_and_saveexec_b32 s5, s4
.LBB233_2369:
	v_lshrrev_b32_e32 v3, 24, v13
	s_delay_alu instid0(VALU_DEP_1)
	v_and_or_b32 v3, 0x80, v3, v2
.LBB233_2370:
	s_or_b32 exec_lo, exec_lo, s5
.LBB233_2371:
	s_delay_alu instid0(SALU_CYCLE_1)
	s_or_b32 exec_lo, exec_lo, s3
	global_store_b8 v[0:1], v3, off
.LBB233_2372:
	s_mov_b32 s3, 0
.LBB233_2373:
	s_delay_alu instid0(SALU_CYCLE_1)
	s_and_b32 vcc_lo, exec_lo, s3
	s_cbranch_vccz .LBB233_2413
; %bb.2374:
	v_cmp_lt_i16_e32 vcc_lo, 22, v11
	s_mov_b32 s1, -1
	s_cbranch_vccz .LBB233_2406
; %bb.2375:
	v_cmp_gt_i16_e32 vcc_lo, 24, v11
	s_cbranch_vccnz .LBB233_2395
; %bb.2376:
	v_cmp_lt_i16_e32 vcc_lo, 24, v11
	s_cbranch_vccz .LBB233_2384
; %bb.2377:
	v_and_b32_e32 v2, 0x7fffffff, v13
	v_mov_b32_e32 v3, 0x80
	s_mov_b32 s1, exec_lo
	s_delay_alu instid0(VALU_DEP_2)
	v_cmpx_gt_u32_e32 0x47800000, v2
	s_cbranch_execz .LBB233_2383
; %bb.2378:
	v_cmp_lt_u32_e32 vcc_lo, 0x37ffffff, v2
	s_mov_b32 s3, 0
                                        ; implicit-def: $vgpr2
	s_and_saveexec_b32 s4, vcc_lo
	s_delay_alu instid0(SALU_CYCLE_1)
	s_xor_b32 s4, exec_lo, s4
	s_cbranch_execz .LBB233_2448
; %bb.2379:
	v_bfe_u32 v2, v13, 21, 1
	s_mov_b32 s3, exec_lo
	s_delay_alu instid0(VALU_DEP_1) | instskip(NEXT) | instid1(VALU_DEP_1)
	v_add3_u32 v2, v13, v2, 0x88fffff
	v_lshrrev_b32_e32 v2, 21, v2
	s_or_saveexec_b32 s4, s4
                                        ; implicit-def: $sgpr5
	s_delay_alu instid0(SALU_CYCLE_1)
	s_xor_b32 exec_lo, exec_lo, s4
	s_cbranch_execnz .LBB233_2449
.LBB233_2380:
	s_or_b32 exec_lo, exec_lo, s4
	v_mov_b32_e32 v3, s5
	s_and_saveexec_b32 s4, s3
.LBB233_2381:
	v_lshrrev_b32_e32 v3, 24, v13
	s_delay_alu instid0(VALU_DEP_1)
	v_and_or_b32 v3, 0x80, v3, v2
.LBB233_2382:
	s_or_b32 exec_lo, exec_lo, s4
.LBB233_2383:
	s_delay_alu instid0(SALU_CYCLE_1)
	s_or_b32 exec_lo, exec_lo, s1
	s_mov_b32 s1, 0
	global_store_b8 v[0:1], v3, off
.LBB233_2384:
	s_and_b32 vcc_lo, exec_lo, s1
	s_cbranch_vccz .LBB233_2394
; %bb.2385:
	v_and_b32_e32 v3, 0x7fffffff, v13
	s_mov_b32 s1, exec_lo
                                        ; implicit-def: $vgpr2
	s_delay_alu instid0(VALU_DEP_1)
	v_cmpx_gt_u32_e32 0x43f00000, v3
	s_xor_b32 s1, exec_lo, s1
	s_cbranch_execz .LBB233_2391
; %bb.2386:
	s_mov_b32 s3, exec_lo
                                        ; implicit-def: $vgpr2
	v_cmpx_lt_u32_e32 0x3c7fffff, v3
	s_xor_b32 s3, exec_lo, s3
; %bb.2387:
	v_bfe_u32 v2, v13, 20, 1
	s_delay_alu instid0(VALU_DEP_1) | instskip(NEXT) | instid1(VALU_DEP_1)
	v_add3_u32 v2, v13, v2, 0x407ffff
	v_and_b32_e32 v3, 0xff00000, v2
	v_lshrrev_b32_e32 v2, 20, v2
	s_delay_alu instid0(VALU_DEP_2) | instskip(NEXT) | instid1(VALU_DEP_2)
	v_cmp_ne_u32_e32 vcc_lo, 0x7f00000, v3
	v_cndmask_b32_e32 v2, 0x7e, v2, vcc_lo
; %bb.2388:
	s_and_not1_saveexec_b32 s3, s3
; %bb.2389:
	v_add_f32_e64 v2, 0x46800000, |v13|
; %bb.2390:
	s_or_b32 exec_lo, exec_lo, s3
                                        ; implicit-def: $vgpr3
.LBB233_2391:
	s_and_not1_saveexec_b32 s1, s1
; %bb.2392:
	v_mov_b32_e32 v2, 0x7f
	v_cmp_lt_u32_e32 vcc_lo, 0x7f800000, v3
	s_delay_alu instid0(VALU_DEP_2)
	v_cndmask_b32_e32 v2, 0x7e, v2, vcc_lo
; %bb.2393:
	s_or_b32 exec_lo, exec_lo, s1
	v_lshrrev_b32_e32 v3, 24, v13
	s_delay_alu instid0(VALU_DEP_1)
	v_and_or_b32 v2, 0x80, v3, v2
	global_store_b8 v[0:1], v2, off
.LBB233_2394:
	s_mov_b32 s1, 0
.LBB233_2395:
	s_delay_alu instid0(SALU_CYCLE_1)
	s_and_not1_b32 vcc_lo, exec_lo, s1
	s_cbranch_vccnz .LBB233_2405
; %bb.2396:
	v_and_b32_e32 v3, 0x7fffffff, v13
	s_mov_b32 s1, exec_lo
                                        ; implicit-def: $vgpr2
	s_delay_alu instid0(VALU_DEP_1)
	v_cmpx_gt_u32_e32 0x47800000, v3
	s_xor_b32 s1, exec_lo, s1
	s_cbranch_execz .LBB233_2402
; %bb.2397:
	s_mov_b32 s3, exec_lo
                                        ; implicit-def: $vgpr2
	v_cmpx_lt_u32_e32 0x387fffff, v3
	s_xor_b32 s3, exec_lo, s3
; %bb.2398:
	v_bfe_u32 v2, v13, 21, 1
	s_delay_alu instid0(VALU_DEP_1) | instskip(NEXT) | instid1(VALU_DEP_1)
	v_add3_u32 v2, v13, v2, 0x80fffff
	v_lshrrev_b32_e32 v2, 21, v2
; %bb.2399:
	s_and_not1_saveexec_b32 s3, s3
; %bb.2400:
	v_add_f32_e64 v2, 0x43000000, |v13|
; %bb.2401:
	s_or_b32 exec_lo, exec_lo, s3
                                        ; implicit-def: $vgpr3
.LBB233_2402:
	s_and_not1_saveexec_b32 s1, s1
; %bb.2403:
	v_mov_b32_e32 v2, 0x7f
	v_cmp_lt_u32_e32 vcc_lo, 0x7f800000, v3
	s_delay_alu instid0(VALU_DEP_2)
	v_cndmask_b32_e32 v2, 0x7c, v2, vcc_lo
; %bb.2404:
	s_or_b32 exec_lo, exec_lo, s1
	v_lshrrev_b32_e32 v3, 24, v13
	s_delay_alu instid0(VALU_DEP_1)
	v_and_or_b32 v2, 0x80, v3, v2
	global_store_b8 v[0:1], v2, off
.LBB233_2405:
	s_mov_b32 s1, 0
.LBB233_2406:
	s_delay_alu instid0(SALU_CYCLE_1)
	s_and_not1_b32 vcc_lo, exec_lo, s1
	s_mov_b32 s1, 0
	s_cbranch_vccnz .LBB233_2413
; %bb.2407:
	v_cmp_lt_i16_e32 vcc_lo, 14, v11
	s_mov_b32 s1, -1
	s_cbranch_vccz .LBB233_2411
; %bb.2408:
	v_cmp_eq_u16_e32 vcc_lo, 15, v11
	s_mov_b32 s0, -1
	s_cbranch_vccz .LBB233_2410
; %bb.2409:
	v_bfe_u32 v2, v13, 16, 1
	v_cmp_o_f32_e32 vcc_lo, v13, v13
	s_mov_b32 s0, 0
	s_delay_alu instid0(VALU_DEP_2) | instskip(NEXT) | instid1(VALU_DEP_1)
	v_add3_u32 v2, v13, v2, 0x7fff
	v_lshrrev_b32_e32 v2, 16, v2
	s_delay_alu instid0(VALU_DEP_1)
	v_cndmask_b32_e32 v2, 0x7fc0, v2, vcc_lo
	global_store_b16 v[0:1], v2, off
.LBB233_2410:
	s_mov_b32 s1, 0
.LBB233_2411:
	s_delay_alu instid0(SALU_CYCLE_1)
	s_and_b32 vcc_lo, exec_lo, s1
	s_mov_b32 s1, 0
	s_cbranch_vccz .LBB233_2413
; %bb.2412:
	v_cmp_ne_u16_e64 s0, 11, v11
	s_mov_b32 s1, -1
.LBB233_2413:
	s_delay_alu instid0(VALU_DEP_1)
	s_and_b32 vcc_lo, exec_lo, s0
	s_cbranch_vccnz .LBB233_2446
.LBB233_2414:
	s_mov_b32 s0, 0
	s_branch .LBB233_1923
.LBB233_2415:
	s_mov_b32 s0, 0
	s_mov_b32 s1, 0
                                        ; implicit-def: $vgpr0_vgpr1
                                        ; implicit-def: $vgpr11
	s_branch .LBB233_1923
.LBB233_2416:
	s_cbranch_execnz .LBB233_2420
; %bb.2417:
	s_or_b32 s2, s2, exec_lo
                                        ; implicit-def: $vgpr12
	s_cbranch_execz .LBB233_1856
	s_branch .LBB233_1857
.LBB233_2418:
	s_or_saveexec_b32 s7, s7
                                        ; implicit-def: $sgpr10
	s_delay_alu instid0(SALU_CYCLE_1)
	s_xor_b32 exec_lo, exec_lo, s7
	s_cbranch_execz .LBB233_2013
.LBB233_2419:
	v_add_f32_e64 v3, 0x46000000, |v8|
	s_and_not1_b32 s6, s6, exec_lo
	s_mov_b32 s10, 0
	s_delay_alu instid0(VALU_DEP_1) | instskip(NEXT) | instid1(VALU_DEP_1)
	v_and_b32_e32 v3, 0xff, v3
	v_cmp_ne_u32_e32 vcc_lo, 0, v3
	s_and_b32 s11, vcc_lo, exec_lo
	s_delay_alu instid0(SALU_CYCLE_1)
	s_or_b32 s6, s6, s11
	s_or_b32 exec_lo, exec_lo, s7
	v_mov_b32_e32 v9, s10
	s_and_saveexec_b32 s7, s6
	s_cbranch_execnz .LBB233_2014
	s_branch .LBB233_2015
.LBB233_2420:
	s_trap 2
	s_sendmsg_rtn_b32 s0, sendmsg(MSG_RTN_GET_DOORBELL)
	s_mov_b32 ttmp2, m0
	s_waitcnt lgkmcnt(0)
	s_and_b32 s0, s0, 0x3ff
	s_delay_alu instid0(SALU_CYCLE_1) | instskip(NEXT) | instid1(SALU_CYCLE_1)
	s_bitset1_b32 s0, 10
	s_mov_b32 m0, s0
	s_sendmsg sendmsg(MSG_INTERRUPT)
	s_mov_b32 m0, ttmp2
.LBB233_2421:                           ; =>This Inner Loop Header: Depth=1
	s_sethalt 5
	s_branch .LBB233_2421
.LBB233_2422:
	s_cbranch_execnz .LBB233_2428
; %bb.2423:
	s_or_b32 s2, s2, exec_lo
	s_cbranch_execz .LBB233_2061
	s_branch .LBB233_2062
.LBB233_2424:
	s_or_saveexec_b32 s6, s6
                                        ; implicit-def: $sgpr7
	s_delay_alu instid0(SALU_CYCLE_1)
	s_xor_b32 exec_lo, exec_lo, s6
	s_cbranch_execz .LBB233_2026
.LBB233_2425:
	v_add_f32_e64 v3, 0x42800000, |v8|
	s_and_not1_b32 s3, s3, exec_lo
	s_mov_b32 s7, 0
	s_delay_alu instid0(VALU_DEP_1) | instskip(NEXT) | instid1(VALU_DEP_1)
	v_and_b32_e32 v3, 0xff, v3
	v_cmp_ne_u32_e32 vcc_lo, 0, v3
	s_and_b32 s10, vcc_lo, exec_lo
	s_delay_alu instid0(SALU_CYCLE_1)
	s_or_b32 s3, s3, s10
	s_or_b32 exec_lo, exec_lo, s6
	v_mov_b32_e32 v9, s7
	s_and_saveexec_b32 s6, s3
	s_cbranch_execnz .LBB233_2027
	s_branch .LBB233_2028
.LBB233_2426:
	s_or_saveexec_b32 s7, s7
                                        ; implicit-def: $sgpr10
	s_delay_alu instid0(SALU_CYCLE_1)
	s_xor_b32 exec_lo, exec_lo, s7
	s_cbranch_execz .LBB233_2131
.LBB233_2427:
	v_add_f32_e64 v5, 0x46000000, |v4|
	s_and_not1_b32 s6, s6, exec_lo
	s_mov_b32 s10, 0
	s_delay_alu instid0(VALU_DEP_1) | instskip(NEXT) | instid1(VALU_DEP_1)
	v_and_b32_e32 v5, 0xff, v5
	v_cmp_ne_u32_e32 vcc_lo, 0, v5
	s_and_b32 s11, vcc_lo, exec_lo
	s_delay_alu instid0(SALU_CYCLE_1)
	s_or_b32 s6, s6, s11
	s_or_b32 exec_lo, exec_lo, s7
	v_mov_b32_e32 v8, s10
	s_and_saveexec_b32 s7, s6
	s_cbranch_execnz .LBB233_2132
	s_branch .LBB233_2133
.LBB233_2428:
	s_trap 2
	s_sendmsg_rtn_b32 s0, sendmsg(MSG_RTN_GET_DOORBELL)
	s_mov_b32 ttmp2, m0
	s_waitcnt lgkmcnt(0)
	s_and_b32 s0, s0, 0x3ff
	s_delay_alu instid0(SALU_CYCLE_1) | instskip(NEXT) | instid1(SALU_CYCLE_1)
	s_bitset1_b32 s0, 10
	s_mov_b32 m0, s0
	s_sendmsg sendmsg(MSG_INTERRUPT)
	s_mov_b32 m0, ttmp2
.LBB233_2429:                           ; =>This Inner Loop Header: Depth=1
	s_sethalt 5
	s_branch .LBB233_2429
.LBB233_2430:
	s_cbranch_execnz .LBB233_2436
; %bb.2431:
	s_or_b32 s2, s2, exec_lo
	s_cbranch_execz .LBB233_2179
	s_branch .LBB233_2180
.LBB233_2432:
	s_or_saveexec_b32 s6, s6
                                        ; implicit-def: $sgpr7
	s_delay_alu instid0(SALU_CYCLE_1)
	s_xor_b32 exec_lo, exec_lo, s6
	s_cbranch_execz .LBB233_2144
.LBB233_2433:
	v_add_f32_e64 v5, 0x42800000, |v4|
	s_and_not1_b32 s3, s3, exec_lo
	s_mov_b32 s7, 0
	s_delay_alu instid0(VALU_DEP_1) | instskip(NEXT) | instid1(VALU_DEP_1)
	v_and_b32_e32 v5, 0xff, v5
	v_cmp_ne_u32_e32 vcc_lo, 0, v5
	s_and_b32 s10, vcc_lo, exec_lo
	s_delay_alu instid0(SALU_CYCLE_1)
	s_or_b32 s3, s3, s10
	s_or_b32 exec_lo, exec_lo, s6
	v_mov_b32_e32 v8, s7
	s_and_saveexec_b32 s6, s3
	s_cbranch_execnz .LBB233_2145
	s_branch .LBB233_2146
.LBB233_2434:
	s_or_saveexec_b32 s7, s7
                                        ; implicit-def: $sgpr10
	s_delay_alu instid0(SALU_CYCLE_1)
	s_xor_b32 exec_lo, exec_lo, s7
	s_cbranch_execz .LBB233_2249
.LBB233_2435:
	v_add_f32_e64 v3, 0x46000000, |v6|
	s_and_not1_b32 s6, s6, exec_lo
	s_mov_b32 s10, 0
	s_delay_alu instid0(VALU_DEP_1) | instskip(NEXT) | instid1(VALU_DEP_1)
	v_and_b32_e32 v3, 0xff, v3
	v_cmp_ne_u32_e32 vcc_lo, 0, v3
	s_and_b32 s11, vcc_lo, exec_lo
	s_delay_alu instid0(SALU_CYCLE_1)
	s_or_b32 s6, s6, s11
	s_or_b32 exec_lo, exec_lo, s7
	v_mov_b32_e32 v4, s10
	s_and_saveexec_b32 s7, s6
	s_cbranch_execnz .LBB233_2250
	s_branch .LBB233_2251
.LBB233_2436:
	s_trap 2
	s_sendmsg_rtn_b32 s0, sendmsg(MSG_RTN_GET_DOORBELL)
	s_mov_b32 ttmp2, m0
	s_waitcnt lgkmcnt(0)
	s_and_b32 s0, s0, 0x3ff
	s_delay_alu instid0(SALU_CYCLE_1) | instskip(NEXT) | instid1(SALU_CYCLE_1)
	s_bitset1_b32 s0, 10
	s_mov_b32 m0, s0
	s_sendmsg sendmsg(MSG_INTERRUPT)
	s_mov_b32 m0, ttmp2
.LBB233_2437:                           ; =>This Inner Loop Header: Depth=1
	s_sethalt 5
	s_branch .LBB233_2437
.LBB233_2438:
	s_cbranch_execnz .LBB233_2444
; %bb.2439:
	s_or_b32 s2, s2, exec_lo
	s_cbranch_execz .LBB233_2297
	s_branch .LBB233_2298
.LBB233_2440:
	s_or_saveexec_b32 s6, s6
                                        ; implicit-def: $sgpr7
	s_delay_alu instid0(SALU_CYCLE_1)
	s_xor_b32 exec_lo, exec_lo, s6
	s_cbranch_execz .LBB233_2262
.LBB233_2441:
	v_add_f32_e64 v3, 0x42800000, |v6|
	s_and_not1_b32 s3, s3, exec_lo
	s_mov_b32 s7, 0
	s_delay_alu instid0(VALU_DEP_1) | instskip(NEXT) | instid1(VALU_DEP_1)
	v_and_b32_e32 v3, 0xff, v3
	v_cmp_ne_u32_e32 vcc_lo, 0, v3
	s_and_b32 s10, vcc_lo, exec_lo
	s_delay_alu instid0(SALU_CYCLE_1)
	s_or_b32 s3, s3, s10
	s_or_b32 exec_lo, exec_lo, s6
	v_mov_b32_e32 v4, s7
	s_and_saveexec_b32 s6, s3
	s_cbranch_execnz .LBB233_2263
	s_branch .LBB233_2264
.LBB233_2442:
	s_or_saveexec_b32 s5, s5
                                        ; implicit-def: $sgpr6
	s_delay_alu instid0(SALU_CYCLE_1)
	s_xor_b32 exec_lo, exec_lo, s5
	s_cbranch_execz .LBB233_2368
.LBB233_2443:
	v_add_f32_e64 v2, 0x46000000, |v13|
	s_and_not1_b32 s4, s4, exec_lo
	s_mov_b32 s6, 0
	s_delay_alu instid0(VALU_DEP_1) | instskip(NEXT) | instid1(VALU_DEP_1)
	v_and_b32_e32 v2, 0xff, v2
	v_cmp_ne_u32_e32 vcc_lo, 0, v2
	s_and_b32 s7, vcc_lo, exec_lo
	s_delay_alu instid0(SALU_CYCLE_1)
	s_or_b32 s4, s4, s7
	s_or_b32 exec_lo, exec_lo, s5
	v_mov_b32_e32 v3, s6
	s_and_saveexec_b32 s5, s4
	s_cbranch_execnz .LBB233_2369
	s_branch .LBB233_2370
.LBB233_2444:
	s_trap 2
	s_sendmsg_rtn_b32 s0, sendmsg(MSG_RTN_GET_DOORBELL)
	s_mov_b32 ttmp2, m0
	s_waitcnt lgkmcnt(0)
	s_and_b32 s0, s0, 0x3ff
	s_delay_alu instid0(SALU_CYCLE_1) | instskip(NEXT) | instid1(SALU_CYCLE_1)
	s_bitset1_b32 s0, 10
	s_mov_b32 m0, s0
	s_sendmsg sendmsg(MSG_INTERRUPT)
	s_mov_b32 m0, ttmp2
.LBB233_2445:                           ; =>This Inner Loop Header: Depth=1
	s_sethalt 5
	s_branch .LBB233_2445
.LBB233_2446:
	s_cbranch_execnz .LBB233_2450
; %bb.2447:
	s_mov_b32 s1, 0
	s_or_b32 s2, s2, exec_lo
	s_branch .LBB233_2414
.LBB233_2448:
	s_or_saveexec_b32 s4, s4
                                        ; implicit-def: $sgpr5
	s_delay_alu instid0(SALU_CYCLE_1)
	s_xor_b32 exec_lo, exec_lo, s4
	s_cbranch_execz .LBB233_2380
.LBB233_2449:
	v_add_f32_e64 v2, 0x42800000, |v13|
	s_and_not1_b32 s3, s3, exec_lo
	s_mov_b32 s5, 0
	s_delay_alu instid0(VALU_DEP_1) | instskip(NEXT) | instid1(VALU_DEP_1)
	v_and_b32_e32 v2, 0xff, v2
	v_cmp_ne_u32_e32 vcc_lo, 0, v2
	s_and_b32 s6, vcc_lo, exec_lo
	s_delay_alu instid0(SALU_CYCLE_1)
	s_or_b32 s3, s3, s6
	s_or_b32 exec_lo, exec_lo, s4
	v_mov_b32_e32 v3, s5
	s_and_saveexec_b32 s4, s3
	s_cbranch_execnz .LBB233_2381
	s_branch .LBB233_2382
.LBB233_2450:
	s_trap 2
	s_sendmsg_rtn_b32 s0, sendmsg(MSG_RTN_GET_DOORBELL)
	s_mov_b32 ttmp2, m0
	s_waitcnt lgkmcnt(0)
	s_and_b32 s0, s0, 0x3ff
	s_delay_alu instid0(SALU_CYCLE_1) | instskip(NEXT) | instid1(SALU_CYCLE_1)
	s_bitset1_b32 s0, 10
	s_mov_b32 m0, s0
	s_sendmsg sendmsg(MSG_INTERRUPT)
	s_mov_b32 m0, ttmp2
.LBB233_2451:                           ; =>This Inner Loop Header: Depth=1
	s_sethalt 5
	s_branch .LBB233_2451
	.section	.rodata,"a",@progbits
	.p2align	6, 0x0
	.amdhsa_kernel _ZN2at6native32elementwise_kernel_manual_unrollILi128ELi4EZNS0_15gpu_kernel_implIZZZNS0_16sqrt_kernel_cudaERNS_18TensorIteratorBaseEENKUlvE_clEvENKUlvE0_clEvEUlN3c107complexIfEEE_EEvS4_RKT_EUlibE0_EEviT1_
		.amdhsa_group_segment_fixed_size 0
		.amdhsa_private_segment_fixed_size 0
		.amdhsa_kernarg_size 360
		.amdhsa_user_sgpr_count 15
		.amdhsa_user_sgpr_dispatch_ptr 0
		.amdhsa_user_sgpr_queue_ptr 0
		.amdhsa_user_sgpr_kernarg_segment_ptr 1
		.amdhsa_user_sgpr_dispatch_id 0
		.amdhsa_user_sgpr_private_segment_size 0
		.amdhsa_wavefront_size32 1
		.amdhsa_uses_dynamic_stack 0
		.amdhsa_enable_private_segment 0
		.amdhsa_system_sgpr_workgroup_id_x 1
		.amdhsa_system_sgpr_workgroup_id_y 0
		.amdhsa_system_sgpr_workgroup_id_z 0
		.amdhsa_system_sgpr_workgroup_info 0
		.amdhsa_system_vgpr_workitem_id 0
		.amdhsa_next_free_vgpr 20
		.amdhsa_next_free_sgpr 68
		.amdhsa_reserve_vcc 1
		.amdhsa_float_round_mode_32 0
		.amdhsa_float_round_mode_16_64 0
		.amdhsa_float_denorm_mode_32 3
		.amdhsa_float_denorm_mode_16_64 3
		.amdhsa_dx10_clamp 1
		.amdhsa_ieee_mode 1
		.amdhsa_fp16_overflow 0
		.amdhsa_workgroup_processor_mode 1
		.amdhsa_memory_ordered 1
		.amdhsa_forward_progress 0
		.amdhsa_shared_vgpr_count 0
		.amdhsa_exception_fp_ieee_invalid_op 0
		.amdhsa_exception_fp_denorm_src 0
		.amdhsa_exception_fp_ieee_div_zero 0
		.amdhsa_exception_fp_ieee_overflow 0
		.amdhsa_exception_fp_ieee_underflow 0
		.amdhsa_exception_fp_ieee_inexact 0
		.amdhsa_exception_int_div_zero 0
	.end_amdhsa_kernel
	.section	.text._ZN2at6native32elementwise_kernel_manual_unrollILi128ELi4EZNS0_15gpu_kernel_implIZZZNS0_16sqrt_kernel_cudaERNS_18TensorIteratorBaseEENKUlvE_clEvENKUlvE0_clEvEUlN3c107complexIfEEE_EEvS4_RKT_EUlibE0_EEviT1_,"axG",@progbits,_ZN2at6native32elementwise_kernel_manual_unrollILi128ELi4EZNS0_15gpu_kernel_implIZZZNS0_16sqrt_kernel_cudaERNS_18TensorIteratorBaseEENKUlvE_clEvENKUlvE0_clEvEUlN3c107complexIfEEE_EEvS4_RKT_EUlibE0_EEviT1_,comdat
.Lfunc_end233:
	.size	_ZN2at6native32elementwise_kernel_manual_unrollILi128ELi4EZNS0_15gpu_kernel_implIZZZNS0_16sqrt_kernel_cudaERNS_18TensorIteratorBaseEENKUlvE_clEvENKUlvE0_clEvEUlN3c107complexIfEEE_EEvS4_RKT_EUlibE0_EEviT1_, .Lfunc_end233-_ZN2at6native32elementwise_kernel_manual_unrollILi128ELi4EZNS0_15gpu_kernel_implIZZZNS0_16sqrt_kernel_cudaERNS_18TensorIteratorBaseEENKUlvE_clEvENKUlvE0_clEvEUlN3c107complexIfEEE_EEvS4_RKT_EUlibE0_EEviT1_
                                        ; -- End function
	.section	.AMDGPU.csdata,"",@progbits
; Kernel info:
; codeLenInByte = 52028
; NumSgprs: 70
; NumVgprs: 20
; ScratchSize: 0
; MemoryBound: 1
; FloatMode: 240
; IeeeMode: 1
; LDSByteSize: 0 bytes/workgroup (compile time only)
; SGPRBlocks: 8
; VGPRBlocks: 2
; NumSGPRsForWavesPerEU: 70
; NumVGPRsForWavesPerEU: 20
; Occupancy: 16
; WaveLimiterHint : 1
; COMPUTE_PGM_RSRC2:SCRATCH_EN: 0
; COMPUTE_PGM_RSRC2:USER_SGPR: 15
; COMPUTE_PGM_RSRC2:TRAP_HANDLER: 0
; COMPUTE_PGM_RSRC2:TGID_X_EN: 1
; COMPUTE_PGM_RSRC2:TGID_Y_EN: 0
; COMPUTE_PGM_RSRC2:TGID_Z_EN: 0
; COMPUTE_PGM_RSRC2:TIDIG_COMP_CNT: 0
	.section	.text._ZN2at6native29vectorized_elementwise_kernelILi16EZZZNS0_16sqrt_kernel_cudaERNS_18TensorIteratorBaseEENKUlvE_clEvENKUlvE1_clEvEUlN3c107complexINS6_4HalfEEEE_St5arrayIPcLm2EEEEviT0_T1_,"axG",@progbits,_ZN2at6native29vectorized_elementwise_kernelILi16EZZZNS0_16sqrt_kernel_cudaERNS_18TensorIteratorBaseEENKUlvE_clEvENKUlvE1_clEvEUlN3c107complexINS6_4HalfEEEE_St5arrayIPcLm2EEEEviT0_T1_,comdat
	.globl	_ZN2at6native29vectorized_elementwise_kernelILi16EZZZNS0_16sqrt_kernel_cudaERNS_18TensorIteratorBaseEENKUlvE_clEvENKUlvE1_clEvEUlN3c107complexINS6_4HalfEEEE_St5arrayIPcLm2EEEEviT0_T1_ ; -- Begin function _ZN2at6native29vectorized_elementwise_kernelILi16EZZZNS0_16sqrt_kernel_cudaERNS_18TensorIteratorBaseEENKUlvE_clEvENKUlvE1_clEvEUlN3c107complexINS6_4HalfEEEE_St5arrayIPcLm2EEEEviT0_T1_
	.p2align	8
	.type	_ZN2at6native29vectorized_elementwise_kernelILi16EZZZNS0_16sqrt_kernel_cudaERNS_18TensorIteratorBaseEENKUlvE_clEvENKUlvE1_clEvEUlN3c107complexINS6_4HalfEEEE_St5arrayIPcLm2EEEEviT0_T1_,@function
_ZN2at6native29vectorized_elementwise_kernelILi16EZZZNS0_16sqrt_kernel_cudaERNS_18TensorIteratorBaseEENKUlvE_clEvENKUlvE1_clEvEUlN3c107complexINS6_4HalfEEEE_St5arrayIPcLm2EEEEviT0_T1_: ; @_ZN2at6native29vectorized_elementwise_kernelILi16EZZZNS0_16sqrt_kernel_cudaERNS_18TensorIteratorBaseEENKUlvE_clEvENKUlvE1_clEvEUlN3c107complexINS6_4HalfEEEE_St5arrayIPcLm2EEEEviT0_T1_
; %bb.0:
	s_clause 0x1
	s_load_b32 s2, s[0:1], 0x0
	s_load_b128 s[4:7], s[0:1], 0x8
	s_lshl_b32 s8, s15, 10
	s_mov_b32 s0, -1
	s_waitcnt lgkmcnt(0)
	s_sub_i32 s10, s2, s8
	s_delay_alu instid0(SALU_CYCLE_1)
	s_cmpk_gt_i32 s10, 0x3ff
	s_cbranch_scc0 .LBB234_122
; %bb.1:
	s_ashr_i32 s9, s8, 31
	v_dual_mov_b32 v8, 0 :: v_dual_lshlrev_b32 v5, 4, v0
	s_lshl_b64 s[2:3], s[8:9], 2
	v_mov_b32_e32 v7, 0
	s_add_u32 s0, s6, s2
	s_addc_u32 s1, s7, s3
	global_load_b128 v[1:4], v5, s[0:1]
	s_waitcnt vmcnt(0)
	v_lshrrev_b32_e32 v6, 16, v1
	v_cmp_neq_f16_e32 vcc_lo, 0, v1
	s_delay_alu instid0(VALU_DEP_2) | instskip(SKIP_1) | instid1(VALU_DEP_2)
	v_cmp_neq_f16_e64 s0, 0, v6
	v_cvt_f32_f16_e32 v6, v6
	s_or_b32 s0, vcc_lo, s0
	s_delay_alu instid0(SALU_CYCLE_1)
	s_and_saveexec_b32 s9, s0
	s_cbranch_execz .LBB234_31
; %bb.2:
	v_mov_b32_e32 v8, 0x7f800000
	s_mov_b32 s11, exec_lo
	v_cmpx_neq_f32_e64 0x7f800000, |v6|
	s_cbranch_execz .LBB234_30
; %bb.3:
	v_cvt_f32_f16_e32 v8, v1
	s_mov_b32 s0, exec_lo
	v_cmpx_o_f16_e32 v1, v1
	s_xor_b32 s12, exec_lo, s0
	s_cbranch_execz .LBB234_27
; %bb.4:
	s_mov_b32 s1, exec_lo
	v_cmpx_neq_f32_e64 0x7f800000, |v8|
	s_xor_b32 s13, exec_lo, s1
	s_cbranch_execz .LBB234_20
; %bb.5:
	v_max_f32_e64 v9, |v6|, |v6|
	v_max_f32_e64 v10, |v8|, |v8|
                                        ; implicit-def: $sgpr14
	s_delay_alu instid0(VALU_DEP_1) | instskip(NEXT) | instid1(VALU_DEP_1)
	v_max_f32_e32 v9, v10, v9
	v_cmp_nle_f32_e64 s0, 0x7ed413cb, v9
	s_delay_alu instid0(VALU_DEP_1) | instskip(NEXT) | instid1(SALU_CYCLE_1)
	s_and_saveexec_b32 s1, s0
	s_xor_b32 s1, exec_lo, s1
	s_cbranch_execz .LBB234_9
; %bb.6:
	v_cmp_ge_f32_e64 s14, 0x1000000, |v8|
	v_cmp_ge_f32_e64 s15, 0x1000000, |v6|
	s_delay_alu instid0(VALU_DEP_1)
	s_and_b32 s16, s14, s15
	s_mov_b32 s14, 0
	s_and_saveexec_b32 s15, s16
; %bb.7:
	v_mul_f32_e32 v6, 4.0, v6
	v_mul_f32_e32 v8, 4.0, v8
	s_mov_b32 s14, exec_lo
; %bb.8:
	s_or_b32 exec_lo, exec_lo, s15
	s_delay_alu instid0(SALU_CYCLE_1)
	s_and_b32 s14, s14, exec_lo
.LBB234_9:
	s_and_not1_saveexec_b32 s1, s1
; %bb.10:
	v_mul_f32_e32 v8, 0x3e800000, v8
	v_mul_f32_e32 v6, 0x3e800000, v6
	s_and_not1_b32 s14, s14, exec_lo
; %bb.11:
	s_or_b32 exec_lo, exec_lo, s1
	s_delay_alu instid0(VALU_DEP_1) | instskip(SKIP_1) | instid1(VALU_DEP_1)
	v_max_f32_e64 v9, |v6|, |v6|
	v_max_f32_e64 v10, |v8|, |v8|
	v_max_f32_e32 v11, v10, v9
	s_delay_alu instid0(VALU_DEP_1) | instskip(NEXT) | instid1(VALU_DEP_1)
	v_cvt_f64_f32_e32 v[9:10], v11
	v_frexp_exp_i32_f64_e32 v9, v[9:10]
	s_delay_alu instid0(VALU_DEP_1) | instskip(NEXT) | instid1(VALU_DEP_1)
	v_sub_nc_u32_e32 v10, 0, v9
	v_ldexp_f32 v12, |v6|, v10
	v_ldexp_f32 v10, |v8|, v10
	s_delay_alu instid0(VALU_DEP_2) | instskip(SKIP_1) | instid1(VALU_DEP_2)
	v_mul_f32_e32 v12, v12, v12
	v_cmp_neq_f32_e64 s1, 0x7f800000, v11
	v_fmac_f32_e32 v12, v10, v10
	s_delay_alu instid0(VALU_DEP_1) | instskip(SKIP_2) | instid1(VALU_DEP_1)
	v_sqrt_f32_e32 v10, v12
	s_waitcnt_depctr 0xfff
	v_ldexp_f32 v9, v10, v9
                                        ; implicit-def: $vgpr10
	v_cndmask_b32_e64 v11, 0x7f800000, v9, s1
                                        ; implicit-def: $vgpr9
	s_mov_b32 s1, exec_lo
	v_cmpx_le_f32_e32 0, v8
	s_xor_b32 s15, exec_lo, s1
	s_cbranch_execz .LBB234_13
; %bb.12:
	v_add_f32_e32 v8, v8, v11
	s_delay_alu instid0(VALU_DEP_1) | instskip(NEXT) | instid1(VALU_DEP_1)
	v_mul_f32_e32 v8, 0.5, v8
	v_mul_f32_e32 v9, 0x4f800000, v8
	v_cmp_gt_f32_e32 vcc_lo, 0xf800000, v8
	s_delay_alu instid0(VALU_DEP_2) | instskip(NEXT) | instid1(VALU_DEP_1)
	v_cndmask_b32_e32 v8, v8, v9, vcc_lo
	v_sqrt_f32_e32 v9, v8
	s_waitcnt_depctr 0xfff
	v_add_nc_u32_e32 v10, -1, v9
	v_add_nc_u32_e32 v11, 1, v9
	s_delay_alu instid0(VALU_DEP_2) | instskip(NEXT) | instid1(VALU_DEP_2)
	v_fma_f32 v12, -v10, v9, v8
	v_fma_f32 v13, -v11, v9, v8
	s_delay_alu instid0(VALU_DEP_2) | instskip(NEXT) | instid1(VALU_DEP_1)
	v_cmp_ge_f32_e64 s1, 0, v12
	v_cndmask_b32_e64 v9, v9, v10, s1
	s_delay_alu instid0(VALU_DEP_3) | instskip(NEXT) | instid1(VALU_DEP_1)
	v_cmp_lt_f32_e64 s1, 0, v13
	v_cndmask_b32_e64 v9, v9, v11, s1
	s_delay_alu instid0(VALU_DEP_1) | instskip(NEXT) | instid1(VALU_DEP_1)
	v_mul_f32_e32 v10, 0x37800000, v9
	v_cndmask_b32_e32 v9, v9, v10, vcc_lo
	v_cmp_class_f32_e64 vcc_lo, v8, 0x260
	s_delay_alu instid0(VALU_DEP_2) | instskip(NEXT) | instid1(VALU_DEP_1)
	v_cndmask_b32_e32 v9, v9, v8, vcc_lo
	v_add_f32_e32 v8, v9, v9
	s_delay_alu instid0(VALU_DEP_1) | instskip(NEXT) | instid1(VALU_DEP_1)
	v_div_scale_f32 v10, null, v8, v8, v6
	v_rcp_f32_e32 v11, v10
	s_waitcnt_depctr 0xfff
	v_fma_f32 v12, -v10, v11, 1.0
	s_delay_alu instid0(VALU_DEP_1) | instskip(SKIP_1) | instid1(VALU_DEP_1)
	v_fmac_f32_e32 v11, v12, v11
	v_div_scale_f32 v12, vcc_lo, v6, v8, v6
	v_mul_f32_e32 v13, v12, v11
	s_delay_alu instid0(VALU_DEP_1) | instskip(NEXT) | instid1(VALU_DEP_1)
	v_fma_f32 v14, -v10, v13, v12
	v_fmac_f32_e32 v13, v14, v11
	s_delay_alu instid0(VALU_DEP_1) | instskip(NEXT) | instid1(VALU_DEP_1)
	v_fma_f32 v10, -v10, v13, v12
	v_div_fmas_f32 v10, v10, v11, v13
                                        ; implicit-def: $vgpr11
	s_delay_alu instid0(VALU_DEP_1)
	v_div_fixup_f32 v10, v10, v8, v6
                                        ; implicit-def: $vgpr8
                                        ; implicit-def: $vgpr6
	s_and_not1_saveexec_b32 s15, s15
	s_cbranch_execz .LBB234_15
	s_branch .LBB234_14
.LBB234_13:
	s_and_not1_saveexec_b32 s15, s15
	s_cbranch_execz .LBB234_15
.LBB234_14:
	v_sub_f32_e32 v8, v11, v8
	s_delay_alu instid0(VALU_DEP_1) | instskip(NEXT) | instid1(VALU_DEP_1)
	v_mul_f32_e32 v8, 0.5, v8
	v_mul_f32_e32 v9, 0x4f800000, v8
	v_cmp_gt_f32_e32 vcc_lo, 0xf800000, v8
	s_delay_alu instid0(VALU_DEP_2) | instskip(NEXT) | instid1(VALU_DEP_1)
	v_cndmask_b32_e32 v8, v8, v9, vcc_lo
	v_sqrt_f32_e32 v9, v8
	s_waitcnt_depctr 0xfff
	v_add_nc_u32_e32 v10, -1, v9
	v_add_nc_u32_e32 v11, 1, v9
	s_delay_alu instid0(VALU_DEP_2) | instskip(NEXT) | instid1(VALU_DEP_2)
	v_fma_f32 v12, -v10, v9, v8
	v_fma_f32 v13, -v11, v9, v8
	s_delay_alu instid0(VALU_DEP_2) | instskip(NEXT) | instid1(VALU_DEP_1)
	v_cmp_ge_f32_e64 s1, 0, v12
	v_cndmask_b32_e64 v9, v9, v10, s1
	s_delay_alu instid0(VALU_DEP_3) | instskip(NEXT) | instid1(VALU_DEP_1)
	v_cmp_lt_f32_e64 s1, 0, v13
	v_cndmask_b32_e64 v9, v9, v11, s1
	s_delay_alu instid0(VALU_DEP_1) | instskip(NEXT) | instid1(VALU_DEP_1)
	v_mul_f32_e32 v10, 0x37800000, v9
	v_cndmask_b32_e32 v9, v9, v10, vcc_lo
	v_cmp_class_f32_e64 vcc_lo, v8, 0x260
	s_delay_alu instid0(VALU_DEP_2) | instskip(NEXT) | instid1(VALU_DEP_1)
	v_dual_cndmask_b32 v8, v9, v8 :: v_dual_and_b32 v9, 0x7fffffff, v6
	v_add_f32_e32 v10, v8, v8
	s_delay_alu instid0(VALU_DEP_1) | instskip(SKIP_1) | instid1(VALU_DEP_2)
	v_div_scale_f32 v11, null, v10, v10, v9
	v_div_scale_f32 v9, vcc_lo, v9, v10, v9
	v_rcp_f32_e32 v12, v11
	s_waitcnt_depctr 0xfff
	v_fma_f32 v13, -v11, v12, 1.0
	s_delay_alu instid0(VALU_DEP_1) | instskip(NEXT) | instid1(VALU_DEP_1)
	v_fmac_f32_e32 v12, v13, v12
	v_mul_f32_e32 v13, v9, v12
	s_delay_alu instid0(VALU_DEP_1) | instskip(NEXT) | instid1(VALU_DEP_1)
	v_fma_f32 v14, -v11, v13, v9
	v_fmac_f32_e32 v13, v14, v12
	s_delay_alu instid0(VALU_DEP_1) | instskip(NEXT) | instid1(VALU_DEP_1)
	v_fma_f32 v9, -v11, v13, v9
	v_div_fmas_f32 v9, v9, v12, v13
	s_delay_alu instid0(VALU_DEP_1)
	v_div_fixup_f32 v9, v9, v10, |v6|
	v_bfi_b32 v10, 0x7fffffff, v8, v6
.LBB234_15:
	s_or_b32 exec_lo, exec_lo, s15
                                        ; implicit-def: $vgpr6
                                        ; implicit-def: $vgpr8
	s_and_saveexec_b32 s1, s0
	s_delay_alu instid0(SALU_CYCLE_1)
	s_xor_b32 s0, exec_lo, s1
	s_cbranch_execz .LBB234_17
; %bb.16:
	v_dual_mul_f32 v6, 0.5, v9 :: v_dual_mul_f32 v11, 0.5, v10
	s_delay_alu instid0(VALU_DEP_1) | instskip(NEXT) | instid1(VALU_DEP_2)
	v_cndmask_b32_e64 v8, v9, v6, s14
	v_cndmask_b32_e64 v6, v10, v11, s14
                                        ; implicit-def: $vgpr9
                                        ; implicit-def: $vgpr10
	s_and_not1_saveexec_b32 s0, s0
	s_cbranch_execnz .LBB234_18
	s_branch .LBB234_19
.LBB234_17:
	s_and_not1_saveexec_b32 s0, s0
.LBB234_18:
	v_add_f32_e32 v8, v9, v9
	v_add_f32_e32 v6, v10, v10
.LBB234_19:
	s_or_b32 exec_lo, exec_lo, s0
.LBB234_20:
	s_and_not1_saveexec_b32 s0, s13
	s_cbranch_execz .LBB234_26
; %bb.21:
	v_cmp_lt_i16_e32 vcc_lo, -1, v1
	v_sub_f32_e32 v1, v6, v6
	s_and_saveexec_b32 s1, vcc_lo
	s_delay_alu instid0(SALU_CYCLE_1)
	s_xor_b32 s1, exec_lo, s1
; %bb.22:
	s_delay_alu instid0(VALU_DEP_1)
	v_bfi_b32 v6, 0x7fffffff, v1, v6
                                        ; implicit-def: $vgpr1
; %bb.23:
	s_and_not1_saveexec_b32 s1, s1
; %bb.24:
	v_and_b32_e32 v1, 0x7fffffff, v1
	s_delay_alu instid0(VALU_DEP_2) | instskip(NEXT) | instid1(VALU_DEP_2)
	v_bfi_b32 v6, 0x7fffffff, v8, v6
	v_mov_b32_e32 v8, v1
; %bb.25:
	s_or_b32 exec_lo, exec_lo, s1
.LBB234_26:
	s_delay_alu instid0(SALU_CYCLE_1)
	s_or_b32 exec_lo, exec_lo, s0
.LBB234_27:
	s_and_not1_saveexec_b32 s0, s12
; %bb.28:
	v_sub_f32_e32 v1, v6, v6
	s_delay_alu instid0(VALU_DEP_1) | instskip(NEXT) | instid1(VALU_DEP_1)
	v_div_scale_f32 v6, vcc_lo, v1, v1, v1
	v_rcp_f32_e32 v9, v6
	s_waitcnt_depctr 0xfff
	v_fma_f32 v10, -v6, v9, 1.0
	s_delay_alu instid0(VALU_DEP_1) | instskip(NEXT) | instid1(VALU_DEP_1)
	v_fmac_f32_e32 v9, v10, v9
	v_mul_f32_e32 v10, v6, v9
	s_delay_alu instid0(VALU_DEP_1) | instskip(NEXT) | instid1(VALU_DEP_1)
	v_fma_f32 v11, -v6, v10, v6
	v_fmac_f32_e32 v10, v11, v9
	s_delay_alu instid0(VALU_DEP_1) | instskip(NEXT) | instid1(VALU_DEP_1)
	v_fma_f32 v6, -v6, v10, v6
	v_div_fmas_f32 v6, v6, v9, v10
	s_delay_alu instid0(VALU_DEP_1)
	v_div_fixup_f32 v6, v6, v1, v1
; %bb.29:
	s_or_b32 exec_lo, exec_lo, s0
.LBB234_30:
	s_delay_alu instid0(SALU_CYCLE_1)
	s_or_b32 exec_lo, exec_lo, s11
.LBB234_31:
	s_delay_alu instid0(SALU_CYCLE_1) | instskip(SKIP_2) | instid1(VALU_DEP_2)
	s_or_b32 exec_lo, exec_lo, s9
	v_lshrrev_b32_e32 v1, 16, v2
	v_cmp_neq_f16_e32 vcc_lo, 0, v2
	v_cmp_neq_f16_e64 s0, 0, v1
	v_cvt_f32_f16_e32 v9, v1
	s_delay_alu instid0(VALU_DEP_2) | instskip(NEXT) | instid1(SALU_CYCLE_1)
	s_or_b32 s0, vcc_lo, s0
	s_and_saveexec_b32 s9, s0
	s_cbranch_execz .LBB234_61
; %bb.32:
	v_mov_b32_e32 v7, 0x7f800000
	s_mov_b32 s11, exec_lo
	v_cmpx_neq_f32_e64 0x7f800000, |v9|
	s_cbranch_execz .LBB234_60
; %bb.33:
	v_cvt_f32_f16_e32 v7, v2
	s_mov_b32 s0, exec_lo
	v_cmpx_o_f16_e32 v2, v2
	s_xor_b32 s12, exec_lo, s0
	s_cbranch_execz .LBB234_57
; %bb.34:
	s_mov_b32 s1, exec_lo
	v_cmpx_neq_f32_e64 0x7f800000, |v7|
	s_xor_b32 s13, exec_lo, s1
	s_cbranch_execz .LBB234_50
; %bb.35:
	v_max_f32_e64 v1, |v9|, |v9|
	v_max_f32_e64 v10, |v7|, |v7|
                                        ; implicit-def: $sgpr14
	s_delay_alu instid0(VALU_DEP_1) | instskip(NEXT) | instid1(VALU_DEP_1)
	v_max_f32_e32 v1, v10, v1
	v_cmp_nle_f32_e64 s0, 0x7ed413cb, v1
	s_delay_alu instid0(VALU_DEP_1) | instskip(NEXT) | instid1(SALU_CYCLE_1)
	s_and_saveexec_b32 s1, s0
	s_xor_b32 s1, exec_lo, s1
	s_cbranch_execz .LBB234_39
; %bb.36:
	v_cmp_ge_f32_e64 s14, 0x1000000, |v7|
	v_cmp_ge_f32_e64 s15, 0x1000000, |v9|
	s_delay_alu instid0(VALU_DEP_1)
	s_and_b32 s16, s14, s15
	s_mov_b32 s14, 0
	s_and_saveexec_b32 s15, s16
; %bb.37:
	v_mul_f32_e32 v9, 4.0, v9
	v_mul_f32_e32 v7, 4.0, v7
	s_mov_b32 s14, exec_lo
; %bb.38:
	s_or_b32 exec_lo, exec_lo, s15
	s_delay_alu instid0(SALU_CYCLE_1)
	s_and_b32 s14, s14, exec_lo
.LBB234_39:
	s_and_not1_saveexec_b32 s1, s1
; %bb.40:
	v_mul_f32_e32 v7, 0x3e800000, v7
	v_mul_f32_e32 v9, 0x3e800000, v9
	s_and_not1_b32 s14, s14, exec_lo
; %bb.41:
	s_or_b32 exec_lo, exec_lo, s1
	s_delay_alu instid0(VALU_DEP_1) | instskip(SKIP_1) | instid1(VALU_DEP_1)
	v_max_f32_e64 v1, |v9|, |v9|
	v_max_f32_e64 v10, |v7|, |v7|
	v_max_f32_e32 v1, v10, v1
	s_delay_alu instid0(VALU_DEP_1) | instskip(NEXT) | instid1(VALU_DEP_1)
	v_cvt_f64_f32_e32 v[10:11], v1
	v_frexp_exp_i32_f64_e32 v10, v[10:11]
	s_delay_alu instid0(VALU_DEP_1) | instskip(NEXT) | instid1(VALU_DEP_1)
	v_sub_nc_u32_e32 v11, 0, v10
	v_ldexp_f32 v12, |v9|, v11
	v_ldexp_f32 v11, |v7|, v11
	s_delay_alu instid0(VALU_DEP_2) | instskip(SKIP_1) | instid1(VALU_DEP_2)
	v_mul_f32_e32 v12, v12, v12
	v_cmp_neq_f32_e64 s1, 0x7f800000, v1
                                        ; implicit-def: $vgpr1
	v_fmac_f32_e32 v12, v11, v11
	s_delay_alu instid0(VALU_DEP_1) | instskip(SKIP_2) | instid1(VALU_DEP_1)
	v_sqrt_f32_e32 v11, v12
	s_waitcnt_depctr 0xfff
	v_ldexp_f32 v10, v11, v10
	v_cndmask_b32_e64 v11, 0x7f800000, v10, s1
                                        ; implicit-def: $vgpr10
	s_mov_b32 s1, exec_lo
	v_cmpx_le_f32_e32 0, v7
	s_xor_b32 s15, exec_lo, s1
	s_cbranch_execz .LBB234_43
; %bb.42:
	v_add_f32_e32 v1, v7, v11
	s_delay_alu instid0(VALU_DEP_1) | instskip(NEXT) | instid1(VALU_DEP_1)
	v_mul_f32_e32 v1, 0.5, v1
	v_mul_f32_e32 v7, 0x4f800000, v1
	v_cmp_gt_f32_e32 vcc_lo, 0xf800000, v1
	s_delay_alu instid0(VALU_DEP_2) | instskip(NEXT) | instid1(VALU_DEP_1)
	v_cndmask_b32_e32 v1, v1, v7, vcc_lo
	v_sqrt_f32_e32 v7, v1
	s_waitcnt_depctr 0xfff
	v_add_nc_u32_e32 v10, -1, v7
	v_add_nc_u32_e32 v11, 1, v7
	s_delay_alu instid0(VALU_DEP_2) | instskip(NEXT) | instid1(VALU_DEP_2)
	v_fma_f32 v12, -v10, v7, v1
	v_fma_f32 v13, -v11, v7, v1
	s_delay_alu instid0(VALU_DEP_2) | instskip(NEXT) | instid1(VALU_DEP_1)
	v_cmp_ge_f32_e64 s1, 0, v12
	v_cndmask_b32_e64 v7, v7, v10, s1
	s_delay_alu instid0(VALU_DEP_3) | instskip(NEXT) | instid1(VALU_DEP_1)
	v_cmp_lt_f32_e64 s1, 0, v13
	v_cndmask_b32_e64 v7, v7, v11, s1
	s_delay_alu instid0(VALU_DEP_1) | instskip(NEXT) | instid1(VALU_DEP_1)
	v_mul_f32_e32 v10, 0x37800000, v7
	v_cndmask_b32_e32 v7, v7, v10, vcc_lo
	v_cmp_class_f32_e64 vcc_lo, v1, 0x260
	s_delay_alu instid0(VALU_DEP_2) | instskip(NEXT) | instid1(VALU_DEP_1)
	v_cndmask_b32_e32 v1, v7, v1, vcc_lo
	v_add_f32_e32 v7, v1, v1
	s_delay_alu instid0(VALU_DEP_1) | instskip(NEXT) | instid1(VALU_DEP_1)
	v_div_scale_f32 v10, null, v7, v7, v9
	v_rcp_f32_e32 v11, v10
	s_waitcnt_depctr 0xfff
	v_fma_f32 v12, -v10, v11, 1.0
	s_delay_alu instid0(VALU_DEP_1) | instskip(SKIP_1) | instid1(VALU_DEP_1)
	v_fmac_f32_e32 v11, v12, v11
	v_div_scale_f32 v12, vcc_lo, v9, v7, v9
	v_mul_f32_e32 v13, v12, v11
	s_delay_alu instid0(VALU_DEP_1) | instskip(NEXT) | instid1(VALU_DEP_1)
	v_fma_f32 v14, -v10, v13, v12
	v_fmac_f32_e32 v13, v14, v11
	s_delay_alu instid0(VALU_DEP_1) | instskip(NEXT) | instid1(VALU_DEP_1)
	v_fma_f32 v10, -v10, v13, v12
	v_div_fmas_f32 v10, v10, v11, v13
                                        ; implicit-def: $vgpr11
	s_delay_alu instid0(VALU_DEP_1)
	v_div_fixup_f32 v10, v10, v7, v9
                                        ; implicit-def: $vgpr7
                                        ; implicit-def: $vgpr9
	s_and_not1_saveexec_b32 s15, s15
	s_cbranch_execz .LBB234_45
	s_branch .LBB234_44
.LBB234_43:
	s_and_not1_saveexec_b32 s15, s15
	s_cbranch_execz .LBB234_45
.LBB234_44:
	v_sub_f32_e32 v1, v11, v7
	s_delay_alu instid0(VALU_DEP_1) | instskip(NEXT) | instid1(VALU_DEP_1)
	v_mul_f32_e32 v1, 0.5, v1
	v_mul_f32_e32 v7, 0x4f800000, v1
	v_cmp_gt_f32_e32 vcc_lo, 0xf800000, v1
	s_delay_alu instid0(VALU_DEP_2) | instskip(NEXT) | instid1(VALU_DEP_1)
	v_cndmask_b32_e32 v1, v1, v7, vcc_lo
	v_sqrt_f32_e32 v7, v1
	s_waitcnt_depctr 0xfff
	v_add_nc_u32_e32 v10, -1, v7
	v_add_nc_u32_e32 v11, 1, v7
	s_delay_alu instid0(VALU_DEP_2) | instskip(NEXT) | instid1(VALU_DEP_2)
	v_fma_f32 v12, -v10, v7, v1
	v_fma_f32 v13, -v11, v7, v1
	s_delay_alu instid0(VALU_DEP_2) | instskip(NEXT) | instid1(VALU_DEP_1)
	v_cmp_ge_f32_e64 s1, 0, v12
	v_cndmask_b32_e64 v7, v7, v10, s1
	s_delay_alu instid0(VALU_DEP_3) | instskip(NEXT) | instid1(VALU_DEP_1)
	v_cmp_lt_f32_e64 s1, 0, v13
	v_cndmask_b32_e64 v7, v7, v11, s1
	s_delay_alu instid0(VALU_DEP_1) | instskip(NEXT) | instid1(VALU_DEP_1)
	v_mul_f32_e32 v10, 0x37800000, v7
	v_cndmask_b32_e32 v7, v7, v10, vcc_lo
	v_cmp_class_f32_e64 vcc_lo, v1, 0x260
	s_delay_alu instid0(VALU_DEP_2) | instskip(NEXT) | instid1(VALU_DEP_1)
	v_cndmask_b32_e32 v7, v7, v1, vcc_lo
	v_dual_add_f32 v10, v7, v7 :: v_dual_and_b32 v1, 0x7fffffff, v9
	s_delay_alu instid0(VALU_DEP_1) | instskip(SKIP_1) | instid1(VALU_DEP_2)
	v_div_scale_f32 v11, null, v10, v10, v1
	v_div_scale_f32 v1, vcc_lo, v1, v10, v1
	v_rcp_f32_e32 v12, v11
	s_waitcnt_depctr 0xfff
	v_fma_f32 v13, -v11, v12, 1.0
	s_delay_alu instid0(VALU_DEP_1) | instskip(NEXT) | instid1(VALU_DEP_1)
	v_fmac_f32_e32 v12, v13, v12
	v_mul_f32_e32 v13, v1, v12
	s_delay_alu instid0(VALU_DEP_1) | instskip(NEXT) | instid1(VALU_DEP_1)
	v_fma_f32 v14, -v11, v13, v1
	v_fmac_f32_e32 v13, v14, v12
	s_delay_alu instid0(VALU_DEP_1) | instskip(NEXT) | instid1(VALU_DEP_1)
	v_fma_f32 v1, -v11, v13, v1
	v_div_fmas_f32 v1, v1, v12, v13
	s_delay_alu instid0(VALU_DEP_1)
	v_div_fixup_f32 v1, v1, v10, |v9|
	v_bfi_b32 v10, 0x7fffffff, v7, v9
.LBB234_45:
	s_or_b32 exec_lo, exec_lo, s15
                                        ; implicit-def: $vgpr9
                                        ; implicit-def: $vgpr7
	s_and_saveexec_b32 s1, s0
	s_delay_alu instid0(SALU_CYCLE_1)
	s_xor_b32 s0, exec_lo, s1
	s_cbranch_execz .LBB234_47
; %bb.46:
	v_mul_f32_e32 v7, 0.5, v1
	v_mul_f32_e32 v9, 0.5, v10
	s_delay_alu instid0(VALU_DEP_2) | instskip(NEXT) | instid1(VALU_DEP_2)
	v_cndmask_b32_e64 v7, v1, v7, s14
	v_cndmask_b32_e64 v9, v10, v9, s14
                                        ; implicit-def: $vgpr1
                                        ; implicit-def: $vgpr10
	s_and_not1_saveexec_b32 s0, s0
	s_cbranch_execnz .LBB234_48
	s_branch .LBB234_49
.LBB234_47:
	s_and_not1_saveexec_b32 s0, s0
.LBB234_48:
	v_add_f32_e32 v7, v1, v1
	v_add_f32_e32 v9, v10, v10
.LBB234_49:
	s_or_b32 exec_lo, exec_lo, s0
.LBB234_50:
	s_and_not1_saveexec_b32 s0, s13
	s_cbranch_execz .LBB234_56
; %bb.51:
	s_delay_alu instid0(VALU_DEP_1)
	v_sub_f32_e32 v1, v9, v9
	s_mov_b32 s1, exec_lo
	v_cmpx_lt_i16_e32 -1, v2
	s_xor_b32 s1, exec_lo, s1
; %bb.52:
	s_delay_alu instid0(VALU_DEP_2)
	v_bfi_b32 v9, 0x7fffffff, v1, v9
                                        ; implicit-def: $vgpr1
; %bb.53:
	s_and_not1_saveexec_b32 s1, s1
; %bb.54:
	v_and_b32_e32 v1, 0x7fffffff, v1
	s_delay_alu instid0(VALU_DEP_2) | instskip(NEXT) | instid1(VALU_DEP_2)
	v_bfi_b32 v9, 0x7fffffff, v7, v9
	v_mov_b32_e32 v7, v1
; %bb.55:
	s_or_b32 exec_lo, exec_lo, s1
.LBB234_56:
	s_delay_alu instid0(SALU_CYCLE_1)
	s_or_b32 exec_lo, exec_lo, s0
.LBB234_57:
	s_and_not1_saveexec_b32 s0, s12
; %bb.58:
	v_sub_f32_e32 v1, v9, v9
	s_delay_alu instid0(VALU_DEP_1) | instskip(NEXT) | instid1(VALU_DEP_1)
	v_div_scale_f32 v2, vcc_lo, v1, v1, v1
	v_rcp_f32_e32 v9, v2
	s_waitcnt_depctr 0xfff
	v_fma_f32 v10, -v2, v9, 1.0
	s_delay_alu instid0(VALU_DEP_1) | instskip(NEXT) | instid1(VALU_DEP_1)
	v_fmac_f32_e32 v9, v10, v9
	v_mul_f32_e32 v10, v2, v9
	s_delay_alu instid0(VALU_DEP_1) | instskip(NEXT) | instid1(VALU_DEP_1)
	v_fma_f32 v11, -v2, v10, v2
	v_fmac_f32_e32 v10, v11, v9
	s_delay_alu instid0(VALU_DEP_1) | instskip(NEXT) | instid1(VALU_DEP_1)
	v_fma_f32 v2, -v2, v10, v2
	v_div_fmas_f32 v2, v2, v9, v10
	s_delay_alu instid0(VALU_DEP_1)
	v_div_fixup_f32 v9, v2, v1, v1
; %bb.59:
	s_or_b32 exec_lo, exec_lo, s0
.LBB234_60:
	s_delay_alu instid0(SALU_CYCLE_1)
	s_or_b32 exec_lo, exec_lo, s11
.LBB234_61:
	s_delay_alu instid0(SALU_CYCLE_1) | instskip(SKIP_3) | instid1(VALU_DEP_3)
	s_or_b32 exec_lo, exec_lo, s9
	v_lshrrev_b32_e32 v1, 16, v3
	v_cmp_neq_f16_e32 vcc_lo, 0, v3
	v_dual_mov_b32 v11, 0 :: v_dual_mov_b32 v12, 0
	v_cmp_neq_f16_e64 s0, 0, v1
	v_cvt_f32_f16_e32 v10, v1
	s_delay_alu instid0(VALU_DEP_2) | instskip(NEXT) | instid1(SALU_CYCLE_1)
	s_or_b32 s0, vcc_lo, s0
	s_and_saveexec_b32 s9, s0
	s_cbranch_execz .LBB234_91
; %bb.62:
	v_mov_b32_e32 v12, 0x7f800000
	s_mov_b32 s11, exec_lo
	v_cmpx_neq_f32_e64 0x7f800000, |v10|
	s_cbranch_execz .LBB234_90
; %bb.63:
	v_cvt_f32_f16_e32 v12, v3
	s_mov_b32 s0, exec_lo
	v_cmpx_o_f16_e32 v3, v3
	s_xor_b32 s12, exec_lo, s0
	s_cbranch_execz .LBB234_87
; %bb.64:
	s_mov_b32 s1, exec_lo
	v_cmpx_neq_f32_e64 0x7f800000, |v12|
	s_xor_b32 s13, exec_lo, s1
	s_cbranch_execz .LBB234_80
; %bb.65:
	v_max_f32_e64 v1, |v10|, |v10|
	v_max_f32_e64 v2, |v12|, |v12|
                                        ; implicit-def: $sgpr14
	s_delay_alu instid0(VALU_DEP_1) | instskip(NEXT) | instid1(VALU_DEP_1)
	v_max_f32_e32 v1, v2, v1
	v_cmp_nle_f32_e64 s0, 0x7ed413cb, v1
	s_delay_alu instid0(VALU_DEP_1) | instskip(NEXT) | instid1(SALU_CYCLE_1)
	s_and_saveexec_b32 s1, s0
	s_xor_b32 s1, exec_lo, s1
	s_cbranch_execz .LBB234_69
; %bb.66:
	v_cmp_ge_f32_e64 s14, 0x1000000, |v12|
	v_cmp_ge_f32_e64 s15, 0x1000000, |v10|
	s_delay_alu instid0(VALU_DEP_1)
	s_and_b32 s16, s14, s15
	s_mov_b32 s14, 0
	s_and_saveexec_b32 s15, s16
; %bb.67:
	v_mul_f32_e32 v10, 4.0, v10
	v_mul_f32_e32 v12, 4.0, v12
	s_mov_b32 s14, exec_lo
; %bb.68:
	s_or_b32 exec_lo, exec_lo, s15
	s_delay_alu instid0(SALU_CYCLE_1)
	s_and_b32 s14, s14, exec_lo
.LBB234_69:
	s_and_not1_saveexec_b32 s1, s1
; %bb.70:
	v_mul_f32_e32 v12, 0x3e800000, v12
	v_mul_f32_e32 v10, 0x3e800000, v10
	s_and_not1_b32 s14, s14, exec_lo
; %bb.71:
	s_or_b32 exec_lo, exec_lo, s1
	s_delay_alu instid0(VALU_DEP_1) | instskip(SKIP_1) | instid1(VALU_DEP_1)
	v_max_f32_e64 v1, |v10|, |v10|
	v_max_f32_e64 v2, |v12|, |v12|
	v_max_f32_e32 v13, v2, v1
	s_delay_alu instid0(VALU_DEP_1) | instskip(SKIP_1) | instid1(VALU_DEP_2)
	v_cvt_f64_f32_e32 v[1:2], v13
	v_cmp_neq_f32_e64 s1, 0x7f800000, v13
	v_frexp_exp_i32_f64_e32 v1, v[1:2]
	s_delay_alu instid0(VALU_DEP_1) | instskip(NEXT) | instid1(VALU_DEP_1)
	v_sub_nc_u32_e32 v2, 0, v1
	v_ldexp_f32 v14, |v10|, v2
	v_ldexp_f32 v2, |v12|, v2
	s_delay_alu instid0(VALU_DEP_2) | instskip(NEXT) | instid1(VALU_DEP_1)
	v_mul_f32_e32 v14, v14, v14
	v_fmac_f32_e32 v14, v2, v2
	s_delay_alu instid0(VALU_DEP_1) | instskip(SKIP_2) | instid1(VALU_DEP_1)
	v_sqrt_f32_e32 v2, v14
	s_waitcnt_depctr 0xfff
	v_ldexp_f32 v1, v2, v1
                                        ; implicit-def: $vgpr2
	v_cndmask_b32_e64 v13, 0x7f800000, v1, s1
                                        ; implicit-def: $vgpr1
	s_mov_b32 s1, exec_lo
	v_cmpx_le_f32_e32 0, v12
	s_xor_b32 s15, exec_lo, s1
	s_cbranch_execz .LBB234_73
; %bb.72:
	v_add_f32_e32 v1, v12, v13
	s_delay_alu instid0(VALU_DEP_1) | instskip(NEXT) | instid1(VALU_DEP_1)
	v_mul_f32_e32 v1, 0.5, v1
	v_mul_f32_e32 v2, 0x4f800000, v1
	v_cmp_gt_f32_e32 vcc_lo, 0xf800000, v1
	s_delay_alu instid0(VALU_DEP_2) | instskip(NEXT) | instid1(VALU_DEP_1)
	v_cndmask_b32_e32 v1, v1, v2, vcc_lo
	v_sqrt_f32_e32 v2, v1
	s_waitcnt_depctr 0xfff
	v_add_nc_u32_e32 v12, -1, v2
	v_add_nc_u32_e32 v13, 1, v2
	s_delay_alu instid0(VALU_DEP_2) | instskip(NEXT) | instid1(VALU_DEP_2)
	v_fma_f32 v14, -v12, v2, v1
	v_fma_f32 v15, -v13, v2, v1
	s_delay_alu instid0(VALU_DEP_2) | instskip(NEXT) | instid1(VALU_DEP_1)
	v_cmp_ge_f32_e64 s1, 0, v14
	v_cndmask_b32_e64 v2, v2, v12, s1
	s_delay_alu instid0(VALU_DEP_3) | instskip(NEXT) | instid1(VALU_DEP_1)
	v_cmp_lt_f32_e64 s1, 0, v15
	v_cndmask_b32_e64 v2, v2, v13, s1
	s_delay_alu instid0(VALU_DEP_1) | instskip(NEXT) | instid1(VALU_DEP_1)
	v_mul_f32_e32 v12, 0x37800000, v2
	v_cndmask_b32_e32 v2, v2, v12, vcc_lo
	v_cmp_class_f32_e64 vcc_lo, v1, 0x260
	s_delay_alu instid0(VALU_DEP_2) | instskip(NEXT) | instid1(VALU_DEP_1)
	v_cndmask_b32_e32 v1, v2, v1, vcc_lo
	v_add_f32_e32 v2, v1, v1
	s_delay_alu instid0(VALU_DEP_1) | instskip(NEXT) | instid1(VALU_DEP_1)
	v_div_scale_f32 v12, null, v2, v2, v10
	v_rcp_f32_e32 v13, v12
	s_waitcnt_depctr 0xfff
	v_fma_f32 v14, -v12, v13, 1.0
	s_delay_alu instid0(VALU_DEP_1) | instskip(SKIP_1) | instid1(VALU_DEP_1)
	v_fmac_f32_e32 v13, v14, v13
	v_div_scale_f32 v14, vcc_lo, v10, v2, v10
	v_mul_f32_e32 v15, v14, v13
	s_delay_alu instid0(VALU_DEP_1) | instskip(NEXT) | instid1(VALU_DEP_1)
	v_fma_f32 v16, -v12, v15, v14
	v_fmac_f32_e32 v15, v16, v13
	s_delay_alu instid0(VALU_DEP_1) | instskip(NEXT) | instid1(VALU_DEP_1)
	v_fma_f32 v12, -v12, v15, v14
	v_div_fmas_f32 v12, v12, v13, v15
                                        ; implicit-def: $vgpr13
	s_delay_alu instid0(VALU_DEP_1)
	v_div_fixup_f32 v2, v12, v2, v10
                                        ; implicit-def: $vgpr12
                                        ; implicit-def: $vgpr10
	s_and_not1_saveexec_b32 s15, s15
	s_cbranch_execz .LBB234_75
	s_branch .LBB234_74
.LBB234_73:
	s_and_not1_saveexec_b32 s15, s15
	s_cbranch_execz .LBB234_75
.LBB234_74:
	v_sub_f32_e32 v1, v13, v12
	s_delay_alu instid0(VALU_DEP_1) | instskip(NEXT) | instid1(VALU_DEP_1)
	v_mul_f32_e32 v1, 0.5, v1
	v_mul_f32_e32 v2, 0x4f800000, v1
	v_cmp_gt_f32_e32 vcc_lo, 0xf800000, v1
	s_delay_alu instid0(VALU_DEP_2) | instskip(NEXT) | instid1(VALU_DEP_1)
	v_cndmask_b32_e32 v1, v1, v2, vcc_lo
	v_sqrt_f32_e32 v2, v1
	s_waitcnt_depctr 0xfff
	v_add_nc_u32_e32 v12, -1, v2
	v_add_nc_u32_e32 v13, 1, v2
	s_delay_alu instid0(VALU_DEP_2) | instskip(NEXT) | instid1(VALU_DEP_2)
	v_fma_f32 v14, -v12, v2, v1
	v_fma_f32 v15, -v13, v2, v1
	s_delay_alu instid0(VALU_DEP_2) | instskip(NEXT) | instid1(VALU_DEP_1)
	v_cmp_ge_f32_e64 s1, 0, v14
	v_cndmask_b32_e64 v2, v2, v12, s1
	s_delay_alu instid0(VALU_DEP_3) | instskip(NEXT) | instid1(VALU_DEP_1)
	v_cmp_lt_f32_e64 s1, 0, v15
	v_cndmask_b32_e64 v2, v2, v13, s1
	s_delay_alu instid0(VALU_DEP_1) | instskip(NEXT) | instid1(VALU_DEP_1)
	v_mul_f32_e32 v12, 0x37800000, v2
	v_cndmask_b32_e32 v2, v2, v12, vcc_lo
	v_cmp_class_f32_e64 vcc_lo, v1, 0x260
	s_delay_alu instid0(VALU_DEP_2) | instskip(NEXT) | instid1(VALU_DEP_1)
	v_dual_cndmask_b32 v2, v2, v1 :: v_dual_and_b32 v1, 0x7fffffff, v10
	v_add_f32_e32 v12, v2, v2
	v_bfi_b32 v2, 0x7fffffff, v2, v10
	s_delay_alu instid0(VALU_DEP_2) | instskip(SKIP_1) | instid1(VALU_DEP_2)
	v_div_scale_f32 v13, null, v12, v12, v1
	v_div_scale_f32 v1, vcc_lo, v1, v12, v1
	v_rcp_f32_e32 v14, v13
	s_waitcnt_depctr 0xfff
	v_fma_f32 v15, -v13, v14, 1.0
	s_delay_alu instid0(VALU_DEP_1) | instskip(NEXT) | instid1(VALU_DEP_1)
	v_fmac_f32_e32 v14, v15, v14
	v_mul_f32_e32 v15, v1, v14
	s_delay_alu instid0(VALU_DEP_1) | instskip(NEXT) | instid1(VALU_DEP_1)
	v_fma_f32 v16, -v13, v15, v1
	v_fmac_f32_e32 v15, v16, v14
	s_delay_alu instid0(VALU_DEP_1) | instskip(NEXT) | instid1(VALU_DEP_1)
	v_fma_f32 v1, -v13, v15, v1
	v_div_fmas_f32 v1, v1, v14, v15
	s_delay_alu instid0(VALU_DEP_1)
	v_div_fixup_f32 v1, v1, v12, |v10|
.LBB234_75:
	s_or_b32 exec_lo, exec_lo, s15
                                        ; implicit-def: $vgpr10
                                        ; implicit-def: $vgpr12
	s_and_saveexec_b32 s1, s0
	s_delay_alu instid0(SALU_CYCLE_1)
	s_xor_b32 s0, exec_lo, s1
	s_cbranch_execz .LBB234_77
; %bb.76:
	v_dual_mul_f32 v10, 0.5, v1 :: v_dual_mul_f32 v13, 0.5, v2
	s_delay_alu instid0(VALU_DEP_1) | instskip(NEXT) | instid1(VALU_DEP_2)
	v_cndmask_b32_e64 v12, v1, v10, s14
	v_cndmask_b32_e64 v10, v2, v13, s14
                                        ; implicit-def: $vgpr1
                                        ; implicit-def: $vgpr2
	s_and_not1_saveexec_b32 s0, s0
	s_cbranch_execnz .LBB234_78
	s_branch .LBB234_79
.LBB234_77:
	s_and_not1_saveexec_b32 s0, s0
.LBB234_78:
	v_add_f32_e32 v12, v1, v1
	v_add_f32_e32 v10, v2, v2
.LBB234_79:
	s_or_b32 exec_lo, exec_lo, s0
.LBB234_80:
	s_and_not1_saveexec_b32 s0, s13
	s_cbranch_execz .LBB234_86
; %bb.81:
	s_delay_alu instid0(VALU_DEP_1)
	v_sub_f32_e32 v1, v10, v10
	s_mov_b32 s1, exec_lo
	v_cmpx_lt_i16_e32 -1, v3
	s_xor_b32 s1, exec_lo, s1
; %bb.82:
	s_delay_alu instid0(VALU_DEP_2)
	v_bfi_b32 v10, 0x7fffffff, v1, v10
                                        ; implicit-def: $vgpr1
; %bb.83:
	s_and_not1_saveexec_b32 s1, s1
; %bb.84:
	v_and_b32_e32 v1, 0x7fffffff, v1
	s_delay_alu instid0(VALU_DEP_2) | instskip(NEXT) | instid1(VALU_DEP_2)
	v_bfi_b32 v10, 0x7fffffff, v12, v10
	v_mov_b32_e32 v12, v1
; %bb.85:
	s_or_b32 exec_lo, exec_lo, s1
.LBB234_86:
	s_delay_alu instid0(SALU_CYCLE_1)
	s_or_b32 exec_lo, exec_lo, s0
.LBB234_87:
	s_and_not1_saveexec_b32 s0, s12
; %bb.88:
	v_sub_f32_e32 v1, v10, v10
	s_delay_alu instid0(VALU_DEP_1) | instskip(NEXT) | instid1(VALU_DEP_1)
	v_div_scale_f32 v2, vcc_lo, v1, v1, v1
	v_rcp_f32_e32 v3, v2
	s_waitcnt_depctr 0xfff
	v_fma_f32 v10, -v2, v3, 1.0
	s_delay_alu instid0(VALU_DEP_1) | instskip(NEXT) | instid1(VALU_DEP_1)
	v_fmac_f32_e32 v3, v10, v3
	v_mul_f32_e32 v10, v2, v3
	s_delay_alu instid0(VALU_DEP_1) | instskip(NEXT) | instid1(VALU_DEP_1)
	v_fma_f32 v13, -v2, v10, v2
	v_fmac_f32_e32 v10, v13, v3
	s_delay_alu instid0(VALU_DEP_1) | instskip(NEXT) | instid1(VALU_DEP_1)
	v_fma_f32 v2, -v2, v10, v2
	v_div_fmas_f32 v2, v2, v3, v10
	s_delay_alu instid0(VALU_DEP_1)
	v_div_fixup_f32 v10, v2, v1, v1
; %bb.89:
	s_or_b32 exec_lo, exec_lo, s0
.LBB234_90:
	s_delay_alu instid0(SALU_CYCLE_1)
	s_or_b32 exec_lo, exec_lo, s11
.LBB234_91:
	s_delay_alu instid0(SALU_CYCLE_1) | instskip(SKIP_2) | instid1(VALU_DEP_2)
	s_or_b32 exec_lo, exec_lo, s9
	v_lshrrev_b32_e32 v1, 16, v4
	v_cmp_neq_f16_e32 vcc_lo, 0, v4
	v_cmp_neq_f16_e64 s0, 0, v1
	v_cvt_f32_f16_e32 v13, v1
	s_delay_alu instid0(VALU_DEP_2) | instskip(NEXT) | instid1(SALU_CYCLE_1)
	s_or_b32 s0, vcc_lo, s0
	s_and_saveexec_b32 s9, s0
	s_cbranch_execz .LBB234_121
; %bb.92:
	v_mov_b32_e32 v11, 0x7f800000
	s_mov_b32 s11, exec_lo
	v_cmpx_neq_f32_e64 0x7f800000, |v13|
	s_cbranch_execz .LBB234_120
; %bb.93:
	v_cvt_f32_f16_e32 v11, v4
	s_mov_b32 s0, exec_lo
	v_cmpx_o_f16_e32 v4, v4
	s_xor_b32 s12, exec_lo, s0
	s_cbranch_execz .LBB234_117
; %bb.94:
	s_mov_b32 s1, exec_lo
	v_cmpx_neq_f32_e64 0x7f800000, |v11|
	s_xor_b32 s13, exec_lo, s1
	s_cbranch_execz .LBB234_110
; %bb.95:
	v_max_f32_e64 v1, |v13|, |v13|
	v_max_f32_e64 v2, |v11|, |v11|
                                        ; implicit-def: $sgpr14
	s_delay_alu instid0(VALU_DEP_1) | instskip(NEXT) | instid1(VALU_DEP_1)
	v_max_f32_e32 v1, v2, v1
	v_cmp_nle_f32_e64 s0, 0x7ed413cb, v1
	s_delay_alu instid0(VALU_DEP_1) | instskip(NEXT) | instid1(SALU_CYCLE_1)
	s_and_saveexec_b32 s1, s0
	s_xor_b32 s1, exec_lo, s1
	s_cbranch_execz .LBB234_99
; %bb.96:
	v_cmp_ge_f32_e64 s14, 0x1000000, |v11|
	v_cmp_ge_f32_e64 s15, 0x1000000, |v13|
	s_delay_alu instid0(VALU_DEP_1)
	s_and_b32 s16, s14, s15
	s_mov_b32 s14, 0
	s_and_saveexec_b32 s15, s16
; %bb.97:
	v_mul_f32_e32 v13, 4.0, v13
	v_mul_f32_e32 v11, 4.0, v11
	s_mov_b32 s14, exec_lo
; %bb.98:
	s_or_b32 exec_lo, exec_lo, s15
	s_delay_alu instid0(SALU_CYCLE_1)
	s_and_b32 s14, s14, exec_lo
.LBB234_99:
	s_and_not1_saveexec_b32 s1, s1
; %bb.100:
	v_mul_f32_e32 v11, 0x3e800000, v11
	v_mul_f32_e32 v13, 0x3e800000, v13
	s_and_not1_b32 s14, s14, exec_lo
; %bb.101:
	s_or_b32 exec_lo, exec_lo, s1
	s_delay_alu instid0(VALU_DEP_1) | instskip(SKIP_1) | instid1(VALU_DEP_1)
	v_max_f32_e64 v1, |v13|, |v13|
	v_max_f32_e64 v2, |v11|, |v11|
	v_max_f32_e32 v3, v2, v1
	s_delay_alu instid0(VALU_DEP_1) | instskip(NEXT) | instid1(VALU_DEP_1)
	v_cvt_f64_f32_e32 v[1:2], v3
	v_frexp_exp_i32_f64_e32 v1, v[1:2]
	s_delay_alu instid0(VALU_DEP_1) | instskip(NEXT) | instid1(VALU_DEP_1)
	v_sub_nc_u32_e32 v2, 0, v1
	v_ldexp_f32 v4, |v13|, v2
	v_ldexp_f32 v2, |v11|, v2
	s_delay_alu instid0(VALU_DEP_2) | instskip(SKIP_1) | instid1(VALU_DEP_2)
	v_mul_f32_e32 v4, v4, v4
	v_cmp_neq_f32_e64 s1, 0x7f800000, v3
	v_fmac_f32_e32 v4, v2, v2
	s_delay_alu instid0(VALU_DEP_1) | instskip(SKIP_2) | instid1(VALU_DEP_1)
	v_sqrt_f32_e32 v2, v4
	s_waitcnt_depctr 0xfff
	v_ldexp_f32 v1, v2, v1
                                        ; implicit-def: $vgpr2
	v_cndmask_b32_e64 v3, 0x7f800000, v1, s1
                                        ; implicit-def: $vgpr1
	s_mov_b32 s1, exec_lo
	v_cmpx_le_f32_e32 0, v11
	s_xor_b32 s15, exec_lo, s1
	s_cbranch_execz .LBB234_103
; %bb.102:
	v_add_f32_e32 v1, v11, v3
	s_delay_alu instid0(VALU_DEP_1) | instskip(NEXT) | instid1(VALU_DEP_1)
	v_mul_f32_e32 v1, 0.5, v1
	v_mul_f32_e32 v2, 0x4f800000, v1
	v_cmp_gt_f32_e32 vcc_lo, 0xf800000, v1
	s_delay_alu instid0(VALU_DEP_2) | instskip(NEXT) | instid1(VALU_DEP_1)
	v_cndmask_b32_e32 v1, v1, v2, vcc_lo
	v_sqrt_f32_e32 v2, v1
	s_waitcnt_depctr 0xfff
	v_add_nc_u32_e32 v3, -1, v2
	v_add_nc_u32_e32 v4, 1, v2
	s_delay_alu instid0(VALU_DEP_2) | instskip(NEXT) | instid1(VALU_DEP_2)
	v_fma_f32 v11, -v3, v2, v1
	v_fma_f32 v14, -v4, v2, v1
	s_delay_alu instid0(VALU_DEP_2) | instskip(NEXT) | instid1(VALU_DEP_1)
	v_cmp_ge_f32_e64 s1, 0, v11
	v_cndmask_b32_e64 v2, v2, v3, s1
	s_delay_alu instid0(VALU_DEP_3) | instskip(NEXT) | instid1(VALU_DEP_1)
	v_cmp_lt_f32_e64 s1, 0, v14
	v_cndmask_b32_e64 v2, v2, v4, s1
	s_delay_alu instid0(VALU_DEP_1) | instskip(NEXT) | instid1(VALU_DEP_1)
	v_mul_f32_e32 v3, 0x37800000, v2
	v_cndmask_b32_e32 v2, v2, v3, vcc_lo
	v_cmp_class_f32_e64 vcc_lo, v1, 0x260
	s_delay_alu instid0(VALU_DEP_2) | instskip(NEXT) | instid1(VALU_DEP_1)
	v_cndmask_b32_e32 v1, v2, v1, vcc_lo
	v_add_f32_e32 v2, v1, v1
	s_delay_alu instid0(VALU_DEP_1) | instskip(NEXT) | instid1(VALU_DEP_1)
	v_div_scale_f32 v3, null, v2, v2, v13
	v_rcp_f32_e32 v4, v3
	s_waitcnt_depctr 0xfff
	v_fma_f32 v11, -v3, v4, 1.0
	s_delay_alu instid0(VALU_DEP_1) | instskip(SKIP_1) | instid1(VALU_DEP_1)
	v_fmac_f32_e32 v4, v11, v4
	v_div_scale_f32 v11, vcc_lo, v13, v2, v13
	v_mul_f32_e32 v14, v11, v4
	s_delay_alu instid0(VALU_DEP_1) | instskip(NEXT) | instid1(VALU_DEP_1)
	v_fma_f32 v15, -v3, v14, v11
	v_fmac_f32_e32 v14, v15, v4
	s_delay_alu instid0(VALU_DEP_1) | instskip(NEXT) | instid1(VALU_DEP_1)
	v_fma_f32 v3, -v3, v14, v11
                                        ; implicit-def: $vgpr11
	v_div_fmas_f32 v3, v3, v4, v14
	s_delay_alu instid0(VALU_DEP_1)
	v_div_fixup_f32 v2, v3, v2, v13
                                        ; implicit-def: $vgpr3
                                        ; implicit-def: $vgpr13
	s_and_not1_saveexec_b32 s15, s15
	s_cbranch_execz .LBB234_105
	s_branch .LBB234_104
.LBB234_103:
	s_and_not1_saveexec_b32 s15, s15
	s_cbranch_execz .LBB234_105
.LBB234_104:
	v_sub_f32_e32 v1, v3, v11
	s_delay_alu instid0(VALU_DEP_1) | instskip(NEXT) | instid1(VALU_DEP_1)
	v_mul_f32_e32 v1, 0.5, v1
	v_mul_f32_e32 v2, 0x4f800000, v1
	v_cmp_gt_f32_e32 vcc_lo, 0xf800000, v1
	s_delay_alu instid0(VALU_DEP_2) | instskip(NEXT) | instid1(VALU_DEP_1)
	v_cndmask_b32_e32 v1, v1, v2, vcc_lo
	v_sqrt_f32_e32 v2, v1
	s_waitcnt_depctr 0xfff
	v_add_nc_u32_e32 v3, -1, v2
	v_add_nc_u32_e32 v4, 1, v2
	s_delay_alu instid0(VALU_DEP_2) | instskip(NEXT) | instid1(VALU_DEP_2)
	v_fma_f32 v11, -v3, v2, v1
	v_fma_f32 v14, -v4, v2, v1
	s_delay_alu instid0(VALU_DEP_2) | instskip(NEXT) | instid1(VALU_DEP_1)
	v_cmp_ge_f32_e64 s1, 0, v11
	v_cndmask_b32_e64 v2, v2, v3, s1
	s_delay_alu instid0(VALU_DEP_3) | instskip(NEXT) | instid1(VALU_DEP_1)
	v_cmp_lt_f32_e64 s1, 0, v14
	v_cndmask_b32_e64 v2, v2, v4, s1
	s_delay_alu instid0(VALU_DEP_1) | instskip(NEXT) | instid1(VALU_DEP_1)
	v_mul_f32_e32 v3, 0x37800000, v2
	v_cndmask_b32_e32 v2, v2, v3, vcc_lo
	v_cmp_class_f32_e64 vcc_lo, v1, 0x260
	s_delay_alu instid0(VALU_DEP_2) | instskip(SKIP_1) | instid1(VALU_DEP_2)
	v_cndmask_b32_e32 v2, v2, v1, vcc_lo
	v_and_b32_e32 v1, 0x7fffffff, v13
	v_add_f32_e32 v3, v2, v2
	v_bfi_b32 v2, 0x7fffffff, v2, v13
	s_delay_alu instid0(VALU_DEP_2) | instskip(SKIP_1) | instid1(VALU_DEP_2)
	v_div_scale_f32 v4, null, v3, v3, v1
	v_div_scale_f32 v1, vcc_lo, v1, v3, v1
	v_rcp_f32_e32 v11, v4
	s_waitcnt_depctr 0xfff
	v_fma_f32 v14, -v4, v11, 1.0
	s_delay_alu instid0(VALU_DEP_1) | instskip(NEXT) | instid1(VALU_DEP_1)
	v_fmac_f32_e32 v11, v14, v11
	v_mul_f32_e32 v14, v1, v11
	s_delay_alu instid0(VALU_DEP_1) | instskip(NEXT) | instid1(VALU_DEP_1)
	v_fma_f32 v15, -v4, v14, v1
	v_fmac_f32_e32 v14, v15, v11
	s_delay_alu instid0(VALU_DEP_1) | instskip(NEXT) | instid1(VALU_DEP_1)
	v_fma_f32 v1, -v4, v14, v1
	v_div_fmas_f32 v1, v1, v11, v14
	s_delay_alu instid0(VALU_DEP_1)
	v_div_fixup_f32 v1, v1, v3, |v13|
.LBB234_105:
	s_or_b32 exec_lo, exec_lo, s15
                                        ; implicit-def: $vgpr13
                                        ; implicit-def: $vgpr11
	s_and_saveexec_b32 s1, s0
	s_delay_alu instid0(SALU_CYCLE_1)
	s_xor_b32 s0, exec_lo, s1
	s_cbranch_execz .LBB234_107
; %bb.106:
	v_dual_mul_f32 v3, 0.5, v1 :: v_dual_mul_f32 v4, 0.5, v2
	s_delay_alu instid0(VALU_DEP_1) | instskip(NEXT) | instid1(VALU_DEP_2)
	v_cndmask_b32_e64 v11, v1, v3, s14
	v_cndmask_b32_e64 v13, v2, v4, s14
                                        ; implicit-def: $vgpr1
                                        ; implicit-def: $vgpr2
	s_and_not1_saveexec_b32 s0, s0
	s_cbranch_execnz .LBB234_108
	s_branch .LBB234_109
.LBB234_107:
	s_and_not1_saveexec_b32 s0, s0
.LBB234_108:
	v_add_f32_e32 v11, v1, v1
	v_add_f32_e32 v13, v2, v2
.LBB234_109:
	s_or_b32 exec_lo, exec_lo, s0
                                        ; implicit-def: $vgpr1_vgpr2_vgpr3_vgpr4
.LBB234_110:
	s_and_not1_saveexec_b32 s0, s13
	s_cbranch_execz .LBB234_116
; %bb.111:
	s_delay_alu instid0(VALU_DEP_1)
	v_sub_f32_e32 v1, v13, v13
	s_mov_b32 s1, exec_lo
	v_cmpx_lt_i16_e32 -1, v4
	s_xor_b32 s1, exec_lo, s1
; %bb.112:
	s_delay_alu instid0(VALU_DEP_2)
	v_bfi_b32 v13, 0x7fffffff, v1, v13
                                        ; implicit-def: $vgpr1
; %bb.113:
	s_and_not1_saveexec_b32 s1, s1
; %bb.114:
	v_and_b32_e32 v1, 0x7fffffff, v1
	s_delay_alu instid0(VALU_DEP_2) | instskip(NEXT) | instid1(VALU_DEP_2)
	v_bfi_b32 v13, 0x7fffffff, v11, v13
	v_mov_b32_e32 v11, v1
; %bb.115:
	s_or_b32 exec_lo, exec_lo, s1
.LBB234_116:
	s_delay_alu instid0(SALU_CYCLE_1)
	s_or_b32 exec_lo, exec_lo, s0
.LBB234_117:
	s_and_not1_saveexec_b32 s0, s12
; %bb.118:
	v_sub_f32_e32 v1, v13, v13
	s_delay_alu instid0(VALU_DEP_1) | instskip(NEXT) | instid1(VALU_DEP_1)
	v_div_scale_f32 v2, vcc_lo, v1, v1, v1
	v_rcp_f32_e32 v3, v2
	s_waitcnt_depctr 0xfff
	v_fma_f32 v4, -v2, v3, 1.0
	s_delay_alu instid0(VALU_DEP_1) | instskip(NEXT) | instid1(VALU_DEP_1)
	v_fmac_f32_e32 v3, v4, v3
	v_mul_f32_e32 v4, v2, v3
	s_delay_alu instid0(VALU_DEP_1) | instskip(NEXT) | instid1(VALU_DEP_1)
	v_fma_f32 v13, -v2, v4, v2
	v_fmac_f32_e32 v4, v13, v3
	s_delay_alu instid0(VALU_DEP_1) | instskip(NEXT) | instid1(VALU_DEP_1)
	v_fma_f32 v2, -v2, v4, v2
	v_div_fmas_f32 v2, v2, v3, v4
	s_delay_alu instid0(VALU_DEP_1)
	v_div_fixup_f32 v13, v2, v1, v1
; %bb.119:
	s_or_b32 exec_lo, exec_lo, s0
.LBB234_120:
	s_delay_alu instid0(SALU_CYCLE_1)
	s_or_b32 exec_lo, exec_lo, s11
.LBB234_121:
	s_delay_alu instid0(SALU_CYCLE_1)
	s_or_b32 exec_lo, exec_lo, s9
	v_cvt_f16_f32_e32 v3, v9
	v_cvt_f16_f32_e32 v1, v10
	;; [unrolled: 1-line block ×5, first 2 shown]
	v_lshlrev_b32_e32 v4, 16, v3
	v_cvt_f16_f32_e32 v3, v7
	v_cvt_f16_f32_e32 v7, v8
	;; [unrolled: 1-line block ×3, first 2 shown]
	v_lshlrev_b32_e32 v1, 16, v1
	v_and_b32_e32 v2, 0xffff, v2
	v_and_b32_e32 v10, 0xffff, v3
	v_lshlrev_b32_e32 v6, 16, v6
	v_and_b32_e32 v7, 0xffff, v7
	v_lshlrev_b32_e32 v8, 16, v8
	v_and_b32_e32 v9, 0xffff, v9
	v_or_b32_e32 v3, v1, v2
	v_or_b32_e32 v2, v4, v10
	;; [unrolled: 1-line block ×3, first 2 shown]
	s_add_u32 s2, s4, s2
	v_or_b32_e32 v4, v8, v9
	s_addc_u32 s3, s5, s3
	s_mov_b32 s0, 0
	global_store_b128 v5, v[1:4], s[2:3]
.LBB234_122:
	s_and_b32 vcc_lo, exec_lo, s0
	s_cbranch_vccz .LBB234_267
; %bb.123:
	v_cmp_gt_i32_e64 s0, s10, v0
	v_dual_mov_b32 v7, 0 :: v_dual_mov_b32 v8, 0
	v_or_b32_e32 v1, s8, v0
	v_or_b32_e32 v3, 0x100, v0
	v_mov_b32_e32 v4, v0
	s_and_saveexec_b32 s1, s0
	s_cbranch_execz .LBB234_125
; %bb.124:
	v_mov_b32_e32 v2, 0
	s_delay_alu instid0(VALU_DEP_1) | instskip(NEXT) | instid1(VALU_DEP_1)
	v_lshlrev_b64 v[4:5], 2, v[1:2]
	v_add_co_u32 v4, vcc_lo, s6, v4
	s_delay_alu instid0(VALU_DEP_2)
	v_add_co_ci_u32_e32 v5, vcc_lo, s7, v5, vcc_lo
	global_load_b32 v8, v[4:5], off
	v_or_b32_e32 v4, 0x100, v0
.LBB234_125:
	s_or_b32 exec_lo, exec_lo, s1
	s_delay_alu instid0(SALU_CYCLE_1) | instskip(NEXT) | instid1(VALU_DEP_1)
	s_mov_b32 s1, exec_lo
	v_cmpx_gt_i32_e64 s10, v4
	s_cbranch_execz .LBB234_127
; %bb.126:
	v_dual_mov_b32 v6, 0 :: v_dual_add_nc_u32 v5, s8, v4
	v_add_nc_u32_e32 v4, 0x100, v4
	s_delay_alu instid0(VALU_DEP_2) | instskip(NEXT) | instid1(VALU_DEP_1)
	v_lshlrev_b64 v[5:6], 2, v[5:6]
	v_add_co_u32 v5, vcc_lo, s6, v5
	s_delay_alu instid0(VALU_DEP_2)
	v_add_co_ci_u32_e32 v6, vcc_lo, s7, v6, vcc_lo
	global_load_b32 v7, v[5:6], off
.LBB234_127:
	s_or_b32 exec_lo, exec_lo, s1
	v_dual_mov_b32 v2, 0 :: v_dual_mov_b32 v5, 0
	s_mov_b32 s1, exec_lo
	v_cmpx_gt_i32_e64 s10, v4
	s_cbranch_execz .LBB234_131
; %bb.128:
	v_dual_mov_b32 v6, 0 :: v_dual_add_nc_u32 v5, s8, v4
	v_add_nc_u32_e32 v4, 0x100, v4
	s_delay_alu instid0(VALU_DEP_2) | instskip(NEXT) | instid1(VALU_DEP_1)
	v_lshlrev_b64 v[5:6], 2, v[5:6]
	v_add_co_u32 v5, vcc_lo, s6, v5
	s_delay_alu instid0(VALU_DEP_2) | instskip(SKIP_2) | instid1(SALU_CYCLE_1)
	v_add_co_ci_u32_e32 v6, vcc_lo, s7, v6, vcc_lo
	global_load_b32 v5, v[5:6], off
	s_or_b32 exec_lo, exec_lo, s1
	s_mov_b32 s1, exec_lo
	v_cmpx_gt_i32_e64 s10, v4
	s_cbranch_execnz .LBB234_132
.LBB234_129:
	s_or_b32 exec_lo, exec_lo, s1
                                        ; implicit-def: $vgpr4
	s_and_saveexec_b32 s3, s0
	s_cbranch_execnz .LBB234_133
.LBB234_130:
	s_or_b32 exec_lo, exec_lo, s3
	s_delay_alu instid0(SALU_CYCLE_1)
	s_mov_b32 s3, exec_lo
                                        ; implicit-def: $vgpr6
	v_cmpx_gt_i32_e64 s10, v3
	s_cbranch_execz .LBB234_195
	s_branch .LBB234_164
.LBB234_131:
	s_or_b32 exec_lo, exec_lo, s1
	s_delay_alu instid0(SALU_CYCLE_1)
	s_mov_b32 s1, exec_lo
	v_cmpx_gt_i32_e64 s10, v4
	s_cbranch_execz .LBB234_129
.LBB234_132:
	v_dual_mov_b32 v10, 0 :: v_dual_add_nc_u32 v9, s8, v4
	s_delay_alu instid0(VALU_DEP_1) | instskip(NEXT) | instid1(VALU_DEP_1)
	v_lshlrev_b64 v[9:10], 2, v[9:10]
	v_add_co_u32 v9, vcc_lo, s6, v9
	s_delay_alu instid0(VALU_DEP_2)
	v_add_co_ci_u32_e32 v10, vcc_lo, s7, v10, vcc_lo
	global_load_b32 v2, v[9:10], off
	s_or_b32 exec_lo, exec_lo, s1
                                        ; implicit-def: $vgpr4
	s_and_saveexec_b32 s3, s0
	s_cbranch_execz .LBB234_130
.LBB234_133:
	s_waitcnt vmcnt(0)
	v_lshrrev_b32_e32 v4, 16, v8
	v_cmp_neq_f16_e32 vcc_lo, 0, v8
	v_mov_b32_e32 v6, 0
	s_delay_alu instid0(VALU_DEP_3) | instskip(SKIP_1) | instid1(VALU_DEP_2)
	v_cmp_neq_f16_e64 s1, 0, v4
	v_cvt_f32_f16_e32 v4, v4
	s_or_b32 s1, vcc_lo, s1
	s_delay_alu instid0(SALU_CYCLE_1)
	s_and_saveexec_b32 s6, s1
	s_cbranch_execz .LBB234_163
; %bb.134:
	v_mov_b32_e32 v6, 0x7f800000
	s_mov_b32 s7, exec_lo
	v_cmpx_neq_f32_e64 0x7f800000, |v4|
	s_cbranch_execz .LBB234_162
; %bb.135:
	v_cvt_f32_f16_e32 v6, v8
	s_mov_b32 s1, exec_lo
	v_cmpx_o_f16_e32 v8, v8
	s_xor_b32 s9, exec_lo, s1
	s_cbranch_execz .LBB234_159
; %bb.136:
	s_mov_b32 s2, exec_lo
	v_cmpx_neq_f32_e64 0x7f800000, |v6|
	s_xor_b32 s11, exec_lo, s2
	s_cbranch_execz .LBB234_152
; %bb.137:
	v_max_f32_e64 v8, |v4|, |v4|
	v_max_f32_e64 v9, |v6|, |v6|
                                        ; implicit-def: $sgpr12
	s_delay_alu instid0(VALU_DEP_1) | instskip(NEXT) | instid1(VALU_DEP_1)
	v_max_f32_e32 v8, v9, v8
	v_cmp_nle_f32_e64 s1, 0x7ed413cb, v8
	s_delay_alu instid0(VALU_DEP_1) | instskip(NEXT) | instid1(SALU_CYCLE_1)
	s_and_saveexec_b32 s2, s1
	s_xor_b32 s2, exec_lo, s2
	s_cbranch_execz .LBB234_141
; %bb.138:
	v_cmp_ge_f32_e64 s12, 0x1000000, |v6|
	v_cmp_ge_f32_e64 s13, 0x1000000, |v4|
	s_delay_alu instid0(VALU_DEP_1)
	s_and_b32 s14, s12, s13
	s_mov_b32 s12, 0
	s_and_saveexec_b32 s13, s14
; %bb.139:
	v_mul_f32_e32 v4, 4.0, v4
	v_mul_f32_e32 v6, 4.0, v6
	s_mov_b32 s12, exec_lo
; %bb.140:
	s_or_b32 exec_lo, exec_lo, s13
	s_delay_alu instid0(SALU_CYCLE_1)
	s_and_b32 s12, s12, exec_lo
.LBB234_141:
	s_and_not1_saveexec_b32 s2, s2
; %bb.142:
	v_mul_f32_e32 v6, 0x3e800000, v6
	v_mul_f32_e32 v4, 0x3e800000, v4
	s_and_not1_b32 s12, s12, exec_lo
; %bb.143:
	s_or_b32 exec_lo, exec_lo, s2
	s_delay_alu instid0(VALU_DEP_1) | instskip(SKIP_1) | instid1(VALU_DEP_1)
	v_max_f32_e64 v8, |v4|, |v4|
	v_max_f32_e64 v9, |v6|, |v6|
	v_max_f32_e32 v10, v9, v8
	s_delay_alu instid0(VALU_DEP_1) | instskip(NEXT) | instid1(VALU_DEP_1)
	v_cvt_f64_f32_e32 v[8:9], v10
	v_frexp_exp_i32_f64_e32 v8, v[8:9]
	s_delay_alu instid0(VALU_DEP_1) | instskip(NEXT) | instid1(VALU_DEP_1)
	v_sub_nc_u32_e32 v9, 0, v8
	v_ldexp_f32 v11, |v4|, v9
	v_ldexp_f32 v9, |v6|, v9
	s_delay_alu instid0(VALU_DEP_2) | instskip(SKIP_1) | instid1(VALU_DEP_2)
	v_mul_f32_e32 v11, v11, v11
	v_cmp_neq_f32_e64 s2, 0x7f800000, v10
	v_fmac_f32_e32 v11, v9, v9
	s_delay_alu instid0(VALU_DEP_1) | instskip(SKIP_2) | instid1(VALU_DEP_1)
	v_sqrt_f32_e32 v9, v11
	s_waitcnt_depctr 0xfff
	v_ldexp_f32 v8, v9, v8
                                        ; implicit-def: $vgpr9
	v_cndmask_b32_e64 v10, 0x7f800000, v8, s2
                                        ; implicit-def: $vgpr8
	s_mov_b32 s2, exec_lo
	v_cmpx_le_f32_e32 0, v6
	s_xor_b32 s13, exec_lo, s2
	s_cbranch_execz .LBB234_145
; %bb.144:
	v_add_f32_e32 v6, v6, v10
	s_delay_alu instid0(VALU_DEP_1) | instskip(NEXT) | instid1(VALU_DEP_1)
	v_mul_f32_e32 v6, 0.5, v6
	v_mul_f32_e32 v8, 0x4f800000, v6
	v_cmp_gt_f32_e32 vcc_lo, 0xf800000, v6
	s_delay_alu instid0(VALU_DEP_2) | instskip(NEXT) | instid1(VALU_DEP_1)
	v_cndmask_b32_e32 v6, v6, v8, vcc_lo
	v_sqrt_f32_e32 v8, v6
	s_waitcnt_depctr 0xfff
	v_add_nc_u32_e32 v9, -1, v8
	v_add_nc_u32_e32 v10, 1, v8
	s_delay_alu instid0(VALU_DEP_2) | instskip(NEXT) | instid1(VALU_DEP_2)
	v_fma_f32 v11, -v9, v8, v6
	v_fma_f32 v12, -v10, v8, v6
	s_delay_alu instid0(VALU_DEP_2) | instskip(NEXT) | instid1(VALU_DEP_1)
	v_cmp_ge_f32_e64 s2, 0, v11
	v_cndmask_b32_e64 v8, v8, v9, s2
	s_delay_alu instid0(VALU_DEP_3) | instskip(NEXT) | instid1(VALU_DEP_1)
	v_cmp_lt_f32_e64 s2, 0, v12
	v_cndmask_b32_e64 v8, v8, v10, s2
	s_delay_alu instid0(VALU_DEP_1) | instskip(NEXT) | instid1(VALU_DEP_1)
	v_mul_f32_e32 v9, 0x37800000, v8
	v_cndmask_b32_e32 v8, v8, v9, vcc_lo
	v_cmp_class_f32_e64 vcc_lo, v6, 0x260
	s_delay_alu instid0(VALU_DEP_2) | instskip(NEXT) | instid1(VALU_DEP_1)
	v_cndmask_b32_e32 v8, v8, v6, vcc_lo
	v_add_f32_e32 v6, v8, v8
	s_delay_alu instid0(VALU_DEP_1) | instskip(NEXT) | instid1(VALU_DEP_1)
	v_div_scale_f32 v9, null, v6, v6, v4
	v_rcp_f32_e32 v10, v9
	s_waitcnt_depctr 0xfff
	v_fma_f32 v11, -v9, v10, 1.0
	s_delay_alu instid0(VALU_DEP_1) | instskip(SKIP_1) | instid1(VALU_DEP_1)
	v_fmac_f32_e32 v10, v11, v10
	v_div_scale_f32 v11, vcc_lo, v4, v6, v4
	v_mul_f32_e32 v12, v11, v10
	s_delay_alu instid0(VALU_DEP_1) | instskip(NEXT) | instid1(VALU_DEP_1)
	v_fma_f32 v13, -v9, v12, v11
	v_fmac_f32_e32 v12, v13, v10
	s_delay_alu instid0(VALU_DEP_1) | instskip(NEXT) | instid1(VALU_DEP_1)
	v_fma_f32 v9, -v9, v12, v11
	v_div_fmas_f32 v9, v9, v10, v12
                                        ; implicit-def: $vgpr10
	s_delay_alu instid0(VALU_DEP_1)
	v_div_fixup_f32 v9, v9, v6, v4
                                        ; implicit-def: $vgpr6
                                        ; implicit-def: $vgpr4
	s_and_not1_saveexec_b32 s13, s13
	s_cbranch_execz .LBB234_147
	s_branch .LBB234_146
.LBB234_145:
	s_and_not1_saveexec_b32 s13, s13
	s_cbranch_execz .LBB234_147
.LBB234_146:
	v_sub_f32_e32 v6, v10, v6
	s_delay_alu instid0(VALU_DEP_1) | instskip(NEXT) | instid1(VALU_DEP_1)
	v_mul_f32_e32 v6, 0.5, v6
	v_mul_f32_e32 v8, 0x4f800000, v6
	v_cmp_gt_f32_e32 vcc_lo, 0xf800000, v6
	s_delay_alu instid0(VALU_DEP_2) | instskip(NEXT) | instid1(VALU_DEP_1)
	v_cndmask_b32_e32 v6, v6, v8, vcc_lo
	v_sqrt_f32_e32 v8, v6
	s_waitcnt_depctr 0xfff
	v_add_nc_u32_e32 v9, -1, v8
	v_add_nc_u32_e32 v10, 1, v8
	s_delay_alu instid0(VALU_DEP_2) | instskip(NEXT) | instid1(VALU_DEP_2)
	v_fma_f32 v11, -v9, v8, v6
	v_fma_f32 v12, -v10, v8, v6
	s_delay_alu instid0(VALU_DEP_2) | instskip(NEXT) | instid1(VALU_DEP_1)
	v_cmp_ge_f32_e64 s2, 0, v11
	v_cndmask_b32_e64 v8, v8, v9, s2
	s_delay_alu instid0(VALU_DEP_3) | instskip(NEXT) | instid1(VALU_DEP_1)
	v_cmp_lt_f32_e64 s2, 0, v12
	v_cndmask_b32_e64 v8, v8, v10, s2
	s_delay_alu instid0(VALU_DEP_1) | instskip(NEXT) | instid1(VALU_DEP_1)
	v_mul_f32_e32 v9, 0x37800000, v8
	v_cndmask_b32_e32 v8, v8, v9, vcc_lo
	v_cmp_class_f32_e64 vcc_lo, v6, 0x260
	s_delay_alu instid0(VALU_DEP_2) | instskip(NEXT) | instid1(VALU_DEP_1)
	v_cndmask_b32_e32 v6, v8, v6, vcc_lo
	v_dual_add_f32 v9, v6, v6 :: v_dual_and_b32 v8, 0x7fffffff, v4
	s_delay_alu instid0(VALU_DEP_1) | instskip(SKIP_1) | instid1(VALU_DEP_2)
	v_div_scale_f32 v10, null, v9, v9, v8
	v_div_scale_f32 v8, vcc_lo, v8, v9, v8
	v_rcp_f32_e32 v11, v10
	s_waitcnt_depctr 0xfff
	v_fma_f32 v12, -v10, v11, 1.0
	s_delay_alu instid0(VALU_DEP_1) | instskip(NEXT) | instid1(VALU_DEP_1)
	v_fmac_f32_e32 v11, v12, v11
	v_mul_f32_e32 v12, v8, v11
	s_delay_alu instid0(VALU_DEP_1) | instskip(NEXT) | instid1(VALU_DEP_1)
	v_fma_f32 v13, -v10, v12, v8
	v_fmac_f32_e32 v12, v13, v11
	s_delay_alu instid0(VALU_DEP_1) | instskip(NEXT) | instid1(VALU_DEP_1)
	v_fma_f32 v8, -v10, v12, v8
	v_div_fmas_f32 v8, v8, v11, v12
	s_delay_alu instid0(VALU_DEP_1)
	v_div_fixup_f32 v8, v8, v9, |v4|
	v_bfi_b32 v9, 0x7fffffff, v6, v4
.LBB234_147:
	s_or_b32 exec_lo, exec_lo, s13
                                        ; implicit-def: $vgpr4
                                        ; implicit-def: $vgpr6
	s_and_saveexec_b32 s2, s1
	s_delay_alu instid0(SALU_CYCLE_1)
	s_xor_b32 s1, exec_lo, s2
	s_cbranch_execz .LBB234_149
; %bb.148:
	v_mul_f32_e32 v4, 0.5, v8
	v_mul_f32_e32 v10, 0.5, v9
	s_delay_alu instid0(VALU_DEP_2) | instskip(NEXT) | instid1(VALU_DEP_2)
	v_cndmask_b32_e64 v6, v8, v4, s12
	v_cndmask_b32_e64 v4, v9, v10, s12
                                        ; implicit-def: $vgpr8
                                        ; implicit-def: $vgpr9
	s_and_not1_saveexec_b32 s1, s1
	s_cbranch_execnz .LBB234_150
	s_branch .LBB234_151
.LBB234_149:
	s_and_not1_saveexec_b32 s1, s1
.LBB234_150:
	v_add_f32_e32 v6, v8, v8
	v_add_f32_e32 v4, v9, v9
.LBB234_151:
	s_or_b32 exec_lo, exec_lo, s1
                                        ; implicit-def: $vgpr8
.LBB234_152:
	s_and_not1_saveexec_b32 s1, s11
	s_cbranch_execz .LBB234_158
; %bb.153:
	v_cmp_lt_i16_e32 vcc_lo, -1, v8
	v_sub_f32_e32 v8, v4, v4
	s_and_saveexec_b32 s2, vcc_lo
	s_delay_alu instid0(SALU_CYCLE_1)
	s_xor_b32 s2, exec_lo, s2
; %bb.154:
	s_delay_alu instid0(VALU_DEP_1)
	v_bfi_b32 v4, 0x7fffffff, v8, v4
                                        ; implicit-def: $vgpr8
; %bb.155:
	s_and_not1_saveexec_b32 s2, s2
; %bb.156:
	v_and_b32_e32 v8, 0x7fffffff, v8
	s_delay_alu instid0(VALU_DEP_2) | instskip(NEXT) | instid1(VALU_DEP_2)
	v_bfi_b32 v4, 0x7fffffff, v6, v4
	v_mov_b32_e32 v6, v8
; %bb.157:
	s_or_b32 exec_lo, exec_lo, s2
.LBB234_158:
	s_delay_alu instid0(SALU_CYCLE_1)
	s_or_b32 exec_lo, exec_lo, s1
.LBB234_159:
	s_and_not1_saveexec_b32 s1, s9
; %bb.160:
	v_sub_f32_e32 v4, v4, v4
	s_delay_alu instid0(VALU_DEP_1) | instskip(NEXT) | instid1(VALU_DEP_1)
	v_div_scale_f32 v8, vcc_lo, v4, v4, v4
	v_rcp_f32_e32 v9, v8
	s_waitcnt_depctr 0xfff
	v_fma_f32 v10, -v8, v9, 1.0
	s_delay_alu instid0(VALU_DEP_1) | instskip(NEXT) | instid1(VALU_DEP_1)
	v_fmac_f32_e32 v9, v10, v9
	v_mul_f32_e32 v10, v8, v9
	s_delay_alu instid0(VALU_DEP_1) | instskip(NEXT) | instid1(VALU_DEP_1)
	v_fma_f32 v11, -v8, v10, v8
	v_fmac_f32_e32 v10, v11, v9
	s_delay_alu instid0(VALU_DEP_1) | instskip(NEXT) | instid1(VALU_DEP_1)
	v_fma_f32 v8, -v8, v10, v8
	v_div_fmas_f32 v8, v8, v9, v10
	s_delay_alu instid0(VALU_DEP_1)
	v_div_fixup_f32 v4, v8, v4, v4
; %bb.161:
	s_or_b32 exec_lo, exec_lo, s1
.LBB234_162:
	s_delay_alu instid0(SALU_CYCLE_1)
	s_or_b32 exec_lo, exec_lo, s7
.LBB234_163:
	s_delay_alu instid0(SALU_CYCLE_1) | instskip(NEXT) | instid1(VALU_DEP_1)
	s_or_b32 exec_lo, exec_lo, s6
	v_cvt_f16_f32_e32 v4, v4
	v_cvt_f16_f32_e32 v6, v6
	s_delay_alu instid0(VALU_DEP_2) | instskip(NEXT) | instid1(VALU_DEP_2)
	v_lshlrev_b32_e32 v4, 16, v4
	v_and_b32_e32 v6, 0xffff, v6
	s_delay_alu instid0(VALU_DEP_1) | instskip(SKIP_1) | instid1(SALU_CYCLE_1)
	v_or_b32_e32 v4, v4, v6
	s_or_b32 exec_lo, exec_lo, s3
	s_mov_b32 s3, exec_lo
                                        ; implicit-def: $vgpr6
	v_cmpx_gt_i32_e64 s10, v3
	s_cbranch_execz .LBB234_195
.LBB234_164:
	s_waitcnt vmcnt(0)
	v_lshrrev_b32_e32 v6, 16, v7
	v_cmp_neq_f16_e32 vcc_lo, 0, v7
	v_mov_b32_e32 v8, 0
	s_delay_alu instid0(VALU_DEP_3) | instskip(SKIP_1) | instid1(VALU_DEP_2)
	v_cmp_neq_f16_e64 s1, 0, v6
	v_cvt_f32_f16_e32 v6, v6
	s_or_b32 s1, vcc_lo, s1
	s_delay_alu instid0(SALU_CYCLE_1)
	s_and_saveexec_b32 s6, s1
	s_cbranch_execz .LBB234_194
; %bb.165:
	v_mov_b32_e32 v8, 0x7f800000
	s_mov_b32 s7, exec_lo
	v_cmpx_neq_f32_e64 0x7f800000, |v6|
	s_cbranch_execz .LBB234_193
; %bb.166:
	v_cvt_f32_f16_e32 v8, v7
	s_mov_b32 s1, exec_lo
	v_cmpx_o_f16_e32 v7, v7
	s_xor_b32 s9, exec_lo, s1
	s_cbranch_execz .LBB234_190
; %bb.167:
	s_mov_b32 s2, exec_lo
	v_cmpx_neq_f32_e64 0x7f800000, |v8|
	s_xor_b32 s11, exec_lo, s2
	s_cbranch_execz .LBB234_183
; %bb.168:
	v_max_f32_e64 v7, |v6|, |v6|
	v_max_f32_e64 v9, |v8|, |v8|
                                        ; implicit-def: $sgpr12
	s_delay_alu instid0(VALU_DEP_1) | instskip(NEXT) | instid1(VALU_DEP_1)
	v_max_f32_e32 v7, v9, v7
	v_cmp_nle_f32_e64 s1, 0x7ed413cb, v7
	s_delay_alu instid0(VALU_DEP_1) | instskip(NEXT) | instid1(SALU_CYCLE_1)
	s_and_saveexec_b32 s2, s1
	s_xor_b32 s2, exec_lo, s2
	s_cbranch_execz .LBB234_172
; %bb.169:
	v_cmp_ge_f32_e64 s12, 0x1000000, |v8|
	v_cmp_ge_f32_e64 s13, 0x1000000, |v6|
	s_delay_alu instid0(VALU_DEP_1)
	s_and_b32 s14, s12, s13
	s_mov_b32 s12, 0
	s_and_saveexec_b32 s13, s14
; %bb.170:
	v_mul_f32_e32 v6, 4.0, v6
	v_mul_f32_e32 v8, 4.0, v8
	s_mov_b32 s12, exec_lo
; %bb.171:
	s_or_b32 exec_lo, exec_lo, s13
	s_delay_alu instid0(SALU_CYCLE_1)
	s_and_b32 s12, s12, exec_lo
.LBB234_172:
	s_and_not1_saveexec_b32 s2, s2
; %bb.173:
	v_mul_f32_e32 v8, 0x3e800000, v8
	v_mul_f32_e32 v6, 0x3e800000, v6
	s_and_not1_b32 s12, s12, exec_lo
; %bb.174:
	s_or_b32 exec_lo, exec_lo, s2
	s_delay_alu instid0(VALU_DEP_1) | instskip(SKIP_1) | instid1(VALU_DEP_1)
	v_max_f32_e64 v7, |v6|, |v6|
	v_max_f32_e64 v9, |v8|, |v8|
	v_max_f32_e32 v7, v9, v7
	s_delay_alu instid0(VALU_DEP_1) | instskip(SKIP_1) | instid1(VALU_DEP_2)
	v_cvt_f64_f32_e32 v[9:10], v7
	v_cmp_neq_f32_e64 s2, 0x7f800000, v7
                                        ; implicit-def: $vgpr7
	v_frexp_exp_i32_f64_e32 v9, v[9:10]
	s_delay_alu instid0(VALU_DEP_1) | instskip(NEXT) | instid1(VALU_DEP_1)
	v_sub_nc_u32_e32 v10, 0, v9
	v_ldexp_f32 v11, |v6|, v10
	v_ldexp_f32 v10, |v8|, v10
	s_delay_alu instid0(VALU_DEP_2) | instskip(NEXT) | instid1(VALU_DEP_1)
	v_mul_f32_e32 v11, v11, v11
	v_fmac_f32_e32 v11, v10, v10
	s_delay_alu instid0(VALU_DEP_1) | instskip(SKIP_2) | instid1(VALU_DEP_1)
	v_sqrt_f32_e32 v10, v11
	s_waitcnt_depctr 0xfff
	v_ldexp_f32 v9, v10, v9
	v_cndmask_b32_e64 v10, 0x7f800000, v9, s2
                                        ; implicit-def: $vgpr9
	s_mov_b32 s2, exec_lo
	v_cmpx_le_f32_e32 0, v8
	s_xor_b32 s13, exec_lo, s2
	s_cbranch_execz .LBB234_176
; %bb.175:
	v_add_f32_e32 v7, v8, v10
	s_delay_alu instid0(VALU_DEP_1) | instskip(NEXT) | instid1(VALU_DEP_1)
	v_mul_f32_e32 v7, 0.5, v7
	v_mul_f32_e32 v8, 0x4f800000, v7
	v_cmp_gt_f32_e32 vcc_lo, 0xf800000, v7
	s_delay_alu instid0(VALU_DEP_2) | instskip(NEXT) | instid1(VALU_DEP_1)
	v_cndmask_b32_e32 v7, v7, v8, vcc_lo
	v_sqrt_f32_e32 v8, v7
	s_waitcnt_depctr 0xfff
	v_add_nc_u32_e32 v9, -1, v8
	v_add_nc_u32_e32 v10, 1, v8
	s_delay_alu instid0(VALU_DEP_2) | instskip(NEXT) | instid1(VALU_DEP_2)
	v_fma_f32 v11, -v9, v8, v7
	v_fma_f32 v12, -v10, v8, v7
	s_delay_alu instid0(VALU_DEP_2) | instskip(NEXT) | instid1(VALU_DEP_1)
	v_cmp_ge_f32_e64 s2, 0, v11
	v_cndmask_b32_e64 v8, v8, v9, s2
	s_delay_alu instid0(VALU_DEP_3) | instskip(NEXT) | instid1(VALU_DEP_1)
	v_cmp_lt_f32_e64 s2, 0, v12
	v_cndmask_b32_e64 v8, v8, v10, s2
	s_delay_alu instid0(VALU_DEP_1) | instskip(NEXT) | instid1(VALU_DEP_1)
	v_mul_f32_e32 v9, 0x37800000, v8
	v_cndmask_b32_e32 v8, v8, v9, vcc_lo
	v_cmp_class_f32_e64 vcc_lo, v7, 0x260
	s_delay_alu instid0(VALU_DEP_2) | instskip(NEXT) | instid1(VALU_DEP_1)
	v_cndmask_b32_e32 v7, v8, v7, vcc_lo
	v_add_f32_e32 v8, v7, v7
	s_delay_alu instid0(VALU_DEP_1) | instskip(NEXT) | instid1(VALU_DEP_1)
	v_div_scale_f32 v9, null, v8, v8, v6
	v_rcp_f32_e32 v10, v9
	s_waitcnt_depctr 0xfff
	v_fma_f32 v11, -v9, v10, 1.0
	s_delay_alu instid0(VALU_DEP_1) | instskip(SKIP_1) | instid1(VALU_DEP_1)
	v_fmac_f32_e32 v10, v11, v10
	v_div_scale_f32 v11, vcc_lo, v6, v8, v6
	v_mul_f32_e32 v12, v11, v10
	s_delay_alu instid0(VALU_DEP_1) | instskip(NEXT) | instid1(VALU_DEP_1)
	v_fma_f32 v13, -v9, v12, v11
	v_fmac_f32_e32 v12, v13, v10
	s_delay_alu instid0(VALU_DEP_1) | instskip(NEXT) | instid1(VALU_DEP_1)
	v_fma_f32 v9, -v9, v12, v11
	v_div_fmas_f32 v9, v9, v10, v12
                                        ; implicit-def: $vgpr10
	s_delay_alu instid0(VALU_DEP_1)
	v_div_fixup_f32 v9, v9, v8, v6
                                        ; implicit-def: $vgpr8
                                        ; implicit-def: $vgpr6
	s_and_not1_saveexec_b32 s13, s13
	s_cbranch_execz .LBB234_178
	s_branch .LBB234_177
.LBB234_176:
	s_and_not1_saveexec_b32 s13, s13
	s_cbranch_execz .LBB234_178
.LBB234_177:
	v_sub_f32_e32 v7, v10, v8
	s_delay_alu instid0(VALU_DEP_1) | instskip(NEXT) | instid1(VALU_DEP_1)
	v_mul_f32_e32 v7, 0.5, v7
	v_mul_f32_e32 v8, 0x4f800000, v7
	v_cmp_gt_f32_e32 vcc_lo, 0xf800000, v7
	s_delay_alu instid0(VALU_DEP_2) | instskip(NEXT) | instid1(VALU_DEP_1)
	v_cndmask_b32_e32 v7, v7, v8, vcc_lo
	v_sqrt_f32_e32 v8, v7
	s_waitcnt_depctr 0xfff
	v_add_nc_u32_e32 v9, -1, v8
	v_add_nc_u32_e32 v10, 1, v8
	s_delay_alu instid0(VALU_DEP_2) | instskip(NEXT) | instid1(VALU_DEP_2)
	v_fma_f32 v11, -v9, v8, v7
	v_fma_f32 v12, -v10, v8, v7
	s_delay_alu instid0(VALU_DEP_2) | instskip(NEXT) | instid1(VALU_DEP_1)
	v_cmp_ge_f32_e64 s2, 0, v11
	v_cndmask_b32_e64 v8, v8, v9, s2
	s_delay_alu instid0(VALU_DEP_3) | instskip(NEXT) | instid1(VALU_DEP_1)
	v_cmp_lt_f32_e64 s2, 0, v12
	v_cndmask_b32_e64 v8, v8, v10, s2
	s_delay_alu instid0(VALU_DEP_1) | instskip(NEXT) | instid1(VALU_DEP_1)
	v_mul_f32_e32 v9, 0x37800000, v8
	v_cndmask_b32_e32 v8, v8, v9, vcc_lo
	v_cmp_class_f32_e64 vcc_lo, v7, 0x260
	s_delay_alu instid0(VALU_DEP_2) | instskip(NEXT) | instid1(VALU_DEP_1)
	v_dual_cndmask_b32 v8, v8, v7 :: v_dual_and_b32 v7, 0x7fffffff, v6
	v_add_f32_e32 v9, v8, v8
	s_delay_alu instid0(VALU_DEP_1) | instskip(SKIP_1) | instid1(VALU_DEP_2)
	v_div_scale_f32 v10, null, v9, v9, v7
	v_div_scale_f32 v7, vcc_lo, v7, v9, v7
	v_rcp_f32_e32 v11, v10
	s_waitcnt_depctr 0xfff
	v_fma_f32 v12, -v10, v11, 1.0
	s_delay_alu instid0(VALU_DEP_1) | instskip(NEXT) | instid1(VALU_DEP_1)
	v_fmac_f32_e32 v11, v12, v11
	v_mul_f32_e32 v12, v7, v11
	s_delay_alu instid0(VALU_DEP_1) | instskip(NEXT) | instid1(VALU_DEP_1)
	v_fma_f32 v13, -v10, v12, v7
	v_fmac_f32_e32 v12, v13, v11
	s_delay_alu instid0(VALU_DEP_1) | instskip(NEXT) | instid1(VALU_DEP_1)
	v_fma_f32 v7, -v10, v12, v7
	v_div_fmas_f32 v7, v7, v11, v12
	s_delay_alu instid0(VALU_DEP_1)
	v_div_fixup_f32 v7, v7, v9, |v6|
	v_bfi_b32 v9, 0x7fffffff, v8, v6
.LBB234_178:
	s_or_b32 exec_lo, exec_lo, s13
                                        ; implicit-def: $vgpr6
                                        ; implicit-def: $vgpr8
	s_and_saveexec_b32 s2, s1
	s_delay_alu instid0(SALU_CYCLE_1)
	s_xor_b32 s1, exec_lo, s2
	s_cbranch_execz .LBB234_180
; %bb.179:
	v_mul_f32_e32 v6, 0.5, v7
	v_mul_f32_e32 v10, 0.5, v9
	s_delay_alu instid0(VALU_DEP_2) | instskip(NEXT) | instid1(VALU_DEP_2)
	v_cndmask_b32_e64 v8, v7, v6, s12
	v_cndmask_b32_e64 v6, v9, v10, s12
                                        ; implicit-def: $vgpr7
                                        ; implicit-def: $vgpr9
	s_and_not1_saveexec_b32 s1, s1
	s_cbranch_execnz .LBB234_181
	s_branch .LBB234_182
.LBB234_180:
	s_and_not1_saveexec_b32 s1, s1
.LBB234_181:
	v_add_f32_e32 v8, v7, v7
	v_add_f32_e32 v6, v9, v9
.LBB234_182:
	s_or_b32 exec_lo, exec_lo, s1
                                        ; implicit-def: $vgpr7
.LBB234_183:
	s_and_not1_saveexec_b32 s1, s11
	s_cbranch_execz .LBB234_189
; %bb.184:
	v_cmp_lt_i16_e32 vcc_lo, -1, v7
	v_sub_f32_e32 v7, v6, v6
	s_and_saveexec_b32 s2, vcc_lo
	s_delay_alu instid0(SALU_CYCLE_1)
	s_xor_b32 s2, exec_lo, s2
; %bb.185:
	s_delay_alu instid0(VALU_DEP_1)
	v_bfi_b32 v6, 0x7fffffff, v7, v6
                                        ; implicit-def: $vgpr7
; %bb.186:
	s_and_not1_saveexec_b32 s2, s2
; %bb.187:
	v_and_b32_e32 v7, 0x7fffffff, v7
	s_delay_alu instid0(VALU_DEP_2) | instskip(NEXT) | instid1(VALU_DEP_2)
	v_bfi_b32 v6, 0x7fffffff, v8, v6
	v_mov_b32_e32 v8, v7
; %bb.188:
	s_or_b32 exec_lo, exec_lo, s2
.LBB234_189:
	s_delay_alu instid0(SALU_CYCLE_1)
	s_or_b32 exec_lo, exec_lo, s1
.LBB234_190:
	s_and_not1_saveexec_b32 s1, s9
; %bb.191:
	v_sub_f32_e32 v6, v6, v6
	s_delay_alu instid0(VALU_DEP_1) | instskip(NEXT) | instid1(VALU_DEP_1)
	v_div_scale_f32 v7, vcc_lo, v6, v6, v6
	v_rcp_f32_e32 v9, v7
	s_waitcnt_depctr 0xfff
	v_fma_f32 v10, -v7, v9, 1.0
	s_delay_alu instid0(VALU_DEP_1) | instskip(NEXT) | instid1(VALU_DEP_1)
	v_fmac_f32_e32 v9, v10, v9
	v_mul_f32_e32 v10, v7, v9
	s_delay_alu instid0(VALU_DEP_1) | instskip(NEXT) | instid1(VALU_DEP_1)
	v_fma_f32 v11, -v7, v10, v7
	v_fmac_f32_e32 v10, v11, v9
	s_delay_alu instid0(VALU_DEP_1) | instskip(NEXT) | instid1(VALU_DEP_1)
	v_fma_f32 v7, -v7, v10, v7
	v_div_fmas_f32 v7, v7, v9, v10
	s_delay_alu instid0(VALU_DEP_1)
	v_div_fixup_f32 v6, v7, v6, v6
; %bb.192:
	s_or_b32 exec_lo, exec_lo, s1
.LBB234_193:
	s_delay_alu instid0(SALU_CYCLE_1)
	s_or_b32 exec_lo, exec_lo, s7
.LBB234_194:
	s_delay_alu instid0(SALU_CYCLE_1) | instskip(NEXT) | instid1(VALU_DEP_1)
	s_or_b32 exec_lo, exec_lo, s6
	v_cvt_f16_f32_e32 v6, v6
	v_cvt_f16_f32_e32 v7, v8
	s_delay_alu instid0(VALU_DEP_2) | instskip(NEXT) | instid1(VALU_DEP_2)
	v_lshlrev_b32_e32 v6, 16, v6
	v_and_b32_e32 v7, 0xffff, v7
	s_delay_alu instid0(VALU_DEP_1)
	v_or_b32_e32 v6, v6, v7
.LBB234_195:
	s_or_b32 exec_lo, exec_lo, s3
	s_waitcnt vmcnt(0)
	v_or_b32_e32 v7, 0x200, v0
	s_delay_alu instid0(VALU_DEP_1)
	v_cmp_gt_i32_e32 vcc_lo, s10, v7
                                        ; implicit-def: $vgpr7
	s_and_saveexec_b32 s3, vcc_lo
	s_cbranch_execz .LBB234_227
; %bb.196:
	v_lshrrev_b32_e32 v7, 16, v5
	v_cmp_neq_f16_e32 vcc_lo, 0, v5
	v_mov_b32_e32 v8, 0
	s_delay_alu instid0(VALU_DEP_3) | instskip(SKIP_1) | instid1(VALU_DEP_2)
	v_cmp_neq_f16_e64 s1, 0, v7
	v_cvt_f32_f16_e32 v7, v7
	s_or_b32 s1, vcc_lo, s1
	s_delay_alu instid0(SALU_CYCLE_1)
	s_and_saveexec_b32 s6, s1
	s_cbranch_execz .LBB234_226
; %bb.197:
	v_mov_b32_e32 v8, 0x7f800000
	s_mov_b32 s7, exec_lo
	v_cmpx_neq_f32_e64 0x7f800000, |v7|
	s_cbranch_execz .LBB234_225
; %bb.198:
	v_cvt_f32_f16_e32 v8, v5
	s_mov_b32 s1, exec_lo
	v_cmpx_o_f16_e32 v5, v5
	s_xor_b32 s9, exec_lo, s1
	s_cbranch_execz .LBB234_222
; %bb.199:
	s_mov_b32 s2, exec_lo
	v_cmpx_neq_f32_e64 0x7f800000, |v8|
	s_xor_b32 s11, exec_lo, s2
	s_cbranch_execz .LBB234_215
; %bb.200:
	v_max_f32_e64 v5, |v7|, |v7|
	v_max_f32_e64 v9, |v8|, |v8|
                                        ; implicit-def: $sgpr12
	s_delay_alu instid0(VALU_DEP_1) | instskip(NEXT) | instid1(VALU_DEP_1)
	v_max_f32_e32 v5, v9, v5
	v_cmp_nle_f32_e64 s1, 0x7ed413cb, v5
	s_delay_alu instid0(VALU_DEP_1) | instskip(NEXT) | instid1(SALU_CYCLE_1)
	s_and_saveexec_b32 s2, s1
	s_xor_b32 s2, exec_lo, s2
	s_cbranch_execz .LBB234_204
; %bb.201:
	v_cmp_ge_f32_e64 s12, 0x1000000, |v8|
	v_cmp_ge_f32_e64 s13, 0x1000000, |v7|
	s_delay_alu instid0(VALU_DEP_1)
	s_and_b32 s14, s12, s13
	s_mov_b32 s12, 0
	s_and_saveexec_b32 s13, s14
; %bb.202:
	v_dual_mul_f32 v7, 4.0, v7 :: v_dual_mul_f32 v8, 4.0, v8
	s_mov_b32 s12, exec_lo
; %bb.203:
	s_or_b32 exec_lo, exec_lo, s13
	s_delay_alu instid0(SALU_CYCLE_1)
	s_and_b32 s12, s12, exec_lo
.LBB234_204:
	s_and_not1_saveexec_b32 s2, s2
; %bb.205:
	v_dual_mul_f32 v8, 0x3e800000, v8 :: v_dual_mul_f32 v7, 0x3e800000, v7
	s_and_not1_b32 s12, s12, exec_lo
; %bb.206:
	s_or_b32 exec_lo, exec_lo, s2
	s_delay_alu instid0(VALU_DEP_1) | instskip(NEXT) | instid1(VALU_DEP_2)
	v_max_f32_e64 v5, |v7|, |v7|
	v_max_f32_e64 v9, |v8|, |v8|
	s_delay_alu instid0(VALU_DEP_1) | instskip(NEXT) | instid1(VALU_DEP_1)
	v_max_f32_e32 v5, v9, v5
	v_cvt_f64_f32_e32 v[9:10], v5
	v_cmp_neq_f32_e64 s2, 0x7f800000, v5
                                        ; implicit-def: $vgpr5
	s_delay_alu instid0(VALU_DEP_2) | instskip(NEXT) | instid1(VALU_DEP_1)
	v_frexp_exp_i32_f64_e32 v9, v[9:10]
	v_sub_nc_u32_e32 v10, 0, v9
	s_delay_alu instid0(VALU_DEP_1) | instskip(SKIP_1) | instid1(VALU_DEP_2)
	v_ldexp_f32 v11, |v7|, v10
	v_ldexp_f32 v10, |v8|, v10
	v_mul_f32_e32 v11, v11, v11
	s_delay_alu instid0(VALU_DEP_1) | instskip(NEXT) | instid1(VALU_DEP_1)
	v_fmac_f32_e32 v11, v10, v10
	v_sqrt_f32_e32 v10, v11
	s_waitcnt_depctr 0xfff
	v_ldexp_f32 v9, v10, v9
	s_delay_alu instid0(VALU_DEP_1)
	v_cndmask_b32_e64 v10, 0x7f800000, v9, s2
                                        ; implicit-def: $vgpr9
	s_mov_b32 s2, exec_lo
	v_cmpx_le_f32_e32 0, v8
	s_xor_b32 s13, exec_lo, s2
	s_cbranch_execz .LBB234_208
; %bb.207:
	v_add_f32_e32 v5, v8, v10
	s_delay_alu instid0(VALU_DEP_1) | instskip(NEXT) | instid1(VALU_DEP_1)
	v_mul_f32_e32 v5, 0.5, v5
	v_mul_f32_e32 v8, 0x4f800000, v5
	v_cmp_gt_f32_e32 vcc_lo, 0xf800000, v5
	s_delay_alu instid0(VALU_DEP_2) | instskip(NEXT) | instid1(VALU_DEP_1)
	v_cndmask_b32_e32 v5, v5, v8, vcc_lo
	v_sqrt_f32_e32 v8, v5
	s_waitcnt_depctr 0xfff
	v_add_nc_u32_e32 v9, -1, v8
	v_add_nc_u32_e32 v10, 1, v8
	s_delay_alu instid0(VALU_DEP_2) | instskip(NEXT) | instid1(VALU_DEP_2)
	v_fma_f32 v11, -v9, v8, v5
	v_fma_f32 v12, -v10, v8, v5
	s_delay_alu instid0(VALU_DEP_2) | instskip(NEXT) | instid1(VALU_DEP_1)
	v_cmp_ge_f32_e64 s2, 0, v11
	v_cndmask_b32_e64 v8, v8, v9, s2
	s_delay_alu instid0(VALU_DEP_3) | instskip(NEXT) | instid1(VALU_DEP_1)
	v_cmp_lt_f32_e64 s2, 0, v12
	v_cndmask_b32_e64 v8, v8, v10, s2
	s_delay_alu instid0(VALU_DEP_1) | instskip(NEXT) | instid1(VALU_DEP_1)
	v_mul_f32_e32 v9, 0x37800000, v8
	v_cndmask_b32_e32 v8, v8, v9, vcc_lo
	v_cmp_class_f32_e64 vcc_lo, v5, 0x260
	s_delay_alu instid0(VALU_DEP_2) | instskip(NEXT) | instid1(VALU_DEP_1)
	v_cndmask_b32_e32 v5, v8, v5, vcc_lo
	v_add_f32_e32 v8, v5, v5
	s_delay_alu instid0(VALU_DEP_1) | instskip(NEXT) | instid1(VALU_DEP_1)
	v_div_scale_f32 v9, null, v8, v8, v7
	v_rcp_f32_e32 v10, v9
	s_waitcnt_depctr 0xfff
	v_fma_f32 v11, -v9, v10, 1.0
	s_delay_alu instid0(VALU_DEP_1) | instskip(SKIP_1) | instid1(VALU_DEP_1)
	v_fmac_f32_e32 v10, v11, v10
	v_div_scale_f32 v11, vcc_lo, v7, v8, v7
	v_mul_f32_e32 v12, v11, v10
	s_delay_alu instid0(VALU_DEP_1) | instskip(NEXT) | instid1(VALU_DEP_1)
	v_fma_f32 v13, -v9, v12, v11
	v_fmac_f32_e32 v12, v13, v10
	s_delay_alu instid0(VALU_DEP_1) | instskip(NEXT) | instid1(VALU_DEP_1)
	v_fma_f32 v9, -v9, v12, v11
	v_div_fmas_f32 v9, v9, v10, v12
                                        ; implicit-def: $vgpr10
	s_delay_alu instid0(VALU_DEP_1)
	v_div_fixup_f32 v9, v9, v8, v7
                                        ; implicit-def: $vgpr8
                                        ; implicit-def: $vgpr7
	s_and_not1_saveexec_b32 s13, s13
	s_cbranch_execz .LBB234_210
	s_branch .LBB234_209
.LBB234_208:
	s_and_not1_saveexec_b32 s13, s13
	s_cbranch_execz .LBB234_210
.LBB234_209:
	v_sub_f32_e32 v5, v10, v8
	s_delay_alu instid0(VALU_DEP_1) | instskip(NEXT) | instid1(VALU_DEP_1)
	v_mul_f32_e32 v5, 0.5, v5
	v_mul_f32_e32 v8, 0x4f800000, v5
	v_cmp_gt_f32_e32 vcc_lo, 0xf800000, v5
	s_delay_alu instid0(VALU_DEP_2) | instskip(NEXT) | instid1(VALU_DEP_1)
	v_cndmask_b32_e32 v5, v5, v8, vcc_lo
	v_sqrt_f32_e32 v8, v5
	s_waitcnt_depctr 0xfff
	v_add_nc_u32_e32 v9, -1, v8
	v_add_nc_u32_e32 v10, 1, v8
	s_delay_alu instid0(VALU_DEP_2) | instskip(NEXT) | instid1(VALU_DEP_2)
	v_fma_f32 v11, -v9, v8, v5
	v_fma_f32 v12, -v10, v8, v5
	s_delay_alu instid0(VALU_DEP_2) | instskip(NEXT) | instid1(VALU_DEP_1)
	v_cmp_ge_f32_e64 s2, 0, v11
	v_cndmask_b32_e64 v8, v8, v9, s2
	s_delay_alu instid0(VALU_DEP_3) | instskip(NEXT) | instid1(VALU_DEP_1)
	v_cmp_lt_f32_e64 s2, 0, v12
	v_cndmask_b32_e64 v8, v8, v10, s2
	s_delay_alu instid0(VALU_DEP_1) | instskip(NEXT) | instid1(VALU_DEP_1)
	v_mul_f32_e32 v9, 0x37800000, v8
	v_cndmask_b32_e32 v8, v8, v9, vcc_lo
	v_cmp_class_f32_e64 vcc_lo, v5, 0x260
	s_delay_alu instid0(VALU_DEP_2) | instskip(NEXT) | instid1(VALU_DEP_1)
	v_dual_cndmask_b32 v8, v8, v5 :: v_dual_and_b32 v5, 0x7fffffff, v7
	v_add_f32_e32 v9, v8, v8
	s_delay_alu instid0(VALU_DEP_1) | instskip(SKIP_1) | instid1(VALU_DEP_2)
	v_div_scale_f32 v10, null, v9, v9, v5
	v_div_scale_f32 v5, vcc_lo, v5, v9, v5
	v_rcp_f32_e32 v11, v10
	s_waitcnt_depctr 0xfff
	v_fma_f32 v12, -v10, v11, 1.0
	s_delay_alu instid0(VALU_DEP_1) | instskip(NEXT) | instid1(VALU_DEP_1)
	v_fmac_f32_e32 v11, v12, v11
	v_mul_f32_e32 v12, v5, v11
	s_delay_alu instid0(VALU_DEP_1) | instskip(NEXT) | instid1(VALU_DEP_1)
	v_fma_f32 v13, -v10, v12, v5
	v_fmac_f32_e32 v12, v13, v11
	s_delay_alu instid0(VALU_DEP_1) | instskip(NEXT) | instid1(VALU_DEP_1)
	v_fma_f32 v5, -v10, v12, v5
	v_div_fmas_f32 v5, v5, v11, v12
	s_delay_alu instid0(VALU_DEP_1)
	v_div_fixup_f32 v5, v5, v9, |v7|
	v_bfi_b32 v9, 0x7fffffff, v8, v7
.LBB234_210:
	s_or_b32 exec_lo, exec_lo, s13
                                        ; implicit-def: $vgpr7
                                        ; implicit-def: $vgpr8
	s_and_saveexec_b32 s2, s1
	s_delay_alu instid0(SALU_CYCLE_1)
	s_xor_b32 s1, exec_lo, s2
	s_cbranch_execz .LBB234_212
; %bb.211:
	v_mul_f32_e32 v7, 0.5, v5
	v_mul_f32_e32 v10, 0.5, v9
	s_delay_alu instid0(VALU_DEP_2) | instskip(NEXT) | instid1(VALU_DEP_2)
	v_cndmask_b32_e64 v8, v5, v7, s12
	v_cndmask_b32_e64 v7, v9, v10, s12
                                        ; implicit-def: $vgpr5
                                        ; implicit-def: $vgpr9
	s_and_not1_saveexec_b32 s1, s1
	s_cbranch_execnz .LBB234_213
	s_branch .LBB234_214
.LBB234_212:
	s_and_not1_saveexec_b32 s1, s1
.LBB234_213:
	v_add_f32_e32 v8, v5, v5
	v_add_f32_e32 v7, v9, v9
.LBB234_214:
	s_or_b32 exec_lo, exec_lo, s1
                                        ; implicit-def: $vgpr5
.LBB234_215:
	s_and_not1_saveexec_b32 s1, s11
	s_cbranch_execz .LBB234_221
; %bb.216:
	v_cmp_lt_i16_e32 vcc_lo, -1, v5
	v_sub_f32_e32 v5, v7, v7
	s_and_saveexec_b32 s2, vcc_lo
	s_delay_alu instid0(SALU_CYCLE_1)
	s_xor_b32 s2, exec_lo, s2
; %bb.217:
	s_delay_alu instid0(VALU_DEP_1)
	v_bfi_b32 v7, 0x7fffffff, v5, v7
                                        ; implicit-def: $vgpr5
; %bb.218:
	s_and_not1_saveexec_b32 s2, s2
; %bb.219:
	v_and_b32_e32 v5, 0x7fffffff, v5
	s_delay_alu instid0(VALU_DEP_2) | instskip(NEXT) | instid1(VALU_DEP_2)
	v_bfi_b32 v7, 0x7fffffff, v8, v7
	v_mov_b32_e32 v8, v5
; %bb.220:
	s_or_b32 exec_lo, exec_lo, s2
.LBB234_221:
	s_delay_alu instid0(SALU_CYCLE_1)
	s_or_b32 exec_lo, exec_lo, s1
.LBB234_222:
	s_and_not1_saveexec_b32 s1, s9
; %bb.223:
	v_sub_f32_e32 v5, v7, v7
	s_delay_alu instid0(VALU_DEP_1) | instskip(NEXT) | instid1(VALU_DEP_1)
	v_div_scale_f32 v7, vcc_lo, v5, v5, v5
	v_rcp_f32_e32 v9, v7
	s_waitcnt_depctr 0xfff
	v_fma_f32 v10, -v7, v9, 1.0
	s_delay_alu instid0(VALU_DEP_1) | instskip(NEXT) | instid1(VALU_DEP_1)
	v_fmac_f32_e32 v9, v10, v9
	v_mul_f32_e32 v10, v7, v9
	s_delay_alu instid0(VALU_DEP_1) | instskip(NEXT) | instid1(VALU_DEP_1)
	v_fma_f32 v11, -v7, v10, v7
	v_fmac_f32_e32 v10, v11, v9
	s_delay_alu instid0(VALU_DEP_1) | instskip(NEXT) | instid1(VALU_DEP_1)
	v_fma_f32 v7, -v7, v10, v7
	v_div_fmas_f32 v7, v7, v9, v10
	s_delay_alu instid0(VALU_DEP_1)
	v_div_fixup_f32 v7, v7, v5, v5
; %bb.224:
	s_or_b32 exec_lo, exec_lo, s1
.LBB234_225:
	s_delay_alu instid0(SALU_CYCLE_1)
	s_or_b32 exec_lo, exec_lo, s7
.LBB234_226:
	s_delay_alu instid0(SALU_CYCLE_1) | instskip(NEXT) | instid1(VALU_DEP_1)
	s_or_b32 exec_lo, exec_lo, s6
	v_cvt_f16_f32_e32 v5, v7
	v_cvt_f16_f32_e32 v7, v8
	s_delay_alu instid0(VALU_DEP_2) | instskip(NEXT) | instid1(VALU_DEP_2)
	v_lshlrev_b32_e32 v5, 16, v5
	v_and_b32_e32 v7, 0xffff, v7
	s_delay_alu instid0(VALU_DEP_1)
	v_or_b32_e32 v7, v5, v7
.LBB234_227:
	s_or_b32 exec_lo, exec_lo, s3
	v_or_b32_e32 v5, 0x300, v0
	s_delay_alu instid0(VALU_DEP_1)
	v_cmp_gt_i32_e32 vcc_lo, s10, v5
                                        ; implicit-def: $vgpr5
	s_and_saveexec_b32 s3, vcc_lo
	s_cbranch_execz .LBB234_240
; %bb.228:
	v_lshrrev_b32_e32 v5, 16, v2
	v_cmp_neq_f16_e32 vcc_lo, 0, v2
	v_mov_b32_e32 v8, 0
	s_delay_alu instid0(VALU_DEP_3) | instskip(SKIP_1) | instid1(VALU_DEP_2)
	v_cmp_neq_f16_e64 s1, 0, v5
	v_cvt_f32_f16_e32 v5, v5
	s_or_b32 s1, vcc_lo, s1
	s_delay_alu instid0(SALU_CYCLE_1)
	s_and_saveexec_b32 s6, s1
	s_cbranch_execz .LBB234_262
; %bb.229:
	v_mov_b32_e32 v8, 0x7f800000
	s_mov_b32 s7, exec_lo
	v_cmpx_neq_f32_e64 0x7f800000, |v5|
	s_cbranch_execz .LBB234_261
; %bb.230:
	v_cvt_f32_f16_e32 v8, v2
	s_mov_b32 s1, exec_lo
	v_cmpx_o_f16_e32 v2, v2
	s_xor_b32 s9, exec_lo, s1
	s_cbranch_execz .LBB234_258
; %bb.231:
	s_mov_b32 s2, exec_lo
	v_cmpx_neq_f32_e64 0x7f800000, |v8|
	s_xor_b32 s11, exec_lo, s2
	s_cbranch_execz .LBB234_251
; %bb.232:
	v_max_f32_e64 v2, |v5|, |v5|
	v_max_f32_e64 v9, |v8|, |v8|
                                        ; implicit-def: $sgpr12
	s_delay_alu instid0(VALU_DEP_1) | instskip(NEXT) | instid1(VALU_DEP_1)
	v_max_f32_e32 v2, v9, v2
	v_cmp_nle_f32_e64 s1, 0x7ed413cb, v2
	s_delay_alu instid0(VALU_DEP_1) | instskip(NEXT) | instid1(SALU_CYCLE_1)
	s_and_saveexec_b32 s2, s1
	s_xor_b32 s2, exec_lo, s2
	s_cbranch_execz .LBB234_236
; %bb.233:
	v_cmp_ge_f32_e64 s12, 0x1000000, |v8|
	v_cmp_ge_f32_e64 s13, 0x1000000, |v5|
	s_delay_alu instid0(VALU_DEP_1)
	s_and_b32 s14, s12, s13
	s_mov_b32 s12, 0
	s_and_saveexec_b32 s13, s14
; %bb.234:
	v_dual_mul_f32 v5, 4.0, v5 :: v_dual_mul_f32 v8, 4.0, v8
	s_mov_b32 s12, exec_lo
; %bb.235:
	s_or_b32 exec_lo, exec_lo, s13
	s_delay_alu instid0(SALU_CYCLE_1)
	s_and_b32 s12, s12, exec_lo
.LBB234_236:
	s_and_not1_saveexec_b32 s2, s2
; %bb.237:
	v_dual_mul_f32 v8, 0x3e800000, v8 :: v_dual_mul_f32 v5, 0x3e800000, v5
	s_and_not1_b32 s12, s12, exec_lo
; %bb.238:
	s_or_b32 exec_lo, exec_lo, s2
	s_delay_alu instid0(VALU_DEP_1) | instskip(NEXT) | instid1(VALU_DEP_2)
	v_max_f32_e64 v2, |v5|, |v5|
	v_max_f32_e64 v9, |v8|, |v8|
	s_delay_alu instid0(VALU_DEP_1) | instskip(NEXT) | instid1(VALU_DEP_1)
	v_max_f32_e32 v2, v9, v2
	v_cvt_f64_f32_e32 v[9:10], v2
	s_delay_alu instid0(VALU_DEP_1) | instskip(NEXT) | instid1(VALU_DEP_1)
	v_frexp_exp_i32_f64_e32 v9, v[9:10]
	v_sub_nc_u32_e32 v10, 0, v9
	s_delay_alu instid0(VALU_DEP_1) | instskip(SKIP_1) | instid1(VALU_DEP_2)
	v_ldexp_f32 v11, |v5|, v10
	v_ldexp_f32 v10, |v8|, v10
	v_mul_f32_e32 v11, v11, v11
	v_cmp_neq_f32_e64 s2, 0x7f800000, v2
                                        ; implicit-def: $vgpr2
	s_delay_alu instid0(VALU_DEP_2) | instskip(NEXT) | instid1(VALU_DEP_1)
	v_fmac_f32_e32 v11, v10, v10
	v_sqrt_f32_e32 v10, v11
	s_waitcnt_depctr 0xfff
	v_ldexp_f32 v9, v10, v9
	s_delay_alu instid0(VALU_DEP_1)
	v_cndmask_b32_e64 v10, 0x7f800000, v9, s2
                                        ; implicit-def: $vgpr9
	s_mov_b32 s2, exec_lo
	v_cmpx_le_f32_e32 0, v8
	s_xor_b32 s13, exec_lo, s2
	s_cbranch_execz .LBB234_244
; %bb.239:
	v_add_f32_e32 v2, v8, v10
	s_delay_alu instid0(VALU_DEP_1) | instskip(NEXT) | instid1(VALU_DEP_1)
	v_mul_f32_e32 v2, 0.5, v2
	v_mul_f32_e32 v8, 0x4f800000, v2
	v_cmp_gt_f32_e32 vcc_lo, 0xf800000, v2
	s_delay_alu instid0(VALU_DEP_2) | instskip(NEXT) | instid1(VALU_DEP_1)
	v_cndmask_b32_e32 v2, v2, v8, vcc_lo
	v_sqrt_f32_e32 v8, v2
	s_waitcnt_depctr 0xfff
	v_add_nc_u32_e32 v9, -1, v8
	v_add_nc_u32_e32 v10, 1, v8
	s_delay_alu instid0(VALU_DEP_2) | instskip(NEXT) | instid1(VALU_DEP_2)
	v_fma_f32 v11, -v9, v8, v2
	v_fma_f32 v12, -v10, v8, v2
	s_delay_alu instid0(VALU_DEP_2) | instskip(NEXT) | instid1(VALU_DEP_1)
	v_cmp_ge_f32_e64 s2, 0, v11
	v_cndmask_b32_e64 v8, v8, v9, s2
	s_delay_alu instid0(VALU_DEP_3) | instskip(NEXT) | instid1(VALU_DEP_1)
	v_cmp_lt_f32_e64 s2, 0, v12
	v_cndmask_b32_e64 v8, v8, v10, s2
	s_delay_alu instid0(VALU_DEP_1) | instskip(NEXT) | instid1(VALU_DEP_1)
	v_mul_f32_e32 v9, 0x37800000, v8
	v_cndmask_b32_e32 v8, v8, v9, vcc_lo
	v_cmp_class_f32_e64 vcc_lo, v2, 0x260
	s_delay_alu instid0(VALU_DEP_2) | instskip(NEXT) | instid1(VALU_DEP_1)
	v_cndmask_b32_e32 v2, v8, v2, vcc_lo
	v_add_f32_e32 v8, v2, v2
	s_delay_alu instid0(VALU_DEP_1) | instskip(NEXT) | instid1(VALU_DEP_1)
	v_div_scale_f32 v9, null, v8, v8, v5
	v_rcp_f32_e32 v10, v9
	s_waitcnt_depctr 0xfff
	v_fma_f32 v11, -v9, v10, 1.0
	s_delay_alu instid0(VALU_DEP_1) | instskip(SKIP_1) | instid1(VALU_DEP_1)
	v_fmac_f32_e32 v10, v11, v10
	v_div_scale_f32 v11, vcc_lo, v5, v8, v5
	v_mul_f32_e32 v12, v11, v10
	s_delay_alu instid0(VALU_DEP_1) | instskip(NEXT) | instid1(VALU_DEP_1)
	v_fma_f32 v13, -v9, v12, v11
	v_fmac_f32_e32 v12, v13, v10
	s_delay_alu instid0(VALU_DEP_1) | instskip(NEXT) | instid1(VALU_DEP_1)
	v_fma_f32 v9, -v9, v12, v11
	v_div_fmas_f32 v9, v9, v10, v12
                                        ; implicit-def: $vgpr10
	s_delay_alu instid0(VALU_DEP_1)
	v_div_fixup_f32 v9, v9, v8, v5
                                        ; implicit-def: $vgpr8
                                        ; implicit-def: $vgpr5
	s_and_not1_saveexec_b32 s13, s13
	s_cbranch_execz .LBB234_246
	s_branch .LBB234_245
.LBB234_240:
	s_or_b32 exec_lo, exec_lo, s3
	s_and_saveexec_b32 s1, s0
	s_delay_alu instid0(SALU_CYCLE_1)
	s_xor_b32 s0, exec_lo, s1
	s_cbranch_execz .LBB234_263
.LBB234_241:
	v_mov_b32_e32 v2, 0
	s_delay_alu instid0(VALU_DEP_1) | instskip(NEXT) | instid1(VALU_DEP_1)
	v_lshlrev_b64 v[0:1], 2, v[1:2]
	v_add_co_u32 v8, vcc_lo, s4, v0
	s_delay_alu instid0(VALU_DEP_2) | instskip(SKIP_3) | instid1(SALU_CYCLE_1)
	v_add_co_ci_u32_e32 v9, vcc_lo, s5, v1, vcc_lo
	v_mov_b32_e32 v0, v3
	global_store_b32 v[8:9], v4, off
	s_or_b32 exec_lo, exec_lo, s0
	s_mov_b32 s0, exec_lo
	v_cmpx_gt_i32_e64 s10, v0
	s_cbranch_execnz .LBB234_264
.LBB234_242:
	s_or_b32 exec_lo, exec_lo, s0
	s_delay_alu instid0(SALU_CYCLE_1)
	s_mov_b32 s0, exec_lo
	v_cmpx_gt_i32_e64 s10, v0
	s_cbranch_execz .LBB234_265
.LBB234_243:
	v_dual_mov_b32 v2, 0 :: v_dual_add_nc_u32 v1, s8, v0
	v_add_nc_u32_e32 v0, 0x100, v0
	s_delay_alu instid0(VALU_DEP_2) | instskip(NEXT) | instid1(VALU_DEP_1)
	v_lshlrev_b64 v[1:2], 2, v[1:2]
	v_add_co_u32 v1, vcc_lo, s4, v1
	s_delay_alu instid0(VALU_DEP_2) | instskip(SKIP_2) | instid1(SALU_CYCLE_1)
	v_add_co_ci_u32_e32 v2, vcc_lo, s5, v2, vcc_lo
	global_store_b32 v[1:2], v7, off
	s_or_b32 exec_lo, exec_lo, s0
	s_mov_b32 s0, exec_lo
	v_cmpx_gt_i32_e64 s10, v0
	s_cbranch_execnz .LBB234_266
	s_branch .LBB234_267
.LBB234_244:
	s_and_not1_saveexec_b32 s13, s13
	s_cbranch_execz .LBB234_246
.LBB234_245:
	v_sub_f32_e32 v2, v10, v8
	s_delay_alu instid0(VALU_DEP_1) | instskip(NEXT) | instid1(VALU_DEP_1)
	v_mul_f32_e32 v2, 0.5, v2
	v_mul_f32_e32 v8, 0x4f800000, v2
	v_cmp_gt_f32_e32 vcc_lo, 0xf800000, v2
	s_delay_alu instid0(VALU_DEP_2) | instskip(NEXT) | instid1(VALU_DEP_1)
	v_cndmask_b32_e32 v2, v2, v8, vcc_lo
	v_sqrt_f32_e32 v8, v2
	s_waitcnt_depctr 0xfff
	v_add_nc_u32_e32 v9, -1, v8
	v_add_nc_u32_e32 v10, 1, v8
	s_delay_alu instid0(VALU_DEP_2) | instskip(NEXT) | instid1(VALU_DEP_2)
	v_fma_f32 v11, -v9, v8, v2
	v_fma_f32 v12, -v10, v8, v2
	s_delay_alu instid0(VALU_DEP_2) | instskip(NEXT) | instid1(VALU_DEP_1)
	v_cmp_ge_f32_e64 s2, 0, v11
	v_cndmask_b32_e64 v8, v8, v9, s2
	s_delay_alu instid0(VALU_DEP_3) | instskip(NEXT) | instid1(VALU_DEP_1)
	v_cmp_lt_f32_e64 s2, 0, v12
	v_cndmask_b32_e64 v8, v8, v10, s2
	s_delay_alu instid0(VALU_DEP_1) | instskip(NEXT) | instid1(VALU_DEP_1)
	v_mul_f32_e32 v9, 0x37800000, v8
	v_cndmask_b32_e32 v8, v8, v9, vcc_lo
	v_cmp_class_f32_e64 vcc_lo, v2, 0x260
	s_delay_alu instid0(VALU_DEP_2) | instskip(NEXT) | instid1(VALU_DEP_1)
	v_cndmask_b32_e32 v8, v8, v2, vcc_lo
	v_dual_add_f32 v9, v8, v8 :: v_dual_and_b32 v2, 0x7fffffff, v5
	s_delay_alu instid0(VALU_DEP_1) | instskip(SKIP_1) | instid1(VALU_DEP_2)
	v_div_scale_f32 v10, null, v9, v9, v2
	v_div_scale_f32 v2, vcc_lo, v2, v9, v2
	v_rcp_f32_e32 v11, v10
	s_waitcnt_depctr 0xfff
	v_fma_f32 v12, -v10, v11, 1.0
	s_delay_alu instid0(VALU_DEP_1) | instskip(NEXT) | instid1(VALU_DEP_1)
	v_fmac_f32_e32 v11, v12, v11
	v_mul_f32_e32 v12, v2, v11
	s_delay_alu instid0(VALU_DEP_1) | instskip(NEXT) | instid1(VALU_DEP_1)
	v_fma_f32 v13, -v10, v12, v2
	v_fmac_f32_e32 v12, v13, v11
	s_delay_alu instid0(VALU_DEP_1) | instskip(NEXT) | instid1(VALU_DEP_1)
	v_fma_f32 v2, -v10, v12, v2
	v_div_fmas_f32 v2, v2, v11, v12
	s_delay_alu instid0(VALU_DEP_1)
	v_div_fixup_f32 v2, v2, v9, |v5|
	v_bfi_b32 v9, 0x7fffffff, v8, v5
.LBB234_246:
	s_or_b32 exec_lo, exec_lo, s13
                                        ; implicit-def: $vgpr5
                                        ; implicit-def: $vgpr8
	s_and_saveexec_b32 s2, s1
	s_delay_alu instid0(SALU_CYCLE_1)
	s_xor_b32 s1, exec_lo, s2
	s_cbranch_execz .LBB234_248
; %bb.247:
	v_dual_mul_f32 v5, 0.5, v2 :: v_dual_mul_f32 v10, 0.5, v9
	s_delay_alu instid0(VALU_DEP_1) | instskip(NEXT) | instid1(VALU_DEP_2)
	v_cndmask_b32_e64 v8, v2, v5, s12
	v_cndmask_b32_e64 v5, v9, v10, s12
                                        ; implicit-def: $vgpr2
                                        ; implicit-def: $vgpr9
	s_and_not1_saveexec_b32 s1, s1
	s_cbranch_execnz .LBB234_249
	s_branch .LBB234_250
.LBB234_248:
	s_and_not1_saveexec_b32 s1, s1
.LBB234_249:
	v_dual_add_f32 v8, v2, v2 :: v_dual_add_f32 v5, v9, v9
.LBB234_250:
	s_or_b32 exec_lo, exec_lo, s1
                                        ; implicit-def: $vgpr2
.LBB234_251:
	s_and_not1_saveexec_b32 s1, s11
	s_cbranch_execz .LBB234_257
; %bb.252:
	v_cmp_lt_i16_e32 vcc_lo, -1, v2
	v_sub_f32_e32 v2, v5, v5
	s_and_saveexec_b32 s2, vcc_lo
	s_delay_alu instid0(SALU_CYCLE_1)
	s_xor_b32 s2, exec_lo, s2
; %bb.253:
	s_delay_alu instid0(VALU_DEP_1)
	v_bfi_b32 v5, 0x7fffffff, v2, v5
                                        ; implicit-def: $vgpr2
; %bb.254:
	s_and_not1_saveexec_b32 s2, s2
; %bb.255:
	v_and_b32_e32 v2, 0x7fffffff, v2
	s_delay_alu instid0(VALU_DEP_2) | instskip(NEXT) | instid1(VALU_DEP_2)
	v_bfi_b32 v5, 0x7fffffff, v8, v5
	v_mov_b32_e32 v8, v2
; %bb.256:
	s_or_b32 exec_lo, exec_lo, s2
.LBB234_257:
	s_delay_alu instid0(SALU_CYCLE_1)
	s_or_b32 exec_lo, exec_lo, s1
.LBB234_258:
	s_and_not1_saveexec_b32 s1, s9
; %bb.259:
	v_sub_f32_e32 v2, v5, v5
	s_delay_alu instid0(VALU_DEP_1) | instskip(NEXT) | instid1(VALU_DEP_1)
	v_div_scale_f32 v5, vcc_lo, v2, v2, v2
	v_rcp_f32_e32 v9, v5
	s_waitcnt_depctr 0xfff
	v_fma_f32 v10, -v5, v9, 1.0
	s_delay_alu instid0(VALU_DEP_1) | instskip(NEXT) | instid1(VALU_DEP_1)
	v_fmac_f32_e32 v9, v10, v9
	v_mul_f32_e32 v10, v5, v9
	s_delay_alu instid0(VALU_DEP_1) | instskip(NEXT) | instid1(VALU_DEP_1)
	v_fma_f32 v11, -v5, v10, v5
	v_fmac_f32_e32 v10, v11, v9
	s_delay_alu instid0(VALU_DEP_1) | instskip(NEXT) | instid1(VALU_DEP_1)
	v_fma_f32 v5, -v5, v10, v5
	v_div_fmas_f32 v5, v5, v9, v10
	s_delay_alu instid0(VALU_DEP_1)
	v_div_fixup_f32 v5, v5, v2, v2
; %bb.260:
	s_or_b32 exec_lo, exec_lo, s1
.LBB234_261:
	s_delay_alu instid0(SALU_CYCLE_1)
	s_or_b32 exec_lo, exec_lo, s7
.LBB234_262:
	s_delay_alu instid0(SALU_CYCLE_1) | instskip(NEXT) | instid1(VALU_DEP_1)
	s_or_b32 exec_lo, exec_lo, s6
	v_cvt_f16_f32_e32 v2, v5
	v_cvt_f16_f32_e32 v5, v8
	s_delay_alu instid0(VALU_DEP_2) | instskip(NEXT) | instid1(VALU_DEP_2)
	v_lshlrev_b32_e32 v2, 16, v2
	v_and_b32_e32 v5, 0xffff, v5
	s_delay_alu instid0(VALU_DEP_1) | instskip(SKIP_2) | instid1(SALU_CYCLE_1)
	v_or_b32_e32 v5, v2, v5
	s_or_b32 exec_lo, exec_lo, s3
	s_and_saveexec_b32 s1, s0
	s_xor_b32 s0, exec_lo, s1
	s_cbranch_execnz .LBB234_241
.LBB234_263:
	s_or_b32 exec_lo, exec_lo, s0
	s_delay_alu instid0(SALU_CYCLE_1)
	s_mov_b32 s0, exec_lo
	v_cmpx_gt_i32_e64 s10, v0
	s_cbranch_execz .LBB234_242
.LBB234_264:
	v_dual_mov_b32 v2, 0 :: v_dual_add_nc_u32 v1, s8, v0
	v_add_nc_u32_e32 v0, 0x100, v0
	s_delay_alu instid0(VALU_DEP_2) | instskip(NEXT) | instid1(VALU_DEP_1)
	v_lshlrev_b64 v[1:2], 2, v[1:2]
	v_add_co_u32 v1, vcc_lo, s4, v1
	s_delay_alu instid0(VALU_DEP_2) | instskip(SKIP_2) | instid1(SALU_CYCLE_1)
	v_add_co_ci_u32_e32 v2, vcc_lo, s5, v2, vcc_lo
	global_store_b32 v[1:2], v6, off
	s_or_b32 exec_lo, exec_lo, s0
	s_mov_b32 s0, exec_lo
	v_cmpx_gt_i32_e64 s10, v0
	s_cbranch_execnz .LBB234_243
.LBB234_265:
	s_or_b32 exec_lo, exec_lo, s0
	s_delay_alu instid0(SALU_CYCLE_1)
	s_mov_b32 s0, exec_lo
	v_cmpx_gt_i32_e64 s10, v0
	s_cbranch_execz .LBB234_267
.LBB234_266:
	v_dual_mov_b32 v1, 0 :: v_dual_add_nc_u32 v0, s8, v0
	s_delay_alu instid0(VALU_DEP_1) | instskip(NEXT) | instid1(VALU_DEP_1)
	v_lshlrev_b64 v[0:1], 2, v[0:1]
	v_add_co_u32 v0, vcc_lo, s4, v0
	s_delay_alu instid0(VALU_DEP_2)
	v_add_co_ci_u32_e32 v1, vcc_lo, s5, v1, vcc_lo
	global_store_b32 v[0:1], v5, off
.LBB234_267:
	s_nop 0
	s_sendmsg sendmsg(MSG_DEALLOC_VGPRS)
	s_endpgm
	.section	.rodata,"a",@progbits
	.p2align	6, 0x0
	.amdhsa_kernel _ZN2at6native29vectorized_elementwise_kernelILi16EZZZNS0_16sqrt_kernel_cudaERNS_18TensorIteratorBaseEENKUlvE_clEvENKUlvE1_clEvEUlN3c107complexINS6_4HalfEEEE_St5arrayIPcLm2EEEEviT0_T1_
		.amdhsa_group_segment_fixed_size 0
		.amdhsa_private_segment_fixed_size 0
		.amdhsa_kernarg_size 24
		.amdhsa_user_sgpr_count 15
		.amdhsa_user_sgpr_dispatch_ptr 0
		.amdhsa_user_sgpr_queue_ptr 0
		.amdhsa_user_sgpr_kernarg_segment_ptr 1
		.amdhsa_user_sgpr_dispatch_id 0
		.amdhsa_user_sgpr_private_segment_size 0
		.amdhsa_wavefront_size32 1
		.amdhsa_uses_dynamic_stack 0
		.amdhsa_enable_private_segment 0
		.amdhsa_system_sgpr_workgroup_id_x 1
		.amdhsa_system_sgpr_workgroup_id_y 0
		.amdhsa_system_sgpr_workgroup_id_z 0
		.amdhsa_system_sgpr_workgroup_info 0
		.amdhsa_system_vgpr_workitem_id 0
		.amdhsa_next_free_vgpr 17
		.amdhsa_next_free_sgpr 17
		.amdhsa_reserve_vcc 1
		.amdhsa_float_round_mode_32 0
		.amdhsa_float_round_mode_16_64 0
		.amdhsa_float_denorm_mode_32 3
		.amdhsa_float_denorm_mode_16_64 3
		.amdhsa_dx10_clamp 1
		.amdhsa_ieee_mode 1
		.amdhsa_fp16_overflow 0
		.amdhsa_workgroup_processor_mode 1
		.amdhsa_memory_ordered 1
		.amdhsa_forward_progress 0
		.amdhsa_shared_vgpr_count 0
		.amdhsa_exception_fp_ieee_invalid_op 0
		.amdhsa_exception_fp_denorm_src 0
		.amdhsa_exception_fp_ieee_div_zero 0
		.amdhsa_exception_fp_ieee_overflow 0
		.amdhsa_exception_fp_ieee_underflow 0
		.amdhsa_exception_fp_ieee_inexact 0
		.amdhsa_exception_int_div_zero 0
	.end_amdhsa_kernel
	.section	.text._ZN2at6native29vectorized_elementwise_kernelILi16EZZZNS0_16sqrt_kernel_cudaERNS_18TensorIteratorBaseEENKUlvE_clEvENKUlvE1_clEvEUlN3c107complexINS6_4HalfEEEE_St5arrayIPcLm2EEEEviT0_T1_,"axG",@progbits,_ZN2at6native29vectorized_elementwise_kernelILi16EZZZNS0_16sqrt_kernel_cudaERNS_18TensorIteratorBaseEENKUlvE_clEvENKUlvE1_clEvEUlN3c107complexINS6_4HalfEEEE_St5arrayIPcLm2EEEEviT0_T1_,comdat
.Lfunc_end234:
	.size	_ZN2at6native29vectorized_elementwise_kernelILi16EZZZNS0_16sqrt_kernel_cudaERNS_18TensorIteratorBaseEENKUlvE_clEvENKUlvE1_clEvEUlN3c107complexINS6_4HalfEEEE_St5arrayIPcLm2EEEEviT0_T1_, .Lfunc_end234-_ZN2at6native29vectorized_elementwise_kernelILi16EZZZNS0_16sqrt_kernel_cudaERNS_18TensorIteratorBaseEENKUlvE_clEvENKUlvE1_clEvEUlN3c107complexINS6_4HalfEEEE_St5arrayIPcLm2EEEEviT0_T1_
                                        ; -- End function
	.section	.AMDGPU.csdata,"",@progbits
; Kernel info:
; codeLenInByte = 10832
; NumSgprs: 19
; NumVgprs: 17
; ScratchSize: 0
; MemoryBound: 0
; FloatMode: 240
; IeeeMode: 1
; LDSByteSize: 0 bytes/workgroup (compile time only)
; SGPRBlocks: 2
; VGPRBlocks: 2
; NumSGPRsForWavesPerEU: 19
; NumVGPRsForWavesPerEU: 17
; Occupancy: 16
; WaveLimiterHint : 0
; COMPUTE_PGM_RSRC2:SCRATCH_EN: 0
; COMPUTE_PGM_RSRC2:USER_SGPR: 15
; COMPUTE_PGM_RSRC2:TRAP_HANDLER: 0
; COMPUTE_PGM_RSRC2:TGID_X_EN: 1
; COMPUTE_PGM_RSRC2:TGID_Y_EN: 0
; COMPUTE_PGM_RSRC2:TGID_Z_EN: 0
; COMPUTE_PGM_RSRC2:TIDIG_COMP_CNT: 0
	.section	.text._ZN2at6native29vectorized_elementwise_kernelILi8EZZZNS0_16sqrt_kernel_cudaERNS_18TensorIteratorBaseEENKUlvE_clEvENKUlvE1_clEvEUlN3c107complexINS6_4HalfEEEE_St5arrayIPcLm2EEEEviT0_T1_,"axG",@progbits,_ZN2at6native29vectorized_elementwise_kernelILi8EZZZNS0_16sqrt_kernel_cudaERNS_18TensorIteratorBaseEENKUlvE_clEvENKUlvE1_clEvEUlN3c107complexINS6_4HalfEEEE_St5arrayIPcLm2EEEEviT0_T1_,comdat
	.globl	_ZN2at6native29vectorized_elementwise_kernelILi8EZZZNS0_16sqrt_kernel_cudaERNS_18TensorIteratorBaseEENKUlvE_clEvENKUlvE1_clEvEUlN3c107complexINS6_4HalfEEEE_St5arrayIPcLm2EEEEviT0_T1_ ; -- Begin function _ZN2at6native29vectorized_elementwise_kernelILi8EZZZNS0_16sqrt_kernel_cudaERNS_18TensorIteratorBaseEENKUlvE_clEvENKUlvE1_clEvEUlN3c107complexINS6_4HalfEEEE_St5arrayIPcLm2EEEEviT0_T1_
	.p2align	8
	.type	_ZN2at6native29vectorized_elementwise_kernelILi8EZZZNS0_16sqrt_kernel_cudaERNS_18TensorIteratorBaseEENKUlvE_clEvENKUlvE1_clEvEUlN3c107complexINS6_4HalfEEEE_St5arrayIPcLm2EEEEviT0_T1_,@function
_ZN2at6native29vectorized_elementwise_kernelILi8EZZZNS0_16sqrt_kernel_cudaERNS_18TensorIteratorBaseEENKUlvE_clEvENKUlvE1_clEvEUlN3c107complexINS6_4HalfEEEE_St5arrayIPcLm2EEEEviT0_T1_: ; @_ZN2at6native29vectorized_elementwise_kernelILi8EZZZNS0_16sqrt_kernel_cudaERNS_18TensorIteratorBaseEENKUlvE_clEvENKUlvE1_clEvEUlN3c107complexINS6_4HalfEEEE_St5arrayIPcLm2EEEEviT0_T1_
; %bb.0:
	s_clause 0x1
	s_load_b32 s2, s[0:1], 0x0
	s_load_b128 s[4:7], s[0:1], 0x8
	s_lshl_b32 s8, s15, 10
	s_mov_b32 s0, -1
	s_waitcnt lgkmcnt(0)
	s_sub_i32 s10, s2, s8
	s_delay_alu instid0(SALU_CYCLE_1)
	s_cmpk_gt_i32 s10, 0x3ff
	s_cbranch_scc0 .LBB235_122
; %bb.1:
	s_ashr_i32 s9, s8, 31
	v_dual_mov_b32 v8, 0 :: v_dual_lshlrev_b32 v5, 4, v0
	s_lshl_b64 s[2:3], s[8:9], 2
	v_mov_b32_e32 v7, 0
	s_add_u32 s0, s6, s2
	s_addc_u32 s1, s7, s3
	global_load_b128 v[1:4], v5, s[0:1]
	s_waitcnt vmcnt(0)
	v_lshrrev_b32_e32 v6, 16, v1
	v_cmp_neq_f16_e32 vcc_lo, 0, v1
	s_delay_alu instid0(VALU_DEP_2) | instskip(SKIP_1) | instid1(VALU_DEP_2)
	v_cmp_neq_f16_e64 s0, 0, v6
	v_cvt_f32_f16_e32 v6, v6
	s_or_b32 s0, vcc_lo, s0
	s_delay_alu instid0(SALU_CYCLE_1)
	s_and_saveexec_b32 s9, s0
	s_cbranch_execz .LBB235_31
; %bb.2:
	v_mov_b32_e32 v8, 0x7f800000
	s_mov_b32 s11, exec_lo
	v_cmpx_neq_f32_e64 0x7f800000, |v6|
	s_cbranch_execz .LBB235_30
; %bb.3:
	v_cvt_f32_f16_e32 v8, v1
	s_mov_b32 s0, exec_lo
	v_cmpx_o_f16_e32 v1, v1
	s_xor_b32 s12, exec_lo, s0
	s_cbranch_execz .LBB235_27
; %bb.4:
	s_mov_b32 s1, exec_lo
	v_cmpx_neq_f32_e64 0x7f800000, |v8|
	s_xor_b32 s13, exec_lo, s1
	s_cbranch_execz .LBB235_20
; %bb.5:
	v_max_f32_e64 v9, |v6|, |v6|
	v_max_f32_e64 v10, |v8|, |v8|
                                        ; implicit-def: $sgpr14
	s_delay_alu instid0(VALU_DEP_1) | instskip(NEXT) | instid1(VALU_DEP_1)
	v_max_f32_e32 v9, v10, v9
	v_cmp_nle_f32_e64 s0, 0x7ed413cb, v9
	s_delay_alu instid0(VALU_DEP_1) | instskip(NEXT) | instid1(SALU_CYCLE_1)
	s_and_saveexec_b32 s1, s0
	s_xor_b32 s1, exec_lo, s1
	s_cbranch_execz .LBB235_9
; %bb.6:
	v_cmp_ge_f32_e64 s14, 0x1000000, |v8|
	v_cmp_ge_f32_e64 s15, 0x1000000, |v6|
	s_delay_alu instid0(VALU_DEP_1)
	s_and_b32 s16, s14, s15
	s_mov_b32 s14, 0
	s_and_saveexec_b32 s15, s16
; %bb.7:
	v_mul_f32_e32 v6, 4.0, v6
	v_mul_f32_e32 v8, 4.0, v8
	s_mov_b32 s14, exec_lo
; %bb.8:
	s_or_b32 exec_lo, exec_lo, s15
	s_delay_alu instid0(SALU_CYCLE_1)
	s_and_b32 s14, s14, exec_lo
.LBB235_9:
	s_and_not1_saveexec_b32 s1, s1
; %bb.10:
	v_mul_f32_e32 v8, 0x3e800000, v8
	v_mul_f32_e32 v6, 0x3e800000, v6
	s_and_not1_b32 s14, s14, exec_lo
; %bb.11:
	s_or_b32 exec_lo, exec_lo, s1
	s_delay_alu instid0(VALU_DEP_1) | instskip(SKIP_1) | instid1(VALU_DEP_1)
	v_max_f32_e64 v9, |v6|, |v6|
	v_max_f32_e64 v10, |v8|, |v8|
	v_max_f32_e32 v11, v10, v9
	s_delay_alu instid0(VALU_DEP_1) | instskip(NEXT) | instid1(VALU_DEP_1)
	v_cvt_f64_f32_e32 v[9:10], v11
	v_frexp_exp_i32_f64_e32 v9, v[9:10]
	s_delay_alu instid0(VALU_DEP_1) | instskip(NEXT) | instid1(VALU_DEP_1)
	v_sub_nc_u32_e32 v10, 0, v9
	v_ldexp_f32 v12, |v6|, v10
	v_ldexp_f32 v10, |v8|, v10
	s_delay_alu instid0(VALU_DEP_2) | instskip(SKIP_1) | instid1(VALU_DEP_2)
	v_mul_f32_e32 v12, v12, v12
	v_cmp_neq_f32_e64 s1, 0x7f800000, v11
	v_fmac_f32_e32 v12, v10, v10
	s_delay_alu instid0(VALU_DEP_1) | instskip(SKIP_2) | instid1(VALU_DEP_1)
	v_sqrt_f32_e32 v10, v12
	s_waitcnt_depctr 0xfff
	v_ldexp_f32 v9, v10, v9
                                        ; implicit-def: $vgpr10
	v_cndmask_b32_e64 v11, 0x7f800000, v9, s1
                                        ; implicit-def: $vgpr9
	s_mov_b32 s1, exec_lo
	v_cmpx_le_f32_e32 0, v8
	s_xor_b32 s15, exec_lo, s1
	s_cbranch_execz .LBB235_13
; %bb.12:
	v_add_f32_e32 v8, v8, v11
	s_delay_alu instid0(VALU_DEP_1) | instskip(NEXT) | instid1(VALU_DEP_1)
	v_mul_f32_e32 v8, 0.5, v8
	v_mul_f32_e32 v9, 0x4f800000, v8
	v_cmp_gt_f32_e32 vcc_lo, 0xf800000, v8
	s_delay_alu instid0(VALU_DEP_2) | instskip(NEXT) | instid1(VALU_DEP_1)
	v_cndmask_b32_e32 v8, v8, v9, vcc_lo
	v_sqrt_f32_e32 v9, v8
	s_waitcnt_depctr 0xfff
	v_add_nc_u32_e32 v10, -1, v9
	v_add_nc_u32_e32 v11, 1, v9
	s_delay_alu instid0(VALU_DEP_2) | instskip(NEXT) | instid1(VALU_DEP_2)
	v_fma_f32 v12, -v10, v9, v8
	v_fma_f32 v13, -v11, v9, v8
	s_delay_alu instid0(VALU_DEP_2) | instskip(NEXT) | instid1(VALU_DEP_1)
	v_cmp_ge_f32_e64 s1, 0, v12
	v_cndmask_b32_e64 v9, v9, v10, s1
	s_delay_alu instid0(VALU_DEP_3) | instskip(NEXT) | instid1(VALU_DEP_1)
	v_cmp_lt_f32_e64 s1, 0, v13
	v_cndmask_b32_e64 v9, v9, v11, s1
	s_delay_alu instid0(VALU_DEP_1) | instskip(NEXT) | instid1(VALU_DEP_1)
	v_mul_f32_e32 v10, 0x37800000, v9
	v_cndmask_b32_e32 v9, v9, v10, vcc_lo
	v_cmp_class_f32_e64 vcc_lo, v8, 0x260
	s_delay_alu instid0(VALU_DEP_2) | instskip(NEXT) | instid1(VALU_DEP_1)
	v_cndmask_b32_e32 v9, v9, v8, vcc_lo
	v_add_f32_e32 v8, v9, v9
	s_delay_alu instid0(VALU_DEP_1) | instskip(NEXT) | instid1(VALU_DEP_1)
	v_div_scale_f32 v10, null, v8, v8, v6
	v_rcp_f32_e32 v11, v10
	s_waitcnt_depctr 0xfff
	v_fma_f32 v12, -v10, v11, 1.0
	s_delay_alu instid0(VALU_DEP_1) | instskip(SKIP_1) | instid1(VALU_DEP_1)
	v_fmac_f32_e32 v11, v12, v11
	v_div_scale_f32 v12, vcc_lo, v6, v8, v6
	v_mul_f32_e32 v13, v12, v11
	s_delay_alu instid0(VALU_DEP_1) | instskip(NEXT) | instid1(VALU_DEP_1)
	v_fma_f32 v14, -v10, v13, v12
	v_fmac_f32_e32 v13, v14, v11
	s_delay_alu instid0(VALU_DEP_1) | instskip(NEXT) | instid1(VALU_DEP_1)
	v_fma_f32 v10, -v10, v13, v12
	v_div_fmas_f32 v10, v10, v11, v13
                                        ; implicit-def: $vgpr11
	s_delay_alu instid0(VALU_DEP_1)
	v_div_fixup_f32 v10, v10, v8, v6
                                        ; implicit-def: $vgpr8
                                        ; implicit-def: $vgpr6
	s_and_not1_saveexec_b32 s15, s15
	s_cbranch_execz .LBB235_15
	s_branch .LBB235_14
.LBB235_13:
	s_and_not1_saveexec_b32 s15, s15
	s_cbranch_execz .LBB235_15
.LBB235_14:
	v_sub_f32_e32 v8, v11, v8
	s_delay_alu instid0(VALU_DEP_1) | instskip(NEXT) | instid1(VALU_DEP_1)
	v_mul_f32_e32 v8, 0.5, v8
	v_mul_f32_e32 v9, 0x4f800000, v8
	v_cmp_gt_f32_e32 vcc_lo, 0xf800000, v8
	s_delay_alu instid0(VALU_DEP_2) | instskip(NEXT) | instid1(VALU_DEP_1)
	v_cndmask_b32_e32 v8, v8, v9, vcc_lo
	v_sqrt_f32_e32 v9, v8
	s_waitcnt_depctr 0xfff
	v_add_nc_u32_e32 v10, -1, v9
	v_add_nc_u32_e32 v11, 1, v9
	s_delay_alu instid0(VALU_DEP_2) | instskip(NEXT) | instid1(VALU_DEP_2)
	v_fma_f32 v12, -v10, v9, v8
	v_fma_f32 v13, -v11, v9, v8
	s_delay_alu instid0(VALU_DEP_2) | instskip(NEXT) | instid1(VALU_DEP_1)
	v_cmp_ge_f32_e64 s1, 0, v12
	v_cndmask_b32_e64 v9, v9, v10, s1
	s_delay_alu instid0(VALU_DEP_3) | instskip(NEXT) | instid1(VALU_DEP_1)
	v_cmp_lt_f32_e64 s1, 0, v13
	v_cndmask_b32_e64 v9, v9, v11, s1
	s_delay_alu instid0(VALU_DEP_1) | instskip(NEXT) | instid1(VALU_DEP_1)
	v_mul_f32_e32 v10, 0x37800000, v9
	v_cndmask_b32_e32 v9, v9, v10, vcc_lo
	v_cmp_class_f32_e64 vcc_lo, v8, 0x260
	s_delay_alu instid0(VALU_DEP_2) | instskip(NEXT) | instid1(VALU_DEP_1)
	v_dual_cndmask_b32 v8, v9, v8 :: v_dual_and_b32 v9, 0x7fffffff, v6
	v_add_f32_e32 v10, v8, v8
	s_delay_alu instid0(VALU_DEP_1) | instskip(SKIP_1) | instid1(VALU_DEP_2)
	v_div_scale_f32 v11, null, v10, v10, v9
	v_div_scale_f32 v9, vcc_lo, v9, v10, v9
	v_rcp_f32_e32 v12, v11
	s_waitcnt_depctr 0xfff
	v_fma_f32 v13, -v11, v12, 1.0
	s_delay_alu instid0(VALU_DEP_1) | instskip(NEXT) | instid1(VALU_DEP_1)
	v_fmac_f32_e32 v12, v13, v12
	v_mul_f32_e32 v13, v9, v12
	s_delay_alu instid0(VALU_DEP_1) | instskip(NEXT) | instid1(VALU_DEP_1)
	v_fma_f32 v14, -v11, v13, v9
	v_fmac_f32_e32 v13, v14, v12
	s_delay_alu instid0(VALU_DEP_1) | instskip(NEXT) | instid1(VALU_DEP_1)
	v_fma_f32 v9, -v11, v13, v9
	v_div_fmas_f32 v9, v9, v12, v13
	s_delay_alu instid0(VALU_DEP_1)
	v_div_fixup_f32 v9, v9, v10, |v6|
	v_bfi_b32 v10, 0x7fffffff, v8, v6
.LBB235_15:
	s_or_b32 exec_lo, exec_lo, s15
                                        ; implicit-def: $vgpr6
                                        ; implicit-def: $vgpr8
	s_and_saveexec_b32 s1, s0
	s_delay_alu instid0(SALU_CYCLE_1)
	s_xor_b32 s0, exec_lo, s1
	s_cbranch_execz .LBB235_17
; %bb.16:
	v_dual_mul_f32 v6, 0.5, v9 :: v_dual_mul_f32 v11, 0.5, v10
	s_delay_alu instid0(VALU_DEP_1) | instskip(NEXT) | instid1(VALU_DEP_2)
	v_cndmask_b32_e64 v8, v9, v6, s14
	v_cndmask_b32_e64 v6, v10, v11, s14
                                        ; implicit-def: $vgpr9
                                        ; implicit-def: $vgpr10
	s_and_not1_saveexec_b32 s0, s0
	s_cbranch_execnz .LBB235_18
	s_branch .LBB235_19
.LBB235_17:
	s_and_not1_saveexec_b32 s0, s0
.LBB235_18:
	v_add_f32_e32 v8, v9, v9
	v_add_f32_e32 v6, v10, v10
.LBB235_19:
	s_or_b32 exec_lo, exec_lo, s0
.LBB235_20:
	s_and_not1_saveexec_b32 s0, s13
	s_cbranch_execz .LBB235_26
; %bb.21:
	v_cmp_lt_i16_e32 vcc_lo, -1, v1
	v_sub_f32_e32 v1, v6, v6
	s_and_saveexec_b32 s1, vcc_lo
	s_delay_alu instid0(SALU_CYCLE_1)
	s_xor_b32 s1, exec_lo, s1
; %bb.22:
	s_delay_alu instid0(VALU_DEP_1)
	v_bfi_b32 v6, 0x7fffffff, v1, v6
                                        ; implicit-def: $vgpr1
; %bb.23:
	s_and_not1_saveexec_b32 s1, s1
; %bb.24:
	v_and_b32_e32 v1, 0x7fffffff, v1
	s_delay_alu instid0(VALU_DEP_2) | instskip(NEXT) | instid1(VALU_DEP_2)
	v_bfi_b32 v6, 0x7fffffff, v8, v6
	v_mov_b32_e32 v8, v1
; %bb.25:
	s_or_b32 exec_lo, exec_lo, s1
.LBB235_26:
	s_delay_alu instid0(SALU_CYCLE_1)
	s_or_b32 exec_lo, exec_lo, s0
.LBB235_27:
	s_and_not1_saveexec_b32 s0, s12
; %bb.28:
	v_sub_f32_e32 v1, v6, v6
	s_delay_alu instid0(VALU_DEP_1) | instskip(NEXT) | instid1(VALU_DEP_1)
	v_div_scale_f32 v6, vcc_lo, v1, v1, v1
	v_rcp_f32_e32 v9, v6
	s_waitcnt_depctr 0xfff
	v_fma_f32 v10, -v6, v9, 1.0
	s_delay_alu instid0(VALU_DEP_1) | instskip(NEXT) | instid1(VALU_DEP_1)
	v_fmac_f32_e32 v9, v10, v9
	v_mul_f32_e32 v10, v6, v9
	s_delay_alu instid0(VALU_DEP_1) | instskip(NEXT) | instid1(VALU_DEP_1)
	v_fma_f32 v11, -v6, v10, v6
	v_fmac_f32_e32 v10, v11, v9
	s_delay_alu instid0(VALU_DEP_1) | instskip(NEXT) | instid1(VALU_DEP_1)
	v_fma_f32 v6, -v6, v10, v6
	v_div_fmas_f32 v6, v6, v9, v10
	s_delay_alu instid0(VALU_DEP_1)
	v_div_fixup_f32 v6, v6, v1, v1
; %bb.29:
	s_or_b32 exec_lo, exec_lo, s0
.LBB235_30:
	s_delay_alu instid0(SALU_CYCLE_1)
	s_or_b32 exec_lo, exec_lo, s11
.LBB235_31:
	s_delay_alu instid0(SALU_CYCLE_1) | instskip(SKIP_2) | instid1(VALU_DEP_2)
	s_or_b32 exec_lo, exec_lo, s9
	v_lshrrev_b32_e32 v1, 16, v2
	v_cmp_neq_f16_e32 vcc_lo, 0, v2
	v_cmp_neq_f16_e64 s0, 0, v1
	v_cvt_f32_f16_e32 v9, v1
	s_delay_alu instid0(VALU_DEP_2) | instskip(NEXT) | instid1(SALU_CYCLE_1)
	s_or_b32 s0, vcc_lo, s0
	s_and_saveexec_b32 s9, s0
	s_cbranch_execz .LBB235_61
; %bb.32:
	v_mov_b32_e32 v7, 0x7f800000
	s_mov_b32 s11, exec_lo
	v_cmpx_neq_f32_e64 0x7f800000, |v9|
	s_cbranch_execz .LBB235_60
; %bb.33:
	v_cvt_f32_f16_e32 v7, v2
	s_mov_b32 s0, exec_lo
	v_cmpx_o_f16_e32 v2, v2
	s_xor_b32 s12, exec_lo, s0
	s_cbranch_execz .LBB235_57
; %bb.34:
	s_mov_b32 s1, exec_lo
	v_cmpx_neq_f32_e64 0x7f800000, |v7|
	s_xor_b32 s13, exec_lo, s1
	s_cbranch_execz .LBB235_50
; %bb.35:
	v_max_f32_e64 v1, |v9|, |v9|
	v_max_f32_e64 v10, |v7|, |v7|
                                        ; implicit-def: $sgpr14
	s_delay_alu instid0(VALU_DEP_1) | instskip(NEXT) | instid1(VALU_DEP_1)
	v_max_f32_e32 v1, v10, v1
	v_cmp_nle_f32_e64 s0, 0x7ed413cb, v1
	s_delay_alu instid0(VALU_DEP_1) | instskip(NEXT) | instid1(SALU_CYCLE_1)
	s_and_saveexec_b32 s1, s0
	s_xor_b32 s1, exec_lo, s1
	s_cbranch_execz .LBB235_39
; %bb.36:
	v_cmp_ge_f32_e64 s14, 0x1000000, |v7|
	v_cmp_ge_f32_e64 s15, 0x1000000, |v9|
	s_delay_alu instid0(VALU_DEP_1)
	s_and_b32 s16, s14, s15
	s_mov_b32 s14, 0
	s_and_saveexec_b32 s15, s16
; %bb.37:
	v_mul_f32_e32 v9, 4.0, v9
	v_mul_f32_e32 v7, 4.0, v7
	s_mov_b32 s14, exec_lo
; %bb.38:
	s_or_b32 exec_lo, exec_lo, s15
	s_delay_alu instid0(SALU_CYCLE_1)
	s_and_b32 s14, s14, exec_lo
.LBB235_39:
	s_and_not1_saveexec_b32 s1, s1
; %bb.40:
	v_mul_f32_e32 v7, 0x3e800000, v7
	v_mul_f32_e32 v9, 0x3e800000, v9
	s_and_not1_b32 s14, s14, exec_lo
; %bb.41:
	s_or_b32 exec_lo, exec_lo, s1
	s_delay_alu instid0(VALU_DEP_1) | instskip(SKIP_1) | instid1(VALU_DEP_1)
	v_max_f32_e64 v1, |v9|, |v9|
	v_max_f32_e64 v10, |v7|, |v7|
	v_max_f32_e32 v1, v10, v1
	s_delay_alu instid0(VALU_DEP_1) | instskip(NEXT) | instid1(VALU_DEP_1)
	v_cvt_f64_f32_e32 v[10:11], v1
	v_frexp_exp_i32_f64_e32 v10, v[10:11]
	s_delay_alu instid0(VALU_DEP_1) | instskip(NEXT) | instid1(VALU_DEP_1)
	v_sub_nc_u32_e32 v11, 0, v10
	v_ldexp_f32 v12, |v9|, v11
	v_ldexp_f32 v11, |v7|, v11
	s_delay_alu instid0(VALU_DEP_2) | instskip(SKIP_1) | instid1(VALU_DEP_2)
	v_mul_f32_e32 v12, v12, v12
	v_cmp_neq_f32_e64 s1, 0x7f800000, v1
                                        ; implicit-def: $vgpr1
	v_fmac_f32_e32 v12, v11, v11
	s_delay_alu instid0(VALU_DEP_1) | instskip(SKIP_2) | instid1(VALU_DEP_1)
	v_sqrt_f32_e32 v11, v12
	s_waitcnt_depctr 0xfff
	v_ldexp_f32 v10, v11, v10
	v_cndmask_b32_e64 v11, 0x7f800000, v10, s1
                                        ; implicit-def: $vgpr10
	s_mov_b32 s1, exec_lo
	v_cmpx_le_f32_e32 0, v7
	s_xor_b32 s15, exec_lo, s1
	s_cbranch_execz .LBB235_43
; %bb.42:
	v_add_f32_e32 v1, v7, v11
	s_delay_alu instid0(VALU_DEP_1) | instskip(NEXT) | instid1(VALU_DEP_1)
	v_mul_f32_e32 v1, 0.5, v1
	v_mul_f32_e32 v7, 0x4f800000, v1
	v_cmp_gt_f32_e32 vcc_lo, 0xf800000, v1
	s_delay_alu instid0(VALU_DEP_2) | instskip(NEXT) | instid1(VALU_DEP_1)
	v_cndmask_b32_e32 v1, v1, v7, vcc_lo
	v_sqrt_f32_e32 v7, v1
	s_waitcnt_depctr 0xfff
	v_add_nc_u32_e32 v10, -1, v7
	v_add_nc_u32_e32 v11, 1, v7
	s_delay_alu instid0(VALU_DEP_2) | instskip(NEXT) | instid1(VALU_DEP_2)
	v_fma_f32 v12, -v10, v7, v1
	v_fma_f32 v13, -v11, v7, v1
	s_delay_alu instid0(VALU_DEP_2) | instskip(NEXT) | instid1(VALU_DEP_1)
	v_cmp_ge_f32_e64 s1, 0, v12
	v_cndmask_b32_e64 v7, v7, v10, s1
	s_delay_alu instid0(VALU_DEP_3) | instskip(NEXT) | instid1(VALU_DEP_1)
	v_cmp_lt_f32_e64 s1, 0, v13
	v_cndmask_b32_e64 v7, v7, v11, s1
	s_delay_alu instid0(VALU_DEP_1) | instskip(NEXT) | instid1(VALU_DEP_1)
	v_mul_f32_e32 v10, 0x37800000, v7
	v_cndmask_b32_e32 v7, v7, v10, vcc_lo
	v_cmp_class_f32_e64 vcc_lo, v1, 0x260
	s_delay_alu instid0(VALU_DEP_2) | instskip(NEXT) | instid1(VALU_DEP_1)
	v_cndmask_b32_e32 v1, v7, v1, vcc_lo
	v_add_f32_e32 v7, v1, v1
	s_delay_alu instid0(VALU_DEP_1) | instskip(NEXT) | instid1(VALU_DEP_1)
	v_div_scale_f32 v10, null, v7, v7, v9
	v_rcp_f32_e32 v11, v10
	s_waitcnt_depctr 0xfff
	v_fma_f32 v12, -v10, v11, 1.0
	s_delay_alu instid0(VALU_DEP_1) | instskip(SKIP_1) | instid1(VALU_DEP_1)
	v_fmac_f32_e32 v11, v12, v11
	v_div_scale_f32 v12, vcc_lo, v9, v7, v9
	v_mul_f32_e32 v13, v12, v11
	s_delay_alu instid0(VALU_DEP_1) | instskip(NEXT) | instid1(VALU_DEP_1)
	v_fma_f32 v14, -v10, v13, v12
	v_fmac_f32_e32 v13, v14, v11
	s_delay_alu instid0(VALU_DEP_1) | instskip(NEXT) | instid1(VALU_DEP_1)
	v_fma_f32 v10, -v10, v13, v12
	v_div_fmas_f32 v10, v10, v11, v13
                                        ; implicit-def: $vgpr11
	s_delay_alu instid0(VALU_DEP_1)
	v_div_fixup_f32 v10, v10, v7, v9
                                        ; implicit-def: $vgpr7
                                        ; implicit-def: $vgpr9
	s_and_not1_saveexec_b32 s15, s15
	s_cbranch_execz .LBB235_45
	s_branch .LBB235_44
.LBB235_43:
	s_and_not1_saveexec_b32 s15, s15
	s_cbranch_execz .LBB235_45
.LBB235_44:
	v_sub_f32_e32 v1, v11, v7
	s_delay_alu instid0(VALU_DEP_1) | instskip(NEXT) | instid1(VALU_DEP_1)
	v_mul_f32_e32 v1, 0.5, v1
	v_mul_f32_e32 v7, 0x4f800000, v1
	v_cmp_gt_f32_e32 vcc_lo, 0xf800000, v1
	s_delay_alu instid0(VALU_DEP_2) | instskip(NEXT) | instid1(VALU_DEP_1)
	v_cndmask_b32_e32 v1, v1, v7, vcc_lo
	v_sqrt_f32_e32 v7, v1
	s_waitcnt_depctr 0xfff
	v_add_nc_u32_e32 v10, -1, v7
	v_add_nc_u32_e32 v11, 1, v7
	s_delay_alu instid0(VALU_DEP_2) | instskip(NEXT) | instid1(VALU_DEP_2)
	v_fma_f32 v12, -v10, v7, v1
	v_fma_f32 v13, -v11, v7, v1
	s_delay_alu instid0(VALU_DEP_2) | instskip(NEXT) | instid1(VALU_DEP_1)
	v_cmp_ge_f32_e64 s1, 0, v12
	v_cndmask_b32_e64 v7, v7, v10, s1
	s_delay_alu instid0(VALU_DEP_3) | instskip(NEXT) | instid1(VALU_DEP_1)
	v_cmp_lt_f32_e64 s1, 0, v13
	v_cndmask_b32_e64 v7, v7, v11, s1
	s_delay_alu instid0(VALU_DEP_1) | instskip(NEXT) | instid1(VALU_DEP_1)
	v_mul_f32_e32 v10, 0x37800000, v7
	v_cndmask_b32_e32 v7, v7, v10, vcc_lo
	v_cmp_class_f32_e64 vcc_lo, v1, 0x260
	s_delay_alu instid0(VALU_DEP_2) | instskip(NEXT) | instid1(VALU_DEP_1)
	v_cndmask_b32_e32 v7, v7, v1, vcc_lo
	v_dual_add_f32 v10, v7, v7 :: v_dual_and_b32 v1, 0x7fffffff, v9
	s_delay_alu instid0(VALU_DEP_1) | instskip(SKIP_1) | instid1(VALU_DEP_2)
	v_div_scale_f32 v11, null, v10, v10, v1
	v_div_scale_f32 v1, vcc_lo, v1, v10, v1
	v_rcp_f32_e32 v12, v11
	s_waitcnt_depctr 0xfff
	v_fma_f32 v13, -v11, v12, 1.0
	s_delay_alu instid0(VALU_DEP_1) | instskip(NEXT) | instid1(VALU_DEP_1)
	v_fmac_f32_e32 v12, v13, v12
	v_mul_f32_e32 v13, v1, v12
	s_delay_alu instid0(VALU_DEP_1) | instskip(NEXT) | instid1(VALU_DEP_1)
	v_fma_f32 v14, -v11, v13, v1
	v_fmac_f32_e32 v13, v14, v12
	s_delay_alu instid0(VALU_DEP_1) | instskip(NEXT) | instid1(VALU_DEP_1)
	v_fma_f32 v1, -v11, v13, v1
	v_div_fmas_f32 v1, v1, v12, v13
	s_delay_alu instid0(VALU_DEP_1)
	v_div_fixup_f32 v1, v1, v10, |v9|
	v_bfi_b32 v10, 0x7fffffff, v7, v9
.LBB235_45:
	s_or_b32 exec_lo, exec_lo, s15
                                        ; implicit-def: $vgpr9
                                        ; implicit-def: $vgpr7
	s_and_saveexec_b32 s1, s0
	s_delay_alu instid0(SALU_CYCLE_1)
	s_xor_b32 s0, exec_lo, s1
	s_cbranch_execz .LBB235_47
; %bb.46:
	v_mul_f32_e32 v7, 0.5, v1
	v_mul_f32_e32 v9, 0.5, v10
	s_delay_alu instid0(VALU_DEP_2) | instskip(NEXT) | instid1(VALU_DEP_2)
	v_cndmask_b32_e64 v7, v1, v7, s14
	v_cndmask_b32_e64 v9, v10, v9, s14
                                        ; implicit-def: $vgpr1
                                        ; implicit-def: $vgpr10
	s_and_not1_saveexec_b32 s0, s0
	s_cbranch_execnz .LBB235_48
	s_branch .LBB235_49
.LBB235_47:
	s_and_not1_saveexec_b32 s0, s0
.LBB235_48:
	v_add_f32_e32 v7, v1, v1
	v_add_f32_e32 v9, v10, v10
.LBB235_49:
	s_or_b32 exec_lo, exec_lo, s0
.LBB235_50:
	s_and_not1_saveexec_b32 s0, s13
	s_cbranch_execz .LBB235_56
; %bb.51:
	s_delay_alu instid0(VALU_DEP_1)
	v_sub_f32_e32 v1, v9, v9
	s_mov_b32 s1, exec_lo
	v_cmpx_lt_i16_e32 -1, v2
	s_xor_b32 s1, exec_lo, s1
; %bb.52:
	s_delay_alu instid0(VALU_DEP_2)
	v_bfi_b32 v9, 0x7fffffff, v1, v9
                                        ; implicit-def: $vgpr1
; %bb.53:
	s_and_not1_saveexec_b32 s1, s1
; %bb.54:
	v_and_b32_e32 v1, 0x7fffffff, v1
	s_delay_alu instid0(VALU_DEP_2) | instskip(NEXT) | instid1(VALU_DEP_2)
	v_bfi_b32 v9, 0x7fffffff, v7, v9
	v_mov_b32_e32 v7, v1
; %bb.55:
	s_or_b32 exec_lo, exec_lo, s1
.LBB235_56:
	s_delay_alu instid0(SALU_CYCLE_1)
	s_or_b32 exec_lo, exec_lo, s0
.LBB235_57:
	s_and_not1_saveexec_b32 s0, s12
; %bb.58:
	v_sub_f32_e32 v1, v9, v9
	s_delay_alu instid0(VALU_DEP_1) | instskip(NEXT) | instid1(VALU_DEP_1)
	v_div_scale_f32 v2, vcc_lo, v1, v1, v1
	v_rcp_f32_e32 v9, v2
	s_waitcnt_depctr 0xfff
	v_fma_f32 v10, -v2, v9, 1.0
	s_delay_alu instid0(VALU_DEP_1) | instskip(NEXT) | instid1(VALU_DEP_1)
	v_fmac_f32_e32 v9, v10, v9
	v_mul_f32_e32 v10, v2, v9
	s_delay_alu instid0(VALU_DEP_1) | instskip(NEXT) | instid1(VALU_DEP_1)
	v_fma_f32 v11, -v2, v10, v2
	v_fmac_f32_e32 v10, v11, v9
	s_delay_alu instid0(VALU_DEP_1) | instskip(NEXT) | instid1(VALU_DEP_1)
	v_fma_f32 v2, -v2, v10, v2
	v_div_fmas_f32 v2, v2, v9, v10
	s_delay_alu instid0(VALU_DEP_1)
	v_div_fixup_f32 v9, v2, v1, v1
; %bb.59:
	s_or_b32 exec_lo, exec_lo, s0
.LBB235_60:
	s_delay_alu instid0(SALU_CYCLE_1)
	s_or_b32 exec_lo, exec_lo, s11
.LBB235_61:
	s_delay_alu instid0(SALU_CYCLE_1) | instskip(SKIP_3) | instid1(VALU_DEP_3)
	s_or_b32 exec_lo, exec_lo, s9
	v_lshrrev_b32_e32 v1, 16, v3
	v_cmp_neq_f16_e32 vcc_lo, 0, v3
	v_dual_mov_b32 v11, 0 :: v_dual_mov_b32 v12, 0
	v_cmp_neq_f16_e64 s0, 0, v1
	v_cvt_f32_f16_e32 v10, v1
	s_delay_alu instid0(VALU_DEP_2) | instskip(NEXT) | instid1(SALU_CYCLE_1)
	s_or_b32 s0, vcc_lo, s0
	s_and_saveexec_b32 s9, s0
	s_cbranch_execz .LBB235_91
; %bb.62:
	v_mov_b32_e32 v12, 0x7f800000
	s_mov_b32 s11, exec_lo
	v_cmpx_neq_f32_e64 0x7f800000, |v10|
	s_cbranch_execz .LBB235_90
; %bb.63:
	v_cvt_f32_f16_e32 v12, v3
	s_mov_b32 s0, exec_lo
	v_cmpx_o_f16_e32 v3, v3
	s_xor_b32 s12, exec_lo, s0
	s_cbranch_execz .LBB235_87
; %bb.64:
	s_mov_b32 s1, exec_lo
	v_cmpx_neq_f32_e64 0x7f800000, |v12|
	s_xor_b32 s13, exec_lo, s1
	s_cbranch_execz .LBB235_80
; %bb.65:
	v_max_f32_e64 v1, |v10|, |v10|
	v_max_f32_e64 v2, |v12|, |v12|
                                        ; implicit-def: $sgpr14
	s_delay_alu instid0(VALU_DEP_1) | instskip(NEXT) | instid1(VALU_DEP_1)
	v_max_f32_e32 v1, v2, v1
	v_cmp_nle_f32_e64 s0, 0x7ed413cb, v1
	s_delay_alu instid0(VALU_DEP_1) | instskip(NEXT) | instid1(SALU_CYCLE_1)
	s_and_saveexec_b32 s1, s0
	s_xor_b32 s1, exec_lo, s1
	s_cbranch_execz .LBB235_69
; %bb.66:
	v_cmp_ge_f32_e64 s14, 0x1000000, |v12|
	v_cmp_ge_f32_e64 s15, 0x1000000, |v10|
	s_delay_alu instid0(VALU_DEP_1)
	s_and_b32 s16, s14, s15
	s_mov_b32 s14, 0
	s_and_saveexec_b32 s15, s16
; %bb.67:
	v_mul_f32_e32 v10, 4.0, v10
	v_mul_f32_e32 v12, 4.0, v12
	s_mov_b32 s14, exec_lo
; %bb.68:
	s_or_b32 exec_lo, exec_lo, s15
	s_delay_alu instid0(SALU_CYCLE_1)
	s_and_b32 s14, s14, exec_lo
.LBB235_69:
	s_and_not1_saveexec_b32 s1, s1
; %bb.70:
	v_mul_f32_e32 v12, 0x3e800000, v12
	v_mul_f32_e32 v10, 0x3e800000, v10
	s_and_not1_b32 s14, s14, exec_lo
; %bb.71:
	s_or_b32 exec_lo, exec_lo, s1
	s_delay_alu instid0(VALU_DEP_1) | instskip(SKIP_1) | instid1(VALU_DEP_1)
	v_max_f32_e64 v1, |v10|, |v10|
	v_max_f32_e64 v2, |v12|, |v12|
	v_max_f32_e32 v13, v2, v1
	s_delay_alu instid0(VALU_DEP_1) | instskip(SKIP_1) | instid1(VALU_DEP_2)
	v_cvt_f64_f32_e32 v[1:2], v13
	v_cmp_neq_f32_e64 s1, 0x7f800000, v13
	v_frexp_exp_i32_f64_e32 v1, v[1:2]
	s_delay_alu instid0(VALU_DEP_1) | instskip(NEXT) | instid1(VALU_DEP_1)
	v_sub_nc_u32_e32 v2, 0, v1
	v_ldexp_f32 v14, |v10|, v2
	v_ldexp_f32 v2, |v12|, v2
	s_delay_alu instid0(VALU_DEP_2) | instskip(NEXT) | instid1(VALU_DEP_1)
	v_mul_f32_e32 v14, v14, v14
	v_fmac_f32_e32 v14, v2, v2
	s_delay_alu instid0(VALU_DEP_1) | instskip(SKIP_2) | instid1(VALU_DEP_1)
	v_sqrt_f32_e32 v2, v14
	s_waitcnt_depctr 0xfff
	v_ldexp_f32 v1, v2, v1
                                        ; implicit-def: $vgpr2
	v_cndmask_b32_e64 v13, 0x7f800000, v1, s1
                                        ; implicit-def: $vgpr1
	s_mov_b32 s1, exec_lo
	v_cmpx_le_f32_e32 0, v12
	s_xor_b32 s15, exec_lo, s1
	s_cbranch_execz .LBB235_73
; %bb.72:
	v_add_f32_e32 v1, v12, v13
	s_delay_alu instid0(VALU_DEP_1) | instskip(NEXT) | instid1(VALU_DEP_1)
	v_mul_f32_e32 v1, 0.5, v1
	v_mul_f32_e32 v2, 0x4f800000, v1
	v_cmp_gt_f32_e32 vcc_lo, 0xf800000, v1
	s_delay_alu instid0(VALU_DEP_2) | instskip(NEXT) | instid1(VALU_DEP_1)
	v_cndmask_b32_e32 v1, v1, v2, vcc_lo
	v_sqrt_f32_e32 v2, v1
	s_waitcnt_depctr 0xfff
	v_add_nc_u32_e32 v12, -1, v2
	v_add_nc_u32_e32 v13, 1, v2
	s_delay_alu instid0(VALU_DEP_2) | instskip(NEXT) | instid1(VALU_DEP_2)
	v_fma_f32 v14, -v12, v2, v1
	v_fma_f32 v15, -v13, v2, v1
	s_delay_alu instid0(VALU_DEP_2) | instskip(NEXT) | instid1(VALU_DEP_1)
	v_cmp_ge_f32_e64 s1, 0, v14
	v_cndmask_b32_e64 v2, v2, v12, s1
	s_delay_alu instid0(VALU_DEP_3) | instskip(NEXT) | instid1(VALU_DEP_1)
	v_cmp_lt_f32_e64 s1, 0, v15
	v_cndmask_b32_e64 v2, v2, v13, s1
	s_delay_alu instid0(VALU_DEP_1) | instskip(NEXT) | instid1(VALU_DEP_1)
	v_mul_f32_e32 v12, 0x37800000, v2
	v_cndmask_b32_e32 v2, v2, v12, vcc_lo
	v_cmp_class_f32_e64 vcc_lo, v1, 0x260
	s_delay_alu instid0(VALU_DEP_2) | instskip(NEXT) | instid1(VALU_DEP_1)
	v_cndmask_b32_e32 v1, v2, v1, vcc_lo
	v_add_f32_e32 v2, v1, v1
	s_delay_alu instid0(VALU_DEP_1) | instskip(NEXT) | instid1(VALU_DEP_1)
	v_div_scale_f32 v12, null, v2, v2, v10
	v_rcp_f32_e32 v13, v12
	s_waitcnt_depctr 0xfff
	v_fma_f32 v14, -v12, v13, 1.0
	s_delay_alu instid0(VALU_DEP_1) | instskip(SKIP_1) | instid1(VALU_DEP_1)
	v_fmac_f32_e32 v13, v14, v13
	v_div_scale_f32 v14, vcc_lo, v10, v2, v10
	v_mul_f32_e32 v15, v14, v13
	s_delay_alu instid0(VALU_DEP_1) | instskip(NEXT) | instid1(VALU_DEP_1)
	v_fma_f32 v16, -v12, v15, v14
	v_fmac_f32_e32 v15, v16, v13
	s_delay_alu instid0(VALU_DEP_1) | instskip(NEXT) | instid1(VALU_DEP_1)
	v_fma_f32 v12, -v12, v15, v14
	v_div_fmas_f32 v12, v12, v13, v15
                                        ; implicit-def: $vgpr13
	s_delay_alu instid0(VALU_DEP_1)
	v_div_fixup_f32 v2, v12, v2, v10
                                        ; implicit-def: $vgpr12
                                        ; implicit-def: $vgpr10
	s_and_not1_saveexec_b32 s15, s15
	s_cbranch_execz .LBB235_75
	s_branch .LBB235_74
.LBB235_73:
	s_and_not1_saveexec_b32 s15, s15
	s_cbranch_execz .LBB235_75
.LBB235_74:
	v_sub_f32_e32 v1, v13, v12
	s_delay_alu instid0(VALU_DEP_1) | instskip(NEXT) | instid1(VALU_DEP_1)
	v_mul_f32_e32 v1, 0.5, v1
	v_mul_f32_e32 v2, 0x4f800000, v1
	v_cmp_gt_f32_e32 vcc_lo, 0xf800000, v1
	s_delay_alu instid0(VALU_DEP_2) | instskip(NEXT) | instid1(VALU_DEP_1)
	v_cndmask_b32_e32 v1, v1, v2, vcc_lo
	v_sqrt_f32_e32 v2, v1
	s_waitcnt_depctr 0xfff
	v_add_nc_u32_e32 v12, -1, v2
	v_add_nc_u32_e32 v13, 1, v2
	s_delay_alu instid0(VALU_DEP_2) | instskip(NEXT) | instid1(VALU_DEP_2)
	v_fma_f32 v14, -v12, v2, v1
	v_fma_f32 v15, -v13, v2, v1
	s_delay_alu instid0(VALU_DEP_2) | instskip(NEXT) | instid1(VALU_DEP_1)
	v_cmp_ge_f32_e64 s1, 0, v14
	v_cndmask_b32_e64 v2, v2, v12, s1
	s_delay_alu instid0(VALU_DEP_3) | instskip(NEXT) | instid1(VALU_DEP_1)
	v_cmp_lt_f32_e64 s1, 0, v15
	v_cndmask_b32_e64 v2, v2, v13, s1
	s_delay_alu instid0(VALU_DEP_1) | instskip(NEXT) | instid1(VALU_DEP_1)
	v_mul_f32_e32 v12, 0x37800000, v2
	v_cndmask_b32_e32 v2, v2, v12, vcc_lo
	v_cmp_class_f32_e64 vcc_lo, v1, 0x260
	s_delay_alu instid0(VALU_DEP_2) | instskip(NEXT) | instid1(VALU_DEP_1)
	v_dual_cndmask_b32 v2, v2, v1 :: v_dual_and_b32 v1, 0x7fffffff, v10
	v_add_f32_e32 v12, v2, v2
	v_bfi_b32 v2, 0x7fffffff, v2, v10
	s_delay_alu instid0(VALU_DEP_2) | instskip(SKIP_1) | instid1(VALU_DEP_2)
	v_div_scale_f32 v13, null, v12, v12, v1
	v_div_scale_f32 v1, vcc_lo, v1, v12, v1
	v_rcp_f32_e32 v14, v13
	s_waitcnt_depctr 0xfff
	v_fma_f32 v15, -v13, v14, 1.0
	s_delay_alu instid0(VALU_DEP_1) | instskip(NEXT) | instid1(VALU_DEP_1)
	v_fmac_f32_e32 v14, v15, v14
	v_mul_f32_e32 v15, v1, v14
	s_delay_alu instid0(VALU_DEP_1) | instskip(NEXT) | instid1(VALU_DEP_1)
	v_fma_f32 v16, -v13, v15, v1
	v_fmac_f32_e32 v15, v16, v14
	s_delay_alu instid0(VALU_DEP_1) | instskip(NEXT) | instid1(VALU_DEP_1)
	v_fma_f32 v1, -v13, v15, v1
	v_div_fmas_f32 v1, v1, v14, v15
	s_delay_alu instid0(VALU_DEP_1)
	v_div_fixup_f32 v1, v1, v12, |v10|
.LBB235_75:
	s_or_b32 exec_lo, exec_lo, s15
                                        ; implicit-def: $vgpr10
                                        ; implicit-def: $vgpr12
	s_and_saveexec_b32 s1, s0
	s_delay_alu instid0(SALU_CYCLE_1)
	s_xor_b32 s0, exec_lo, s1
	s_cbranch_execz .LBB235_77
; %bb.76:
	v_dual_mul_f32 v10, 0.5, v1 :: v_dual_mul_f32 v13, 0.5, v2
	s_delay_alu instid0(VALU_DEP_1) | instskip(NEXT) | instid1(VALU_DEP_2)
	v_cndmask_b32_e64 v12, v1, v10, s14
	v_cndmask_b32_e64 v10, v2, v13, s14
                                        ; implicit-def: $vgpr1
                                        ; implicit-def: $vgpr2
	s_and_not1_saveexec_b32 s0, s0
	s_cbranch_execnz .LBB235_78
	s_branch .LBB235_79
.LBB235_77:
	s_and_not1_saveexec_b32 s0, s0
.LBB235_78:
	v_add_f32_e32 v12, v1, v1
	v_add_f32_e32 v10, v2, v2
.LBB235_79:
	s_or_b32 exec_lo, exec_lo, s0
.LBB235_80:
	s_and_not1_saveexec_b32 s0, s13
	s_cbranch_execz .LBB235_86
; %bb.81:
	s_delay_alu instid0(VALU_DEP_1)
	v_sub_f32_e32 v1, v10, v10
	s_mov_b32 s1, exec_lo
	v_cmpx_lt_i16_e32 -1, v3
	s_xor_b32 s1, exec_lo, s1
; %bb.82:
	s_delay_alu instid0(VALU_DEP_2)
	v_bfi_b32 v10, 0x7fffffff, v1, v10
                                        ; implicit-def: $vgpr1
; %bb.83:
	s_and_not1_saveexec_b32 s1, s1
; %bb.84:
	v_and_b32_e32 v1, 0x7fffffff, v1
	s_delay_alu instid0(VALU_DEP_2) | instskip(NEXT) | instid1(VALU_DEP_2)
	v_bfi_b32 v10, 0x7fffffff, v12, v10
	v_mov_b32_e32 v12, v1
; %bb.85:
	s_or_b32 exec_lo, exec_lo, s1
.LBB235_86:
	s_delay_alu instid0(SALU_CYCLE_1)
	s_or_b32 exec_lo, exec_lo, s0
.LBB235_87:
	s_and_not1_saveexec_b32 s0, s12
; %bb.88:
	v_sub_f32_e32 v1, v10, v10
	s_delay_alu instid0(VALU_DEP_1) | instskip(NEXT) | instid1(VALU_DEP_1)
	v_div_scale_f32 v2, vcc_lo, v1, v1, v1
	v_rcp_f32_e32 v3, v2
	s_waitcnt_depctr 0xfff
	v_fma_f32 v10, -v2, v3, 1.0
	s_delay_alu instid0(VALU_DEP_1) | instskip(NEXT) | instid1(VALU_DEP_1)
	v_fmac_f32_e32 v3, v10, v3
	v_mul_f32_e32 v10, v2, v3
	s_delay_alu instid0(VALU_DEP_1) | instskip(NEXT) | instid1(VALU_DEP_1)
	v_fma_f32 v13, -v2, v10, v2
	v_fmac_f32_e32 v10, v13, v3
	s_delay_alu instid0(VALU_DEP_1) | instskip(NEXT) | instid1(VALU_DEP_1)
	v_fma_f32 v2, -v2, v10, v2
	v_div_fmas_f32 v2, v2, v3, v10
	s_delay_alu instid0(VALU_DEP_1)
	v_div_fixup_f32 v10, v2, v1, v1
; %bb.89:
	s_or_b32 exec_lo, exec_lo, s0
.LBB235_90:
	s_delay_alu instid0(SALU_CYCLE_1)
	s_or_b32 exec_lo, exec_lo, s11
.LBB235_91:
	s_delay_alu instid0(SALU_CYCLE_1) | instskip(SKIP_2) | instid1(VALU_DEP_2)
	s_or_b32 exec_lo, exec_lo, s9
	v_lshrrev_b32_e32 v1, 16, v4
	v_cmp_neq_f16_e32 vcc_lo, 0, v4
	v_cmp_neq_f16_e64 s0, 0, v1
	v_cvt_f32_f16_e32 v13, v1
	s_delay_alu instid0(VALU_DEP_2) | instskip(NEXT) | instid1(SALU_CYCLE_1)
	s_or_b32 s0, vcc_lo, s0
	s_and_saveexec_b32 s9, s0
	s_cbranch_execz .LBB235_121
; %bb.92:
	v_mov_b32_e32 v11, 0x7f800000
	s_mov_b32 s11, exec_lo
	v_cmpx_neq_f32_e64 0x7f800000, |v13|
	s_cbranch_execz .LBB235_120
; %bb.93:
	v_cvt_f32_f16_e32 v11, v4
	s_mov_b32 s0, exec_lo
	v_cmpx_o_f16_e32 v4, v4
	s_xor_b32 s12, exec_lo, s0
	s_cbranch_execz .LBB235_117
; %bb.94:
	s_mov_b32 s1, exec_lo
	v_cmpx_neq_f32_e64 0x7f800000, |v11|
	s_xor_b32 s13, exec_lo, s1
	s_cbranch_execz .LBB235_110
; %bb.95:
	v_max_f32_e64 v1, |v13|, |v13|
	v_max_f32_e64 v2, |v11|, |v11|
                                        ; implicit-def: $sgpr14
	s_delay_alu instid0(VALU_DEP_1) | instskip(NEXT) | instid1(VALU_DEP_1)
	v_max_f32_e32 v1, v2, v1
	v_cmp_nle_f32_e64 s0, 0x7ed413cb, v1
	s_delay_alu instid0(VALU_DEP_1) | instskip(NEXT) | instid1(SALU_CYCLE_1)
	s_and_saveexec_b32 s1, s0
	s_xor_b32 s1, exec_lo, s1
	s_cbranch_execz .LBB235_99
; %bb.96:
	v_cmp_ge_f32_e64 s14, 0x1000000, |v11|
	v_cmp_ge_f32_e64 s15, 0x1000000, |v13|
	s_delay_alu instid0(VALU_DEP_1)
	s_and_b32 s16, s14, s15
	s_mov_b32 s14, 0
	s_and_saveexec_b32 s15, s16
; %bb.97:
	v_mul_f32_e32 v13, 4.0, v13
	v_mul_f32_e32 v11, 4.0, v11
	s_mov_b32 s14, exec_lo
; %bb.98:
	s_or_b32 exec_lo, exec_lo, s15
	s_delay_alu instid0(SALU_CYCLE_1)
	s_and_b32 s14, s14, exec_lo
.LBB235_99:
	s_and_not1_saveexec_b32 s1, s1
; %bb.100:
	v_mul_f32_e32 v11, 0x3e800000, v11
	v_mul_f32_e32 v13, 0x3e800000, v13
	s_and_not1_b32 s14, s14, exec_lo
; %bb.101:
	s_or_b32 exec_lo, exec_lo, s1
	s_delay_alu instid0(VALU_DEP_1) | instskip(SKIP_1) | instid1(VALU_DEP_1)
	v_max_f32_e64 v1, |v13|, |v13|
	v_max_f32_e64 v2, |v11|, |v11|
	v_max_f32_e32 v3, v2, v1
	s_delay_alu instid0(VALU_DEP_1) | instskip(NEXT) | instid1(VALU_DEP_1)
	v_cvt_f64_f32_e32 v[1:2], v3
	v_frexp_exp_i32_f64_e32 v1, v[1:2]
	s_delay_alu instid0(VALU_DEP_1) | instskip(NEXT) | instid1(VALU_DEP_1)
	v_sub_nc_u32_e32 v2, 0, v1
	v_ldexp_f32 v4, |v13|, v2
	v_ldexp_f32 v2, |v11|, v2
	s_delay_alu instid0(VALU_DEP_2) | instskip(SKIP_1) | instid1(VALU_DEP_2)
	v_mul_f32_e32 v4, v4, v4
	v_cmp_neq_f32_e64 s1, 0x7f800000, v3
	v_fmac_f32_e32 v4, v2, v2
	s_delay_alu instid0(VALU_DEP_1) | instskip(SKIP_2) | instid1(VALU_DEP_1)
	v_sqrt_f32_e32 v2, v4
	s_waitcnt_depctr 0xfff
	v_ldexp_f32 v1, v2, v1
                                        ; implicit-def: $vgpr2
	v_cndmask_b32_e64 v3, 0x7f800000, v1, s1
                                        ; implicit-def: $vgpr1
	s_mov_b32 s1, exec_lo
	v_cmpx_le_f32_e32 0, v11
	s_xor_b32 s15, exec_lo, s1
	s_cbranch_execz .LBB235_103
; %bb.102:
	v_add_f32_e32 v1, v11, v3
	s_delay_alu instid0(VALU_DEP_1) | instskip(NEXT) | instid1(VALU_DEP_1)
	v_mul_f32_e32 v1, 0.5, v1
	v_mul_f32_e32 v2, 0x4f800000, v1
	v_cmp_gt_f32_e32 vcc_lo, 0xf800000, v1
	s_delay_alu instid0(VALU_DEP_2) | instskip(NEXT) | instid1(VALU_DEP_1)
	v_cndmask_b32_e32 v1, v1, v2, vcc_lo
	v_sqrt_f32_e32 v2, v1
	s_waitcnt_depctr 0xfff
	v_add_nc_u32_e32 v3, -1, v2
	v_add_nc_u32_e32 v4, 1, v2
	s_delay_alu instid0(VALU_DEP_2) | instskip(NEXT) | instid1(VALU_DEP_2)
	v_fma_f32 v11, -v3, v2, v1
	v_fma_f32 v14, -v4, v2, v1
	s_delay_alu instid0(VALU_DEP_2) | instskip(NEXT) | instid1(VALU_DEP_1)
	v_cmp_ge_f32_e64 s1, 0, v11
	v_cndmask_b32_e64 v2, v2, v3, s1
	s_delay_alu instid0(VALU_DEP_3) | instskip(NEXT) | instid1(VALU_DEP_1)
	v_cmp_lt_f32_e64 s1, 0, v14
	v_cndmask_b32_e64 v2, v2, v4, s1
	s_delay_alu instid0(VALU_DEP_1) | instskip(NEXT) | instid1(VALU_DEP_1)
	v_mul_f32_e32 v3, 0x37800000, v2
	v_cndmask_b32_e32 v2, v2, v3, vcc_lo
	v_cmp_class_f32_e64 vcc_lo, v1, 0x260
	s_delay_alu instid0(VALU_DEP_2) | instskip(NEXT) | instid1(VALU_DEP_1)
	v_cndmask_b32_e32 v1, v2, v1, vcc_lo
	v_add_f32_e32 v2, v1, v1
	s_delay_alu instid0(VALU_DEP_1) | instskip(NEXT) | instid1(VALU_DEP_1)
	v_div_scale_f32 v3, null, v2, v2, v13
	v_rcp_f32_e32 v4, v3
	s_waitcnt_depctr 0xfff
	v_fma_f32 v11, -v3, v4, 1.0
	s_delay_alu instid0(VALU_DEP_1) | instskip(SKIP_1) | instid1(VALU_DEP_1)
	v_fmac_f32_e32 v4, v11, v4
	v_div_scale_f32 v11, vcc_lo, v13, v2, v13
	v_mul_f32_e32 v14, v11, v4
	s_delay_alu instid0(VALU_DEP_1) | instskip(NEXT) | instid1(VALU_DEP_1)
	v_fma_f32 v15, -v3, v14, v11
	v_fmac_f32_e32 v14, v15, v4
	s_delay_alu instid0(VALU_DEP_1) | instskip(NEXT) | instid1(VALU_DEP_1)
	v_fma_f32 v3, -v3, v14, v11
                                        ; implicit-def: $vgpr11
	v_div_fmas_f32 v3, v3, v4, v14
	s_delay_alu instid0(VALU_DEP_1)
	v_div_fixup_f32 v2, v3, v2, v13
                                        ; implicit-def: $vgpr3
                                        ; implicit-def: $vgpr13
	s_and_not1_saveexec_b32 s15, s15
	s_cbranch_execz .LBB235_105
	s_branch .LBB235_104
.LBB235_103:
	s_and_not1_saveexec_b32 s15, s15
	s_cbranch_execz .LBB235_105
.LBB235_104:
	v_sub_f32_e32 v1, v3, v11
	s_delay_alu instid0(VALU_DEP_1) | instskip(NEXT) | instid1(VALU_DEP_1)
	v_mul_f32_e32 v1, 0.5, v1
	v_mul_f32_e32 v2, 0x4f800000, v1
	v_cmp_gt_f32_e32 vcc_lo, 0xf800000, v1
	s_delay_alu instid0(VALU_DEP_2) | instskip(NEXT) | instid1(VALU_DEP_1)
	v_cndmask_b32_e32 v1, v1, v2, vcc_lo
	v_sqrt_f32_e32 v2, v1
	s_waitcnt_depctr 0xfff
	v_add_nc_u32_e32 v3, -1, v2
	v_add_nc_u32_e32 v4, 1, v2
	s_delay_alu instid0(VALU_DEP_2) | instskip(NEXT) | instid1(VALU_DEP_2)
	v_fma_f32 v11, -v3, v2, v1
	v_fma_f32 v14, -v4, v2, v1
	s_delay_alu instid0(VALU_DEP_2) | instskip(NEXT) | instid1(VALU_DEP_1)
	v_cmp_ge_f32_e64 s1, 0, v11
	v_cndmask_b32_e64 v2, v2, v3, s1
	s_delay_alu instid0(VALU_DEP_3) | instskip(NEXT) | instid1(VALU_DEP_1)
	v_cmp_lt_f32_e64 s1, 0, v14
	v_cndmask_b32_e64 v2, v2, v4, s1
	s_delay_alu instid0(VALU_DEP_1) | instskip(NEXT) | instid1(VALU_DEP_1)
	v_mul_f32_e32 v3, 0x37800000, v2
	v_cndmask_b32_e32 v2, v2, v3, vcc_lo
	v_cmp_class_f32_e64 vcc_lo, v1, 0x260
	s_delay_alu instid0(VALU_DEP_2) | instskip(SKIP_1) | instid1(VALU_DEP_2)
	v_cndmask_b32_e32 v2, v2, v1, vcc_lo
	v_and_b32_e32 v1, 0x7fffffff, v13
	v_add_f32_e32 v3, v2, v2
	v_bfi_b32 v2, 0x7fffffff, v2, v13
	s_delay_alu instid0(VALU_DEP_2) | instskip(SKIP_1) | instid1(VALU_DEP_2)
	v_div_scale_f32 v4, null, v3, v3, v1
	v_div_scale_f32 v1, vcc_lo, v1, v3, v1
	v_rcp_f32_e32 v11, v4
	s_waitcnt_depctr 0xfff
	v_fma_f32 v14, -v4, v11, 1.0
	s_delay_alu instid0(VALU_DEP_1) | instskip(NEXT) | instid1(VALU_DEP_1)
	v_fmac_f32_e32 v11, v14, v11
	v_mul_f32_e32 v14, v1, v11
	s_delay_alu instid0(VALU_DEP_1) | instskip(NEXT) | instid1(VALU_DEP_1)
	v_fma_f32 v15, -v4, v14, v1
	v_fmac_f32_e32 v14, v15, v11
	s_delay_alu instid0(VALU_DEP_1) | instskip(NEXT) | instid1(VALU_DEP_1)
	v_fma_f32 v1, -v4, v14, v1
	v_div_fmas_f32 v1, v1, v11, v14
	s_delay_alu instid0(VALU_DEP_1)
	v_div_fixup_f32 v1, v1, v3, |v13|
.LBB235_105:
	s_or_b32 exec_lo, exec_lo, s15
                                        ; implicit-def: $vgpr13
                                        ; implicit-def: $vgpr11
	s_and_saveexec_b32 s1, s0
	s_delay_alu instid0(SALU_CYCLE_1)
	s_xor_b32 s0, exec_lo, s1
	s_cbranch_execz .LBB235_107
; %bb.106:
	v_dual_mul_f32 v3, 0.5, v1 :: v_dual_mul_f32 v4, 0.5, v2
	s_delay_alu instid0(VALU_DEP_1) | instskip(NEXT) | instid1(VALU_DEP_2)
	v_cndmask_b32_e64 v11, v1, v3, s14
	v_cndmask_b32_e64 v13, v2, v4, s14
                                        ; implicit-def: $vgpr1
                                        ; implicit-def: $vgpr2
	s_and_not1_saveexec_b32 s0, s0
	s_cbranch_execnz .LBB235_108
	s_branch .LBB235_109
.LBB235_107:
	s_and_not1_saveexec_b32 s0, s0
.LBB235_108:
	v_add_f32_e32 v11, v1, v1
	v_add_f32_e32 v13, v2, v2
.LBB235_109:
	s_or_b32 exec_lo, exec_lo, s0
                                        ; implicit-def: $vgpr1_vgpr2_vgpr3_vgpr4
.LBB235_110:
	s_and_not1_saveexec_b32 s0, s13
	s_cbranch_execz .LBB235_116
; %bb.111:
	s_delay_alu instid0(VALU_DEP_1)
	v_sub_f32_e32 v1, v13, v13
	s_mov_b32 s1, exec_lo
	v_cmpx_lt_i16_e32 -1, v4
	s_xor_b32 s1, exec_lo, s1
; %bb.112:
	s_delay_alu instid0(VALU_DEP_2)
	v_bfi_b32 v13, 0x7fffffff, v1, v13
                                        ; implicit-def: $vgpr1
; %bb.113:
	s_and_not1_saveexec_b32 s1, s1
; %bb.114:
	v_and_b32_e32 v1, 0x7fffffff, v1
	s_delay_alu instid0(VALU_DEP_2) | instskip(NEXT) | instid1(VALU_DEP_2)
	v_bfi_b32 v13, 0x7fffffff, v11, v13
	v_mov_b32_e32 v11, v1
; %bb.115:
	s_or_b32 exec_lo, exec_lo, s1
.LBB235_116:
	s_delay_alu instid0(SALU_CYCLE_1)
	s_or_b32 exec_lo, exec_lo, s0
.LBB235_117:
	s_and_not1_saveexec_b32 s0, s12
; %bb.118:
	v_sub_f32_e32 v1, v13, v13
	s_delay_alu instid0(VALU_DEP_1) | instskip(NEXT) | instid1(VALU_DEP_1)
	v_div_scale_f32 v2, vcc_lo, v1, v1, v1
	v_rcp_f32_e32 v3, v2
	s_waitcnt_depctr 0xfff
	v_fma_f32 v4, -v2, v3, 1.0
	s_delay_alu instid0(VALU_DEP_1) | instskip(NEXT) | instid1(VALU_DEP_1)
	v_fmac_f32_e32 v3, v4, v3
	v_mul_f32_e32 v4, v2, v3
	s_delay_alu instid0(VALU_DEP_1) | instskip(NEXT) | instid1(VALU_DEP_1)
	v_fma_f32 v13, -v2, v4, v2
	v_fmac_f32_e32 v4, v13, v3
	s_delay_alu instid0(VALU_DEP_1) | instskip(NEXT) | instid1(VALU_DEP_1)
	v_fma_f32 v2, -v2, v4, v2
	v_div_fmas_f32 v2, v2, v3, v4
	s_delay_alu instid0(VALU_DEP_1)
	v_div_fixup_f32 v13, v2, v1, v1
; %bb.119:
	s_or_b32 exec_lo, exec_lo, s0
.LBB235_120:
	s_delay_alu instid0(SALU_CYCLE_1)
	s_or_b32 exec_lo, exec_lo, s11
.LBB235_121:
	s_delay_alu instid0(SALU_CYCLE_1)
	s_or_b32 exec_lo, exec_lo, s9
	v_cvt_f16_f32_e32 v3, v9
	v_cvt_f16_f32_e32 v1, v10
	;; [unrolled: 1-line block ×5, first 2 shown]
	v_lshlrev_b32_e32 v4, 16, v3
	v_cvt_f16_f32_e32 v3, v7
	v_cvt_f16_f32_e32 v7, v8
	;; [unrolled: 1-line block ×3, first 2 shown]
	v_lshlrev_b32_e32 v1, 16, v1
	v_and_b32_e32 v2, 0xffff, v2
	v_and_b32_e32 v10, 0xffff, v3
	v_lshlrev_b32_e32 v6, 16, v6
	v_and_b32_e32 v7, 0xffff, v7
	v_lshlrev_b32_e32 v8, 16, v8
	v_and_b32_e32 v9, 0xffff, v9
	v_or_b32_e32 v3, v1, v2
	v_or_b32_e32 v2, v4, v10
	;; [unrolled: 1-line block ×3, first 2 shown]
	s_add_u32 s2, s4, s2
	v_or_b32_e32 v4, v8, v9
	s_addc_u32 s3, s5, s3
	s_mov_b32 s0, 0
	global_store_b128 v5, v[1:4], s[2:3]
.LBB235_122:
	s_and_b32 vcc_lo, exec_lo, s0
	s_cbranch_vccz .LBB235_267
; %bb.123:
	v_cmp_gt_i32_e64 s0, s10, v0
	v_dual_mov_b32 v7, 0 :: v_dual_mov_b32 v8, 0
	v_or_b32_e32 v1, s8, v0
	v_or_b32_e32 v3, 0x100, v0
	v_mov_b32_e32 v4, v0
	s_and_saveexec_b32 s1, s0
	s_cbranch_execz .LBB235_125
; %bb.124:
	v_mov_b32_e32 v2, 0
	s_delay_alu instid0(VALU_DEP_1) | instskip(NEXT) | instid1(VALU_DEP_1)
	v_lshlrev_b64 v[4:5], 2, v[1:2]
	v_add_co_u32 v4, vcc_lo, s6, v4
	s_delay_alu instid0(VALU_DEP_2)
	v_add_co_ci_u32_e32 v5, vcc_lo, s7, v5, vcc_lo
	global_load_b32 v8, v[4:5], off
	v_or_b32_e32 v4, 0x100, v0
.LBB235_125:
	s_or_b32 exec_lo, exec_lo, s1
	s_delay_alu instid0(SALU_CYCLE_1) | instskip(NEXT) | instid1(VALU_DEP_1)
	s_mov_b32 s1, exec_lo
	v_cmpx_gt_i32_e64 s10, v4
	s_cbranch_execz .LBB235_127
; %bb.126:
	v_dual_mov_b32 v6, 0 :: v_dual_add_nc_u32 v5, s8, v4
	v_add_nc_u32_e32 v4, 0x100, v4
	s_delay_alu instid0(VALU_DEP_2) | instskip(NEXT) | instid1(VALU_DEP_1)
	v_lshlrev_b64 v[5:6], 2, v[5:6]
	v_add_co_u32 v5, vcc_lo, s6, v5
	s_delay_alu instid0(VALU_DEP_2)
	v_add_co_ci_u32_e32 v6, vcc_lo, s7, v6, vcc_lo
	global_load_b32 v7, v[5:6], off
.LBB235_127:
	s_or_b32 exec_lo, exec_lo, s1
	v_dual_mov_b32 v2, 0 :: v_dual_mov_b32 v5, 0
	s_mov_b32 s1, exec_lo
	v_cmpx_gt_i32_e64 s10, v4
	s_cbranch_execz .LBB235_131
; %bb.128:
	v_dual_mov_b32 v6, 0 :: v_dual_add_nc_u32 v5, s8, v4
	v_add_nc_u32_e32 v4, 0x100, v4
	s_delay_alu instid0(VALU_DEP_2) | instskip(NEXT) | instid1(VALU_DEP_1)
	v_lshlrev_b64 v[5:6], 2, v[5:6]
	v_add_co_u32 v5, vcc_lo, s6, v5
	s_delay_alu instid0(VALU_DEP_2) | instskip(SKIP_2) | instid1(SALU_CYCLE_1)
	v_add_co_ci_u32_e32 v6, vcc_lo, s7, v6, vcc_lo
	global_load_b32 v5, v[5:6], off
	s_or_b32 exec_lo, exec_lo, s1
	s_mov_b32 s1, exec_lo
	v_cmpx_gt_i32_e64 s10, v4
	s_cbranch_execnz .LBB235_132
.LBB235_129:
	s_or_b32 exec_lo, exec_lo, s1
                                        ; implicit-def: $vgpr4
	s_and_saveexec_b32 s3, s0
	s_cbranch_execnz .LBB235_133
.LBB235_130:
	s_or_b32 exec_lo, exec_lo, s3
	s_delay_alu instid0(SALU_CYCLE_1)
	s_mov_b32 s3, exec_lo
                                        ; implicit-def: $vgpr6
	v_cmpx_gt_i32_e64 s10, v3
	s_cbranch_execz .LBB235_195
	s_branch .LBB235_164
.LBB235_131:
	s_or_b32 exec_lo, exec_lo, s1
	s_delay_alu instid0(SALU_CYCLE_1)
	s_mov_b32 s1, exec_lo
	v_cmpx_gt_i32_e64 s10, v4
	s_cbranch_execz .LBB235_129
.LBB235_132:
	v_dual_mov_b32 v10, 0 :: v_dual_add_nc_u32 v9, s8, v4
	s_delay_alu instid0(VALU_DEP_1) | instskip(NEXT) | instid1(VALU_DEP_1)
	v_lshlrev_b64 v[9:10], 2, v[9:10]
	v_add_co_u32 v9, vcc_lo, s6, v9
	s_delay_alu instid0(VALU_DEP_2)
	v_add_co_ci_u32_e32 v10, vcc_lo, s7, v10, vcc_lo
	global_load_b32 v2, v[9:10], off
	s_or_b32 exec_lo, exec_lo, s1
                                        ; implicit-def: $vgpr4
	s_and_saveexec_b32 s3, s0
	s_cbranch_execz .LBB235_130
.LBB235_133:
	s_waitcnt vmcnt(0)
	v_lshrrev_b32_e32 v4, 16, v8
	v_cmp_neq_f16_e32 vcc_lo, 0, v8
	v_mov_b32_e32 v6, 0
	s_delay_alu instid0(VALU_DEP_3) | instskip(SKIP_1) | instid1(VALU_DEP_2)
	v_cmp_neq_f16_e64 s1, 0, v4
	v_cvt_f32_f16_e32 v4, v4
	s_or_b32 s1, vcc_lo, s1
	s_delay_alu instid0(SALU_CYCLE_1)
	s_and_saveexec_b32 s6, s1
	s_cbranch_execz .LBB235_163
; %bb.134:
	v_mov_b32_e32 v6, 0x7f800000
	s_mov_b32 s7, exec_lo
	v_cmpx_neq_f32_e64 0x7f800000, |v4|
	s_cbranch_execz .LBB235_162
; %bb.135:
	v_cvt_f32_f16_e32 v6, v8
	s_mov_b32 s1, exec_lo
	v_cmpx_o_f16_e32 v8, v8
	s_xor_b32 s9, exec_lo, s1
	s_cbranch_execz .LBB235_159
; %bb.136:
	s_mov_b32 s2, exec_lo
	v_cmpx_neq_f32_e64 0x7f800000, |v6|
	s_xor_b32 s11, exec_lo, s2
	s_cbranch_execz .LBB235_152
; %bb.137:
	v_max_f32_e64 v8, |v4|, |v4|
	v_max_f32_e64 v9, |v6|, |v6|
                                        ; implicit-def: $sgpr12
	s_delay_alu instid0(VALU_DEP_1) | instskip(NEXT) | instid1(VALU_DEP_1)
	v_max_f32_e32 v8, v9, v8
	v_cmp_nle_f32_e64 s1, 0x7ed413cb, v8
	s_delay_alu instid0(VALU_DEP_1) | instskip(NEXT) | instid1(SALU_CYCLE_1)
	s_and_saveexec_b32 s2, s1
	s_xor_b32 s2, exec_lo, s2
	s_cbranch_execz .LBB235_141
; %bb.138:
	v_cmp_ge_f32_e64 s12, 0x1000000, |v6|
	v_cmp_ge_f32_e64 s13, 0x1000000, |v4|
	s_delay_alu instid0(VALU_DEP_1)
	s_and_b32 s14, s12, s13
	s_mov_b32 s12, 0
	s_and_saveexec_b32 s13, s14
; %bb.139:
	v_mul_f32_e32 v4, 4.0, v4
	v_mul_f32_e32 v6, 4.0, v6
	s_mov_b32 s12, exec_lo
; %bb.140:
	s_or_b32 exec_lo, exec_lo, s13
	s_delay_alu instid0(SALU_CYCLE_1)
	s_and_b32 s12, s12, exec_lo
.LBB235_141:
	s_and_not1_saveexec_b32 s2, s2
; %bb.142:
	v_mul_f32_e32 v6, 0x3e800000, v6
	v_mul_f32_e32 v4, 0x3e800000, v4
	s_and_not1_b32 s12, s12, exec_lo
; %bb.143:
	s_or_b32 exec_lo, exec_lo, s2
	s_delay_alu instid0(VALU_DEP_1) | instskip(SKIP_1) | instid1(VALU_DEP_1)
	v_max_f32_e64 v8, |v4|, |v4|
	v_max_f32_e64 v9, |v6|, |v6|
	v_max_f32_e32 v10, v9, v8
	s_delay_alu instid0(VALU_DEP_1) | instskip(NEXT) | instid1(VALU_DEP_1)
	v_cvt_f64_f32_e32 v[8:9], v10
	v_frexp_exp_i32_f64_e32 v8, v[8:9]
	s_delay_alu instid0(VALU_DEP_1) | instskip(NEXT) | instid1(VALU_DEP_1)
	v_sub_nc_u32_e32 v9, 0, v8
	v_ldexp_f32 v11, |v4|, v9
	v_ldexp_f32 v9, |v6|, v9
	s_delay_alu instid0(VALU_DEP_2) | instskip(SKIP_1) | instid1(VALU_DEP_2)
	v_mul_f32_e32 v11, v11, v11
	v_cmp_neq_f32_e64 s2, 0x7f800000, v10
	v_fmac_f32_e32 v11, v9, v9
	s_delay_alu instid0(VALU_DEP_1) | instskip(SKIP_2) | instid1(VALU_DEP_1)
	v_sqrt_f32_e32 v9, v11
	s_waitcnt_depctr 0xfff
	v_ldexp_f32 v8, v9, v8
                                        ; implicit-def: $vgpr9
	v_cndmask_b32_e64 v10, 0x7f800000, v8, s2
                                        ; implicit-def: $vgpr8
	s_mov_b32 s2, exec_lo
	v_cmpx_le_f32_e32 0, v6
	s_xor_b32 s13, exec_lo, s2
	s_cbranch_execz .LBB235_145
; %bb.144:
	v_add_f32_e32 v6, v6, v10
	s_delay_alu instid0(VALU_DEP_1) | instskip(NEXT) | instid1(VALU_DEP_1)
	v_mul_f32_e32 v6, 0.5, v6
	v_mul_f32_e32 v8, 0x4f800000, v6
	v_cmp_gt_f32_e32 vcc_lo, 0xf800000, v6
	s_delay_alu instid0(VALU_DEP_2) | instskip(NEXT) | instid1(VALU_DEP_1)
	v_cndmask_b32_e32 v6, v6, v8, vcc_lo
	v_sqrt_f32_e32 v8, v6
	s_waitcnt_depctr 0xfff
	v_add_nc_u32_e32 v9, -1, v8
	v_add_nc_u32_e32 v10, 1, v8
	s_delay_alu instid0(VALU_DEP_2) | instskip(NEXT) | instid1(VALU_DEP_2)
	v_fma_f32 v11, -v9, v8, v6
	v_fma_f32 v12, -v10, v8, v6
	s_delay_alu instid0(VALU_DEP_2) | instskip(NEXT) | instid1(VALU_DEP_1)
	v_cmp_ge_f32_e64 s2, 0, v11
	v_cndmask_b32_e64 v8, v8, v9, s2
	s_delay_alu instid0(VALU_DEP_3) | instskip(NEXT) | instid1(VALU_DEP_1)
	v_cmp_lt_f32_e64 s2, 0, v12
	v_cndmask_b32_e64 v8, v8, v10, s2
	s_delay_alu instid0(VALU_DEP_1) | instskip(NEXT) | instid1(VALU_DEP_1)
	v_mul_f32_e32 v9, 0x37800000, v8
	v_cndmask_b32_e32 v8, v8, v9, vcc_lo
	v_cmp_class_f32_e64 vcc_lo, v6, 0x260
	s_delay_alu instid0(VALU_DEP_2) | instskip(NEXT) | instid1(VALU_DEP_1)
	v_cndmask_b32_e32 v8, v8, v6, vcc_lo
	v_add_f32_e32 v6, v8, v8
	s_delay_alu instid0(VALU_DEP_1) | instskip(NEXT) | instid1(VALU_DEP_1)
	v_div_scale_f32 v9, null, v6, v6, v4
	v_rcp_f32_e32 v10, v9
	s_waitcnt_depctr 0xfff
	v_fma_f32 v11, -v9, v10, 1.0
	s_delay_alu instid0(VALU_DEP_1) | instskip(SKIP_1) | instid1(VALU_DEP_1)
	v_fmac_f32_e32 v10, v11, v10
	v_div_scale_f32 v11, vcc_lo, v4, v6, v4
	v_mul_f32_e32 v12, v11, v10
	s_delay_alu instid0(VALU_DEP_1) | instskip(NEXT) | instid1(VALU_DEP_1)
	v_fma_f32 v13, -v9, v12, v11
	v_fmac_f32_e32 v12, v13, v10
	s_delay_alu instid0(VALU_DEP_1) | instskip(NEXT) | instid1(VALU_DEP_1)
	v_fma_f32 v9, -v9, v12, v11
	v_div_fmas_f32 v9, v9, v10, v12
                                        ; implicit-def: $vgpr10
	s_delay_alu instid0(VALU_DEP_1)
	v_div_fixup_f32 v9, v9, v6, v4
                                        ; implicit-def: $vgpr6
                                        ; implicit-def: $vgpr4
	s_and_not1_saveexec_b32 s13, s13
	s_cbranch_execz .LBB235_147
	s_branch .LBB235_146
.LBB235_145:
	s_and_not1_saveexec_b32 s13, s13
	s_cbranch_execz .LBB235_147
.LBB235_146:
	v_sub_f32_e32 v6, v10, v6
	s_delay_alu instid0(VALU_DEP_1) | instskip(NEXT) | instid1(VALU_DEP_1)
	v_mul_f32_e32 v6, 0.5, v6
	v_mul_f32_e32 v8, 0x4f800000, v6
	v_cmp_gt_f32_e32 vcc_lo, 0xf800000, v6
	s_delay_alu instid0(VALU_DEP_2) | instskip(NEXT) | instid1(VALU_DEP_1)
	v_cndmask_b32_e32 v6, v6, v8, vcc_lo
	v_sqrt_f32_e32 v8, v6
	s_waitcnt_depctr 0xfff
	v_add_nc_u32_e32 v9, -1, v8
	v_add_nc_u32_e32 v10, 1, v8
	s_delay_alu instid0(VALU_DEP_2) | instskip(NEXT) | instid1(VALU_DEP_2)
	v_fma_f32 v11, -v9, v8, v6
	v_fma_f32 v12, -v10, v8, v6
	s_delay_alu instid0(VALU_DEP_2) | instskip(NEXT) | instid1(VALU_DEP_1)
	v_cmp_ge_f32_e64 s2, 0, v11
	v_cndmask_b32_e64 v8, v8, v9, s2
	s_delay_alu instid0(VALU_DEP_3) | instskip(NEXT) | instid1(VALU_DEP_1)
	v_cmp_lt_f32_e64 s2, 0, v12
	v_cndmask_b32_e64 v8, v8, v10, s2
	s_delay_alu instid0(VALU_DEP_1) | instskip(NEXT) | instid1(VALU_DEP_1)
	v_mul_f32_e32 v9, 0x37800000, v8
	v_cndmask_b32_e32 v8, v8, v9, vcc_lo
	v_cmp_class_f32_e64 vcc_lo, v6, 0x260
	s_delay_alu instid0(VALU_DEP_2) | instskip(NEXT) | instid1(VALU_DEP_1)
	v_cndmask_b32_e32 v6, v8, v6, vcc_lo
	v_dual_add_f32 v9, v6, v6 :: v_dual_and_b32 v8, 0x7fffffff, v4
	s_delay_alu instid0(VALU_DEP_1) | instskip(SKIP_1) | instid1(VALU_DEP_2)
	v_div_scale_f32 v10, null, v9, v9, v8
	v_div_scale_f32 v8, vcc_lo, v8, v9, v8
	v_rcp_f32_e32 v11, v10
	s_waitcnt_depctr 0xfff
	v_fma_f32 v12, -v10, v11, 1.0
	s_delay_alu instid0(VALU_DEP_1) | instskip(NEXT) | instid1(VALU_DEP_1)
	v_fmac_f32_e32 v11, v12, v11
	v_mul_f32_e32 v12, v8, v11
	s_delay_alu instid0(VALU_DEP_1) | instskip(NEXT) | instid1(VALU_DEP_1)
	v_fma_f32 v13, -v10, v12, v8
	v_fmac_f32_e32 v12, v13, v11
	s_delay_alu instid0(VALU_DEP_1) | instskip(NEXT) | instid1(VALU_DEP_1)
	v_fma_f32 v8, -v10, v12, v8
	v_div_fmas_f32 v8, v8, v11, v12
	s_delay_alu instid0(VALU_DEP_1)
	v_div_fixup_f32 v8, v8, v9, |v4|
	v_bfi_b32 v9, 0x7fffffff, v6, v4
.LBB235_147:
	s_or_b32 exec_lo, exec_lo, s13
                                        ; implicit-def: $vgpr4
                                        ; implicit-def: $vgpr6
	s_and_saveexec_b32 s2, s1
	s_delay_alu instid0(SALU_CYCLE_1)
	s_xor_b32 s1, exec_lo, s2
	s_cbranch_execz .LBB235_149
; %bb.148:
	v_mul_f32_e32 v4, 0.5, v8
	v_mul_f32_e32 v10, 0.5, v9
	s_delay_alu instid0(VALU_DEP_2) | instskip(NEXT) | instid1(VALU_DEP_2)
	v_cndmask_b32_e64 v6, v8, v4, s12
	v_cndmask_b32_e64 v4, v9, v10, s12
                                        ; implicit-def: $vgpr8
                                        ; implicit-def: $vgpr9
	s_and_not1_saveexec_b32 s1, s1
	s_cbranch_execnz .LBB235_150
	s_branch .LBB235_151
.LBB235_149:
	s_and_not1_saveexec_b32 s1, s1
.LBB235_150:
	v_add_f32_e32 v6, v8, v8
	v_add_f32_e32 v4, v9, v9
.LBB235_151:
	s_or_b32 exec_lo, exec_lo, s1
                                        ; implicit-def: $vgpr8
.LBB235_152:
	s_and_not1_saveexec_b32 s1, s11
	s_cbranch_execz .LBB235_158
; %bb.153:
	v_cmp_lt_i16_e32 vcc_lo, -1, v8
	v_sub_f32_e32 v8, v4, v4
	s_and_saveexec_b32 s2, vcc_lo
	s_delay_alu instid0(SALU_CYCLE_1)
	s_xor_b32 s2, exec_lo, s2
; %bb.154:
	s_delay_alu instid0(VALU_DEP_1)
	v_bfi_b32 v4, 0x7fffffff, v8, v4
                                        ; implicit-def: $vgpr8
; %bb.155:
	s_and_not1_saveexec_b32 s2, s2
; %bb.156:
	v_and_b32_e32 v8, 0x7fffffff, v8
	s_delay_alu instid0(VALU_DEP_2) | instskip(NEXT) | instid1(VALU_DEP_2)
	v_bfi_b32 v4, 0x7fffffff, v6, v4
	v_mov_b32_e32 v6, v8
; %bb.157:
	s_or_b32 exec_lo, exec_lo, s2
.LBB235_158:
	s_delay_alu instid0(SALU_CYCLE_1)
	s_or_b32 exec_lo, exec_lo, s1
.LBB235_159:
	s_and_not1_saveexec_b32 s1, s9
; %bb.160:
	v_sub_f32_e32 v4, v4, v4
	s_delay_alu instid0(VALU_DEP_1) | instskip(NEXT) | instid1(VALU_DEP_1)
	v_div_scale_f32 v8, vcc_lo, v4, v4, v4
	v_rcp_f32_e32 v9, v8
	s_waitcnt_depctr 0xfff
	v_fma_f32 v10, -v8, v9, 1.0
	s_delay_alu instid0(VALU_DEP_1) | instskip(NEXT) | instid1(VALU_DEP_1)
	v_fmac_f32_e32 v9, v10, v9
	v_mul_f32_e32 v10, v8, v9
	s_delay_alu instid0(VALU_DEP_1) | instskip(NEXT) | instid1(VALU_DEP_1)
	v_fma_f32 v11, -v8, v10, v8
	v_fmac_f32_e32 v10, v11, v9
	s_delay_alu instid0(VALU_DEP_1) | instskip(NEXT) | instid1(VALU_DEP_1)
	v_fma_f32 v8, -v8, v10, v8
	v_div_fmas_f32 v8, v8, v9, v10
	s_delay_alu instid0(VALU_DEP_1)
	v_div_fixup_f32 v4, v8, v4, v4
; %bb.161:
	s_or_b32 exec_lo, exec_lo, s1
.LBB235_162:
	s_delay_alu instid0(SALU_CYCLE_1)
	s_or_b32 exec_lo, exec_lo, s7
.LBB235_163:
	s_delay_alu instid0(SALU_CYCLE_1) | instskip(NEXT) | instid1(VALU_DEP_1)
	s_or_b32 exec_lo, exec_lo, s6
	v_cvt_f16_f32_e32 v4, v4
	v_cvt_f16_f32_e32 v6, v6
	s_delay_alu instid0(VALU_DEP_2) | instskip(NEXT) | instid1(VALU_DEP_2)
	v_lshlrev_b32_e32 v4, 16, v4
	v_and_b32_e32 v6, 0xffff, v6
	s_delay_alu instid0(VALU_DEP_1) | instskip(SKIP_1) | instid1(SALU_CYCLE_1)
	v_or_b32_e32 v4, v4, v6
	s_or_b32 exec_lo, exec_lo, s3
	s_mov_b32 s3, exec_lo
                                        ; implicit-def: $vgpr6
	v_cmpx_gt_i32_e64 s10, v3
	s_cbranch_execz .LBB235_195
.LBB235_164:
	s_waitcnt vmcnt(0)
	v_lshrrev_b32_e32 v6, 16, v7
	v_cmp_neq_f16_e32 vcc_lo, 0, v7
	v_mov_b32_e32 v8, 0
	s_delay_alu instid0(VALU_DEP_3) | instskip(SKIP_1) | instid1(VALU_DEP_2)
	v_cmp_neq_f16_e64 s1, 0, v6
	v_cvt_f32_f16_e32 v6, v6
	s_or_b32 s1, vcc_lo, s1
	s_delay_alu instid0(SALU_CYCLE_1)
	s_and_saveexec_b32 s6, s1
	s_cbranch_execz .LBB235_194
; %bb.165:
	v_mov_b32_e32 v8, 0x7f800000
	s_mov_b32 s7, exec_lo
	v_cmpx_neq_f32_e64 0x7f800000, |v6|
	s_cbranch_execz .LBB235_193
; %bb.166:
	v_cvt_f32_f16_e32 v8, v7
	s_mov_b32 s1, exec_lo
	v_cmpx_o_f16_e32 v7, v7
	s_xor_b32 s9, exec_lo, s1
	s_cbranch_execz .LBB235_190
; %bb.167:
	s_mov_b32 s2, exec_lo
	v_cmpx_neq_f32_e64 0x7f800000, |v8|
	s_xor_b32 s11, exec_lo, s2
	s_cbranch_execz .LBB235_183
; %bb.168:
	v_max_f32_e64 v7, |v6|, |v6|
	v_max_f32_e64 v9, |v8|, |v8|
                                        ; implicit-def: $sgpr12
	s_delay_alu instid0(VALU_DEP_1) | instskip(NEXT) | instid1(VALU_DEP_1)
	v_max_f32_e32 v7, v9, v7
	v_cmp_nle_f32_e64 s1, 0x7ed413cb, v7
	s_delay_alu instid0(VALU_DEP_1) | instskip(NEXT) | instid1(SALU_CYCLE_1)
	s_and_saveexec_b32 s2, s1
	s_xor_b32 s2, exec_lo, s2
	s_cbranch_execz .LBB235_172
; %bb.169:
	v_cmp_ge_f32_e64 s12, 0x1000000, |v8|
	v_cmp_ge_f32_e64 s13, 0x1000000, |v6|
	s_delay_alu instid0(VALU_DEP_1)
	s_and_b32 s14, s12, s13
	s_mov_b32 s12, 0
	s_and_saveexec_b32 s13, s14
; %bb.170:
	v_mul_f32_e32 v6, 4.0, v6
	v_mul_f32_e32 v8, 4.0, v8
	s_mov_b32 s12, exec_lo
; %bb.171:
	s_or_b32 exec_lo, exec_lo, s13
	s_delay_alu instid0(SALU_CYCLE_1)
	s_and_b32 s12, s12, exec_lo
.LBB235_172:
	s_and_not1_saveexec_b32 s2, s2
; %bb.173:
	v_mul_f32_e32 v8, 0x3e800000, v8
	v_mul_f32_e32 v6, 0x3e800000, v6
	s_and_not1_b32 s12, s12, exec_lo
; %bb.174:
	s_or_b32 exec_lo, exec_lo, s2
	s_delay_alu instid0(VALU_DEP_1) | instskip(SKIP_1) | instid1(VALU_DEP_1)
	v_max_f32_e64 v7, |v6|, |v6|
	v_max_f32_e64 v9, |v8|, |v8|
	v_max_f32_e32 v7, v9, v7
	s_delay_alu instid0(VALU_DEP_1) | instskip(SKIP_1) | instid1(VALU_DEP_2)
	v_cvt_f64_f32_e32 v[9:10], v7
	v_cmp_neq_f32_e64 s2, 0x7f800000, v7
                                        ; implicit-def: $vgpr7
	v_frexp_exp_i32_f64_e32 v9, v[9:10]
	s_delay_alu instid0(VALU_DEP_1) | instskip(NEXT) | instid1(VALU_DEP_1)
	v_sub_nc_u32_e32 v10, 0, v9
	v_ldexp_f32 v11, |v6|, v10
	v_ldexp_f32 v10, |v8|, v10
	s_delay_alu instid0(VALU_DEP_2) | instskip(NEXT) | instid1(VALU_DEP_1)
	v_mul_f32_e32 v11, v11, v11
	v_fmac_f32_e32 v11, v10, v10
	s_delay_alu instid0(VALU_DEP_1) | instskip(SKIP_2) | instid1(VALU_DEP_1)
	v_sqrt_f32_e32 v10, v11
	s_waitcnt_depctr 0xfff
	v_ldexp_f32 v9, v10, v9
	v_cndmask_b32_e64 v10, 0x7f800000, v9, s2
                                        ; implicit-def: $vgpr9
	s_mov_b32 s2, exec_lo
	v_cmpx_le_f32_e32 0, v8
	s_xor_b32 s13, exec_lo, s2
	s_cbranch_execz .LBB235_176
; %bb.175:
	v_add_f32_e32 v7, v8, v10
	s_delay_alu instid0(VALU_DEP_1) | instskip(NEXT) | instid1(VALU_DEP_1)
	v_mul_f32_e32 v7, 0.5, v7
	v_mul_f32_e32 v8, 0x4f800000, v7
	v_cmp_gt_f32_e32 vcc_lo, 0xf800000, v7
	s_delay_alu instid0(VALU_DEP_2) | instskip(NEXT) | instid1(VALU_DEP_1)
	v_cndmask_b32_e32 v7, v7, v8, vcc_lo
	v_sqrt_f32_e32 v8, v7
	s_waitcnt_depctr 0xfff
	v_add_nc_u32_e32 v9, -1, v8
	v_add_nc_u32_e32 v10, 1, v8
	s_delay_alu instid0(VALU_DEP_2) | instskip(NEXT) | instid1(VALU_DEP_2)
	v_fma_f32 v11, -v9, v8, v7
	v_fma_f32 v12, -v10, v8, v7
	s_delay_alu instid0(VALU_DEP_2) | instskip(NEXT) | instid1(VALU_DEP_1)
	v_cmp_ge_f32_e64 s2, 0, v11
	v_cndmask_b32_e64 v8, v8, v9, s2
	s_delay_alu instid0(VALU_DEP_3) | instskip(NEXT) | instid1(VALU_DEP_1)
	v_cmp_lt_f32_e64 s2, 0, v12
	v_cndmask_b32_e64 v8, v8, v10, s2
	s_delay_alu instid0(VALU_DEP_1) | instskip(NEXT) | instid1(VALU_DEP_1)
	v_mul_f32_e32 v9, 0x37800000, v8
	v_cndmask_b32_e32 v8, v8, v9, vcc_lo
	v_cmp_class_f32_e64 vcc_lo, v7, 0x260
	s_delay_alu instid0(VALU_DEP_2) | instskip(NEXT) | instid1(VALU_DEP_1)
	v_cndmask_b32_e32 v7, v8, v7, vcc_lo
	v_add_f32_e32 v8, v7, v7
	s_delay_alu instid0(VALU_DEP_1) | instskip(NEXT) | instid1(VALU_DEP_1)
	v_div_scale_f32 v9, null, v8, v8, v6
	v_rcp_f32_e32 v10, v9
	s_waitcnt_depctr 0xfff
	v_fma_f32 v11, -v9, v10, 1.0
	s_delay_alu instid0(VALU_DEP_1) | instskip(SKIP_1) | instid1(VALU_DEP_1)
	v_fmac_f32_e32 v10, v11, v10
	v_div_scale_f32 v11, vcc_lo, v6, v8, v6
	v_mul_f32_e32 v12, v11, v10
	s_delay_alu instid0(VALU_DEP_1) | instskip(NEXT) | instid1(VALU_DEP_1)
	v_fma_f32 v13, -v9, v12, v11
	v_fmac_f32_e32 v12, v13, v10
	s_delay_alu instid0(VALU_DEP_1) | instskip(NEXT) | instid1(VALU_DEP_1)
	v_fma_f32 v9, -v9, v12, v11
	v_div_fmas_f32 v9, v9, v10, v12
                                        ; implicit-def: $vgpr10
	s_delay_alu instid0(VALU_DEP_1)
	v_div_fixup_f32 v9, v9, v8, v6
                                        ; implicit-def: $vgpr8
                                        ; implicit-def: $vgpr6
	s_and_not1_saveexec_b32 s13, s13
	s_cbranch_execz .LBB235_178
	s_branch .LBB235_177
.LBB235_176:
	s_and_not1_saveexec_b32 s13, s13
	s_cbranch_execz .LBB235_178
.LBB235_177:
	v_sub_f32_e32 v7, v10, v8
	s_delay_alu instid0(VALU_DEP_1) | instskip(NEXT) | instid1(VALU_DEP_1)
	v_mul_f32_e32 v7, 0.5, v7
	v_mul_f32_e32 v8, 0x4f800000, v7
	v_cmp_gt_f32_e32 vcc_lo, 0xf800000, v7
	s_delay_alu instid0(VALU_DEP_2) | instskip(NEXT) | instid1(VALU_DEP_1)
	v_cndmask_b32_e32 v7, v7, v8, vcc_lo
	v_sqrt_f32_e32 v8, v7
	s_waitcnt_depctr 0xfff
	v_add_nc_u32_e32 v9, -1, v8
	v_add_nc_u32_e32 v10, 1, v8
	s_delay_alu instid0(VALU_DEP_2) | instskip(NEXT) | instid1(VALU_DEP_2)
	v_fma_f32 v11, -v9, v8, v7
	v_fma_f32 v12, -v10, v8, v7
	s_delay_alu instid0(VALU_DEP_2) | instskip(NEXT) | instid1(VALU_DEP_1)
	v_cmp_ge_f32_e64 s2, 0, v11
	v_cndmask_b32_e64 v8, v8, v9, s2
	s_delay_alu instid0(VALU_DEP_3) | instskip(NEXT) | instid1(VALU_DEP_1)
	v_cmp_lt_f32_e64 s2, 0, v12
	v_cndmask_b32_e64 v8, v8, v10, s2
	s_delay_alu instid0(VALU_DEP_1) | instskip(NEXT) | instid1(VALU_DEP_1)
	v_mul_f32_e32 v9, 0x37800000, v8
	v_cndmask_b32_e32 v8, v8, v9, vcc_lo
	v_cmp_class_f32_e64 vcc_lo, v7, 0x260
	s_delay_alu instid0(VALU_DEP_2) | instskip(NEXT) | instid1(VALU_DEP_1)
	v_dual_cndmask_b32 v8, v8, v7 :: v_dual_and_b32 v7, 0x7fffffff, v6
	v_add_f32_e32 v9, v8, v8
	s_delay_alu instid0(VALU_DEP_1) | instskip(SKIP_1) | instid1(VALU_DEP_2)
	v_div_scale_f32 v10, null, v9, v9, v7
	v_div_scale_f32 v7, vcc_lo, v7, v9, v7
	v_rcp_f32_e32 v11, v10
	s_waitcnt_depctr 0xfff
	v_fma_f32 v12, -v10, v11, 1.0
	s_delay_alu instid0(VALU_DEP_1) | instskip(NEXT) | instid1(VALU_DEP_1)
	v_fmac_f32_e32 v11, v12, v11
	v_mul_f32_e32 v12, v7, v11
	s_delay_alu instid0(VALU_DEP_1) | instskip(NEXT) | instid1(VALU_DEP_1)
	v_fma_f32 v13, -v10, v12, v7
	v_fmac_f32_e32 v12, v13, v11
	s_delay_alu instid0(VALU_DEP_1) | instskip(NEXT) | instid1(VALU_DEP_1)
	v_fma_f32 v7, -v10, v12, v7
	v_div_fmas_f32 v7, v7, v11, v12
	s_delay_alu instid0(VALU_DEP_1)
	v_div_fixup_f32 v7, v7, v9, |v6|
	v_bfi_b32 v9, 0x7fffffff, v8, v6
.LBB235_178:
	s_or_b32 exec_lo, exec_lo, s13
                                        ; implicit-def: $vgpr6
                                        ; implicit-def: $vgpr8
	s_and_saveexec_b32 s2, s1
	s_delay_alu instid0(SALU_CYCLE_1)
	s_xor_b32 s1, exec_lo, s2
	s_cbranch_execz .LBB235_180
; %bb.179:
	v_mul_f32_e32 v6, 0.5, v7
	v_mul_f32_e32 v10, 0.5, v9
	s_delay_alu instid0(VALU_DEP_2) | instskip(NEXT) | instid1(VALU_DEP_2)
	v_cndmask_b32_e64 v8, v7, v6, s12
	v_cndmask_b32_e64 v6, v9, v10, s12
                                        ; implicit-def: $vgpr7
                                        ; implicit-def: $vgpr9
	s_and_not1_saveexec_b32 s1, s1
	s_cbranch_execnz .LBB235_181
	s_branch .LBB235_182
.LBB235_180:
	s_and_not1_saveexec_b32 s1, s1
.LBB235_181:
	v_add_f32_e32 v8, v7, v7
	v_add_f32_e32 v6, v9, v9
.LBB235_182:
	s_or_b32 exec_lo, exec_lo, s1
                                        ; implicit-def: $vgpr7
.LBB235_183:
	s_and_not1_saveexec_b32 s1, s11
	s_cbranch_execz .LBB235_189
; %bb.184:
	v_cmp_lt_i16_e32 vcc_lo, -1, v7
	v_sub_f32_e32 v7, v6, v6
	s_and_saveexec_b32 s2, vcc_lo
	s_delay_alu instid0(SALU_CYCLE_1)
	s_xor_b32 s2, exec_lo, s2
; %bb.185:
	s_delay_alu instid0(VALU_DEP_1)
	v_bfi_b32 v6, 0x7fffffff, v7, v6
                                        ; implicit-def: $vgpr7
; %bb.186:
	s_and_not1_saveexec_b32 s2, s2
; %bb.187:
	v_and_b32_e32 v7, 0x7fffffff, v7
	s_delay_alu instid0(VALU_DEP_2) | instskip(NEXT) | instid1(VALU_DEP_2)
	v_bfi_b32 v6, 0x7fffffff, v8, v6
	v_mov_b32_e32 v8, v7
; %bb.188:
	s_or_b32 exec_lo, exec_lo, s2
.LBB235_189:
	s_delay_alu instid0(SALU_CYCLE_1)
	s_or_b32 exec_lo, exec_lo, s1
.LBB235_190:
	s_and_not1_saveexec_b32 s1, s9
; %bb.191:
	v_sub_f32_e32 v6, v6, v6
	s_delay_alu instid0(VALU_DEP_1) | instskip(NEXT) | instid1(VALU_DEP_1)
	v_div_scale_f32 v7, vcc_lo, v6, v6, v6
	v_rcp_f32_e32 v9, v7
	s_waitcnt_depctr 0xfff
	v_fma_f32 v10, -v7, v9, 1.0
	s_delay_alu instid0(VALU_DEP_1) | instskip(NEXT) | instid1(VALU_DEP_1)
	v_fmac_f32_e32 v9, v10, v9
	v_mul_f32_e32 v10, v7, v9
	s_delay_alu instid0(VALU_DEP_1) | instskip(NEXT) | instid1(VALU_DEP_1)
	v_fma_f32 v11, -v7, v10, v7
	v_fmac_f32_e32 v10, v11, v9
	s_delay_alu instid0(VALU_DEP_1) | instskip(NEXT) | instid1(VALU_DEP_1)
	v_fma_f32 v7, -v7, v10, v7
	v_div_fmas_f32 v7, v7, v9, v10
	s_delay_alu instid0(VALU_DEP_1)
	v_div_fixup_f32 v6, v7, v6, v6
; %bb.192:
	s_or_b32 exec_lo, exec_lo, s1
.LBB235_193:
	s_delay_alu instid0(SALU_CYCLE_1)
	s_or_b32 exec_lo, exec_lo, s7
.LBB235_194:
	s_delay_alu instid0(SALU_CYCLE_1) | instskip(NEXT) | instid1(VALU_DEP_1)
	s_or_b32 exec_lo, exec_lo, s6
	v_cvt_f16_f32_e32 v6, v6
	v_cvt_f16_f32_e32 v7, v8
	s_delay_alu instid0(VALU_DEP_2) | instskip(NEXT) | instid1(VALU_DEP_2)
	v_lshlrev_b32_e32 v6, 16, v6
	v_and_b32_e32 v7, 0xffff, v7
	s_delay_alu instid0(VALU_DEP_1)
	v_or_b32_e32 v6, v6, v7
.LBB235_195:
	s_or_b32 exec_lo, exec_lo, s3
	s_waitcnt vmcnt(0)
	v_or_b32_e32 v7, 0x200, v0
	s_delay_alu instid0(VALU_DEP_1)
	v_cmp_gt_i32_e32 vcc_lo, s10, v7
                                        ; implicit-def: $vgpr7
	s_and_saveexec_b32 s3, vcc_lo
	s_cbranch_execz .LBB235_227
; %bb.196:
	v_lshrrev_b32_e32 v7, 16, v5
	v_cmp_neq_f16_e32 vcc_lo, 0, v5
	v_mov_b32_e32 v8, 0
	s_delay_alu instid0(VALU_DEP_3) | instskip(SKIP_1) | instid1(VALU_DEP_2)
	v_cmp_neq_f16_e64 s1, 0, v7
	v_cvt_f32_f16_e32 v7, v7
	s_or_b32 s1, vcc_lo, s1
	s_delay_alu instid0(SALU_CYCLE_1)
	s_and_saveexec_b32 s6, s1
	s_cbranch_execz .LBB235_226
; %bb.197:
	v_mov_b32_e32 v8, 0x7f800000
	s_mov_b32 s7, exec_lo
	v_cmpx_neq_f32_e64 0x7f800000, |v7|
	s_cbranch_execz .LBB235_225
; %bb.198:
	v_cvt_f32_f16_e32 v8, v5
	s_mov_b32 s1, exec_lo
	v_cmpx_o_f16_e32 v5, v5
	s_xor_b32 s9, exec_lo, s1
	s_cbranch_execz .LBB235_222
; %bb.199:
	s_mov_b32 s2, exec_lo
	v_cmpx_neq_f32_e64 0x7f800000, |v8|
	s_xor_b32 s11, exec_lo, s2
	s_cbranch_execz .LBB235_215
; %bb.200:
	v_max_f32_e64 v5, |v7|, |v7|
	v_max_f32_e64 v9, |v8|, |v8|
                                        ; implicit-def: $sgpr12
	s_delay_alu instid0(VALU_DEP_1) | instskip(NEXT) | instid1(VALU_DEP_1)
	v_max_f32_e32 v5, v9, v5
	v_cmp_nle_f32_e64 s1, 0x7ed413cb, v5
	s_delay_alu instid0(VALU_DEP_1) | instskip(NEXT) | instid1(SALU_CYCLE_1)
	s_and_saveexec_b32 s2, s1
	s_xor_b32 s2, exec_lo, s2
	s_cbranch_execz .LBB235_204
; %bb.201:
	v_cmp_ge_f32_e64 s12, 0x1000000, |v8|
	v_cmp_ge_f32_e64 s13, 0x1000000, |v7|
	s_delay_alu instid0(VALU_DEP_1)
	s_and_b32 s14, s12, s13
	s_mov_b32 s12, 0
	s_and_saveexec_b32 s13, s14
; %bb.202:
	v_dual_mul_f32 v7, 4.0, v7 :: v_dual_mul_f32 v8, 4.0, v8
	s_mov_b32 s12, exec_lo
; %bb.203:
	s_or_b32 exec_lo, exec_lo, s13
	s_delay_alu instid0(SALU_CYCLE_1)
	s_and_b32 s12, s12, exec_lo
.LBB235_204:
	s_and_not1_saveexec_b32 s2, s2
; %bb.205:
	v_dual_mul_f32 v8, 0x3e800000, v8 :: v_dual_mul_f32 v7, 0x3e800000, v7
	s_and_not1_b32 s12, s12, exec_lo
; %bb.206:
	s_or_b32 exec_lo, exec_lo, s2
	s_delay_alu instid0(VALU_DEP_1) | instskip(NEXT) | instid1(VALU_DEP_2)
	v_max_f32_e64 v5, |v7|, |v7|
	v_max_f32_e64 v9, |v8|, |v8|
	s_delay_alu instid0(VALU_DEP_1) | instskip(NEXT) | instid1(VALU_DEP_1)
	v_max_f32_e32 v5, v9, v5
	v_cvt_f64_f32_e32 v[9:10], v5
	v_cmp_neq_f32_e64 s2, 0x7f800000, v5
                                        ; implicit-def: $vgpr5
	s_delay_alu instid0(VALU_DEP_2) | instskip(NEXT) | instid1(VALU_DEP_1)
	v_frexp_exp_i32_f64_e32 v9, v[9:10]
	v_sub_nc_u32_e32 v10, 0, v9
	s_delay_alu instid0(VALU_DEP_1) | instskip(SKIP_1) | instid1(VALU_DEP_2)
	v_ldexp_f32 v11, |v7|, v10
	v_ldexp_f32 v10, |v8|, v10
	v_mul_f32_e32 v11, v11, v11
	s_delay_alu instid0(VALU_DEP_1) | instskip(NEXT) | instid1(VALU_DEP_1)
	v_fmac_f32_e32 v11, v10, v10
	v_sqrt_f32_e32 v10, v11
	s_waitcnt_depctr 0xfff
	v_ldexp_f32 v9, v10, v9
	s_delay_alu instid0(VALU_DEP_1)
	v_cndmask_b32_e64 v10, 0x7f800000, v9, s2
                                        ; implicit-def: $vgpr9
	s_mov_b32 s2, exec_lo
	v_cmpx_le_f32_e32 0, v8
	s_xor_b32 s13, exec_lo, s2
	s_cbranch_execz .LBB235_208
; %bb.207:
	v_add_f32_e32 v5, v8, v10
	s_delay_alu instid0(VALU_DEP_1) | instskip(NEXT) | instid1(VALU_DEP_1)
	v_mul_f32_e32 v5, 0.5, v5
	v_mul_f32_e32 v8, 0x4f800000, v5
	v_cmp_gt_f32_e32 vcc_lo, 0xf800000, v5
	s_delay_alu instid0(VALU_DEP_2) | instskip(NEXT) | instid1(VALU_DEP_1)
	v_cndmask_b32_e32 v5, v5, v8, vcc_lo
	v_sqrt_f32_e32 v8, v5
	s_waitcnt_depctr 0xfff
	v_add_nc_u32_e32 v9, -1, v8
	v_add_nc_u32_e32 v10, 1, v8
	s_delay_alu instid0(VALU_DEP_2) | instskip(NEXT) | instid1(VALU_DEP_2)
	v_fma_f32 v11, -v9, v8, v5
	v_fma_f32 v12, -v10, v8, v5
	s_delay_alu instid0(VALU_DEP_2) | instskip(NEXT) | instid1(VALU_DEP_1)
	v_cmp_ge_f32_e64 s2, 0, v11
	v_cndmask_b32_e64 v8, v8, v9, s2
	s_delay_alu instid0(VALU_DEP_3) | instskip(NEXT) | instid1(VALU_DEP_1)
	v_cmp_lt_f32_e64 s2, 0, v12
	v_cndmask_b32_e64 v8, v8, v10, s2
	s_delay_alu instid0(VALU_DEP_1) | instskip(NEXT) | instid1(VALU_DEP_1)
	v_mul_f32_e32 v9, 0x37800000, v8
	v_cndmask_b32_e32 v8, v8, v9, vcc_lo
	v_cmp_class_f32_e64 vcc_lo, v5, 0x260
	s_delay_alu instid0(VALU_DEP_2) | instskip(NEXT) | instid1(VALU_DEP_1)
	v_cndmask_b32_e32 v5, v8, v5, vcc_lo
	v_add_f32_e32 v8, v5, v5
	s_delay_alu instid0(VALU_DEP_1) | instskip(NEXT) | instid1(VALU_DEP_1)
	v_div_scale_f32 v9, null, v8, v8, v7
	v_rcp_f32_e32 v10, v9
	s_waitcnt_depctr 0xfff
	v_fma_f32 v11, -v9, v10, 1.0
	s_delay_alu instid0(VALU_DEP_1) | instskip(SKIP_1) | instid1(VALU_DEP_1)
	v_fmac_f32_e32 v10, v11, v10
	v_div_scale_f32 v11, vcc_lo, v7, v8, v7
	v_mul_f32_e32 v12, v11, v10
	s_delay_alu instid0(VALU_DEP_1) | instskip(NEXT) | instid1(VALU_DEP_1)
	v_fma_f32 v13, -v9, v12, v11
	v_fmac_f32_e32 v12, v13, v10
	s_delay_alu instid0(VALU_DEP_1) | instskip(NEXT) | instid1(VALU_DEP_1)
	v_fma_f32 v9, -v9, v12, v11
	v_div_fmas_f32 v9, v9, v10, v12
                                        ; implicit-def: $vgpr10
	s_delay_alu instid0(VALU_DEP_1)
	v_div_fixup_f32 v9, v9, v8, v7
                                        ; implicit-def: $vgpr8
                                        ; implicit-def: $vgpr7
	s_and_not1_saveexec_b32 s13, s13
	s_cbranch_execz .LBB235_210
	s_branch .LBB235_209
.LBB235_208:
	s_and_not1_saveexec_b32 s13, s13
	s_cbranch_execz .LBB235_210
.LBB235_209:
	v_sub_f32_e32 v5, v10, v8
	s_delay_alu instid0(VALU_DEP_1) | instskip(NEXT) | instid1(VALU_DEP_1)
	v_mul_f32_e32 v5, 0.5, v5
	v_mul_f32_e32 v8, 0x4f800000, v5
	v_cmp_gt_f32_e32 vcc_lo, 0xf800000, v5
	s_delay_alu instid0(VALU_DEP_2) | instskip(NEXT) | instid1(VALU_DEP_1)
	v_cndmask_b32_e32 v5, v5, v8, vcc_lo
	v_sqrt_f32_e32 v8, v5
	s_waitcnt_depctr 0xfff
	v_add_nc_u32_e32 v9, -1, v8
	v_add_nc_u32_e32 v10, 1, v8
	s_delay_alu instid0(VALU_DEP_2) | instskip(NEXT) | instid1(VALU_DEP_2)
	v_fma_f32 v11, -v9, v8, v5
	v_fma_f32 v12, -v10, v8, v5
	s_delay_alu instid0(VALU_DEP_2) | instskip(NEXT) | instid1(VALU_DEP_1)
	v_cmp_ge_f32_e64 s2, 0, v11
	v_cndmask_b32_e64 v8, v8, v9, s2
	s_delay_alu instid0(VALU_DEP_3) | instskip(NEXT) | instid1(VALU_DEP_1)
	v_cmp_lt_f32_e64 s2, 0, v12
	v_cndmask_b32_e64 v8, v8, v10, s2
	s_delay_alu instid0(VALU_DEP_1) | instskip(NEXT) | instid1(VALU_DEP_1)
	v_mul_f32_e32 v9, 0x37800000, v8
	v_cndmask_b32_e32 v8, v8, v9, vcc_lo
	v_cmp_class_f32_e64 vcc_lo, v5, 0x260
	s_delay_alu instid0(VALU_DEP_2) | instskip(NEXT) | instid1(VALU_DEP_1)
	v_dual_cndmask_b32 v8, v8, v5 :: v_dual_and_b32 v5, 0x7fffffff, v7
	v_add_f32_e32 v9, v8, v8
	s_delay_alu instid0(VALU_DEP_1) | instskip(SKIP_1) | instid1(VALU_DEP_2)
	v_div_scale_f32 v10, null, v9, v9, v5
	v_div_scale_f32 v5, vcc_lo, v5, v9, v5
	v_rcp_f32_e32 v11, v10
	s_waitcnt_depctr 0xfff
	v_fma_f32 v12, -v10, v11, 1.0
	s_delay_alu instid0(VALU_DEP_1) | instskip(NEXT) | instid1(VALU_DEP_1)
	v_fmac_f32_e32 v11, v12, v11
	v_mul_f32_e32 v12, v5, v11
	s_delay_alu instid0(VALU_DEP_1) | instskip(NEXT) | instid1(VALU_DEP_1)
	v_fma_f32 v13, -v10, v12, v5
	v_fmac_f32_e32 v12, v13, v11
	s_delay_alu instid0(VALU_DEP_1) | instskip(NEXT) | instid1(VALU_DEP_1)
	v_fma_f32 v5, -v10, v12, v5
	v_div_fmas_f32 v5, v5, v11, v12
	s_delay_alu instid0(VALU_DEP_1)
	v_div_fixup_f32 v5, v5, v9, |v7|
	v_bfi_b32 v9, 0x7fffffff, v8, v7
.LBB235_210:
	s_or_b32 exec_lo, exec_lo, s13
                                        ; implicit-def: $vgpr7
                                        ; implicit-def: $vgpr8
	s_and_saveexec_b32 s2, s1
	s_delay_alu instid0(SALU_CYCLE_1)
	s_xor_b32 s1, exec_lo, s2
	s_cbranch_execz .LBB235_212
; %bb.211:
	v_mul_f32_e32 v7, 0.5, v5
	v_mul_f32_e32 v10, 0.5, v9
	s_delay_alu instid0(VALU_DEP_2) | instskip(NEXT) | instid1(VALU_DEP_2)
	v_cndmask_b32_e64 v8, v5, v7, s12
	v_cndmask_b32_e64 v7, v9, v10, s12
                                        ; implicit-def: $vgpr5
                                        ; implicit-def: $vgpr9
	s_and_not1_saveexec_b32 s1, s1
	s_cbranch_execnz .LBB235_213
	s_branch .LBB235_214
.LBB235_212:
	s_and_not1_saveexec_b32 s1, s1
.LBB235_213:
	v_add_f32_e32 v8, v5, v5
	v_add_f32_e32 v7, v9, v9
.LBB235_214:
	s_or_b32 exec_lo, exec_lo, s1
                                        ; implicit-def: $vgpr5
.LBB235_215:
	s_and_not1_saveexec_b32 s1, s11
	s_cbranch_execz .LBB235_221
; %bb.216:
	v_cmp_lt_i16_e32 vcc_lo, -1, v5
	v_sub_f32_e32 v5, v7, v7
	s_and_saveexec_b32 s2, vcc_lo
	s_delay_alu instid0(SALU_CYCLE_1)
	s_xor_b32 s2, exec_lo, s2
; %bb.217:
	s_delay_alu instid0(VALU_DEP_1)
	v_bfi_b32 v7, 0x7fffffff, v5, v7
                                        ; implicit-def: $vgpr5
; %bb.218:
	s_and_not1_saveexec_b32 s2, s2
; %bb.219:
	v_and_b32_e32 v5, 0x7fffffff, v5
	s_delay_alu instid0(VALU_DEP_2) | instskip(NEXT) | instid1(VALU_DEP_2)
	v_bfi_b32 v7, 0x7fffffff, v8, v7
	v_mov_b32_e32 v8, v5
; %bb.220:
	s_or_b32 exec_lo, exec_lo, s2
.LBB235_221:
	s_delay_alu instid0(SALU_CYCLE_1)
	s_or_b32 exec_lo, exec_lo, s1
.LBB235_222:
	s_and_not1_saveexec_b32 s1, s9
; %bb.223:
	v_sub_f32_e32 v5, v7, v7
	s_delay_alu instid0(VALU_DEP_1) | instskip(NEXT) | instid1(VALU_DEP_1)
	v_div_scale_f32 v7, vcc_lo, v5, v5, v5
	v_rcp_f32_e32 v9, v7
	s_waitcnt_depctr 0xfff
	v_fma_f32 v10, -v7, v9, 1.0
	s_delay_alu instid0(VALU_DEP_1) | instskip(NEXT) | instid1(VALU_DEP_1)
	v_fmac_f32_e32 v9, v10, v9
	v_mul_f32_e32 v10, v7, v9
	s_delay_alu instid0(VALU_DEP_1) | instskip(NEXT) | instid1(VALU_DEP_1)
	v_fma_f32 v11, -v7, v10, v7
	v_fmac_f32_e32 v10, v11, v9
	s_delay_alu instid0(VALU_DEP_1) | instskip(NEXT) | instid1(VALU_DEP_1)
	v_fma_f32 v7, -v7, v10, v7
	v_div_fmas_f32 v7, v7, v9, v10
	s_delay_alu instid0(VALU_DEP_1)
	v_div_fixup_f32 v7, v7, v5, v5
; %bb.224:
	s_or_b32 exec_lo, exec_lo, s1
.LBB235_225:
	s_delay_alu instid0(SALU_CYCLE_1)
	s_or_b32 exec_lo, exec_lo, s7
.LBB235_226:
	s_delay_alu instid0(SALU_CYCLE_1) | instskip(NEXT) | instid1(VALU_DEP_1)
	s_or_b32 exec_lo, exec_lo, s6
	v_cvt_f16_f32_e32 v5, v7
	v_cvt_f16_f32_e32 v7, v8
	s_delay_alu instid0(VALU_DEP_2) | instskip(NEXT) | instid1(VALU_DEP_2)
	v_lshlrev_b32_e32 v5, 16, v5
	v_and_b32_e32 v7, 0xffff, v7
	s_delay_alu instid0(VALU_DEP_1)
	v_or_b32_e32 v7, v5, v7
.LBB235_227:
	s_or_b32 exec_lo, exec_lo, s3
	v_or_b32_e32 v5, 0x300, v0
	s_delay_alu instid0(VALU_DEP_1)
	v_cmp_gt_i32_e32 vcc_lo, s10, v5
                                        ; implicit-def: $vgpr5
	s_and_saveexec_b32 s3, vcc_lo
	s_cbranch_execz .LBB235_240
; %bb.228:
	v_lshrrev_b32_e32 v5, 16, v2
	v_cmp_neq_f16_e32 vcc_lo, 0, v2
	v_mov_b32_e32 v8, 0
	s_delay_alu instid0(VALU_DEP_3) | instskip(SKIP_1) | instid1(VALU_DEP_2)
	v_cmp_neq_f16_e64 s1, 0, v5
	v_cvt_f32_f16_e32 v5, v5
	s_or_b32 s1, vcc_lo, s1
	s_delay_alu instid0(SALU_CYCLE_1)
	s_and_saveexec_b32 s6, s1
	s_cbranch_execz .LBB235_262
; %bb.229:
	v_mov_b32_e32 v8, 0x7f800000
	s_mov_b32 s7, exec_lo
	v_cmpx_neq_f32_e64 0x7f800000, |v5|
	s_cbranch_execz .LBB235_261
; %bb.230:
	v_cvt_f32_f16_e32 v8, v2
	s_mov_b32 s1, exec_lo
	v_cmpx_o_f16_e32 v2, v2
	s_xor_b32 s9, exec_lo, s1
	s_cbranch_execz .LBB235_258
; %bb.231:
	s_mov_b32 s2, exec_lo
	v_cmpx_neq_f32_e64 0x7f800000, |v8|
	s_xor_b32 s11, exec_lo, s2
	s_cbranch_execz .LBB235_251
; %bb.232:
	v_max_f32_e64 v2, |v5|, |v5|
	v_max_f32_e64 v9, |v8|, |v8|
                                        ; implicit-def: $sgpr12
	s_delay_alu instid0(VALU_DEP_1) | instskip(NEXT) | instid1(VALU_DEP_1)
	v_max_f32_e32 v2, v9, v2
	v_cmp_nle_f32_e64 s1, 0x7ed413cb, v2
	s_delay_alu instid0(VALU_DEP_1) | instskip(NEXT) | instid1(SALU_CYCLE_1)
	s_and_saveexec_b32 s2, s1
	s_xor_b32 s2, exec_lo, s2
	s_cbranch_execz .LBB235_236
; %bb.233:
	v_cmp_ge_f32_e64 s12, 0x1000000, |v8|
	v_cmp_ge_f32_e64 s13, 0x1000000, |v5|
	s_delay_alu instid0(VALU_DEP_1)
	s_and_b32 s14, s12, s13
	s_mov_b32 s12, 0
	s_and_saveexec_b32 s13, s14
; %bb.234:
	v_dual_mul_f32 v5, 4.0, v5 :: v_dual_mul_f32 v8, 4.0, v8
	s_mov_b32 s12, exec_lo
; %bb.235:
	s_or_b32 exec_lo, exec_lo, s13
	s_delay_alu instid0(SALU_CYCLE_1)
	s_and_b32 s12, s12, exec_lo
.LBB235_236:
	s_and_not1_saveexec_b32 s2, s2
; %bb.237:
	v_dual_mul_f32 v8, 0x3e800000, v8 :: v_dual_mul_f32 v5, 0x3e800000, v5
	s_and_not1_b32 s12, s12, exec_lo
; %bb.238:
	s_or_b32 exec_lo, exec_lo, s2
	s_delay_alu instid0(VALU_DEP_1) | instskip(NEXT) | instid1(VALU_DEP_2)
	v_max_f32_e64 v2, |v5|, |v5|
	v_max_f32_e64 v9, |v8|, |v8|
	s_delay_alu instid0(VALU_DEP_1) | instskip(NEXT) | instid1(VALU_DEP_1)
	v_max_f32_e32 v2, v9, v2
	v_cvt_f64_f32_e32 v[9:10], v2
	s_delay_alu instid0(VALU_DEP_1) | instskip(NEXT) | instid1(VALU_DEP_1)
	v_frexp_exp_i32_f64_e32 v9, v[9:10]
	v_sub_nc_u32_e32 v10, 0, v9
	s_delay_alu instid0(VALU_DEP_1) | instskip(SKIP_1) | instid1(VALU_DEP_2)
	v_ldexp_f32 v11, |v5|, v10
	v_ldexp_f32 v10, |v8|, v10
	v_mul_f32_e32 v11, v11, v11
	v_cmp_neq_f32_e64 s2, 0x7f800000, v2
                                        ; implicit-def: $vgpr2
	s_delay_alu instid0(VALU_DEP_2) | instskip(NEXT) | instid1(VALU_DEP_1)
	v_fmac_f32_e32 v11, v10, v10
	v_sqrt_f32_e32 v10, v11
	s_waitcnt_depctr 0xfff
	v_ldexp_f32 v9, v10, v9
	s_delay_alu instid0(VALU_DEP_1)
	v_cndmask_b32_e64 v10, 0x7f800000, v9, s2
                                        ; implicit-def: $vgpr9
	s_mov_b32 s2, exec_lo
	v_cmpx_le_f32_e32 0, v8
	s_xor_b32 s13, exec_lo, s2
	s_cbranch_execz .LBB235_244
; %bb.239:
	v_add_f32_e32 v2, v8, v10
	s_delay_alu instid0(VALU_DEP_1) | instskip(NEXT) | instid1(VALU_DEP_1)
	v_mul_f32_e32 v2, 0.5, v2
	v_mul_f32_e32 v8, 0x4f800000, v2
	v_cmp_gt_f32_e32 vcc_lo, 0xf800000, v2
	s_delay_alu instid0(VALU_DEP_2) | instskip(NEXT) | instid1(VALU_DEP_1)
	v_cndmask_b32_e32 v2, v2, v8, vcc_lo
	v_sqrt_f32_e32 v8, v2
	s_waitcnt_depctr 0xfff
	v_add_nc_u32_e32 v9, -1, v8
	v_add_nc_u32_e32 v10, 1, v8
	s_delay_alu instid0(VALU_DEP_2) | instskip(NEXT) | instid1(VALU_DEP_2)
	v_fma_f32 v11, -v9, v8, v2
	v_fma_f32 v12, -v10, v8, v2
	s_delay_alu instid0(VALU_DEP_2) | instskip(NEXT) | instid1(VALU_DEP_1)
	v_cmp_ge_f32_e64 s2, 0, v11
	v_cndmask_b32_e64 v8, v8, v9, s2
	s_delay_alu instid0(VALU_DEP_3) | instskip(NEXT) | instid1(VALU_DEP_1)
	v_cmp_lt_f32_e64 s2, 0, v12
	v_cndmask_b32_e64 v8, v8, v10, s2
	s_delay_alu instid0(VALU_DEP_1) | instskip(NEXT) | instid1(VALU_DEP_1)
	v_mul_f32_e32 v9, 0x37800000, v8
	v_cndmask_b32_e32 v8, v8, v9, vcc_lo
	v_cmp_class_f32_e64 vcc_lo, v2, 0x260
	s_delay_alu instid0(VALU_DEP_2) | instskip(NEXT) | instid1(VALU_DEP_1)
	v_cndmask_b32_e32 v2, v8, v2, vcc_lo
	v_add_f32_e32 v8, v2, v2
	s_delay_alu instid0(VALU_DEP_1) | instskip(NEXT) | instid1(VALU_DEP_1)
	v_div_scale_f32 v9, null, v8, v8, v5
	v_rcp_f32_e32 v10, v9
	s_waitcnt_depctr 0xfff
	v_fma_f32 v11, -v9, v10, 1.0
	s_delay_alu instid0(VALU_DEP_1) | instskip(SKIP_1) | instid1(VALU_DEP_1)
	v_fmac_f32_e32 v10, v11, v10
	v_div_scale_f32 v11, vcc_lo, v5, v8, v5
	v_mul_f32_e32 v12, v11, v10
	s_delay_alu instid0(VALU_DEP_1) | instskip(NEXT) | instid1(VALU_DEP_1)
	v_fma_f32 v13, -v9, v12, v11
	v_fmac_f32_e32 v12, v13, v10
	s_delay_alu instid0(VALU_DEP_1) | instskip(NEXT) | instid1(VALU_DEP_1)
	v_fma_f32 v9, -v9, v12, v11
	v_div_fmas_f32 v9, v9, v10, v12
                                        ; implicit-def: $vgpr10
	s_delay_alu instid0(VALU_DEP_1)
	v_div_fixup_f32 v9, v9, v8, v5
                                        ; implicit-def: $vgpr8
                                        ; implicit-def: $vgpr5
	s_and_not1_saveexec_b32 s13, s13
	s_cbranch_execz .LBB235_246
	s_branch .LBB235_245
.LBB235_240:
	s_or_b32 exec_lo, exec_lo, s3
	s_and_saveexec_b32 s1, s0
	s_delay_alu instid0(SALU_CYCLE_1)
	s_xor_b32 s0, exec_lo, s1
	s_cbranch_execz .LBB235_263
.LBB235_241:
	v_mov_b32_e32 v2, 0
	s_delay_alu instid0(VALU_DEP_1) | instskip(NEXT) | instid1(VALU_DEP_1)
	v_lshlrev_b64 v[0:1], 2, v[1:2]
	v_add_co_u32 v8, vcc_lo, s4, v0
	s_delay_alu instid0(VALU_DEP_2) | instskip(SKIP_3) | instid1(SALU_CYCLE_1)
	v_add_co_ci_u32_e32 v9, vcc_lo, s5, v1, vcc_lo
	v_mov_b32_e32 v0, v3
	global_store_b32 v[8:9], v4, off
	s_or_b32 exec_lo, exec_lo, s0
	s_mov_b32 s0, exec_lo
	v_cmpx_gt_i32_e64 s10, v0
	s_cbranch_execnz .LBB235_264
.LBB235_242:
	s_or_b32 exec_lo, exec_lo, s0
	s_delay_alu instid0(SALU_CYCLE_1)
	s_mov_b32 s0, exec_lo
	v_cmpx_gt_i32_e64 s10, v0
	s_cbranch_execz .LBB235_265
.LBB235_243:
	v_dual_mov_b32 v2, 0 :: v_dual_add_nc_u32 v1, s8, v0
	v_add_nc_u32_e32 v0, 0x100, v0
	s_delay_alu instid0(VALU_DEP_2) | instskip(NEXT) | instid1(VALU_DEP_1)
	v_lshlrev_b64 v[1:2], 2, v[1:2]
	v_add_co_u32 v1, vcc_lo, s4, v1
	s_delay_alu instid0(VALU_DEP_2) | instskip(SKIP_2) | instid1(SALU_CYCLE_1)
	v_add_co_ci_u32_e32 v2, vcc_lo, s5, v2, vcc_lo
	global_store_b32 v[1:2], v7, off
	s_or_b32 exec_lo, exec_lo, s0
	s_mov_b32 s0, exec_lo
	v_cmpx_gt_i32_e64 s10, v0
	s_cbranch_execnz .LBB235_266
	s_branch .LBB235_267
.LBB235_244:
	s_and_not1_saveexec_b32 s13, s13
	s_cbranch_execz .LBB235_246
.LBB235_245:
	v_sub_f32_e32 v2, v10, v8
	s_delay_alu instid0(VALU_DEP_1) | instskip(NEXT) | instid1(VALU_DEP_1)
	v_mul_f32_e32 v2, 0.5, v2
	v_mul_f32_e32 v8, 0x4f800000, v2
	v_cmp_gt_f32_e32 vcc_lo, 0xf800000, v2
	s_delay_alu instid0(VALU_DEP_2) | instskip(NEXT) | instid1(VALU_DEP_1)
	v_cndmask_b32_e32 v2, v2, v8, vcc_lo
	v_sqrt_f32_e32 v8, v2
	s_waitcnt_depctr 0xfff
	v_add_nc_u32_e32 v9, -1, v8
	v_add_nc_u32_e32 v10, 1, v8
	s_delay_alu instid0(VALU_DEP_2) | instskip(NEXT) | instid1(VALU_DEP_2)
	v_fma_f32 v11, -v9, v8, v2
	v_fma_f32 v12, -v10, v8, v2
	s_delay_alu instid0(VALU_DEP_2) | instskip(NEXT) | instid1(VALU_DEP_1)
	v_cmp_ge_f32_e64 s2, 0, v11
	v_cndmask_b32_e64 v8, v8, v9, s2
	s_delay_alu instid0(VALU_DEP_3) | instskip(NEXT) | instid1(VALU_DEP_1)
	v_cmp_lt_f32_e64 s2, 0, v12
	v_cndmask_b32_e64 v8, v8, v10, s2
	s_delay_alu instid0(VALU_DEP_1) | instskip(NEXT) | instid1(VALU_DEP_1)
	v_mul_f32_e32 v9, 0x37800000, v8
	v_cndmask_b32_e32 v8, v8, v9, vcc_lo
	v_cmp_class_f32_e64 vcc_lo, v2, 0x260
	s_delay_alu instid0(VALU_DEP_2) | instskip(NEXT) | instid1(VALU_DEP_1)
	v_cndmask_b32_e32 v8, v8, v2, vcc_lo
	v_dual_add_f32 v9, v8, v8 :: v_dual_and_b32 v2, 0x7fffffff, v5
	s_delay_alu instid0(VALU_DEP_1) | instskip(SKIP_1) | instid1(VALU_DEP_2)
	v_div_scale_f32 v10, null, v9, v9, v2
	v_div_scale_f32 v2, vcc_lo, v2, v9, v2
	v_rcp_f32_e32 v11, v10
	s_waitcnt_depctr 0xfff
	v_fma_f32 v12, -v10, v11, 1.0
	s_delay_alu instid0(VALU_DEP_1) | instskip(NEXT) | instid1(VALU_DEP_1)
	v_fmac_f32_e32 v11, v12, v11
	v_mul_f32_e32 v12, v2, v11
	s_delay_alu instid0(VALU_DEP_1) | instskip(NEXT) | instid1(VALU_DEP_1)
	v_fma_f32 v13, -v10, v12, v2
	v_fmac_f32_e32 v12, v13, v11
	s_delay_alu instid0(VALU_DEP_1) | instskip(NEXT) | instid1(VALU_DEP_1)
	v_fma_f32 v2, -v10, v12, v2
	v_div_fmas_f32 v2, v2, v11, v12
	s_delay_alu instid0(VALU_DEP_1)
	v_div_fixup_f32 v2, v2, v9, |v5|
	v_bfi_b32 v9, 0x7fffffff, v8, v5
.LBB235_246:
	s_or_b32 exec_lo, exec_lo, s13
                                        ; implicit-def: $vgpr5
                                        ; implicit-def: $vgpr8
	s_and_saveexec_b32 s2, s1
	s_delay_alu instid0(SALU_CYCLE_1)
	s_xor_b32 s1, exec_lo, s2
	s_cbranch_execz .LBB235_248
; %bb.247:
	v_dual_mul_f32 v5, 0.5, v2 :: v_dual_mul_f32 v10, 0.5, v9
	s_delay_alu instid0(VALU_DEP_1) | instskip(NEXT) | instid1(VALU_DEP_2)
	v_cndmask_b32_e64 v8, v2, v5, s12
	v_cndmask_b32_e64 v5, v9, v10, s12
                                        ; implicit-def: $vgpr2
                                        ; implicit-def: $vgpr9
	s_and_not1_saveexec_b32 s1, s1
	s_cbranch_execnz .LBB235_249
	s_branch .LBB235_250
.LBB235_248:
	s_and_not1_saveexec_b32 s1, s1
.LBB235_249:
	v_dual_add_f32 v8, v2, v2 :: v_dual_add_f32 v5, v9, v9
.LBB235_250:
	s_or_b32 exec_lo, exec_lo, s1
                                        ; implicit-def: $vgpr2
.LBB235_251:
	s_and_not1_saveexec_b32 s1, s11
	s_cbranch_execz .LBB235_257
; %bb.252:
	v_cmp_lt_i16_e32 vcc_lo, -1, v2
	v_sub_f32_e32 v2, v5, v5
	s_and_saveexec_b32 s2, vcc_lo
	s_delay_alu instid0(SALU_CYCLE_1)
	s_xor_b32 s2, exec_lo, s2
; %bb.253:
	s_delay_alu instid0(VALU_DEP_1)
	v_bfi_b32 v5, 0x7fffffff, v2, v5
                                        ; implicit-def: $vgpr2
; %bb.254:
	s_and_not1_saveexec_b32 s2, s2
; %bb.255:
	v_and_b32_e32 v2, 0x7fffffff, v2
	s_delay_alu instid0(VALU_DEP_2) | instskip(NEXT) | instid1(VALU_DEP_2)
	v_bfi_b32 v5, 0x7fffffff, v8, v5
	v_mov_b32_e32 v8, v2
; %bb.256:
	s_or_b32 exec_lo, exec_lo, s2
.LBB235_257:
	s_delay_alu instid0(SALU_CYCLE_1)
	s_or_b32 exec_lo, exec_lo, s1
.LBB235_258:
	s_and_not1_saveexec_b32 s1, s9
; %bb.259:
	v_sub_f32_e32 v2, v5, v5
	s_delay_alu instid0(VALU_DEP_1) | instskip(NEXT) | instid1(VALU_DEP_1)
	v_div_scale_f32 v5, vcc_lo, v2, v2, v2
	v_rcp_f32_e32 v9, v5
	s_waitcnt_depctr 0xfff
	v_fma_f32 v10, -v5, v9, 1.0
	s_delay_alu instid0(VALU_DEP_1) | instskip(NEXT) | instid1(VALU_DEP_1)
	v_fmac_f32_e32 v9, v10, v9
	v_mul_f32_e32 v10, v5, v9
	s_delay_alu instid0(VALU_DEP_1) | instskip(NEXT) | instid1(VALU_DEP_1)
	v_fma_f32 v11, -v5, v10, v5
	v_fmac_f32_e32 v10, v11, v9
	s_delay_alu instid0(VALU_DEP_1) | instskip(NEXT) | instid1(VALU_DEP_1)
	v_fma_f32 v5, -v5, v10, v5
	v_div_fmas_f32 v5, v5, v9, v10
	s_delay_alu instid0(VALU_DEP_1)
	v_div_fixup_f32 v5, v5, v2, v2
; %bb.260:
	s_or_b32 exec_lo, exec_lo, s1
.LBB235_261:
	s_delay_alu instid0(SALU_CYCLE_1)
	s_or_b32 exec_lo, exec_lo, s7
.LBB235_262:
	s_delay_alu instid0(SALU_CYCLE_1) | instskip(NEXT) | instid1(VALU_DEP_1)
	s_or_b32 exec_lo, exec_lo, s6
	v_cvt_f16_f32_e32 v2, v5
	v_cvt_f16_f32_e32 v5, v8
	s_delay_alu instid0(VALU_DEP_2) | instskip(NEXT) | instid1(VALU_DEP_2)
	v_lshlrev_b32_e32 v2, 16, v2
	v_and_b32_e32 v5, 0xffff, v5
	s_delay_alu instid0(VALU_DEP_1) | instskip(SKIP_2) | instid1(SALU_CYCLE_1)
	v_or_b32_e32 v5, v2, v5
	s_or_b32 exec_lo, exec_lo, s3
	s_and_saveexec_b32 s1, s0
	s_xor_b32 s0, exec_lo, s1
	s_cbranch_execnz .LBB235_241
.LBB235_263:
	s_or_b32 exec_lo, exec_lo, s0
	s_delay_alu instid0(SALU_CYCLE_1)
	s_mov_b32 s0, exec_lo
	v_cmpx_gt_i32_e64 s10, v0
	s_cbranch_execz .LBB235_242
.LBB235_264:
	v_dual_mov_b32 v2, 0 :: v_dual_add_nc_u32 v1, s8, v0
	v_add_nc_u32_e32 v0, 0x100, v0
	s_delay_alu instid0(VALU_DEP_2) | instskip(NEXT) | instid1(VALU_DEP_1)
	v_lshlrev_b64 v[1:2], 2, v[1:2]
	v_add_co_u32 v1, vcc_lo, s4, v1
	s_delay_alu instid0(VALU_DEP_2) | instskip(SKIP_2) | instid1(SALU_CYCLE_1)
	v_add_co_ci_u32_e32 v2, vcc_lo, s5, v2, vcc_lo
	global_store_b32 v[1:2], v6, off
	s_or_b32 exec_lo, exec_lo, s0
	s_mov_b32 s0, exec_lo
	v_cmpx_gt_i32_e64 s10, v0
	s_cbranch_execnz .LBB235_243
.LBB235_265:
	s_or_b32 exec_lo, exec_lo, s0
	s_delay_alu instid0(SALU_CYCLE_1)
	s_mov_b32 s0, exec_lo
	v_cmpx_gt_i32_e64 s10, v0
	s_cbranch_execz .LBB235_267
.LBB235_266:
	v_dual_mov_b32 v1, 0 :: v_dual_add_nc_u32 v0, s8, v0
	s_delay_alu instid0(VALU_DEP_1) | instskip(NEXT) | instid1(VALU_DEP_1)
	v_lshlrev_b64 v[0:1], 2, v[0:1]
	v_add_co_u32 v0, vcc_lo, s4, v0
	s_delay_alu instid0(VALU_DEP_2)
	v_add_co_ci_u32_e32 v1, vcc_lo, s5, v1, vcc_lo
	global_store_b32 v[0:1], v5, off
.LBB235_267:
	s_nop 0
	s_sendmsg sendmsg(MSG_DEALLOC_VGPRS)
	s_endpgm
	.section	.rodata,"a",@progbits
	.p2align	6, 0x0
	.amdhsa_kernel _ZN2at6native29vectorized_elementwise_kernelILi8EZZZNS0_16sqrt_kernel_cudaERNS_18TensorIteratorBaseEENKUlvE_clEvENKUlvE1_clEvEUlN3c107complexINS6_4HalfEEEE_St5arrayIPcLm2EEEEviT0_T1_
		.amdhsa_group_segment_fixed_size 0
		.amdhsa_private_segment_fixed_size 0
		.amdhsa_kernarg_size 24
		.amdhsa_user_sgpr_count 15
		.amdhsa_user_sgpr_dispatch_ptr 0
		.amdhsa_user_sgpr_queue_ptr 0
		.amdhsa_user_sgpr_kernarg_segment_ptr 1
		.amdhsa_user_sgpr_dispatch_id 0
		.amdhsa_user_sgpr_private_segment_size 0
		.amdhsa_wavefront_size32 1
		.amdhsa_uses_dynamic_stack 0
		.amdhsa_enable_private_segment 0
		.amdhsa_system_sgpr_workgroup_id_x 1
		.amdhsa_system_sgpr_workgroup_id_y 0
		.amdhsa_system_sgpr_workgroup_id_z 0
		.amdhsa_system_sgpr_workgroup_info 0
		.amdhsa_system_vgpr_workitem_id 0
		.amdhsa_next_free_vgpr 17
		.amdhsa_next_free_sgpr 17
		.amdhsa_reserve_vcc 1
		.amdhsa_float_round_mode_32 0
		.amdhsa_float_round_mode_16_64 0
		.amdhsa_float_denorm_mode_32 3
		.amdhsa_float_denorm_mode_16_64 3
		.amdhsa_dx10_clamp 1
		.amdhsa_ieee_mode 1
		.amdhsa_fp16_overflow 0
		.amdhsa_workgroup_processor_mode 1
		.amdhsa_memory_ordered 1
		.amdhsa_forward_progress 0
		.amdhsa_shared_vgpr_count 0
		.amdhsa_exception_fp_ieee_invalid_op 0
		.amdhsa_exception_fp_denorm_src 0
		.amdhsa_exception_fp_ieee_div_zero 0
		.amdhsa_exception_fp_ieee_overflow 0
		.amdhsa_exception_fp_ieee_underflow 0
		.amdhsa_exception_fp_ieee_inexact 0
		.amdhsa_exception_int_div_zero 0
	.end_amdhsa_kernel
	.section	.text._ZN2at6native29vectorized_elementwise_kernelILi8EZZZNS0_16sqrt_kernel_cudaERNS_18TensorIteratorBaseEENKUlvE_clEvENKUlvE1_clEvEUlN3c107complexINS6_4HalfEEEE_St5arrayIPcLm2EEEEviT0_T1_,"axG",@progbits,_ZN2at6native29vectorized_elementwise_kernelILi8EZZZNS0_16sqrt_kernel_cudaERNS_18TensorIteratorBaseEENKUlvE_clEvENKUlvE1_clEvEUlN3c107complexINS6_4HalfEEEE_St5arrayIPcLm2EEEEviT0_T1_,comdat
.Lfunc_end235:
	.size	_ZN2at6native29vectorized_elementwise_kernelILi8EZZZNS0_16sqrt_kernel_cudaERNS_18TensorIteratorBaseEENKUlvE_clEvENKUlvE1_clEvEUlN3c107complexINS6_4HalfEEEE_St5arrayIPcLm2EEEEviT0_T1_, .Lfunc_end235-_ZN2at6native29vectorized_elementwise_kernelILi8EZZZNS0_16sqrt_kernel_cudaERNS_18TensorIteratorBaseEENKUlvE_clEvENKUlvE1_clEvEUlN3c107complexINS6_4HalfEEEE_St5arrayIPcLm2EEEEviT0_T1_
                                        ; -- End function
	.section	.AMDGPU.csdata,"",@progbits
; Kernel info:
; codeLenInByte = 10832
; NumSgprs: 19
; NumVgprs: 17
; ScratchSize: 0
; MemoryBound: 0
; FloatMode: 240
; IeeeMode: 1
; LDSByteSize: 0 bytes/workgroup (compile time only)
; SGPRBlocks: 2
; VGPRBlocks: 2
; NumSGPRsForWavesPerEU: 19
; NumVGPRsForWavesPerEU: 17
; Occupancy: 16
; WaveLimiterHint : 0
; COMPUTE_PGM_RSRC2:SCRATCH_EN: 0
; COMPUTE_PGM_RSRC2:USER_SGPR: 15
; COMPUTE_PGM_RSRC2:TRAP_HANDLER: 0
; COMPUTE_PGM_RSRC2:TGID_X_EN: 1
; COMPUTE_PGM_RSRC2:TGID_Y_EN: 0
; COMPUTE_PGM_RSRC2:TGID_Z_EN: 0
; COMPUTE_PGM_RSRC2:TIDIG_COMP_CNT: 0
	.section	.text._ZN2at6native29vectorized_elementwise_kernelILi4EZZZNS0_16sqrt_kernel_cudaERNS_18TensorIteratorBaseEENKUlvE_clEvENKUlvE1_clEvEUlN3c107complexINS6_4HalfEEEE_St5arrayIPcLm2EEEEviT0_T1_,"axG",@progbits,_ZN2at6native29vectorized_elementwise_kernelILi4EZZZNS0_16sqrt_kernel_cudaERNS_18TensorIteratorBaseEENKUlvE_clEvENKUlvE1_clEvEUlN3c107complexINS6_4HalfEEEE_St5arrayIPcLm2EEEEviT0_T1_,comdat
	.globl	_ZN2at6native29vectorized_elementwise_kernelILi4EZZZNS0_16sqrt_kernel_cudaERNS_18TensorIteratorBaseEENKUlvE_clEvENKUlvE1_clEvEUlN3c107complexINS6_4HalfEEEE_St5arrayIPcLm2EEEEviT0_T1_ ; -- Begin function _ZN2at6native29vectorized_elementwise_kernelILi4EZZZNS0_16sqrt_kernel_cudaERNS_18TensorIteratorBaseEENKUlvE_clEvENKUlvE1_clEvEUlN3c107complexINS6_4HalfEEEE_St5arrayIPcLm2EEEEviT0_T1_
	.p2align	8
	.type	_ZN2at6native29vectorized_elementwise_kernelILi4EZZZNS0_16sqrt_kernel_cudaERNS_18TensorIteratorBaseEENKUlvE_clEvENKUlvE1_clEvEUlN3c107complexINS6_4HalfEEEE_St5arrayIPcLm2EEEEviT0_T1_,@function
_ZN2at6native29vectorized_elementwise_kernelILi4EZZZNS0_16sqrt_kernel_cudaERNS_18TensorIteratorBaseEENKUlvE_clEvENKUlvE1_clEvEUlN3c107complexINS6_4HalfEEEE_St5arrayIPcLm2EEEEviT0_T1_: ; @_ZN2at6native29vectorized_elementwise_kernelILi4EZZZNS0_16sqrt_kernel_cudaERNS_18TensorIteratorBaseEENKUlvE_clEvENKUlvE1_clEvEUlN3c107complexINS6_4HalfEEEE_St5arrayIPcLm2EEEEviT0_T1_
; %bb.0:
	s_clause 0x1
	s_load_b32 s2, s[0:1], 0x0
	s_load_b128 s[4:7], s[0:1], 0x8
	s_lshl_b32 s8, s15, 10
	s_mov_b32 s0, -1
	s_waitcnt lgkmcnt(0)
	s_sub_i32 s10, s2, s8
	s_delay_alu instid0(SALU_CYCLE_1)
	s_cmpk_gt_i32 s10, 0x3ff
	s_cbranch_scc0 .LBB236_122
; %bb.1:
	s_ashr_i32 s9, s8, 31
	v_dual_mov_b32 v8, 0 :: v_dual_lshlrev_b32 v5, 4, v0
	s_lshl_b64 s[2:3], s[8:9], 2
	v_mov_b32_e32 v7, 0
	s_add_u32 s0, s6, s2
	s_addc_u32 s1, s7, s3
	global_load_b128 v[1:4], v5, s[0:1]
	s_waitcnt vmcnt(0)
	v_lshrrev_b32_e32 v6, 16, v1
	v_cmp_neq_f16_e32 vcc_lo, 0, v1
	s_delay_alu instid0(VALU_DEP_2) | instskip(SKIP_1) | instid1(VALU_DEP_2)
	v_cmp_neq_f16_e64 s0, 0, v6
	v_cvt_f32_f16_e32 v6, v6
	s_or_b32 s0, vcc_lo, s0
	s_delay_alu instid0(SALU_CYCLE_1)
	s_and_saveexec_b32 s9, s0
	s_cbranch_execz .LBB236_31
; %bb.2:
	v_mov_b32_e32 v8, 0x7f800000
	s_mov_b32 s11, exec_lo
	v_cmpx_neq_f32_e64 0x7f800000, |v6|
	s_cbranch_execz .LBB236_30
; %bb.3:
	v_cvt_f32_f16_e32 v8, v1
	s_mov_b32 s0, exec_lo
	v_cmpx_o_f16_e32 v1, v1
	s_xor_b32 s12, exec_lo, s0
	s_cbranch_execz .LBB236_27
; %bb.4:
	s_mov_b32 s1, exec_lo
	v_cmpx_neq_f32_e64 0x7f800000, |v8|
	s_xor_b32 s13, exec_lo, s1
	s_cbranch_execz .LBB236_20
; %bb.5:
	v_max_f32_e64 v9, |v6|, |v6|
	v_max_f32_e64 v10, |v8|, |v8|
                                        ; implicit-def: $sgpr14
	s_delay_alu instid0(VALU_DEP_1) | instskip(NEXT) | instid1(VALU_DEP_1)
	v_max_f32_e32 v9, v10, v9
	v_cmp_nle_f32_e64 s0, 0x7ed413cb, v9
	s_delay_alu instid0(VALU_DEP_1) | instskip(NEXT) | instid1(SALU_CYCLE_1)
	s_and_saveexec_b32 s1, s0
	s_xor_b32 s1, exec_lo, s1
	s_cbranch_execz .LBB236_9
; %bb.6:
	v_cmp_ge_f32_e64 s14, 0x1000000, |v8|
	v_cmp_ge_f32_e64 s15, 0x1000000, |v6|
	s_delay_alu instid0(VALU_DEP_1)
	s_and_b32 s16, s14, s15
	s_mov_b32 s14, 0
	s_and_saveexec_b32 s15, s16
; %bb.7:
	v_mul_f32_e32 v6, 4.0, v6
	v_mul_f32_e32 v8, 4.0, v8
	s_mov_b32 s14, exec_lo
; %bb.8:
	s_or_b32 exec_lo, exec_lo, s15
	s_delay_alu instid0(SALU_CYCLE_1)
	s_and_b32 s14, s14, exec_lo
.LBB236_9:
	s_and_not1_saveexec_b32 s1, s1
; %bb.10:
	v_mul_f32_e32 v8, 0x3e800000, v8
	v_mul_f32_e32 v6, 0x3e800000, v6
	s_and_not1_b32 s14, s14, exec_lo
; %bb.11:
	s_or_b32 exec_lo, exec_lo, s1
	s_delay_alu instid0(VALU_DEP_1) | instskip(SKIP_1) | instid1(VALU_DEP_1)
	v_max_f32_e64 v9, |v6|, |v6|
	v_max_f32_e64 v10, |v8|, |v8|
	v_max_f32_e32 v11, v10, v9
	s_delay_alu instid0(VALU_DEP_1) | instskip(NEXT) | instid1(VALU_DEP_1)
	v_cvt_f64_f32_e32 v[9:10], v11
	v_frexp_exp_i32_f64_e32 v9, v[9:10]
	s_delay_alu instid0(VALU_DEP_1) | instskip(NEXT) | instid1(VALU_DEP_1)
	v_sub_nc_u32_e32 v10, 0, v9
	v_ldexp_f32 v12, |v6|, v10
	v_ldexp_f32 v10, |v8|, v10
	s_delay_alu instid0(VALU_DEP_2) | instskip(SKIP_1) | instid1(VALU_DEP_2)
	v_mul_f32_e32 v12, v12, v12
	v_cmp_neq_f32_e64 s1, 0x7f800000, v11
	v_fmac_f32_e32 v12, v10, v10
	s_delay_alu instid0(VALU_DEP_1) | instskip(SKIP_2) | instid1(VALU_DEP_1)
	v_sqrt_f32_e32 v10, v12
	s_waitcnt_depctr 0xfff
	v_ldexp_f32 v9, v10, v9
                                        ; implicit-def: $vgpr10
	v_cndmask_b32_e64 v11, 0x7f800000, v9, s1
                                        ; implicit-def: $vgpr9
	s_mov_b32 s1, exec_lo
	v_cmpx_le_f32_e32 0, v8
	s_xor_b32 s15, exec_lo, s1
	s_cbranch_execz .LBB236_13
; %bb.12:
	v_add_f32_e32 v8, v8, v11
	s_delay_alu instid0(VALU_DEP_1) | instskip(NEXT) | instid1(VALU_DEP_1)
	v_mul_f32_e32 v8, 0.5, v8
	v_mul_f32_e32 v9, 0x4f800000, v8
	v_cmp_gt_f32_e32 vcc_lo, 0xf800000, v8
	s_delay_alu instid0(VALU_DEP_2) | instskip(NEXT) | instid1(VALU_DEP_1)
	v_cndmask_b32_e32 v8, v8, v9, vcc_lo
	v_sqrt_f32_e32 v9, v8
	s_waitcnt_depctr 0xfff
	v_add_nc_u32_e32 v10, -1, v9
	v_add_nc_u32_e32 v11, 1, v9
	s_delay_alu instid0(VALU_DEP_2) | instskip(NEXT) | instid1(VALU_DEP_2)
	v_fma_f32 v12, -v10, v9, v8
	v_fma_f32 v13, -v11, v9, v8
	s_delay_alu instid0(VALU_DEP_2) | instskip(NEXT) | instid1(VALU_DEP_1)
	v_cmp_ge_f32_e64 s1, 0, v12
	v_cndmask_b32_e64 v9, v9, v10, s1
	s_delay_alu instid0(VALU_DEP_3) | instskip(NEXT) | instid1(VALU_DEP_1)
	v_cmp_lt_f32_e64 s1, 0, v13
	v_cndmask_b32_e64 v9, v9, v11, s1
	s_delay_alu instid0(VALU_DEP_1) | instskip(NEXT) | instid1(VALU_DEP_1)
	v_mul_f32_e32 v10, 0x37800000, v9
	v_cndmask_b32_e32 v9, v9, v10, vcc_lo
	v_cmp_class_f32_e64 vcc_lo, v8, 0x260
	s_delay_alu instid0(VALU_DEP_2) | instskip(NEXT) | instid1(VALU_DEP_1)
	v_cndmask_b32_e32 v9, v9, v8, vcc_lo
	v_add_f32_e32 v8, v9, v9
	s_delay_alu instid0(VALU_DEP_1) | instskip(NEXT) | instid1(VALU_DEP_1)
	v_div_scale_f32 v10, null, v8, v8, v6
	v_rcp_f32_e32 v11, v10
	s_waitcnt_depctr 0xfff
	v_fma_f32 v12, -v10, v11, 1.0
	s_delay_alu instid0(VALU_DEP_1) | instskip(SKIP_1) | instid1(VALU_DEP_1)
	v_fmac_f32_e32 v11, v12, v11
	v_div_scale_f32 v12, vcc_lo, v6, v8, v6
	v_mul_f32_e32 v13, v12, v11
	s_delay_alu instid0(VALU_DEP_1) | instskip(NEXT) | instid1(VALU_DEP_1)
	v_fma_f32 v14, -v10, v13, v12
	v_fmac_f32_e32 v13, v14, v11
	s_delay_alu instid0(VALU_DEP_1) | instskip(NEXT) | instid1(VALU_DEP_1)
	v_fma_f32 v10, -v10, v13, v12
	v_div_fmas_f32 v10, v10, v11, v13
                                        ; implicit-def: $vgpr11
	s_delay_alu instid0(VALU_DEP_1)
	v_div_fixup_f32 v10, v10, v8, v6
                                        ; implicit-def: $vgpr8
                                        ; implicit-def: $vgpr6
	s_and_not1_saveexec_b32 s15, s15
	s_cbranch_execz .LBB236_15
	s_branch .LBB236_14
.LBB236_13:
	s_and_not1_saveexec_b32 s15, s15
	s_cbranch_execz .LBB236_15
.LBB236_14:
	v_sub_f32_e32 v8, v11, v8
	s_delay_alu instid0(VALU_DEP_1) | instskip(NEXT) | instid1(VALU_DEP_1)
	v_mul_f32_e32 v8, 0.5, v8
	v_mul_f32_e32 v9, 0x4f800000, v8
	v_cmp_gt_f32_e32 vcc_lo, 0xf800000, v8
	s_delay_alu instid0(VALU_DEP_2) | instskip(NEXT) | instid1(VALU_DEP_1)
	v_cndmask_b32_e32 v8, v8, v9, vcc_lo
	v_sqrt_f32_e32 v9, v8
	s_waitcnt_depctr 0xfff
	v_add_nc_u32_e32 v10, -1, v9
	v_add_nc_u32_e32 v11, 1, v9
	s_delay_alu instid0(VALU_DEP_2) | instskip(NEXT) | instid1(VALU_DEP_2)
	v_fma_f32 v12, -v10, v9, v8
	v_fma_f32 v13, -v11, v9, v8
	s_delay_alu instid0(VALU_DEP_2) | instskip(NEXT) | instid1(VALU_DEP_1)
	v_cmp_ge_f32_e64 s1, 0, v12
	v_cndmask_b32_e64 v9, v9, v10, s1
	s_delay_alu instid0(VALU_DEP_3) | instskip(NEXT) | instid1(VALU_DEP_1)
	v_cmp_lt_f32_e64 s1, 0, v13
	v_cndmask_b32_e64 v9, v9, v11, s1
	s_delay_alu instid0(VALU_DEP_1) | instskip(NEXT) | instid1(VALU_DEP_1)
	v_mul_f32_e32 v10, 0x37800000, v9
	v_cndmask_b32_e32 v9, v9, v10, vcc_lo
	v_cmp_class_f32_e64 vcc_lo, v8, 0x260
	s_delay_alu instid0(VALU_DEP_2) | instskip(NEXT) | instid1(VALU_DEP_1)
	v_dual_cndmask_b32 v8, v9, v8 :: v_dual_and_b32 v9, 0x7fffffff, v6
	v_add_f32_e32 v10, v8, v8
	s_delay_alu instid0(VALU_DEP_1) | instskip(SKIP_1) | instid1(VALU_DEP_2)
	v_div_scale_f32 v11, null, v10, v10, v9
	v_div_scale_f32 v9, vcc_lo, v9, v10, v9
	v_rcp_f32_e32 v12, v11
	s_waitcnt_depctr 0xfff
	v_fma_f32 v13, -v11, v12, 1.0
	s_delay_alu instid0(VALU_DEP_1) | instskip(NEXT) | instid1(VALU_DEP_1)
	v_fmac_f32_e32 v12, v13, v12
	v_mul_f32_e32 v13, v9, v12
	s_delay_alu instid0(VALU_DEP_1) | instskip(NEXT) | instid1(VALU_DEP_1)
	v_fma_f32 v14, -v11, v13, v9
	v_fmac_f32_e32 v13, v14, v12
	s_delay_alu instid0(VALU_DEP_1) | instskip(NEXT) | instid1(VALU_DEP_1)
	v_fma_f32 v9, -v11, v13, v9
	v_div_fmas_f32 v9, v9, v12, v13
	s_delay_alu instid0(VALU_DEP_1)
	v_div_fixup_f32 v9, v9, v10, |v6|
	v_bfi_b32 v10, 0x7fffffff, v8, v6
.LBB236_15:
	s_or_b32 exec_lo, exec_lo, s15
                                        ; implicit-def: $vgpr6
                                        ; implicit-def: $vgpr8
	s_and_saveexec_b32 s1, s0
	s_delay_alu instid0(SALU_CYCLE_1)
	s_xor_b32 s0, exec_lo, s1
	s_cbranch_execz .LBB236_17
; %bb.16:
	v_dual_mul_f32 v6, 0.5, v9 :: v_dual_mul_f32 v11, 0.5, v10
	s_delay_alu instid0(VALU_DEP_1) | instskip(NEXT) | instid1(VALU_DEP_2)
	v_cndmask_b32_e64 v8, v9, v6, s14
	v_cndmask_b32_e64 v6, v10, v11, s14
                                        ; implicit-def: $vgpr9
                                        ; implicit-def: $vgpr10
	s_and_not1_saveexec_b32 s0, s0
	s_cbranch_execnz .LBB236_18
	s_branch .LBB236_19
.LBB236_17:
	s_and_not1_saveexec_b32 s0, s0
.LBB236_18:
	v_add_f32_e32 v8, v9, v9
	v_add_f32_e32 v6, v10, v10
.LBB236_19:
	s_or_b32 exec_lo, exec_lo, s0
.LBB236_20:
	s_and_not1_saveexec_b32 s0, s13
	s_cbranch_execz .LBB236_26
; %bb.21:
	v_cmp_lt_i16_e32 vcc_lo, -1, v1
	v_sub_f32_e32 v1, v6, v6
	s_and_saveexec_b32 s1, vcc_lo
	s_delay_alu instid0(SALU_CYCLE_1)
	s_xor_b32 s1, exec_lo, s1
; %bb.22:
	s_delay_alu instid0(VALU_DEP_1)
	v_bfi_b32 v6, 0x7fffffff, v1, v6
                                        ; implicit-def: $vgpr1
; %bb.23:
	s_and_not1_saveexec_b32 s1, s1
; %bb.24:
	v_and_b32_e32 v1, 0x7fffffff, v1
	s_delay_alu instid0(VALU_DEP_2) | instskip(NEXT) | instid1(VALU_DEP_2)
	v_bfi_b32 v6, 0x7fffffff, v8, v6
	v_mov_b32_e32 v8, v1
; %bb.25:
	s_or_b32 exec_lo, exec_lo, s1
.LBB236_26:
	s_delay_alu instid0(SALU_CYCLE_1)
	s_or_b32 exec_lo, exec_lo, s0
.LBB236_27:
	s_and_not1_saveexec_b32 s0, s12
; %bb.28:
	v_sub_f32_e32 v1, v6, v6
	s_delay_alu instid0(VALU_DEP_1) | instskip(NEXT) | instid1(VALU_DEP_1)
	v_div_scale_f32 v6, vcc_lo, v1, v1, v1
	v_rcp_f32_e32 v9, v6
	s_waitcnt_depctr 0xfff
	v_fma_f32 v10, -v6, v9, 1.0
	s_delay_alu instid0(VALU_DEP_1) | instskip(NEXT) | instid1(VALU_DEP_1)
	v_fmac_f32_e32 v9, v10, v9
	v_mul_f32_e32 v10, v6, v9
	s_delay_alu instid0(VALU_DEP_1) | instskip(NEXT) | instid1(VALU_DEP_1)
	v_fma_f32 v11, -v6, v10, v6
	v_fmac_f32_e32 v10, v11, v9
	s_delay_alu instid0(VALU_DEP_1) | instskip(NEXT) | instid1(VALU_DEP_1)
	v_fma_f32 v6, -v6, v10, v6
	v_div_fmas_f32 v6, v6, v9, v10
	s_delay_alu instid0(VALU_DEP_1)
	v_div_fixup_f32 v6, v6, v1, v1
; %bb.29:
	s_or_b32 exec_lo, exec_lo, s0
.LBB236_30:
	s_delay_alu instid0(SALU_CYCLE_1)
	s_or_b32 exec_lo, exec_lo, s11
.LBB236_31:
	s_delay_alu instid0(SALU_CYCLE_1) | instskip(SKIP_2) | instid1(VALU_DEP_2)
	s_or_b32 exec_lo, exec_lo, s9
	v_lshrrev_b32_e32 v1, 16, v2
	v_cmp_neq_f16_e32 vcc_lo, 0, v2
	v_cmp_neq_f16_e64 s0, 0, v1
	v_cvt_f32_f16_e32 v9, v1
	s_delay_alu instid0(VALU_DEP_2) | instskip(NEXT) | instid1(SALU_CYCLE_1)
	s_or_b32 s0, vcc_lo, s0
	s_and_saveexec_b32 s9, s0
	s_cbranch_execz .LBB236_61
; %bb.32:
	v_mov_b32_e32 v7, 0x7f800000
	s_mov_b32 s11, exec_lo
	v_cmpx_neq_f32_e64 0x7f800000, |v9|
	s_cbranch_execz .LBB236_60
; %bb.33:
	v_cvt_f32_f16_e32 v7, v2
	s_mov_b32 s0, exec_lo
	v_cmpx_o_f16_e32 v2, v2
	s_xor_b32 s12, exec_lo, s0
	s_cbranch_execz .LBB236_57
; %bb.34:
	s_mov_b32 s1, exec_lo
	v_cmpx_neq_f32_e64 0x7f800000, |v7|
	s_xor_b32 s13, exec_lo, s1
	s_cbranch_execz .LBB236_50
; %bb.35:
	v_max_f32_e64 v1, |v9|, |v9|
	v_max_f32_e64 v10, |v7|, |v7|
                                        ; implicit-def: $sgpr14
	s_delay_alu instid0(VALU_DEP_1) | instskip(NEXT) | instid1(VALU_DEP_1)
	v_max_f32_e32 v1, v10, v1
	v_cmp_nle_f32_e64 s0, 0x7ed413cb, v1
	s_delay_alu instid0(VALU_DEP_1) | instskip(NEXT) | instid1(SALU_CYCLE_1)
	s_and_saveexec_b32 s1, s0
	s_xor_b32 s1, exec_lo, s1
	s_cbranch_execz .LBB236_39
; %bb.36:
	v_cmp_ge_f32_e64 s14, 0x1000000, |v7|
	v_cmp_ge_f32_e64 s15, 0x1000000, |v9|
	s_delay_alu instid0(VALU_DEP_1)
	s_and_b32 s16, s14, s15
	s_mov_b32 s14, 0
	s_and_saveexec_b32 s15, s16
; %bb.37:
	v_mul_f32_e32 v9, 4.0, v9
	v_mul_f32_e32 v7, 4.0, v7
	s_mov_b32 s14, exec_lo
; %bb.38:
	s_or_b32 exec_lo, exec_lo, s15
	s_delay_alu instid0(SALU_CYCLE_1)
	s_and_b32 s14, s14, exec_lo
.LBB236_39:
	s_and_not1_saveexec_b32 s1, s1
; %bb.40:
	v_mul_f32_e32 v7, 0x3e800000, v7
	v_mul_f32_e32 v9, 0x3e800000, v9
	s_and_not1_b32 s14, s14, exec_lo
; %bb.41:
	s_or_b32 exec_lo, exec_lo, s1
	s_delay_alu instid0(VALU_DEP_1) | instskip(SKIP_1) | instid1(VALU_DEP_1)
	v_max_f32_e64 v1, |v9|, |v9|
	v_max_f32_e64 v10, |v7|, |v7|
	v_max_f32_e32 v1, v10, v1
	s_delay_alu instid0(VALU_DEP_1) | instskip(NEXT) | instid1(VALU_DEP_1)
	v_cvt_f64_f32_e32 v[10:11], v1
	v_frexp_exp_i32_f64_e32 v10, v[10:11]
	s_delay_alu instid0(VALU_DEP_1) | instskip(NEXT) | instid1(VALU_DEP_1)
	v_sub_nc_u32_e32 v11, 0, v10
	v_ldexp_f32 v12, |v9|, v11
	v_ldexp_f32 v11, |v7|, v11
	s_delay_alu instid0(VALU_DEP_2) | instskip(SKIP_1) | instid1(VALU_DEP_2)
	v_mul_f32_e32 v12, v12, v12
	v_cmp_neq_f32_e64 s1, 0x7f800000, v1
                                        ; implicit-def: $vgpr1
	v_fmac_f32_e32 v12, v11, v11
	s_delay_alu instid0(VALU_DEP_1) | instskip(SKIP_2) | instid1(VALU_DEP_1)
	v_sqrt_f32_e32 v11, v12
	s_waitcnt_depctr 0xfff
	v_ldexp_f32 v10, v11, v10
	v_cndmask_b32_e64 v11, 0x7f800000, v10, s1
                                        ; implicit-def: $vgpr10
	s_mov_b32 s1, exec_lo
	v_cmpx_le_f32_e32 0, v7
	s_xor_b32 s15, exec_lo, s1
	s_cbranch_execz .LBB236_43
; %bb.42:
	v_add_f32_e32 v1, v7, v11
	s_delay_alu instid0(VALU_DEP_1) | instskip(NEXT) | instid1(VALU_DEP_1)
	v_mul_f32_e32 v1, 0.5, v1
	v_mul_f32_e32 v7, 0x4f800000, v1
	v_cmp_gt_f32_e32 vcc_lo, 0xf800000, v1
	s_delay_alu instid0(VALU_DEP_2) | instskip(NEXT) | instid1(VALU_DEP_1)
	v_cndmask_b32_e32 v1, v1, v7, vcc_lo
	v_sqrt_f32_e32 v7, v1
	s_waitcnt_depctr 0xfff
	v_add_nc_u32_e32 v10, -1, v7
	v_add_nc_u32_e32 v11, 1, v7
	s_delay_alu instid0(VALU_DEP_2) | instskip(NEXT) | instid1(VALU_DEP_2)
	v_fma_f32 v12, -v10, v7, v1
	v_fma_f32 v13, -v11, v7, v1
	s_delay_alu instid0(VALU_DEP_2) | instskip(NEXT) | instid1(VALU_DEP_1)
	v_cmp_ge_f32_e64 s1, 0, v12
	v_cndmask_b32_e64 v7, v7, v10, s1
	s_delay_alu instid0(VALU_DEP_3) | instskip(NEXT) | instid1(VALU_DEP_1)
	v_cmp_lt_f32_e64 s1, 0, v13
	v_cndmask_b32_e64 v7, v7, v11, s1
	s_delay_alu instid0(VALU_DEP_1) | instskip(NEXT) | instid1(VALU_DEP_1)
	v_mul_f32_e32 v10, 0x37800000, v7
	v_cndmask_b32_e32 v7, v7, v10, vcc_lo
	v_cmp_class_f32_e64 vcc_lo, v1, 0x260
	s_delay_alu instid0(VALU_DEP_2) | instskip(NEXT) | instid1(VALU_DEP_1)
	v_cndmask_b32_e32 v1, v7, v1, vcc_lo
	v_add_f32_e32 v7, v1, v1
	s_delay_alu instid0(VALU_DEP_1) | instskip(NEXT) | instid1(VALU_DEP_1)
	v_div_scale_f32 v10, null, v7, v7, v9
	v_rcp_f32_e32 v11, v10
	s_waitcnt_depctr 0xfff
	v_fma_f32 v12, -v10, v11, 1.0
	s_delay_alu instid0(VALU_DEP_1) | instskip(SKIP_1) | instid1(VALU_DEP_1)
	v_fmac_f32_e32 v11, v12, v11
	v_div_scale_f32 v12, vcc_lo, v9, v7, v9
	v_mul_f32_e32 v13, v12, v11
	s_delay_alu instid0(VALU_DEP_1) | instskip(NEXT) | instid1(VALU_DEP_1)
	v_fma_f32 v14, -v10, v13, v12
	v_fmac_f32_e32 v13, v14, v11
	s_delay_alu instid0(VALU_DEP_1) | instskip(NEXT) | instid1(VALU_DEP_1)
	v_fma_f32 v10, -v10, v13, v12
	v_div_fmas_f32 v10, v10, v11, v13
                                        ; implicit-def: $vgpr11
	s_delay_alu instid0(VALU_DEP_1)
	v_div_fixup_f32 v10, v10, v7, v9
                                        ; implicit-def: $vgpr7
                                        ; implicit-def: $vgpr9
	s_and_not1_saveexec_b32 s15, s15
	s_cbranch_execz .LBB236_45
	s_branch .LBB236_44
.LBB236_43:
	s_and_not1_saveexec_b32 s15, s15
	s_cbranch_execz .LBB236_45
.LBB236_44:
	v_sub_f32_e32 v1, v11, v7
	s_delay_alu instid0(VALU_DEP_1) | instskip(NEXT) | instid1(VALU_DEP_1)
	v_mul_f32_e32 v1, 0.5, v1
	v_mul_f32_e32 v7, 0x4f800000, v1
	v_cmp_gt_f32_e32 vcc_lo, 0xf800000, v1
	s_delay_alu instid0(VALU_DEP_2) | instskip(NEXT) | instid1(VALU_DEP_1)
	v_cndmask_b32_e32 v1, v1, v7, vcc_lo
	v_sqrt_f32_e32 v7, v1
	s_waitcnt_depctr 0xfff
	v_add_nc_u32_e32 v10, -1, v7
	v_add_nc_u32_e32 v11, 1, v7
	s_delay_alu instid0(VALU_DEP_2) | instskip(NEXT) | instid1(VALU_DEP_2)
	v_fma_f32 v12, -v10, v7, v1
	v_fma_f32 v13, -v11, v7, v1
	s_delay_alu instid0(VALU_DEP_2) | instskip(NEXT) | instid1(VALU_DEP_1)
	v_cmp_ge_f32_e64 s1, 0, v12
	v_cndmask_b32_e64 v7, v7, v10, s1
	s_delay_alu instid0(VALU_DEP_3) | instskip(NEXT) | instid1(VALU_DEP_1)
	v_cmp_lt_f32_e64 s1, 0, v13
	v_cndmask_b32_e64 v7, v7, v11, s1
	s_delay_alu instid0(VALU_DEP_1) | instskip(NEXT) | instid1(VALU_DEP_1)
	v_mul_f32_e32 v10, 0x37800000, v7
	v_cndmask_b32_e32 v7, v7, v10, vcc_lo
	v_cmp_class_f32_e64 vcc_lo, v1, 0x260
	s_delay_alu instid0(VALU_DEP_2) | instskip(NEXT) | instid1(VALU_DEP_1)
	v_cndmask_b32_e32 v7, v7, v1, vcc_lo
	v_dual_add_f32 v10, v7, v7 :: v_dual_and_b32 v1, 0x7fffffff, v9
	s_delay_alu instid0(VALU_DEP_1) | instskip(SKIP_1) | instid1(VALU_DEP_2)
	v_div_scale_f32 v11, null, v10, v10, v1
	v_div_scale_f32 v1, vcc_lo, v1, v10, v1
	v_rcp_f32_e32 v12, v11
	s_waitcnt_depctr 0xfff
	v_fma_f32 v13, -v11, v12, 1.0
	s_delay_alu instid0(VALU_DEP_1) | instskip(NEXT) | instid1(VALU_DEP_1)
	v_fmac_f32_e32 v12, v13, v12
	v_mul_f32_e32 v13, v1, v12
	s_delay_alu instid0(VALU_DEP_1) | instskip(NEXT) | instid1(VALU_DEP_1)
	v_fma_f32 v14, -v11, v13, v1
	v_fmac_f32_e32 v13, v14, v12
	s_delay_alu instid0(VALU_DEP_1) | instskip(NEXT) | instid1(VALU_DEP_1)
	v_fma_f32 v1, -v11, v13, v1
	v_div_fmas_f32 v1, v1, v12, v13
	s_delay_alu instid0(VALU_DEP_1)
	v_div_fixup_f32 v1, v1, v10, |v9|
	v_bfi_b32 v10, 0x7fffffff, v7, v9
.LBB236_45:
	s_or_b32 exec_lo, exec_lo, s15
                                        ; implicit-def: $vgpr9
                                        ; implicit-def: $vgpr7
	s_and_saveexec_b32 s1, s0
	s_delay_alu instid0(SALU_CYCLE_1)
	s_xor_b32 s0, exec_lo, s1
	s_cbranch_execz .LBB236_47
; %bb.46:
	v_mul_f32_e32 v7, 0.5, v1
	v_mul_f32_e32 v9, 0.5, v10
	s_delay_alu instid0(VALU_DEP_2) | instskip(NEXT) | instid1(VALU_DEP_2)
	v_cndmask_b32_e64 v7, v1, v7, s14
	v_cndmask_b32_e64 v9, v10, v9, s14
                                        ; implicit-def: $vgpr1
                                        ; implicit-def: $vgpr10
	s_and_not1_saveexec_b32 s0, s0
	s_cbranch_execnz .LBB236_48
	s_branch .LBB236_49
.LBB236_47:
	s_and_not1_saveexec_b32 s0, s0
.LBB236_48:
	v_add_f32_e32 v7, v1, v1
	v_add_f32_e32 v9, v10, v10
.LBB236_49:
	s_or_b32 exec_lo, exec_lo, s0
.LBB236_50:
	s_and_not1_saveexec_b32 s0, s13
	s_cbranch_execz .LBB236_56
; %bb.51:
	s_delay_alu instid0(VALU_DEP_1)
	v_sub_f32_e32 v1, v9, v9
	s_mov_b32 s1, exec_lo
	v_cmpx_lt_i16_e32 -1, v2
	s_xor_b32 s1, exec_lo, s1
; %bb.52:
	s_delay_alu instid0(VALU_DEP_2)
	v_bfi_b32 v9, 0x7fffffff, v1, v9
                                        ; implicit-def: $vgpr1
; %bb.53:
	s_and_not1_saveexec_b32 s1, s1
; %bb.54:
	v_and_b32_e32 v1, 0x7fffffff, v1
	s_delay_alu instid0(VALU_DEP_2) | instskip(NEXT) | instid1(VALU_DEP_2)
	v_bfi_b32 v9, 0x7fffffff, v7, v9
	v_mov_b32_e32 v7, v1
; %bb.55:
	s_or_b32 exec_lo, exec_lo, s1
.LBB236_56:
	s_delay_alu instid0(SALU_CYCLE_1)
	s_or_b32 exec_lo, exec_lo, s0
.LBB236_57:
	s_and_not1_saveexec_b32 s0, s12
; %bb.58:
	v_sub_f32_e32 v1, v9, v9
	s_delay_alu instid0(VALU_DEP_1) | instskip(NEXT) | instid1(VALU_DEP_1)
	v_div_scale_f32 v2, vcc_lo, v1, v1, v1
	v_rcp_f32_e32 v9, v2
	s_waitcnt_depctr 0xfff
	v_fma_f32 v10, -v2, v9, 1.0
	s_delay_alu instid0(VALU_DEP_1) | instskip(NEXT) | instid1(VALU_DEP_1)
	v_fmac_f32_e32 v9, v10, v9
	v_mul_f32_e32 v10, v2, v9
	s_delay_alu instid0(VALU_DEP_1) | instskip(NEXT) | instid1(VALU_DEP_1)
	v_fma_f32 v11, -v2, v10, v2
	v_fmac_f32_e32 v10, v11, v9
	s_delay_alu instid0(VALU_DEP_1) | instskip(NEXT) | instid1(VALU_DEP_1)
	v_fma_f32 v2, -v2, v10, v2
	v_div_fmas_f32 v2, v2, v9, v10
	s_delay_alu instid0(VALU_DEP_1)
	v_div_fixup_f32 v9, v2, v1, v1
; %bb.59:
	s_or_b32 exec_lo, exec_lo, s0
.LBB236_60:
	s_delay_alu instid0(SALU_CYCLE_1)
	s_or_b32 exec_lo, exec_lo, s11
.LBB236_61:
	s_delay_alu instid0(SALU_CYCLE_1) | instskip(SKIP_3) | instid1(VALU_DEP_3)
	s_or_b32 exec_lo, exec_lo, s9
	v_lshrrev_b32_e32 v1, 16, v3
	v_cmp_neq_f16_e32 vcc_lo, 0, v3
	v_dual_mov_b32 v11, 0 :: v_dual_mov_b32 v12, 0
	v_cmp_neq_f16_e64 s0, 0, v1
	v_cvt_f32_f16_e32 v10, v1
	s_delay_alu instid0(VALU_DEP_2) | instskip(NEXT) | instid1(SALU_CYCLE_1)
	s_or_b32 s0, vcc_lo, s0
	s_and_saveexec_b32 s9, s0
	s_cbranch_execz .LBB236_91
; %bb.62:
	v_mov_b32_e32 v12, 0x7f800000
	s_mov_b32 s11, exec_lo
	v_cmpx_neq_f32_e64 0x7f800000, |v10|
	s_cbranch_execz .LBB236_90
; %bb.63:
	v_cvt_f32_f16_e32 v12, v3
	s_mov_b32 s0, exec_lo
	v_cmpx_o_f16_e32 v3, v3
	s_xor_b32 s12, exec_lo, s0
	s_cbranch_execz .LBB236_87
; %bb.64:
	s_mov_b32 s1, exec_lo
	v_cmpx_neq_f32_e64 0x7f800000, |v12|
	s_xor_b32 s13, exec_lo, s1
	s_cbranch_execz .LBB236_80
; %bb.65:
	v_max_f32_e64 v1, |v10|, |v10|
	v_max_f32_e64 v2, |v12|, |v12|
                                        ; implicit-def: $sgpr14
	s_delay_alu instid0(VALU_DEP_1) | instskip(NEXT) | instid1(VALU_DEP_1)
	v_max_f32_e32 v1, v2, v1
	v_cmp_nle_f32_e64 s0, 0x7ed413cb, v1
	s_delay_alu instid0(VALU_DEP_1) | instskip(NEXT) | instid1(SALU_CYCLE_1)
	s_and_saveexec_b32 s1, s0
	s_xor_b32 s1, exec_lo, s1
	s_cbranch_execz .LBB236_69
; %bb.66:
	v_cmp_ge_f32_e64 s14, 0x1000000, |v12|
	v_cmp_ge_f32_e64 s15, 0x1000000, |v10|
	s_delay_alu instid0(VALU_DEP_1)
	s_and_b32 s16, s14, s15
	s_mov_b32 s14, 0
	s_and_saveexec_b32 s15, s16
; %bb.67:
	v_mul_f32_e32 v10, 4.0, v10
	v_mul_f32_e32 v12, 4.0, v12
	s_mov_b32 s14, exec_lo
; %bb.68:
	s_or_b32 exec_lo, exec_lo, s15
	s_delay_alu instid0(SALU_CYCLE_1)
	s_and_b32 s14, s14, exec_lo
.LBB236_69:
	s_and_not1_saveexec_b32 s1, s1
; %bb.70:
	v_mul_f32_e32 v12, 0x3e800000, v12
	v_mul_f32_e32 v10, 0x3e800000, v10
	s_and_not1_b32 s14, s14, exec_lo
; %bb.71:
	s_or_b32 exec_lo, exec_lo, s1
	s_delay_alu instid0(VALU_DEP_1) | instskip(SKIP_1) | instid1(VALU_DEP_1)
	v_max_f32_e64 v1, |v10|, |v10|
	v_max_f32_e64 v2, |v12|, |v12|
	v_max_f32_e32 v13, v2, v1
	s_delay_alu instid0(VALU_DEP_1) | instskip(SKIP_1) | instid1(VALU_DEP_2)
	v_cvt_f64_f32_e32 v[1:2], v13
	v_cmp_neq_f32_e64 s1, 0x7f800000, v13
	v_frexp_exp_i32_f64_e32 v1, v[1:2]
	s_delay_alu instid0(VALU_DEP_1) | instskip(NEXT) | instid1(VALU_DEP_1)
	v_sub_nc_u32_e32 v2, 0, v1
	v_ldexp_f32 v14, |v10|, v2
	v_ldexp_f32 v2, |v12|, v2
	s_delay_alu instid0(VALU_DEP_2) | instskip(NEXT) | instid1(VALU_DEP_1)
	v_mul_f32_e32 v14, v14, v14
	v_fmac_f32_e32 v14, v2, v2
	s_delay_alu instid0(VALU_DEP_1) | instskip(SKIP_2) | instid1(VALU_DEP_1)
	v_sqrt_f32_e32 v2, v14
	s_waitcnt_depctr 0xfff
	v_ldexp_f32 v1, v2, v1
                                        ; implicit-def: $vgpr2
	v_cndmask_b32_e64 v13, 0x7f800000, v1, s1
                                        ; implicit-def: $vgpr1
	s_mov_b32 s1, exec_lo
	v_cmpx_le_f32_e32 0, v12
	s_xor_b32 s15, exec_lo, s1
	s_cbranch_execz .LBB236_73
; %bb.72:
	v_add_f32_e32 v1, v12, v13
	s_delay_alu instid0(VALU_DEP_1) | instskip(NEXT) | instid1(VALU_DEP_1)
	v_mul_f32_e32 v1, 0.5, v1
	v_mul_f32_e32 v2, 0x4f800000, v1
	v_cmp_gt_f32_e32 vcc_lo, 0xf800000, v1
	s_delay_alu instid0(VALU_DEP_2) | instskip(NEXT) | instid1(VALU_DEP_1)
	v_cndmask_b32_e32 v1, v1, v2, vcc_lo
	v_sqrt_f32_e32 v2, v1
	s_waitcnt_depctr 0xfff
	v_add_nc_u32_e32 v12, -1, v2
	v_add_nc_u32_e32 v13, 1, v2
	s_delay_alu instid0(VALU_DEP_2) | instskip(NEXT) | instid1(VALU_DEP_2)
	v_fma_f32 v14, -v12, v2, v1
	v_fma_f32 v15, -v13, v2, v1
	s_delay_alu instid0(VALU_DEP_2) | instskip(NEXT) | instid1(VALU_DEP_1)
	v_cmp_ge_f32_e64 s1, 0, v14
	v_cndmask_b32_e64 v2, v2, v12, s1
	s_delay_alu instid0(VALU_DEP_3) | instskip(NEXT) | instid1(VALU_DEP_1)
	v_cmp_lt_f32_e64 s1, 0, v15
	v_cndmask_b32_e64 v2, v2, v13, s1
	s_delay_alu instid0(VALU_DEP_1) | instskip(NEXT) | instid1(VALU_DEP_1)
	v_mul_f32_e32 v12, 0x37800000, v2
	v_cndmask_b32_e32 v2, v2, v12, vcc_lo
	v_cmp_class_f32_e64 vcc_lo, v1, 0x260
	s_delay_alu instid0(VALU_DEP_2) | instskip(NEXT) | instid1(VALU_DEP_1)
	v_cndmask_b32_e32 v1, v2, v1, vcc_lo
	v_add_f32_e32 v2, v1, v1
	s_delay_alu instid0(VALU_DEP_1) | instskip(NEXT) | instid1(VALU_DEP_1)
	v_div_scale_f32 v12, null, v2, v2, v10
	v_rcp_f32_e32 v13, v12
	s_waitcnt_depctr 0xfff
	v_fma_f32 v14, -v12, v13, 1.0
	s_delay_alu instid0(VALU_DEP_1) | instskip(SKIP_1) | instid1(VALU_DEP_1)
	v_fmac_f32_e32 v13, v14, v13
	v_div_scale_f32 v14, vcc_lo, v10, v2, v10
	v_mul_f32_e32 v15, v14, v13
	s_delay_alu instid0(VALU_DEP_1) | instskip(NEXT) | instid1(VALU_DEP_1)
	v_fma_f32 v16, -v12, v15, v14
	v_fmac_f32_e32 v15, v16, v13
	s_delay_alu instid0(VALU_DEP_1) | instskip(NEXT) | instid1(VALU_DEP_1)
	v_fma_f32 v12, -v12, v15, v14
	v_div_fmas_f32 v12, v12, v13, v15
                                        ; implicit-def: $vgpr13
	s_delay_alu instid0(VALU_DEP_1)
	v_div_fixup_f32 v2, v12, v2, v10
                                        ; implicit-def: $vgpr12
                                        ; implicit-def: $vgpr10
	s_and_not1_saveexec_b32 s15, s15
	s_cbranch_execz .LBB236_75
	s_branch .LBB236_74
.LBB236_73:
	s_and_not1_saveexec_b32 s15, s15
	s_cbranch_execz .LBB236_75
.LBB236_74:
	v_sub_f32_e32 v1, v13, v12
	s_delay_alu instid0(VALU_DEP_1) | instskip(NEXT) | instid1(VALU_DEP_1)
	v_mul_f32_e32 v1, 0.5, v1
	v_mul_f32_e32 v2, 0x4f800000, v1
	v_cmp_gt_f32_e32 vcc_lo, 0xf800000, v1
	s_delay_alu instid0(VALU_DEP_2) | instskip(NEXT) | instid1(VALU_DEP_1)
	v_cndmask_b32_e32 v1, v1, v2, vcc_lo
	v_sqrt_f32_e32 v2, v1
	s_waitcnt_depctr 0xfff
	v_add_nc_u32_e32 v12, -1, v2
	v_add_nc_u32_e32 v13, 1, v2
	s_delay_alu instid0(VALU_DEP_2) | instskip(NEXT) | instid1(VALU_DEP_2)
	v_fma_f32 v14, -v12, v2, v1
	v_fma_f32 v15, -v13, v2, v1
	s_delay_alu instid0(VALU_DEP_2) | instskip(NEXT) | instid1(VALU_DEP_1)
	v_cmp_ge_f32_e64 s1, 0, v14
	v_cndmask_b32_e64 v2, v2, v12, s1
	s_delay_alu instid0(VALU_DEP_3) | instskip(NEXT) | instid1(VALU_DEP_1)
	v_cmp_lt_f32_e64 s1, 0, v15
	v_cndmask_b32_e64 v2, v2, v13, s1
	s_delay_alu instid0(VALU_DEP_1) | instskip(NEXT) | instid1(VALU_DEP_1)
	v_mul_f32_e32 v12, 0x37800000, v2
	v_cndmask_b32_e32 v2, v2, v12, vcc_lo
	v_cmp_class_f32_e64 vcc_lo, v1, 0x260
	s_delay_alu instid0(VALU_DEP_2) | instskip(NEXT) | instid1(VALU_DEP_1)
	v_dual_cndmask_b32 v2, v2, v1 :: v_dual_and_b32 v1, 0x7fffffff, v10
	v_add_f32_e32 v12, v2, v2
	v_bfi_b32 v2, 0x7fffffff, v2, v10
	s_delay_alu instid0(VALU_DEP_2) | instskip(SKIP_1) | instid1(VALU_DEP_2)
	v_div_scale_f32 v13, null, v12, v12, v1
	v_div_scale_f32 v1, vcc_lo, v1, v12, v1
	v_rcp_f32_e32 v14, v13
	s_waitcnt_depctr 0xfff
	v_fma_f32 v15, -v13, v14, 1.0
	s_delay_alu instid0(VALU_DEP_1) | instskip(NEXT) | instid1(VALU_DEP_1)
	v_fmac_f32_e32 v14, v15, v14
	v_mul_f32_e32 v15, v1, v14
	s_delay_alu instid0(VALU_DEP_1) | instskip(NEXT) | instid1(VALU_DEP_1)
	v_fma_f32 v16, -v13, v15, v1
	v_fmac_f32_e32 v15, v16, v14
	s_delay_alu instid0(VALU_DEP_1) | instskip(NEXT) | instid1(VALU_DEP_1)
	v_fma_f32 v1, -v13, v15, v1
	v_div_fmas_f32 v1, v1, v14, v15
	s_delay_alu instid0(VALU_DEP_1)
	v_div_fixup_f32 v1, v1, v12, |v10|
.LBB236_75:
	s_or_b32 exec_lo, exec_lo, s15
                                        ; implicit-def: $vgpr10
                                        ; implicit-def: $vgpr12
	s_and_saveexec_b32 s1, s0
	s_delay_alu instid0(SALU_CYCLE_1)
	s_xor_b32 s0, exec_lo, s1
	s_cbranch_execz .LBB236_77
; %bb.76:
	v_dual_mul_f32 v10, 0.5, v1 :: v_dual_mul_f32 v13, 0.5, v2
	s_delay_alu instid0(VALU_DEP_1) | instskip(NEXT) | instid1(VALU_DEP_2)
	v_cndmask_b32_e64 v12, v1, v10, s14
	v_cndmask_b32_e64 v10, v2, v13, s14
                                        ; implicit-def: $vgpr1
                                        ; implicit-def: $vgpr2
	s_and_not1_saveexec_b32 s0, s0
	s_cbranch_execnz .LBB236_78
	s_branch .LBB236_79
.LBB236_77:
	s_and_not1_saveexec_b32 s0, s0
.LBB236_78:
	v_add_f32_e32 v12, v1, v1
	v_add_f32_e32 v10, v2, v2
.LBB236_79:
	s_or_b32 exec_lo, exec_lo, s0
.LBB236_80:
	s_and_not1_saveexec_b32 s0, s13
	s_cbranch_execz .LBB236_86
; %bb.81:
	s_delay_alu instid0(VALU_DEP_1)
	v_sub_f32_e32 v1, v10, v10
	s_mov_b32 s1, exec_lo
	v_cmpx_lt_i16_e32 -1, v3
	s_xor_b32 s1, exec_lo, s1
; %bb.82:
	s_delay_alu instid0(VALU_DEP_2)
	v_bfi_b32 v10, 0x7fffffff, v1, v10
                                        ; implicit-def: $vgpr1
; %bb.83:
	s_and_not1_saveexec_b32 s1, s1
; %bb.84:
	v_and_b32_e32 v1, 0x7fffffff, v1
	s_delay_alu instid0(VALU_DEP_2) | instskip(NEXT) | instid1(VALU_DEP_2)
	v_bfi_b32 v10, 0x7fffffff, v12, v10
	v_mov_b32_e32 v12, v1
; %bb.85:
	s_or_b32 exec_lo, exec_lo, s1
.LBB236_86:
	s_delay_alu instid0(SALU_CYCLE_1)
	s_or_b32 exec_lo, exec_lo, s0
.LBB236_87:
	s_and_not1_saveexec_b32 s0, s12
; %bb.88:
	v_sub_f32_e32 v1, v10, v10
	s_delay_alu instid0(VALU_DEP_1) | instskip(NEXT) | instid1(VALU_DEP_1)
	v_div_scale_f32 v2, vcc_lo, v1, v1, v1
	v_rcp_f32_e32 v3, v2
	s_waitcnt_depctr 0xfff
	v_fma_f32 v10, -v2, v3, 1.0
	s_delay_alu instid0(VALU_DEP_1) | instskip(NEXT) | instid1(VALU_DEP_1)
	v_fmac_f32_e32 v3, v10, v3
	v_mul_f32_e32 v10, v2, v3
	s_delay_alu instid0(VALU_DEP_1) | instskip(NEXT) | instid1(VALU_DEP_1)
	v_fma_f32 v13, -v2, v10, v2
	v_fmac_f32_e32 v10, v13, v3
	s_delay_alu instid0(VALU_DEP_1) | instskip(NEXT) | instid1(VALU_DEP_1)
	v_fma_f32 v2, -v2, v10, v2
	v_div_fmas_f32 v2, v2, v3, v10
	s_delay_alu instid0(VALU_DEP_1)
	v_div_fixup_f32 v10, v2, v1, v1
; %bb.89:
	s_or_b32 exec_lo, exec_lo, s0
.LBB236_90:
	s_delay_alu instid0(SALU_CYCLE_1)
	s_or_b32 exec_lo, exec_lo, s11
.LBB236_91:
	s_delay_alu instid0(SALU_CYCLE_1) | instskip(SKIP_2) | instid1(VALU_DEP_2)
	s_or_b32 exec_lo, exec_lo, s9
	v_lshrrev_b32_e32 v1, 16, v4
	v_cmp_neq_f16_e32 vcc_lo, 0, v4
	v_cmp_neq_f16_e64 s0, 0, v1
	v_cvt_f32_f16_e32 v13, v1
	s_delay_alu instid0(VALU_DEP_2) | instskip(NEXT) | instid1(SALU_CYCLE_1)
	s_or_b32 s0, vcc_lo, s0
	s_and_saveexec_b32 s9, s0
	s_cbranch_execz .LBB236_121
; %bb.92:
	v_mov_b32_e32 v11, 0x7f800000
	s_mov_b32 s11, exec_lo
	v_cmpx_neq_f32_e64 0x7f800000, |v13|
	s_cbranch_execz .LBB236_120
; %bb.93:
	v_cvt_f32_f16_e32 v11, v4
	s_mov_b32 s0, exec_lo
	v_cmpx_o_f16_e32 v4, v4
	s_xor_b32 s12, exec_lo, s0
	s_cbranch_execz .LBB236_117
; %bb.94:
	s_mov_b32 s1, exec_lo
	v_cmpx_neq_f32_e64 0x7f800000, |v11|
	s_xor_b32 s13, exec_lo, s1
	s_cbranch_execz .LBB236_110
; %bb.95:
	v_max_f32_e64 v1, |v13|, |v13|
	v_max_f32_e64 v2, |v11|, |v11|
                                        ; implicit-def: $sgpr14
	s_delay_alu instid0(VALU_DEP_1) | instskip(NEXT) | instid1(VALU_DEP_1)
	v_max_f32_e32 v1, v2, v1
	v_cmp_nle_f32_e64 s0, 0x7ed413cb, v1
	s_delay_alu instid0(VALU_DEP_1) | instskip(NEXT) | instid1(SALU_CYCLE_1)
	s_and_saveexec_b32 s1, s0
	s_xor_b32 s1, exec_lo, s1
	s_cbranch_execz .LBB236_99
; %bb.96:
	v_cmp_ge_f32_e64 s14, 0x1000000, |v11|
	v_cmp_ge_f32_e64 s15, 0x1000000, |v13|
	s_delay_alu instid0(VALU_DEP_1)
	s_and_b32 s16, s14, s15
	s_mov_b32 s14, 0
	s_and_saveexec_b32 s15, s16
; %bb.97:
	v_mul_f32_e32 v13, 4.0, v13
	v_mul_f32_e32 v11, 4.0, v11
	s_mov_b32 s14, exec_lo
; %bb.98:
	s_or_b32 exec_lo, exec_lo, s15
	s_delay_alu instid0(SALU_CYCLE_1)
	s_and_b32 s14, s14, exec_lo
.LBB236_99:
	s_and_not1_saveexec_b32 s1, s1
; %bb.100:
	v_mul_f32_e32 v11, 0x3e800000, v11
	v_mul_f32_e32 v13, 0x3e800000, v13
	s_and_not1_b32 s14, s14, exec_lo
; %bb.101:
	s_or_b32 exec_lo, exec_lo, s1
	s_delay_alu instid0(VALU_DEP_1) | instskip(SKIP_1) | instid1(VALU_DEP_1)
	v_max_f32_e64 v1, |v13|, |v13|
	v_max_f32_e64 v2, |v11|, |v11|
	v_max_f32_e32 v3, v2, v1
	s_delay_alu instid0(VALU_DEP_1) | instskip(NEXT) | instid1(VALU_DEP_1)
	v_cvt_f64_f32_e32 v[1:2], v3
	v_frexp_exp_i32_f64_e32 v1, v[1:2]
	s_delay_alu instid0(VALU_DEP_1) | instskip(NEXT) | instid1(VALU_DEP_1)
	v_sub_nc_u32_e32 v2, 0, v1
	v_ldexp_f32 v4, |v13|, v2
	v_ldexp_f32 v2, |v11|, v2
	s_delay_alu instid0(VALU_DEP_2) | instskip(SKIP_1) | instid1(VALU_DEP_2)
	v_mul_f32_e32 v4, v4, v4
	v_cmp_neq_f32_e64 s1, 0x7f800000, v3
	v_fmac_f32_e32 v4, v2, v2
	s_delay_alu instid0(VALU_DEP_1) | instskip(SKIP_2) | instid1(VALU_DEP_1)
	v_sqrt_f32_e32 v2, v4
	s_waitcnt_depctr 0xfff
	v_ldexp_f32 v1, v2, v1
                                        ; implicit-def: $vgpr2
	v_cndmask_b32_e64 v3, 0x7f800000, v1, s1
                                        ; implicit-def: $vgpr1
	s_mov_b32 s1, exec_lo
	v_cmpx_le_f32_e32 0, v11
	s_xor_b32 s15, exec_lo, s1
	s_cbranch_execz .LBB236_103
; %bb.102:
	v_add_f32_e32 v1, v11, v3
	s_delay_alu instid0(VALU_DEP_1) | instskip(NEXT) | instid1(VALU_DEP_1)
	v_mul_f32_e32 v1, 0.5, v1
	v_mul_f32_e32 v2, 0x4f800000, v1
	v_cmp_gt_f32_e32 vcc_lo, 0xf800000, v1
	s_delay_alu instid0(VALU_DEP_2) | instskip(NEXT) | instid1(VALU_DEP_1)
	v_cndmask_b32_e32 v1, v1, v2, vcc_lo
	v_sqrt_f32_e32 v2, v1
	s_waitcnt_depctr 0xfff
	v_add_nc_u32_e32 v3, -1, v2
	v_add_nc_u32_e32 v4, 1, v2
	s_delay_alu instid0(VALU_DEP_2) | instskip(NEXT) | instid1(VALU_DEP_2)
	v_fma_f32 v11, -v3, v2, v1
	v_fma_f32 v14, -v4, v2, v1
	s_delay_alu instid0(VALU_DEP_2) | instskip(NEXT) | instid1(VALU_DEP_1)
	v_cmp_ge_f32_e64 s1, 0, v11
	v_cndmask_b32_e64 v2, v2, v3, s1
	s_delay_alu instid0(VALU_DEP_3) | instskip(NEXT) | instid1(VALU_DEP_1)
	v_cmp_lt_f32_e64 s1, 0, v14
	v_cndmask_b32_e64 v2, v2, v4, s1
	s_delay_alu instid0(VALU_DEP_1) | instskip(NEXT) | instid1(VALU_DEP_1)
	v_mul_f32_e32 v3, 0x37800000, v2
	v_cndmask_b32_e32 v2, v2, v3, vcc_lo
	v_cmp_class_f32_e64 vcc_lo, v1, 0x260
	s_delay_alu instid0(VALU_DEP_2) | instskip(NEXT) | instid1(VALU_DEP_1)
	v_cndmask_b32_e32 v1, v2, v1, vcc_lo
	v_add_f32_e32 v2, v1, v1
	s_delay_alu instid0(VALU_DEP_1) | instskip(NEXT) | instid1(VALU_DEP_1)
	v_div_scale_f32 v3, null, v2, v2, v13
	v_rcp_f32_e32 v4, v3
	s_waitcnt_depctr 0xfff
	v_fma_f32 v11, -v3, v4, 1.0
	s_delay_alu instid0(VALU_DEP_1) | instskip(SKIP_1) | instid1(VALU_DEP_1)
	v_fmac_f32_e32 v4, v11, v4
	v_div_scale_f32 v11, vcc_lo, v13, v2, v13
	v_mul_f32_e32 v14, v11, v4
	s_delay_alu instid0(VALU_DEP_1) | instskip(NEXT) | instid1(VALU_DEP_1)
	v_fma_f32 v15, -v3, v14, v11
	v_fmac_f32_e32 v14, v15, v4
	s_delay_alu instid0(VALU_DEP_1) | instskip(NEXT) | instid1(VALU_DEP_1)
	v_fma_f32 v3, -v3, v14, v11
                                        ; implicit-def: $vgpr11
	v_div_fmas_f32 v3, v3, v4, v14
	s_delay_alu instid0(VALU_DEP_1)
	v_div_fixup_f32 v2, v3, v2, v13
                                        ; implicit-def: $vgpr3
                                        ; implicit-def: $vgpr13
	s_and_not1_saveexec_b32 s15, s15
	s_cbranch_execz .LBB236_105
	s_branch .LBB236_104
.LBB236_103:
	s_and_not1_saveexec_b32 s15, s15
	s_cbranch_execz .LBB236_105
.LBB236_104:
	v_sub_f32_e32 v1, v3, v11
	s_delay_alu instid0(VALU_DEP_1) | instskip(NEXT) | instid1(VALU_DEP_1)
	v_mul_f32_e32 v1, 0.5, v1
	v_mul_f32_e32 v2, 0x4f800000, v1
	v_cmp_gt_f32_e32 vcc_lo, 0xf800000, v1
	s_delay_alu instid0(VALU_DEP_2) | instskip(NEXT) | instid1(VALU_DEP_1)
	v_cndmask_b32_e32 v1, v1, v2, vcc_lo
	v_sqrt_f32_e32 v2, v1
	s_waitcnt_depctr 0xfff
	v_add_nc_u32_e32 v3, -1, v2
	v_add_nc_u32_e32 v4, 1, v2
	s_delay_alu instid0(VALU_DEP_2) | instskip(NEXT) | instid1(VALU_DEP_2)
	v_fma_f32 v11, -v3, v2, v1
	v_fma_f32 v14, -v4, v2, v1
	s_delay_alu instid0(VALU_DEP_2) | instskip(NEXT) | instid1(VALU_DEP_1)
	v_cmp_ge_f32_e64 s1, 0, v11
	v_cndmask_b32_e64 v2, v2, v3, s1
	s_delay_alu instid0(VALU_DEP_3) | instskip(NEXT) | instid1(VALU_DEP_1)
	v_cmp_lt_f32_e64 s1, 0, v14
	v_cndmask_b32_e64 v2, v2, v4, s1
	s_delay_alu instid0(VALU_DEP_1) | instskip(NEXT) | instid1(VALU_DEP_1)
	v_mul_f32_e32 v3, 0x37800000, v2
	v_cndmask_b32_e32 v2, v2, v3, vcc_lo
	v_cmp_class_f32_e64 vcc_lo, v1, 0x260
	s_delay_alu instid0(VALU_DEP_2) | instskip(SKIP_1) | instid1(VALU_DEP_2)
	v_cndmask_b32_e32 v2, v2, v1, vcc_lo
	v_and_b32_e32 v1, 0x7fffffff, v13
	v_add_f32_e32 v3, v2, v2
	v_bfi_b32 v2, 0x7fffffff, v2, v13
	s_delay_alu instid0(VALU_DEP_2) | instskip(SKIP_1) | instid1(VALU_DEP_2)
	v_div_scale_f32 v4, null, v3, v3, v1
	v_div_scale_f32 v1, vcc_lo, v1, v3, v1
	v_rcp_f32_e32 v11, v4
	s_waitcnt_depctr 0xfff
	v_fma_f32 v14, -v4, v11, 1.0
	s_delay_alu instid0(VALU_DEP_1) | instskip(NEXT) | instid1(VALU_DEP_1)
	v_fmac_f32_e32 v11, v14, v11
	v_mul_f32_e32 v14, v1, v11
	s_delay_alu instid0(VALU_DEP_1) | instskip(NEXT) | instid1(VALU_DEP_1)
	v_fma_f32 v15, -v4, v14, v1
	v_fmac_f32_e32 v14, v15, v11
	s_delay_alu instid0(VALU_DEP_1) | instskip(NEXT) | instid1(VALU_DEP_1)
	v_fma_f32 v1, -v4, v14, v1
	v_div_fmas_f32 v1, v1, v11, v14
	s_delay_alu instid0(VALU_DEP_1)
	v_div_fixup_f32 v1, v1, v3, |v13|
.LBB236_105:
	s_or_b32 exec_lo, exec_lo, s15
                                        ; implicit-def: $vgpr13
                                        ; implicit-def: $vgpr11
	s_and_saveexec_b32 s1, s0
	s_delay_alu instid0(SALU_CYCLE_1)
	s_xor_b32 s0, exec_lo, s1
	s_cbranch_execz .LBB236_107
; %bb.106:
	v_dual_mul_f32 v3, 0.5, v1 :: v_dual_mul_f32 v4, 0.5, v2
	s_delay_alu instid0(VALU_DEP_1) | instskip(NEXT) | instid1(VALU_DEP_2)
	v_cndmask_b32_e64 v11, v1, v3, s14
	v_cndmask_b32_e64 v13, v2, v4, s14
                                        ; implicit-def: $vgpr1
                                        ; implicit-def: $vgpr2
	s_and_not1_saveexec_b32 s0, s0
	s_cbranch_execnz .LBB236_108
	s_branch .LBB236_109
.LBB236_107:
	s_and_not1_saveexec_b32 s0, s0
.LBB236_108:
	v_add_f32_e32 v11, v1, v1
	v_add_f32_e32 v13, v2, v2
.LBB236_109:
	s_or_b32 exec_lo, exec_lo, s0
                                        ; implicit-def: $vgpr1_vgpr2_vgpr3_vgpr4
.LBB236_110:
	s_and_not1_saveexec_b32 s0, s13
	s_cbranch_execz .LBB236_116
; %bb.111:
	s_delay_alu instid0(VALU_DEP_1)
	v_sub_f32_e32 v1, v13, v13
	s_mov_b32 s1, exec_lo
	v_cmpx_lt_i16_e32 -1, v4
	s_xor_b32 s1, exec_lo, s1
; %bb.112:
	s_delay_alu instid0(VALU_DEP_2)
	v_bfi_b32 v13, 0x7fffffff, v1, v13
                                        ; implicit-def: $vgpr1
; %bb.113:
	s_and_not1_saveexec_b32 s1, s1
; %bb.114:
	v_and_b32_e32 v1, 0x7fffffff, v1
	s_delay_alu instid0(VALU_DEP_2) | instskip(NEXT) | instid1(VALU_DEP_2)
	v_bfi_b32 v13, 0x7fffffff, v11, v13
	v_mov_b32_e32 v11, v1
; %bb.115:
	s_or_b32 exec_lo, exec_lo, s1
.LBB236_116:
	s_delay_alu instid0(SALU_CYCLE_1)
	s_or_b32 exec_lo, exec_lo, s0
.LBB236_117:
	s_and_not1_saveexec_b32 s0, s12
; %bb.118:
	v_sub_f32_e32 v1, v13, v13
	s_delay_alu instid0(VALU_DEP_1) | instskip(NEXT) | instid1(VALU_DEP_1)
	v_div_scale_f32 v2, vcc_lo, v1, v1, v1
	v_rcp_f32_e32 v3, v2
	s_waitcnt_depctr 0xfff
	v_fma_f32 v4, -v2, v3, 1.0
	s_delay_alu instid0(VALU_DEP_1) | instskip(NEXT) | instid1(VALU_DEP_1)
	v_fmac_f32_e32 v3, v4, v3
	v_mul_f32_e32 v4, v2, v3
	s_delay_alu instid0(VALU_DEP_1) | instskip(NEXT) | instid1(VALU_DEP_1)
	v_fma_f32 v13, -v2, v4, v2
	v_fmac_f32_e32 v4, v13, v3
	s_delay_alu instid0(VALU_DEP_1) | instskip(NEXT) | instid1(VALU_DEP_1)
	v_fma_f32 v2, -v2, v4, v2
	v_div_fmas_f32 v2, v2, v3, v4
	s_delay_alu instid0(VALU_DEP_1)
	v_div_fixup_f32 v13, v2, v1, v1
; %bb.119:
	s_or_b32 exec_lo, exec_lo, s0
.LBB236_120:
	s_delay_alu instid0(SALU_CYCLE_1)
	s_or_b32 exec_lo, exec_lo, s11
.LBB236_121:
	s_delay_alu instid0(SALU_CYCLE_1)
	s_or_b32 exec_lo, exec_lo, s9
	v_cvt_f16_f32_e32 v3, v9
	v_cvt_f16_f32_e32 v1, v10
	;; [unrolled: 1-line block ×5, first 2 shown]
	v_lshlrev_b32_e32 v4, 16, v3
	v_cvt_f16_f32_e32 v3, v7
	v_cvt_f16_f32_e32 v7, v8
	;; [unrolled: 1-line block ×3, first 2 shown]
	v_lshlrev_b32_e32 v1, 16, v1
	v_and_b32_e32 v2, 0xffff, v2
	v_and_b32_e32 v10, 0xffff, v3
	v_lshlrev_b32_e32 v6, 16, v6
	v_and_b32_e32 v7, 0xffff, v7
	v_lshlrev_b32_e32 v8, 16, v8
	v_and_b32_e32 v9, 0xffff, v9
	v_or_b32_e32 v3, v1, v2
	v_or_b32_e32 v2, v4, v10
	;; [unrolled: 1-line block ×3, first 2 shown]
	s_add_u32 s2, s4, s2
	v_or_b32_e32 v4, v8, v9
	s_addc_u32 s3, s5, s3
	s_mov_b32 s0, 0
	global_store_b128 v5, v[1:4], s[2:3]
.LBB236_122:
	s_and_b32 vcc_lo, exec_lo, s0
	s_cbranch_vccz .LBB236_267
; %bb.123:
	v_cmp_gt_i32_e64 s0, s10, v0
	v_dual_mov_b32 v7, 0 :: v_dual_mov_b32 v8, 0
	v_or_b32_e32 v1, s8, v0
	v_or_b32_e32 v3, 0x100, v0
	v_mov_b32_e32 v4, v0
	s_and_saveexec_b32 s1, s0
	s_cbranch_execz .LBB236_125
; %bb.124:
	v_mov_b32_e32 v2, 0
	s_delay_alu instid0(VALU_DEP_1) | instskip(NEXT) | instid1(VALU_DEP_1)
	v_lshlrev_b64 v[4:5], 2, v[1:2]
	v_add_co_u32 v4, vcc_lo, s6, v4
	s_delay_alu instid0(VALU_DEP_2)
	v_add_co_ci_u32_e32 v5, vcc_lo, s7, v5, vcc_lo
	global_load_b32 v8, v[4:5], off
	v_or_b32_e32 v4, 0x100, v0
.LBB236_125:
	s_or_b32 exec_lo, exec_lo, s1
	s_delay_alu instid0(SALU_CYCLE_1) | instskip(NEXT) | instid1(VALU_DEP_1)
	s_mov_b32 s1, exec_lo
	v_cmpx_gt_i32_e64 s10, v4
	s_cbranch_execz .LBB236_127
; %bb.126:
	v_dual_mov_b32 v6, 0 :: v_dual_add_nc_u32 v5, s8, v4
	v_add_nc_u32_e32 v4, 0x100, v4
	s_delay_alu instid0(VALU_DEP_2) | instskip(NEXT) | instid1(VALU_DEP_1)
	v_lshlrev_b64 v[5:6], 2, v[5:6]
	v_add_co_u32 v5, vcc_lo, s6, v5
	s_delay_alu instid0(VALU_DEP_2)
	v_add_co_ci_u32_e32 v6, vcc_lo, s7, v6, vcc_lo
	global_load_b32 v7, v[5:6], off
.LBB236_127:
	s_or_b32 exec_lo, exec_lo, s1
	v_dual_mov_b32 v2, 0 :: v_dual_mov_b32 v5, 0
	s_mov_b32 s1, exec_lo
	v_cmpx_gt_i32_e64 s10, v4
	s_cbranch_execz .LBB236_131
; %bb.128:
	v_dual_mov_b32 v6, 0 :: v_dual_add_nc_u32 v5, s8, v4
	v_add_nc_u32_e32 v4, 0x100, v4
	s_delay_alu instid0(VALU_DEP_2) | instskip(NEXT) | instid1(VALU_DEP_1)
	v_lshlrev_b64 v[5:6], 2, v[5:6]
	v_add_co_u32 v5, vcc_lo, s6, v5
	s_delay_alu instid0(VALU_DEP_2) | instskip(SKIP_2) | instid1(SALU_CYCLE_1)
	v_add_co_ci_u32_e32 v6, vcc_lo, s7, v6, vcc_lo
	global_load_b32 v5, v[5:6], off
	s_or_b32 exec_lo, exec_lo, s1
	s_mov_b32 s1, exec_lo
	v_cmpx_gt_i32_e64 s10, v4
	s_cbranch_execnz .LBB236_132
.LBB236_129:
	s_or_b32 exec_lo, exec_lo, s1
                                        ; implicit-def: $vgpr4
	s_and_saveexec_b32 s3, s0
	s_cbranch_execnz .LBB236_133
.LBB236_130:
	s_or_b32 exec_lo, exec_lo, s3
	s_delay_alu instid0(SALU_CYCLE_1)
	s_mov_b32 s3, exec_lo
                                        ; implicit-def: $vgpr6
	v_cmpx_gt_i32_e64 s10, v3
	s_cbranch_execz .LBB236_195
	s_branch .LBB236_164
.LBB236_131:
	s_or_b32 exec_lo, exec_lo, s1
	s_delay_alu instid0(SALU_CYCLE_1)
	s_mov_b32 s1, exec_lo
	v_cmpx_gt_i32_e64 s10, v4
	s_cbranch_execz .LBB236_129
.LBB236_132:
	v_dual_mov_b32 v10, 0 :: v_dual_add_nc_u32 v9, s8, v4
	s_delay_alu instid0(VALU_DEP_1) | instskip(NEXT) | instid1(VALU_DEP_1)
	v_lshlrev_b64 v[9:10], 2, v[9:10]
	v_add_co_u32 v9, vcc_lo, s6, v9
	s_delay_alu instid0(VALU_DEP_2)
	v_add_co_ci_u32_e32 v10, vcc_lo, s7, v10, vcc_lo
	global_load_b32 v2, v[9:10], off
	s_or_b32 exec_lo, exec_lo, s1
                                        ; implicit-def: $vgpr4
	s_and_saveexec_b32 s3, s0
	s_cbranch_execz .LBB236_130
.LBB236_133:
	s_waitcnt vmcnt(0)
	v_lshrrev_b32_e32 v4, 16, v8
	v_cmp_neq_f16_e32 vcc_lo, 0, v8
	v_mov_b32_e32 v6, 0
	s_delay_alu instid0(VALU_DEP_3) | instskip(SKIP_1) | instid1(VALU_DEP_2)
	v_cmp_neq_f16_e64 s1, 0, v4
	v_cvt_f32_f16_e32 v4, v4
	s_or_b32 s1, vcc_lo, s1
	s_delay_alu instid0(SALU_CYCLE_1)
	s_and_saveexec_b32 s6, s1
	s_cbranch_execz .LBB236_163
; %bb.134:
	v_mov_b32_e32 v6, 0x7f800000
	s_mov_b32 s7, exec_lo
	v_cmpx_neq_f32_e64 0x7f800000, |v4|
	s_cbranch_execz .LBB236_162
; %bb.135:
	v_cvt_f32_f16_e32 v6, v8
	s_mov_b32 s1, exec_lo
	v_cmpx_o_f16_e32 v8, v8
	s_xor_b32 s9, exec_lo, s1
	s_cbranch_execz .LBB236_159
; %bb.136:
	s_mov_b32 s2, exec_lo
	v_cmpx_neq_f32_e64 0x7f800000, |v6|
	s_xor_b32 s11, exec_lo, s2
	s_cbranch_execz .LBB236_152
; %bb.137:
	v_max_f32_e64 v8, |v4|, |v4|
	v_max_f32_e64 v9, |v6|, |v6|
                                        ; implicit-def: $sgpr12
	s_delay_alu instid0(VALU_DEP_1) | instskip(NEXT) | instid1(VALU_DEP_1)
	v_max_f32_e32 v8, v9, v8
	v_cmp_nle_f32_e64 s1, 0x7ed413cb, v8
	s_delay_alu instid0(VALU_DEP_1) | instskip(NEXT) | instid1(SALU_CYCLE_1)
	s_and_saveexec_b32 s2, s1
	s_xor_b32 s2, exec_lo, s2
	s_cbranch_execz .LBB236_141
; %bb.138:
	v_cmp_ge_f32_e64 s12, 0x1000000, |v6|
	v_cmp_ge_f32_e64 s13, 0x1000000, |v4|
	s_delay_alu instid0(VALU_DEP_1)
	s_and_b32 s14, s12, s13
	s_mov_b32 s12, 0
	s_and_saveexec_b32 s13, s14
; %bb.139:
	v_mul_f32_e32 v4, 4.0, v4
	v_mul_f32_e32 v6, 4.0, v6
	s_mov_b32 s12, exec_lo
; %bb.140:
	s_or_b32 exec_lo, exec_lo, s13
	s_delay_alu instid0(SALU_CYCLE_1)
	s_and_b32 s12, s12, exec_lo
.LBB236_141:
	s_and_not1_saveexec_b32 s2, s2
; %bb.142:
	v_mul_f32_e32 v6, 0x3e800000, v6
	v_mul_f32_e32 v4, 0x3e800000, v4
	s_and_not1_b32 s12, s12, exec_lo
; %bb.143:
	s_or_b32 exec_lo, exec_lo, s2
	s_delay_alu instid0(VALU_DEP_1) | instskip(SKIP_1) | instid1(VALU_DEP_1)
	v_max_f32_e64 v8, |v4|, |v4|
	v_max_f32_e64 v9, |v6|, |v6|
	v_max_f32_e32 v10, v9, v8
	s_delay_alu instid0(VALU_DEP_1) | instskip(NEXT) | instid1(VALU_DEP_1)
	v_cvt_f64_f32_e32 v[8:9], v10
	v_frexp_exp_i32_f64_e32 v8, v[8:9]
	s_delay_alu instid0(VALU_DEP_1) | instskip(NEXT) | instid1(VALU_DEP_1)
	v_sub_nc_u32_e32 v9, 0, v8
	v_ldexp_f32 v11, |v4|, v9
	v_ldexp_f32 v9, |v6|, v9
	s_delay_alu instid0(VALU_DEP_2) | instskip(SKIP_1) | instid1(VALU_DEP_2)
	v_mul_f32_e32 v11, v11, v11
	v_cmp_neq_f32_e64 s2, 0x7f800000, v10
	v_fmac_f32_e32 v11, v9, v9
	s_delay_alu instid0(VALU_DEP_1) | instskip(SKIP_2) | instid1(VALU_DEP_1)
	v_sqrt_f32_e32 v9, v11
	s_waitcnt_depctr 0xfff
	v_ldexp_f32 v8, v9, v8
                                        ; implicit-def: $vgpr9
	v_cndmask_b32_e64 v10, 0x7f800000, v8, s2
                                        ; implicit-def: $vgpr8
	s_mov_b32 s2, exec_lo
	v_cmpx_le_f32_e32 0, v6
	s_xor_b32 s13, exec_lo, s2
	s_cbranch_execz .LBB236_145
; %bb.144:
	v_add_f32_e32 v6, v6, v10
	s_delay_alu instid0(VALU_DEP_1) | instskip(NEXT) | instid1(VALU_DEP_1)
	v_mul_f32_e32 v6, 0.5, v6
	v_mul_f32_e32 v8, 0x4f800000, v6
	v_cmp_gt_f32_e32 vcc_lo, 0xf800000, v6
	s_delay_alu instid0(VALU_DEP_2) | instskip(NEXT) | instid1(VALU_DEP_1)
	v_cndmask_b32_e32 v6, v6, v8, vcc_lo
	v_sqrt_f32_e32 v8, v6
	s_waitcnt_depctr 0xfff
	v_add_nc_u32_e32 v9, -1, v8
	v_add_nc_u32_e32 v10, 1, v8
	s_delay_alu instid0(VALU_DEP_2) | instskip(NEXT) | instid1(VALU_DEP_2)
	v_fma_f32 v11, -v9, v8, v6
	v_fma_f32 v12, -v10, v8, v6
	s_delay_alu instid0(VALU_DEP_2) | instskip(NEXT) | instid1(VALU_DEP_1)
	v_cmp_ge_f32_e64 s2, 0, v11
	v_cndmask_b32_e64 v8, v8, v9, s2
	s_delay_alu instid0(VALU_DEP_3) | instskip(NEXT) | instid1(VALU_DEP_1)
	v_cmp_lt_f32_e64 s2, 0, v12
	v_cndmask_b32_e64 v8, v8, v10, s2
	s_delay_alu instid0(VALU_DEP_1) | instskip(NEXT) | instid1(VALU_DEP_1)
	v_mul_f32_e32 v9, 0x37800000, v8
	v_cndmask_b32_e32 v8, v8, v9, vcc_lo
	v_cmp_class_f32_e64 vcc_lo, v6, 0x260
	s_delay_alu instid0(VALU_DEP_2) | instskip(NEXT) | instid1(VALU_DEP_1)
	v_cndmask_b32_e32 v8, v8, v6, vcc_lo
	v_add_f32_e32 v6, v8, v8
	s_delay_alu instid0(VALU_DEP_1) | instskip(NEXT) | instid1(VALU_DEP_1)
	v_div_scale_f32 v9, null, v6, v6, v4
	v_rcp_f32_e32 v10, v9
	s_waitcnt_depctr 0xfff
	v_fma_f32 v11, -v9, v10, 1.0
	s_delay_alu instid0(VALU_DEP_1) | instskip(SKIP_1) | instid1(VALU_DEP_1)
	v_fmac_f32_e32 v10, v11, v10
	v_div_scale_f32 v11, vcc_lo, v4, v6, v4
	v_mul_f32_e32 v12, v11, v10
	s_delay_alu instid0(VALU_DEP_1) | instskip(NEXT) | instid1(VALU_DEP_1)
	v_fma_f32 v13, -v9, v12, v11
	v_fmac_f32_e32 v12, v13, v10
	s_delay_alu instid0(VALU_DEP_1) | instskip(NEXT) | instid1(VALU_DEP_1)
	v_fma_f32 v9, -v9, v12, v11
	v_div_fmas_f32 v9, v9, v10, v12
                                        ; implicit-def: $vgpr10
	s_delay_alu instid0(VALU_DEP_1)
	v_div_fixup_f32 v9, v9, v6, v4
                                        ; implicit-def: $vgpr6
                                        ; implicit-def: $vgpr4
	s_and_not1_saveexec_b32 s13, s13
	s_cbranch_execz .LBB236_147
	s_branch .LBB236_146
.LBB236_145:
	s_and_not1_saveexec_b32 s13, s13
	s_cbranch_execz .LBB236_147
.LBB236_146:
	v_sub_f32_e32 v6, v10, v6
	s_delay_alu instid0(VALU_DEP_1) | instskip(NEXT) | instid1(VALU_DEP_1)
	v_mul_f32_e32 v6, 0.5, v6
	v_mul_f32_e32 v8, 0x4f800000, v6
	v_cmp_gt_f32_e32 vcc_lo, 0xf800000, v6
	s_delay_alu instid0(VALU_DEP_2) | instskip(NEXT) | instid1(VALU_DEP_1)
	v_cndmask_b32_e32 v6, v6, v8, vcc_lo
	v_sqrt_f32_e32 v8, v6
	s_waitcnt_depctr 0xfff
	v_add_nc_u32_e32 v9, -1, v8
	v_add_nc_u32_e32 v10, 1, v8
	s_delay_alu instid0(VALU_DEP_2) | instskip(NEXT) | instid1(VALU_DEP_2)
	v_fma_f32 v11, -v9, v8, v6
	v_fma_f32 v12, -v10, v8, v6
	s_delay_alu instid0(VALU_DEP_2) | instskip(NEXT) | instid1(VALU_DEP_1)
	v_cmp_ge_f32_e64 s2, 0, v11
	v_cndmask_b32_e64 v8, v8, v9, s2
	s_delay_alu instid0(VALU_DEP_3) | instskip(NEXT) | instid1(VALU_DEP_1)
	v_cmp_lt_f32_e64 s2, 0, v12
	v_cndmask_b32_e64 v8, v8, v10, s2
	s_delay_alu instid0(VALU_DEP_1) | instskip(NEXT) | instid1(VALU_DEP_1)
	v_mul_f32_e32 v9, 0x37800000, v8
	v_cndmask_b32_e32 v8, v8, v9, vcc_lo
	v_cmp_class_f32_e64 vcc_lo, v6, 0x260
	s_delay_alu instid0(VALU_DEP_2) | instskip(NEXT) | instid1(VALU_DEP_1)
	v_cndmask_b32_e32 v6, v8, v6, vcc_lo
	v_dual_add_f32 v9, v6, v6 :: v_dual_and_b32 v8, 0x7fffffff, v4
	s_delay_alu instid0(VALU_DEP_1) | instskip(SKIP_1) | instid1(VALU_DEP_2)
	v_div_scale_f32 v10, null, v9, v9, v8
	v_div_scale_f32 v8, vcc_lo, v8, v9, v8
	v_rcp_f32_e32 v11, v10
	s_waitcnt_depctr 0xfff
	v_fma_f32 v12, -v10, v11, 1.0
	s_delay_alu instid0(VALU_DEP_1) | instskip(NEXT) | instid1(VALU_DEP_1)
	v_fmac_f32_e32 v11, v12, v11
	v_mul_f32_e32 v12, v8, v11
	s_delay_alu instid0(VALU_DEP_1) | instskip(NEXT) | instid1(VALU_DEP_1)
	v_fma_f32 v13, -v10, v12, v8
	v_fmac_f32_e32 v12, v13, v11
	s_delay_alu instid0(VALU_DEP_1) | instskip(NEXT) | instid1(VALU_DEP_1)
	v_fma_f32 v8, -v10, v12, v8
	v_div_fmas_f32 v8, v8, v11, v12
	s_delay_alu instid0(VALU_DEP_1)
	v_div_fixup_f32 v8, v8, v9, |v4|
	v_bfi_b32 v9, 0x7fffffff, v6, v4
.LBB236_147:
	s_or_b32 exec_lo, exec_lo, s13
                                        ; implicit-def: $vgpr4
                                        ; implicit-def: $vgpr6
	s_and_saveexec_b32 s2, s1
	s_delay_alu instid0(SALU_CYCLE_1)
	s_xor_b32 s1, exec_lo, s2
	s_cbranch_execz .LBB236_149
; %bb.148:
	v_mul_f32_e32 v4, 0.5, v8
	v_mul_f32_e32 v10, 0.5, v9
	s_delay_alu instid0(VALU_DEP_2) | instskip(NEXT) | instid1(VALU_DEP_2)
	v_cndmask_b32_e64 v6, v8, v4, s12
	v_cndmask_b32_e64 v4, v9, v10, s12
                                        ; implicit-def: $vgpr8
                                        ; implicit-def: $vgpr9
	s_and_not1_saveexec_b32 s1, s1
	s_cbranch_execnz .LBB236_150
	s_branch .LBB236_151
.LBB236_149:
	s_and_not1_saveexec_b32 s1, s1
.LBB236_150:
	v_add_f32_e32 v6, v8, v8
	v_add_f32_e32 v4, v9, v9
.LBB236_151:
	s_or_b32 exec_lo, exec_lo, s1
                                        ; implicit-def: $vgpr8
.LBB236_152:
	s_and_not1_saveexec_b32 s1, s11
	s_cbranch_execz .LBB236_158
; %bb.153:
	v_cmp_lt_i16_e32 vcc_lo, -1, v8
	v_sub_f32_e32 v8, v4, v4
	s_and_saveexec_b32 s2, vcc_lo
	s_delay_alu instid0(SALU_CYCLE_1)
	s_xor_b32 s2, exec_lo, s2
; %bb.154:
	s_delay_alu instid0(VALU_DEP_1)
	v_bfi_b32 v4, 0x7fffffff, v8, v4
                                        ; implicit-def: $vgpr8
; %bb.155:
	s_and_not1_saveexec_b32 s2, s2
; %bb.156:
	v_and_b32_e32 v8, 0x7fffffff, v8
	s_delay_alu instid0(VALU_DEP_2) | instskip(NEXT) | instid1(VALU_DEP_2)
	v_bfi_b32 v4, 0x7fffffff, v6, v4
	v_mov_b32_e32 v6, v8
; %bb.157:
	s_or_b32 exec_lo, exec_lo, s2
.LBB236_158:
	s_delay_alu instid0(SALU_CYCLE_1)
	s_or_b32 exec_lo, exec_lo, s1
.LBB236_159:
	s_and_not1_saveexec_b32 s1, s9
; %bb.160:
	v_sub_f32_e32 v4, v4, v4
	s_delay_alu instid0(VALU_DEP_1) | instskip(NEXT) | instid1(VALU_DEP_1)
	v_div_scale_f32 v8, vcc_lo, v4, v4, v4
	v_rcp_f32_e32 v9, v8
	s_waitcnt_depctr 0xfff
	v_fma_f32 v10, -v8, v9, 1.0
	s_delay_alu instid0(VALU_DEP_1) | instskip(NEXT) | instid1(VALU_DEP_1)
	v_fmac_f32_e32 v9, v10, v9
	v_mul_f32_e32 v10, v8, v9
	s_delay_alu instid0(VALU_DEP_1) | instskip(NEXT) | instid1(VALU_DEP_1)
	v_fma_f32 v11, -v8, v10, v8
	v_fmac_f32_e32 v10, v11, v9
	s_delay_alu instid0(VALU_DEP_1) | instskip(NEXT) | instid1(VALU_DEP_1)
	v_fma_f32 v8, -v8, v10, v8
	v_div_fmas_f32 v8, v8, v9, v10
	s_delay_alu instid0(VALU_DEP_1)
	v_div_fixup_f32 v4, v8, v4, v4
; %bb.161:
	s_or_b32 exec_lo, exec_lo, s1
.LBB236_162:
	s_delay_alu instid0(SALU_CYCLE_1)
	s_or_b32 exec_lo, exec_lo, s7
.LBB236_163:
	s_delay_alu instid0(SALU_CYCLE_1) | instskip(NEXT) | instid1(VALU_DEP_1)
	s_or_b32 exec_lo, exec_lo, s6
	v_cvt_f16_f32_e32 v4, v4
	v_cvt_f16_f32_e32 v6, v6
	s_delay_alu instid0(VALU_DEP_2) | instskip(NEXT) | instid1(VALU_DEP_2)
	v_lshlrev_b32_e32 v4, 16, v4
	v_and_b32_e32 v6, 0xffff, v6
	s_delay_alu instid0(VALU_DEP_1) | instskip(SKIP_1) | instid1(SALU_CYCLE_1)
	v_or_b32_e32 v4, v4, v6
	s_or_b32 exec_lo, exec_lo, s3
	s_mov_b32 s3, exec_lo
                                        ; implicit-def: $vgpr6
	v_cmpx_gt_i32_e64 s10, v3
	s_cbranch_execz .LBB236_195
.LBB236_164:
	s_waitcnt vmcnt(0)
	v_lshrrev_b32_e32 v6, 16, v7
	v_cmp_neq_f16_e32 vcc_lo, 0, v7
	v_mov_b32_e32 v8, 0
	s_delay_alu instid0(VALU_DEP_3) | instskip(SKIP_1) | instid1(VALU_DEP_2)
	v_cmp_neq_f16_e64 s1, 0, v6
	v_cvt_f32_f16_e32 v6, v6
	s_or_b32 s1, vcc_lo, s1
	s_delay_alu instid0(SALU_CYCLE_1)
	s_and_saveexec_b32 s6, s1
	s_cbranch_execz .LBB236_194
; %bb.165:
	v_mov_b32_e32 v8, 0x7f800000
	s_mov_b32 s7, exec_lo
	v_cmpx_neq_f32_e64 0x7f800000, |v6|
	s_cbranch_execz .LBB236_193
; %bb.166:
	v_cvt_f32_f16_e32 v8, v7
	s_mov_b32 s1, exec_lo
	v_cmpx_o_f16_e32 v7, v7
	s_xor_b32 s9, exec_lo, s1
	s_cbranch_execz .LBB236_190
; %bb.167:
	s_mov_b32 s2, exec_lo
	v_cmpx_neq_f32_e64 0x7f800000, |v8|
	s_xor_b32 s11, exec_lo, s2
	s_cbranch_execz .LBB236_183
; %bb.168:
	v_max_f32_e64 v7, |v6|, |v6|
	v_max_f32_e64 v9, |v8|, |v8|
                                        ; implicit-def: $sgpr12
	s_delay_alu instid0(VALU_DEP_1) | instskip(NEXT) | instid1(VALU_DEP_1)
	v_max_f32_e32 v7, v9, v7
	v_cmp_nle_f32_e64 s1, 0x7ed413cb, v7
	s_delay_alu instid0(VALU_DEP_1) | instskip(NEXT) | instid1(SALU_CYCLE_1)
	s_and_saveexec_b32 s2, s1
	s_xor_b32 s2, exec_lo, s2
	s_cbranch_execz .LBB236_172
; %bb.169:
	v_cmp_ge_f32_e64 s12, 0x1000000, |v8|
	v_cmp_ge_f32_e64 s13, 0x1000000, |v6|
	s_delay_alu instid0(VALU_DEP_1)
	s_and_b32 s14, s12, s13
	s_mov_b32 s12, 0
	s_and_saveexec_b32 s13, s14
; %bb.170:
	v_mul_f32_e32 v6, 4.0, v6
	v_mul_f32_e32 v8, 4.0, v8
	s_mov_b32 s12, exec_lo
; %bb.171:
	s_or_b32 exec_lo, exec_lo, s13
	s_delay_alu instid0(SALU_CYCLE_1)
	s_and_b32 s12, s12, exec_lo
.LBB236_172:
	s_and_not1_saveexec_b32 s2, s2
; %bb.173:
	v_mul_f32_e32 v8, 0x3e800000, v8
	v_mul_f32_e32 v6, 0x3e800000, v6
	s_and_not1_b32 s12, s12, exec_lo
; %bb.174:
	s_or_b32 exec_lo, exec_lo, s2
	s_delay_alu instid0(VALU_DEP_1) | instskip(SKIP_1) | instid1(VALU_DEP_1)
	v_max_f32_e64 v7, |v6|, |v6|
	v_max_f32_e64 v9, |v8|, |v8|
	v_max_f32_e32 v7, v9, v7
	s_delay_alu instid0(VALU_DEP_1) | instskip(SKIP_1) | instid1(VALU_DEP_2)
	v_cvt_f64_f32_e32 v[9:10], v7
	v_cmp_neq_f32_e64 s2, 0x7f800000, v7
                                        ; implicit-def: $vgpr7
	v_frexp_exp_i32_f64_e32 v9, v[9:10]
	s_delay_alu instid0(VALU_DEP_1) | instskip(NEXT) | instid1(VALU_DEP_1)
	v_sub_nc_u32_e32 v10, 0, v9
	v_ldexp_f32 v11, |v6|, v10
	v_ldexp_f32 v10, |v8|, v10
	s_delay_alu instid0(VALU_DEP_2) | instskip(NEXT) | instid1(VALU_DEP_1)
	v_mul_f32_e32 v11, v11, v11
	v_fmac_f32_e32 v11, v10, v10
	s_delay_alu instid0(VALU_DEP_1) | instskip(SKIP_2) | instid1(VALU_DEP_1)
	v_sqrt_f32_e32 v10, v11
	s_waitcnt_depctr 0xfff
	v_ldexp_f32 v9, v10, v9
	v_cndmask_b32_e64 v10, 0x7f800000, v9, s2
                                        ; implicit-def: $vgpr9
	s_mov_b32 s2, exec_lo
	v_cmpx_le_f32_e32 0, v8
	s_xor_b32 s13, exec_lo, s2
	s_cbranch_execz .LBB236_176
; %bb.175:
	v_add_f32_e32 v7, v8, v10
	s_delay_alu instid0(VALU_DEP_1) | instskip(NEXT) | instid1(VALU_DEP_1)
	v_mul_f32_e32 v7, 0.5, v7
	v_mul_f32_e32 v8, 0x4f800000, v7
	v_cmp_gt_f32_e32 vcc_lo, 0xf800000, v7
	s_delay_alu instid0(VALU_DEP_2) | instskip(NEXT) | instid1(VALU_DEP_1)
	v_cndmask_b32_e32 v7, v7, v8, vcc_lo
	v_sqrt_f32_e32 v8, v7
	s_waitcnt_depctr 0xfff
	v_add_nc_u32_e32 v9, -1, v8
	v_add_nc_u32_e32 v10, 1, v8
	s_delay_alu instid0(VALU_DEP_2) | instskip(NEXT) | instid1(VALU_DEP_2)
	v_fma_f32 v11, -v9, v8, v7
	v_fma_f32 v12, -v10, v8, v7
	s_delay_alu instid0(VALU_DEP_2) | instskip(NEXT) | instid1(VALU_DEP_1)
	v_cmp_ge_f32_e64 s2, 0, v11
	v_cndmask_b32_e64 v8, v8, v9, s2
	s_delay_alu instid0(VALU_DEP_3) | instskip(NEXT) | instid1(VALU_DEP_1)
	v_cmp_lt_f32_e64 s2, 0, v12
	v_cndmask_b32_e64 v8, v8, v10, s2
	s_delay_alu instid0(VALU_DEP_1) | instskip(NEXT) | instid1(VALU_DEP_1)
	v_mul_f32_e32 v9, 0x37800000, v8
	v_cndmask_b32_e32 v8, v8, v9, vcc_lo
	v_cmp_class_f32_e64 vcc_lo, v7, 0x260
	s_delay_alu instid0(VALU_DEP_2) | instskip(NEXT) | instid1(VALU_DEP_1)
	v_cndmask_b32_e32 v7, v8, v7, vcc_lo
	v_add_f32_e32 v8, v7, v7
	s_delay_alu instid0(VALU_DEP_1) | instskip(NEXT) | instid1(VALU_DEP_1)
	v_div_scale_f32 v9, null, v8, v8, v6
	v_rcp_f32_e32 v10, v9
	s_waitcnt_depctr 0xfff
	v_fma_f32 v11, -v9, v10, 1.0
	s_delay_alu instid0(VALU_DEP_1) | instskip(SKIP_1) | instid1(VALU_DEP_1)
	v_fmac_f32_e32 v10, v11, v10
	v_div_scale_f32 v11, vcc_lo, v6, v8, v6
	v_mul_f32_e32 v12, v11, v10
	s_delay_alu instid0(VALU_DEP_1) | instskip(NEXT) | instid1(VALU_DEP_1)
	v_fma_f32 v13, -v9, v12, v11
	v_fmac_f32_e32 v12, v13, v10
	s_delay_alu instid0(VALU_DEP_1) | instskip(NEXT) | instid1(VALU_DEP_1)
	v_fma_f32 v9, -v9, v12, v11
	v_div_fmas_f32 v9, v9, v10, v12
                                        ; implicit-def: $vgpr10
	s_delay_alu instid0(VALU_DEP_1)
	v_div_fixup_f32 v9, v9, v8, v6
                                        ; implicit-def: $vgpr8
                                        ; implicit-def: $vgpr6
	s_and_not1_saveexec_b32 s13, s13
	s_cbranch_execz .LBB236_178
	s_branch .LBB236_177
.LBB236_176:
	s_and_not1_saveexec_b32 s13, s13
	s_cbranch_execz .LBB236_178
.LBB236_177:
	v_sub_f32_e32 v7, v10, v8
	s_delay_alu instid0(VALU_DEP_1) | instskip(NEXT) | instid1(VALU_DEP_1)
	v_mul_f32_e32 v7, 0.5, v7
	v_mul_f32_e32 v8, 0x4f800000, v7
	v_cmp_gt_f32_e32 vcc_lo, 0xf800000, v7
	s_delay_alu instid0(VALU_DEP_2) | instskip(NEXT) | instid1(VALU_DEP_1)
	v_cndmask_b32_e32 v7, v7, v8, vcc_lo
	v_sqrt_f32_e32 v8, v7
	s_waitcnt_depctr 0xfff
	v_add_nc_u32_e32 v9, -1, v8
	v_add_nc_u32_e32 v10, 1, v8
	s_delay_alu instid0(VALU_DEP_2) | instskip(NEXT) | instid1(VALU_DEP_2)
	v_fma_f32 v11, -v9, v8, v7
	v_fma_f32 v12, -v10, v8, v7
	s_delay_alu instid0(VALU_DEP_2) | instskip(NEXT) | instid1(VALU_DEP_1)
	v_cmp_ge_f32_e64 s2, 0, v11
	v_cndmask_b32_e64 v8, v8, v9, s2
	s_delay_alu instid0(VALU_DEP_3) | instskip(NEXT) | instid1(VALU_DEP_1)
	v_cmp_lt_f32_e64 s2, 0, v12
	v_cndmask_b32_e64 v8, v8, v10, s2
	s_delay_alu instid0(VALU_DEP_1) | instskip(NEXT) | instid1(VALU_DEP_1)
	v_mul_f32_e32 v9, 0x37800000, v8
	v_cndmask_b32_e32 v8, v8, v9, vcc_lo
	v_cmp_class_f32_e64 vcc_lo, v7, 0x260
	s_delay_alu instid0(VALU_DEP_2) | instskip(NEXT) | instid1(VALU_DEP_1)
	v_dual_cndmask_b32 v8, v8, v7 :: v_dual_and_b32 v7, 0x7fffffff, v6
	v_add_f32_e32 v9, v8, v8
	s_delay_alu instid0(VALU_DEP_1) | instskip(SKIP_1) | instid1(VALU_DEP_2)
	v_div_scale_f32 v10, null, v9, v9, v7
	v_div_scale_f32 v7, vcc_lo, v7, v9, v7
	v_rcp_f32_e32 v11, v10
	s_waitcnt_depctr 0xfff
	v_fma_f32 v12, -v10, v11, 1.0
	s_delay_alu instid0(VALU_DEP_1) | instskip(NEXT) | instid1(VALU_DEP_1)
	v_fmac_f32_e32 v11, v12, v11
	v_mul_f32_e32 v12, v7, v11
	s_delay_alu instid0(VALU_DEP_1) | instskip(NEXT) | instid1(VALU_DEP_1)
	v_fma_f32 v13, -v10, v12, v7
	v_fmac_f32_e32 v12, v13, v11
	s_delay_alu instid0(VALU_DEP_1) | instskip(NEXT) | instid1(VALU_DEP_1)
	v_fma_f32 v7, -v10, v12, v7
	v_div_fmas_f32 v7, v7, v11, v12
	s_delay_alu instid0(VALU_DEP_1)
	v_div_fixup_f32 v7, v7, v9, |v6|
	v_bfi_b32 v9, 0x7fffffff, v8, v6
.LBB236_178:
	s_or_b32 exec_lo, exec_lo, s13
                                        ; implicit-def: $vgpr6
                                        ; implicit-def: $vgpr8
	s_and_saveexec_b32 s2, s1
	s_delay_alu instid0(SALU_CYCLE_1)
	s_xor_b32 s1, exec_lo, s2
	s_cbranch_execz .LBB236_180
; %bb.179:
	v_mul_f32_e32 v6, 0.5, v7
	v_mul_f32_e32 v10, 0.5, v9
	s_delay_alu instid0(VALU_DEP_2) | instskip(NEXT) | instid1(VALU_DEP_2)
	v_cndmask_b32_e64 v8, v7, v6, s12
	v_cndmask_b32_e64 v6, v9, v10, s12
                                        ; implicit-def: $vgpr7
                                        ; implicit-def: $vgpr9
	s_and_not1_saveexec_b32 s1, s1
	s_cbranch_execnz .LBB236_181
	s_branch .LBB236_182
.LBB236_180:
	s_and_not1_saveexec_b32 s1, s1
.LBB236_181:
	v_add_f32_e32 v8, v7, v7
	v_add_f32_e32 v6, v9, v9
.LBB236_182:
	s_or_b32 exec_lo, exec_lo, s1
                                        ; implicit-def: $vgpr7
.LBB236_183:
	s_and_not1_saveexec_b32 s1, s11
	s_cbranch_execz .LBB236_189
; %bb.184:
	v_cmp_lt_i16_e32 vcc_lo, -1, v7
	v_sub_f32_e32 v7, v6, v6
	s_and_saveexec_b32 s2, vcc_lo
	s_delay_alu instid0(SALU_CYCLE_1)
	s_xor_b32 s2, exec_lo, s2
; %bb.185:
	s_delay_alu instid0(VALU_DEP_1)
	v_bfi_b32 v6, 0x7fffffff, v7, v6
                                        ; implicit-def: $vgpr7
; %bb.186:
	s_and_not1_saveexec_b32 s2, s2
; %bb.187:
	v_and_b32_e32 v7, 0x7fffffff, v7
	s_delay_alu instid0(VALU_DEP_2) | instskip(NEXT) | instid1(VALU_DEP_2)
	v_bfi_b32 v6, 0x7fffffff, v8, v6
	v_mov_b32_e32 v8, v7
; %bb.188:
	s_or_b32 exec_lo, exec_lo, s2
.LBB236_189:
	s_delay_alu instid0(SALU_CYCLE_1)
	s_or_b32 exec_lo, exec_lo, s1
.LBB236_190:
	s_and_not1_saveexec_b32 s1, s9
; %bb.191:
	v_sub_f32_e32 v6, v6, v6
	s_delay_alu instid0(VALU_DEP_1) | instskip(NEXT) | instid1(VALU_DEP_1)
	v_div_scale_f32 v7, vcc_lo, v6, v6, v6
	v_rcp_f32_e32 v9, v7
	s_waitcnt_depctr 0xfff
	v_fma_f32 v10, -v7, v9, 1.0
	s_delay_alu instid0(VALU_DEP_1) | instskip(NEXT) | instid1(VALU_DEP_1)
	v_fmac_f32_e32 v9, v10, v9
	v_mul_f32_e32 v10, v7, v9
	s_delay_alu instid0(VALU_DEP_1) | instskip(NEXT) | instid1(VALU_DEP_1)
	v_fma_f32 v11, -v7, v10, v7
	v_fmac_f32_e32 v10, v11, v9
	s_delay_alu instid0(VALU_DEP_1) | instskip(NEXT) | instid1(VALU_DEP_1)
	v_fma_f32 v7, -v7, v10, v7
	v_div_fmas_f32 v7, v7, v9, v10
	s_delay_alu instid0(VALU_DEP_1)
	v_div_fixup_f32 v6, v7, v6, v6
; %bb.192:
	s_or_b32 exec_lo, exec_lo, s1
.LBB236_193:
	s_delay_alu instid0(SALU_CYCLE_1)
	s_or_b32 exec_lo, exec_lo, s7
.LBB236_194:
	s_delay_alu instid0(SALU_CYCLE_1) | instskip(NEXT) | instid1(VALU_DEP_1)
	s_or_b32 exec_lo, exec_lo, s6
	v_cvt_f16_f32_e32 v6, v6
	v_cvt_f16_f32_e32 v7, v8
	s_delay_alu instid0(VALU_DEP_2) | instskip(NEXT) | instid1(VALU_DEP_2)
	v_lshlrev_b32_e32 v6, 16, v6
	v_and_b32_e32 v7, 0xffff, v7
	s_delay_alu instid0(VALU_DEP_1)
	v_or_b32_e32 v6, v6, v7
.LBB236_195:
	s_or_b32 exec_lo, exec_lo, s3
	s_waitcnt vmcnt(0)
	v_or_b32_e32 v7, 0x200, v0
	s_delay_alu instid0(VALU_DEP_1)
	v_cmp_gt_i32_e32 vcc_lo, s10, v7
                                        ; implicit-def: $vgpr7
	s_and_saveexec_b32 s3, vcc_lo
	s_cbranch_execz .LBB236_227
; %bb.196:
	v_lshrrev_b32_e32 v7, 16, v5
	v_cmp_neq_f16_e32 vcc_lo, 0, v5
	v_mov_b32_e32 v8, 0
	s_delay_alu instid0(VALU_DEP_3) | instskip(SKIP_1) | instid1(VALU_DEP_2)
	v_cmp_neq_f16_e64 s1, 0, v7
	v_cvt_f32_f16_e32 v7, v7
	s_or_b32 s1, vcc_lo, s1
	s_delay_alu instid0(SALU_CYCLE_1)
	s_and_saveexec_b32 s6, s1
	s_cbranch_execz .LBB236_226
; %bb.197:
	v_mov_b32_e32 v8, 0x7f800000
	s_mov_b32 s7, exec_lo
	v_cmpx_neq_f32_e64 0x7f800000, |v7|
	s_cbranch_execz .LBB236_225
; %bb.198:
	v_cvt_f32_f16_e32 v8, v5
	s_mov_b32 s1, exec_lo
	v_cmpx_o_f16_e32 v5, v5
	s_xor_b32 s9, exec_lo, s1
	s_cbranch_execz .LBB236_222
; %bb.199:
	s_mov_b32 s2, exec_lo
	v_cmpx_neq_f32_e64 0x7f800000, |v8|
	s_xor_b32 s11, exec_lo, s2
	s_cbranch_execz .LBB236_215
; %bb.200:
	v_max_f32_e64 v5, |v7|, |v7|
	v_max_f32_e64 v9, |v8|, |v8|
                                        ; implicit-def: $sgpr12
	s_delay_alu instid0(VALU_DEP_1) | instskip(NEXT) | instid1(VALU_DEP_1)
	v_max_f32_e32 v5, v9, v5
	v_cmp_nle_f32_e64 s1, 0x7ed413cb, v5
	s_delay_alu instid0(VALU_DEP_1) | instskip(NEXT) | instid1(SALU_CYCLE_1)
	s_and_saveexec_b32 s2, s1
	s_xor_b32 s2, exec_lo, s2
	s_cbranch_execz .LBB236_204
; %bb.201:
	v_cmp_ge_f32_e64 s12, 0x1000000, |v8|
	v_cmp_ge_f32_e64 s13, 0x1000000, |v7|
	s_delay_alu instid0(VALU_DEP_1)
	s_and_b32 s14, s12, s13
	s_mov_b32 s12, 0
	s_and_saveexec_b32 s13, s14
; %bb.202:
	v_dual_mul_f32 v7, 4.0, v7 :: v_dual_mul_f32 v8, 4.0, v8
	s_mov_b32 s12, exec_lo
; %bb.203:
	s_or_b32 exec_lo, exec_lo, s13
	s_delay_alu instid0(SALU_CYCLE_1)
	s_and_b32 s12, s12, exec_lo
.LBB236_204:
	s_and_not1_saveexec_b32 s2, s2
; %bb.205:
	v_dual_mul_f32 v8, 0x3e800000, v8 :: v_dual_mul_f32 v7, 0x3e800000, v7
	s_and_not1_b32 s12, s12, exec_lo
; %bb.206:
	s_or_b32 exec_lo, exec_lo, s2
	s_delay_alu instid0(VALU_DEP_1) | instskip(NEXT) | instid1(VALU_DEP_2)
	v_max_f32_e64 v5, |v7|, |v7|
	v_max_f32_e64 v9, |v8|, |v8|
	s_delay_alu instid0(VALU_DEP_1) | instskip(NEXT) | instid1(VALU_DEP_1)
	v_max_f32_e32 v5, v9, v5
	v_cvt_f64_f32_e32 v[9:10], v5
	v_cmp_neq_f32_e64 s2, 0x7f800000, v5
                                        ; implicit-def: $vgpr5
	s_delay_alu instid0(VALU_DEP_2) | instskip(NEXT) | instid1(VALU_DEP_1)
	v_frexp_exp_i32_f64_e32 v9, v[9:10]
	v_sub_nc_u32_e32 v10, 0, v9
	s_delay_alu instid0(VALU_DEP_1) | instskip(SKIP_1) | instid1(VALU_DEP_2)
	v_ldexp_f32 v11, |v7|, v10
	v_ldexp_f32 v10, |v8|, v10
	v_mul_f32_e32 v11, v11, v11
	s_delay_alu instid0(VALU_DEP_1) | instskip(NEXT) | instid1(VALU_DEP_1)
	v_fmac_f32_e32 v11, v10, v10
	v_sqrt_f32_e32 v10, v11
	s_waitcnt_depctr 0xfff
	v_ldexp_f32 v9, v10, v9
	s_delay_alu instid0(VALU_DEP_1)
	v_cndmask_b32_e64 v10, 0x7f800000, v9, s2
                                        ; implicit-def: $vgpr9
	s_mov_b32 s2, exec_lo
	v_cmpx_le_f32_e32 0, v8
	s_xor_b32 s13, exec_lo, s2
	s_cbranch_execz .LBB236_208
; %bb.207:
	v_add_f32_e32 v5, v8, v10
	s_delay_alu instid0(VALU_DEP_1) | instskip(NEXT) | instid1(VALU_DEP_1)
	v_mul_f32_e32 v5, 0.5, v5
	v_mul_f32_e32 v8, 0x4f800000, v5
	v_cmp_gt_f32_e32 vcc_lo, 0xf800000, v5
	s_delay_alu instid0(VALU_DEP_2) | instskip(NEXT) | instid1(VALU_DEP_1)
	v_cndmask_b32_e32 v5, v5, v8, vcc_lo
	v_sqrt_f32_e32 v8, v5
	s_waitcnt_depctr 0xfff
	v_add_nc_u32_e32 v9, -1, v8
	v_add_nc_u32_e32 v10, 1, v8
	s_delay_alu instid0(VALU_DEP_2) | instskip(NEXT) | instid1(VALU_DEP_2)
	v_fma_f32 v11, -v9, v8, v5
	v_fma_f32 v12, -v10, v8, v5
	s_delay_alu instid0(VALU_DEP_2) | instskip(NEXT) | instid1(VALU_DEP_1)
	v_cmp_ge_f32_e64 s2, 0, v11
	v_cndmask_b32_e64 v8, v8, v9, s2
	s_delay_alu instid0(VALU_DEP_3) | instskip(NEXT) | instid1(VALU_DEP_1)
	v_cmp_lt_f32_e64 s2, 0, v12
	v_cndmask_b32_e64 v8, v8, v10, s2
	s_delay_alu instid0(VALU_DEP_1) | instskip(NEXT) | instid1(VALU_DEP_1)
	v_mul_f32_e32 v9, 0x37800000, v8
	v_cndmask_b32_e32 v8, v8, v9, vcc_lo
	v_cmp_class_f32_e64 vcc_lo, v5, 0x260
	s_delay_alu instid0(VALU_DEP_2) | instskip(NEXT) | instid1(VALU_DEP_1)
	v_cndmask_b32_e32 v5, v8, v5, vcc_lo
	v_add_f32_e32 v8, v5, v5
	s_delay_alu instid0(VALU_DEP_1) | instskip(NEXT) | instid1(VALU_DEP_1)
	v_div_scale_f32 v9, null, v8, v8, v7
	v_rcp_f32_e32 v10, v9
	s_waitcnt_depctr 0xfff
	v_fma_f32 v11, -v9, v10, 1.0
	s_delay_alu instid0(VALU_DEP_1) | instskip(SKIP_1) | instid1(VALU_DEP_1)
	v_fmac_f32_e32 v10, v11, v10
	v_div_scale_f32 v11, vcc_lo, v7, v8, v7
	v_mul_f32_e32 v12, v11, v10
	s_delay_alu instid0(VALU_DEP_1) | instskip(NEXT) | instid1(VALU_DEP_1)
	v_fma_f32 v13, -v9, v12, v11
	v_fmac_f32_e32 v12, v13, v10
	s_delay_alu instid0(VALU_DEP_1) | instskip(NEXT) | instid1(VALU_DEP_1)
	v_fma_f32 v9, -v9, v12, v11
	v_div_fmas_f32 v9, v9, v10, v12
                                        ; implicit-def: $vgpr10
	s_delay_alu instid0(VALU_DEP_1)
	v_div_fixup_f32 v9, v9, v8, v7
                                        ; implicit-def: $vgpr8
                                        ; implicit-def: $vgpr7
	s_and_not1_saveexec_b32 s13, s13
	s_cbranch_execz .LBB236_210
	s_branch .LBB236_209
.LBB236_208:
	s_and_not1_saveexec_b32 s13, s13
	s_cbranch_execz .LBB236_210
.LBB236_209:
	v_sub_f32_e32 v5, v10, v8
	s_delay_alu instid0(VALU_DEP_1) | instskip(NEXT) | instid1(VALU_DEP_1)
	v_mul_f32_e32 v5, 0.5, v5
	v_mul_f32_e32 v8, 0x4f800000, v5
	v_cmp_gt_f32_e32 vcc_lo, 0xf800000, v5
	s_delay_alu instid0(VALU_DEP_2) | instskip(NEXT) | instid1(VALU_DEP_1)
	v_cndmask_b32_e32 v5, v5, v8, vcc_lo
	v_sqrt_f32_e32 v8, v5
	s_waitcnt_depctr 0xfff
	v_add_nc_u32_e32 v9, -1, v8
	v_add_nc_u32_e32 v10, 1, v8
	s_delay_alu instid0(VALU_DEP_2) | instskip(NEXT) | instid1(VALU_DEP_2)
	v_fma_f32 v11, -v9, v8, v5
	v_fma_f32 v12, -v10, v8, v5
	s_delay_alu instid0(VALU_DEP_2) | instskip(NEXT) | instid1(VALU_DEP_1)
	v_cmp_ge_f32_e64 s2, 0, v11
	v_cndmask_b32_e64 v8, v8, v9, s2
	s_delay_alu instid0(VALU_DEP_3) | instskip(NEXT) | instid1(VALU_DEP_1)
	v_cmp_lt_f32_e64 s2, 0, v12
	v_cndmask_b32_e64 v8, v8, v10, s2
	s_delay_alu instid0(VALU_DEP_1) | instskip(NEXT) | instid1(VALU_DEP_1)
	v_mul_f32_e32 v9, 0x37800000, v8
	v_cndmask_b32_e32 v8, v8, v9, vcc_lo
	v_cmp_class_f32_e64 vcc_lo, v5, 0x260
	s_delay_alu instid0(VALU_DEP_2) | instskip(NEXT) | instid1(VALU_DEP_1)
	v_dual_cndmask_b32 v8, v8, v5 :: v_dual_and_b32 v5, 0x7fffffff, v7
	v_add_f32_e32 v9, v8, v8
	s_delay_alu instid0(VALU_DEP_1) | instskip(SKIP_1) | instid1(VALU_DEP_2)
	v_div_scale_f32 v10, null, v9, v9, v5
	v_div_scale_f32 v5, vcc_lo, v5, v9, v5
	v_rcp_f32_e32 v11, v10
	s_waitcnt_depctr 0xfff
	v_fma_f32 v12, -v10, v11, 1.0
	s_delay_alu instid0(VALU_DEP_1) | instskip(NEXT) | instid1(VALU_DEP_1)
	v_fmac_f32_e32 v11, v12, v11
	v_mul_f32_e32 v12, v5, v11
	s_delay_alu instid0(VALU_DEP_1) | instskip(NEXT) | instid1(VALU_DEP_1)
	v_fma_f32 v13, -v10, v12, v5
	v_fmac_f32_e32 v12, v13, v11
	s_delay_alu instid0(VALU_DEP_1) | instskip(NEXT) | instid1(VALU_DEP_1)
	v_fma_f32 v5, -v10, v12, v5
	v_div_fmas_f32 v5, v5, v11, v12
	s_delay_alu instid0(VALU_DEP_1)
	v_div_fixup_f32 v5, v5, v9, |v7|
	v_bfi_b32 v9, 0x7fffffff, v8, v7
.LBB236_210:
	s_or_b32 exec_lo, exec_lo, s13
                                        ; implicit-def: $vgpr7
                                        ; implicit-def: $vgpr8
	s_and_saveexec_b32 s2, s1
	s_delay_alu instid0(SALU_CYCLE_1)
	s_xor_b32 s1, exec_lo, s2
	s_cbranch_execz .LBB236_212
; %bb.211:
	v_mul_f32_e32 v7, 0.5, v5
	v_mul_f32_e32 v10, 0.5, v9
	s_delay_alu instid0(VALU_DEP_2) | instskip(NEXT) | instid1(VALU_DEP_2)
	v_cndmask_b32_e64 v8, v5, v7, s12
	v_cndmask_b32_e64 v7, v9, v10, s12
                                        ; implicit-def: $vgpr5
                                        ; implicit-def: $vgpr9
	s_and_not1_saveexec_b32 s1, s1
	s_cbranch_execnz .LBB236_213
	s_branch .LBB236_214
.LBB236_212:
	s_and_not1_saveexec_b32 s1, s1
.LBB236_213:
	v_add_f32_e32 v8, v5, v5
	v_add_f32_e32 v7, v9, v9
.LBB236_214:
	s_or_b32 exec_lo, exec_lo, s1
                                        ; implicit-def: $vgpr5
.LBB236_215:
	s_and_not1_saveexec_b32 s1, s11
	s_cbranch_execz .LBB236_221
; %bb.216:
	v_cmp_lt_i16_e32 vcc_lo, -1, v5
	v_sub_f32_e32 v5, v7, v7
	s_and_saveexec_b32 s2, vcc_lo
	s_delay_alu instid0(SALU_CYCLE_1)
	s_xor_b32 s2, exec_lo, s2
; %bb.217:
	s_delay_alu instid0(VALU_DEP_1)
	v_bfi_b32 v7, 0x7fffffff, v5, v7
                                        ; implicit-def: $vgpr5
; %bb.218:
	s_and_not1_saveexec_b32 s2, s2
; %bb.219:
	v_and_b32_e32 v5, 0x7fffffff, v5
	s_delay_alu instid0(VALU_DEP_2) | instskip(NEXT) | instid1(VALU_DEP_2)
	v_bfi_b32 v7, 0x7fffffff, v8, v7
	v_mov_b32_e32 v8, v5
; %bb.220:
	s_or_b32 exec_lo, exec_lo, s2
.LBB236_221:
	s_delay_alu instid0(SALU_CYCLE_1)
	s_or_b32 exec_lo, exec_lo, s1
.LBB236_222:
	s_and_not1_saveexec_b32 s1, s9
; %bb.223:
	v_sub_f32_e32 v5, v7, v7
	s_delay_alu instid0(VALU_DEP_1) | instskip(NEXT) | instid1(VALU_DEP_1)
	v_div_scale_f32 v7, vcc_lo, v5, v5, v5
	v_rcp_f32_e32 v9, v7
	s_waitcnt_depctr 0xfff
	v_fma_f32 v10, -v7, v9, 1.0
	s_delay_alu instid0(VALU_DEP_1) | instskip(NEXT) | instid1(VALU_DEP_1)
	v_fmac_f32_e32 v9, v10, v9
	v_mul_f32_e32 v10, v7, v9
	s_delay_alu instid0(VALU_DEP_1) | instskip(NEXT) | instid1(VALU_DEP_1)
	v_fma_f32 v11, -v7, v10, v7
	v_fmac_f32_e32 v10, v11, v9
	s_delay_alu instid0(VALU_DEP_1) | instskip(NEXT) | instid1(VALU_DEP_1)
	v_fma_f32 v7, -v7, v10, v7
	v_div_fmas_f32 v7, v7, v9, v10
	s_delay_alu instid0(VALU_DEP_1)
	v_div_fixup_f32 v7, v7, v5, v5
; %bb.224:
	s_or_b32 exec_lo, exec_lo, s1
.LBB236_225:
	s_delay_alu instid0(SALU_CYCLE_1)
	s_or_b32 exec_lo, exec_lo, s7
.LBB236_226:
	s_delay_alu instid0(SALU_CYCLE_1) | instskip(NEXT) | instid1(VALU_DEP_1)
	s_or_b32 exec_lo, exec_lo, s6
	v_cvt_f16_f32_e32 v5, v7
	v_cvt_f16_f32_e32 v7, v8
	s_delay_alu instid0(VALU_DEP_2) | instskip(NEXT) | instid1(VALU_DEP_2)
	v_lshlrev_b32_e32 v5, 16, v5
	v_and_b32_e32 v7, 0xffff, v7
	s_delay_alu instid0(VALU_DEP_1)
	v_or_b32_e32 v7, v5, v7
.LBB236_227:
	s_or_b32 exec_lo, exec_lo, s3
	v_or_b32_e32 v5, 0x300, v0
	s_delay_alu instid0(VALU_DEP_1)
	v_cmp_gt_i32_e32 vcc_lo, s10, v5
                                        ; implicit-def: $vgpr5
	s_and_saveexec_b32 s3, vcc_lo
	s_cbranch_execz .LBB236_240
; %bb.228:
	v_lshrrev_b32_e32 v5, 16, v2
	v_cmp_neq_f16_e32 vcc_lo, 0, v2
	v_mov_b32_e32 v8, 0
	s_delay_alu instid0(VALU_DEP_3) | instskip(SKIP_1) | instid1(VALU_DEP_2)
	v_cmp_neq_f16_e64 s1, 0, v5
	v_cvt_f32_f16_e32 v5, v5
	s_or_b32 s1, vcc_lo, s1
	s_delay_alu instid0(SALU_CYCLE_1)
	s_and_saveexec_b32 s6, s1
	s_cbranch_execz .LBB236_262
; %bb.229:
	v_mov_b32_e32 v8, 0x7f800000
	s_mov_b32 s7, exec_lo
	v_cmpx_neq_f32_e64 0x7f800000, |v5|
	s_cbranch_execz .LBB236_261
; %bb.230:
	v_cvt_f32_f16_e32 v8, v2
	s_mov_b32 s1, exec_lo
	v_cmpx_o_f16_e32 v2, v2
	s_xor_b32 s9, exec_lo, s1
	s_cbranch_execz .LBB236_258
; %bb.231:
	s_mov_b32 s2, exec_lo
	v_cmpx_neq_f32_e64 0x7f800000, |v8|
	s_xor_b32 s11, exec_lo, s2
	s_cbranch_execz .LBB236_251
; %bb.232:
	v_max_f32_e64 v2, |v5|, |v5|
	v_max_f32_e64 v9, |v8|, |v8|
                                        ; implicit-def: $sgpr12
	s_delay_alu instid0(VALU_DEP_1) | instskip(NEXT) | instid1(VALU_DEP_1)
	v_max_f32_e32 v2, v9, v2
	v_cmp_nle_f32_e64 s1, 0x7ed413cb, v2
	s_delay_alu instid0(VALU_DEP_1) | instskip(NEXT) | instid1(SALU_CYCLE_1)
	s_and_saveexec_b32 s2, s1
	s_xor_b32 s2, exec_lo, s2
	s_cbranch_execz .LBB236_236
; %bb.233:
	v_cmp_ge_f32_e64 s12, 0x1000000, |v8|
	v_cmp_ge_f32_e64 s13, 0x1000000, |v5|
	s_delay_alu instid0(VALU_DEP_1)
	s_and_b32 s14, s12, s13
	s_mov_b32 s12, 0
	s_and_saveexec_b32 s13, s14
; %bb.234:
	v_dual_mul_f32 v5, 4.0, v5 :: v_dual_mul_f32 v8, 4.0, v8
	s_mov_b32 s12, exec_lo
; %bb.235:
	s_or_b32 exec_lo, exec_lo, s13
	s_delay_alu instid0(SALU_CYCLE_1)
	s_and_b32 s12, s12, exec_lo
.LBB236_236:
	s_and_not1_saveexec_b32 s2, s2
; %bb.237:
	v_dual_mul_f32 v8, 0x3e800000, v8 :: v_dual_mul_f32 v5, 0x3e800000, v5
	s_and_not1_b32 s12, s12, exec_lo
; %bb.238:
	s_or_b32 exec_lo, exec_lo, s2
	s_delay_alu instid0(VALU_DEP_1) | instskip(NEXT) | instid1(VALU_DEP_2)
	v_max_f32_e64 v2, |v5|, |v5|
	v_max_f32_e64 v9, |v8|, |v8|
	s_delay_alu instid0(VALU_DEP_1) | instskip(NEXT) | instid1(VALU_DEP_1)
	v_max_f32_e32 v2, v9, v2
	v_cvt_f64_f32_e32 v[9:10], v2
	s_delay_alu instid0(VALU_DEP_1) | instskip(NEXT) | instid1(VALU_DEP_1)
	v_frexp_exp_i32_f64_e32 v9, v[9:10]
	v_sub_nc_u32_e32 v10, 0, v9
	s_delay_alu instid0(VALU_DEP_1) | instskip(SKIP_1) | instid1(VALU_DEP_2)
	v_ldexp_f32 v11, |v5|, v10
	v_ldexp_f32 v10, |v8|, v10
	v_mul_f32_e32 v11, v11, v11
	v_cmp_neq_f32_e64 s2, 0x7f800000, v2
                                        ; implicit-def: $vgpr2
	s_delay_alu instid0(VALU_DEP_2) | instskip(NEXT) | instid1(VALU_DEP_1)
	v_fmac_f32_e32 v11, v10, v10
	v_sqrt_f32_e32 v10, v11
	s_waitcnt_depctr 0xfff
	v_ldexp_f32 v9, v10, v9
	s_delay_alu instid0(VALU_DEP_1)
	v_cndmask_b32_e64 v10, 0x7f800000, v9, s2
                                        ; implicit-def: $vgpr9
	s_mov_b32 s2, exec_lo
	v_cmpx_le_f32_e32 0, v8
	s_xor_b32 s13, exec_lo, s2
	s_cbranch_execz .LBB236_244
; %bb.239:
	v_add_f32_e32 v2, v8, v10
	s_delay_alu instid0(VALU_DEP_1) | instskip(NEXT) | instid1(VALU_DEP_1)
	v_mul_f32_e32 v2, 0.5, v2
	v_mul_f32_e32 v8, 0x4f800000, v2
	v_cmp_gt_f32_e32 vcc_lo, 0xf800000, v2
	s_delay_alu instid0(VALU_DEP_2) | instskip(NEXT) | instid1(VALU_DEP_1)
	v_cndmask_b32_e32 v2, v2, v8, vcc_lo
	v_sqrt_f32_e32 v8, v2
	s_waitcnt_depctr 0xfff
	v_add_nc_u32_e32 v9, -1, v8
	v_add_nc_u32_e32 v10, 1, v8
	s_delay_alu instid0(VALU_DEP_2) | instskip(NEXT) | instid1(VALU_DEP_2)
	v_fma_f32 v11, -v9, v8, v2
	v_fma_f32 v12, -v10, v8, v2
	s_delay_alu instid0(VALU_DEP_2) | instskip(NEXT) | instid1(VALU_DEP_1)
	v_cmp_ge_f32_e64 s2, 0, v11
	v_cndmask_b32_e64 v8, v8, v9, s2
	s_delay_alu instid0(VALU_DEP_3) | instskip(NEXT) | instid1(VALU_DEP_1)
	v_cmp_lt_f32_e64 s2, 0, v12
	v_cndmask_b32_e64 v8, v8, v10, s2
	s_delay_alu instid0(VALU_DEP_1) | instskip(NEXT) | instid1(VALU_DEP_1)
	v_mul_f32_e32 v9, 0x37800000, v8
	v_cndmask_b32_e32 v8, v8, v9, vcc_lo
	v_cmp_class_f32_e64 vcc_lo, v2, 0x260
	s_delay_alu instid0(VALU_DEP_2) | instskip(NEXT) | instid1(VALU_DEP_1)
	v_cndmask_b32_e32 v2, v8, v2, vcc_lo
	v_add_f32_e32 v8, v2, v2
	s_delay_alu instid0(VALU_DEP_1) | instskip(NEXT) | instid1(VALU_DEP_1)
	v_div_scale_f32 v9, null, v8, v8, v5
	v_rcp_f32_e32 v10, v9
	s_waitcnt_depctr 0xfff
	v_fma_f32 v11, -v9, v10, 1.0
	s_delay_alu instid0(VALU_DEP_1) | instskip(SKIP_1) | instid1(VALU_DEP_1)
	v_fmac_f32_e32 v10, v11, v10
	v_div_scale_f32 v11, vcc_lo, v5, v8, v5
	v_mul_f32_e32 v12, v11, v10
	s_delay_alu instid0(VALU_DEP_1) | instskip(NEXT) | instid1(VALU_DEP_1)
	v_fma_f32 v13, -v9, v12, v11
	v_fmac_f32_e32 v12, v13, v10
	s_delay_alu instid0(VALU_DEP_1) | instskip(NEXT) | instid1(VALU_DEP_1)
	v_fma_f32 v9, -v9, v12, v11
	v_div_fmas_f32 v9, v9, v10, v12
                                        ; implicit-def: $vgpr10
	s_delay_alu instid0(VALU_DEP_1)
	v_div_fixup_f32 v9, v9, v8, v5
                                        ; implicit-def: $vgpr8
                                        ; implicit-def: $vgpr5
	s_and_not1_saveexec_b32 s13, s13
	s_cbranch_execz .LBB236_246
	s_branch .LBB236_245
.LBB236_240:
	s_or_b32 exec_lo, exec_lo, s3
	s_and_saveexec_b32 s1, s0
	s_delay_alu instid0(SALU_CYCLE_1)
	s_xor_b32 s0, exec_lo, s1
	s_cbranch_execz .LBB236_263
.LBB236_241:
	v_mov_b32_e32 v2, 0
	s_delay_alu instid0(VALU_DEP_1) | instskip(NEXT) | instid1(VALU_DEP_1)
	v_lshlrev_b64 v[0:1], 2, v[1:2]
	v_add_co_u32 v8, vcc_lo, s4, v0
	s_delay_alu instid0(VALU_DEP_2) | instskip(SKIP_3) | instid1(SALU_CYCLE_1)
	v_add_co_ci_u32_e32 v9, vcc_lo, s5, v1, vcc_lo
	v_mov_b32_e32 v0, v3
	global_store_b32 v[8:9], v4, off
	s_or_b32 exec_lo, exec_lo, s0
	s_mov_b32 s0, exec_lo
	v_cmpx_gt_i32_e64 s10, v0
	s_cbranch_execnz .LBB236_264
.LBB236_242:
	s_or_b32 exec_lo, exec_lo, s0
	s_delay_alu instid0(SALU_CYCLE_1)
	s_mov_b32 s0, exec_lo
	v_cmpx_gt_i32_e64 s10, v0
	s_cbranch_execz .LBB236_265
.LBB236_243:
	v_dual_mov_b32 v2, 0 :: v_dual_add_nc_u32 v1, s8, v0
	v_add_nc_u32_e32 v0, 0x100, v0
	s_delay_alu instid0(VALU_DEP_2) | instskip(NEXT) | instid1(VALU_DEP_1)
	v_lshlrev_b64 v[1:2], 2, v[1:2]
	v_add_co_u32 v1, vcc_lo, s4, v1
	s_delay_alu instid0(VALU_DEP_2) | instskip(SKIP_2) | instid1(SALU_CYCLE_1)
	v_add_co_ci_u32_e32 v2, vcc_lo, s5, v2, vcc_lo
	global_store_b32 v[1:2], v7, off
	s_or_b32 exec_lo, exec_lo, s0
	s_mov_b32 s0, exec_lo
	v_cmpx_gt_i32_e64 s10, v0
	s_cbranch_execnz .LBB236_266
	s_branch .LBB236_267
.LBB236_244:
	s_and_not1_saveexec_b32 s13, s13
	s_cbranch_execz .LBB236_246
.LBB236_245:
	v_sub_f32_e32 v2, v10, v8
	s_delay_alu instid0(VALU_DEP_1) | instskip(NEXT) | instid1(VALU_DEP_1)
	v_mul_f32_e32 v2, 0.5, v2
	v_mul_f32_e32 v8, 0x4f800000, v2
	v_cmp_gt_f32_e32 vcc_lo, 0xf800000, v2
	s_delay_alu instid0(VALU_DEP_2) | instskip(NEXT) | instid1(VALU_DEP_1)
	v_cndmask_b32_e32 v2, v2, v8, vcc_lo
	v_sqrt_f32_e32 v8, v2
	s_waitcnt_depctr 0xfff
	v_add_nc_u32_e32 v9, -1, v8
	v_add_nc_u32_e32 v10, 1, v8
	s_delay_alu instid0(VALU_DEP_2) | instskip(NEXT) | instid1(VALU_DEP_2)
	v_fma_f32 v11, -v9, v8, v2
	v_fma_f32 v12, -v10, v8, v2
	s_delay_alu instid0(VALU_DEP_2) | instskip(NEXT) | instid1(VALU_DEP_1)
	v_cmp_ge_f32_e64 s2, 0, v11
	v_cndmask_b32_e64 v8, v8, v9, s2
	s_delay_alu instid0(VALU_DEP_3) | instskip(NEXT) | instid1(VALU_DEP_1)
	v_cmp_lt_f32_e64 s2, 0, v12
	v_cndmask_b32_e64 v8, v8, v10, s2
	s_delay_alu instid0(VALU_DEP_1) | instskip(NEXT) | instid1(VALU_DEP_1)
	v_mul_f32_e32 v9, 0x37800000, v8
	v_cndmask_b32_e32 v8, v8, v9, vcc_lo
	v_cmp_class_f32_e64 vcc_lo, v2, 0x260
	s_delay_alu instid0(VALU_DEP_2) | instskip(NEXT) | instid1(VALU_DEP_1)
	v_cndmask_b32_e32 v8, v8, v2, vcc_lo
	v_dual_add_f32 v9, v8, v8 :: v_dual_and_b32 v2, 0x7fffffff, v5
	s_delay_alu instid0(VALU_DEP_1) | instskip(SKIP_1) | instid1(VALU_DEP_2)
	v_div_scale_f32 v10, null, v9, v9, v2
	v_div_scale_f32 v2, vcc_lo, v2, v9, v2
	v_rcp_f32_e32 v11, v10
	s_waitcnt_depctr 0xfff
	v_fma_f32 v12, -v10, v11, 1.0
	s_delay_alu instid0(VALU_DEP_1) | instskip(NEXT) | instid1(VALU_DEP_1)
	v_fmac_f32_e32 v11, v12, v11
	v_mul_f32_e32 v12, v2, v11
	s_delay_alu instid0(VALU_DEP_1) | instskip(NEXT) | instid1(VALU_DEP_1)
	v_fma_f32 v13, -v10, v12, v2
	v_fmac_f32_e32 v12, v13, v11
	s_delay_alu instid0(VALU_DEP_1) | instskip(NEXT) | instid1(VALU_DEP_1)
	v_fma_f32 v2, -v10, v12, v2
	v_div_fmas_f32 v2, v2, v11, v12
	s_delay_alu instid0(VALU_DEP_1)
	v_div_fixup_f32 v2, v2, v9, |v5|
	v_bfi_b32 v9, 0x7fffffff, v8, v5
.LBB236_246:
	s_or_b32 exec_lo, exec_lo, s13
                                        ; implicit-def: $vgpr5
                                        ; implicit-def: $vgpr8
	s_and_saveexec_b32 s2, s1
	s_delay_alu instid0(SALU_CYCLE_1)
	s_xor_b32 s1, exec_lo, s2
	s_cbranch_execz .LBB236_248
; %bb.247:
	v_dual_mul_f32 v5, 0.5, v2 :: v_dual_mul_f32 v10, 0.5, v9
	s_delay_alu instid0(VALU_DEP_1) | instskip(NEXT) | instid1(VALU_DEP_2)
	v_cndmask_b32_e64 v8, v2, v5, s12
	v_cndmask_b32_e64 v5, v9, v10, s12
                                        ; implicit-def: $vgpr2
                                        ; implicit-def: $vgpr9
	s_and_not1_saveexec_b32 s1, s1
	s_cbranch_execnz .LBB236_249
	s_branch .LBB236_250
.LBB236_248:
	s_and_not1_saveexec_b32 s1, s1
.LBB236_249:
	v_dual_add_f32 v8, v2, v2 :: v_dual_add_f32 v5, v9, v9
.LBB236_250:
	s_or_b32 exec_lo, exec_lo, s1
                                        ; implicit-def: $vgpr2
.LBB236_251:
	s_and_not1_saveexec_b32 s1, s11
	s_cbranch_execz .LBB236_257
; %bb.252:
	v_cmp_lt_i16_e32 vcc_lo, -1, v2
	v_sub_f32_e32 v2, v5, v5
	s_and_saveexec_b32 s2, vcc_lo
	s_delay_alu instid0(SALU_CYCLE_1)
	s_xor_b32 s2, exec_lo, s2
; %bb.253:
	s_delay_alu instid0(VALU_DEP_1)
	v_bfi_b32 v5, 0x7fffffff, v2, v5
                                        ; implicit-def: $vgpr2
; %bb.254:
	s_and_not1_saveexec_b32 s2, s2
; %bb.255:
	v_and_b32_e32 v2, 0x7fffffff, v2
	s_delay_alu instid0(VALU_DEP_2) | instskip(NEXT) | instid1(VALU_DEP_2)
	v_bfi_b32 v5, 0x7fffffff, v8, v5
	v_mov_b32_e32 v8, v2
; %bb.256:
	s_or_b32 exec_lo, exec_lo, s2
.LBB236_257:
	s_delay_alu instid0(SALU_CYCLE_1)
	s_or_b32 exec_lo, exec_lo, s1
.LBB236_258:
	s_and_not1_saveexec_b32 s1, s9
; %bb.259:
	v_sub_f32_e32 v2, v5, v5
	s_delay_alu instid0(VALU_DEP_1) | instskip(NEXT) | instid1(VALU_DEP_1)
	v_div_scale_f32 v5, vcc_lo, v2, v2, v2
	v_rcp_f32_e32 v9, v5
	s_waitcnt_depctr 0xfff
	v_fma_f32 v10, -v5, v9, 1.0
	s_delay_alu instid0(VALU_DEP_1) | instskip(NEXT) | instid1(VALU_DEP_1)
	v_fmac_f32_e32 v9, v10, v9
	v_mul_f32_e32 v10, v5, v9
	s_delay_alu instid0(VALU_DEP_1) | instskip(NEXT) | instid1(VALU_DEP_1)
	v_fma_f32 v11, -v5, v10, v5
	v_fmac_f32_e32 v10, v11, v9
	s_delay_alu instid0(VALU_DEP_1) | instskip(NEXT) | instid1(VALU_DEP_1)
	v_fma_f32 v5, -v5, v10, v5
	v_div_fmas_f32 v5, v5, v9, v10
	s_delay_alu instid0(VALU_DEP_1)
	v_div_fixup_f32 v5, v5, v2, v2
; %bb.260:
	s_or_b32 exec_lo, exec_lo, s1
.LBB236_261:
	s_delay_alu instid0(SALU_CYCLE_1)
	s_or_b32 exec_lo, exec_lo, s7
.LBB236_262:
	s_delay_alu instid0(SALU_CYCLE_1) | instskip(NEXT) | instid1(VALU_DEP_1)
	s_or_b32 exec_lo, exec_lo, s6
	v_cvt_f16_f32_e32 v2, v5
	v_cvt_f16_f32_e32 v5, v8
	s_delay_alu instid0(VALU_DEP_2) | instskip(NEXT) | instid1(VALU_DEP_2)
	v_lshlrev_b32_e32 v2, 16, v2
	v_and_b32_e32 v5, 0xffff, v5
	s_delay_alu instid0(VALU_DEP_1) | instskip(SKIP_2) | instid1(SALU_CYCLE_1)
	v_or_b32_e32 v5, v2, v5
	s_or_b32 exec_lo, exec_lo, s3
	s_and_saveexec_b32 s1, s0
	s_xor_b32 s0, exec_lo, s1
	s_cbranch_execnz .LBB236_241
.LBB236_263:
	s_or_b32 exec_lo, exec_lo, s0
	s_delay_alu instid0(SALU_CYCLE_1)
	s_mov_b32 s0, exec_lo
	v_cmpx_gt_i32_e64 s10, v0
	s_cbranch_execz .LBB236_242
.LBB236_264:
	v_dual_mov_b32 v2, 0 :: v_dual_add_nc_u32 v1, s8, v0
	v_add_nc_u32_e32 v0, 0x100, v0
	s_delay_alu instid0(VALU_DEP_2) | instskip(NEXT) | instid1(VALU_DEP_1)
	v_lshlrev_b64 v[1:2], 2, v[1:2]
	v_add_co_u32 v1, vcc_lo, s4, v1
	s_delay_alu instid0(VALU_DEP_2) | instskip(SKIP_2) | instid1(SALU_CYCLE_1)
	v_add_co_ci_u32_e32 v2, vcc_lo, s5, v2, vcc_lo
	global_store_b32 v[1:2], v6, off
	s_or_b32 exec_lo, exec_lo, s0
	s_mov_b32 s0, exec_lo
	v_cmpx_gt_i32_e64 s10, v0
	s_cbranch_execnz .LBB236_243
.LBB236_265:
	s_or_b32 exec_lo, exec_lo, s0
	s_delay_alu instid0(SALU_CYCLE_1)
	s_mov_b32 s0, exec_lo
	v_cmpx_gt_i32_e64 s10, v0
	s_cbranch_execz .LBB236_267
.LBB236_266:
	v_dual_mov_b32 v1, 0 :: v_dual_add_nc_u32 v0, s8, v0
	s_delay_alu instid0(VALU_DEP_1) | instskip(NEXT) | instid1(VALU_DEP_1)
	v_lshlrev_b64 v[0:1], 2, v[0:1]
	v_add_co_u32 v0, vcc_lo, s4, v0
	s_delay_alu instid0(VALU_DEP_2)
	v_add_co_ci_u32_e32 v1, vcc_lo, s5, v1, vcc_lo
	global_store_b32 v[0:1], v5, off
.LBB236_267:
	s_nop 0
	s_sendmsg sendmsg(MSG_DEALLOC_VGPRS)
	s_endpgm
	.section	.rodata,"a",@progbits
	.p2align	6, 0x0
	.amdhsa_kernel _ZN2at6native29vectorized_elementwise_kernelILi4EZZZNS0_16sqrt_kernel_cudaERNS_18TensorIteratorBaseEENKUlvE_clEvENKUlvE1_clEvEUlN3c107complexINS6_4HalfEEEE_St5arrayIPcLm2EEEEviT0_T1_
		.amdhsa_group_segment_fixed_size 0
		.amdhsa_private_segment_fixed_size 0
		.amdhsa_kernarg_size 24
		.amdhsa_user_sgpr_count 15
		.amdhsa_user_sgpr_dispatch_ptr 0
		.amdhsa_user_sgpr_queue_ptr 0
		.amdhsa_user_sgpr_kernarg_segment_ptr 1
		.amdhsa_user_sgpr_dispatch_id 0
		.amdhsa_user_sgpr_private_segment_size 0
		.amdhsa_wavefront_size32 1
		.amdhsa_uses_dynamic_stack 0
		.amdhsa_enable_private_segment 0
		.amdhsa_system_sgpr_workgroup_id_x 1
		.amdhsa_system_sgpr_workgroup_id_y 0
		.amdhsa_system_sgpr_workgroup_id_z 0
		.amdhsa_system_sgpr_workgroup_info 0
		.amdhsa_system_vgpr_workitem_id 0
		.amdhsa_next_free_vgpr 17
		.amdhsa_next_free_sgpr 17
		.amdhsa_reserve_vcc 1
		.amdhsa_float_round_mode_32 0
		.amdhsa_float_round_mode_16_64 0
		.amdhsa_float_denorm_mode_32 3
		.amdhsa_float_denorm_mode_16_64 3
		.amdhsa_dx10_clamp 1
		.amdhsa_ieee_mode 1
		.amdhsa_fp16_overflow 0
		.amdhsa_workgroup_processor_mode 1
		.amdhsa_memory_ordered 1
		.amdhsa_forward_progress 0
		.amdhsa_shared_vgpr_count 0
		.amdhsa_exception_fp_ieee_invalid_op 0
		.amdhsa_exception_fp_denorm_src 0
		.amdhsa_exception_fp_ieee_div_zero 0
		.amdhsa_exception_fp_ieee_overflow 0
		.amdhsa_exception_fp_ieee_underflow 0
		.amdhsa_exception_fp_ieee_inexact 0
		.amdhsa_exception_int_div_zero 0
	.end_amdhsa_kernel
	.section	.text._ZN2at6native29vectorized_elementwise_kernelILi4EZZZNS0_16sqrt_kernel_cudaERNS_18TensorIteratorBaseEENKUlvE_clEvENKUlvE1_clEvEUlN3c107complexINS6_4HalfEEEE_St5arrayIPcLm2EEEEviT0_T1_,"axG",@progbits,_ZN2at6native29vectorized_elementwise_kernelILi4EZZZNS0_16sqrt_kernel_cudaERNS_18TensorIteratorBaseEENKUlvE_clEvENKUlvE1_clEvEUlN3c107complexINS6_4HalfEEEE_St5arrayIPcLm2EEEEviT0_T1_,comdat
.Lfunc_end236:
	.size	_ZN2at6native29vectorized_elementwise_kernelILi4EZZZNS0_16sqrt_kernel_cudaERNS_18TensorIteratorBaseEENKUlvE_clEvENKUlvE1_clEvEUlN3c107complexINS6_4HalfEEEE_St5arrayIPcLm2EEEEviT0_T1_, .Lfunc_end236-_ZN2at6native29vectorized_elementwise_kernelILi4EZZZNS0_16sqrt_kernel_cudaERNS_18TensorIteratorBaseEENKUlvE_clEvENKUlvE1_clEvEUlN3c107complexINS6_4HalfEEEE_St5arrayIPcLm2EEEEviT0_T1_
                                        ; -- End function
	.section	.AMDGPU.csdata,"",@progbits
; Kernel info:
; codeLenInByte = 10832
; NumSgprs: 19
; NumVgprs: 17
; ScratchSize: 0
; MemoryBound: 0
; FloatMode: 240
; IeeeMode: 1
; LDSByteSize: 0 bytes/workgroup (compile time only)
; SGPRBlocks: 2
; VGPRBlocks: 2
; NumSGPRsForWavesPerEU: 19
; NumVGPRsForWavesPerEU: 17
; Occupancy: 16
; WaveLimiterHint : 0
; COMPUTE_PGM_RSRC2:SCRATCH_EN: 0
; COMPUTE_PGM_RSRC2:USER_SGPR: 15
; COMPUTE_PGM_RSRC2:TRAP_HANDLER: 0
; COMPUTE_PGM_RSRC2:TGID_X_EN: 1
; COMPUTE_PGM_RSRC2:TGID_Y_EN: 0
; COMPUTE_PGM_RSRC2:TGID_Z_EN: 0
; COMPUTE_PGM_RSRC2:TIDIG_COMP_CNT: 0
	.section	.text._ZN2at6native29vectorized_elementwise_kernelILi2EZZZNS0_16sqrt_kernel_cudaERNS_18TensorIteratorBaseEENKUlvE_clEvENKUlvE1_clEvEUlN3c107complexINS6_4HalfEEEE_St5arrayIPcLm2EEEEviT0_T1_,"axG",@progbits,_ZN2at6native29vectorized_elementwise_kernelILi2EZZZNS0_16sqrt_kernel_cudaERNS_18TensorIteratorBaseEENKUlvE_clEvENKUlvE1_clEvEUlN3c107complexINS6_4HalfEEEE_St5arrayIPcLm2EEEEviT0_T1_,comdat
	.globl	_ZN2at6native29vectorized_elementwise_kernelILi2EZZZNS0_16sqrt_kernel_cudaERNS_18TensorIteratorBaseEENKUlvE_clEvENKUlvE1_clEvEUlN3c107complexINS6_4HalfEEEE_St5arrayIPcLm2EEEEviT0_T1_ ; -- Begin function _ZN2at6native29vectorized_elementwise_kernelILi2EZZZNS0_16sqrt_kernel_cudaERNS_18TensorIteratorBaseEENKUlvE_clEvENKUlvE1_clEvEUlN3c107complexINS6_4HalfEEEE_St5arrayIPcLm2EEEEviT0_T1_
	.p2align	8
	.type	_ZN2at6native29vectorized_elementwise_kernelILi2EZZZNS0_16sqrt_kernel_cudaERNS_18TensorIteratorBaseEENKUlvE_clEvENKUlvE1_clEvEUlN3c107complexINS6_4HalfEEEE_St5arrayIPcLm2EEEEviT0_T1_,@function
_ZN2at6native29vectorized_elementwise_kernelILi2EZZZNS0_16sqrt_kernel_cudaERNS_18TensorIteratorBaseEENKUlvE_clEvENKUlvE1_clEvEUlN3c107complexINS6_4HalfEEEE_St5arrayIPcLm2EEEEviT0_T1_: ; @_ZN2at6native29vectorized_elementwise_kernelILi2EZZZNS0_16sqrt_kernel_cudaERNS_18TensorIteratorBaseEENKUlvE_clEvENKUlvE1_clEvEUlN3c107complexINS6_4HalfEEEE_St5arrayIPcLm2EEEEviT0_T1_
; %bb.0:
	s_clause 0x1
	s_load_b32 s2, s[0:1], 0x0
	s_load_b128 s[4:7], s[0:1], 0x8
	s_lshl_b32 s8, s15, 10
	s_mov_b32 s0, -1
	s_waitcnt lgkmcnt(0)
	s_sub_i32 s10, s2, s8
	s_delay_alu instid0(SALU_CYCLE_1)
	s_cmpk_gt_i32 s10, 0x3ff
	s_cbranch_scc0 .LBB237_122
; %bb.1:
	s_ashr_i32 s9, s8, 31
	v_dual_mov_b32 v8, 0 :: v_dual_lshlrev_b32 v5, 3, v0
	s_lshl_b64 s[2:3], s[8:9], 2
	v_mov_b32_e32 v7, 0
	s_add_u32 s0, s6, s2
	s_addc_u32 s1, s7, s3
	s_clause 0x1
	global_load_b64 v[3:4], v5, s[0:1]
	global_load_b64 v[1:2], v5, s[0:1] offset:2048
	s_waitcnt vmcnt(1)
	v_lshrrev_b32_e32 v6, 16, v3
	v_cmp_neq_f16_e32 vcc_lo, 0, v3
	s_delay_alu instid0(VALU_DEP_2) | instskip(SKIP_1) | instid1(VALU_DEP_2)
	v_cmp_neq_f16_e64 s0, 0, v6
	v_cvt_f32_f16_e32 v6, v6
	s_or_b32 s0, vcc_lo, s0
	s_delay_alu instid0(SALU_CYCLE_1)
	s_and_saveexec_b32 s9, s0
	s_cbranch_execz .LBB237_31
; %bb.2:
	v_mov_b32_e32 v8, 0x7f800000
	s_mov_b32 s11, exec_lo
	v_cmpx_neq_f32_e64 0x7f800000, |v6|
	s_cbranch_execz .LBB237_30
; %bb.3:
	v_cvt_f32_f16_e32 v8, v3
	s_mov_b32 s0, exec_lo
	v_cmpx_o_f16_e32 v3, v3
	s_xor_b32 s12, exec_lo, s0
	s_cbranch_execz .LBB237_27
; %bb.4:
	s_mov_b32 s1, exec_lo
	v_cmpx_neq_f32_e64 0x7f800000, |v8|
	s_xor_b32 s13, exec_lo, s1
	s_cbranch_execz .LBB237_20
; %bb.5:
	v_max_f32_e64 v9, |v6|, |v6|
	v_max_f32_e64 v10, |v8|, |v8|
                                        ; implicit-def: $sgpr14
	s_delay_alu instid0(VALU_DEP_1) | instskip(NEXT) | instid1(VALU_DEP_1)
	v_max_f32_e32 v9, v10, v9
	v_cmp_nle_f32_e64 s0, 0x7ed413cb, v9
	s_delay_alu instid0(VALU_DEP_1) | instskip(NEXT) | instid1(SALU_CYCLE_1)
	s_and_saveexec_b32 s1, s0
	s_xor_b32 s1, exec_lo, s1
	s_cbranch_execz .LBB237_9
; %bb.6:
	v_cmp_ge_f32_e64 s14, 0x1000000, |v8|
	v_cmp_ge_f32_e64 s15, 0x1000000, |v6|
	s_delay_alu instid0(VALU_DEP_1)
	s_and_b32 s16, s14, s15
	s_mov_b32 s14, 0
	s_and_saveexec_b32 s15, s16
; %bb.7:
	v_mul_f32_e32 v6, 4.0, v6
	v_mul_f32_e32 v8, 4.0, v8
	s_mov_b32 s14, exec_lo
; %bb.8:
	s_or_b32 exec_lo, exec_lo, s15
	s_delay_alu instid0(SALU_CYCLE_1)
	s_and_b32 s14, s14, exec_lo
.LBB237_9:
	s_and_not1_saveexec_b32 s1, s1
; %bb.10:
	v_mul_f32_e32 v8, 0x3e800000, v8
	v_mul_f32_e32 v6, 0x3e800000, v6
	s_and_not1_b32 s14, s14, exec_lo
; %bb.11:
	s_or_b32 exec_lo, exec_lo, s1
	s_delay_alu instid0(VALU_DEP_1) | instskip(SKIP_1) | instid1(VALU_DEP_1)
	v_max_f32_e64 v9, |v6|, |v6|
	v_max_f32_e64 v10, |v8|, |v8|
	v_max_f32_e32 v11, v10, v9
	s_delay_alu instid0(VALU_DEP_1) | instskip(NEXT) | instid1(VALU_DEP_1)
	v_cvt_f64_f32_e32 v[9:10], v11
	v_frexp_exp_i32_f64_e32 v9, v[9:10]
	s_delay_alu instid0(VALU_DEP_1) | instskip(NEXT) | instid1(VALU_DEP_1)
	v_sub_nc_u32_e32 v10, 0, v9
	v_ldexp_f32 v12, |v6|, v10
	v_ldexp_f32 v10, |v8|, v10
	s_delay_alu instid0(VALU_DEP_2) | instskip(SKIP_1) | instid1(VALU_DEP_2)
	v_mul_f32_e32 v12, v12, v12
	v_cmp_neq_f32_e64 s1, 0x7f800000, v11
	v_fmac_f32_e32 v12, v10, v10
	s_delay_alu instid0(VALU_DEP_1) | instskip(SKIP_2) | instid1(VALU_DEP_1)
	v_sqrt_f32_e32 v10, v12
	s_waitcnt_depctr 0xfff
	v_ldexp_f32 v9, v10, v9
                                        ; implicit-def: $vgpr10
	v_cndmask_b32_e64 v11, 0x7f800000, v9, s1
                                        ; implicit-def: $vgpr9
	s_mov_b32 s1, exec_lo
	v_cmpx_le_f32_e32 0, v8
	s_xor_b32 s15, exec_lo, s1
	s_cbranch_execz .LBB237_13
; %bb.12:
	v_add_f32_e32 v8, v8, v11
	s_delay_alu instid0(VALU_DEP_1) | instskip(NEXT) | instid1(VALU_DEP_1)
	v_mul_f32_e32 v8, 0.5, v8
	v_mul_f32_e32 v9, 0x4f800000, v8
	v_cmp_gt_f32_e32 vcc_lo, 0xf800000, v8
	s_delay_alu instid0(VALU_DEP_2) | instskip(NEXT) | instid1(VALU_DEP_1)
	v_cndmask_b32_e32 v8, v8, v9, vcc_lo
	v_sqrt_f32_e32 v9, v8
	s_waitcnt_depctr 0xfff
	v_add_nc_u32_e32 v10, -1, v9
	v_add_nc_u32_e32 v11, 1, v9
	s_delay_alu instid0(VALU_DEP_2) | instskip(NEXT) | instid1(VALU_DEP_2)
	v_fma_f32 v12, -v10, v9, v8
	v_fma_f32 v13, -v11, v9, v8
	s_delay_alu instid0(VALU_DEP_2) | instskip(NEXT) | instid1(VALU_DEP_1)
	v_cmp_ge_f32_e64 s1, 0, v12
	v_cndmask_b32_e64 v9, v9, v10, s1
	s_delay_alu instid0(VALU_DEP_3) | instskip(NEXT) | instid1(VALU_DEP_1)
	v_cmp_lt_f32_e64 s1, 0, v13
	v_cndmask_b32_e64 v9, v9, v11, s1
	s_delay_alu instid0(VALU_DEP_1) | instskip(NEXT) | instid1(VALU_DEP_1)
	v_mul_f32_e32 v10, 0x37800000, v9
	v_cndmask_b32_e32 v9, v9, v10, vcc_lo
	v_cmp_class_f32_e64 vcc_lo, v8, 0x260
	s_delay_alu instid0(VALU_DEP_2) | instskip(NEXT) | instid1(VALU_DEP_1)
	v_cndmask_b32_e32 v9, v9, v8, vcc_lo
	v_add_f32_e32 v8, v9, v9
	s_delay_alu instid0(VALU_DEP_1) | instskip(NEXT) | instid1(VALU_DEP_1)
	v_div_scale_f32 v10, null, v8, v8, v6
	v_rcp_f32_e32 v11, v10
	s_waitcnt_depctr 0xfff
	v_fma_f32 v12, -v10, v11, 1.0
	s_delay_alu instid0(VALU_DEP_1) | instskip(SKIP_1) | instid1(VALU_DEP_1)
	v_fmac_f32_e32 v11, v12, v11
	v_div_scale_f32 v12, vcc_lo, v6, v8, v6
	v_mul_f32_e32 v13, v12, v11
	s_delay_alu instid0(VALU_DEP_1) | instskip(NEXT) | instid1(VALU_DEP_1)
	v_fma_f32 v14, -v10, v13, v12
	v_fmac_f32_e32 v13, v14, v11
	s_delay_alu instid0(VALU_DEP_1) | instskip(NEXT) | instid1(VALU_DEP_1)
	v_fma_f32 v10, -v10, v13, v12
	v_div_fmas_f32 v10, v10, v11, v13
                                        ; implicit-def: $vgpr11
	s_delay_alu instid0(VALU_DEP_1)
	v_div_fixup_f32 v10, v10, v8, v6
                                        ; implicit-def: $vgpr8
                                        ; implicit-def: $vgpr6
	s_and_not1_saveexec_b32 s15, s15
	s_cbranch_execz .LBB237_15
	s_branch .LBB237_14
.LBB237_13:
	s_and_not1_saveexec_b32 s15, s15
	s_cbranch_execz .LBB237_15
.LBB237_14:
	v_sub_f32_e32 v8, v11, v8
	s_delay_alu instid0(VALU_DEP_1) | instskip(NEXT) | instid1(VALU_DEP_1)
	v_mul_f32_e32 v8, 0.5, v8
	v_mul_f32_e32 v9, 0x4f800000, v8
	v_cmp_gt_f32_e32 vcc_lo, 0xf800000, v8
	s_delay_alu instid0(VALU_DEP_2) | instskip(NEXT) | instid1(VALU_DEP_1)
	v_cndmask_b32_e32 v8, v8, v9, vcc_lo
	v_sqrt_f32_e32 v9, v8
	s_waitcnt_depctr 0xfff
	v_add_nc_u32_e32 v10, -1, v9
	v_add_nc_u32_e32 v11, 1, v9
	s_delay_alu instid0(VALU_DEP_2) | instskip(NEXT) | instid1(VALU_DEP_2)
	v_fma_f32 v12, -v10, v9, v8
	v_fma_f32 v13, -v11, v9, v8
	s_delay_alu instid0(VALU_DEP_2) | instskip(NEXT) | instid1(VALU_DEP_1)
	v_cmp_ge_f32_e64 s1, 0, v12
	v_cndmask_b32_e64 v9, v9, v10, s1
	s_delay_alu instid0(VALU_DEP_3) | instskip(NEXT) | instid1(VALU_DEP_1)
	v_cmp_lt_f32_e64 s1, 0, v13
	v_cndmask_b32_e64 v9, v9, v11, s1
	s_delay_alu instid0(VALU_DEP_1) | instskip(NEXT) | instid1(VALU_DEP_1)
	v_mul_f32_e32 v10, 0x37800000, v9
	v_cndmask_b32_e32 v9, v9, v10, vcc_lo
	v_cmp_class_f32_e64 vcc_lo, v8, 0x260
	s_delay_alu instid0(VALU_DEP_2) | instskip(NEXT) | instid1(VALU_DEP_1)
	v_dual_cndmask_b32 v8, v9, v8 :: v_dual_and_b32 v9, 0x7fffffff, v6
	v_add_f32_e32 v10, v8, v8
	s_delay_alu instid0(VALU_DEP_1) | instskip(SKIP_1) | instid1(VALU_DEP_2)
	v_div_scale_f32 v11, null, v10, v10, v9
	v_div_scale_f32 v9, vcc_lo, v9, v10, v9
	v_rcp_f32_e32 v12, v11
	s_waitcnt_depctr 0xfff
	v_fma_f32 v13, -v11, v12, 1.0
	s_delay_alu instid0(VALU_DEP_1) | instskip(NEXT) | instid1(VALU_DEP_1)
	v_fmac_f32_e32 v12, v13, v12
	v_mul_f32_e32 v13, v9, v12
	s_delay_alu instid0(VALU_DEP_1) | instskip(NEXT) | instid1(VALU_DEP_1)
	v_fma_f32 v14, -v11, v13, v9
	v_fmac_f32_e32 v13, v14, v12
	s_delay_alu instid0(VALU_DEP_1) | instskip(NEXT) | instid1(VALU_DEP_1)
	v_fma_f32 v9, -v11, v13, v9
	v_div_fmas_f32 v9, v9, v12, v13
	s_delay_alu instid0(VALU_DEP_1)
	v_div_fixup_f32 v9, v9, v10, |v6|
	v_bfi_b32 v10, 0x7fffffff, v8, v6
.LBB237_15:
	s_or_b32 exec_lo, exec_lo, s15
                                        ; implicit-def: $vgpr6
                                        ; implicit-def: $vgpr8
	s_and_saveexec_b32 s1, s0
	s_delay_alu instid0(SALU_CYCLE_1)
	s_xor_b32 s0, exec_lo, s1
	s_cbranch_execz .LBB237_17
; %bb.16:
	v_dual_mul_f32 v6, 0.5, v9 :: v_dual_mul_f32 v11, 0.5, v10
	s_delay_alu instid0(VALU_DEP_1) | instskip(NEXT) | instid1(VALU_DEP_2)
	v_cndmask_b32_e64 v8, v9, v6, s14
	v_cndmask_b32_e64 v6, v10, v11, s14
                                        ; implicit-def: $vgpr9
                                        ; implicit-def: $vgpr10
	s_and_not1_saveexec_b32 s0, s0
	s_cbranch_execnz .LBB237_18
	s_branch .LBB237_19
.LBB237_17:
	s_and_not1_saveexec_b32 s0, s0
.LBB237_18:
	v_add_f32_e32 v8, v9, v9
	v_add_f32_e32 v6, v10, v10
.LBB237_19:
	s_or_b32 exec_lo, exec_lo, s0
.LBB237_20:
	s_and_not1_saveexec_b32 s0, s13
	s_cbranch_execz .LBB237_26
; %bb.21:
	v_cmp_lt_i16_e32 vcc_lo, -1, v3
	v_sub_f32_e32 v3, v6, v6
	s_and_saveexec_b32 s1, vcc_lo
	s_delay_alu instid0(SALU_CYCLE_1)
	s_xor_b32 s1, exec_lo, s1
; %bb.22:
	s_delay_alu instid0(VALU_DEP_1)
	v_bfi_b32 v6, 0x7fffffff, v3, v6
                                        ; implicit-def: $vgpr3
; %bb.23:
	s_and_not1_saveexec_b32 s1, s1
; %bb.24:
	v_and_b32_e32 v3, 0x7fffffff, v3
	s_delay_alu instid0(VALU_DEP_2) | instskip(NEXT) | instid1(VALU_DEP_2)
	v_bfi_b32 v6, 0x7fffffff, v8, v6
	v_mov_b32_e32 v8, v3
; %bb.25:
	s_or_b32 exec_lo, exec_lo, s1
.LBB237_26:
	s_delay_alu instid0(SALU_CYCLE_1)
	s_or_b32 exec_lo, exec_lo, s0
.LBB237_27:
	s_and_not1_saveexec_b32 s0, s12
; %bb.28:
	v_sub_f32_e32 v3, v6, v6
	s_delay_alu instid0(VALU_DEP_1) | instskip(NEXT) | instid1(VALU_DEP_1)
	v_div_scale_f32 v6, vcc_lo, v3, v3, v3
	v_rcp_f32_e32 v9, v6
	s_waitcnt_depctr 0xfff
	v_fma_f32 v10, -v6, v9, 1.0
	s_delay_alu instid0(VALU_DEP_1) | instskip(NEXT) | instid1(VALU_DEP_1)
	v_fmac_f32_e32 v9, v10, v9
	v_mul_f32_e32 v10, v6, v9
	s_delay_alu instid0(VALU_DEP_1) | instskip(NEXT) | instid1(VALU_DEP_1)
	v_fma_f32 v11, -v6, v10, v6
	v_fmac_f32_e32 v10, v11, v9
	s_delay_alu instid0(VALU_DEP_1) | instskip(NEXT) | instid1(VALU_DEP_1)
	v_fma_f32 v6, -v6, v10, v6
	v_div_fmas_f32 v6, v6, v9, v10
	s_delay_alu instid0(VALU_DEP_1)
	v_div_fixup_f32 v6, v6, v3, v3
; %bb.29:
	s_or_b32 exec_lo, exec_lo, s0
.LBB237_30:
	s_delay_alu instid0(SALU_CYCLE_1)
	s_or_b32 exec_lo, exec_lo, s11
.LBB237_31:
	s_delay_alu instid0(SALU_CYCLE_1) | instskip(SKIP_2) | instid1(VALU_DEP_2)
	s_or_b32 exec_lo, exec_lo, s9
	v_lshrrev_b32_e32 v3, 16, v4
	v_cmp_neq_f16_e32 vcc_lo, 0, v4
	v_cmp_neq_f16_e64 s0, 0, v3
	v_cvt_f32_f16_e32 v9, v3
	s_delay_alu instid0(VALU_DEP_2) | instskip(NEXT) | instid1(SALU_CYCLE_1)
	s_or_b32 s0, vcc_lo, s0
	s_and_saveexec_b32 s9, s0
	s_cbranch_execz .LBB237_61
; %bb.32:
	v_mov_b32_e32 v7, 0x7f800000
	s_mov_b32 s11, exec_lo
	v_cmpx_neq_f32_e64 0x7f800000, |v9|
	s_cbranch_execz .LBB237_60
; %bb.33:
	v_cvt_f32_f16_e32 v7, v4
	s_mov_b32 s0, exec_lo
	v_cmpx_o_f16_e32 v4, v4
	s_xor_b32 s12, exec_lo, s0
	s_cbranch_execz .LBB237_57
; %bb.34:
	s_mov_b32 s1, exec_lo
	v_cmpx_neq_f32_e64 0x7f800000, |v7|
	s_xor_b32 s13, exec_lo, s1
	s_cbranch_execz .LBB237_50
; %bb.35:
	v_max_f32_e64 v3, |v9|, |v9|
	v_max_f32_e64 v4, |v7|, |v7|
                                        ; implicit-def: $sgpr14
	s_delay_alu instid0(VALU_DEP_1) | instskip(NEXT) | instid1(VALU_DEP_1)
	v_max_f32_e32 v3, v4, v3
	v_cmp_nle_f32_e64 s0, 0x7ed413cb, v3
	s_delay_alu instid0(VALU_DEP_1) | instskip(NEXT) | instid1(SALU_CYCLE_1)
	s_and_saveexec_b32 s1, s0
	s_xor_b32 s1, exec_lo, s1
	s_cbranch_execz .LBB237_39
; %bb.36:
	v_cmp_ge_f32_e64 s14, 0x1000000, |v7|
	v_cmp_ge_f32_e64 s15, 0x1000000, |v9|
	s_delay_alu instid0(VALU_DEP_1)
	s_and_b32 s16, s14, s15
	s_mov_b32 s14, 0
	s_and_saveexec_b32 s15, s16
; %bb.37:
	v_mul_f32_e32 v9, 4.0, v9
	v_mul_f32_e32 v7, 4.0, v7
	s_mov_b32 s14, exec_lo
; %bb.38:
	s_or_b32 exec_lo, exec_lo, s15
	s_delay_alu instid0(SALU_CYCLE_1)
	s_and_b32 s14, s14, exec_lo
.LBB237_39:
	s_and_not1_saveexec_b32 s1, s1
; %bb.40:
	v_mul_f32_e32 v7, 0x3e800000, v7
	v_mul_f32_e32 v9, 0x3e800000, v9
	s_and_not1_b32 s14, s14, exec_lo
; %bb.41:
	s_or_b32 exec_lo, exec_lo, s1
	s_delay_alu instid0(VALU_DEP_1) | instskip(SKIP_1) | instid1(VALU_DEP_1)
	v_max_f32_e64 v3, |v9|, |v9|
	v_max_f32_e64 v4, |v7|, |v7|
	v_max_f32_e32 v10, v4, v3
	s_delay_alu instid0(VALU_DEP_1) | instskip(SKIP_1) | instid1(VALU_DEP_2)
	v_cvt_f64_f32_e32 v[3:4], v10
	v_cmp_neq_f32_e64 s1, 0x7f800000, v10
	v_frexp_exp_i32_f64_e32 v3, v[3:4]
	s_delay_alu instid0(VALU_DEP_1) | instskip(NEXT) | instid1(VALU_DEP_1)
	v_sub_nc_u32_e32 v4, 0, v3
	v_ldexp_f32 v11, |v9|, v4
	v_ldexp_f32 v4, |v7|, v4
	s_delay_alu instid0(VALU_DEP_2) | instskip(NEXT) | instid1(VALU_DEP_1)
	v_mul_f32_e32 v11, v11, v11
	v_fmac_f32_e32 v11, v4, v4
	s_delay_alu instid0(VALU_DEP_1) | instskip(SKIP_2) | instid1(VALU_DEP_1)
	v_sqrt_f32_e32 v4, v11
	s_waitcnt_depctr 0xfff
	v_ldexp_f32 v3, v4, v3
                                        ; implicit-def: $vgpr4
	v_cndmask_b32_e64 v10, 0x7f800000, v3, s1
                                        ; implicit-def: $vgpr3
	s_mov_b32 s1, exec_lo
	v_cmpx_le_f32_e32 0, v7
	s_xor_b32 s15, exec_lo, s1
	s_cbranch_execz .LBB237_43
; %bb.42:
	v_add_f32_e32 v3, v7, v10
	s_delay_alu instid0(VALU_DEP_1) | instskip(NEXT) | instid1(VALU_DEP_1)
	v_mul_f32_e32 v3, 0.5, v3
	v_mul_f32_e32 v4, 0x4f800000, v3
	v_cmp_gt_f32_e32 vcc_lo, 0xf800000, v3
	s_delay_alu instid0(VALU_DEP_2) | instskip(NEXT) | instid1(VALU_DEP_1)
	v_cndmask_b32_e32 v3, v3, v4, vcc_lo
	v_sqrt_f32_e32 v4, v3
	s_waitcnt_depctr 0xfff
	v_add_nc_u32_e32 v7, -1, v4
	v_add_nc_u32_e32 v10, 1, v4
	s_delay_alu instid0(VALU_DEP_2) | instskip(NEXT) | instid1(VALU_DEP_2)
	v_fma_f32 v11, -v7, v4, v3
	v_fma_f32 v12, -v10, v4, v3
	s_delay_alu instid0(VALU_DEP_2) | instskip(NEXT) | instid1(VALU_DEP_1)
	v_cmp_ge_f32_e64 s1, 0, v11
	v_cndmask_b32_e64 v4, v4, v7, s1
	s_delay_alu instid0(VALU_DEP_3) | instskip(NEXT) | instid1(VALU_DEP_1)
	v_cmp_lt_f32_e64 s1, 0, v12
	v_cndmask_b32_e64 v4, v4, v10, s1
	s_delay_alu instid0(VALU_DEP_1) | instskip(NEXT) | instid1(VALU_DEP_1)
	v_mul_f32_e32 v7, 0x37800000, v4
	v_cndmask_b32_e32 v4, v4, v7, vcc_lo
	v_cmp_class_f32_e64 vcc_lo, v3, 0x260
	s_delay_alu instid0(VALU_DEP_2) | instskip(NEXT) | instid1(VALU_DEP_1)
	v_cndmask_b32_e32 v3, v4, v3, vcc_lo
	v_add_f32_e32 v4, v3, v3
	s_delay_alu instid0(VALU_DEP_1) | instskip(NEXT) | instid1(VALU_DEP_1)
	v_div_scale_f32 v7, null, v4, v4, v9
	v_rcp_f32_e32 v10, v7
	s_waitcnt_depctr 0xfff
	v_fma_f32 v11, -v7, v10, 1.0
	s_delay_alu instid0(VALU_DEP_1) | instskip(SKIP_1) | instid1(VALU_DEP_1)
	v_fmac_f32_e32 v10, v11, v10
	v_div_scale_f32 v11, vcc_lo, v9, v4, v9
	v_mul_f32_e32 v12, v11, v10
	s_delay_alu instid0(VALU_DEP_1) | instskip(NEXT) | instid1(VALU_DEP_1)
	v_fma_f32 v13, -v7, v12, v11
	v_fmac_f32_e32 v12, v13, v10
	s_delay_alu instid0(VALU_DEP_1) | instskip(NEXT) | instid1(VALU_DEP_1)
	v_fma_f32 v7, -v7, v12, v11
	v_div_fmas_f32 v7, v7, v10, v12
                                        ; implicit-def: $vgpr10
	s_delay_alu instid0(VALU_DEP_1)
	v_div_fixup_f32 v4, v7, v4, v9
                                        ; implicit-def: $vgpr7
                                        ; implicit-def: $vgpr9
	s_and_not1_saveexec_b32 s15, s15
	s_cbranch_execz .LBB237_45
	s_branch .LBB237_44
.LBB237_43:
	s_and_not1_saveexec_b32 s15, s15
	s_cbranch_execz .LBB237_45
.LBB237_44:
	v_sub_f32_e32 v3, v10, v7
	s_delay_alu instid0(VALU_DEP_1) | instskip(NEXT) | instid1(VALU_DEP_1)
	v_mul_f32_e32 v3, 0.5, v3
	v_mul_f32_e32 v4, 0x4f800000, v3
	v_cmp_gt_f32_e32 vcc_lo, 0xf800000, v3
	s_delay_alu instid0(VALU_DEP_2) | instskip(NEXT) | instid1(VALU_DEP_1)
	v_cndmask_b32_e32 v3, v3, v4, vcc_lo
	v_sqrt_f32_e32 v4, v3
	s_waitcnt_depctr 0xfff
	v_add_nc_u32_e32 v7, -1, v4
	v_add_nc_u32_e32 v10, 1, v4
	s_delay_alu instid0(VALU_DEP_2) | instskip(NEXT) | instid1(VALU_DEP_2)
	v_fma_f32 v11, -v7, v4, v3
	v_fma_f32 v12, -v10, v4, v3
	s_delay_alu instid0(VALU_DEP_2) | instskip(NEXT) | instid1(VALU_DEP_1)
	v_cmp_ge_f32_e64 s1, 0, v11
	v_cndmask_b32_e64 v4, v4, v7, s1
	s_delay_alu instid0(VALU_DEP_3) | instskip(NEXT) | instid1(VALU_DEP_1)
	v_cmp_lt_f32_e64 s1, 0, v12
	v_cndmask_b32_e64 v4, v4, v10, s1
	s_delay_alu instid0(VALU_DEP_1) | instskip(NEXT) | instid1(VALU_DEP_1)
	v_mul_f32_e32 v7, 0x37800000, v4
	v_cndmask_b32_e32 v4, v4, v7, vcc_lo
	v_cmp_class_f32_e64 vcc_lo, v3, 0x260
	s_delay_alu instid0(VALU_DEP_2) | instskip(NEXT) | instid1(VALU_DEP_1)
	v_dual_cndmask_b32 v4, v4, v3 :: v_dual_and_b32 v3, 0x7fffffff, v9
	v_add_f32_e32 v7, v4, v4
	v_bfi_b32 v4, 0x7fffffff, v4, v9
	s_delay_alu instid0(VALU_DEP_2) | instskip(SKIP_1) | instid1(VALU_DEP_2)
	v_div_scale_f32 v10, null, v7, v7, v3
	v_div_scale_f32 v3, vcc_lo, v3, v7, v3
	v_rcp_f32_e32 v11, v10
	s_waitcnt_depctr 0xfff
	v_fma_f32 v12, -v10, v11, 1.0
	s_delay_alu instid0(VALU_DEP_1) | instskip(NEXT) | instid1(VALU_DEP_1)
	v_fmac_f32_e32 v11, v12, v11
	v_mul_f32_e32 v12, v3, v11
	s_delay_alu instid0(VALU_DEP_1) | instskip(NEXT) | instid1(VALU_DEP_1)
	v_fma_f32 v13, -v10, v12, v3
	v_fmac_f32_e32 v12, v13, v11
	s_delay_alu instid0(VALU_DEP_1) | instskip(NEXT) | instid1(VALU_DEP_1)
	v_fma_f32 v3, -v10, v12, v3
	v_div_fmas_f32 v3, v3, v11, v12
	s_delay_alu instid0(VALU_DEP_1)
	v_div_fixup_f32 v3, v3, v7, |v9|
.LBB237_45:
	s_or_b32 exec_lo, exec_lo, s15
                                        ; implicit-def: $vgpr9
                                        ; implicit-def: $vgpr7
	s_and_saveexec_b32 s1, s0
	s_delay_alu instid0(SALU_CYCLE_1)
	s_xor_b32 s0, exec_lo, s1
	s_cbranch_execz .LBB237_47
; %bb.46:
	v_mul_f32_e32 v7, 0.5, v3
	v_mul_f32_e32 v9, 0.5, v4
	s_delay_alu instid0(VALU_DEP_2) | instskip(NEXT) | instid1(VALU_DEP_2)
	v_cndmask_b32_e64 v7, v3, v7, s14
	v_cndmask_b32_e64 v9, v4, v9, s14
                                        ; implicit-def: $vgpr3
                                        ; implicit-def: $vgpr4
	s_and_not1_saveexec_b32 s0, s0
	s_cbranch_execnz .LBB237_48
	s_branch .LBB237_49
.LBB237_47:
	s_and_not1_saveexec_b32 s0, s0
.LBB237_48:
	v_add_f32_e32 v7, v3, v3
	v_add_f32_e32 v9, v4, v4
.LBB237_49:
	s_or_b32 exec_lo, exec_lo, s0
                                        ; implicit-def: $vgpr3_vgpr4
.LBB237_50:
	s_and_not1_saveexec_b32 s0, s13
	s_cbranch_execz .LBB237_56
; %bb.51:
	s_delay_alu instid0(VALU_DEP_1)
	v_sub_f32_e32 v3, v9, v9
	s_mov_b32 s1, exec_lo
	v_cmpx_lt_i16_e32 -1, v4
	s_xor_b32 s1, exec_lo, s1
; %bb.52:
	s_delay_alu instid0(VALU_DEP_2)
	v_bfi_b32 v9, 0x7fffffff, v3, v9
                                        ; implicit-def: $vgpr3
; %bb.53:
	s_and_not1_saveexec_b32 s1, s1
; %bb.54:
	v_and_b32_e32 v3, 0x7fffffff, v3
	s_delay_alu instid0(VALU_DEP_2) | instskip(NEXT) | instid1(VALU_DEP_2)
	v_bfi_b32 v9, 0x7fffffff, v7, v9
	v_mov_b32_e32 v7, v3
; %bb.55:
	s_or_b32 exec_lo, exec_lo, s1
.LBB237_56:
	s_delay_alu instid0(SALU_CYCLE_1)
	s_or_b32 exec_lo, exec_lo, s0
.LBB237_57:
	s_and_not1_saveexec_b32 s0, s12
; %bb.58:
	v_sub_f32_e32 v3, v9, v9
	s_delay_alu instid0(VALU_DEP_1) | instskip(NEXT) | instid1(VALU_DEP_1)
	v_div_scale_f32 v4, vcc_lo, v3, v3, v3
	v_rcp_f32_e32 v9, v4
	s_waitcnt_depctr 0xfff
	v_fma_f32 v10, -v4, v9, 1.0
	s_delay_alu instid0(VALU_DEP_1) | instskip(NEXT) | instid1(VALU_DEP_1)
	v_fmac_f32_e32 v9, v10, v9
	v_mul_f32_e32 v10, v4, v9
	s_delay_alu instid0(VALU_DEP_1) | instskip(NEXT) | instid1(VALU_DEP_1)
	v_fma_f32 v11, -v4, v10, v4
	v_fmac_f32_e32 v10, v11, v9
	s_delay_alu instid0(VALU_DEP_1) | instskip(NEXT) | instid1(VALU_DEP_1)
	v_fma_f32 v4, -v4, v10, v4
	v_div_fmas_f32 v4, v4, v9, v10
	s_delay_alu instid0(VALU_DEP_1)
	v_div_fixup_f32 v9, v4, v3, v3
; %bb.59:
	s_or_b32 exec_lo, exec_lo, s0
.LBB237_60:
	s_delay_alu instid0(SALU_CYCLE_1)
	s_or_b32 exec_lo, exec_lo, s11
.LBB237_61:
	s_delay_alu instid0(SALU_CYCLE_1) | instskip(SKIP_4) | instid1(VALU_DEP_3)
	s_or_b32 exec_lo, exec_lo, s9
	s_waitcnt vmcnt(0)
	v_lshrrev_b32_e32 v4, 16, v1
	v_cmp_neq_f16_e32 vcc_lo, 0, v1
	v_mov_b32_e32 v10, 0
	v_cmp_neq_f16_e64 s0, 0, v4
	v_cvt_f32_f16_e32 v3, v4
	v_mov_b32_e32 v4, 0
	s_delay_alu instid0(VALU_DEP_3) | instskip(NEXT) | instid1(SALU_CYCLE_1)
	s_or_b32 s0, vcc_lo, s0
	s_and_saveexec_b32 s9, s0
	s_cbranch_execz .LBB237_91
; %bb.62:
	v_mov_b32_e32 v10, 0x7f800000
	s_mov_b32 s11, exec_lo
	v_cmpx_neq_f32_e64 0x7f800000, |v3|
	s_cbranch_execz .LBB237_90
; %bb.63:
	v_cvt_f32_f16_e32 v10, v1
	s_mov_b32 s0, exec_lo
	v_cmpx_o_f16_e32 v1, v1
	s_xor_b32 s12, exec_lo, s0
	s_cbranch_execz .LBB237_87
; %bb.64:
	s_mov_b32 s1, exec_lo
	v_cmpx_neq_f32_e64 0x7f800000, |v10|
	s_xor_b32 s13, exec_lo, s1
	s_cbranch_execz .LBB237_80
; %bb.65:
	v_max_f32_e64 v11, |v3|, |v3|
	v_max_f32_e64 v12, |v10|, |v10|
                                        ; implicit-def: $sgpr14
	s_delay_alu instid0(VALU_DEP_1) | instskip(NEXT) | instid1(VALU_DEP_1)
	v_max_f32_e32 v11, v12, v11
	v_cmp_nle_f32_e64 s0, 0x7ed413cb, v11
	s_delay_alu instid0(VALU_DEP_1) | instskip(NEXT) | instid1(SALU_CYCLE_1)
	s_and_saveexec_b32 s1, s0
	s_xor_b32 s1, exec_lo, s1
	s_cbranch_execz .LBB237_69
; %bb.66:
	v_cmp_ge_f32_e64 s14, 0x1000000, |v10|
	v_cmp_ge_f32_e64 s15, 0x1000000, |v3|
	s_delay_alu instid0(VALU_DEP_1)
	s_and_b32 s16, s14, s15
	s_mov_b32 s14, 0
	s_and_saveexec_b32 s15, s16
; %bb.67:
	v_dual_mul_f32 v3, 4.0, v3 :: v_dual_mul_f32 v10, 4.0, v10
	s_mov_b32 s14, exec_lo
; %bb.68:
	s_or_b32 exec_lo, exec_lo, s15
	s_delay_alu instid0(SALU_CYCLE_1)
	s_and_b32 s14, s14, exec_lo
.LBB237_69:
	s_and_not1_saveexec_b32 s1, s1
; %bb.70:
	v_dual_mul_f32 v10, 0x3e800000, v10 :: v_dual_mul_f32 v3, 0x3e800000, v3
	s_and_not1_b32 s14, s14, exec_lo
; %bb.71:
	s_or_b32 exec_lo, exec_lo, s1
	s_delay_alu instid0(VALU_DEP_1) | instskip(NEXT) | instid1(VALU_DEP_2)
	v_max_f32_e64 v11, |v3|, |v3|
	v_max_f32_e64 v12, |v10|, |v10|
	s_delay_alu instid0(VALU_DEP_1) | instskip(NEXT) | instid1(VALU_DEP_1)
	v_max_f32_e32 v13, v12, v11
	v_cvt_f64_f32_e32 v[11:12], v13
	s_delay_alu instid0(VALU_DEP_1) | instskip(NEXT) | instid1(VALU_DEP_1)
	v_frexp_exp_i32_f64_e32 v11, v[11:12]
	v_sub_nc_u32_e32 v12, 0, v11
	s_delay_alu instid0(VALU_DEP_1) | instskip(SKIP_1) | instid1(VALU_DEP_2)
	v_ldexp_f32 v14, |v3|, v12
	v_ldexp_f32 v12, |v10|, v12
	v_mul_f32_e32 v14, v14, v14
	v_cmp_neq_f32_e64 s1, 0x7f800000, v13
	s_delay_alu instid0(VALU_DEP_2) | instskip(NEXT) | instid1(VALU_DEP_1)
	v_fmac_f32_e32 v14, v12, v12
	v_sqrt_f32_e32 v12, v14
	s_waitcnt_depctr 0xfff
	v_ldexp_f32 v11, v12, v11
                                        ; implicit-def: $vgpr12
	s_delay_alu instid0(VALU_DEP_1)
	v_cndmask_b32_e64 v13, 0x7f800000, v11, s1
                                        ; implicit-def: $vgpr11
	s_mov_b32 s1, exec_lo
	v_cmpx_le_f32_e32 0, v10
	s_xor_b32 s15, exec_lo, s1
	s_cbranch_execz .LBB237_73
; %bb.72:
	v_add_f32_e32 v10, v10, v13
	s_delay_alu instid0(VALU_DEP_1) | instskip(NEXT) | instid1(VALU_DEP_1)
	v_mul_f32_e32 v10, 0.5, v10
	v_mul_f32_e32 v11, 0x4f800000, v10
	v_cmp_gt_f32_e32 vcc_lo, 0xf800000, v10
	s_delay_alu instid0(VALU_DEP_2) | instskip(NEXT) | instid1(VALU_DEP_1)
	v_cndmask_b32_e32 v10, v10, v11, vcc_lo
	v_sqrt_f32_e32 v11, v10
	s_waitcnt_depctr 0xfff
	v_add_nc_u32_e32 v12, -1, v11
	v_add_nc_u32_e32 v13, 1, v11
	s_delay_alu instid0(VALU_DEP_2) | instskip(NEXT) | instid1(VALU_DEP_2)
	v_fma_f32 v14, -v12, v11, v10
	v_fma_f32 v15, -v13, v11, v10
	s_delay_alu instid0(VALU_DEP_2) | instskip(NEXT) | instid1(VALU_DEP_1)
	v_cmp_ge_f32_e64 s1, 0, v14
	v_cndmask_b32_e64 v11, v11, v12, s1
	s_delay_alu instid0(VALU_DEP_3) | instskip(NEXT) | instid1(VALU_DEP_1)
	v_cmp_lt_f32_e64 s1, 0, v15
	v_cndmask_b32_e64 v11, v11, v13, s1
	s_delay_alu instid0(VALU_DEP_1) | instskip(NEXT) | instid1(VALU_DEP_1)
	v_mul_f32_e32 v12, 0x37800000, v11
	v_cndmask_b32_e32 v11, v11, v12, vcc_lo
	v_cmp_class_f32_e64 vcc_lo, v10, 0x260
	s_delay_alu instid0(VALU_DEP_2) | instskip(NEXT) | instid1(VALU_DEP_1)
	v_cndmask_b32_e32 v11, v11, v10, vcc_lo
	v_add_f32_e32 v10, v11, v11
	s_delay_alu instid0(VALU_DEP_1) | instskip(NEXT) | instid1(VALU_DEP_1)
	v_div_scale_f32 v12, null, v10, v10, v3
	v_rcp_f32_e32 v13, v12
	s_waitcnt_depctr 0xfff
	v_fma_f32 v14, -v12, v13, 1.0
	s_delay_alu instid0(VALU_DEP_1) | instskip(SKIP_1) | instid1(VALU_DEP_1)
	v_fmac_f32_e32 v13, v14, v13
	v_div_scale_f32 v14, vcc_lo, v3, v10, v3
	v_mul_f32_e32 v15, v14, v13
	s_delay_alu instid0(VALU_DEP_1) | instskip(NEXT) | instid1(VALU_DEP_1)
	v_fma_f32 v16, -v12, v15, v14
	v_fmac_f32_e32 v15, v16, v13
	s_delay_alu instid0(VALU_DEP_1) | instskip(NEXT) | instid1(VALU_DEP_1)
	v_fma_f32 v12, -v12, v15, v14
	v_div_fmas_f32 v12, v12, v13, v15
                                        ; implicit-def: $vgpr13
	s_delay_alu instid0(VALU_DEP_1)
	v_div_fixup_f32 v12, v12, v10, v3
                                        ; implicit-def: $vgpr10
                                        ; implicit-def: $vgpr3
	s_and_not1_saveexec_b32 s15, s15
	s_cbranch_execz .LBB237_75
	s_branch .LBB237_74
.LBB237_73:
	s_and_not1_saveexec_b32 s15, s15
	s_cbranch_execz .LBB237_75
.LBB237_74:
	v_sub_f32_e32 v10, v13, v10
	s_delay_alu instid0(VALU_DEP_1) | instskip(NEXT) | instid1(VALU_DEP_1)
	v_mul_f32_e32 v10, 0.5, v10
	v_mul_f32_e32 v11, 0x4f800000, v10
	v_cmp_gt_f32_e32 vcc_lo, 0xf800000, v10
	s_delay_alu instid0(VALU_DEP_2) | instskip(NEXT) | instid1(VALU_DEP_1)
	v_cndmask_b32_e32 v10, v10, v11, vcc_lo
	v_sqrt_f32_e32 v11, v10
	s_waitcnt_depctr 0xfff
	v_add_nc_u32_e32 v12, -1, v11
	v_add_nc_u32_e32 v13, 1, v11
	s_delay_alu instid0(VALU_DEP_2) | instskip(NEXT) | instid1(VALU_DEP_2)
	v_fma_f32 v14, -v12, v11, v10
	v_fma_f32 v15, -v13, v11, v10
	s_delay_alu instid0(VALU_DEP_2) | instskip(NEXT) | instid1(VALU_DEP_1)
	v_cmp_ge_f32_e64 s1, 0, v14
	v_cndmask_b32_e64 v11, v11, v12, s1
	s_delay_alu instid0(VALU_DEP_3) | instskip(NEXT) | instid1(VALU_DEP_1)
	v_cmp_lt_f32_e64 s1, 0, v15
	v_cndmask_b32_e64 v11, v11, v13, s1
	s_delay_alu instid0(VALU_DEP_1) | instskip(NEXT) | instid1(VALU_DEP_1)
	v_mul_f32_e32 v12, 0x37800000, v11
	v_cndmask_b32_e32 v11, v11, v12, vcc_lo
	v_cmp_class_f32_e64 vcc_lo, v10, 0x260
	s_delay_alu instid0(VALU_DEP_2) | instskip(NEXT) | instid1(VALU_DEP_1)
	v_dual_cndmask_b32 v10, v11, v10 :: v_dual_and_b32 v11, 0x7fffffff, v3
	v_add_f32_e32 v12, v10, v10
	s_delay_alu instid0(VALU_DEP_1) | instskip(SKIP_1) | instid1(VALU_DEP_2)
	v_div_scale_f32 v13, null, v12, v12, v11
	v_div_scale_f32 v11, vcc_lo, v11, v12, v11
	v_rcp_f32_e32 v14, v13
	s_waitcnt_depctr 0xfff
	v_fma_f32 v15, -v13, v14, 1.0
	s_delay_alu instid0(VALU_DEP_1) | instskip(NEXT) | instid1(VALU_DEP_1)
	v_fmac_f32_e32 v14, v15, v14
	v_mul_f32_e32 v15, v11, v14
	s_delay_alu instid0(VALU_DEP_1) | instskip(NEXT) | instid1(VALU_DEP_1)
	v_fma_f32 v16, -v13, v15, v11
	v_fmac_f32_e32 v15, v16, v14
	s_delay_alu instid0(VALU_DEP_1) | instskip(NEXT) | instid1(VALU_DEP_1)
	v_fma_f32 v11, -v13, v15, v11
	v_div_fmas_f32 v11, v11, v14, v15
	s_delay_alu instid0(VALU_DEP_1)
	v_div_fixup_f32 v11, v11, v12, |v3|
	v_bfi_b32 v12, 0x7fffffff, v10, v3
.LBB237_75:
	s_or_b32 exec_lo, exec_lo, s15
                                        ; implicit-def: $vgpr3
                                        ; implicit-def: $vgpr10
	s_and_saveexec_b32 s1, s0
	s_delay_alu instid0(SALU_CYCLE_1)
	s_xor_b32 s0, exec_lo, s1
	s_cbranch_execz .LBB237_77
; %bb.76:
	v_mul_f32_e32 v3, 0.5, v11
	v_mul_f32_e32 v13, 0.5, v12
	s_delay_alu instid0(VALU_DEP_2) | instskip(NEXT) | instid1(VALU_DEP_2)
	v_cndmask_b32_e64 v10, v11, v3, s14
	v_cndmask_b32_e64 v3, v12, v13, s14
                                        ; implicit-def: $vgpr11
                                        ; implicit-def: $vgpr12
	s_and_not1_saveexec_b32 s0, s0
	s_cbranch_execnz .LBB237_78
	s_branch .LBB237_79
.LBB237_77:
	s_and_not1_saveexec_b32 s0, s0
.LBB237_78:
	v_dual_add_f32 v10, v11, v11 :: v_dual_add_f32 v3, v12, v12
.LBB237_79:
	s_or_b32 exec_lo, exec_lo, s0
.LBB237_80:
	s_and_not1_saveexec_b32 s0, s13
	s_cbranch_execz .LBB237_86
; %bb.81:
	v_cmp_lt_i16_e32 vcc_lo, -1, v1
	v_sub_f32_e32 v1, v3, v3
	s_and_saveexec_b32 s1, vcc_lo
	s_delay_alu instid0(SALU_CYCLE_1)
	s_xor_b32 s1, exec_lo, s1
; %bb.82:
	s_delay_alu instid0(VALU_DEP_1)
	v_bfi_b32 v3, 0x7fffffff, v1, v3
                                        ; implicit-def: $vgpr1
; %bb.83:
	s_and_not1_saveexec_b32 s1, s1
; %bb.84:
	v_and_b32_e32 v1, 0x7fffffff, v1
	s_delay_alu instid0(VALU_DEP_2) | instskip(NEXT) | instid1(VALU_DEP_2)
	v_bfi_b32 v3, 0x7fffffff, v10, v3
	v_mov_b32_e32 v10, v1
; %bb.85:
	s_or_b32 exec_lo, exec_lo, s1
.LBB237_86:
	s_delay_alu instid0(SALU_CYCLE_1)
	s_or_b32 exec_lo, exec_lo, s0
.LBB237_87:
	s_and_not1_saveexec_b32 s0, s12
; %bb.88:
	v_sub_f32_e32 v1, v3, v3
	s_delay_alu instid0(VALU_DEP_1) | instskip(NEXT) | instid1(VALU_DEP_1)
	v_div_scale_f32 v3, vcc_lo, v1, v1, v1
	v_rcp_f32_e32 v11, v3
	s_waitcnt_depctr 0xfff
	v_fma_f32 v12, -v3, v11, 1.0
	s_delay_alu instid0(VALU_DEP_1) | instskip(NEXT) | instid1(VALU_DEP_1)
	v_fmac_f32_e32 v11, v12, v11
	v_mul_f32_e32 v12, v3, v11
	s_delay_alu instid0(VALU_DEP_1) | instskip(NEXT) | instid1(VALU_DEP_1)
	v_fma_f32 v13, -v3, v12, v3
	v_fmac_f32_e32 v12, v13, v11
	s_delay_alu instid0(VALU_DEP_1) | instskip(NEXT) | instid1(VALU_DEP_1)
	v_fma_f32 v3, -v3, v12, v3
	v_div_fmas_f32 v3, v3, v11, v12
	s_delay_alu instid0(VALU_DEP_1)
	v_div_fixup_f32 v3, v3, v1, v1
; %bb.89:
	s_or_b32 exec_lo, exec_lo, s0
.LBB237_90:
	s_delay_alu instid0(SALU_CYCLE_1)
	s_or_b32 exec_lo, exec_lo, s11
.LBB237_91:
	s_delay_alu instid0(SALU_CYCLE_1) | instskip(SKIP_2) | instid1(VALU_DEP_2)
	s_or_b32 exec_lo, exec_lo, s9
	v_lshrrev_b32_e32 v1, 16, v2
	v_cmp_neq_f16_e32 vcc_lo, 0, v2
	v_cmp_neq_f16_e64 s0, 0, v1
	v_cvt_f32_f16_e32 v11, v1
	s_delay_alu instid0(VALU_DEP_2) | instskip(NEXT) | instid1(SALU_CYCLE_1)
	s_or_b32 s0, vcc_lo, s0
	s_and_saveexec_b32 s9, s0
	s_cbranch_execz .LBB237_121
; %bb.92:
	v_mov_b32_e32 v4, 0x7f800000
	s_mov_b32 s11, exec_lo
	v_cmpx_neq_f32_e64 0x7f800000, |v11|
	s_cbranch_execz .LBB237_120
; %bb.93:
	v_cvt_f32_f16_e32 v4, v2
	s_mov_b32 s0, exec_lo
	v_cmpx_o_f16_e32 v2, v2
	s_xor_b32 s12, exec_lo, s0
	s_cbranch_execz .LBB237_117
; %bb.94:
	s_mov_b32 s1, exec_lo
	v_cmpx_neq_f32_e64 0x7f800000, |v4|
	s_xor_b32 s13, exec_lo, s1
	s_cbranch_execz .LBB237_110
; %bb.95:
	v_max_f32_e64 v1, |v11|, |v11|
	v_max_f32_e64 v2, |v4|, |v4|
                                        ; implicit-def: $sgpr14
	s_delay_alu instid0(VALU_DEP_1) | instskip(NEXT) | instid1(VALU_DEP_1)
	v_max_f32_e32 v1, v2, v1
	v_cmp_nle_f32_e64 s0, 0x7ed413cb, v1
	s_delay_alu instid0(VALU_DEP_1) | instskip(NEXT) | instid1(SALU_CYCLE_1)
	s_and_saveexec_b32 s1, s0
	s_xor_b32 s1, exec_lo, s1
	s_cbranch_execz .LBB237_99
; %bb.96:
	v_cmp_ge_f32_e64 s14, 0x1000000, |v4|
	v_cmp_ge_f32_e64 s15, 0x1000000, |v11|
	s_delay_alu instid0(VALU_DEP_1)
	s_and_b32 s16, s14, s15
	s_mov_b32 s14, 0
	s_and_saveexec_b32 s15, s16
; %bb.97:
	v_dual_mul_f32 v11, 4.0, v11 :: v_dual_mul_f32 v4, 4.0, v4
	s_mov_b32 s14, exec_lo
; %bb.98:
	s_or_b32 exec_lo, exec_lo, s15
	s_delay_alu instid0(SALU_CYCLE_1)
	s_and_b32 s14, s14, exec_lo
.LBB237_99:
	s_and_not1_saveexec_b32 s1, s1
; %bb.100:
	v_dual_mul_f32 v4, 0x3e800000, v4 :: v_dual_mul_f32 v11, 0x3e800000, v11
	s_and_not1_b32 s14, s14, exec_lo
; %bb.101:
	s_or_b32 exec_lo, exec_lo, s1
	s_delay_alu instid0(VALU_DEP_1) | instskip(NEXT) | instid1(VALU_DEP_2)
	v_max_f32_e64 v1, |v11|, |v11|
	v_max_f32_e64 v2, |v4|, |v4|
	s_delay_alu instid0(VALU_DEP_1) | instskip(NEXT) | instid1(VALU_DEP_1)
	v_max_f32_e32 v12, v2, v1
	v_cvt_f64_f32_e32 v[1:2], v12
	v_cmp_neq_f32_e64 s1, 0x7f800000, v12
	s_delay_alu instid0(VALU_DEP_2) | instskip(NEXT) | instid1(VALU_DEP_1)
	v_frexp_exp_i32_f64_e32 v1, v[1:2]
	v_sub_nc_u32_e32 v2, 0, v1
	s_delay_alu instid0(VALU_DEP_1) | instskip(SKIP_1) | instid1(VALU_DEP_2)
	v_ldexp_f32 v13, |v11|, v2
	v_ldexp_f32 v2, |v4|, v2
	v_mul_f32_e32 v13, v13, v13
	s_delay_alu instid0(VALU_DEP_1) | instskip(NEXT) | instid1(VALU_DEP_1)
	v_fmac_f32_e32 v13, v2, v2
	v_sqrt_f32_e32 v2, v13
	s_waitcnt_depctr 0xfff
	v_ldexp_f32 v1, v2, v1
                                        ; implicit-def: $vgpr2
	s_delay_alu instid0(VALU_DEP_1)
	v_cndmask_b32_e64 v12, 0x7f800000, v1, s1
                                        ; implicit-def: $vgpr1
	s_mov_b32 s1, exec_lo
	v_cmpx_le_f32_e32 0, v4
	s_xor_b32 s15, exec_lo, s1
	s_cbranch_execz .LBB237_103
; %bb.102:
	v_add_f32_e32 v1, v4, v12
	s_delay_alu instid0(VALU_DEP_1) | instskip(NEXT) | instid1(VALU_DEP_1)
	v_mul_f32_e32 v1, 0.5, v1
	v_mul_f32_e32 v2, 0x4f800000, v1
	v_cmp_gt_f32_e32 vcc_lo, 0xf800000, v1
	s_delay_alu instid0(VALU_DEP_2) | instskip(NEXT) | instid1(VALU_DEP_1)
	v_cndmask_b32_e32 v1, v1, v2, vcc_lo
	v_sqrt_f32_e32 v2, v1
	s_waitcnt_depctr 0xfff
	v_add_nc_u32_e32 v4, -1, v2
	v_add_nc_u32_e32 v12, 1, v2
	s_delay_alu instid0(VALU_DEP_2) | instskip(NEXT) | instid1(VALU_DEP_2)
	v_fma_f32 v13, -v4, v2, v1
	v_fma_f32 v14, -v12, v2, v1
	s_delay_alu instid0(VALU_DEP_2) | instskip(NEXT) | instid1(VALU_DEP_1)
	v_cmp_ge_f32_e64 s1, 0, v13
	v_cndmask_b32_e64 v2, v2, v4, s1
	s_delay_alu instid0(VALU_DEP_3) | instskip(NEXT) | instid1(VALU_DEP_1)
	v_cmp_lt_f32_e64 s1, 0, v14
	v_cndmask_b32_e64 v2, v2, v12, s1
	s_delay_alu instid0(VALU_DEP_1) | instskip(NEXT) | instid1(VALU_DEP_1)
	v_mul_f32_e32 v4, 0x37800000, v2
	v_cndmask_b32_e32 v2, v2, v4, vcc_lo
	v_cmp_class_f32_e64 vcc_lo, v1, 0x260
	s_delay_alu instid0(VALU_DEP_2) | instskip(NEXT) | instid1(VALU_DEP_1)
	v_cndmask_b32_e32 v1, v2, v1, vcc_lo
	v_add_f32_e32 v2, v1, v1
	s_delay_alu instid0(VALU_DEP_1) | instskip(NEXT) | instid1(VALU_DEP_1)
	v_div_scale_f32 v4, null, v2, v2, v11
	v_rcp_f32_e32 v12, v4
	s_waitcnt_depctr 0xfff
	v_fma_f32 v13, -v4, v12, 1.0
	s_delay_alu instid0(VALU_DEP_1) | instskip(SKIP_1) | instid1(VALU_DEP_1)
	v_fmac_f32_e32 v12, v13, v12
	v_div_scale_f32 v13, vcc_lo, v11, v2, v11
	v_mul_f32_e32 v14, v13, v12
	s_delay_alu instid0(VALU_DEP_1) | instskip(NEXT) | instid1(VALU_DEP_1)
	v_fma_f32 v15, -v4, v14, v13
	v_fmac_f32_e32 v14, v15, v12
	s_delay_alu instid0(VALU_DEP_1) | instskip(NEXT) | instid1(VALU_DEP_1)
	v_fma_f32 v4, -v4, v14, v13
	v_div_fmas_f32 v4, v4, v12, v14
                                        ; implicit-def: $vgpr12
	s_delay_alu instid0(VALU_DEP_1)
	v_div_fixup_f32 v2, v4, v2, v11
                                        ; implicit-def: $vgpr4
                                        ; implicit-def: $vgpr11
	s_and_not1_saveexec_b32 s15, s15
	s_cbranch_execz .LBB237_105
	s_branch .LBB237_104
.LBB237_103:
	s_and_not1_saveexec_b32 s15, s15
	s_cbranch_execz .LBB237_105
.LBB237_104:
	v_sub_f32_e32 v1, v12, v4
	s_delay_alu instid0(VALU_DEP_1) | instskip(NEXT) | instid1(VALU_DEP_1)
	v_mul_f32_e32 v1, 0.5, v1
	v_mul_f32_e32 v2, 0x4f800000, v1
	v_cmp_gt_f32_e32 vcc_lo, 0xf800000, v1
	s_delay_alu instid0(VALU_DEP_2) | instskip(NEXT) | instid1(VALU_DEP_1)
	v_cndmask_b32_e32 v1, v1, v2, vcc_lo
	v_sqrt_f32_e32 v2, v1
	s_waitcnt_depctr 0xfff
	v_add_nc_u32_e32 v4, -1, v2
	v_add_nc_u32_e32 v12, 1, v2
	s_delay_alu instid0(VALU_DEP_2) | instskip(NEXT) | instid1(VALU_DEP_2)
	v_fma_f32 v13, -v4, v2, v1
	v_fma_f32 v14, -v12, v2, v1
	s_delay_alu instid0(VALU_DEP_2) | instskip(NEXT) | instid1(VALU_DEP_1)
	v_cmp_ge_f32_e64 s1, 0, v13
	v_cndmask_b32_e64 v2, v2, v4, s1
	s_delay_alu instid0(VALU_DEP_3) | instskip(NEXT) | instid1(VALU_DEP_1)
	v_cmp_lt_f32_e64 s1, 0, v14
	v_cndmask_b32_e64 v2, v2, v12, s1
	s_delay_alu instid0(VALU_DEP_1) | instskip(NEXT) | instid1(VALU_DEP_1)
	v_mul_f32_e32 v4, 0x37800000, v2
	v_cndmask_b32_e32 v2, v2, v4, vcc_lo
	v_cmp_class_f32_e64 vcc_lo, v1, 0x260
	s_delay_alu instid0(VALU_DEP_2) | instskip(NEXT) | instid1(VALU_DEP_1)
	v_dual_cndmask_b32 v2, v2, v1 :: v_dual_and_b32 v1, 0x7fffffff, v11
	v_add_f32_e32 v4, v2, v2
	v_bfi_b32 v2, 0x7fffffff, v2, v11
	s_delay_alu instid0(VALU_DEP_2) | instskip(SKIP_1) | instid1(VALU_DEP_2)
	v_div_scale_f32 v12, null, v4, v4, v1
	v_div_scale_f32 v1, vcc_lo, v1, v4, v1
	v_rcp_f32_e32 v13, v12
	s_waitcnt_depctr 0xfff
	v_fma_f32 v14, -v12, v13, 1.0
	s_delay_alu instid0(VALU_DEP_1) | instskip(NEXT) | instid1(VALU_DEP_1)
	v_fmac_f32_e32 v13, v14, v13
	v_mul_f32_e32 v14, v1, v13
	s_delay_alu instid0(VALU_DEP_1) | instskip(NEXT) | instid1(VALU_DEP_1)
	v_fma_f32 v15, -v12, v14, v1
	v_fmac_f32_e32 v14, v15, v13
	s_delay_alu instid0(VALU_DEP_1) | instskip(NEXT) | instid1(VALU_DEP_1)
	v_fma_f32 v1, -v12, v14, v1
	v_div_fmas_f32 v1, v1, v13, v14
	s_delay_alu instid0(VALU_DEP_1)
	v_div_fixup_f32 v1, v1, v4, |v11|
.LBB237_105:
	s_or_b32 exec_lo, exec_lo, s15
                                        ; implicit-def: $vgpr11
                                        ; implicit-def: $vgpr4
	s_and_saveexec_b32 s1, s0
	s_delay_alu instid0(SALU_CYCLE_1)
	s_xor_b32 s0, exec_lo, s1
	s_cbranch_execz .LBB237_107
; %bb.106:
	v_dual_mul_f32 v4, 0.5, v1 :: v_dual_mul_f32 v11, 0.5, v2
	s_delay_alu instid0(VALU_DEP_1) | instskip(NEXT) | instid1(VALU_DEP_2)
	v_cndmask_b32_e64 v4, v1, v4, s14
	v_cndmask_b32_e64 v11, v2, v11, s14
                                        ; implicit-def: $vgpr1
                                        ; implicit-def: $vgpr2
	s_and_not1_saveexec_b32 s0, s0
	s_cbranch_execnz .LBB237_108
	s_branch .LBB237_109
.LBB237_107:
	s_and_not1_saveexec_b32 s0, s0
.LBB237_108:
	v_dual_add_f32 v4, v1, v1 :: v_dual_add_f32 v11, v2, v2
.LBB237_109:
	s_or_b32 exec_lo, exec_lo, s0
                                        ; implicit-def: $vgpr1_vgpr2
.LBB237_110:
	s_and_not1_saveexec_b32 s0, s13
	s_cbranch_execz .LBB237_116
; %bb.111:
	s_delay_alu instid0(VALU_DEP_1)
	v_sub_f32_e32 v1, v11, v11
	s_mov_b32 s1, exec_lo
	v_cmpx_lt_i16_e32 -1, v2
	s_xor_b32 s1, exec_lo, s1
; %bb.112:
	s_delay_alu instid0(VALU_DEP_2)
	v_bfi_b32 v11, 0x7fffffff, v1, v11
                                        ; implicit-def: $vgpr1
; %bb.113:
	s_and_not1_saveexec_b32 s1, s1
; %bb.114:
	v_and_b32_e32 v1, 0x7fffffff, v1
	s_delay_alu instid0(VALU_DEP_2) | instskip(NEXT) | instid1(VALU_DEP_2)
	v_bfi_b32 v11, 0x7fffffff, v4, v11
	v_mov_b32_e32 v4, v1
; %bb.115:
	s_or_b32 exec_lo, exec_lo, s1
.LBB237_116:
	s_delay_alu instid0(SALU_CYCLE_1)
	s_or_b32 exec_lo, exec_lo, s0
.LBB237_117:
	s_and_not1_saveexec_b32 s0, s12
; %bb.118:
	v_sub_f32_e32 v1, v11, v11
	s_delay_alu instid0(VALU_DEP_1) | instskip(NEXT) | instid1(VALU_DEP_1)
	v_div_scale_f32 v2, vcc_lo, v1, v1, v1
	v_rcp_f32_e32 v11, v2
	s_waitcnt_depctr 0xfff
	v_fma_f32 v12, -v2, v11, 1.0
	s_delay_alu instid0(VALU_DEP_1) | instskip(NEXT) | instid1(VALU_DEP_1)
	v_fmac_f32_e32 v11, v12, v11
	v_mul_f32_e32 v12, v2, v11
	s_delay_alu instid0(VALU_DEP_1) | instskip(NEXT) | instid1(VALU_DEP_1)
	v_fma_f32 v13, -v2, v12, v2
	v_fmac_f32_e32 v12, v13, v11
	s_delay_alu instid0(VALU_DEP_1) | instskip(NEXT) | instid1(VALU_DEP_1)
	v_fma_f32 v2, -v2, v12, v2
	v_div_fmas_f32 v2, v2, v11, v12
	s_delay_alu instid0(VALU_DEP_1)
	v_div_fixup_f32 v11, v2, v1, v1
; %bb.119:
	s_or_b32 exec_lo, exec_lo, s0
.LBB237_120:
	s_delay_alu instid0(SALU_CYCLE_1)
	s_or_b32 exec_lo, exec_lo, s11
.LBB237_121:
	s_delay_alu instid0(SALU_CYCLE_1)
	s_or_b32 exec_lo, exec_lo, s9
	v_cvt_f16_f32_e32 v1, v3
	v_cvt_f16_f32_e32 v3, v6
	;; [unrolled: 1-line block ×6, first 2 shown]
	v_lshlrev_b32_e32 v3, 16, v3
	v_and_b32_e32 v6, 0xffff, v6
	v_lshlrev_b32_e32 v1, 16, v1
	v_and_b32_e32 v2, 0xffff, v2
	v_cvt_f16_f32_e32 v9, v11
	v_cvt_f16_f32_e32 v4, v4
	v_or_b32_e32 v3, v3, v6
	v_lshlrev_b32_e32 v6, 16, v8
	v_and_b32_e32 v7, 0xffff, v7
	v_lshlrev_b32_e32 v8, 16, v9
	v_and_b32_e32 v4, 0xffff, v4
	v_or_b32_e32 v9, v1, v2
	v_or3_b32 v1, 0, 0, v3
	v_or3_b32 v2, v6, v7, 0
	s_add_u32 s2, s4, s2
	v_or3_b32 v4, v8, v4, 0
	v_or3_b32 v3, 0, 0, v9
	s_addc_u32 s3, s5, s3
	s_mov_b32 s0, 0
	s_clause 0x1
	global_store_b64 v5, v[1:2], s[2:3]
	global_store_b64 v5, v[3:4], s[2:3] offset:2048
.LBB237_122:
	s_and_b32 vcc_lo, exec_lo, s0
	s_cbranch_vccz .LBB237_267
; %bb.123:
	v_cmp_gt_i32_e64 s0, s10, v0
	v_dual_mov_b32 v7, 0 :: v_dual_mov_b32 v8, 0
	v_or_b32_e32 v1, s8, v0
	v_or_b32_e32 v3, 0x100, v0
	v_mov_b32_e32 v4, v0
	s_and_saveexec_b32 s1, s0
	s_cbranch_execz .LBB237_125
; %bb.124:
	v_mov_b32_e32 v2, 0
	s_delay_alu instid0(VALU_DEP_1) | instskip(NEXT) | instid1(VALU_DEP_1)
	v_lshlrev_b64 v[4:5], 2, v[1:2]
	v_add_co_u32 v4, vcc_lo, s6, v4
	s_delay_alu instid0(VALU_DEP_2)
	v_add_co_ci_u32_e32 v5, vcc_lo, s7, v5, vcc_lo
	global_load_b32 v8, v[4:5], off
	v_or_b32_e32 v4, 0x100, v0
.LBB237_125:
	s_or_b32 exec_lo, exec_lo, s1
	s_delay_alu instid0(SALU_CYCLE_1) | instskip(NEXT) | instid1(VALU_DEP_1)
	s_mov_b32 s1, exec_lo
	v_cmpx_gt_i32_e64 s10, v4
	s_cbranch_execz .LBB237_127
; %bb.126:
	v_dual_mov_b32 v6, 0 :: v_dual_add_nc_u32 v5, s8, v4
	v_add_nc_u32_e32 v4, 0x100, v4
	s_delay_alu instid0(VALU_DEP_2) | instskip(NEXT) | instid1(VALU_DEP_1)
	v_lshlrev_b64 v[5:6], 2, v[5:6]
	v_add_co_u32 v5, vcc_lo, s6, v5
	s_delay_alu instid0(VALU_DEP_2)
	v_add_co_ci_u32_e32 v6, vcc_lo, s7, v6, vcc_lo
	global_load_b32 v7, v[5:6], off
.LBB237_127:
	s_or_b32 exec_lo, exec_lo, s1
	v_dual_mov_b32 v2, 0 :: v_dual_mov_b32 v5, 0
	s_mov_b32 s1, exec_lo
	v_cmpx_gt_i32_e64 s10, v4
	s_cbranch_execz .LBB237_131
; %bb.128:
	v_dual_mov_b32 v6, 0 :: v_dual_add_nc_u32 v5, s8, v4
	v_add_nc_u32_e32 v4, 0x100, v4
	s_delay_alu instid0(VALU_DEP_2) | instskip(NEXT) | instid1(VALU_DEP_1)
	v_lshlrev_b64 v[5:6], 2, v[5:6]
	v_add_co_u32 v5, vcc_lo, s6, v5
	s_delay_alu instid0(VALU_DEP_2) | instskip(SKIP_2) | instid1(SALU_CYCLE_1)
	v_add_co_ci_u32_e32 v6, vcc_lo, s7, v6, vcc_lo
	global_load_b32 v5, v[5:6], off
	s_or_b32 exec_lo, exec_lo, s1
	s_mov_b32 s1, exec_lo
	v_cmpx_gt_i32_e64 s10, v4
	s_cbranch_execnz .LBB237_132
.LBB237_129:
	s_or_b32 exec_lo, exec_lo, s1
                                        ; implicit-def: $vgpr4
	s_and_saveexec_b32 s3, s0
	s_cbranch_execnz .LBB237_133
.LBB237_130:
	s_or_b32 exec_lo, exec_lo, s3
	s_delay_alu instid0(SALU_CYCLE_1)
	s_mov_b32 s3, exec_lo
                                        ; implicit-def: $vgpr6
	v_cmpx_gt_i32_e64 s10, v3
	s_cbranch_execz .LBB237_195
	s_branch .LBB237_164
.LBB237_131:
	s_or_b32 exec_lo, exec_lo, s1
	s_delay_alu instid0(SALU_CYCLE_1)
	s_mov_b32 s1, exec_lo
	v_cmpx_gt_i32_e64 s10, v4
	s_cbranch_execz .LBB237_129
.LBB237_132:
	v_dual_mov_b32 v10, 0 :: v_dual_add_nc_u32 v9, s8, v4
	s_delay_alu instid0(VALU_DEP_1) | instskip(NEXT) | instid1(VALU_DEP_1)
	v_lshlrev_b64 v[9:10], 2, v[9:10]
	v_add_co_u32 v9, vcc_lo, s6, v9
	s_delay_alu instid0(VALU_DEP_2)
	v_add_co_ci_u32_e32 v10, vcc_lo, s7, v10, vcc_lo
	global_load_b32 v2, v[9:10], off
	s_or_b32 exec_lo, exec_lo, s1
                                        ; implicit-def: $vgpr4
	s_and_saveexec_b32 s3, s0
	s_cbranch_execz .LBB237_130
.LBB237_133:
	s_waitcnt vmcnt(0)
	v_lshrrev_b32_e32 v4, 16, v8
	v_cmp_neq_f16_e32 vcc_lo, 0, v8
	v_mov_b32_e32 v6, 0
	s_delay_alu instid0(VALU_DEP_3) | instskip(SKIP_1) | instid1(VALU_DEP_2)
	v_cmp_neq_f16_e64 s1, 0, v4
	v_cvt_f32_f16_e32 v4, v4
	s_or_b32 s1, vcc_lo, s1
	s_delay_alu instid0(SALU_CYCLE_1)
	s_and_saveexec_b32 s6, s1
	s_cbranch_execz .LBB237_163
; %bb.134:
	v_mov_b32_e32 v6, 0x7f800000
	s_mov_b32 s7, exec_lo
	v_cmpx_neq_f32_e64 0x7f800000, |v4|
	s_cbranch_execz .LBB237_162
; %bb.135:
	v_cvt_f32_f16_e32 v6, v8
	s_mov_b32 s1, exec_lo
	v_cmpx_o_f16_e32 v8, v8
	s_xor_b32 s9, exec_lo, s1
	s_cbranch_execz .LBB237_159
; %bb.136:
	s_mov_b32 s2, exec_lo
	v_cmpx_neq_f32_e64 0x7f800000, |v6|
	s_xor_b32 s11, exec_lo, s2
	s_cbranch_execz .LBB237_152
; %bb.137:
	v_max_f32_e64 v8, |v4|, |v4|
	v_max_f32_e64 v9, |v6|, |v6|
                                        ; implicit-def: $sgpr12
	s_delay_alu instid0(VALU_DEP_1) | instskip(NEXT) | instid1(VALU_DEP_1)
	v_max_f32_e32 v8, v9, v8
	v_cmp_nle_f32_e64 s1, 0x7ed413cb, v8
	s_delay_alu instid0(VALU_DEP_1) | instskip(NEXT) | instid1(SALU_CYCLE_1)
	s_and_saveexec_b32 s2, s1
	s_xor_b32 s2, exec_lo, s2
	s_cbranch_execz .LBB237_141
; %bb.138:
	v_cmp_ge_f32_e64 s12, 0x1000000, |v6|
	v_cmp_ge_f32_e64 s13, 0x1000000, |v4|
	s_delay_alu instid0(VALU_DEP_1)
	s_and_b32 s14, s12, s13
	s_mov_b32 s12, 0
	s_and_saveexec_b32 s13, s14
; %bb.139:
	v_mul_f32_e32 v4, 4.0, v4
	v_mul_f32_e32 v6, 4.0, v6
	s_mov_b32 s12, exec_lo
; %bb.140:
	s_or_b32 exec_lo, exec_lo, s13
	s_delay_alu instid0(SALU_CYCLE_1)
	s_and_b32 s12, s12, exec_lo
.LBB237_141:
	s_and_not1_saveexec_b32 s2, s2
; %bb.142:
	v_mul_f32_e32 v6, 0x3e800000, v6
	v_mul_f32_e32 v4, 0x3e800000, v4
	s_and_not1_b32 s12, s12, exec_lo
; %bb.143:
	s_or_b32 exec_lo, exec_lo, s2
	s_delay_alu instid0(VALU_DEP_1) | instskip(SKIP_1) | instid1(VALU_DEP_1)
	v_max_f32_e64 v8, |v4|, |v4|
	v_max_f32_e64 v9, |v6|, |v6|
	v_max_f32_e32 v10, v9, v8
	s_delay_alu instid0(VALU_DEP_1) | instskip(NEXT) | instid1(VALU_DEP_1)
	v_cvt_f64_f32_e32 v[8:9], v10
	v_frexp_exp_i32_f64_e32 v8, v[8:9]
	s_delay_alu instid0(VALU_DEP_1) | instskip(NEXT) | instid1(VALU_DEP_1)
	v_sub_nc_u32_e32 v9, 0, v8
	v_ldexp_f32 v11, |v4|, v9
	v_ldexp_f32 v9, |v6|, v9
	s_delay_alu instid0(VALU_DEP_2) | instskip(SKIP_1) | instid1(VALU_DEP_2)
	v_mul_f32_e32 v11, v11, v11
	v_cmp_neq_f32_e64 s2, 0x7f800000, v10
	v_fmac_f32_e32 v11, v9, v9
	s_delay_alu instid0(VALU_DEP_1) | instskip(SKIP_2) | instid1(VALU_DEP_1)
	v_sqrt_f32_e32 v9, v11
	s_waitcnt_depctr 0xfff
	v_ldexp_f32 v8, v9, v8
                                        ; implicit-def: $vgpr9
	v_cndmask_b32_e64 v10, 0x7f800000, v8, s2
                                        ; implicit-def: $vgpr8
	s_mov_b32 s2, exec_lo
	v_cmpx_le_f32_e32 0, v6
	s_xor_b32 s13, exec_lo, s2
	s_cbranch_execz .LBB237_145
; %bb.144:
	v_add_f32_e32 v6, v6, v10
	s_delay_alu instid0(VALU_DEP_1) | instskip(NEXT) | instid1(VALU_DEP_1)
	v_mul_f32_e32 v6, 0.5, v6
	v_mul_f32_e32 v8, 0x4f800000, v6
	v_cmp_gt_f32_e32 vcc_lo, 0xf800000, v6
	s_delay_alu instid0(VALU_DEP_2) | instskip(NEXT) | instid1(VALU_DEP_1)
	v_cndmask_b32_e32 v6, v6, v8, vcc_lo
	v_sqrt_f32_e32 v8, v6
	s_waitcnt_depctr 0xfff
	v_add_nc_u32_e32 v9, -1, v8
	v_add_nc_u32_e32 v10, 1, v8
	s_delay_alu instid0(VALU_DEP_2) | instskip(NEXT) | instid1(VALU_DEP_2)
	v_fma_f32 v11, -v9, v8, v6
	v_fma_f32 v12, -v10, v8, v6
	s_delay_alu instid0(VALU_DEP_2) | instskip(NEXT) | instid1(VALU_DEP_1)
	v_cmp_ge_f32_e64 s2, 0, v11
	v_cndmask_b32_e64 v8, v8, v9, s2
	s_delay_alu instid0(VALU_DEP_3) | instskip(NEXT) | instid1(VALU_DEP_1)
	v_cmp_lt_f32_e64 s2, 0, v12
	v_cndmask_b32_e64 v8, v8, v10, s2
	s_delay_alu instid0(VALU_DEP_1) | instskip(NEXT) | instid1(VALU_DEP_1)
	v_mul_f32_e32 v9, 0x37800000, v8
	v_cndmask_b32_e32 v8, v8, v9, vcc_lo
	v_cmp_class_f32_e64 vcc_lo, v6, 0x260
	s_delay_alu instid0(VALU_DEP_2) | instskip(NEXT) | instid1(VALU_DEP_1)
	v_cndmask_b32_e32 v8, v8, v6, vcc_lo
	v_add_f32_e32 v6, v8, v8
	s_delay_alu instid0(VALU_DEP_1) | instskip(NEXT) | instid1(VALU_DEP_1)
	v_div_scale_f32 v9, null, v6, v6, v4
	v_rcp_f32_e32 v10, v9
	s_waitcnt_depctr 0xfff
	v_fma_f32 v11, -v9, v10, 1.0
	s_delay_alu instid0(VALU_DEP_1) | instskip(SKIP_1) | instid1(VALU_DEP_1)
	v_fmac_f32_e32 v10, v11, v10
	v_div_scale_f32 v11, vcc_lo, v4, v6, v4
	v_mul_f32_e32 v12, v11, v10
	s_delay_alu instid0(VALU_DEP_1) | instskip(NEXT) | instid1(VALU_DEP_1)
	v_fma_f32 v13, -v9, v12, v11
	v_fmac_f32_e32 v12, v13, v10
	s_delay_alu instid0(VALU_DEP_1) | instskip(NEXT) | instid1(VALU_DEP_1)
	v_fma_f32 v9, -v9, v12, v11
	v_div_fmas_f32 v9, v9, v10, v12
                                        ; implicit-def: $vgpr10
	s_delay_alu instid0(VALU_DEP_1)
	v_div_fixup_f32 v9, v9, v6, v4
                                        ; implicit-def: $vgpr6
                                        ; implicit-def: $vgpr4
	s_and_not1_saveexec_b32 s13, s13
	s_cbranch_execz .LBB237_147
	s_branch .LBB237_146
.LBB237_145:
	s_and_not1_saveexec_b32 s13, s13
	s_cbranch_execz .LBB237_147
.LBB237_146:
	v_sub_f32_e32 v6, v10, v6
	s_delay_alu instid0(VALU_DEP_1) | instskip(NEXT) | instid1(VALU_DEP_1)
	v_mul_f32_e32 v6, 0.5, v6
	v_mul_f32_e32 v8, 0x4f800000, v6
	v_cmp_gt_f32_e32 vcc_lo, 0xf800000, v6
	s_delay_alu instid0(VALU_DEP_2) | instskip(NEXT) | instid1(VALU_DEP_1)
	v_cndmask_b32_e32 v6, v6, v8, vcc_lo
	v_sqrt_f32_e32 v8, v6
	s_waitcnt_depctr 0xfff
	v_add_nc_u32_e32 v9, -1, v8
	v_add_nc_u32_e32 v10, 1, v8
	s_delay_alu instid0(VALU_DEP_2) | instskip(NEXT) | instid1(VALU_DEP_2)
	v_fma_f32 v11, -v9, v8, v6
	v_fma_f32 v12, -v10, v8, v6
	s_delay_alu instid0(VALU_DEP_2) | instskip(NEXT) | instid1(VALU_DEP_1)
	v_cmp_ge_f32_e64 s2, 0, v11
	v_cndmask_b32_e64 v8, v8, v9, s2
	s_delay_alu instid0(VALU_DEP_3) | instskip(NEXT) | instid1(VALU_DEP_1)
	v_cmp_lt_f32_e64 s2, 0, v12
	v_cndmask_b32_e64 v8, v8, v10, s2
	s_delay_alu instid0(VALU_DEP_1) | instskip(NEXT) | instid1(VALU_DEP_1)
	v_mul_f32_e32 v9, 0x37800000, v8
	v_cndmask_b32_e32 v8, v8, v9, vcc_lo
	v_cmp_class_f32_e64 vcc_lo, v6, 0x260
	s_delay_alu instid0(VALU_DEP_2) | instskip(NEXT) | instid1(VALU_DEP_1)
	v_cndmask_b32_e32 v6, v8, v6, vcc_lo
	v_dual_add_f32 v9, v6, v6 :: v_dual_and_b32 v8, 0x7fffffff, v4
	s_delay_alu instid0(VALU_DEP_1) | instskip(SKIP_1) | instid1(VALU_DEP_2)
	v_div_scale_f32 v10, null, v9, v9, v8
	v_div_scale_f32 v8, vcc_lo, v8, v9, v8
	v_rcp_f32_e32 v11, v10
	s_waitcnt_depctr 0xfff
	v_fma_f32 v12, -v10, v11, 1.0
	s_delay_alu instid0(VALU_DEP_1) | instskip(NEXT) | instid1(VALU_DEP_1)
	v_fmac_f32_e32 v11, v12, v11
	v_mul_f32_e32 v12, v8, v11
	s_delay_alu instid0(VALU_DEP_1) | instskip(NEXT) | instid1(VALU_DEP_1)
	v_fma_f32 v13, -v10, v12, v8
	v_fmac_f32_e32 v12, v13, v11
	s_delay_alu instid0(VALU_DEP_1) | instskip(NEXT) | instid1(VALU_DEP_1)
	v_fma_f32 v8, -v10, v12, v8
	v_div_fmas_f32 v8, v8, v11, v12
	s_delay_alu instid0(VALU_DEP_1)
	v_div_fixup_f32 v8, v8, v9, |v4|
	v_bfi_b32 v9, 0x7fffffff, v6, v4
.LBB237_147:
	s_or_b32 exec_lo, exec_lo, s13
                                        ; implicit-def: $vgpr4
                                        ; implicit-def: $vgpr6
	s_and_saveexec_b32 s2, s1
	s_delay_alu instid0(SALU_CYCLE_1)
	s_xor_b32 s1, exec_lo, s2
	s_cbranch_execz .LBB237_149
; %bb.148:
	v_mul_f32_e32 v4, 0.5, v8
	v_mul_f32_e32 v10, 0.5, v9
	s_delay_alu instid0(VALU_DEP_2) | instskip(NEXT) | instid1(VALU_DEP_2)
	v_cndmask_b32_e64 v6, v8, v4, s12
	v_cndmask_b32_e64 v4, v9, v10, s12
                                        ; implicit-def: $vgpr8
                                        ; implicit-def: $vgpr9
	s_and_not1_saveexec_b32 s1, s1
	s_cbranch_execnz .LBB237_150
	s_branch .LBB237_151
.LBB237_149:
	s_and_not1_saveexec_b32 s1, s1
.LBB237_150:
	v_add_f32_e32 v6, v8, v8
	v_add_f32_e32 v4, v9, v9
.LBB237_151:
	s_or_b32 exec_lo, exec_lo, s1
                                        ; implicit-def: $vgpr8
.LBB237_152:
	s_and_not1_saveexec_b32 s1, s11
	s_cbranch_execz .LBB237_158
; %bb.153:
	v_cmp_lt_i16_e32 vcc_lo, -1, v8
	v_sub_f32_e32 v8, v4, v4
	s_and_saveexec_b32 s2, vcc_lo
	s_delay_alu instid0(SALU_CYCLE_1)
	s_xor_b32 s2, exec_lo, s2
; %bb.154:
	s_delay_alu instid0(VALU_DEP_1)
	v_bfi_b32 v4, 0x7fffffff, v8, v4
                                        ; implicit-def: $vgpr8
; %bb.155:
	s_and_not1_saveexec_b32 s2, s2
; %bb.156:
	v_and_b32_e32 v8, 0x7fffffff, v8
	s_delay_alu instid0(VALU_DEP_2) | instskip(NEXT) | instid1(VALU_DEP_2)
	v_bfi_b32 v4, 0x7fffffff, v6, v4
	v_mov_b32_e32 v6, v8
; %bb.157:
	s_or_b32 exec_lo, exec_lo, s2
.LBB237_158:
	s_delay_alu instid0(SALU_CYCLE_1)
	s_or_b32 exec_lo, exec_lo, s1
.LBB237_159:
	s_and_not1_saveexec_b32 s1, s9
; %bb.160:
	v_sub_f32_e32 v4, v4, v4
	s_delay_alu instid0(VALU_DEP_1) | instskip(NEXT) | instid1(VALU_DEP_1)
	v_div_scale_f32 v8, vcc_lo, v4, v4, v4
	v_rcp_f32_e32 v9, v8
	s_waitcnt_depctr 0xfff
	v_fma_f32 v10, -v8, v9, 1.0
	s_delay_alu instid0(VALU_DEP_1) | instskip(NEXT) | instid1(VALU_DEP_1)
	v_fmac_f32_e32 v9, v10, v9
	v_mul_f32_e32 v10, v8, v9
	s_delay_alu instid0(VALU_DEP_1) | instskip(NEXT) | instid1(VALU_DEP_1)
	v_fma_f32 v11, -v8, v10, v8
	v_fmac_f32_e32 v10, v11, v9
	s_delay_alu instid0(VALU_DEP_1) | instskip(NEXT) | instid1(VALU_DEP_1)
	v_fma_f32 v8, -v8, v10, v8
	v_div_fmas_f32 v8, v8, v9, v10
	s_delay_alu instid0(VALU_DEP_1)
	v_div_fixup_f32 v4, v8, v4, v4
; %bb.161:
	s_or_b32 exec_lo, exec_lo, s1
.LBB237_162:
	s_delay_alu instid0(SALU_CYCLE_1)
	s_or_b32 exec_lo, exec_lo, s7
.LBB237_163:
	s_delay_alu instid0(SALU_CYCLE_1) | instskip(NEXT) | instid1(VALU_DEP_1)
	s_or_b32 exec_lo, exec_lo, s6
	v_cvt_f16_f32_e32 v4, v4
	v_cvt_f16_f32_e32 v6, v6
	s_delay_alu instid0(VALU_DEP_2) | instskip(NEXT) | instid1(VALU_DEP_2)
	v_lshlrev_b32_e32 v4, 16, v4
	v_and_b32_e32 v6, 0xffff, v6
	s_delay_alu instid0(VALU_DEP_1) | instskip(SKIP_1) | instid1(SALU_CYCLE_1)
	v_or_b32_e32 v4, v4, v6
	s_or_b32 exec_lo, exec_lo, s3
	s_mov_b32 s3, exec_lo
                                        ; implicit-def: $vgpr6
	v_cmpx_gt_i32_e64 s10, v3
	s_cbranch_execz .LBB237_195
.LBB237_164:
	s_waitcnt vmcnt(0)
	v_lshrrev_b32_e32 v6, 16, v7
	v_cmp_neq_f16_e32 vcc_lo, 0, v7
	v_mov_b32_e32 v8, 0
	s_delay_alu instid0(VALU_DEP_3) | instskip(SKIP_1) | instid1(VALU_DEP_2)
	v_cmp_neq_f16_e64 s1, 0, v6
	v_cvt_f32_f16_e32 v6, v6
	s_or_b32 s1, vcc_lo, s1
	s_delay_alu instid0(SALU_CYCLE_1)
	s_and_saveexec_b32 s6, s1
	s_cbranch_execz .LBB237_194
; %bb.165:
	v_mov_b32_e32 v8, 0x7f800000
	s_mov_b32 s7, exec_lo
	v_cmpx_neq_f32_e64 0x7f800000, |v6|
	s_cbranch_execz .LBB237_193
; %bb.166:
	v_cvt_f32_f16_e32 v8, v7
	s_mov_b32 s1, exec_lo
	v_cmpx_o_f16_e32 v7, v7
	s_xor_b32 s9, exec_lo, s1
	s_cbranch_execz .LBB237_190
; %bb.167:
	s_mov_b32 s2, exec_lo
	v_cmpx_neq_f32_e64 0x7f800000, |v8|
	s_xor_b32 s11, exec_lo, s2
	s_cbranch_execz .LBB237_183
; %bb.168:
	v_max_f32_e64 v7, |v6|, |v6|
	v_max_f32_e64 v9, |v8|, |v8|
                                        ; implicit-def: $sgpr12
	s_delay_alu instid0(VALU_DEP_1) | instskip(NEXT) | instid1(VALU_DEP_1)
	v_max_f32_e32 v7, v9, v7
	v_cmp_nle_f32_e64 s1, 0x7ed413cb, v7
	s_delay_alu instid0(VALU_DEP_1) | instskip(NEXT) | instid1(SALU_CYCLE_1)
	s_and_saveexec_b32 s2, s1
	s_xor_b32 s2, exec_lo, s2
	s_cbranch_execz .LBB237_172
; %bb.169:
	v_cmp_ge_f32_e64 s12, 0x1000000, |v8|
	v_cmp_ge_f32_e64 s13, 0x1000000, |v6|
	s_delay_alu instid0(VALU_DEP_1)
	s_and_b32 s14, s12, s13
	s_mov_b32 s12, 0
	s_and_saveexec_b32 s13, s14
; %bb.170:
	v_mul_f32_e32 v6, 4.0, v6
	v_mul_f32_e32 v8, 4.0, v8
	s_mov_b32 s12, exec_lo
; %bb.171:
	s_or_b32 exec_lo, exec_lo, s13
	s_delay_alu instid0(SALU_CYCLE_1)
	s_and_b32 s12, s12, exec_lo
.LBB237_172:
	s_and_not1_saveexec_b32 s2, s2
; %bb.173:
	v_mul_f32_e32 v8, 0x3e800000, v8
	v_mul_f32_e32 v6, 0x3e800000, v6
	s_and_not1_b32 s12, s12, exec_lo
; %bb.174:
	s_or_b32 exec_lo, exec_lo, s2
	s_delay_alu instid0(VALU_DEP_1) | instskip(SKIP_1) | instid1(VALU_DEP_1)
	v_max_f32_e64 v7, |v6|, |v6|
	v_max_f32_e64 v9, |v8|, |v8|
	v_max_f32_e32 v7, v9, v7
	s_delay_alu instid0(VALU_DEP_1) | instskip(SKIP_1) | instid1(VALU_DEP_2)
	v_cvt_f64_f32_e32 v[9:10], v7
	v_cmp_neq_f32_e64 s2, 0x7f800000, v7
                                        ; implicit-def: $vgpr7
	v_frexp_exp_i32_f64_e32 v9, v[9:10]
	s_delay_alu instid0(VALU_DEP_1) | instskip(NEXT) | instid1(VALU_DEP_1)
	v_sub_nc_u32_e32 v10, 0, v9
	v_ldexp_f32 v11, |v6|, v10
	v_ldexp_f32 v10, |v8|, v10
	s_delay_alu instid0(VALU_DEP_2) | instskip(NEXT) | instid1(VALU_DEP_1)
	v_mul_f32_e32 v11, v11, v11
	v_fmac_f32_e32 v11, v10, v10
	s_delay_alu instid0(VALU_DEP_1) | instskip(SKIP_2) | instid1(VALU_DEP_1)
	v_sqrt_f32_e32 v10, v11
	s_waitcnt_depctr 0xfff
	v_ldexp_f32 v9, v10, v9
	v_cndmask_b32_e64 v10, 0x7f800000, v9, s2
                                        ; implicit-def: $vgpr9
	s_mov_b32 s2, exec_lo
	v_cmpx_le_f32_e32 0, v8
	s_xor_b32 s13, exec_lo, s2
	s_cbranch_execz .LBB237_176
; %bb.175:
	v_add_f32_e32 v7, v8, v10
	s_delay_alu instid0(VALU_DEP_1) | instskip(NEXT) | instid1(VALU_DEP_1)
	v_mul_f32_e32 v7, 0.5, v7
	v_mul_f32_e32 v8, 0x4f800000, v7
	v_cmp_gt_f32_e32 vcc_lo, 0xf800000, v7
	s_delay_alu instid0(VALU_DEP_2) | instskip(NEXT) | instid1(VALU_DEP_1)
	v_cndmask_b32_e32 v7, v7, v8, vcc_lo
	v_sqrt_f32_e32 v8, v7
	s_waitcnt_depctr 0xfff
	v_add_nc_u32_e32 v9, -1, v8
	v_add_nc_u32_e32 v10, 1, v8
	s_delay_alu instid0(VALU_DEP_2) | instskip(NEXT) | instid1(VALU_DEP_2)
	v_fma_f32 v11, -v9, v8, v7
	v_fma_f32 v12, -v10, v8, v7
	s_delay_alu instid0(VALU_DEP_2) | instskip(NEXT) | instid1(VALU_DEP_1)
	v_cmp_ge_f32_e64 s2, 0, v11
	v_cndmask_b32_e64 v8, v8, v9, s2
	s_delay_alu instid0(VALU_DEP_3) | instskip(NEXT) | instid1(VALU_DEP_1)
	v_cmp_lt_f32_e64 s2, 0, v12
	v_cndmask_b32_e64 v8, v8, v10, s2
	s_delay_alu instid0(VALU_DEP_1) | instskip(NEXT) | instid1(VALU_DEP_1)
	v_mul_f32_e32 v9, 0x37800000, v8
	v_cndmask_b32_e32 v8, v8, v9, vcc_lo
	v_cmp_class_f32_e64 vcc_lo, v7, 0x260
	s_delay_alu instid0(VALU_DEP_2) | instskip(NEXT) | instid1(VALU_DEP_1)
	v_cndmask_b32_e32 v7, v8, v7, vcc_lo
	v_add_f32_e32 v8, v7, v7
	s_delay_alu instid0(VALU_DEP_1) | instskip(NEXT) | instid1(VALU_DEP_1)
	v_div_scale_f32 v9, null, v8, v8, v6
	v_rcp_f32_e32 v10, v9
	s_waitcnt_depctr 0xfff
	v_fma_f32 v11, -v9, v10, 1.0
	s_delay_alu instid0(VALU_DEP_1) | instskip(SKIP_1) | instid1(VALU_DEP_1)
	v_fmac_f32_e32 v10, v11, v10
	v_div_scale_f32 v11, vcc_lo, v6, v8, v6
	v_mul_f32_e32 v12, v11, v10
	s_delay_alu instid0(VALU_DEP_1) | instskip(NEXT) | instid1(VALU_DEP_1)
	v_fma_f32 v13, -v9, v12, v11
	v_fmac_f32_e32 v12, v13, v10
	s_delay_alu instid0(VALU_DEP_1) | instskip(NEXT) | instid1(VALU_DEP_1)
	v_fma_f32 v9, -v9, v12, v11
	v_div_fmas_f32 v9, v9, v10, v12
                                        ; implicit-def: $vgpr10
	s_delay_alu instid0(VALU_DEP_1)
	v_div_fixup_f32 v9, v9, v8, v6
                                        ; implicit-def: $vgpr8
                                        ; implicit-def: $vgpr6
	s_and_not1_saveexec_b32 s13, s13
	s_cbranch_execz .LBB237_178
	s_branch .LBB237_177
.LBB237_176:
	s_and_not1_saveexec_b32 s13, s13
	s_cbranch_execz .LBB237_178
.LBB237_177:
	v_sub_f32_e32 v7, v10, v8
	s_delay_alu instid0(VALU_DEP_1) | instskip(NEXT) | instid1(VALU_DEP_1)
	v_mul_f32_e32 v7, 0.5, v7
	v_mul_f32_e32 v8, 0x4f800000, v7
	v_cmp_gt_f32_e32 vcc_lo, 0xf800000, v7
	s_delay_alu instid0(VALU_DEP_2) | instskip(NEXT) | instid1(VALU_DEP_1)
	v_cndmask_b32_e32 v7, v7, v8, vcc_lo
	v_sqrt_f32_e32 v8, v7
	s_waitcnt_depctr 0xfff
	v_add_nc_u32_e32 v9, -1, v8
	v_add_nc_u32_e32 v10, 1, v8
	s_delay_alu instid0(VALU_DEP_2) | instskip(NEXT) | instid1(VALU_DEP_2)
	v_fma_f32 v11, -v9, v8, v7
	v_fma_f32 v12, -v10, v8, v7
	s_delay_alu instid0(VALU_DEP_2) | instskip(NEXT) | instid1(VALU_DEP_1)
	v_cmp_ge_f32_e64 s2, 0, v11
	v_cndmask_b32_e64 v8, v8, v9, s2
	s_delay_alu instid0(VALU_DEP_3) | instskip(NEXT) | instid1(VALU_DEP_1)
	v_cmp_lt_f32_e64 s2, 0, v12
	v_cndmask_b32_e64 v8, v8, v10, s2
	s_delay_alu instid0(VALU_DEP_1) | instskip(NEXT) | instid1(VALU_DEP_1)
	v_mul_f32_e32 v9, 0x37800000, v8
	v_cndmask_b32_e32 v8, v8, v9, vcc_lo
	v_cmp_class_f32_e64 vcc_lo, v7, 0x260
	s_delay_alu instid0(VALU_DEP_2) | instskip(NEXT) | instid1(VALU_DEP_1)
	v_dual_cndmask_b32 v8, v8, v7 :: v_dual_and_b32 v7, 0x7fffffff, v6
	v_add_f32_e32 v9, v8, v8
	s_delay_alu instid0(VALU_DEP_1) | instskip(SKIP_1) | instid1(VALU_DEP_2)
	v_div_scale_f32 v10, null, v9, v9, v7
	v_div_scale_f32 v7, vcc_lo, v7, v9, v7
	v_rcp_f32_e32 v11, v10
	s_waitcnt_depctr 0xfff
	v_fma_f32 v12, -v10, v11, 1.0
	s_delay_alu instid0(VALU_DEP_1) | instskip(NEXT) | instid1(VALU_DEP_1)
	v_fmac_f32_e32 v11, v12, v11
	v_mul_f32_e32 v12, v7, v11
	s_delay_alu instid0(VALU_DEP_1) | instskip(NEXT) | instid1(VALU_DEP_1)
	v_fma_f32 v13, -v10, v12, v7
	v_fmac_f32_e32 v12, v13, v11
	s_delay_alu instid0(VALU_DEP_1) | instskip(NEXT) | instid1(VALU_DEP_1)
	v_fma_f32 v7, -v10, v12, v7
	v_div_fmas_f32 v7, v7, v11, v12
	s_delay_alu instid0(VALU_DEP_1)
	v_div_fixup_f32 v7, v7, v9, |v6|
	v_bfi_b32 v9, 0x7fffffff, v8, v6
.LBB237_178:
	s_or_b32 exec_lo, exec_lo, s13
                                        ; implicit-def: $vgpr6
                                        ; implicit-def: $vgpr8
	s_and_saveexec_b32 s2, s1
	s_delay_alu instid0(SALU_CYCLE_1)
	s_xor_b32 s1, exec_lo, s2
	s_cbranch_execz .LBB237_180
; %bb.179:
	v_mul_f32_e32 v6, 0.5, v7
	v_mul_f32_e32 v10, 0.5, v9
	s_delay_alu instid0(VALU_DEP_2) | instskip(NEXT) | instid1(VALU_DEP_2)
	v_cndmask_b32_e64 v8, v7, v6, s12
	v_cndmask_b32_e64 v6, v9, v10, s12
                                        ; implicit-def: $vgpr7
                                        ; implicit-def: $vgpr9
	s_and_not1_saveexec_b32 s1, s1
	s_cbranch_execnz .LBB237_181
	s_branch .LBB237_182
.LBB237_180:
	s_and_not1_saveexec_b32 s1, s1
.LBB237_181:
	v_add_f32_e32 v8, v7, v7
	v_add_f32_e32 v6, v9, v9
.LBB237_182:
	s_or_b32 exec_lo, exec_lo, s1
                                        ; implicit-def: $vgpr7
.LBB237_183:
	s_and_not1_saveexec_b32 s1, s11
	s_cbranch_execz .LBB237_189
; %bb.184:
	v_cmp_lt_i16_e32 vcc_lo, -1, v7
	v_sub_f32_e32 v7, v6, v6
	s_and_saveexec_b32 s2, vcc_lo
	s_delay_alu instid0(SALU_CYCLE_1)
	s_xor_b32 s2, exec_lo, s2
; %bb.185:
	s_delay_alu instid0(VALU_DEP_1)
	v_bfi_b32 v6, 0x7fffffff, v7, v6
                                        ; implicit-def: $vgpr7
; %bb.186:
	s_and_not1_saveexec_b32 s2, s2
; %bb.187:
	v_and_b32_e32 v7, 0x7fffffff, v7
	s_delay_alu instid0(VALU_DEP_2) | instskip(NEXT) | instid1(VALU_DEP_2)
	v_bfi_b32 v6, 0x7fffffff, v8, v6
	v_mov_b32_e32 v8, v7
; %bb.188:
	s_or_b32 exec_lo, exec_lo, s2
.LBB237_189:
	s_delay_alu instid0(SALU_CYCLE_1)
	s_or_b32 exec_lo, exec_lo, s1
.LBB237_190:
	s_and_not1_saveexec_b32 s1, s9
; %bb.191:
	v_sub_f32_e32 v6, v6, v6
	s_delay_alu instid0(VALU_DEP_1) | instskip(NEXT) | instid1(VALU_DEP_1)
	v_div_scale_f32 v7, vcc_lo, v6, v6, v6
	v_rcp_f32_e32 v9, v7
	s_waitcnt_depctr 0xfff
	v_fma_f32 v10, -v7, v9, 1.0
	s_delay_alu instid0(VALU_DEP_1) | instskip(NEXT) | instid1(VALU_DEP_1)
	v_fmac_f32_e32 v9, v10, v9
	v_mul_f32_e32 v10, v7, v9
	s_delay_alu instid0(VALU_DEP_1) | instskip(NEXT) | instid1(VALU_DEP_1)
	v_fma_f32 v11, -v7, v10, v7
	v_fmac_f32_e32 v10, v11, v9
	s_delay_alu instid0(VALU_DEP_1) | instskip(NEXT) | instid1(VALU_DEP_1)
	v_fma_f32 v7, -v7, v10, v7
	v_div_fmas_f32 v7, v7, v9, v10
	s_delay_alu instid0(VALU_DEP_1)
	v_div_fixup_f32 v6, v7, v6, v6
; %bb.192:
	s_or_b32 exec_lo, exec_lo, s1
.LBB237_193:
	s_delay_alu instid0(SALU_CYCLE_1)
	s_or_b32 exec_lo, exec_lo, s7
.LBB237_194:
	s_delay_alu instid0(SALU_CYCLE_1) | instskip(NEXT) | instid1(VALU_DEP_1)
	s_or_b32 exec_lo, exec_lo, s6
	v_cvt_f16_f32_e32 v6, v6
	v_cvt_f16_f32_e32 v7, v8
	s_delay_alu instid0(VALU_DEP_2) | instskip(NEXT) | instid1(VALU_DEP_2)
	v_lshlrev_b32_e32 v6, 16, v6
	v_and_b32_e32 v7, 0xffff, v7
	s_delay_alu instid0(VALU_DEP_1)
	v_or_b32_e32 v6, v6, v7
.LBB237_195:
	s_or_b32 exec_lo, exec_lo, s3
	s_waitcnt vmcnt(0)
	v_or_b32_e32 v7, 0x200, v0
	s_delay_alu instid0(VALU_DEP_1)
	v_cmp_gt_i32_e32 vcc_lo, s10, v7
                                        ; implicit-def: $vgpr7
	s_and_saveexec_b32 s3, vcc_lo
	s_cbranch_execz .LBB237_227
; %bb.196:
	v_lshrrev_b32_e32 v7, 16, v5
	v_cmp_neq_f16_e32 vcc_lo, 0, v5
	v_mov_b32_e32 v8, 0
	s_delay_alu instid0(VALU_DEP_3) | instskip(SKIP_1) | instid1(VALU_DEP_2)
	v_cmp_neq_f16_e64 s1, 0, v7
	v_cvt_f32_f16_e32 v7, v7
	s_or_b32 s1, vcc_lo, s1
	s_delay_alu instid0(SALU_CYCLE_1)
	s_and_saveexec_b32 s6, s1
	s_cbranch_execz .LBB237_226
; %bb.197:
	v_mov_b32_e32 v8, 0x7f800000
	s_mov_b32 s7, exec_lo
	v_cmpx_neq_f32_e64 0x7f800000, |v7|
	s_cbranch_execz .LBB237_225
; %bb.198:
	v_cvt_f32_f16_e32 v8, v5
	s_mov_b32 s1, exec_lo
	v_cmpx_o_f16_e32 v5, v5
	s_xor_b32 s9, exec_lo, s1
	s_cbranch_execz .LBB237_222
; %bb.199:
	s_mov_b32 s2, exec_lo
	v_cmpx_neq_f32_e64 0x7f800000, |v8|
	s_xor_b32 s11, exec_lo, s2
	s_cbranch_execz .LBB237_215
; %bb.200:
	v_max_f32_e64 v5, |v7|, |v7|
	v_max_f32_e64 v9, |v8|, |v8|
                                        ; implicit-def: $sgpr12
	s_delay_alu instid0(VALU_DEP_1) | instskip(NEXT) | instid1(VALU_DEP_1)
	v_max_f32_e32 v5, v9, v5
	v_cmp_nle_f32_e64 s1, 0x7ed413cb, v5
	s_delay_alu instid0(VALU_DEP_1) | instskip(NEXT) | instid1(SALU_CYCLE_1)
	s_and_saveexec_b32 s2, s1
	s_xor_b32 s2, exec_lo, s2
	s_cbranch_execz .LBB237_204
; %bb.201:
	v_cmp_ge_f32_e64 s12, 0x1000000, |v8|
	v_cmp_ge_f32_e64 s13, 0x1000000, |v7|
	s_delay_alu instid0(VALU_DEP_1)
	s_and_b32 s14, s12, s13
	s_mov_b32 s12, 0
	s_and_saveexec_b32 s13, s14
; %bb.202:
	v_dual_mul_f32 v7, 4.0, v7 :: v_dual_mul_f32 v8, 4.0, v8
	s_mov_b32 s12, exec_lo
; %bb.203:
	s_or_b32 exec_lo, exec_lo, s13
	s_delay_alu instid0(SALU_CYCLE_1)
	s_and_b32 s12, s12, exec_lo
.LBB237_204:
	s_and_not1_saveexec_b32 s2, s2
; %bb.205:
	v_dual_mul_f32 v8, 0x3e800000, v8 :: v_dual_mul_f32 v7, 0x3e800000, v7
	s_and_not1_b32 s12, s12, exec_lo
; %bb.206:
	s_or_b32 exec_lo, exec_lo, s2
	s_delay_alu instid0(VALU_DEP_1) | instskip(NEXT) | instid1(VALU_DEP_2)
	v_max_f32_e64 v5, |v7|, |v7|
	v_max_f32_e64 v9, |v8|, |v8|
	s_delay_alu instid0(VALU_DEP_1) | instskip(NEXT) | instid1(VALU_DEP_1)
	v_max_f32_e32 v5, v9, v5
	v_cvt_f64_f32_e32 v[9:10], v5
	v_cmp_neq_f32_e64 s2, 0x7f800000, v5
                                        ; implicit-def: $vgpr5
	s_delay_alu instid0(VALU_DEP_2) | instskip(NEXT) | instid1(VALU_DEP_1)
	v_frexp_exp_i32_f64_e32 v9, v[9:10]
	v_sub_nc_u32_e32 v10, 0, v9
	s_delay_alu instid0(VALU_DEP_1) | instskip(SKIP_1) | instid1(VALU_DEP_2)
	v_ldexp_f32 v11, |v7|, v10
	v_ldexp_f32 v10, |v8|, v10
	v_mul_f32_e32 v11, v11, v11
	s_delay_alu instid0(VALU_DEP_1) | instskip(NEXT) | instid1(VALU_DEP_1)
	v_fmac_f32_e32 v11, v10, v10
	v_sqrt_f32_e32 v10, v11
	s_waitcnt_depctr 0xfff
	v_ldexp_f32 v9, v10, v9
	s_delay_alu instid0(VALU_DEP_1)
	v_cndmask_b32_e64 v10, 0x7f800000, v9, s2
                                        ; implicit-def: $vgpr9
	s_mov_b32 s2, exec_lo
	v_cmpx_le_f32_e32 0, v8
	s_xor_b32 s13, exec_lo, s2
	s_cbranch_execz .LBB237_208
; %bb.207:
	v_add_f32_e32 v5, v8, v10
	s_delay_alu instid0(VALU_DEP_1) | instskip(NEXT) | instid1(VALU_DEP_1)
	v_mul_f32_e32 v5, 0.5, v5
	v_mul_f32_e32 v8, 0x4f800000, v5
	v_cmp_gt_f32_e32 vcc_lo, 0xf800000, v5
	s_delay_alu instid0(VALU_DEP_2) | instskip(NEXT) | instid1(VALU_DEP_1)
	v_cndmask_b32_e32 v5, v5, v8, vcc_lo
	v_sqrt_f32_e32 v8, v5
	s_waitcnt_depctr 0xfff
	v_add_nc_u32_e32 v9, -1, v8
	v_add_nc_u32_e32 v10, 1, v8
	s_delay_alu instid0(VALU_DEP_2) | instskip(NEXT) | instid1(VALU_DEP_2)
	v_fma_f32 v11, -v9, v8, v5
	v_fma_f32 v12, -v10, v8, v5
	s_delay_alu instid0(VALU_DEP_2) | instskip(NEXT) | instid1(VALU_DEP_1)
	v_cmp_ge_f32_e64 s2, 0, v11
	v_cndmask_b32_e64 v8, v8, v9, s2
	s_delay_alu instid0(VALU_DEP_3) | instskip(NEXT) | instid1(VALU_DEP_1)
	v_cmp_lt_f32_e64 s2, 0, v12
	v_cndmask_b32_e64 v8, v8, v10, s2
	s_delay_alu instid0(VALU_DEP_1) | instskip(NEXT) | instid1(VALU_DEP_1)
	v_mul_f32_e32 v9, 0x37800000, v8
	v_cndmask_b32_e32 v8, v8, v9, vcc_lo
	v_cmp_class_f32_e64 vcc_lo, v5, 0x260
	s_delay_alu instid0(VALU_DEP_2) | instskip(NEXT) | instid1(VALU_DEP_1)
	v_cndmask_b32_e32 v5, v8, v5, vcc_lo
	v_add_f32_e32 v8, v5, v5
	s_delay_alu instid0(VALU_DEP_1) | instskip(NEXT) | instid1(VALU_DEP_1)
	v_div_scale_f32 v9, null, v8, v8, v7
	v_rcp_f32_e32 v10, v9
	s_waitcnt_depctr 0xfff
	v_fma_f32 v11, -v9, v10, 1.0
	s_delay_alu instid0(VALU_DEP_1) | instskip(SKIP_1) | instid1(VALU_DEP_1)
	v_fmac_f32_e32 v10, v11, v10
	v_div_scale_f32 v11, vcc_lo, v7, v8, v7
	v_mul_f32_e32 v12, v11, v10
	s_delay_alu instid0(VALU_DEP_1) | instskip(NEXT) | instid1(VALU_DEP_1)
	v_fma_f32 v13, -v9, v12, v11
	v_fmac_f32_e32 v12, v13, v10
	s_delay_alu instid0(VALU_DEP_1) | instskip(NEXT) | instid1(VALU_DEP_1)
	v_fma_f32 v9, -v9, v12, v11
	v_div_fmas_f32 v9, v9, v10, v12
                                        ; implicit-def: $vgpr10
	s_delay_alu instid0(VALU_DEP_1)
	v_div_fixup_f32 v9, v9, v8, v7
                                        ; implicit-def: $vgpr8
                                        ; implicit-def: $vgpr7
	s_and_not1_saveexec_b32 s13, s13
	s_cbranch_execz .LBB237_210
	s_branch .LBB237_209
.LBB237_208:
	s_and_not1_saveexec_b32 s13, s13
	s_cbranch_execz .LBB237_210
.LBB237_209:
	v_sub_f32_e32 v5, v10, v8
	s_delay_alu instid0(VALU_DEP_1) | instskip(NEXT) | instid1(VALU_DEP_1)
	v_mul_f32_e32 v5, 0.5, v5
	v_mul_f32_e32 v8, 0x4f800000, v5
	v_cmp_gt_f32_e32 vcc_lo, 0xf800000, v5
	s_delay_alu instid0(VALU_DEP_2) | instskip(NEXT) | instid1(VALU_DEP_1)
	v_cndmask_b32_e32 v5, v5, v8, vcc_lo
	v_sqrt_f32_e32 v8, v5
	s_waitcnt_depctr 0xfff
	v_add_nc_u32_e32 v9, -1, v8
	v_add_nc_u32_e32 v10, 1, v8
	s_delay_alu instid0(VALU_DEP_2) | instskip(NEXT) | instid1(VALU_DEP_2)
	v_fma_f32 v11, -v9, v8, v5
	v_fma_f32 v12, -v10, v8, v5
	s_delay_alu instid0(VALU_DEP_2) | instskip(NEXT) | instid1(VALU_DEP_1)
	v_cmp_ge_f32_e64 s2, 0, v11
	v_cndmask_b32_e64 v8, v8, v9, s2
	s_delay_alu instid0(VALU_DEP_3) | instskip(NEXT) | instid1(VALU_DEP_1)
	v_cmp_lt_f32_e64 s2, 0, v12
	v_cndmask_b32_e64 v8, v8, v10, s2
	s_delay_alu instid0(VALU_DEP_1) | instskip(NEXT) | instid1(VALU_DEP_1)
	v_mul_f32_e32 v9, 0x37800000, v8
	v_cndmask_b32_e32 v8, v8, v9, vcc_lo
	v_cmp_class_f32_e64 vcc_lo, v5, 0x260
	s_delay_alu instid0(VALU_DEP_2) | instskip(NEXT) | instid1(VALU_DEP_1)
	v_dual_cndmask_b32 v8, v8, v5 :: v_dual_and_b32 v5, 0x7fffffff, v7
	v_add_f32_e32 v9, v8, v8
	s_delay_alu instid0(VALU_DEP_1) | instskip(SKIP_1) | instid1(VALU_DEP_2)
	v_div_scale_f32 v10, null, v9, v9, v5
	v_div_scale_f32 v5, vcc_lo, v5, v9, v5
	v_rcp_f32_e32 v11, v10
	s_waitcnt_depctr 0xfff
	v_fma_f32 v12, -v10, v11, 1.0
	s_delay_alu instid0(VALU_DEP_1) | instskip(NEXT) | instid1(VALU_DEP_1)
	v_fmac_f32_e32 v11, v12, v11
	v_mul_f32_e32 v12, v5, v11
	s_delay_alu instid0(VALU_DEP_1) | instskip(NEXT) | instid1(VALU_DEP_1)
	v_fma_f32 v13, -v10, v12, v5
	v_fmac_f32_e32 v12, v13, v11
	s_delay_alu instid0(VALU_DEP_1) | instskip(NEXT) | instid1(VALU_DEP_1)
	v_fma_f32 v5, -v10, v12, v5
	v_div_fmas_f32 v5, v5, v11, v12
	s_delay_alu instid0(VALU_DEP_1)
	v_div_fixup_f32 v5, v5, v9, |v7|
	v_bfi_b32 v9, 0x7fffffff, v8, v7
.LBB237_210:
	s_or_b32 exec_lo, exec_lo, s13
                                        ; implicit-def: $vgpr7
                                        ; implicit-def: $vgpr8
	s_and_saveexec_b32 s2, s1
	s_delay_alu instid0(SALU_CYCLE_1)
	s_xor_b32 s1, exec_lo, s2
	s_cbranch_execz .LBB237_212
; %bb.211:
	v_mul_f32_e32 v7, 0.5, v5
	v_mul_f32_e32 v10, 0.5, v9
	s_delay_alu instid0(VALU_DEP_2) | instskip(NEXT) | instid1(VALU_DEP_2)
	v_cndmask_b32_e64 v8, v5, v7, s12
	v_cndmask_b32_e64 v7, v9, v10, s12
                                        ; implicit-def: $vgpr5
                                        ; implicit-def: $vgpr9
	s_and_not1_saveexec_b32 s1, s1
	s_cbranch_execnz .LBB237_213
	s_branch .LBB237_214
.LBB237_212:
	s_and_not1_saveexec_b32 s1, s1
.LBB237_213:
	v_add_f32_e32 v8, v5, v5
	v_add_f32_e32 v7, v9, v9
.LBB237_214:
	s_or_b32 exec_lo, exec_lo, s1
                                        ; implicit-def: $vgpr5
.LBB237_215:
	s_and_not1_saveexec_b32 s1, s11
	s_cbranch_execz .LBB237_221
; %bb.216:
	v_cmp_lt_i16_e32 vcc_lo, -1, v5
	v_sub_f32_e32 v5, v7, v7
	s_and_saveexec_b32 s2, vcc_lo
	s_delay_alu instid0(SALU_CYCLE_1)
	s_xor_b32 s2, exec_lo, s2
; %bb.217:
	s_delay_alu instid0(VALU_DEP_1)
	v_bfi_b32 v7, 0x7fffffff, v5, v7
                                        ; implicit-def: $vgpr5
; %bb.218:
	s_and_not1_saveexec_b32 s2, s2
; %bb.219:
	v_and_b32_e32 v5, 0x7fffffff, v5
	s_delay_alu instid0(VALU_DEP_2) | instskip(NEXT) | instid1(VALU_DEP_2)
	v_bfi_b32 v7, 0x7fffffff, v8, v7
	v_mov_b32_e32 v8, v5
; %bb.220:
	s_or_b32 exec_lo, exec_lo, s2
.LBB237_221:
	s_delay_alu instid0(SALU_CYCLE_1)
	s_or_b32 exec_lo, exec_lo, s1
.LBB237_222:
	s_and_not1_saveexec_b32 s1, s9
; %bb.223:
	v_sub_f32_e32 v5, v7, v7
	s_delay_alu instid0(VALU_DEP_1) | instskip(NEXT) | instid1(VALU_DEP_1)
	v_div_scale_f32 v7, vcc_lo, v5, v5, v5
	v_rcp_f32_e32 v9, v7
	s_waitcnt_depctr 0xfff
	v_fma_f32 v10, -v7, v9, 1.0
	s_delay_alu instid0(VALU_DEP_1) | instskip(NEXT) | instid1(VALU_DEP_1)
	v_fmac_f32_e32 v9, v10, v9
	v_mul_f32_e32 v10, v7, v9
	s_delay_alu instid0(VALU_DEP_1) | instskip(NEXT) | instid1(VALU_DEP_1)
	v_fma_f32 v11, -v7, v10, v7
	v_fmac_f32_e32 v10, v11, v9
	s_delay_alu instid0(VALU_DEP_1) | instskip(NEXT) | instid1(VALU_DEP_1)
	v_fma_f32 v7, -v7, v10, v7
	v_div_fmas_f32 v7, v7, v9, v10
	s_delay_alu instid0(VALU_DEP_1)
	v_div_fixup_f32 v7, v7, v5, v5
; %bb.224:
	s_or_b32 exec_lo, exec_lo, s1
.LBB237_225:
	s_delay_alu instid0(SALU_CYCLE_1)
	s_or_b32 exec_lo, exec_lo, s7
.LBB237_226:
	s_delay_alu instid0(SALU_CYCLE_1) | instskip(NEXT) | instid1(VALU_DEP_1)
	s_or_b32 exec_lo, exec_lo, s6
	v_cvt_f16_f32_e32 v5, v7
	v_cvt_f16_f32_e32 v7, v8
	s_delay_alu instid0(VALU_DEP_2) | instskip(NEXT) | instid1(VALU_DEP_2)
	v_lshlrev_b32_e32 v5, 16, v5
	v_and_b32_e32 v7, 0xffff, v7
	s_delay_alu instid0(VALU_DEP_1)
	v_or_b32_e32 v7, v5, v7
.LBB237_227:
	s_or_b32 exec_lo, exec_lo, s3
	v_or_b32_e32 v5, 0x300, v0
	s_delay_alu instid0(VALU_DEP_1)
	v_cmp_gt_i32_e32 vcc_lo, s10, v5
                                        ; implicit-def: $vgpr5
	s_and_saveexec_b32 s3, vcc_lo
	s_cbranch_execz .LBB237_240
; %bb.228:
	v_lshrrev_b32_e32 v5, 16, v2
	v_cmp_neq_f16_e32 vcc_lo, 0, v2
	v_mov_b32_e32 v8, 0
	s_delay_alu instid0(VALU_DEP_3) | instskip(SKIP_1) | instid1(VALU_DEP_2)
	v_cmp_neq_f16_e64 s1, 0, v5
	v_cvt_f32_f16_e32 v5, v5
	s_or_b32 s1, vcc_lo, s1
	s_delay_alu instid0(SALU_CYCLE_1)
	s_and_saveexec_b32 s6, s1
	s_cbranch_execz .LBB237_262
; %bb.229:
	v_mov_b32_e32 v8, 0x7f800000
	s_mov_b32 s7, exec_lo
	v_cmpx_neq_f32_e64 0x7f800000, |v5|
	s_cbranch_execz .LBB237_261
; %bb.230:
	v_cvt_f32_f16_e32 v8, v2
	s_mov_b32 s1, exec_lo
	v_cmpx_o_f16_e32 v2, v2
	s_xor_b32 s9, exec_lo, s1
	s_cbranch_execz .LBB237_258
; %bb.231:
	s_mov_b32 s2, exec_lo
	v_cmpx_neq_f32_e64 0x7f800000, |v8|
	s_xor_b32 s11, exec_lo, s2
	s_cbranch_execz .LBB237_251
; %bb.232:
	v_max_f32_e64 v2, |v5|, |v5|
	v_max_f32_e64 v9, |v8|, |v8|
                                        ; implicit-def: $sgpr12
	s_delay_alu instid0(VALU_DEP_1) | instskip(NEXT) | instid1(VALU_DEP_1)
	v_max_f32_e32 v2, v9, v2
	v_cmp_nle_f32_e64 s1, 0x7ed413cb, v2
	s_delay_alu instid0(VALU_DEP_1) | instskip(NEXT) | instid1(SALU_CYCLE_1)
	s_and_saveexec_b32 s2, s1
	s_xor_b32 s2, exec_lo, s2
	s_cbranch_execz .LBB237_236
; %bb.233:
	v_cmp_ge_f32_e64 s12, 0x1000000, |v8|
	v_cmp_ge_f32_e64 s13, 0x1000000, |v5|
	s_delay_alu instid0(VALU_DEP_1)
	s_and_b32 s14, s12, s13
	s_mov_b32 s12, 0
	s_and_saveexec_b32 s13, s14
; %bb.234:
	v_dual_mul_f32 v5, 4.0, v5 :: v_dual_mul_f32 v8, 4.0, v8
	s_mov_b32 s12, exec_lo
; %bb.235:
	s_or_b32 exec_lo, exec_lo, s13
	s_delay_alu instid0(SALU_CYCLE_1)
	s_and_b32 s12, s12, exec_lo
.LBB237_236:
	s_and_not1_saveexec_b32 s2, s2
; %bb.237:
	v_dual_mul_f32 v8, 0x3e800000, v8 :: v_dual_mul_f32 v5, 0x3e800000, v5
	s_and_not1_b32 s12, s12, exec_lo
; %bb.238:
	s_or_b32 exec_lo, exec_lo, s2
	s_delay_alu instid0(VALU_DEP_1) | instskip(NEXT) | instid1(VALU_DEP_2)
	v_max_f32_e64 v2, |v5|, |v5|
	v_max_f32_e64 v9, |v8|, |v8|
	s_delay_alu instid0(VALU_DEP_1) | instskip(NEXT) | instid1(VALU_DEP_1)
	v_max_f32_e32 v2, v9, v2
	v_cvt_f64_f32_e32 v[9:10], v2
	s_delay_alu instid0(VALU_DEP_1) | instskip(NEXT) | instid1(VALU_DEP_1)
	v_frexp_exp_i32_f64_e32 v9, v[9:10]
	v_sub_nc_u32_e32 v10, 0, v9
	s_delay_alu instid0(VALU_DEP_1) | instskip(SKIP_1) | instid1(VALU_DEP_2)
	v_ldexp_f32 v11, |v5|, v10
	v_ldexp_f32 v10, |v8|, v10
	v_mul_f32_e32 v11, v11, v11
	v_cmp_neq_f32_e64 s2, 0x7f800000, v2
                                        ; implicit-def: $vgpr2
	s_delay_alu instid0(VALU_DEP_2) | instskip(NEXT) | instid1(VALU_DEP_1)
	v_fmac_f32_e32 v11, v10, v10
	v_sqrt_f32_e32 v10, v11
	s_waitcnt_depctr 0xfff
	v_ldexp_f32 v9, v10, v9
	s_delay_alu instid0(VALU_DEP_1)
	v_cndmask_b32_e64 v10, 0x7f800000, v9, s2
                                        ; implicit-def: $vgpr9
	s_mov_b32 s2, exec_lo
	v_cmpx_le_f32_e32 0, v8
	s_xor_b32 s13, exec_lo, s2
	s_cbranch_execz .LBB237_244
; %bb.239:
	v_add_f32_e32 v2, v8, v10
	s_delay_alu instid0(VALU_DEP_1) | instskip(NEXT) | instid1(VALU_DEP_1)
	v_mul_f32_e32 v2, 0.5, v2
	v_mul_f32_e32 v8, 0x4f800000, v2
	v_cmp_gt_f32_e32 vcc_lo, 0xf800000, v2
	s_delay_alu instid0(VALU_DEP_2) | instskip(NEXT) | instid1(VALU_DEP_1)
	v_cndmask_b32_e32 v2, v2, v8, vcc_lo
	v_sqrt_f32_e32 v8, v2
	s_waitcnt_depctr 0xfff
	v_add_nc_u32_e32 v9, -1, v8
	v_add_nc_u32_e32 v10, 1, v8
	s_delay_alu instid0(VALU_DEP_2) | instskip(NEXT) | instid1(VALU_DEP_2)
	v_fma_f32 v11, -v9, v8, v2
	v_fma_f32 v12, -v10, v8, v2
	s_delay_alu instid0(VALU_DEP_2) | instskip(NEXT) | instid1(VALU_DEP_1)
	v_cmp_ge_f32_e64 s2, 0, v11
	v_cndmask_b32_e64 v8, v8, v9, s2
	s_delay_alu instid0(VALU_DEP_3) | instskip(NEXT) | instid1(VALU_DEP_1)
	v_cmp_lt_f32_e64 s2, 0, v12
	v_cndmask_b32_e64 v8, v8, v10, s2
	s_delay_alu instid0(VALU_DEP_1) | instskip(NEXT) | instid1(VALU_DEP_1)
	v_mul_f32_e32 v9, 0x37800000, v8
	v_cndmask_b32_e32 v8, v8, v9, vcc_lo
	v_cmp_class_f32_e64 vcc_lo, v2, 0x260
	s_delay_alu instid0(VALU_DEP_2) | instskip(NEXT) | instid1(VALU_DEP_1)
	v_cndmask_b32_e32 v2, v8, v2, vcc_lo
	v_add_f32_e32 v8, v2, v2
	s_delay_alu instid0(VALU_DEP_1) | instskip(NEXT) | instid1(VALU_DEP_1)
	v_div_scale_f32 v9, null, v8, v8, v5
	v_rcp_f32_e32 v10, v9
	s_waitcnt_depctr 0xfff
	v_fma_f32 v11, -v9, v10, 1.0
	s_delay_alu instid0(VALU_DEP_1) | instskip(SKIP_1) | instid1(VALU_DEP_1)
	v_fmac_f32_e32 v10, v11, v10
	v_div_scale_f32 v11, vcc_lo, v5, v8, v5
	v_mul_f32_e32 v12, v11, v10
	s_delay_alu instid0(VALU_DEP_1) | instskip(NEXT) | instid1(VALU_DEP_1)
	v_fma_f32 v13, -v9, v12, v11
	v_fmac_f32_e32 v12, v13, v10
	s_delay_alu instid0(VALU_DEP_1) | instskip(NEXT) | instid1(VALU_DEP_1)
	v_fma_f32 v9, -v9, v12, v11
	v_div_fmas_f32 v9, v9, v10, v12
                                        ; implicit-def: $vgpr10
	s_delay_alu instid0(VALU_DEP_1)
	v_div_fixup_f32 v9, v9, v8, v5
                                        ; implicit-def: $vgpr8
                                        ; implicit-def: $vgpr5
	s_and_not1_saveexec_b32 s13, s13
	s_cbranch_execz .LBB237_246
	s_branch .LBB237_245
.LBB237_240:
	s_or_b32 exec_lo, exec_lo, s3
	s_and_saveexec_b32 s1, s0
	s_delay_alu instid0(SALU_CYCLE_1)
	s_xor_b32 s0, exec_lo, s1
	s_cbranch_execz .LBB237_263
.LBB237_241:
	v_mov_b32_e32 v2, 0
	s_delay_alu instid0(VALU_DEP_1) | instskip(NEXT) | instid1(VALU_DEP_1)
	v_lshlrev_b64 v[0:1], 2, v[1:2]
	v_add_co_u32 v8, vcc_lo, s4, v0
	s_delay_alu instid0(VALU_DEP_2) | instskip(SKIP_3) | instid1(SALU_CYCLE_1)
	v_add_co_ci_u32_e32 v9, vcc_lo, s5, v1, vcc_lo
	v_mov_b32_e32 v0, v3
	global_store_b32 v[8:9], v4, off
	s_or_b32 exec_lo, exec_lo, s0
	s_mov_b32 s0, exec_lo
	v_cmpx_gt_i32_e64 s10, v0
	s_cbranch_execnz .LBB237_264
.LBB237_242:
	s_or_b32 exec_lo, exec_lo, s0
	s_delay_alu instid0(SALU_CYCLE_1)
	s_mov_b32 s0, exec_lo
	v_cmpx_gt_i32_e64 s10, v0
	s_cbranch_execz .LBB237_265
.LBB237_243:
	v_dual_mov_b32 v2, 0 :: v_dual_add_nc_u32 v1, s8, v0
	v_add_nc_u32_e32 v0, 0x100, v0
	s_delay_alu instid0(VALU_DEP_2) | instskip(NEXT) | instid1(VALU_DEP_1)
	v_lshlrev_b64 v[1:2], 2, v[1:2]
	v_add_co_u32 v1, vcc_lo, s4, v1
	s_delay_alu instid0(VALU_DEP_2) | instskip(SKIP_2) | instid1(SALU_CYCLE_1)
	v_add_co_ci_u32_e32 v2, vcc_lo, s5, v2, vcc_lo
	global_store_b32 v[1:2], v7, off
	s_or_b32 exec_lo, exec_lo, s0
	s_mov_b32 s0, exec_lo
	v_cmpx_gt_i32_e64 s10, v0
	s_cbranch_execnz .LBB237_266
	s_branch .LBB237_267
.LBB237_244:
	s_and_not1_saveexec_b32 s13, s13
	s_cbranch_execz .LBB237_246
.LBB237_245:
	v_sub_f32_e32 v2, v10, v8
	s_delay_alu instid0(VALU_DEP_1) | instskip(NEXT) | instid1(VALU_DEP_1)
	v_mul_f32_e32 v2, 0.5, v2
	v_mul_f32_e32 v8, 0x4f800000, v2
	v_cmp_gt_f32_e32 vcc_lo, 0xf800000, v2
	s_delay_alu instid0(VALU_DEP_2) | instskip(NEXT) | instid1(VALU_DEP_1)
	v_cndmask_b32_e32 v2, v2, v8, vcc_lo
	v_sqrt_f32_e32 v8, v2
	s_waitcnt_depctr 0xfff
	v_add_nc_u32_e32 v9, -1, v8
	v_add_nc_u32_e32 v10, 1, v8
	s_delay_alu instid0(VALU_DEP_2) | instskip(NEXT) | instid1(VALU_DEP_2)
	v_fma_f32 v11, -v9, v8, v2
	v_fma_f32 v12, -v10, v8, v2
	s_delay_alu instid0(VALU_DEP_2) | instskip(NEXT) | instid1(VALU_DEP_1)
	v_cmp_ge_f32_e64 s2, 0, v11
	v_cndmask_b32_e64 v8, v8, v9, s2
	s_delay_alu instid0(VALU_DEP_3) | instskip(NEXT) | instid1(VALU_DEP_1)
	v_cmp_lt_f32_e64 s2, 0, v12
	v_cndmask_b32_e64 v8, v8, v10, s2
	s_delay_alu instid0(VALU_DEP_1) | instskip(NEXT) | instid1(VALU_DEP_1)
	v_mul_f32_e32 v9, 0x37800000, v8
	v_cndmask_b32_e32 v8, v8, v9, vcc_lo
	v_cmp_class_f32_e64 vcc_lo, v2, 0x260
	s_delay_alu instid0(VALU_DEP_2) | instskip(NEXT) | instid1(VALU_DEP_1)
	v_cndmask_b32_e32 v8, v8, v2, vcc_lo
	v_dual_add_f32 v9, v8, v8 :: v_dual_and_b32 v2, 0x7fffffff, v5
	s_delay_alu instid0(VALU_DEP_1) | instskip(SKIP_1) | instid1(VALU_DEP_2)
	v_div_scale_f32 v10, null, v9, v9, v2
	v_div_scale_f32 v2, vcc_lo, v2, v9, v2
	v_rcp_f32_e32 v11, v10
	s_waitcnt_depctr 0xfff
	v_fma_f32 v12, -v10, v11, 1.0
	s_delay_alu instid0(VALU_DEP_1) | instskip(NEXT) | instid1(VALU_DEP_1)
	v_fmac_f32_e32 v11, v12, v11
	v_mul_f32_e32 v12, v2, v11
	s_delay_alu instid0(VALU_DEP_1) | instskip(NEXT) | instid1(VALU_DEP_1)
	v_fma_f32 v13, -v10, v12, v2
	v_fmac_f32_e32 v12, v13, v11
	s_delay_alu instid0(VALU_DEP_1) | instskip(NEXT) | instid1(VALU_DEP_1)
	v_fma_f32 v2, -v10, v12, v2
	v_div_fmas_f32 v2, v2, v11, v12
	s_delay_alu instid0(VALU_DEP_1)
	v_div_fixup_f32 v2, v2, v9, |v5|
	v_bfi_b32 v9, 0x7fffffff, v8, v5
.LBB237_246:
	s_or_b32 exec_lo, exec_lo, s13
                                        ; implicit-def: $vgpr5
                                        ; implicit-def: $vgpr8
	s_and_saveexec_b32 s2, s1
	s_delay_alu instid0(SALU_CYCLE_1)
	s_xor_b32 s1, exec_lo, s2
	s_cbranch_execz .LBB237_248
; %bb.247:
	v_dual_mul_f32 v5, 0.5, v2 :: v_dual_mul_f32 v10, 0.5, v9
	s_delay_alu instid0(VALU_DEP_1) | instskip(NEXT) | instid1(VALU_DEP_2)
	v_cndmask_b32_e64 v8, v2, v5, s12
	v_cndmask_b32_e64 v5, v9, v10, s12
                                        ; implicit-def: $vgpr2
                                        ; implicit-def: $vgpr9
	s_and_not1_saveexec_b32 s1, s1
	s_cbranch_execnz .LBB237_249
	s_branch .LBB237_250
.LBB237_248:
	s_and_not1_saveexec_b32 s1, s1
.LBB237_249:
	v_dual_add_f32 v8, v2, v2 :: v_dual_add_f32 v5, v9, v9
.LBB237_250:
	s_or_b32 exec_lo, exec_lo, s1
                                        ; implicit-def: $vgpr2
.LBB237_251:
	s_and_not1_saveexec_b32 s1, s11
	s_cbranch_execz .LBB237_257
; %bb.252:
	v_cmp_lt_i16_e32 vcc_lo, -1, v2
	v_sub_f32_e32 v2, v5, v5
	s_and_saveexec_b32 s2, vcc_lo
	s_delay_alu instid0(SALU_CYCLE_1)
	s_xor_b32 s2, exec_lo, s2
; %bb.253:
	s_delay_alu instid0(VALU_DEP_1)
	v_bfi_b32 v5, 0x7fffffff, v2, v5
                                        ; implicit-def: $vgpr2
; %bb.254:
	s_and_not1_saveexec_b32 s2, s2
; %bb.255:
	v_and_b32_e32 v2, 0x7fffffff, v2
	s_delay_alu instid0(VALU_DEP_2) | instskip(NEXT) | instid1(VALU_DEP_2)
	v_bfi_b32 v5, 0x7fffffff, v8, v5
	v_mov_b32_e32 v8, v2
; %bb.256:
	s_or_b32 exec_lo, exec_lo, s2
.LBB237_257:
	s_delay_alu instid0(SALU_CYCLE_1)
	s_or_b32 exec_lo, exec_lo, s1
.LBB237_258:
	s_and_not1_saveexec_b32 s1, s9
; %bb.259:
	v_sub_f32_e32 v2, v5, v5
	s_delay_alu instid0(VALU_DEP_1) | instskip(NEXT) | instid1(VALU_DEP_1)
	v_div_scale_f32 v5, vcc_lo, v2, v2, v2
	v_rcp_f32_e32 v9, v5
	s_waitcnt_depctr 0xfff
	v_fma_f32 v10, -v5, v9, 1.0
	s_delay_alu instid0(VALU_DEP_1) | instskip(NEXT) | instid1(VALU_DEP_1)
	v_fmac_f32_e32 v9, v10, v9
	v_mul_f32_e32 v10, v5, v9
	s_delay_alu instid0(VALU_DEP_1) | instskip(NEXT) | instid1(VALU_DEP_1)
	v_fma_f32 v11, -v5, v10, v5
	v_fmac_f32_e32 v10, v11, v9
	s_delay_alu instid0(VALU_DEP_1) | instskip(NEXT) | instid1(VALU_DEP_1)
	v_fma_f32 v5, -v5, v10, v5
	v_div_fmas_f32 v5, v5, v9, v10
	s_delay_alu instid0(VALU_DEP_1)
	v_div_fixup_f32 v5, v5, v2, v2
; %bb.260:
	s_or_b32 exec_lo, exec_lo, s1
.LBB237_261:
	s_delay_alu instid0(SALU_CYCLE_1)
	s_or_b32 exec_lo, exec_lo, s7
.LBB237_262:
	s_delay_alu instid0(SALU_CYCLE_1) | instskip(NEXT) | instid1(VALU_DEP_1)
	s_or_b32 exec_lo, exec_lo, s6
	v_cvt_f16_f32_e32 v2, v5
	v_cvt_f16_f32_e32 v5, v8
	s_delay_alu instid0(VALU_DEP_2) | instskip(NEXT) | instid1(VALU_DEP_2)
	v_lshlrev_b32_e32 v2, 16, v2
	v_and_b32_e32 v5, 0xffff, v5
	s_delay_alu instid0(VALU_DEP_1) | instskip(SKIP_2) | instid1(SALU_CYCLE_1)
	v_or_b32_e32 v5, v2, v5
	s_or_b32 exec_lo, exec_lo, s3
	s_and_saveexec_b32 s1, s0
	s_xor_b32 s0, exec_lo, s1
	s_cbranch_execnz .LBB237_241
.LBB237_263:
	s_or_b32 exec_lo, exec_lo, s0
	s_delay_alu instid0(SALU_CYCLE_1)
	s_mov_b32 s0, exec_lo
	v_cmpx_gt_i32_e64 s10, v0
	s_cbranch_execz .LBB237_242
.LBB237_264:
	v_dual_mov_b32 v2, 0 :: v_dual_add_nc_u32 v1, s8, v0
	v_add_nc_u32_e32 v0, 0x100, v0
	s_delay_alu instid0(VALU_DEP_2) | instskip(NEXT) | instid1(VALU_DEP_1)
	v_lshlrev_b64 v[1:2], 2, v[1:2]
	v_add_co_u32 v1, vcc_lo, s4, v1
	s_delay_alu instid0(VALU_DEP_2) | instskip(SKIP_2) | instid1(SALU_CYCLE_1)
	v_add_co_ci_u32_e32 v2, vcc_lo, s5, v2, vcc_lo
	global_store_b32 v[1:2], v6, off
	s_or_b32 exec_lo, exec_lo, s0
	s_mov_b32 s0, exec_lo
	v_cmpx_gt_i32_e64 s10, v0
	s_cbranch_execnz .LBB237_243
.LBB237_265:
	s_or_b32 exec_lo, exec_lo, s0
	s_delay_alu instid0(SALU_CYCLE_1)
	s_mov_b32 s0, exec_lo
	v_cmpx_gt_i32_e64 s10, v0
	s_cbranch_execz .LBB237_267
.LBB237_266:
	v_dual_mov_b32 v1, 0 :: v_dual_add_nc_u32 v0, s8, v0
	s_delay_alu instid0(VALU_DEP_1) | instskip(NEXT) | instid1(VALU_DEP_1)
	v_lshlrev_b64 v[0:1], 2, v[0:1]
	v_add_co_u32 v0, vcc_lo, s4, v0
	s_delay_alu instid0(VALU_DEP_2)
	v_add_co_ci_u32_e32 v1, vcc_lo, s5, v1, vcc_lo
	global_store_b32 v[0:1], v5, off
.LBB237_267:
	s_nop 0
	s_sendmsg sendmsg(MSG_DEALLOC_VGPRS)
	s_endpgm
	.section	.rodata,"a",@progbits
	.p2align	6, 0x0
	.amdhsa_kernel _ZN2at6native29vectorized_elementwise_kernelILi2EZZZNS0_16sqrt_kernel_cudaERNS_18TensorIteratorBaseEENKUlvE_clEvENKUlvE1_clEvEUlN3c107complexINS6_4HalfEEEE_St5arrayIPcLm2EEEEviT0_T1_
		.amdhsa_group_segment_fixed_size 0
		.amdhsa_private_segment_fixed_size 0
		.amdhsa_kernarg_size 24
		.amdhsa_user_sgpr_count 15
		.amdhsa_user_sgpr_dispatch_ptr 0
		.amdhsa_user_sgpr_queue_ptr 0
		.amdhsa_user_sgpr_kernarg_segment_ptr 1
		.amdhsa_user_sgpr_dispatch_id 0
		.amdhsa_user_sgpr_private_segment_size 0
		.amdhsa_wavefront_size32 1
		.amdhsa_uses_dynamic_stack 0
		.amdhsa_enable_private_segment 0
		.amdhsa_system_sgpr_workgroup_id_x 1
		.amdhsa_system_sgpr_workgroup_id_y 0
		.amdhsa_system_sgpr_workgroup_id_z 0
		.amdhsa_system_sgpr_workgroup_info 0
		.amdhsa_system_vgpr_workitem_id 0
		.amdhsa_next_free_vgpr 17
		.amdhsa_next_free_sgpr 17
		.amdhsa_reserve_vcc 1
		.amdhsa_float_round_mode_32 0
		.amdhsa_float_round_mode_16_64 0
		.amdhsa_float_denorm_mode_32 3
		.amdhsa_float_denorm_mode_16_64 3
		.amdhsa_dx10_clamp 1
		.amdhsa_ieee_mode 1
		.amdhsa_fp16_overflow 0
		.amdhsa_workgroup_processor_mode 1
		.amdhsa_memory_ordered 1
		.amdhsa_forward_progress 0
		.amdhsa_shared_vgpr_count 0
		.amdhsa_exception_fp_ieee_invalid_op 0
		.amdhsa_exception_fp_denorm_src 0
		.amdhsa_exception_fp_ieee_div_zero 0
		.amdhsa_exception_fp_ieee_overflow 0
		.amdhsa_exception_fp_ieee_underflow 0
		.amdhsa_exception_fp_ieee_inexact 0
		.amdhsa_exception_int_div_zero 0
	.end_amdhsa_kernel
	.section	.text._ZN2at6native29vectorized_elementwise_kernelILi2EZZZNS0_16sqrt_kernel_cudaERNS_18TensorIteratorBaseEENKUlvE_clEvENKUlvE1_clEvEUlN3c107complexINS6_4HalfEEEE_St5arrayIPcLm2EEEEviT0_T1_,"axG",@progbits,_ZN2at6native29vectorized_elementwise_kernelILi2EZZZNS0_16sqrt_kernel_cudaERNS_18TensorIteratorBaseEENKUlvE_clEvENKUlvE1_clEvEUlN3c107complexINS6_4HalfEEEE_St5arrayIPcLm2EEEEviT0_T1_,comdat
.Lfunc_end237:
	.size	_ZN2at6native29vectorized_elementwise_kernelILi2EZZZNS0_16sqrt_kernel_cudaERNS_18TensorIteratorBaseEENKUlvE_clEvENKUlvE1_clEvEUlN3c107complexINS6_4HalfEEEE_St5arrayIPcLm2EEEEviT0_T1_, .Lfunc_end237-_ZN2at6native29vectorized_elementwise_kernelILi2EZZZNS0_16sqrt_kernel_cudaERNS_18TensorIteratorBaseEENKUlvE_clEvENKUlvE1_clEvEUlN3c107complexINS6_4HalfEEEE_St5arrayIPcLm2EEEEviT0_T1_
                                        ; -- End function
	.section	.AMDGPU.csdata,"",@progbits
; Kernel info:
; codeLenInByte = 10884
; NumSgprs: 19
; NumVgprs: 17
; ScratchSize: 0
; MemoryBound: 0
; FloatMode: 240
; IeeeMode: 1
; LDSByteSize: 0 bytes/workgroup (compile time only)
; SGPRBlocks: 2
; VGPRBlocks: 2
; NumSGPRsForWavesPerEU: 19
; NumVGPRsForWavesPerEU: 17
; Occupancy: 16
; WaveLimiterHint : 1
; COMPUTE_PGM_RSRC2:SCRATCH_EN: 0
; COMPUTE_PGM_RSRC2:USER_SGPR: 15
; COMPUTE_PGM_RSRC2:TRAP_HANDLER: 0
; COMPUTE_PGM_RSRC2:TGID_X_EN: 1
; COMPUTE_PGM_RSRC2:TGID_Y_EN: 0
; COMPUTE_PGM_RSRC2:TGID_Z_EN: 0
; COMPUTE_PGM_RSRC2:TIDIG_COMP_CNT: 0
	.section	.text._ZN2at6native27unrolled_elementwise_kernelIZZZNS0_16sqrt_kernel_cudaERNS_18TensorIteratorBaseEENKUlvE_clEvENKUlvE1_clEvEUlN3c107complexINS6_4HalfEEEE_St5arrayIPcLm2EELi4E23TrivialOffsetCalculatorILi1EjESF_NS0_6memory15LoadWithoutCastENSG_16StoreWithoutCastEEEviT_T0_T2_T3_T4_T5_,"axG",@progbits,_ZN2at6native27unrolled_elementwise_kernelIZZZNS0_16sqrt_kernel_cudaERNS_18TensorIteratorBaseEENKUlvE_clEvENKUlvE1_clEvEUlN3c107complexINS6_4HalfEEEE_St5arrayIPcLm2EELi4E23TrivialOffsetCalculatorILi1EjESF_NS0_6memory15LoadWithoutCastENSG_16StoreWithoutCastEEEviT_T0_T2_T3_T4_T5_,comdat
	.globl	_ZN2at6native27unrolled_elementwise_kernelIZZZNS0_16sqrt_kernel_cudaERNS_18TensorIteratorBaseEENKUlvE_clEvENKUlvE1_clEvEUlN3c107complexINS6_4HalfEEEE_St5arrayIPcLm2EELi4E23TrivialOffsetCalculatorILi1EjESF_NS0_6memory15LoadWithoutCastENSG_16StoreWithoutCastEEEviT_T0_T2_T3_T4_T5_ ; -- Begin function _ZN2at6native27unrolled_elementwise_kernelIZZZNS0_16sqrt_kernel_cudaERNS_18TensorIteratorBaseEENKUlvE_clEvENKUlvE1_clEvEUlN3c107complexINS6_4HalfEEEE_St5arrayIPcLm2EELi4E23TrivialOffsetCalculatorILi1EjESF_NS0_6memory15LoadWithoutCastENSG_16StoreWithoutCastEEEviT_T0_T2_T3_T4_T5_
	.p2align	8
	.type	_ZN2at6native27unrolled_elementwise_kernelIZZZNS0_16sqrt_kernel_cudaERNS_18TensorIteratorBaseEENKUlvE_clEvENKUlvE1_clEvEUlN3c107complexINS6_4HalfEEEE_St5arrayIPcLm2EELi4E23TrivialOffsetCalculatorILi1EjESF_NS0_6memory15LoadWithoutCastENSG_16StoreWithoutCastEEEviT_T0_T2_T3_T4_T5_,@function
_ZN2at6native27unrolled_elementwise_kernelIZZZNS0_16sqrt_kernel_cudaERNS_18TensorIteratorBaseEENKUlvE_clEvENKUlvE1_clEvEUlN3c107complexINS6_4HalfEEEE_St5arrayIPcLm2EELi4E23TrivialOffsetCalculatorILi1EjESF_NS0_6memory15LoadWithoutCastENSG_16StoreWithoutCastEEEviT_T0_T2_T3_T4_T5_: ; @_ZN2at6native27unrolled_elementwise_kernelIZZZNS0_16sqrt_kernel_cudaERNS_18TensorIteratorBaseEENKUlvE_clEvENKUlvE1_clEvEUlN3c107complexINS6_4HalfEEEE_St5arrayIPcLm2EELi4E23TrivialOffsetCalculatorILi1EjESF_NS0_6memory15LoadWithoutCastENSG_16StoreWithoutCastEEEviT_T0_T2_T3_T4_T5_
; %bb.0:
	s_clause 0x1
	s_load_b32 s2, s[0:1], 0x0
	s_load_b128 s[4:7], s[0:1], 0x8
	s_lshl_b32 s3, s15, 10
	v_dual_mov_b32 v7, 0 :: v_dual_mov_b32 v8, 0
	v_or_b32_e32 v1, s3, v0
	v_or_b32_e32 v3, 0x100, v0
	v_mov_b32_e32 v4, v0
	s_waitcnt lgkmcnt(0)
	s_sub_i32 s8, s2, s3
	s_delay_alu instid0(SALU_CYCLE_1) | instskip(NEXT) | instid1(VALU_DEP_1)
	v_cmp_gt_i32_e64 s0, s8, v0
	s_and_saveexec_b32 s1, s0
	s_cbranch_execz .LBB238_2
; %bb.1:
	v_mov_b32_e32 v2, 0
	s_delay_alu instid0(VALU_DEP_1) | instskip(NEXT) | instid1(VALU_DEP_1)
	v_lshlrev_b64 v[4:5], 2, v[1:2]
	v_add_co_u32 v4, vcc_lo, s6, v4
	s_delay_alu instid0(VALU_DEP_2)
	v_add_co_ci_u32_e32 v5, vcc_lo, s7, v5, vcc_lo
	global_load_b32 v8, v[4:5], off
	v_or_b32_e32 v4, 0x100, v0
.LBB238_2:
	s_or_b32 exec_lo, exec_lo, s1
	s_delay_alu instid0(SALU_CYCLE_1) | instskip(NEXT) | instid1(VALU_DEP_1)
	s_mov_b32 s1, exec_lo
	v_cmpx_gt_i32_e64 s8, v4
	s_cbranch_execz .LBB238_4
; %bb.3:
	v_dual_mov_b32 v6, 0 :: v_dual_add_nc_u32 v5, s3, v4
	v_add_nc_u32_e32 v4, 0x100, v4
	s_delay_alu instid0(VALU_DEP_2) | instskip(NEXT) | instid1(VALU_DEP_1)
	v_lshlrev_b64 v[5:6], 2, v[5:6]
	v_add_co_u32 v5, vcc_lo, s6, v5
	s_delay_alu instid0(VALU_DEP_2)
	v_add_co_ci_u32_e32 v6, vcc_lo, s7, v6, vcc_lo
	global_load_b32 v7, v[5:6], off
.LBB238_4:
	s_or_b32 exec_lo, exec_lo, s1
	v_dual_mov_b32 v2, 0 :: v_dual_mov_b32 v5, 0
	s_mov_b32 s1, exec_lo
	v_cmpx_gt_i32_e64 s8, v4
	s_cbranch_execz .LBB238_8
; %bb.5:
	v_dual_mov_b32 v6, 0 :: v_dual_add_nc_u32 v5, s3, v4
	v_add_nc_u32_e32 v4, 0x100, v4
	s_delay_alu instid0(VALU_DEP_2) | instskip(NEXT) | instid1(VALU_DEP_1)
	v_lshlrev_b64 v[5:6], 2, v[5:6]
	v_add_co_u32 v5, vcc_lo, s6, v5
	s_delay_alu instid0(VALU_DEP_2) | instskip(SKIP_2) | instid1(SALU_CYCLE_1)
	v_add_co_ci_u32_e32 v6, vcc_lo, s7, v6, vcc_lo
	global_load_b32 v5, v[5:6], off
	s_or_b32 exec_lo, exec_lo, s1
	s_mov_b32 s1, exec_lo
	v_cmpx_gt_i32_e64 s8, v4
	s_cbranch_execnz .LBB238_9
.LBB238_6:
	s_or_b32 exec_lo, exec_lo, s1
                                        ; implicit-def: $vgpr4
	s_and_saveexec_b32 s6, s0
	s_cbranch_execnz .LBB238_10
.LBB238_7:
	s_or_b32 exec_lo, exec_lo, s6
	s_delay_alu instid0(SALU_CYCLE_1)
	s_mov_b32 s6, exec_lo
                                        ; implicit-def: $vgpr6
	v_cmpx_gt_i32_e64 s8, v3
	s_cbranch_execz .LBB238_72
	s_branch .LBB238_41
.LBB238_8:
	s_or_b32 exec_lo, exec_lo, s1
	s_delay_alu instid0(SALU_CYCLE_1)
	s_mov_b32 s1, exec_lo
	v_cmpx_gt_i32_e64 s8, v4
	s_cbranch_execz .LBB238_6
.LBB238_9:
	v_dual_mov_b32 v10, 0 :: v_dual_add_nc_u32 v9, s3, v4
	s_delay_alu instid0(VALU_DEP_1) | instskip(NEXT) | instid1(VALU_DEP_1)
	v_lshlrev_b64 v[9:10], 2, v[9:10]
	v_add_co_u32 v9, vcc_lo, s6, v9
	s_delay_alu instid0(VALU_DEP_2)
	v_add_co_ci_u32_e32 v10, vcc_lo, s7, v10, vcc_lo
	global_load_b32 v2, v[9:10], off
	s_or_b32 exec_lo, exec_lo, s1
                                        ; implicit-def: $vgpr4
	s_and_saveexec_b32 s6, s0
	s_cbranch_execz .LBB238_7
.LBB238_10:
	s_waitcnt vmcnt(0)
	v_lshrrev_b32_e32 v4, 16, v8
	v_cmp_neq_f16_e32 vcc_lo, 0, v8
	v_mov_b32_e32 v6, 0
	s_delay_alu instid0(VALU_DEP_3) | instskip(SKIP_1) | instid1(VALU_DEP_2)
	v_cmp_neq_f16_e64 s1, 0, v4
	v_cvt_f32_f16_e32 v4, v4
	s_or_b32 s1, vcc_lo, s1
	s_delay_alu instid0(SALU_CYCLE_1)
	s_and_saveexec_b32 s7, s1
	s_cbranch_execz .LBB238_40
; %bb.11:
	v_mov_b32_e32 v6, 0x7f800000
	s_mov_b32 s9, exec_lo
	v_cmpx_neq_f32_e64 0x7f800000, |v4|
	s_cbranch_execz .LBB238_39
; %bb.12:
	v_cvt_f32_f16_e32 v6, v8
	s_mov_b32 s1, exec_lo
	v_cmpx_o_f16_e32 v8, v8
	s_xor_b32 s10, exec_lo, s1
	s_cbranch_execz .LBB238_36
; %bb.13:
	s_mov_b32 s2, exec_lo
	v_cmpx_neq_f32_e64 0x7f800000, |v6|
	s_xor_b32 s11, exec_lo, s2
	s_cbranch_execz .LBB238_29
; %bb.14:
	v_max_f32_e64 v8, |v4|, |v4|
	v_max_f32_e64 v9, |v6|, |v6|
                                        ; implicit-def: $sgpr12
	s_delay_alu instid0(VALU_DEP_1) | instskip(NEXT) | instid1(VALU_DEP_1)
	v_max_f32_e32 v8, v9, v8
	v_cmp_nle_f32_e64 s1, 0x7ed413cb, v8
	s_delay_alu instid0(VALU_DEP_1) | instskip(NEXT) | instid1(SALU_CYCLE_1)
	s_and_saveexec_b32 s2, s1
	s_xor_b32 s2, exec_lo, s2
	s_cbranch_execz .LBB238_18
; %bb.15:
	v_cmp_ge_f32_e64 s12, 0x1000000, |v6|
	v_cmp_ge_f32_e64 s13, 0x1000000, |v4|
	s_delay_alu instid0(VALU_DEP_1)
	s_and_b32 s14, s12, s13
	s_mov_b32 s12, 0
	s_and_saveexec_b32 s13, s14
; %bb.16:
	v_mul_f32_e32 v6, 4.0, v6
	v_mul_f32_e32 v4, 4.0, v4
	s_mov_b32 s12, exec_lo
; %bb.17:
	s_or_b32 exec_lo, exec_lo, s13
	s_delay_alu instid0(SALU_CYCLE_1)
	s_and_b32 s12, s12, exec_lo
.LBB238_18:
	s_and_not1_saveexec_b32 s2, s2
; %bb.19:
	v_mul_f32_e32 v6, 0x3e800000, v6
	v_mul_f32_e32 v4, 0x3e800000, v4
	s_and_not1_b32 s12, s12, exec_lo
; %bb.20:
	s_or_b32 exec_lo, exec_lo, s2
	s_delay_alu instid0(VALU_DEP_1) | instskip(SKIP_1) | instid1(VALU_DEP_1)
	v_max_f32_e64 v8, |v4|, |v4|
	v_max_f32_e64 v9, |v6|, |v6|
	v_max_f32_e32 v10, v9, v8
	s_delay_alu instid0(VALU_DEP_1) | instskip(NEXT) | instid1(VALU_DEP_1)
	v_cvt_f64_f32_e32 v[8:9], v10
	v_frexp_exp_i32_f64_e32 v8, v[8:9]
	s_delay_alu instid0(VALU_DEP_1) | instskip(NEXT) | instid1(VALU_DEP_1)
	v_sub_nc_u32_e32 v9, 0, v8
	v_ldexp_f32 v11, |v4|, v9
	v_ldexp_f32 v9, |v6|, v9
	s_delay_alu instid0(VALU_DEP_2) | instskip(SKIP_1) | instid1(VALU_DEP_2)
	v_mul_f32_e32 v11, v11, v11
	v_cmp_neq_f32_e64 s2, 0x7f800000, v10
	v_fmac_f32_e32 v11, v9, v9
	s_delay_alu instid0(VALU_DEP_1) | instskip(SKIP_2) | instid1(VALU_DEP_1)
	v_sqrt_f32_e32 v9, v11
	s_waitcnt_depctr 0xfff
	v_ldexp_f32 v8, v9, v8
                                        ; implicit-def: $vgpr9
	v_cndmask_b32_e64 v10, 0x7f800000, v8, s2
                                        ; implicit-def: $vgpr8
	s_mov_b32 s2, exec_lo
	v_cmpx_le_f32_e32 0, v6
	s_xor_b32 s13, exec_lo, s2
	s_cbranch_execz .LBB238_22
; %bb.21:
	v_add_f32_e32 v6, v6, v10
	s_delay_alu instid0(VALU_DEP_1) | instskip(NEXT) | instid1(VALU_DEP_1)
	v_mul_f32_e32 v6, 0.5, v6
	v_mul_f32_e32 v8, 0x4f800000, v6
	v_cmp_gt_f32_e32 vcc_lo, 0xf800000, v6
	s_delay_alu instid0(VALU_DEP_2) | instskip(NEXT) | instid1(VALU_DEP_1)
	v_cndmask_b32_e32 v6, v6, v8, vcc_lo
	v_sqrt_f32_e32 v8, v6
	s_waitcnt_depctr 0xfff
	v_add_nc_u32_e32 v9, -1, v8
	v_add_nc_u32_e32 v10, 1, v8
	s_delay_alu instid0(VALU_DEP_2) | instskip(NEXT) | instid1(VALU_DEP_2)
	v_fma_f32 v11, -v9, v8, v6
	v_fma_f32 v12, -v10, v8, v6
	s_delay_alu instid0(VALU_DEP_2) | instskip(NEXT) | instid1(VALU_DEP_1)
	v_cmp_ge_f32_e64 s2, 0, v11
	v_cndmask_b32_e64 v8, v8, v9, s2
	s_delay_alu instid0(VALU_DEP_3) | instskip(NEXT) | instid1(VALU_DEP_1)
	v_cmp_lt_f32_e64 s2, 0, v12
	v_cndmask_b32_e64 v8, v8, v10, s2
	s_delay_alu instid0(VALU_DEP_1) | instskip(NEXT) | instid1(VALU_DEP_1)
	v_mul_f32_e32 v9, 0x37800000, v8
	v_cndmask_b32_e32 v8, v8, v9, vcc_lo
	v_cmp_class_f32_e64 vcc_lo, v6, 0x260
	s_delay_alu instid0(VALU_DEP_2) | instskip(NEXT) | instid1(VALU_DEP_1)
	v_cndmask_b32_e32 v8, v8, v6, vcc_lo
	v_add_f32_e32 v6, v8, v8
	s_delay_alu instid0(VALU_DEP_1) | instskip(NEXT) | instid1(VALU_DEP_1)
	v_div_scale_f32 v9, null, v6, v6, v4
	v_rcp_f32_e32 v10, v9
	s_waitcnt_depctr 0xfff
	v_fma_f32 v11, -v9, v10, 1.0
	s_delay_alu instid0(VALU_DEP_1) | instskip(SKIP_1) | instid1(VALU_DEP_1)
	v_fmac_f32_e32 v10, v11, v10
	v_div_scale_f32 v11, vcc_lo, v4, v6, v4
	v_mul_f32_e32 v12, v11, v10
	s_delay_alu instid0(VALU_DEP_1) | instskip(NEXT) | instid1(VALU_DEP_1)
	v_fma_f32 v13, -v9, v12, v11
	v_fmac_f32_e32 v12, v13, v10
	s_delay_alu instid0(VALU_DEP_1) | instskip(NEXT) | instid1(VALU_DEP_1)
	v_fma_f32 v9, -v9, v12, v11
	v_div_fmas_f32 v9, v9, v10, v12
                                        ; implicit-def: $vgpr10
	s_delay_alu instid0(VALU_DEP_1)
	v_div_fixup_f32 v9, v9, v6, v4
                                        ; implicit-def: $vgpr6
                                        ; implicit-def: $vgpr4
	s_and_not1_saveexec_b32 s13, s13
	s_cbranch_execz .LBB238_24
	s_branch .LBB238_23
.LBB238_22:
	s_and_not1_saveexec_b32 s13, s13
	s_cbranch_execz .LBB238_24
.LBB238_23:
	v_sub_f32_e32 v6, v10, v6
	s_delay_alu instid0(VALU_DEP_1) | instskip(NEXT) | instid1(VALU_DEP_1)
	v_mul_f32_e32 v6, 0.5, v6
	v_mul_f32_e32 v8, 0x4f800000, v6
	v_cmp_gt_f32_e32 vcc_lo, 0xf800000, v6
	s_delay_alu instid0(VALU_DEP_2) | instskip(NEXT) | instid1(VALU_DEP_1)
	v_cndmask_b32_e32 v6, v6, v8, vcc_lo
	v_sqrt_f32_e32 v8, v6
	s_waitcnt_depctr 0xfff
	v_add_nc_u32_e32 v9, -1, v8
	v_add_nc_u32_e32 v10, 1, v8
	s_delay_alu instid0(VALU_DEP_2) | instskip(NEXT) | instid1(VALU_DEP_2)
	v_fma_f32 v11, -v9, v8, v6
	v_fma_f32 v12, -v10, v8, v6
	s_delay_alu instid0(VALU_DEP_2) | instskip(NEXT) | instid1(VALU_DEP_1)
	v_cmp_ge_f32_e64 s2, 0, v11
	v_cndmask_b32_e64 v8, v8, v9, s2
	s_delay_alu instid0(VALU_DEP_3) | instskip(NEXT) | instid1(VALU_DEP_1)
	v_cmp_lt_f32_e64 s2, 0, v12
	v_cndmask_b32_e64 v8, v8, v10, s2
	s_delay_alu instid0(VALU_DEP_1) | instskip(NEXT) | instid1(VALU_DEP_1)
	v_mul_f32_e32 v9, 0x37800000, v8
	v_cndmask_b32_e32 v8, v8, v9, vcc_lo
	v_cmp_class_f32_e64 vcc_lo, v6, 0x260
	s_delay_alu instid0(VALU_DEP_2) | instskip(NEXT) | instid1(VALU_DEP_1)
	v_cndmask_b32_e32 v6, v8, v6, vcc_lo
	v_dual_add_f32 v9, v6, v6 :: v_dual_and_b32 v8, 0x7fffffff, v4
	s_delay_alu instid0(VALU_DEP_1) | instskip(SKIP_1) | instid1(VALU_DEP_2)
	v_div_scale_f32 v10, null, v9, v9, v8
	v_div_scale_f32 v8, vcc_lo, v8, v9, v8
	v_rcp_f32_e32 v11, v10
	s_waitcnt_depctr 0xfff
	v_fma_f32 v12, -v10, v11, 1.0
	s_delay_alu instid0(VALU_DEP_1) | instskip(NEXT) | instid1(VALU_DEP_1)
	v_fmac_f32_e32 v11, v12, v11
	v_mul_f32_e32 v12, v8, v11
	s_delay_alu instid0(VALU_DEP_1) | instskip(NEXT) | instid1(VALU_DEP_1)
	v_fma_f32 v13, -v10, v12, v8
	v_fmac_f32_e32 v12, v13, v11
	s_delay_alu instid0(VALU_DEP_1) | instskip(NEXT) | instid1(VALU_DEP_1)
	v_fma_f32 v8, -v10, v12, v8
	v_div_fmas_f32 v8, v8, v11, v12
	s_delay_alu instid0(VALU_DEP_1)
	v_div_fixup_f32 v8, v8, v9, |v4|
	v_bfi_b32 v9, 0x7fffffff, v6, v4
.LBB238_24:
	s_or_b32 exec_lo, exec_lo, s13
                                        ; implicit-def: $vgpr4
                                        ; implicit-def: $vgpr6
	s_and_saveexec_b32 s2, s1
	s_delay_alu instid0(SALU_CYCLE_1)
	s_xor_b32 s1, exec_lo, s2
	s_cbranch_execz .LBB238_26
; %bb.25:
	v_mul_f32_e32 v4, 0.5, v8
	v_mul_f32_e32 v10, 0.5, v9
	s_delay_alu instid0(VALU_DEP_2) | instskip(NEXT) | instid1(VALU_DEP_2)
	v_cndmask_b32_e64 v6, v8, v4, s12
	v_cndmask_b32_e64 v4, v9, v10, s12
                                        ; implicit-def: $vgpr8
                                        ; implicit-def: $vgpr9
	s_and_not1_saveexec_b32 s1, s1
	s_cbranch_execnz .LBB238_27
	s_branch .LBB238_28
.LBB238_26:
	s_and_not1_saveexec_b32 s1, s1
.LBB238_27:
	v_add_f32_e32 v6, v8, v8
	v_add_f32_e32 v4, v9, v9
.LBB238_28:
	s_or_b32 exec_lo, exec_lo, s1
                                        ; implicit-def: $vgpr8
.LBB238_29:
	s_and_not1_saveexec_b32 s1, s11
	s_cbranch_execz .LBB238_35
; %bb.30:
	v_cmp_lt_i16_e32 vcc_lo, -1, v8
	v_sub_f32_e32 v8, v4, v4
	s_and_saveexec_b32 s2, vcc_lo
	s_delay_alu instid0(SALU_CYCLE_1)
	s_xor_b32 s2, exec_lo, s2
; %bb.31:
	s_delay_alu instid0(VALU_DEP_1)
	v_bfi_b32 v4, 0x7fffffff, v8, v4
                                        ; implicit-def: $vgpr8
; %bb.32:
	s_and_not1_saveexec_b32 s2, s2
; %bb.33:
	v_and_b32_e32 v8, 0x7fffffff, v8
	s_delay_alu instid0(VALU_DEP_2) | instskip(NEXT) | instid1(VALU_DEP_2)
	v_bfi_b32 v4, 0x7fffffff, v6, v4
	v_mov_b32_e32 v6, v8
; %bb.34:
	s_or_b32 exec_lo, exec_lo, s2
.LBB238_35:
	s_delay_alu instid0(SALU_CYCLE_1)
	s_or_b32 exec_lo, exec_lo, s1
.LBB238_36:
	s_and_not1_saveexec_b32 s1, s10
; %bb.37:
	v_sub_f32_e32 v4, v4, v4
	s_delay_alu instid0(VALU_DEP_1) | instskip(NEXT) | instid1(VALU_DEP_1)
	v_div_scale_f32 v8, vcc_lo, v4, v4, v4
	v_rcp_f32_e32 v9, v8
	s_waitcnt_depctr 0xfff
	v_fma_f32 v10, -v8, v9, 1.0
	s_delay_alu instid0(VALU_DEP_1) | instskip(NEXT) | instid1(VALU_DEP_1)
	v_fmac_f32_e32 v9, v10, v9
	v_mul_f32_e32 v10, v8, v9
	s_delay_alu instid0(VALU_DEP_1) | instskip(NEXT) | instid1(VALU_DEP_1)
	v_fma_f32 v11, -v8, v10, v8
	v_fmac_f32_e32 v10, v11, v9
	s_delay_alu instid0(VALU_DEP_1) | instskip(NEXT) | instid1(VALU_DEP_1)
	v_fma_f32 v8, -v8, v10, v8
	v_div_fmas_f32 v8, v8, v9, v10
	s_delay_alu instid0(VALU_DEP_1)
	v_div_fixup_f32 v4, v8, v4, v4
; %bb.38:
	s_or_b32 exec_lo, exec_lo, s1
.LBB238_39:
	s_delay_alu instid0(SALU_CYCLE_1)
	s_or_b32 exec_lo, exec_lo, s9
.LBB238_40:
	s_delay_alu instid0(SALU_CYCLE_1) | instskip(NEXT) | instid1(VALU_DEP_1)
	s_or_b32 exec_lo, exec_lo, s7
	v_cvt_f16_f32_e32 v4, v4
	v_cvt_f16_f32_e32 v6, v6
	s_delay_alu instid0(VALU_DEP_2) | instskip(NEXT) | instid1(VALU_DEP_2)
	v_lshlrev_b32_e32 v4, 16, v4
	v_and_b32_e32 v6, 0xffff, v6
	s_delay_alu instid0(VALU_DEP_1) | instskip(SKIP_1) | instid1(SALU_CYCLE_1)
	v_or_b32_e32 v4, v4, v6
	s_or_b32 exec_lo, exec_lo, s6
	s_mov_b32 s6, exec_lo
                                        ; implicit-def: $vgpr6
	v_cmpx_gt_i32_e64 s8, v3
	s_cbranch_execz .LBB238_72
.LBB238_41:
	s_waitcnt vmcnt(0)
	v_lshrrev_b32_e32 v6, 16, v7
	v_cmp_neq_f16_e32 vcc_lo, 0, v7
	v_mov_b32_e32 v8, 0
	s_delay_alu instid0(VALU_DEP_3) | instskip(SKIP_1) | instid1(VALU_DEP_2)
	v_cmp_neq_f16_e64 s1, 0, v6
	v_cvt_f32_f16_e32 v6, v6
	s_or_b32 s1, vcc_lo, s1
	s_delay_alu instid0(SALU_CYCLE_1)
	s_and_saveexec_b32 s7, s1
	s_cbranch_execz .LBB238_71
; %bb.42:
	v_mov_b32_e32 v8, 0x7f800000
	s_mov_b32 s9, exec_lo
	v_cmpx_neq_f32_e64 0x7f800000, |v6|
	s_cbranch_execz .LBB238_70
; %bb.43:
	v_cvt_f32_f16_e32 v8, v7
	s_mov_b32 s1, exec_lo
	v_cmpx_o_f16_e32 v7, v7
	s_xor_b32 s10, exec_lo, s1
	s_cbranch_execz .LBB238_67
; %bb.44:
	s_mov_b32 s2, exec_lo
	v_cmpx_neq_f32_e64 0x7f800000, |v8|
	s_xor_b32 s11, exec_lo, s2
	s_cbranch_execz .LBB238_60
; %bb.45:
	v_max_f32_e64 v7, |v6|, |v6|
	v_max_f32_e64 v9, |v8|, |v8|
                                        ; implicit-def: $sgpr12
	s_delay_alu instid0(VALU_DEP_1) | instskip(NEXT) | instid1(VALU_DEP_1)
	v_max_f32_e32 v7, v9, v7
	v_cmp_nle_f32_e64 s1, 0x7ed413cb, v7
	s_delay_alu instid0(VALU_DEP_1) | instskip(NEXT) | instid1(SALU_CYCLE_1)
	s_and_saveexec_b32 s2, s1
	s_xor_b32 s2, exec_lo, s2
	s_cbranch_execz .LBB238_49
; %bb.46:
	v_cmp_ge_f32_e64 s12, 0x1000000, |v8|
	v_cmp_ge_f32_e64 s13, 0x1000000, |v6|
	s_delay_alu instid0(VALU_DEP_1)
	s_and_b32 s14, s12, s13
	s_mov_b32 s12, 0
	s_and_saveexec_b32 s13, s14
; %bb.47:
	v_mul_f32_e32 v8, 4.0, v8
	v_mul_f32_e32 v6, 4.0, v6
	s_mov_b32 s12, exec_lo
; %bb.48:
	s_or_b32 exec_lo, exec_lo, s13
	s_delay_alu instid0(SALU_CYCLE_1)
	s_and_b32 s12, s12, exec_lo
.LBB238_49:
	s_and_not1_saveexec_b32 s2, s2
; %bb.50:
	v_mul_f32_e32 v8, 0x3e800000, v8
	v_mul_f32_e32 v6, 0x3e800000, v6
	s_and_not1_b32 s12, s12, exec_lo
; %bb.51:
	s_or_b32 exec_lo, exec_lo, s2
	s_delay_alu instid0(VALU_DEP_1) | instskip(SKIP_1) | instid1(VALU_DEP_1)
	v_max_f32_e64 v7, |v6|, |v6|
	v_max_f32_e64 v9, |v8|, |v8|
	v_max_f32_e32 v7, v9, v7
	s_delay_alu instid0(VALU_DEP_1) | instskip(SKIP_1) | instid1(VALU_DEP_2)
	v_cvt_f64_f32_e32 v[9:10], v7
	v_cmp_neq_f32_e64 s2, 0x7f800000, v7
                                        ; implicit-def: $vgpr7
	v_frexp_exp_i32_f64_e32 v9, v[9:10]
	s_delay_alu instid0(VALU_DEP_1) | instskip(NEXT) | instid1(VALU_DEP_1)
	v_sub_nc_u32_e32 v10, 0, v9
	v_ldexp_f32 v11, |v6|, v10
	v_ldexp_f32 v10, |v8|, v10
	s_delay_alu instid0(VALU_DEP_2) | instskip(NEXT) | instid1(VALU_DEP_1)
	v_mul_f32_e32 v11, v11, v11
	v_fmac_f32_e32 v11, v10, v10
	s_delay_alu instid0(VALU_DEP_1) | instskip(SKIP_2) | instid1(VALU_DEP_1)
	v_sqrt_f32_e32 v10, v11
	s_waitcnt_depctr 0xfff
	v_ldexp_f32 v9, v10, v9
	v_cndmask_b32_e64 v10, 0x7f800000, v9, s2
                                        ; implicit-def: $vgpr9
	s_mov_b32 s2, exec_lo
	v_cmpx_le_f32_e32 0, v8
	s_xor_b32 s13, exec_lo, s2
	s_cbranch_execz .LBB238_53
; %bb.52:
	v_add_f32_e32 v7, v8, v10
	s_delay_alu instid0(VALU_DEP_1) | instskip(NEXT) | instid1(VALU_DEP_1)
	v_mul_f32_e32 v7, 0.5, v7
	v_mul_f32_e32 v8, 0x4f800000, v7
	v_cmp_gt_f32_e32 vcc_lo, 0xf800000, v7
	s_delay_alu instid0(VALU_DEP_2) | instskip(NEXT) | instid1(VALU_DEP_1)
	v_cndmask_b32_e32 v7, v7, v8, vcc_lo
	v_sqrt_f32_e32 v8, v7
	s_waitcnt_depctr 0xfff
	v_add_nc_u32_e32 v9, -1, v8
	v_add_nc_u32_e32 v10, 1, v8
	s_delay_alu instid0(VALU_DEP_2) | instskip(NEXT) | instid1(VALU_DEP_2)
	v_fma_f32 v11, -v9, v8, v7
	v_fma_f32 v12, -v10, v8, v7
	s_delay_alu instid0(VALU_DEP_2) | instskip(NEXT) | instid1(VALU_DEP_1)
	v_cmp_ge_f32_e64 s2, 0, v11
	v_cndmask_b32_e64 v8, v8, v9, s2
	s_delay_alu instid0(VALU_DEP_3) | instskip(NEXT) | instid1(VALU_DEP_1)
	v_cmp_lt_f32_e64 s2, 0, v12
	v_cndmask_b32_e64 v8, v8, v10, s2
	s_delay_alu instid0(VALU_DEP_1) | instskip(NEXT) | instid1(VALU_DEP_1)
	v_mul_f32_e32 v9, 0x37800000, v8
	v_cndmask_b32_e32 v8, v8, v9, vcc_lo
	v_cmp_class_f32_e64 vcc_lo, v7, 0x260
	s_delay_alu instid0(VALU_DEP_2) | instskip(NEXT) | instid1(VALU_DEP_1)
	v_cndmask_b32_e32 v7, v8, v7, vcc_lo
	v_add_f32_e32 v8, v7, v7
	s_delay_alu instid0(VALU_DEP_1) | instskip(NEXT) | instid1(VALU_DEP_1)
	v_div_scale_f32 v9, null, v8, v8, v6
	v_rcp_f32_e32 v10, v9
	s_waitcnt_depctr 0xfff
	v_fma_f32 v11, -v9, v10, 1.0
	s_delay_alu instid0(VALU_DEP_1) | instskip(SKIP_1) | instid1(VALU_DEP_1)
	v_fmac_f32_e32 v10, v11, v10
	v_div_scale_f32 v11, vcc_lo, v6, v8, v6
	v_mul_f32_e32 v12, v11, v10
	s_delay_alu instid0(VALU_DEP_1) | instskip(NEXT) | instid1(VALU_DEP_1)
	v_fma_f32 v13, -v9, v12, v11
	v_fmac_f32_e32 v12, v13, v10
	s_delay_alu instid0(VALU_DEP_1) | instskip(NEXT) | instid1(VALU_DEP_1)
	v_fma_f32 v9, -v9, v12, v11
	v_div_fmas_f32 v9, v9, v10, v12
                                        ; implicit-def: $vgpr10
	s_delay_alu instid0(VALU_DEP_1)
	v_div_fixup_f32 v9, v9, v8, v6
                                        ; implicit-def: $vgpr8
                                        ; implicit-def: $vgpr6
	s_and_not1_saveexec_b32 s13, s13
	s_cbranch_execz .LBB238_55
	s_branch .LBB238_54
.LBB238_53:
	s_and_not1_saveexec_b32 s13, s13
	s_cbranch_execz .LBB238_55
.LBB238_54:
	v_sub_f32_e32 v7, v10, v8
	s_delay_alu instid0(VALU_DEP_1) | instskip(NEXT) | instid1(VALU_DEP_1)
	v_mul_f32_e32 v7, 0.5, v7
	v_mul_f32_e32 v8, 0x4f800000, v7
	v_cmp_gt_f32_e32 vcc_lo, 0xf800000, v7
	s_delay_alu instid0(VALU_DEP_2) | instskip(NEXT) | instid1(VALU_DEP_1)
	v_cndmask_b32_e32 v7, v7, v8, vcc_lo
	v_sqrt_f32_e32 v8, v7
	s_waitcnt_depctr 0xfff
	v_add_nc_u32_e32 v9, -1, v8
	v_add_nc_u32_e32 v10, 1, v8
	s_delay_alu instid0(VALU_DEP_2) | instskip(NEXT) | instid1(VALU_DEP_2)
	v_fma_f32 v11, -v9, v8, v7
	v_fma_f32 v12, -v10, v8, v7
	s_delay_alu instid0(VALU_DEP_2) | instskip(NEXT) | instid1(VALU_DEP_1)
	v_cmp_ge_f32_e64 s2, 0, v11
	v_cndmask_b32_e64 v8, v8, v9, s2
	s_delay_alu instid0(VALU_DEP_3) | instskip(NEXT) | instid1(VALU_DEP_1)
	v_cmp_lt_f32_e64 s2, 0, v12
	v_cndmask_b32_e64 v8, v8, v10, s2
	s_delay_alu instid0(VALU_DEP_1) | instskip(NEXT) | instid1(VALU_DEP_1)
	v_mul_f32_e32 v9, 0x37800000, v8
	v_cndmask_b32_e32 v8, v8, v9, vcc_lo
	v_cmp_class_f32_e64 vcc_lo, v7, 0x260
	s_delay_alu instid0(VALU_DEP_2) | instskip(NEXT) | instid1(VALU_DEP_1)
	v_dual_cndmask_b32 v8, v8, v7 :: v_dual_and_b32 v7, 0x7fffffff, v6
	v_add_f32_e32 v9, v8, v8
	s_delay_alu instid0(VALU_DEP_1) | instskip(SKIP_1) | instid1(VALU_DEP_2)
	v_div_scale_f32 v10, null, v9, v9, v7
	v_div_scale_f32 v7, vcc_lo, v7, v9, v7
	v_rcp_f32_e32 v11, v10
	s_waitcnt_depctr 0xfff
	v_fma_f32 v12, -v10, v11, 1.0
	s_delay_alu instid0(VALU_DEP_1) | instskip(NEXT) | instid1(VALU_DEP_1)
	v_fmac_f32_e32 v11, v12, v11
	v_mul_f32_e32 v12, v7, v11
	s_delay_alu instid0(VALU_DEP_1) | instskip(NEXT) | instid1(VALU_DEP_1)
	v_fma_f32 v13, -v10, v12, v7
	v_fmac_f32_e32 v12, v13, v11
	s_delay_alu instid0(VALU_DEP_1) | instskip(NEXT) | instid1(VALU_DEP_1)
	v_fma_f32 v7, -v10, v12, v7
	v_div_fmas_f32 v7, v7, v11, v12
	s_delay_alu instid0(VALU_DEP_1)
	v_div_fixup_f32 v7, v7, v9, |v6|
	v_bfi_b32 v9, 0x7fffffff, v8, v6
.LBB238_55:
	s_or_b32 exec_lo, exec_lo, s13
                                        ; implicit-def: $vgpr6
                                        ; implicit-def: $vgpr8
	s_and_saveexec_b32 s2, s1
	s_delay_alu instid0(SALU_CYCLE_1)
	s_xor_b32 s1, exec_lo, s2
	s_cbranch_execz .LBB238_57
; %bb.56:
	v_mul_f32_e32 v6, 0.5, v7
	v_mul_f32_e32 v10, 0.5, v9
	s_delay_alu instid0(VALU_DEP_2) | instskip(NEXT) | instid1(VALU_DEP_2)
	v_cndmask_b32_e64 v8, v7, v6, s12
	v_cndmask_b32_e64 v6, v9, v10, s12
                                        ; implicit-def: $vgpr7
                                        ; implicit-def: $vgpr9
	s_and_not1_saveexec_b32 s1, s1
	s_cbranch_execnz .LBB238_58
	s_branch .LBB238_59
.LBB238_57:
	s_and_not1_saveexec_b32 s1, s1
.LBB238_58:
	v_add_f32_e32 v8, v7, v7
	v_add_f32_e32 v6, v9, v9
.LBB238_59:
	s_or_b32 exec_lo, exec_lo, s1
                                        ; implicit-def: $vgpr7
.LBB238_60:
	s_and_not1_saveexec_b32 s1, s11
	s_cbranch_execz .LBB238_66
; %bb.61:
	v_cmp_lt_i16_e32 vcc_lo, -1, v7
	v_sub_f32_e32 v7, v6, v6
	s_and_saveexec_b32 s2, vcc_lo
	s_delay_alu instid0(SALU_CYCLE_1)
	s_xor_b32 s2, exec_lo, s2
; %bb.62:
	s_delay_alu instid0(VALU_DEP_1)
	v_bfi_b32 v6, 0x7fffffff, v7, v6
                                        ; implicit-def: $vgpr7
; %bb.63:
	s_and_not1_saveexec_b32 s2, s2
; %bb.64:
	v_and_b32_e32 v7, 0x7fffffff, v7
	s_delay_alu instid0(VALU_DEP_2) | instskip(NEXT) | instid1(VALU_DEP_2)
	v_bfi_b32 v6, 0x7fffffff, v8, v6
	v_mov_b32_e32 v8, v7
; %bb.65:
	s_or_b32 exec_lo, exec_lo, s2
.LBB238_66:
	s_delay_alu instid0(SALU_CYCLE_1)
	s_or_b32 exec_lo, exec_lo, s1
.LBB238_67:
	s_and_not1_saveexec_b32 s1, s10
; %bb.68:
	v_sub_f32_e32 v6, v6, v6
	s_delay_alu instid0(VALU_DEP_1) | instskip(NEXT) | instid1(VALU_DEP_1)
	v_div_scale_f32 v7, vcc_lo, v6, v6, v6
	v_rcp_f32_e32 v9, v7
	s_waitcnt_depctr 0xfff
	v_fma_f32 v10, -v7, v9, 1.0
	s_delay_alu instid0(VALU_DEP_1) | instskip(NEXT) | instid1(VALU_DEP_1)
	v_fmac_f32_e32 v9, v10, v9
	v_mul_f32_e32 v10, v7, v9
	s_delay_alu instid0(VALU_DEP_1) | instskip(NEXT) | instid1(VALU_DEP_1)
	v_fma_f32 v11, -v7, v10, v7
	v_fmac_f32_e32 v10, v11, v9
	s_delay_alu instid0(VALU_DEP_1) | instskip(NEXT) | instid1(VALU_DEP_1)
	v_fma_f32 v7, -v7, v10, v7
	v_div_fmas_f32 v7, v7, v9, v10
	s_delay_alu instid0(VALU_DEP_1)
	v_div_fixup_f32 v6, v7, v6, v6
; %bb.69:
	s_or_b32 exec_lo, exec_lo, s1
.LBB238_70:
	s_delay_alu instid0(SALU_CYCLE_1)
	s_or_b32 exec_lo, exec_lo, s9
.LBB238_71:
	s_delay_alu instid0(SALU_CYCLE_1) | instskip(NEXT) | instid1(VALU_DEP_1)
	s_or_b32 exec_lo, exec_lo, s7
	v_cvt_f16_f32_e32 v6, v6
	v_cvt_f16_f32_e32 v7, v8
	s_delay_alu instid0(VALU_DEP_2) | instskip(NEXT) | instid1(VALU_DEP_2)
	v_lshlrev_b32_e32 v6, 16, v6
	v_and_b32_e32 v7, 0xffff, v7
	s_delay_alu instid0(VALU_DEP_1)
	v_or_b32_e32 v6, v6, v7
.LBB238_72:
	s_or_b32 exec_lo, exec_lo, s6
	s_waitcnt vmcnt(0)
	v_or_b32_e32 v7, 0x200, v0
	s_delay_alu instid0(VALU_DEP_1)
	v_cmp_gt_i32_e32 vcc_lo, s8, v7
                                        ; implicit-def: $vgpr7
	s_and_saveexec_b32 s6, vcc_lo
	s_cbranch_execz .LBB238_104
; %bb.73:
	v_lshrrev_b32_e32 v7, 16, v5
	v_cmp_neq_f16_e32 vcc_lo, 0, v5
	v_mov_b32_e32 v8, 0
	s_delay_alu instid0(VALU_DEP_3) | instskip(SKIP_1) | instid1(VALU_DEP_2)
	v_cmp_neq_f16_e64 s1, 0, v7
	v_cvt_f32_f16_e32 v7, v7
	s_or_b32 s1, vcc_lo, s1
	s_delay_alu instid0(SALU_CYCLE_1)
	s_and_saveexec_b32 s7, s1
	s_cbranch_execz .LBB238_103
; %bb.74:
	v_mov_b32_e32 v8, 0x7f800000
	s_mov_b32 s9, exec_lo
	v_cmpx_neq_f32_e64 0x7f800000, |v7|
	s_cbranch_execz .LBB238_102
; %bb.75:
	v_cvt_f32_f16_e32 v8, v5
	s_mov_b32 s1, exec_lo
	v_cmpx_o_f16_e32 v5, v5
	s_xor_b32 s10, exec_lo, s1
	s_cbranch_execz .LBB238_99
; %bb.76:
	s_mov_b32 s2, exec_lo
	v_cmpx_neq_f32_e64 0x7f800000, |v8|
	s_xor_b32 s11, exec_lo, s2
	s_cbranch_execz .LBB238_92
; %bb.77:
	v_max_f32_e64 v5, |v7|, |v7|
	v_max_f32_e64 v9, |v8|, |v8|
                                        ; implicit-def: $sgpr12
	s_delay_alu instid0(VALU_DEP_1) | instskip(NEXT) | instid1(VALU_DEP_1)
	v_max_f32_e32 v5, v9, v5
	v_cmp_nle_f32_e64 s1, 0x7ed413cb, v5
	s_delay_alu instid0(VALU_DEP_1) | instskip(NEXT) | instid1(SALU_CYCLE_1)
	s_and_saveexec_b32 s2, s1
	s_xor_b32 s2, exec_lo, s2
	s_cbranch_execz .LBB238_81
; %bb.78:
	v_cmp_ge_f32_e64 s12, 0x1000000, |v8|
	v_cmp_ge_f32_e64 s13, 0x1000000, |v7|
	s_delay_alu instid0(VALU_DEP_1)
	s_and_b32 s14, s12, s13
	s_mov_b32 s12, 0
	s_and_saveexec_b32 s13, s14
; %bb.79:
	v_dual_mul_f32 v8, 4.0, v8 :: v_dual_mul_f32 v7, 4.0, v7
	s_mov_b32 s12, exec_lo
; %bb.80:
	s_or_b32 exec_lo, exec_lo, s13
	s_delay_alu instid0(SALU_CYCLE_1)
	s_and_b32 s12, s12, exec_lo
.LBB238_81:
	s_and_not1_saveexec_b32 s2, s2
; %bb.82:
	v_dual_mul_f32 v8, 0x3e800000, v8 :: v_dual_mul_f32 v7, 0x3e800000, v7
	s_and_not1_b32 s12, s12, exec_lo
; %bb.83:
	s_or_b32 exec_lo, exec_lo, s2
	s_delay_alu instid0(VALU_DEP_1) | instskip(NEXT) | instid1(VALU_DEP_2)
	v_max_f32_e64 v5, |v7|, |v7|
	v_max_f32_e64 v9, |v8|, |v8|
	s_delay_alu instid0(VALU_DEP_1) | instskip(NEXT) | instid1(VALU_DEP_1)
	v_max_f32_e32 v5, v9, v5
	v_cvt_f64_f32_e32 v[9:10], v5
	v_cmp_neq_f32_e64 s2, 0x7f800000, v5
                                        ; implicit-def: $vgpr5
	s_delay_alu instid0(VALU_DEP_2) | instskip(NEXT) | instid1(VALU_DEP_1)
	v_frexp_exp_i32_f64_e32 v9, v[9:10]
	v_sub_nc_u32_e32 v10, 0, v9
	s_delay_alu instid0(VALU_DEP_1) | instskip(SKIP_1) | instid1(VALU_DEP_2)
	v_ldexp_f32 v11, |v7|, v10
	v_ldexp_f32 v10, |v8|, v10
	v_mul_f32_e32 v11, v11, v11
	s_delay_alu instid0(VALU_DEP_1) | instskip(NEXT) | instid1(VALU_DEP_1)
	v_fmac_f32_e32 v11, v10, v10
	v_sqrt_f32_e32 v10, v11
	s_waitcnt_depctr 0xfff
	v_ldexp_f32 v9, v10, v9
	s_delay_alu instid0(VALU_DEP_1)
	v_cndmask_b32_e64 v10, 0x7f800000, v9, s2
                                        ; implicit-def: $vgpr9
	s_mov_b32 s2, exec_lo
	v_cmpx_le_f32_e32 0, v8
	s_xor_b32 s13, exec_lo, s2
	s_cbranch_execz .LBB238_85
; %bb.84:
	v_add_f32_e32 v5, v8, v10
	s_delay_alu instid0(VALU_DEP_1) | instskip(NEXT) | instid1(VALU_DEP_1)
	v_mul_f32_e32 v5, 0.5, v5
	v_mul_f32_e32 v8, 0x4f800000, v5
	v_cmp_gt_f32_e32 vcc_lo, 0xf800000, v5
	s_delay_alu instid0(VALU_DEP_2) | instskip(NEXT) | instid1(VALU_DEP_1)
	v_cndmask_b32_e32 v5, v5, v8, vcc_lo
	v_sqrt_f32_e32 v8, v5
	s_waitcnt_depctr 0xfff
	v_add_nc_u32_e32 v9, -1, v8
	v_add_nc_u32_e32 v10, 1, v8
	s_delay_alu instid0(VALU_DEP_2) | instskip(NEXT) | instid1(VALU_DEP_2)
	v_fma_f32 v11, -v9, v8, v5
	v_fma_f32 v12, -v10, v8, v5
	s_delay_alu instid0(VALU_DEP_2) | instskip(NEXT) | instid1(VALU_DEP_1)
	v_cmp_ge_f32_e64 s2, 0, v11
	v_cndmask_b32_e64 v8, v8, v9, s2
	s_delay_alu instid0(VALU_DEP_3) | instskip(NEXT) | instid1(VALU_DEP_1)
	v_cmp_lt_f32_e64 s2, 0, v12
	v_cndmask_b32_e64 v8, v8, v10, s2
	s_delay_alu instid0(VALU_DEP_1) | instskip(NEXT) | instid1(VALU_DEP_1)
	v_mul_f32_e32 v9, 0x37800000, v8
	v_cndmask_b32_e32 v8, v8, v9, vcc_lo
	v_cmp_class_f32_e64 vcc_lo, v5, 0x260
	s_delay_alu instid0(VALU_DEP_2) | instskip(NEXT) | instid1(VALU_DEP_1)
	v_cndmask_b32_e32 v5, v8, v5, vcc_lo
	v_add_f32_e32 v8, v5, v5
	s_delay_alu instid0(VALU_DEP_1) | instskip(NEXT) | instid1(VALU_DEP_1)
	v_div_scale_f32 v9, null, v8, v8, v7
	v_rcp_f32_e32 v10, v9
	s_waitcnt_depctr 0xfff
	v_fma_f32 v11, -v9, v10, 1.0
	s_delay_alu instid0(VALU_DEP_1) | instskip(SKIP_1) | instid1(VALU_DEP_1)
	v_fmac_f32_e32 v10, v11, v10
	v_div_scale_f32 v11, vcc_lo, v7, v8, v7
	v_mul_f32_e32 v12, v11, v10
	s_delay_alu instid0(VALU_DEP_1) | instskip(NEXT) | instid1(VALU_DEP_1)
	v_fma_f32 v13, -v9, v12, v11
	v_fmac_f32_e32 v12, v13, v10
	s_delay_alu instid0(VALU_DEP_1) | instskip(NEXT) | instid1(VALU_DEP_1)
	v_fma_f32 v9, -v9, v12, v11
	v_div_fmas_f32 v9, v9, v10, v12
                                        ; implicit-def: $vgpr10
	s_delay_alu instid0(VALU_DEP_1)
	v_div_fixup_f32 v9, v9, v8, v7
                                        ; implicit-def: $vgpr8
                                        ; implicit-def: $vgpr7
	s_and_not1_saveexec_b32 s13, s13
	s_cbranch_execz .LBB238_87
	s_branch .LBB238_86
.LBB238_85:
	s_and_not1_saveexec_b32 s13, s13
	s_cbranch_execz .LBB238_87
.LBB238_86:
	v_sub_f32_e32 v5, v10, v8
	s_delay_alu instid0(VALU_DEP_1) | instskip(NEXT) | instid1(VALU_DEP_1)
	v_mul_f32_e32 v5, 0.5, v5
	v_mul_f32_e32 v8, 0x4f800000, v5
	v_cmp_gt_f32_e32 vcc_lo, 0xf800000, v5
	s_delay_alu instid0(VALU_DEP_2) | instskip(NEXT) | instid1(VALU_DEP_1)
	v_cndmask_b32_e32 v5, v5, v8, vcc_lo
	v_sqrt_f32_e32 v8, v5
	s_waitcnt_depctr 0xfff
	v_add_nc_u32_e32 v9, -1, v8
	v_add_nc_u32_e32 v10, 1, v8
	s_delay_alu instid0(VALU_DEP_2) | instskip(NEXT) | instid1(VALU_DEP_2)
	v_fma_f32 v11, -v9, v8, v5
	v_fma_f32 v12, -v10, v8, v5
	s_delay_alu instid0(VALU_DEP_2) | instskip(NEXT) | instid1(VALU_DEP_1)
	v_cmp_ge_f32_e64 s2, 0, v11
	v_cndmask_b32_e64 v8, v8, v9, s2
	s_delay_alu instid0(VALU_DEP_3) | instskip(NEXT) | instid1(VALU_DEP_1)
	v_cmp_lt_f32_e64 s2, 0, v12
	v_cndmask_b32_e64 v8, v8, v10, s2
	s_delay_alu instid0(VALU_DEP_1) | instskip(NEXT) | instid1(VALU_DEP_1)
	v_mul_f32_e32 v9, 0x37800000, v8
	v_cndmask_b32_e32 v8, v8, v9, vcc_lo
	v_cmp_class_f32_e64 vcc_lo, v5, 0x260
	s_delay_alu instid0(VALU_DEP_2) | instskip(NEXT) | instid1(VALU_DEP_1)
	v_dual_cndmask_b32 v8, v8, v5 :: v_dual_and_b32 v5, 0x7fffffff, v7
	v_add_f32_e32 v9, v8, v8
	s_delay_alu instid0(VALU_DEP_1) | instskip(SKIP_1) | instid1(VALU_DEP_2)
	v_div_scale_f32 v10, null, v9, v9, v5
	v_div_scale_f32 v5, vcc_lo, v5, v9, v5
	v_rcp_f32_e32 v11, v10
	s_waitcnt_depctr 0xfff
	v_fma_f32 v12, -v10, v11, 1.0
	s_delay_alu instid0(VALU_DEP_1) | instskip(NEXT) | instid1(VALU_DEP_1)
	v_fmac_f32_e32 v11, v12, v11
	v_mul_f32_e32 v12, v5, v11
	s_delay_alu instid0(VALU_DEP_1) | instskip(NEXT) | instid1(VALU_DEP_1)
	v_fma_f32 v13, -v10, v12, v5
	v_fmac_f32_e32 v12, v13, v11
	s_delay_alu instid0(VALU_DEP_1) | instskip(NEXT) | instid1(VALU_DEP_1)
	v_fma_f32 v5, -v10, v12, v5
	v_div_fmas_f32 v5, v5, v11, v12
	s_delay_alu instid0(VALU_DEP_1)
	v_div_fixup_f32 v5, v5, v9, |v7|
	v_bfi_b32 v9, 0x7fffffff, v8, v7
.LBB238_87:
	s_or_b32 exec_lo, exec_lo, s13
                                        ; implicit-def: $vgpr7
                                        ; implicit-def: $vgpr8
	s_and_saveexec_b32 s2, s1
	s_delay_alu instid0(SALU_CYCLE_1)
	s_xor_b32 s1, exec_lo, s2
	s_cbranch_execz .LBB238_89
; %bb.88:
	v_mul_f32_e32 v7, 0.5, v5
	v_mul_f32_e32 v10, 0.5, v9
	s_delay_alu instid0(VALU_DEP_2) | instskip(NEXT) | instid1(VALU_DEP_2)
	v_cndmask_b32_e64 v8, v5, v7, s12
	v_cndmask_b32_e64 v7, v9, v10, s12
                                        ; implicit-def: $vgpr5
                                        ; implicit-def: $vgpr9
	s_and_not1_saveexec_b32 s1, s1
	s_cbranch_execnz .LBB238_90
	s_branch .LBB238_91
.LBB238_89:
	s_and_not1_saveexec_b32 s1, s1
.LBB238_90:
	v_add_f32_e32 v8, v5, v5
	v_add_f32_e32 v7, v9, v9
.LBB238_91:
	s_or_b32 exec_lo, exec_lo, s1
                                        ; implicit-def: $vgpr5
.LBB238_92:
	s_and_not1_saveexec_b32 s1, s11
	s_cbranch_execz .LBB238_98
; %bb.93:
	v_cmp_lt_i16_e32 vcc_lo, -1, v5
	v_sub_f32_e32 v5, v7, v7
	s_and_saveexec_b32 s2, vcc_lo
	s_delay_alu instid0(SALU_CYCLE_1)
	s_xor_b32 s2, exec_lo, s2
; %bb.94:
	s_delay_alu instid0(VALU_DEP_1)
	v_bfi_b32 v7, 0x7fffffff, v5, v7
                                        ; implicit-def: $vgpr5
; %bb.95:
	s_and_not1_saveexec_b32 s2, s2
; %bb.96:
	v_and_b32_e32 v5, 0x7fffffff, v5
	s_delay_alu instid0(VALU_DEP_2) | instskip(NEXT) | instid1(VALU_DEP_2)
	v_bfi_b32 v7, 0x7fffffff, v8, v7
	v_mov_b32_e32 v8, v5
; %bb.97:
	s_or_b32 exec_lo, exec_lo, s2
.LBB238_98:
	s_delay_alu instid0(SALU_CYCLE_1)
	s_or_b32 exec_lo, exec_lo, s1
.LBB238_99:
	s_and_not1_saveexec_b32 s1, s10
; %bb.100:
	v_sub_f32_e32 v5, v7, v7
	s_delay_alu instid0(VALU_DEP_1) | instskip(NEXT) | instid1(VALU_DEP_1)
	v_div_scale_f32 v7, vcc_lo, v5, v5, v5
	v_rcp_f32_e32 v9, v7
	s_waitcnt_depctr 0xfff
	v_fma_f32 v10, -v7, v9, 1.0
	s_delay_alu instid0(VALU_DEP_1) | instskip(NEXT) | instid1(VALU_DEP_1)
	v_fmac_f32_e32 v9, v10, v9
	v_mul_f32_e32 v10, v7, v9
	s_delay_alu instid0(VALU_DEP_1) | instskip(NEXT) | instid1(VALU_DEP_1)
	v_fma_f32 v11, -v7, v10, v7
	v_fmac_f32_e32 v10, v11, v9
	s_delay_alu instid0(VALU_DEP_1) | instskip(NEXT) | instid1(VALU_DEP_1)
	v_fma_f32 v7, -v7, v10, v7
	v_div_fmas_f32 v7, v7, v9, v10
	s_delay_alu instid0(VALU_DEP_1)
	v_div_fixup_f32 v7, v7, v5, v5
; %bb.101:
	s_or_b32 exec_lo, exec_lo, s1
.LBB238_102:
	s_delay_alu instid0(SALU_CYCLE_1)
	s_or_b32 exec_lo, exec_lo, s9
.LBB238_103:
	s_delay_alu instid0(SALU_CYCLE_1) | instskip(NEXT) | instid1(VALU_DEP_1)
	s_or_b32 exec_lo, exec_lo, s7
	v_cvt_f16_f32_e32 v5, v7
	v_cvt_f16_f32_e32 v7, v8
	s_delay_alu instid0(VALU_DEP_2) | instskip(NEXT) | instid1(VALU_DEP_2)
	v_lshlrev_b32_e32 v5, 16, v5
	v_and_b32_e32 v7, 0xffff, v7
	s_delay_alu instid0(VALU_DEP_1)
	v_or_b32_e32 v7, v5, v7
.LBB238_104:
	s_or_b32 exec_lo, exec_lo, s6
	v_or_b32_e32 v5, 0x300, v0
	s_delay_alu instid0(VALU_DEP_1)
	v_cmp_gt_i32_e32 vcc_lo, s8, v5
                                        ; implicit-def: $vgpr5
	s_and_saveexec_b32 s6, vcc_lo
	s_cbranch_execz .LBB238_117
; %bb.105:
	v_lshrrev_b32_e32 v5, 16, v2
	v_cmp_neq_f16_e32 vcc_lo, 0, v2
	v_mov_b32_e32 v8, 0
	s_delay_alu instid0(VALU_DEP_3) | instskip(SKIP_1) | instid1(VALU_DEP_2)
	v_cmp_neq_f16_e64 s1, 0, v5
	v_cvt_f32_f16_e32 v5, v5
	s_or_b32 s1, vcc_lo, s1
	s_delay_alu instid0(SALU_CYCLE_1)
	s_and_saveexec_b32 s7, s1
	s_cbranch_execz .LBB238_140
; %bb.106:
	v_mov_b32_e32 v8, 0x7f800000
	s_mov_b32 s9, exec_lo
	v_cmpx_neq_f32_e64 0x7f800000, |v5|
	s_cbranch_execz .LBB238_139
; %bb.107:
	v_cvt_f32_f16_e32 v8, v2
	s_mov_b32 s1, exec_lo
	v_cmpx_o_f16_e32 v2, v2
	s_xor_b32 s10, exec_lo, s1
	s_cbranch_execz .LBB238_136
; %bb.108:
	s_mov_b32 s2, exec_lo
	v_cmpx_neq_f32_e64 0x7f800000, |v8|
	s_xor_b32 s11, exec_lo, s2
	s_cbranch_execz .LBB238_129
; %bb.109:
	v_max_f32_e64 v2, |v5|, |v5|
	v_max_f32_e64 v9, |v8|, |v8|
                                        ; implicit-def: $sgpr12
	s_delay_alu instid0(VALU_DEP_1) | instskip(NEXT) | instid1(VALU_DEP_1)
	v_max_f32_e32 v2, v9, v2
	v_cmp_nle_f32_e64 s1, 0x7ed413cb, v2
	s_delay_alu instid0(VALU_DEP_1) | instskip(NEXT) | instid1(SALU_CYCLE_1)
	s_and_saveexec_b32 s2, s1
	s_xor_b32 s2, exec_lo, s2
	s_cbranch_execz .LBB238_113
; %bb.110:
	v_cmp_ge_f32_e64 s12, 0x1000000, |v8|
	v_cmp_ge_f32_e64 s13, 0x1000000, |v5|
	s_delay_alu instid0(VALU_DEP_1)
	s_and_b32 s14, s12, s13
	s_mov_b32 s12, 0
	s_and_saveexec_b32 s13, s14
; %bb.111:
	v_dual_mul_f32 v8, 4.0, v8 :: v_dual_mul_f32 v5, 4.0, v5
	s_mov_b32 s12, exec_lo
; %bb.112:
	s_or_b32 exec_lo, exec_lo, s13
	s_delay_alu instid0(SALU_CYCLE_1)
	s_and_b32 s12, s12, exec_lo
.LBB238_113:
	s_and_not1_saveexec_b32 s2, s2
; %bb.114:
	v_dual_mul_f32 v8, 0x3e800000, v8 :: v_dual_mul_f32 v5, 0x3e800000, v5
	s_and_not1_b32 s12, s12, exec_lo
; %bb.115:
	s_or_b32 exec_lo, exec_lo, s2
	s_delay_alu instid0(VALU_DEP_1) | instskip(NEXT) | instid1(VALU_DEP_2)
	v_max_f32_e64 v2, |v5|, |v5|
	v_max_f32_e64 v9, |v8|, |v8|
	s_delay_alu instid0(VALU_DEP_1) | instskip(NEXT) | instid1(VALU_DEP_1)
	v_max_f32_e32 v2, v9, v2
	v_cvt_f64_f32_e32 v[9:10], v2
	s_delay_alu instid0(VALU_DEP_1) | instskip(NEXT) | instid1(VALU_DEP_1)
	v_frexp_exp_i32_f64_e32 v9, v[9:10]
	v_sub_nc_u32_e32 v10, 0, v9
	s_delay_alu instid0(VALU_DEP_1) | instskip(SKIP_1) | instid1(VALU_DEP_2)
	v_ldexp_f32 v11, |v5|, v10
	v_ldexp_f32 v10, |v8|, v10
	v_mul_f32_e32 v11, v11, v11
	v_cmp_neq_f32_e64 s2, 0x7f800000, v2
                                        ; implicit-def: $vgpr2
	s_delay_alu instid0(VALU_DEP_2) | instskip(NEXT) | instid1(VALU_DEP_1)
	v_fmac_f32_e32 v11, v10, v10
	v_sqrt_f32_e32 v10, v11
	s_waitcnt_depctr 0xfff
	v_ldexp_f32 v9, v10, v9
	s_delay_alu instid0(VALU_DEP_1)
	v_cndmask_b32_e64 v10, 0x7f800000, v9, s2
                                        ; implicit-def: $vgpr9
	s_mov_b32 s2, exec_lo
	v_cmpx_le_f32_e32 0, v8
	s_xor_b32 s13, exec_lo, s2
	s_cbranch_execz .LBB238_122
; %bb.116:
	v_add_f32_e32 v2, v8, v10
	s_delay_alu instid0(VALU_DEP_1) | instskip(NEXT) | instid1(VALU_DEP_1)
	v_mul_f32_e32 v2, 0.5, v2
	v_mul_f32_e32 v8, 0x4f800000, v2
	v_cmp_gt_f32_e32 vcc_lo, 0xf800000, v2
	s_delay_alu instid0(VALU_DEP_2) | instskip(NEXT) | instid1(VALU_DEP_1)
	v_cndmask_b32_e32 v2, v2, v8, vcc_lo
	v_sqrt_f32_e32 v8, v2
	s_waitcnt_depctr 0xfff
	v_add_nc_u32_e32 v9, -1, v8
	v_add_nc_u32_e32 v10, 1, v8
	s_delay_alu instid0(VALU_DEP_2) | instskip(NEXT) | instid1(VALU_DEP_2)
	v_fma_f32 v11, -v9, v8, v2
	v_fma_f32 v12, -v10, v8, v2
	s_delay_alu instid0(VALU_DEP_2) | instskip(NEXT) | instid1(VALU_DEP_1)
	v_cmp_ge_f32_e64 s2, 0, v11
	v_cndmask_b32_e64 v8, v8, v9, s2
	s_delay_alu instid0(VALU_DEP_3) | instskip(NEXT) | instid1(VALU_DEP_1)
	v_cmp_lt_f32_e64 s2, 0, v12
	v_cndmask_b32_e64 v8, v8, v10, s2
	s_delay_alu instid0(VALU_DEP_1) | instskip(NEXT) | instid1(VALU_DEP_1)
	v_mul_f32_e32 v9, 0x37800000, v8
	v_cndmask_b32_e32 v8, v8, v9, vcc_lo
	v_cmp_class_f32_e64 vcc_lo, v2, 0x260
	s_delay_alu instid0(VALU_DEP_2) | instskip(NEXT) | instid1(VALU_DEP_1)
	v_cndmask_b32_e32 v2, v8, v2, vcc_lo
	v_add_f32_e32 v8, v2, v2
	s_delay_alu instid0(VALU_DEP_1) | instskip(NEXT) | instid1(VALU_DEP_1)
	v_div_scale_f32 v9, null, v8, v8, v5
	v_rcp_f32_e32 v10, v9
	s_waitcnt_depctr 0xfff
	v_fma_f32 v11, -v9, v10, 1.0
	s_delay_alu instid0(VALU_DEP_1) | instskip(SKIP_1) | instid1(VALU_DEP_1)
	v_fmac_f32_e32 v10, v11, v10
	v_div_scale_f32 v11, vcc_lo, v5, v8, v5
	v_mul_f32_e32 v12, v11, v10
	s_delay_alu instid0(VALU_DEP_1) | instskip(NEXT) | instid1(VALU_DEP_1)
	v_fma_f32 v13, -v9, v12, v11
	v_fmac_f32_e32 v12, v13, v10
	s_delay_alu instid0(VALU_DEP_1) | instskip(NEXT) | instid1(VALU_DEP_1)
	v_fma_f32 v9, -v9, v12, v11
	v_div_fmas_f32 v9, v9, v10, v12
                                        ; implicit-def: $vgpr10
	s_delay_alu instid0(VALU_DEP_1)
	v_div_fixup_f32 v9, v9, v8, v5
                                        ; implicit-def: $vgpr8
                                        ; implicit-def: $vgpr5
	s_and_not1_saveexec_b32 s13, s13
	s_cbranch_execz .LBB238_124
	s_branch .LBB238_123
.LBB238_117:
	s_or_b32 exec_lo, exec_lo, s6
	s_and_saveexec_b32 s1, s0
	s_delay_alu instid0(SALU_CYCLE_1)
	s_xor_b32 s0, exec_lo, s1
	s_cbranch_execz .LBB238_141
.LBB238_118:
	v_mov_b32_e32 v2, 0
	s_delay_alu instid0(VALU_DEP_1) | instskip(NEXT) | instid1(VALU_DEP_1)
	v_lshlrev_b64 v[0:1], 2, v[1:2]
	v_add_co_u32 v8, vcc_lo, s4, v0
	s_delay_alu instid0(VALU_DEP_2) | instskip(SKIP_3) | instid1(SALU_CYCLE_1)
	v_add_co_ci_u32_e32 v9, vcc_lo, s5, v1, vcc_lo
	v_mov_b32_e32 v0, v3
	global_store_b32 v[8:9], v4, off
	s_or_b32 exec_lo, exec_lo, s0
	s_mov_b32 s0, exec_lo
	v_cmpx_gt_i32_e64 s8, v0
	s_cbranch_execnz .LBB238_142
.LBB238_119:
	s_or_b32 exec_lo, exec_lo, s0
	s_delay_alu instid0(SALU_CYCLE_1)
	s_mov_b32 s0, exec_lo
	v_cmpx_gt_i32_e64 s8, v0
	s_cbranch_execz .LBB238_143
.LBB238_120:
	v_dual_mov_b32 v2, 0 :: v_dual_add_nc_u32 v1, s3, v0
	v_add_nc_u32_e32 v0, 0x100, v0
	s_delay_alu instid0(VALU_DEP_2) | instskip(NEXT) | instid1(VALU_DEP_1)
	v_lshlrev_b64 v[1:2], 2, v[1:2]
	v_add_co_u32 v1, vcc_lo, s4, v1
	s_delay_alu instid0(VALU_DEP_2) | instskip(SKIP_2) | instid1(SALU_CYCLE_1)
	v_add_co_ci_u32_e32 v2, vcc_lo, s5, v2, vcc_lo
	global_store_b32 v[1:2], v7, off
	s_or_b32 exec_lo, exec_lo, s0
	s_mov_b32 s0, exec_lo
	v_cmpx_gt_i32_e64 s8, v0
	s_cbranch_execnz .LBB238_144
.LBB238_121:
	s_nop 0
	s_sendmsg sendmsg(MSG_DEALLOC_VGPRS)
	s_endpgm
.LBB238_122:
	s_and_not1_saveexec_b32 s13, s13
	s_cbranch_execz .LBB238_124
.LBB238_123:
	v_sub_f32_e32 v2, v10, v8
	s_delay_alu instid0(VALU_DEP_1) | instskip(NEXT) | instid1(VALU_DEP_1)
	v_mul_f32_e32 v2, 0.5, v2
	v_mul_f32_e32 v8, 0x4f800000, v2
	v_cmp_gt_f32_e32 vcc_lo, 0xf800000, v2
	s_delay_alu instid0(VALU_DEP_2) | instskip(NEXT) | instid1(VALU_DEP_1)
	v_cndmask_b32_e32 v2, v2, v8, vcc_lo
	v_sqrt_f32_e32 v8, v2
	s_waitcnt_depctr 0xfff
	v_add_nc_u32_e32 v9, -1, v8
	v_add_nc_u32_e32 v10, 1, v8
	s_delay_alu instid0(VALU_DEP_2) | instskip(NEXT) | instid1(VALU_DEP_2)
	v_fma_f32 v11, -v9, v8, v2
	v_fma_f32 v12, -v10, v8, v2
	s_delay_alu instid0(VALU_DEP_2) | instskip(NEXT) | instid1(VALU_DEP_1)
	v_cmp_ge_f32_e64 s2, 0, v11
	v_cndmask_b32_e64 v8, v8, v9, s2
	s_delay_alu instid0(VALU_DEP_3) | instskip(NEXT) | instid1(VALU_DEP_1)
	v_cmp_lt_f32_e64 s2, 0, v12
	v_cndmask_b32_e64 v8, v8, v10, s2
	s_delay_alu instid0(VALU_DEP_1) | instskip(NEXT) | instid1(VALU_DEP_1)
	v_mul_f32_e32 v9, 0x37800000, v8
	v_cndmask_b32_e32 v8, v8, v9, vcc_lo
	v_cmp_class_f32_e64 vcc_lo, v2, 0x260
	s_delay_alu instid0(VALU_DEP_2) | instskip(NEXT) | instid1(VALU_DEP_1)
	v_cndmask_b32_e32 v8, v8, v2, vcc_lo
	v_dual_add_f32 v9, v8, v8 :: v_dual_and_b32 v2, 0x7fffffff, v5
	s_delay_alu instid0(VALU_DEP_1) | instskip(SKIP_1) | instid1(VALU_DEP_2)
	v_div_scale_f32 v10, null, v9, v9, v2
	v_div_scale_f32 v2, vcc_lo, v2, v9, v2
	v_rcp_f32_e32 v11, v10
	s_waitcnt_depctr 0xfff
	v_fma_f32 v12, -v10, v11, 1.0
	s_delay_alu instid0(VALU_DEP_1) | instskip(NEXT) | instid1(VALU_DEP_1)
	v_fmac_f32_e32 v11, v12, v11
	v_mul_f32_e32 v12, v2, v11
	s_delay_alu instid0(VALU_DEP_1) | instskip(NEXT) | instid1(VALU_DEP_1)
	v_fma_f32 v13, -v10, v12, v2
	v_fmac_f32_e32 v12, v13, v11
	s_delay_alu instid0(VALU_DEP_1) | instskip(NEXT) | instid1(VALU_DEP_1)
	v_fma_f32 v2, -v10, v12, v2
	v_div_fmas_f32 v2, v2, v11, v12
	s_delay_alu instid0(VALU_DEP_1)
	v_div_fixup_f32 v2, v2, v9, |v5|
	v_bfi_b32 v9, 0x7fffffff, v8, v5
.LBB238_124:
	s_or_b32 exec_lo, exec_lo, s13
                                        ; implicit-def: $vgpr5
                                        ; implicit-def: $vgpr8
	s_and_saveexec_b32 s2, s1
	s_delay_alu instid0(SALU_CYCLE_1)
	s_xor_b32 s1, exec_lo, s2
	s_cbranch_execz .LBB238_126
; %bb.125:
	v_dual_mul_f32 v5, 0.5, v2 :: v_dual_mul_f32 v10, 0.5, v9
	s_delay_alu instid0(VALU_DEP_1) | instskip(NEXT) | instid1(VALU_DEP_2)
	v_cndmask_b32_e64 v8, v2, v5, s12
	v_cndmask_b32_e64 v5, v9, v10, s12
                                        ; implicit-def: $vgpr2
                                        ; implicit-def: $vgpr9
	s_and_not1_saveexec_b32 s1, s1
	s_cbranch_execnz .LBB238_127
	s_branch .LBB238_128
.LBB238_126:
	s_and_not1_saveexec_b32 s1, s1
.LBB238_127:
	v_dual_add_f32 v8, v2, v2 :: v_dual_add_f32 v5, v9, v9
.LBB238_128:
	s_or_b32 exec_lo, exec_lo, s1
                                        ; implicit-def: $vgpr2
.LBB238_129:
	s_and_not1_saveexec_b32 s1, s11
	s_cbranch_execz .LBB238_135
; %bb.130:
	v_cmp_lt_i16_e32 vcc_lo, -1, v2
	v_sub_f32_e32 v2, v5, v5
	s_and_saveexec_b32 s2, vcc_lo
	s_delay_alu instid0(SALU_CYCLE_1)
	s_xor_b32 s2, exec_lo, s2
; %bb.131:
	s_delay_alu instid0(VALU_DEP_1)
	v_bfi_b32 v5, 0x7fffffff, v2, v5
                                        ; implicit-def: $vgpr2
; %bb.132:
	s_and_not1_saveexec_b32 s2, s2
; %bb.133:
	v_and_b32_e32 v2, 0x7fffffff, v2
	s_delay_alu instid0(VALU_DEP_2) | instskip(NEXT) | instid1(VALU_DEP_2)
	v_bfi_b32 v5, 0x7fffffff, v8, v5
	v_mov_b32_e32 v8, v2
; %bb.134:
	s_or_b32 exec_lo, exec_lo, s2
.LBB238_135:
	s_delay_alu instid0(SALU_CYCLE_1)
	s_or_b32 exec_lo, exec_lo, s1
.LBB238_136:
	s_and_not1_saveexec_b32 s1, s10
; %bb.137:
	v_sub_f32_e32 v2, v5, v5
	s_delay_alu instid0(VALU_DEP_1) | instskip(NEXT) | instid1(VALU_DEP_1)
	v_div_scale_f32 v5, vcc_lo, v2, v2, v2
	v_rcp_f32_e32 v9, v5
	s_waitcnt_depctr 0xfff
	v_fma_f32 v10, -v5, v9, 1.0
	s_delay_alu instid0(VALU_DEP_1) | instskip(NEXT) | instid1(VALU_DEP_1)
	v_fmac_f32_e32 v9, v10, v9
	v_mul_f32_e32 v10, v5, v9
	s_delay_alu instid0(VALU_DEP_1) | instskip(NEXT) | instid1(VALU_DEP_1)
	v_fma_f32 v11, -v5, v10, v5
	v_fmac_f32_e32 v10, v11, v9
	s_delay_alu instid0(VALU_DEP_1) | instskip(NEXT) | instid1(VALU_DEP_1)
	v_fma_f32 v5, -v5, v10, v5
	v_div_fmas_f32 v5, v5, v9, v10
	s_delay_alu instid0(VALU_DEP_1)
	v_div_fixup_f32 v5, v5, v2, v2
; %bb.138:
	s_or_b32 exec_lo, exec_lo, s1
.LBB238_139:
	s_delay_alu instid0(SALU_CYCLE_1)
	s_or_b32 exec_lo, exec_lo, s9
.LBB238_140:
	s_delay_alu instid0(SALU_CYCLE_1) | instskip(NEXT) | instid1(VALU_DEP_1)
	s_or_b32 exec_lo, exec_lo, s7
	v_cvt_f16_f32_e32 v2, v5
	v_cvt_f16_f32_e32 v5, v8
	s_delay_alu instid0(VALU_DEP_2) | instskip(NEXT) | instid1(VALU_DEP_2)
	v_lshlrev_b32_e32 v2, 16, v2
	v_and_b32_e32 v5, 0xffff, v5
	s_delay_alu instid0(VALU_DEP_1) | instskip(SKIP_2) | instid1(SALU_CYCLE_1)
	v_or_b32_e32 v5, v2, v5
	s_or_b32 exec_lo, exec_lo, s6
	s_and_saveexec_b32 s1, s0
	s_xor_b32 s0, exec_lo, s1
	s_cbranch_execnz .LBB238_118
.LBB238_141:
	s_or_b32 exec_lo, exec_lo, s0
	s_delay_alu instid0(SALU_CYCLE_1)
	s_mov_b32 s0, exec_lo
	v_cmpx_gt_i32_e64 s8, v0
	s_cbranch_execz .LBB238_119
.LBB238_142:
	v_dual_mov_b32 v2, 0 :: v_dual_add_nc_u32 v1, s3, v0
	v_add_nc_u32_e32 v0, 0x100, v0
	s_delay_alu instid0(VALU_DEP_2) | instskip(NEXT) | instid1(VALU_DEP_1)
	v_lshlrev_b64 v[1:2], 2, v[1:2]
	v_add_co_u32 v1, vcc_lo, s4, v1
	s_delay_alu instid0(VALU_DEP_2) | instskip(SKIP_2) | instid1(SALU_CYCLE_1)
	v_add_co_ci_u32_e32 v2, vcc_lo, s5, v2, vcc_lo
	global_store_b32 v[1:2], v6, off
	s_or_b32 exec_lo, exec_lo, s0
	s_mov_b32 s0, exec_lo
	v_cmpx_gt_i32_e64 s8, v0
	s_cbranch_execnz .LBB238_120
.LBB238_143:
	s_or_b32 exec_lo, exec_lo, s0
	s_delay_alu instid0(SALU_CYCLE_1)
	s_mov_b32 s0, exec_lo
	v_cmpx_gt_i32_e64 s8, v0
	s_cbranch_execz .LBB238_121
.LBB238_144:
	v_dual_mov_b32 v1, 0 :: v_dual_add_nc_u32 v0, s3, v0
	s_delay_alu instid0(VALU_DEP_1) | instskip(NEXT) | instid1(VALU_DEP_1)
	v_lshlrev_b64 v[0:1], 2, v[0:1]
	v_add_co_u32 v0, vcc_lo, s4, v0
	s_delay_alu instid0(VALU_DEP_2)
	v_add_co_ci_u32_e32 v1, vcc_lo, s5, v1, vcc_lo
	global_store_b32 v[0:1], v5, off
	s_nop 0
	s_sendmsg sendmsg(MSG_DEALLOC_VGPRS)
	s_endpgm
	.section	.rodata,"a",@progbits
	.p2align	6, 0x0
	.amdhsa_kernel _ZN2at6native27unrolled_elementwise_kernelIZZZNS0_16sqrt_kernel_cudaERNS_18TensorIteratorBaseEENKUlvE_clEvENKUlvE1_clEvEUlN3c107complexINS6_4HalfEEEE_St5arrayIPcLm2EELi4E23TrivialOffsetCalculatorILi1EjESF_NS0_6memory15LoadWithoutCastENSG_16StoreWithoutCastEEEviT_T0_T2_T3_T4_T5_
		.amdhsa_group_segment_fixed_size 0
		.amdhsa_private_segment_fixed_size 0
		.amdhsa_kernarg_size 28
		.amdhsa_user_sgpr_count 15
		.amdhsa_user_sgpr_dispatch_ptr 0
		.amdhsa_user_sgpr_queue_ptr 0
		.amdhsa_user_sgpr_kernarg_segment_ptr 1
		.amdhsa_user_sgpr_dispatch_id 0
		.amdhsa_user_sgpr_private_segment_size 0
		.amdhsa_wavefront_size32 1
		.amdhsa_uses_dynamic_stack 0
		.amdhsa_enable_private_segment 0
		.amdhsa_system_sgpr_workgroup_id_x 1
		.amdhsa_system_sgpr_workgroup_id_y 0
		.amdhsa_system_sgpr_workgroup_id_z 0
		.amdhsa_system_sgpr_workgroup_info 0
		.amdhsa_system_vgpr_workitem_id 0
		.amdhsa_next_free_vgpr 14
		.amdhsa_next_free_sgpr 16
		.amdhsa_reserve_vcc 1
		.amdhsa_float_round_mode_32 0
		.amdhsa_float_round_mode_16_64 0
		.amdhsa_float_denorm_mode_32 3
		.amdhsa_float_denorm_mode_16_64 3
		.amdhsa_dx10_clamp 1
		.amdhsa_ieee_mode 1
		.amdhsa_fp16_overflow 0
		.amdhsa_workgroup_processor_mode 1
		.amdhsa_memory_ordered 1
		.amdhsa_forward_progress 0
		.amdhsa_shared_vgpr_count 0
		.amdhsa_exception_fp_ieee_invalid_op 0
		.amdhsa_exception_fp_denorm_src 0
		.amdhsa_exception_fp_ieee_div_zero 0
		.amdhsa_exception_fp_ieee_overflow 0
		.amdhsa_exception_fp_ieee_underflow 0
		.amdhsa_exception_fp_ieee_inexact 0
		.amdhsa_exception_int_div_zero 0
	.end_amdhsa_kernel
	.section	.text._ZN2at6native27unrolled_elementwise_kernelIZZZNS0_16sqrt_kernel_cudaERNS_18TensorIteratorBaseEENKUlvE_clEvENKUlvE1_clEvEUlN3c107complexINS6_4HalfEEEE_St5arrayIPcLm2EELi4E23TrivialOffsetCalculatorILi1EjESF_NS0_6memory15LoadWithoutCastENSG_16StoreWithoutCastEEEviT_T0_T2_T3_T4_T5_,"axG",@progbits,_ZN2at6native27unrolled_elementwise_kernelIZZZNS0_16sqrt_kernel_cudaERNS_18TensorIteratorBaseEENKUlvE_clEvENKUlvE1_clEvEUlN3c107complexINS6_4HalfEEEE_St5arrayIPcLm2EELi4E23TrivialOffsetCalculatorILi1EjESF_NS0_6memory15LoadWithoutCastENSG_16StoreWithoutCastEEEviT_T0_T2_T3_T4_T5_,comdat
.Lfunc_end238:
	.size	_ZN2at6native27unrolled_elementwise_kernelIZZZNS0_16sqrt_kernel_cudaERNS_18TensorIteratorBaseEENKUlvE_clEvENKUlvE1_clEvEUlN3c107complexINS6_4HalfEEEE_St5arrayIPcLm2EELi4E23TrivialOffsetCalculatorILi1EjESF_NS0_6memory15LoadWithoutCastENSG_16StoreWithoutCastEEEviT_T0_T2_T3_T4_T5_, .Lfunc_end238-_ZN2at6native27unrolled_elementwise_kernelIZZZNS0_16sqrt_kernel_cudaERNS_18TensorIteratorBaseEENKUlvE_clEvENKUlvE1_clEvEUlN3c107complexINS6_4HalfEEEE_St5arrayIPcLm2EELi4E23TrivialOffsetCalculatorILi1EjESF_NS0_6memory15LoadWithoutCastENSG_16StoreWithoutCastEEEviT_T0_T2_T3_T4_T5_
                                        ; -- End function
	.section	.AMDGPU.csdata,"",@progbits
; Kernel info:
; codeLenInByte = 5852
; NumSgprs: 18
; NumVgprs: 14
; ScratchSize: 0
; MemoryBound: 0
; FloatMode: 240
; IeeeMode: 1
; LDSByteSize: 0 bytes/workgroup (compile time only)
; SGPRBlocks: 2
; VGPRBlocks: 1
; NumSGPRsForWavesPerEU: 18
; NumVGPRsForWavesPerEU: 14
; Occupancy: 16
; WaveLimiterHint : 0
; COMPUTE_PGM_RSRC2:SCRATCH_EN: 0
; COMPUTE_PGM_RSRC2:USER_SGPR: 15
; COMPUTE_PGM_RSRC2:TRAP_HANDLER: 0
; COMPUTE_PGM_RSRC2:TGID_X_EN: 1
; COMPUTE_PGM_RSRC2:TGID_Y_EN: 0
; COMPUTE_PGM_RSRC2:TGID_Z_EN: 0
; COMPUTE_PGM_RSRC2:TIDIG_COMP_CNT: 0
	.section	.text._ZN2at6native32elementwise_kernel_manual_unrollILi128ELi4EZNS0_22gpu_kernel_impl_nocastIZZZNS0_16sqrt_kernel_cudaERNS_18TensorIteratorBaseEENKUlvE_clEvENKUlvE1_clEvEUlN3c107complexINS7_4HalfEEEE_EEvS4_RKT_EUlibE_EEviT1_,"axG",@progbits,_ZN2at6native32elementwise_kernel_manual_unrollILi128ELi4EZNS0_22gpu_kernel_impl_nocastIZZZNS0_16sqrt_kernel_cudaERNS_18TensorIteratorBaseEENKUlvE_clEvENKUlvE1_clEvEUlN3c107complexINS7_4HalfEEEE_EEvS4_RKT_EUlibE_EEviT1_,comdat
	.globl	_ZN2at6native32elementwise_kernel_manual_unrollILi128ELi4EZNS0_22gpu_kernel_impl_nocastIZZZNS0_16sqrt_kernel_cudaERNS_18TensorIteratorBaseEENKUlvE_clEvENKUlvE1_clEvEUlN3c107complexINS7_4HalfEEEE_EEvS4_RKT_EUlibE_EEviT1_ ; -- Begin function _ZN2at6native32elementwise_kernel_manual_unrollILi128ELi4EZNS0_22gpu_kernel_impl_nocastIZZZNS0_16sqrt_kernel_cudaERNS_18TensorIteratorBaseEENKUlvE_clEvENKUlvE1_clEvEUlN3c107complexINS7_4HalfEEEE_EEvS4_RKT_EUlibE_EEviT1_
	.p2align	8
	.type	_ZN2at6native32elementwise_kernel_manual_unrollILi128ELi4EZNS0_22gpu_kernel_impl_nocastIZZZNS0_16sqrt_kernel_cudaERNS_18TensorIteratorBaseEENKUlvE_clEvENKUlvE1_clEvEUlN3c107complexINS7_4HalfEEEE_EEvS4_RKT_EUlibE_EEviT1_,@function
_ZN2at6native32elementwise_kernel_manual_unrollILi128ELi4EZNS0_22gpu_kernel_impl_nocastIZZZNS0_16sqrt_kernel_cudaERNS_18TensorIteratorBaseEENKUlvE_clEvENKUlvE1_clEvEUlN3c107complexINS7_4HalfEEEE_EEvS4_RKT_EUlibE_EEviT1_: ; @_ZN2at6native32elementwise_kernel_manual_unrollILi128ELi4EZNS0_22gpu_kernel_impl_nocastIZZZNS0_16sqrt_kernel_cudaERNS_18TensorIteratorBaseEENKUlvE_clEvENKUlvE1_clEvEUlN3c107complexINS7_4HalfEEEE_EEvS4_RKT_EUlibE_EEviT1_
; %bb.0:
	s_clause 0x1
	s_load_b32 s22, s[0:1], 0x8
	s_load_b32 s27, s[0:1], 0x0
	v_lshl_or_b32 v2, s15, 9, v0
	s_or_b32 s0, s0, 8
	s_mov_b32 s2, exec_lo
	s_delay_alu instid0(VALU_DEP_1) | instskip(SKIP_2) | instid1(SALU_CYCLE_1)
	v_or_b32_e32 v8, 0x180, v2
	s_waitcnt lgkmcnt(0)
	s_add_i32 s23, s22, -1
	s_cmp_gt_u32 s23, 1
	s_cselect_b32 s24, -1, 0
	v_cmpx_le_i32_e64 s27, v8
	s_xor_b32 s25, exec_lo, s2
	s_cbranch_execz .LBB239_7
; %bb.1:
	s_clause 0x3
	s_load_b128 s[12:15], s[0:1], 0x4
	s_load_b64 s[16:17], s[0:1], 0x14
	s_load_b128 s[8:11], s[0:1], 0xc4
	s_load_b128 s[4:7], s[0:1], 0x148
	s_cmp_lg_u32 s22, 0
	s_mov_b32 s30, exec_lo
	s_cselect_b32 s29, -1, 0
	s_add_u32 s18, s0, 0xc4
	s_addc_u32 s19, s1, 0
	s_min_u32 s28, s23, 15
	s_cmp_gt_u32 s22, 1
	s_cselect_b32 s26, -1, 0
	v_cmpx_gt_i32_e64 s27, v2
	s_cbranch_execz .LBB239_14
; %bb.2:
	s_and_not1_b32 vcc_lo, exec_lo, s24
	s_cbranch_vccnz .LBB239_21
; %bb.3:
	v_dual_mov_b32 v0, 0 :: v_dual_mov_b32 v1, 0
	s_and_not1_b32 vcc_lo, exec_lo, s29
	s_mov_b32 s31, 0
	s_cbranch_vccnz .LBB239_84
; %bb.4:
	v_mov_b32_e32 v0, 0
	s_add_i32 s34, s28, 1
	s_cmp_eq_u32 s23, 2
	s_mov_b32 s33, 0
	s_cbranch_scc1 .LBB239_80
; %bb.5:
	v_dual_mov_b32 v1, 0 :: v_dual_mov_b32 v0, 0
	v_mov_b32_e32 v3, v2
	s_and_b32 s33, s34, 28
	s_mov_b32 s35, 0
	s_mov_b64 s[2:3], s[18:19]
	s_mov_b64 s[20:21], s[0:1]
.LBB239_6:                              ; =>This Inner Loop Header: Depth=1
	s_clause 0x1
	s_load_b256 s[36:43], s[20:21], 0x4
	s_load_b128 s[52:55], s[20:21], 0x24
	s_load_b256 s[44:51], s[2:3], 0x0
	s_add_u32 s20, s20, 48
	s_addc_u32 s21, s21, 0
	s_add_i32 s35, s35, 4
	s_add_u32 s2, s2, 32
	s_addc_u32 s3, s3, 0
	s_cmp_lg_u32 s33, s35
	s_waitcnt lgkmcnt(0)
	v_mul_hi_u32 v4, s37, v3
	s_delay_alu instid0(VALU_DEP_1) | instskip(NEXT) | instid1(VALU_DEP_1)
	v_add_nc_u32_e32 v4, v3, v4
	v_lshrrev_b32_e32 v4, s38, v4
	s_delay_alu instid0(VALU_DEP_1) | instskip(SKIP_1) | instid1(VALU_DEP_2)
	v_mul_hi_u32 v5, s40, v4
	v_mul_lo_u32 v7, v4, s36
	v_add_nc_u32_e32 v5, v4, v5
	s_delay_alu instid0(VALU_DEP_2) | instskip(NEXT) | instid1(VALU_DEP_2)
	v_sub_nc_u32_e32 v3, v3, v7
	v_lshrrev_b32_e32 v5, s41, v5
	s_delay_alu instid0(VALU_DEP_2) | instskip(SKIP_1) | instid1(VALU_DEP_3)
	v_mul_lo_u32 v7, v3, s44
	v_mul_lo_u32 v9, v3, s45
	v_mul_hi_u32 v6, s43, v5
	s_delay_alu instid0(VALU_DEP_1) | instskip(NEXT) | instid1(VALU_DEP_1)
	v_add_nc_u32_e32 v6, v5, v6
	v_lshrrev_b32_e32 v6, s52, v6
	s_delay_alu instid0(VALU_DEP_1) | instskip(SKIP_1) | instid1(VALU_DEP_2)
	v_mul_hi_u32 v8, s54, v6
	v_mul_lo_u32 v10, v6, s42
	v_add_nc_u32_e32 v3, v6, v8
	v_mul_lo_u32 v8, v5, s39
	s_delay_alu instid0(VALU_DEP_3) | instskip(NEXT) | instid1(VALU_DEP_3)
	v_sub_nc_u32_e32 v5, v5, v10
	v_lshrrev_b32_e32 v3, s55, v3
	s_delay_alu instid0(VALU_DEP_2) | instskip(SKIP_2) | instid1(VALU_DEP_4)
	v_mul_lo_u32 v10, v5, s48
	v_mul_lo_u32 v5, v5, s49
	v_sub_nc_u32_e32 v4, v4, v8
	v_mul_lo_u32 v11, v3, s53
	s_delay_alu instid0(VALU_DEP_2) | instskip(SKIP_1) | instid1(VALU_DEP_3)
	v_mul_lo_u32 v8, v4, s46
	v_mul_lo_u32 v4, v4, s47
	v_sub_nc_u32_e32 v6, v6, v11
	s_delay_alu instid0(VALU_DEP_3) | instskip(NEXT) | instid1(VALU_DEP_2)
	v_add3_u32 v0, v7, v0, v8
	v_mul_lo_u32 v11, v6, s50
	v_mul_lo_u32 v6, v6, s51
	v_add3_u32 v1, v9, v1, v4
	s_delay_alu instid0(VALU_DEP_3) | instskip(NEXT) | instid1(VALU_DEP_2)
	v_add3_u32 v0, v10, v0, v11
	v_add3_u32 v1, v5, v1, v6
	s_cbranch_scc1 .LBB239_6
	s_branch .LBB239_81
.LBB239_7:
	s_and_not1_saveexec_b32 s2, s25
	s_cbranch_execz .LBB239_293
.LBB239_8:
	v_cndmask_b32_e64 v3, 0, 1, s24
	s_and_not1_b32 vcc_lo, exec_lo, s24
	s_cbranch_vccnz .LBB239_20
; %bb.9:
	v_dual_mov_b32 v0, 0 :: v_dual_mov_b32 v7, 0
	s_cmp_lg_u32 s22, 0
	s_waitcnt lgkmcnt(0)
	s_mov_b32 s6, 0
	s_cbranch_scc0 .LBB239_26
; %bb.10:
	s_min_u32 s7, s23, 15
	v_mov_b32_e32 v0, 0
	s_add_i32 s7, s7, 1
	s_cmp_eq_u32 s23, 2
	s_mov_b32 s8, 0
	s_cbranch_scc1 .LBB239_23
; %bb.11:
	v_dual_mov_b32 v7, 0 :: v_dual_mov_b32 v0, 0
	v_mov_b32_e32 v1, v2
	s_add_u32 s2, s0, 0xc4
	s_addc_u32 s3, s1, 0
	s_and_b32 s8, s7, 28
	s_mov_b32 s9, 0
	s_mov_b64 s[4:5], s[0:1]
.LBB239_12:                             ; =>This Inner Loop Header: Depth=1
	s_clause 0x1
	s_load_b256 s[12:19], s[4:5], 0x4
	s_load_b128 s[36:39], s[4:5], 0x24
	s_load_b256 s[24:31], s[2:3], 0x0
	s_add_u32 s4, s4, 48
	s_addc_u32 s5, s5, 0
	s_add_i32 s9, s9, 4
	s_add_u32 s2, s2, 32
	s_addc_u32 s3, s3, 0
	s_cmp_lg_u32 s8, s9
	s_waitcnt lgkmcnt(0)
	v_mul_hi_u32 v4, s13, v1
	s_delay_alu instid0(VALU_DEP_1) | instskip(NEXT) | instid1(VALU_DEP_1)
	v_add_nc_u32_e32 v4, v1, v4
	v_lshrrev_b32_e32 v4, s14, v4
	s_delay_alu instid0(VALU_DEP_1) | instskip(SKIP_1) | instid1(VALU_DEP_2)
	v_mul_hi_u32 v5, s16, v4
	v_mul_lo_u32 v9, v4, s12
	v_add_nc_u32_e32 v5, v4, v5
	s_delay_alu instid0(VALU_DEP_2) | instskip(NEXT) | instid1(VALU_DEP_2)
	v_sub_nc_u32_e32 v1, v1, v9
	v_lshrrev_b32_e32 v5, s17, v5
	s_delay_alu instid0(VALU_DEP_2) | instskip(SKIP_1) | instid1(VALU_DEP_3)
	v_mul_lo_u32 v9, v1, s24
	v_mul_lo_u32 v11, v1, s25
	v_mul_hi_u32 v6, s19, v5
	s_delay_alu instid0(VALU_DEP_1) | instskip(NEXT) | instid1(VALU_DEP_1)
	v_add_nc_u32_e32 v6, v5, v6
	v_lshrrev_b32_e32 v6, s36, v6
	s_delay_alu instid0(VALU_DEP_1) | instskip(SKIP_1) | instid1(VALU_DEP_2)
	v_mul_hi_u32 v10, s38, v6
	v_mul_lo_u32 v12, v6, s18
	v_add_nc_u32_e32 v1, v6, v10
	v_mul_lo_u32 v10, v5, s15
	s_delay_alu instid0(VALU_DEP_3) | instskip(NEXT) | instid1(VALU_DEP_3)
	v_sub_nc_u32_e32 v5, v5, v12
	v_lshrrev_b32_e32 v1, s39, v1
	s_delay_alu instid0(VALU_DEP_2) | instskip(SKIP_2) | instid1(VALU_DEP_4)
	v_mul_lo_u32 v12, v5, s28
	v_mul_lo_u32 v5, v5, s29
	v_sub_nc_u32_e32 v4, v4, v10
	v_mul_lo_u32 v13, v1, s37
	s_delay_alu instid0(VALU_DEP_2) | instskip(SKIP_1) | instid1(VALU_DEP_3)
	v_mul_lo_u32 v10, v4, s26
	v_mul_lo_u32 v4, v4, s27
	v_sub_nc_u32_e32 v6, v6, v13
	s_delay_alu instid0(VALU_DEP_3) | instskip(NEXT) | instid1(VALU_DEP_2)
	v_add3_u32 v0, v9, v0, v10
	v_mul_lo_u32 v13, v6, s30
	v_mul_lo_u32 v6, v6, s31
	v_add3_u32 v4, v11, v7, v4
	s_delay_alu instid0(VALU_DEP_3) | instskip(NEXT) | instid1(VALU_DEP_2)
	v_add3_u32 v0, v12, v0, v13
	v_add3_u32 v7, v5, v4, v6
	s_cbranch_scc1 .LBB239_12
; %bb.13:
	s_and_b32 s7, s7, 3
	s_delay_alu instid0(SALU_CYCLE_1)
	s_cmp_eq_u32 s7, 0
	s_cbranch_scc0 .LBB239_24
	s_branch .LBB239_26
.LBB239_14:
	s_or_b32 exec_lo, exec_lo, s30
	s_delay_alu instid0(SALU_CYCLE_1)
	s_mov_b32 s30, exec_lo
	v_cmpx_gt_i32_e64 s27, v2
	s_cbranch_execz .LBB239_250
.LBB239_15:
	s_and_not1_b32 vcc_lo, exec_lo, s24
	s_cbranch_vccnz .LBB239_22
; %bb.16:
	v_dual_mov_b32 v0, 0 :: v_dual_mov_b32 v1, 0
	s_and_not1_b32 vcc_lo, exec_lo, s29
	s_mov_b32 s31, 0
	s_cbranch_vccnz .LBB239_103
; %bb.17:
	v_mov_b32_e32 v0, 0
	s_add_i32 s34, s28, 1
	s_cmp_eq_u32 s23, 2
	s_mov_b32 s33, 0
	s_cbranch_scc1 .LBB239_99
; %bb.18:
	v_dual_mov_b32 v1, 0 :: v_dual_mov_b32 v0, 0
	v_mov_b32_e32 v3, v2
	s_and_b32 s33, s34, 28
	s_mov_b32 s35, 0
	s_mov_b64 s[2:3], s[18:19]
	s_mov_b64 s[20:21], s[0:1]
.LBB239_19:                             ; =>This Inner Loop Header: Depth=1
	s_clause 0x1
	s_load_b256 s[36:43], s[20:21], 0x4
	s_load_b128 s[52:55], s[20:21], 0x24
	s_load_b256 s[44:51], s[2:3], 0x0
	s_add_u32 s20, s20, 48
	s_addc_u32 s21, s21, 0
	s_add_i32 s35, s35, 4
	s_add_u32 s2, s2, 32
	s_addc_u32 s3, s3, 0
	s_cmp_eq_u32 s33, s35
	s_waitcnt lgkmcnt(0)
	v_mul_hi_u32 v4, s37, v3
	s_delay_alu instid0(VALU_DEP_1) | instskip(NEXT) | instid1(VALU_DEP_1)
	v_add_nc_u32_e32 v4, v3, v4
	v_lshrrev_b32_e32 v4, s38, v4
	s_delay_alu instid0(VALU_DEP_1) | instskip(SKIP_1) | instid1(VALU_DEP_2)
	v_mul_hi_u32 v5, s40, v4
	v_mul_lo_u32 v7, v4, s36
	v_add_nc_u32_e32 v5, v4, v5
	s_delay_alu instid0(VALU_DEP_2) | instskip(NEXT) | instid1(VALU_DEP_2)
	v_sub_nc_u32_e32 v3, v3, v7
	v_lshrrev_b32_e32 v5, s41, v5
	s_delay_alu instid0(VALU_DEP_2) | instskip(SKIP_1) | instid1(VALU_DEP_3)
	v_mul_lo_u32 v7, v3, s44
	v_mul_lo_u32 v9, v3, s45
	v_mul_hi_u32 v6, s43, v5
	s_delay_alu instid0(VALU_DEP_1) | instskip(NEXT) | instid1(VALU_DEP_1)
	v_add_nc_u32_e32 v6, v5, v6
	v_lshrrev_b32_e32 v6, s52, v6
	s_delay_alu instid0(VALU_DEP_1) | instskip(SKIP_1) | instid1(VALU_DEP_2)
	v_mul_hi_u32 v8, s54, v6
	v_mul_lo_u32 v10, v6, s42
	v_add_nc_u32_e32 v3, v6, v8
	v_mul_lo_u32 v8, v5, s39
	s_delay_alu instid0(VALU_DEP_3) | instskip(NEXT) | instid1(VALU_DEP_3)
	v_sub_nc_u32_e32 v5, v5, v10
	v_lshrrev_b32_e32 v3, s55, v3
	s_delay_alu instid0(VALU_DEP_2) | instskip(SKIP_2) | instid1(VALU_DEP_4)
	v_mul_lo_u32 v10, v5, s48
	v_mul_lo_u32 v5, v5, s49
	v_sub_nc_u32_e32 v4, v4, v8
	v_mul_lo_u32 v11, v3, s53
	s_delay_alu instid0(VALU_DEP_2) | instskip(SKIP_1) | instid1(VALU_DEP_3)
	v_mul_lo_u32 v8, v4, s46
	v_mul_lo_u32 v4, v4, s47
	v_sub_nc_u32_e32 v6, v6, v11
	s_delay_alu instid0(VALU_DEP_3) | instskip(NEXT) | instid1(VALU_DEP_2)
	v_add3_u32 v0, v7, v0, v8
	v_mul_lo_u32 v11, v6, s50
	v_mul_lo_u32 v6, v6, s51
	v_add3_u32 v1, v9, v1, v4
	s_delay_alu instid0(VALU_DEP_3) | instskip(NEXT) | instid1(VALU_DEP_2)
	v_add3_u32 v0, v10, v0, v11
	v_add3_u32 v1, v5, v1, v6
	s_cbranch_scc0 .LBB239_19
	s_branch .LBB239_100
.LBB239_20:
	s_waitcnt lgkmcnt(0)
	s_mov_b32 s6, -1
                                        ; implicit-def: $vgpr0
                                        ; implicit-def: $vgpr7
	s_branch .LBB239_26
.LBB239_21:
	s_mov_b32 s31, -1
                                        ; implicit-def: $vgpr0
                                        ; implicit-def: $vgpr1
	s_branch .LBB239_84
.LBB239_22:
	s_mov_b32 s31, -1
                                        ; implicit-def: $vgpr0
                                        ; implicit-def: $vgpr1
	s_branch .LBB239_103
.LBB239_23:
	v_mov_b32_e32 v1, v2
	v_mov_b32_e32 v7, 0
	s_and_b32 s7, s7, 3
	s_delay_alu instid0(SALU_CYCLE_1)
	s_cmp_eq_u32 s7, 0
	s_cbranch_scc1 .LBB239_26
.LBB239_24:
	s_lshl_b32 s2, s8, 3
	s_mul_i32 s4, s8, 12
	s_add_u32 s2, s2, s0
	s_addc_u32 s3, 0, s1
	s_add_u32 s2, s2, 0xc4
	s_addc_u32 s3, s3, 0
	;; [unrolled: 2-line block ×3, first 2 shown]
	.p2align	6
.LBB239_25:                             ; =>This Inner Loop Header: Depth=1
	s_clause 0x1
	s_load_b64 s[8:9], s[4:5], 0x4
	s_load_b32 s12, s[4:5], 0xc
	s_load_b64 s[10:11], s[2:3], 0x0
	s_add_u32 s4, s4, 12
	s_addc_u32 s5, s5, 0
	s_add_u32 s2, s2, 8
	s_addc_u32 s3, s3, 0
	s_add_i32 s7, s7, -1
	s_delay_alu instid0(SALU_CYCLE_1) | instskip(SKIP_2) | instid1(VALU_DEP_1)
	s_cmp_lg_u32 s7, 0
	s_waitcnt lgkmcnt(0)
	v_mul_hi_u32 v4, s9, v1
	v_add_nc_u32_e32 v4, v1, v4
	s_delay_alu instid0(VALU_DEP_1) | instskip(NEXT) | instid1(VALU_DEP_1)
	v_lshrrev_b32_e32 v9, s12, v4
	v_mul_lo_u32 v4, v9, s8
	s_delay_alu instid0(VALU_DEP_1) | instskip(NEXT) | instid1(VALU_DEP_1)
	v_sub_nc_u32_e32 v1, v1, v4
	v_mad_u64_u32 v[4:5], null, v1, s10, v[0:1]
	v_mad_u64_u32 v[5:6], null, v1, s11, v[7:8]
	s_delay_alu instid0(VALU_DEP_2) | instskip(NEXT) | instid1(VALU_DEP_2)
	v_dual_mov_b32 v1, v9 :: v_dual_mov_b32 v0, v4
	v_mov_b32_e32 v7, v5
	s_cbranch_scc1 .LBB239_25
.LBB239_26:
	s_and_not1_b32 vcc_lo, exec_lo, s6
	s_cbranch_vccnz .LBB239_29
; %bb.27:
	s_clause 0x1
	s_load_b128 s[4:7], s[0:1], 0x4
	s_load_b64 s[2:3], s[0:1], 0xc4
	s_cmp_lt_u32 s22, 2
	s_waitcnt lgkmcnt(0)
	v_mul_hi_u32 v0, s5, v2
	s_delay_alu instid0(VALU_DEP_1) | instskip(NEXT) | instid1(VALU_DEP_1)
	v_add_nc_u32_e32 v0, v2, v0
	v_lshrrev_b32_e32 v1, s6, v0
	s_delay_alu instid0(VALU_DEP_1) | instskip(NEXT) | instid1(VALU_DEP_1)
	v_mul_lo_u32 v0, v1, s4
	v_sub_nc_u32_e32 v4, v2, v0
	s_delay_alu instid0(VALU_DEP_1)
	v_mul_lo_u32 v0, v4, s2
	v_mul_lo_u32 v7, v4, s3
	s_cbranch_scc1 .LBB239_29
; %bb.28:
	s_clause 0x1
	s_load_b128 s[4:7], s[0:1], 0x10
	s_load_b64 s[2:3], s[0:1], 0xcc
	s_waitcnt lgkmcnt(0)
	v_mul_hi_u32 v4, s5, v1
	s_delay_alu instid0(VALU_DEP_1) | instskip(NEXT) | instid1(VALU_DEP_1)
	v_add_nc_u32_e32 v4, v1, v4
	v_lshrrev_b32_e32 v4, s6, v4
	s_delay_alu instid0(VALU_DEP_1) | instskip(NEXT) | instid1(VALU_DEP_1)
	v_mul_lo_u32 v4, v4, s4
	v_sub_nc_u32_e32 v1, v1, v4
	s_delay_alu instid0(VALU_DEP_1) | instskip(SKIP_1) | instid1(VALU_DEP_1)
	v_mad_u64_u32 v[4:5], null, v1, s2, v[0:1]
	v_mad_u64_u32 v[5:6], null, v1, s3, v[7:8]
	v_dual_mov_b32 v0, v4 :: v_dual_mov_b32 v7, v5
.LBB239_29:
	v_cmp_ne_u32_e32 vcc_lo, 1, v3
	v_add_nc_u32_e32 v4, 0x80, v2
	s_cbranch_vccnz .LBB239_35
; %bb.30:
	v_dual_mov_b32 v1, 0 :: v_dual_mov_b32 v6, 0
	s_cmp_lg_u32 s22, 0
	s_mov_b32 s6, 0
	s_cbranch_scc0 .LBB239_39
; %bb.31:
	s_min_u32 s7, s23, 15
	v_mov_b32_e32 v1, 0
	s_add_i32 s7, s7, 1
	s_cmp_eq_u32 s23, 2
	s_mov_b32 s8, 0
	s_cbranch_scc1 .LBB239_36
; %bb.32:
	v_dual_mov_b32 v6, 0 :: v_dual_mov_b32 v1, 0
	v_mov_b32_e32 v5, v4
	s_add_u32 s2, s0, 0xc4
	s_addc_u32 s3, s1, 0
	s_and_b32 s8, s7, 28
	s_mov_b32 s9, 0
	s_mov_b64 s[4:5], s[0:1]
.LBB239_33:                             ; =>This Inner Loop Header: Depth=1
	s_clause 0x1
	s_load_b256 s[12:19], s[4:5], 0x4
	s_load_b128 s[36:39], s[4:5], 0x24
	s_load_b256 s[24:31], s[2:3], 0x0
	s_add_u32 s4, s4, 48
	s_addc_u32 s5, s5, 0
	s_add_i32 s9, s9, 4
	s_add_u32 s2, s2, 32
	s_addc_u32 s3, s3, 0
	s_cmp_lg_u32 s8, s9
	s_waitcnt lgkmcnt(0)
	v_mul_hi_u32 v9, s13, v5
	s_delay_alu instid0(VALU_DEP_1) | instskip(NEXT) | instid1(VALU_DEP_1)
	v_add_nc_u32_e32 v9, v5, v9
	v_lshrrev_b32_e32 v9, s14, v9
	s_delay_alu instid0(VALU_DEP_1) | instskip(SKIP_1) | instid1(VALU_DEP_2)
	v_mul_hi_u32 v10, s16, v9
	v_mul_lo_u32 v12, v9, s12
	v_add_nc_u32_e32 v10, v9, v10
	s_delay_alu instid0(VALU_DEP_2) | instskip(NEXT) | instid1(VALU_DEP_2)
	v_sub_nc_u32_e32 v5, v5, v12
	v_lshrrev_b32_e32 v10, s17, v10
	s_delay_alu instid0(VALU_DEP_2) | instskip(SKIP_1) | instid1(VALU_DEP_3)
	v_mul_lo_u32 v12, v5, s24
	v_mul_lo_u32 v14, v5, s25
	v_mul_hi_u32 v11, s19, v10
	s_delay_alu instid0(VALU_DEP_1) | instskip(NEXT) | instid1(VALU_DEP_1)
	v_add_nc_u32_e32 v11, v10, v11
	v_lshrrev_b32_e32 v11, s36, v11
	s_delay_alu instid0(VALU_DEP_1) | instskip(SKIP_1) | instid1(VALU_DEP_2)
	v_mul_hi_u32 v13, s38, v11
	v_mul_lo_u32 v15, v11, s18
	v_add_nc_u32_e32 v5, v11, v13
	v_mul_lo_u32 v13, v10, s15
	s_delay_alu instid0(VALU_DEP_3) | instskip(NEXT) | instid1(VALU_DEP_3)
	v_sub_nc_u32_e32 v10, v10, v15
	v_lshrrev_b32_e32 v5, s39, v5
	s_delay_alu instid0(VALU_DEP_2) | instskip(SKIP_2) | instid1(VALU_DEP_4)
	v_mul_lo_u32 v15, v10, s28
	v_mul_lo_u32 v10, v10, s29
	v_sub_nc_u32_e32 v9, v9, v13
	v_mul_lo_u32 v16, v5, s37
	s_delay_alu instid0(VALU_DEP_2) | instskip(SKIP_1) | instid1(VALU_DEP_3)
	v_mul_lo_u32 v13, v9, s26
	v_mul_lo_u32 v9, v9, s27
	v_sub_nc_u32_e32 v11, v11, v16
	s_delay_alu instid0(VALU_DEP_3) | instskip(NEXT) | instid1(VALU_DEP_2)
	v_add3_u32 v1, v12, v1, v13
	v_mul_lo_u32 v16, v11, s30
	v_mul_lo_u32 v11, v11, s31
	v_add3_u32 v6, v14, v6, v9
	s_delay_alu instid0(VALU_DEP_3) | instskip(NEXT) | instid1(VALU_DEP_2)
	v_add3_u32 v1, v15, v1, v16
	v_add3_u32 v6, v10, v6, v11
	s_cbranch_scc1 .LBB239_33
; %bb.34:
	s_and_b32 s7, s7, 3
	s_delay_alu instid0(SALU_CYCLE_1)
	s_cmp_eq_u32 s7, 0
	s_cbranch_scc0 .LBB239_37
	s_branch .LBB239_39
.LBB239_35:
	s_mov_b32 s6, -1
                                        ; implicit-def: $vgpr1
                                        ; implicit-def: $vgpr6
	s_branch .LBB239_39
.LBB239_36:
	v_dual_mov_b32 v5, v4 :: v_dual_mov_b32 v6, 0
	s_and_b32 s7, s7, 3
	s_delay_alu instid0(SALU_CYCLE_1)
	s_cmp_eq_u32 s7, 0
	s_cbranch_scc1 .LBB239_39
.LBB239_37:
	s_lshl_b32 s2, s8, 3
	s_mul_i32 s4, s8, 12
	s_add_u32 s2, s2, s0
	s_addc_u32 s3, 0, s1
	s_add_u32 s2, s2, 0xc4
	s_addc_u32 s3, s3, 0
	;; [unrolled: 2-line block ×3, first 2 shown]
	.p2align	6
.LBB239_38:                             ; =>This Inner Loop Header: Depth=1
	s_clause 0x1
	s_load_b64 s[8:9], s[4:5], 0x4
	s_load_b32 s12, s[4:5], 0xc
	s_load_b64 s[10:11], s[2:3], 0x0
	s_add_u32 s4, s4, 12
	s_addc_u32 s5, s5, 0
	s_add_u32 s2, s2, 8
	s_addc_u32 s3, s3, 0
	s_add_i32 s7, s7, -1
	s_delay_alu instid0(SALU_CYCLE_1) | instskip(SKIP_2) | instid1(VALU_DEP_1)
	s_cmp_lg_u32 s7, 0
	s_waitcnt lgkmcnt(0)
	v_mul_hi_u32 v9, s9, v5
	v_add_nc_u32_e32 v9, v5, v9
	s_delay_alu instid0(VALU_DEP_1) | instskip(NEXT) | instid1(VALU_DEP_1)
	v_lshrrev_b32_e32 v12, s12, v9
	v_mul_lo_u32 v9, v12, s8
	s_delay_alu instid0(VALU_DEP_1) | instskip(NEXT) | instid1(VALU_DEP_1)
	v_sub_nc_u32_e32 v5, v5, v9
	v_mad_u64_u32 v[9:10], null, v5, s10, v[1:2]
	v_mad_u64_u32 v[10:11], null, v5, s11, v[6:7]
	v_mov_b32_e32 v5, v12
	s_delay_alu instid0(VALU_DEP_2)
	v_dual_mov_b32 v1, v9 :: v_dual_mov_b32 v6, v10
	s_cbranch_scc1 .LBB239_38
.LBB239_39:
	s_and_not1_b32 vcc_lo, exec_lo, s6
	s_cbranch_vccnz .LBB239_42
; %bb.40:
	s_clause 0x1
	s_load_b128 s[4:7], s[0:1], 0x4
	s_load_b64 s[2:3], s[0:1], 0xc4
	s_cmp_lt_u32 s22, 2
	s_waitcnt lgkmcnt(0)
	v_mul_hi_u32 v1, s5, v4
	s_delay_alu instid0(VALU_DEP_1) | instskip(NEXT) | instid1(VALU_DEP_1)
	v_add_nc_u32_e32 v1, v4, v1
	v_lshrrev_b32_e32 v5, s6, v1
	s_delay_alu instid0(VALU_DEP_1) | instskip(NEXT) | instid1(VALU_DEP_1)
	v_mul_lo_u32 v1, v5, s4
	v_sub_nc_u32_e32 v4, v4, v1
	s_delay_alu instid0(VALU_DEP_1)
	v_mul_lo_u32 v1, v4, s2
	v_mul_lo_u32 v6, v4, s3
	s_cbranch_scc1 .LBB239_42
; %bb.41:
	s_clause 0x1
	s_load_b128 s[4:7], s[0:1], 0x10
	s_load_b64 s[2:3], s[0:1], 0xcc
	s_waitcnt lgkmcnt(0)
	v_mul_hi_u32 v4, s5, v5
	s_delay_alu instid0(VALU_DEP_1) | instskip(NEXT) | instid1(VALU_DEP_1)
	v_add_nc_u32_e32 v4, v5, v4
	v_lshrrev_b32_e32 v4, s6, v4
	s_delay_alu instid0(VALU_DEP_1) | instskip(NEXT) | instid1(VALU_DEP_1)
	v_mul_lo_u32 v4, v4, s4
	v_sub_nc_u32_e32 v11, v5, v4
	s_delay_alu instid0(VALU_DEP_1) | instskip(SKIP_1) | instid1(VALU_DEP_1)
	v_mad_u64_u32 v[4:5], null, v11, s2, v[1:2]
	v_mad_u64_u32 v[9:10], null, v11, s3, v[6:7]
	v_dual_mov_b32 v1, v4 :: v_dual_mov_b32 v6, v9
.LBB239_42:
	v_cmp_ne_u32_e32 vcc_lo, 1, v3
	v_add_nc_u32_e32 v4, 0x100, v2
	s_cbranch_vccnz .LBB239_48
; %bb.43:
	v_dual_mov_b32 v2, 0 :: v_dual_mov_b32 v5, 0
	s_cmp_lg_u32 s22, 0
	s_mov_b32 s6, 0
	s_cbranch_scc0 .LBB239_52
; %bb.44:
	s_min_u32 s7, s23, 15
	v_mov_b32_e32 v2, 0
	s_add_i32 s7, s7, 1
	s_cmp_eq_u32 s23, 2
	s_mov_b32 s8, 0
	s_cbranch_scc1 .LBB239_49
; %bb.45:
	v_dual_mov_b32 v5, 0 :: v_dual_mov_b32 v2, 0
	v_mov_b32_e32 v9, v4
	s_add_u32 s2, s0, 0xc4
	s_addc_u32 s3, s1, 0
	s_and_b32 s8, s7, 28
	s_mov_b32 s9, 0
	s_mov_b64 s[4:5], s[0:1]
.LBB239_46:                             ; =>This Inner Loop Header: Depth=1
	s_clause 0x1
	s_load_b256 s[12:19], s[4:5], 0x4
	s_load_b128 s[36:39], s[4:5], 0x24
	s_load_b256 s[24:31], s[2:3], 0x0
	s_add_u32 s4, s4, 48
	s_addc_u32 s5, s5, 0
	s_add_i32 s9, s9, 4
	s_add_u32 s2, s2, 32
	s_addc_u32 s3, s3, 0
	s_cmp_lg_u32 s8, s9
	s_waitcnt lgkmcnt(0)
	v_mul_hi_u32 v10, s13, v9
	s_delay_alu instid0(VALU_DEP_1) | instskip(NEXT) | instid1(VALU_DEP_1)
	v_add_nc_u32_e32 v10, v9, v10
	v_lshrrev_b32_e32 v10, s14, v10
	s_delay_alu instid0(VALU_DEP_1) | instskip(SKIP_1) | instid1(VALU_DEP_2)
	v_mul_hi_u32 v11, s16, v10
	v_mul_lo_u32 v13, v10, s12
	v_add_nc_u32_e32 v11, v10, v11
	s_delay_alu instid0(VALU_DEP_2) | instskip(NEXT) | instid1(VALU_DEP_2)
	v_sub_nc_u32_e32 v9, v9, v13
	v_lshrrev_b32_e32 v11, s17, v11
	s_delay_alu instid0(VALU_DEP_2) | instskip(SKIP_1) | instid1(VALU_DEP_3)
	v_mul_lo_u32 v13, v9, s24
	v_mul_lo_u32 v15, v9, s25
	v_mul_hi_u32 v12, s19, v11
	s_delay_alu instid0(VALU_DEP_1) | instskip(NEXT) | instid1(VALU_DEP_1)
	v_add_nc_u32_e32 v12, v11, v12
	v_lshrrev_b32_e32 v12, s36, v12
	s_delay_alu instid0(VALU_DEP_1) | instskip(SKIP_1) | instid1(VALU_DEP_2)
	v_mul_hi_u32 v14, s38, v12
	v_mul_lo_u32 v16, v12, s18
	v_add_nc_u32_e32 v9, v12, v14
	v_mul_lo_u32 v14, v11, s15
	s_delay_alu instid0(VALU_DEP_3) | instskip(NEXT) | instid1(VALU_DEP_3)
	v_sub_nc_u32_e32 v11, v11, v16
	v_lshrrev_b32_e32 v9, s39, v9
	s_delay_alu instid0(VALU_DEP_2) | instskip(SKIP_2) | instid1(VALU_DEP_4)
	v_mul_lo_u32 v16, v11, s28
	v_mul_lo_u32 v11, v11, s29
	v_sub_nc_u32_e32 v10, v10, v14
	v_mul_lo_u32 v17, v9, s37
	s_delay_alu instid0(VALU_DEP_2) | instskip(SKIP_1) | instid1(VALU_DEP_3)
	v_mul_lo_u32 v14, v10, s26
	v_mul_lo_u32 v10, v10, s27
	v_sub_nc_u32_e32 v12, v12, v17
	s_delay_alu instid0(VALU_DEP_3) | instskip(NEXT) | instid1(VALU_DEP_2)
	v_add3_u32 v2, v13, v2, v14
	v_mul_lo_u32 v17, v12, s30
	v_mul_lo_u32 v12, v12, s31
	v_add3_u32 v5, v15, v5, v10
	s_delay_alu instid0(VALU_DEP_3) | instskip(NEXT) | instid1(VALU_DEP_2)
	v_add3_u32 v2, v16, v2, v17
	v_add3_u32 v5, v11, v5, v12
	s_cbranch_scc1 .LBB239_46
; %bb.47:
	s_and_b32 s7, s7, 3
	s_delay_alu instid0(SALU_CYCLE_1)
	s_cmp_eq_u32 s7, 0
	s_cbranch_scc0 .LBB239_50
	s_branch .LBB239_52
.LBB239_48:
	s_mov_b32 s6, -1
                                        ; implicit-def: $vgpr2
                                        ; implicit-def: $vgpr5
	s_branch .LBB239_52
.LBB239_49:
	v_mov_b32_e32 v9, v4
	v_mov_b32_e32 v5, 0
	s_and_b32 s7, s7, 3
	s_delay_alu instid0(SALU_CYCLE_1)
	s_cmp_eq_u32 s7, 0
	s_cbranch_scc1 .LBB239_52
.LBB239_50:
	s_lshl_b32 s2, s8, 3
	s_mul_i32 s4, s8, 12
	s_add_u32 s2, s2, s0
	s_addc_u32 s3, 0, s1
	s_add_u32 s2, s2, 0xc4
	s_addc_u32 s3, s3, 0
	;; [unrolled: 2-line block ×3, first 2 shown]
	.p2align	6
.LBB239_51:                             ; =>This Inner Loop Header: Depth=1
	s_clause 0x1
	s_load_b64 s[8:9], s[4:5], 0x4
	s_load_b32 s12, s[4:5], 0xc
	s_load_b64 s[10:11], s[2:3], 0x0
	s_add_u32 s4, s4, 12
	s_addc_u32 s5, s5, 0
	s_add_u32 s2, s2, 8
	s_addc_u32 s3, s3, 0
	s_add_i32 s7, s7, -1
	s_delay_alu instid0(SALU_CYCLE_1) | instskip(SKIP_2) | instid1(VALU_DEP_1)
	s_cmp_lg_u32 s7, 0
	s_waitcnt lgkmcnt(0)
	v_mul_hi_u32 v10, s9, v9
	v_add_nc_u32_e32 v10, v9, v10
	s_delay_alu instid0(VALU_DEP_1) | instskip(NEXT) | instid1(VALU_DEP_1)
	v_lshrrev_b32_e32 v13, s12, v10
	v_mul_lo_u32 v10, v13, s8
	s_delay_alu instid0(VALU_DEP_1) | instskip(NEXT) | instid1(VALU_DEP_1)
	v_sub_nc_u32_e32 v9, v9, v10
	v_mad_u64_u32 v[10:11], null, v9, s10, v[2:3]
	v_mad_u64_u32 v[11:12], null, v9, s11, v[5:6]
	s_delay_alu instid0(VALU_DEP_2) | instskip(NEXT) | instid1(VALU_DEP_2)
	v_dual_mov_b32 v9, v13 :: v_dual_mov_b32 v2, v10
	v_mov_b32_e32 v5, v11
	s_cbranch_scc1 .LBB239_51
.LBB239_52:
	s_and_not1_b32 vcc_lo, exec_lo, s6
	s_cbranch_vccnz .LBB239_55
; %bb.53:
	s_clause 0x1
	s_load_b128 s[4:7], s[0:1], 0x4
	s_load_b64 s[2:3], s[0:1], 0xc4
	s_cmp_lt_u32 s22, 2
	s_waitcnt lgkmcnt(0)
	v_mul_hi_u32 v2, s5, v4
	s_delay_alu instid0(VALU_DEP_1) | instskip(NEXT) | instid1(VALU_DEP_1)
	v_add_nc_u32_e32 v2, v4, v2
	v_lshrrev_b32_e32 v9, s6, v2
	s_delay_alu instid0(VALU_DEP_1) | instskip(NEXT) | instid1(VALU_DEP_1)
	v_mul_lo_u32 v2, v9, s4
	v_sub_nc_u32_e32 v4, v4, v2
	s_delay_alu instid0(VALU_DEP_1)
	v_mul_lo_u32 v2, v4, s2
	v_mul_lo_u32 v5, v4, s3
	s_cbranch_scc1 .LBB239_55
; %bb.54:
	s_clause 0x1
	s_load_b128 s[4:7], s[0:1], 0x10
	s_load_b64 s[2:3], s[0:1], 0xcc
	s_waitcnt lgkmcnt(0)
	v_mul_hi_u32 v4, s5, v9
	s_delay_alu instid0(VALU_DEP_1) | instskip(NEXT) | instid1(VALU_DEP_1)
	v_add_nc_u32_e32 v4, v9, v4
	v_lshrrev_b32_e32 v4, s6, v4
	s_delay_alu instid0(VALU_DEP_1) | instskip(NEXT) | instid1(VALU_DEP_1)
	v_mul_lo_u32 v4, v4, s4
	v_sub_nc_u32_e32 v4, v9, v4
	s_delay_alu instid0(VALU_DEP_1) | instskip(SKIP_1) | instid1(VALU_DEP_1)
	v_mad_u64_u32 v[9:10], null, v4, s2, v[2:3]
	v_mad_u64_u32 v[10:11], null, v4, s3, v[5:6]
	v_dual_mov_b32 v2, v9 :: v_dual_mov_b32 v5, v10
.LBB239_55:
	v_cmp_ne_u32_e32 vcc_lo, 1, v3
	s_cbranch_vccnz .LBB239_61
; %bb.56:
	v_dual_mov_b32 v3, 0 :: v_dual_mov_b32 v4, 0
	s_cmp_lg_u32 s22, 0
	s_mov_b32 s6, 0
	s_cbranch_scc0 .LBB239_65
; %bb.57:
	s_min_u32 s7, s23, 15
	v_mov_b32_e32 v3, 0
	s_add_i32 s7, s7, 1
	s_cmp_eq_u32 s23, 2
	s_mov_b32 s8, 0
	s_cbranch_scc1 .LBB239_62
; %bb.58:
	v_dual_mov_b32 v4, 0 :: v_dual_mov_b32 v3, 0
	v_mov_b32_e32 v9, v8
	s_add_u32 s2, s0, 0xc4
	s_addc_u32 s3, s1, 0
	s_and_b32 s8, s7, 28
	s_mov_b32 s9, 0
	s_mov_b64 s[4:5], s[0:1]
.LBB239_59:                             ; =>This Inner Loop Header: Depth=1
	s_clause 0x1
	s_load_b256 s[12:19], s[4:5], 0x4
	s_load_b128 s[36:39], s[4:5], 0x24
	s_load_b256 s[24:31], s[2:3], 0x0
	s_add_u32 s4, s4, 48
	s_addc_u32 s5, s5, 0
	s_add_i32 s9, s9, 4
	s_add_u32 s2, s2, 32
	s_addc_u32 s3, s3, 0
	s_cmp_lg_u32 s8, s9
	s_waitcnt lgkmcnt(0)
	v_mul_hi_u32 v10, s13, v9
	s_delay_alu instid0(VALU_DEP_1) | instskip(NEXT) | instid1(VALU_DEP_1)
	v_add_nc_u32_e32 v10, v9, v10
	v_lshrrev_b32_e32 v10, s14, v10
	s_delay_alu instid0(VALU_DEP_1) | instskip(SKIP_1) | instid1(VALU_DEP_2)
	v_mul_hi_u32 v11, s16, v10
	v_mul_lo_u32 v13, v10, s12
	v_add_nc_u32_e32 v11, v10, v11
	s_delay_alu instid0(VALU_DEP_2) | instskip(NEXT) | instid1(VALU_DEP_2)
	v_sub_nc_u32_e32 v9, v9, v13
	v_lshrrev_b32_e32 v11, s17, v11
	s_delay_alu instid0(VALU_DEP_2) | instskip(SKIP_1) | instid1(VALU_DEP_3)
	v_mul_lo_u32 v13, v9, s24
	v_mul_lo_u32 v15, v9, s25
	v_mul_hi_u32 v12, s19, v11
	s_delay_alu instid0(VALU_DEP_1) | instskip(NEXT) | instid1(VALU_DEP_1)
	v_add_nc_u32_e32 v12, v11, v12
	v_lshrrev_b32_e32 v12, s36, v12
	s_delay_alu instid0(VALU_DEP_1) | instskip(SKIP_1) | instid1(VALU_DEP_2)
	v_mul_hi_u32 v14, s38, v12
	v_mul_lo_u32 v16, v12, s18
	v_add_nc_u32_e32 v9, v12, v14
	v_mul_lo_u32 v14, v11, s15
	s_delay_alu instid0(VALU_DEP_3) | instskip(NEXT) | instid1(VALU_DEP_3)
	v_sub_nc_u32_e32 v11, v11, v16
	v_lshrrev_b32_e32 v9, s39, v9
	s_delay_alu instid0(VALU_DEP_2) | instskip(SKIP_2) | instid1(VALU_DEP_4)
	v_mul_lo_u32 v16, v11, s28
	v_mul_lo_u32 v11, v11, s29
	v_sub_nc_u32_e32 v10, v10, v14
	v_mul_lo_u32 v17, v9, s37
	s_delay_alu instid0(VALU_DEP_2) | instskip(SKIP_1) | instid1(VALU_DEP_3)
	v_mul_lo_u32 v14, v10, s26
	v_mul_lo_u32 v10, v10, s27
	v_sub_nc_u32_e32 v12, v12, v17
	s_delay_alu instid0(VALU_DEP_3) | instskip(NEXT) | instid1(VALU_DEP_2)
	v_add3_u32 v3, v13, v3, v14
	v_mul_lo_u32 v17, v12, s30
	v_mul_lo_u32 v12, v12, s31
	v_add3_u32 v4, v15, v4, v10
	s_delay_alu instid0(VALU_DEP_3) | instskip(NEXT) | instid1(VALU_DEP_2)
	v_add3_u32 v3, v16, v3, v17
	v_add3_u32 v4, v11, v4, v12
	s_cbranch_scc1 .LBB239_59
; %bb.60:
	s_and_b32 s7, s7, 3
	s_delay_alu instid0(SALU_CYCLE_1)
	s_cmp_eq_u32 s7, 0
	s_cbranch_scc0 .LBB239_63
	s_branch .LBB239_65
.LBB239_61:
	s_mov_b32 s6, -1
                                        ; implicit-def: $vgpr3
                                        ; implicit-def: $vgpr4
	s_branch .LBB239_65
.LBB239_62:
	v_dual_mov_b32 v9, v8 :: v_dual_mov_b32 v4, 0
	s_and_b32 s7, s7, 3
	s_delay_alu instid0(SALU_CYCLE_1)
	s_cmp_eq_u32 s7, 0
	s_cbranch_scc1 .LBB239_65
.LBB239_63:
	s_lshl_b32 s2, s8, 3
	s_mul_i32 s4, s8, 12
	s_add_u32 s2, s2, s0
	s_addc_u32 s3, 0, s1
	s_add_u32 s2, s2, 0xc4
	s_addc_u32 s3, s3, 0
	;; [unrolled: 2-line block ×3, first 2 shown]
	.p2align	6
.LBB239_64:                             ; =>This Inner Loop Header: Depth=1
	s_clause 0x1
	s_load_b64 s[8:9], s[4:5], 0x4
	s_load_b32 s12, s[4:5], 0xc
	s_load_b64 s[10:11], s[2:3], 0x0
	s_add_u32 s4, s4, 12
	s_addc_u32 s5, s5, 0
	s_add_u32 s2, s2, 8
	s_addc_u32 s3, s3, 0
	s_add_i32 s7, s7, -1
	s_delay_alu instid0(SALU_CYCLE_1) | instskip(SKIP_2) | instid1(VALU_DEP_1)
	s_cmp_lg_u32 s7, 0
	s_waitcnt lgkmcnt(0)
	v_mul_hi_u32 v10, s9, v9
	v_add_nc_u32_e32 v10, v9, v10
	s_delay_alu instid0(VALU_DEP_1) | instskip(NEXT) | instid1(VALU_DEP_1)
	v_lshrrev_b32_e32 v13, s12, v10
	v_mul_lo_u32 v10, v13, s8
	s_delay_alu instid0(VALU_DEP_1) | instskip(NEXT) | instid1(VALU_DEP_1)
	v_sub_nc_u32_e32 v9, v9, v10
	v_mad_u64_u32 v[10:11], null, v9, s10, v[3:4]
	v_mad_u64_u32 v[11:12], null, v9, s11, v[4:5]
	v_mov_b32_e32 v9, v13
	s_delay_alu instid0(VALU_DEP_2)
	v_dual_mov_b32 v3, v10 :: v_dual_mov_b32 v4, v11
	s_cbranch_scc1 .LBB239_64
.LBB239_65:
	s_and_not1_b32 vcc_lo, exec_lo, s6
	s_cbranch_vccnz .LBB239_68
; %bb.66:
	s_clause 0x1
	s_load_b128 s[4:7], s[0:1], 0x4
	s_load_b64 s[2:3], s[0:1], 0xc4
	s_cmp_lt_u32 s22, 2
	s_waitcnt lgkmcnt(0)
	v_mul_hi_u32 v3, s5, v8
	s_delay_alu instid0(VALU_DEP_1) | instskip(NEXT) | instid1(VALU_DEP_1)
	v_add_nc_u32_e32 v3, v8, v3
	v_lshrrev_b32_e32 v9, s6, v3
	s_delay_alu instid0(VALU_DEP_1) | instskip(NEXT) | instid1(VALU_DEP_1)
	v_mul_lo_u32 v3, v9, s4
	v_sub_nc_u32_e32 v4, v8, v3
	s_delay_alu instid0(VALU_DEP_1)
	v_mul_lo_u32 v3, v4, s2
	v_mul_lo_u32 v4, v4, s3
	s_cbranch_scc1 .LBB239_68
; %bb.67:
	s_clause 0x1
	s_load_b128 s[4:7], s[0:1], 0x10
	s_load_b64 s[2:3], s[0:1], 0xcc
	s_waitcnt lgkmcnt(0)
	v_mul_hi_u32 v8, s5, v9
	s_delay_alu instid0(VALU_DEP_1) | instskip(NEXT) | instid1(VALU_DEP_1)
	v_add_nc_u32_e32 v8, v9, v8
	v_lshrrev_b32_e32 v8, s6, v8
	s_delay_alu instid0(VALU_DEP_1) | instskip(NEXT) | instid1(VALU_DEP_1)
	v_mul_lo_u32 v8, v8, s4
	v_sub_nc_u32_e32 v11, v9, v8
	s_delay_alu instid0(VALU_DEP_1) | instskip(SKIP_1) | instid1(VALU_DEP_1)
	v_mad_u64_u32 v[8:9], null, v11, s2, v[3:4]
	v_mad_u64_u32 v[9:10], null, v11, s3, v[4:5]
	v_dual_mov_b32 v3, v8 :: v_dual_mov_b32 v4, v9
.LBB239_68:
	s_load_b128 s[4:7], s[0:1], 0x148
	v_mov_b32_e32 v9, 0
	s_waitcnt lgkmcnt(0)
	global_load_b32 v10, v7, s[6:7]
	s_waitcnt vmcnt(0)
	v_lshrrev_b32_e32 v8, 16, v10
	v_cmp_neq_f16_e32 vcc_lo, 0, v10
	s_delay_alu instid0(VALU_DEP_2) | instskip(SKIP_2) | instid1(VALU_DEP_3)
	v_cmp_neq_f16_e64 s0, 0, v8
	v_cvt_f32_f16_e32 v7, v8
	v_mov_b32_e32 v8, 0
	s_or_b32 s0, vcc_lo, s0
	s_delay_alu instid0(SALU_CYCLE_1)
	s_and_saveexec_b32 s2, s0
	s_cbranch_execz .LBB239_136
; %bb.69:
	v_mov_b32_e32 v8, 0x7f800000
	s_mov_b32 s3, exec_lo
	v_cmpx_neq_f32_e64 0x7f800000, |v7|
	s_cbranch_execz .LBB239_135
; %bb.70:
	v_cvt_f32_f16_e32 v8, v10
	s_mov_b32 s0, exec_lo
	v_cmpx_o_f16_e32 v10, v10
	s_xor_b32 s8, exec_lo, s0
	s_cbranch_execz .LBB239_132
; %bb.71:
	s_mov_b32 s1, exec_lo
	v_cmpx_neq_f32_e64 0x7f800000, |v8|
	s_xor_b32 s9, exec_lo, s1
	s_cbranch_execz .LBB239_125
; %bb.72:
	v_max_f32_e64 v10, |v7|, |v7|
	v_max_f32_e64 v11, |v8|, |v8|
                                        ; implicit-def: $sgpr10
	s_delay_alu instid0(VALU_DEP_1) | instskip(NEXT) | instid1(VALU_DEP_1)
	v_max_f32_e32 v10, v11, v10
	v_cmp_nle_f32_e64 s0, 0x7ed413cb, v10
	s_delay_alu instid0(VALU_DEP_1) | instskip(NEXT) | instid1(SALU_CYCLE_1)
	s_and_saveexec_b32 s1, s0
	s_xor_b32 s1, exec_lo, s1
	s_cbranch_execz .LBB239_76
; %bb.73:
	v_cmp_ge_f32_e64 s10, 0x1000000, |v8|
	v_cmp_ge_f32_e64 s11, 0x1000000, |v7|
	s_delay_alu instid0(VALU_DEP_1)
	s_and_b32 s12, s10, s11
	s_mov_b32 s10, 0
	s_and_saveexec_b32 s11, s12
; %bb.74:
	v_dual_mul_f32 v8, 4.0, v8 :: v_dual_mul_f32 v7, 4.0, v7
	s_mov_b32 s10, exec_lo
; %bb.75:
	s_or_b32 exec_lo, exec_lo, s11
	s_delay_alu instid0(SALU_CYCLE_1)
	s_and_b32 s10, s10, exec_lo
.LBB239_76:
	s_and_not1_saveexec_b32 s1, s1
; %bb.77:
	v_dual_mul_f32 v8, 0x3e800000, v8 :: v_dual_mul_f32 v7, 0x3e800000, v7
	s_and_not1_b32 s10, s10, exec_lo
; %bb.78:
	s_or_b32 exec_lo, exec_lo, s1
	s_delay_alu instid0(VALU_DEP_1) | instskip(NEXT) | instid1(VALU_DEP_2)
	v_max_f32_e64 v10, |v7|, |v7|
	v_max_f32_e64 v11, |v8|, |v8|
	s_delay_alu instid0(VALU_DEP_1) | instskip(NEXT) | instid1(VALU_DEP_1)
	v_max_f32_e32 v12, v11, v10
	v_cvt_f64_f32_e32 v[10:11], v12
	s_delay_alu instid0(VALU_DEP_1) | instskip(NEXT) | instid1(VALU_DEP_1)
	v_frexp_exp_i32_f64_e32 v10, v[10:11]
	v_sub_nc_u32_e32 v11, 0, v10
	s_delay_alu instid0(VALU_DEP_1) | instskip(SKIP_1) | instid1(VALU_DEP_2)
	v_ldexp_f32 v13, |v7|, v11
	v_ldexp_f32 v11, |v8|, v11
	v_mul_f32_e32 v13, v13, v13
	v_cmp_neq_f32_e64 s1, 0x7f800000, v12
	s_delay_alu instid0(VALU_DEP_2) | instskip(NEXT) | instid1(VALU_DEP_1)
	v_fmac_f32_e32 v13, v11, v11
	v_sqrt_f32_e32 v11, v13
	s_waitcnt_depctr 0xfff
	v_ldexp_f32 v10, v11, v10
                                        ; implicit-def: $vgpr11
	s_delay_alu instid0(VALU_DEP_1)
	v_cndmask_b32_e64 v12, 0x7f800000, v10, s1
                                        ; implicit-def: $vgpr10
	s_mov_b32 s1, exec_lo
	v_cmpx_le_f32_e32 0, v8
	s_xor_b32 s11, exec_lo, s1
	s_cbranch_execz .LBB239_118
; %bb.79:
	v_add_f32_e32 v8, v8, v12
	s_delay_alu instid0(VALU_DEP_1) | instskip(NEXT) | instid1(VALU_DEP_1)
	v_mul_f32_e32 v8, 0.5, v8
	v_mul_f32_e32 v10, 0x4f800000, v8
	v_cmp_gt_f32_e32 vcc_lo, 0xf800000, v8
	s_delay_alu instid0(VALU_DEP_2) | instskip(NEXT) | instid1(VALU_DEP_1)
	v_cndmask_b32_e32 v8, v8, v10, vcc_lo
	v_sqrt_f32_e32 v10, v8
	s_waitcnt_depctr 0xfff
	v_add_nc_u32_e32 v11, -1, v10
	v_add_nc_u32_e32 v12, 1, v10
	s_delay_alu instid0(VALU_DEP_2) | instskip(NEXT) | instid1(VALU_DEP_2)
	v_fma_f32 v13, -v11, v10, v8
	v_fma_f32 v14, -v12, v10, v8
	s_delay_alu instid0(VALU_DEP_2) | instskip(NEXT) | instid1(VALU_DEP_1)
	v_cmp_ge_f32_e64 s1, 0, v13
	v_cndmask_b32_e64 v10, v10, v11, s1
	s_delay_alu instid0(VALU_DEP_3) | instskip(NEXT) | instid1(VALU_DEP_1)
	v_cmp_lt_f32_e64 s1, 0, v14
	v_cndmask_b32_e64 v10, v10, v12, s1
	s_delay_alu instid0(VALU_DEP_1) | instskip(NEXT) | instid1(VALU_DEP_1)
	v_mul_f32_e32 v11, 0x37800000, v10
	v_cndmask_b32_e32 v10, v10, v11, vcc_lo
	v_cmp_class_f32_e64 vcc_lo, v8, 0x260
	s_delay_alu instid0(VALU_DEP_2) | instskip(NEXT) | instid1(VALU_DEP_1)
	v_cndmask_b32_e32 v10, v10, v8, vcc_lo
	v_add_f32_e32 v8, v10, v10
	s_delay_alu instid0(VALU_DEP_1) | instskip(NEXT) | instid1(VALU_DEP_1)
	v_div_scale_f32 v11, null, v8, v8, v7
	v_rcp_f32_e32 v12, v11
	s_waitcnt_depctr 0xfff
	v_fma_f32 v13, -v11, v12, 1.0
	s_delay_alu instid0(VALU_DEP_1) | instskip(SKIP_1) | instid1(VALU_DEP_1)
	v_fmac_f32_e32 v12, v13, v12
	v_div_scale_f32 v13, vcc_lo, v7, v8, v7
	v_mul_f32_e32 v14, v13, v12
	s_delay_alu instid0(VALU_DEP_1) | instskip(NEXT) | instid1(VALU_DEP_1)
	v_fma_f32 v15, -v11, v14, v13
	v_fmac_f32_e32 v14, v15, v12
	s_delay_alu instid0(VALU_DEP_1) | instskip(NEXT) | instid1(VALU_DEP_1)
	v_fma_f32 v11, -v11, v14, v13
	v_div_fmas_f32 v11, v11, v12, v14
                                        ; implicit-def: $vgpr12
	s_delay_alu instid0(VALU_DEP_1)
	v_div_fixup_f32 v11, v11, v8, v7
                                        ; implicit-def: $vgpr8
                                        ; implicit-def: $vgpr7
	s_and_not1_saveexec_b32 s11, s11
	s_cbranch_execz .LBB239_120
	s_branch .LBB239_119
.LBB239_80:
	v_mov_b32_e32 v3, v2
	v_mov_b32_e32 v1, 0
.LBB239_81:
	s_and_b32 s34, s34, 3
	s_delay_alu instid0(SALU_CYCLE_1)
	s_cmp_eq_u32 s34, 0
	s_cbranch_scc1 .LBB239_84
; %bb.82:
	s_lshl_b32 s2, s33, 3
	s_mul_i32 s20, s33, 12
	s_add_u32 s2, s2, s0
	s_addc_u32 s3, s1, 0
	s_add_u32 s2, s2, 0xc4
	s_addc_u32 s3, s3, 0
	;; [unrolled: 2-line block ×3, first 2 shown]
	.p2align	6
.LBB239_83:                             ; =>This Inner Loop Header: Depth=1
	s_clause 0x1
	s_load_b64 s[36:37], s[20:21], 0x4
	s_load_b32 s33, s[20:21], 0xc
	s_load_b64 s[38:39], s[2:3], 0x0
	s_add_u32 s20, s20, 12
	s_addc_u32 s21, s21, 0
	s_add_u32 s2, s2, 8
	s_addc_u32 s3, s3, 0
	s_add_i32 s34, s34, -1
	s_delay_alu instid0(SALU_CYCLE_1) | instskip(SKIP_2) | instid1(VALU_DEP_1)
	s_cmp_lg_u32 s34, 0
	s_waitcnt lgkmcnt(0)
	v_mul_hi_u32 v4, s37, v3
	v_add_nc_u32_e32 v4, v3, v4
	s_delay_alu instid0(VALU_DEP_1) | instskip(NEXT) | instid1(VALU_DEP_1)
	v_lshrrev_b32_e32 v7, s33, v4
	v_mul_lo_u32 v4, v7, s36
	s_delay_alu instid0(VALU_DEP_1) | instskip(NEXT) | instid1(VALU_DEP_1)
	v_sub_nc_u32_e32 v3, v3, v4
	v_mad_u64_u32 v[4:5], null, v3, s38, v[0:1]
	v_mad_u64_u32 v[5:6], null, v3, s39, v[1:2]
	s_delay_alu instid0(VALU_DEP_2) | instskip(NEXT) | instid1(VALU_DEP_2)
	v_dual_mov_b32 v3, v7 :: v_dual_mov_b32 v0, v4
	v_mov_b32_e32 v1, v5
	s_cbranch_scc1 .LBB239_83
.LBB239_84:
	s_and_not1_b32 vcc_lo, exec_lo, s31
	s_cbranch_vccnz .LBB239_87
; %bb.85:
	s_waitcnt lgkmcnt(0)
	v_mul_hi_u32 v0, s13, v2
	s_and_not1_b32 vcc_lo, exec_lo, s26
	s_delay_alu instid0(VALU_DEP_1) | instskip(NEXT) | instid1(VALU_DEP_1)
	v_add_nc_u32_e32 v0, v2, v0
	v_lshrrev_b32_e32 v3, s14, v0
	s_delay_alu instid0(VALU_DEP_1) | instskip(NEXT) | instid1(VALU_DEP_1)
	v_mul_lo_u32 v0, v3, s12
	v_sub_nc_u32_e32 v1, v2, v0
	s_delay_alu instid0(VALU_DEP_1)
	v_mul_lo_u32 v0, v1, s8
	v_mul_lo_u32 v1, v1, s9
	s_cbranch_vccnz .LBB239_87
; %bb.86:
	v_mul_hi_u32 v4, s16, v3
	s_delay_alu instid0(VALU_DEP_1) | instskip(NEXT) | instid1(VALU_DEP_1)
	v_add_nc_u32_e32 v4, v3, v4
	v_lshrrev_b32_e32 v4, s17, v4
	s_delay_alu instid0(VALU_DEP_1) | instskip(NEXT) | instid1(VALU_DEP_1)
	v_mul_lo_u32 v4, v4, s15
	v_sub_nc_u32_e32 v6, v3, v4
	s_delay_alu instid0(VALU_DEP_1) | instskip(SKIP_1) | instid1(VALU_DEP_1)
	v_mad_u64_u32 v[3:4], null, v6, s10, v[0:1]
	v_mad_u64_u32 v[4:5], null, v6, s11, v[1:2]
	v_dual_mov_b32 v0, v3 :: v_dual_mov_b32 v1, v4
.LBB239_87:
	s_waitcnt lgkmcnt(0)
	global_load_b32 v4, v1, s[6:7]
	v_mov_b32_e32 v3, 0
	s_waitcnt vmcnt(0)
	v_lshrrev_b32_e32 v1, 16, v4
	v_cmp_neq_f16_e32 vcc_lo, 0, v4
	s_delay_alu instid0(VALU_DEP_2) | instskip(SKIP_1) | instid1(VALU_DEP_2)
	v_cmp_neq_f16_e64 s2, 0, v1
	v_cvt_f32_f16_e32 v1, v1
	s_or_b32 s2, vcc_lo, s2
	s_delay_alu instid0(SALU_CYCLE_1)
	s_and_saveexec_b32 s20, s2
	s_cbranch_execz .LBB239_249
; %bb.88:
	v_mov_b32_e32 v3, 0x7f800000
	s_mov_b32 s21, exec_lo
	v_cmpx_neq_f32_e64 0x7f800000, |v1|
	s_cbranch_execz .LBB239_248
; %bb.89:
	v_cvt_f32_f16_e32 v3, v4
	s_mov_b32 s2, exec_lo
	v_cmpx_o_f16_e32 v4, v4
	s_xor_b32 s31, exec_lo, s2
	s_cbranch_execz .LBB239_245
; %bb.90:
	s_mov_b32 s3, exec_lo
	v_cmpx_neq_f32_e64 0x7f800000, |v3|
	s_xor_b32 s33, exec_lo, s3
	s_cbranch_execz .LBB239_238
; %bb.91:
	v_max_f32_e64 v4, |v1|, |v1|
	v_max_f32_e64 v5, |v3|, |v3|
                                        ; implicit-def: $sgpr34
	s_delay_alu instid0(VALU_DEP_1) | instskip(NEXT) | instid1(VALU_DEP_1)
	v_max_f32_e32 v4, v5, v4
	v_cmp_nle_f32_e64 s2, 0x7ed413cb, v4
	s_delay_alu instid0(VALU_DEP_1) | instskip(NEXT) | instid1(SALU_CYCLE_1)
	s_and_saveexec_b32 s3, s2
	s_xor_b32 s3, exec_lo, s3
	s_cbranch_execz .LBB239_95
; %bb.92:
	v_cmp_ge_f32_e64 s34, 0x1000000, |v3|
	v_cmp_ge_f32_e64 s35, 0x1000000, |v1|
	s_delay_alu instid0(VALU_DEP_1)
	s_and_b32 s36, s34, s35
	s_mov_b32 s34, 0
	s_and_saveexec_b32 s35, s36
; %bb.93:
	v_mul_f32_e32 v3, 4.0, v3
	v_mul_f32_e32 v1, 4.0, v1
	s_mov_b32 s34, exec_lo
; %bb.94:
	s_or_b32 exec_lo, exec_lo, s35
	s_delay_alu instid0(SALU_CYCLE_1)
	s_and_b32 s34, s34, exec_lo
.LBB239_95:
	s_and_not1_saveexec_b32 s3, s3
; %bb.96:
	v_mul_f32_e32 v3, 0x3e800000, v3
	v_mul_f32_e32 v1, 0x3e800000, v1
	s_and_not1_b32 s34, s34, exec_lo
; %bb.97:
	s_or_b32 exec_lo, exec_lo, s3
	s_delay_alu instid0(VALU_DEP_1) | instskip(SKIP_1) | instid1(VALU_DEP_1)
	v_max_f32_e64 v4, |v1|, |v1|
	v_max_f32_e64 v5, |v3|, |v3|
	v_max_f32_e32 v6, v5, v4
	s_delay_alu instid0(VALU_DEP_1) | instskip(NEXT) | instid1(VALU_DEP_1)
	v_cvt_f64_f32_e32 v[4:5], v6
	v_frexp_exp_i32_f64_e32 v4, v[4:5]
	s_delay_alu instid0(VALU_DEP_1) | instskip(NEXT) | instid1(VALU_DEP_1)
	v_sub_nc_u32_e32 v5, 0, v4
	v_ldexp_f32 v7, |v1|, v5
	v_ldexp_f32 v5, |v3|, v5
	s_delay_alu instid0(VALU_DEP_2) | instskip(SKIP_1) | instid1(VALU_DEP_2)
	v_mul_f32_e32 v7, v7, v7
	v_cmp_neq_f32_e64 s3, 0x7f800000, v6
	v_fmac_f32_e32 v7, v5, v5
	s_delay_alu instid0(VALU_DEP_1) | instskip(SKIP_2) | instid1(VALU_DEP_1)
	v_sqrt_f32_e32 v5, v7
	s_waitcnt_depctr 0xfff
	v_ldexp_f32 v4, v5, v4
                                        ; implicit-def: $vgpr5
	v_cndmask_b32_e64 v6, 0x7f800000, v4, s3
                                        ; implicit-def: $vgpr4
	s_mov_b32 s3, exec_lo
	v_cmpx_le_f32_e32 0, v3
	s_xor_b32 s35, exec_lo, s3
	s_cbranch_execz .LBB239_227
; %bb.98:
	v_add_f32_e32 v3, v3, v6
	s_delay_alu instid0(VALU_DEP_1) | instskip(NEXT) | instid1(VALU_DEP_1)
	v_mul_f32_e32 v3, 0.5, v3
	v_mul_f32_e32 v4, 0x4f800000, v3
	v_cmp_gt_f32_e32 vcc_lo, 0xf800000, v3
	s_delay_alu instid0(VALU_DEP_2) | instskip(NEXT) | instid1(VALU_DEP_1)
	v_cndmask_b32_e32 v3, v3, v4, vcc_lo
	v_sqrt_f32_e32 v4, v3
	s_waitcnt_depctr 0xfff
	v_add_nc_u32_e32 v5, -1, v4
	v_add_nc_u32_e32 v6, 1, v4
	s_delay_alu instid0(VALU_DEP_2) | instskip(NEXT) | instid1(VALU_DEP_2)
	v_fma_f32 v7, -v5, v4, v3
	v_fma_f32 v8, -v6, v4, v3
	s_delay_alu instid0(VALU_DEP_2) | instskip(NEXT) | instid1(VALU_DEP_1)
	v_cmp_ge_f32_e64 s3, 0, v7
	v_cndmask_b32_e64 v4, v4, v5, s3
	s_delay_alu instid0(VALU_DEP_3) | instskip(NEXT) | instid1(VALU_DEP_1)
	v_cmp_lt_f32_e64 s3, 0, v8
	v_cndmask_b32_e64 v4, v4, v6, s3
	s_delay_alu instid0(VALU_DEP_1) | instskip(NEXT) | instid1(VALU_DEP_1)
	v_mul_f32_e32 v5, 0x37800000, v4
	v_cndmask_b32_e32 v4, v4, v5, vcc_lo
	v_cmp_class_f32_e64 vcc_lo, v3, 0x260
	s_delay_alu instid0(VALU_DEP_2) | instskip(NEXT) | instid1(VALU_DEP_1)
	v_cndmask_b32_e32 v4, v4, v3, vcc_lo
	v_add_f32_e32 v3, v4, v4
	s_delay_alu instid0(VALU_DEP_1) | instskip(NEXT) | instid1(VALU_DEP_1)
	v_div_scale_f32 v5, null, v3, v3, v1
	v_rcp_f32_e32 v6, v5
	s_waitcnt_depctr 0xfff
	v_fma_f32 v7, -v5, v6, 1.0
	s_delay_alu instid0(VALU_DEP_1) | instskip(SKIP_1) | instid1(VALU_DEP_1)
	v_fmac_f32_e32 v6, v7, v6
	v_div_scale_f32 v7, vcc_lo, v1, v3, v1
	v_mul_f32_e32 v8, v7, v6
	s_delay_alu instid0(VALU_DEP_1) | instskip(NEXT) | instid1(VALU_DEP_1)
	v_fma_f32 v9, -v5, v8, v7
	v_fmac_f32_e32 v8, v9, v6
	s_delay_alu instid0(VALU_DEP_1) | instskip(NEXT) | instid1(VALU_DEP_1)
	v_fma_f32 v5, -v5, v8, v7
	v_div_fmas_f32 v5, v5, v6, v8
                                        ; implicit-def: $vgpr6
	s_delay_alu instid0(VALU_DEP_1)
	v_div_fixup_f32 v5, v5, v3, v1
                                        ; implicit-def: $vgpr3
                                        ; implicit-def: $vgpr1
	s_and_not1_saveexec_b32 s35, s35
	s_cbranch_execz .LBB239_229
	s_branch .LBB239_228
.LBB239_99:
	v_mov_b32_e32 v3, v2
	v_mov_b32_e32 v1, 0
.LBB239_100:
	s_and_b32 s34, s34, 3
	s_delay_alu instid0(SALU_CYCLE_1)
	s_cmp_eq_u32 s34, 0
	s_cbranch_scc1 .LBB239_103
; %bb.101:
	s_lshl_b32 s2, s33, 3
	s_mul_i32 s20, s33, 12
	s_add_u32 s2, s2, s0
	s_addc_u32 s3, s1, 0
	s_add_u32 s2, s2, 0xc4
	s_addc_u32 s3, s3, 0
	;; [unrolled: 2-line block ×3, first 2 shown]
	.p2align	6
.LBB239_102:                            ; =>This Inner Loop Header: Depth=1
	s_clause 0x1
	s_load_b64 s[36:37], s[20:21], 0x4
	s_load_b32 s33, s[20:21], 0xc
	s_load_b64 s[38:39], s[2:3], 0x0
	s_add_u32 s20, s20, 12
	s_addc_u32 s21, s21, 0
	s_add_u32 s2, s2, 8
	s_addc_u32 s3, s3, 0
	s_add_i32 s34, s34, -1
	s_delay_alu instid0(SALU_CYCLE_1) | instskip(SKIP_2) | instid1(VALU_DEP_1)
	s_cmp_lg_u32 s34, 0
	s_waitcnt lgkmcnt(0)
	v_mul_hi_u32 v4, s37, v3
	v_add_nc_u32_e32 v4, v3, v4
	s_delay_alu instid0(VALU_DEP_1) | instskip(NEXT) | instid1(VALU_DEP_1)
	v_lshrrev_b32_e32 v7, s33, v4
	v_mul_lo_u32 v4, v7, s36
	s_delay_alu instid0(VALU_DEP_1) | instskip(NEXT) | instid1(VALU_DEP_1)
	v_sub_nc_u32_e32 v3, v3, v4
	v_mad_u64_u32 v[4:5], null, v3, s38, v[0:1]
	v_mad_u64_u32 v[5:6], null, v3, s39, v[1:2]
	s_delay_alu instid0(VALU_DEP_2) | instskip(NEXT) | instid1(VALU_DEP_2)
	v_dual_mov_b32 v3, v7 :: v_dual_mov_b32 v0, v4
	v_mov_b32_e32 v1, v5
	s_cbranch_scc1 .LBB239_102
.LBB239_103:
	s_and_not1_b32 vcc_lo, exec_lo, s31
	s_cbranch_vccnz .LBB239_106
; %bb.104:
	s_waitcnt lgkmcnt(0)
	v_mul_hi_u32 v0, s13, v2
	s_and_not1_b32 vcc_lo, exec_lo, s26
	s_delay_alu instid0(VALU_DEP_1) | instskip(NEXT) | instid1(VALU_DEP_1)
	v_add_nc_u32_e32 v0, v2, v0
	v_lshrrev_b32_e32 v3, s14, v0
	s_delay_alu instid0(VALU_DEP_1) | instskip(NEXT) | instid1(VALU_DEP_1)
	v_mul_lo_u32 v0, v3, s12
	v_sub_nc_u32_e32 v1, v2, v0
	s_delay_alu instid0(VALU_DEP_1)
	v_mul_lo_u32 v0, v1, s8
	v_mul_lo_u32 v1, v1, s9
	s_cbranch_vccnz .LBB239_106
; %bb.105:
	v_mul_hi_u32 v4, s16, v3
	s_delay_alu instid0(VALU_DEP_1) | instskip(NEXT) | instid1(VALU_DEP_1)
	v_add_nc_u32_e32 v4, v3, v4
	v_lshrrev_b32_e32 v4, s17, v4
	s_delay_alu instid0(VALU_DEP_1) | instskip(NEXT) | instid1(VALU_DEP_1)
	v_mul_lo_u32 v4, v4, s15
	v_sub_nc_u32_e32 v6, v3, v4
	s_delay_alu instid0(VALU_DEP_1) | instskip(SKIP_1) | instid1(VALU_DEP_1)
	v_mad_u64_u32 v[3:4], null, v6, s10, v[0:1]
	v_mad_u64_u32 v[4:5], null, v6, s11, v[1:2]
	v_dual_mov_b32 v0, v3 :: v_dual_mov_b32 v1, v4
.LBB239_106:
	s_waitcnt lgkmcnt(0)
	global_load_b32 v4, v1, s[6:7]
	v_mov_b32_e32 v3, 0
	s_waitcnt vmcnt(0)
	v_lshrrev_b32_e32 v1, 16, v4
	v_cmp_neq_f16_e32 vcc_lo, 0, v4
	s_delay_alu instid0(VALU_DEP_2) | instskip(SKIP_1) | instid1(VALU_DEP_2)
	v_cmp_neq_f16_e64 s2, 0, v1
	v_cvt_f32_f16_e32 v1, v1
	s_or_b32 s2, vcc_lo, s2
	s_delay_alu instid0(SALU_CYCLE_1)
	s_and_saveexec_b32 s20, s2
	s_cbranch_execz .LBB239_290
; %bb.107:
	v_mov_b32_e32 v3, 0x7f800000
	s_mov_b32 s21, exec_lo
	v_cmpx_neq_f32_e64 0x7f800000, |v1|
	s_cbranch_execz .LBB239_289
; %bb.108:
	v_cvt_f32_f16_e32 v3, v4
	s_mov_b32 s2, exec_lo
	v_cmpx_o_f16_e32 v4, v4
	s_xor_b32 s31, exec_lo, s2
	s_cbranch_execz .LBB239_286
; %bb.109:
	s_mov_b32 s3, exec_lo
	v_cmpx_neq_f32_e64 0x7f800000, |v3|
	s_xor_b32 s33, exec_lo, s3
	s_cbranch_execz .LBB239_279
; %bb.110:
	v_max_f32_e64 v4, |v1|, |v1|
	v_max_f32_e64 v5, |v3|, |v3|
                                        ; implicit-def: $sgpr34
	s_delay_alu instid0(VALU_DEP_1) | instskip(NEXT) | instid1(VALU_DEP_1)
	v_max_f32_e32 v4, v5, v4
	v_cmp_nle_f32_e64 s2, 0x7ed413cb, v4
	s_delay_alu instid0(VALU_DEP_1) | instskip(NEXT) | instid1(SALU_CYCLE_1)
	s_and_saveexec_b32 s3, s2
	s_xor_b32 s3, exec_lo, s3
	s_cbranch_execz .LBB239_114
; %bb.111:
	v_cmp_ge_f32_e64 s34, 0x1000000, |v3|
	v_cmp_ge_f32_e64 s35, 0x1000000, |v1|
	s_delay_alu instid0(VALU_DEP_1)
	s_and_b32 s36, s34, s35
	s_mov_b32 s34, 0
	s_and_saveexec_b32 s35, s36
; %bb.112:
	v_mul_f32_e32 v3, 4.0, v3
	v_mul_f32_e32 v1, 4.0, v1
	s_mov_b32 s34, exec_lo
; %bb.113:
	s_or_b32 exec_lo, exec_lo, s35
	s_delay_alu instid0(SALU_CYCLE_1)
	s_and_b32 s34, s34, exec_lo
.LBB239_114:
	s_and_not1_saveexec_b32 s3, s3
; %bb.115:
	v_mul_f32_e32 v3, 0x3e800000, v3
	v_mul_f32_e32 v1, 0x3e800000, v1
	s_and_not1_b32 s34, s34, exec_lo
; %bb.116:
	s_or_b32 exec_lo, exec_lo, s3
	s_delay_alu instid0(VALU_DEP_1) | instskip(SKIP_1) | instid1(VALU_DEP_1)
	v_max_f32_e64 v4, |v1|, |v1|
	v_max_f32_e64 v5, |v3|, |v3|
	v_max_f32_e32 v6, v5, v4
	s_delay_alu instid0(VALU_DEP_1) | instskip(NEXT) | instid1(VALU_DEP_1)
	v_cvt_f64_f32_e32 v[4:5], v6
	v_frexp_exp_i32_f64_e32 v4, v[4:5]
	s_delay_alu instid0(VALU_DEP_1) | instskip(NEXT) | instid1(VALU_DEP_1)
	v_sub_nc_u32_e32 v5, 0, v4
	v_ldexp_f32 v7, |v1|, v5
	v_ldexp_f32 v5, |v3|, v5
	s_delay_alu instid0(VALU_DEP_2) | instskip(SKIP_1) | instid1(VALU_DEP_2)
	v_mul_f32_e32 v7, v7, v7
	v_cmp_neq_f32_e64 s3, 0x7f800000, v6
	v_fmac_f32_e32 v7, v5, v5
	s_delay_alu instid0(VALU_DEP_1) | instskip(SKIP_2) | instid1(VALU_DEP_1)
	v_sqrt_f32_e32 v5, v7
	s_waitcnt_depctr 0xfff
	v_ldexp_f32 v4, v5, v4
                                        ; implicit-def: $vgpr5
	v_cndmask_b32_e64 v6, 0x7f800000, v4, s3
                                        ; implicit-def: $vgpr4
	s_mov_b32 s3, exec_lo
	v_cmpx_le_f32_e32 0, v3
	s_xor_b32 s35, exec_lo, s3
	s_cbranch_execz .LBB239_231
; %bb.117:
	v_add_f32_e32 v3, v3, v6
	s_delay_alu instid0(VALU_DEP_1) | instskip(NEXT) | instid1(VALU_DEP_1)
	v_mul_f32_e32 v3, 0.5, v3
	v_mul_f32_e32 v4, 0x4f800000, v3
	v_cmp_gt_f32_e32 vcc_lo, 0xf800000, v3
	s_delay_alu instid0(VALU_DEP_2) | instskip(NEXT) | instid1(VALU_DEP_1)
	v_cndmask_b32_e32 v3, v3, v4, vcc_lo
	v_sqrt_f32_e32 v4, v3
	s_waitcnt_depctr 0xfff
	v_add_nc_u32_e32 v5, -1, v4
	v_add_nc_u32_e32 v6, 1, v4
	s_delay_alu instid0(VALU_DEP_2) | instskip(NEXT) | instid1(VALU_DEP_2)
	v_fma_f32 v7, -v5, v4, v3
	v_fma_f32 v8, -v6, v4, v3
	s_delay_alu instid0(VALU_DEP_2) | instskip(NEXT) | instid1(VALU_DEP_1)
	v_cmp_ge_f32_e64 s3, 0, v7
	v_cndmask_b32_e64 v4, v4, v5, s3
	s_delay_alu instid0(VALU_DEP_3) | instskip(NEXT) | instid1(VALU_DEP_1)
	v_cmp_lt_f32_e64 s3, 0, v8
	v_cndmask_b32_e64 v4, v4, v6, s3
	s_delay_alu instid0(VALU_DEP_1) | instskip(NEXT) | instid1(VALU_DEP_1)
	v_mul_f32_e32 v5, 0x37800000, v4
	v_cndmask_b32_e32 v4, v4, v5, vcc_lo
	v_cmp_class_f32_e64 vcc_lo, v3, 0x260
	s_delay_alu instid0(VALU_DEP_2) | instskip(NEXT) | instid1(VALU_DEP_1)
	v_cndmask_b32_e32 v4, v4, v3, vcc_lo
	v_add_f32_e32 v3, v4, v4
	s_delay_alu instid0(VALU_DEP_1) | instskip(NEXT) | instid1(VALU_DEP_1)
	v_div_scale_f32 v5, null, v3, v3, v1
	v_rcp_f32_e32 v6, v5
	s_waitcnt_depctr 0xfff
	v_fma_f32 v7, -v5, v6, 1.0
	s_delay_alu instid0(VALU_DEP_1) | instskip(SKIP_1) | instid1(VALU_DEP_1)
	v_fmac_f32_e32 v6, v7, v6
	v_div_scale_f32 v7, vcc_lo, v1, v3, v1
	v_mul_f32_e32 v8, v7, v6
	s_delay_alu instid0(VALU_DEP_1) | instskip(NEXT) | instid1(VALU_DEP_1)
	v_fma_f32 v9, -v5, v8, v7
	v_fmac_f32_e32 v8, v9, v6
	s_delay_alu instid0(VALU_DEP_1) | instskip(NEXT) | instid1(VALU_DEP_1)
	v_fma_f32 v5, -v5, v8, v7
	v_div_fmas_f32 v5, v5, v6, v8
                                        ; implicit-def: $vgpr6
	s_delay_alu instid0(VALU_DEP_1)
	v_div_fixup_f32 v5, v5, v3, v1
                                        ; implicit-def: $vgpr3
                                        ; implicit-def: $vgpr1
	s_and_not1_saveexec_b32 s35, s35
	s_cbranch_execz .LBB239_233
	s_branch .LBB239_232
.LBB239_118:
	s_and_not1_saveexec_b32 s11, s11
	s_cbranch_execz .LBB239_120
.LBB239_119:
	v_sub_f32_e32 v8, v12, v8
	s_delay_alu instid0(VALU_DEP_1) | instskip(NEXT) | instid1(VALU_DEP_1)
	v_mul_f32_e32 v8, 0.5, v8
	v_mul_f32_e32 v10, 0x4f800000, v8
	v_cmp_gt_f32_e32 vcc_lo, 0xf800000, v8
	s_delay_alu instid0(VALU_DEP_2) | instskip(NEXT) | instid1(VALU_DEP_1)
	v_cndmask_b32_e32 v8, v8, v10, vcc_lo
	v_sqrt_f32_e32 v10, v8
	s_waitcnt_depctr 0xfff
	v_add_nc_u32_e32 v11, -1, v10
	v_add_nc_u32_e32 v12, 1, v10
	s_delay_alu instid0(VALU_DEP_2) | instskip(NEXT) | instid1(VALU_DEP_2)
	v_fma_f32 v13, -v11, v10, v8
	v_fma_f32 v14, -v12, v10, v8
	s_delay_alu instid0(VALU_DEP_2) | instskip(NEXT) | instid1(VALU_DEP_1)
	v_cmp_ge_f32_e64 s1, 0, v13
	v_cndmask_b32_e64 v10, v10, v11, s1
	s_delay_alu instid0(VALU_DEP_3) | instskip(NEXT) | instid1(VALU_DEP_1)
	v_cmp_lt_f32_e64 s1, 0, v14
	v_cndmask_b32_e64 v10, v10, v12, s1
	s_delay_alu instid0(VALU_DEP_1) | instskip(NEXT) | instid1(VALU_DEP_1)
	v_mul_f32_e32 v11, 0x37800000, v10
	v_cndmask_b32_e32 v10, v10, v11, vcc_lo
	v_cmp_class_f32_e64 vcc_lo, v8, 0x260
	s_delay_alu instid0(VALU_DEP_2) | instskip(NEXT) | instid1(VALU_DEP_1)
	v_cndmask_b32_e32 v8, v10, v8, vcc_lo
	v_dual_add_f32 v11, v8, v8 :: v_dual_and_b32 v10, 0x7fffffff, v7
	s_delay_alu instid0(VALU_DEP_1) | instskip(SKIP_1) | instid1(VALU_DEP_2)
	v_div_scale_f32 v12, null, v11, v11, v10
	v_div_scale_f32 v10, vcc_lo, v10, v11, v10
	v_rcp_f32_e32 v13, v12
	s_waitcnt_depctr 0xfff
	v_fma_f32 v14, -v12, v13, 1.0
	s_delay_alu instid0(VALU_DEP_1) | instskip(NEXT) | instid1(VALU_DEP_1)
	v_fmac_f32_e32 v13, v14, v13
	v_mul_f32_e32 v14, v10, v13
	s_delay_alu instid0(VALU_DEP_1) | instskip(NEXT) | instid1(VALU_DEP_1)
	v_fma_f32 v15, -v12, v14, v10
	v_fmac_f32_e32 v14, v15, v13
	s_delay_alu instid0(VALU_DEP_1) | instskip(NEXT) | instid1(VALU_DEP_1)
	v_fma_f32 v10, -v12, v14, v10
	v_div_fmas_f32 v10, v10, v13, v14
	s_delay_alu instid0(VALU_DEP_1)
	v_div_fixup_f32 v10, v10, v11, |v7|
	v_bfi_b32 v11, 0x7fffffff, v8, v7
.LBB239_120:
	s_or_b32 exec_lo, exec_lo, s11
                                        ; implicit-def: $vgpr7
                                        ; implicit-def: $vgpr8
	s_and_saveexec_b32 s1, s0
	s_delay_alu instid0(SALU_CYCLE_1)
	s_xor_b32 s0, exec_lo, s1
	s_cbranch_execz .LBB239_122
; %bb.121:
	v_dual_mul_f32 v7, 0.5, v10 :: v_dual_mul_f32 v12, 0.5, v11
	s_delay_alu instid0(VALU_DEP_1) | instskip(NEXT) | instid1(VALU_DEP_2)
	v_cndmask_b32_e64 v8, v10, v7, s10
	v_cndmask_b32_e64 v7, v11, v12, s10
                                        ; implicit-def: $vgpr10
                                        ; implicit-def: $vgpr11
	s_and_not1_saveexec_b32 s0, s0
	s_cbranch_execnz .LBB239_123
	s_branch .LBB239_124
.LBB239_122:
	s_and_not1_saveexec_b32 s0, s0
.LBB239_123:
	v_dual_add_f32 v8, v10, v10 :: v_dual_add_f32 v7, v11, v11
.LBB239_124:
	s_or_b32 exec_lo, exec_lo, s0
                                        ; implicit-def: $vgpr10
.LBB239_125:
	s_and_not1_saveexec_b32 s0, s9
	s_cbranch_execz .LBB239_131
; %bb.126:
	v_cmp_lt_i16_e32 vcc_lo, -1, v10
	v_sub_f32_e32 v10, v7, v7
	s_and_saveexec_b32 s1, vcc_lo
	s_delay_alu instid0(SALU_CYCLE_1)
	s_xor_b32 s1, exec_lo, s1
; %bb.127:
	s_delay_alu instid0(VALU_DEP_1)
	v_bfi_b32 v7, 0x7fffffff, v10, v7
                                        ; implicit-def: $vgpr10
; %bb.128:
	s_and_not1_saveexec_b32 s1, s1
; %bb.129:
	v_and_b32_e32 v10, 0x7fffffff, v10
	s_delay_alu instid0(VALU_DEP_2) | instskip(NEXT) | instid1(VALU_DEP_2)
	v_bfi_b32 v7, 0x7fffffff, v8, v7
	v_mov_b32_e32 v8, v10
; %bb.130:
	s_or_b32 exec_lo, exec_lo, s1
.LBB239_131:
	s_delay_alu instid0(SALU_CYCLE_1)
	s_or_b32 exec_lo, exec_lo, s0
.LBB239_132:
	s_and_not1_saveexec_b32 s0, s8
; %bb.133:
	v_sub_f32_e32 v7, v7, v7
	s_delay_alu instid0(VALU_DEP_1) | instskip(NEXT) | instid1(VALU_DEP_1)
	v_div_scale_f32 v10, vcc_lo, v7, v7, v7
	v_rcp_f32_e32 v11, v10
	s_waitcnt_depctr 0xfff
	v_fma_f32 v12, -v10, v11, 1.0
	s_delay_alu instid0(VALU_DEP_1) | instskip(NEXT) | instid1(VALU_DEP_1)
	v_fmac_f32_e32 v11, v12, v11
	v_mul_f32_e32 v12, v10, v11
	s_delay_alu instid0(VALU_DEP_1) | instskip(NEXT) | instid1(VALU_DEP_1)
	v_fma_f32 v13, -v10, v12, v10
	v_fmac_f32_e32 v12, v13, v11
	s_delay_alu instid0(VALU_DEP_1) | instskip(NEXT) | instid1(VALU_DEP_1)
	v_fma_f32 v10, -v10, v12, v10
	v_div_fmas_f32 v10, v10, v11, v12
	s_delay_alu instid0(VALU_DEP_1)
	v_div_fixup_f32 v7, v10, v7, v7
; %bb.134:
	s_or_b32 exec_lo, exec_lo, s0
.LBB239_135:
	s_delay_alu instid0(SALU_CYCLE_1)
	s_or_b32 exec_lo, exec_lo, s3
.LBB239_136:
	s_delay_alu instid0(SALU_CYCLE_1) | instskip(SKIP_4) | instid1(VALU_DEP_2)
	s_or_b32 exec_lo, exec_lo, s2
	global_load_b32 v10, v6, s[6:7]
	s_waitcnt vmcnt(0)
	v_lshrrev_b32_e32 v6, 16, v10
	v_cmp_neq_f16_e32 vcc_lo, 0, v10
	v_cmp_neq_f16_e64 s0, 0, v6
	v_cvt_f32_f16_e32 v6, v6
	s_delay_alu instid0(VALU_DEP_2) | instskip(NEXT) | instid1(SALU_CYCLE_1)
	s_or_b32 s0, vcc_lo, s0
	s_and_saveexec_b32 s2, s0
	s_cbranch_execz .LBB239_166
; %bb.137:
	v_mov_b32_e32 v9, 0x7f800000
	s_mov_b32 s3, exec_lo
	v_cmpx_neq_f32_e64 0x7f800000, |v6|
	s_cbranch_execz .LBB239_165
; %bb.138:
	v_cvt_f32_f16_e32 v9, v10
	s_mov_b32 s0, exec_lo
	v_cmpx_o_f16_e32 v10, v10
	s_xor_b32 s8, exec_lo, s0
	s_cbranch_execz .LBB239_162
; %bb.139:
	s_mov_b32 s1, exec_lo
	v_cmpx_neq_f32_e64 0x7f800000, |v9|
	s_xor_b32 s9, exec_lo, s1
	s_cbranch_execz .LBB239_155
; %bb.140:
	v_max_f32_e64 v10, |v6|, |v6|
	v_max_f32_e64 v11, |v9|, |v9|
                                        ; implicit-def: $sgpr10
	s_delay_alu instid0(VALU_DEP_1) | instskip(NEXT) | instid1(VALU_DEP_1)
	v_max_f32_e32 v10, v11, v10
	v_cmp_nle_f32_e64 s0, 0x7ed413cb, v10
	s_delay_alu instid0(VALU_DEP_1) | instskip(NEXT) | instid1(SALU_CYCLE_1)
	s_and_saveexec_b32 s1, s0
	s_xor_b32 s1, exec_lo, s1
	s_cbranch_execz .LBB239_144
; %bb.141:
	v_cmp_ge_f32_e64 s10, 0x1000000, |v9|
	v_cmp_ge_f32_e64 s11, 0x1000000, |v6|
	s_delay_alu instid0(VALU_DEP_1)
	s_and_b32 s12, s10, s11
	s_mov_b32 s10, 0
	s_and_saveexec_b32 s11, s12
; %bb.142:
	v_dual_mul_f32 v9, 4.0, v9 :: v_dual_mul_f32 v6, 4.0, v6
	s_mov_b32 s10, exec_lo
; %bb.143:
	s_or_b32 exec_lo, exec_lo, s11
	s_delay_alu instid0(SALU_CYCLE_1)
	s_and_b32 s10, s10, exec_lo
.LBB239_144:
	s_and_not1_saveexec_b32 s1, s1
; %bb.145:
	v_dual_mul_f32 v9, 0x3e800000, v9 :: v_dual_mul_f32 v6, 0x3e800000, v6
	s_and_not1_b32 s10, s10, exec_lo
; %bb.146:
	s_or_b32 exec_lo, exec_lo, s1
	s_delay_alu instid0(VALU_DEP_1) | instskip(NEXT) | instid1(VALU_DEP_2)
	v_max_f32_e64 v10, |v6|, |v6|
	v_max_f32_e64 v11, |v9|, |v9|
	s_delay_alu instid0(VALU_DEP_1) | instskip(NEXT) | instid1(VALU_DEP_1)
	v_max_f32_e32 v12, v11, v10
	v_cvt_f64_f32_e32 v[10:11], v12
	s_delay_alu instid0(VALU_DEP_1) | instskip(NEXT) | instid1(VALU_DEP_1)
	v_frexp_exp_i32_f64_e32 v10, v[10:11]
	v_sub_nc_u32_e32 v11, 0, v10
	s_delay_alu instid0(VALU_DEP_1) | instskip(SKIP_1) | instid1(VALU_DEP_2)
	v_ldexp_f32 v13, |v6|, v11
	v_ldexp_f32 v11, |v9|, v11
	v_mul_f32_e32 v13, v13, v13
	v_cmp_neq_f32_e64 s1, 0x7f800000, v12
	s_delay_alu instid0(VALU_DEP_2) | instskip(NEXT) | instid1(VALU_DEP_1)
	v_fmac_f32_e32 v13, v11, v11
	v_sqrt_f32_e32 v11, v13
	s_waitcnt_depctr 0xfff
	v_ldexp_f32 v10, v11, v10
                                        ; implicit-def: $vgpr11
	s_delay_alu instid0(VALU_DEP_1)
	v_cndmask_b32_e64 v12, 0x7f800000, v10, s1
                                        ; implicit-def: $vgpr10
	s_mov_b32 s1, exec_lo
	v_cmpx_le_f32_e32 0, v9
	s_xor_b32 s11, exec_lo, s1
	s_cbranch_execz .LBB239_148
; %bb.147:
	v_add_f32_e32 v9, v9, v12
	s_delay_alu instid0(VALU_DEP_1) | instskip(NEXT) | instid1(VALU_DEP_1)
	v_mul_f32_e32 v9, 0.5, v9
	v_mul_f32_e32 v10, 0x4f800000, v9
	v_cmp_gt_f32_e32 vcc_lo, 0xf800000, v9
	s_delay_alu instid0(VALU_DEP_2) | instskip(NEXT) | instid1(VALU_DEP_1)
	v_cndmask_b32_e32 v9, v9, v10, vcc_lo
	v_sqrt_f32_e32 v10, v9
	s_waitcnt_depctr 0xfff
	v_add_nc_u32_e32 v11, -1, v10
	v_add_nc_u32_e32 v12, 1, v10
	s_delay_alu instid0(VALU_DEP_2) | instskip(NEXT) | instid1(VALU_DEP_2)
	v_fma_f32 v13, -v11, v10, v9
	v_fma_f32 v14, -v12, v10, v9
	s_delay_alu instid0(VALU_DEP_2) | instskip(NEXT) | instid1(VALU_DEP_1)
	v_cmp_ge_f32_e64 s1, 0, v13
	v_cndmask_b32_e64 v10, v10, v11, s1
	s_delay_alu instid0(VALU_DEP_3) | instskip(NEXT) | instid1(VALU_DEP_1)
	v_cmp_lt_f32_e64 s1, 0, v14
	v_cndmask_b32_e64 v10, v10, v12, s1
	s_delay_alu instid0(VALU_DEP_1) | instskip(NEXT) | instid1(VALU_DEP_1)
	v_mul_f32_e32 v11, 0x37800000, v10
	v_cndmask_b32_e32 v10, v10, v11, vcc_lo
	v_cmp_class_f32_e64 vcc_lo, v9, 0x260
	s_delay_alu instid0(VALU_DEP_2) | instskip(NEXT) | instid1(VALU_DEP_1)
	v_cndmask_b32_e32 v10, v10, v9, vcc_lo
	v_add_f32_e32 v9, v10, v10
	s_delay_alu instid0(VALU_DEP_1) | instskip(NEXT) | instid1(VALU_DEP_1)
	v_div_scale_f32 v11, null, v9, v9, v6
	v_rcp_f32_e32 v12, v11
	s_waitcnt_depctr 0xfff
	v_fma_f32 v13, -v11, v12, 1.0
	s_delay_alu instid0(VALU_DEP_1) | instskip(SKIP_1) | instid1(VALU_DEP_1)
	v_fmac_f32_e32 v12, v13, v12
	v_div_scale_f32 v13, vcc_lo, v6, v9, v6
	v_mul_f32_e32 v14, v13, v12
	s_delay_alu instid0(VALU_DEP_1) | instskip(NEXT) | instid1(VALU_DEP_1)
	v_fma_f32 v15, -v11, v14, v13
	v_fmac_f32_e32 v14, v15, v12
	s_delay_alu instid0(VALU_DEP_1) | instskip(NEXT) | instid1(VALU_DEP_1)
	v_fma_f32 v11, -v11, v14, v13
	v_div_fmas_f32 v11, v11, v12, v14
                                        ; implicit-def: $vgpr12
	s_delay_alu instid0(VALU_DEP_1)
	v_div_fixup_f32 v11, v11, v9, v6
                                        ; implicit-def: $vgpr9
                                        ; implicit-def: $vgpr6
	s_and_not1_saveexec_b32 s11, s11
	s_cbranch_execz .LBB239_150
	s_branch .LBB239_149
.LBB239_148:
	s_and_not1_saveexec_b32 s11, s11
	s_cbranch_execz .LBB239_150
.LBB239_149:
	v_sub_f32_e32 v9, v12, v9
	s_delay_alu instid0(VALU_DEP_1) | instskip(NEXT) | instid1(VALU_DEP_1)
	v_mul_f32_e32 v9, 0.5, v9
	v_mul_f32_e32 v10, 0x4f800000, v9
	v_cmp_gt_f32_e32 vcc_lo, 0xf800000, v9
	s_delay_alu instid0(VALU_DEP_2) | instskip(NEXT) | instid1(VALU_DEP_1)
	v_cndmask_b32_e32 v9, v9, v10, vcc_lo
	v_sqrt_f32_e32 v10, v9
	s_waitcnt_depctr 0xfff
	v_add_nc_u32_e32 v11, -1, v10
	v_add_nc_u32_e32 v12, 1, v10
	s_delay_alu instid0(VALU_DEP_2) | instskip(NEXT) | instid1(VALU_DEP_2)
	v_fma_f32 v13, -v11, v10, v9
	v_fma_f32 v14, -v12, v10, v9
	s_delay_alu instid0(VALU_DEP_2) | instskip(NEXT) | instid1(VALU_DEP_1)
	v_cmp_ge_f32_e64 s1, 0, v13
	v_cndmask_b32_e64 v10, v10, v11, s1
	s_delay_alu instid0(VALU_DEP_3) | instskip(NEXT) | instid1(VALU_DEP_1)
	v_cmp_lt_f32_e64 s1, 0, v14
	v_cndmask_b32_e64 v10, v10, v12, s1
	s_delay_alu instid0(VALU_DEP_1) | instskip(NEXT) | instid1(VALU_DEP_1)
	v_mul_f32_e32 v11, 0x37800000, v10
	v_cndmask_b32_e32 v10, v10, v11, vcc_lo
	v_cmp_class_f32_e64 vcc_lo, v9, 0x260
	s_delay_alu instid0(VALU_DEP_2) | instskip(NEXT) | instid1(VALU_DEP_1)
	v_dual_cndmask_b32 v9, v10, v9 :: v_dual_and_b32 v10, 0x7fffffff, v6
	v_add_f32_e32 v11, v9, v9
	s_delay_alu instid0(VALU_DEP_1) | instskip(SKIP_1) | instid1(VALU_DEP_2)
	v_div_scale_f32 v12, null, v11, v11, v10
	v_div_scale_f32 v10, vcc_lo, v10, v11, v10
	v_rcp_f32_e32 v13, v12
	s_waitcnt_depctr 0xfff
	v_fma_f32 v14, -v12, v13, 1.0
	s_delay_alu instid0(VALU_DEP_1) | instskip(NEXT) | instid1(VALU_DEP_1)
	v_fmac_f32_e32 v13, v14, v13
	v_mul_f32_e32 v14, v10, v13
	s_delay_alu instid0(VALU_DEP_1) | instskip(NEXT) | instid1(VALU_DEP_1)
	v_fma_f32 v15, -v12, v14, v10
	v_fmac_f32_e32 v14, v15, v13
	s_delay_alu instid0(VALU_DEP_1) | instskip(NEXT) | instid1(VALU_DEP_1)
	v_fma_f32 v10, -v12, v14, v10
	v_div_fmas_f32 v10, v10, v13, v14
	s_delay_alu instid0(VALU_DEP_1)
	v_div_fixup_f32 v10, v10, v11, |v6|
	v_bfi_b32 v11, 0x7fffffff, v9, v6
.LBB239_150:
	s_or_b32 exec_lo, exec_lo, s11
                                        ; implicit-def: $vgpr6
                                        ; implicit-def: $vgpr9
	s_and_saveexec_b32 s1, s0
	s_delay_alu instid0(SALU_CYCLE_1)
	s_xor_b32 s0, exec_lo, s1
	s_cbranch_execz .LBB239_152
; %bb.151:
	v_mul_f32_e32 v6, 0.5, v10
	v_mul_f32_e32 v12, 0.5, v11
	s_delay_alu instid0(VALU_DEP_2) | instskip(NEXT) | instid1(VALU_DEP_2)
	v_cndmask_b32_e64 v9, v10, v6, s10
	v_cndmask_b32_e64 v6, v11, v12, s10
                                        ; implicit-def: $vgpr10
                                        ; implicit-def: $vgpr11
	s_and_not1_saveexec_b32 s0, s0
	s_cbranch_execnz .LBB239_153
	s_branch .LBB239_154
.LBB239_152:
	s_and_not1_saveexec_b32 s0, s0
.LBB239_153:
	v_dual_add_f32 v9, v10, v10 :: v_dual_add_f32 v6, v11, v11
.LBB239_154:
	s_or_b32 exec_lo, exec_lo, s0
                                        ; implicit-def: $vgpr10
.LBB239_155:
	s_and_not1_saveexec_b32 s0, s9
	s_cbranch_execz .LBB239_161
; %bb.156:
	v_cmp_lt_i16_e32 vcc_lo, -1, v10
	v_sub_f32_e32 v10, v6, v6
	s_and_saveexec_b32 s1, vcc_lo
	s_delay_alu instid0(SALU_CYCLE_1)
	s_xor_b32 s1, exec_lo, s1
; %bb.157:
	s_delay_alu instid0(VALU_DEP_1)
	v_bfi_b32 v6, 0x7fffffff, v10, v6
                                        ; implicit-def: $vgpr10
; %bb.158:
	s_and_not1_saveexec_b32 s1, s1
; %bb.159:
	v_and_b32_e32 v10, 0x7fffffff, v10
	s_delay_alu instid0(VALU_DEP_2) | instskip(NEXT) | instid1(VALU_DEP_2)
	v_bfi_b32 v6, 0x7fffffff, v9, v6
	v_mov_b32_e32 v9, v10
; %bb.160:
	s_or_b32 exec_lo, exec_lo, s1
.LBB239_161:
	s_delay_alu instid0(SALU_CYCLE_1)
	s_or_b32 exec_lo, exec_lo, s0
.LBB239_162:
	s_and_not1_saveexec_b32 s0, s8
; %bb.163:
	v_sub_f32_e32 v6, v6, v6
	s_delay_alu instid0(VALU_DEP_1) | instskip(NEXT) | instid1(VALU_DEP_1)
	v_div_scale_f32 v10, vcc_lo, v6, v6, v6
	v_rcp_f32_e32 v11, v10
	s_waitcnt_depctr 0xfff
	v_fma_f32 v12, -v10, v11, 1.0
	s_delay_alu instid0(VALU_DEP_1) | instskip(NEXT) | instid1(VALU_DEP_1)
	v_fmac_f32_e32 v11, v12, v11
	v_mul_f32_e32 v12, v10, v11
	s_delay_alu instid0(VALU_DEP_1) | instskip(NEXT) | instid1(VALU_DEP_1)
	v_fma_f32 v13, -v10, v12, v10
	v_fmac_f32_e32 v12, v13, v11
	s_delay_alu instid0(VALU_DEP_1) | instskip(NEXT) | instid1(VALU_DEP_1)
	v_fma_f32 v10, -v10, v12, v10
	v_div_fmas_f32 v10, v10, v11, v12
	s_delay_alu instid0(VALU_DEP_1)
	v_div_fixup_f32 v6, v10, v6, v6
; %bb.164:
	s_or_b32 exec_lo, exec_lo, s0
.LBB239_165:
	s_delay_alu instid0(SALU_CYCLE_1)
	s_or_b32 exec_lo, exec_lo, s3
.LBB239_166:
	s_delay_alu instid0(SALU_CYCLE_1)
	s_or_b32 exec_lo, exec_lo, s2
	global_load_b32 v12, v5, s[6:7]
	v_mov_b32_e32 v11, 0
	s_waitcnt vmcnt(0)
	v_lshrrev_b32_e32 v10, 16, v12
	v_cmp_neq_f16_e32 vcc_lo, 0, v12
	s_delay_alu instid0(VALU_DEP_2) | instskip(SKIP_2) | instid1(VALU_DEP_3)
	v_cmp_neq_f16_e64 s0, 0, v10
	v_cvt_f32_f16_e32 v5, v10
	v_mov_b32_e32 v10, 0
	s_or_b32 s0, vcc_lo, s0
	s_delay_alu instid0(SALU_CYCLE_1)
	s_and_saveexec_b32 s2, s0
	s_cbranch_execz .LBB239_196
; %bb.167:
	v_mov_b32_e32 v11, 0x7f800000
	s_mov_b32 s3, exec_lo
	v_cmpx_neq_f32_e64 0x7f800000, |v5|
	s_cbranch_execz .LBB239_195
; %bb.168:
	v_cvt_f32_f16_e32 v11, v12
	s_mov_b32 s0, exec_lo
	v_cmpx_o_f16_e32 v12, v12
	s_xor_b32 s8, exec_lo, s0
	s_cbranch_execz .LBB239_192
; %bb.169:
	s_mov_b32 s1, exec_lo
	v_cmpx_neq_f32_e64 0x7f800000, |v11|
	s_xor_b32 s9, exec_lo, s1
	s_cbranch_execz .LBB239_185
; %bb.170:
	v_max_f32_e64 v12, |v5|, |v5|
	v_max_f32_e64 v13, |v11|, |v11|
                                        ; implicit-def: $sgpr10
	s_delay_alu instid0(VALU_DEP_1) | instskip(NEXT) | instid1(VALU_DEP_1)
	v_max_f32_e32 v12, v13, v12
	v_cmp_nle_f32_e64 s0, 0x7ed413cb, v12
	s_delay_alu instid0(VALU_DEP_1) | instskip(NEXT) | instid1(SALU_CYCLE_1)
	s_and_saveexec_b32 s1, s0
	s_xor_b32 s1, exec_lo, s1
	s_cbranch_execz .LBB239_174
; %bb.171:
	v_cmp_ge_f32_e64 s10, 0x1000000, |v11|
	v_cmp_ge_f32_e64 s11, 0x1000000, |v5|
	s_delay_alu instid0(VALU_DEP_1)
	s_and_b32 s12, s10, s11
	s_mov_b32 s10, 0
	s_and_saveexec_b32 s11, s12
; %bb.172:
	v_mul_f32_e32 v11, 4.0, v11
	v_mul_f32_e32 v5, 4.0, v5
	s_mov_b32 s10, exec_lo
; %bb.173:
	s_or_b32 exec_lo, exec_lo, s11
	s_delay_alu instid0(SALU_CYCLE_1)
	s_and_b32 s10, s10, exec_lo
.LBB239_174:
	s_and_not1_saveexec_b32 s1, s1
; %bb.175:
	v_mul_f32_e32 v11, 0x3e800000, v11
	v_mul_f32_e32 v5, 0x3e800000, v5
	s_and_not1_b32 s10, s10, exec_lo
; %bb.176:
	s_or_b32 exec_lo, exec_lo, s1
	s_delay_alu instid0(VALU_DEP_1) | instskip(SKIP_1) | instid1(VALU_DEP_1)
	v_max_f32_e64 v12, |v5|, |v5|
	v_max_f32_e64 v13, |v11|, |v11|
	v_max_f32_e32 v14, v13, v12
	s_delay_alu instid0(VALU_DEP_1) | instskip(NEXT) | instid1(VALU_DEP_1)
	v_cvt_f64_f32_e32 v[12:13], v14
	v_frexp_exp_i32_f64_e32 v12, v[12:13]
	s_delay_alu instid0(VALU_DEP_1) | instskip(NEXT) | instid1(VALU_DEP_1)
	v_sub_nc_u32_e32 v13, 0, v12
	v_ldexp_f32 v15, |v5|, v13
	v_ldexp_f32 v13, |v11|, v13
	s_delay_alu instid0(VALU_DEP_2) | instskip(SKIP_1) | instid1(VALU_DEP_2)
	v_mul_f32_e32 v15, v15, v15
	v_cmp_neq_f32_e64 s1, 0x7f800000, v14
	v_fmac_f32_e32 v15, v13, v13
	s_delay_alu instid0(VALU_DEP_1) | instskip(SKIP_2) | instid1(VALU_DEP_1)
	v_sqrt_f32_e32 v13, v15
	s_waitcnt_depctr 0xfff
	v_ldexp_f32 v12, v13, v12
                                        ; implicit-def: $vgpr13
	v_cndmask_b32_e64 v14, 0x7f800000, v12, s1
                                        ; implicit-def: $vgpr12
	s_mov_b32 s1, exec_lo
	v_cmpx_le_f32_e32 0, v11
	s_xor_b32 s11, exec_lo, s1
	s_cbranch_execz .LBB239_178
; %bb.177:
	v_add_f32_e32 v11, v11, v14
	s_delay_alu instid0(VALU_DEP_1) | instskip(NEXT) | instid1(VALU_DEP_1)
	v_mul_f32_e32 v11, 0.5, v11
	v_mul_f32_e32 v12, 0x4f800000, v11
	v_cmp_gt_f32_e32 vcc_lo, 0xf800000, v11
	s_delay_alu instid0(VALU_DEP_2) | instskip(NEXT) | instid1(VALU_DEP_1)
	v_cndmask_b32_e32 v11, v11, v12, vcc_lo
	v_sqrt_f32_e32 v12, v11
	s_waitcnt_depctr 0xfff
	v_add_nc_u32_e32 v13, -1, v12
	v_add_nc_u32_e32 v14, 1, v12
	s_delay_alu instid0(VALU_DEP_2) | instskip(NEXT) | instid1(VALU_DEP_2)
	v_fma_f32 v15, -v13, v12, v11
	v_fma_f32 v16, -v14, v12, v11
	s_delay_alu instid0(VALU_DEP_2) | instskip(NEXT) | instid1(VALU_DEP_1)
	v_cmp_ge_f32_e64 s1, 0, v15
	v_cndmask_b32_e64 v12, v12, v13, s1
	s_delay_alu instid0(VALU_DEP_3) | instskip(NEXT) | instid1(VALU_DEP_1)
	v_cmp_lt_f32_e64 s1, 0, v16
	v_cndmask_b32_e64 v12, v12, v14, s1
	s_delay_alu instid0(VALU_DEP_1) | instskip(NEXT) | instid1(VALU_DEP_1)
	v_mul_f32_e32 v13, 0x37800000, v12
	v_cndmask_b32_e32 v12, v12, v13, vcc_lo
	v_cmp_class_f32_e64 vcc_lo, v11, 0x260
	s_delay_alu instid0(VALU_DEP_2) | instskip(NEXT) | instid1(VALU_DEP_1)
	v_cndmask_b32_e32 v12, v12, v11, vcc_lo
	v_add_f32_e32 v11, v12, v12
	s_delay_alu instid0(VALU_DEP_1) | instskip(NEXT) | instid1(VALU_DEP_1)
	v_div_scale_f32 v13, null, v11, v11, v5
	v_rcp_f32_e32 v14, v13
	s_waitcnt_depctr 0xfff
	v_fma_f32 v15, -v13, v14, 1.0
	s_delay_alu instid0(VALU_DEP_1) | instskip(SKIP_1) | instid1(VALU_DEP_1)
	v_fmac_f32_e32 v14, v15, v14
	v_div_scale_f32 v15, vcc_lo, v5, v11, v5
	v_mul_f32_e32 v16, v15, v14
	s_delay_alu instid0(VALU_DEP_1) | instskip(NEXT) | instid1(VALU_DEP_1)
	v_fma_f32 v17, -v13, v16, v15
	v_fmac_f32_e32 v16, v17, v14
	s_delay_alu instid0(VALU_DEP_1) | instskip(NEXT) | instid1(VALU_DEP_1)
	v_fma_f32 v13, -v13, v16, v15
	v_div_fmas_f32 v13, v13, v14, v16
                                        ; implicit-def: $vgpr14
	s_delay_alu instid0(VALU_DEP_1)
	v_div_fixup_f32 v13, v13, v11, v5
                                        ; implicit-def: $vgpr11
                                        ; implicit-def: $vgpr5
	s_and_not1_saveexec_b32 s11, s11
	s_cbranch_execz .LBB239_180
	s_branch .LBB239_179
.LBB239_178:
	s_and_not1_saveexec_b32 s11, s11
	s_cbranch_execz .LBB239_180
.LBB239_179:
	v_sub_f32_e32 v11, v14, v11
	s_delay_alu instid0(VALU_DEP_1) | instskip(NEXT) | instid1(VALU_DEP_1)
	v_mul_f32_e32 v11, 0.5, v11
	v_mul_f32_e32 v12, 0x4f800000, v11
	v_cmp_gt_f32_e32 vcc_lo, 0xf800000, v11
	s_delay_alu instid0(VALU_DEP_2) | instskip(NEXT) | instid1(VALU_DEP_1)
	v_cndmask_b32_e32 v11, v11, v12, vcc_lo
	v_sqrt_f32_e32 v12, v11
	s_waitcnt_depctr 0xfff
	v_add_nc_u32_e32 v13, -1, v12
	v_add_nc_u32_e32 v14, 1, v12
	s_delay_alu instid0(VALU_DEP_2) | instskip(NEXT) | instid1(VALU_DEP_2)
	v_fma_f32 v15, -v13, v12, v11
	v_fma_f32 v16, -v14, v12, v11
	s_delay_alu instid0(VALU_DEP_2) | instskip(NEXT) | instid1(VALU_DEP_1)
	v_cmp_ge_f32_e64 s1, 0, v15
	v_cndmask_b32_e64 v12, v12, v13, s1
	s_delay_alu instid0(VALU_DEP_3) | instskip(NEXT) | instid1(VALU_DEP_1)
	v_cmp_lt_f32_e64 s1, 0, v16
	v_cndmask_b32_e64 v12, v12, v14, s1
	s_delay_alu instid0(VALU_DEP_1) | instskip(NEXT) | instid1(VALU_DEP_1)
	v_mul_f32_e32 v13, 0x37800000, v12
	v_cndmask_b32_e32 v12, v12, v13, vcc_lo
	v_cmp_class_f32_e64 vcc_lo, v11, 0x260
	s_delay_alu instid0(VALU_DEP_2) | instskip(NEXT) | instid1(VALU_DEP_1)
	v_dual_cndmask_b32 v11, v12, v11 :: v_dual_and_b32 v12, 0x7fffffff, v5
	v_add_f32_e32 v13, v11, v11
	s_delay_alu instid0(VALU_DEP_1) | instskip(SKIP_1) | instid1(VALU_DEP_2)
	v_div_scale_f32 v14, null, v13, v13, v12
	v_div_scale_f32 v12, vcc_lo, v12, v13, v12
	v_rcp_f32_e32 v15, v14
	s_waitcnt_depctr 0xfff
	v_fma_f32 v16, -v14, v15, 1.0
	s_delay_alu instid0(VALU_DEP_1) | instskip(NEXT) | instid1(VALU_DEP_1)
	v_fmac_f32_e32 v15, v16, v15
	v_mul_f32_e32 v16, v12, v15
	s_delay_alu instid0(VALU_DEP_1) | instskip(NEXT) | instid1(VALU_DEP_1)
	v_fma_f32 v17, -v14, v16, v12
	v_fmac_f32_e32 v16, v17, v15
	s_delay_alu instid0(VALU_DEP_1) | instskip(NEXT) | instid1(VALU_DEP_1)
	v_fma_f32 v12, -v14, v16, v12
	v_div_fmas_f32 v12, v12, v15, v16
	s_delay_alu instid0(VALU_DEP_1)
	v_div_fixup_f32 v12, v12, v13, |v5|
	v_bfi_b32 v13, 0x7fffffff, v11, v5
.LBB239_180:
	s_or_b32 exec_lo, exec_lo, s11
                                        ; implicit-def: $vgpr5
                                        ; implicit-def: $vgpr11
	s_and_saveexec_b32 s1, s0
	s_delay_alu instid0(SALU_CYCLE_1)
	s_xor_b32 s0, exec_lo, s1
	s_cbranch_execz .LBB239_182
; %bb.181:
	v_dual_mul_f32 v5, 0.5, v12 :: v_dual_mul_f32 v14, 0.5, v13
	s_delay_alu instid0(VALU_DEP_1) | instskip(NEXT) | instid1(VALU_DEP_2)
	v_cndmask_b32_e64 v11, v12, v5, s10
	v_cndmask_b32_e64 v5, v13, v14, s10
                                        ; implicit-def: $vgpr12
                                        ; implicit-def: $vgpr13
	s_and_not1_saveexec_b32 s0, s0
	s_cbranch_execnz .LBB239_183
	s_branch .LBB239_184
.LBB239_182:
	s_and_not1_saveexec_b32 s0, s0
.LBB239_183:
	v_add_f32_e32 v11, v12, v12
	v_add_f32_e32 v5, v13, v13
.LBB239_184:
	s_or_b32 exec_lo, exec_lo, s0
                                        ; implicit-def: $vgpr12
.LBB239_185:
	s_and_not1_saveexec_b32 s0, s9
	s_cbranch_execz .LBB239_191
; %bb.186:
	v_cmp_lt_i16_e32 vcc_lo, -1, v12
	v_sub_f32_e32 v12, v5, v5
	s_and_saveexec_b32 s1, vcc_lo
	s_delay_alu instid0(SALU_CYCLE_1)
	s_xor_b32 s1, exec_lo, s1
; %bb.187:
	s_delay_alu instid0(VALU_DEP_1)
	v_bfi_b32 v5, 0x7fffffff, v12, v5
                                        ; implicit-def: $vgpr12
; %bb.188:
	s_and_not1_saveexec_b32 s1, s1
; %bb.189:
	v_and_b32_e32 v12, 0x7fffffff, v12
	s_delay_alu instid0(VALU_DEP_2) | instskip(NEXT) | instid1(VALU_DEP_2)
	v_bfi_b32 v5, 0x7fffffff, v11, v5
	v_mov_b32_e32 v11, v12
; %bb.190:
	s_or_b32 exec_lo, exec_lo, s1
.LBB239_191:
	s_delay_alu instid0(SALU_CYCLE_1)
	s_or_b32 exec_lo, exec_lo, s0
.LBB239_192:
	s_and_not1_saveexec_b32 s0, s8
; %bb.193:
	v_sub_f32_e32 v5, v5, v5
	s_delay_alu instid0(VALU_DEP_1) | instskip(NEXT) | instid1(VALU_DEP_1)
	v_div_scale_f32 v12, vcc_lo, v5, v5, v5
	v_rcp_f32_e32 v13, v12
	s_waitcnt_depctr 0xfff
	v_fma_f32 v14, -v12, v13, 1.0
	s_delay_alu instid0(VALU_DEP_1) | instskip(NEXT) | instid1(VALU_DEP_1)
	v_fmac_f32_e32 v13, v14, v13
	v_mul_f32_e32 v14, v12, v13
	s_delay_alu instid0(VALU_DEP_1) | instskip(NEXT) | instid1(VALU_DEP_1)
	v_fma_f32 v15, -v12, v14, v12
	v_fmac_f32_e32 v14, v15, v13
	s_delay_alu instid0(VALU_DEP_1) | instskip(NEXT) | instid1(VALU_DEP_1)
	v_fma_f32 v12, -v12, v14, v12
	v_div_fmas_f32 v12, v12, v13, v14
	s_delay_alu instid0(VALU_DEP_1)
	v_div_fixup_f32 v5, v12, v5, v5
; %bb.194:
	s_or_b32 exec_lo, exec_lo, s0
.LBB239_195:
	s_delay_alu instid0(SALU_CYCLE_1)
	s_or_b32 exec_lo, exec_lo, s3
.LBB239_196:
	s_delay_alu instid0(SALU_CYCLE_1) | instskip(SKIP_4) | instid1(VALU_DEP_2)
	s_or_b32 exec_lo, exec_lo, s2
	global_load_b32 v12, v4, s[6:7]
	s_waitcnt vmcnt(0)
	v_lshrrev_b32_e32 v4, 16, v12
	v_cmp_neq_f16_e32 vcc_lo, 0, v12
	v_cmp_neq_f16_e64 s0, 0, v4
	v_cvt_f32_f16_e32 v4, v4
	s_delay_alu instid0(VALU_DEP_2) | instskip(NEXT) | instid1(SALU_CYCLE_1)
	s_or_b32 s0, vcc_lo, s0
	s_and_saveexec_b32 s2, s0
	s_cbranch_execz .LBB239_226
; %bb.197:
	v_mov_b32_e32 v10, 0x7f800000
	s_mov_b32 s3, exec_lo
	v_cmpx_neq_f32_e64 0x7f800000, |v4|
	s_cbranch_execz .LBB239_225
; %bb.198:
	v_cvt_f32_f16_e32 v10, v12
	s_mov_b32 s0, exec_lo
	v_cmpx_o_f16_e32 v12, v12
	s_xor_b32 s6, exec_lo, s0
	s_cbranch_execz .LBB239_222
; %bb.199:
	s_mov_b32 s1, exec_lo
	v_cmpx_neq_f32_e64 0x7f800000, |v10|
	s_xor_b32 s7, exec_lo, s1
	s_cbranch_execz .LBB239_215
; %bb.200:
	v_max_f32_e64 v12, |v4|, |v4|
	v_max_f32_e64 v13, |v10|, |v10|
                                        ; implicit-def: $sgpr8
	s_delay_alu instid0(VALU_DEP_1) | instskip(NEXT) | instid1(VALU_DEP_1)
	v_max_f32_e32 v12, v13, v12
	v_cmp_nle_f32_e64 s0, 0x7ed413cb, v12
	s_delay_alu instid0(VALU_DEP_1) | instskip(NEXT) | instid1(SALU_CYCLE_1)
	s_and_saveexec_b32 s1, s0
	s_xor_b32 s1, exec_lo, s1
	s_cbranch_execz .LBB239_204
; %bb.201:
	v_cmp_ge_f32_e64 s8, 0x1000000, |v10|
	v_cmp_ge_f32_e64 s9, 0x1000000, |v4|
	s_delay_alu instid0(VALU_DEP_1)
	s_and_b32 s10, s8, s9
	s_mov_b32 s8, 0
	s_and_saveexec_b32 s9, s10
; %bb.202:
	v_mul_f32_e32 v10, 4.0, v10
	v_mul_f32_e32 v4, 4.0, v4
	s_mov_b32 s8, exec_lo
; %bb.203:
	s_or_b32 exec_lo, exec_lo, s9
	s_delay_alu instid0(SALU_CYCLE_1)
	s_and_b32 s8, s8, exec_lo
.LBB239_204:
	s_and_not1_saveexec_b32 s1, s1
; %bb.205:
	v_mul_f32_e32 v10, 0x3e800000, v10
	v_mul_f32_e32 v4, 0x3e800000, v4
	s_and_not1_b32 s8, s8, exec_lo
; %bb.206:
	s_or_b32 exec_lo, exec_lo, s1
	s_delay_alu instid0(VALU_DEP_1) | instskip(SKIP_1) | instid1(VALU_DEP_1)
	v_max_f32_e64 v12, |v4|, |v4|
	v_max_f32_e64 v13, |v10|, |v10|
	v_max_f32_e32 v14, v13, v12
	s_delay_alu instid0(VALU_DEP_1) | instskip(NEXT) | instid1(VALU_DEP_1)
	v_cvt_f64_f32_e32 v[12:13], v14
	v_frexp_exp_i32_f64_e32 v12, v[12:13]
	s_delay_alu instid0(VALU_DEP_1) | instskip(NEXT) | instid1(VALU_DEP_1)
	v_sub_nc_u32_e32 v13, 0, v12
	v_ldexp_f32 v15, |v4|, v13
	v_ldexp_f32 v13, |v10|, v13
	s_delay_alu instid0(VALU_DEP_2) | instskip(SKIP_1) | instid1(VALU_DEP_2)
	v_mul_f32_e32 v15, v15, v15
	v_cmp_neq_f32_e64 s1, 0x7f800000, v14
	v_fmac_f32_e32 v15, v13, v13
	s_delay_alu instid0(VALU_DEP_1) | instskip(SKIP_2) | instid1(VALU_DEP_1)
	v_sqrt_f32_e32 v13, v15
	s_waitcnt_depctr 0xfff
	v_ldexp_f32 v12, v13, v12
                                        ; implicit-def: $vgpr13
	v_cndmask_b32_e64 v14, 0x7f800000, v12, s1
                                        ; implicit-def: $vgpr12
	s_mov_b32 s1, exec_lo
	v_cmpx_le_f32_e32 0, v10
	s_xor_b32 s9, exec_lo, s1
	s_cbranch_execz .LBB239_208
; %bb.207:
	v_add_f32_e32 v10, v10, v14
	s_delay_alu instid0(VALU_DEP_1) | instskip(NEXT) | instid1(VALU_DEP_1)
	v_mul_f32_e32 v10, 0.5, v10
	v_mul_f32_e32 v12, 0x4f800000, v10
	v_cmp_gt_f32_e32 vcc_lo, 0xf800000, v10
	s_delay_alu instid0(VALU_DEP_2) | instskip(NEXT) | instid1(VALU_DEP_1)
	v_cndmask_b32_e32 v10, v10, v12, vcc_lo
	v_sqrt_f32_e32 v12, v10
	s_waitcnt_depctr 0xfff
	v_add_nc_u32_e32 v13, -1, v12
	v_add_nc_u32_e32 v14, 1, v12
	s_delay_alu instid0(VALU_DEP_2) | instskip(NEXT) | instid1(VALU_DEP_2)
	v_fma_f32 v15, -v13, v12, v10
	v_fma_f32 v16, -v14, v12, v10
	s_delay_alu instid0(VALU_DEP_2) | instskip(NEXT) | instid1(VALU_DEP_1)
	v_cmp_ge_f32_e64 s1, 0, v15
	v_cndmask_b32_e64 v12, v12, v13, s1
	s_delay_alu instid0(VALU_DEP_3) | instskip(NEXT) | instid1(VALU_DEP_1)
	v_cmp_lt_f32_e64 s1, 0, v16
	v_cndmask_b32_e64 v12, v12, v14, s1
	s_delay_alu instid0(VALU_DEP_1) | instskip(NEXT) | instid1(VALU_DEP_1)
	v_mul_f32_e32 v13, 0x37800000, v12
	v_cndmask_b32_e32 v12, v12, v13, vcc_lo
	v_cmp_class_f32_e64 vcc_lo, v10, 0x260
	s_delay_alu instid0(VALU_DEP_2) | instskip(NEXT) | instid1(VALU_DEP_1)
	v_cndmask_b32_e32 v12, v12, v10, vcc_lo
	v_add_f32_e32 v10, v12, v12
	s_delay_alu instid0(VALU_DEP_1) | instskip(NEXT) | instid1(VALU_DEP_1)
	v_div_scale_f32 v13, null, v10, v10, v4
	v_rcp_f32_e32 v14, v13
	s_waitcnt_depctr 0xfff
	v_fma_f32 v15, -v13, v14, 1.0
	s_delay_alu instid0(VALU_DEP_1) | instskip(SKIP_1) | instid1(VALU_DEP_1)
	v_fmac_f32_e32 v14, v15, v14
	v_div_scale_f32 v15, vcc_lo, v4, v10, v4
	v_mul_f32_e32 v16, v15, v14
	s_delay_alu instid0(VALU_DEP_1) | instskip(NEXT) | instid1(VALU_DEP_1)
	v_fma_f32 v17, -v13, v16, v15
	v_fmac_f32_e32 v16, v17, v14
	s_delay_alu instid0(VALU_DEP_1) | instskip(NEXT) | instid1(VALU_DEP_1)
	v_fma_f32 v13, -v13, v16, v15
	v_div_fmas_f32 v13, v13, v14, v16
                                        ; implicit-def: $vgpr14
	s_delay_alu instid0(VALU_DEP_1)
	v_div_fixup_f32 v13, v13, v10, v4
                                        ; implicit-def: $vgpr10
                                        ; implicit-def: $vgpr4
	s_and_not1_saveexec_b32 s9, s9
	s_cbranch_execz .LBB239_210
	s_branch .LBB239_209
.LBB239_208:
	s_and_not1_saveexec_b32 s9, s9
	s_cbranch_execz .LBB239_210
.LBB239_209:
	v_sub_f32_e32 v10, v14, v10
	s_delay_alu instid0(VALU_DEP_1) | instskip(NEXT) | instid1(VALU_DEP_1)
	v_mul_f32_e32 v10, 0.5, v10
	v_mul_f32_e32 v12, 0x4f800000, v10
	v_cmp_gt_f32_e32 vcc_lo, 0xf800000, v10
	s_delay_alu instid0(VALU_DEP_2) | instskip(NEXT) | instid1(VALU_DEP_1)
	v_cndmask_b32_e32 v10, v10, v12, vcc_lo
	v_sqrt_f32_e32 v12, v10
	s_waitcnt_depctr 0xfff
	v_add_nc_u32_e32 v13, -1, v12
	v_add_nc_u32_e32 v14, 1, v12
	s_delay_alu instid0(VALU_DEP_2) | instskip(NEXT) | instid1(VALU_DEP_2)
	v_fma_f32 v15, -v13, v12, v10
	v_fma_f32 v16, -v14, v12, v10
	s_delay_alu instid0(VALU_DEP_2) | instskip(NEXT) | instid1(VALU_DEP_1)
	v_cmp_ge_f32_e64 s1, 0, v15
	v_cndmask_b32_e64 v12, v12, v13, s1
	s_delay_alu instid0(VALU_DEP_3) | instskip(NEXT) | instid1(VALU_DEP_1)
	v_cmp_lt_f32_e64 s1, 0, v16
	v_cndmask_b32_e64 v12, v12, v14, s1
	s_delay_alu instid0(VALU_DEP_1) | instskip(NEXT) | instid1(VALU_DEP_1)
	v_mul_f32_e32 v13, 0x37800000, v12
	v_cndmask_b32_e32 v12, v12, v13, vcc_lo
	v_cmp_class_f32_e64 vcc_lo, v10, 0x260
	s_delay_alu instid0(VALU_DEP_2) | instskip(NEXT) | instid1(VALU_DEP_1)
	v_cndmask_b32_e32 v10, v12, v10, vcc_lo
	v_dual_add_f32 v13, v10, v10 :: v_dual_and_b32 v12, 0x7fffffff, v4
	s_delay_alu instid0(VALU_DEP_1) | instskip(SKIP_1) | instid1(VALU_DEP_2)
	v_div_scale_f32 v14, null, v13, v13, v12
	v_div_scale_f32 v12, vcc_lo, v12, v13, v12
	v_rcp_f32_e32 v15, v14
	s_waitcnt_depctr 0xfff
	v_fma_f32 v16, -v14, v15, 1.0
	s_delay_alu instid0(VALU_DEP_1) | instskip(NEXT) | instid1(VALU_DEP_1)
	v_fmac_f32_e32 v15, v16, v15
	v_mul_f32_e32 v16, v12, v15
	s_delay_alu instid0(VALU_DEP_1) | instskip(NEXT) | instid1(VALU_DEP_1)
	v_fma_f32 v17, -v14, v16, v12
	v_fmac_f32_e32 v16, v17, v15
	s_delay_alu instid0(VALU_DEP_1) | instskip(NEXT) | instid1(VALU_DEP_1)
	v_fma_f32 v12, -v14, v16, v12
	v_div_fmas_f32 v12, v12, v15, v16
	s_delay_alu instid0(VALU_DEP_1)
	v_div_fixup_f32 v12, v12, v13, |v4|
	v_bfi_b32 v13, 0x7fffffff, v10, v4
.LBB239_210:
	s_or_b32 exec_lo, exec_lo, s9
                                        ; implicit-def: $vgpr4
                                        ; implicit-def: $vgpr10
	s_and_saveexec_b32 s1, s0
	s_delay_alu instid0(SALU_CYCLE_1)
	s_xor_b32 s0, exec_lo, s1
	s_cbranch_execz .LBB239_212
; %bb.211:
	v_mul_f32_e32 v4, 0.5, v12
	v_mul_f32_e32 v14, 0.5, v13
	s_delay_alu instid0(VALU_DEP_2) | instskip(NEXT) | instid1(VALU_DEP_2)
	v_cndmask_b32_e64 v10, v12, v4, s8
	v_cndmask_b32_e64 v4, v13, v14, s8
                                        ; implicit-def: $vgpr12
                                        ; implicit-def: $vgpr13
	s_and_not1_saveexec_b32 s0, s0
	s_cbranch_execnz .LBB239_213
	s_branch .LBB239_214
.LBB239_212:
	s_and_not1_saveexec_b32 s0, s0
.LBB239_213:
	v_add_f32_e32 v10, v12, v12
	v_add_f32_e32 v4, v13, v13
.LBB239_214:
	s_or_b32 exec_lo, exec_lo, s0
                                        ; implicit-def: $vgpr12
.LBB239_215:
	s_and_not1_saveexec_b32 s0, s7
	s_cbranch_execz .LBB239_221
; %bb.216:
	v_cmp_lt_i16_e32 vcc_lo, -1, v12
	v_sub_f32_e32 v12, v4, v4
	s_and_saveexec_b32 s1, vcc_lo
	s_delay_alu instid0(SALU_CYCLE_1)
	s_xor_b32 s1, exec_lo, s1
; %bb.217:
	s_delay_alu instid0(VALU_DEP_1)
	v_bfi_b32 v4, 0x7fffffff, v12, v4
                                        ; implicit-def: $vgpr12
; %bb.218:
	s_and_not1_saveexec_b32 s1, s1
; %bb.219:
	v_and_b32_e32 v12, 0x7fffffff, v12
	s_delay_alu instid0(VALU_DEP_2) | instskip(NEXT) | instid1(VALU_DEP_2)
	v_bfi_b32 v4, 0x7fffffff, v10, v4
	v_mov_b32_e32 v10, v12
; %bb.220:
	s_or_b32 exec_lo, exec_lo, s1
.LBB239_221:
	s_delay_alu instid0(SALU_CYCLE_1)
	s_or_b32 exec_lo, exec_lo, s0
.LBB239_222:
	s_and_not1_saveexec_b32 s0, s6
; %bb.223:
	v_sub_f32_e32 v4, v4, v4
	s_delay_alu instid0(VALU_DEP_1) | instskip(NEXT) | instid1(VALU_DEP_1)
	v_div_scale_f32 v12, vcc_lo, v4, v4, v4
	v_rcp_f32_e32 v13, v12
	s_waitcnt_depctr 0xfff
	v_fma_f32 v14, -v12, v13, 1.0
	s_delay_alu instid0(VALU_DEP_1) | instskip(NEXT) | instid1(VALU_DEP_1)
	v_fmac_f32_e32 v13, v14, v13
	v_mul_f32_e32 v14, v12, v13
	s_delay_alu instid0(VALU_DEP_1) | instskip(NEXT) | instid1(VALU_DEP_1)
	v_fma_f32 v15, -v12, v14, v12
	v_fmac_f32_e32 v14, v15, v13
	s_delay_alu instid0(VALU_DEP_1) | instskip(NEXT) | instid1(VALU_DEP_1)
	v_fma_f32 v12, -v12, v14, v12
	v_div_fmas_f32 v12, v12, v13, v14
	s_delay_alu instid0(VALU_DEP_1)
	v_div_fixup_f32 v4, v12, v4, v4
; %bb.224:
	s_or_b32 exec_lo, exec_lo, s0
.LBB239_225:
	s_delay_alu instid0(SALU_CYCLE_1)
	s_or_b32 exec_lo, exec_lo, s3
.LBB239_226:
	s_delay_alu instid0(SALU_CYCLE_1)
	s_or_b32 exec_lo, exec_lo, s2
	v_cvt_f16_f32_e32 v7, v7
	v_cvt_f16_f32_e32 v8, v8
	;; [unrolled: 1-line block ×8, first 2 shown]
	v_lshlrev_b32_e32 v7, 16, v7
	v_and_b32_e32 v8, 0xffff, v8
	v_lshlrev_b32_e32 v6, 16, v6
	v_and_b32_e32 v9, 0xffff, v9
	;; [unrolled: 2-line block ×4, first 2 shown]
	v_or_b32_e32 v7, v7, v8
	v_or_b32_e32 v6, v6, v9
	;; [unrolled: 1-line block ×3, first 2 shown]
	s_delay_alu instid0(VALU_DEP_4)
	v_or_b32_e32 v4, v4, v10
	s_clause 0x3
	global_store_b32 v0, v7, s[4:5]
	global_store_b32 v1, v6, s[4:5]
	;; [unrolled: 1-line block ×4, first 2 shown]
	s_nop 0
	s_sendmsg sendmsg(MSG_DEALLOC_VGPRS)
	s_endpgm
.LBB239_227:
	s_and_not1_saveexec_b32 s35, s35
	s_cbranch_execz .LBB239_229
.LBB239_228:
	v_sub_f32_e32 v3, v6, v3
	s_delay_alu instid0(VALU_DEP_1) | instskip(NEXT) | instid1(VALU_DEP_1)
	v_mul_f32_e32 v3, 0.5, v3
	v_mul_f32_e32 v4, 0x4f800000, v3
	v_cmp_gt_f32_e32 vcc_lo, 0xf800000, v3
	s_delay_alu instid0(VALU_DEP_2) | instskip(NEXT) | instid1(VALU_DEP_1)
	v_cndmask_b32_e32 v3, v3, v4, vcc_lo
	v_sqrt_f32_e32 v4, v3
	s_waitcnt_depctr 0xfff
	v_add_nc_u32_e32 v5, -1, v4
	v_add_nc_u32_e32 v6, 1, v4
	s_delay_alu instid0(VALU_DEP_2) | instskip(NEXT) | instid1(VALU_DEP_2)
	v_fma_f32 v7, -v5, v4, v3
	v_fma_f32 v8, -v6, v4, v3
	s_delay_alu instid0(VALU_DEP_2) | instskip(NEXT) | instid1(VALU_DEP_1)
	v_cmp_ge_f32_e64 s3, 0, v7
	v_cndmask_b32_e64 v4, v4, v5, s3
	s_delay_alu instid0(VALU_DEP_3) | instskip(NEXT) | instid1(VALU_DEP_1)
	v_cmp_lt_f32_e64 s3, 0, v8
	v_cndmask_b32_e64 v4, v4, v6, s3
	s_delay_alu instid0(VALU_DEP_1) | instskip(NEXT) | instid1(VALU_DEP_1)
	v_mul_f32_e32 v5, 0x37800000, v4
	v_cndmask_b32_e32 v4, v4, v5, vcc_lo
	v_cmp_class_f32_e64 vcc_lo, v3, 0x260
	s_delay_alu instid0(VALU_DEP_2) | instskip(NEXT) | instid1(VALU_DEP_1)
	v_dual_cndmask_b32 v3, v4, v3 :: v_dual_and_b32 v4, 0x7fffffff, v1
	v_add_f32_e32 v5, v3, v3
	s_delay_alu instid0(VALU_DEP_1) | instskip(SKIP_1) | instid1(VALU_DEP_2)
	v_div_scale_f32 v6, null, v5, v5, v4
	v_div_scale_f32 v4, vcc_lo, v4, v5, v4
	v_rcp_f32_e32 v7, v6
	s_waitcnt_depctr 0xfff
	v_fma_f32 v8, -v6, v7, 1.0
	s_delay_alu instid0(VALU_DEP_1) | instskip(NEXT) | instid1(VALU_DEP_1)
	v_fmac_f32_e32 v7, v8, v7
	v_mul_f32_e32 v8, v4, v7
	s_delay_alu instid0(VALU_DEP_1) | instskip(NEXT) | instid1(VALU_DEP_1)
	v_fma_f32 v9, -v6, v8, v4
	v_fmac_f32_e32 v8, v9, v7
	s_delay_alu instid0(VALU_DEP_1) | instskip(NEXT) | instid1(VALU_DEP_1)
	v_fma_f32 v4, -v6, v8, v4
	v_div_fmas_f32 v4, v4, v7, v8
	s_delay_alu instid0(VALU_DEP_1)
	v_div_fixup_f32 v4, v4, v5, |v1|
	v_bfi_b32 v5, 0x7fffffff, v3, v1
.LBB239_229:
	s_or_b32 exec_lo, exec_lo, s35
                                        ; implicit-def: $vgpr1
                                        ; implicit-def: $vgpr3
	s_and_saveexec_b32 s3, s2
	s_delay_alu instid0(SALU_CYCLE_1)
	s_xor_b32 s2, exec_lo, s3
	s_cbranch_execz .LBB239_235
; %bb.230:
	v_dual_mul_f32 v1, 0.5, v4 :: v_dual_mul_f32 v6, 0.5, v5
	s_delay_alu instid0(VALU_DEP_1) | instskip(NEXT) | instid1(VALU_DEP_2)
	v_cndmask_b32_e64 v3, v4, v1, s34
	v_cndmask_b32_e64 v1, v5, v6, s34
                                        ; implicit-def: $vgpr4
                                        ; implicit-def: $vgpr5
	s_and_not1_saveexec_b32 s2, s2
	s_cbranch_execnz .LBB239_236
	s_branch .LBB239_237
.LBB239_231:
	s_and_not1_saveexec_b32 s35, s35
	s_cbranch_execz .LBB239_233
.LBB239_232:
	v_sub_f32_e32 v3, v6, v3
	s_delay_alu instid0(VALU_DEP_1) | instskip(NEXT) | instid1(VALU_DEP_1)
	v_mul_f32_e32 v3, 0.5, v3
	v_mul_f32_e32 v4, 0x4f800000, v3
	v_cmp_gt_f32_e32 vcc_lo, 0xf800000, v3
	s_delay_alu instid0(VALU_DEP_2) | instskip(NEXT) | instid1(VALU_DEP_1)
	v_cndmask_b32_e32 v3, v3, v4, vcc_lo
	v_sqrt_f32_e32 v4, v3
	s_waitcnt_depctr 0xfff
	v_add_nc_u32_e32 v5, -1, v4
	v_add_nc_u32_e32 v6, 1, v4
	s_delay_alu instid0(VALU_DEP_2) | instskip(NEXT) | instid1(VALU_DEP_2)
	v_fma_f32 v7, -v5, v4, v3
	v_fma_f32 v8, -v6, v4, v3
	s_delay_alu instid0(VALU_DEP_2) | instskip(NEXT) | instid1(VALU_DEP_1)
	v_cmp_ge_f32_e64 s3, 0, v7
	v_cndmask_b32_e64 v4, v4, v5, s3
	s_delay_alu instid0(VALU_DEP_3) | instskip(NEXT) | instid1(VALU_DEP_1)
	v_cmp_lt_f32_e64 s3, 0, v8
	v_cndmask_b32_e64 v4, v4, v6, s3
	s_delay_alu instid0(VALU_DEP_1) | instskip(NEXT) | instid1(VALU_DEP_1)
	v_mul_f32_e32 v5, 0x37800000, v4
	v_cndmask_b32_e32 v4, v4, v5, vcc_lo
	v_cmp_class_f32_e64 vcc_lo, v3, 0x260
	s_delay_alu instid0(VALU_DEP_2) | instskip(NEXT) | instid1(VALU_DEP_1)
	v_dual_cndmask_b32 v3, v4, v3 :: v_dual_and_b32 v4, 0x7fffffff, v1
	v_add_f32_e32 v5, v3, v3
	s_delay_alu instid0(VALU_DEP_1) | instskip(SKIP_1) | instid1(VALU_DEP_2)
	v_div_scale_f32 v6, null, v5, v5, v4
	v_div_scale_f32 v4, vcc_lo, v4, v5, v4
	v_rcp_f32_e32 v7, v6
	s_waitcnt_depctr 0xfff
	v_fma_f32 v8, -v6, v7, 1.0
	s_delay_alu instid0(VALU_DEP_1) | instskip(NEXT) | instid1(VALU_DEP_1)
	v_fmac_f32_e32 v7, v8, v7
	v_mul_f32_e32 v8, v4, v7
	s_delay_alu instid0(VALU_DEP_1) | instskip(NEXT) | instid1(VALU_DEP_1)
	v_fma_f32 v9, -v6, v8, v4
	v_fmac_f32_e32 v8, v9, v7
	s_delay_alu instid0(VALU_DEP_1) | instskip(NEXT) | instid1(VALU_DEP_1)
	v_fma_f32 v4, -v6, v8, v4
	v_div_fmas_f32 v4, v4, v7, v8
	s_delay_alu instid0(VALU_DEP_1)
	v_div_fixup_f32 v4, v4, v5, |v1|
	v_bfi_b32 v5, 0x7fffffff, v3, v1
.LBB239_233:
	s_or_b32 exec_lo, exec_lo, s35
                                        ; implicit-def: $vgpr1
                                        ; implicit-def: $vgpr3
	s_and_saveexec_b32 s3, s2
	s_delay_alu instid0(SALU_CYCLE_1)
	s_xor_b32 s2, exec_lo, s3
	s_cbranch_execz .LBB239_276
; %bb.234:
	v_dual_mul_f32 v1, 0.5, v4 :: v_dual_mul_f32 v6, 0.5, v5
	s_delay_alu instid0(VALU_DEP_1) | instskip(NEXT) | instid1(VALU_DEP_2)
	v_cndmask_b32_e64 v3, v4, v1, s34
	v_cndmask_b32_e64 v1, v5, v6, s34
                                        ; implicit-def: $vgpr4
                                        ; implicit-def: $vgpr5
	s_and_not1_saveexec_b32 s2, s2
	s_cbranch_execnz .LBB239_277
	s_branch .LBB239_278
.LBB239_235:
	s_and_not1_saveexec_b32 s2, s2
.LBB239_236:
	v_add_f32_e32 v3, v4, v4
	v_add_f32_e32 v1, v5, v5
.LBB239_237:
	s_or_b32 exec_lo, exec_lo, s2
                                        ; implicit-def: $vgpr4
.LBB239_238:
	s_and_not1_saveexec_b32 s2, s33
	s_cbranch_execz .LBB239_244
; %bb.239:
	v_cmp_lt_i16_e32 vcc_lo, -1, v4
	v_sub_f32_e32 v4, v1, v1
	s_and_saveexec_b32 s3, vcc_lo
	s_delay_alu instid0(SALU_CYCLE_1)
	s_xor_b32 s3, exec_lo, s3
; %bb.240:
	s_delay_alu instid0(VALU_DEP_1)
	v_bfi_b32 v1, 0x7fffffff, v4, v1
                                        ; implicit-def: $vgpr4
; %bb.241:
	s_and_not1_saveexec_b32 s3, s3
; %bb.242:
	v_and_b32_e32 v4, 0x7fffffff, v4
	s_delay_alu instid0(VALU_DEP_2) | instskip(NEXT) | instid1(VALU_DEP_2)
	v_bfi_b32 v1, 0x7fffffff, v3, v1
	v_mov_b32_e32 v3, v4
; %bb.243:
	s_or_b32 exec_lo, exec_lo, s3
.LBB239_244:
	s_delay_alu instid0(SALU_CYCLE_1)
	s_or_b32 exec_lo, exec_lo, s2
.LBB239_245:
	s_and_not1_saveexec_b32 s2, s31
; %bb.246:
	v_sub_f32_e32 v1, v1, v1
	s_delay_alu instid0(VALU_DEP_1) | instskip(NEXT) | instid1(VALU_DEP_1)
	v_div_scale_f32 v4, vcc_lo, v1, v1, v1
	v_rcp_f32_e32 v5, v4
	s_waitcnt_depctr 0xfff
	v_fma_f32 v6, -v4, v5, 1.0
	s_delay_alu instid0(VALU_DEP_1) | instskip(NEXT) | instid1(VALU_DEP_1)
	v_fmac_f32_e32 v5, v6, v5
	v_mul_f32_e32 v6, v4, v5
	s_delay_alu instid0(VALU_DEP_1) | instskip(NEXT) | instid1(VALU_DEP_1)
	v_fma_f32 v7, -v4, v6, v4
	v_fmac_f32_e32 v6, v7, v5
	s_delay_alu instid0(VALU_DEP_1) | instskip(NEXT) | instid1(VALU_DEP_1)
	v_fma_f32 v4, -v4, v6, v4
	v_div_fmas_f32 v4, v4, v5, v6
	s_delay_alu instid0(VALU_DEP_1)
	v_div_fixup_f32 v1, v4, v1, v1
; %bb.247:
	s_or_b32 exec_lo, exec_lo, s2
.LBB239_248:
	s_delay_alu instid0(SALU_CYCLE_1)
	s_or_b32 exec_lo, exec_lo, s21
.LBB239_249:
	s_delay_alu instid0(SALU_CYCLE_1) | instskip(NEXT) | instid1(VALU_DEP_1)
	s_or_b32 exec_lo, exec_lo, s20
	v_cvt_f16_f32_e32 v1, v1
	v_cvt_f16_f32_e32 v3, v3
	v_add_nc_u32_e32 v2, 0x80, v2
	s_delay_alu instid0(VALU_DEP_3) | instskip(NEXT) | instid1(VALU_DEP_3)
	v_lshlrev_b32_e32 v1, 16, v1
	v_and_b32_e32 v3, 0xffff, v3
	s_delay_alu instid0(VALU_DEP_1) | instskip(SKIP_2) | instid1(SALU_CYCLE_1)
	v_or_b32_e32 v1, v1, v3
	global_store_b32 v0, v1, s[4:5]
	s_or_b32 exec_lo, exec_lo, s30
	s_mov_b32 s30, exec_lo
	v_cmpx_gt_i32_e64 s27, v2
	s_cbranch_execnz .LBB239_15
.LBB239_250:
	s_or_b32 exec_lo, exec_lo, s30
	s_delay_alu instid0(SALU_CYCLE_1)
	s_mov_b32 s30, exec_lo
	v_cmpx_gt_i32_e64 s27, v2
	s_cbranch_execz .LBB239_291
.LBB239_251:
	s_and_not1_b32 vcc_lo, exec_lo, s24
	s_cbranch_vccnz .LBB239_256
; %bb.252:
	v_dual_mov_b32 v0, 0 :: v_dual_mov_b32 v1, 0
	s_and_not1_b32 vcc_lo, exec_lo, s29
	s_mov_b32 s31, 0
	s_cbranch_vccnz .LBB239_261
; %bb.253:
	v_mov_b32_e32 v0, 0
	s_add_i32 s34, s28, 1
	s_cmp_eq_u32 s23, 2
	s_mov_b32 s33, 0
	s_cbranch_scc1 .LBB239_257
; %bb.254:
	v_dual_mov_b32 v1, 0 :: v_dual_mov_b32 v0, 0
	v_mov_b32_e32 v3, v2
	s_and_b32 s33, s34, 28
	s_mov_b32 s35, 0
	s_mov_b64 s[2:3], s[18:19]
	s_mov_b64 s[20:21], s[0:1]
.LBB239_255:                            ; =>This Inner Loop Header: Depth=1
	s_clause 0x1
	s_load_b256 s[36:43], s[20:21], 0x4
	s_load_b128 s[52:55], s[20:21], 0x24
	s_load_b256 s[44:51], s[2:3], 0x0
	s_add_u32 s20, s20, 48
	s_addc_u32 s21, s21, 0
	s_add_i32 s35, s35, 4
	s_add_u32 s2, s2, 32
	s_addc_u32 s3, s3, 0
	s_cmp_eq_u32 s33, s35
	s_waitcnt lgkmcnt(0)
	v_mul_hi_u32 v4, s37, v3
	s_delay_alu instid0(VALU_DEP_1) | instskip(NEXT) | instid1(VALU_DEP_1)
	v_add_nc_u32_e32 v4, v3, v4
	v_lshrrev_b32_e32 v4, s38, v4
	s_delay_alu instid0(VALU_DEP_1) | instskip(SKIP_1) | instid1(VALU_DEP_2)
	v_mul_hi_u32 v5, s40, v4
	v_mul_lo_u32 v7, v4, s36
	v_add_nc_u32_e32 v5, v4, v5
	s_delay_alu instid0(VALU_DEP_2) | instskip(NEXT) | instid1(VALU_DEP_2)
	v_sub_nc_u32_e32 v3, v3, v7
	v_lshrrev_b32_e32 v5, s41, v5
	s_delay_alu instid0(VALU_DEP_2) | instskip(SKIP_1) | instid1(VALU_DEP_3)
	v_mul_lo_u32 v7, v3, s44
	v_mul_lo_u32 v9, v3, s45
	v_mul_hi_u32 v6, s43, v5
	s_delay_alu instid0(VALU_DEP_1) | instskip(NEXT) | instid1(VALU_DEP_1)
	v_add_nc_u32_e32 v6, v5, v6
	v_lshrrev_b32_e32 v6, s52, v6
	s_delay_alu instid0(VALU_DEP_1) | instskip(SKIP_1) | instid1(VALU_DEP_2)
	v_mul_hi_u32 v8, s54, v6
	v_mul_lo_u32 v10, v6, s42
	v_add_nc_u32_e32 v3, v6, v8
	v_mul_lo_u32 v8, v5, s39
	s_delay_alu instid0(VALU_DEP_3) | instskip(NEXT) | instid1(VALU_DEP_3)
	v_sub_nc_u32_e32 v5, v5, v10
	v_lshrrev_b32_e32 v3, s55, v3
	s_delay_alu instid0(VALU_DEP_2) | instskip(SKIP_2) | instid1(VALU_DEP_4)
	v_mul_lo_u32 v10, v5, s48
	v_mul_lo_u32 v5, v5, s49
	v_sub_nc_u32_e32 v4, v4, v8
	v_mul_lo_u32 v11, v3, s53
	s_delay_alu instid0(VALU_DEP_2) | instskip(SKIP_1) | instid1(VALU_DEP_3)
	v_mul_lo_u32 v8, v4, s46
	v_mul_lo_u32 v4, v4, s47
	v_sub_nc_u32_e32 v6, v6, v11
	s_delay_alu instid0(VALU_DEP_3) | instskip(NEXT) | instid1(VALU_DEP_2)
	v_add3_u32 v0, v7, v0, v8
	v_mul_lo_u32 v11, v6, s50
	v_mul_lo_u32 v6, v6, s51
	v_add3_u32 v1, v9, v1, v4
	s_delay_alu instid0(VALU_DEP_3) | instskip(NEXT) | instid1(VALU_DEP_2)
	v_add3_u32 v0, v10, v0, v11
	v_add3_u32 v1, v5, v1, v6
	s_cbranch_scc0 .LBB239_255
	s_branch .LBB239_258
.LBB239_256:
	s_mov_b32 s31, -1
                                        ; implicit-def: $vgpr0
                                        ; implicit-def: $vgpr1
	s_branch .LBB239_261
.LBB239_257:
	v_mov_b32_e32 v3, v2
	v_mov_b32_e32 v1, 0
.LBB239_258:
	s_and_b32 s34, s34, 3
	s_delay_alu instid0(SALU_CYCLE_1)
	s_cmp_eq_u32 s34, 0
	s_cbranch_scc1 .LBB239_261
; %bb.259:
	s_lshl_b32 s2, s33, 3
	s_mul_i32 s20, s33, 12
	s_add_u32 s2, s2, s0
	s_addc_u32 s3, s1, 0
	s_add_u32 s2, s2, 0xc4
	s_addc_u32 s3, s3, 0
	s_add_u32 s20, s0, s20
	s_addc_u32 s21, s1, 0
	.p2align	6
.LBB239_260:                            ; =>This Inner Loop Header: Depth=1
	s_clause 0x1
	s_load_b64 s[36:37], s[20:21], 0x4
	s_load_b32 s33, s[20:21], 0xc
	s_load_b64 s[38:39], s[2:3], 0x0
	s_add_u32 s20, s20, 12
	s_addc_u32 s21, s21, 0
	s_add_u32 s2, s2, 8
	s_addc_u32 s3, s3, 0
	s_add_i32 s34, s34, -1
	s_delay_alu instid0(SALU_CYCLE_1) | instskip(SKIP_2) | instid1(VALU_DEP_1)
	s_cmp_lg_u32 s34, 0
	s_waitcnt lgkmcnt(0)
	v_mul_hi_u32 v4, s37, v3
	v_add_nc_u32_e32 v4, v3, v4
	s_delay_alu instid0(VALU_DEP_1) | instskip(NEXT) | instid1(VALU_DEP_1)
	v_lshrrev_b32_e32 v7, s33, v4
	v_mul_lo_u32 v4, v7, s36
	s_delay_alu instid0(VALU_DEP_1) | instskip(NEXT) | instid1(VALU_DEP_1)
	v_sub_nc_u32_e32 v3, v3, v4
	v_mad_u64_u32 v[4:5], null, v3, s38, v[0:1]
	v_mad_u64_u32 v[5:6], null, v3, s39, v[1:2]
	s_delay_alu instid0(VALU_DEP_2) | instskip(NEXT) | instid1(VALU_DEP_2)
	v_dual_mov_b32 v3, v7 :: v_dual_mov_b32 v0, v4
	v_mov_b32_e32 v1, v5
	s_cbranch_scc1 .LBB239_260
.LBB239_261:
	s_and_not1_b32 vcc_lo, exec_lo, s31
	s_cbranch_vccnz .LBB239_264
; %bb.262:
	s_waitcnt lgkmcnt(0)
	v_mul_hi_u32 v0, s13, v2
	s_and_not1_b32 vcc_lo, exec_lo, s26
	s_delay_alu instid0(VALU_DEP_1) | instskip(NEXT) | instid1(VALU_DEP_1)
	v_add_nc_u32_e32 v0, v2, v0
	v_lshrrev_b32_e32 v3, s14, v0
	s_delay_alu instid0(VALU_DEP_1) | instskip(NEXT) | instid1(VALU_DEP_1)
	v_mul_lo_u32 v0, v3, s12
	v_sub_nc_u32_e32 v1, v2, v0
	s_delay_alu instid0(VALU_DEP_1)
	v_mul_lo_u32 v0, v1, s8
	v_mul_lo_u32 v1, v1, s9
	s_cbranch_vccnz .LBB239_264
; %bb.263:
	v_mul_hi_u32 v4, s16, v3
	s_delay_alu instid0(VALU_DEP_1) | instskip(NEXT) | instid1(VALU_DEP_1)
	v_add_nc_u32_e32 v4, v3, v4
	v_lshrrev_b32_e32 v4, s17, v4
	s_delay_alu instid0(VALU_DEP_1) | instskip(NEXT) | instid1(VALU_DEP_1)
	v_mul_lo_u32 v4, v4, s15
	v_sub_nc_u32_e32 v6, v3, v4
	s_delay_alu instid0(VALU_DEP_1) | instskip(SKIP_1) | instid1(VALU_DEP_1)
	v_mad_u64_u32 v[3:4], null, v6, s10, v[0:1]
	v_mad_u64_u32 v[4:5], null, v6, s11, v[1:2]
	v_dual_mov_b32 v0, v3 :: v_dual_mov_b32 v1, v4
.LBB239_264:
	s_waitcnt lgkmcnt(0)
	global_load_b32 v4, v1, s[6:7]
	v_mov_b32_e32 v3, 0
	s_waitcnt vmcnt(0)
	v_lshrrev_b32_e32 v1, 16, v4
	v_cmp_neq_f16_e32 vcc_lo, 0, v4
	s_delay_alu instid0(VALU_DEP_2) | instskip(SKIP_1) | instid1(VALU_DEP_2)
	v_cmp_neq_f16_e64 s2, 0, v1
	v_cvt_f32_f16_e32 v1, v1
	s_or_b32 s2, vcc_lo, s2
	s_delay_alu instid0(SALU_CYCLE_1)
	s_and_saveexec_b32 s20, s2
	s_cbranch_execz .LBB239_312
; %bb.265:
	v_mov_b32_e32 v3, 0x7f800000
	s_mov_b32 s21, exec_lo
	v_cmpx_neq_f32_e64 0x7f800000, |v1|
	s_cbranch_execz .LBB239_311
; %bb.266:
	v_cvt_f32_f16_e32 v3, v4
	s_mov_b32 s2, exec_lo
	v_cmpx_o_f16_e32 v4, v4
	s_xor_b32 s31, exec_lo, s2
	s_cbranch_execz .LBB239_308
; %bb.267:
	s_mov_b32 s3, exec_lo
	v_cmpx_neq_f32_e64 0x7f800000, |v3|
	s_xor_b32 s33, exec_lo, s3
	s_cbranch_execz .LBB239_301
; %bb.268:
	v_max_f32_e64 v4, |v1|, |v1|
	v_max_f32_e64 v5, |v3|, |v3|
                                        ; implicit-def: $sgpr34
	s_delay_alu instid0(VALU_DEP_1) | instskip(NEXT) | instid1(VALU_DEP_1)
	v_max_f32_e32 v4, v5, v4
	v_cmp_nle_f32_e64 s2, 0x7ed413cb, v4
	s_delay_alu instid0(VALU_DEP_1) | instskip(NEXT) | instid1(SALU_CYCLE_1)
	s_and_saveexec_b32 s3, s2
	s_xor_b32 s3, exec_lo, s3
	s_cbranch_execz .LBB239_272
; %bb.269:
	v_cmp_ge_f32_e64 s34, 0x1000000, |v3|
	v_cmp_ge_f32_e64 s35, 0x1000000, |v1|
	s_delay_alu instid0(VALU_DEP_1)
	s_and_b32 s36, s34, s35
	s_mov_b32 s34, 0
	s_and_saveexec_b32 s35, s36
; %bb.270:
	v_mul_f32_e32 v3, 4.0, v3
	v_mul_f32_e32 v1, 4.0, v1
	s_mov_b32 s34, exec_lo
; %bb.271:
	s_or_b32 exec_lo, exec_lo, s35
	s_delay_alu instid0(SALU_CYCLE_1)
	s_and_b32 s34, s34, exec_lo
.LBB239_272:
	s_and_not1_saveexec_b32 s3, s3
; %bb.273:
	v_mul_f32_e32 v3, 0x3e800000, v3
	v_mul_f32_e32 v1, 0x3e800000, v1
	s_and_not1_b32 s34, s34, exec_lo
; %bb.274:
	s_or_b32 exec_lo, exec_lo, s3
	s_delay_alu instid0(VALU_DEP_1) | instskip(SKIP_1) | instid1(VALU_DEP_1)
	v_max_f32_e64 v4, |v1|, |v1|
	v_max_f32_e64 v5, |v3|, |v3|
	v_max_f32_e32 v6, v5, v4
	s_delay_alu instid0(VALU_DEP_1) | instskip(NEXT) | instid1(VALU_DEP_1)
	v_cvt_f64_f32_e32 v[4:5], v6
	v_frexp_exp_i32_f64_e32 v4, v[4:5]
	s_delay_alu instid0(VALU_DEP_1) | instskip(NEXT) | instid1(VALU_DEP_1)
	v_sub_nc_u32_e32 v5, 0, v4
	v_ldexp_f32 v7, |v1|, v5
	v_ldexp_f32 v5, |v3|, v5
	s_delay_alu instid0(VALU_DEP_2) | instskip(SKIP_1) | instid1(VALU_DEP_2)
	v_mul_f32_e32 v7, v7, v7
	v_cmp_neq_f32_e64 s3, 0x7f800000, v6
	v_fmac_f32_e32 v7, v5, v5
	s_delay_alu instid0(VALU_DEP_1) | instskip(SKIP_2) | instid1(VALU_DEP_1)
	v_sqrt_f32_e32 v5, v7
	s_waitcnt_depctr 0xfff
	v_ldexp_f32 v4, v5, v4
                                        ; implicit-def: $vgpr5
	v_cndmask_b32_e64 v6, 0x7f800000, v4, s3
                                        ; implicit-def: $vgpr4
	s_mov_b32 s3, exec_lo
	v_cmpx_le_f32_e32 0, v3
	s_xor_b32 s35, exec_lo, s3
	s_cbranch_execz .LBB239_294
; %bb.275:
	v_add_f32_e32 v3, v3, v6
	s_delay_alu instid0(VALU_DEP_1) | instskip(NEXT) | instid1(VALU_DEP_1)
	v_mul_f32_e32 v3, 0.5, v3
	v_mul_f32_e32 v4, 0x4f800000, v3
	v_cmp_gt_f32_e32 vcc_lo, 0xf800000, v3
	s_delay_alu instid0(VALU_DEP_2) | instskip(NEXT) | instid1(VALU_DEP_1)
	v_cndmask_b32_e32 v3, v3, v4, vcc_lo
	v_sqrt_f32_e32 v4, v3
	s_waitcnt_depctr 0xfff
	v_add_nc_u32_e32 v5, -1, v4
	v_add_nc_u32_e32 v6, 1, v4
	s_delay_alu instid0(VALU_DEP_2) | instskip(NEXT) | instid1(VALU_DEP_2)
	v_fma_f32 v7, -v5, v4, v3
	v_fma_f32 v8, -v6, v4, v3
	s_delay_alu instid0(VALU_DEP_2) | instskip(NEXT) | instid1(VALU_DEP_1)
	v_cmp_ge_f32_e64 s3, 0, v7
	v_cndmask_b32_e64 v4, v4, v5, s3
	s_delay_alu instid0(VALU_DEP_3) | instskip(NEXT) | instid1(VALU_DEP_1)
	v_cmp_lt_f32_e64 s3, 0, v8
	v_cndmask_b32_e64 v4, v4, v6, s3
	s_delay_alu instid0(VALU_DEP_1) | instskip(NEXT) | instid1(VALU_DEP_1)
	v_mul_f32_e32 v5, 0x37800000, v4
	v_cndmask_b32_e32 v4, v4, v5, vcc_lo
	v_cmp_class_f32_e64 vcc_lo, v3, 0x260
	s_delay_alu instid0(VALU_DEP_2) | instskip(NEXT) | instid1(VALU_DEP_1)
	v_cndmask_b32_e32 v4, v4, v3, vcc_lo
	v_add_f32_e32 v3, v4, v4
	s_delay_alu instid0(VALU_DEP_1) | instskip(NEXT) | instid1(VALU_DEP_1)
	v_div_scale_f32 v5, null, v3, v3, v1
	v_rcp_f32_e32 v6, v5
	s_waitcnt_depctr 0xfff
	v_fma_f32 v7, -v5, v6, 1.0
	s_delay_alu instid0(VALU_DEP_1) | instskip(SKIP_1) | instid1(VALU_DEP_1)
	v_fmac_f32_e32 v6, v7, v6
	v_div_scale_f32 v7, vcc_lo, v1, v3, v1
	v_mul_f32_e32 v8, v7, v6
	s_delay_alu instid0(VALU_DEP_1) | instskip(NEXT) | instid1(VALU_DEP_1)
	v_fma_f32 v9, -v5, v8, v7
	v_fmac_f32_e32 v8, v9, v6
	s_delay_alu instid0(VALU_DEP_1) | instskip(NEXT) | instid1(VALU_DEP_1)
	v_fma_f32 v5, -v5, v8, v7
	v_div_fmas_f32 v5, v5, v6, v8
                                        ; implicit-def: $vgpr6
	s_delay_alu instid0(VALU_DEP_1)
	v_div_fixup_f32 v5, v5, v3, v1
                                        ; implicit-def: $vgpr3
                                        ; implicit-def: $vgpr1
	s_and_not1_saveexec_b32 s35, s35
	s_cbranch_execz .LBB239_296
	s_branch .LBB239_295
.LBB239_276:
	s_and_not1_saveexec_b32 s2, s2
.LBB239_277:
	v_add_f32_e32 v3, v4, v4
	v_add_f32_e32 v1, v5, v5
.LBB239_278:
	s_or_b32 exec_lo, exec_lo, s2
                                        ; implicit-def: $vgpr4
.LBB239_279:
	s_and_not1_saveexec_b32 s2, s33
	s_cbranch_execz .LBB239_285
; %bb.280:
	v_cmp_lt_i16_e32 vcc_lo, -1, v4
	v_sub_f32_e32 v4, v1, v1
	s_and_saveexec_b32 s3, vcc_lo
	s_delay_alu instid0(SALU_CYCLE_1)
	s_xor_b32 s3, exec_lo, s3
; %bb.281:
	s_delay_alu instid0(VALU_DEP_1)
	v_bfi_b32 v1, 0x7fffffff, v4, v1
                                        ; implicit-def: $vgpr4
; %bb.282:
	s_and_not1_saveexec_b32 s3, s3
; %bb.283:
	v_and_b32_e32 v4, 0x7fffffff, v4
	s_delay_alu instid0(VALU_DEP_2) | instskip(NEXT) | instid1(VALU_DEP_2)
	v_bfi_b32 v1, 0x7fffffff, v3, v1
	v_mov_b32_e32 v3, v4
; %bb.284:
	s_or_b32 exec_lo, exec_lo, s3
.LBB239_285:
	s_delay_alu instid0(SALU_CYCLE_1)
	s_or_b32 exec_lo, exec_lo, s2
.LBB239_286:
	s_and_not1_saveexec_b32 s2, s31
; %bb.287:
	v_sub_f32_e32 v1, v1, v1
	s_delay_alu instid0(VALU_DEP_1) | instskip(NEXT) | instid1(VALU_DEP_1)
	v_div_scale_f32 v4, vcc_lo, v1, v1, v1
	v_rcp_f32_e32 v5, v4
	s_waitcnt_depctr 0xfff
	v_fma_f32 v6, -v4, v5, 1.0
	s_delay_alu instid0(VALU_DEP_1) | instskip(NEXT) | instid1(VALU_DEP_1)
	v_fmac_f32_e32 v5, v6, v5
	v_mul_f32_e32 v6, v4, v5
	s_delay_alu instid0(VALU_DEP_1) | instskip(NEXT) | instid1(VALU_DEP_1)
	v_fma_f32 v7, -v4, v6, v4
	v_fmac_f32_e32 v6, v7, v5
	s_delay_alu instid0(VALU_DEP_1) | instskip(NEXT) | instid1(VALU_DEP_1)
	v_fma_f32 v4, -v4, v6, v4
	v_div_fmas_f32 v4, v4, v5, v6
	s_delay_alu instid0(VALU_DEP_1)
	v_div_fixup_f32 v1, v4, v1, v1
; %bb.288:
	s_or_b32 exec_lo, exec_lo, s2
.LBB239_289:
	s_delay_alu instid0(SALU_CYCLE_1)
	s_or_b32 exec_lo, exec_lo, s21
.LBB239_290:
	s_delay_alu instid0(SALU_CYCLE_1) | instskip(NEXT) | instid1(VALU_DEP_1)
	s_or_b32 exec_lo, exec_lo, s20
	v_cvt_f16_f32_e32 v1, v1
	v_cvt_f16_f32_e32 v3, v3
	v_add_nc_u32_e32 v2, 0x80, v2
	s_delay_alu instid0(VALU_DEP_3) | instskip(NEXT) | instid1(VALU_DEP_3)
	v_lshlrev_b32_e32 v1, 16, v1
	v_and_b32_e32 v3, 0xffff, v3
	s_delay_alu instid0(VALU_DEP_1) | instskip(SKIP_2) | instid1(SALU_CYCLE_1)
	v_or_b32_e32 v1, v1, v3
	global_store_b32 v0, v1, s[4:5]
	s_or_b32 exec_lo, exec_lo, s30
	s_mov_b32 s30, exec_lo
	v_cmpx_gt_i32_e64 s27, v2
	s_cbranch_execnz .LBB239_251
.LBB239_291:
	s_or_b32 exec_lo, exec_lo, s30
	s_delay_alu instid0(SALU_CYCLE_1)
	s_mov_b32 s20, exec_lo
	v_cmpx_gt_i32_e64 s27, v2
	s_cbranch_execnz .LBB239_313
.LBB239_292:
	s_or_b32 exec_lo, exec_lo, s20
                                        ; implicit-def: $vgpr8
                                        ; implicit-def: $vgpr2
	s_and_not1_saveexec_b32 s2, s25
	s_cbranch_execnz .LBB239_8
.LBB239_293:
	s_nop 0
	s_sendmsg sendmsg(MSG_DEALLOC_VGPRS)
	s_endpgm
.LBB239_294:
	s_and_not1_saveexec_b32 s35, s35
	s_cbranch_execz .LBB239_296
.LBB239_295:
	v_sub_f32_e32 v3, v6, v3
	s_delay_alu instid0(VALU_DEP_1) | instskip(NEXT) | instid1(VALU_DEP_1)
	v_mul_f32_e32 v3, 0.5, v3
	v_mul_f32_e32 v4, 0x4f800000, v3
	v_cmp_gt_f32_e32 vcc_lo, 0xf800000, v3
	s_delay_alu instid0(VALU_DEP_2) | instskip(NEXT) | instid1(VALU_DEP_1)
	v_cndmask_b32_e32 v3, v3, v4, vcc_lo
	v_sqrt_f32_e32 v4, v3
	s_waitcnt_depctr 0xfff
	v_add_nc_u32_e32 v5, -1, v4
	v_add_nc_u32_e32 v6, 1, v4
	s_delay_alu instid0(VALU_DEP_2) | instskip(NEXT) | instid1(VALU_DEP_2)
	v_fma_f32 v7, -v5, v4, v3
	v_fma_f32 v8, -v6, v4, v3
	s_delay_alu instid0(VALU_DEP_2) | instskip(NEXT) | instid1(VALU_DEP_1)
	v_cmp_ge_f32_e64 s3, 0, v7
	v_cndmask_b32_e64 v4, v4, v5, s3
	s_delay_alu instid0(VALU_DEP_3) | instskip(NEXT) | instid1(VALU_DEP_1)
	v_cmp_lt_f32_e64 s3, 0, v8
	v_cndmask_b32_e64 v4, v4, v6, s3
	s_delay_alu instid0(VALU_DEP_1) | instskip(NEXT) | instid1(VALU_DEP_1)
	v_mul_f32_e32 v5, 0x37800000, v4
	v_cndmask_b32_e32 v4, v4, v5, vcc_lo
	v_cmp_class_f32_e64 vcc_lo, v3, 0x260
	s_delay_alu instid0(VALU_DEP_2) | instskip(NEXT) | instid1(VALU_DEP_1)
	v_dual_cndmask_b32 v3, v4, v3 :: v_dual_and_b32 v4, 0x7fffffff, v1
	v_add_f32_e32 v5, v3, v3
	s_delay_alu instid0(VALU_DEP_1) | instskip(SKIP_1) | instid1(VALU_DEP_2)
	v_div_scale_f32 v6, null, v5, v5, v4
	v_div_scale_f32 v4, vcc_lo, v4, v5, v4
	v_rcp_f32_e32 v7, v6
	s_waitcnt_depctr 0xfff
	v_fma_f32 v8, -v6, v7, 1.0
	s_delay_alu instid0(VALU_DEP_1) | instskip(NEXT) | instid1(VALU_DEP_1)
	v_fmac_f32_e32 v7, v8, v7
	v_mul_f32_e32 v8, v4, v7
	s_delay_alu instid0(VALU_DEP_1) | instskip(NEXT) | instid1(VALU_DEP_1)
	v_fma_f32 v9, -v6, v8, v4
	v_fmac_f32_e32 v8, v9, v7
	s_delay_alu instid0(VALU_DEP_1) | instskip(NEXT) | instid1(VALU_DEP_1)
	v_fma_f32 v4, -v6, v8, v4
	v_div_fmas_f32 v4, v4, v7, v8
	s_delay_alu instid0(VALU_DEP_1)
	v_div_fixup_f32 v4, v4, v5, |v1|
	v_bfi_b32 v5, 0x7fffffff, v3, v1
.LBB239_296:
	s_or_b32 exec_lo, exec_lo, s35
                                        ; implicit-def: $vgpr1
                                        ; implicit-def: $vgpr3
	s_and_saveexec_b32 s3, s2
	s_delay_alu instid0(SALU_CYCLE_1)
	s_xor_b32 s2, exec_lo, s3
	s_cbranch_execz .LBB239_298
; %bb.297:
	v_dual_mul_f32 v1, 0.5, v4 :: v_dual_mul_f32 v6, 0.5, v5
	s_delay_alu instid0(VALU_DEP_1) | instskip(NEXT) | instid1(VALU_DEP_2)
	v_cndmask_b32_e64 v3, v4, v1, s34
	v_cndmask_b32_e64 v1, v5, v6, s34
                                        ; implicit-def: $vgpr4
                                        ; implicit-def: $vgpr5
	s_and_not1_saveexec_b32 s2, s2
	s_cbranch_execnz .LBB239_299
	s_branch .LBB239_300
.LBB239_298:
	s_and_not1_saveexec_b32 s2, s2
.LBB239_299:
	v_add_f32_e32 v3, v4, v4
	v_add_f32_e32 v1, v5, v5
.LBB239_300:
	s_or_b32 exec_lo, exec_lo, s2
                                        ; implicit-def: $vgpr4
.LBB239_301:
	s_and_not1_saveexec_b32 s2, s33
	s_cbranch_execz .LBB239_307
; %bb.302:
	v_cmp_lt_i16_e32 vcc_lo, -1, v4
	v_sub_f32_e32 v4, v1, v1
	s_and_saveexec_b32 s3, vcc_lo
	s_delay_alu instid0(SALU_CYCLE_1)
	s_xor_b32 s3, exec_lo, s3
; %bb.303:
	s_delay_alu instid0(VALU_DEP_1)
	v_bfi_b32 v1, 0x7fffffff, v4, v1
                                        ; implicit-def: $vgpr4
; %bb.304:
	s_and_not1_saveexec_b32 s3, s3
; %bb.305:
	v_and_b32_e32 v4, 0x7fffffff, v4
	s_delay_alu instid0(VALU_DEP_2) | instskip(NEXT) | instid1(VALU_DEP_2)
	v_bfi_b32 v1, 0x7fffffff, v3, v1
	v_mov_b32_e32 v3, v4
; %bb.306:
	s_or_b32 exec_lo, exec_lo, s3
.LBB239_307:
	s_delay_alu instid0(SALU_CYCLE_1)
	s_or_b32 exec_lo, exec_lo, s2
.LBB239_308:
	s_and_not1_saveexec_b32 s2, s31
; %bb.309:
	v_sub_f32_e32 v1, v1, v1
	s_delay_alu instid0(VALU_DEP_1) | instskip(NEXT) | instid1(VALU_DEP_1)
	v_div_scale_f32 v4, vcc_lo, v1, v1, v1
	v_rcp_f32_e32 v5, v4
	s_waitcnt_depctr 0xfff
	v_fma_f32 v6, -v4, v5, 1.0
	s_delay_alu instid0(VALU_DEP_1) | instskip(NEXT) | instid1(VALU_DEP_1)
	v_fmac_f32_e32 v5, v6, v5
	v_mul_f32_e32 v6, v4, v5
	s_delay_alu instid0(VALU_DEP_1) | instskip(NEXT) | instid1(VALU_DEP_1)
	v_fma_f32 v7, -v4, v6, v4
	v_fmac_f32_e32 v6, v7, v5
	s_delay_alu instid0(VALU_DEP_1) | instskip(NEXT) | instid1(VALU_DEP_1)
	v_fma_f32 v4, -v4, v6, v4
	v_div_fmas_f32 v4, v4, v5, v6
	s_delay_alu instid0(VALU_DEP_1)
	v_div_fixup_f32 v1, v4, v1, v1
; %bb.310:
	s_or_b32 exec_lo, exec_lo, s2
.LBB239_311:
	s_delay_alu instid0(SALU_CYCLE_1)
	s_or_b32 exec_lo, exec_lo, s21
.LBB239_312:
	s_delay_alu instid0(SALU_CYCLE_1) | instskip(NEXT) | instid1(VALU_DEP_1)
	s_or_b32 exec_lo, exec_lo, s20
	v_cvt_f16_f32_e32 v1, v1
	v_cvt_f16_f32_e32 v3, v3
	v_add_nc_u32_e32 v2, 0x80, v2
	s_delay_alu instid0(VALU_DEP_3) | instskip(NEXT) | instid1(VALU_DEP_3)
	v_lshlrev_b32_e32 v1, 16, v1
	v_and_b32_e32 v3, 0xffff, v3
	s_delay_alu instid0(VALU_DEP_1) | instskip(SKIP_2) | instid1(SALU_CYCLE_1)
	v_or_b32_e32 v1, v1, v3
	global_store_b32 v0, v1, s[4:5]
	s_or_b32 exec_lo, exec_lo, s30
	s_mov_b32 s20, exec_lo
	v_cmpx_gt_i32_e64 s27, v2
	s_cbranch_execz .LBB239_292
.LBB239_313:
	s_and_not1_b32 vcc_lo, exec_lo, s24
	s_cbranch_vccnz .LBB239_318
; %bb.314:
	v_dual_mov_b32 v0, 0 :: v_dual_mov_b32 v1, 0
	s_and_not1_b32 vcc_lo, exec_lo, s29
	s_mov_b32 s21, 0
	s_cbranch_vccnz .LBB239_323
; %bb.315:
	v_mov_b32_e32 v0, 0
	s_add_i32 s28, s28, 1
	s_cmp_eq_u32 s23, 2
	s_mov_b32 s27, 0
	s_cbranch_scc1 .LBB239_319
; %bb.316:
	v_dual_mov_b32 v1, 0 :: v_dual_mov_b32 v0, 0
	v_mov_b32_e32 v3, v2
	s_and_b32 s27, s28, 28
	s_mov_b32 s29, 0
	s_mov_b64 s[2:3], s[0:1]
.LBB239_317:                            ; =>This Inner Loop Header: Depth=1
	s_clause 0x1
	s_load_b256 s[36:43], s[2:3], 0x4
	s_load_b128 s[52:55], s[2:3], 0x24
	s_load_b256 s[44:51], s[18:19], 0x0
	s_add_u32 s2, s2, 48
	s_addc_u32 s3, s3, 0
	s_add_i32 s29, s29, 4
	s_add_u32 s18, s18, 32
	s_addc_u32 s19, s19, 0
	s_cmp_eq_u32 s27, s29
	s_waitcnt lgkmcnt(0)
	v_mul_hi_u32 v4, s37, v3
	s_delay_alu instid0(VALU_DEP_1) | instskip(NEXT) | instid1(VALU_DEP_1)
	v_add_nc_u32_e32 v4, v3, v4
	v_lshrrev_b32_e32 v4, s38, v4
	s_delay_alu instid0(VALU_DEP_1) | instskip(SKIP_1) | instid1(VALU_DEP_2)
	v_mul_hi_u32 v5, s40, v4
	v_mul_lo_u32 v7, v4, s36
	v_add_nc_u32_e32 v5, v4, v5
	s_delay_alu instid0(VALU_DEP_2) | instskip(NEXT) | instid1(VALU_DEP_2)
	v_sub_nc_u32_e32 v3, v3, v7
	v_lshrrev_b32_e32 v5, s41, v5
	s_delay_alu instid0(VALU_DEP_2) | instskip(SKIP_1) | instid1(VALU_DEP_3)
	v_mul_lo_u32 v7, v3, s44
	v_mul_lo_u32 v9, v3, s45
	v_mul_hi_u32 v6, s43, v5
	s_delay_alu instid0(VALU_DEP_1) | instskip(NEXT) | instid1(VALU_DEP_1)
	v_add_nc_u32_e32 v6, v5, v6
	v_lshrrev_b32_e32 v6, s52, v6
	s_delay_alu instid0(VALU_DEP_1) | instskip(SKIP_1) | instid1(VALU_DEP_2)
	v_mul_hi_u32 v8, s54, v6
	v_mul_lo_u32 v10, v6, s42
	v_add_nc_u32_e32 v3, v6, v8
	v_mul_lo_u32 v8, v5, s39
	s_delay_alu instid0(VALU_DEP_3) | instskip(NEXT) | instid1(VALU_DEP_3)
	v_sub_nc_u32_e32 v5, v5, v10
	v_lshrrev_b32_e32 v3, s55, v3
	s_delay_alu instid0(VALU_DEP_2) | instskip(SKIP_2) | instid1(VALU_DEP_4)
	v_mul_lo_u32 v10, v5, s48
	v_mul_lo_u32 v5, v5, s49
	v_sub_nc_u32_e32 v4, v4, v8
	v_mul_lo_u32 v11, v3, s53
	s_delay_alu instid0(VALU_DEP_2) | instskip(SKIP_1) | instid1(VALU_DEP_3)
	v_mul_lo_u32 v8, v4, s46
	v_mul_lo_u32 v4, v4, s47
	v_sub_nc_u32_e32 v6, v6, v11
	s_delay_alu instid0(VALU_DEP_3) | instskip(NEXT) | instid1(VALU_DEP_2)
	v_add3_u32 v0, v7, v0, v8
	v_mul_lo_u32 v11, v6, s50
	v_mul_lo_u32 v6, v6, s51
	v_add3_u32 v1, v9, v1, v4
	s_delay_alu instid0(VALU_DEP_3) | instskip(NEXT) | instid1(VALU_DEP_2)
	v_add3_u32 v0, v10, v0, v11
	v_add3_u32 v1, v5, v1, v6
	s_cbranch_scc0 .LBB239_317
	s_branch .LBB239_320
.LBB239_318:
	s_mov_b32 s21, -1
                                        ; implicit-def: $vgpr0
                                        ; implicit-def: $vgpr1
	s_branch .LBB239_323
.LBB239_319:
	v_mov_b32_e32 v3, v2
	v_mov_b32_e32 v1, 0
.LBB239_320:
	s_and_b32 s28, s28, 3
	s_delay_alu instid0(SALU_CYCLE_1)
	s_cmp_eq_u32 s28, 0
	s_cbranch_scc1 .LBB239_323
; %bb.321:
	s_lshl_b32 s2, s27, 3
	s_mul_i32 s18, s27, 12
	s_add_u32 s2, s2, s0
	s_addc_u32 s3, s1, 0
	s_add_u32 s2, s2, 0xc4
	s_addc_u32 s3, s3, 0
	;; [unrolled: 2-line block ×3, first 2 shown]
	.p2align	6
.LBB239_322:                            ; =>This Inner Loop Header: Depth=1
	s_clause 0x1
	s_load_b64 s[30:31], s[18:19], 0x4
	s_load_b32 s27, s[18:19], 0xc
	s_load_b64 s[34:35], s[2:3], 0x0
	s_add_u32 s18, s18, 12
	s_addc_u32 s19, s19, 0
	s_add_u32 s2, s2, 8
	s_addc_u32 s3, s3, 0
	s_add_i32 s28, s28, -1
	s_delay_alu instid0(SALU_CYCLE_1) | instskip(SKIP_2) | instid1(VALU_DEP_1)
	s_cmp_lg_u32 s28, 0
	s_waitcnt lgkmcnt(0)
	v_mul_hi_u32 v4, s31, v3
	v_add_nc_u32_e32 v4, v3, v4
	s_delay_alu instid0(VALU_DEP_1) | instskip(NEXT) | instid1(VALU_DEP_1)
	v_lshrrev_b32_e32 v7, s27, v4
	v_mul_lo_u32 v4, v7, s30
	s_delay_alu instid0(VALU_DEP_1) | instskip(NEXT) | instid1(VALU_DEP_1)
	v_sub_nc_u32_e32 v3, v3, v4
	v_mad_u64_u32 v[4:5], null, v3, s34, v[0:1]
	v_mad_u64_u32 v[5:6], null, v3, s35, v[1:2]
	s_delay_alu instid0(VALU_DEP_2) | instskip(NEXT) | instid1(VALU_DEP_2)
	v_dual_mov_b32 v3, v7 :: v_dual_mov_b32 v0, v4
	v_mov_b32_e32 v1, v5
	s_cbranch_scc1 .LBB239_322
.LBB239_323:
	s_and_not1_b32 vcc_lo, exec_lo, s21
	s_cbranch_vccnz .LBB239_326
; %bb.324:
	s_waitcnt lgkmcnt(0)
	v_mul_hi_u32 v0, s13, v2
	s_and_not1_b32 vcc_lo, exec_lo, s26
	s_delay_alu instid0(VALU_DEP_1) | instskip(NEXT) | instid1(VALU_DEP_1)
	v_add_nc_u32_e32 v0, v2, v0
	v_lshrrev_b32_e32 v3, s14, v0
	s_delay_alu instid0(VALU_DEP_1) | instskip(NEXT) | instid1(VALU_DEP_1)
	v_mul_lo_u32 v0, v3, s12
	v_sub_nc_u32_e32 v1, v2, v0
	s_delay_alu instid0(VALU_DEP_1)
	v_mul_lo_u32 v0, v1, s8
	v_mul_lo_u32 v1, v1, s9
	s_cbranch_vccnz .LBB239_326
; %bb.325:
	v_mul_hi_u32 v2, s16, v3
	s_delay_alu instid0(VALU_DEP_1) | instskip(NEXT) | instid1(VALU_DEP_1)
	v_add_nc_u32_e32 v2, v3, v2
	v_lshrrev_b32_e32 v2, s17, v2
	s_delay_alu instid0(VALU_DEP_1) | instskip(NEXT) | instid1(VALU_DEP_1)
	v_mul_lo_u32 v2, v2, s15
	v_sub_nc_u32_e32 v5, v3, v2
	s_delay_alu instid0(VALU_DEP_1) | instskip(NEXT) | instid1(VALU_DEP_1)
	v_mad_u64_u32 v[2:3], null, v5, s10, v[0:1]
	v_mad_u64_u32 v[3:4], null, v5, s11, v[1:2]
	s_delay_alu instid0(VALU_DEP_1)
	v_dual_mov_b32 v0, v2 :: v_dual_mov_b32 v1, v3
.LBB239_326:
	s_waitcnt lgkmcnt(0)
	global_load_b32 v3, v1, s[6:7]
	v_mov_b32_e32 v2, 0
	s_waitcnt vmcnt(0)
	v_lshrrev_b32_e32 v1, 16, v3
	v_cmp_neq_f16_e32 vcc_lo, 0, v3
	s_delay_alu instid0(VALU_DEP_2) | instskip(SKIP_1) | instid1(VALU_DEP_2)
	v_cmp_neq_f16_e64 s2, 0, v1
	v_cvt_f32_f16_e32 v1, v1
	s_or_b32 s2, vcc_lo, s2
	s_delay_alu instid0(SALU_CYCLE_1)
	s_and_saveexec_b32 s6, s2
	s_cbranch_execz .LBB239_356
; %bb.327:
	v_mov_b32_e32 v2, 0x7f800000
	s_mov_b32 s7, exec_lo
	v_cmpx_neq_f32_e64 0x7f800000, |v1|
	s_cbranch_execz .LBB239_355
; %bb.328:
	v_cvt_f32_f16_e32 v2, v3
	s_mov_b32 s2, exec_lo
	v_cmpx_o_f16_e32 v3, v3
	s_xor_b32 s8, exec_lo, s2
	s_cbranch_execz .LBB239_352
; %bb.329:
	s_mov_b32 s3, exec_lo
	v_cmpx_neq_f32_e64 0x7f800000, |v2|
	s_xor_b32 s9, exec_lo, s3
	s_cbranch_execz .LBB239_345
; %bb.330:
	v_max_f32_e64 v3, |v1|, |v1|
	v_max_f32_e64 v4, |v2|, |v2|
                                        ; implicit-def: $sgpr10
	s_delay_alu instid0(VALU_DEP_1) | instskip(NEXT) | instid1(VALU_DEP_1)
	v_max_f32_e32 v3, v4, v3
	v_cmp_nle_f32_e64 s2, 0x7ed413cb, v3
	s_delay_alu instid0(VALU_DEP_1) | instskip(NEXT) | instid1(SALU_CYCLE_1)
	s_and_saveexec_b32 s3, s2
	s_xor_b32 s3, exec_lo, s3
	s_cbranch_execz .LBB239_334
; %bb.331:
	v_cmp_ge_f32_e64 s10, 0x1000000, |v2|
	v_cmp_ge_f32_e64 s11, 0x1000000, |v1|
	s_delay_alu instid0(VALU_DEP_1)
	s_and_b32 s12, s10, s11
	s_mov_b32 s10, 0
	s_and_saveexec_b32 s11, s12
; %bb.332:
	v_dual_mul_f32 v2, 4.0, v2 :: v_dual_mul_f32 v1, 4.0, v1
	s_mov_b32 s10, exec_lo
; %bb.333:
	s_or_b32 exec_lo, exec_lo, s11
	s_delay_alu instid0(SALU_CYCLE_1)
	s_and_b32 s10, s10, exec_lo
.LBB239_334:
	s_and_not1_saveexec_b32 s3, s3
; %bb.335:
	v_dual_mul_f32 v2, 0x3e800000, v2 :: v_dual_mul_f32 v1, 0x3e800000, v1
	s_and_not1_b32 s10, s10, exec_lo
; %bb.336:
	s_or_b32 exec_lo, exec_lo, s3
	s_delay_alu instid0(VALU_DEP_1) | instskip(NEXT) | instid1(VALU_DEP_2)
	v_max_f32_e64 v3, |v1|, |v1|
	v_max_f32_e64 v4, |v2|, |v2|
	s_delay_alu instid0(VALU_DEP_1) | instskip(NEXT) | instid1(VALU_DEP_1)
	v_max_f32_e32 v5, v4, v3
	v_cvt_f64_f32_e32 v[3:4], v5
	s_delay_alu instid0(VALU_DEP_1) | instskip(NEXT) | instid1(VALU_DEP_1)
	v_frexp_exp_i32_f64_e32 v3, v[3:4]
	v_sub_nc_u32_e32 v4, 0, v3
	s_delay_alu instid0(VALU_DEP_1) | instskip(SKIP_1) | instid1(VALU_DEP_2)
	v_ldexp_f32 v6, |v1|, v4
	v_ldexp_f32 v4, |v2|, v4
	v_mul_f32_e32 v6, v6, v6
	v_cmp_neq_f32_e64 s3, 0x7f800000, v5
	s_delay_alu instid0(VALU_DEP_2) | instskip(NEXT) | instid1(VALU_DEP_1)
	v_fmac_f32_e32 v6, v4, v4
	v_sqrt_f32_e32 v4, v6
	s_waitcnt_depctr 0xfff
	v_ldexp_f32 v3, v4, v3
                                        ; implicit-def: $vgpr4
	s_delay_alu instid0(VALU_DEP_1)
	v_cndmask_b32_e64 v5, 0x7f800000, v3, s3
                                        ; implicit-def: $vgpr3
	s_mov_b32 s3, exec_lo
	v_cmpx_le_f32_e32 0, v2
	s_xor_b32 s11, exec_lo, s3
	s_cbranch_execz .LBB239_338
; %bb.337:
	v_add_f32_e32 v2, v2, v5
	s_delay_alu instid0(VALU_DEP_1) | instskip(NEXT) | instid1(VALU_DEP_1)
	v_mul_f32_e32 v2, 0.5, v2
	v_mul_f32_e32 v3, 0x4f800000, v2
	v_cmp_gt_f32_e32 vcc_lo, 0xf800000, v2
	s_delay_alu instid0(VALU_DEP_2) | instskip(NEXT) | instid1(VALU_DEP_1)
	v_cndmask_b32_e32 v2, v2, v3, vcc_lo
	v_sqrt_f32_e32 v3, v2
	s_waitcnt_depctr 0xfff
	v_add_nc_u32_e32 v4, -1, v3
	v_add_nc_u32_e32 v5, 1, v3
	s_delay_alu instid0(VALU_DEP_2) | instskip(NEXT) | instid1(VALU_DEP_2)
	v_fma_f32 v6, -v4, v3, v2
	v_fma_f32 v7, -v5, v3, v2
	s_delay_alu instid0(VALU_DEP_2) | instskip(NEXT) | instid1(VALU_DEP_1)
	v_cmp_ge_f32_e64 s3, 0, v6
	v_cndmask_b32_e64 v3, v3, v4, s3
	s_delay_alu instid0(VALU_DEP_3) | instskip(NEXT) | instid1(VALU_DEP_1)
	v_cmp_lt_f32_e64 s3, 0, v7
	v_cndmask_b32_e64 v3, v3, v5, s3
	s_delay_alu instid0(VALU_DEP_1) | instskip(NEXT) | instid1(VALU_DEP_1)
	v_mul_f32_e32 v4, 0x37800000, v3
	v_cndmask_b32_e32 v3, v3, v4, vcc_lo
	v_cmp_class_f32_e64 vcc_lo, v2, 0x260
	s_delay_alu instid0(VALU_DEP_2) | instskip(NEXT) | instid1(VALU_DEP_1)
	v_cndmask_b32_e32 v3, v3, v2, vcc_lo
	v_add_f32_e32 v2, v3, v3
	s_delay_alu instid0(VALU_DEP_1) | instskip(NEXT) | instid1(VALU_DEP_1)
	v_div_scale_f32 v4, null, v2, v2, v1
	v_rcp_f32_e32 v5, v4
	s_waitcnt_depctr 0xfff
	v_fma_f32 v6, -v4, v5, 1.0
	s_delay_alu instid0(VALU_DEP_1) | instskip(SKIP_1) | instid1(VALU_DEP_1)
	v_fmac_f32_e32 v5, v6, v5
	v_div_scale_f32 v6, vcc_lo, v1, v2, v1
	v_mul_f32_e32 v7, v6, v5
	s_delay_alu instid0(VALU_DEP_1) | instskip(NEXT) | instid1(VALU_DEP_1)
	v_fma_f32 v8, -v4, v7, v6
	v_fmac_f32_e32 v7, v8, v5
	s_delay_alu instid0(VALU_DEP_1) | instskip(NEXT) | instid1(VALU_DEP_1)
	v_fma_f32 v4, -v4, v7, v6
	v_div_fmas_f32 v4, v4, v5, v7
                                        ; implicit-def: $vgpr5
	s_delay_alu instid0(VALU_DEP_1)
	v_div_fixup_f32 v4, v4, v2, v1
                                        ; implicit-def: $vgpr2
                                        ; implicit-def: $vgpr1
	s_and_not1_saveexec_b32 s11, s11
	s_cbranch_execz .LBB239_340
	s_branch .LBB239_339
.LBB239_338:
	s_and_not1_saveexec_b32 s11, s11
	s_cbranch_execz .LBB239_340
.LBB239_339:
	v_sub_f32_e32 v2, v5, v2
	s_delay_alu instid0(VALU_DEP_1) | instskip(NEXT) | instid1(VALU_DEP_1)
	v_mul_f32_e32 v2, 0.5, v2
	v_mul_f32_e32 v3, 0x4f800000, v2
	v_cmp_gt_f32_e32 vcc_lo, 0xf800000, v2
	s_delay_alu instid0(VALU_DEP_2) | instskip(NEXT) | instid1(VALU_DEP_1)
	v_cndmask_b32_e32 v2, v2, v3, vcc_lo
	v_sqrt_f32_e32 v3, v2
	s_waitcnt_depctr 0xfff
	v_add_nc_u32_e32 v4, -1, v3
	v_add_nc_u32_e32 v5, 1, v3
	s_delay_alu instid0(VALU_DEP_2) | instskip(NEXT) | instid1(VALU_DEP_2)
	v_fma_f32 v6, -v4, v3, v2
	v_fma_f32 v7, -v5, v3, v2
	s_delay_alu instid0(VALU_DEP_2) | instskip(NEXT) | instid1(VALU_DEP_1)
	v_cmp_ge_f32_e64 s3, 0, v6
	v_cndmask_b32_e64 v3, v3, v4, s3
	s_delay_alu instid0(VALU_DEP_3) | instskip(NEXT) | instid1(VALU_DEP_1)
	v_cmp_lt_f32_e64 s3, 0, v7
	v_cndmask_b32_e64 v3, v3, v5, s3
	s_delay_alu instid0(VALU_DEP_1) | instskip(NEXT) | instid1(VALU_DEP_1)
	v_mul_f32_e32 v4, 0x37800000, v3
	v_cndmask_b32_e32 v3, v3, v4, vcc_lo
	v_cmp_class_f32_e64 vcc_lo, v2, 0x260
	s_delay_alu instid0(VALU_DEP_2) | instskip(NEXT) | instid1(VALU_DEP_1)
	v_dual_cndmask_b32 v2, v3, v2 :: v_dual_and_b32 v3, 0x7fffffff, v1
	v_add_f32_e32 v4, v2, v2
	s_delay_alu instid0(VALU_DEP_1) | instskip(SKIP_1) | instid1(VALU_DEP_2)
	v_div_scale_f32 v5, null, v4, v4, v3
	v_div_scale_f32 v3, vcc_lo, v3, v4, v3
	v_rcp_f32_e32 v6, v5
	s_waitcnt_depctr 0xfff
	v_fma_f32 v7, -v5, v6, 1.0
	s_delay_alu instid0(VALU_DEP_1) | instskip(NEXT) | instid1(VALU_DEP_1)
	v_fmac_f32_e32 v6, v7, v6
	v_mul_f32_e32 v7, v3, v6
	s_delay_alu instid0(VALU_DEP_1) | instskip(NEXT) | instid1(VALU_DEP_1)
	v_fma_f32 v8, -v5, v7, v3
	v_fmac_f32_e32 v7, v8, v6
	s_delay_alu instid0(VALU_DEP_1) | instskip(NEXT) | instid1(VALU_DEP_1)
	v_fma_f32 v3, -v5, v7, v3
	v_div_fmas_f32 v3, v3, v6, v7
	s_delay_alu instid0(VALU_DEP_1)
	v_div_fixup_f32 v3, v3, v4, |v1|
	v_bfi_b32 v4, 0x7fffffff, v2, v1
.LBB239_340:
	s_or_b32 exec_lo, exec_lo, s11
                                        ; implicit-def: $vgpr1
                                        ; implicit-def: $vgpr2
	s_and_saveexec_b32 s3, s2
	s_delay_alu instid0(SALU_CYCLE_1)
	s_xor_b32 s2, exec_lo, s3
	s_cbranch_execz .LBB239_342
; %bb.341:
	v_mul_f32_e32 v1, 0.5, v3
	v_mul_f32_e32 v5, 0.5, v4
	s_delay_alu instid0(VALU_DEP_2) | instskip(NEXT) | instid1(VALU_DEP_2)
	v_cndmask_b32_e64 v2, v3, v1, s10
	v_cndmask_b32_e64 v1, v4, v5, s10
                                        ; implicit-def: $vgpr3
                                        ; implicit-def: $vgpr4
	s_and_not1_saveexec_b32 s2, s2
	s_cbranch_execnz .LBB239_343
	s_branch .LBB239_344
.LBB239_342:
	s_and_not1_saveexec_b32 s2, s2
.LBB239_343:
	v_dual_add_f32 v2, v3, v3 :: v_dual_add_f32 v1, v4, v4
.LBB239_344:
	s_or_b32 exec_lo, exec_lo, s2
                                        ; implicit-def: $vgpr3
.LBB239_345:
	s_and_not1_saveexec_b32 s2, s9
	s_cbranch_execz .LBB239_351
; %bb.346:
	v_cmp_lt_i16_e32 vcc_lo, -1, v3
	v_sub_f32_e32 v3, v1, v1
	s_and_saveexec_b32 s3, vcc_lo
	s_delay_alu instid0(SALU_CYCLE_1)
	s_xor_b32 s3, exec_lo, s3
; %bb.347:
	s_delay_alu instid0(VALU_DEP_1)
	v_bfi_b32 v1, 0x7fffffff, v3, v1
                                        ; implicit-def: $vgpr3
; %bb.348:
	s_and_not1_saveexec_b32 s3, s3
; %bb.349:
	v_and_b32_e32 v3, 0x7fffffff, v3
	s_delay_alu instid0(VALU_DEP_2) | instskip(NEXT) | instid1(VALU_DEP_2)
	v_bfi_b32 v1, 0x7fffffff, v2, v1
	v_mov_b32_e32 v2, v3
; %bb.350:
	s_or_b32 exec_lo, exec_lo, s3
.LBB239_351:
	s_delay_alu instid0(SALU_CYCLE_1)
	s_or_b32 exec_lo, exec_lo, s2
.LBB239_352:
	s_and_not1_saveexec_b32 s2, s8
; %bb.353:
	v_sub_f32_e32 v1, v1, v1
	s_delay_alu instid0(VALU_DEP_1) | instskip(NEXT) | instid1(VALU_DEP_1)
	v_div_scale_f32 v3, vcc_lo, v1, v1, v1
	v_rcp_f32_e32 v4, v3
	s_waitcnt_depctr 0xfff
	v_fma_f32 v5, -v3, v4, 1.0
	s_delay_alu instid0(VALU_DEP_1) | instskip(NEXT) | instid1(VALU_DEP_1)
	v_fmac_f32_e32 v4, v5, v4
	v_mul_f32_e32 v5, v3, v4
	s_delay_alu instid0(VALU_DEP_1) | instskip(NEXT) | instid1(VALU_DEP_1)
	v_fma_f32 v6, -v3, v5, v3
	v_fmac_f32_e32 v5, v6, v4
	s_delay_alu instid0(VALU_DEP_1) | instskip(NEXT) | instid1(VALU_DEP_1)
	v_fma_f32 v3, -v3, v5, v3
	v_div_fmas_f32 v3, v3, v4, v5
	s_delay_alu instid0(VALU_DEP_1)
	v_div_fixup_f32 v1, v3, v1, v1
; %bb.354:
	s_or_b32 exec_lo, exec_lo, s2
.LBB239_355:
	s_delay_alu instid0(SALU_CYCLE_1)
	s_or_b32 exec_lo, exec_lo, s7
.LBB239_356:
	s_delay_alu instid0(SALU_CYCLE_1) | instskip(NEXT) | instid1(VALU_DEP_1)
	s_or_b32 exec_lo, exec_lo, s6
	v_cvt_f16_f32_e32 v1, v1
	v_cvt_f16_f32_e32 v2, v2
	s_delay_alu instid0(VALU_DEP_2) | instskip(NEXT) | instid1(VALU_DEP_2)
	v_lshlrev_b32_e32 v1, 16, v1
	v_and_b32_e32 v2, 0xffff, v2
	s_delay_alu instid0(VALU_DEP_1)
	v_or_b32_e32 v1, v1, v2
	global_store_b32 v0, v1, s[4:5]
	s_or_b32 exec_lo, exec_lo, s20
                                        ; implicit-def: $vgpr8
                                        ; implicit-def: $vgpr2
	s_and_not1_saveexec_b32 s2, s25
	s_cbranch_execz .LBB239_293
	s_branch .LBB239_8
	.section	.rodata,"a",@progbits
	.p2align	6, 0x0
	.amdhsa_kernel _ZN2at6native32elementwise_kernel_manual_unrollILi128ELi4EZNS0_22gpu_kernel_impl_nocastIZZZNS0_16sqrt_kernel_cudaERNS_18TensorIteratorBaseEENKUlvE_clEvENKUlvE1_clEvEUlN3c107complexINS7_4HalfEEEE_EEvS4_RKT_EUlibE_EEviT1_
		.amdhsa_group_segment_fixed_size 0
		.amdhsa_private_segment_fixed_size 0
		.amdhsa_kernarg_size 360
		.amdhsa_user_sgpr_count 15
		.amdhsa_user_sgpr_dispatch_ptr 0
		.amdhsa_user_sgpr_queue_ptr 0
		.amdhsa_user_sgpr_kernarg_segment_ptr 1
		.amdhsa_user_sgpr_dispatch_id 0
		.amdhsa_user_sgpr_private_segment_size 0
		.amdhsa_wavefront_size32 1
		.amdhsa_uses_dynamic_stack 0
		.amdhsa_enable_private_segment 0
		.amdhsa_system_sgpr_workgroup_id_x 1
		.amdhsa_system_sgpr_workgroup_id_y 0
		.amdhsa_system_sgpr_workgroup_id_z 0
		.amdhsa_system_sgpr_workgroup_info 0
		.amdhsa_system_vgpr_workitem_id 0
		.amdhsa_next_free_vgpr 18
		.amdhsa_next_free_sgpr 56
		.amdhsa_reserve_vcc 1
		.amdhsa_float_round_mode_32 0
		.amdhsa_float_round_mode_16_64 0
		.amdhsa_float_denorm_mode_32 3
		.amdhsa_float_denorm_mode_16_64 3
		.amdhsa_dx10_clamp 1
		.amdhsa_ieee_mode 1
		.amdhsa_fp16_overflow 0
		.amdhsa_workgroup_processor_mode 1
		.amdhsa_memory_ordered 1
		.amdhsa_forward_progress 0
		.amdhsa_shared_vgpr_count 0
		.amdhsa_exception_fp_ieee_invalid_op 0
		.amdhsa_exception_fp_denorm_src 0
		.amdhsa_exception_fp_ieee_div_zero 0
		.amdhsa_exception_fp_ieee_overflow 0
		.amdhsa_exception_fp_ieee_underflow 0
		.amdhsa_exception_fp_ieee_inexact 0
		.amdhsa_exception_int_div_zero 0
	.end_amdhsa_kernel
	.section	.text._ZN2at6native32elementwise_kernel_manual_unrollILi128ELi4EZNS0_22gpu_kernel_impl_nocastIZZZNS0_16sqrt_kernel_cudaERNS_18TensorIteratorBaseEENKUlvE_clEvENKUlvE1_clEvEUlN3c107complexINS7_4HalfEEEE_EEvS4_RKT_EUlibE_EEviT1_,"axG",@progbits,_ZN2at6native32elementwise_kernel_manual_unrollILi128ELi4EZNS0_22gpu_kernel_impl_nocastIZZZNS0_16sqrt_kernel_cudaERNS_18TensorIteratorBaseEENKUlvE_clEvENKUlvE1_clEvEUlN3c107complexINS7_4HalfEEEE_EEvS4_RKT_EUlibE_EEviT1_,comdat
.Lfunc_end239:
	.size	_ZN2at6native32elementwise_kernel_manual_unrollILi128ELi4EZNS0_22gpu_kernel_impl_nocastIZZZNS0_16sqrt_kernel_cudaERNS_18TensorIteratorBaseEENKUlvE_clEvENKUlvE1_clEvEUlN3c107complexINS7_4HalfEEEE_EEvS4_RKT_EUlibE_EEviT1_, .Lfunc_end239-_ZN2at6native32elementwise_kernel_manual_unrollILi128ELi4EZNS0_22gpu_kernel_impl_nocastIZZZNS0_16sqrt_kernel_cudaERNS_18TensorIteratorBaseEENKUlvE_clEvENKUlvE1_clEvEUlN3c107complexINS7_4HalfEEEE_EEvS4_RKT_EUlibE_EEviT1_
                                        ; -- End function
	.section	.AMDGPU.csdata,"",@progbits
; Kernel info:
; codeLenInByte = 16632
; NumSgprs: 58
; NumVgprs: 18
; ScratchSize: 0
; MemoryBound: 0
; FloatMode: 240
; IeeeMode: 1
; LDSByteSize: 0 bytes/workgroup (compile time only)
; SGPRBlocks: 7
; VGPRBlocks: 2
; NumSGPRsForWavesPerEU: 58
; NumVGPRsForWavesPerEU: 18
; Occupancy: 16
; WaveLimiterHint : 1
; COMPUTE_PGM_RSRC2:SCRATCH_EN: 0
; COMPUTE_PGM_RSRC2:USER_SGPR: 15
; COMPUTE_PGM_RSRC2:TRAP_HANDLER: 0
; COMPUTE_PGM_RSRC2:TGID_X_EN: 1
; COMPUTE_PGM_RSRC2:TGID_Y_EN: 0
; COMPUTE_PGM_RSRC2:TGID_Z_EN: 0
; COMPUTE_PGM_RSRC2:TIDIG_COMP_CNT: 0
	.section	.text._ZN2at6native32elementwise_kernel_manual_unrollILi128ELi4EZNS0_15gpu_kernel_implIZZZNS0_16sqrt_kernel_cudaERNS_18TensorIteratorBaseEENKUlvE_clEvENKUlvE1_clEvEUlN3c107complexINS7_4HalfEEEE_EEvS4_RKT_EUlibE_EEviT1_,"axG",@progbits,_ZN2at6native32elementwise_kernel_manual_unrollILi128ELi4EZNS0_15gpu_kernel_implIZZZNS0_16sqrt_kernel_cudaERNS_18TensorIteratorBaseEENKUlvE_clEvENKUlvE1_clEvEUlN3c107complexINS7_4HalfEEEE_EEvS4_RKT_EUlibE_EEviT1_,comdat
	.globl	_ZN2at6native32elementwise_kernel_manual_unrollILi128ELi4EZNS0_15gpu_kernel_implIZZZNS0_16sqrt_kernel_cudaERNS_18TensorIteratorBaseEENKUlvE_clEvENKUlvE1_clEvEUlN3c107complexINS7_4HalfEEEE_EEvS4_RKT_EUlibE_EEviT1_ ; -- Begin function _ZN2at6native32elementwise_kernel_manual_unrollILi128ELi4EZNS0_15gpu_kernel_implIZZZNS0_16sqrt_kernel_cudaERNS_18TensorIteratorBaseEENKUlvE_clEvENKUlvE1_clEvEUlN3c107complexINS7_4HalfEEEE_EEvS4_RKT_EUlibE_EEviT1_
	.p2align	8
	.type	_ZN2at6native32elementwise_kernel_manual_unrollILi128ELi4EZNS0_15gpu_kernel_implIZZZNS0_16sqrt_kernel_cudaERNS_18TensorIteratorBaseEENKUlvE_clEvENKUlvE1_clEvEUlN3c107complexINS7_4HalfEEEE_EEvS4_RKT_EUlibE_EEviT1_,@function
_ZN2at6native32elementwise_kernel_manual_unrollILi128ELi4EZNS0_15gpu_kernel_implIZZZNS0_16sqrt_kernel_cudaERNS_18TensorIteratorBaseEENKUlvE_clEvENKUlvE1_clEvEUlN3c107complexINS7_4HalfEEEE_EEvS4_RKT_EUlibE_EEviT1_: ; @_ZN2at6native32elementwise_kernel_manual_unrollILi128ELi4EZNS0_15gpu_kernel_implIZZZNS0_16sqrt_kernel_cudaERNS_18TensorIteratorBaseEENKUlvE_clEvENKUlvE1_clEvEUlN3c107complexINS7_4HalfEEEE_EEvS4_RKT_EUlibE_EEviT1_
; %bb.0:
	v_mov_b32_e32 v1, 0
	s_clause 0x2
	s_load_b32 s11, s[0:1], 0x0
	s_load_b64 s[2:3], s[0:1], 0x18
	s_load_b128 s[4:7], s[0:1], 0x8
	v_lshl_or_b32 v3, s15, 9, v0
	s_mov_b32 s8, 0
	s_mov_b32 s10, 0
	global_load_u16 v2, v1, s[0:1] offset:33
	s_mov_b32 s0, exec_lo
	v_or_b32_e32 v0, 0x180, v3
	s_waitcnt vmcnt(0)
	v_lshrrev_b16 v4, 8, v2
	s_waitcnt lgkmcnt(0)
	s_delay_alu instid0(VALU_DEP_2)
	v_cmpx_le_i32_e64 s11, v0
	s_xor_b32 s9, exec_lo, s0
	s_cbranch_execz .LBB240_1172
; %bb.1:
	s_mov_b32 s1, -1
	s_mov_b32 s14, 0
	s_mov_b32 s12, 0
	s_mov_b32 s13, exec_lo
	v_cmpx_gt_i32_e64 s11, v3
	s_cbranch_execz .LBB240_286
; %bb.2:
	v_mul_lo_u32 v0, v3, s3
	v_cmp_gt_i16_e32 vcc_lo, 11, v4
	s_delay_alu instid0(VALU_DEP_2) | instskip(SKIP_1) | instid1(VALU_DEP_1)
	v_ashrrev_i32_e32 v1, 31, v0
	v_add_co_u32 v0, s0, s6, v0
	v_add_co_ci_u32_e64 v1, s0, s7, v1, s0
	s_cbranch_vccnz .LBB240_9
; %bb.3:
	v_cmp_lt_i16_e32 vcc_lo, 25, v4
	s_cbranch_vccz .LBB240_23
; %bb.4:
	v_cmp_lt_i16_e32 vcc_lo, 28, v4
	s_cbranch_vccz .LBB240_24
	;; [unrolled: 3-line block ×4, first 2 shown]
; %bb.7:
	v_cmp_eq_u16_e32 vcc_lo, 46, v4
	s_mov_b32 s1, 0
	s_cbranch_vccz .LBB240_56
; %bb.8:
	global_load_b32 v5, v[0:1], off
	s_mov_b32 s0, -1
	s_waitcnt vmcnt(0)
	v_lshlrev_b32_e32 v6, 16, v5
	v_and_b32_e32 v7, 0xffff0000, v5
	s_delay_alu instid0(VALU_DEP_2) | instskip(NEXT) | instid1(VALU_DEP_2)
	v_cvt_f16_f32_e32 v5, v6
	v_cvt_f16_f32_e32 v6, v7
	s_branch .LBB240_58
.LBB240_9:
	s_mov_b32 s0, 0
                                        ; implicit-def: $vgpr6
                                        ; implicit-def: $vgpr5
	s_and_b32 vcc_lo, exec_lo, s1
	s_cbranch_vccnz .LBB240_234
.LBB240_10:
	s_and_not1_b32 vcc_lo, exec_lo, s0
	s_cbranch_vccnz .LBB240_283
.LBB240_11:
	s_waitcnt vmcnt(0)
	s_delay_alu instid0(VALU_DEP_2) | instskip(NEXT) | instid1(VALU_DEP_2)
	v_cmp_neq_f16_e32 vcc_lo, 0, v5
	v_cmp_neq_f16_e64 s0, 0, v6
	v_cvt_f32_f16_e32 v0, v6
	v_mov_b32_e32 v1, 0
	s_delay_alu instid0(VALU_DEP_3) | instskip(NEXT) | instid1(SALU_CYCLE_1)
	s_or_b32 s0, vcc_lo, s0
	s_and_saveexec_b32 s10, s0
	s_cbranch_execz .LBB240_44
; %bb.12:
	v_mov_b32_e32 v1, 0x7f800000
	s_mov_b32 s15, exec_lo
	v_cmpx_neq_f32_e64 0x7f800000, |v0|
	s_cbranch_execz .LBB240_43
; %bb.13:
	v_cvt_f32_f16_e32 v1, v5
	s_mov_b32 s0, exec_lo
	v_cmpx_o_f16_e32 v5, v5
	s_xor_b32 s16, exec_lo, s0
	s_cbranch_execz .LBB240_40
; %bb.14:
	s_mov_b32 s1, exec_lo
	v_cmpx_neq_f32_e64 0x7f800000, |v1|
	s_xor_b32 s17, exec_lo, s1
	s_cbranch_execz .LBB240_33
; %bb.15:
	v_max_f32_e64 v5, |v0|, |v0|
	v_max_f32_e64 v6, |v1|, |v1|
                                        ; implicit-def: $sgpr18
	s_delay_alu instid0(VALU_DEP_1) | instskip(NEXT) | instid1(VALU_DEP_1)
	v_max_f32_e32 v5, v6, v5
	v_cmp_nle_f32_e64 s0, 0x7ed413cb, v5
	s_delay_alu instid0(VALU_DEP_1) | instskip(NEXT) | instid1(SALU_CYCLE_1)
	s_and_saveexec_b32 s1, s0
	s_xor_b32 s1, exec_lo, s1
	s_cbranch_execz .LBB240_19
; %bb.16:
	v_cmp_ge_f32_e64 s18, 0x1000000, |v1|
	v_cmp_ge_f32_e64 s19, 0x1000000, |v0|
	s_delay_alu instid0(VALU_DEP_1)
	s_and_b32 s20, s18, s19
	s_mov_b32 s18, 0
	s_and_saveexec_b32 s19, s20
; %bb.17:
	v_dual_mul_f32 v1, 4.0, v1 :: v_dual_mul_f32 v0, 4.0, v0
	s_mov_b32 s18, exec_lo
; %bb.18:
	s_or_b32 exec_lo, exec_lo, s19
	s_delay_alu instid0(SALU_CYCLE_1)
	s_and_b32 s18, s18, exec_lo
.LBB240_19:
	s_and_not1_saveexec_b32 s1, s1
; %bb.20:
	v_dual_mul_f32 v1, 0x3e800000, v1 :: v_dual_mul_f32 v0, 0x3e800000, v0
	s_and_not1_b32 s18, s18, exec_lo
; %bb.21:
	s_or_b32 exec_lo, exec_lo, s1
	s_delay_alu instid0(VALU_DEP_1) | instskip(NEXT) | instid1(VALU_DEP_2)
	v_max_f32_e64 v5, |v0|, |v0|
	v_max_f32_e64 v6, |v1|, |v1|
	s_delay_alu instid0(VALU_DEP_1) | instskip(NEXT) | instid1(VALU_DEP_1)
	v_max_f32_e32 v7, v6, v5
	v_cvt_f64_f32_e32 v[5:6], v7
	s_delay_alu instid0(VALU_DEP_1) | instskip(NEXT) | instid1(VALU_DEP_1)
	v_frexp_exp_i32_f64_e32 v5, v[5:6]
	v_sub_nc_u32_e32 v6, 0, v5
	s_delay_alu instid0(VALU_DEP_1) | instskip(SKIP_1) | instid1(VALU_DEP_2)
	v_ldexp_f32 v8, |v0|, v6
	v_ldexp_f32 v6, |v1|, v6
	v_mul_f32_e32 v8, v8, v8
	v_cmp_neq_f32_e64 s1, 0x7f800000, v7
	s_delay_alu instid0(VALU_DEP_2) | instskip(NEXT) | instid1(VALU_DEP_1)
	v_fmac_f32_e32 v8, v6, v6
	v_sqrt_f32_e32 v6, v8
	s_waitcnt_depctr 0xfff
	v_ldexp_f32 v5, v6, v5
                                        ; implicit-def: $vgpr6
	s_delay_alu instid0(VALU_DEP_1)
	v_cndmask_b32_e64 v7, 0x7f800000, v5, s1
                                        ; implicit-def: $vgpr5
	s_mov_b32 s1, exec_lo
	v_cmpx_le_f32_e32 0, v1
	s_xor_b32 s19, exec_lo, s1
	s_cbranch_execz .LBB240_26
; %bb.22:
	v_add_f32_e32 v1, v1, v7
	s_delay_alu instid0(VALU_DEP_1) | instskip(NEXT) | instid1(VALU_DEP_1)
	v_mul_f32_e32 v1, 0.5, v1
	v_mul_f32_e32 v5, 0x4f800000, v1
	v_cmp_gt_f32_e32 vcc_lo, 0xf800000, v1
	s_delay_alu instid0(VALU_DEP_2) | instskip(NEXT) | instid1(VALU_DEP_1)
	v_cndmask_b32_e32 v1, v1, v5, vcc_lo
	v_sqrt_f32_e32 v5, v1
	s_waitcnt_depctr 0xfff
	v_add_nc_u32_e32 v6, -1, v5
	v_add_nc_u32_e32 v7, 1, v5
	s_delay_alu instid0(VALU_DEP_2) | instskip(NEXT) | instid1(VALU_DEP_2)
	v_fma_f32 v8, -v6, v5, v1
	v_fma_f32 v9, -v7, v5, v1
	s_delay_alu instid0(VALU_DEP_2) | instskip(NEXT) | instid1(VALU_DEP_1)
	v_cmp_ge_f32_e64 s1, 0, v8
	v_cndmask_b32_e64 v5, v5, v6, s1
	s_delay_alu instid0(VALU_DEP_3) | instskip(NEXT) | instid1(VALU_DEP_1)
	v_cmp_lt_f32_e64 s1, 0, v9
	v_cndmask_b32_e64 v5, v5, v7, s1
	s_delay_alu instid0(VALU_DEP_1) | instskip(NEXT) | instid1(VALU_DEP_1)
	v_mul_f32_e32 v6, 0x37800000, v5
	v_cndmask_b32_e32 v5, v5, v6, vcc_lo
	v_cmp_class_f32_e64 vcc_lo, v1, 0x260
	s_delay_alu instid0(VALU_DEP_2) | instskip(NEXT) | instid1(VALU_DEP_1)
	v_cndmask_b32_e32 v5, v5, v1, vcc_lo
	v_add_f32_e32 v1, v5, v5
	s_delay_alu instid0(VALU_DEP_1) | instskip(NEXT) | instid1(VALU_DEP_1)
	v_div_scale_f32 v6, null, v1, v1, v0
	v_rcp_f32_e32 v7, v6
	s_waitcnt_depctr 0xfff
	v_fma_f32 v8, -v6, v7, 1.0
	s_delay_alu instid0(VALU_DEP_1) | instskip(SKIP_1) | instid1(VALU_DEP_1)
	v_fmac_f32_e32 v7, v8, v7
	v_div_scale_f32 v8, vcc_lo, v0, v1, v0
	v_mul_f32_e32 v9, v8, v7
	s_delay_alu instid0(VALU_DEP_1) | instskip(NEXT) | instid1(VALU_DEP_1)
	v_fma_f32 v10, -v6, v9, v8
	v_fmac_f32_e32 v9, v10, v7
	s_delay_alu instid0(VALU_DEP_1) | instskip(NEXT) | instid1(VALU_DEP_1)
	v_fma_f32 v6, -v6, v9, v8
	v_div_fmas_f32 v6, v6, v7, v9
                                        ; implicit-def: $vgpr7
	s_delay_alu instid0(VALU_DEP_1)
	v_div_fixup_f32 v6, v6, v1, v0
                                        ; implicit-def: $vgpr1
                                        ; implicit-def: $vgpr0
	s_and_not1_saveexec_b32 s19, s19
	s_cbranch_execz .LBB240_28
	s_branch .LBB240_27
.LBB240_23:
	s_mov_b32 s0, 0
                                        ; implicit-def: $vgpr6
                                        ; implicit-def: $vgpr5
	s_and_b32 vcc_lo, exec_lo, s1
	s_cbranch_vccnz .LBB240_200
	s_branch .LBB240_233
.LBB240_24:
	s_mov_b32 s0, 0
                                        ; implicit-def: $vgpr6
                                        ; implicit-def: $vgpr5
	s_branch .LBB240_179
.LBB240_25:
	s_mov_b32 s0, 0
                                        ; implicit-def: $vgpr6
                                        ; implicit-def: $vgpr5
	s_branch .LBB240_173
.LBB240_26:
	s_and_not1_saveexec_b32 s19, s19
	s_cbranch_execz .LBB240_28
.LBB240_27:
	v_sub_f32_e32 v1, v7, v1
	s_delay_alu instid0(VALU_DEP_1) | instskip(NEXT) | instid1(VALU_DEP_1)
	v_mul_f32_e32 v1, 0.5, v1
	v_mul_f32_e32 v5, 0x4f800000, v1
	v_cmp_gt_f32_e32 vcc_lo, 0xf800000, v1
	s_delay_alu instid0(VALU_DEP_2) | instskip(NEXT) | instid1(VALU_DEP_1)
	v_cndmask_b32_e32 v1, v1, v5, vcc_lo
	v_sqrt_f32_e32 v5, v1
	s_waitcnt_depctr 0xfff
	v_add_nc_u32_e32 v6, -1, v5
	v_add_nc_u32_e32 v7, 1, v5
	s_delay_alu instid0(VALU_DEP_2) | instskip(NEXT) | instid1(VALU_DEP_2)
	v_fma_f32 v8, -v6, v5, v1
	v_fma_f32 v9, -v7, v5, v1
	s_delay_alu instid0(VALU_DEP_2) | instskip(NEXT) | instid1(VALU_DEP_1)
	v_cmp_ge_f32_e64 s1, 0, v8
	v_cndmask_b32_e64 v5, v5, v6, s1
	s_delay_alu instid0(VALU_DEP_3) | instskip(NEXT) | instid1(VALU_DEP_1)
	v_cmp_lt_f32_e64 s1, 0, v9
	v_cndmask_b32_e64 v5, v5, v7, s1
	s_delay_alu instid0(VALU_DEP_1) | instskip(NEXT) | instid1(VALU_DEP_1)
	v_mul_f32_e32 v6, 0x37800000, v5
	v_cndmask_b32_e32 v5, v5, v6, vcc_lo
	v_cmp_class_f32_e64 vcc_lo, v1, 0x260
	s_delay_alu instid0(VALU_DEP_2) | instskip(NEXT) | instid1(VALU_DEP_1)
	v_cndmask_b32_e32 v1, v5, v1, vcc_lo
	v_dual_add_f32 v6, v1, v1 :: v_dual_and_b32 v5, 0x7fffffff, v0
	s_delay_alu instid0(VALU_DEP_1) | instskip(SKIP_1) | instid1(VALU_DEP_2)
	v_div_scale_f32 v7, null, v6, v6, v5
	v_div_scale_f32 v5, vcc_lo, v5, v6, v5
	v_rcp_f32_e32 v8, v7
	s_waitcnt_depctr 0xfff
	v_fma_f32 v9, -v7, v8, 1.0
	s_delay_alu instid0(VALU_DEP_1) | instskip(NEXT) | instid1(VALU_DEP_1)
	v_fmac_f32_e32 v8, v9, v8
	v_mul_f32_e32 v9, v5, v8
	s_delay_alu instid0(VALU_DEP_1) | instskip(NEXT) | instid1(VALU_DEP_1)
	v_fma_f32 v10, -v7, v9, v5
	v_fmac_f32_e32 v9, v10, v8
	s_delay_alu instid0(VALU_DEP_1) | instskip(NEXT) | instid1(VALU_DEP_1)
	v_fma_f32 v5, -v7, v9, v5
	v_div_fmas_f32 v5, v5, v8, v9
	s_delay_alu instid0(VALU_DEP_1)
	v_div_fixup_f32 v5, v5, v6, |v0|
	v_bfi_b32 v6, 0x7fffffff, v1, v0
.LBB240_28:
	s_or_b32 exec_lo, exec_lo, s19
                                        ; implicit-def: $vgpr0
                                        ; implicit-def: $vgpr1
	s_and_saveexec_b32 s1, s0
	s_delay_alu instid0(SALU_CYCLE_1)
	s_xor_b32 s0, exec_lo, s1
	s_cbranch_execz .LBB240_30
; %bb.29:
	v_dual_mul_f32 v0, 0.5, v5 :: v_dual_mul_f32 v7, 0.5, v6
	s_delay_alu instid0(VALU_DEP_1) | instskip(NEXT) | instid1(VALU_DEP_2)
	v_cndmask_b32_e64 v1, v5, v0, s18
	v_cndmask_b32_e64 v0, v6, v7, s18
                                        ; implicit-def: $vgpr5
                                        ; implicit-def: $vgpr6
	s_and_not1_saveexec_b32 s0, s0
	s_cbranch_execnz .LBB240_31
	s_branch .LBB240_32
.LBB240_30:
	s_and_not1_saveexec_b32 s0, s0
.LBB240_31:
	v_dual_add_f32 v1, v5, v5 :: v_dual_add_f32 v0, v6, v6
.LBB240_32:
	s_or_b32 exec_lo, exec_lo, s0
                                        ; implicit-def: $vgpr5
.LBB240_33:
	s_and_not1_saveexec_b32 s0, s17
	s_cbranch_execz .LBB240_39
; %bb.34:
	v_cmp_lt_i16_e32 vcc_lo, -1, v5
	v_sub_f32_e32 v5, v0, v0
	s_and_saveexec_b32 s1, vcc_lo
	s_delay_alu instid0(SALU_CYCLE_1)
	s_xor_b32 s1, exec_lo, s1
; %bb.35:
	s_delay_alu instid0(VALU_DEP_1)
	v_bfi_b32 v0, 0x7fffffff, v5, v0
                                        ; implicit-def: $vgpr5
; %bb.36:
	s_and_not1_saveexec_b32 s1, s1
; %bb.37:
	v_and_b32_e32 v5, 0x7fffffff, v5
	s_delay_alu instid0(VALU_DEP_2) | instskip(NEXT) | instid1(VALU_DEP_2)
	v_bfi_b32 v0, 0x7fffffff, v1, v0
	v_mov_b32_e32 v1, v5
; %bb.38:
	s_or_b32 exec_lo, exec_lo, s1
.LBB240_39:
	s_delay_alu instid0(SALU_CYCLE_1)
	s_or_b32 exec_lo, exec_lo, s0
.LBB240_40:
	s_and_not1_saveexec_b32 s0, s16
; %bb.41:
	v_sub_f32_e32 v0, v0, v0
	s_delay_alu instid0(VALU_DEP_1) | instskip(NEXT) | instid1(VALU_DEP_1)
	v_div_scale_f32 v5, vcc_lo, v0, v0, v0
	v_rcp_f32_e32 v6, v5
	s_waitcnt_depctr 0xfff
	v_fma_f32 v7, -v5, v6, 1.0
	s_delay_alu instid0(VALU_DEP_1) | instskip(NEXT) | instid1(VALU_DEP_1)
	v_fmac_f32_e32 v6, v7, v6
	v_mul_f32_e32 v7, v5, v6
	s_delay_alu instid0(VALU_DEP_1) | instskip(NEXT) | instid1(VALU_DEP_1)
	v_fma_f32 v8, -v5, v7, v5
	v_fmac_f32_e32 v7, v8, v6
	s_delay_alu instid0(VALU_DEP_1) | instskip(NEXT) | instid1(VALU_DEP_1)
	v_fma_f32 v5, -v5, v7, v5
	v_div_fmas_f32 v5, v5, v6, v7
	s_delay_alu instid0(VALU_DEP_1)
	v_div_fixup_f32 v0, v5, v0, v0
; %bb.42:
	s_or_b32 exec_lo, exec_lo, s0
.LBB240_43:
	s_delay_alu instid0(SALU_CYCLE_1)
	s_or_b32 exec_lo, exec_lo, s15
.LBB240_44:
	s_delay_alu instid0(SALU_CYCLE_1) | instskip(NEXT) | instid1(VALU_DEP_1)
	s_or_b32 exec_lo, exec_lo, s10
	v_cvt_f16_f32_e32 v8, v0
	v_mul_lo_u32 v0, v3, s2
	v_cvt_f16_f32_e32 v5, v1
	v_and_b32_e32 v6, 0xff, v2
	s_delay_alu instid0(VALU_DEP_4) | instskip(NEXT) | instid1(VALU_DEP_3)
	v_lshlrev_b32_e32 v1, 16, v8
	v_and_b32_e32 v7, 0xffff, v5
	s_delay_alu instid0(VALU_DEP_3) | instskip(SKIP_2) | instid1(VALU_DEP_4)
	v_cmp_gt_i16_e32 vcc_lo, 11, v6
	v_ashrrev_i32_e32 v9, 31, v0
	v_add_co_u32 v0, s0, s4, v0
	v_or_b32_e32 v7, v1, v7
	s_delay_alu instid0(VALU_DEP_3)
	v_add_co_ci_u32_e64 v1, s0, s5, v9, s0
	s_cbranch_vccnz .LBB240_51
; %bb.45:
	v_cmp_lt_i16_e32 vcc_lo, 25, v6
	s_cbranch_vccz .LBB240_53
; %bb.46:
	v_cmp_lt_i16_e32 vcc_lo, 28, v6
	s_cbranch_vccz .LBB240_54
	;; [unrolled: 3-line block ×4, first 2 shown]
; %bb.49:
	v_cmp_eq_u16_e32 vcc_lo, 46, v6
	s_mov_b32 s10, 0
	s_mov_b32 s0, -1
	s_mov_b32 s1, 0
	s_cbranch_vccz .LBB240_62
; %bb.50:
	v_cvt_f32_f16_e32 v9, v8
	v_cvt_f32_f16_e32 v10, v5
	v_cmp_o_f16_e32 vcc_lo, v8, v8
	s_mov_b32 s1, -1
	s_mov_b32 s0, 0
	v_bfe_u32 v11, v9, 16, 1
	v_bfe_u32 v12, v10, 16, 1
	s_delay_alu instid0(VALU_DEP_2) | instskip(NEXT) | instid1(VALU_DEP_2)
	v_add3_u32 v9, v9, v11, 0x7fff
	v_add3_u32 v10, v10, v12, 0x7fff
	s_delay_alu instid0(VALU_DEP_2) | instskip(NEXT) | instid1(VALU_DEP_2)
	v_and_b32_e32 v9, 0xffff0000, v9
	v_lshrrev_b32_e32 v10, 16, v10
	s_delay_alu instid0(VALU_DEP_2) | instskip(SKIP_1) | instid1(VALU_DEP_3)
	v_cndmask_b32_e32 v9, 0x7fc00000, v9, vcc_lo
	v_cmp_o_f16_e32 vcc_lo, v5, v5
	v_cndmask_b32_e32 v10, 0x7fc0, v10, vcc_lo
	s_delay_alu instid0(VALU_DEP_1)
	v_or_b32_e32 v9, v9, v10
	global_store_b32 v[0:1], v9, off
	s_branch .LBB240_62
.LBB240_51:
	s_mov_b32 s0, 0
	s_mov_b32 s1, 0
	s_cbranch_execnz .LBB240_131
.LBB240_52:
	s_and_not1_b32 vcc_lo, exec_lo, s1
	s_cbranch_vccnz .LBB240_284
	s_branch .LBB240_169
.LBB240_53:
	s_mov_b32 s10, -1
	s_mov_b32 s0, 0
	s_mov_b32 s1, 0
	s_branch .LBB240_89
.LBB240_54:
	s_mov_b32 s10, -1
	s_mov_b32 s0, 0
	s_mov_b32 s1, 0
	s_branch .LBB240_72
.LBB240_55:
	s_mov_b32 s10, -1
	s_mov_b32 s0, 0
	s_mov_b32 s1, 0
	s_branch .LBB240_68
.LBB240_56:
	s_mov_b32 s12, -1
.LBB240_57:
	s_mov_b32 s0, 0
                                        ; implicit-def: $vgpr6
                                        ; implicit-def: $vgpr5
.LBB240_58:
	s_and_b32 vcc_lo, exec_lo, s1
	s_cbranch_vccz .LBB240_172
; %bb.59:
	v_cmp_eq_u16_e32 vcc_lo, 44, v4
	s_cbranch_vccz .LBB240_170
; %bb.60:
	global_load_u8 v5, v[0:1], off
	s_mov_b32 s12, 0
	s_mov_b32 s0, -1
	s_waitcnt vmcnt(0)
	v_lshlrev_b32_e32 v6, 23, v5
	v_cmp_ne_u32_e32 vcc_lo, 0xff, v5
	s_delay_alu instid0(VALU_DEP_2) | instskip(NEXT) | instid1(VALU_DEP_1)
	v_cvt_f16_f32_e32 v6, v6
	v_cndmask_b32_e32 v6, 0x7e00, v6, vcc_lo
	v_cmp_ne_u32_e32 vcc_lo, 0, v5
	s_delay_alu instid0(VALU_DEP_2)
	v_cndmask_b32_e32 v5, 0, v6, vcc_lo
	s_branch .LBB240_171
.LBB240_61:
	s_mov_b32 s10, -1
	s_mov_b32 s0, 0
	s_mov_b32 s1, 0
.LBB240_62:
	s_and_b32 vcc_lo, exec_lo, s10
	s_cbranch_vccz .LBB240_67
; %bb.63:
	v_cmp_eq_u16_e32 vcc_lo, 44, v6
	s_mov_b32 s0, -1
	s_cbranch_vccz .LBB240_67
; %bb.64:
	v_cvt_f32_f16_e32 v9, v5
	v_mov_b32_e32 v10, 0xff
	s_mov_b32 s1, exec_lo
	s_delay_alu instid0(VALU_DEP_2) | instskip(NEXT) | instid1(VALU_DEP_1)
	v_bfe_u32 v11, v9, 23, 8
	v_cmpx_ne_u32_e32 0xff, v11
; %bb.65:
	v_and_b32_e32 v10, 0x400000, v9
	v_and_or_b32 v11, 0x3fffff, v9, v11
	v_lshrrev_b32_e32 v9, 23, v9
	s_delay_alu instid0(VALU_DEP_3) | instskip(NEXT) | instid1(VALU_DEP_3)
	v_cmp_ne_u32_e32 vcc_lo, 0, v10
	v_cmp_ne_u32_e64 s0, 0, v11
	s_delay_alu instid0(VALU_DEP_1) | instskip(NEXT) | instid1(SALU_CYCLE_1)
	s_and_b32 s0, vcc_lo, s0
	v_cndmask_b32_e64 v10, 0, 1, s0
	s_delay_alu instid0(VALU_DEP_1)
	v_add_nc_u32_e32 v10, v9, v10
; %bb.66:
	s_or_b32 exec_lo, exec_lo, s1
	s_mov_b32 s1, -1
	s_mov_b32 s0, 0
	global_store_b8 v[0:1], v10, off
.LBB240_67:
	s_mov_b32 s10, 0
.LBB240_68:
	s_delay_alu instid0(SALU_CYCLE_1)
	s_and_b32 vcc_lo, exec_lo, s10
	s_cbranch_vccz .LBB240_71
; %bb.69:
	v_cmp_eq_u16_e32 vcc_lo, 29, v6
	s_mov_b32 s0, -1
	s_cbranch_vccz .LBB240_71
; %bb.70:
	v_cvt_f32_f16_e32 v9, v5
	v_mov_b32_e32 v10, 0
	s_mov_b32 s0, 0
	s_mov_b32 s1, -1
	s_mov_b32 s10, 0
	v_cvt_u32_f32_e32 v9, v9
	global_store_b64 v[0:1], v[9:10], off
	s_branch .LBB240_72
.LBB240_71:
	s_mov_b32 s10, 0
.LBB240_72:
	s_delay_alu instid0(SALU_CYCLE_1)
	s_and_b32 vcc_lo, exec_lo, s10
	s_cbranch_vccz .LBB240_88
; %bb.73:
	v_cmp_gt_i16_e32 vcc_lo, 27, v6
	s_mov_b32 s1, -1
	s_cbranch_vccnz .LBB240_79
; %bb.74:
	v_cmp_lt_i16_e32 vcc_lo, 27, v6
	s_cbranch_vccz .LBB240_76
; %bb.75:
	v_cvt_f32_f16_e32 v9, v5
	s_mov_b32 s1, 0
	s_delay_alu instid0(VALU_DEP_1)
	v_cvt_u32_f32_e32 v9, v9
	global_store_b32 v[0:1], v9, off
.LBB240_76:
	s_and_not1_b32 vcc_lo, exec_lo, s1
	s_cbranch_vccnz .LBB240_78
; %bb.77:
	v_cvt_u16_f16_e32 v9, v5
	global_store_b16 v[0:1], v9, off
.LBB240_78:
	s_mov_b32 s1, 0
.LBB240_79:
	s_delay_alu instid0(SALU_CYCLE_1)
	s_and_not1_b32 vcc_lo, exec_lo, s1
	s_cbranch_vccnz .LBB240_87
; %bb.80:
	v_cvt_f32_f16_e32 v9, v5
	v_mov_b32_e32 v11, 0x80
	s_mov_b32 s1, exec_lo
	s_delay_alu instid0(VALU_DEP_2) | instskip(NEXT) | instid1(VALU_DEP_1)
	v_and_b32_e32 v10, 0x7fffffff, v9
	v_cmpx_gt_u32_e32 0x43800000, v10
	s_cbranch_execz .LBB240_86
; %bb.81:
	v_cmp_lt_u32_e32 vcc_lo, 0x3bffffff, v10
	s_mov_b32 s10, 0
                                        ; implicit-def: $vgpr10
	s_and_saveexec_b32 s15, vcc_lo
	s_delay_alu instid0(SALU_CYCLE_1)
	s_xor_b32 s15, exec_lo, s15
	s_cbranch_execz .LBB240_312
; %bb.82:
	v_bfe_u32 v10, v9, 20, 1
	s_mov_b32 s10, exec_lo
	s_delay_alu instid0(VALU_DEP_1) | instskip(NEXT) | instid1(VALU_DEP_1)
	v_add3_u32 v10, v9, v10, 0x487ffff
	v_lshrrev_b32_e32 v10, 20, v10
	s_or_saveexec_b32 s15, s15
                                        ; implicit-def: $sgpr16
	s_delay_alu instid0(SALU_CYCLE_1)
	s_xor_b32 exec_lo, exec_lo, s15
	s_cbranch_execnz .LBB240_313
.LBB240_83:
	s_or_b32 exec_lo, exec_lo, s15
	v_mov_b32_e32 v11, s16
	s_and_saveexec_b32 s15, s10
.LBB240_84:
	v_lshrrev_b32_e32 v9, 24, v9
	s_delay_alu instid0(VALU_DEP_1)
	v_and_or_b32 v11, 0x80, v9, v10
.LBB240_85:
	s_or_b32 exec_lo, exec_lo, s15
.LBB240_86:
	s_delay_alu instid0(SALU_CYCLE_1)
	s_or_b32 exec_lo, exec_lo, s1
	global_store_b8 v[0:1], v11, off
.LBB240_87:
	s_mov_b32 s1, -1
.LBB240_88:
	s_mov_b32 s10, 0
.LBB240_89:
	s_delay_alu instid0(SALU_CYCLE_1)
	s_and_b32 vcc_lo, exec_lo, s10
	s_cbranch_vccz .LBB240_130
; %bb.90:
	v_cmp_lt_i16_e32 vcc_lo, 22, v6
	s_mov_b32 s10, -1
	s_cbranch_vccz .LBB240_122
; %bb.91:
	v_cmp_gt_i16_e32 vcc_lo, 24, v6
	s_mov_b32 s1, -1
	s_cbranch_vccnz .LBB240_111
; %bb.92:
	v_cmp_lt_i16_e32 vcc_lo, 24, v6
	s_cbranch_vccz .LBB240_100
; %bb.93:
	v_cvt_f32_f16_e32 v9, v5
	v_mov_b32_e32 v11, 0x80
	s_mov_b32 s1, exec_lo
	s_delay_alu instid0(VALU_DEP_2) | instskip(NEXT) | instid1(VALU_DEP_1)
	v_and_b32_e32 v10, 0x7fffffff, v9
	v_cmpx_gt_u32_e32 0x47800000, v10
	s_cbranch_execz .LBB240_99
; %bb.94:
	v_cmp_lt_u32_e32 vcc_lo, 0x37ffffff, v10
	s_mov_b32 s10, 0
                                        ; implicit-def: $vgpr10
	s_and_saveexec_b32 s15, vcc_lo
	s_delay_alu instid0(SALU_CYCLE_1)
	s_xor_b32 s15, exec_lo, s15
	s_cbranch_execz .LBB240_344
; %bb.95:
	v_bfe_u32 v10, v9, 21, 1
	s_mov_b32 s10, exec_lo
	s_delay_alu instid0(VALU_DEP_1) | instskip(NEXT) | instid1(VALU_DEP_1)
	v_add3_u32 v10, v9, v10, 0x88fffff
	v_lshrrev_b32_e32 v10, 21, v10
	s_or_saveexec_b32 s15, s15
                                        ; implicit-def: $sgpr16
	s_delay_alu instid0(SALU_CYCLE_1)
	s_xor_b32 exec_lo, exec_lo, s15
	s_cbranch_execnz .LBB240_345
.LBB240_96:
	s_or_b32 exec_lo, exec_lo, s15
	v_mov_b32_e32 v11, s16
	s_and_saveexec_b32 s15, s10
.LBB240_97:
	v_lshrrev_b32_e32 v9, 24, v9
	s_delay_alu instid0(VALU_DEP_1)
	v_and_or_b32 v11, 0x80, v9, v10
.LBB240_98:
	s_or_b32 exec_lo, exec_lo, s15
.LBB240_99:
	s_delay_alu instid0(SALU_CYCLE_1)
	s_or_b32 exec_lo, exec_lo, s1
	s_mov_b32 s1, 0
	global_store_b8 v[0:1], v11, off
.LBB240_100:
	s_and_b32 vcc_lo, exec_lo, s1
	s_cbranch_vccz .LBB240_110
; %bb.101:
	v_cvt_f32_f16_e32 v9, v5
	s_mov_b32 s1, exec_lo
                                        ; implicit-def: $vgpr10
	s_delay_alu instid0(VALU_DEP_1) | instskip(NEXT) | instid1(VALU_DEP_1)
	v_and_b32_e32 v11, 0x7fffffff, v9
	v_cmpx_gt_u32_e32 0x43f00000, v11
	s_xor_b32 s1, exec_lo, s1
	s_cbranch_execz .LBB240_107
; %bb.102:
	s_mov_b32 s10, exec_lo
                                        ; implicit-def: $vgpr10
	v_cmpx_lt_u32_e32 0x3c7fffff, v11
	s_xor_b32 s10, exec_lo, s10
; %bb.103:
	v_bfe_u32 v10, v9, 20, 1
	s_delay_alu instid0(VALU_DEP_1) | instskip(NEXT) | instid1(VALU_DEP_1)
	v_add3_u32 v10, v9, v10, 0x407ffff
	v_and_b32_e32 v11, 0xff00000, v10
	v_lshrrev_b32_e32 v10, 20, v10
	s_delay_alu instid0(VALU_DEP_2) | instskip(NEXT) | instid1(VALU_DEP_2)
	v_cmp_ne_u32_e32 vcc_lo, 0x7f00000, v11
	v_cndmask_b32_e32 v10, 0x7e, v10, vcc_lo
; %bb.104:
	s_and_not1_saveexec_b32 s10, s10
; %bb.105:
	v_add_f32_e64 v10, 0x46800000, |v9|
; %bb.106:
	s_or_b32 exec_lo, exec_lo, s10
                                        ; implicit-def: $vgpr11
.LBB240_107:
	s_and_not1_saveexec_b32 s1, s1
; %bb.108:
	v_mov_b32_e32 v10, 0x7f
	v_cmp_lt_u32_e32 vcc_lo, 0x7f800000, v11
	s_delay_alu instid0(VALU_DEP_2)
	v_cndmask_b32_e32 v10, 0x7e, v10, vcc_lo
; %bb.109:
	s_or_b32 exec_lo, exec_lo, s1
	v_lshrrev_b32_e32 v9, 24, v9
	s_delay_alu instid0(VALU_DEP_1)
	v_and_or_b32 v9, 0x80, v9, v10
	global_store_b8 v[0:1], v9, off
.LBB240_110:
	s_mov_b32 s1, 0
.LBB240_111:
	s_delay_alu instid0(SALU_CYCLE_1)
	s_and_not1_b32 vcc_lo, exec_lo, s1
	s_cbranch_vccnz .LBB240_121
; %bb.112:
	v_cvt_f32_f16_e32 v9, v5
	s_mov_b32 s1, exec_lo
                                        ; implicit-def: $vgpr10
	s_delay_alu instid0(VALU_DEP_1) | instskip(NEXT) | instid1(VALU_DEP_1)
	v_and_b32_e32 v11, 0x7fffffff, v9
	v_cmpx_gt_u32_e32 0x47800000, v11
	s_xor_b32 s1, exec_lo, s1
	s_cbranch_execz .LBB240_118
; %bb.113:
	s_mov_b32 s10, exec_lo
                                        ; implicit-def: $vgpr10
	v_cmpx_lt_u32_e32 0x387fffff, v11
	s_xor_b32 s10, exec_lo, s10
; %bb.114:
	v_bfe_u32 v10, v9, 21, 1
	s_delay_alu instid0(VALU_DEP_1) | instskip(NEXT) | instid1(VALU_DEP_1)
	v_add3_u32 v10, v9, v10, 0x80fffff
	v_lshrrev_b32_e32 v10, 21, v10
; %bb.115:
	s_and_not1_saveexec_b32 s10, s10
; %bb.116:
	v_add_f32_e64 v10, 0x43000000, |v9|
; %bb.117:
	s_or_b32 exec_lo, exec_lo, s10
                                        ; implicit-def: $vgpr11
.LBB240_118:
	s_and_not1_saveexec_b32 s1, s1
; %bb.119:
	v_mov_b32_e32 v10, 0x7f
	v_cmp_lt_u32_e32 vcc_lo, 0x7f800000, v11
	s_delay_alu instid0(VALU_DEP_2)
	v_cndmask_b32_e32 v10, 0x7c, v10, vcc_lo
; %bb.120:
	s_or_b32 exec_lo, exec_lo, s1
	v_lshrrev_b32_e32 v9, 24, v9
	s_delay_alu instid0(VALU_DEP_1)
	v_and_or_b32 v9, 0x80, v9, v10
	global_store_b8 v[0:1], v9, off
.LBB240_121:
	s_mov_b32 s10, 0
	s_mov_b32 s1, -1
.LBB240_122:
	s_and_not1_b32 vcc_lo, exec_lo, s10
	s_cbranch_vccnz .LBB240_130
; %bb.123:
	v_cmp_lt_i16_e32 vcc_lo, 14, v6
	s_mov_b32 s10, -1
	s_cbranch_vccz .LBB240_127
; %bb.124:
	v_cmp_eq_u16_e32 vcc_lo, 15, v6
	s_mov_b32 s0, -1
	s_cbranch_vccz .LBB240_126
; %bb.125:
	v_cvt_f32_f16_e32 v9, v5
	v_cmp_o_f16_e32 vcc_lo, v5, v5
	s_mov_b32 s1, -1
	s_mov_b32 s0, 0
	s_delay_alu instid0(VALU_DEP_2) | instskip(NEXT) | instid1(VALU_DEP_1)
	v_bfe_u32 v10, v9, 16, 1
	v_add3_u32 v9, v9, v10, 0x7fff
	s_delay_alu instid0(VALU_DEP_1) | instskip(NEXT) | instid1(VALU_DEP_1)
	v_lshrrev_b32_e32 v9, 16, v9
	v_cndmask_b32_e32 v9, 0x7fc0, v9, vcc_lo
	global_store_b16 v[0:1], v9, off
.LBB240_126:
	s_mov_b32 s10, 0
.LBB240_127:
	s_delay_alu instid0(SALU_CYCLE_1)
	s_and_b32 vcc_lo, exec_lo, s10
	s_cbranch_vccz .LBB240_130
; %bb.128:
	v_cmp_eq_u16_e32 vcc_lo, 11, v6
	s_mov_b32 s0, -1
	s_cbranch_vccz .LBB240_130
; %bb.129:
	v_and_b32_e32 v9, 0x7fff7fff, v7
	s_mov_b32 s0, 0
	s_mov_b32 s1, -1
	s_delay_alu instid0(VALU_DEP_1)
	v_cmp_ne_u32_e32 vcc_lo, 0, v9
	v_cndmask_b32_e64 v9, 0, 1, vcc_lo
	global_store_b8 v[0:1], v9, off
.LBB240_130:
	s_branch .LBB240_52
.LBB240_131:
	v_cmp_gt_i16_e32 vcc_lo, 5, v6
	s_mov_b32 s1, -1
	s_cbranch_vccnz .LBB240_152
; %bb.132:
	v_cmp_gt_i16_e32 vcc_lo, 8, v6
	s_cbranch_vccnz .LBB240_142
; %bb.133:
	v_cmp_gt_i16_e32 vcc_lo, 9, v6
	s_cbranch_vccnz .LBB240_139
; %bb.134:
	v_cmp_lt_i16_e32 vcc_lo, 9, v6
	s_cbranch_vccz .LBB240_136
; %bb.135:
	v_cvt_f32_f16_e32 v9, v5
	v_cvt_f32_f16_e32 v11, v8
	s_mov_b32 s1, 0
	s_delay_alu instid0(VALU_DEP_2) | instskip(NEXT) | instid1(VALU_DEP_2)
	v_cvt_f64_f32_e32 v[9:10], v9
	v_cvt_f64_f32_e32 v[11:12], v11
	global_store_b128 v[0:1], v[9:12], off
.LBB240_136:
	s_and_not1_b32 vcc_lo, exec_lo, s1
	s_cbranch_vccnz .LBB240_138
; %bb.137:
	v_cvt_f32_f16_e32 v9, v5
	v_cvt_f32_f16_e32 v10, v8
	global_store_b64 v[0:1], v[9:10], off
.LBB240_138:
	s_mov_b32 s1, 0
.LBB240_139:
	s_delay_alu instid0(SALU_CYCLE_1)
	s_and_not1_b32 vcc_lo, exec_lo, s1
	s_cbranch_vccnz .LBB240_141
; %bb.140:
	global_store_b32 v[0:1], v7, off
.LBB240_141:
	s_mov_b32 s1, 0
.LBB240_142:
	s_delay_alu instid0(SALU_CYCLE_1)
	s_and_not1_b32 vcc_lo, exec_lo, s1
	s_cbranch_vccnz .LBB240_151
; %bb.143:
	v_cmp_gt_i16_e32 vcc_lo, 6, v6
	s_mov_b32 s1, -1
	s_cbranch_vccnz .LBB240_149
; %bb.144:
	v_cmp_lt_i16_e32 vcc_lo, 6, v6
	s_cbranch_vccz .LBB240_146
; %bb.145:
	v_cvt_f32_f16_e32 v7, v5
	s_mov_b32 s1, 0
	s_delay_alu instid0(VALU_DEP_1)
	v_cvt_f64_f32_e32 v[7:8], v7
	global_store_b64 v[0:1], v[7:8], off
.LBB240_146:
	s_and_not1_b32 vcc_lo, exec_lo, s1
	s_cbranch_vccnz .LBB240_148
; %bb.147:
	v_cvt_f32_f16_e32 v7, v5
	global_store_b32 v[0:1], v7, off
.LBB240_148:
	s_mov_b32 s1, 0
.LBB240_149:
	s_delay_alu instid0(SALU_CYCLE_1)
	s_and_not1_b32 vcc_lo, exec_lo, s1
	s_cbranch_vccnz .LBB240_151
; %bb.150:
	global_store_b16 v[0:1], v5, off
.LBB240_151:
	s_mov_b32 s1, 0
.LBB240_152:
	s_delay_alu instid0(SALU_CYCLE_1)
	s_and_not1_b32 vcc_lo, exec_lo, s1
	s_cbranch_vccnz .LBB240_168
; %bb.153:
	v_cmp_gt_i16_e32 vcc_lo, 2, v6
	s_mov_b32 s1, -1
	s_cbranch_vccnz .LBB240_163
; %bb.154:
	v_cmp_gt_i16_e32 vcc_lo, 3, v6
	s_cbranch_vccnz .LBB240_160
; %bb.155:
	v_cmp_lt_i16_e32 vcc_lo, 3, v6
	s_cbranch_vccz .LBB240_157
; %bb.156:
	v_cvt_f32_f16_e32 v7, v5
	s_mov_b32 s1, 0
	s_delay_alu instid0(VALU_DEP_1) | instskip(NEXT) | instid1(VALU_DEP_1)
	v_cvt_i32_f32_e32 v7, v7
	v_ashrrev_i32_e32 v8, 31, v7
	global_store_b64 v[0:1], v[7:8], off
.LBB240_157:
	s_and_not1_b32 vcc_lo, exec_lo, s1
	s_cbranch_vccnz .LBB240_159
; %bb.158:
	v_cvt_f32_f16_e32 v7, v5
	s_delay_alu instid0(VALU_DEP_1)
	v_cvt_i32_f32_e32 v7, v7
	global_store_b32 v[0:1], v7, off
.LBB240_159:
	s_mov_b32 s1, 0
.LBB240_160:
	s_delay_alu instid0(SALU_CYCLE_1)
	s_and_not1_b32 vcc_lo, exec_lo, s1
	s_cbranch_vccnz .LBB240_162
; %bb.161:
	v_cvt_i16_f16_e32 v7, v5
	global_store_b16 v[0:1], v7, off
.LBB240_162:
	s_mov_b32 s1, 0
.LBB240_163:
	s_delay_alu instid0(SALU_CYCLE_1)
	s_and_not1_b32 vcc_lo, exec_lo, s1
	s_cbranch_vccnz .LBB240_168
; %bb.164:
	v_cmp_lt_i16_e32 vcc_lo, 0, v6
	s_mov_b32 s1, -1
	s_cbranch_vccz .LBB240_166
; %bb.165:
	v_cvt_i16_f16_e32 v6, v5
	s_mov_b32 s1, 0
	global_store_b8 v[0:1], v6, off
.LBB240_166:
	s_and_not1_b32 vcc_lo, exec_lo, s1
	s_cbranch_vccnz .LBB240_168
; %bb.167:
	v_cvt_f32_f16_e32 v5, v5
	s_delay_alu instid0(VALU_DEP_1)
	v_cvt_i32_f32_e32 v5, v5
	global_store_b8 v[0:1], v5, off
.LBB240_168:
.LBB240_169:
	v_add_nc_u32_e32 v3, 0x80, v3
	s_mov_b32 s1, -1
	s_branch .LBB240_285
.LBB240_170:
	s_mov_b32 s12, -1
                                        ; implicit-def: $vgpr5
.LBB240_171:
	s_delay_alu instid0(SALU_CYCLE_1)
	v_mov_b32_e32 v6, s12
.LBB240_172:
	s_mov_b32 s1, 0
.LBB240_173:
	s_delay_alu instid0(SALU_CYCLE_1)
	s_and_b32 vcc_lo, exec_lo, s1
	s_cbranch_vccz .LBB240_178
; %bb.174:
	v_cmp_eq_u16_e32 vcc_lo, 29, v4
	s_cbranch_vccz .LBB240_176
; %bb.175:
	global_load_b64 v[5:6], v[0:1], off
	s_mov_b32 s0, -1
	s_mov_b32 s12, 0
	s_mov_b32 s1, 0
	s_waitcnt vmcnt(0)
	v_clz_i32_u32_e32 v7, v6
	s_delay_alu instid0(VALU_DEP_1) | instskip(NEXT) | instid1(VALU_DEP_1)
	v_min_u32_e32 v7, 32, v7
	v_lshlrev_b64 v[5:6], v7, v[5:6]
	s_delay_alu instid0(VALU_DEP_1) | instskip(NEXT) | instid1(VALU_DEP_1)
	v_min_u32_e32 v5, 1, v5
	v_or_b32_e32 v5, v6, v5
	v_sub_nc_u32_e32 v6, 32, v7
	s_delay_alu instid0(VALU_DEP_2) | instskip(NEXT) | instid1(VALU_DEP_1)
	v_cvt_f32_u32_e32 v5, v5
	v_ldexp_f32 v5, v5, v6
	s_delay_alu instid0(VALU_DEP_1)
	v_cvt_f16_f32_e32 v5, v5
	s_branch .LBB240_177
.LBB240_176:
	s_mov_b32 s12, -1
                                        ; implicit-def: $sgpr1
                                        ; implicit-def: $vgpr5
.LBB240_177:
	v_mov_b32_e32 v6, s1
.LBB240_178:
	s_mov_b32 s1, 0
.LBB240_179:
	s_delay_alu instid0(SALU_CYCLE_1)
	s_and_b32 vcc_lo, exec_lo, s1
	s_cbranch_vccz .LBB240_199
; %bb.180:
	v_cmp_gt_i16_e32 vcc_lo, 27, v4
	s_cbranch_vccnz .LBB240_183
; %bb.181:
	v_cmp_lt_i16_e32 vcc_lo, 27, v4
	s_cbranch_vccz .LBB240_184
; %bb.182:
	global_load_b32 v5, v[0:1], off
	s_mov_b32 s1, 0
	s_mov_b32 s0, 0
	s_waitcnt vmcnt(0)
	v_cvt_f32_u32_e32 v5, v5
	s_delay_alu instid0(VALU_DEP_1)
	v_cvt_f16_f32_e32 v5, v5
	s_branch .LBB240_185
.LBB240_183:
	s_mov_b32 s1, -1
                                        ; implicit-def: $sgpr0
                                        ; implicit-def: $vgpr5
	s_branch .LBB240_188
.LBB240_184:
	s_mov_b32 s1, -1
                                        ; implicit-def: $sgpr0
                                        ; implicit-def: $vgpr5
.LBB240_185:
	s_delay_alu instid0(SALU_CYCLE_1)
	s_and_not1_b32 vcc_lo, exec_lo, s1
	s_cbranch_vccnz .LBB240_187
; %bb.186:
	global_load_u16 v5, v[0:1], off
	s_mov_b32 s0, 0
	s_waitcnt vmcnt(0)
	v_cvt_f16_u16_e32 v5, v5
.LBB240_187:
	s_mov_b32 s1, 0
.LBB240_188:
	v_mov_b32_e32 v6, s0
	s_and_not1_b32 vcc_lo, exec_lo, s1
	s_cbranch_vccnz .LBB240_198
; %bb.189:
	global_load_u8 v7, v[0:1], off
	s_mov_b32 s0, 0
	s_mov_b32 s15, exec_lo
                                        ; implicit-def: $sgpr10
                                        ; implicit-def: $sgpr1
	s_waitcnt vmcnt(0)
	v_cmpx_lt_i16_e32 0x7f, v7
	s_xor_b32 s15, exec_lo, s15
	s_cbranch_execz .LBB240_193
; %bb.190:
	s_mov_b32 s0, -1
	s_mov_b32 s16, exec_lo
                                        ; implicit-def: $sgpr10
                                        ; implicit-def: $sgpr1
	v_cmpx_eq_u16_e32 0x80, v7
; %bb.191:
	s_movk_i32 s1, 0x7e00
	s_mov_b32 s10, 0
	s_xor_b32 s0, exec_lo, -1
; %bb.192:
	s_or_b32 exec_lo, exec_lo, s16
	s_delay_alu instid0(SALU_CYCLE_1)
	s_and_b32 s0, s0, exec_lo
.LBB240_193:
	s_or_saveexec_b32 s15, s15
	v_dual_mov_b32 v6, s10 :: v_dual_mov_b32 v5, s1
	s_xor_b32 exec_lo, exec_lo, s15
; %bb.194:
	v_cmp_ne_u16_e32 vcc_lo, 0, v7
	v_dual_mov_b32 v6, 0 :: v_dual_mov_b32 v5, v7
	s_and_not1_b32 s0, s0, exec_lo
	s_and_b32 s1, vcc_lo, exec_lo
	s_delay_alu instid0(SALU_CYCLE_1)
	s_or_b32 s0, s0, s1
; %bb.195:
	s_or_b32 exec_lo, exec_lo, s15
	s_and_saveexec_b32 s1, s0
	s_cbranch_execz .LBB240_197
; %bb.196:
	v_and_b32_e32 v5, 0xffff, v7
	v_lshlrev_b32_e32 v7, 24, v7
	s_delay_alu instid0(VALU_DEP_2) | instskip(NEXT) | instid1(VALU_DEP_2)
	v_and_b32_e32 v6, 7, v5
	v_and_b32_e32 v7, 0x80000000, v7
	s_delay_alu instid0(VALU_DEP_2) | instskip(NEXT) | instid1(VALU_DEP_1)
	v_clz_i32_u32_e32 v8, v6
	v_min_u32_e32 v8, 32, v8
	s_delay_alu instid0(VALU_DEP_1) | instskip(SKIP_1) | instid1(VALU_DEP_2)
	v_subrev_nc_u32_e32 v9, 28, v8
	v_sub_nc_u32_e32 v8, 29, v8
	v_lshlrev_b32_e32 v9, v9, v5
	v_bfe_u32 v5, v5, 3, 4
	s_delay_alu instid0(VALU_DEP_2) | instskip(NEXT) | instid1(VALU_DEP_2)
	v_and_b32_e32 v9, 7, v9
	v_cmp_eq_u32_e32 vcc_lo, 0, v5
	s_delay_alu instid0(VALU_DEP_2) | instskip(NEXT) | instid1(VALU_DEP_1)
	v_dual_cndmask_b32 v5, v5, v8 :: v_dual_cndmask_b32 v6, v6, v9
	v_lshl_add_u32 v5, v5, 23, 0x3b800000
	s_delay_alu instid0(VALU_DEP_2) | instskip(NEXT) | instid1(VALU_DEP_1)
	v_lshlrev_b32_e32 v6, 20, v6
	v_or3_b32 v5, v7, v5, v6
	v_mov_b32_e32 v6, 0
	s_delay_alu instid0(VALU_DEP_2)
	v_cvt_f16_f32_e32 v5, v5
.LBB240_197:
	s_or_b32 exec_lo, exec_lo, s1
.LBB240_198:
	s_mov_b32 s0, -1
.LBB240_199:
	s_branch .LBB240_233
.LBB240_200:
	v_cmp_lt_i16_e32 vcc_lo, 22, v4
	s_cbranch_vccz .LBB240_212
; %bb.201:
	v_cmp_gt_i16_e32 vcc_lo, 24, v4
	s_cbranch_vccnz .LBB240_213
; %bb.202:
	v_cmp_lt_i16_e32 vcc_lo, 24, v4
	s_cbranch_vccz .LBB240_214
; %bb.203:
	global_load_u8 v7, v[0:1], off
	s_mov_b32 s0, 0
	s_mov_b32 s15, exec_lo
                                        ; implicit-def: $sgpr10
                                        ; implicit-def: $sgpr1
	s_waitcnt vmcnt(0)
	v_cmpx_lt_i16_e32 0x7f, v7
	s_xor_b32 s15, exec_lo, s15
	s_cbranch_execz .LBB240_207
; %bb.204:
	s_mov_b32 s0, -1
	s_mov_b32 s16, exec_lo
                                        ; implicit-def: $sgpr10
                                        ; implicit-def: $sgpr1
	v_cmpx_eq_u16_e32 0x80, v7
; %bb.205:
	s_movk_i32 s1, 0x7e00
	s_mov_b32 s10, 0
	s_xor_b32 s0, exec_lo, -1
; %bb.206:
	s_or_b32 exec_lo, exec_lo, s16
	s_delay_alu instid0(SALU_CYCLE_1)
	s_and_b32 s0, s0, exec_lo
.LBB240_207:
	s_or_saveexec_b32 s15, s15
	v_dual_mov_b32 v6, s10 :: v_dual_mov_b32 v5, s1
	s_xor_b32 exec_lo, exec_lo, s15
; %bb.208:
	v_cmp_ne_u16_e32 vcc_lo, 0, v7
	v_dual_mov_b32 v6, 0 :: v_dual_mov_b32 v5, v7
	s_and_not1_b32 s0, s0, exec_lo
	s_and_b32 s1, vcc_lo, exec_lo
	s_delay_alu instid0(SALU_CYCLE_1)
	s_or_b32 s0, s0, s1
; %bb.209:
	s_or_b32 exec_lo, exec_lo, s15
	s_and_saveexec_b32 s1, s0
	s_cbranch_execz .LBB240_211
; %bb.210:
	v_and_b32_e32 v5, 0xffff, v7
	v_lshlrev_b32_e32 v7, 24, v7
	s_delay_alu instid0(VALU_DEP_2) | instskip(NEXT) | instid1(VALU_DEP_2)
	v_and_b32_e32 v6, 3, v5
	v_and_b32_e32 v7, 0x80000000, v7
	s_delay_alu instid0(VALU_DEP_2) | instskip(NEXT) | instid1(VALU_DEP_1)
	v_clz_i32_u32_e32 v8, v6
	v_min_u32_e32 v8, 32, v8
	s_delay_alu instid0(VALU_DEP_1) | instskip(SKIP_1) | instid1(VALU_DEP_2)
	v_subrev_nc_u32_e32 v9, 29, v8
	v_sub_nc_u32_e32 v8, 30, v8
	v_lshlrev_b32_e32 v9, v9, v5
	v_bfe_u32 v5, v5, 2, 5
	s_delay_alu instid0(VALU_DEP_2) | instskip(NEXT) | instid1(VALU_DEP_2)
	v_and_b32_e32 v9, 3, v9
	v_cmp_eq_u32_e32 vcc_lo, 0, v5
	s_delay_alu instid0(VALU_DEP_2) | instskip(NEXT) | instid1(VALU_DEP_1)
	v_dual_cndmask_b32 v5, v5, v8 :: v_dual_cndmask_b32 v6, v6, v9
	v_lshl_add_u32 v5, v5, 23, 0x37800000
	s_delay_alu instid0(VALU_DEP_2) | instskip(NEXT) | instid1(VALU_DEP_1)
	v_lshlrev_b32_e32 v6, 21, v6
	v_or3_b32 v5, v7, v5, v6
	v_mov_b32_e32 v6, 0
	s_delay_alu instid0(VALU_DEP_2)
	v_cvt_f16_f32_e32 v5, v5
.LBB240_211:
	s_or_b32 exec_lo, exec_lo, s1
	s_mov_b32 s0, 0
	s_branch .LBB240_215
.LBB240_212:
	s_mov_b32 s1, -1
                                        ; implicit-def: $vgpr6
                                        ; implicit-def: $vgpr5
	s_branch .LBB240_221
.LBB240_213:
	s_mov_b32 s0, -1
                                        ; implicit-def: $vgpr6
                                        ; implicit-def: $vgpr5
	s_branch .LBB240_218
.LBB240_214:
	s_mov_b32 s0, -1
                                        ; implicit-def: $vgpr6
                                        ; implicit-def: $vgpr5
.LBB240_215:
	s_delay_alu instid0(SALU_CYCLE_1)
	s_and_b32 vcc_lo, exec_lo, s0
	s_cbranch_vccz .LBB240_217
; %bb.216:
	global_load_u8 v5, v[0:1], off
	s_waitcnt vmcnt(0)
	v_lshlrev_b32_e32 v5, 24, v5
	s_delay_alu instid0(VALU_DEP_1) | instskip(NEXT) | instid1(VALU_DEP_1)
	v_and_b32_e32 v6, 0x7f000000, v5
	v_clz_i32_u32_e32 v7, v6
	v_add_nc_u32_e32 v9, 0x1000000, v6
	v_cmp_ne_u32_e32 vcc_lo, 0, v6
	s_delay_alu instid0(VALU_DEP_3) | instskip(NEXT) | instid1(VALU_DEP_1)
	v_min_u32_e32 v7, 32, v7
	v_sub_nc_u32_e64 v7, v7, 4 clamp
	s_delay_alu instid0(VALU_DEP_1) | instskip(SKIP_1) | instid1(VALU_DEP_2)
	v_lshlrev_b32_e32 v8, v7, v6
	v_lshlrev_b32_e32 v7, 23, v7
	v_lshrrev_b32_e32 v8, 4, v8
	s_delay_alu instid0(VALU_DEP_1) | instskip(SKIP_1) | instid1(VALU_DEP_2)
	v_sub_nc_u32_e32 v7, v8, v7
	v_ashrrev_i32_e32 v8, 8, v9
	v_add_nc_u32_e32 v7, 0x3c000000, v7
	s_delay_alu instid0(VALU_DEP_1) | instskip(NEXT) | instid1(VALU_DEP_1)
	v_and_or_b32 v7, 0x7f800000, v8, v7
	v_cndmask_b32_e32 v6, 0, v7, vcc_lo
	s_delay_alu instid0(VALU_DEP_1) | instskip(SKIP_1) | instid1(VALU_DEP_2)
	v_and_or_b32 v5, 0x80000000, v5, v6
	v_mov_b32_e32 v6, 0
	v_cvt_f16_f32_e32 v5, v5
.LBB240_217:
	s_mov_b32 s0, 0
.LBB240_218:
	s_delay_alu instid0(SALU_CYCLE_1)
	s_and_not1_b32 vcc_lo, exec_lo, s0
	s_cbranch_vccnz .LBB240_220
; %bb.219:
	global_load_u8 v5, v[0:1], off
	s_waitcnt vmcnt(0)
	v_lshlrev_b32_e32 v6, 25, v5
	v_lshlrev_b16 v5, 8, v5
	s_delay_alu instid0(VALU_DEP_2) | instskip(NEXT) | instid1(VALU_DEP_2)
	v_lshrrev_b32_e32 v7, 4, v6
	v_and_or_b32 v8, 0x7f00, v5, 0.5
	v_bfe_i32 v5, v5, 0, 16
	s_delay_alu instid0(VALU_DEP_3) | instskip(NEXT) | instid1(VALU_DEP_1)
	v_or_b32_e32 v7, 0x70000000, v7
	v_dual_add_f32 v8, -0.5, v8 :: v_dual_mul_f32 v7, 0x7800000, v7
	v_cmp_gt_u32_e32 vcc_lo, 0x8000000, v6
	s_delay_alu instid0(VALU_DEP_2) | instskip(NEXT) | instid1(VALU_DEP_1)
	v_cndmask_b32_e32 v6, v7, v8, vcc_lo
	v_and_or_b32 v5, 0x80000000, v5, v6
	v_mov_b32_e32 v6, 0
	s_delay_alu instid0(VALU_DEP_2)
	v_cvt_f16_f32_e32 v5, v5
.LBB240_220:
	s_mov_b32 s1, 0
	s_mov_b32 s0, -1
.LBB240_221:
	s_and_not1_b32 vcc_lo, exec_lo, s1
	s_cbranch_vccnz .LBB240_233
; %bb.222:
	v_cmp_lt_i16_e32 vcc_lo, 14, v4
	s_cbranch_vccz .LBB240_225
; %bb.223:
	v_cmp_eq_u16_e32 vcc_lo, 15, v4
	s_cbranch_vccz .LBB240_226
; %bb.224:
	global_load_u16 v5, v[0:1], off
	s_mov_b32 s0, -1
	s_mov_b32 s12, 0
	s_mov_b32 s1, 0
	s_waitcnt vmcnt(0)
	v_lshlrev_b32_e32 v5, 16, v5
	s_delay_alu instid0(VALU_DEP_1)
	v_cvt_f16_f32_e32 v5, v5
	s_branch .LBB240_227
.LBB240_225:
	s_mov_b32 s10, -1
                                        ; implicit-def: $sgpr1
                                        ; implicit-def: $vgpr5
	s_branch .LBB240_228
.LBB240_226:
	s_mov_b32 s12, -1
                                        ; implicit-def: $sgpr1
                                        ; implicit-def: $vgpr5
.LBB240_227:
	s_mov_b32 s10, 0
.LBB240_228:
	s_delay_alu instid0(SALU_CYCLE_1)
	s_and_b32 vcc_lo, exec_lo, s10
	s_cbranch_vccz .LBB240_232
; %bb.229:
	v_cmp_eq_u16_e32 vcc_lo, 11, v4
	s_cbranch_vccz .LBB240_231
; %bb.230:
	global_load_u8 v5, v[0:1], off
	s_mov_b32 s1, 0
	s_mov_b32 s0, -1
	s_mov_b32 s12, 0
	s_waitcnt vmcnt(0)
	v_cmp_ne_u16_e32 vcc_lo, 0, v5
	v_cndmask_b32_e64 v5, 0, 0x3c00, vcc_lo
	s_branch .LBB240_232
.LBB240_231:
	s_mov_b32 s12, -1
                                        ; implicit-def: $sgpr1
                                        ; implicit-def: $vgpr5
.LBB240_232:
	v_mov_b32_e32 v6, s1
.LBB240_233:
	s_branch .LBB240_10
.LBB240_234:
	v_cmp_gt_i16_e32 vcc_lo, 5, v4
	s_cbranch_vccnz .LBB240_239
; %bb.235:
	v_cmp_gt_i16_e32 vcc_lo, 8, v4
	s_cbranch_vccnz .LBB240_240
; %bb.236:
	;; [unrolled: 3-line block ×3, first 2 shown]
	v_cmp_lt_i16_e32 vcc_lo, 9, v4
	s_cbranch_vccz .LBB240_242
; %bb.238:
	global_load_b128 v[5:8], v[0:1], off
	s_mov_b32 s0, 0
	s_waitcnt vmcnt(0)
	v_cvt_f32_f64_e32 v5, v[5:6]
	v_cvt_f32_f64_e32 v6, v[7:8]
	s_delay_alu instid0(VALU_DEP_2) | instskip(NEXT) | instid1(VALU_DEP_2)
	v_cvt_f16_f32_e32 v5, v5
	v_cvt_f16_f32_e32 v6, v6
	s_branch .LBB240_243
.LBB240_239:
                                        ; implicit-def: $vgpr6
                                        ; implicit-def: $vgpr5
	s_branch .LBB240_262
.LBB240_240:
	s_mov_b32 s0, -1
                                        ; implicit-def: $vgpr6
                                        ; implicit-def: $vgpr5
	s_branch .LBB240_249
.LBB240_241:
	s_mov_b32 s0, -1
                                        ; implicit-def: $vgpr6
                                        ; implicit-def: $vgpr5
	s_branch .LBB240_246
.LBB240_242:
	s_mov_b32 s0, -1
                                        ; implicit-def: $vgpr6
                                        ; implicit-def: $vgpr5
.LBB240_243:
	s_delay_alu instid0(SALU_CYCLE_1)
	s_and_not1_b32 vcc_lo, exec_lo, s0
	s_cbranch_vccnz .LBB240_245
; %bb.244:
	global_load_b64 v[5:6], v[0:1], off
	s_waitcnt vmcnt(0)
	v_cvt_f16_f32_e32 v5, v5
	v_cvt_f16_f32_e32 v6, v6
.LBB240_245:
	s_mov_b32 s0, 0
.LBB240_246:
	s_delay_alu instid0(SALU_CYCLE_1)
	s_and_not1_b32 vcc_lo, exec_lo, s0
	s_cbranch_vccnz .LBB240_248
; %bb.247:
	global_load_b32 v5, v[0:1], off
	s_waitcnt vmcnt(0)
	v_lshrrev_b32_e32 v6, 16, v5
.LBB240_248:
	s_mov_b32 s0, 0
.LBB240_249:
	s_delay_alu instid0(SALU_CYCLE_1)
	s_and_not1_b32 vcc_lo, exec_lo, s0
	s_cbranch_vccnz .LBB240_261
; %bb.250:
	v_cmp_gt_i16_e32 vcc_lo, 6, v4
	s_cbranch_vccnz .LBB240_253
; %bb.251:
	v_cmp_lt_i16_e32 vcc_lo, 6, v4
	s_cbranch_vccz .LBB240_254
; %bb.252:
	global_load_b64 v[5:6], v[0:1], off
	s_mov_b32 s1, 0
	s_mov_b32 s0, 0
	s_waitcnt vmcnt(0)
	v_cvt_f32_f64_e32 v5, v[5:6]
	s_delay_alu instid0(VALU_DEP_1)
	v_cvt_f16_f32_e32 v5, v5
	s_branch .LBB240_255
.LBB240_253:
	s_mov_b32 s1, -1
                                        ; implicit-def: $sgpr0
                                        ; implicit-def: $vgpr5
	s_branch .LBB240_258
.LBB240_254:
	s_mov_b32 s1, -1
                                        ; implicit-def: $sgpr0
                                        ; implicit-def: $vgpr5
.LBB240_255:
	s_delay_alu instid0(SALU_CYCLE_1)
	s_and_not1_b32 vcc_lo, exec_lo, s1
	s_cbranch_vccnz .LBB240_257
; %bb.256:
	global_load_b32 v5, v[0:1], off
	s_mov_b32 s0, 0
	s_waitcnt vmcnt(0)
	v_cvt_f16_f32_e32 v5, v5
.LBB240_257:
	s_mov_b32 s1, 0
.LBB240_258:
	s_delay_alu instid0(SALU_CYCLE_1)
	s_and_not1_b32 vcc_lo, exec_lo, s1
	s_cbranch_vccnz .LBB240_260
; %bb.259:
	global_load_u16 v5, v[0:1], off
	s_mov_b32 s0, 0
.LBB240_260:
	s_delay_alu instid0(SALU_CYCLE_1)
	v_mov_b32_e32 v6, s0
.LBB240_261:
	s_cbranch_execnz .LBB240_282
.LBB240_262:
	v_cmp_gt_i16_e32 vcc_lo, 2, v4
	s_cbranch_vccnz .LBB240_266
; %bb.263:
	v_cmp_gt_i16_e32 vcc_lo, 3, v4
	s_cbranch_vccnz .LBB240_267
; %bb.264:
	v_cmp_lt_i16_e32 vcc_lo, 3, v4
	s_cbranch_vccz .LBB240_268
; %bb.265:
	global_load_b64 v[5:6], v[0:1], off
	s_mov_b32 s1, 0
	s_mov_b32 s0, 0
	s_waitcnt vmcnt(0)
	v_xor_b32_e32 v7, v5, v6
	v_cls_i32_e32 v8, v6
	s_delay_alu instid0(VALU_DEP_2) | instskip(NEXT) | instid1(VALU_DEP_2)
	v_ashrrev_i32_e32 v7, 31, v7
	v_add_nc_u32_e32 v8, -1, v8
	s_delay_alu instid0(VALU_DEP_2) | instskip(NEXT) | instid1(VALU_DEP_1)
	v_add_nc_u32_e32 v7, 32, v7
	v_min_u32_e32 v7, v8, v7
	s_delay_alu instid0(VALU_DEP_1) | instskip(NEXT) | instid1(VALU_DEP_1)
	v_lshlrev_b64 v[5:6], v7, v[5:6]
	v_min_u32_e32 v5, 1, v5
	s_delay_alu instid0(VALU_DEP_1) | instskip(SKIP_1) | instid1(VALU_DEP_2)
	v_or_b32_e32 v5, v6, v5
	v_sub_nc_u32_e32 v6, 32, v7
	v_cvt_f32_i32_e32 v5, v5
	s_delay_alu instid0(VALU_DEP_1) | instskip(NEXT) | instid1(VALU_DEP_1)
	v_ldexp_f32 v5, v5, v6
	v_cvt_f16_f32_e32 v5, v5
	s_branch .LBB240_269
.LBB240_266:
	s_mov_b32 s1, -1
                                        ; implicit-def: $sgpr0
                                        ; implicit-def: $vgpr5
	s_branch .LBB240_275
.LBB240_267:
	s_mov_b32 s1, -1
                                        ; implicit-def: $sgpr0
                                        ; implicit-def: $vgpr5
	s_branch .LBB240_272
.LBB240_268:
	s_mov_b32 s1, -1
                                        ; implicit-def: $sgpr0
                                        ; implicit-def: $vgpr5
.LBB240_269:
	s_delay_alu instid0(SALU_CYCLE_1)
	s_and_not1_b32 vcc_lo, exec_lo, s1
	s_cbranch_vccnz .LBB240_271
; %bb.270:
	global_load_b32 v5, v[0:1], off
	s_mov_b32 s0, 0
	s_waitcnt vmcnt(0)
	v_cvt_f32_i32_e32 v5, v5
	s_delay_alu instid0(VALU_DEP_1)
	v_cvt_f16_f32_e32 v5, v5
.LBB240_271:
	s_mov_b32 s1, 0
.LBB240_272:
	s_delay_alu instid0(SALU_CYCLE_1)
	s_and_not1_b32 vcc_lo, exec_lo, s1
	s_cbranch_vccnz .LBB240_274
; %bb.273:
	global_load_u16 v5, v[0:1], off
	s_mov_b32 s0, 0
	s_waitcnt vmcnt(0)
	v_cvt_f16_i16_e32 v5, v5
.LBB240_274:
	s_mov_b32 s1, 0
.LBB240_275:
	s_delay_alu instid0(SALU_CYCLE_1)
	s_and_not1_b32 vcc_lo, exec_lo, s1
	s_cbranch_vccnz .LBB240_281
; %bb.276:
	v_cmp_lt_i16_e32 vcc_lo, 0, v4
	s_mov_b32 s1, 0
	s_cbranch_vccz .LBB240_278
; %bb.277:
	global_load_i8 v5, v[0:1], off
	s_mov_b32 s0, 0
	s_waitcnt vmcnt(0)
	v_cvt_f16_i16_e32 v5, v5
	s_branch .LBB240_279
.LBB240_278:
	s_mov_b32 s1, -1
                                        ; implicit-def: $sgpr0
                                        ; implicit-def: $vgpr5
.LBB240_279:
	s_delay_alu instid0(SALU_CYCLE_1)
	s_and_not1_b32 vcc_lo, exec_lo, s1
	s_cbranch_vccnz .LBB240_281
; %bb.280:
	global_load_u8 v0, v[0:1], off
	s_mov_b32 s0, 0
	s_waitcnt vmcnt(0)
	v_cvt_f16_u16_e32 v5, v0
.LBB240_281:
	v_mov_b32_e32 v6, s0
.LBB240_282:
	s_branch .LBB240_11
.LBB240_283:
	s_mov_b32 s0, 0
.LBB240_284:
	s_mov_b32 s1, 0
                                        ; implicit-def: $vgpr3
.LBB240_285:
	s_and_b32 s10, s0, exec_lo
	s_and_b32 s12, s12, exec_lo
	s_or_not1_b32 s1, s1, exec_lo
.LBB240_286:
	s_or_b32 exec_lo, exec_lo, s13
	s_mov_b32 s15, 0
	s_mov_b32 s0, 0
                                        ; implicit-def: $vgpr0_vgpr1
                                        ; implicit-def: $vgpr8
                                        ; implicit-def: $vgpr6
	s_and_saveexec_b32 s13, s1
	s_cbranch_execz .LBB240_967
; %bb.287:
	s_mov_b32 s18, -1
	s_mov_b32 s14, s12
	s_mov_b32 s15, s10
	s_mov_b32 s16, exec_lo
	v_cmpx_gt_i32_e64 s11, v3
	s_cbranch_execz .LBB240_581
; %bb.288:
	v_mul_lo_u32 v0, v3, s3
	v_cmp_gt_i16_e32 vcc_lo, 11, v4
	s_delay_alu instid0(VALU_DEP_2) | instskip(SKIP_1) | instid1(VALU_DEP_1)
	v_ashrrev_i32_e32 v1, 31, v0
	v_add_co_u32 v0, s0, s6, v0
	v_add_co_ci_u32_e64 v1, s0, s7, v1, s0
	s_cbranch_vccnz .LBB240_295
; %bb.289:
	v_cmp_lt_i16_e32 vcc_lo, 25, v4
	s_cbranch_vccz .LBB240_309
; %bb.290:
	v_cmp_lt_i16_e32 vcc_lo, 28, v4
	s_cbranch_vccz .LBB240_310
	;; [unrolled: 3-line block ×4, first 2 shown]
; %bb.293:
	v_cmp_eq_u16_e32 vcc_lo, 46, v4
	s_mov_b32 s1, 0
	s_cbranch_vccz .LBB240_346
; %bb.294:
	global_load_b32 v5, v[0:1], off
	s_mov_b32 s0, -1
	s_mov_b32 s14, 0
	s_waitcnt vmcnt(0)
	v_lshlrev_b32_e32 v6, 16, v5
	v_and_b32_e32 v7, 0xffff0000, v5
	s_delay_alu instid0(VALU_DEP_2) | instskip(NEXT) | instid1(VALU_DEP_2)
	v_cvt_f16_f32_e32 v5, v6
	v_cvt_f16_f32_e32 v6, v7
	s_branch .LBB240_348
.LBB240_295:
	s_mov_b32 s0, 0
	s_mov_b32 s14, s12
                                        ; implicit-def: $vgpr6
                                        ; implicit-def: $vgpr5
	s_cbranch_execnz .LBB240_528
.LBB240_296:
	s_and_not1_b32 vcc_lo, exec_lo, s0
	s_cbranch_vccnz .LBB240_578
.LBB240_297:
	s_waitcnt vmcnt(0)
	s_delay_alu instid0(VALU_DEP_2) | instskip(NEXT) | instid1(VALU_DEP_2)
	v_cmp_neq_f16_e32 vcc_lo, 0, v5
	v_cmp_neq_f16_e64 s0, 0, v6
	v_cvt_f32_f16_e32 v0, v6
	v_mov_b32_e32 v1, 0
	s_delay_alu instid0(VALU_DEP_3) | instskip(NEXT) | instid1(SALU_CYCLE_1)
	s_or_b32 s0, vcc_lo, s0
	s_and_saveexec_b32 s15, s0
	s_cbranch_execz .LBB240_333
; %bb.298:
	v_mov_b32_e32 v1, 0x7f800000
	s_mov_b32 s17, exec_lo
	v_cmpx_neq_f32_e64 0x7f800000, |v0|
	s_cbranch_execz .LBB240_332
; %bb.299:
	v_cvt_f32_f16_e32 v1, v5
	s_mov_b32 s0, exec_lo
	v_cmpx_o_f16_e32 v5, v5
	s_xor_b32 s18, exec_lo, s0
	s_cbranch_execz .LBB240_329
; %bb.300:
	s_mov_b32 s1, exec_lo
	v_cmpx_neq_f32_e64 0x7f800000, |v1|
	s_xor_b32 s19, exec_lo, s1
	s_cbranch_execz .LBB240_322
; %bb.301:
	v_max_f32_e64 v5, |v0|, |v0|
	v_max_f32_e64 v6, |v1|, |v1|
                                        ; implicit-def: $sgpr20
	s_delay_alu instid0(VALU_DEP_1) | instskip(NEXT) | instid1(VALU_DEP_1)
	v_max_f32_e32 v5, v6, v5
	v_cmp_nle_f32_e64 s0, 0x7ed413cb, v5
	s_delay_alu instid0(VALU_DEP_1) | instskip(NEXT) | instid1(SALU_CYCLE_1)
	s_and_saveexec_b32 s1, s0
	s_xor_b32 s1, exec_lo, s1
	s_cbranch_execz .LBB240_305
; %bb.302:
	v_cmp_ge_f32_e64 s20, 0x1000000, |v1|
	v_cmp_ge_f32_e64 s21, 0x1000000, |v0|
	s_delay_alu instid0(VALU_DEP_1)
	s_and_b32 s22, s20, s21
	s_mov_b32 s20, 0
	s_and_saveexec_b32 s21, s22
; %bb.303:
	v_dual_mul_f32 v1, 4.0, v1 :: v_dual_mul_f32 v0, 4.0, v0
	s_mov_b32 s20, exec_lo
; %bb.304:
	s_or_b32 exec_lo, exec_lo, s21
	s_delay_alu instid0(SALU_CYCLE_1)
	s_and_b32 s20, s20, exec_lo
.LBB240_305:
	s_and_not1_saveexec_b32 s1, s1
; %bb.306:
	v_dual_mul_f32 v1, 0x3e800000, v1 :: v_dual_mul_f32 v0, 0x3e800000, v0
	s_and_not1_b32 s20, s20, exec_lo
; %bb.307:
	s_or_b32 exec_lo, exec_lo, s1
	s_delay_alu instid0(VALU_DEP_1) | instskip(NEXT) | instid1(VALU_DEP_2)
	v_max_f32_e64 v5, |v0|, |v0|
	v_max_f32_e64 v6, |v1|, |v1|
	s_delay_alu instid0(VALU_DEP_1) | instskip(NEXT) | instid1(VALU_DEP_1)
	v_max_f32_e32 v7, v6, v5
	v_cvt_f64_f32_e32 v[5:6], v7
	s_delay_alu instid0(VALU_DEP_1) | instskip(NEXT) | instid1(VALU_DEP_1)
	v_frexp_exp_i32_f64_e32 v5, v[5:6]
	v_sub_nc_u32_e32 v6, 0, v5
	s_delay_alu instid0(VALU_DEP_1) | instskip(SKIP_1) | instid1(VALU_DEP_2)
	v_ldexp_f32 v8, |v0|, v6
	v_ldexp_f32 v6, |v1|, v6
	v_mul_f32_e32 v8, v8, v8
	v_cmp_neq_f32_e64 s1, 0x7f800000, v7
	s_delay_alu instid0(VALU_DEP_2) | instskip(NEXT) | instid1(VALU_DEP_1)
	v_fmac_f32_e32 v8, v6, v6
	v_sqrt_f32_e32 v6, v8
	s_waitcnt_depctr 0xfff
	v_ldexp_f32 v5, v6, v5
                                        ; implicit-def: $vgpr6
	s_delay_alu instid0(VALU_DEP_1)
	v_cndmask_b32_e64 v7, 0x7f800000, v5, s1
                                        ; implicit-def: $vgpr5
	s_mov_b32 s1, exec_lo
	v_cmpx_le_f32_e32 0, v1
	s_xor_b32 s21, exec_lo, s1
	s_cbranch_execz .LBB240_315
; %bb.308:
	v_add_f32_e32 v1, v1, v7
	s_delay_alu instid0(VALU_DEP_1) | instskip(NEXT) | instid1(VALU_DEP_1)
	v_mul_f32_e32 v1, 0.5, v1
	v_mul_f32_e32 v5, 0x4f800000, v1
	v_cmp_gt_f32_e32 vcc_lo, 0xf800000, v1
	s_delay_alu instid0(VALU_DEP_2) | instskip(NEXT) | instid1(VALU_DEP_1)
	v_cndmask_b32_e32 v1, v1, v5, vcc_lo
	v_sqrt_f32_e32 v5, v1
	s_waitcnt_depctr 0xfff
	v_add_nc_u32_e32 v6, -1, v5
	v_add_nc_u32_e32 v7, 1, v5
	s_delay_alu instid0(VALU_DEP_2) | instskip(NEXT) | instid1(VALU_DEP_2)
	v_fma_f32 v8, -v6, v5, v1
	v_fma_f32 v9, -v7, v5, v1
	s_delay_alu instid0(VALU_DEP_2) | instskip(NEXT) | instid1(VALU_DEP_1)
	v_cmp_ge_f32_e64 s1, 0, v8
	v_cndmask_b32_e64 v5, v5, v6, s1
	s_delay_alu instid0(VALU_DEP_3) | instskip(NEXT) | instid1(VALU_DEP_1)
	v_cmp_lt_f32_e64 s1, 0, v9
	v_cndmask_b32_e64 v5, v5, v7, s1
	s_delay_alu instid0(VALU_DEP_1) | instskip(NEXT) | instid1(VALU_DEP_1)
	v_mul_f32_e32 v6, 0x37800000, v5
	v_cndmask_b32_e32 v5, v5, v6, vcc_lo
	v_cmp_class_f32_e64 vcc_lo, v1, 0x260
	s_delay_alu instid0(VALU_DEP_2) | instskip(NEXT) | instid1(VALU_DEP_1)
	v_cndmask_b32_e32 v5, v5, v1, vcc_lo
	v_add_f32_e32 v1, v5, v5
	s_delay_alu instid0(VALU_DEP_1) | instskip(NEXT) | instid1(VALU_DEP_1)
	v_div_scale_f32 v6, null, v1, v1, v0
	v_rcp_f32_e32 v7, v6
	s_waitcnt_depctr 0xfff
	v_fma_f32 v8, -v6, v7, 1.0
	s_delay_alu instid0(VALU_DEP_1) | instskip(SKIP_1) | instid1(VALU_DEP_1)
	v_fmac_f32_e32 v7, v8, v7
	v_div_scale_f32 v8, vcc_lo, v0, v1, v0
	v_mul_f32_e32 v9, v8, v7
	s_delay_alu instid0(VALU_DEP_1) | instskip(NEXT) | instid1(VALU_DEP_1)
	v_fma_f32 v10, -v6, v9, v8
	v_fmac_f32_e32 v9, v10, v7
	s_delay_alu instid0(VALU_DEP_1) | instskip(NEXT) | instid1(VALU_DEP_1)
	v_fma_f32 v6, -v6, v9, v8
	v_div_fmas_f32 v6, v6, v7, v9
                                        ; implicit-def: $vgpr7
	s_delay_alu instid0(VALU_DEP_1)
	v_div_fixup_f32 v6, v6, v1, v0
                                        ; implicit-def: $vgpr1
                                        ; implicit-def: $vgpr0
	s_and_not1_saveexec_b32 s21, s21
	s_cbranch_execz .LBB240_317
	s_branch .LBB240_316
.LBB240_309:
	s_mov_b32 s1, -1
	s_mov_b32 s0, 0
	s_mov_b32 s14, s12
                                        ; implicit-def: $vgpr6
                                        ; implicit-def: $vgpr5
	s_branch .LBB240_493
.LBB240_310:
	s_mov_b32 s1, -1
	s_mov_b32 s0, 0
	s_mov_b32 s14, s12
                                        ; implicit-def: $vgpr6
                                        ; implicit-def: $vgpr5
	s_branch .LBB240_472
.LBB240_311:
	s_mov_b32 s1, -1
	s_mov_b32 s0, 0
	s_mov_b32 s14, s12
                                        ; implicit-def: $vgpr6
                                        ; implicit-def: $vgpr5
	s_branch .LBB240_466
.LBB240_312:
	s_or_saveexec_b32 s15, s15
                                        ; implicit-def: $sgpr16
	s_delay_alu instid0(SALU_CYCLE_1)
	s_xor_b32 exec_lo, exec_lo, s15
	s_cbranch_execz .LBB240_83
.LBB240_313:
	v_add_f32_e64 v10, 0x46000000, |v9|
	s_and_not1_b32 s10, s10, exec_lo
	s_mov_b32 s16, 0
	s_delay_alu instid0(VALU_DEP_1) | instskip(NEXT) | instid1(VALU_DEP_1)
	v_and_b32_e32 v10, 0xff, v10
	v_cmp_ne_u32_e32 vcc_lo, 0, v10
	s_and_b32 s17, vcc_lo, exec_lo
	s_delay_alu instid0(SALU_CYCLE_1)
	s_or_b32 s10, s10, s17
	s_or_b32 exec_lo, exec_lo, s15
	v_mov_b32_e32 v11, s16
	s_and_saveexec_b32 s15, s10
	s_cbranch_execnz .LBB240_84
	s_branch .LBB240_85
.LBB240_314:
	s_mov_b32 s1, -1
	s_mov_b32 s0, 0
	s_mov_b32 s14, s12
	s_branch .LBB240_347
.LBB240_315:
	s_and_not1_saveexec_b32 s21, s21
	s_cbranch_execz .LBB240_317
.LBB240_316:
	v_sub_f32_e32 v1, v7, v1
	s_delay_alu instid0(VALU_DEP_1) | instskip(NEXT) | instid1(VALU_DEP_1)
	v_mul_f32_e32 v1, 0.5, v1
	v_mul_f32_e32 v5, 0x4f800000, v1
	v_cmp_gt_f32_e32 vcc_lo, 0xf800000, v1
	s_delay_alu instid0(VALU_DEP_2) | instskip(NEXT) | instid1(VALU_DEP_1)
	v_cndmask_b32_e32 v1, v1, v5, vcc_lo
	v_sqrt_f32_e32 v5, v1
	s_waitcnt_depctr 0xfff
	v_add_nc_u32_e32 v6, -1, v5
	v_add_nc_u32_e32 v7, 1, v5
	s_delay_alu instid0(VALU_DEP_2) | instskip(NEXT) | instid1(VALU_DEP_2)
	v_fma_f32 v8, -v6, v5, v1
	v_fma_f32 v9, -v7, v5, v1
	s_delay_alu instid0(VALU_DEP_2) | instskip(NEXT) | instid1(VALU_DEP_1)
	v_cmp_ge_f32_e64 s1, 0, v8
	v_cndmask_b32_e64 v5, v5, v6, s1
	s_delay_alu instid0(VALU_DEP_3) | instskip(NEXT) | instid1(VALU_DEP_1)
	v_cmp_lt_f32_e64 s1, 0, v9
	v_cndmask_b32_e64 v5, v5, v7, s1
	s_delay_alu instid0(VALU_DEP_1) | instskip(NEXT) | instid1(VALU_DEP_1)
	v_mul_f32_e32 v6, 0x37800000, v5
	v_cndmask_b32_e32 v5, v5, v6, vcc_lo
	v_cmp_class_f32_e64 vcc_lo, v1, 0x260
	s_delay_alu instid0(VALU_DEP_2) | instskip(NEXT) | instid1(VALU_DEP_1)
	v_cndmask_b32_e32 v1, v5, v1, vcc_lo
	v_dual_add_f32 v6, v1, v1 :: v_dual_and_b32 v5, 0x7fffffff, v0
	s_delay_alu instid0(VALU_DEP_1) | instskip(SKIP_1) | instid1(VALU_DEP_2)
	v_div_scale_f32 v7, null, v6, v6, v5
	v_div_scale_f32 v5, vcc_lo, v5, v6, v5
	v_rcp_f32_e32 v8, v7
	s_waitcnt_depctr 0xfff
	v_fma_f32 v9, -v7, v8, 1.0
	s_delay_alu instid0(VALU_DEP_1) | instskip(NEXT) | instid1(VALU_DEP_1)
	v_fmac_f32_e32 v8, v9, v8
	v_mul_f32_e32 v9, v5, v8
	s_delay_alu instid0(VALU_DEP_1) | instskip(NEXT) | instid1(VALU_DEP_1)
	v_fma_f32 v10, -v7, v9, v5
	v_fmac_f32_e32 v9, v10, v8
	s_delay_alu instid0(VALU_DEP_1) | instskip(NEXT) | instid1(VALU_DEP_1)
	v_fma_f32 v5, -v7, v9, v5
	v_div_fmas_f32 v5, v5, v8, v9
	s_delay_alu instid0(VALU_DEP_1)
	v_div_fixup_f32 v5, v5, v6, |v0|
	v_bfi_b32 v6, 0x7fffffff, v1, v0
.LBB240_317:
	s_or_b32 exec_lo, exec_lo, s21
                                        ; implicit-def: $vgpr0
                                        ; implicit-def: $vgpr1
	s_and_saveexec_b32 s1, s0
	s_delay_alu instid0(SALU_CYCLE_1)
	s_xor_b32 s0, exec_lo, s1
	s_cbranch_execz .LBB240_319
; %bb.318:
	v_dual_mul_f32 v0, 0.5, v5 :: v_dual_mul_f32 v7, 0.5, v6
	s_delay_alu instid0(VALU_DEP_1) | instskip(NEXT) | instid1(VALU_DEP_2)
	v_cndmask_b32_e64 v1, v5, v0, s20
	v_cndmask_b32_e64 v0, v6, v7, s20
                                        ; implicit-def: $vgpr5
                                        ; implicit-def: $vgpr6
	s_and_not1_saveexec_b32 s0, s0
	s_cbranch_execnz .LBB240_320
	s_branch .LBB240_321
.LBB240_319:
	s_and_not1_saveexec_b32 s0, s0
.LBB240_320:
	v_dual_add_f32 v1, v5, v5 :: v_dual_add_f32 v0, v6, v6
.LBB240_321:
	s_or_b32 exec_lo, exec_lo, s0
                                        ; implicit-def: $vgpr5
.LBB240_322:
	s_and_not1_saveexec_b32 s0, s19
	s_cbranch_execz .LBB240_328
; %bb.323:
	v_cmp_lt_i16_e32 vcc_lo, -1, v5
	v_sub_f32_e32 v5, v0, v0
	s_and_saveexec_b32 s1, vcc_lo
	s_delay_alu instid0(SALU_CYCLE_1)
	s_xor_b32 s1, exec_lo, s1
; %bb.324:
	s_delay_alu instid0(VALU_DEP_1)
	v_bfi_b32 v0, 0x7fffffff, v5, v0
                                        ; implicit-def: $vgpr5
; %bb.325:
	s_and_not1_saveexec_b32 s1, s1
; %bb.326:
	v_and_b32_e32 v5, 0x7fffffff, v5
	s_delay_alu instid0(VALU_DEP_2) | instskip(NEXT) | instid1(VALU_DEP_2)
	v_bfi_b32 v0, 0x7fffffff, v1, v0
	v_mov_b32_e32 v1, v5
; %bb.327:
	s_or_b32 exec_lo, exec_lo, s1
.LBB240_328:
	s_delay_alu instid0(SALU_CYCLE_1)
	s_or_b32 exec_lo, exec_lo, s0
.LBB240_329:
	s_and_not1_saveexec_b32 s0, s18
; %bb.330:
	v_sub_f32_e32 v0, v0, v0
	s_delay_alu instid0(VALU_DEP_1) | instskip(NEXT) | instid1(VALU_DEP_1)
	v_div_scale_f32 v5, vcc_lo, v0, v0, v0
	v_rcp_f32_e32 v6, v5
	s_waitcnt_depctr 0xfff
	v_fma_f32 v7, -v5, v6, 1.0
	s_delay_alu instid0(VALU_DEP_1) | instskip(NEXT) | instid1(VALU_DEP_1)
	v_fmac_f32_e32 v6, v7, v6
	v_mul_f32_e32 v7, v5, v6
	s_delay_alu instid0(VALU_DEP_1) | instskip(NEXT) | instid1(VALU_DEP_1)
	v_fma_f32 v8, -v5, v7, v5
	v_fmac_f32_e32 v7, v8, v6
	s_delay_alu instid0(VALU_DEP_1) | instskip(NEXT) | instid1(VALU_DEP_1)
	v_fma_f32 v5, -v5, v7, v5
	v_div_fmas_f32 v5, v5, v6, v7
	s_delay_alu instid0(VALU_DEP_1)
	v_div_fixup_f32 v0, v5, v0, v0
; %bb.331:
	s_or_b32 exec_lo, exec_lo, s0
.LBB240_332:
	s_delay_alu instid0(SALU_CYCLE_1)
	s_or_b32 exec_lo, exec_lo, s17
.LBB240_333:
	s_delay_alu instid0(SALU_CYCLE_1) | instskip(NEXT) | instid1(VALU_DEP_1)
	s_or_b32 exec_lo, exec_lo, s15
	v_cvt_f16_f32_e32 v8, v0
	v_mul_lo_u32 v0, v3, s2
	v_cvt_f16_f32_e32 v5, v1
	v_and_b32_e32 v6, 0xff, v2
	s_delay_alu instid0(VALU_DEP_4) | instskip(NEXT) | instid1(VALU_DEP_3)
	v_lshlrev_b32_e32 v1, 16, v8
	v_and_b32_e32 v7, 0xffff, v5
	s_delay_alu instid0(VALU_DEP_3) | instskip(SKIP_2) | instid1(VALU_DEP_4)
	v_cmp_gt_i16_e32 vcc_lo, 11, v6
	v_ashrrev_i32_e32 v9, 31, v0
	v_add_co_u32 v0, s0, s4, v0
	v_or_b32_e32 v7, v1, v7
	s_delay_alu instid0(VALU_DEP_3)
	v_add_co_ci_u32_e64 v1, s0, s5, v9, s0
	s_cbranch_vccnz .LBB240_340
; %bb.334:
	v_cmp_lt_i16_e32 vcc_lo, 25, v6
	s_cbranch_vccz .LBB240_341
; %bb.335:
	v_cmp_lt_i16_e32 vcc_lo, 28, v6
	s_cbranch_vccz .LBB240_342
	;; [unrolled: 3-line block ×4, first 2 shown]
; %bb.338:
	v_cmp_eq_u16_e32 vcc_lo, 46, v6
	s_mov_b32 s15, 0
	s_mov_b32 s0, -1
	s_mov_b32 s1, 0
	s_cbranch_vccz .LBB240_352
; %bb.339:
	v_cvt_f32_f16_e32 v9, v8
	v_cvt_f32_f16_e32 v10, v5
	v_cmp_o_f16_e32 vcc_lo, v8, v8
	s_mov_b32 s1, -1
	s_mov_b32 s0, 0
	v_bfe_u32 v11, v9, 16, 1
	v_bfe_u32 v12, v10, 16, 1
	s_delay_alu instid0(VALU_DEP_2) | instskip(NEXT) | instid1(VALU_DEP_2)
	v_add3_u32 v9, v9, v11, 0x7fff
	v_add3_u32 v10, v10, v12, 0x7fff
	s_delay_alu instid0(VALU_DEP_2) | instskip(NEXT) | instid1(VALU_DEP_2)
	v_and_b32_e32 v9, 0xffff0000, v9
	v_lshrrev_b32_e32 v10, 16, v10
	s_delay_alu instid0(VALU_DEP_2) | instskip(SKIP_1) | instid1(VALU_DEP_3)
	v_cndmask_b32_e32 v9, 0x7fc00000, v9, vcc_lo
	v_cmp_o_f16_e32 vcc_lo, v5, v5
	v_cndmask_b32_e32 v10, 0x7fc0, v10, vcc_lo
	s_delay_alu instid0(VALU_DEP_1)
	v_or_b32_e32 v9, v9, v10
	global_store_b32 v[0:1], v9, off
	s_branch .LBB240_352
.LBB240_340:
	s_mov_b32 s15, -1
	s_mov_b32 s1, 0
	s_mov_b32 s0, s10
	s_branch .LBB240_421
.LBB240_341:
	s_mov_b32 s15, -1
	s_mov_b32 s1, 0
	s_mov_b32 s0, s10
	s_branch .LBB240_379
.LBB240_342:
	s_mov_b32 s15, -1
	s_mov_b32 s1, 0
	s_mov_b32 s0, s10
	s_branch .LBB240_362
.LBB240_343:
	s_mov_b32 s15, -1
	s_mov_b32 s1, 0
	s_mov_b32 s0, s10
	s_branch .LBB240_358
.LBB240_344:
	s_or_saveexec_b32 s15, s15
                                        ; implicit-def: $sgpr16
	s_delay_alu instid0(SALU_CYCLE_1)
	s_xor_b32 exec_lo, exec_lo, s15
	s_cbranch_execz .LBB240_96
.LBB240_345:
	v_add_f32_e64 v10, 0x42800000, |v9|
	s_and_not1_b32 s10, s10, exec_lo
	s_mov_b32 s16, 0
	s_delay_alu instid0(VALU_DEP_1) | instskip(NEXT) | instid1(VALU_DEP_1)
	v_and_b32_e32 v10, 0xff, v10
	v_cmp_ne_u32_e32 vcc_lo, 0, v10
	s_and_b32 s17, vcc_lo, exec_lo
	s_delay_alu instid0(SALU_CYCLE_1)
	s_or_b32 s10, s10, s17
	s_or_b32 exec_lo, exec_lo, s15
	v_mov_b32_e32 v11, s16
	s_and_saveexec_b32 s15, s10
	s_cbranch_execnz .LBB240_97
	s_branch .LBB240_98
.LBB240_346:
	s_mov_b32 s14, -1
	s_mov_b32 s0, 0
.LBB240_347:
                                        ; implicit-def: $vgpr6
                                        ; implicit-def: $vgpr5
.LBB240_348:
	s_and_b32 vcc_lo, exec_lo, s1
	s_cbranch_vccz .LBB240_465
; %bb.349:
	v_cmp_eq_u16_e32 vcc_lo, 44, v4
	s_cbranch_vccz .LBB240_463
; %bb.350:
	global_load_u8 v5, v[0:1], off
	s_mov_b32 s14, 0
	s_mov_b32 s0, -1
	s_waitcnt vmcnt(0)
	v_lshlrev_b32_e32 v6, 23, v5
	v_cmp_ne_u32_e32 vcc_lo, 0xff, v5
	s_delay_alu instid0(VALU_DEP_2) | instskip(NEXT) | instid1(VALU_DEP_1)
	v_cvt_f16_f32_e32 v6, v6
	v_cndmask_b32_e32 v6, 0x7e00, v6, vcc_lo
	v_cmp_ne_u32_e32 vcc_lo, 0, v5
	s_delay_alu instid0(VALU_DEP_2)
	v_cndmask_b32_e32 v5, 0, v6, vcc_lo
	s_branch .LBB240_464
.LBB240_351:
	s_mov_b32 s15, -1
	s_mov_b32 s1, 0
	s_mov_b32 s0, s10
.LBB240_352:
	s_and_b32 vcc_lo, exec_lo, s15
	s_cbranch_vccz .LBB240_357
; %bb.353:
	v_cmp_eq_u16_e32 vcc_lo, 44, v6
	s_mov_b32 s0, -1
	s_cbranch_vccz .LBB240_357
; %bb.354:
	v_cvt_f32_f16_e32 v9, v5
	v_mov_b32_e32 v10, 0xff
	s_mov_b32 s1, exec_lo
	s_delay_alu instid0(VALU_DEP_2) | instskip(NEXT) | instid1(VALU_DEP_1)
	v_bfe_u32 v11, v9, 23, 8
	v_cmpx_ne_u32_e32 0xff, v11
; %bb.355:
	v_and_b32_e32 v10, 0x400000, v9
	v_and_or_b32 v11, 0x3fffff, v9, v11
	v_lshrrev_b32_e32 v9, 23, v9
	s_delay_alu instid0(VALU_DEP_3) | instskip(NEXT) | instid1(VALU_DEP_3)
	v_cmp_ne_u32_e32 vcc_lo, 0, v10
	v_cmp_ne_u32_e64 s0, 0, v11
	s_delay_alu instid0(VALU_DEP_1) | instskip(NEXT) | instid1(SALU_CYCLE_1)
	s_and_b32 s0, vcc_lo, s0
	v_cndmask_b32_e64 v10, 0, 1, s0
	s_delay_alu instid0(VALU_DEP_1)
	v_add_nc_u32_e32 v10, v9, v10
; %bb.356:
	s_or_b32 exec_lo, exec_lo, s1
	s_mov_b32 s1, -1
	s_mov_b32 s0, 0
	global_store_b8 v[0:1], v10, off
.LBB240_357:
	s_mov_b32 s15, 0
.LBB240_358:
	s_delay_alu instid0(SALU_CYCLE_1)
	s_and_b32 vcc_lo, exec_lo, s15
	s_cbranch_vccz .LBB240_361
; %bb.359:
	v_cmp_eq_u16_e32 vcc_lo, 29, v6
	s_mov_b32 s0, -1
	s_cbranch_vccz .LBB240_361
; %bb.360:
	v_cvt_f32_f16_e32 v9, v5
	v_mov_b32_e32 v10, 0
	s_mov_b32 s0, 0
	s_mov_b32 s1, -1
	s_mov_b32 s15, 0
	v_cvt_u32_f32_e32 v9, v9
	global_store_b64 v[0:1], v[9:10], off
	s_branch .LBB240_362
.LBB240_361:
	s_mov_b32 s15, 0
.LBB240_362:
	s_delay_alu instid0(SALU_CYCLE_1)
	s_and_b32 vcc_lo, exec_lo, s15
	s_cbranch_vccz .LBB240_378
; %bb.363:
	v_cmp_gt_i16_e32 vcc_lo, 27, v6
	s_mov_b32 s1, -1
	s_cbranch_vccnz .LBB240_369
; %bb.364:
	v_cmp_lt_i16_e32 vcc_lo, 27, v6
	s_cbranch_vccz .LBB240_366
; %bb.365:
	v_cvt_f32_f16_e32 v9, v5
	s_mov_b32 s1, 0
	s_delay_alu instid0(VALU_DEP_1)
	v_cvt_u32_f32_e32 v9, v9
	global_store_b32 v[0:1], v9, off
.LBB240_366:
	s_and_not1_b32 vcc_lo, exec_lo, s1
	s_cbranch_vccnz .LBB240_368
; %bb.367:
	v_cvt_u16_f16_e32 v9, v5
	global_store_b16 v[0:1], v9, off
.LBB240_368:
	s_mov_b32 s1, 0
.LBB240_369:
	s_delay_alu instid0(SALU_CYCLE_1)
	s_and_not1_b32 vcc_lo, exec_lo, s1
	s_cbranch_vccnz .LBB240_377
; %bb.370:
	v_cvt_f32_f16_e32 v9, v5
	v_mov_b32_e32 v11, 0x80
	s_mov_b32 s1, exec_lo
	s_delay_alu instid0(VALU_DEP_2) | instskip(NEXT) | instid1(VALU_DEP_1)
	v_and_b32_e32 v10, 0x7fffffff, v9
	v_cmpx_gt_u32_e32 0x43800000, v10
	s_cbranch_execz .LBB240_376
; %bb.371:
	v_cmp_lt_u32_e32 vcc_lo, 0x3bffffff, v10
	s_mov_b32 s15, 0
                                        ; implicit-def: $vgpr10
	s_and_saveexec_b32 s17, vcc_lo
	s_delay_alu instid0(SALU_CYCLE_1)
	s_xor_b32 s17, exec_lo, s17
	s_cbranch_execz .LBB240_594
; %bb.372:
	v_bfe_u32 v10, v9, 20, 1
	s_mov_b32 s15, exec_lo
	s_delay_alu instid0(VALU_DEP_1) | instskip(NEXT) | instid1(VALU_DEP_1)
	v_add3_u32 v10, v9, v10, 0x487ffff
	v_lshrrev_b32_e32 v10, 20, v10
	s_or_saveexec_b32 s17, s17
                                        ; implicit-def: $sgpr18
	s_delay_alu instid0(SALU_CYCLE_1)
	s_xor_b32 exec_lo, exec_lo, s17
	s_cbranch_execnz .LBB240_595
.LBB240_373:
	s_or_b32 exec_lo, exec_lo, s17
	v_mov_b32_e32 v11, s18
	s_and_saveexec_b32 s17, s15
.LBB240_374:
	v_lshrrev_b32_e32 v9, 24, v9
	s_delay_alu instid0(VALU_DEP_1)
	v_and_or_b32 v11, 0x80, v9, v10
.LBB240_375:
	s_or_b32 exec_lo, exec_lo, s17
.LBB240_376:
	s_delay_alu instid0(SALU_CYCLE_1)
	s_or_b32 exec_lo, exec_lo, s1
	global_store_b8 v[0:1], v11, off
.LBB240_377:
	s_mov_b32 s1, -1
.LBB240_378:
	s_mov_b32 s15, 0
.LBB240_379:
	s_delay_alu instid0(SALU_CYCLE_1)
	s_and_b32 vcc_lo, exec_lo, s15
	s_cbranch_vccz .LBB240_420
; %bb.380:
	v_cmp_lt_i16_e32 vcc_lo, 22, v6
	s_mov_b32 s15, -1
	s_cbranch_vccz .LBB240_412
; %bb.381:
	v_cmp_gt_i16_e32 vcc_lo, 24, v6
	s_mov_b32 s1, -1
	s_cbranch_vccnz .LBB240_401
; %bb.382:
	v_cmp_lt_i16_e32 vcc_lo, 24, v6
	s_cbranch_vccz .LBB240_390
; %bb.383:
	v_cvt_f32_f16_e32 v9, v5
	v_mov_b32_e32 v11, 0x80
	s_mov_b32 s1, exec_lo
	s_delay_alu instid0(VALU_DEP_2) | instskip(NEXT) | instid1(VALU_DEP_1)
	v_and_b32_e32 v10, 0x7fffffff, v9
	v_cmpx_gt_u32_e32 0x47800000, v10
	s_cbranch_execz .LBB240_389
; %bb.384:
	v_cmp_lt_u32_e32 vcc_lo, 0x37ffffff, v10
	s_mov_b32 s15, 0
                                        ; implicit-def: $vgpr10
	s_and_saveexec_b32 s17, vcc_lo
	s_delay_alu instid0(SALU_CYCLE_1)
	s_xor_b32 s17, exec_lo, s17
	s_cbranch_execz .LBB240_597
; %bb.385:
	v_bfe_u32 v10, v9, 21, 1
	s_mov_b32 s15, exec_lo
	s_delay_alu instid0(VALU_DEP_1) | instskip(NEXT) | instid1(VALU_DEP_1)
	v_add3_u32 v10, v9, v10, 0x88fffff
	v_lshrrev_b32_e32 v10, 21, v10
	s_or_saveexec_b32 s17, s17
                                        ; implicit-def: $sgpr18
	s_delay_alu instid0(SALU_CYCLE_1)
	s_xor_b32 exec_lo, exec_lo, s17
	s_cbranch_execnz .LBB240_598
.LBB240_386:
	s_or_b32 exec_lo, exec_lo, s17
	v_mov_b32_e32 v11, s18
	s_and_saveexec_b32 s17, s15
.LBB240_387:
	v_lshrrev_b32_e32 v9, 24, v9
	s_delay_alu instid0(VALU_DEP_1)
	v_and_or_b32 v11, 0x80, v9, v10
.LBB240_388:
	s_or_b32 exec_lo, exec_lo, s17
.LBB240_389:
	s_delay_alu instid0(SALU_CYCLE_1)
	s_or_b32 exec_lo, exec_lo, s1
	s_mov_b32 s1, 0
	global_store_b8 v[0:1], v11, off
.LBB240_390:
	s_and_b32 vcc_lo, exec_lo, s1
	s_cbranch_vccz .LBB240_400
; %bb.391:
	v_cvt_f32_f16_e32 v9, v5
	s_mov_b32 s1, exec_lo
                                        ; implicit-def: $vgpr10
	s_delay_alu instid0(VALU_DEP_1) | instskip(NEXT) | instid1(VALU_DEP_1)
	v_and_b32_e32 v11, 0x7fffffff, v9
	v_cmpx_gt_u32_e32 0x43f00000, v11
	s_xor_b32 s1, exec_lo, s1
	s_cbranch_execz .LBB240_397
; %bb.392:
	s_mov_b32 s15, exec_lo
                                        ; implicit-def: $vgpr10
	v_cmpx_lt_u32_e32 0x3c7fffff, v11
	s_xor_b32 s15, exec_lo, s15
; %bb.393:
	v_bfe_u32 v10, v9, 20, 1
	s_delay_alu instid0(VALU_DEP_1) | instskip(NEXT) | instid1(VALU_DEP_1)
	v_add3_u32 v10, v9, v10, 0x407ffff
	v_and_b32_e32 v11, 0xff00000, v10
	v_lshrrev_b32_e32 v10, 20, v10
	s_delay_alu instid0(VALU_DEP_2) | instskip(NEXT) | instid1(VALU_DEP_2)
	v_cmp_ne_u32_e32 vcc_lo, 0x7f00000, v11
	v_cndmask_b32_e32 v10, 0x7e, v10, vcc_lo
; %bb.394:
	s_and_not1_saveexec_b32 s15, s15
; %bb.395:
	v_add_f32_e64 v10, 0x46800000, |v9|
; %bb.396:
	s_or_b32 exec_lo, exec_lo, s15
                                        ; implicit-def: $vgpr11
.LBB240_397:
	s_and_not1_saveexec_b32 s1, s1
; %bb.398:
	v_mov_b32_e32 v10, 0x7f
	v_cmp_lt_u32_e32 vcc_lo, 0x7f800000, v11
	s_delay_alu instid0(VALU_DEP_2)
	v_cndmask_b32_e32 v10, 0x7e, v10, vcc_lo
; %bb.399:
	s_or_b32 exec_lo, exec_lo, s1
	v_lshrrev_b32_e32 v9, 24, v9
	s_delay_alu instid0(VALU_DEP_1)
	v_and_or_b32 v9, 0x80, v9, v10
	global_store_b8 v[0:1], v9, off
.LBB240_400:
	s_mov_b32 s1, 0
.LBB240_401:
	s_delay_alu instid0(SALU_CYCLE_1)
	s_and_not1_b32 vcc_lo, exec_lo, s1
	s_cbranch_vccnz .LBB240_411
; %bb.402:
	v_cvt_f32_f16_e32 v9, v5
	s_mov_b32 s1, exec_lo
                                        ; implicit-def: $vgpr10
	s_delay_alu instid0(VALU_DEP_1) | instskip(NEXT) | instid1(VALU_DEP_1)
	v_and_b32_e32 v11, 0x7fffffff, v9
	v_cmpx_gt_u32_e32 0x47800000, v11
	s_xor_b32 s1, exec_lo, s1
	s_cbranch_execz .LBB240_408
; %bb.403:
	s_mov_b32 s15, exec_lo
                                        ; implicit-def: $vgpr10
	v_cmpx_lt_u32_e32 0x387fffff, v11
	s_xor_b32 s15, exec_lo, s15
; %bb.404:
	v_bfe_u32 v10, v9, 21, 1
	s_delay_alu instid0(VALU_DEP_1) | instskip(NEXT) | instid1(VALU_DEP_1)
	v_add3_u32 v10, v9, v10, 0x80fffff
	v_lshrrev_b32_e32 v10, 21, v10
; %bb.405:
	s_and_not1_saveexec_b32 s15, s15
; %bb.406:
	v_add_f32_e64 v10, 0x43000000, |v9|
; %bb.407:
	s_or_b32 exec_lo, exec_lo, s15
                                        ; implicit-def: $vgpr11
.LBB240_408:
	s_and_not1_saveexec_b32 s1, s1
; %bb.409:
	v_mov_b32_e32 v10, 0x7f
	v_cmp_lt_u32_e32 vcc_lo, 0x7f800000, v11
	s_delay_alu instid0(VALU_DEP_2)
	v_cndmask_b32_e32 v10, 0x7c, v10, vcc_lo
; %bb.410:
	s_or_b32 exec_lo, exec_lo, s1
	v_lshrrev_b32_e32 v9, 24, v9
	s_delay_alu instid0(VALU_DEP_1)
	v_and_or_b32 v9, 0x80, v9, v10
	global_store_b8 v[0:1], v9, off
.LBB240_411:
	s_mov_b32 s15, 0
	s_mov_b32 s1, -1
.LBB240_412:
	s_and_not1_b32 vcc_lo, exec_lo, s15
	s_cbranch_vccnz .LBB240_420
; %bb.413:
	v_cmp_lt_i16_e32 vcc_lo, 14, v6
	s_mov_b32 s15, -1
	s_cbranch_vccz .LBB240_417
; %bb.414:
	v_cmp_eq_u16_e32 vcc_lo, 15, v6
	s_mov_b32 s0, -1
	s_cbranch_vccz .LBB240_416
; %bb.415:
	v_cvt_f32_f16_e32 v9, v5
	v_cmp_o_f16_e32 vcc_lo, v5, v5
	s_mov_b32 s1, -1
	s_mov_b32 s0, 0
	s_delay_alu instid0(VALU_DEP_2) | instskip(NEXT) | instid1(VALU_DEP_1)
	v_bfe_u32 v10, v9, 16, 1
	v_add3_u32 v9, v9, v10, 0x7fff
	s_delay_alu instid0(VALU_DEP_1) | instskip(NEXT) | instid1(VALU_DEP_1)
	v_lshrrev_b32_e32 v9, 16, v9
	v_cndmask_b32_e32 v9, 0x7fc0, v9, vcc_lo
	global_store_b16 v[0:1], v9, off
.LBB240_416:
	s_mov_b32 s15, 0
.LBB240_417:
	s_delay_alu instid0(SALU_CYCLE_1)
	s_and_b32 vcc_lo, exec_lo, s15
	s_cbranch_vccz .LBB240_420
; %bb.418:
	v_cmp_eq_u16_e32 vcc_lo, 11, v6
	s_mov_b32 s0, -1
	s_cbranch_vccz .LBB240_420
; %bb.419:
	v_and_b32_e32 v9, 0x7fff7fff, v7
	s_mov_b32 s0, 0
	s_mov_b32 s1, -1
	s_delay_alu instid0(VALU_DEP_1)
	v_cmp_ne_u32_e32 vcc_lo, 0, v9
	v_cndmask_b32_e64 v9, 0, 1, vcc_lo
	global_store_b8 v[0:1], v9, off
.LBB240_420:
	s_mov_b32 s15, 0
.LBB240_421:
	s_delay_alu instid0(SALU_CYCLE_1)
	s_and_b32 vcc_lo, exec_lo, s15
	s_cbranch_vccz .LBB240_460
; %bb.422:
	v_cmp_gt_i16_e32 vcc_lo, 5, v6
	s_mov_b32 s1, -1
	s_cbranch_vccnz .LBB240_443
; %bb.423:
	v_cmp_gt_i16_e32 vcc_lo, 8, v6
	s_cbranch_vccnz .LBB240_433
; %bb.424:
	v_cmp_gt_i16_e32 vcc_lo, 9, v6
	s_cbranch_vccnz .LBB240_430
; %bb.425:
	v_cmp_lt_i16_e32 vcc_lo, 9, v6
	s_cbranch_vccz .LBB240_427
; %bb.426:
	v_cvt_f32_f16_e32 v9, v5
	v_cvt_f32_f16_e32 v11, v8
	s_mov_b32 s1, 0
	s_delay_alu instid0(VALU_DEP_2) | instskip(NEXT) | instid1(VALU_DEP_2)
	v_cvt_f64_f32_e32 v[9:10], v9
	v_cvt_f64_f32_e32 v[11:12], v11
	global_store_b128 v[0:1], v[9:12], off
.LBB240_427:
	s_and_not1_b32 vcc_lo, exec_lo, s1
	s_cbranch_vccnz .LBB240_429
; %bb.428:
	v_cvt_f32_f16_e32 v9, v5
	v_cvt_f32_f16_e32 v10, v8
	global_store_b64 v[0:1], v[9:10], off
.LBB240_429:
	s_mov_b32 s1, 0
.LBB240_430:
	s_delay_alu instid0(SALU_CYCLE_1)
	s_and_not1_b32 vcc_lo, exec_lo, s1
	s_cbranch_vccnz .LBB240_432
; %bb.431:
	global_store_b32 v[0:1], v7, off
.LBB240_432:
	s_mov_b32 s1, 0
.LBB240_433:
	s_delay_alu instid0(SALU_CYCLE_1)
	s_and_not1_b32 vcc_lo, exec_lo, s1
	s_cbranch_vccnz .LBB240_442
; %bb.434:
	v_cmp_gt_i16_e32 vcc_lo, 6, v6
	s_mov_b32 s1, -1
	s_cbranch_vccnz .LBB240_440
; %bb.435:
	v_cmp_lt_i16_e32 vcc_lo, 6, v6
	s_cbranch_vccz .LBB240_437
; %bb.436:
	v_cvt_f32_f16_e32 v7, v5
	s_mov_b32 s1, 0
	s_delay_alu instid0(VALU_DEP_1)
	v_cvt_f64_f32_e32 v[7:8], v7
	global_store_b64 v[0:1], v[7:8], off
.LBB240_437:
	s_and_not1_b32 vcc_lo, exec_lo, s1
	s_cbranch_vccnz .LBB240_439
; %bb.438:
	v_cvt_f32_f16_e32 v7, v5
	global_store_b32 v[0:1], v7, off
.LBB240_439:
	s_mov_b32 s1, 0
.LBB240_440:
	s_delay_alu instid0(SALU_CYCLE_1)
	s_and_not1_b32 vcc_lo, exec_lo, s1
	s_cbranch_vccnz .LBB240_442
; %bb.441:
	global_store_b16 v[0:1], v5, off
.LBB240_442:
	s_mov_b32 s1, 0
.LBB240_443:
	s_delay_alu instid0(SALU_CYCLE_1)
	s_and_not1_b32 vcc_lo, exec_lo, s1
	s_cbranch_vccnz .LBB240_459
; %bb.444:
	v_cmp_gt_i16_e32 vcc_lo, 2, v6
	s_mov_b32 s1, -1
	s_cbranch_vccnz .LBB240_454
; %bb.445:
	v_cmp_gt_i16_e32 vcc_lo, 3, v6
	s_cbranch_vccnz .LBB240_451
; %bb.446:
	v_cmp_lt_i16_e32 vcc_lo, 3, v6
	s_cbranch_vccz .LBB240_448
; %bb.447:
	v_cvt_f32_f16_e32 v7, v5
	s_mov_b32 s1, 0
	s_delay_alu instid0(VALU_DEP_1) | instskip(NEXT) | instid1(VALU_DEP_1)
	v_cvt_i32_f32_e32 v7, v7
	v_ashrrev_i32_e32 v8, 31, v7
	global_store_b64 v[0:1], v[7:8], off
.LBB240_448:
	s_and_not1_b32 vcc_lo, exec_lo, s1
	s_cbranch_vccnz .LBB240_450
; %bb.449:
	v_cvt_f32_f16_e32 v7, v5
	s_delay_alu instid0(VALU_DEP_1)
	v_cvt_i32_f32_e32 v7, v7
	global_store_b32 v[0:1], v7, off
.LBB240_450:
	s_mov_b32 s1, 0
.LBB240_451:
	s_delay_alu instid0(SALU_CYCLE_1)
	s_and_not1_b32 vcc_lo, exec_lo, s1
	s_cbranch_vccnz .LBB240_453
; %bb.452:
	v_cvt_i16_f16_e32 v7, v5
	global_store_b16 v[0:1], v7, off
.LBB240_453:
	s_mov_b32 s1, 0
.LBB240_454:
	s_delay_alu instid0(SALU_CYCLE_1)
	s_and_not1_b32 vcc_lo, exec_lo, s1
	s_cbranch_vccnz .LBB240_459
; %bb.455:
	v_cmp_lt_i16_e32 vcc_lo, 0, v6
	s_mov_b32 s1, -1
	s_cbranch_vccz .LBB240_457
; %bb.456:
	v_cvt_i16_f16_e32 v6, v5
	s_mov_b32 s1, 0
	global_store_b8 v[0:1], v6, off
.LBB240_457:
	s_and_not1_b32 vcc_lo, exec_lo, s1
	s_cbranch_vccnz .LBB240_459
; %bb.458:
	v_cvt_f32_f16_e32 v5, v5
	s_delay_alu instid0(VALU_DEP_1)
	v_cvt_i32_f32_e32 v5, v5
	global_store_b8 v[0:1], v5, off
.LBB240_459:
	s_mov_b32 s1, -1
.LBB240_460:
	s_delay_alu instid0(SALU_CYCLE_1)
	s_and_not1_b32 vcc_lo, exec_lo, s1
	s_cbranch_vccnz .LBB240_462
; %bb.461:
	v_add_nc_u32_e32 v3, 0x80, v3
	s_mov_b32 s1, -1
	s_branch .LBB240_580
.LBB240_462:
	s_mov_b32 s1, 0
	s_branch .LBB240_579
.LBB240_463:
	s_mov_b32 s14, -1
                                        ; implicit-def: $vgpr5
.LBB240_464:
	s_delay_alu instid0(SALU_CYCLE_1)
	v_mov_b32_e32 v6, s14
.LBB240_465:
	s_mov_b32 s1, 0
.LBB240_466:
	s_delay_alu instid0(SALU_CYCLE_1)
	s_and_b32 vcc_lo, exec_lo, s1
	s_cbranch_vccz .LBB240_471
; %bb.467:
	v_cmp_eq_u16_e32 vcc_lo, 29, v4
	s_cbranch_vccz .LBB240_469
; %bb.468:
	global_load_b64 v[5:6], v[0:1], off
	s_mov_b32 s0, -1
	s_mov_b32 s14, 0
	s_mov_b32 s1, 0
	s_waitcnt vmcnt(0)
	v_clz_i32_u32_e32 v7, v6
	s_delay_alu instid0(VALU_DEP_1) | instskip(NEXT) | instid1(VALU_DEP_1)
	v_min_u32_e32 v7, 32, v7
	v_lshlrev_b64 v[5:6], v7, v[5:6]
	s_delay_alu instid0(VALU_DEP_1) | instskip(NEXT) | instid1(VALU_DEP_1)
	v_min_u32_e32 v5, 1, v5
	v_or_b32_e32 v5, v6, v5
	v_sub_nc_u32_e32 v6, 32, v7
	s_delay_alu instid0(VALU_DEP_2) | instskip(NEXT) | instid1(VALU_DEP_1)
	v_cvt_f32_u32_e32 v5, v5
	v_ldexp_f32 v5, v5, v6
	s_delay_alu instid0(VALU_DEP_1)
	v_cvt_f16_f32_e32 v5, v5
	s_branch .LBB240_470
.LBB240_469:
	s_mov_b32 s14, -1
                                        ; implicit-def: $sgpr1
                                        ; implicit-def: $vgpr5
.LBB240_470:
	v_mov_b32_e32 v6, s1
.LBB240_471:
	s_mov_b32 s1, 0
.LBB240_472:
	s_delay_alu instid0(SALU_CYCLE_1)
	s_and_b32 vcc_lo, exec_lo, s1
	s_cbranch_vccz .LBB240_492
; %bb.473:
	v_cmp_gt_i16_e32 vcc_lo, 27, v4
	s_cbranch_vccnz .LBB240_476
; %bb.474:
	v_cmp_lt_i16_e32 vcc_lo, 27, v4
	s_cbranch_vccz .LBB240_477
; %bb.475:
	global_load_b32 v5, v[0:1], off
	s_mov_b32 s1, 0
	s_mov_b32 s0, 0
	s_waitcnt vmcnt(0)
	v_cvt_f32_u32_e32 v5, v5
	s_delay_alu instid0(VALU_DEP_1)
	v_cvt_f16_f32_e32 v5, v5
	s_branch .LBB240_478
.LBB240_476:
	s_mov_b32 s1, -1
                                        ; implicit-def: $sgpr0
                                        ; implicit-def: $vgpr5
	s_branch .LBB240_481
.LBB240_477:
	s_mov_b32 s1, -1
                                        ; implicit-def: $sgpr0
                                        ; implicit-def: $vgpr5
.LBB240_478:
	s_delay_alu instid0(SALU_CYCLE_1)
	s_and_not1_b32 vcc_lo, exec_lo, s1
	s_cbranch_vccnz .LBB240_480
; %bb.479:
	global_load_u16 v5, v[0:1], off
	s_mov_b32 s0, 0
	s_waitcnt vmcnt(0)
	v_cvt_f16_u16_e32 v5, v5
.LBB240_480:
	s_mov_b32 s1, 0
.LBB240_481:
	v_mov_b32_e32 v6, s0
	s_and_not1_b32 vcc_lo, exec_lo, s1
	s_cbranch_vccnz .LBB240_491
; %bb.482:
	global_load_u8 v7, v[0:1], off
	s_mov_b32 s0, 0
	s_mov_b32 s17, exec_lo
                                        ; implicit-def: $sgpr15
                                        ; implicit-def: $sgpr1
	s_waitcnt vmcnt(0)
	v_cmpx_lt_i16_e32 0x7f, v7
	s_xor_b32 s17, exec_lo, s17
	s_cbranch_execz .LBB240_486
; %bb.483:
	s_mov_b32 s0, -1
	s_mov_b32 s18, exec_lo
                                        ; implicit-def: $sgpr15
                                        ; implicit-def: $sgpr1
	v_cmpx_eq_u16_e32 0x80, v7
; %bb.484:
	s_movk_i32 s1, 0x7e00
	s_mov_b32 s15, 0
	s_xor_b32 s0, exec_lo, -1
; %bb.485:
	s_or_b32 exec_lo, exec_lo, s18
	s_delay_alu instid0(SALU_CYCLE_1)
	s_and_b32 s0, s0, exec_lo
.LBB240_486:
	s_or_saveexec_b32 s17, s17
	v_dual_mov_b32 v6, s15 :: v_dual_mov_b32 v5, s1
	s_xor_b32 exec_lo, exec_lo, s17
; %bb.487:
	v_cmp_ne_u16_e32 vcc_lo, 0, v7
	v_dual_mov_b32 v6, 0 :: v_dual_mov_b32 v5, v7
	s_and_not1_b32 s0, s0, exec_lo
	s_and_b32 s1, vcc_lo, exec_lo
	s_delay_alu instid0(SALU_CYCLE_1)
	s_or_b32 s0, s0, s1
; %bb.488:
	s_or_b32 exec_lo, exec_lo, s17
	s_and_saveexec_b32 s1, s0
	s_cbranch_execz .LBB240_490
; %bb.489:
	v_and_b32_e32 v5, 0xffff, v7
	v_lshlrev_b32_e32 v7, 24, v7
	s_delay_alu instid0(VALU_DEP_2) | instskip(NEXT) | instid1(VALU_DEP_2)
	v_and_b32_e32 v6, 7, v5
	v_and_b32_e32 v7, 0x80000000, v7
	s_delay_alu instid0(VALU_DEP_2) | instskip(NEXT) | instid1(VALU_DEP_1)
	v_clz_i32_u32_e32 v8, v6
	v_min_u32_e32 v8, 32, v8
	s_delay_alu instid0(VALU_DEP_1) | instskip(SKIP_1) | instid1(VALU_DEP_2)
	v_subrev_nc_u32_e32 v9, 28, v8
	v_sub_nc_u32_e32 v8, 29, v8
	v_lshlrev_b32_e32 v9, v9, v5
	v_bfe_u32 v5, v5, 3, 4
	s_delay_alu instid0(VALU_DEP_2) | instskip(NEXT) | instid1(VALU_DEP_2)
	v_and_b32_e32 v9, 7, v9
	v_cmp_eq_u32_e32 vcc_lo, 0, v5
	s_delay_alu instid0(VALU_DEP_2) | instskip(NEXT) | instid1(VALU_DEP_1)
	v_dual_cndmask_b32 v5, v5, v8 :: v_dual_cndmask_b32 v6, v6, v9
	v_lshl_add_u32 v5, v5, 23, 0x3b800000
	s_delay_alu instid0(VALU_DEP_2) | instskip(NEXT) | instid1(VALU_DEP_1)
	v_lshlrev_b32_e32 v6, 20, v6
	v_or3_b32 v5, v7, v5, v6
	v_mov_b32_e32 v6, 0
	s_delay_alu instid0(VALU_DEP_2)
	v_cvt_f16_f32_e32 v5, v5
.LBB240_490:
	s_or_b32 exec_lo, exec_lo, s1
.LBB240_491:
	s_mov_b32 s0, -1
.LBB240_492:
	s_mov_b32 s1, 0
.LBB240_493:
	s_delay_alu instid0(SALU_CYCLE_1)
	s_and_b32 vcc_lo, exec_lo, s1
	s_cbranch_vccz .LBB240_527
; %bb.494:
	v_cmp_lt_i16_e32 vcc_lo, 22, v4
	s_cbranch_vccz .LBB240_506
; %bb.495:
	v_cmp_gt_i16_e32 vcc_lo, 24, v4
	s_cbranch_vccnz .LBB240_507
; %bb.496:
	v_cmp_lt_i16_e32 vcc_lo, 24, v4
	s_cbranch_vccz .LBB240_508
; %bb.497:
	global_load_u8 v7, v[0:1], off
	s_mov_b32 s0, 0
	s_mov_b32 s17, exec_lo
                                        ; implicit-def: $sgpr15
                                        ; implicit-def: $sgpr1
	s_waitcnt vmcnt(0)
	v_cmpx_lt_i16_e32 0x7f, v7
	s_xor_b32 s17, exec_lo, s17
	s_cbranch_execz .LBB240_501
; %bb.498:
	s_mov_b32 s0, -1
	s_mov_b32 s18, exec_lo
                                        ; implicit-def: $sgpr15
                                        ; implicit-def: $sgpr1
	v_cmpx_eq_u16_e32 0x80, v7
; %bb.499:
	s_movk_i32 s1, 0x7e00
	s_mov_b32 s15, 0
	s_xor_b32 s0, exec_lo, -1
; %bb.500:
	s_or_b32 exec_lo, exec_lo, s18
	s_delay_alu instid0(SALU_CYCLE_1)
	s_and_b32 s0, s0, exec_lo
.LBB240_501:
	s_or_saveexec_b32 s17, s17
	v_dual_mov_b32 v6, s15 :: v_dual_mov_b32 v5, s1
	s_xor_b32 exec_lo, exec_lo, s17
; %bb.502:
	v_cmp_ne_u16_e32 vcc_lo, 0, v7
	v_dual_mov_b32 v6, 0 :: v_dual_mov_b32 v5, v7
	s_and_not1_b32 s0, s0, exec_lo
	s_and_b32 s1, vcc_lo, exec_lo
	s_delay_alu instid0(SALU_CYCLE_1)
	s_or_b32 s0, s0, s1
; %bb.503:
	s_or_b32 exec_lo, exec_lo, s17
	s_and_saveexec_b32 s1, s0
	s_cbranch_execz .LBB240_505
; %bb.504:
	v_and_b32_e32 v5, 0xffff, v7
	v_lshlrev_b32_e32 v7, 24, v7
	s_delay_alu instid0(VALU_DEP_2) | instskip(NEXT) | instid1(VALU_DEP_2)
	v_and_b32_e32 v6, 3, v5
	v_and_b32_e32 v7, 0x80000000, v7
	s_delay_alu instid0(VALU_DEP_2) | instskip(NEXT) | instid1(VALU_DEP_1)
	v_clz_i32_u32_e32 v8, v6
	v_min_u32_e32 v8, 32, v8
	s_delay_alu instid0(VALU_DEP_1) | instskip(SKIP_1) | instid1(VALU_DEP_2)
	v_subrev_nc_u32_e32 v9, 29, v8
	v_sub_nc_u32_e32 v8, 30, v8
	v_lshlrev_b32_e32 v9, v9, v5
	v_bfe_u32 v5, v5, 2, 5
	s_delay_alu instid0(VALU_DEP_2) | instskip(NEXT) | instid1(VALU_DEP_2)
	v_and_b32_e32 v9, 3, v9
	v_cmp_eq_u32_e32 vcc_lo, 0, v5
	s_delay_alu instid0(VALU_DEP_2) | instskip(NEXT) | instid1(VALU_DEP_1)
	v_dual_cndmask_b32 v5, v5, v8 :: v_dual_cndmask_b32 v6, v6, v9
	v_lshl_add_u32 v5, v5, 23, 0x37800000
	s_delay_alu instid0(VALU_DEP_2) | instskip(NEXT) | instid1(VALU_DEP_1)
	v_lshlrev_b32_e32 v6, 21, v6
	v_or3_b32 v5, v7, v5, v6
	v_mov_b32_e32 v6, 0
	s_delay_alu instid0(VALU_DEP_2)
	v_cvt_f16_f32_e32 v5, v5
.LBB240_505:
	s_or_b32 exec_lo, exec_lo, s1
	s_mov_b32 s0, 0
	s_branch .LBB240_509
.LBB240_506:
	s_mov_b32 s1, -1
                                        ; implicit-def: $vgpr6
                                        ; implicit-def: $vgpr5
	s_branch .LBB240_515
.LBB240_507:
	s_mov_b32 s0, -1
                                        ; implicit-def: $vgpr6
                                        ; implicit-def: $vgpr5
	s_branch .LBB240_512
.LBB240_508:
	s_mov_b32 s0, -1
                                        ; implicit-def: $vgpr6
                                        ; implicit-def: $vgpr5
.LBB240_509:
	s_delay_alu instid0(SALU_CYCLE_1)
	s_and_b32 vcc_lo, exec_lo, s0
	s_cbranch_vccz .LBB240_511
; %bb.510:
	global_load_u8 v5, v[0:1], off
	s_waitcnt vmcnt(0)
	v_lshlrev_b32_e32 v5, 24, v5
	s_delay_alu instid0(VALU_DEP_1) | instskip(NEXT) | instid1(VALU_DEP_1)
	v_and_b32_e32 v6, 0x7f000000, v5
	v_clz_i32_u32_e32 v7, v6
	v_add_nc_u32_e32 v9, 0x1000000, v6
	v_cmp_ne_u32_e32 vcc_lo, 0, v6
	s_delay_alu instid0(VALU_DEP_3) | instskip(NEXT) | instid1(VALU_DEP_1)
	v_min_u32_e32 v7, 32, v7
	v_sub_nc_u32_e64 v7, v7, 4 clamp
	s_delay_alu instid0(VALU_DEP_1) | instskip(SKIP_1) | instid1(VALU_DEP_2)
	v_lshlrev_b32_e32 v8, v7, v6
	v_lshlrev_b32_e32 v7, 23, v7
	v_lshrrev_b32_e32 v8, 4, v8
	s_delay_alu instid0(VALU_DEP_1) | instskip(SKIP_1) | instid1(VALU_DEP_2)
	v_sub_nc_u32_e32 v7, v8, v7
	v_ashrrev_i32_e32 v8, 8, v9
	v_add_nc_u32_e32 v7, 0x3c000000, v7
	s_delay_alu instid0(VALU_DEP_1) | instskip(NEXT) | instid1(VALU_DEP_1)
	v_and_or_b32 v7, 0x7f800000, v8, v7
	v_cndmask_b32_e32 v6, 0, v7, vcc_lo
	s_delay_alu instid0(VALU_DEP_1) | instskip(SKIP_1) | instid1(VALU_DEP_2)
	v_and_or_b32 v5, 0x80000000, v5, v6
	v_mov_b32_e32 v6, 0
	v_cvt_f16_f32_e32 v5, v5
.LBB240_511:
	s_mov_b32 s0, 0
.LBB240_512:
	s_delay_alu instid0(SALU_CYCLE_1)
	s_and_not1_b32 vcc_lo, exec_lo, s0
	s_cbranch_vccnz .LBB240_514
; %bb.513:
	global_load_u8 v5, v[0:1], off
	s_waitcnt vmcnt(0)
	v_lshlrev_b32_e32 v6, 25, v5
	v_lshlrev_b16 v5, 8, v5
	s_delay_alu instid0(VALU_DEP_2) | instskip(NEXT) | instid1(VALU_DEP_2)
	v_lshrrev_b32_e32 v7, 4, v6
	v_and_or_b32 v8, 0x7f00, v5, 0.5
	v_bfe_i32 v5, v5, 0, 16
	s_delay_alu instid0(VALU_DEP_3) | instskip(NEXT) | instid1(VALU_DEP_1)
	v_or_b32_e32 v7, 0x70000000, v7
	v_dual_add_f32 v8, -0.5, v8 :: v_dual_mul_f32 v7, 0x7800000, v7
	v_cmp_gt_u32_e32 vcc_lo, 0x8000000, v6
	s_delay_alu instid0(VALU_DEP_2) | instskip(NEXT) | instid1(VALU_DEP_1)
	v_cndmask_b32_e32 v6, v7, v8, vcc_lo
	v_and_or_b32 v5, 0x80000000, v5, v6
	v_mov_b32_e32 v6, 0
	s_delay_alu instid0(VALU_DEP_2)
	v_cvt_f16_f32_e32 v5, v5
.LBB240_514:
	s_mov_b32 s1, 0
	s_mov_b32 s0, -1
.LBB240_515:
	s_and_not1_b32 vcc_lo, exec_lo, s1
	s_cbranch_vccnz .LBB240_527
; %bb.516:
	v_cmp_lt_i16_e32 vcc_lo, 14, v4
	s_cbranch_vccz .LBB240_519
; %bb.517:
	v_cmp_eq_u16_e32 vcc_lo, 15, v4
	s_cbranch_vccz .LBB240_520
; %bb.518:
	global_load_u16 v5, v[0:1], off
	s_mov_b32 s0, -1
	s_mov_b32 s14, 0
	s_mov_b32 s1, 0
	s_waitcnt vmcnt(0)
	v_lshlrev_b32_e32 v5, 16, v5
	s_delay_alu instid0(VALU_DEP_1)
	v_cvt_f16_f32_e32 v5, v5
	s_branch .LBB240_521
.LBB240_519:
	s_mov_b32 s15, -1
                                        ; implicit-def: $sgpr1
                                        ; implicit-def: $vgpr5
	s_branch .LBB240_522
.LBB240_520:
	s_mov_b32 s14, -1
                                        ; implicit-def: $sgpr1
                                        ; implicit-def: $vgpr5
.LBB240_521:
	s_mov_b32 s15, 0
.LBB240_522:
	s_delay_alu instid0(SALU_CYCLE_1)
	s_and_b32 vcc_lo, exec_lo, s15
	s_cbranch_vccz .LBB240_526
; %bb.523:
	v_cmp_eq_u16_e32 vcc_lo, 11, v4
	s_cbranch_vccz .LBB240_525
; %bb.524:
	global_load_u8 v5, v[0:1], off
	s_mov_b32 s1, 0
	s_mov_b32 s0, -1
	s_mov_b32 s14, 0
	s_waitcnt vmcnt(0)
	v_cmp_ne_u16_e32 vcc_lo, 0, v5
	v_cndmask_b32_e64 v5, 0, 0x3c00, vcc_lo
	s_branch .LBB240_526
.LBB240_525:
	s_mov_b32 s14, -1
                                        ; implicit-def: $sgpr1
                                        ; implicit-def: $vgpr5
.LBB240_526:
	v_mov_b32_e32 v6, s1
.LBB240_527:
	s_branch .LBB240_296
.LBB240_528:
	v_cmp_gt_i16_e32 vcc_lo, 5, v4
	s_cbranch_vccnz .LBB240_533
; %bb.529:
	v_cmp_gt_i16_e32 vcc_lo, 8, v4
	s_cbranch_vccnz .LBB240_534
; %bb.530:
	;; [unrolled: 3-line block ×3, first 2 shown]
	v_cmp_lt_i16_e32 vcc_lo, 9, v4
	s_cbranch_vccz .LBB240_536
; %bb.532:
	global_load_b128 v[5:8], v[0:1], off
	s_mov_b32 s0, 0
	s_waitcnt vmcnt(0)
	v_cvt_f32_f64_e32 v5, v[5:6]
	v_cvt_f32_f64_e32 v6, v[7:8]
	s_delay_alu instid0(VALU_DEP_2) | instskip(NEXT) | instid1(VALU_DEP_2)
	v_cvt_f16_f32_e32 v5, v5
	v_cvt_f16_f32_e32 v6, v6
	s_branch .LBB240_537
.LBB240_533:
	s_mov_b32 s0, -1
                                        ; implicit-def: $vgpr6
                                        ; implicit-def: $vgpr5
	s_branch .LBB240_556
.LBB240_534:
	s_mov_b32 s0, -1
                                        ; implicit-def: $vgpr6
                                        ; implicit-def: $vgpr5
	s_branch .LBB240_543
.LBB240_535:
	s_mov_b32 s0, -1
                                        ; implicit-def: $vgpr6
                                        ; implicit-def: $vgpr5
	s_branch .LBB240_540
.LBB240_536:
	s_mov_b32 s0, -1
                                        ; implicit-def: $vgpr6
                                        ; implicit-def: $vgpr5
.LBB240_537:
	s_delay_alu instid0(SALU_CYCLE_1)
	s_and_not1_b32 vcc_lo, exec_lo, s0
	s_cbranch_vccnz .LBB240_539
; %bb.538:
	global_load_b64 v[5:6], v[0:1], off
	s_waitcnt vmcnt(0)
	v_cvt_f16_f32_e32 v5, v5
	v_cvt_f16_f32_e32 v6, v6
.LBB240_539:
	s_mov_b32 s0, 0
.LBB240_540:
	s_delay_alu instid0(SALU_CYCLE_1)
	s_and_not1_b32 vcc_lo, exec_lo, s0
	s_cbranch_vccnz .LBB240_542
; %bb.541:
	global_load_b32 v5, v[0:1], off
	s_waitcnt vmcnt(0)
	v_lshrrev_b32_e32 v6, 16, v5
.LBB240_542:
	s_mov_b32 s0, 0
.LBB240_543:
	s_delay_alu instid0(SALU_CYCLE_1)
	s_and_not1_b32 vcc_lo, exec_lo, s0
	s_cbranch_vccnz .LBB240_555
; %bb.544:
	v_cmp_gt_i16_e32 vcc_lo, 6, v4
	s_cbranch_vccnz .LBB240_547
; %bb.545:
	v_cmp_lt_i16_e32 vcc_lo, 6, v4
	s_cbranch_vccz .LBB240_548
; %bb.546:
	global_load_b64 v[5:6], v[0:1], off
	s_mov_b32 s1, 0
	s_mov_b32 s0, 0
	s_waitcnt vmcnt(0)
	v_cvt_f32_f64_e32 v5, v[5:6]
	s_delay_alu instid0(VALU_DEP_1)
	v_cvt_f16_f32_e32 v5, v5
	s_branch .LBB240_549
.LBB240_547:
	s_mov_b32 s1, -1
                                        ; implicit-def: $sgpr0
                                        ; implicit-def: $vgpr5
	s_branch .LBB240_552
.LBB240_548:
	s_mov_b32 s1, -1
                                        ; implicit-def: $sgpr0
                                        ; implicit-def: $vgpr5
.LBB240_549:
	s_delay_alu instid0(SALU_CYCLE_1)
	s_and_not1_b32 vcc_lo, exec_lo, s1
	s_cbranch_vccnz .LBB240_551
; %bb.550:
	global_load_b32 v5, v[0:1], off
	s_mov_b32 s0, 0
	s_waitcnt vmcnt(0)
	v_cvt_f16_f32_e32 v5, v5
.LBB240_551:
	s_mov_b32 s1, 0
.LBB240_552:
	s_delay_alu instid0(SALU_CYCLE_1)
	s_and_not1_b32 vcc_lo, exec_lo, s1
	s_cbranch_vccnz .LBB240_554
; %bb.553:
	global_load_u16 v5, v[0:1], off
	s_mov_b32 s0, 0
.LBB240_554:
	s_delay_alu instid0(SALU_CYCLE_1)
	v_mov_b32_e32 v6, s0
.LBB240_555:
	s_mov_b32 s0, 0
.LBB240_556:
	s_delay_alu instid0(SALU_CYCLE_1)
	s_and_not1_b32 vcc_lo, exec_lo, s0
	s_cbranch_vccnz .LBB240_577
; %bb.557:
	v_cmp_gt_i16_e32 vcc_lo, 2, v4
	s_cbranch_vccnz .LBB240_561
; %bb.558:
	v_cmp_gt_i16_e32 vcc_lo, 3, v4
	s_cbranch_vccnz .LBB240_562
; %bb.559:
	v_cmp_lt_i16_e32 vcc_lo, 3, v4
	s_cbranch_vccz .LBB240_563
; %bb.560:
	global_load_b64 v[5:6], v[0:1], off
	s_mov_b32 s1, 0
	s_mov_b32 s0, 0
	s_waitcnt vmcnt(0)
	v_xor_b32_e32 v7, v5, v6
	v_cls_i32_e32 v8, v6
	s_delay_alu instid0(VALU_DEP_2) | instskip(NEXT) | instid1(VALU_DEP_2)
	v_ashrrev_i32_e32 v7, 31, v7
	v_add_nc_u32_e32 v8, -1, v8
	s_delay_alu instid0(VALU_DEP_2) | instskip(NEXT) | instid1(VALU_DEP_1)
	v_add_nc_u32_e32 v7, 32, v7
	v_min_u32_e32 v7, v8, v7
	s_delay_alu instid0(VALU_DEP_1) | instskip(NEXT) | instid1(VALU_DEP_1)
	v_lshlrev_b64 v[5:6], v7, v[5:6]
	v_min_u32_e32 v5, 1, v5
	s_delay_alu instid0(VALU_DEP_1) | instskip(SKIP_1) | instid1(VALU_DEP_2)
	v_or_b32_e32 v5, v6, v5
	v_sub_nc_u32_e32 v6, 32, v7
	v_cvt_f32_i32_e32 v5, v5
	s_delay_alu instid0(VALU_DEP_1) | instskip(NEXT) | instid1(VALU_DEP_1)
	v_ldexp_f32 v5, v5, v6
	v_cvt_f16_f32_e32 v5, v5
	s_branch .LBB240_564
.LBB240_561:
	s_mov_b32 s1, -1
                                        ; implicit-def: $sgpr0
                                        ; implicit-def: $vgpr5
	s_branch .LBB240_570
.LBB240_562:
	s_mov_b32 s1, -1
                                        ; implicit-def: $sgpr0
                                        ; implicit-def: $vgpr5
	s_branch .LBB240_567
.LBB240_563:
	s_mov_b32 s1, -1
                                        ; implicit-def: $sgpr0
                                        ; implicit-def: $vgpr5
.LBB240_564:
	s_delay_alu instid0(SALU_CYCLE_1)
	s_and_not1_b32 vcc_lo, exec_lo, s1
	s_cbranch_vccnz .LBB240_566
; %bb.565:
	global_load_b32 v5, v[0:1], off
	s_mov_b32 s0, 0
	s_waitcnt vmcnt(0)
	v_cvt_f32_i32_e32 v5, v5
	s_delay_alu instid0(VALU_DEP_1)
	v_cvt_f16_f32_e32 v5, v5
.LBB240_566:
	s_mov_b32 s1, 0
.LBB240_567:
	s_delay_alu instid0(SALU_CYCLE_1)
	s_and_not1_b32 vcc_lo, exec_lo, s1
	s_cbranch_vccnz .LBB240_569
; %bb.568:
	global_load_u16 v5, v[0:1], off
	s_mov_b32 s0, 0
	s_waitcnt vmcnt(0)
	v_cvt_f16_i16_e32 v5, v5
.LBB240_569:
	s_mov_b32 s1, 0
.LBB240_570:
	s_delay_alu instid0(SALU_CYCLE_1)
	s_and_not1_b32 vcc_lo, exec_lo, s1
	s_cbranch_vccnz .LBB240_576
; %bb.571:
	v_cmp_lt_i16_e32 vcc_lo, 0, v4
	s_mov_b32 s1, 0
	s_cbranch_vccz .LBB240_573
; %bb.572:
	global_load_i8 v5, v[0:1], off
	s_mov_b32 s0, 0
	s_waitcnt vmcnt(0)
	v_cvt_f16_i16_e32 v5, v5
	s_branch .LBB240_574
.LBB240_573:
	s_mov_b32 s1, -1
                                        ; implicit-def: $sgpr0
                                        ; implicit-def: $vgpr5
.LBB240_574:
	s_delay_alu instid0(SALU_CYCLE_1)
	s_and_not1_b32 vcc_lo, exec_lo, s1
	s_cbranch_vccnz .LBB240_576
; %bb.575:
	global_load_u8 v0, v[0:1], off
	s_mov_b32 s0, 0
	s_waitcnt vmcnt(0)
	v_cvt_f16_u16_e32 v5, v0
.LBB240_576:
	v_mov_b32_e32 v6, s0
.LBB240_577:
	s_branch .LBB240_297
.LBB240_578:
	s_mov_b32 s1, 0
	s_mov_b32 s0, s10
.LBB240_579:
                                        ; implicit-def: $vgpr3
.LBB240_580:
	s_and_not1_b32 s15, s10, exec_lo
	s_and_b32 s0, s0, exec_lo
	s_and_not1_b32 s17, s12, exec_lo
	s_and_b32 s14, s14, exec_lo
	s_or_b32 s15, s15, s0
	s_or_b32 s14, s17, s14
	s_or_not1_b32 s18, s1, exec_lo
.LBB240_581:
	s_or_b32 exec_lo, exec_lo, s16
	s_mov_b32 s1, 0
	s_mov_b32 s17, 0
	;; [unrolled: 1-line block ×3, first 2 shown]
                                        ; implicit-def: $vgpr0_vgpr1
                                        ; implicit-def: $vgpr8
                                        ; implicit-def: $vgpr6
	s_and_saveexec_b32 s16, s18
	s_cbranch_execz .LBB240_966
; %bb.582:
	s_mov_b32 s0, -1
	s_mov_b32 s1, s14
	s_mov_b32 s18, s15
	s_mov_b32 s17, exec_lo
	v_cmpx_gt_i32_e64 s11, v3
	s_cbranch_execz .LBB240_877
; %bb.583:
	v_mul_lo_u32 v0, v3, s3
	v_cmp_gt_i16_e32 vcc_lo, 11, v4
	s_delay_alu instid0(VALU_DEP_2) | instskip(SKIP_1) | instid1(VALU_DEP_1)
	v_ashrrev_i32_e32 v1, 31, v0
	v_add_co_u32 v0, s0, s6, v0
	v_add_co_ci_u32_e64 v1, s0, s7, v1, s0
	s_cbranch_vccnz .LBB240_590
; %bb.584:
	v_cmp_lt_i16_e32 vcc_lo, 25, v4
	s_cbranch_vccz .LBB240_591
; %bb.585:
	v_cmp_lt_i16_e32 vcc_lo, 28, v4
	s_cbranch_vccz .LBB240_592
; %bb.586:
	v_cmp_lt_i16_e32 vcc_lo, 43, v4
	s_cbranch_vccz .LBB240_593
; %bb.587:
	v_cmp_lt_i16_e32 vcc_lo, 45, v4
	s_cbranch_vccz .LBB240_596
; %bb.588:
	v_cmp_eq_u16_e32 vcc_lo, 46, v4
	s_mov_b32 s1, 0
	s_cbranch_vccz .LBB240_599
; %bb.589:
	global_load_b32 v5, v[0:1], off
	s_mov_b32 s0, -1
	s_mov_b32 s18, 0
	s_waitcnt vmcnt(0)
	v_lshlrev_b32_e32 v6, 16, v5
	v_and_b32_e32 v7, 0xffff0000, v5
	s_delay_alu instid0(VALU_DEP_2) | instskip(NEXT) | instid1(VALU_DEP_2)
	v_cvt_f16_f32_e32 v5, v6
	v_cvt_f16_f32_e32 v6, v7
	s_branch .LBB240_601
.LBB240_590:
	s_mov_b32 s1, -1
	s_mov_b32 s0, 0
	s_mov_b32 s18, s14
                                        ; implicit-def: $vgpr6
                                        ; implicit-def: $vgpr5
	s_branch .LBB240_669
.LBB240_591:
	s_mov_b32 s1, -1
	s_mov_b32 s0, 0
	s_mov_b32 s18, s14
                                        ; implicit-def: $vgpr6
                                        ; implicit-def: $vgpr5
	s_branch .LBB240_634
.LBB240_592:
	s_mov_b32 s1, -1
	s_mov_b32 s0, 0
	s_mov_b32 s18, s14
                                        ; implicit-def: $vgpr6
                                        ; implicit-def: $vgpr5
	s_branch .LBB240_613
.LBB240_593:
	s_mov_b32 s1, -1
	s_mov_b32 s0, 0
	s_mov_b32 s18, s14
                                        ; implicit-def: $vgpr6
                                        ; implicit-def: $vgpr5
	s_branch .LBB240_607
.LBB240_594:
	s_or_saveexec_b32 s17, s17
                                        ; implicit-def: $sgpr18
	s_delay_alu instid0(SALU_CYCLE_1)
	s_xor_b32 exec_lo, exec_lo, s17
	s_cbranch_execz .LBB240_373
.LBB240_595:
	v_add_f32_e64 v10, 0x46000000, |v9|
	s_and_not1_b32 s15, s15, exec_lo
	s_mov_b32 s18, 0
	s_delay_alu instid0(VALU_DEP_1) | instskip(NEXT) | instid1(VALU_DEP_1)
	v_and_b32_e32 v10, 0xff, v10
	v_cmp_ne_u32_e32 vcc_lo, 0, v10
	s_and_b32 s19, vcc_lo, exec_lo
	s_delay_alu instid0(SALU_CYCLE_1)
	s_or_b32 s15, s15, s19
	s_or_b32 exec_lo, exec_lo, s17
	v_mov_b32_e32 v11, s18
	s_and_saveexec_b32 s17, s15
	s_cbranch_execnz .LBB240_374
	s_branch .LBB240_375
.LBB240_596:
	s_mov_b32 s1, -1
	s_mov_b32 s0, 0
	s_mov_b32 s18, s14
	s_branch .LBB240_600
.LBB240_597:
	s_or_saveexec_b32 s17, s17
                                        ; implicit-def: $sgpr18
	s_delay_alu instid0(SALU_CYCLE_1)
	s_xor_b32 exec_lo, exec_lo, s17
	s_cbranch_execz .LBB240_386
.LBB240_598:
	v_add_f32_e64 v10, 0x42800000, |v9|
	s_and_not1_b32 s15, s15, exec_lo
	s_mov_b32 s18, 0
	s_delay_alu instid0(VALU_DEP_1) | instskip(NEXT) | instid1(VALU_DEP_1)
	v_and_b32_e32 v10, 0xff, v10
	v_cmp_ne_u32_e32 vcc_lo, 0, v10
	s_and_b32 s19, vcc_lo, exec_lo
	s_delay_alu instid0(SALU_CYCLE_1)
	s_or_b32 s15, s15, s19
	s_or_b32 exec_lo, exec_lo, s17
	v_mov_b32_e32 v11, s18
	s_and_saveexec_b32 s17, s15
	s_cbranch_execnz .LBB240_387
	s_branch .LBB240_388
.LBB240_599:
	s_mov_b32 s18, -1
	s_mov_b32 s0, 0
.LBB240_600:
                                        ; implicit-def: $vgpr6
                                        ; implicit-def: $vgpr5
.LBB240_601:
	s_and_b32 vcc_lo, exec_lo, s1
	s_cbranch_vccz .LBB240_606
; %bb.602:
	v_cmp_eq_u16_e32 vcc_lo, 44, v4
	s_cbranch_vccz .LBB240_604
; %bb.603:
	global_load_u8 v5, v[0:1], off
	s_mov_b32 s18, 0
	s_mov_b32 s0, -1
	s_waitcnt vmcnt(0)
	v_lshlrev_b32_e32 v6, 23, v5
	v_cmp_ne_u32_e32 vcc_lo, 0xff, v5
	s_delay_alu instid0(VALU_DEP_2) | instskip(NEXT) | instid1(VALU_DEP_1)
	v_cvt_f16_f32_e32 v6, v6
	v_cndmask_b32_e32 v6, 0x7e00, v6, vcc_lo
	v_cmp_ne_u32_e32 vcc_lo, 0, v5
	s_delay_alu instid0(VALU_DEP_2)
	v_cndmask_b32_e32 v5, 0, v6, vcc_lo
	s_branch .LBB240_605
.LBB240_604:
	s_mov_b32 s18, -1
                                        ; implicit-def: $vgpr5
.LBB240_605:
	s_delay_alu instid0(SALU_CYCLE_1)
	v_mov_b32_e32 v6, s18
.LBB240_606:
	s_mov_b32 s1, 0
.LBB240_607:
	s_delay_alu instid0(SALU_CYCLE_1)
	s_and_b32 vcc_lo, exec_lo, s1
	s_cbranch_vccz .LBB240_612
; %bb.608:
	v_cmp_eq_u16_e32 vcc_lo, 29, v4
	s_cbranch_vccz .LBB240_610
; %bb.609:
	global_load_b64 v[5:6], v[0:1], off
	s_mov_b32 s0, -1
	s_mov_b32 s18, 0
	s_mov_b32 s1, 0
	s_waitcnt vmcnt(0)
	v_clz_i32_u32_e32 v7, v6
	s_delay_alu instid0(VALU_DEP_1) | instskip(NEXT) | instid1(VALU_DEP_1)
	v_min_u32_e32 v7, 32, v7
	v_lshlrev_b64 v[5:6], v7, v[5:6]
	s_delay_alu instid0(VALU_DEP_1) | instskip(NEXT) | instid1(VALU_DEP_1)
	v_min_u32_e32 v5, 1, v5
	v_or_b32_e32 v5, v6, v5
	v_sub_nc_u32_e32 v6, 32, v7
	s_delay_alu instid0(VALU_DEP_2) | instskip(NEXT) | instid1(VALU_DEP_1)
	v_cvt_f32_u32_e32 v5, v5
	v_ldexp_f32 v5, v5, v6
	s_delay_alu instid0(VALU_DEP_1)
	v_cvt_f16_f32_e32 v5, v5
	s_branch .LBB240_611
.LBB240_610:
	s_mov_b32 s18, -1
                                        ; implicit-def: $sgpr1
                                        ; implicit-def: $vgpr5
.LBB240_611:
	v_mov_b32_e32 v6, s1
.LBB240_612:
	s_mov_b32 s1, 0
.LBB240_613:
	s_delay_alu instid0(SALU_CYCLE_1)
	s_and_b32 vcc_lo, exec_lo, s1
	s_cbranch_vccz .LBB240_633
; %bb.614:
	v_cmp_gt_i16_e32 vcc_lo, 27, v4
	s_cbranch_vccnz .LBB240_617
; %bb.615:
	v_cmp_lt_i16_e32 vcc_lo, 27, v4
	s_cbranch_vccz .LBB240_618
; %bb.616:
	global_load_b32 v5, v[0:1], off
	s_mov_b32 s1, 0
	s_mov_b32 s0, 0
	s_waitcnt vmcnt(0)
	v_cvt_f32_u32_e32 v5, v5
	s_delay_alu instid0(VALU_DEP_1)
	v_cvt_f16_f32_e32 v5, v5
	s_branch .LBB240_619
.LBB240_617:
	s_mov_b32 s1, -1
                                        ; implicit-def: $sgpr0
                                        ; implicit-def: $vgpr5
	s_branch .LBB240_622
.LBB240_618:
	s_mov_b32 s1, -1
                                        ; implicit-def: $sgpr0
                                        ; implicit-def: $vgpr5
.LBB240_619:
	s_delay_alu instid0(SALU_CYCLE_1)
	s_and_not1_b32 vcc_lo, exec_lo, s1
	s_cbranch_vccnz .LBB240_621
; %bb.620:
	global_load_u16 v5, v[0:1], off
	s_mov_b32 s0, 0
	s_waitcnt vmcnt(0)
	v_cvt_f16_u16_e32 v5, v5
.LBB240_621:
	s_mov_b32 s1, 0
.LBB240_622:
	v_mov_b32_e32 v6, s0
	s_and_not1_b32 vcc_lo, exec_lo, s1
	s_cbranch_vccnz .LBB240_632
; %bb.623:
	global_load_u8 v7, v[0:1], off
	s_mov_b32 s0, 0
	s_mov_b32 s20, exec_lo
                                        ; implicit-def: $sgpr19
                                        ; implicit-def: $sgpr1
	s_waitcnt vmcnt(0)
	v_cmpx_lt_i16_e32 0x7f, v7
	s_xor_b32 s20, exec_lo, s20
	s_cbranch_execz .LBB240_627
; %bb.624:
	s_mov_b32 s0, -1
	s_mov_b32 s21, exec_lo
                                        ; implicit-def: $sgpr19
                                        ; implicit-def: $sgpr1
	v_cmpx_eq_u16_e32 0x80, v7
; %bb.625:
	s_movk_i32 s1, 0x7e00
	s_mov_b32 s19, 0
	s_xor_b32 s0, exec_lo, -1
; %bb.626:
	s_or_b32 exec_lo, exec_lo, s21
	s_delay_alu instid0(SALU_CYCLE_1)
	s_and_b32 s0, s0, exec_lo
.LBB240_627:
	s_or_saveexec_b32 s20, s20
	v_dual_mov_b32 v6, s19 :: v_dual_mov_b32 v5, s1
	s_xor_b32 exec_lo, exec_lo, s20
; %bb.628:
	v_cmp_ne_u16_e32 vcc_lo, 0, v7
	v_dual_mov_b32 v6, 0 :: v_dual_mov_b32 v5, v7
	s_and_not1_b32 s0, s0, exec_lo
	s_and_b32 s1, vcc_lo, exec_lo
	s_delay_alu instid0(SALU_CYCLE_1)
	s_or_b32 s0, s0, s1
; %bb.629:
	s_or_b32 exec_lo, exec_lo, s20
	s_and_saveexec_b32 s1, s0
	s_cbranch_execz .LBB240_631
; %bb.630:
	v_and_b32_e32 v5, 0xffff, v7
	v_lshlrev_b32_e32 v7, 24, v7
	s_delay_alu instid0(VALU_DEP_2) | instskip(NEXT) | instid1(VALU_DEP_2)
	v_and_b32_e32 v6, 7, v5
	v_and_b32_e32 v7, 0x80000000, v7
	s_delay_alu instid0(VALU_DEP_2) | instskip(NEXT) | instid1(VALU_DEP_1)
	v_clz_i32_u32_e32 v8, v6
	v_min_u32_e32 v8, 32, v8
	s_delay_alu instid0(VALU_DEP_1) | instskip(SKIP_1) | instid1(VALU_DEP_2)
	v_subrev_nc_u32_e32 v9, 28, v8
	v_sub_nc_u32_e32 v8, 29, v8
	v_lshlrev_b32_e32 v9, v9, v5
	v_bfe_u32 v5, v5, 3, 4
	s_delay_alu instid0(VALU_DEP_2) | instskip(NEXT) | instid1(VALU_DEP_2)
	v_and_b32_e32 v9, 7, v9
	v_cmp_eq_u32_e32 vcc_lo, 0, v5
	s_delay_alu instid0(VALU_DEP_2) | instskip(NEXT) | instid1(VALU_DEP_1)
	v_dual_cndmask_b32 v5, v5, v8 :: v_dual_cndmask_b32 v6, v6, v9
	v_lshl_add_u32 v5, v5, 23, 0x3b800000
	s_delay_alu instid0(VALU_DEP_2) | instskip(NEXT) | instid1(VALU_DEP_1)
	v_lshlrev_b32_e32 v6, 20, v6
	v_or3_b32 v5, v7, v5, v6
	v_mov_b32_e32 v6, 0
	s_delay_alu instid0(VALU_DEP_2)
	v_cvt_f16_f32_e32 v5, v5
.LBB240_631:
	s_or_b32 exec_lo, exec_lo, s1
.LBB240_632:
	s_mov_b32 s0, -1
.LBB240_633:
	s_mov_b32 s1, 0
.LBB240_634:
	s_delay_alu instid0(SALU_CYCLE_1)
	s_and_b32 vcc_lo, exec_lo, s1
	s_cbranch_vccz .LBB240_668
; %bb.635:
	v_cmp_lt_i16_e32 vcc_lo, 22, v4
	s_cbranch_vccz .LBB240_647
; %bb.636:
	v_cmp_gt_i16_e32 vcc_lo, 24, v4
	s_cbranch_vccnz .LBB240_648
; %bb.637:
	v_cmp_lt_i16_e32 vcc_lo, 24, v4
	s_cbranch_vccz .LBB240_649
; %bb.638:
	global_load_u8 v7, v[0:1], off
	s_mov_b32 s0, 0
	s_mov_b32 s20, exec_lo
                                        ; implicit-def: $sgpr19
                                        ; implicit-def: $sgpr1
	s_waitcnt vmcnt(0)
	v_cmpx_lt_i16_e32 0x7f, v7
	s_xor_b32 s20, exec_lo, s20
	s_cbranch_execz .LBB240_642
; %bb.639:
	s_mov_b32 s0, -1
	s_mov_b32 s21, exec_lo
                                        ; implicit-def: $sgpr19
                                        ; implicit-def: $sgpr1
	v_cmpx_eq_u16_e32 0x80, v7
; %bb.640:
	s_movk_i32 s1, 0x7e00
	s_mov_b32 s19, 0
	s_xor_b32 s0, exec_lo, -1
; %bb.641:
	s_or_b32 exec_lo, exec_lo, s21
	s_delay_alu instid0(SALU_CYCLE_1)
	s_and_b32 s0, s0, exec_lo
.LBB240_642:
	s_or_saveexec_b32 s20, s20
	v_dual_mov_b32 v6, s19 :: v_dual_mov_b32 v5, s1
	s_xor_b32 exec_lo, exec_lo, s20
; %bb.643:
	v_cmp_ne_u16_e32 vcc_lo, 0, v7
	v_dual_mov_b32 v6, 0 :: v_dual_mov_b32 v5, v7
	s_and_not1_b32 s0, s0, exec_lo
	s_and_b32 s1, vcc_lo, exec_lo
	s_delay_alu instid0(SALU_CYCLE_1)
	s_or_b32 s0, s0, s1
; %bb.644:
	s_or_b32 exec_lo, exec_lo, s20
	s_and_saveexec_b32 s1, s0
	s_cbranch_execz .LBB240_646
; %bb.645:
	v_and_b32_e32 v5, 0xffff, v7
	v_lshlrev_b32_e32 v7, 24, v7
	s_delay_alu instid0(VALU_DEP_2) | instskip(NEXT) | instid1(VALU_DEP_2)
	v_and_b32_e32 v6, 3, v5
	v_and_b32_e32 v7, 0x80000000, v7
	s_delay_alu instid0(VALU_DEP_2) | instskip(NEXT) | instid1(VALU_DEP_1)
	v_clz_i32_u32_e32 v8, v6
	v_min_u32_e32 v8, 32, v8
	s_delay_alu instid0(VALU_DEP_1) | instskip(SKIP_1) | instid1(VALU_DEP_2)
	v_subrev_nc_u32_e32 v9, 29, v8
	v_sub_nc_u32_e32 v8, 30, v8
	v_lshlrev_b32_e32 v9, v9, v5
	v_bfe_u32 v5, v5, 2, 5
	s_delay_alu instid0(VALU_DEP_2) | instskip(NEXT) | instid1(VALU_DEP_2)
	v_and_b32_e32 v9, 3, v9
	v_cmp_eq_u32_e32 vcc_lo, 0, v5
	s_delay_alu instid0(VALU_DEP_2) | instskip(NEXT) | instid1(VALU_DEP_1)
	v_dual_cndmask_b32 v5, v5, v8 :: v_dual_cndmask_b32 v6, v6, v9
	v_lshl_add_u32 v5, v5, 23, 0x37800000
	s_delay_alu instid0(VALU_DEP_2) | instskip(NEXT) | instid1(VALU_DEP_1)
	v_lshlrev_b32_e32 v6, 21, v6
	v_or3_b32 v5, v7, v5, v6
	v_mov_b32_e32 v6, 0
	s_delay_alu instid0(VALU_DEP_2)
	v_cvt_f16_f32_e32 v5, v5
.LBB240_646:
	s_or_b32 exec_lo, exec_lo, s1
	s_mov_b32 s0, 0
	s_branch .LBB240_650
.LBB240_647:
	s_mov_b32 s1, -1
                                        ; implicit-def: $vgpr6
                                        ; implicit-def: $vgpr5
	s_branch .LBB240_656
.LBB240_648:
	s_mov_b32 s0, -1
                                        ; implicit-def: $vgpr6
                                        ; implicit-def: $vgpr5
	s_branch .LBB240_653
.LBB240_649:
	s_mov_b32 s0, -1
                                        ; implicit-def: $vgpr6
                                        ; implicit-def: $vgpr5
.LBB240_650:
	s_delay_alu instid0(SALU_CYCLE_1)
	s_and_b32 vcc_lo, exec_lo, s0
	s_cbranch_vccz .LBB240_652
; %bb.651:
	global_load_u8 v5, v[0:1], off
	s_waitcnt vmcnt(0)
	v_lshlrev_b32_e32 v5, 24, v5
	s_delay_alu instid0(VALU_DEP_1) | instskip(NEXT) | instid1(VALU_DEP_1)
	v_and_b32_e32 v6, 0x7f000000, v5
	v_clz_i32_u32_e32 v7, v6
	v_add_nc_u32_e32 v9, 0x1000000, v6
	v_cmp_ne_u32_e32 vcc_lo, 0, v6
	s_delay_alu instid0(VALU_DEP_3) | instskip(NEXT) | instid1(VALU_DEP_1)
	v_min_u32_e32 v7, 32, v7
	v_sub_nc_u32_e64 v7, v7, 4 clamp
	s_delay_alu instid0(VALU_DEP_1) | instskip(SKIP_1) | instid1(VALU_DEP_2)
	v_lshlrev_b32_e32 v8, v7, v6
	v_lshlrev_b32_e32 v7, 23, v7
	v_lshrrev_b32_e32 v8, 4, v8
	s_delay_alu instid0(VALU_DEP_1) | instskip(SKIP_1) | instid1(VALU_DEP_2)
	v_sub_nc_u32_e32 v7, v8, v7
	v_ashrrev_i32_e32 v8, 8, v9
	v_add_nc_u32_e32 v7, 0x3c000000, v7
	s_delay_alu instid0(VALU_DEP_1) | instskip(NEXT) | instid1(VALU_DEP_1)
	v_and_or_b32 v7, 0x7f800000, v8, v7
	v_cndmask_b32_e32 v6, 0, v7, vcc_lo
	s_delay_alu instid0(VALU_DEP_1) | instskip(SKIP_1) | instid1(VALU_DEP_2)
	v_and_or_b32 v5, 0x80000000, v5, v6
	v_mov_b32_e32 v6, 0
	v_cvt_f16_f32_e32 v5, v5
.LBB240_652:
	s_mov_b32 s0, 0
.LBB240_653:
	s_delay_alu instid0(SALU_CYCLE_1)
	s_and_not1_b32 vcc_lo, exec_lo, s0
	s_cbranch_vccnz .LBB240_655
; %bb.654:
	global_load_u8 v5, v[0:1], off
	s_waitcnt vmcnt(0)
	v_lshlrev_b32_e32 v6, 25, v5
	v_lshlrev_b16 v5, 8, v5
	s_delay_alu instid0(VALU_DEP_2) | instskip(NEXT) | instid1(VALU_DEP_2)
	v_lshrrev_b32_e32 v7, 4, v6
	v_and_or_b32 v8, 0x7f00, v5, 0.5
	v_bfe_i32 v5, v5, 0, 16
	s_delay_alu instid0(VALU_DEP_3) | instskip(NEXT) | instid1(VALU_DEP_1)
	v_or_b32_e32 v7, 0x70000000, v7
	v_dual_add_f32 v8, -0.5, v8 :: v_dual_mul_f32 v7, 0x7800000, v7
	v_cmp_gt_u32_e32 vcc_lo, 0x8000000, v6
	s_delay_alu instid0(VALU_DEP_2) | instskip(NEXT) | instid1(VALU_DEP_1)
	v_cndmask_b32_e32 v6, v7, v8, vcc_lo
	v_and_or_b32 v5, 0x80000000, v5, v6
	v_mov_b32_e32 v6, 0
	s_delay_alu instid0(VALU_DEP_2)
	v_cvt_f16_f32_e32 v5, v5
.LBB240_655:
	s_mov_b32 s1, 0
	s_mov_b32 s0, -1
.LBB240_656:
	s_and_not1_b32 vcc_lo, exec_lo, s1
	s_cbranch_vccnz .LBB240_668
; %bb.657:
	v_cmp_lt_i16_e32 vcc_lo, 14, v4
	s_cbranch_vccz .LBB240_660
; %bb.658:
	v_cmp_eq_u16_e32 vcc_lo, 15, v4
	s_cbranch_vccz .LBB240_661
; %bb.659:
	global_load_u16 v5, v[0:1], off
	s_mov_b32 s0, -1
	s_mov_b32 s18, 0
	s_mov_b32 s1, 0
	s_waitcnt vmcnt(0)
	v_lshlrev_b32_e32 v5, 16, v5
	s_delay_alu instid0(VALU_DEP_1)
	v_cvt_f16_f32_e32 v5, v5
	s_branch .LBB240_662
.LBB240_660:
	s_mov_b32 s19, -1
                                        ; implicit-def: $sgpr1
                                        ; implicit-def: $vgpr5
	s_branch .LBB240_663
.LBB240_661:
	s_mov_b32 s18, -1
                                        ; implicit-def: $sgpr1
                                        ; implicit-def: $vgpr5
.LBB240_662:
	s_mov_b32 s19, 0
.LBB240_663:
	s_delay_alu instid0(SALU_CYCLE_1)
	s_and_b32 vcc_lo, exec_lo, s19
	s_cbranch_vccz .LBB240_667
; %bb.664:
	v_cmp_eq_u16_e32 vcc_lo, 11, v4
	s_cbranch_vccz .LBB240_666
; %bb.665:
	global_load_u8 v5, v[0:1], off
	s_mov_b32 s1, 0
	s_mov_b32 s0, -1
	s_mov_b32 s18, 0
	s_waitcnt vmcnt(0)
	v_cmp_ne_u16_e32 vcc_lo, 0, v5
	v_cndmask_b32_e64 v5, 0, 0x3c00, vcc_lo
	s_branch .LBB240_667
.LBB240_666:
	s_mov_b32 s18, -1
                                        ; implicit-def: $sgpr1
                                        ; implicit-def: $vgpr5
.LBB240_667:
	v_mov_b32_e32 v6, s1
.LBB240_668:
	s_mov_b32 s1, 0
.LBB240_669:
	s_delay_alu instid0(SALU_CYCLE_1)
	s_and_b32 vcc_lo, exec_lo, s1
	s_cbranch_vccz .LBB240_720
; %bb.670:
	v_cmp_gt_i16_e32 vcc_lo, 5, v4
	s_cbranch_vccnz .LBB240_675
; %bb.671:
	v_cmp_gt_i16_e32 vcc_lo, 8, v4
	s_cbranch_vccnz .LBB240_676
	;; [unrolled: 3-line block ×3, first 2 shown]
; %bb.673:
	v_cmp_lt_i16_e32 vcc_lo, 9, v4
	s_cbranch_vccz .LBB240_678
; %bb.674:
	global_load_b128 v[5:8], v[0:1], off
	s_mov_b32 s0, 0
	s_waitcnt vmcnt(0)
	v_cvt_f32_f64_e32 v5, v[5:6]
	v_cvt_f32_f64_e32 v6, v[7:8]
	s_delay_alu instid0(VALU_DEP_2) | instskip(NEXT) | instid1(VALU_DEP_2)
	v_cvt_f16_f32_e32 v5, v5
	v_cvt_f16_f32_e32 v6, v6
	s_branch .LBB240_679
.LBB240_675:
	s_mov_b32 s0, -1
                                        ; implicit-def: $vgpr6
                                        ; implicit-def: $vgpr5
	s_branch .LBB240_698
.LBB240_676:
	s_mov_b32 s0, -1
                                        ; implicit-def: $vgpr6
                                        ; implicit-def: $vgpr5
	s_branch .LBB240_685
.LBB240_677:
	s_mov_b32 s0, -1
                                        ; implicit-def: $vgpr6
                                        ; implicit-def: $vgpr5
	s_branch .LBB240_682
.LBB240_678:
	s_mov_b32 s0, -1
                                        ; implicit-def: $vgpr6
                                        ; implicit-def: $vgpr5
.LBB240_679:
	s_delay_alu instid0(SALU_CYCLE_1)
	s_and_not1_b32 vcc_lo, exec_lo, s0
	s_cbranch_vccnz .LBB240_681
; %bb.680:
	global_load_b64 v[5:6], v[0:1], off
	s_waitcnt vmcnt(0)
	v_cvt_f16_f32_e32 v5, v5
	v_cvt_f16_f32_e32 v6, v6
.LBB240_681:
	s_mov_b32 s0, 0
.LBB240_682:
	s_delay_alu instid0(SALU_CYCLE_1)
	s_and_not1_b32 vcc_lo, exec_lo, s0
	s_cbranch_vccnz .LBB240_684
; %bb.683:
	global_load_b32 v5, v[0:1], off
	s_waitcnt vmcnt(0)
	v_lshrrev_b32_e32 v6, 16, v5
.LBB240_684:
	s_mov_b32 s0, 0
.LBB240_685:
	s_delay_alu instid0(SALU_CYCLE_1)
	s_and_not1_b32 vcc_lo, exec_lo, s0
	s_cbranch_vccnz .LBB240_697
; %bb.686:
	v_cmp_gt_i16_e32 vcc_lo, 6, v4
	s_cbranch_vccnz .LBB240_689
; %bb.687:
	v_cmp_lt_i16_e32 vcc_lo, 6, v4
	s_cbranch_vccz .LBB240_690
; %bb.688:
	global_load_b64 v[5:6], v[0:1], off
	s_mov_b32 s1, 0
	s_mov_b32 s0, 0
	s_waitcnt vmcnt(0)
	v_cvt_f32_f64_e32 v5, v[5:6]
	s_delay_alu instid0(VALU_DEP_1)
	v_cvt_f16_f32_e32 v5, v5
	s_branch .LBB240_691
.LBB240_689:
	s_mov_b32 s1, -1
                                        ; implicit-def: $sgpr0
                                        ; implicit-def: $vgpr5
	s_branch .LBB240_694
.LBB240_690:
	s_mov_b32 s1, -1
                                        ; implicit-def: $sgpr0
                                        ; implicit-def: $vgpr5
.LBB240_691:
	s_delay_alu instid0(SALU_CYCLE_1)
	s_and_not1_b32 vcc_lo, exec_lo, s1
	s_cbranch_vccnz .LBB240_693
; %bb.692:
	global_load_b32 v5, v[0:1], off
	s_mov_b32 s0, 0
	s_waitcnt vmcnt(0)
	v_cvt_f16_f32_e32 v5, v5
.LBB240_693:
	s_mov_b32 s1, 0
.LBB240_694:
	s_delay_alu instid0(SALU_CYCLE_1)
	s_and_not1_b32 vcc_lo, exec_lo, s1
	s_cbranch_vccnz .LBB240_696
; %bb.695:
	global_load_u16 v5, v[0:1], off
	s_mov_b32 s0, 0
.LBB240_696:
	s_delay_alu instid0(SALU_CYCLE_1)
	v_mov_b32_e32 v6, s0
.LBB240_697:
	s_mov_b32 s0, 0
.LBB240_698:
	s_delay_alu instid0(SALU_CYCLE_1)
	s_and_not1_b32 vcc_lo, exec_lo, s0
	s_cbranch_vccnz .LBB240_719
; %bb.699:
	v_cmp_gt_i16_e32 vcc_lo, 2, v4
	s_cbranch_vccnz .LBB240_703
; %bb.700:
	v_cmp_gt_i16_e32 vcc_lo, 3, v4
	s_cbranch_vccnz .LBB240_704
; %bb.701:
	v_cmp_lt_i16_e32 vcc_lo, 3, v4
	s_cbranch_vccz .LBB240_705
; %bb.702:
	global_load_b64 v[5:6], v[0:1], off
	s_mov_b32 s1, 0
	s_mov_b32 s0, 0
	s_waitcnt vmcnt(0)
	v_xor_b32_e32 v7, v5, v6
	v_cls_i32_e32 v8, v6
	s_delay_alu instid0(VALU_DEP_2) | instskip(NEXT) | instid1(VALU_DEP_2)
	v_ashrrev_i32_e32 v7, 31, v7
	v_add_nc_u32_e32 v8, -1, v8
	s_delay_alu instid0(VALU_DEP_2) | instskip(NEXT) | instid1(VALU_DEP_1)
	v_add_nc_u32_e32 v7, 32, v7
	v_min_u32_e32 v7, v8, v7
	s_delay_alu instid0(VALU_DEP_1) | instskip(NEXT) | instid1(VALU_DEP_1)
	v_lshlrev_b64 v[5:6], v7, v[5:6]
	v_min_u32_e32 v5, 1, v5
	s_delay_alu instid0(VALU_DEP_1) | instskip(SKIP_1) | instid1(VALU_DEP_2)
	v_or_b32_e32 v5, v6, v5
	v_sub_nc_u32_e32 v6, 32, v7
	v_cvt_f32_i32_e32 v5, v5
	s_delay_alu instid0(VALU_DEP_1) | instskip(NEXT) | instid1(VALU_DEP_1)
	v_ldexp_f32 v5, v5, v6
	v_cvt_f16_f32_e32 v5, v5
	s_branch .LBB240_706
.LBB240_703:
	s_mov_b32 s1, -1
                                        ; implicit-def: $sgpr0
                                        ; implicit-def: $vgpr5
	s_branch .LBB240_712
.LBB240_704:
	s_mov_b32 s1, -1
                                        ; implicit-def: $sgpr0
                                        ; implicit-def: $vgpr5
	s_branch .LBB240_709
.LBB240_705:
	s_mov_b32 s1, -1
                                        ; implicit-def: $sgpr0
                                        ; implicit-def: $vgpr5
.LBB240_706:
	s_delay_alu instid0(SALU_CYCLE_1)
	s_and_not1_b32 vcc_lo, exec_lo, s1
	s_cbranch_vccnz .LBB240_708
; %bb.707:
	global_load_b32 v5, v[0:1], off
	s_mov_b32 s0, 0
	s_waitcnt vmcnt(0)
	v_cvt_f32_i32_e32 v5, v5
	s_delay_alu instid0(VALU_DEP_1)
	v_cvt_f16_f32_e32 v5, v5
.LBB240_708:
	s_mov_b32 s1, 0
.LBB240_709:
	s_delay_alu instid0(SALU_CYCLE_1)
	s_and_not1_b32 vcc_lo, exec_lo, s1
	s_cbranch_vccnz .LBB240_711
; %bb.710:
	global_load_u16 v5, v[0:1], off
	s_mov_b32 s0, 0
	s_waitcnt vmcnt(0)
	v_cvt_f16_i16_e32 v5, v5
.LBB240_711:
	s_mov_b32 s1, 0
.LBB240_712:
	s_delay_alu instid0(SALU_CYCLE_1)
	s_and_not1_b32 vcc_lo, exec_lo, s1
	s_cbranch_vccnz .LBB240_718
; %bb.713:
	v_cmp_lt_i16_e32 vcc_lo, 0, v4
	s_mov_b32 s1, 0
	s_cbranch_vccz .LBB240_715
; %bb.714:
	global_load_i8 v5, v[0:1], off
	s_mov_b32 s0, 0
	s_waitcnt vmcnt(0)
	v_cvt_f16_i16_e32 v5, v5
	s_branch .LBB240_716
.LBB240_715:
	s_mov_b32 s1, -1
                                        ; implicit-def: $sgpr0
                                        ; implicit-def: $vgpr5
.LBB240_716:
	s_delay_alu instid0(SALU_CYCLE_1)
	s_and_not1_b32 vcc_lo, exec_lo, s1
	s_cbranch_vccnz .LBB240_718
; %bb.717:
	global_load_u8 v0, v[0:1], off
	s_mov_b32 s0, 0
	s_waitcnt vmcnt(0)
	v_cvt_f16_u16_e32 v5, v0
.LBB240_718:
	v_mov_b32_e32 v6, s0
.LBB240_719:
	s_mov_b32 s0, -1
.LBB240_720:
	s_delay_alu instid0(SALU_CYCLE_1)
	s_and_not1_b32 vcc_lo, exec_lo, s0
	s_cbranch_vccnz .LBB240_733
; %bb.721:
	s_waitcnt vmcnt(0)
	v_cmp_neq_f16_e32 vcc_lo, 0, v5
	v_cmp_neq_f16_e64 s0, 0, v6
	v_cvt_f32_f16_e32 v0, v6
	v_mov_b32_e32 v1, 0
	s_delay_alu instid0(VALU_DEP_3) | instskip(NEXT) | instid1(SALU_CYCLE_1)
	s_or_b32 s0, vcc_lo, s0
	s_and_saveexec_b32 s19, s0
	s_cbranch_execz .LBB240_752
; %bb.722:
	v_mov_b32_e32 v1, 0x7f800000
	s_mov_b32 s20, exec_lo
	v_cmpx_neq_f32_e64 0x7f800000, |v0|
	s_cbranch_execz .LBB240_751
; %bb.723:
	v_cvt_f32_f16_e32 v1, v5
	s_mov_b32 s0, exec_lo
	v_cmpx_o_f16_e32 v5, v5
	s_xor_b32 s21, exec_lo, s0
	s_cbranch_execz .LBB240_748
; %bb.724:
	s_mov_b32 s1, exec_lo
	v_cmpx_neq_f32_e64 0x7f800000, |v1|
	s_xor_b32 s22, exec_lo, s1
	s_cbranch_execz .LBB240_741
; %bb.725:
	v_max_f32_e64 v5, |v0|, |v0|
	v_max_f32_e64 v6, |v1|, |v1|
                                        ; implicit-def: $sgpr23
	s_delay_alu instid0(VALU_DEP_1) | instskip(NEXT) | instid1(VALU_DEP_1)
	v_max_f32_e32 v5, v6, v5
	v_cmp_nle_f32_e64 s0, 0x7ed413cb, v5
	s_delay_alu instid0(VALU_DEP_1) | instskip(NEXT) | instid1(SALU_CYCLE_1)
	s_and_saveexec_b32 s1, s0
	s_xor_b32 s1, exec_lo, s1
	s_cbranch_execz .LBB240_729
; %bb.726:
	v_cmp_ge_f32_e64 s23, 0x1000000, |v1|
	v_cmp_ge_f32_e64 s24, 0x1000000, |v0|
	s_delay_alu instid0(VALU_DEP_1)
	s_and_b32 s25, s23, s24
	s_mov_b32 s23, 0
	s_and_saveexec_b32 s24, s25
; %bb.727:
	v_dual_mul_f32 v1, 4.0, v1 :: v_dual_mul_f32 v0, 4.0, v0
	s_mov_b32 s23, exec_lo
; %bb.728:
	s_or_b32 exec_lo, exec_lo, s24
	s_delay_alu instid0(SALU_CYCLE_1)
	s_and_b32 s23, s23, exec_lo
.LBB240_729:
	s_and_not1_saveexec_b32 s1, s1
; %bb.730:
	v_dual_mul_f32 v1, 0x3e800000, v1 :: v_dual_mul_f32 v0, 0x3e800000, v0
	s_and_not1_b32 s23, s23, exec_lo
; %bb.731:
	s_or_b32 exec_lo, exec_lo, s1
	s_delay_alu instid0(VALU_DEP_1) | instskip(NEXT) | instid1(VALU_DEP_2)
	v_max_f32_e64 v5, |v0|, |v0|
	v_max_f32_e64 v6, |v1|, |v1|
	s_delay_alu instid0(VALU_DEP_1) | instskip(NEXT) | instid1(VALU_DEP_1)
	v_max_f32_e32 v7, v6, v5
	v_cvt_f64_f32_e32 v[5:6], v7
	s_delay_alu instid0(VALU_DEP_1) | instskip(NEXT) | instid1(VALU_DEP_1)
	v_frexp_exp_i32_f64_e32 v5, v[5:6]
	v_sub_nc_u32_e32 v6, 0, v5
	s_delay_alu instid0(VALU_DEP_1) | instskip(SKIP_1) | instid1(VALU_DEP_2)
	v_ldexp_f32 v8, |v0|, v6
	v_ldexp_f32 v6, |v1|, v6
	v_mul_f32_e32 v8, v8, v8
	v_cmp_neq_f32_e64 s1, 0x7f800000, v7
	s_delay_alu instid0(VALU_DEP_2) | instskip(NEXT) | instid1(VALU_DEP_1)
	v_fmac_f32_e32 v8, v6, v6
	v_sqrt_f32_e32 v6, v8
	s_waitcnt_depctr 0xfff
	v_ldexp_f32 v5, v6, v5
                                        ; implicit-def: $vgpr6
	s_delay_alu instid0(VALU_DEP_1)
	v_cndmask_b32_e64 v7, 0x7f800000, v5, s1
                                        ; implicit-def: $vgpr5
	s_mov_b32 s1, exec_lo
	v_cmpx_le_f32_e32 0, v1
	s_xor_b32 s24, exec_lo, s1
	s_cbranch_execz .LBB240_734
; %bb.732:
	v_add_f32_e32 v1, v1, v7
	s_delay_alu instid0(VALU_DEP_1) | instskip(NEXT) | instid1(VALU_DEP_1)
	v_mul_f32_e32 v1, 0.5, v1
	v_mul_f32_e32 v5, 0x4f800000, v1
	v_cmp_gt_f32_e32 vcc_lo, 0xf800000, v1
	s_delay_alu instid0(VALU_DEP_2) | instskip(NEXT) | instid1(VALU_DEP_1)
	v_cndmask_b32_e32 v1, v1, v5, vcc_lo
	v_sqrt_f32_e32 v5, v1
	s_waitcnt_depctr 0xfff
	v_add_nc_u32_e32 v6, -1, v5
	v_add_nc_u32_e32 v7, 1, v5
	s_delay_alu instid0(VALU_DEP_2) | instskip(NEXT) | instid1(VALU_DEP_2)
	v_fma_f32 v8, -v6, v5, v1
	v_fma_f32 v9, -v7, v5, v1
	s_delay_alu instid0(VALU_DEP_2) | instskip(NEXT) | instid1(VALU_DEP_1)
	v_cmp_ge_f32_e64 s1, 0, v8
	v_cndmask_b32_e64 v5, v5, v6, s1
	s_delay_alu instid0(VALU_DEP_3) | instskip(NEXT) | instid1(VALU_DEP_1)
	v_cmp_lt_f32_e64 s1, 0, v9
	v_cndmask_b32_e64 v5, v5, v7, s1
	s_delay_alu instid0(VALU_DEP_1) | instskip(NEXT) | instid1(VALU_DEP_1)
	v_mul_f32_e32 v6, 0x37800000, v5
	v_cndmask_b32_e32 v5, v5, v6, vcc_lo
	v_cmp_class_f32_e64 vcc_lo, v1, 0x260
	s_delay_alu instid0(VALU_DEP_2) | instskip(NEXT) | instid1(VALU_DEP_1)
	v_cndmask_b32_e32 v5, v5, v1, vcc_lo
	v_add_f32_e32 v1, v5, v5
	s_delay_alu instid0(VALU_DEP_1) | instskip(NEXT) | instid1(VALU_DEP_1)
	v_div_scale_f32 v6, null, v1, v1, v0
	v_rcp_f32_e32 v7, v6
	s_waitcnt_depctr 0xfff
	v_fma_f32 v8, -v6, v7, 1.0
	s_delay_alu instid0(VALU_DEP_1) | instskip(SKIP_1) | instid1(VALU_DEP_1)
	v_fmac_f32_e32 v7, v8, v7
	v_div_scale_f32 v8, vcc_lo, v0, v1, v0
	v_mul_f32_e32 v9, v8, v7
	s_delay_alu instid0(VALU_DEP_1) | instskip(NEXT) | instid1(VALU_DEP_1)
	v_fma_f32 v10, -v6, v9, v8
	v_fmac_f32_e32 v9, v10, v7
	s_delay_alu instid0(VALU_DEP_1) | instskip(NEXT) | instid1(VALU_DEP_1)
	v_fma_f32 v6, -v6, v9, v8
	v_div_fmas_f32 v6, v6, v7, v9
                                        ; implicit-def: $vgpr7
	s_delay_alu instid0(VALU_DEP_1)
	v_div_fixup_f32 v6, v6, v1, v0
                                        ; implicit-def: $vgpr1
                                        ; implicit-def: $vgpr0
	s_and_not1_saveexec_b32 s24, s24
	s_cbranch_execz .LBB240_736
	s_branch .LBB240_735
.LBB240_733:
	s_mov_b32 s19, 0
	s_mov_b32 s0, s15
	s_branch .LBB240_875
.LBB240_734:
	s_and_not1_saveexec_b32 s24, s24
	s_cbranch_execz .LBB240_736
.LBB240_735:
	v_sub_f32_e32 v1, v7, v1
	s_delay_alu instid0(VALU_DEP_1) | instskip(NEXT) | instid1(VALU_DEP_1)
	v_mul_f32_e32 v1, 0.5, v1
	v_mul_f32_e32 v5, 0x4f800000, v1
	v_cmp_gt_f32_e32 vcc_lo, 0xf800000, v1
	s_delay_alu instid0(VALU_DEP_2) | instskip(NEXT) | instid1(VALU_DEP_1)
	v_cndmask_b32_e32 v1, v1, v5, vcc_lo
	v_sqrt_f32_e32 v5, v1
	s_waitcnt_depctr 0xfff
	v_add_nc_u32_e32 v6, -1, v5
	v_add_nc_u32_e32 v7, 1, v5
	s_delay_alu instid0(VALU_DEP_2) | instskip(NEXT) | instid1(VALU_DEP_2)
	v_fma_f32 v8, -v6, v5, v1
	v_fma_f32 v9, -v7, v5, v1
	s_delay_alu instid0(VALU_DEP_2) | instskip(NEXT) | instid1(VALU_DEP_1)
	v_cmp_ge_f32_e64 s1, 0, v8
	v_cndmask_b32_e64 v5, v5, v6, s1
	s_delay_alu instid0(VALU_DEP_3) | instskip(NEXT) | instid1(VALU_DEP_1)
	v_cmp_lt_f32_e64 s1, 0, v9
	v_cndmask_b32_e64 v5, v5, v7, s1
	s_delay_alu instid0(VALU_DEP_1) | instskip(NEXT) | instid1(VALU_DEP_1)
	v_mul_f32_e32 v6, 0x37800000, v5
	v_cndmask_b32_e32 v5, v5, v6, vcc_lo
	v_cmp_class_f32_e64 vcc_lo, v1, 0x260
	s_delay_alu instid0(VALU_DEP_2) | instskip(NEXT) | instid1(VALU_DEP_1)
	v_cndmask_b32_e32 v1, v5, v1, vcc_lo
	v_dual_add_f32 v6, v1, v1 :: v_dual_and_b32 v5, 0x7fffffff, v0
	s_delay_alu instid0(VALU_DEP_1) | instskip(SKIP_1) | instid1(VALU_DEP_2)
	v_div_scale_f32 v7, null, v6, v6, v5
	v_div_scale_f32 v5, vcc_lo, v5, v6, v5
	v_rcp_f32_e32 v8, v7
	s_waitcnt_depctr 0xfff
	v_fma_f32 v9, -v7, v8, 1.0
	s_delay_alu instid0(VALU_DEP_1) | instskip(NEXT) | instid1(VALU_DEP_1)
	v_fmac_f32_e32 v8, v9, v8
	v_mul_f32_e32 v9, v5, v8
	s_delay_alu instid0(VALU_DEP_1) | instskip(NEXT) | instid1(VALU_DEP_1)
	v_fma_f32 v10, -v7, v9, v5
	v_fmac_f32_e32 v9, v10, v8
	s_delay_alu instid0(VALU_DEP_1) | instskip(NEXT) | instid1(VALU_DEP_1)
	v_fma_f32 v5, -v7, v9, v5
	v_div_fmas_f32 v5, v5, v8, v9
	s_delay_alu instid0(VALU_DEP_1)
	v_div_fixup_f32 v5, v5, v6, |v0|
	v_bfi_b32 v6, 0x7fffffff, v1, v0
.LBB240_736:
	s_or_b32 exec_lo, exec_lo, s24
                                        ; implicit-def: $vgpr0
                                        ; implicit-def: $vgpr1
	s_and_saveexec_b32 s1, s0
	s_delay_alu instid0(SALU_CYCLE_1)
	s_xor_b32 s0, exec_lo, s1
	s_cbranch_execz .LBB240_738
; %bb.737:
	v_dual_mul_f32 v0, 0.5, v5 :: v_dual_mul_f32 v7, 0.5, v6
	s_delay_alu instid0(VALU_DEP_1) | instskip(NEXT) | instid1(VALU_DEP_2)
	v_cndmask_b32_e64 v1, v5, v0, s23
	v_cndmask_b32_e64 v0, v6, v7, s23
                                        ; implicit-def: $vgpr5
                                        ; implicit-def: $vgpr6
	s_and_not1_saveexec_b32 s0, s0
	s_cbranch_execnz .LBB240_739
	s_branch .LBB240_740
.LBB240_738:
	s_and_not1_saveexec_b32 s0, s0
.LBB240_739:
	v_dual_add_f32 v1, v5, v5 :: v_dual_add_f32 v0, v6, v6
.LBB240_740:
	s_or_b32 exec_lo, exec_lo, s0
                                        ; implicit-def: $vgpr5
.LBB240_741:
	s_and_not1_saveexec_b32 s0, s22
	s_cbranch_execz .LBB240_747
; %bb.742:
	v_cmp_lt_i16_e32 vcc_lo, -1, v5
	v_sub_f32_e32 v5, v0, v0
	s_and_saveexec_b32 s1, vcc_lo
	s_delay_alu instid0(SALU_CYCLE_1)
	s_xor_b32 s1, exec_lo, s1
; %bb.743:
	s_delay_alu instid0(VALU_DEP_1)
	v_bfi_b32 v0, 0x7fffffff, v5, v0
                                        ; implicit-def: $vgpr5
; %bb.744:
	s_and_not1_saveexec_b32 s1, s1
; %bb.745:
	v_and_b32_e32 v5, 0x7fffffff, v5
	s_delay_alu instid0(VALU_DEP_2) | instskip(NEXT) | instid1(VALU_DEP_2)
	v_bfi_b32 v0, 0x7fffffff, v1, v0
	v_mov_b32_e32 v1, v5
; %bb.746:
	s_or_b32 exec_lo, exec_lo, s1
.LBB240_747:
	s_delay_alu instid0(SALU_CYCLE_1)
	s_or_b32 exec_lo, exec_lo, s0
.LBB240_748:
	s_and_not1_saveexec_b32 s0, s21
; %bb.749:
	v_sub_f32_e32 v0, v0, v0
	s_delay_alu instid0(VALU_DEP_1) | instskip(NEXT) | instid1(VALU_DEP_1)
	v_div_scale_f32 v5, vcc_lo, v0, v0, v0
	v_rcp_f32_e32 v6, v5
	s_waitcnt_depctr 0xfff
	v_fma_f32 v7, -v5, v6, 1.0
	s_delay_alu instid0(VALU_DEP_1) | instskip(NEXT) | instid1(VALU_DEP_1)
	v_fmac_f32_e32 v6, v7, v6
	v_mul_f32_e32 v7, v5, v6
	s_delay_alu instid0(VALU_DEP_1) | instskip(NEXT) | instid1(VALU_DEP_1)
	v_fma_f32 v8, -v5, v7, v5
	v_fmac_f32_e32 v7, v8, v6
	s_delay_alu instid0(VALU_DEP_1) | instskip(NEXT) | instid1(VALU_DEP_1)
	v_fma_f32 v5, -v5, v7, v5
	v_div_fmas_f32 v5, v5, v6, v7
	s_delay_alu instid0(VALU_DEP_1)
	v_div_fixup_f32 v0, v5, v0, v0
; %bb.750:
	s_or_b32 exec_lo, exec_lo, s0
.LBB240_751:
	s_delay_alu instid0(SALU_CYCLE_1)
	s_or_b32 exec_lo, exec_lo, s20
.LBB240_752:
	s_delay_alu instid0(SALU_CYCLE_1) | instskip(NEXT) | instid1(VALU_DEP_1)
	s_or_b32 exec_lo, exec_lo, s19
	v_cvt_f16_f32_e32 v8, v0
	v_mul_lo_u32 v0, v3, s2
	v_cvt_f16_f32_e32 v5, v1
	v_and_b32_e32 v6, 0xff, v2
	s_delay_alu instid0(VALU_DEP_4) | instskip(NEXT) | instid1(VALU_DEP_3)
	v_lshlrev_b32_e32 v1, 16, v8
	v_and_b32_e32 v7, 0xffff, v5
	s_delay_alu instid0(VALU_DEP_3) | instskip(SKIP_2) | instid1(VALU_DEP_4)
	v_cmp_gt_i16_e32 vcc_lo, 11, v6
	v_ashrrev_i32_e32 v9, 31, v0
	v_add_co_u32 v0, s0, s4, v0
	v_or_b32_e32 v7, v1, v7
	s_delay_alu instid0(VALU_DEP_3)
	v_add_co_ci_u32_e64 v1, s0, s5, v9, s0
	s_cbranch_vccnz .LBB240_759
; %bb.753:
	v_cmp_lt_i16_e32 vcc_lo, 25, v6
	s_cbranch_vccz .LBB240_760
; %bb.754:
	v_cmp_lt_i16_e32 vcc_lo, 28, v6
	s_cbranch_vccz .LBB240_761
	;; [unrolled: 3-line block ×4, first 2 shown]
; %bb.757:
	v_cmp_eq_u16_e32 vcc_lo, 46, v6
	s_mov_b32 s19, 0
	s_mov_b32 s0, -1
	s_mov_b32 s1, 0
	s_cbranch_vccz .LBB240_764
; %bb.758:
	v_cvt_f32_f16_e32 v9, v8
	v_cvt_f32_f16_e32 v10, v5
	v_cmp_o_f16_e32 vcc_lo, v8, v8
	s_mov_b32 s1, -1
	s_mov_b32 s0, 0
	v_bfe_u32 v11, v9, 16, 1
	v_bfe_u32 v12, v10, 16, 1
	s_delay_alu instid0(VALU_DEP_2) | instskip(NEXT) | instid1(VALU_DEP_2)
	v_add3_u32 v9, v9, v11, 0x7fff
	v_add3_u32 v10, v10, v12, 0x7fff
	s_delay_alu instid0(VALU_DEP_2) | instskip(NEXT) | instid1(VALU_DEP_2)
	v_and_b32_e32 v9, 0xffff0000, v9
	v_lshrrev_b32_e32 v10, 16, v10
	s_delay_alu instid0(VALU_DEP_2) | instskip(SKIP_1) | instid1(VALU_DEP_3)
	v_cndmask_b32_e32 v9, 0x7fc00000, v9, vcc_lo
	v_cmp_o_f16_e32 vcc_lo, v5, v5
	v_cndmask_b32_e32 v10, 0x7fc0, v10, vcc_lo
	s_delay_alu instid0(VALU_DEP_1)
	v_or_b32_e32 v9, v9, v10
	global_store_b32 v[0:1], v9, off
	s_branch .LBB240_764
.LBB240_759:
	s_mov_b32 s19, -1
	s_mov_b32 s1, 0
	s_mov_b32 s0, s15
	s_branch .LBB240_833
.LBB240_760:
	s_mov_b32 s19, -1
	s_mov_b32 s1, 0
	s_mov_b32 s0, s15
	s_branch .LBB240_791
.LBB240_761:
	s_mov_b32 s19, -1
	s_mov_b32 s1, 0
	s_mov_b32 s0, s15
	s_branch .LBB240_774
.LBB240_762:
	s_mov_b32 s19, -1
	s_mov_b32 s1, 0
	s_mov_b32 s0, s15
	s_branch .LBB240_770
.LBB240_763:
	s_mov_b32 s19, -1
	s_mov_b32 s1, 0
	s_mov_b32 s0, s15
.LBB240_764:
	s_and_b32 vcc_lo, exec_lo, s19
	s_cbranch_vccz .LBB240_769
; %bb.765:
	v_cmp_eq_u16_e32 vcc_lo, 44, v6
	s_mov_b32 s0, -1
	s_cbranch_vccz .LBB240_769
; %bb.766:
	v_cvt_f32_f16_e32 v9, v5
	v_mov_b32_e32 v10, 0xff
	s_mov_b32 s1, exec_lo
	s_delay_alu instid0(VALU_DEP_2) | instskip(NEXT) | instid1(VALU_DEP_1)
	v_bfe_u32 v11, v9, 23, 8
	v_cmpx_ne_u32_e32 0xff, v11
; %bb.767:
	v_and_b32_e32 v10, 0x400000, v9
	v_and_or_b32 v11, 0x3fffff, v9, v11
	v_lshrrev_b32_e32 v9, 23, v9
	s_delay_alu instid0(VALU_DEP_3) | instskip(NEXT) | instid1(VALU_DEP_3)
	v_cmp_ne_u32_e32 vcc_lo, 0, v10
	v_cmp_ne_u32_e64 s0, 0, v11
	s_delay_alu instid0(VALU_DEP_1) | instskip(NEXT) | instid1(SALU_CYCLE_1)
	s_and_b32 s0, vcc_lo, s0
	v_cndmask_b32_e64 v10, 0, 1, s0
	s_delay_alu instid0(VALU_DEP_1)
	v_add_nc_u32_e32 v10, v9, v10
; %bb.768:
	s_or_b32 exec_lo, exec_lo, s1
	s_mov_b32 s1, -1
	s_mov_b32 s0, 0
	global_store_b8 v[0:1], v10, off
.LBB240_769:
	s_mov_b32 s19, 0
.LBB240_770:
	s_delay_alu instid0(SALU_CYCLE_1)
	s_and_b32 vcc_lo, exec_lo, s19
	s_cbranch_vccz .LBB240_773
; %bb.771:
	v_cmp_eq_u16_e32 vcc_lo, 29, v6
	s_mov_b32 s0, -1
	s_cbranch_vccz .LBB240_773
; %bb.772:
	v_cvt_f32_f16_e32 v9, v5
	v_mov_b32_e32 v10, 0
	s_mov_b32 s0, 0
	s_mov_b32 s1, -1
	s_mov_b32 s19, 0
	v_cvt_u32_f32_e32 v9, v9
	global_store_b64 v[0:1], v[9:10], off
	s_branch .LBB240_774
.LBB240_773:
	s_mov_b32 s19, 0
.LBB240_774:
	s_delay_alu instid0(SALU_CYCLE_1)
	s_and_b32 vcc_lo, exec_lo, s19
	s_cbranch_vccz .LBB240_790
; %bb.775:
	v_cmp_gt_i16_e32 vcc_lo, 27, v6
	s_mov_b32 s1, -1
	s_cbranch_vccnz .LBB240_781
; %bb.776:
	v_cmp_lt_i16_e32 vcc_lo, 27, v6
	s_cbranch_vccz .LBB240_778
; %bb.777:
	v_cvt_f32_f16_e32 v9, v5
	s_mov_b32 s1, 0
	s_delay_alu instid0(VALU_DEP_1)
	v_cvt_u32_f32_e32 v9, v9
	global_store_b32 v[0:1], v9, off
.LBB240_778:
	s_and_not1_b32 vcc_lo, exec_lo, s1
	s_cbranch_vccnz .LBB240_780
; %bb.779:
	v_cvt_u16_f16_e32 v9, v5
	global_store_b16 v[0:1], v9, off
.LBB240_780:
	s_mov_b32 s1, 0
.LBB240_781:
	s_delay_alu instid0(SALU_CYCLE_1)
	s_and_not1_b32 vcc_lo, exec_lo, s1
	s_cbranch_vccnz .LBB240_789
; %bb.782:
	v_cvt_f32_f16_e32 v9, v5
	v_mov_b32_e32 v11, 0x80
	s_mov_b32 s1, exec_lo
	s_delay_alu instid0(VALU_DEP_2) | instskip(NEXT) | instid1(VALU_DEP_1)
	v_and_b32_e32 v10, 0x7fffffff, v9
	v_cmpx_gt_u32_e32 0x43800000, v10
	s_cbranch_execz .LBB240_788
; %bb.783:
	v_cmp_lt_u32_e32 vcc_lo, 0x3bffffff, v10
	s_mov_b32 s19, 0
                                        ; implicit-def: $vgpr10
	s_and_saveexec_b32 s20, vcc_lo
	s_delay_alu instid0(SALU_CYCLE_1)
	s_xor_b32 s20, exec_lo, s20
	s_cbranch_execz .LBB240_890
; %bb.784:
	v_bfe_u32 v10, v9, 20, 1
	s_mov_b32 s19, exec_lo
	s_delay_alu instid0(VALU_DEP_1) | instskip(NEXT) | instid1(VALU_DEP_1)
	v_add3_u32 v10, v9, v10, 0x487ffff
	v_lshrrev_b32_e32 v10, 20, v10
	s_or_saveexec_b32 s20, s20
                                        ; implicit-def: $sgpr21
	s_delay_alu instid0(SALU_CYCLE_1)
	s_xor_b32 exec_lo, exec_lo, s20
	s_cbranch_execnz .LBB240_891
.LBB240_785:
	s_or_b32 exec_lo, exec_lo, s20
	v_mov_b32_e32 v11, s21
	s_and_saveexec_b32 s20, s19
.LBB240_786:
	v_lshrrev_b32_e32 v9, 24, v9
	s_delay_alu instid0(VALU_DEP_1)
	v_and_or_b32 v11, 0x80, v9, v10
.LBB240_787:
	s_or_b32 exec_lo, exec_lo, s20
.LBB240_788:
	s_delay_alu instid0(SALU_CYCLE_1)
	s_or_b32 exec_lo, exec_lo, s1
	global_store_b8 v[0:1], v11, off
.LBB240_789:
	s_mov_b32 s1, -1
.LBB240_790:
	s_mov_b32 s19, 0
.LBB240_791:
	s_delay_alu instid0(SALU_CYCLE_1)
	s_and_b32 vcc_lo, exec_lo, s19
	s_cbranch_vccz .LBB240_832
; %bb.792:
	v_cmp_lt_i16_e32 vcc_lo, 22, v6
	s_mov_b32 s19, -1
	s_cbranch_vccz .LBB240_824
; %bb.793:
	v_cmp_gt_i16_e32 vcc_lo, 24, v6
	s_mov_b32 s1, -1
	s_cbranch_vccnz .LBB240_813
; %bb.794:
	v_cmp_lt_i16_e32 vcc_lo, 24, v6
	s_cbranch_vccz .LBB240_802
; %bb.795:
	v_cvt_f32_f16_e32 v9, v5
	v_mov_b32_e32 v11, 0x80
	s_mov_b32 s1, exec_lo
	s_delay_alu instid0(VALU_DEP_2) | instskip(NEXT) | instid1(VALU_DEP_1)
	v_and_b32_e32 v10, 0x7fffffff, v9
	v_cmpx_gt_u32_e32 0x47800000, v10
	s_cbranch_execz .LBB240_801
; %bb.796:
	v_cmp_lt_u32_e32 vcc_lo, 0x37ffffff, v10
	s_mov_b32 s19, 0
                                        ; implicit-def: $vgpr10
	s_and_saveexec_b32 s20, vcc_lo
	s_delay_alu instid0(SALU_CYCLE_1)
	s_xor_b32 s20, exec_lo, s20
	s_cbranch_execz .LBB240_893
; %bb.797:
	v_bfe_u32 v10, v9, 21, 1
	s_mov_b32 s19, exec_lo
	s_delay_alu instid0(VALU_DEP_1) | instskip(NEXT) | instid1(VALU_DEP_1)
	v_add3_u32 v10, v9, v10, 0x88fffff
	v_lshrrev_b32_e32 v10, 21, v10
	s_or_saveexec_b32 s20, s20
                                        ; implicit-def: $sgpr21
	s_delay_alu instid0(SALU_CYCLE_1)
	s_xor_b32 exec_lo, exec_lo, s20
	s_cbranch_execnz .LBB240_894
.LBB240_798:
	s_or_b32 exec_lo, exec_lo, s20
	v_mov_b32_e32 v11, s21
	s_and_saveexec_b32 s20, s19
.LBB240_799:
	v_lshrrev_b32_e32 v9, 24, v9
	s_delay_alu instid0(VALU_DEP_1)
	v_and_or_b32 v11, 0x80, v9, v10
.LBB240_800:
	s_or_b32 exec_lo, exec_lo, s20
.LBB240_801:
	s_delay_alu instid0(SALU_CYCLE_1)
	s_or_b32 exec_lo, exec_lo, s1
	s_mov_b32 s1, 0
	global_store_b8 v[0:1], v11, off
.LBB240_802:
	s_and_b32 vcc_lo, exec_lo, s1
	s_cbranch_vccz .LBB240_812
; %bb.803:
	v_cvt_f32_f16_e32 v9, v5
	s_mov_b32 s1, exec_lo
                                        ; implicit-def: $vgpr10
	s_delay_alu instid0(VALU_DEP_1) | instskip(NEXT) | instid1(VALU_DEP_1)
	v_and_b32_e32 v11, 0x7fffffff, v9
	v_cmpx_gt_u32_e32 0x43f00000, v11
	s_xor_b32 s1, exec_lo, s1
	s_cbranch_execz .LBB240_809
; %bb.804:
	s_mov_b32 s19, exec_lo
                                        ; implicit-def: $vgpr10
	v_cmpx_lt_u32_e32 0x3c7fffff, v11
	s_xor_b32 s19, exec_lo, s19
; %bb.805:
	v_bfe_u32 v10, v9, 20, 1
	s_delay_alu instid0(VALU_DEP_1) | instskip(NEXT) | instid1(VALU_DEP_1)
	v_add3_u32 v10, v9, v10, 0x407ffff
	v_and_b32_e32 v11, 0xff00000, v10
	v_lshrrev_b32_e32 v10, 20, v10
	s_delay_alu instid0(VALU_DEP_2) | instskip(NEXT) | instid1(VALU_DEP_2)
	v_cmp_ne_u32_e32 vcc_lo, 0x7f00000, v11
	v_cndmask_b32_e32 v10, 0x7e, v10, vcc_lo
; %bb.806:
	s_and_not1_saveexec_b32 s19, s19
; %bb.807:
	v_add_f32_e64 v10, 0x46800000, |v9|
; %bb.808:
	s_or_b32 exec_lo, exec_lo, s19
                                        ; implicit-def: $vgpr11
.LBB240_809:
	s_and_not1_saveexec_b32 s1, s1
; %bb.810:
	v_mov_b32_e32 v10, 0x7f
	v_cmp_lt_u32_e32 vcc_lo, 0x7f800000, v11
	s_delay_alu instid0(VALU_DEP_2)
	v_cndmask_b32_e32 v10, 0x7e, v10, vcc_lo
; %bb.811:
	s_or_b32 exec_lo, exec_lo, s1
	v_lshrrev_b32_e32 v9, 24, v9
	s_delay_alu instid0(VALU_DEP_1)
	v_and_or_b32 v9, 0x80, v9, v10
	global_store_b8 v[0:1], v9, off
.LBB240_812:
	s_mov_b32 s1, 0
.LBB240_813:
	s_delay_alu instid0(SALU_CYCLE_1)
	s_and_not1_b32 vcc_lo, exec_lo, s1
	s_cbranch_vccnz .LBB240_823
; %bb.814:
	v_cvt_f32_f16_e32 v9, v5
	s_mov_b32 s1, exec_lo
                                        ; implicit-def: $vgpr10
	s_delay_alu instid0(VALU_DEP_1) | instskip(NEXT) | instid1(VALU_DEP_1)
	v_and_b32_e32 v11, 0x7fffffff, v9
	v_cmpx_gt_u32_e32 0x47800000, v11
	s_xor_b32 s1, exec_lo, s1
	s_cbranch_execz .LBB240_820
; %bb.815:
	s_mov_b32 s19, exec_lo
                                        ; implicit-def: $vgpr10
	v_cmpx_lt_u32_e32 0x387fffff, v11
	s_xor_b32 s19, exec_lo, s19
; %bb.816:
	v_bfe_u32 v10, v9, 21, 1
	s_delay_alu instid0(VALU_DEP_1) | instskip(NEXT) | instid1(VALU_DEP_1)
	v_add3_u32 v10, v9, v10, 0x80fffff
	v_lshrrev_b32_e32 v10, 21, v10
; %bb.817:
	s_and_not1_saveexec_b32 s19, s19
; %bb.818:
	v_add_f32_e64 v10, 0x43000000, |v9|
; %bb.819:
	s_or_b32 exec_lo, exec_lo, s19
                                        ; implicit-def: $vgpr11
.LBB240_820:
	s_and_not1_saveexec_b32 s1, s1
; %bb.821:
	v_mov_b32_e32 v10, 0x7f
	v_cmp_lt_u32_e32 vcc_lo, 0x7f800000, v11
	s_delay_alu instid0(VALU_DEP_2)
	v_cndmask_b32_e32 v10, 0x7c, v10, vcc_lo
; %bb.822:
	s_or_b32 exec_lo, exec_lo, s1
	v_lshrrev_b32_e32 v9, 24, v9
	s_delay_alu instid0(VALU_DEP_1)
	v_and_or_b32 v9, 0x80, v9, v10
	global_store_b8 v[0:1], v9, off
.LBB240_823:
	s_mov_b32 s19, 0
	s_mov_b32 s1, -1
.LBB240_824:
	s_and_not1_b32 vcc_lo, exec_lo, s19
	s_cbranch_vccnz .LBB240_832
; %bb.825:
	v_cmp_lt_i16_e32 vcc_lo, 14, v6
	s_mov_b32 s19, -1
	s_cbranch_vccz .LBB240_829
; %bb.826:
	v_cmp_eq_u16_e32 vcc_lo, 15, v6
	s_mov_b32 s0, -1
	s_cbranch_vccz .LBB240_828
; %bb.827:
	v_cvt_f32_f16_e32 v9, v5
	v_cmp_o_f16_e32 vcc_lo, v5, v5
	s_mov_b32 s1, -1
	s_mov_b32 s0, 0
	s_delay_alu instid0(VALU_DEP_2) | instskip(NEXT) | instid1(VALU_DEP_1)
	v_bfe_u32 v10, v9, 16, 1
	v_add3_u32 v9, v9, v10, 0x7fff
	s_delay_alu instid0(VALU_DEP_1) | instskip(NEXT) | instid1(VALU_DEP_1)
	v_lshrrev_b32_e32 v9, 16, v9
	v_cndmask_b32_e32 v9, 0x7fc0, v9, vcc_lo
	global_store_b16 v[0:1], v9, off
.LBB240_828:
	s_mov_b32 s19, 0
.LBB240_829:
	s_delay_alu instid0(SALU_CYCLE_1)
	s_and_b32 vcc_lo, exec_lo, s19
	s_cbranch_vccz .LBB240_832
; %bb.830:
	v_cmp_eq_u16_e32 vcc_lo, 11, v6
	s_mov_b32 s0, -1
	s_cbranch_vccz .LBB240_832
; %bb.831:
	v_and_b32_e32 v9, 0x7fff7fff, v7
	s_mov_b32 s0, 0
	s_mov_b32 s1, -1
	s_delay_alu instid0(VALU_DEP_1)
	v_cmp_ne_u32_e32 vcc_lo, 0, v9
	v_cndmask_b32_e64 v9, 0, 1, vcc_lo
	global_store_b8 v[0:1], v9, off
.LBB240_832:
	s_mov_b32 s19, 0
.LBB240_833:
	s_delay_alu instid0(SALU_CYCLE_1)
	s_and_b32 vcc_lo, exec_lo, s19
	s_cbranch_vccz .LBB240_872
; %bb.834:
	v_cmp_gt_i16_e32 vcc_lo, 5, v6
	s_mov_b32 s1, -1
	s_cbranch_vccnz .LBB240_855
; %bb.835:
	v_cmp_gt_i16_e32 vcc_lo, 8, v6
	s_cbranch_vccnz .LBB240_845
; %bb.836:
	v_cmp_gt_i16_e32 vcc_lo, 9, v6
	s_cbranch_vccnz .LBB240_842
; %bb.837:
	v_cmp_lt_i16_e32 vcc_lo, 9, v6
	s_cbranch_vccz .LBB240_839
; %bb.838:
	v_cvt_f32_f16_e32 v9, v5
	v_cvt_f32_f16_e32 v11, v8
	s_mov_b32 s1, 0
	s_delay_alu instid0(VALU_DEP_2) | instskip(NEXT) | instid1(VALU_DEP_2)
	v_cvt_f64_f32_e32 v[9:10], v9
	v_cvt_f64_f32_e32 v[11:12], v11
	global_store_b128 v[0:1], v[9:12], off
.LBB240_839:
	s_and_not1_b32 vcc_lo, exec_lo, s1
	s_cbranch_vccnz .LBB240_841
; %bb.840:
	v_cvt_f32_f16_e32 v9, v5
	v_cvt_f32_f16_e32 v10, v8
	global_store_b64 v[0:1], v[9:10], off
.LBB240_841:
	s_mov_b32 s1, 0
.LBB240_842:
	s_delay_alu instid0(SALU_CYCLE_1)
	s_and_not1_b32 vcc_lo, exec_lo, s1
	s_cbranch_vccnz .LBB240_844
; %bb.843:
	global_store_b32 v[0:1], v7, off
.LBB240_844:
	s_mov_b32 s1, 0
.LBB240_845:
	s_delay_alu instid0(SALU_CYCLE_1)
	s_and_not1_b32 vcc_lo, exec_lo, s1
	s_cbranch_vccnz .LBB240_854
; %bb.846:
	v_cmp_gt_i16_e32 vcc_lo, 6, v6
	s_mov_b32 s1, -1
	s_cbranch_vccnz .LBB240_852
; %bb.847:
	v_cmp_lt_i16_e32 vcc_lo, 6, v6
	s_cbranch_vccz .LBB240_849
; %bb.848:
	v_cvt_f32_f16_e32 v7, v5
	s_mov_b32 s1, 0
	s_delay_alu instid0(VALU_DEP_1)
	v_cvt_f64_f32_e32 v[7:8], v7
	global_store_b64 v[0:1], v[7:8], off
.LBB240_849:
	s_and_not1_b32 vcc_lo, exec_lo, s1
	s_cbranch_vccnz .LBB240_851
; %bb.850:
	v_cvt_f32_f16_e32 v7, v5
	global_store_b32 v[0:1], v7, off
.LBB240_851:
	s_mov_b32 s1, 0
.LBB240_852:
	s_delay_alu instid0(SALU_CYCLE_1)
	s_and_not1_b32 vcc_lo, exec_lo, s1
	s_cbranch_vccnz .LBB240_854
; %bb.853:
	global_store_b16 v[0:1], v5, off
.LBB240_854:
	s_mov_b32 s1, 0
.LBB240_855:
	s_delay_alu instid0(SALU_CYCLE_1)
	s_and_not1_b32 vcc_lo, exec_lo, s1
	s_cbranch_vccnz .LBB240_871
; %bb.856:
	v_cmp_gt_i16_e32 vcc_lo, 2, v6
	s_mov_b32 s1, -1
	s_cbranch_vccnz .LBB240_866
; %bb.857:
	v_cmp_gt_i16_e32 vcc_lo, 3, v6
	s_cbranch_vccnz .LBB240_863
; %bb.858:
	v_cmp_lt_i16_e32 vcc_lo, 3, v6
	s_cbranch_vccz .LBB240_860
; %bb.859:
	v_cvt_f32_f16_e32 v7, v5
	s_mov_b32 s1, 0
	s_delay_alu instid0(VALU_DEP_1) | instskip(NEXT) | instid1(VALU_DEP_1)
	v_cvt_i32_f32_e32 v7, v7
	v_ashrrev_i32_e32 v8, 31, v7
	global_store_b64 v[0:1], v[7:8], off
.LBB240_860:
	s_and_not1_b32 vcc_lo, exec_lo, s1
	s_cbranch_vccnz .LBB240_862
; %bb.861:
	v_cvt_f32_f16_e32 v7, v5
	s_delay_alu instid0(VALU_DEP_1)
	v_cvt_i32_f32_e32 v7, v7
	global_store_b32 v[0:1], v7, off
.LBB240_862:
	s_mov_b32 s1, 0
.LBB240_863:
	s_delay_alu instid0(SALU_CYCLE_1)
	s_and_not1_b32 vcc_lo, exec_lo, s1
	s_cbranch_vccnz .LBB240_865
; %bb.864:
	v_cvt_i16_f16_e32 v7, v5
	global_store_b16 v[0:1], v7, off
.LBB240_865:
	s_mov_b32 s1, 0
.LBB240_866:
	s_delay_alu instid0(SALU_CYCLE_1)
	s_and_not1_b32 vcc_lo, exec_lo, s1
	s_cbranch_vccnz .LBB240_871
; %bb.867:
	v_cmp_lt_i16_e32 vcc_lo, 0, v6
	s_mov_b32 s1, -1
	s_cbranch_vccz .LBB240_869
; %bb.868:
	v_cvt_i16_f16_e32 v6, v5
	s_mov_b32 s1, 0
	global_store_b8 v[0:1], v6, off
.LBB240_869:
	s_and_not1_b32 vcc_lo, exec_lo, s1
	s_cbranch_vccnz .LBB240_871
; %bb.870:
	v_cvt_f32_f16_e32 v5, v5
	s_delay_alu instid0(VALU_DEP_1)
	v_cvt_i32_f32_e32 v5, v5
	global_store_b8 v[0:1], v5, off
.LBB240_871:
	s_mov_b32 s1, -1
.LBB240_872:
	s_delay_alu instid0(SALU_CYCLE_1)
	s_and_not1_b32 vcc_lo, exec_lo, s1
	s_cbranch_vccnz .LBB240_874
; %bb.873:
	v_add_nc_u32_e32 v3, 0x80, v3
	s_mov_b32 s19, -1
	s_branch .LBB240_876
.LBB240_874:
	s_mov_b32 s19, 0
.LBB240_875:
                                        ; implicit-def: $vgpr3
.LBB240_876:
	s_and_not1_b32 s1, s15, exec_lo
	s_and_b32 s0, s0, exec_lo
	s_and_not1_b32 s20, s14, exec_lo
	s_and_b32 s21, s18, exec_lo
	s_or_b32 s18, s1, s0
	s_or_b32 s1, s20, s21
	s_or_not1_b32 s0, s19, exec_lo
.LBB240_877:
	s_or_b32 exec_lo, exec_lo, s17
	s_mov_b32 s19, 0
	s_mov_b32 s20, 0
	;; [unrolled: 1-line block ×3, first 2 shown]
                                        ; implicit-def: $vgpr0_vgpr1
                                        ; implicit-def: $vgpr8
                                        ; implicit-def: $vgpr6
	s_and_saveexec_b32 s17, s0
	s_cbranch_execz .LBB240_965
; %bb.878:
	v_cmp_gt_i32_e32 vcc_lo, s11, v3
	s_mov_b32 s0, 0
	s_mov_b32 s19, s1
                                        ; implicit-def: $vgpr0_vgpr1
                                        ; implicit-def: $vgpr8
                                        ; implicit-def: $vgpr6
	s_and_saveexec_b32 s11, vcc_lo
	s_cbranch_execz .LBB240_964
; %bb.879:
	v_mul_lo_u32 v0, v3, s3
	v_cmp_gt_i16_e32 vcc_lo, 11, v4
	s_delay_alu instid0(VALU_DEP_2) | instskip(SKIP_1) | instid1(VALU_DEP_1)
	v_ashrrev_i32_e32 v1, 31, v0
	v_add_co_u32 v0, s0, s6, v0
	v_add_co_ci_u32_e64 v1, s0, s7, v1, s0
	s_cbranch_vccnz .LBB240_886
; %bb.880:
	v_cmp_lt_i16_e32 vcc_lo, 25, v4
	s_mov_b32 s19, 0
	s_cbranch_vccz .LBB240_887
; %bb.881:
	v_cmp_lt_i16_e32 vcc_lo, 28, v4
	s_cbranch_vccz .LBB240_888
; %bb.882:
	v_cmp_lt_i16_e32 vcc_lo, 43, v4
	;; [unrolled: 3-line block ×3, first 2 shown]
	s_cbranch_vccz .LBB240_892
; %bb.884:
	v_cmp_eq_u16_e32 vcc_lo, 46, v4
	s_cbranch_vccz .LBB240_895
; %bb.885:
	global_load_b32 v5, v[0:1], off
	s_mov_b32 s0, 0
	s_mov_b32 s20, -1
	s_waitcnt vmcnt(0)
	v_lshlrev_b32_e32 v6, 16, v5
	v_and_b32_e32 v5, 0xffff0000, v5
	s_delay_alu instid0(VALU_DEP_2) | instskip(NEXT) | instid1(VALU_DEP_2)
	v_cvt_f16_f32_e32 v6, v6
	v_cvt_f16_f32_e32 v8, v5
	s_branch .LBB240_897
.LBB240_886:
	s_mov_b32 s22, -1
	s_mov_b32 s19, 0
	s_mov_b32 s0, s1
                                        ; implicit-def: $vgpr8
                                        ; implicit-def: $vgpr6
	s_branch .LBB240_963
.LBB240_887:
	s_mov_b32 s21, -1
	s_mov_b32 s0, s1
                                        ; implicit-def: $vgpr8
                                        ; implicit-def: $vgpr6
	s_branch .LBB240_930
.LBB240_888:
	s_mov_b32 s21, -1
	s_mov_b32 s0, s1
                                        ; implicit-def: $vgpr8
                                        ; implicit-def: $vgpr6
	s_branch .LBB240_909
.LBB240_889:
	s_mov_b32 s21, -1
	s_mov_b32 s0, s1
                                        ; implicit-def: $vgpr8
                                        ; implicit-def: $vgpr6
	s_branch .LBB240_903
.LBB240_890:
	s_or_saveexec_b32 s20, s20
                                        ; implicit-def: $sgpr21
	s_delay_alu instid0(SALU_CYCLE_1)
	s_xor_b32 exec_lo, exec_lo, s20
	s_cbranch_execz .LBB240_785
.LBB240_891:
	v_add_f32_e64 v10, 0x46000000, |v9|
	s_and_not1_b32 s19, s19, exec_lo
	s_mov_b32 s21, 0
	s_delay_alu instid0(VALU_DEP_1) | instskip(NEXT) | instid1(VALU_DEP_1)
	v_and_b32_e32 v10, 0xff, v10
	v_cmp_ne_u32_e32 vcc_lo, 0, v10
	s_and_b32 s22, vcc_lo, exec_lo
	s_delay_alu instid0(SALU_CYCLE_1)
	s_or_b32 s19, s19, s22
	s_or_b32 exec_lo, exec_lo, s20
	v_mov_b32_e32 v11, s21
	s_and_saveexec_b32 s20, s19
	s_cbranch_execnz .LBB240_786
	s_branch .LBB240_787
.LBB240_892:
	s_mov_b32 s21, -1
	s_mov_b32 s0, s1
	s_branch .LBB240_896
.LBB240_893:
	s_or_saveexec_b32 s20, s20
                                        ; implicit-def: $sgpr21
	s_delay_alu instid0(SALU_CYCLE_1)
	s_xor_b32 exec_lo, exec_lo, s20
	s_cbranch_execz .LBB240_798
.LBB240_894:
	v_add_f32_e64 v10, 0x42800000, |v9|
	s_and_not1_b32 s19, s19, exec_lo
	s_mov_b32 s21, 0
	s_delay_alu instid0(VALU_DEP_1) | instskip(NEXT) | instid1(VALU_DEP_1)
	v_and_b32_e32 v10, 0xff, v10
	v_cmp_ne_u32_e32 vcc_lo, 0, v10
	s_and_b32 s22, vcc_lo, exec_lo
	s_delay_alu instid0(SALU_CYCLE_1)
	s_or_b32 s19, s19, s22
	s_or_b32 exec_lo, exec_lo, s20
	v_mov_b32_e32 v11, s21
	s_and_saveexec_b32 s20, s19
	s_cbranch_execnz .LBB240_799
	s_branch .LBB240_800
.LBB240_895:
	s_mov_b32 s0, -1
.LBB240_896:
                                        ; implicit-def: $vgpr8
                                        ; implicit-def: $vgpr6
.LBB240_897:
	s_and_b32 vcc_lo, exec_lo, s21
	s_cbranch_vccz .LBB240_902
; %bb.898:
	v_cmp_eq_u16_e32 vcc_lo, 44, v4
	s_cbranch_vccz .LBB240_900
; %bb.899:
	global_load_u8 v5, v[0:1], off
	s_mov_b32 s0, 0
	s_mov_b32 s20, -1
	s_waitcnt vmcnt(0)
	v_lshlrev_b32_e32 v6, 23, v5
	v_cmp_ne_u32_e32 vcc_lo, 0xff, v5
	s_delay_alu instid0(VALU_DEP_2) | instskip(NEXT) | instid1(VALU_DEP_1)
	v_cvt_f16_f32_e32 v6, v6
	v_cndmask_b32_e32 v6, 0x7e00, v6, vcc_lo
	v_cmp_ne_u32_e32 vcc_lo, 0, v5
	s_delay_alu instid0(VALU_DEP_2)
	v_cndmask_b32_e32 v6, 0, v6, vcc_lo
	s_branch .LBB240_901
.LBB240_900:
	s_mov_b32 s0, -1
                                        ; implicit-def: $vgpr6
.LBB240_901:
	s_delay_alu instid0(SALU_CYCLE_1)
	v_mov_b32_e32 v8, s0
.LBB240_902:
	s_mov_b32 s21, 0
.LBB240_903:
	s_delay_alu instid0(SALU_CYCLE_1)
	s_and_b32 vcc_lo, exec_lo, s21
	s_cbranch_vccz .LBB240_908
; %bb.904:
	v_cmp_eq_u16_e32 vcc_lo, 29, v4
	s_cbranch_vccz .LBB240_906
; %bb.905:
	global_load_b64 v[5:6], v[0:1], off
	s_mov_b32 s0, 0
	s_mov_b32 s20, -1
	s_mov_b32 s21, 0
	s_waitcnt vmcnt(0)
	v_clz_i32_u32_e32 v7, v6
	s_delay_alu instid0(VALU_DEP_1) | instskip(NEXT) | instid1(VALU_DEP_1)
	v_min_u32_e32 v7, 32, v7
	v_lshlrev_b64 v[5:6], v7, v[5:6]
	s_delay_alu instid0(VALU_DEP_1) | instskip(NEXT) | instid1(VALU_DEP_1)
	v_min_u32_e32 v5, 1, v5
	v_or_b32_e32 v5, v6, v5
	v_sub_nc_u32_e32 v6, 32, v7
	s_delay_alu instid0(VALU_DEP_2) | instskip(NEXT) | instid1(VALU_DEP_1)
	v_cvt_f32_u32_e32 v5, v5
	v_ldexp_f32 v5, v5, v6
	s_delay_alu instid0(VALU_DEP_1)
	v_cvt_f16_f32_e32 v6, v5
	s_branch .LBB240_907
.LBB240_906:
	s_mov_b32 s0, -1
                                        ; implicit-def: $sgpr21
                                        ; implicit-def: $vgpr6
.LBB240_907:
	v_mov_b32_e32 v8, s21
.LBB240_908:
	s_mov_b32 s21, 0
.LBB240_909:
	s_delay_alu instid0(SALU_CYCLE_1)
	s_and_b32 vcc_lo, exec_lo, s21
	s_cbranch_vccz .LBB240_929
; %bb.910:
	v_cmp_gt_i16_e32 vcc_lo, 27, v4
	s_cbranch_vccnz .LBB240_913
; %bb.911:
	v_cmp_lt_i16_e32 vcc_lo, 27, v4
	s_cbranch_vccz .LBB240_914
; %bb.912:
	global_load_b32 v5, v[0:1], off
	s_mov_b32 s21, 0
	s_mov_b32 s20, 0
	s_waitcnt vmcnt(0)
	v_cvt_f32_u32_e32 v5, v5
	s_delay_alu instid0(VALU_DEP_1)
	v_cvt_f16_f32_e32 v6, v5
	s_branch .LBB240_915
.LBB240_913:
	s_mov_b32 s21, -1
                                        ; implicit-def: $sgpr20
                                        ; implicit-def: $vgpr6
	s_branch .LBB240_918
.LBB240_914:
	s_mov_b32 s21, -1
                                        ; implicit-def: $sgpr20
                                        ; implicit-def: $vgpr6
.LBB240_915:
	s_delay_alu instid0(SALU_CYCLE_1)
	s_and_not1_b32 vcc_lo, exec_lo, s21
	s_cbranch_vccnz .LBB240_917
; %bb.916:
	global_load_u16 v5, v[0:1], off
	s_mov_b32 s20, 0
	s_waitcnt vmcnt(0)
	v_cvt_f16_u16_e32 v6, v5
.LBB240_917:
	s_mov_b32 s21, 0
.LBB240_918:
	v_mov_b32_e32 v8, s20
	s_and_not1_b32 vcc_lo, exec_lo, s21
	s_cbranch_vccnz .LBB240_928
; %bb.919:
	global_load_u8 v5, v[0:1], off
	s_mov_b32 s20, 0
	s_mov_b32 s23, exec_lo
                                        ; implicit-def: $sgpr22
                                        ; implicit-def: $sgpr21
	s_waitcnt vmcnt(0)
	v_cmpx_lt_i16_e32 0x7f, v5
	s_xor_b32 s23, exec_lo, s23
	s_cbranch_execz .LBB240_923
; %bb.920:
	s_mov_b32 s20, -1
	s_mov_b32 s24, exec_lo
                                        ; implicit-def: $sgpr22
                                        ; implicit-def: $sgpr21
	v_cmpx_eq_u16_e32 0x80, v5
; %bb.921:
	s_movk_i32 s21, 0x7e00
	s_mov_b32 s22, 0
	s_xor_b32 s20, exec_lo, -1
; %bb.922:
	s_or_b32 exec_lo, exec_lo, s24
	s_delay_alu instid0(SALU_CYCLE_1)
	s_and_b32 s20, s20, exec_lo
.LBB240_923:
	s_or_saveexec_b32 s23, s23
	v_mov_b32_e32 v8, s22
	v_mov_b32_e32 v6, s21
	s_xor_b32 exec_lo, exec_lo, s23
; %bb.924:
	v_cmp_ne_u16_e32 vcc_lo, 0, v5
	v_mov_b32_e32 v8, 0
	v_mov_b32_e32 v6, v5
	s_and_not1_b32 s20, s20, exec_lo
	s_and_b32 s21, vcc_lo, exec_lo
	s_delay_alu instid0(SALU_CYCLE_1)
	s_or_b32 s20, s20, s21
; %bb.925:
	s_or_b32 exec_lo, exec_lo, s23
	s_and_saveexec_b32 s21, s20
	s_cbranch_execz .LBB240_927
; %bb.926:
	v_and_b32_e32 v6, 0xffff, v5
	v_lshlrev_b32_e32 v5, 24, v5
	s_delay_alu instid0(VALU_DEP_2) | instskip(NEXT) | instid1(VALU_DEP_2)
	v_and_b32_e32 v7, 7, v6
	v_and_b32_e32 v5, 0x80000000, v5
	s_delay_alu instid0(VALU_DEP_2) | instskip(NEXT) | instid1(VALU_DEP_1)
	v_clz_i32_u32_e32 v8, v7
	v_min_u32_e32 v8, 32, v8
	s_delay_alu instid0(VALU_DEP_1) | instskip(SKIP_1) | instid1(VALU_DEP_2)
	v_subrev_nc_u32_e32 v9, 28, v8
	v_sub_nc_u32_e32 v8, 29, v8
	v_lshlrev_b32_e32 v9, v9, v6
	v_bfe_u32 v6, v6, 3, 4
	s_delay_alu instid0(VALU_DEP_1) | instskip(NEXT) | instid1(VALU_DEP_4)
	v_cmp_eq_u32_e32 vcc_lo, 0, v6
	v_cndmask_b32_e32 v6, v6, v8, vcc_lo
	s_delay_alu instid0(VALU_DEP_4) | instskip(NEXT) | instid1(VALU_DEP_2)
	v_dual_mov_b32 v8, 0 :: v_dual_and_b32 v9, 7, v9
	v_lshl_add_u32 v6, v6, 23, 0x3b800000
	s_delay_alu instid0(VALU_DEP_2) | instskip(NEXT) | instid1(VALU_DEP_1)
	v_cndmask_b32_e32 v7, v7, v9, vcc_lo
	v_lshlrev_b32_e32 v7, 20, v7
	s_delay_alu instid0(VALU_DEP_1) | instskip(NEXT) | instid1(VALU_DEP_1)
	v_or3_b32 v5, v5, v6, v7
	v_cvt_f16_f32_e32 v6, v5
.LBB240_927:
	s_or_b32 exec_lo, exec_lo, s21
.LBB240_928:
	s_mov_b32 s20, -1
.LBB240_929:
	s_mov_b32 s21, 0
.LBB240_930:
	s_delay_alu instid0(SALU_CYCLE_1)
	s_and_b32 vcc_lo, exec_lo, s21
	s_cbranch_vccz .LBB240_962
; %bb.931:
	v_cmp_lt_i16_e32 vcc_lo, 22, v4
	s_cbranch_vccz .LBB240_943
; %bb.932:
	v_cmp_gt_i16_e32 vcc_lo, 24, v4
	s_cbranch_vccnz .LBB240_944
; %bb.933:
	v_cmp_lt_i16_e32 vcc_lo, 24, v4
	s_cbranch_vccz .LBB240_945
; %bb.934:
	global_load_u8 v5, v[0:1], off
	s_mov_b32 s22, exec_lo
                                        ; implicit-def: $sgpr21
                                        ; implicit-def: $sgpr20
	s_waitcnt vmcnt(0)
	v_cmpx_lt_i16_e32 0x7f, v5
	s_xor_b32 s22, exec_lo, s22
	s_cbranch_execz .LBB240_938
; %bb.935:
	s_mov_b32 s19, -1
	s_mov_b32 s23, exec_lo
                                        ; implicit-def: $sgpr21
                                        ; implicit-def: $sgpr20
	v_cmpx_eq_u16_e32 0x80, v5
; %bb.936:
	s_movk_i32 s20, 0x7e00
	s_mov_b32 s21, 0
	s_xor_b32 s19, exec_lo, -1
; %bb.937:
	s_or_b32 exec_lo, exec_lo, s23
	s_delay_alu instid0(SALU_CYCLE_1)
	s_and_b32 s19, s19, exec_lo
.LBB240_938:
	s_or_saveexec_b32 s22, s22
	v_mov_b32_e32 v8, s21
	v_mov_b32_e32 v6, s20
	s_xor_b32 exec_lo, exec_lo, s22
; %bb.939:
	v_cmp_ne_u16_e32 vcc_lo, 0, v5
	v_mov_b32_e32 v8, 0
	v_mov_b32_e32 v6, v5
	s_and_not1_b32 s19, s19, exec_lo
	s_and_b32 s20, vcc_lo, exec_lo
	s_delay_alu instid0(SALU_CYCLE_1)
	s_or_b32 s19, s19, s20
; %bb.940:
	s_or_b32 exec_lo, exec_lo, s22
	s_and_saveexec_b32 s20, s19
	s_cbranch_execz .LBB240_942
; %bb.941:
	v_and_b32_e32 v6, 0xffff, v5
	v_lshlrev_b32_e32 v5, 24, v5
	s_delay_alu instid0(VALU_DEP_2) | instskip(NEXT) | instid1(VALU_DEP_2)
	v_and_b32_e32 v7, 3, v6
	v_and_b32_e32 v5, 0x80000000, v5
	s_delay_alu instid0(VALU_DEP_2) | instskip(NEXT) | instid1(VALU_DEP_1)
	v_clz_i32_u32_e32 v8, v7
	v_min_u32_e32 v8, 32, v8
	s_delay_alu instid0(VALU_DEP_1) | instskip(SKIP_1) | instid1(VALU_DEP_2)
	v_subrev_nc_u32_e32 v9, 29, v8
	v_sub_nc_u32_e32 v8, 30, v8
	v_lshlrev_b32_e32 v9, v9, v6
	v_bfe_u32 v6, v6, 2, 5
	s_delay_alu instid0(VALU_DEP_1) | instskip(NEXT) | instid1(VALU_DEP_4)
	v_cmp_eq_u32_e32 vcc_lo, 0, v6
	v_cndmask_b32_e32 v6, v6, v8, vcc_lo
	s_delay_alu instid0(VALU_DEP_4) | instskip(NEXT) | instid1(VALU_DEP_2)
	v_dual_mov_b32 v8, 0 :: v_dual_and_b32 v9, 3, v9
	v_lshl_add_u32 v6, v6, 23, 0x37800000
	s_delay_alu instid0(VALU_DEP_2) | instskip(NEXT) | instid1(VALU_DEP_1)
	v_cndmask_b32_e32 v7, v7, v9, vcc_lo
	v_lshlrev_b32_e32 v7, 21, v7
	s_delay_alu instid0(VALU_DEP_1) | instskip(NEXT) | instid1(VALU_DEP_1)
	v_or3_b32 v5, v5, v6, v7
	v_cvt_f16_f32_e32 v6, v5
.LBB240_942:
	s_or_b32 exec_lo, exec_lo, s20
	s_mov_b32 s19, 0
	s_branch .LBB240_946
.LBB240_943:
	s_mov_b32 s19, -1
                                        ; implicit-def: $vgpr8
                                        ; implicit-def: $vgpr6
	s_branch .LBB240_952
.LBB240_944:
	s_mov_b32 s19, -1
                                        ; implicit-def: $vgpr8
                                        ; implicit-def: $vgpr6
	s_branch .LBB240_949
.LBB240_945:
	s_mov_b32 s19, -1
                                        ; implicit-def: $vgpr8
                                        ; implicit-def: $vgpr6
.LBB240_946:
	s_delay_alu instid0(SALU_CYCLE_1)
	s_and_b32 vcc_lo, exec_lo, s19
	s_cbranch_vccz .LBB240_948
; %bb.947:
	global_load_u8 v5, v[0:1], off
	s_waitcnt vmcnt(0)
	v_lshlrev_b32_e32 v5, 24, v5
	s_delay_alu instid0(VALU_DEP_1) | instskip(NEXT) | instid1(VALU_DEP_1)
	v_and_b32_e32 v6, 0x7f000000, v5
	v_clz_i32_u32_e32 v7, v6
	v_add_nc_u32_e32 v9, 0x1000000, v6
	v_cmp_ne_u32_e32 vcc_lo, 0, v6
	s_delay_alu instid0(VALU_DEP_3) | instskip(NEXT) | instid1(VALU_DEP_1)
	v_min_u32_e32 v7, 32, v7
	v_sub_nc_u32_e64 v7, v7, 4 clamp
	s_delay_alu instid0(VALU_DEP_1) | instskip(SKIP_1) | instid1(VALU_DEP_2)
	v_lshlrev_b32_e32 v8, v7, v6
	v_lshlrev_b32_e32 v7, 23, v7
	v_lshrrev_b32_e32 v8, 4, v8
	s_delay_alu instid0(VALU_DEP_1) | instskip(SKIP_1) | instid1(VALU_DEP_2)
	v_sub_nc_u32_e32 v7, v8, v7
	v_ashrrev_i32_e32 v8, 8, v9
	v_add_nc_u32_e32 v7, 0x3c000000, v7
	s_delay_alu instid0(VALU_DEP_1) | instskip(SKIP_1) | instid1(VALU_DEP_2)
	v_and_or_b32 v7, 0x7f800000, v8, v7
	v_mov_b32_e32 v8, 0
	v_cndmask_b32_e32 v6, 0, v7, vcc_lo
	s_delay_alu instid0(VALU_DEP_1) | instskip(NEXT) | instid1(VALU_DEP_1)
	v_and_or_b32 v5, 0x80000000, v5, v6
	v_cvt_f16_f32_e32 v6, v5
.LBB240_948:
	s_mov_b32 s19, 0
.LBB240_949:
	s_delay_alu instid0(SALU_CYCLE_1)
	s_and_not1_b32 vcc_lo, exec_lo, s19
	s_cbranch_vccnz .LBB240_951
; %bb.950:
	global_load_u8 v5, v[0:1], off
	s_waitcnt vmcnt(0)
	v_lshlrev_b32_e32 v6, 25, v5
	v_lshlrev_b16 v5, 8, v5
	s_delay_alu instid0(VALU_DEP_2) | instskip(NEXT) | instid1(VALU_DEP_2)
	v_lshrrev_b32_e32 v7, 4, v6
	v_and_or_b32 v8, 0x7f00, v5, 0.5
	v_bfe_i32 v5, v5, 0, 16
	s_delay_alu instid0(VALU_DEP_3) | instskip(NEXT) | instid1(VALU_DEP_1)
	v_or_b32_e32 v7, 0x70000000, v7
	v_dual_add_f32 v8, -0.5, v8 :: v_dual_mul_f32 v7, 0x7800000, v7
	v_cmp_gt_u32_e32 vcc_lo, 0x8000000, v6
	s_delay_alu instid0(VALU_DEP_2) | instskip(SKIP_1) | instid1(VALU_DEP_2)
	v_cndmask_b32_e32 v6, v7, v8, vcc_lo
	v_mov_b32_e32 v8, 0
	v_and_or_b32 v5, 0x80000000, v5, v6
	s_delay_alu instid0(VALU_DEP_1)
	v_cvt_f16_f32_e32 v6, v5
.LBB240_951:
	s_mov_b32 s19, 0
	s_mov_b32 s20, -1
.LBB240_952:
	s_and_not1_b32 vcc_lo, exec_lo, s19
	s_mov_b32 s19, 0
	s_cbranch_vccnz .LBB240_962
; %bb.953:
	v_cmp_lt_i16_e32 vcc_lo, 14, v4
	s_cbranch_vccz .LBB240_956
; %bb.954:
	v_cmp_eq_u16_e32 vcc_lo, 15, v4
	s_cbranch_vccz .LBB240_957
; %bb.955:
	global_load_u16 v5, v[0:1], off
	s_mov_b32 s0, 0
	s_mov_b32 s20, -1
	s_mov_b32 s21, 0
	s_waitcnt vmcnt(0)
	v_lshlrev_b32_e32 v5, 16, v5
	s_delay_alu instid0(VALU_DEP_1)
	v_cvt_f16_f32_e32 v6, v5
	s_branch .LBB240_959
.LBB240_956:
	s_mov_b32 s19, -1
	s_branch .LBB240_958
.LBB240_957:
	s_mov_b32 s0, -1
.LBB240_958:
                                        ; implicit-def: $sgpr21
                                        ; implicit-def: $vgpr6
.LBB240_959:
	s_and_b32 vcc_lo, exec_lo, s19
	s_mov_b32 s19, 0
	s_cbranch_vccz .LBB240_961
; %bb.960:
	v_cmp_ne_u16_e32 vcc_lo, 11, v4
	s_and_not1_b32 s0, s0, exec_lo
	s_mov_b32 s19, -1
                                        ; implicit-def: $vgpr6
	s_and_b32 s21, vcc_lo, exec_lo
	s_delay_alu instid0(SALU_CYCLE_1)
	s_or_b32 s0, s0, s21
                                        ; implicit-def: $sgpr21
.LBB240_961:
	v_mov_b32_e32 v8, s21
.LBB240_962:
	s_mov_b32 s22, 0
.LBB240_963:
	s_and_b32 s21, s20, exec_lo
	s_and_b32 s20, s22, exec_lo
	s_and_not1_b32 s22, s1, exec_lo
	s_and_b32 s23, s0, exec_lo
	s_and_b32 s0, s19, exec_lo
	s_or_b32 s19, s22, s23
.LBB240_964:
	s_or_b32 exec_lo, exec_lo, s11
	s_delay_alu instid0(SALU_CYCLE_1)
	s_and_not1_b32 s1, s1, exec_lo
	s_and_b32 s11, s19, exec_lo
	s_and_b32 s21, s21, exec_lo
	;; [unrolled: 1-line block ×4, first 2 shown]
	s_or_b32 s1, s1, s11
.LBB240_965:
	s_or_b32 exec_lo, exec_lo, s17
	s_delay_alu instid0(SALU_CYCLE_1)
	s_and_not1_b32 s0, s15, exec_lo
	s_and_b32 s11, s18, exec_lo
	s_and_b32 s17, s20, exec_lo
	s_or_b32 s15, s0, s11
	s_and_not1_b32 s11, s14, exec_lo
	s_and_b32 s14, s1, exec_lo
	s_and_b32 s0, s21, exec_lo
	;; [unrolled: 1-line block ×3, first 2 shown]
	s_or_b32 s14, s11, s14
.LBB240_966:
	s_or_b32 exec_lo, exec_lo, s16
	s_delay_alu instid0(SALU_CYCLE_1)
	s_and_not1_b32 s10, s10, exec_lo
	s_and_b32 s11, s15, exec_lo
	s_and_b32 s0, s0, exec_lo
	s_or_b32 s10, s10, s11
	s_and_not1_b32 s11, s12, exec_lo
	s_and_b32 s12, s14, exec_lo
	s_and_b32 s15, s17, exec_lo
	;; [unrolled: 1-line block ×3, first 2 shown]
	s_or_b32 s12, s11, s12
.LBB240_967:
	s_or_b32 exec_lo, exec_lo, s13
	s_mov_b32 s11, 0
	s_and_saveexec_b32 s1, s12
	s_cbranch_execnz .LBB240_979
; %bb.968:
	s_or_b32 exec_lo, exec_lo, s1
	s_and_saveexec_b32 s1, s14
	s_delay_alu instid0(SALU_CYCLE_1)
	s_xor_b32 s1, exec_lo, s1
	s_cbranch_execz .LBB240_970
.LBB240_969:
	global_load_u8 v5, v[0:1], off
	v_mov_b32_e32 v8, 0
	s_or_b32 s0, s0, exec_lo
	s_waitcnt vmcnt(0)
	v_cmp_ne_u16_e32 vcc_lo, 0, v5
	v_cndmask_b32_e64 v6, 0, 0x3c00, vcc_lo
.LBB240_970:
	s_or_b32 exec_lo, exec_lo, s1
	s_and_saveexec_b32 s1, s15
	s_cbranch_execz .LBB240_1020
; %bb.971:
	v_cmp_gt_i16_e32 vcc_lo, 5, v4
	s_cbranch_vccnz .LBB240_976
; %bb.972:
	v_cmp_gt_i16_e32 vcc_lo, 8, v4
	s_cbranch_vccnz .LBB240_977
	;; [unrolled: 3-line block ×3, first 2 shown]
; %bb.974:
	v_cmp_lt_i16_e32 vcc_lo, 9, v4
	s_cbranch_vccz .LBB240_981
; %bb.975:
	global_load_b128 v[5:8], v[0:1], off
	s_mov_b32 s12, 0
	s_waitcnt vmcnt(0)
	v_cvt_f32_f64_e32 v5, v[5:6]
	v_cvt_f32_f64_e32 v7, v[7:8]
	s_delay_alu instid0(VALU_DEP_2) | instskip(NEXT) | instid1(VALU_DEP_2)
	v_cvt_f16_f32_e32 v6, v5
	v_cvt_f16_f32_e32 v8, v7
	s_branch .LBB240_982
.LBB240_976:
                                        ; implicit-def: $vgpr8
                                        ; implicit-def: $vgpr6
	s_branch .LBB240_1000
.LBB240_977:
                                        ; implicit-def: $vgpr8
                                        ; implicit-def: $vgpr6
	s_branch .LBB240_988
.LBB240_978:
	s_mov_b32 s12, -1
                                        ; implicit-def: $vgpr8
                                        ; implicit-def: $vgpr6
	s_branch .LBB240_985
.LBB240_979:
	s_cbranch_execnz .LBB240_1059
; %bb.980:
	s_mov_b32 s11, exec_lo
	s_and_not1_b32 s14, s14, exec_lo
                                        ; implicit-def: $vgpr8
                                        ; implicit-def: $vgpr6
	s_or_b32 exec_lo, exec_lo, s1
	s_and_saveexec_b32 s1, s14
	s_delay_alu instid0(SALU_CYCLE_1)
	s_xor_b32 s1, exec_lo, s1
	s_cbranch_execnz .LBB240_969
	s_branch .LBB240_970
.LBB240_981:
	s_mov_b32 s12, -1
                                        ; implicit-def: $vgpr8
                                        ; implicit-def: $vgpr6
.LBB240_982:
	s_delay_alu instid0(SALU_CYCLE_1)
	s_and_not1_b32 vcc_lo, exec_lo, s12
	s_cbranch_vccnz .LBB240_984
; %bb.983:
	global_load_b64 v[6:7], v[0:1], off
	s_waitcnt vmcnt(0)
	v_cvt_f16_f32_e32 v6, v6
	v_cvt_f16_f32_e32 v8, v7
.LBB240_984:
	s_mov_b32 s12, 0
.LBB240_985:
	s_delay_alu instid0(SALU_CYCLE_1)
	s_and_not1_b32 vcc_lo, exec_lo, s12
	s_cbranch_vccnz .LBB240_987
; %bb.986:
	global_load_b32 v6, v[0:1], off
	s_waitcnt vmcnt(0)
	v_lshrrev_b32_e32 v8, 16, v6
.LBB240_987:
	s_cbranch_execnz .LBB240_999
.LBB240_988:
	v_cmp_gt_i16_e32 vcc_lo, 6, v4
	s_cbranch_vccnz .LBB240_991
; %bb.989:
	v_cmp_lt_i16_e32 vcc_lo, 6, v4
	s_cbranch_vccz .LBB240_992
; %bb.990:
	global_load_b64 v[5:6], v[0:1], off
	s_mov_b32 s13, 0
	s_mov_b32 s12, 0
	s_waitcnt vmcnt(0)
	v_cvt_f32_f64_e32 v5, v[5:6]
	s_delay_alu instid0(VALU_DEP_1)
	v_cvt_f16_f32_e32 v6, v5
	s_branch .LBB240_993
.LBB240_991:
	s_mov_b32 s13, -1
                                        ; implicit-def: $sgpr12
                                        ; implicit-def: $vgpr6
	s_branch .LBB240_996
.LBB240_992:
	s_mov_b32 s13, -1
                                        ; implicit-def: $sgpr12
                                        ; implicit-def: $vgpr6
.LBB240_993:
	s_delay_alu instid0(SALU_CYCLE_1)
	s_and_not1_b32 vcc_lo, exec_lo, s13
	s_cbranch_vccnz .LBB240_995
; %bb.994:
	global_load_b32 v5, v[0:1], off
	s_mov_b32 s12, 0
	s_waitcnt vmcnt(0)
	v_cvt_f16_f32_e32 v6, v5
.LBB240_995:
	s_mov_b32 s13, 0
.LBB240_996:
	s_delay_alu instid0(SALU_CYCLE_1)
	s_and_not1_b32 vcc_lo, exec_lo, s13
	s_cbranch_vccnz .LBB240_998
; %bb.997:
	global_load_u16 v6, v[0:1], off
	s_mov_b32 s12, 0
.LBB240_998:
	s_delay_alu instid0(SALU_CYCLE_1)
	v_mov_b32_e32 v8, s12
.LBB240_999:
	s_cbranch_execnz .LBB240_1019
.LBB240_1000:
	v_cmp_gt_i16_e32 vcc_lo, 2, v4
	s_cbranch_vccnz .LBB240_1004
; %bb.1001:
	v_cmp_gt_i16_e32 vcc_lo, 3, v4
	s_cbranch_vccnz .LBB240_1005
; %bb.1002:
	v_cmp_lt_i16_e32 vcc_lo, 3, v4
	s_cbranch_vccz .LBB240_1006
; %bb.1003:
	global_load_b64 v[5:6], v[0:1], off
	s_mov_b32 s13, 0
	s_mov_b32 s12, 0
	s_waitcnt vmcnt(0)
	v_xor_b32_e32 v7, v5, v6
	v_cls_i32_e32 v8, v6
	s_delay_alu instid0(VALU_DEP_2) | instskip(NEXT) | instid1(VALU_DEP_2)
	v_ashrrev_i32_e32 v7, 31, v7
	v_add_nc_u32_e32 v8, -1, v8
	s_delay_alu instid0(VALU_DEP_2) | instskip(NEXT) | instid1(VALU_DEP_1)
	v_add_nc_u32_e32 v7, 32, v7
	v_min_u32_e32 v7, v8, v7
	s_delay_alu instid0(VALU_DEP_1) | instskip(NEXT) | instid1(VALU_DEP_1)
	v_lshlrev_b64 v[5:6], v7, v[5:6]
	v_min_u32_e32 v5, 1, v5
	s_delay_alu instid0(VALU_DEP_1) | instskip(SKIP_1) | instid1(VALU_DEP_2)
	v_or_b32_e32 v5, v6, v5
	v_sub_nc_u32_e32 v6, 32, v7
	v_cvt_f32_i32_e32 v5, v5
	s_delay_alu instid0(VALU_DEP_1) | instskip(NEXT) | instid1(VALU_DEP_1)
	v_ldexp_f32 v5, v5, v6
	v_cvt_f16_f32_e32 v6, v5
	s_branch .LBB240_1007
.LBB240_1004:
                                        ; implicit-def: $sgpr12
                                        ; implicit-def: $vgpr6
	s_branch .LBB240_1013
.LBB240_1005:
	s_mov_b32 s13, -1
                                        ; implicit-def: $sgpr12
                                        ; implicit-def: $vgpr6
	s_branch .LBB240_1010
.LBB240_1006:
	s_mov_b32 s13, -1
                                        ; implicit-def: $sgpr12
                                        ; implicit-def: $vgpr6
.LBB240_1007:
	s_delay_alu instid0(SALU_CYCLE_1)
	s_and_not1_b32 vcc_lo, exec_lo, s13
	s_cbranch_vccnz .LBB240_1009
; %bb.1008:
	global_load_b32 v5, v[0:1], off
	s_mov_b32 s12, 0
	s_waitcnt vmcnt(0)
	v_cvt_f32_i32_e32 v5, v5
	s_delay_alu instid0(VALU_DEP_1)
	v_cvt_f16_f32_e32 v6, v5
.LBB240_1009:
	s_mov_b32 s13, 0
.LBB240_1010:
	s_delay_alu instid0(SALU_CYCLE_1)
	s_and_not1_b32 vcc_lo, exec_lo, s13
	s_cbranch_vccnz .LBB240_1012
; %bb.1011:
	global_load_u16 v5, v[0:1], off
	s_mov_b32 s12, 0
	s_waitcnt vmcnt(0)
	v_cvt_f16_i16_e32 v6, v5
.LBB240_1012:
	s_cbranch_execnz .LBB240_1018
.LBB240_1013:
	v_cmp_lt_i16_e32 vcc_lo, 0, v4
	s_mov_b32 s13, 0
	s_cbranch_vccz .LBB240_1015
; %bb.1014:
	global_load_i8 v4, v[0:1], off
	s_mov_b32 s12, 0
	s_waitcnt vmcnt(0)
	v_cvt_f16_i16_e32 v6, v4
	s_branch .LBB240_1016
.LBB240_1015:
	s_mov_b32 s13, -1
                                        ; implicit-def: $sgpr12
                                        ; implicit-def: $vgpr6
.LBB240_1016:
	s_delay_alu instid0(SALU_CYCLE_1)
	s_and_not1_b32 vcc_lo, exec_lo, s13
	s_cbranch_vccnz .LBB240_1018
; %bb.1017:
	global_load_u8 v0, v[0:1], off
	s_mov_b32 s12, 0
	s_waitcnt vmcnt(0)
	v_cvt_f16_u16_e32 v6, v0
.LBB240_1018:
	v_mov_b32_e32 v8, s12
.LBB240_1019:
	s_or_b32 s0, s0, exec_lo
.LBB240_1020:
	s_or_b32 exec_lo, exec_lo, s1
	s_mov_b32 s13, 0
	s_mov_b32 s1, 0
                                        ; implicit-def: $vgpr5
                                        ; implicit-def: $vgpr0_vgpr1
                                        ; implicit-def: $vgpr9
                                        ; implicit-def: $vgpr7
                                        ; implicit-def: $vgpr4
	s_and_saveexec_b32 s12, s0
	s_cbranch_execz .LBB240_1130
; %bb.1021:
	s_waitcnt vmcnt(0)
	v_cmp_neq_f16_e32 vcc_lo, 0, v6
	v_cmp_neq_f16_e64 s0, 0, v8
	v_cvt_f32_f16_e32 v0, v8
	v_mov_b32_e32 v1, 0
	s_delay_alu instid0(VALU_DEP_3) | instskip(NEXT) | instid1(SALU_CYCLE_1)
	s_or_b32 s0, vcc_lo, s0
	s_and_saveexec_b32 s13, s0
	s_cbranch_execz .LBB240_1051
; %bb.1022:
	v_mov_b32_e32 v1, 0x7f800000
	s_mov_b32 s14, exec_lo
	v_cmpx_neq_f32_e64 0x7f800000, |v0|
	s_cbranch_execz .LBB240_1050
; %bb.1023:
	v_cvt_f32_f16_e32 v1, v6
	s_mov_b32 s0, exec_lo
	v_cmpx_o_f16_e32 v6, v6
	s_xor_b32 s15, exec_lo, s0
	s_cbranch_execz .LBB240_1047
; %bb.1024:
	s_mov_b32 s1, exec_lo
	v_cmpx_neq_f32_e64 0x7f800000, |v1|
	s_xor_b32 s16, exec_lo, s1
	s_cbranch_execz .LBB240_1040
; %bb.1025:
	v_max_f32_e64 v4, |v0|, |v0|
	v_max_f32_e64 v5, |v1|, |v1|
                                        ; implicit-def: $sgpr17
	s_delay_alu instid0(VALU_DEP_1) | instskip(NEXT) | instid1(VALU_DEP_1)
	v_max_f32_e32 v4, v5, v4
	v_cmp_nle_f32_e64 s0, 0x7ed413cb, v4
	s_delay_alu instid0(VALU_DEP_1) | instskip(NEXT) | instid1(SALU_CYCLE_1)
	s_and_saveexec_b32 s1, s0
	s_xor_b32 s1, exec_lo, s1
	s_cbranch_execz .LBB240_1029
; %bb.1026:
	v_cmp_ge_f32_e64 s17, 0x1000000, |v1|
	v_cmp_ge_f32_e64 s18, 0x1000000, |v0|
	s_delay_alu instid0(VALU_DEP_1)
	s_and_b32 s19, s17, s18
	s_mov_b32 s17, 0
	s_and_saveexec_b32 s18, s19
; %bb.1027:
	v_dual_mul_f32 v1, 4.0, v1 :: v_dual_mul_f32 v0, 4.0, v0
	s_mov_b32 s17, exec_lo
; %bb.1028:
	s_or_b32 exec_lo, exec_lo, s18
	s_delay_alu instid0(SALU_CYCLE_1)
	s_and_b32 s17, s17, exec_lo
.LBB240_1029:
	s_and_not1_saveexec_b32 s1, s1
; %bb.1030:
	v_dual_mul_f32 v1, 0x3e800000, v1 :: v_dual_mul_f32 v0, 0x3e800000, v0
	s_and_not1_b32 s17, s17, exec_lo
; %bb.1031:
	s_or_b32 exec_lo, exec_lo, s1
	s_delay_alu instid0(VALU_DEP_1) | instskip(NEXT) | instid1(VALU_DEP_2)
	v_max_f32_e64 v4, |v0|, |v0|
	v_max_f32_e64 v5, |v1|, |v1|
	s_delay_alu instid0(VALU_DEP_1) | instskip(NEXT) | instid1(VALU_DEP_1)
	v_max_f32_e32 v6, v5, v4
	v_cvt_f64_f32_e32 v[4:5], v6
	s_delay_alu instid0(VALU_DEP_1) | instskip(NEXT) | instid1(VALU_DEP_1)
	v_frexp_exp_i32_f64_e32 v4, v[4:5]
	v_sub_nc_u32_e32 v5, 0, v4
	s_delay_alu instid0(VALU_DEP_1) | instskip(SKIP_1) | instid1(VALU_DEP_2)
	v_ldexp_f32 v7, |v0|, v5
	v_ldexp_f32 v5, |v1|, v5
	v_mul_f32_e32 v7, v7, v7
	v_cmp_neq_f32_e64 s1, 0x7f800000, v6
	s_delay_alu instid0(VALU_DEP_2) | instskip(NEXT) | instid1(VALU_DEP_1)
	v_fmac_f32_e32 v7, v5, v5
	v_sqrt_f32_e32 v5, v7
	s_waitcnt_depctr 0xfff
	v_ldexp_f32 v4, v5, v4
                                        ; implicit-def: $vgpr5
	s_delay_alu instid0(VALU_DEP_1)
	v_cndmask_b32_e64 v6, 0x7f800000, v4, s1
                                        ; implicit-def: $vgpr4
	s_mov_b32 s1, exec_lo
	v_cmpx_le_f32_e32 0, v1
	s_xor_b32 s18, exec_lo, s1
	s_cbranch_execz .LBB240_1033
; %bb.1032:
	v_add_f32_e32 v1, v1, v6
	s_delay_alu instid0(VALU_DEP_1) | instskip(NEXT) | instid1(VALU_DEP_1)
	v_mul_f32_e32 v1, 0.5, v1
	v_mul_f32_e32 v4, 0x4f800000, v1
	v_cmp_gt_f32_e32 vcc_lo, 0xf800000, v1
	s_delay_alu instid0(VALU_DEP_2) | instskip(NEXT) | instid1(VALU_DEP_1)
	v_cndmask_b32_e32 v1, v1, v4, vcc_lo
	v_sqrt_f32_e32 v4, v1
	s_waitcnt_depctr 0xfff
	v_add_nc_u32_e32 v5, -1, v4
	v_add_nc_u32_e32 v6, 1, v4
	s_delay_alu instid0(VALU_DEP_2) | instskip(NEXT) | instid1(VALU_DEP_2)
	v_fma_f32 v7, -v5, v4, v1
	v_fma_f32 v8, -v6, v4, v1
	s_delay_alu instid0(VALU_DEP_2) | instskip(NEXT) | instid1(VALU_DEP_1)
	v_cmp_ge_f32_e64 s1, 0, v7
	v_cndmask_b32_e64 v4, v4, v5, s1
	s_delay_alu instid0(VALU_DEP_3) | instskip(NEXT) | instid1(VALU_DEP_1)
	v_cmp_lt_f32_e64 s1, 0, v8
	v_cndmask_b32_e64 v4, v4, v6, s1
	s_delay_alu instid0(VALU_DEP_1) | instskip(NEXT) | instid1(VALU_DEP_1)
	v_mul_f32_e32 v5, 0x37800000, v4
	v_cndmask_b32_e32 v4, v4, v5, vcc_lo
	v_cmp_class_f32_e64 vcc_lo, v1, 0x260
	s_delay_alu instid0(VALU_DEP_2) | instskip(NEXT) | instid1(VALU_DEP_1)
	v_cndmask_b32_e32 v4, v4, v1, vcc_lo
	v_add_f32_e32 v1, v4, v4
	s_delay_alu instid0(VALU_DEP_1) | instskip(NEXT) | instid1(VALU_DEP_1)
	v_div_scale_f32 v5, null, v1, v1, v0
	v_rcp_f32_e32 v6, v5
	s_waitcnt_depctr 0xfff
	v_fma_f32 v7, -v5, v6, 1.0
	s_delay_alu instid0(VALU_DEP_1) | instskip(SKIP_1) | instid1(VALU_DEP_1)
	v_fmac_f32_e32 v6, v7, v6
	v_div_scale_f32 v7, vcc_lo, v0, v1, v0
	v_mul_f32_e32 v8, v7, v6
	s_delay_alu instid0(VALU_DEP_1) | instskip(NEXT) | instid1(VALU_DEP_1)
	v_fma_f32 v9, -v5, v8, v7
	v_fmac_f32_e32 v8, v9, v6
	s_delay_alu instid0(VALU_DEP_1) | instskip(NEXT) | instid1(VALU_DEP_1)
	v_fma_f32 v5, -v5, v8, v7
	v_div_fmas_f32 v5, v5, v6, v8
                                        ; implicit-def: $vgpr6
	s_delay_alu instid0(VALU_DEP_1)
	v_div_fixup_f32 v5, v5, v1, v0
                                        ; implicit-def: $vgpr1
                                        ; implicit-def: $vgpr0
	s_and_not1_saveexec_b32 s18, s18
	s_cbranch_execz .LBB240_1035
	s_branch .LBB240_1034
.LBB240_1033:
	s_and_not1_saveexec_b32 s18, s18
	s_cbranch_execz .LBB240_1035
.LBB240_1034:
	v_sub_f32_e32 v1, v6, v1
	s_delay_alu instid0(VALU_DEP_1) | instskip(NEXT) | instid1(VALU_DEP_1)
	v_mul_f32_e32 v1, 0.5, v1
	v_mul_f32_e32 v4, 0x4f800000, v1
	v_cmp_gt_f32_e32 vcc_lo, 0xf800000, v1
	s_delay_alu instid0(VALU_DEP_2) | instskip(NEXT) | instid1(VALU_DEP_1)
	v_cndmask_b32_e32 v1, v1, v4, vcc_lo
	v_sqrt_f32_e32 v4, v1
	s_waitcnt_depctr 0xfff
	v_add_nc_u32_e32 v5, -1, v4
	v_add_nc_u32_e32 v6, 1, v4
	s_delay_alu instid0(VALU_DEP_2) | instskip(NEXT) | instid1(VALU_DEP_2)
	v_fma_f32 v7, -v5, v4, v1
	v_fma_f32 v8, -v6, v4, v1
	s_delay_alu instid0(VALU_DEP_2) | instskip(NEXT) | instid1(VALU_DEP_1)
	v_cmp_ge_f32_e64 s1, 0, v7
	v_cndmask_b32_e64 v4, v4, v5, s1
	s_delay_alu instid0(VALU_DEP_3) | instskip(NEXT) | instid1(VALU_DEP_1)
	v_cmp_lt_f32_e64 s1, 0, v8
	v_cndmask_b32_e64 v4, v4, v6, s1
	s_delay_alu instid0(VALU_DEP_1) | instskip(NEXT) | instid1(VALU_DEP_1)
	v_mul_f32_e32 v5, 0x37800000, v4
	v_cndmask_b32_e32 v4, v4, v5, vcc_lo
	v_cmp_class_f32_e64 vcc_lo, v1, 0x260
	s_delay_alu instid0(VALU_DEP_2) | instskip(NEXT) | instid1(VALU_DEP_1)
	v_dual_cndmask_b32 v1, v4, v1 :: v_dual_and_b32 v4, 0x7fffffff, v0
	v_add_f32_e32 v5, v1, v1
	s_delay_alu instid0(VALU_DEP_1) | instskip(SKIP_1) | instid1(VALU_DEP_2)
	v_div_scale_f32 v6, null, v5, v5, v4
	v_div_scale_f32 v4, vcc_lo, v4, v5, v4
	v_rcp_f32_e32 v7, v6
	s_waitcnt_depctr 0xfff
	v_fma_f32 v8, -v6, v7, 1.0
	s_delay_alu instid0(VALU_DEP_1) | instskip(NEXT) | instid1(VALU_DEP_1)
	v_fmac_f32_e32 v7, v8, v7
	v_mul_f32_e32 v8, v4, v7
	s_delay_alu instid0(VALU_DEP_1) | instskip(NEXT) | instid1(VALU_DEP_1)
	v_fma_f32 v9, -v6, v8, v4
	v_fmac_f32_e32 v8, v9, v7
	s_delay_alu instid0(VALU_DEP_1) | instskip(NEXT) | instid1(VALU_DEP_1)
	v_fma_f32 v4, -v6, v8, v4
	v_div_fmas_f32 v4, v4, v7, v8
	s_delay_alu instid0(VALU_DEP_1)
	v_div_fixup_f32 v4, v4, v5, |v0|
	v_bfi_b32 v5, 0x7fffffff, v1, v0
.LBB240_1035:
	s_or_b32 exec_lo, exec_lo, s18
                                        ; implicit-def: $vgpr0
                                        ; implicit-def: $vgpr1
	s_and_saveexec_b32 s1, s0
	s_delay_alu instid0(SALU_CYCLE_1)
	s_xor_b32 s0, exec_lo, s1
	s_cbranch_execz .LBB240_1037
; %bb.1036:
	v_mul_f32_e32 v0, 0.5, v4
	v_mul_f32_e32 v6, 0.5, v5
	s_delay_alu instid0(VALU_DEP_2) | instskip(NEXT) | instid1(VALU_DEP_2)
	v_cndmask_b32_e64 v1, v4, v0, s17
	v_cndmask_b32_e64 v0, v5, v6, s17
                                        ; implicit-def: $vgpr4
                                        ; implicit-def: $vgpr5
	s_and_not1_saveexec_b32 s0, s0
	s_cbranch_execnz .LBB240_1038
	s_branch .LBB240_1039
.LBB240_1037:
	s_and_not1_saveexec_b32 s0, s0
.LBB240_1038:
	v_dual_add_f32 v1, v4, v4 :: v_dual_add_f32 v0, v5, v5
.LBB240_1039:
	s_or_b32 exec_lo, exec_lo, s0
                                        ; implicit-def: $vgpr6
.LBB240_1040:
	s_and_not1_saveexec_b32 s0, s16
	s_cbranch_execz .LBB240_1046
; %bb.1041:
	s_delay_alu instid0(VALU_DEP_1)
	v_sub_f32_e32 v4, v0, v0
	s_mov_b32 s1, exec_lo
	v_cmpx_lt_i16_e32 -1, v6
	s_xor_b32 s1, exec_lo, s1
; %bb.1042:
	s_delay_alu instid0(VALU_DEP_2)
	v_bfi_b32 v0, 0x7fffffff, v4, v0
                                        ; implicit-def: $vgpr4
; %bb.1043:
	s_and_not1_saveexec_b32 s1, s1
; %bb.1044:
	v_and_b32_e32 v4, 0x7fffffff, v4
	s_delay_alu instid0(VALU_DEP_2) | instskip(NEXT) | instid1(VALU_DEP_2)
	v_bfi_b32 v0, 0x7fffffff, v1, v0
	v_mov_b32_e32 v1, v4
; %bb.1045:
	s_or_b32 exec_lo, exec_lo, s1
.LBB240_1046:
	s_delay_alu instid0(SALU_CYCLE_1)
	s_or_b32 exec_lo, exec_lo, s0
.LBB240_1047:
	s_and_not1_saveexec_b32 s0, s15
; %bb.1048:
	v_sub_f32_e32 v0, v0, v0
	s_delay_alu instid0(VALU_DEP_1) | instskip(NEXT) | instid1(VALU_DEP_1)
	v_div_scale_f32 v4, vcc_lo, v0, v0, v0
	v_rcp_f32_e32 v5, v4
	s_waitcnt_depctr 0xfff
	v_fma_f32 v6, -v4, v5, 1.0
	s_delay_alu instid0(VALU_DEP_1) | instskip(NEXT) | instid1(VALU_DEP_1)
	v_fmac_f32_e32 v5, v6, v5
	v_mul_f32_e32 v6, v4, v5
	s_delay_alu instid0(VALU_DEP_1) | instskip(NEXT) | instid1(VALU_DEP_1)
	v_fma_f32 v7, -v4, v6, v4
	v_fmac_f32_e32 v6, v7, v5
	s_delay_alu instid0(VALU_DEP_1) | instskip(NEXT) | instid1(VALU_DEP_1)
	v_fma_f32 v4, -v4, v6, v4
	v_div_fmas_f32 v4, v4, v5, v6
	s_delay_alu instid0(VALU_DEP_1)
	v_div_fixup_f32 v0, v4, v0, v0
; %bb.1049:
	s_or_b32 exec_lo, exec_lo, s0
.LBB240_1050:
	s_delay_alu instid0(SALU_CYCLE_1)
	s_or_b32 exec_lo, exec_lo, s14
.LBB240_1051:
	s_delay_alu instid0(SALU_CYCLE_1) | instskip(SKIP_4) | instid1(VALU_DEP_3)
	s_or_b32 exec_lo, exec_lo, s13
	v_mul_lo_u32 v6, v3, s2
	v_and_b32_e32 v5, 0xff, v2
	v_cvt_f16_f32_e32 v7, v0
	v_cvt_f16_f32_e32 v4, v1
	v_cmp_gt_i16_e32 vcc_lo, 11, v5
	s_delay_alu instid0(VALU_DEP_3) | instskip(SKIP_3) | instid1(VALU_DEP_3)
	v_lshlrev_b32_e32 v2, 16, v7
	v_ashrrev_i32_e32 v1, 31, v6
	v_add_co_u32 v0, s0, s4, v6
	v_and_b32_e32 v3, 0xffff, v4
	v_add_co_ci_u32_e64 v1, s0, s5, v1, s0
	s_cbranch_vccnz .LBB240_1058
; %bb.1052:
	v_cmp_lt_i16_e32 vcc_lo, 25, v5
	s_mov_b32 s1, -1
	s_mov_b32 s0, s10
	s_cbranch_vccz .LBB240_1088
; %bb.1053:
	v_cmp_lt_i16_e32 vcc_lo, 28, v5
	s_mov_b32 s0, s10
	s_cbranch_vccz .LBB240_1072
; %bb.1054:
	v_cmp_lt_i16_e32 vcc_lo, 43, v5
	;; [unrolled: 4-line block ×3, first 2 shown]
	s_mov_b32 s0, s10
	s_cbranch_vccz .LBB240_1062
; %bb.1056:
	v_cmp_eq_u16_e32 vcc_lo, 46, v5
	s_mov_b32 s0, -1
	s_cbranch_vccz .LBB240_1061
; %bb.1057:
	v_cvt_f32_f16_e32 v6, v7
	v_cvt_f32_f16_e32 v8, v4
	v_cmp_o_f16_e32 vcc_lo, v7, v7
	s_mov_b32 s0, 0
	s_mov_b32 s1, 0
	v_bfe_u32 v9, v6, 16, 1
	v_bfe_u32 v10, v8, 16, 1
	s_delay_alu instid0(VALU_DEP_2) | instskip(NEXT) | instid1(VALU_DEP_2)
	v_add3_u32 v6, v6, v9, 0x7fff
	v_add3_u32 v8, v8, v10, 0x7fff
	s_delay_alu instid0(VALU_DEP_2) | instskip(NEXT) | instid1(VALU_DEP_2)
	v_and_b32_e32 v6, 0xffff0000, v6
	v_lshrrev_b32_e32 v8, 16, v8
	s_delay_alu instid0(VALU_DEP_2) | instskip(SKIP_1) | instid1(VALU_DEP_3)
	v_cndmask_b32_e32 v6, 0x7fc00000, v6, vcc_lo
	v_cmp_o_f16_e32 vcc_lo, v4, v4
	v_cndmask_b32_e32 v8, 0x7fc0, v8, vcc_lo
	s_delay_alu instid0(VALU_DEP_1)
	v_or_b32_e32 v6, v6, v8
	global_store_b32 v[0:1], v6, off
	s_branch .LBB240_1062
.LBB240_1058:
	s_mov_b32 s13, 0
	s_mov_b32 s1, -1
	s_mov_b32 s0, s10
	s_branch .LBB240_1129
.LBB240_1059:
	s_trap 2
	s_sendmsg_rtn_b32 s0, sendmsg(MSG_RTN_GET_DOORBELL)
	s_mov_b32 ttmp2, m0
	s_waitcnt lgkmcnt(0)
	s_and_b32 s0, s0, 0x3ff
	s_delay_alu instid0(SALU_CYCLE_1) | instskip(NEXT) | instid1(SALU_CYCLE_1)
	s_bitset1_b32 s0, 10
	s_mov_b32 m0, s0
	s_sendmsg sendmsg(MSG_INTERRUPT)
	s_mov_b32 m0, ttmp2
.LBB240_1060:                           ; =>This Inner Loop Header: Depth=1
	s_sethalt 5
	s_branch .LBB240_1060
.LBB240_1061:
	s_mov_b32 s1, 0
.LBB240_1062:
	s_delay_alu instid0(SALU_CYCLE_1)
	s_and_b32 vcc_lo, exec_lo, s1
	s_cbranch_vccz .LBB240_1067
; %bb.1063:
	v_cmp_eq_u16_e32 vcc_lo, 44, v5
	s_mov_b32 s0, -1
	s_cbranch_vccz .LBB240_1067
; %bb.1064:
	v_cvt_f32_f16_e32 v6, v4
	v_mov_b32_e32 v8, 0xff
	s_mov_b32 s1, exec_lo
	s_delay_alu instid0(VALU_DEP_2) | instskip(NEXT) | instid1(VALU_DEP_1)
	v_bfe_u32 v9, v6, 23, 8
	v_cmpx_ne_u32_e32 0xff, v9
; %bb.1065:
	v_and_b32_e32 v8, 0x400000, v6
	v_and_or_b32 v9, 0x3fffff, v6, v9
	v_lshrrev_b32_e32 v6, 23, v6
	s_delay_alu instid0(VALU_DEP_3) | instskip(NEXT) | instid1(VALU_DEP_3)
	v_cmp_ne_u32_e32 vcc_lo, 0, v8
	v_cmp_ne_u32_e64 s0, 0, v9
	s_delay_alu instid0(VALU_DEP_1) | instskip(NEXT) | instid1(SALU_CYCLE_1)
	s_and_b32 s0, vcc_lo, s0
	v_cndmask_b32_e64 v8, 0, 1, s0
	s_delay_alu instid0(VALU_DEP_1)
	v_add_nc_u32_e32 v8, v6, v8
; %bb.1066:
	s_or_b32 exec_lo, exec_lo, s1
	s_mov_b32 s0, 0
	global_store_b8 v[0:1], v8, off
.LBB240_1067:
	s_mov_b32 s1, 0
.LBB240_1068:
	s_delay_alu instid0(SALU_CYCLE_1)
	s_and_b32 vcc_lo, exec_lo, s1
	s_cbranch_vccz .LBB240_1071
; %bb.1069:
	v_cmp_eq_u16_e32 vcc_lo, 29, v5
	s_mov_b32 s0, -1
	s_cbranch_vccz .LBB240_1071
; %bb.1070:
	v_cvt_f32_f16_e32 v6, v4
	v_mov_b32_e32 v9, 0
	s_mov_b32 s0, 0
	s_mov_b32 s1, 0
	s_delay_alu instid0(VALU_DEP_2)
	v_cvt_u32_f32_e32 v8, v6
	global_store_b64 v[0:1], v[8:9], off
	s_branch .LBB240_1072
.LBB240_1071:
	s_mov_b32 s1, 0
.LBB240_1072:
	s_delay_alu instid0(SALU_CYCLE_1)
	s_and_b32 vcc_lo, exec_lo, s1
	s_cbranch_vccz .LBB240_1087
; %bb.1073:
	v_cmp_gt_i16_e32 vcc_lo, 27, v5
	s_mov_b32 s1, -1
	s_cbranch_vccnz .LBB240_1079
; %bb.1074:
	v_cmp_lt_i16_e32 vcc_lo, 27, v5
	s_cbranch_vccz .LBB240_1076
; %bb.1075:
	v_cvt_f32_f16_e32 v6, v4
	s_mov_b32 s1, 0
	s_delay_alu instid0(VALU_DEP_1)
	v_cvt_u32_f32_e32 v6, v6
	global_store_b32 v[0:1], v6, off
.LBB240_1076:
	s_and_not1_b32 vcc_lo, exec_lo, s1
	s_cbranch_vccnz .LBB240_1078
; %bb.1077:
	v_cvt_u16_f16_e32 v6, v4
	global_store_b16 v[0:1], v6, off
.LBB240_1078:
	s_mov_b32 s1, 0
.LBB240_1079:
	s_delay_alu instid0(SALU_CYCLE_1)
	s_and_not1_b32 vcc_lo, exec_lo, s1
	s_cbranch_vccnz .LBB240_1087
; %bb.1080:
	v_cvt_f32_f16_e32 v6, v4
	v_mov_b32_e32 v9, 0x80
	s_mov_b32 s1, exec_lo
	s_delay_alu instid0(VALU_DEP_2) | instskip(NEXT) | instid1(VALU_DEP_1)
	v_and_b32_e32 v8, 0x7fffffff, v6
	v_cmpx_gt_u32_e32 0x43800000, v8
	s_cbranch_execz .LBB240_1086
; %bb.1081:
	v_cmp_lt_u32_e32 vcc_lo, 0x3bffffff, v8
	s_mov_b32 s13, 0
                                        ; implicit-def: $vgpr8
	s_and_saveexec_b32 s14, vcc_lo
	s_delay_alu instid0(SALU_CYCLE_1)
	s_xor_b32 s14, exec_lo, s14
	s_cbranch_execz .LBB240_1357
; %bb.1082:
	v_bfe_u32 v8, v6, 20, 1
	s_mov_b32 s13, exec_lo
	s_delay_alu instid0(VALU_DEP_1) | instskip(NEXT) | instid1(VALU_DEP_1)
	v_add3_u32 v8, v6, v8, 0x487ffff
	v_lshrrev_b32_e32 v8, 20, v8
	s_or_saveexec_b32 s14, s14
                                        ; implicit-def: $sgpr15
	s_delay_alu instid0(SALU_CYCLE_1)
	s_xor_b32 exec_lo, exec_lo, s14
	s_cbranch_execnz .LBB240_1358
.LBB240_1083:
	s_or_b32 exec_lo, exec_lo, s14
	v_mov_b32_e32 v9, s15
	s_and_saveexec_b32 s14, s13
.LBB240_1084:
	v_lshrrev_b32_e32 v6, 24, v6
	s_delay_alu instid0(VALU_DEP_1)
	v_and_or_b32 v9, 0x80, v6, v8
.LBB240_1085:
	s_or_b32 exec_lo, exec_lo, s14
.LBB240_1086:
	s_delay_alu instid0(SALU_CYCLE_1)
	s_or_b32 exec_lo, exec_lo, s1
	global_store_b8 v[0:1], v9, off
.LBB240_1087:
	s_mov_b32 s1, 0
.LBB240_1088:
	s_delay_alu instid0(SALU_CYCLE_1)
	s_and_b32 vcc_lo, exec_lo, s1
	s_mov_b32 s1, 0
	s_cbranch_vccz .LBB240_1128
; %bb.1089:
	v_cmp_lt_i16_e32 vcc_lo, 22, v5
	s_mov_b32 s13, -1
	s_cbranch_vccz .LBB240_1121
; %bb.1090:
	v_cmp_gt_i16_e32 vcc_lo, 24, v5
	s_cbranch_vccnz .LBB240_1110
; %bb.1091:
	v_cmp_lt_i16_e32 vcc_lo, 24, v5
	s_cbranch_vccz .LBB240_1099
; %bb.1092:
	v_cvt_f32_f16_e32 v6, v4
	v_mov_b32_e32 v9, 0x80
	s_mov_b32 s13, exec_lo
	s_delay_alu instid0(VALU_DEP_2) | instskip(NEXT) | instid1(VALU_DEP_1)
	v_and_b32_e32 v8, 0x7fffffff, v6
	v_cmpx_gt_u32_e32 0x47800000, v8
	s_cbranch_execz .LBB240_1098
; %bb.1093:
	v_cmp_lt_u32_e32 vcc_lo, 0x37ffffff, v8
	s_mov_b32 s14, 0
                                        ; implicit-def: $vgpr8
	s_and_saveexec_b32 s15, vcc_lo
	s_delay_alu instid0(SALU_CYCLE_1)
	s_xor_b32 s15, exec_lo, s15
	s_cbranch_execz .LBB240_1402
; %bb.1094:
	v_bfe_u32 v8, v6, 21, 1
	s_mov_b32 s14, exec_lo
	s_delay_alu instid0(VALU_DEP_1) | instskip(NEXT) | instid1(VALU_DEP_1)
	v_add3_u32 v8, v6, v8, 0x88fffff
	v_lshrrev_b32_e32 v8, 21, v8
	s_or_saveexec_b32 s15, s15
                                        ; implicit-def: $sgpr16
	s_delay_alu instid0(SALU_CYCLE_1)
	s_xor_b32 exec_lo, exec_lo, s15
	s_cbranch_execnz .LBB240_1403
.LBB240_1095:
	s_or_b32 exec_lo, exec_lo, s15
	v_mov_b32_e32 v9, s16
	s_and_saveexec_b32 s15, s14
.LBB240_1096:
	v_lshrrev_b32_e32 v6, 24, v6
	s_delay_alu instid0(VALU_DEP_1)
	v_and_or_b32 v9, 0x80, v6, v8
.LBB240_1097:
	s_or_b32 exec_lo, exec_lo, s15
.LBB240_1098:
	s_delay_alu instid0(SALU_CYCLE_1)
	s_or_b32 exec_lo, exec_lo, s13
	s_mov_b32 s13, 0
	global_store_b8 v[0:1], v9, off
.LBB240_1099:
	s_and_b32 vcc_lo, exec_lo, s13
	s_cbranch_vccz .LBB240_1109
; %bb.1100:
	v_cvt_f32_f16_e32 v6, v4
	s_mov_b32 s13, exec_lo
                                        ; implicit-def: $vgpr8
	s_delay_alu instid0(VALU_DEP_1) | instskip(NEXT) | instid1(VALU_DEP_1)
	v_and_b32_e32 v9, 0x7fffffff, v6
	v_cmpx_gt_u32_e32 0x43f00000, v9
	s_xor_b32 s13, exec_lo, s13
	s_cbranch_execz .LBB240_1106
; %bb.1101:
	s_mov_b32 s14, exec_lo
                                        ; implicit-def: $vgpr8
	v_cmpx_lt_u32_e32 0x3c7fffff, v9
	s_xor_b32 s14, exec_lo, s14
; %bb.1102:
	v_bfe_u32 v8, v6, 20, 1
	s_delay_alu instid0(VALU_DEP_1) | instskip(NEXT) | instid1(VALU_DEP_1)
	v_add3_u32 v8, v6, v8, 0x407ffff
	v_and_b32_e32 v9, 0xff00000, v8
	v_lshrrev_b32_e32 v8, 20, v8
	s_delay_alu instid0(VALU_DEP_2) | instskip(NEXT) | instid1(VALU_DEP_2)
	v_cmp_ne_u32_e32 vcc_lo, 0x7f00000, v9
	v_cndmask_b32_e32 v8, 0x7e, v8, vcc_lo
; %bb.1103:
	s_and_not1_saveexec_b32 s14, s14
; %bb.1104:
	v_add_f32_e64 v8, 0x46800000, |v6|
; %bb.1105:
	s_or_b32 exec_lo, exec_lo, s14
                                        ; implicit-def: $vgpr9
.LBB240_1106:
	s_and_not1_saveexec_b32 s13, s13
; %bb.1107:
	v_mov_b32_e32 v8, 0x7f
	v_cmp_lt_u32_e32 vcc_lo, 0x7f800000, v9
	s_delay_alu instid0(VALU_DEP_2)
	v_cndmask_b32_e32 v8, 0x7e, v8, vcc_lo
; %bb.1108:
	s_or_b32 exec_lo, exec_lo, s13
	v_lshrrev_b32_e32 v6, 24, v6
	s_delay_alu instid0(VALU_DEP_1)
	v_and_or_b32 v6, 0x80, v6, v8
	global_store_b8 v[0:1], v6, off
.LBB240_1109:
	s_mov_b32 s13, 0
.LBB240_1110:
	s_delay_alu instid0(SALU_CYCLE_1)
	s_and_not1_b32 vcc_lo, exec_lo, s13
	s_cbranch_vccnz .LBB240_1120
; %bb.1111:
	v_cvt_f32_f16_e32 v6, v4
	s_mov_b32 s13, exec_lo
                                        ; implicit-def: $vgpr8
	s_delay_alu instid0(VALU_DEP_1) | instskip(NEXT) | instid1(VALU_DEP_1)
	v_and_b32_e32 v9, 0x7fffffff, v6
	v_cmpx_gt_u32_e32 0x47800000, v9
	s_xor_b32 s13, exec_lo, s13
	s_cbranch_execz .LBB240_1117
; %bb.1112:
	s_mov_b32 s14, exec_lo
                                        ; implicit-def: $vgpr8
	v_cmpx_lt_u32_e32 0x387fffff, v9
	s_xor_b32 s14, exec_lo, s14
; %bb.1113:
	v_bfe_u32 v8, v6, 21, 1
	s_delay_alu instid0(VALU_DEP_1) | instskip(NEXT) | instid1(VALU_DEP_1)
	v_add3_u32 v8, v6, v8, 0x80fffff
	v_lshrrev_b32_e32 v8, 21, v8
; %bb.1114:
	s_and_not1_saveexec_b32 s14, s14
; %bb.1115:
	v_add_f32_e64 v8, 0x43000000, |v6|
; %bb.1116:
	s_or_b32 exec_lo, exec_lo, s14
                                        ; implicit-def: $vgpr9
.LBB240_1117:
	s_and_not1_saveexec_b32 s13, s13
; %bb.1118:
	v_mov_b32_e32 v8, 0x7f
	v_cmp_lt_u32_e32 vcc_lo, 0x7f800000, v9
	s_delay_alu instid0(VALU_DEP_2)
	v_cndmask_b32_e32 v8, 0x7c, v8, vcc_lo
; %bb.1119:
	s_or_b32 exec_lo, exec_lo, s13
	v_lshrrev_b32_e32 v6, 24, v6
	s_delay_alu instid0(VALU_DEP_1)
	v_and_or_b32 v6, 0x80, v6, v8
	global_store_b8 v[0:1], v6, off
.LBB240_1120:
	s_mov_b32 s13, 0
.LBB240_1121:
	s_delay_alu instid0(SALU_CYCLE_1)
	s_and_not1_b32 vcc_lo, exec_lo, s13
	s_mov_b32 s13, 0
	s_cbranch_vccnz .LBB240_1129
; %bb.1122:
	v_cmp_lt_i16_e32 vcc_lo, 14, v5
	s_mov_b32 s13, -1
	s_cbranch_vccz .LBB240_1126
; %bb.1123:
	v_cmp_eq_u16_e32 vcc_lo, 15, v5
	s_mov_b32 s0, -1
	s_cbranch_vccz .LBB240_1125
; %bb.1124:
	v_cvt_f32_f16_e32 v6, v4
	v_cmp_o_f16_e32 vcc_lo, v4, v4
	s_mov_b32 s0, 0
	s_delay_alu instid0(VALU_DEP_2) | instskip(NEXT) | instid1(VALU_DEP_1)
	v_bfe_u32 v8, v6, 16, 1
	v_add3_u32 v6, v6, v8, 0x7fff
	s_delay_alu instid0(VALU_DEP_1) | instskip(NEXT) | instid1(VALU_DEP_1)
	v_lshrrev_b32_e32 v6, 16, v6
	v_cndmask_b32_e32 v6, 0x7fc0, v6, vcc_lo
	global_store_b16 v[0:1], v6, off
.LBB240_1125:
	s_mov_b32 s13, 0
.LBB240_1126:
	s_delay_alu instid0(SALU_CYCLE_1)
	s_and_b32 vcc_lo, exec_lo, s13
	s_mov_b32 s13, 0
	s_cbranch_vccz .LBB240_1129
; %bb.1127:
	v_cmp_ne_u16_e32 vcc_lo, 11, v5
	s_and_not1_b32 s0, s0, exec_lo
	s_mov_b32 s13, -1
	s_and_b32 s14, vcc_lo, exec_lo
	s_delay_alu instid0(SALU_CYCLE_1)
	s_or_b32 s0, s0, s14
	s_branch .LBB240_1129
.LBB240_1128:
	s_mov_b32 s13, 0
.LBB240_1129:
	v_or_b32_e32 v9, v2, v3
	s_and_not1_b32 s10, s10, exec_lo
	s_and_b32 s0, s0, exec_lo
	s_and_b32 s1, s1, exec_lo
	;; [unrolled: 1-line block ×3, first 2 shown]
	s_or_b32 s10, s10, s0
.LBB240_1130:
	s_or_b32 exec_lo, exec_lo, s12
	s_and_saveexec_b32 s0, s10
	s_cbranch_execnz .LBB240_1193
; %bb.1131:
	s_or_b32 exec_lo, exec_lo, s0
	s_and_saveexec_b32 s0, s13
	s_delay_alu instid0(SALU_CYCLE_1)
	s_xor_b32 s0, exec_lo, s0
	s_cbranch_execz .LBB240_1133
.LBB240_1132:
	v_and_b32_e32 v2, 0x7fff7fff, v9
	s_delay_alu instid0(VALU_DEP_1)
	v_cmp_ne_u32_e32 vcc_lo, 0, v2
	v_cndmask_b32_e64 v2, 0, 1, vcc_lo
	global_store_b8 v[0:1], v2, off
.LBB240_1133:
	s_or_b32 exec_lo, exec_lo, s0
	s_and_saveexec_b32 s0, s1
	s_delay_alu instid0(SALU_CYCLE_1)
	s_xor_b32 s0, exec_lo, s0
	s_cbranch_execz .LBB240_1171
; %bb.1134:
	s_waitcnt vmcnt(0)
	v_cmp_gt_i16_e32 vcc_lo, 5, v5
	s_mov_b32 s1, -1
	s_cbranch_vccnz .LBB240_1155
; %bb.1135:
	v_cmp_gt_i16_e32 vcc_lo, 8, v5
	s_cbranch_vccnz .LBB240_1145
; %bb.1136:
	v_cmp_gt_i16_e32 vcc_lo, 9, v5
	s_cbranch_vccnz .LBB240_1142
; %bb.1137:
	v_cmp_lt_i16_e32 vcc_lo, 9, v5
	s_cbranch_vccz .LBB240_1139
; %bb.1138:
	v_cvt_f32_f16_e32 v2, v4
	v_cvt_f32_f16_e32 v3, v7
	s_mov_b32 s1, 0
	s_delay_alu instid0(VALU_DEP_2) | instskip(NEXT) | instid1(VALU_DEP_2)
	v_cvt_f64_f32_e32 v[10:11], v2
	v_cvt_f64_f32_e32 v[12:13], v3
	global_store_b128 v[0:1], v[10:13], off
.LBB240_1139:
	s_and_not1_b32 vcc_lo, exec_lo, s1
	s_cbranch_vccnz .LBB240_1141
; %bb.1140:
	v_cvt_f32_f16_e32 v2, v4
	v_cvt_f32_f16_e32 v3, v7
	global_store_b64 v[0:1], v[2:3], off
.LBB240_1141:
	s_mov_b32 s1, 0
.LBB240_1142:
	s_delay_alu instid0(SALU_CYCLE_1)
	s_and_not1_b32 vcc_lo, exec_lo, s1
	s_cbranch_vccnz .LBB240_1144
; %bb.1143:
	global_store_b32 v[0:1], v9, off
.LBB240_1144:
	s_mov_b32 s1, 0
.LBB240_1145:
	s_delay_alu instid0(SALU_CYCLE_1)
	s_and_not1_b32 vcc_lo, exec_lo, s1
	s_cbranch_vccnz .LBB240_1154
; %bb.1146:
	v_cmp_gt_i16_e32 vcc_lo, 6, v5
	s_mov_b32 s1, -1
	s_cbranch_vccnz .LBB240_1152
; %bb.1147:
	v_cmp_lt_i16_e32 vcc_lo, 6, v5
	s_cbranch_vccz .LBB240_1149
; %bb.1148:
	v_cvt_f32_f16_e32 v2, v4
	s_mov_b32 s1, 0
	s_delay_alu instid0(VALU_DEP_1)
	v_cvt_f64_f32_e32 v[2:3], v2
	global_store_b64 v[0:1], v[2:3], off
.LBB240_1149:
	s_and_not1_b32 vcc_lo, exec_lo, s1
	s_cbranch_vccnz .LBB240_1151
; %bb.1150:
	v_cvt_f32_f16_e32 v2, v4
	global_store_b32 v[0:1], v2, off
.LBB240_1151:
	s_mov_b32 s1, 0
.LBB240_1152:
	s_delay_alu instid0(SALU_CYCLE_1)
	s_and_not1_b32 vcc_lo, exec_lo, s1
	s_cbranch_vccnz .LBB240_1154
; %bb.1153:
	global_store_b16 v[0:1], v4, off
.LBB240_1154:
	s_mov_b32 s1, 0
.LBB240_1155:
	s_delay_alu instid0(SALU_CYCLE_1)
	s_and_not1_b32 vcc_lo, exec_lo, s1
	s_cbranch_vccnz .LBB240_1171
; %bb.1156:
	v_cmp_gt_i16_e32 vcc_lo, 2, v5
	s_mov_b32 s1, -1
	s_cbranch_vccnz .LBB240_1166
; %bb.1157:
	v_cmp_gt_i16_e32 vcc_lo, 3, v5
	s_cbranch_vccnz .LBB240_1163
; %bb.1158:
	v_cmp_lt_i16_e32 vcc_lo, 3, v5
	s_cbranch_vccz .LBB240_1160
; %bb.1159:
	v_cvt_f32_f16_e32 v2, v4
	s_mov_b32 s1, 0
	s_delay_alu instid0(VALU_DEP_1) | instskip(NEXT) | instid1(VALU_DEP_1)
	v_cvt_i32_f32_e32 v2, v2
	v_ashrrev_i32_e32 v3, 31, v2
	global_store_b64 v[0:1], v[2:3], off
.LBB240_1160:
	s_and_not1_b32 vcc_lo, exec_lo, s1
	s_cbranch_vccnz .LBB240_1162
; %bb.1161:
	v_cvt_f32_f16_e32 v2, v4
	s_delay_alu instid0(VALU_DEP_1)
	v_cvt_i32_f32_e32 v2, v2
	global_store_b32 v[0:1], v2, off
.LBB240_1162:
	s_mov_b32 s1, 0
.LBB240_1163:
	s_delay_alu instid0(SALU_CYCLE_1)
	s_and_not1_b32 vcc_lo, exec_lo, s1
	s_cbranch_vccnz .LBB240_1165
; %bb.1164:
	v_cvt_i16_f16_e32 v2, v4
	global_store_b16 v[0:1], v2, off
.LBB240_1165:
	s_mov_b32 s1, 0
.LBB240_1166:
	s_delay_alu instid0(SALU_CYCLE_1)
	s_and_not1_b32 vcc_lo, exec_lo, s1
	s_cbranch_vccnz .LBB240_1171
; %bb.1167:
	v_cmp_lt_i16_e32 vcc_lo, 0, v5
	s_mov_b32 s1, -1
	s_cbranch_vccz .LBB240_1169
; %bb.1168:
	v_cvt_i16_f16_e32 v2, v4
	s_mov_b32 s1, 0
	global_store_b8 v[0:1], v2, off
.LBB240_1169:
	s_and_not1_b32 vcc_lo, exec_lo, s1
	s_cbranch_vccnz .LBB240_1171
; %bb.1170:
	v_cvt_f32_f16_e32 v2, v4
	s_delay_alu instid0(VALU_DEP_1)
	v_cvt_i32_f32_e32 v2, v2
	global_store_b8 v[0:1], v2, off
.LBB240_1171:
	s_or_b32 exec_lo, exec_lo, s0
	s_delay_alu instid0(SALU_CYCLE_1)
	s_and_b32 s10, s11, exec_lo
                                        ; implicit-def: $vgpr3
                                        ; implicit-def: $vgpr4
                                        ; implicit-def: $vgpr2
.LBB240_1172:
	s_or_saveexec_b32 s9, s9
	s_mov_b32 s0, 0
                                        ; implicit-def: $vgpr5
                                        ; implicit-def: $vgpr0_vgpr1
                                        ; implicit-def: $vgpr8
                                        ; implicit-def: $vgpr7
                                        ; implicit-def: $vgpr6
	s_xor_b32 exec_lo, exec_lo, s9
	s_cbranch_execz .LBB240_2277
; %bb.1173:
	v_mul_lo_u32 v7, s3, v3
	v_cmp_gt_i16_e32 vcc_lo, 11, v4
	s_delay_alu instid0(VALU_DEP_2) | instskip(SKIP_1) | instid1(VALU_DEP_1)
	v_ashrrev_i32_e32 v1, 31, v7
	v_add_co_u32 v0, s0, s6, v7
	v_add_co_ci_u32_e64 v1, s0, s7, v1, s0
	s_cbranch_vccnz .LBB240_1180
; %bb.1174:
	v_cmp_lt_i16_e32 vcc_lo, 25, v4
	s_mov_b32 s1, 0
	s_cbranch_vccz .LBB240_1186
; %bb.1175:
	v_cmp_lt_i16_e32 vcc_lo, 28, v4
	s_cbranch_vccz .LBB240_1189
; %bb.1176:
	v_cmp_lt_i16_e32 vcc_lo, 43, v4
	;; [unrolled: 3-line block ×3, first 2 shown]
	s_cbranch_vccz .LBB240_1195
; %bb.1178:
	v_cmp_eq_u16_e32 vcc_lo, 46, v4
	s_cbranch_vccz .LBB240_1236
; %bb.1179:
	global_load_b32 v5, v[0:1], off
	s_mov_b32 s0, 0
	s_mov_b32 s11, -1
	s_waitcnt vmcnt(0)
	v_lshlrev_b32_e32 v6, 16, v5
	v_and_b32_e32 v5, 0xffff0000, v5
	s_delay_alu instid0(VALU_DEP_2) | instskip(NEXT) | instid1(VALU_DEP_2)
	v_cvt_f16_f32_e32 v8, v6
	v_cvt_f16_f32_e32 v5, v5
	s_branch .LBB240_1238
.LBB240_1180:
	s_mov_b32 s11, 0
	s_mov_b32 s8, s10
                                        ; implicit-def: $vgpr5
                                        ; implicit-def: $vgpr8
	s_cbranch_execz .LBB240_1304
; %bb.1181:
	v_cmp_gt_i16_e32 vcc_lo, 5, v4
	s_cbranch_vccnz .LBB240_1187
; %bb.1182:
	v_cmp_gt_i16_e32 vcc_lo, 8, v4
	s_cbranch_vccnz .LBB240_1190
	;; [unrolled: 3-line block ×3, first 2 shown]
; %bb.1184:
	v_cmp_lt_i16_e32 vcc_lo, 9, v4
	s_cbranch_vccz .LBB240_1196
; %bb.1185:
	global_load_b128 v[8:11], v[0:1], off
	s_mov_b32 s0, 0
	s_waitcnt vmcnt(0)
	v_cvt_f32_f64_e32 v5, v[8:9]
	v_cvt_f32_f64_e32 v6, v[10:11]
	s_delay_alu instid0(VALU_DEP_2) | instskip(NEXT) | instid1(VALU_DEP_2)
	v_cvt_f16_f32_e32 v8, v5
	v_cvt_f16_f32_e32 v5, v6
	s_branch .LBB240_1197
.LBB240_1186:
	s_mov_b32 s11, 0
	s_mov_b32 s0, 0
                                        ; implicit-def: $vgpr5
                                        ; implicit-def: $vgpr8
	s_cbranch_execnz .LBB240_1270
	s_branch .LBB240_1300
.LBB240_1187:
                                        ; implicit-def: $vgpr5
                                        ; implicit-def: $vgpr8
	s_branch .LBB240_1215
.LBB240_1188:
	s_branch .LBB240_1305
.LBB240_1189:
	s_mov_b32 s11, 0
	s_mov_b32 s0, 0
                                        ; implicit-def: $vgpr5
                                        ; implicit-def: $vgpr8
	s_cbranch_execnz .LBB240_1250
	s_branch .LBB240_1269
.LBB240_1190:
                                        ; implicit-def: $vgpr5
                                        ; implicit-def: $vgpr8
	s_branch .LBB240_1203
.LBB240_1191:
	s_mov_b32 s8, -1
	s_mov_b32 s11, 0
	s_mov_b32 s0, 0
                                        ; implicit-def: $vgpr5
                                        ; implicit-def: $vgpr8
	s_branch .LBB240_1244
.LBB240_1192:
	s_mov_b32 s0, -1
                                        ; implicit-def: $vgpr5
                                        ; implicit-def: $vgpr8
	s_branch .LBB240_1200
.LBB240_1193:
	s_cbranch_execnz .LBB240_1234
; %bb.1194:
	s_or_b32 s11, s11, exec_lo
	s_and_not1_b32 s13, s13, exec_lo
	s_or_b32 exec_lo, exec_lo, s0
	s_and_saveexec_b32 s0, s13
	s_delay_alu instid0(SALU_CYCLE_1)
	s_xor_b32 s0, exec_lo, s0
	s_cbranch_execnz .LBB240_1132
	s_branch .LBB240_1133
.LBB240_1195:
	s_mov_b32 s8, -1
	s_mov_b32 s11, 0
	s_mov_b32 s0, 0
	s_branch .LBB240_1237
.LBB240_1196:
	s_mov_b32 s0, -1
                                        ; implicit-def: $vgpr5
                                        ; implicit-def: $vgpr8
.LBB240_1197:
	s_delay_alu instid0(SALU_CYCLE_1)
	s_and_not1_b32 vcc_lo, exec_lo, s0
	s_cbranch_vccnz .LBB240_1199
; %bb.1198:
	global_load_b64 v[5:6], v[0:1], off
	s_waitcnt vmcnt(0)
	v_cvt_f16_f32_e32 v8, v5
	v_cvt_f16_f32_e32 v5, v6
.LBB240_1199:
	s_mov_b32 s0, 0
.LBB240_1200:
	s_delay_alu instid0(SALU_CYCLE_1)
	s_and_not1_b32 vcc_lo, exec_lo, s0
	s_cbranch_vccnz .LBB240_1202
; %bb.1201:
	global_load_b32 v8, v[0:1], off
	s_waitcnt vmcnt(0)
	v_lshrrev_b32_e32 v5, 16, v8
.LBB240_1202:
	s_cbranch_execnz .LBB240_1214
.LBB240_1203:
	v_cmp_gt_i16_e32 vcc_lo, 6, v4
	s_cbranch_vccnz .LBB240_1206
; %bb.1204:
	v_cmp_lt_i16_e32 vcc_lo, 6, v4
	s_cbranch_vccz .LBB240_1207
; %bb.1205:
	global_load_b64 v[5:6], v[0:1], off
	s_mov_b32 s1, 0
	s_mov_b32 s0, 0
	s_waitcnt vmcnt(0)
	v_cvt_f32_f64_e32 v5, v[5:6]
	s_delay_alu instid0(VALU_DEP_1)
	v_cvt_f16_f32_e32 v8, v5
	s_branch .LBB240_1208
.LBB240_1206:
	s_mov_b32 s1, -1
                                        ; implicit-def: $sgpr0
                                        ; implicit-def: $vgpr8
	s_branch .LBB240_1211
.LBB240_1207:
	s_mov_b32 s1, -1
                                        ; implicit-def: $sgpr0
                                        ; implicit-def: $vgpr8
.LBB240_1208:
	s_delay_alu instid0(SALU_CYCLE_1)
	s_and_not1_b32 vcc_lo, exec_lo, s1
	s_cbranch_vccnz .LBB240_1210
; %bb.1209:
	global_load_b32 v5, v[0:1], off
	s_mov_b32 s0, 0
	s_waitcnt vmcnt(0)
	v_cvt_f16_f32_e32 v8, v5
.LBB240_1210:
	s_mov_b32 s1, 0
.LBB240_1211:
	s_delay_alu instid0(SALU_CYCLE_1)
	s_and_not1_b32 vcc_lo, exec_lo, s1
	s_cbranch_vccnz .LBB240_1213
; %bb.1212:
	global_load_u16 v8, v[0:1], off
	s_mov_b32 s0, 0
.LBB240_1213:
	s_waitcnt vmcnt(0)
	v_mov_b32_e32 v5, s0
.LBB240_1214:
	s_cbranch_execnz .LBB240_1188
.LBB240_1215:
	v_cmp_gt_i16_e32 vcc_lo, 2, v4
	s_cbranch_vccnz .LBB240_1219
; %bb.1216:
	v_cmp_gt_i16_e32 vcc_lo, 3, v4
	s_cbranch_vccnz .LBB240_1220
; %bb.1217:
	v_cmp_lt_i16_e32 vcc_lo, 3, v4
	s_cbranch_vccz .LBB240_1221
; %bb.1218:
	global_load_b64 v[5:6], v[0:1], off
	s_mov_b32 s1, 0
	s_mov_b32 s0, 0
	s_waitcnt vmcnt(0)
	v_xor_b32_e32 v8, v5, v6
	v_cls_i32_e32 v9, v6
	s_delay_alu instid0(VALU_DEP_2) | instskip(NEXT) | instid1(VALU_DEP_2)
	v_ashrrev_i32_e32 v8, 31, v8
	v_add_nc_u32_e32 v9, -1, v9
	s_delay_alu instid0(VALU_DEP_2) | instskip(NEXT) | instid1(VALU_DEP_1)
	v_add_nc_u32_e32 v8, 32, v8
	v_min_u32_e32 v8, v9, v8
	s_delay_alu instid0(VALU_DEP_1) | instskip(NEXT) | instid1(VALU_DEP_1)
	v_lshlrev_b64 v[5:6], v8, v[5:6]
	v_min_u32_e32 v5, 1, v5
	s_delay_alu instid0(VALU_DEP_1) | instskip(SKIP_1) | instid1(VALU_DEP_2)
	v_or_b32_e32 v5, v6, v5
	v_sub_nc_u32_e32 v6, 32, v8
	v_cvt_f32_i32_e32 v5, v5
	s_delay_alu instid0(VALU_DEP_1) | instskip(NEXT) | instid1(VALU_DEP_1)
	v_ldexp_f32 v5, v5, v6
	v_cvt_f16_f32_e32 v8, v5
	s_branch .LBB240_1222
.LBB240_1219:
                                        ; implicit-def: $sgpr0
                                        ; implicit-def: $vgpr8
	s_branch .LBB240_1228
.LBB240_1220:
	s_mov_b32 s1, -1
                                        ; implicit-def: $sgpr0
                                        ; implicit-def: $vgpr8
	s_branch .LBB240_1225
.LBB240_1221:
	s_mov_b32 s1, -1
                                        ; implicit-def: $sgpr0
                                        ; implicit-def: $vgpr8
.LBB240_1222:
	s_delay_alu instid0(SALU_CYCLE_1)
	s_and_not1_b32 vcc_lo, exec_lo, s1
	s_cbranch_vccnz .LBB240_1224
; %bb.1223:
	global_load_b32 v5, v[0:1], off
	s_mov_b32 s0, 0
	s_waitcnt vmcnt(0)
	v_cvt_f32_i32_e32 v5, v5
	s_delay_alu instid0(VALU_DEP_1)
	v_cvt_f16_f32_e32 v8, v5
.LBB240_1224:
	s_mov_b32 s1, 0
.LBB240_1225:
	s_delay_alu instid0(SALU_CYCLE_1)
	s_and_not1_b32 vcc_lo, exec_lo, s1
	s_cbranch_vccnz .LBB240_1227
; %bb.1226:
	global_load_u16 v5, v[0:1], off
	s_mov_b32 s0, 0
	s_waitcnt vmcnt(0)
	v_cvt_f16_i16_e32 v8, v5
.LBB240_1227:
	s_cbranch_execnz .LBB240_1233
.LBB240_1228:
	v_cmp_lt_i16_e32 vcc_lo, 0, v4
	s_mov_b32 s1, 0
	s_cbranch_vccz .LBB240_1230
; %bb.1229:
	global_load_i8 v5, v[0:1], off
	s_mov_b32 s0, 0
	s_waitcnt vmcnt(0)
	v_cvt_f16_i16_e32 v8, v5
	s_branch .LBB240_1231
.LBB240_1230:
	s_mov_b32 s1, -1
                                        ; implicit-def: $sgpr0
                                        ; implicit-def: $vgpr8
.LBB240_1231:
	s_delay_alu instid0(SALU_CYCLE_1)
	s_and_not1_b32 vcc_lo, exec_lo, s1
	s_cbranch_vccnz .LBB240_1233
; %bb.1232:
	global_load_u8 v0, v[0:1], off
	s_mov_b32 s0, 0
	s_waitcnt vmcnt(0)
	v_cvt_f16_u16_e32 v8, v0
.LBB240_1233:
	s_waitcnt vmcnt(0)
	v_mov_b32_e32 v5, s0
	s_branch .LBB240_1305
.LBB240_1234:
	s_trap 2
	s_sendmsg_rtn_b32 s0, sendmsg(MSG_RTN_GET_DOORBELL)
	s_mov_b32 ttmp2, m0
	s_waitcnt lgkmcnt(0)
	s_and_b32 s0, s0, 0x3ff
	s_delay_alu instid0(SALU_CYCLE_1) | instskip(NEXT) | instid1(SALU_CYCLE_1)
	s_bitset1_b32 s0, 10
	s_mov_b32 m0, s0
	s_sendmsg sendmsg(MSG_INTERRUPT)
	s_mov_b32 m0, ttmp2
.LBB240_1235:                           ; =>This Inner Loop Header: Depth=1
	s_sethalt 5
	s_branch .LBB240_1235
.LBB240_1236:
	s_mov_b32 s0, -1
	s_mov_b32 s11, 0
.LBB240_1237:
                                        ; implicit-def: $vgpr5
                                        ; implicit-def: $vgpr8
.LBB240_1238:
	s_and_b32 vcc_lo, exec_lo, s8
	s_cbranch_vccz .LBB240_1243
; %bb.1239:
	v_cmp_eq_u16_e32 vcc_lo, 44, v4
	s_cbranch_vccz .LBB240_1241
; %bb.1240:
	global_load_u8 v5, v[0:1], off
	s_mov_b32 s0, 0
	s_mov_b32 s11, -1
	s_waitcnt vmcnt(0)
	v_lshlrev_b32_e32 v6, 23, v5
	v_cmp_ne_u32_e32 vcc_lo, 0xff, v5
	s_delay_alu instid0(VALU_DEP_2) | instskip(NEXT) | instid1(VALU_DEP_1)
	v_cvt_f16_f32_e32 v6, v6
	v_cndmask_b32_e32 v6, 0x7e00, v6, vcc_lo
	v_cmp_ne_u32_e32 vcc_lo, 0, v5
	s_delay_alu instid0(VALU_DEP_2)
	v_cndmask_b32_e32 v8, 0, v6, vcc_lo
	s_branch .LBB240_1242
.LBB240_1241:
	s_mov_b32 s0, -1
                                        ; implicit-def: $vgpr8
.LBB240_1242:
	s_waitcnt vmcnt(0)
	v_mov_b32_e32 v5, s0
.LBB240_1243:
	s_mov_b32 s8, 0
.LBB240_1244:
	s_delay_alu instid0(SALU_CYCLE_1)
	s_and_b32 vcc_lo, exec_lo, s8
	s_cbranch_vccz .LBB240_1249
; %bb.1245:
	v_cmp_eq_u16_e32 vcc_lo, 29, v4
	s_cbranch_vccz .LBB240_1247
; %bb.1246:
	global_load_b64 v[5:6], v[0:1], off
	s_mov_b32 s0, 0
	s_mov_b32 s11, -1
	s_mov_b32 s8, 0
	s_waitcnt vmcnt(0)
	v_clz_i32_u32_e32 v8, v6
	s_delay_alu instid0(VALU_DEP_1) | instskip(NEXT) | instid1(VALU_DEP_1)
	v_min_u32_e32 v8, 32, v8
	v_lshlrev_b64 v[5:6], v8, v[5:6]
	s_delay_alu instid0(VALU_DEP_1) | instskip(NEXT) | instid1(VALU_DEP_1)
	v_min_u32_e32 v5, 1, v5
	v_or_b32_e32 v5, v6, v5
	v_sub_nc_u32_e32 v6, 32, v8
	s_delay_alu instid0(VALU_DEP_2) | instskip(NEXT) | instid1(VALU_DEP_1)
	v_cvt_f32_u32_e32 v5, v5
	v_ldexp_f32 v5, v5, v6
	s_delay_alu instid0(VALU_DEP_1)
	v_cvt_f16_f32_e32 v8, v5
	s_branch .LBB240_1248
.LBB240_1247:
	s_mov_b32 s0, -1
                                        ; implicit-def: $sgpr8
                                        ; implicit-def: $vgpr8
.LBB240_1248:
	s_waitcnt vmcnt(0)
	v_mov_b32_e32 v5, s8
.LBB240_1249:
	s_branch .LBB240_1269
.LBB240_1250:
	v_cmp_gt_i16_e32 vcc_lo, 27, v4
	s_cbranch_vccnz .LBB240_1253
; %bb.1251:
	v_cmp_lt_i16_e32 vcc_lo, 27, v4
	s_cbranch_vccz .LBB240_1254
; %bb.1252:
	global_load_b32 v5, v[0:1], off
	s_mov_b32 s11, 0
	s_mov_b32 s8, 0
	s_waitcnt vmcnt(0)
	v_cvt_f32_u32_e32 v5, v5
	s_delay_alu instid0(VALU_DEP_1)
	v_cvt_f16_f32_e32 v8, v5
	s_branch .LBB240_1255
.LBB240_1253:
	s_mov_b32 s11, -1
                                        ; implicit-def: $sgpr8
                                        ; implicit-def: $vgpr8
	s_branch .LBB240_1258
.LBB240_1254:
	s_mov_b32 s11, -1
                                        ; implicit-def: $sgpr8
                                        ; implicit-def: $vgpr8
.LBB240_1255:
	s_delay_alu instid0(SALU_CYCLE_1)
	s_and_not1_b32 vcc_lo, exec_lo, s11
	s_cbranch_vccnz .LBB240_1257
; %bb.1256:
	global_load_u16 v5, v[0:1], off
	s_mov_b32 s8, 0
	s_waitcnt vmcnt(0)
	v_cvt_f16_u16_e32 v8, v5
.LBB240_1257:
	s_mov_b32 s11, 0
.LBB240_1258:
	s_waitcnt vmcnt(0)
	v_mov_b32_e32 v5, s8
	s_and_not1_b32 vcc_lo, exec_lo, s11
	s_cbranch_vccnz .LBB240_1268
; %bb.1259:
	global_load_u8 v6, v[0:1], off
	s_mov_b32 s8, 0
	s_mov_b32 s13, exec_lo
                                        ; implicit-def: $sgpr12
                                        ; implicit-def: $sgpr11
	s_waitcnt vmcnt(0)
	v_cmpx_lt_i16_e32 0x7f, v6
	s_xor_b32 s13, exec_lo, s13
	s_cbranch_execz .LBB240_1263
; %bb.1260:
	s_mov_b32 s8, -1
	s_mov_b32 s14, exec_lo
                                        ; implicit-def: $sgpr12
                                        ; implicit-def: $sgpr11
	v_cmpx_eq_u16_e32 0x80, v6
; %bb.1261:
	s_movk_i32 s11, 0x7e00
	s_mov_b32 s12, 0
	s_xor_b32 s8, exec_lo, -1
; %bb.1262:
	s_or_b32 exec_lo, exec_lo, s14
	s_delay_alu instid0(SALU_CYCLE_1)
	s_and_b32 s8, s8, exec_lo
.LBB240_1263:
	s_or_saveexec_b32 s13, s13
	v_dual_mov_b32 v5, s12 :: v_dual_mov_b32 v8, s11
	s_xor_b32 exec_lo, exec_lo, s13
; %bb.1264:
	v_cmp_ne_u16_e32 vcc_lo, 0, v6
	v_dual_mov_b32 v5, 0 :: v_dual_mov_b32 v8, v6
	s_and_not1_b32 s8, s8, exec_lo
	s_and_b32 s11, vcc_lo, exec_lo
	s_delay_alu instid0(SALU_CYCLE_1)
	s_or_b32 s8, s8, s11
; %bb.1265:
	s_or_b32 exec_lo, exec_lo, s13
	s_and_saveexec_b32 s11, s8
	s_cbranch_execz .LBB240_1267
; %bb.1266:
	v_and_b32_e32 v5, 0xffff, v6
	v_lshlrev_b32_e32 v6, 24, v6
	s_delay_alu instid0(VALU_DEP_2) | instskip(NEXT) | instid1(VALU_DEP_2)
	v_and_b32_e32 v8, 7, v5
	v_and_b32_e32 v6, 0x80000000, v6
	s_delay_alu instid0(VALU_DEP_2) | instskip(NEXT) | instid1(VALU_DEP_1)
	v_clz_i32_u32_e32 v9, v8
	v_min_u32_e32 v9, 32, v9
	s_delay_alu instid0(VALU_DEP_1) | instskip(SKIP_1) | instid1(VALU_DEP_2)
	v_subrev_nc_u32_e32 v10, 28, v9
	v_sub_nc_u32_e32 v9, 29, v9
	v_lshlrev_b32_e32 v10, v10, v5
	v_bfe_u32 v5, v5, 3, 4
	s_delay_alu instid0(VALU_DEP_1) | instskip(NEXT) | instid1(VALU_DEP_3)
	v_cmp_eq_u32_e32 vcc_lo, 0, v5
	v_dual_cndmask_b32 v5, v5, v9 :: v_dual_and_b32 v10, 7, v10
	s_delay_alu instid0(VALU_DEP_1) | instskip(NEXT) | instid1(VALU_DEP_2)
	v_cndmask_b32_e32 v8, v8, v10, vcc_lo
	v_lshl_add_u32 v5, v5, 23, 0x3b800000
	s_delay_alu instid0(VALU_DEP_2) | instskip(NEXT) | instid1(VALU_DEP_1)
	v_lshlrev_b32_e32 v8, 20, v8
	v_or3_b32 v5, v6, v5, v8
	s_delay_alu instid0(VALU_DEP_1)
	v_cvt_f16_f32_e32 v8, v5
	v_mov_b32_e32 v5, 0
.LBB240_1267:
	s_or_b32 exec_lo, exec_lo, s11
.LBB240_1268:
	s_mov_b32 s11, -1
.LBB240_1269:
	s_branch .LBB240_1300
.LBB240_1270:
	v_cmp_lt_i16_e32 vcc_lo, 22, v4
	s_cbranch_vccz .LBB240_1282
; %bb.1271:
	v_cmp_gt_i16_e32 vcc_lo, 24, v4
	s_cbranch_vccnz .LBB240_1283
; %bb.1272:
	v_cmp_lt_i16_e32 vcc_lo, 24, v4
	s_cbranch_vccz .LBB240_1284
; %bb.1273:
	global_load_u8 v6, v[0:1], off
	s_mov_b32 s12, exec_lo
                                        ; implicit-def: $sgpr11
                                        ; implicit-def: $sgpr8
	s_waitcnt vmcnt(0)
	v_cmpx_lt_i16_e32 0x7f, v6
	s_xor_b32 s12, exec_lo, s12
	s_cbranch_execz .LBB240_1277
; %bb.1274:
	s_mov_b32 s1, -1
	s_mov_b32 s13, exec_lo
                                        ; implicit-def: $sgpr11
                                        ; implicit-def: $sgpr8
	v_cmpx_eq_u16_e32 0x80, v6
; %bb.1275:
	s_movk_i32 s8, 0x7e00
	s_mov_b32 s11, 0
	s_xor_b32 s1, exec_lo, -1
; %bb.1276:
	s_or_b32 exec_lo, exec_lo, s13
	s_delay_alu instid0(SALU_CYCLE_1)
	s_and_b32 s1, s1, exec_lo
.LBB240_1277:
	s_or_saveexec_b32 s12, s12
	v_dual_mov_b32 v5, s11 :: v_dual_mov_b32 v8, s8
	s_xor_b32 exec_lo, exec_lo, s12
; %bb.1278:
	v_cmp_ne_u16_e32 vcc_lo, 0, v6
	v_dual_mov_b32 v5, 0 :: v_dual_mov_b32 v8, v6
	s_and_not1_b32 s1, s1, exec_lo
	s_and_b32 s8, vcc_lo, exec_lo
	s_delay_alu instid0(SALU_CYCLE_1)
	s_or_b32 s1, s1, s8
; %bb.1279:
	s_or_b32 exec_lo, exec_lo, s12
	s_and_saveexec_b32 s8, s1
	s_cbranch_execz .LBB240_1281
; %bb.1280:
	v_and_b32_e32 v5, 0xffff, v6
	v_lshlrev_b32_e32 v6, 24, v6
	s_delay_alu instid0(VALU_DEP_2) | instskip(NEXT) | instid1(VALU_DEP_2)
	v_and_b32_e32 v8, 3, v5
	v_and_b32_e32 v6, 0x80000000, v6
	s_delay_alu instid0(VALU_DEP_2) | instskip(NEXT) | instid1(VALU_DEP_1)
	v_clz_i32_u32_e32 v9, v8
	v_min_u32_e32 v9, 32, v9
	s_delay_alu instid0(VALU_DEP_1) | instskip(SKIP_1) | instid1(VALU_DEP_2)
	v_subrev_nc_u32_e32 v10, 29, v9
	v_sub_nc_u32_e32 v9, 30, v9
	v_lshlrev_b32_e32 v10, v10, v5
	v_bfe_u32 v5, v5, 2, 5
	s_delay_alu instid0(VALU_DEP_1) | instskip(NEXT) | instid1(VALU_DEP_3)
	v_cmp_eq_u32_e32 vcc_lo, 0, v5
	v_dual_cndmask_b32 v5, v5, v9 :: v_dual_and_b32 v10, 3, v10
	s_delay_alu instid0(VALU_DEP_1) | instskip(NEXT) | instid1(VALU_DEP_2)
	v_cndmask_b32_e32 v8, v8, v10, vcc_lo
	v_lshl_add_u32 v5, v5, 23, 0x37800000
	s_delay_alu instid0(VALU_DEP_2) | instskip(NEXT) | instid1(VALU_DEP_1)
	v_lshlrev_b32_e32 v8, 21, v8
	v_or3_b32 v5, v6, v5, v8
	s_delay_alu instid0(VALU_DEP_1)
	v_cvt_f16_f32_e32 v8, v5
	v_mov_b32_e32 v5, 0
.LBB240_1281:
	s_or_b32 exec_lo, exec_lo, s8
	s_mov_b32 s1, 0
	s_branch .LBB240_1285
.LBB240_1282:
                                        ; implicit-def: $vgpr5
                                        ; implicit-def: $vgpr8
	s_mov_b32 s1, 0
	s_branch .LBB240_1291
.LBB240_1283:
	s_mov_b32 s1, -1
                                        ; implicit-def: $vgpr5
                                        ; implicit-def: $vgpr8
	s_branch .LBB240_1288
.LBB240_1284:
	s_mov_b32 s1, -1
                                        ; implicit-def: $vgpr5
                                        ; implicit-def: $vgpr8
.LBB240_1285:
	s_delay_alu instid0(SALU_CYCLE_1)
	s_and_b32 vcc_lo, exec_lo, s1
	s_cbranch_vccz .LBB240_1287
; %bb.1286:
	global_load_u8 v5, v[0:1], off
	s_waitcnt vmcnt(0)
	v_lshlrev_b32_e32 v5, 24, v5
	s_delay_alu instid0(VALU_DEP_1) | instskip(NEXT) | instid1(VALU_DEP_1)
	v_and_b32_e32 v6, 0x7f000000, v5
	v_clz_i32_u32_e32 v8, v6
	v_add_nc_u32_e32 v10, 0x1000000, v6
	v_cmp_ne_u32_e32 vcc_lo, 0, v6
	s_delay_alu instid0(VALU_DEP_3) | instskip(NEXT) | instid1(VALU_DEP_1)
	v_min_u32_e32 v8, 32, v8
	v_sub_nc_u32_e64 v8, v8, 4 clamp
	s_delay_alu instid0(VALU_DEP_1) | instskip(SKIP_1) | instid1(VALU_DEP_2)
	v_lshlrev_b32_e32 v9, v8, v6
	v_lshlrev_b32_e32 v8, 23, v8
	v_lshrrev_b32_e32 v9, 4, v9
	s_delay_alu instid0(VALU_DEP_1) | instskip(SKIP_1) | instid1(VALU_DEP_2)
	v_sub_nc_u32_e32 v8, v9, v8
	v_ashrrev_i32_e32 v9, 8, v10
	v_add_nc_u32_e32 v8, 0x3c000000, v8
	s_delay_alu instid0(VALU_DEP_1) | instskip(NEXT) | instid1(VALU_DEP_1)
	v_and_or_b32 v8, 0x7f800000, v9, v8
	v_cndmask_b32_e32 v6, 0, v8, vcc_lo
	s_delay_alu instid0(VALU_DEP_1) | instskip(NEXT) | instid1(VALU_DEP_1)
	v_and_or_b32 v5, 0x80000000, v5, v6
	v_cvt_f16_f32_e32 v8, v5
	v_mov_b32_e32 v5, 0
.LBB240_1287:
	s_mov_b32 s1, 0
.LBB240_1288:
	s_delay_alu instid0(SALU_CYCLE_1)
	s_and_not1_b32 vcc_lo, exec_lo, s1
	s_cbranch_vccnz .LBB240_1290
; %bb.1289:
	global_load_u8 v5, v[0:1], off
	s_waitcnt vmcnt(0)
	v_lshlrev_b32_e32 v6, 25, v5
	v_lshlrev_b16 v5, 8, v5
	s_delay_alu instid0(VALU_DEP_2) | instskip(NEXT) | instid1(VALU_DEP_2)
	v_lshrrev_b32_e32 v8, 4, v6
	v_and_or_b32 v9, 0x7f00, v5, 0.5
	v_cmp_gt_u32_e32 vcc_lo, 0x8000000, v6
	v_bfe_i32 v5, v5, 0, 16
	s_delay_alu instid0(VALU_DEP_4) | instskip(NEXT) | instid1(VALU_DEP_1)
	v_or_b32_e32 v8, 0x70000000, v8
	v_dual_add_f32 v9, -0.5, v9 :: v_dual_mul_f32 v8, 0x7800000, v8
	s_delay_alu instid0(VALU_DEP_1) | instskip(NEXT) | instid1(VALU_DEP_1)
	v_cndmask_b32_e32 v6, v8, v9, vcc_lo
	v_and_or_b32 v5, 0x80000000, v5, v6
	s_delay_alu instid0(VALU_DEP_1)
	v_cvt_f16_f32_e32 v8, v5
	v_mov_b32_e32 v5, 0
.LBB240_1290:
	s_mov_b32 s11, -1
	s_mov_b32 s1, 0
	s_cbranch_execnz .LBB240_1300
.LBB240_1291:
	v_cmp_lt_i16_e32 vcc_lo, 14, v4
	s_cbranch_vccz .LBB240_1294
; %bb.1292:
	v_cmp_eq_u16_e32 vcc_lo, 15, v4
	s_cbranch_vccz .LBB240_1295
; %bb.1293:
	global_load_u16 v5, v[0:1], off
	s_mov_b32 s0, 0
	s_mov_b32 s11, -1
	s_mov_b32 s8, 0
	s_waitcnt vmcnt(0)
	v_lshlrev_b32_e32 v5, 16, v5
	s_delay_alu instid0(VALU_DEP_1)
	v_cvt_f16_f32_e32 v8, v5
	s_branch .LBB240_1297
.LBB240_1294:
	s_mov_b32 s1, -1
	s_branch .LBB240_1296
.LBB240_1295:
	s_mov_b32 s0, -1
.LBB240_1296:
                                        ; implicit-def: $sgpr8
                                        ; implicit-def: $vgpr8
.LBB240_1297:
	s_and_b32 vcc_lo, exec_lo, s1
	s_mov_b32 s1, 0
	s_cbranch_vccz .LBB240_1299
; %bb.1298:
	v_cmp_ne_u16_e64 s0, 11, v4
	s_mov_b32 s1, -1
                                        ; implicit-def: $sgpr8
                                        ; implicit-def: $vgpr8
.LBB240_1299:
	s_waitcnt vmcnt(0)
	v_mov_b32_e32 v5, s8
.LBB240_1300:
	s_delay_alu instid0(VALU_DEP_2)
	s_and_b32 vcc_lo, exec_lo, s0
	s_mov_b32 s8, s10
	s_cbranch_vccnz .LBB240_1355
; %bb.1301:
	s_and_not1_b32 vcc_lo, exec_lo, s1
	s_cbranch_vccnz .LBB240_1303
.LBB240_1302:
	global_load_u8 v5, v[0:1], off
	s_mov_b32 s11, -1
	s_waitcnt vmcnt(0)
	v_cmp_ne_u16_e32 vcc_lo, 0, v5
	v_mov_b32_e32 v5, 0
	v_cndmask_b32_e64 v8, 0, 0x3c00, vcc_lo
.LBB240_1303:
.LBB240_1304:
	s_and_not1_b32 vcc_lo, exec_lo, s11
	s_cbranch_vccnz .LBB240_2275
.LBB240_1305:
	s_delay_alu instid0(VALU_DEP_1) | instskip(SKIP_1) | instid1(VALU_DEP_2)
	v_cmp_neq_f16_e32 vcc_lo, 0, v8
	s_waitcnt vmcnt(0)
	v_cmp_neq_f16_e64 s0, 0, v5
	v_cvt_f32_f16_e32 v5, v5
	v_mov_b32_e32 v6, 0
	s_delay_alu instid0(VALU_DEP_3) | instskip(NEXT) | instid1(SALU_CYCLE_1)
	s_or_b32 s0, vcc_lo, s0
	s_and_saveexec_b32 s11, s0
	s_cbranch_execz .LBB240_1335
; %bb.1306:
	v_mov_b32_e32 v6, 0x7f800000
	s_mov_b32 s12, exec_lo
	v_cmpx_neq_f32_e64 0x7f800000, |v5|
	s_cbranch_execz .LBB240_1334
; %bb.1307:
	v_cvt_f32_f16_e32 v6, v8
	s_mov_b32 s0, exec_lo
	v_cmpx_o_f16_e32 v8, v8
	s_xor_b32 s13, exec_lo, s0
	s_cbranch_execz .LBB240_1331
; %bb.1308:
	s_mov_b32 s1, exec_lo
	v_cmpx_neq_f32_e64 0x7f800000, |v6|
	s_xor_b32 s14, exec_lo, s1
	s_cbranch_execz .LBB240_1324
; %bb.1309:
	v_max_f32_e64 v0, |v5|, |v5|
	v_max_f32_e64 v1, |v6|, |v6|
                                        ; implicit-def: $sgpr15
	s_delay_alu instid0(VALU_DEP_1) | instskip(NEXT) | instid1(VALU_DEP_1)
	v_max_f32_e32 v0, v1, v0
	v_cmp_nle_f32_e64 s0, 0x7ed413cb, v0
	s_delay_alu instid0(VALU_DEP_1) | instskip(NEXT) | instid1(SALU_CYCLE_1)
	s_and_saveexec_b32 s1, s0
	s_xor_b32 s1, exec_lo, s1
	s_cbranch_execz .LBB240_1313
; %bb.1310:
	v_cmp_ge_f32_e64 s15, 0x1000000, |v6|
	v_cmp_ge_f32_e64 s16, 0x1000000, |v5|
	s_delay_alu instid0(VALU_DEP_1)
	s_and_b32 s17, s15, s16
	s_mov_b32 s15, 0
	s_and_saveexec_b32 s16, s17
; %bb.1311:
	v_dual_mul_f32 v6, 4.0, v6 :: v_dual_mul_f32 v5, 4.0, v5
	s_mov_b32 s15, exec_lo
; %bb.1312:
	s_or_b32 exec_lo, exec_lo, s16
	s_delay_alu instid0(SALU_CYCLE_1)
	s_and_b32 s15, s15, exec_lo
.LBB240_1313:
	s_and_not1_saveexec_b32 s1, s1
; %bb.1314:
	v_dual_mul_f32 v6, 0x3e800000, v6 :: v_dual_mul_f32 v5, 0x3e800000, v5
	s_and_not1_b32 s15, s15, exec_lo
; %bb.1315:
	s_or_b32 exec_lo, exec_lo, s1
	s_delay_alu instid0(VALU_DEP_1) | instskip(NEXT) | instid1(VALU_DEP_2)
	v_max_f32_e64 v0, |v5|, |v5|
	v_max_f32_e64 v1, |v6|, |v6|
	s_delay_alu instid0(VALU_DEP_1) | instskip(NEXT) | instid1(VALU_DEP_1)
	v_max_f32_e32 v8, v1, v0
	v_cvt_f64_f32_e32 v[0:1], v8
	v_cmp_neq_f32_e64 s1, 0x7f800000, v8
	s_delay_alu instid0(VALU_DEP_2) | instskip(NEXT) | instid1(VALU_DEP_1)
	v_frexp_exp_i32_f64_e32 v0, v[0:1]
	v_sub_nc_u32_e32 v1, 0, v0
	s_delay_alu instid0(VALU_DEP_1) | instskip(SKIP_1) | instid1(VALU_DEP_2)
	v_ldexp_f32 v9, |v5|, v1
	v_ldexp_f32 v1, |v6|, v1
	v_mul_f32_e32 v9, v9, v9
	s_delay_alu instid0(VALU_DEP_1) | instskip(NEXT) | instid1(VALU_DEP_1)
	v_fmac_f32_e32 v9, v1, v1
	v_sqrt_f32_e32 v1, v9
	s_waitcnt_depctr 0xfff
	v_ldexp_f32 v0, v1, v0
                                        ; implicit-def: $vgpr1
	s_delay_alu instid0(VALU_DEP_1)
	v_cndmask_b32_e64 v8, 0x7f800000, v0, s1
                                        ; implicit-def: $vgpr0
	s_mov_b32 s1, exec_lo
	v_cmpx_le_f32_e32 0, v6
	s_xor_b32 s16, exec_lo, s1
	s_cbranch_execz .LBB240_1317
; %bb.1316:
	v_add_f32_e32 v0, v6, v8
	s_delay_alu instid0(VALU_DEP_1) | instskip(NEXT) | instid1(VALU_DEP_1)
	v_mul_f32_e32 v0, 0.5, v0
	v_mul_f32_e32 v1, 0x4f800000, v0
	v_cmp_gt_f32_e32 vcc_lo, 0xf800000, v0
	s_delay_alu instid0(VALU_DEP_2) | instskip(NEXT) | instid1(VALU_DEP_1)
	v_cndmask_b32_e32 v0, v0, v1, vcc_lo
	v_sqrt_f32_e32 v1, v0
	s_waitcnt_depctr 0xfff
	v_add_nc_u32_e32 v6, -1, v1
	v_add_nc_u32_e32 v8, 1, v1
	s_delay_alu instid0(VALU_DEP_2) | instskip(NEXT) | instid1(VALU_DEP_2)
	v_fma_f32 v9, -v6, v1, v0
	v_fma_f32 v10, -v8, v1, v0
	s_delay_alu instid0(VALU_DEP_2) | instskip(NEXT) | instid1(VALU_DEP_1)
	v_cmp_ge_f32_e64 s1, 0, v9
	v_cndmask_b32_e64 v1, v1, v6, s1
	s_delay_alu instid0(VALU_DEP_3) | instskip(NEXT) | instid1(VALU_DEP_1)
	v_cmp_lt_f32_e64 s1, 0, v10
	v_cndmask_b32_e64 v1, v1, v8, s1
	s_delay_alu instid0(VALU_DEP_1) | instskip(NEXT) | instid1(VALU_DEP_1)
	v_mul_f32_e32 v6, 0x37800000, v1
	v_cndmask_b32_e32 v1, v1, v6, vcc_lo
	v_cmp_class_f32_e64 vcc_lo, v0, 0x260
	s_delay_alu instid0(VALU_DEP_2) | instskip(NEXT) | instid1(VALU_DEP_1)
	v_cndmask_b32_e32 v0, v1, v0, vcc_lo
	v_add_f32_e32 v1, v0, v0
	s_delay_alu instid0(VALU_DEP_1) | instskip(NEXT) | instid1(VALU_DEP_1)
	v_div_scale_f32 v6, null, v1, v1, v5
	v_rcp_f32_e32 v8, v6
	s_waitcnt_depctr 0xfff
	v_fma_f32 v9, -v6, v8, 1.0
	s_delay_alu instid0(VALU_DEP_1) | instskip(SKIP_1) | instid1(VALU_DEP_1)
	v_fmac_f32_e32 v8, v9, v8
	v_div_scale_f32 v9, vcc_lo, v5, v1, v5
	v_mul_f32_e32 v10, v9, v8
	s_delay_alu instid0(VALU_DEP_1) | instskip(NEXT) | instid1(VALU_DEP_1)
	v_fma_f32 v11, -v6, v10, v9
	v_fmac_f32_e32 v10, v11, v8
	s_delay_alu instid0(VALU_DEP_1) | instskip(NEXT) | instid1(VALU_DEP_1)
	v_fma_f32 v6, -v6, v10, v9
	v_div_fmas_f32 v6, v6, v8, v10
                                        ; implicit-def: $vgpr8
	s_delay_alu instid0(VALU_DEP_1)
	v_div_fixup_f32 v1, v6, v1, v5
                                        ; implicit-def: $vgpr6
                                        ; implicit-def: $vgpr5
	s_and_not1_saveexec_b32 s16, s16
	s_cbranch_execz .LBB240_1319
	s_branch .LBB240_1318
.LBB240_1317:
	s_and_not1_saveexec_b32 s16, s16
	s_cbranch_execz .LBB240_1319
.LBB240_1318:
	v_sub_f32_e32 v0, v8, v6
	s_delay_alu instid0(VALU_DEP_1) | instskip(NEXT) | instid1(VALU_DEP_1)
	v_mul_f32_e32 v0, 0.5, v0
	v_mul_f32_e32 v1, 0x4f800000, v0
	v_cmp_gt_f32_e32 vcc_lo, 0xf800000, v0
	s_delay_alu instid0(VALU_DEP_2) | instskip(NEXT) | instid1(VALU_DEP_1)
	v_cndmask_b32_e32 v0, v0, v1, vcc_lo
	v_sqrt_f32_e32 v1, v0
	s_waitcnt_depctr 0xfff
	v_add_nc_u32_e32 v6, -1, v1
	v_add_nc_u32_e32 v8, 1, v1
	s_delay_alu instid0(VALU_DEP_2) | instskip(NEXT) | instid1(VALU_DEP_2)
	v_fma_f32 v9, -v6, v1, v0
	v_fma_f32 v10, -v8, v1, v0
	s_delay_alu instid0(VALU_DEP_2) | instskip(NEXT) | instid1(VALU_DEP_1)
	v_cmp_ge_f32_e64 s1, 0, v9
	v_cndmask_b32_e64 v1, v1, v6, s1
	s_delay_alu instid0(VALU_DEP_3) | instskip(NEXT) | instid1(VALU_DEP_1)
	v_cmp_lt_f32_e64 s1, 0, v10
	v_cndmask_b32_e64 v1, v1, v8, s1
	s_delay_alu instid0(VALU_DEP_1) | instskip(NEXT) | instid1(VALU_DEP_1)
	v_mul_f32_e32 v6, 0x37800000, v1
	v_cndmask_b32_e32 v1, v1, v6, vcc_lo
	v_cmp_class_f32_e64 vcc_lo, v0, 0x260
	s_delay_alu instid0(VALU_DEP_2) | instskip(NEXT) | instid1(VALU_DEP_1)
	v_dual_cndmask_b32 v1, v1, v0 :: v_dual_and_b32 v0, 0x7fffffff, v5
	v_add_f32_e32 v6, v1, v1
	v_bfi_b32 v1, 0x7fffffff, v1, v5
	s_delay_alu instid0(VALU_DEP_2) | instskip(SKIP_1) | instid1(VALU_DEP_2)
	v_div_scale_f32 v8, null, v6, v6, v0
	v_div_scale_f32 v0, vcc_lo, v0, v6, v0
	v_rcp_f32_e32 v9, v8
	s_waitcnt_depctr 0xfff
	v_fma_f32 v10, -v8, v9, 1.0
	s_delay_alu instid0(VALU_DEP_1) | instskip(NEXT) | instid1(VALU_DEP_1)
	v_fmac_f32_e32 v9, v10, v9
	v_mul_f32_e32 v10, v0, v9
	s_delay_alu instid0(VALU_DEP_1) | instskip(NEXT) | instid1(VALU_DEP_1)
	v_fma_f32 v11, -v8, v10, v0
	v_fmac_f32_e32 v10, v11, v9
	s_delay_alu instid0(VALU_DEP_1) | instskip(NEXT) | instid1(VALU_DEP_1)
	v_fma_f32 v0, -v8, v10, v0
	v_div_fmas_f32 v0, v0, v9, v10
	s_delay_alu instid0(VALU_DEP_1)
	v_div_fixup_f32 v0, v0, v6, |v5|
.LBB240_1319:
	s_or_b32 exec_lo, exec_lo, s16
                                        ; implicit-def: $vgpr5
                                        ; implicit-def: $vgpr6
	s_and_saveexec_b32 s1, s0
	s_delay_alu instid0(SALU_CYCLE_1)
	s_xor_b32 s0, exec_lo, s1
	s_cbranch_execz .LBB240_1321
; %bb.1320:
	v_dual_mul_f32 v5, 0.5, v0 :: v_dual_mul_f32 v8, 0.5, v1
	s_delay_alu instid0(VALU_DEP_1) | instskip(NEXT) | instid1(VALU_DEP_2)
	v_cndmask_b32_e64 v6, v0, v5, s15
	v_cndmask_b32_e64 v5, v1, v8, s15
                                        ; implicit-def: $vgpr0
                                        ; implicit-def: $vgpr1
	s_and_not1_saveexec_b32 s0, s0
	s_cbranch_execnz .LBB240_1322
	s_branch .LBB240_1323
.LBB240_1321:
	s_and_not1_saveexec_b32 s0, s0
.LBB240_1322:
	v_dual_add_f32 v6, v0, v0 :: v_dual_add_f32 v5, v1, v1
.LBB240_1323:
	s_or_b32 exec_lo, exec_lo, s0
                                        ; implicit-def: $vgpr8
.LBB240_1324:
	s_and_not1_saveexec_b32 s0, s14
	s_cbranch_execz .LBB240_1330
; %bb.1325:
	s_delay_alu instid0(VALU_DEP_1)
	v_sub_f32_e32 v0, v5, v5
	s_mov_b32 s1, exec_lo
	v_cmpx_lt_i16_e32 -1, v8
	s_xor_b32 s1, exec_lo, s1
; %bb.1326:
	s_delay_alu instid0(VALU_DEP_2)
	v_bfi_b32 v5, 0x7fffffff, v0, v5
                                        ; implicit-def: $vgpr0
; %bb.1327:
	s_and_not1_saveexec_b32 s1, s1
; %bb.1328:
	v_and_b32_e32 v0, 0x7fffffff, v0
	s_delay_alu instid0(VALU_DEP_2) | instskip(NEXT) | instid1(VALU_DEP_2)
	v_bfi_b32 v5, 0x7fffffff, v6, v5
	v_mov_b32_e32 v6, v0
; %bb.1329:
	s_or_b32 exec_lo, exec_lo, s1
.LBB240_1330:
	s_delay_alu instid0(SALU_CYCLE_1)
	s_or_b32 exec_lo, exec_lo, s0
.LBB240_1331:
	s_and_not1_saveexec_b32 s0, s13
; %bb.1332:
	v_sub_f32_e32 v0, v5, v5
	s_delay_alu instid0(VALU_DEP_1) | instskip(NEXT) | instid1(VALU_DEP_1)
	v_div_scale_f32 v1, vcc_lo, v0, v0, v0
	v_rcp_f32_e32 v5, v1
	s_waitcnt_depctr 0xfff
	v_fma_f32 v8, -v1, v5, 1.0
	s_delay_alu instid0(VALU_DEP_1) | instskip(NEXT) | instid1(VALU_DEP_1)
	v_fmac_f32_e32 v5, v8, v5
	v_mul_f32_e32 v8, v1, v5
	s_delay_alu instid0(VALU_DEP_1) | instskip(NEXT) | instid1(VALU_DEP_1)
	v_fma_f32 v9, -v1, v8, v1
	v_fmac_f32_e32 v8, v9, v5
	s_delay_alu instid0(VALU_DEP_1) | instskip(NEXT) | instid1(VALU_DEP_1)
	v_fma_f32 v1, -v1, v8, v1
	v_div_fmas_f32 v1, v1, v5, v8
	s_delay_alu instid0(VALU_DEP_1)
	v_div_fixup_f32 v5, v1, v0, v0
; %bb.1333:
	s_or_b32 exec_lo, exec_lo, s0
.LBB240_1334:
	s_delay_alu instid0(SALU_CYCLE_1)
	s_or_b32 exec_lo, exec_lo, s12
.LBB240_1335:
	s_delay_alu instid0(SALU_CYCLE_1) | instskip(SKIP_3) | instid1(VALU_DEP_1)
	s_or_b32 exec_lo, exec_lo, s11
	s_lshl_b32 s3, s3, 7
	v_cmp_gt_i16_e32 vcc_lo, 11, v4
	v_add_nc_u32_e32 v9, s3, v7
	v_ashrrev_i32_e32 v1, 31, v9
	v_add_co_u32 v0, s0, s6, v9
	s_delay_alu instid0(VALU_DEP_1)
	v_add_co_ci_u32_e64 v1, s0, s7, v1, s0
	s_cbranch_vccnz .LBB240_1342
; %bb.1336:
	v_cmp_lt_i16_e32 vcc_lo, 25, v4
	s_mov_b32 s1, 0
	s_cbranch_vccz .LBB240_1348
; %bb.1337:
	v_cmp_lt_i16_e32 vcc_lo, 28, v4
	s_cbranch_vccz .LBB240_1351
; %bb.1338:
	v_cmp_lt_i16_e32 vcc_lo, 43, v4
	;; [unrolled: 3-line block ×3, first 2 shown]
	s_cbranch_vccz .LBB240_1359
; %bb.1340:
	v_cmp_eq_u16_e32 vcc_lo, 46, v4
	s_mov_b32 s12, 0
	s_cbranch_vccz .LBB240_1404
; %bb.1341:
	global_load_b32 v7, v[0:1], off
	s_mov_b32 s0, 0
	s_mov_b32 s11, -1
	s_waitcnt vmcnt(0)
	v_lshlrev_b32_e32 v8, 16, v7
	v_and_b32_e32 v7, 0xffff0000, v7
	s_delay_alu instid0(VALU_DEP_2) | instskip(NEXT) | instid1(VALU_DEP_2)
	v_cvt_f16_f32_e32 v10, v8
	v_cvt_f16_f32_e32 v7, v7
	s_branch .LBB240_1406
.LBB240_1342:
	s_mov_b32 s11, 0
                                        ; implicit-def: $vgpr7
                                        ; implicit-def: $vgpr10
	s_cbranch_execz .LBB240_1474
; %bb.1343:
	v_cmp_gt_i16_e32 vcc_lo, 5, v4
	s_cbranch_vccnz .LBB240_1349
; %bb.1344:
	v_cmp_gt_i16_e32 vcc_lo, 8, v4
	s_cbranch_vccnz .LBB240_1352
	;; [unrolled: 3-line block ×3, first 2 shown]
; %bb.1346:
	v_cmp_lt_i16_e32 vcc_lo, 9, v4
	s_cbranch_vccz .LBB240_1360
; %bb.1347:
	global_load_b128 v[10:13], v[0:1], off
	s_mov_b32 s0, 0
	s_waitcnt vmcnt(0)
	v_cvt_f32_f64_e32 v7, v[10:11]
	v_cvt_f32_f64_e32 v8, v[12:13]
	s_delay_alu instid0(VALU_DEP_2) | instskip(NEXT) | instid1(VALU_DEP_2)
	v_cvt_f16_f32_e32 v10, v7
	v_cvt_f16_f32_e32 v7, v8
	s_branch .LBB240_1361
.LBB240_1348:
	s_mov_b32 s11, 0
	s_mov_b32 s0, 0
                                        ; implicit-def: $vgpr7
                                        ; implicit-def: $vgpr10
	s_cbranch_execnz .LBB240_1439
	s_branch .LBB240_1470
.LBB240_1349:
                                        ; implicit-def: $vgpr7
                                        ; implicit-def: $vgpr10
	s_branch .LBB240_1380
.LBB240_1350:
	s_branch .LBB240_1475
.LBB240_1351:
	s_mov_b32 s12, -1
	s_mov_b32 s11, 0
	s_mov_b32 s0, 0
                                        ; implicit-def: $vgpr7
                                        ; implicit-def: $vgpr10
	s_branch .LBB240_1418
.LBB240_1352:
	s_mov_b32 s0, -1
                                        ; implicit-def: $vgpr7
                                        ; implicit-def: $vgpr10
	s_branch .LBB240_1367
.LBB240_1353:
	s_mov_b32 s12, -1
	s_mov_b32 s11, 0
	s_mov_b32 s0, 0
                                        ; implicit-def: $vgpr7
                                        ; implicit-def: $vgpr10
	s_branch .LBB240_1412
.LBB240_1354:
	s_mov_b32 s0, -1
                                        ; implicit-def: $vgpr7
                                        ; implicit-def: $vgpr10
	s_branch .LBB240_1364
.LBB240_1355:
	s_cbranch_execnz .LBB240_1400
; %bb.1356:
	s_or_b32 s8, s10, exec_lo
                                        ; implicit-def: $vgpr5
                                        ; implicit-def: $vgpr8
	s_cbranch_execz .LBB240_1302
	s_branch .LBB240_1303
.LBB240_1357:
	s_or_saveexec_b32 s14, s14
                                        ; implicit-def: $sgpr15
	s_delay_alu instid0(SALU_CYCLE_1)
	s_xor_b32 exec_lo, exec_lo, s14
	s_cbranch_execz .LBB240_1083
.LBB240_1358:
	v_add_f32_e64 v8, 0x46000000, |v6|
	s_and_not1_b32 s13, s13, exec_lo
	s_mov_b32 s15, 0
	s_delay_alu instid0(VALU_DEP_1) | instskip(NEXT) | instid1(VALU_DEP_1)
	v_and_b32_e32 v8, 0xff, v8
	v_cmp_ne_u32_e32 vcc_lo, 0, v8
	s_and_b32 s16, vcc_lo, exec_lo
	s_delay_alu instid0(SALU_CYCLE_1)
	s_or_b32 s13, s13, s16
	s_or_b32 exec_lo, exec_lo, s14
	v_mov_b32_e32 v9, s15
	s_and_saveexec_b32 s14, s13
	s_cbranch_execnz .LBB240_1084
	s_branch .LBB240_1085
.LBB240_1359:
	s_mov_b32 s12, -1
	s_mov_b32 s11, 0
	s_mov_b32 s0, 0
	s_branch .LBB240_1405
.LBB240_1360:
	s_mov_b32 s0, -1
                                        ; implicit-def: $vgpr7
                                        ; implicit-def: $vgpr10
.LBB240_1361:
	s_delay_alu instid0(SALU_CYCLE_1)
	s_and_not1_b32 vcc_lo, exec_lo, s0
	s_cbranch_vccnz .LBB240_1363
; %bb.1362:
	global_load_b64 v[7:8], v[0:1], off
	s_waitcnt vmcnt(0)
	v_cvt_f16_f32_e32 v10, v7
	v_cvt_f16_f32_e32 v7, v8
.LBB240_1363:
	s_mov_b32 s0, 0
.LBB240_1364:
	s_delay_alu instid0(SALU_CYCLE_1)
	s_and_not1_b32 vcc_lo, exec_lo, s0
	s_cbranch_vccnz .LBB240_1366
; %bb.1365:
	global_load_b32 v10, v[0:1], off
	s_waitcnt vmcnt(0)
	v_lshrrev_b32_e32 v7, 16, v10
.LBB240_1366:
	s_mov_b32 s0, 0
.LBB240_1367:
	s_delay_alu instid0(SALU_CYCLE_1)
	s_and_not1_b32 vcc_lo, exec_lo, s0
	s_cbranch_vccnz .LBB240_1379
; %bb.1368:
	v_cmp_gt_i16_e32 vcc_lo, 6, v4
	s_cbranch_vccnz .LBB240_1371
; %bb.1369:
	v_cmp_lt_i16_e32 vcc_lo, 6, v4
	s_cbranch_vccz .LBB240_1372
; %bb.1370:
	global_load_b64 v[7:8], v[0:1], off
	s_mov_b32 s1, 0
	s_mov_b32 s0, 0
	s_waitcnt vmcnt(0)
	v_cvt_f32_f64_e32 v7, v[7:8]
	s_delay_alu instid0(VALU_DEP_1)
	v_cvt_f16_f32_e32 v10, v7
	s_branch .LBB240_1373
.LBB240_1371:
	s_mov_b32 s1, -1
                                        ; implicit-def: $sgpr0
                                        ; implicit-def: $vgpr10
	s_branch .LBB240_1376
.LBB240_1372:
	s_mov_b32 s1, -1
                                        ; implicit-def: $sgpr0
                                        ; implicit-def: $vgpr10
.LBB240_1373:
	s_delay_alu instid0(SALU_CYCLE_1)
	s_and_not1_b32 vcc_lo, exec_lo, s1
	s_cbranch_vccnz .LBB240_1375
; %bb.1374:
	global_load_b32 v7, v[0:1], off
	s_mov_b32 s0, 0
	s_waitcnt vmcnt(0)
	v_cvt_f16_f32_e32 v10, v7
.LBB240_1375:
	s_mov_b32 s1, 0
.LBB240_1376:
	s_delay_alu instid0(SALU_CYCLE_1)
	s_and_not1_b32 vcc_lo, exec_lo, s1
	s_cbranch_vccnz .LBB240_1378
; %bb.1377:
	global_load_u16 v10, v[0:1], off
	s_mov_b32 s0, 0
.LBB240_1378:
	s_delay_alu instid0(SALU_CYCLE_1)
	v_mov_b32_e32 v7, s0
.LBB240_1379:
	s_cbranch_execnz .LBB240_1350
.LBB240_1380:
	v_cmp_gt_i16_e32 vcc_lo, 2, v4
	s_cbranch_vccnz .LBB240_1384
; %bb.1381:
	v_cmp_gt_i16_e32 vcc_lo, 3, v4
	s_cbranch_vccnz .LBB240_1385
; %bb.1382:
	v_cmp_lt_i16_e32 vcc_lo, 3, v4
	s_cbranch_vccz .LBB240_1386
; %bb.1383:
	global_load_b64 v[7:8], v[0:1], off
	s_mov_b32 s1, 0
	s_mov_b32 s0, 0
	s_waitcnt vmcnt(0)
	v_xor_b32_e32 v10, v7, v8
	v_cls_i32_e32 v11, v8
	s_delay_alu instid0(VALU_DEP_2) | instskip(NEXT) | instid1(VALU_DEP_2)
	v_ashrrev_i32_e32 v10, 31, v10
	v_add_nc_u32_e32 v11, -1, v11
	s_delay_alu instid0(VALU_DEP_2) | instskip(NEXT) | instid1(VALU_DEP_1)
	v_add_nc_u32_e32 v10, 32, v10
	v_min_u32_e32 v10, v11, v10
	s_delay_alu instid0(VALU_DEP_1) | instskip(NEXT) | instid1(VALU_DEP_1)
	v_lshlrev_b64 v[7:8], v10, v[7:8]
	v_min_u32_e32 v7, 1, v7
	s_delay_alu instid0(VALU_DEP_1) | instskip(SKIP_1) | instid1(VALU_DEP_2)
	v_or_b32_e32 v7, v8, v7
	v_sub_nc_u32_e32 v8, 32, v10
	v_cvt_f32_i32_e32 v7, v7
	s_delay_alu instid0(VALU_DEP_1) | instskip(NEXT) | instid1(VALU_DEP_1)
	v_ldexp_f32 v7, v7, v8
	v_cvt_f16_f32_e32 v10, v7
	s_branch .LBB240_1387
.LBB240_1384:
	s_mov_b32 s1, -1
                                        ; implicit-def: $sgpr0
                                        ; implicit-def: $vgpr10
	s_branch .LBB240_1393
.LBB240_1385:
	s_mov_b32 s1, -1
                                        ; implicit-def: $sgpr0
                                        ; implicit-def: $vgpr10
	s_branch .LBB240_1390
.LBB240_1386:
	s_mov_b32 s1, -1
                                        ; implicit-def: $sgpr0
                                        ; implicit-def: $vgpr10
.LBB240_1387:
	s_delay_alu instid0(SALU_CYCLE_1)
	s_and_not1_b32 vcc_lo, exec_lo, s1
	s_cbranch_vccnz .LBB240_1389
; %bb.1388:
	global_load_b32 v7, v[0:1], off
	s_mov_b32 s0, 0
	s_waitcnt vmcnt(0)
	v_cvt_f32_i32_e32 v7, v7
	s_delay_alu instid0(VALU_DEP_1)
	v_cvt_f16_f32_e32 v10, v7
.LBB240_1389:
	s_mov_b32 s1, 0
.LBB240_1390:
	s_delay_alu instid0(SALU_CYCLE_1)
	s_and_not1_b32 vcc_lo, exec_lo, s1
	s_cbranch_vccnz .LBB240_1392
; %bb.1391:
	global_load_u16 v7, v[0:1], off
	s_mov_b32 s0, 0
	s_waitcnt vmcnt(0)
	v_cvt_f16_i16_e32 v10, v7
.LBB240_1392:
	s_mov_b32 s1, 0
.LBB240_1393:
	s_delay_alu instid0(SALU_CYCLE_1)
	s_and_not1_b32 vcc_lo, exec_lo, s1
	s_cbranch_vccnz .LBB240_1399
; %bb.1394:
	v_cmp_lt_i16_e32 vcc_lo, 0, v4
	s_mov_b32 s1, 0
	s_cbranch_vccz .LBB240_1396
; %bb.1395:
	global_load_i8 v7, v[0:1], off
	s_mov_b32 s0, 0
	s_waitcnt vmcnt(0)
	v_cvt_f16_i16_e32 v10, v7
	s_branch .LBB240_1397
.LBB240_1396:
	s_mov_b32 s1, -1
                                        ; implicit-def: $sgpr0
                                        ; implicit-def: $vgpr10
.LBB240_1397:
	s_delay_alu instid0(SALU_CYCLE_1)
	s_and_not1_b32 vcc_lo, exec_lo, s1
	s_cbranch_vccnz .LBB240_1399
; %bb.1398:
	global_load_u8 v0, v[0:1], off
	s_mov_b32 s0, 0
	s_waitcnt vmcnt(0)
	v_cvt_f16_u16_e32 v10, v0
.LBB240_1399:
	v_mov_b32_e32 v7, s0
	s_branch .LBB240_1475
.LBB240_1400:
	s_trap 2
	s_sendmsg_rtn_b32 s0, sendmsg(MSG_RTN_GET_DOORBELL)
	s_mov_b32 ttmp2, m0
	s_waitcnt lgkmcnt(0)
	s_and_b32 s0, s0, 0x3ff
	s_delay_alu instid0(SALU_CYCLE_1) | instskip(NEXT) | instid1(SALU_CYCLE_1)
	s_bitset1_b32 s0, 10
	s_mov_b32 m0, s0
	s_sendmsg sendmsg(MSG_INTERRUPT)
	s_mov_b32 m0, ttmp2
.LBB240_1401:                           ; =>This Inner Loop Header: Depth=1
	s_sethalt 5
	s_branch .LBB240_1401
.LBB240_1402:
	s_or_saveexec_b32 s15, s15
                                        ; implicit-def: $sgpr16
	s_delay_alu instid0(SALU_CYCLE_1)
	s_xor_b32 exec_lo, exec_lo, s15
	s_cbranch_execz .LBB240_1095
.LBB240_1403:
	v_add_f32_e64 v8, 0x42800000, |v6|
	s_and_not1_b32 s14, s14, exec_lo
	s_mov_b32 s16, 0
	s_delay_alu instid0(VALU_DEP_1) | instskip(NEXT) | instid1(VALU_DEP_1)
	v_and_b32_e32 v8, 0xff, v8
	v_cmp_ne_u32_e32 vcc_lo, 0, v8
	s_and_b32 s17, vcc_lo, exec_lo
	s_delay_alu instid0(SALU_CYCLE_1)
	s_or_b32 s14, s14, s17
	s_or_b32 exec_lo, exec_lo, s15
	v_mov_b32_e32 v9, s16
	s_and_saveexec_b32 s15, s14
	s_cbranch_execnz .LBB240_1096
	s_branch .LBB240_1097
.LBB240_1404:
	s_mov_b32 s0, -1
	s_mov_b32 s11, 0
.LBB240_1405:
                                        ; implicit-def: $vgpr7
                                        ; implicit-def: $vgpr10
.LBB240_1406:
	s_and_b32 vcc_lo, exec_lo, s12
	s_cbranch_vccz .LBB240_1411
; %bb.1407:
	v_cmp_eq_u16_e32 vcc_lo, 44, v4
	s_cbranch_vccz .LBB240_1409
; %bb.1408:
	global_load_u8 v7, v[0:1], off
	s_mov_b32 s0, 0
	s_mov_b32 s11, -1
	s_waitcnt vmcnt(0)
	v_lshlrev_b32_e32 v8, 23, v7
	v_cmp_ne_u32_e32 vcc_lo, 0xff, v7
	s_delay_alu instid0(VALU_DEP_2) | instskip(NEXT) | instid1(VALU_DEP_1)
	v_cvt_f16_f32_e32 v8, v8
	v_cndmask_b32_e32 v8, 0x7e00, v8, vcc_lo
	v_cmp_ne_u32_e32 vcc_lo, 0, v7
	s_delay_alu instid0(VALU_DEP_2)
	v_cndmask_b32_e32 v10, 0, v8, vcc_lo
	s_branch .LBB240_1410
.LBB240_1409:
	s_mov_b32 s0, -1
                                        ; implicit-def: $vgpr10
.LBB240_1410:
	s_delay_alu instid0(SALU_CYCLE_1)
	v_mov_b32_e32 v7, s0
.LBB240_1411:
	s_mov_b32 s12, 0
.LBB240_1412:
	s_delay_alu instid0(SALU_CYCLE_1)
	s_and_b32 vcc_lo, exec_lo, s12
	s_cbranch_vccz .LBB240_1417
; %bb.1413:
	v_cmp_eq_u16_e32 vcc_lo, 29, v4
	s_cbranch_vccz .LBB240_1415
; %bb.1414:
	global_load_b64 v[7:8], v[0:1], off
	s_mov_b32 s0, 0
	s_mov_b32 s11, -1
	s_mov_b32 s12, 0
	s_waitcnt vmcnt(0)
	v_clz_i32_u32_e32 v10, v8
	s_delay_alu instid0(VALU_DEP_1) | instskip(NEXT) | instid1(VALU_DEP_1)
	v_min_u32_e32 v10, 32, v10
	v_lshlrev_b64 v[7:8], v10, v[7:8]
	s_delay_alu instid0(VALU_DEP_1) | instskip(NEXT) | instid1(VALU_DEP_1)
	v_min_u32_e32 v7, 1, v7
	v_or_b32_e32 v7, v8, v7
	v_sub_nc_u32_e32 v8, 32, v10
	s_delay_alu instid0(VALU_DEP_2) | instskip(NEXT) | instid1(VALU_DEP_1)
	v_cvt_f32_u32_e32 v7, v7
	v_ldexp_f32 v7, v7, v8
	s_delay_alu instid0(VALU_DEP_1)
	v_cvt_f16_f32_e32 v10, v7
	s_branch .LBB240_1416
.LBB240_1415:
	s_mov_b32 s0, -1
                                        ; implicit-def: $sgpr12
                                        ; implicit-def: $vgpr10
.LBB240_1416:
	v_mov_b32_e32 v7, s12
.LBB240_1417:
	s_mov_b32 s12, 0
.LBB240_1418:
	s_delay_alu instid0(SALU_CYCLE_1)
	s_and_b32 vcc_lo, exec_lo, s12
	s_cbranch_vccz .LBB240_1438
; %bb.1419:
	v_cmp_gt_i16_e32 vcc_lo, 27, v4
	s_cbranch_vccnz .LBB240_1422
; %bb.1420:
	v_cmp_lt_i16_e32 vcc_lo, 27, v4
	s_cbranch_vccz .LBB240_1423
; %bb.1421:
	global_load_b32 v7, v[0:1], off
	s_mov_b32 s12, 0
	s_mov_b32 s11, 0
	s_waitcnt vmcnt(0)
	v_cvt_f32_u32_e32 v7, v7
	s_delay_alu instid0(VALU_DEP_1)
	v_cvt_f16_f32_e32 v10, v7
	s_branch .LBB240_1424
.LBB240_1422:
	s_mov_b32 s12, -1
                                        ; implicit-def: $sgpr11
                                        ; implicit-def: $vgpr10
	s_branch .LBB240_1427
.LBB240_1423:
	s_mov_b32 s12, -1
                                        ; implicit-def: $sgpr11
                                        ; implicit-def: $vgpr10
.LBB240_1424:
	s_delay_alu instid0(SALU_CYCLE_1)
	s_and_not1_b32 vcc_lo, exec_lo, s12
	s_cbranch_vccnz .LBB240_1426
; %bb.1425:
	global_load_u16 v7, v[0:1], off
	s_mov_b32 s11, 0
	s_waitcnt vmcnt(0)
	v_cvt_f16_u16_e32 v10, v7
.LBB240_1426:
	s_mov_b32 s12, 0
.LBB240_1427:
	v_mov_b32_e32 v7, s11
	s_and_not1_b32 vcc_lo, exec_lo, s12
	s_cbranch_vccnz .LBB240_1437
; %bb.1428:
	global_load_u8 v8, v[0:1], off
	s_mov_b32 s11, 0
	s_mov_b32 s14, exec_lo
                                        ; implicit-def: $sgpr13
                                        ; implicit-def: $sgpr12
	s_waitcnt vmcnt(0)
	v_cmpx_lt_i16_e32 0x7f, v8
	s_xor_b32 s14, exec_lo, s14
	s_cbranch_execz .LBB240_1432
; %bb.1429:
	s_mov_b32 s11, -1
	s_mov_b32 s15, exec_lo
                                        ; implicit-def: $sgpr13
                                        ; implicit-def: $sgpr12
	v_cmpx_eq_u16_e32 0x80, v8
; %bb.1430:
	s_movk_i32 s12, 0x7e00
	s_mov_b32 s13, 0
	s_xor_b32 s11, exec_lo, -1
; %bb.1431:
	s_or_b32 exec_lo, exec_lo, s15
	s_delay_alu instid0(SALU_CYCLE_1)
	s_and_b32 s11, s11, exec_lo
.LBB240_1432:
	s_or_saveexec_b32 s14, s14
	v_dual_mov_b32 v7, s13 :: v_dual_mov_b32 v10, s12
	s_xor_b32 exec_lo, exec_lo, s14
; %bb.1433:
	v_cmp_ne_u16_e32 vcc_lo, 0, v8
	v_dual_mov_b32 v7, 0 :: v_dual_mov_b32 v10, v8
	s_and_not1_b32 s11, s11, exec_lo
	s_and_b32 s12, vcc_lo, exec_lo
	s_delay_alu instid0(SALU_CYCLE_1)
	s_or_b32 s11, s11, s12
; %bb.1434:
	s_or_b32 exec_lo, exec_lo, s14
	s_and_saveexec_b32 s12, s11
	s_cbranch_execz .LBB240_1436
; %bb.1435:
	v_and_b32_e32 v7, 0xffff, v8
	v_lshlrev_b32_e32 v8, 24, v8
	s_delay_alu instid0(VALU_DEP_2) | instskip(NEXT) | instid1(VALU_DEP_2)
	v_and_b32_e32 v10, 7, v7
	v_and_b32_e32 v8, 0x80000000, v8
	s_delay_alu instid0(VALU_DEP_2) | instskip(NEXT) | instid1(VALU_DEP_1)
	v_clz_i32_u32_e32 v11, v10
	v_min_u32_e32 v11, 32, v11
	s_delay_alu instid0(VALU_DEP_1) | instskip(SKIP_1) | instid1(VALU_DEP_2)
	v_subrev_nc_u32_e32 v12, 28, v11
	v_sub_nc_u32_e32 v11, 29, v11
	v_lshlrev_b32_e32 v12, v12, v7
	v_bfe_u32 v7, v7, 3, 4
	s_delay_alu instid0(VALU_DEP_1) | instskip(NEXT) | instid1(VALU_DEP_3)
	v_cmp_eq_u32_e32 vcc_lo, 0, v7
	v_dual_cndmask_b32 v7, v7, v11 :: v_dual_and_b32 v12, 7, v12
	s_delay_alu instid0(VALU_DEP_1) | instskip(NEXT) | instid1(VALU_DEP_2)
	v_cndmask_b32_e32 v10, v10, v12, vcc_lo
	v_lshl_add_u32 v7, v7, 23, 0x3b800000
	s_delay_alu instid0(VALU_DEP_2) | instskip(NEXT) | instid1(VALU_DEP_1)
	v_lshlrev_b32_e32 v10, 20, v10
	v_or3_b32 v7, v8, v7, v10
	s_delay_alu instid0(VALU_DEP_1)
	v_cvt_f16_f32_e32 v10, v7
	v_mov_b32_e32 v7, 0
.LBB240_1436:
	s_or_b32 exec_lo, exec_lo, s12
.LBB240_1437:
	s_mov_b32 s11, -1
.LBB240_1438:
	s_branch .LBB240_1470
.LBB240_1439:
	v_cmp_lt_i16_e32 vcc_lo, 22, v4
	s_cbranch_vccz .LBB240_1451
; %bb.1440:
	v_cmp_gt_i16_e32 vcc_lo, 24, v4
	s_cbranch_vccnz .LBB240_1452
; %bb.1441:
	v_cmp_lt_i16_e32 vcc_lo, 24, v4
	s_cbranch_vccz .LBB240_1453
; %bb.1442:
	global_load_u8 v8, v[0:1], off
	s_mov_b32 s13, exec_lo
                                        ; implicit-def: $sgpr12
                                        ; implicit-def: $sgpr11
	s_waitcnt vmcnt(0)
	v_cmpx_lt_i16_e32 0x7f, v8
	s_xor_b32 s13, exec_lo, s13
	s_cbranch_execz .LBB240_1446
; %bb.1443:
	s_mov_b32 s1, -1
	s_mov_b32 s14, exec_lo
                                        ; implicit-def: $sgpr12
                                        ; implicit-def: $sgpr11
	v_cmpx_eq_u16_e32 0x80, v8
; %bb.1444:
	s_movk_i32 s11, 0x7e00
	s_mov_b32 s12, 0
	s_xor_b32 s1, exec_lo, -1
; %bb.1445:
	s_or_b32 exec_lo, exec_lo, s14
	s_delay_alu instid0(SALU_CYCLE_1)
	s_and_b32 s1, s1, exec_lo
.LBB240_1446:
	s_or_saveexec_b32 s13, s13
	v_dual_mov_b32 v7, s12 :: v_dual_mov_b32 v10, s11
	s_xor_b32 exec_lo, exec_lo, s13
; %bb.1447:
	v_cmp_ne_u16_e32 vcc_lo, 0, v8
	v_dual_mov_b32 v7, 0 :: v_dual_mov_b32 v10, v8
	s_and_not1_b32 s1, s1, exec_lo
	s_and_b32 s11, vcc_lo, exec_lo
	s_delay_alu instid0(SALU_CYCLE_1)
	s_or_b32 s1, s1, s11
; %bb.1448:
	s_or_b32 exec_lo, exec_lo, s13
	s_and_saveexec_b32 s11, s1
	s_cbranch_execz .LBB240_1450
; %bb.1449:
	v_and_b32_e32 v7, 0xffff, v8
	v_lshlrev_b32_e32 v8, 24, v8
	s_delay_alu instid0(VALU_DEP_2) | instskip(NEXT) | instid1(VALU_DEP_2)
	v_and_b32_e32 v10, 3, v7
	v_and_b32_e32 v8, 0x80000000, v8
	s_delay_alu instid0(VALU_DEP_2) | instskip(NEXT) | instid1(VALU_DEP_1)
	v_clz_i32_u32_e32 v11, v10
	v_min_u32_e32 v11, 32, v11
	s_delay_alu instid0(VALU_DEP_1) | instskip(SKIP_1) | instid1(VALU_DEP_2)
	v_subrev_nc_u32_e32 v12, 29, v11
	v_sub_nc_u32_e32 v11, 30, v11
	v_lshlrev_b32_e32 v12, v12, v7
	v_bfe_u32 v7, v7, 2, 5
	s_delay_alu instid0(VALU_DEP_1) | instskip(NEXT) | instid1(VALU_DEP_3)
	v_cmp_eq_u32_e32 vcc_lo, 0, v7
	v_dual_cndmask_b32 v7, v7, v11 :: v_dual_and_b32 v12, 3, v12
	s_delay_alu instid0(VALU_DEP_1) | instskip(NEXT) | instid1(VALU_DEP_2)
	v_cndmask_b32_e32 v10, v10, v12, vcc_lo
	v_lshl_add_u32 v7, v7, 23, 0x37800000
	s_delay_alu instid0(VALU_DEP_2) | instskip(NEXT) | instid1(VALU_DEP_1)
	v_lshlrev_b32_e32 v10, 21, v10
	v_or3_b32 v7, v8, v7, v10
	s_delay_alu instid0(VALU_DEP_1)
	v_cvt_f16_f32_e32 v10, v7
	v_mov_b32_e32 v7, 0
.LBB240_1450:
	s_or_b32 exec_lo, exec_lo, s11
	s_mov_b32 s1, 0
	s_branch .LBB240_1454
.LBB240_1451:
	s_mov_b32 s1, -1
                                        ; implicit-def: $vgpr7
                                        ; implicit-def: $vgpr10
	s_branch .LBB240_1460
.LBB240_1452:
	s_mov_b32 s1, -1
                                        ; implicit-def: $vgpr7
                                        ; implicit-def: $vgpr10
	s_branch .LBB240_1457
.LBB240_1453:
	s_mov_b32 s1, -1
                                        ; implicit-def: $vgpr7
                                        ; implicit-def: $vgpr10
.LBB240_1454:
	s_delay_alu instid0(SALU_CYCLE_1)
	s_and_b32 vcc_lo, exec_lo, s1
	s_cbranch_vccz .LBB240_1456
; %bb.1455:
	global_load_u8 v7, v[0:1], off
	s_waitcnt vmcnt(0)
	v_lshlrev_b32_e32 v7, 24, v7
	s_delay_alu instid0(VALU_DEP_1) | instskip(NEXT) | instid1(VALU_DEP_1)
	v_and_b32_e32 v8, 0x7f000000, v7
	v_clz_i32_u32_e32 v10, v8
	v_add_nc_u32_e32 v12, 0x1000000, v8
	v_cmp_ne_u32_e32 vcc_lo, 0, v8
	s_delay_alu instid0(VALU_DEP_3) | instskip(NEXT) | instid1(VALU_DEP_1)
	v_min_u32_e32 v10, 32, v10
	v_sub_nc_u32_e64 v10, v10, 4 clamp
	s_delay_alu instid0(VALU_DEP_1) | instskip(SKIP_1) | instid1(VALU_DEP_2)
	v_lshlrev_b32_e32 v11, v10, v8
	v_lshlrev_b32_e32 v10, 23, v10
	v_lshrrev_b32_e32 v11, 4, v11
	s_delay_alu instid0(VALU_DEP_1) | instskip(SKIP_1) | instid1(VALU_DEP_2)
	v_sub_nc_u32_e32 v10, v11, v10
	v_ashrrev_i32_e32 v11, 8, v12
	v_add_nc_u32_e32 v10, 0x3c000000, v10
	s_delay_alu instid0(VALU_DEP_1) | instskip(NEXT) | instid1(VALU_DEP_1)
	v_and_or_b32 v10, 0x7f800000, v11, v10
	v_cndmask_b32_e32 v8, 0, v10, vcc_lo
	s_delay_alu instid0(VALU_DEP_1) | instskip(NEXT) | instid1(VALU_DEP_1)
	v_and_or_b32 v7, 0x80000000, v7, v8
	v_cvt_f16_f32_e32 v10, v7
	v_mov_b32_e32 v7, 0
.LBB240_1456:
	s_mov_b32 s1, 0
.LBB240_1457:
	s_delay_alu instid0(SALU_CYCLE_1)
	s_and_not1_b32 vcc_lo, exec_lo, s1
	s_cbranch_vccnz .LBB240_1459
; %bb.1458:
	global_load_u8 v7, v[0:1], off
	s_waitcnt vmcnt(0)
	v_lshlrev_b32_e32 v8, 25, v7
	v_lshlrev_b16 v7, 8, v7
	s_delay_alu instid0(VALU_DEP_2) | instskip(NEXT) | instid1(VALU_DEP_2)
	v_lshrrev_b32_e32 v10, 4, v8
	v_and_or_b32 v11, 0x7f00, v7, 0.5
	v_cmp_gt_u32_e32 vcc_lo, 0x8000000, v8
	v_bfe_i32 v7, v7, 0, 16
	s_delay_alu instid0(VALU_DEP_4) | instskip(NEXT) | instid1(VALU_DEP_1)
	v_or_b32_e32 v10, 0x70000000, v10
	v_dual_add_f32 v11, -0.5, v11 :: v_dual_mul_f32 v10, 0x7800000, v10
	s_delay_alu instid0(VALU_DEP_1) | instskip(NEXT) | instid1(VALU_DEP_1)
	v_cndmask_b32_e32 v8, v10, v11, vcc_lo
	v_and_or_b32 v7, 0x80000000, v7, v8
	s_delay_alu instid0(VALU_DEP_1)
	v_cvt_f16_f32_e32 v10, v7
	v_mov_b32_e32 v7, 0
.LBB240_1459:
	s_mov_b32 s1, 0
	s_mov_b32 s11, -1
.LBB240_1460:
	s_and_not1_b32 vcc_lo, exec_lo, s1
	s_mov_b32 s1, 0
	s_cbranch_vccnz .LBB240_1470
; %bb.1461:
	v_cmp_lt_i16_e32 vcc_lo, 14, v4
	s_cbranch_vccz .LBB240_1464
; %bb.1462:
	v_cmp_eq_u16_e32 vcc_lo, 15, v4
	s_cbranch_vccz .LBB240_1465
; %bb.1463:
	global_load_u16 v7, v[0:1], off
	s_mov_b32 s0, 0
	s_mov_b32 s11, -1
	s_mov_b32 s12, 0
	s_waitcnt vmcnt(0)
	v_lshlrev_b32_e32 v7, 16, v7
	s_delay_alu instid0(VALU_DEP_1)
	v_cvt_f16_f32_e32 v10, v7
	s_branch .LBB240_1467
.LBB240_1464:
	s_mov_b32 s1, -1
	s_branch .LBB240_1466
.LBB240_1465:
	s_mov_b32 s0, -1
.LBB240_1466:
                                        ; implicit-def: $sgpr12
                                        ; implicit-def: $vgpr10
.LBB240_1467:
	s_and_b32 vcc_lo, exec_lo, s1
	s_mov_b32 s1, 0
	s_cbranch_vccz .LBB240_1469
; %bb.1468:
	v_cmp_ne_u16_e64 s0, 11, v4
	s_mov_b32 s1, -1
                                        ; implicit-def: $sgpr12
                                        ; implicit-def: $vgpr10
.LBB240_1469:
	v_mov_b32_e32 v7, s12
.LBB240_1470:
	s_delay_alu instid0(VALU_DEP_2)
	s_and_b32 vcc_lo, exec_lo, s0
	s_cbranch_vccnz .LBB240_1524
; %bb.1471:
	s_and_not1_b32 vcc_lo, exec_lo, s1
	s_cbranch_vccnz .LBB240_1473
.LBB240_1472:
	global_load_u8 v7, v[0:1], off
	s_mov_b32 s11, -1
	s_waitcnt vmcnt(0)
	v_cmp_ne_u16_e32 vcc_lo, 0, v7
	v_mov_b32_e32 v7, 0
	v_cndmask_b32_e64 v10, 0, 0x3c00, vcc_lo
.LBB240_1473:
.LBB240_1474:
	s_and_not1_b32 vcc_lo, exec_lo, s11
	s_cbranch_vccnz .LBB240_2275
.LBB240_1475:
	s_waitcnt vmcnt(0)
	s_delay_alu instid0(VALU_DEP_1) | instskip(NEXT) | instid1(VALU_DEP_2)
	v_cmp_neq_f16_e32 vcc_lo, 0, v10
	v_cmp_neq_f16_e64 s0, 0, v7
	v_cvt_f32_f16_e32 v7, v7
	v_mov_b32_e32 v8, 0
	s_delay_alu instid0(VALU_DEP_3) | instskip(NEXT) | instid1(SALU_CYCLE_1)
	s_or_b32 s0, vcc_lo, s0
	s_and_saveexec_b32 s11, s0
	s_cbranch_execz .LBB240_1505
; %bb.1476:
	v_mov_b32_e32 v8, 0x7f800000
	s_mov_b32 s12, exec_lo
	v_cmpx_neq_f32_e64 0x7f800000, |v7|
	s_cbranch_execz .LBB240_1504
; %bb.1477:
	v_cvt_f32_f16_e32 v8, v10
	s_mov_b32 s0, exec_lo
	v_cmpx_o_f16_e32 v10, v10
	s_xor_b32 s13, exec_lo, s0
	s_cbranch_execz .LBB240_1501
; %bb.1478:
	s_mov_b32 s1, exec_lo
	v_cmpx_neq_f32_e64 0x7f800000, |v8|
	s_xor_b32 s14, exec_lo, s1
	s_cbranch_execz .LBB240_1494
; %bb.1479:
	v_max_f32_e64 v0, |v7|, |v7|
	v_max_f32_e64 v1, |v8|, |v8|
                                        ; implicit-def: $sgpr15
	s_delay_alu instid0(VALU_DEP_1) | instskip(NEXT) | instid1(VALU_DEP_1)
	v_max_f32_e32 v0, v1, v0
	v_cmp_nle_f32_e64 s0, 0x7ed413cb, v0
	s_delay_alu instid0(VALU_DEP_1) | instskip(NEXT) | instid1(SALU_CYCLE_1)
	s_and_saveexec_b32 s1, s0
	s_xor_b32 s1, exec_lo, s1
	s_cbranch_execz .LBB240_1483
; %bb.1480:
	v_cmp_ge_f32_e64 s15, 0x1000000, |v8|
	v_cmp_ge_f32_e64 s16, 0x1000000, |v7|
	s_delay_alu instid0(VALU_DEP_1)
	s_and_b32 s17, s15, s16
	s_mov_b32 s15, 0
	s_and_saveexec_b32 s16, s17
; %bb.1481:
	v_dual_mul_f32 v8, 4.0, v8 :: v_dual_mul_f32 v7, 4.0, v7
	s_mov_b32 s15, exec_lo
; %bb.1482:
	s_or_b32 exec_lo, exec_lo, s16
	s_delay_alu instid0(SALU_CYCLE_1)
	s_and_b32 s15, s15, exec_lo
.LBB240_1483:
	s_and_not1_saveexec_b32 s1, s1
; %bb.1484:
	v_dual_mul_f32 v8, 0x3e800000, v8 :: v_dual_mul_f32 v7, 0x3e800000, v7
	s_and_not1_b32 s15, s15, exec_lo
; %bb.1485:
	s_or_b32 exec_lo, exec_lo, s1
	s_delay_alu instid0(VALU_DEP_1) | instskip(NEXT) | instid1(VALU_DEP_2)
	v_max_f32_e64 v0, |v7|, |v7|
	v_max_f32_e64 v1, |v8|, |v8|
	s_delay_alu instid0(VALU_DEP_1) | instskip(NEXT) | instid1(VALU_DEP_1)
	v_max_f32_e32 v10, v1, v0
	v_cvt_f64_f32_e32 v[0:1], v10
	s_delay_alu instid0(VALU_DEP_1) | instskip(NEXT) | instid1(VALU_DEP_1)
	v_frexp_exp_i32_f64_e32 v0, v[0:1]
	v_sub_nc_u32_e32 v1, 0, v0
	s_delay_alu instid0(VALU_DEP_1) | instskip(SKIP_1) | instid1(VALU_DEP_2)
	v_ldexp_f32 v11, |v7|, v1
	v_ldexp_f32 v1, |v8|, v1
	v_mul_f32_e32 v11, v11, v11
	v_cmp_neq_f32_e64 s1, 0x7f800000, v10
	s_delay_alu instid0(VALU_DEP_2) | instskip(NEXT) | instid1(VALU_DEP_1)
	v_fmac_f32_e32 v11, v1, v1
	v_sqrt_f32_e32 v1, v11
	s_waitcnt_depctr 0xfff
	v_ldexp_f32 v0, v1, v0
                                        ; implicit-def: $vgpr1
	s_delay_alu instid0(VALU_DEP_1)
	v_cndmask_b32_e64 v10, 0x7f800000, v0, s1
                                        ; implicit-def: $vgpr0
	s_mov_b32 s1, exec_lo
	v_cmpx_le_f32_e32 0, v8
	s_xor_b32 s16, exec_lo, s1
	s_cbranch_execz .LBB240_1487
; %bb.1486:
	v_add_f32_e32 v0, v8, v10
	s_delay_alu instid0(VALU_DEP_1) | instskip(NEXT) | instid1(VALU_DEP_1)
	v_mul_f32_e32 v0, 0.5, v0
	v_mul_f32_e32 v1, 0x4f800000, v0
	v_cmp_gt_f32_e32 vcc_lo, 0xf800000, v0
	s_delay_alu instid0(VALU_DEP_2) | instskip(NEXT) | instid1(VALU_DEP_1)
	v_cndmask_b32_e32 v0, v0, v1, vcc_lo
	v_sqrt_f32_e32 v1, v0
	s_waitcnt_depctr 0xfff
	v_add_nc_u32_e32 v8, -1, v1
	v_add_nc_u32_e32 v10, 1, v1
	s_delay_alu instid0(VALU_DEP_2) | instskip(NEXT) | instid1(VALU_DEP_2)
	v_fma_f32 v11, -v8, v1, v0
	v_fma_f32 v12, -v10, v1, v0
	s_delay_alu instid0(VALU_DEP_2) | instskip(NEXT) | instid1(VALU_DEP_1)
	v_cmp_ge_f32_e64 s1, 0, v11
	v_cndmask_b32_e64 v1, v1, v8, s1
	s_delay_alu instid0(VALU_DEP_3) | instskip(NEXT) | instid1(VALU_DEP_1)
	v_cmp_lt_f32_e64 s1, 0, v12
	v_cndmask_b32_e64 v1, v1, v10, s1
	s_delay_alu instid0(VALU_DEP_1) | instskip(NEXT) | instid1(VALU_DEP_1)
	v_mul_f32_e32 v8, 0x37800000, v1
	v_cndmask_b32_e32 v1, v1, v8, vcc_lo
	v_cmp_class_f32_e64 vcc_lo, v0, 0x260
	s_delay_alu instid0(VALU_DEP_2) | instskip(NEXT) | instid1(VALU_DEP_1)
	v_cndmask_b32_e32 v0, v1, v0, vcc_lo
	v_add_f32_e32 v1, v0, v0
	s_delay_alu instid0(VALU_DEP_1) | instskip(NEXT) | instid1(VALU_DEP_1)
	v_div_scale_f32 v8, null, v1, v1, v7
	v_rcp_f32_e32 v10, v8
	s_waitcnt_depctr 0xfff
	v_fma_f32 v11, -v8, v10, 1.0
	s_delay_alu instid0(VALU_DEP_1) | instskip(SKIP_1) | instid1(VALU_DEP_1)
	v_fmac_f32_e32 v10, v11, v10
	v_div_scale_f32 v11, vcc_lo, v7, v1, v7
	v_mul_f32_e32 v12, v11, v10
	s_delay_alu instid0(VALU_DEP_1) | instskip(NEXT) | instid1(VALU_DEP_1)
	v_fma_f32 v13, -v8, v12, v11
	v_fmac_f32_e32 v12, v13, v10
	s_delay_alu instid0(VALU_DEP_1) | instskip(NEXT) | instid1(VALU_DEP_1)
	v_fma_f32 v8, -v8, v12, v11
	v_div_fmas_f32 v8, v8, v10, v12
                                        ; implicit-def: $vgpr10
	s_delay_alu instid0(VALU_DEP_1)
	v_div_fixup_f32 v1, v8, v1, v7
                                        ; implicit-def: $vgpr8
                                        ; implicit-def: $vgpr7
	s_and_not1_saveexec_b32 s16, s16
	s_cbranch_execz .LBB240_1489
	s_branch .LBB240_1488
.LBB240_1487:
	s_and_not1_saveexec_b32 s16, s16
	s_cbranch_execz .LBB240_1489
.LBB240_1488:
	v_sub_f32_e32 v0, v10, v8
	s_delay_alu instid0(VALU_DEP_1) | instskip(NEXT) | instid1(VALU_DEP_1)
	v_mul_f32_e32 v0, 0.5, v0
	v_mul_f32_e32 v1, 0x4f800000, v0
	v_cmp_gt_f32_e32 vcc_lo, 0xf800000, v0
	s_delay_alu instid0(VALU_DEP_2) | instskip(NEXT) | instid1(VALU_DEP_1)
	v_cndmask_b32_e32 v0, v0, v1, vcc_lo
	v_sqrt_f32_e32 v1, v0
	s_waitcnt_depctr 0xfff
	v_add_nc_u32_e32 v8, -1, v1
	v_add_nc_u32_e32 v10, 1, v1
	s_delay_alu instid0(VALU_DEP_2) | instskip(NEXT) | instid1(VALU_DEP_2)
	v_fma_f32 v11, -v8, v1, v0
	v_fma_f32 v12, -v10, v1, v0
	s_delay_alu instid0(VALU_DEP_2) | instskip(NEXT) | instid1(VALU_DEP_1)
	v_cmp_ge_f32_e64 s1, 0, v11
	v_cndmask_b32_e64 v1, v1, v8, s1
	s_delay_alu instid0(VALU_DEP_3) | instskip(NEXT) | instid1(VALU_DEP_1)
	v_cmp_lt_f32_e64 s1, 0, v12
	v_cndmask_b32_e64 v1, v1, v10, s1
	s_delay_alu instid0(VALU_DEP_1) | instskip(NEXT) | instid1(VALU_DEP_1)
	v_mul_f32_e32 v8, 0x37800000, v1
	v_cndmask_b32_e32 v1, v1, v8, vcc_lo
	v_cmp_class_f32_e64 vcc_lo, v0, 0x260
	s_delay_alu instid0(VALU_DEP_2) | instskip(NEXT) | instid1(VALU_DEP_1)
	v_dual_cndmask_b32 v1, v1, v0 :: v_dual_and_b32 v0, 0x7fffffff, v7
	v_add_f32_e32 v8, v1, v1
	v_bfi_b32 v1, 0x7fffffff, v1, v7
	s_delay_alu instid0(VALU_DEP_2) | instskip(SKIP_1) | instid1(VALU_DEP_2)
	v_div_scale_f32 v10, null, v8, v8, v0
	v_div_scale_f32 v0, vcc_lo, v0, v8, v0
	v_rcp_f32_e32 v11, v10
	s_waitcnt_depctr 0xfff
	v_fma_f32 v12, -v10, v11, 1.0
	s_delay_alu instid0(VALU_DEP_1) | instskip(NEXT) | instid1(VALU_DEP_1)
	v_fmac_f32_e32 v11, v12, v11
	v_mul_f32_e32 v12, v0, v11
	s_delay_alu instid0(VALU_DEP_1) | instskip(NEXT) | instid1(VALU_DEP_1)
	v_fma_f32 v13, -v10, v12, v0
	v_fmac_f32_e32 v12, v13, v11
	s_delay_alu instid0(VALU_DEP_1) | instskip(NEXT) | instid1(VALU_DEP_1)
	v_fma_f32 v0, -v10, v12, v0
	v_div_fmas_f32 v0, v0, v11, v12
	s_delay_alu instid0(VALU_DEP_1)
	v_div_fixup_f32 v0, v0, v8, |v7|
.LBB240_1489:
	s_or_b32 exec_lo, exec_lo, s16
                                        ; implicit-def: $vgpr7
                                        ; implicit-def: $vgpr8
	s_and_saveexec_b32 s1, s0
	s_delay_alu instid0(SALU_CYCLE_1)
	s_xor_b32 s0, exec_lo, s1
	s_cbranch_execz .LBB240_1491
; %bb.1490:
	v_dual_mul_f32 v7, 0.5, v0 :: v_dual_mul_f32 v10, 0.5, v1
	s_delay_alu instid0(VALU_DEP_1) | instskip(NEXT) | instid1(VALU_DEP_2)
	v_cndmask_b32_e64 v8, v0, v7, s15
	v_cndmask_b32_e64 v7, v1, v10, s15
                                        ; implicit-def: $vgpr0
                                        ; implicit-def: $vgpr1
	s_and_not1_saveexec_b32 s0, s0
	s_cbranch_execnz .LBB240_1492
	s_branch .LBB240_1493
.LBB240_1491:
	s_and_not1_saveexec_b32 s0, s0
.LBB240_1492:
	v_dual_add_f32 v8, v0, v0 :: v_dual_add_f32 v7, v1, v1
.LBB240_1493:
	s_or_b32 exec_lo, exec_lo, s0
                                        ; implicit-def: $vgpr10
.LBB240_1494:
	s_and_not1_saveexec_b32 s0, s14
	s_cbranch_execz .LBB240_1500
; %bb.1495:
	s_delay_alu instid0(VALU_DEP_1)
	v_sub_f32_e32 v0, v7, v7
	s_mov_b32 s1, exec_lo
	v_cmpx_lt_i16_e32 -1, v10
	s_xor_b32 s1, exec_lo, s1
; %bb.1496:
	s_delay_alu instid0(VALU_DEP_2)
	v_bfi_b32 v7, 0x7fffffff, v0, v7
                                        ; implicit-def: $vgpr0
; %bb.1497:
	s_and_not1_saveexec_b32 s1, s1
; %bb.1498:
	v_and_b32_e32 v0, 0x7fffffff, v0
	s_delay_alu instid0(VALU_DEP_2) | instskip(NEXT) | instid1(VALU_DEP_2)
	v_bfi_b32 v7, 0x7fffffff, v8, v7
	v_mov_b32_e32 v8, v0
; %bb.1499:
	s_or_b32 exec_lo, exec_lo, s1
.LBB240_1500:
	s_delay_alu instid0(SALU_CYCLE_1)
	s_or_b32 exec_lo, exec_lo, s0
.LBB240_1501:
	s_and_not1_saveexec_b32 s0, s13
; %bb.1502:
	v_sub_f32_e32 v0, v7, v7
	s_delay_alu instid0(VALU_DEP_1) | instskip(NEXT) | instid1(VALU_DEP_1)
	v_div_scale_f32 v1, vcc_lo, v0, v0, v0
	v_rcp_f32_e32 v7, v1
	s_waitcnt_depctr 0xfff
	v_fma_f32 v10, -v1, v7, 1.0
	s_delay_alu instid0(VALU_DEP_1) | instskip(NEXT) | instid1(VALU_DEP_1)
	v_fmac_f32_e32 v7, v10, v7
	v_mul_f32_e32 v10, v1, v7
	s_delay_alu instid0(VALU_DEP_1) | instskip(NEXT) | instid1(VALU_DEP_1)
	v_fma_f32 v11, -v1, v10, v1
	v_fmac_f32_e32 v10, v11, v7
	s_delay_alu instid0(VALU_DEP_1) | instskip(NEXT) | instid1(VALU_DEP_1)
	v_fma_f32 v1, -v1, v10, v1
	v_div_fmas_f32 v1, v1, v7, v10
	s_delay_alu instid0(VALU_DEP_1)
	v_div_fixup_f32 v7, v1, v0, v0
; %bb.1503:
	s_or_b32 exec_lo, exec_lo, s0
.LBB240_1504:
	s_delay_alu instid0(SALU_CYCLE_1)
	s_or_b32 exec_lo, exec_lo, s12
.LBB240_1505:
	s_delay_alu instid0(SALU_CYCLE_1) | instskip(SKIP_2) | instid1(VALU_DEP_2)
	s_or_b32 exec_lo, exec_lo, s11
	v_add_nc_u32_e32 v11, s3, v9
	v_cmp_gt_i16_e32 vcc_lo, 11, v4
	v_ashrrev_i32_e32 v1, 31, v11
	v_add_co_u32 v0, s0, s6, v11
	s_delay_alu instid0(VALU_DEP_1)
	v_add_co_ci_u32_e64 v1, s0, s7, v1, s0
	s_cbranch_vccnz .LBB240_1512
; %bb.1506:
	v_cmp_lt_i16_e32 vcc_lo, 25, v4
	s_mov_b32 s1, 0
	s_cbranch_vccz .LBB240_1518
; %bb.1507:
	v_cmp_lt_i16_e32 vcc_lo, 28, v4
	s_cbranch_vccz .LBB240_1520
; %bb.1508:
	v_cmp_lt_i16_e32 vcc_lo, 43, v4
	;; [unrolled: 3-line block ×3, first 2 shown]
	s_cbranch_vccz .LBB240_1526
; %bb.1510:
	v_cmp_eq_u16_e32 vcc_lo, 46, v4
	s_mov_b32 s12, 0
	s_cbranch_vccz .LBB240_1571
; %bb.1511:
	global_load_b32 v9, v[0:1], off
	s_mov_b32 s0, 0
	s_mov_b32 s11, -1
	s_waitcnt vmcnt(0)
	v_lshlrev_b32_e32 v10, 16, v9
	v_and_b32_e32 v9, 0xffff0000, v9
	s_delay_alu instid0(VALU_DEP_2) | instskip(NEXT) | instid1(VALU_DEP_2)
	v_cvt_f16_f32_e32 v12, v10
	v_cvt_f16_f32_e32 v9, v9
	s_branch .LBB240_1573
.LBB240_1512:
	s_mov_b32 s11, 0
                                        ; implicit-def: $vgpr9
                                        ; implicit-def: $vgpr12
	s_cbranch_execz .LBB240_1642
; %bb.1513:
	v_cmp_gt_i16_e32 vcc_lo, 5, v4
	s_cbranch_vccnz .LBB240_1519
; %bb.1514:
	v_cmp_gt_i16_e32 vcc_lo, 8, v4
	s_cbranch_vccnz .LBB240_1521
	;; [unrolled: 3-line block ×3, first 2 shown]
; %bb.1516:
	v_cmp_lt_i16_e32 vcc_lo, 9, v4
	s_cbranch_vccz .LBB240_1527
; %bb.1517:
	global_load_b128 v[12:15], v[0:1], off
	s_mov_b32 s0, 0
	s_waitcnt vmcnt(0)
	v_cvt_f32_f64_e32 v9, v[12:13]
	v_cvt_f32_f64_e32 v10, v[14:15]
	s_delay_alu instid0(VALU_DEP_2) | instskip(NEXT) | instid1(VALU_DEP_2)
	v_cvt_f16_f32_e32 v12, v9
	v_cvt_f16_f32_e32 v9, v10
	s_branch .LBB240_1528
.LBB240_1518:
	s_mov_b32 s12, -1
	s_mov_b32 s11, 0
	s_mov_b32 s0, 0
                                        ; implicit-def: $vgpr9
                                        ; implicit-def: $vgpr12
	s_branch .LBB240_1606
.LBB240_1519:
	s_mov_b32 s0, -1
                                        ; implicit-def: $vgpr9
                                        ; implicit-def: $vgpr12
	s_branch .LBB240_1547
.LBB240_1520:
	s_mov_b32 s12, -1
	s_mov_b32 s11, 0
	s_mov_b32 s0, 0
                                        ; implicit-def: $vgpr9
                                        ; implicit-def: $vgpr12
	s_branch .LBB240_1585
.LBB240_1521:
	s_mov_b32 s0, -1
                                        ; implicit-def: $vgpr9
                                        ; implicit-def: $vgpr12
	s_branch .LBB240_1534
.LBB240_1522:
	s_mov_b32 s12, -1
	s_mov_b32 s11, 0
	s_mov_b32 s0, 0
                                        ; implicit-def: $vgpr9
                                        ; implicit-def: $vgpr12
	s_branch .LBB240_1579
.LBB240_1523:
	s_mov_b32 s0, -1
                                        ; implicit-def: $vgpr9
                                        ; implicit-def: $vgpr12
	s_branch .LBB240_1531
.LBB240_1524:
	s_cbranch_execnz .LBB240_1569
; %bb.1525:
	s_or_b32 s8, s8, exec_lo
                                        ; implicit-def: $vgpr7
                                        ; implicit-def: $vgpr10
	s_cbranch_execz .LBB240_1472
	s_branch .LBB240_1473
.LBB240_1526:
	s_mov_b32 s12, -1
	s_mov_b32 s11, 0
	s_mov_b32 s0, 0
	s_branch .LBB240_1572
.LBB240_1527:
	s_mov_b32 s0, -1
                                        ; implicit-def: $vgpr9
                                        ; implicit-def: $vgpr12
.LBB240_1528:
	s_delay_alu instid0(SALU_CYCLE_1)
	s_and_not1_b32 vcc_lo, exec_lo, s0
	s_cbranch_vccnz .LBB240_1530
; %bb.1529:
	global_load_b64 v[9:10], v[0:1], off
	s_waitcnt vmcnt(0)
	v_cvt_f16_f32_e32 v12, v9
	v_cvt_f16_f32_e32 v9, v10
.LBB240_1530:
	s_mov_b32 s0, 0
.LBB240_1531:
	s_delay_alu instid0(SALU_CYCLE_1)
	s_and_not1_b32 vcc_lo, exec_lo, s0
	s_cbranch_vccnz .LBB240_1533
; %bb.1532:
	global_load_b32 v12, v[0:1], off
	s_waitcnt vmcnt(0)
	v_lshrrev_b32_e32 v9, 16, v12
.LBB240_1533:
	s_mov_b32 s0, 0
.LBB240_1534:
	s_delay_alu instid0(SALU_CYCLE_1)
	s_and_not1_b32 vcc_lo, exec_lo, s0
	s_cbranch_vccnz .LBB240_1546
; %bb.1535:
	v_cmp_gt_i16_e32 vcc_lo, 6, v4
	s_cbranch_vccnz .LBB240_1538
; %bb.1536:
	v_cmp_lt_i16_e32 vcc_lo, 6, v4
	s_cbranch_vccz .LBB240_1539
; %bb.1537:
	global_load_b64 v[9:10], v[0:1], off
	s_mov_b32 s1, 0
	s_mov_b32 s0, 0
	s_waitcnt vmcnt(0)
	v_cvt_f32_f64_e32 v9, v[9:10]
	s_delay_alu instid0(VALU_DEP_1)
	v_cvt_f16_f32_e32 v12, v9
	s_branch .LBB240_1540
.LBB240_1538:
	s_mov_b32 s1, -1
                                        ; implicit-def: $sgpr0
                                        ; implicit-def: $vgpr12
	s_branch .LBB240_1543
.LBB240_1539:
	s_mov_b32 s1, -1
                                        ; implicit-def: $sgpr0
                                        ; implicit-def: $vgpr12
.LBB240_1540:
	s_delay_alu instid0(SALU_CYCLE_1)
	s_and_not1_b32 vcc_lo, exec_lo, s1
	s_cbranch_vccnz .LBB240_1542
; %bb.1541:
	global_load_b32 v9, v[0:1], off
	s_mov_b32 s0, 0
	s_waitcnt vmcnt(0)
	v_cvt_f16_f32_e32 v12, v9
.LBB240_1542:
	s_mov_b32 s1, 0
.LBB240_1543:
	s_delay_alu instid0(SALU_CYCLE_1)
	s_and_not1_b32 vcc_lo, exec_lo, s1
	s_cbranch_vccnz .LBB240_1545
; %bb.1544:
	global_load_u16 v12, v[0:1], off
	s_mov_b32 s0, 0
.LBB240_1545:
	s_delay_alu instid0(SALU_CYCLE_1)
	v_mov_b32_e32 v9, s0
.LBB240_1546:
	s_mov_b32 s0, 0
.LBB240_1547:
	s_delay_alu instid0(SALU_CYCLE_1)
	s_and_not1_b32 vcc_lo, exec_lo, s0
	s_cbranch_vccnz .LBB240_1568
; %bb.1548:
	v_cmp_gt_i16_e32 vcc_lo, 2, v4
	s_cbranch_vccnz .LBB240_1552
; %bb.1549:
	v_cmp_gt_i16_e32 vcc_lo, 3, v4
	s_cbranch_vccnz .LBB240_1553
; %bb.1550:
	v_cmp_lt_i16_e32 vcc_lo, 3, v4
	s_cbranch_vccz .LBB240_1554
; %bb.1551:
	global_load_b64 v[9:10], v[0:1], off
	s_mov_b32 s1, 0
	s_mov_b32 s0, 0
	s_waitcnt vmcnt(0)
	v_xor_b32_e32 v12, v9, v10
	v_cls_i32_e32 v13, v10
	s_delay_alu instid0(VALU_DEP_2) | instskip(NEXT) | instid1(VALU_DEP_2)
	v_ashrrev_i32_e32 v12, 31, v12
	v_add_nc_u32_e32 v13, -1, v13
	s_delay_alu instid0(VALU_DEP_2) | instskip(NEXT) | instid1(VALU_DEP_1)
	v_add_nc_u32_e32 v12, 32, v12
	v_min_u32_e32 v12, v13, v12
	s_delay_alu instid0(VALU_DEP_1) | instskip(NEXT) | instid1(VALU_DEP_1)
	v_lshlrev_b64 v[9:10], v12, v[9:10]
	v_min_u32_e32 v9, 1, v9
	s_delay_alu instid0(VALU_DEP_1) | instskip(SKIP_1) | instid1(VALU_DEP_2)
	v_or_b32_e32 v9, v10, v9
	v_sub_nc_u32_e32 v10, 32, v12
	v_cvt_f32_i32_e32 v9, v9
	s_delay_alu instid0(VALU_DEP_1) | instskip(NEXT) | instid1(VALU_DEP_1)
	v_ldexp_f32 v9, v9, v10
	v_cvt_f16_f32_e32 v12, v9
	s_branch .LBB240_1555
.LBB240_1552:
	s_mov_b32 s1, -1
                                        ; implicit-def: $sgpr0
                                        ; implicit-def: $vgpr12
	s_branch .LBB240_1561
.LBB240_1553:
	s_mov_b32 s1, -1
                                        ; implicit-def: $sgpr0
                                        ; implicit-def: $vgpr12
	s_branch .LBB240_1558
.LBB240_1554:
	s_mov_b32 s1, -1
                                        ; implicit-def: $sgpr0
                                        ; implicit-def: $vgpr12
.LBB240_1555:
	s_delay_alu instid0(SALU_CYCLE_1)
	s_and_not1_b32 vcc_lo, exec_lo, s1
	s_cbranch_vccnz .LBB240_1557
; %bb.1556:
	global_load_b32 v9, v[0:1], off
	s_mov_b32 s0, 0
	s_waitcnt vmcnt(0)
	v_cvt_f32_i32_e32 v9, v9
	s_delay_alu instid0(VALU_DEP_1)
	v_cvt_f16_f32_e32 v12, v9
.LBB240_1557:
	s_mov_b32 s1, 0
.LBB240_1558:
	s_delay_alu instid0(SALU_CYCLE_1)
	s_and_not1_b32 vcc_lo, exec_lo, s1
	s_cbranch_vccnz .LBB240_1560
; %bb.1559:
	global_load_u16 v9, v[0:1], off
	s_mov_b32 s0, 0
	s_waitcnt vmcnt(0)
	v_cvt_f16_i16_e32 v12, v9
.LBB240_1560:
	s_mov_b32 s1, 0
.LBB240_1561:
	s_delay_alu instid0(SALU_CYCLE_1)
	s_and_not1_b32 vcc_lo, exec_lo, s1
	s_cbranch_vccnz .LBB240_1567
; %bb.1562:
	v_cmp_lt_i16_e32 vcc_lo, 0, v4
	s_mov_b32 s1, 0
	s_cbranch_vccz .LBB240_1564
; %bb.1563:
	global_load_i8 v9, v[0:1], off
	s_mov_b32 s0, 0
	s_waitcnt vmcnt(0)
	v_cvt_f16_i16_e32 v12, v9
	s_branch .LBB240_1565
.LBB240_1564:
	s_mov_b32 s1, -1
                                        ; implicit-def: $sgpr0
                                        ; implicit-def: $vgpr12
.LBB240_1565:
	s_delay_alu instid0(SALU_CYCLE_1)
	s_and_not1_b32 vcc_lo, exec_lo, s1
	s_cbranch_vccnz .LBB240_1567
; %bb.1566:
	global_load_u8 v0, v[0:1], off
	s_mov_b32 s0, 0
	s_waitcnt vmcnt(0)
	v_cvt_f16_u16_e32 v12, v0
.LBB240_1567:
	v_mov_b32_e32 v9, s0
.LBB240_1568:
	s_branch .LBB240_1643
.LBB240_1569:
	s_trap 2
	s_sendmsg_rtn_b32 s0, sendmsg(MSG_RTN_GET_DOORBELL)
	s_mov_b32 ttmp2, m0
	s_waitcnt lgkmcnt(0)
	s_and_b32 s0, s0, 0x3ff
	s_delay_alu instid0(SALU_CYCLE_1) | instskip(NEXT) | instid1(SALU_CYCLE_1)
	s_bitset1_b32 s0, 10
	s_mov_b32 m0, s0
	s_sendmsg sendmsg(MSG_INTERRUPT)
	s_mov_b32 m0, ttmp2
.LBB240_1570:                           ; =>This Inner Loop Header: Depth=1
	s_sethalt 5
	s_branch .LBB240_1570
.LBB240_1571:
	s_mov_b32 s0, -1
	s_mov_b32 s11, 0
.LBB240_1572:
                                        ; implicit-def: $vgpr9
                                        ; implicit-def: $vgpr12
.LBB240_1573:
	s_and_b32 vcc_lo, exec_lo, s12
	s_cbranch_vccz .LBB240_1578
; %bb.1574:
	v_cmp_eq_u16_e32 vcc_lo, 44, v4
	s_cbranch_vccz .LBB240_1576
; %bb.1575:
	global_load_u8 v9, v[0:1], off
	s_mov_b32 s0, 0
	s_mov_b32 s11, -1
	s_waitcnt vmcnt(0)
	v_lshlrev_b32_e32 v10, 23, v9
	v_cmp_ne_u32_e32 vcc_lo, 0xff, v9
	s_delay_alu instid0(VALU_DEP_2) | instskip(NEXT) | instid1(VALU_DEP_1)
	v_cvt_f16_f32_e32 v10, v10
	v_cndmask_b32_e32 v10, 0x7e00, v10, vcc_lo
	v_cmp_ne_u32_e32 vcc_lo, 0, v9
	s_delay_alu instid0(VALU_DEP_2)
	v_cndmask_b32_e32 v12, 0, v10, vcc_lo
	s_branch .LBB240_1577
.LBB240_1576:
	s_mov_b32 s0, -1
                                        ; implicit-def: $vgpr12
.LBB240_1577:
	s_delay_alu instid0(SALU_CYCLE_1)
	v_mov_b32_e32 v9, s0
.LBB240_1578:
	s_mov_b32 s12, 0
.LBB240_1579:
	s_delay_alu instid0(SALU_CYCLE_1)
	s_and_b32 vcc_lo, exec_lo, s12
	s_cbranch_vccz .LBB240_1584
; %bb.1580:
	v_cmp_eq_u16_e32 vcc_lo, 29, v4
	s_cbranch_vccz .LBB240_1582
; %bb.1581:
	global_load_b64 v[9:10], v[0:1], off
	s_mov_b32 s0, 0
	s_mov_b32 s11, -1
	s_mov_b32 s12, 0
	s_waitcnt vmcnt(0)
	v_clz_i32_u32_e32 v12, v10
	s_delay_alu instid0(VALU_DEP_1) | instskip(NEXT) | instid1(VALU_DEP_1)
	v_min_u32_e32 v12, 32, v12
	v_lshlrev_b64 v[9:10], v12, v[9:10]
	s_delay_alu instid0(VALU_DEP_1) | instskip(NEXT) | instid1(VALU_DEP_1)
	v_min_u32_e32 v9, 1, v9
	v_or_b32_e32 v9, v10, v9
	v_sub_nc_u32_e32 v10, 32, v12
	s_delay_alu instid0(VALU_DEP_2) | instskip(NEXT) | instid1(VALU_DEP_1)
	v_cvt_f32_u32_e32 v9, v9
	v_ldexp_f32 v9, v9, v10
	s_delay_alu instid0(VALU_DEP_1)
	v_cvt_f16_f32_e32 v12, v9
	s_branch .LBB240_1583
.LBB240_1582:
	s_mov_b32 s0, -1
                                        ; implicit-def: $sgpr12
                                        ; implicit-def: $vgpr12
.LBB240_1583:
	v_mov_b32_e32 v9, s12
.LBB240_1584:
	s_mov_b32 s12, 0
.LBB240_1585:
	s_delay_alu instid0(SALU_CYCLE_1)
	s_and_b32 vcc_lo, exec_lo, s12
	s_cbranch_vccz .LBB240_1605
; %bb.1586:
	v_cmp_gt_i16_e32 vcc_lo, 27, v4
	s_cbranch_vccnz .LBB240_1589
; %bb.1587:
	v_cmp_lt_i16_e32 vcc_lo, 27, v4
	s_cbranch_vccz .LBB240_1590
; %bb.1588:
	global_load_b32 v9, v[0:1], off
	s_mov_b32 s12, 0
	s_mov_b32 s11, 0
	s_waitcnt vmcnt(0)
	v_cvt_f32_u32_e32 v9, v9
	s_delay_alu instid0(VALU_DEP_1)
	v_cvt_f16_f32_e32 v12, v9
	s_branch .LBB240_1591
.LBB240_1589:
	s_mov_b32 s12, -1
                                        ; implicit-def: $sgpr11
                                        ; implicit-def: $vgpr12
	s_branch .LBB240_1594
.LBB240_1590:
	s_mov_b32 s12, -1
                                        ; implicit-def: $sgpr11
                                        ; implicit-def: $vgpr12
.LBB240_1591:
	s_delay_alu instid0(SALU_CYCLE_1)
	s_and_not1_b32 vcc_lo, exec_lo, s12
	s_cbranch_vccnz .LBB240_1593
; %bb.1592:
	global_load_u16 v9, v[0:1], off
	s_mov_b32 s11, 0
	s_waitcnt vmcnt(0)
	v_cvt_f16_u16_e32 v12, v9
.LBB240_1593:
	s_mov_b32 s12, 0
.LBB240_1594:
	v_mov_b32_e32 v9, s11
	s_and_not1_b32 vcc_lo, exec_lo, s12
	s_cbranch_vccnz .LBB240_1604
; %bb.1595:
	global_load_u8 v10, v[0:1], off
	s_mov_b32 s11, 0
	s_mov_b32 s14, exec_lo
                                        ; implicit-def: $sgpr13
                                        ; implicit-def: $sgpr12
	s_waitcnt vmcnt(0)
	v_cmpx_lt_i16_e32 0x7f, v10
	s_xor_b32 s14, exec_lo, s14
	s_cbranch_execz .LBB240_1599
; %bb.1596:
	s_mov_b32 s11, -1
	s_mov_b32 s15, exec_lo
                                        ; implicit-def: $sgpr13
                                        ; implicit-def: $sgpr12
	v_cmpx_eq_u16_e32 0x80, v10
; %bb.1597:
	s_movk_i32 s12, 0x7e00
	s_mov_b32 s13, 0
	s_xor_b32 s11, exec_lo, -1
; %bb.1598:
	s_or_b32 exec_lo, exec_lo, s15
	s_delay_alu instid0(SALU_CYCLE_1)
	s_and_b32 s11, s11, exec_lo
.LBB240_1599:
	s_or_saveexec_b32 s14, s14
	v_dual_mov_b32 v9, s13 :: v_dual_mov_b32 v12, s12
	s_xor_b32 exec_lo, exec_lo, s14
; %bb.1600:
	v_cmp_ne_u16_e32 vcc_lo, 0, v10
	v_dual_mov_b32 v9, 0 :: v_dual_mov_b32 v12, v10
	s_and_not1_b32 s11, s11, exec_lo
	s_and_b32 s12, vcc_lo, exec_lo
	s_delay_alu instid0(SALU_CYCLE_1)
	s_or_b32 s11, s11, s12
; %bb.1601:
	s_or_b32 exec_lo, exec_lo, s14
	s_and_saveexec_b32 s12, s11
	s_cbranch_execz .LBB240_1603
; %bb.1602:
	v_and_b32_e32 v9, 0xffff, v10
	v_lshlrev_b32_e32 v10, 24, v10
	s_delay_alu instid0(VALU_DEP_2) | instskip(NEXT) | instid1(VALU_DEP_2)
	v_and_b32_e32 v12, 7, v9
	v_and_b32_e32 v10, 0x80000000, v10
	s_delay_alu instid0(VALU_DEP_2) | instskip(NEXT) | instid1(VALU_DEP_1)
	v_clz_i32_u32_e32 v13, v12
	v_min_u32_e32 v13, 32, v13
	s_delay_alu instid0(VALU_DEP_1) | instskip(SKIP_1) | instid1(VALU_DEP_2)
	v_subrev_nc_u32_e32 v14, 28, v13
	v_sub_nc_u32_e32 v13, 29, v13
	v_lshlrev_b32_e32 v14, v14, v9
	v_bfe_u32 v9, v9, 3, 4
	s_delay_alu instid0(VALU_DEP_1) | instskip(NEXT) | instid1(VALU_DEP_3)
	v_cmp_eq_u32_e32 vcc_lo, 0, v9
	v_dual_cndmask_b32 v9, v9, v13 :: v_dual_and_b32 v14, 7, v14
	s_delay_alu instid0(VALU_DEP_1) | instskip(NEXT) | instid1(VALU_DEP_2)
	v_cndmask_b32_e32 v12, v12, v14, vcc_lo
	v_lshl_add_u32 v9, v9, 23, 0x3b800000
	s_delay_alu instid0(VALU_DEP_2) | instskip(NEXT) | instid1(VALU_DEP_1)
	v_lshlrev_b32_e32 v12, 20, v12
	v_or3_b32 v9, v10, v9, v12
	s_delay_alu instid0(VALU_DEP_1)
	v_cvt_f16_f32_e32 v12, v9
	v_mov_b32_e32 v9, 0
.LBB240_1603:
	s_or_b32 exec_lo, exec_lo, s12
.LBB240_1604:
	s_mov_b32 s11, -1
.LBB240_1605:
	s_mov_b32 s12, 0
.LBB240_1606:
	s_delay_alu instid0(SALU_CYCLE_1)
	s_and_b32 vcc_lo, exec_lo, s12
	s_cbranch_vccz .LBB240_1638
; %bb.1607:
	v_cmp_lt_i16_e32 vcc_lo, 22, v4
	s_cbranch_vccz .LBB240_1619
; %bb.1608:
	v_cmp_gt_i16_e32 vcc_lo, 24, v4
	s_cbranch_vccnz .LBB240_1620
; %bb.1609:
	v_cmp_lt_i16_e32 vcc_lo, 24, v4
	s_cbranch_vccz .LBB240_1621
; %bb.1610:
	global_load_u8 v10, v[0:1], off
	s_mov_b32 s13, exec_lo
                                        ; implicit-def: $sgpr12
                                        ; implicit-def: $sgpr11
	s_waitcnt vmcnt(0)
	v_cmpx_lt_i16_e32 0x7f, v10
	s_xor_b32 s13, exec_lo, s13
	s_cbranch_execz .LBB240_1614
; %bb.1611:
	s_mov_b32 s1, -1
	s_mov_b32 s14, exec_lo
                                        ; implicit-def: $sgpr12
                                        ; implicit-def: $sgpr11
	v_cmpx_eq_u16_e32 0x80, v10
; %bb.1612:
	s_movk_i32 s11, 0x7e00
	s_mov_b32 s12, 0
	s_xor_b32 s1, exec_lo, -1
; %bb.1613:
	s_or_b32 exec_lo, exec_lo, s14
	s_delay_alu instid0(SALU_CYCLE_1)
	s_and_b32 s1, s1, exec_lo
.LBB240_1614:
	s_or_saveexec_b32 s13, s13
	v_dual_mov_b32 v9, s12 :: v_dual_mov_b32 v12, s11
	s_xor_b32 exec_lo, exec_lo, s13
; %bb.1615:
	v_cmp_ne_u16_e32 vcc_lo, 0, v10
	v_dual_mov_b32 v9, 0 :: v_dual_mov_b32 v12, v10
	s_and_not1_b32 s1, s1, exec_lo
	s_and_b32 s11, vcc_lo, exec_lo
	s_delay_alu instid0(SALU_CYCLE_1)
	s_or_b32 s1, s1, s11
; %bb.1616:
	s_or_b32 exec_lo, exec_lo, s13
	s_and_saveexec_b32 s11, s1
	s_cbranch_execz .LBB240_1618
; %bb.1617:
	v_and_b32_e32 v9, 0xffff, v10
	v_lshlrev_b32_e32 v10, 24, v10
	s_delay_alu instid0(VALU_DEP_2) | instskip(NEXT) | instid1(VALU_DEP_2)
	v_and_b32_e32 v12, 3, v9
	v_and_b32_e32 v10, 0x80000000, v10
	s_delay_alu instid0(VALU_DEP_2) | instskip(NEXT) | instid1(VALU_DEP_1)
	v_clz_i32_u32_e32 v13, v12
	v_min_u32_e32 v13, 32, v13
	s_delay_alu instid0(VALU_DEP_1) | instskip(SKIP_1) | instid1(VALU_DEP_2)
	v_subrev_nc_u32_e32 v14, 29, v13
	v_sub_nc_u32_e32 v13, 30, v13
	v_lshlrev_b32_e32 v14, v14, v9
	v_bfe_u32 v9, v9, 2, 5
	s_delay_alu instid0(VALU_DEP_1) | instskip(NEXT) | instid1(VALU_DEP_3)
	v_cmp_eq_u32_e32 vcc_lo, 0, v9
	v_dual_cndmask_b32 v9, v9, v13 :: v_dual_and_b32 v14, 3, v14
	s_delay_alu instid0(VALU_DEP_1) | instskip(NEXT) | instid1(VALU_DEP_2)
	v_cndmask_b32_e32 v12, v12, v14, vcc_lo
	v_lshl_add_u32 v9, v9, 23, 0x37800000
	s_delay_alu instid0(VALU_DEP_2) | instskip(NEXT) | instid1(VALU_DEP_1)
	v_lshlrev_b32_e32 v12, 21, v12
	v_or3_b32 v9, v10, v9, v12
	s_delay_alu instid0(VALU_DEP_1)
	v_cvt_f16_f32_e32 v12, v9
	v_mov_b32_e32 v9, 0
.LBB240_1618:
	s_or_b32 exec_lo, exec_lo, s11
	s_mov_b32 s1, 0
	s_branch .LBB240_1622
.LBB240_1619:
	s_mov_b32 s1, -1
                                        ; implicit-def: $vgpr9
                                        ; implicit-def: $vgpr12
	s_branch .LBB240_1628
.LBB240_1620:
	s_mov_b32 s1, -1
                                        ; implicit-def: $vgpr9
                                        ; implicit-def: $vgpr12
	s_branch .LBB240_1625
.LBB240_1621:
	s_mov_b32 s1, -1
                                        ; implicit-def: $vgpr9
                                        ; implicit-def: $vgpr12
.LBB240_1622:
	s_delay_alu instid0(SALU_CYCLE_1)
	s_and_b32 vcc_lo, exec_lo, s1
	s_cbranch_vccz .LBB240_1624
; %bb.1623:
	global_load_u8 v9, v[0:1], off
	s_waitcnt vmcnt(0)
	v_lshlrev_b32_e32 v9, 24, v9
	s_delay_alu instid0(VALU_DEP_1) | instskip(NEXT) | instid1(VALU_DEP_1)
	v_and_b32_e32 v10, 0x7f000000, v9
	v_clz_i32_u32_e32 v12, v10
	v_add_nc_u32_e32 v14, 0x1000000, v10
	v_cmp_ne_u32_e32 vcc_lo, 0, v10
	s_delay_alu instid0(VALU_DEP_3) | instskip(NEXT) | instid1(VALU_DEP_1)
	v_min_u32_e32 v12, 32, v12
	v_sub_nc_u32_e64 v12, v12, 4 clamp
	s_delay_alu instid0(VALU_DEP_1) | instskip(SKIP_1) | instid1(VALU_DEP_2)
	v_lshlrev_b32_e32 v13, v12, v10
	v_lshlrev_b32_e32 v12, 23, v12
	v_lshrrev_b32_e32 v13, 4, v13
	s_delay_alu instid0(VALU_DEP_1) | instskip(SKIP_1) | instid1(VALU_DEP_2)
	v_sub_nc_u32_e32 v12, v13, v12
	v_ashrrev_i32_e32 v13, 8, v14
	v_add_nc_u32_e32 v12, 0x3c000000, v12
	s_delay_alu instid0(VALU_DEP_1) | instskip(NEXT) | instid1(VALU_DEP_1)
	v_and_or_b32 v12, 0x7f800000, v13, v12
	v_cndmask_b32_e32 v10, 0, v12, vcc_lo
	s_delay_alu instid0(VALU_DEP_1) | instskip(NEXT) | instid1(VALU_DEP_1)
	v_and_or_b32 v9, 0x80000000, v9, v10
	v_cvt_f16_f32_e32 v12, v9
	v_mov_b32_e32 v9, 0
.LBB240_1624:
	s_mov_b32 s1, 0
.LBB240_1625:
	s_delay_alu instid0(SALU_CYCLE_1)
	s_and_not1_b32 vcc_lo, exec_lo, s1
	s_cbranch_vccnz .LBB240_1627
; %bb.1626:
	global_load_u8 v9, v[0:1], off
	s_waitcnt vmcnt(0)
	v_lshlrev_b32_e32 v10, 25, v9
	v_lshlrev_b16 v9, 8, v9
	s_delay_alu instid0(VALU_DEP_2) | instskip(NEXT) | instid1(VALU_DEP_2)
	v_lshrrev_b32_e32 v12, 4, v10
	v_and_or_b32 v13, 0x7f00, v9, 0.5
	v_cmp_gt_u32_e32 vcc_lo, 0x8000000, v10
	v_bfe_i32 v9, v9, 0, 16
	s_delay_alu instid0(VALU_DEP_4) | instskip(NEXT) | instid1(VALU_DEP_1)
	v_or_b32_e32 v12, 0x70000000, v12
	v_dual_add_f32 v13, -0.5, v13 :: v_dual_mul_f32 v12, 0x7800000, v12
	s_delay_alu instid0(VALU_DEP_1) | instskip(NEXT) | instid1(VALU_DEP_1)
	v_cndmask_b32_e32 v10, v12, v13, vcc_lo
	v_and_or_b32 v9, 0x80000000, v9, v10
	s_delay_alu instid0(VALU_DEP_1)
	v_cvt_f16_f32_e32 v12, v9
	v_mov_b32_e32 v9, 0
.LBB240_1627:
	s_mov_b32 s1, 0
	s_mov_b32 s11, -1
.LBB240_1628:
	s_and_not1_b32 vcc_lo, exec_lo, s1
	s_mov_b32 s1, 0
	s_cbranch_vccnz .LBB240_1638
; %bb.1629:
	v_cmp_lt_i16_e32 vcc_lo, 14, v4
	s_cbranch_vccz .LBB240_1632
; %bb.1630:
	v_cmp_eq_u16_e32 vcc_lo, 15, v4
	s_cbranch_vccz .LBB240_1633
; %bb.1631:
	global_load_u16 v9, v[0:1], off
	s_mov_b32 s0, 0
	s_mov_b32 s11, -1
	s_mov_b32 s12, 0
	s_waitcnt vmcnt(0)
	v_lshlrev_b32_e32 v9, 16, v9
	s_delay_alu instid0(VALU_DEP_1)
	v_cvt_f16_f32_e32 v12, v9
	s_branch .LBB240_1635
.LBB240_1632:
	s_mov_b32 s1, -1
	s_branch .LBB240_1634
.LBB240_1633:
	s_mov_b32 s0, -1
.LBB240_1634:
                                        ; implicit-def: $sgpr12
                                        ; implicit-def: $vgpr12
.LBB240_1635:
	s_and_b32 vcc_lo, exec_lo, s1
	s_mov_b32 s1, 0
	s_cbranch_vccz .LBB240_1637
; %bb.1636:
	v_cmp_ne_u16_e64 s0, 11, v4
	s_mov_b32 s1, -1
                                        ; implicit-def: $sgpr12
                                        ; implicit-def: $vgpr12
.LBB240_1637:
	v_mov_b32_e32 v9, s12
.LBB240_1638:
	s_delay_alu instid0(VALU_DEP_2)
	s_and_b32 vcc_lo, exec_lo, s0
	s_cbranch_vccnz .LBB240_1684
; %bb.1639:
	s_and_not1_b32 vcc_lo, exec_lo, s1
	s_cbranch_vccnz .LBB240_1641
.LBB240_1640:
	global_load_u8 v9, v[0:1], off
	s_mov_b32 s11, -1
	s_waitcnt vmcnt(0)
	v_cmp_ne_u16_e32 vcc_lo, 0, v9
	v_mov_b32_e32 v9, 0
	v_cndmask_b32_e64 v12, 0, 0x3c00, vcc_lo
.LBB240_1641:
.LBB240_1642:
	s_and_not1_b32 vcc_lo, exec_lo, s11
	s_cbranch_vccnz .LBB240_2275
.LBB240_1643:
	s_waitcnt vmcnt(0)
	s_delay_alu instid0(VALU_DEP_1) | instskip(NEXT) | instid1(VALU_DEP_2)
	v_cmp_neq_f16_e32 vcc_lo, 0, v12
	v_cmp_neq_f16_e64 s0, 0, v9
	v_cvt_f32_f16_e32 v9, v9
	v_mov_b32_e32 v10, 0
	s_delay_alu instid0(VALU_DEP_3) | instskip(NEXT) | instid1(SALU_CYCLE_1)
	s_or_b32 s0, vcc_lo, s0
	s_and_saveexec_b32 s11, s0
	s_cbranch_execz .LBB240_1673
; %bb.1644:
	v_mov_b32_e32 v10, 0x7f800000
	s_mov_b32 s12, exec_lo
	v_cmpx_neq_f32_e64 0x7f800000, |v9|
	s_cbranch_execz .LBB240_1672
; %bb.1645:
	v_cvt_f32_f16_e32 v10, v12
	s_mov_b32 s0, exec_lo
	v_cmpx_o_f16_e32 v12, v12
	s_xor_b32 s13, exec_lo, s0
	s_cbranch_execz .LBB240_1669
; %bb.1646:
	s_mov_b32 s1, exec_lo
	v_cmpx_neq_f32_e64 0x7f800000, |v10|
	s_xor_b32 s14, exec_lo, s1
	s_cbranch_execz .LBB240_1662
; %bb.1647:
	v_max_f32_e64 v0, |v9|, |v9|
	v_max_f32_e64 v1, |v10|, |v10|
                                        ; implicit-def: $sgpr15
	s_delay_alu instid0(VALU_DEP_1) | instskip(NEXT) | instid1(VALU_DEP_1)
	v_max_f32_e32 v0, v1, v0
	v_cmp_nle_f32_e64 s0, 0x7ed413cb, v0
	s_delay_alu instid0(VALU_DEP_1) | instskip(NEXT) | instid1(SALU_CYCLE_1)
	s_and_saveexec_b32 s1, s0
	s_xor_b32 s1, exec_lo, s1
	s_cbranch_execz .LBB240_1651
; %bb.1648:
	v_cmp_ge_f32_e64 s15, 0x1000000, |v10|
	v_cmp_ge_f32_e64 s16, 0x1000000, |v9|
	s_delay_alu instid0(VALU_DEP_1)
	s_and_b32 s17, s15, s16
	s_mov_b32 s15, 0
	s_and_saveexec_b32 s16, s17
; %bb.1649:
	v_dual_mul_f32 v10, 4.0, v10 :: v_dual_mul_f32 v9, 4.0, v9
	s_mov_b32 s15, exec_lo
; %bb.1650:
	s_or_b32 exec_lo, exec_lo, s16
	s_delay_alu instid0(SALU_CYCLE_1)
	s_and_b32 s15, s15, exec_lo
.LBB240_1651:
	s_and_not1_saveexec_b32 s1, s1
; %bb.1652:
	v_dual_mul_f32 v10, 0x3e800000, v10 :: v_dual_mul_f32 v9, 0x3e800000, v9
	s_and_not1_b32 s15, s15, exec_lo
; %bb.1653:
	s_or_b32 exec_lo, exec_lo, s1
	s_delay_alu instid0(VALU_DEP_1) | instskip(NEXT) | instid1(VALU_DEP_2)
	v_max_f32_e64 v0, |v9|, |v9|
	v_max_f32_e64 v1, |v10|, |v10|
	s_delay_alu instid0(VALU_DEP_1) | instskip(NEXT) | instid1(VALU_DEP_1)
	v_max_f32_e32 v12, v1, v0
	v_cvt_f64_f32_e32 v[0:1], v12
	v_cmp_neq_f32_e64 s1, 0x7f800000, v12
	s_delay_alu instid0(VALU_DEP_2) | instskip(NEXT) | instid1(VALU_DEP_1)
	v_frexp_exp_i32_f64_e32 v0, v[0:1]
	v_sub_nc_u32_e32 v1, 0, v0
	s_delay_alu instid0(VALU_DEP_1) | instskip(SKIP_1) | instid1(VALU_DEP_2)
	v_ldexp_f32 v13, |v9|, v1
	v_ldexp_f32 v1, |v10|, v1
	v_mul_f32_e32 v13, v13, v13
	s_delay_alu instid0(VALU_DEP_1) | instskip(NEXT) | instid1(VALU_DEP_1)
	v_fmac_f32_e32 v13, v1, v1
	v_sqrt_f32_e32 v1, v13
	s_waitcnt_depctr 0xfff
	v_ldexp_f32 v0, v1, v0
                                        ; implicit-def: $vgpr1
	s_delay_alu instid0(VALU_DEP_1)
	v_cndmask_b32_e64 v12, 0x7f800000, v0, s1
                                        ; implicit-def: $vgpr0
	s_mov_b32 s1, exec_lo
	v_cmpx_le_f32_e32 0, v10
	s_xor_b32 s16, exec_lo, s1
	s_cbranch_execz .LBB240_1655
; %bb.1654:
	v_add_f32_e32 v0, v10, v12
	s_delay_alu instid0(VALU_DEP_1) | instskip(NEXT) | instid1(VALU_DEP_1)
	v_mul_f32_e32 v0, 0.5, v0
	v_mul_f32_e32 v1, 0x4f800000, v0
	v_cmp_gt_f32_e32 vcc_lo, 0xf800000, v0
	s_delay_alu instid0(VALU_DEP_2) | instskip(NEXT) | instid1(VALU_DEP_1)
	v_cndmask_b32_e32 v0, v0, v1, vcc_lo
	v_sqrt_f32_e32 v1, v0
	s_waitcnt_depctr 0xfff
	v_add_nc_u32_e32 v10, -1, v1
	v_add_nc_u32_e32 v12, 1, v1
	s_delay_alu instid0(VALU_DEP_2) | instskip(NEXT) | instid1(VALU_DEP_2)
	v_fma_f32 v13, -v10, v1, v0
	v_fma_f32 v14, -v12, v1, v0
	s_delay_alu instid0(VALU_DEP_2) | instskip(NEXT) | instid1(VALU_DEP_1)
	v_cmp_ge_f32_e64 s1, 0, v13
	v_cndmask_b32_e64 v1, v1, v10, s1
	s_delay_alu instid0(VALU_DEP_3) | instskip(NEXT) | instid1(VALU_DEP_1)
	v_cmp_lt_f32_e64 s1, 0, v14
	v_cndmask_b32_e64 v1, v1, v12, s1
	s_delay_alu instid0(VALU_DEP_1) | instskip(NEXT) | instid1(VALU_DEP_1)
	v_mul_f32_e32 v10, 0x37800000, v1
	v_cndmask_b32_e32 v1, v1, v10, vcc_lo
	v_cmp_class_f32_e64 vcc_lo, v0, 0x260
	s_delay_alu instid0(VALU_DEP_2) | instskip(NEXT) | instid1(VALU_DEP_1)
	v_cndmask_b32_e32 v0, v1, v0, vcc_lo
	v_add_f32_e32 v1, v0, v0
	s_delay_alu instid0(VALU_DEP_1) | instskip(NEXT) | instid1(VALU_DEP_1)
	v_div_scale_f32 v10, null, v1, v1, v9
	v_rcp_f32_e32 v12, v10
	s_waitcnt_depctr 0xfff
	v_fma_f32 v13, -v10, v12, 1.0
	s_delay_alu instid0(VALU_DEP_1) | instskip(SKIP_1) | instid1(VALU_DEP_1)
	v_fmac_f32_e32 v12, v13, v12
	v_div_scale_f32 v13, vcc_lo, v9, v1, v9
	v_mul_f32_e32 v14, v13, v12
	s_delay_alu instid0(VALU_DEP_1) | instskip(NEXT) | instid1(VALU_DEP_1)
	v_fma_f32 v15, -v10, v14, v13
	v_fmac_f32_e32 v14, v15, v12
	s_delay_alu instid0(VALU_DEP_1) | instskip(NEXT) | instid1(VALU_DEP_1)
	v_fma_f32 v10, -v10, v14, v13
	v_div_fmas_f32 v10, v10, v12, v14
                                        ; implicit-def: $vgpr12
	s_delay_alu instid0(VALU_DEP_1)
	v_div_fixup_f32 v1, v10, v1, v9
                                        ; implicit-def: $vgpr10
                                        ; implicit-def: $vgpr9
	s_and_not1_saveexec_b32 s16, s16
	s_cbranch_execz .LBB240_1657
	s_branch .LBB240_1656
.LBB240_1655:
	s_and_not1_saveexec_b32 s16, s16
	s_cbranch_execz .LBB240_1657
.LBB240_1656:
	v_sub_f32_e32 v0, v12, v10
	s_delay_alu instid0(VALU_DEP_1) | instskip(NEXT) | instid1(VALU_DEP_1)
	v_mul_f32_e32 v0, 0.5, v0
	v_mul_f32_e32 v1, 0x4f800000, v0
	v_cmp_gt_f32_e32 vcc_lo, 0xf800000, v0
	s_delay_alu instid0(VALU_DEP_2) | instskip(NEXT) | instid1(VALU_DEP_1)
	v_cndmask_b32_e32 v0, v0, v1, vcc_lo
	v_sqrt_f32_e32 v1, v0
	s_waitcnt_depctr 0xfff
	v_add_nc_u32_e32 v10, -1, v1
	v_add_nc_u32_e32 v12, 1, v1
	s_delay_alu instid0(VALU_DEP_2) | instskip(NEXT) | instid1(VALU_DEP_2)
	v_fma_f32 v13, -v10, v1, v0
	v_fma_f32 v14, -v12, v1, v0
	s_delay_alu instid0(VALU_DEP_2) | instskip(NEXT) | instid1(VALU_DEP_1)
	v_cmp_ge_f32_e64 s1, 0, v13
	v_cndmask_b32_e64 v1, v1, v10, s1
	s_delay_alu instid0(VALU_DEP_3) | instskip(NEXT) | instid1(VALU_DEP_1)
	v_cmp_lt_f32_e64 s1, 0, v14
	v_cndmask_b32_e64 v1, v1, v12, s1
	s_delay_alu instid0(VALU_DEP_1) | instskip(NEXT) | instid1(VALU_DEP_1)
	v_mul_f32_e32 v10, 0x37800000, v1
	v_cndmask_b32_e32 v1, v1, v10, vcc_lo
	v_cmp_class_f32_e64 vcc_lo, v0, 0x260
	s_delay_alu instid0(VALU_DEP_2) | instskip(NEXT) | instid1(VALU_DEP_1)
	v_dual_cndmask_b32 v1, v1, v0 :: v_dual_and_b32 v0, 0x7fffffff, v9
	v_add_f32_e32 v10, v1, v1
	v_bfi_b32 v1, 0x7fffffff, v1, v9
	s_delay_alu instid0(VALU_DEP_2) | instskip(SKIP_1) | instid1(VALU_DEP_2)
	v_div_scale_f32 v12, null, v10, v10, v0
	v_div_scale_f32 v0, vcc_lo, v0, v10, v0
	v_rcp_f32_e32 v13, v12
	s_waitcnt_depctr 0xfff
	v_fma_f32 v14, -v12, v13, 1.0
	s_delay_alu instid0(VALU_DEP_1) | instskip(NEXT) | instid1(VALU_DEP_1)
	v_fmac_f32_e32 v13, v14, v13
	v_mul_f32_e32 v14, v0, v13
	s_delay_alu instid0(VALU_DEP_1) | instskip(NEXT) | instid1(VALU_DEP_1)
	v_fma_f32 v15, -v12, v14, v0
	v_fmac_f32_e32 v14, v15, v13
	s_delay_alu instid0(VALU_DEP_1) | instskip(NEXT) | instid1(VALU_DEP_1)
	v_fma_f32 v0, -v12, v14, v0
	v_div_fmas_f32 v0, v0, v13, v14
	s_delay_alu instid0(VALU_DEP_1)
	v_div_fixup_f32 v0, v0, v10, |v9|
.LBB240_1657:
	s_or_b32 exec_lo, exec_lo, s16
                                        ; implicit-def: $vgpr9
                                        ; implicit-def: $vgpr10
	s_and_saveexec_b32 s1, s0
	s_delay_alu instid0(SALU_CYCLE_1)
	s_xor_b32 s0, exec_lo, s1
	s_cbranch_execz .LBB240_1659
; %bb.1658:
	v_dual_mul_f32 v9, 0.5, v0 :: v_dual_mul_f32 v12, 0.5, v1
	s_delay_alu instid0(VALU_DEP_1) | instskip(NEXT) | instid1(VALU_DEP_2)
	v_cndmask_b32_e64 v10, v0, v9, s15
	v_cndmask_b32_e64 v9, v1, v12, s15
                                        ; implicit-def: $vgpr0
                                        ; implicit-def: $vgpr1
	s_and_not1_saveexec_b32 s0, s0
	s_cbranch_execnz .LBB240_1660
	s_branch .LBB240_1661
.LBB240_1659:
	s_and_not1_saveexec_b32 s0, s0
.LBB240_1660:
	v_dual_add_f32 v10, v0, v0 :: v_dual_add_f32 v9, v1, v1
.LBB240_1661:
	s_or_b32 exec_lo, exec_lo, s0
                                        ; implicit-def: $vgpr12
.LBB240_1662:
	s_and_not1_saveexec_b32 s0, s14
	s_cbranch_execz .LBB240_1668
; %bb.1663:
	s_delay_alu instid0(VALU_DEP_1)
	v_sub_f32_e32 v0, v9, v9
	s_mov_b32 s1, exec_lo
	v_cmpx_lt_i16_e32 -1, v12
	s_xor_b32 s1, exec_lo, s1
; %bb.1664:
	s_delay_alu instid0(VALU_DEP_2)
	v_bfi_b32 v9, 0x7fffffff, v0, v9
                                        ; implicit-def: $vgpr0
; %bb.1665:
	s_and_not1_saveexec_b32 s1, s1
; %bb.1666:
	v_and_b32_e32 v0, 0x7fffffff, v0
	s_delay_alu instid0(VALU_DEP_2) | instskip(NEXT) | instid1(VALU_DEP_2)
	v_bfi_b32 v9, 0x7fffffff, v10, v9
	v_mov_b32_e32 v10, v0
; %bb.1667:
	s_or_b32 exec_lo, exec_lo, s1
.LBB240_1668:
	s_delay_alu instid0(SALU_CYCLE_1)
	s_or_b32 exec_lo, exec_lo, s0
.LBB240_1669:
	s_and_not1_saveexec_b32 s0, s13
; %bb.1670:
	v_sub_f32_e32 v0, v9, v9
	s_delay_alu instid0(VALU_DEP_1) | instskip(NEXT) | instid1(VALU_DEP_1)
	v_div_scale_f32 v1, vcc_lo, v0, v0, v0
	v_rcp_f32_e32 v9, v1
	s_waitcnt_depctr 0xfff
	v_fma_f32 v12, -v1, v9, 1.0
	s_delay_alu instid0(VALU_DEP_1) | instskip(NEXT) | instid1(VALU_DEP_1)
	v_fmac_f32_e32 v9, v12, v9
	v_mul_f32_e32 v12, v1, v9
	s_delay_alu instid0(VALU_DEP_1) | instskip(NEXT) | instid1(VALU_DEP_1)
	v_fma_f32 v13, -v1, v12, v1
	v_fmac_f32_e32 v12, v13, v9
	s_delay_alu instid0(VALU_DEP_1) | instskip(NEXT) | instid1(VALU_DEP_1)
	v_fma_f32 v1, -v1, v12, v1
	v_div_fmas_f32 v1, v1, v9, v12
	s_delay_alu instid0(VALU_DEP_1)
	v_div_fixup_f32 v9, v1, v0, v0
; %bb.1671:
	s_or_b32 exec_lo, exec_lo, s0
.LBB240_1672:
	s_delay_alu instid0(SALU_CYCLE_1)
	s_or_b32 exec_lo, exec_lo, s12
.LBB240_1673:
	s_delay_alu instid0(SALU_CYCLE_1) | instskip(SKIP_2) | instid1(VALU_DEP_2)
	s_or_b32 exec_lo, exec_lo, s11
	v_add_nc_u32_e32 v0, s3, v11
	v_cmp_gt_i16_e32 vcc_lo, 11, v4
	v_ashrrev_i32_e32 v1, 31, v0
	v_add_co_u32 v0, s0, s6, v0
	s_delay_alu instid0(VALU_DEP_1)
	v_add_co_ci_u32_e64 v1, s0, s7, v1, s0
	s_cbranch_vccnz .LBB240_1680
; %bb.1674:
	v_cmp_lt_i16_e32 vcc_lo, 25, v4
	s_mov_b32 s1, 0
	s_cbranch_vccz .LBB240_1681
; %bb.1675:
	v_cmp_lt_i16_e32 vcc_lo, 28, v4
	s_cbranch_vccz .LBB240_1682
; %bb.1676:
	v_cmp_lt_i16_e32 vcc_lo, 43, v4
	;; [unrolled: 3-line block ×3, first 2 shown]
	s_cbranch_vccz .LBB240_1686
; %bb.1678:
	v_cmp_eq_u16_e32 vcc_lo, 46, v4
	s_mov_b32 s6, 0
	s_cbranch_vccz .LBB240_1689
; %bb.1679:
	global_load_b32 v11, v[0:1], off
	s_mov_b32 s0, 0
	s_mov_b32 s3, -1
	s_waitcnt vmcnt(0)
	v_lshlrev_b32_e32 v12, 16, v11
	v_and_b32_e32 v11, 0xffff0000, v11
	s_delay_alu instid0(VALU_DEP_2) | instskip(NEXT) | instid1(VALU_DEP_2)
	v_cvt_f16_f32_e32 v12, v12
	v_cvt_f16_f32_e32 v11, v11
	s_branch .LBB240_1691
.LBB240_1680:
	s_mov_b32 s0, -1
	s_mov_b32 s3, 0
                                        ; implicit-def: $vgpr11
                                        ; implicit-def: $vgpr12
	s_branch .LBB240_1760
.LBB240_1681:
	s_mov_b32 s6, -1
	s_mov_b32 s3, 0
	s_mov_b32 s0, 0
                                        ; implicit-def: $vgpr11
                                        ; implicit-def: $vgpr12
	s_branch .LBB240_1724
.LBB240_1682:
	s_mov_b32 s6, -1
	s_mov_b32 s3, 0
	s_mov_b32 s0, 0
                                        ; implicit-def: $vgpr11
                                        ; implicit-def: $vgpr12
	s_branch .LBB240_1703
.LBB240_1683:
	s_mov_b32 s6, -1
	s_mov_b32 s3, 0
	s_mov_b32 s0, 0
                                        ; implicit-def: $vgpr11
                                        ; implicit-def: $vgpr12
	s_branch .LBB240_1697
.LBB240_1684:
	s_cbranch_execnz .LBB240_1687
; %bb.1685:
	s_or_b32 s8, s8, exec_lo
                                        ; implicit-def: $vgpr9
                                        ; implicit-def: $vgpr12
	s_cbranch_execz .LBB240_1640
	s_branch .LBB240_1641
.LBB240_1686:
	s_mov_b32 s6, -1
	s_mov_b32 s3, 0
	s_mov_b32 s0, 0
	s_branch .LBB240_1690
.LBB240_1687:
	s_trap 2
	s_sendmsg_rtn_b32 s0, sendmsg(MSG_RTN_GET_DOORBELL)
	s_mov_b32 ttmp2, m0
	s_waitcnt lgkmcnt(0)
	s_and_b32 s0, s0, 0x3ff
	s_delay_alu instid0(SALU_CYCLE_1) | instskip(NEXT) | instid1(SALU_CYCLE_1)
	s_bitset1_b32 s0, 10
	s_mov_b32 m0, s0
	s_sendmsg sendmsg(MSG_INTERRUPT)
	s_mov_b32 m0, ttmp2
.LBB240_1688:                           ; =>This Inner Loop Header: Depth=1
	s_sethalt 5
	s_branch .LBB240_1688
.LBB240_1689:
	s_mov_b32 s0, -1
	s_mov_b32 s3, 0
.LBB240_1690:
                                        ; implicit-def: $vgpr11
                                        ; implicit-def: $vgpr12
.LBB240_1691:
	s_and_b32 vcc_lo, exec_lo, s6
	s_cbranch_vccz .LBB240_1696
; %bb.1692:
	v_cmp_eq_u16_e32 vcc_lo, 44, v4
	s_cbranch_vccz .LBB240_1694
; %bb.1693:
	global_load_u8 v11, v[0:1], off
	s_mov_b32 s0, 0
	s_mov_b32 s3, -1
	s_waitcnt vmcnt(0)
	v_lshlrev_b32_e32 v12, 23, v11
	v_cmp_ne_u32_e32 vcc_lo, 0xff, v11
	s_delay_alu instid0(VALU_DEP_2) | instskip(NEXT) | instid1(VALU_DEP_1)
	v_cvt_f16_f32_e32 v12, v12
	v_cndmask_b32_e32 v12, 0x7e00, v12, vcc_lo
	v_cmp_ne_u32_e32 vcc_lo, 0, v11
	s_delay_alu instid0(VALU_DEP_2)
	v_cndmask_b32_e32 v12, 0, v12, vcc_lo
	s_branch .LBB240_1695
.LBB240_1694:
	s_mov_b32 s0, -1
                                        ; implicit-def: $vgpr12
.LBB240_1695:
	s_delay_alu instid0(SALU_CYCLE_1)
	v_mov_b32_e32 v11, s0
.LBB240_1696:
	s_mov_b32 s6, 0
.LBB240_1697:
	s_delay_alu instid0(SALU_CYCLE_1)
	s_and_b32 vcc_lo, exec_lo, s6
	s_cbranch_vccz .LBB240_1702
; %bb.1698:
	v_cmp_eq_u16_e32 vcc_lo, 29, v4
	s_cbranch_vccz .LBB240_1700
; %bb.1699:
	global_load_b64 v[11:12], v[0:1], off
	s_mov_b32 s0, 0
	s_mov_b32 s3, -1
	s_mov_b32 s6, 0
	s_waitcnt vmcnt(0)
	v_clz_i32_u32_e32 v13, v12
	s_delay_alu instid0(VALU_DEP_1) | instskip(NEXT) | instid1(VALU_DEP_1)
	v_min_u32_e32 v13, 32, v13
	v_lshlrev_b64 v[11:12], v13, v[11:12]
	s_delay_alu instid0(VALU_DEP_1) | instskip(NEXT) | instid1(VALU_DEP_1)
	v_min_u32_e32 v11, 1, v11
	v_or_b32_e32 v11, v12, v11
	v_sub_nc_u32_e32 v12, 32, v13
	s_delay_alu instid0(VALU_DEP_2) | instskip(NEXT) | instid1(VALU_DEP_1)
	v_cvt_f32_u32_e32 v11, v11
	v_ldexp_f32 v11, v11, v12
	s_delay_alu instid0(VALU_DEP_1)
	v_cvt_f16_f32_e32 v12, v11
	s_branch .LBB240_1701
.LBB240_1700:
	s_mov_b32 s0, -1
                                        ; implicit-def: $sgpr6
                                        ; implicit-def: $vgpr12
.LBB240_1701:
	v_mov_b32_e32 v11, s6
.LBB240_1702:
	s_mov_b32 s6, 0
.LBB240_1703:
	s_delay_alu instid0(SALU_CYCLE_1)
	s_and_b32 vcc_lo, exec_lo, s6
	s_cbranch_vccz .LBB240_1723
; %bb.1704:
	v_cmp_gt_i16_e32 vcc_lo, 27, v4
	s_cbranch_vccnz .LBB240_1707
; %bb.1705:
	v_cmp_lt_i16_e32 vcc_lo, 27, v4
	s_cbranch_vccz .LBB240_1708
; %bb.1706:
	global_load_b32 v11, v[0:1], off
	s_mov_b32 s6, 0
	s_mov_b32 s3, 0
	s_waitcnt vmcnt(0)
	v_cvt_f32_u32_e32 v11, v11
	s_delay_alu instid0(VALU_DEP_1)
	v_cvt_f16_f32_e32 v12, v11
	s_branch .LBB240_1709
.LBB240_1707:
	s_mov_b32 s6, -1
                                        ; implicit-def: $sgpr3
                                        ; implicit-def: $vgpr12
	s_branch .LBB240_1712
.LBB240_1708:
	s_mov_b32 s6, -1
                                        ; implicit-def: $sgpr3
                                        ; implicit-def: $vgpr12
.LBB240_1709:
	s_delay_alu instid0(SALU_CYCLE_1)
	s_and_not1_b32 vcc_lo, exec_lo, s6
	s_cbranch_vccnz .LBB240_1711
; %bb.1710:
	global_load_u16 v11, v[0:1], off
	s_mov_b32 s3, 0
	s_waitcnt vmcnt(0)
	v_cvt_f16_u16_e32 v12, v11
.LBB240_1711:
	s_mov_b32 s6, 0
.LBB240_1712:
	v_mov_b32_e32 v11, s3
	s_and_not1_b32 vcc_lo, exec_lo, s6
	s_cbranch_vccnz .LBB240_1722
; %bb.1713:
	global_load_u8 v13, v[0:1], off
	s_mov_b32 s3, 0
	s_mov_b32 s11, exec_lo
                                        ; implicit-def: $sgpr7
                                        ; implicit-def: $sgpr6
	s_waitcnt vmcnt(0)
	v_cmpx_lt_i16_e32 0x7f, v13
	s_xor_b32 s11, exec_lo, s11
	s_cbranch_execz .LBB240_1717
; %bb.1714:
	s_mov_b32 s3, -1
	s_mov_b32 s12, exec_lo
                                        ; implicit-def: $sgpr7
                                        ; implicit-def: $sgpr6
	v_cmpx_eq_u16_e32 0x80, v13
; %bb.1715:
	s_movk_i32 s6, 0x7e00
	s_mov_b32 s7, 0
	s_xor_b32 s3, exec_lo, -1
; %bb.1716:
	s_or_b32 exec_lo, exec_lo, s12
	s_delay_alu instid0(SALU_CYCLE_1)
	s_and_b32 s3, s3, exec_lo
.LBB240_1717:
	s_or_saveexec_b32 s11, s11
	v_dual_mov_b32 v11, s7 :: v_dual_mov_b32 v12, s6
	s_xor_b32 exec_lo, exec_lo, s11
; %bb.1718:
	v_cmp_ne_u16_e32 vcc_lo, 0, v13
	v_dual_mov_b32 v11, 0 :: v_dual_mov_b32 v12, v13
	s_and_not1_b32 s3, s3, exec_lo
	s_and_b32 s6, vcc_lo, exec_lo
	s_delay_alu instid0(SALU_CYCLE_1)
	s_or_b32 s3, s3, s6
; %bb.1719:
	s_or_b32 exec_lo, exec_lo, s11
	s_and_saveexec_b32 s6, s3
	s_cbranch_execz .LBB240_1721
; %bb.1720:
	v_and_b32_e32 v11, 0xffff, v13
	v_lshlrev_b32_e32 v13, 24, v13
	s_delay_alu instid0(VALU_DEP_2) | instskip(NEXT) | instid1(VALU_DEP_2)
	v_and_b32_e32 v12, 7, v11
	v_and_b32_e32 v13, 0x80000000, v13
	s_delay_alu instid0(VALU_DEP_2) | instskip(NEXT) | instid1(VALU_DEP_1)
	v_clz_i32_u32_e32 v14, v12
	v_min_u32_e32 v14, 32, v14
	s_delay_alu instid0(VALU_DEP_1) | instskip(SKIP_1) | instid1(VALU_DEP_2)
	v_subrev_nc_u32_e32 v15, 28, v14
	v_sub_nc_u32_e32 v14, 29, v14
	v_lshlrev_b32_e32 v15, v15, v11
	v_bfe_u32 v11, v11, 3, 4
	s_delay_alu instid0(VALU_DEP_2) | instskip(NEXT) | instid1(VALU_DEP_2)
	v_and_b32_e32 v15, 7, v15
	v_cmp_eq_u32_e32 vcc_lo, 0, v11
	s_delay_alu instid0(VALU_DEP_2) | instskip(NEXT) | instid1(VALU_DEP_1)
	v_dual_cndmask_b32 v11, v11, v14 :: v_dual_cndmask_b32 v12, v12, v15
	v_lshl_add_u32 v11, v11, 23, 0x3b800000
	s_delay_alu instid0(VALU_DEP_2) | instskip(NEXT) | instid1(VALU_DEP_1)
	v_lshlrev_b32_e32 v12, 20, v12
	v_or3_b32 v11, v13, v11, v12
	s_delay_alu instid0(VALU_DEP_1)
	v_cvt_f16_f32_e32 v12, v11
	v_mov_b32_e32 v11, 0
.LBB240_1721:
	s_or_b32 exec_lo, exec_lo, s6
.LBB240_1722:
	s_mov_b32 s3, -1
.LBB240_1723:
	s_mov_b32 s6, 0
.LBB240_1724:
	s_delay_alu instid0(SALU_CYCLE_1)
	s_and_b32 vcc_lo, exec_lo, s6
	s_cbranch_vccz .LBB240_1756
; %bb.1725:
	v_cmp_lt_i16_e32 vcc_lo, 22, v4
	s_cbranch_vccz .LBB240_1737
; %bb.1726:
	v_cmp_gt_i16_e32 vcc_lo, 24, v4
	s_cbranch_vccnz .LBB240_1738
; %bb.1727:
	v_cmp_lt_i16_e32 vcc_lo, 24, v4
	s_cbranch_vccz .LBB240_1739
; %bb.1728:
	global_load_u8 v13, v[0:1], off
	s_mov_b32 s7, exec_lo
                                        ; implicit-def: $sgpr6
                                        ; implicit-def: $sgpr3
	s_waitcnt vmcnt(0)
	v_cmpx_lt_i16_e32 0x7f, v13
	s_xor_b32 s7, exec_lo, s7
	s_cbranch_execz .LBB240_1732
; %bb.1729:
	s_mov_b32 s1, -1
	s_mov_b32 s11, exec_lo
                                        ; implicit-def: $sgpr6
                                        ; implicit-def: $sgpr3
	v_cmpx_eq_u16_e32 0x80, v13
; %bb.1730:
	s_movk_i32 s3, 0x7e00
	s_mov_b32 s6, 0
	s_xor_b32 s1, exec_lo, -1
; %bb.1731:
	s_or_b32 exec_lo, exec_lo, s11
	s_delay_alu instid0(SALU_CYCLE_1)
	s_and_b32 s1, s1, exec_lo
.LBB240_1732:
	s_or_saveexec_b32 s7, s7
	v_dual_mov_b32 v11, s6 :: v_dual_mov_b32 v12, s3
	s_xor_b32 exec_lo, exec_lo, s7
; %bb.1733:
	v_cmp_ne_u16_e32 vcc_lo, 0, v13
	v_dual_mov_b32 v11, 0 :: v_dual_mov_b32 v12, v13
	s_and_not1_b32 s1, s1, exec_lo
	s_and_b32 s3, vcc_lo, exec_lo
	s_delay_alu instid0(SALU_CYCLE_1)
	s_or_b32 s1, s1, s3
; %bb.1734:
	s_or_b32 exec_lo, exec_lo, s7
	s_and_saveexec_b32 s3, s1
	s_cbranch_execz .LBB240_1736
; %bb.1735:
	v_and_b32_e32 v11, 0xffff, v13
	v_lshlrev_b32_e32 v13, 24, v13
	s_delay_alu instid0(VALU_DEP_2) | instskip(NEXT) | instid1(VALU_DEP_2)
	v_and_b32_e32 v12, 3, v11
	v_and_b32_e32 v13, 0x80000000, v13
	s_delay_alu instid0(VALU_DEP_2) | instskip(NEXT) | instid1(VALU_DEP_1)
	v_clz_i32_u32_e32 v14, v12
	v_min_u32_e32 v14, 32, v14
	s_delay_alu instid0(VALU_DEP_1) | instskip(SKIP_1) | instid1(VALU_DEP_2)
	v_subrev_nc_u32_e32 v15, 29, v14
	v_sub_nc_u32_e32 v14, 30, v14
	v_lshlrev_b32_e32 v15, v15, v11
	v_bfe_u32 v11, v11, 2, 5
	s_delay_alu instid0(VALU_DEP_2) | instskip(NEXT) | instid1(VALU_DEP_2)
	v_and_b32_e32 v15, 3, v15
	v_cmp_eq_u32_e32 vcc_lo, 0, v11
	s_delay_alu instid0(VALU_DEP_2) | instskip(NEXT) | instid1(VALU_DEP_1)
	v_dual_cndmask_b32 v11, v11, v14 :: v_dual_cndmask_b32 v12, v12, v15
	v_lshl_add_u32 v11, v11, 23, 0x37800000
	s_delay_alu instid0(VALU_DEP_2) | instskip(NEXT) | instid1(VALU_DEP_1)
	v_lshlrev_b32_e32 v12, 21, v12
	v_or3_b32 v11, v13, v11, v12
	s_delay_alu instid0(VALU_DEP_1)
	v_cvt_f16_f32_e32 v12, v11
	v_mov_b32_e32 v11, 0
.LBB240_1736:
	s_or_b32 exec_lo, exec_lo, s3
	s_mov_b32 s1, 0
	s_branch .LBB240_1740
.LBB240_1737:
	s_mov_b32 s1, -1
                                        ; implicit-def: $vgpr11
                                        ; implicit-def: $vgpr12
	s_branch .LBB240_1746
.LBB240_1738:
	s_mov_b32 s1, -1
                                        ; implicit-def: $vgpr11
                                        ; implicit-def: $vgpr12
	s_branch .LBB240_1743
.LBB240_1739:
	s_mov_b32 s1, -1
                                        ; implicit-def: $vgpr11
                                        ; implicit-def: $vgpr12
.LBB240_1740:
	s_delay_alu instid0(SALU_CYCLE_1)
	s_and_b32 vcc_lo, exec_lo, s1
	s_cbranch_vccz .LBB240_1742
; %bb.1741:
	global_load_u8 v11, v[0:1], off
	s_waitcnt vmcnt(0)
	v_lshlrev_b32_e32 v11, 24, v11
	s_delay_alu instid0(VALU_DEP_1) | instskip(NEXT) | instid1(VALU_DEP_1)
	v_and_b32_e32 v12, 0x7f000000, v11
	v_clz_i32_u32_e32 v13, v12
	v_add_nc_u32_e32 v15, 0x1000000, v12
	v_cmp_ne_u32_e32 vcc_lo, 0, v12
	s_delay_alu instid0(VALU_DEP_3) | instskip(NEXT) | instid1(VALU_DEP_1)
	v_min_u32_e32 v13, 32, v13
	v_sub_nc_u32_e64 v13, v13, 4 clamp
	s_delay_alu instid0(VALU_DEP_1) | instskip(SKIP_1) | instid1(VALU_DEP_2)
	v_lshlrev_b32_e32 v14, v13, v12
	v_lshlrev_b32_e32 v13, 23, v13
	v_lshrrev_b32_e32 v14, 4, v14
	s_delay_alu instid0(VALU_DEP_1) | instskip(SKIP_1) | instid1(VALU_DEP_2)
	v_sub_nc_u32_e32 v13, v14, v13
	v_ashrrev_i32_e32 v14, 8, v15
	v_add_nc_u32_e32 v13, 0x3c000000, v13
	s_delay_alu instid0(VALU_DEP_1) | instskip(NEXT) | instid1(VALU_DEP_1)
	v_and_or_b32 v13, 0x7f800000, v14, v13
	v_cndmask_b32_e32 v12, 0, v13, vcc_lo
	s_delay_alu instid0(VALU_DEP_1) | instskip(NEXT) | instid1(VALU_DEP_1)
	v_and_or_b32 v11, 0x80000000, v11, v12
	v_cvt_f16_f32_e32 v12, v11
	v_mov_b32_e32 v11, 0
.LBB240_1742:
	s_mov_b32 s1, 0
.LBB240_1743:
	s_delay_alu instid0(SALU_CYCLE_1)
	s_and_not1_b32 vcc_lo, exec_lo, s1
	s_cbranch_vccnz .LBB240_1745
; %bb.1744:
	global_load_u8 v11, v[0:1], off
	s_waitcnt vmcnt(0)
	v_lshlrev_b32_e32 v12, 25, v11
	v_lshlrev_b16 v11, 8, v11
	s_delay_alu instid0(VALU_DEP_2) | instskip(NEXT) | instid1(VALU_DEP_2)
	v_lshrrev_b32_e32 v13, 4, v12
	v_and_or_b32 v14, 0x7f00, v11, 0.5
	v_bfe_i32 v11, v11, 0, 16
	s_delay_alu instid0(VALU_DEP_3) | instskip(NEXT) | instid1(VALU_DEP_1)
	v_or_b32_e32 v13, 0x70000000, v13
	v_dual_add_f32 v14, -0.5, v14 :: v_dual_mul_f32 v13, 0x7800000, v13
	v_cmp_gt_u32_e32 vcc_lo, 0x8000000, v12
	s_delay_alu instid0(VALU_DEP_2) | instskip(NEXT) | instid1(VALU_DEP_1)
	v_cndmask_b32_e32 v12, v13, v14, vcc_lo
	v_and_or_b32 v11, 0x80000000, v11, v12
	s_delay_alu instid0(VALU_DEP_1)
	v_cvt_f16_f32_e32 v12, v11
	v_mov_b32_e32 v11, 0
.LBB240_1745:
	s_mov_b32 s1, 0
	s_mov_b32 s3, -1
.LBB240_1746:
	s_and_not1_b32 vcc_lo, exec_lo, s1
	s_mov_b32 s1, 0
	s_cbranch_vccnz .LBB240_1756
; %bb.1747:
	v_cmp_lt_i16_e32 vcc_lo, 14, v4
	s_cbranch_vccz .LBB240_1750
; %bb.1748:
	v_cmp_eq_u16_e32 vcc_lo, 15, v4
	s_cbranch_vccz .LBB240_1751
; %bb.1749:
	global_load_u16 v11, v[0:1], off
	s_mov_b32 s0, 0
	s_mov_b32 s3, -1
	s_mov_b32 s6, 0
	s_waitcnt vmcnt(0)
	v_lshlrev_b32_e32 v11, 16, v11
	s_delay_alu instid0(VALU_DEP_1)
	v_cvt_f16_f32_e32 v12, v11
	s_branch .LBB240_1753
.LBB240_1750:
	s_mov_b32 s1, -1
	s_branch .LBB240_1752
.LBB240_1751:
	s_mov_b32 s0, -1
.LBB240_1752:
                                        ; implicit-def: $sgpr6
                                        ; implicit-def: $vgpr12
.LBB240_1753:
	s_and_b32 vcc_lo, exec_lo, s1
	s_mov_b32 s1, 0
	s_cbranch_vccz .LBB240_1755
; %bb.1754:
	v_cmp_ne_u16_e64 s0, 11, v4
	s_mov_b32 s1, -1
                                        ; implicit-def: $sgpr6
                                        ; implicit-def: $vgpr12
.LBB240_1755:
	v_mov_b32_e32 v11, s6
.LBB240_1756:
	s_delay_alu instid0(VALU_DEP_2)
	s_and_b32 vcc_lo, exec_lo, s0
	s_cbranch_vccnz .LBB240_2322
; %bb.1757:
	s_and_not1_b32 vcc_lo, exec_lo, s1
	s_cbranch_vccnz .LBB240_1759
.LBB240_1758:
	global_load_u8 v11, v[0:1], off
	s_mov_b32 s3, -1
	s_waitcnt vmcnt(0)
	v_cmp_ne_u16_e32 vcc_lo, 0, v11
	v_mov_b32_e32 v11, 0
	v_cndmask_b32_e64 v12, 0, 0x3c00, vcc_lo
.LBB240_1759:
	s_mov_b32 s0, 0
.LBB240_1760:
	s_delay_alu instid0(SALU_CYCLE_1)
	s_and_b32 vcc_lo, exec_lo, s0
	s_cbranch_vccz .LBB240_1811
; %bb.1761:
	v_cmp_gt_i16_e32 vcc_lo, 5, v4
	s_cbranch_vccnz .LBB240_1766
; %bb.1762:
	v_cmp_gt_i16_e32 vcc_lo, 8, v4
	s_cbranch_vccnz .LBB240_1767
	;; [unrolled: 3-line block ×3, first 2 shown]
; %bb.1764:
	v_cmp_lt_i16_e32 vcc_lo, 9, v4
	s_cbranch_vccz .LBB240_1769
; %bb.1765:
	global_load_b128 v[11:14], v[0:1], off
	s_mov_b32 s0, 0
	s_waitcnt vmcnt(0)
	v_cvt_f32_f64_e32 v11, v[11:12]
	v_cvt_f32_f64_e32 v13, v[13:14]
	s_delay_alu instid0(VALU_DEP_2) | instskip(NEXT) | instid1(VALU_DEP_2)
	v_cvt_f16_f32_e32 v12, v11
	v_cvt_f16_f32_e32 v11, v13
	s_branch .LBB240_1770
.LBB240_1766:
	s_mov_b32 s0, -1
                                        ; implicit-def: $vgpr11
                                        ; implicit-def: $vgpr12
	s_branch .LBB240_1789
.LBB240_1767:
	s_mov_b32 s0, -1
                                        ; implicit-def: $vgpr11
                                        ; implicit-def: $vgpr12
	s_branch .LBB240_1776
.LBB240_1768:
	s_mov_b32 s0, -1
                                        ; implicit-def: $vgpr11
                                        ; implicit-def: $vgpr12
	s_branch .LBB240_1773
.LBB240_1769:
	s_mov_b32 s0, -1
                                        ; implicit-def: $vgpr11
                                        ; implicit-def: $vgpr12
.LBB240_1770:
	s_delay_alu instid0(SALU_CYCLE_1)
	s_and_not1_b32 vcc_lo, exec_lo, s0
	s_cbranch_vccnz .LBB240_1772
; %bb.1771:
	global_load_b64 v[12:13], v[0:1], off
	s_waitcnt vmcnt(0)
	v_cvt_f16_f32_e32 v12, v12
	v_cvt_f16_f32_e32 v11, v13
.LBB240_1772:
	s_mov_b32 s0, 0
.LBB240_1773:
	s_delay_alu instid0(SALU_CYCLE_1)
	s_and_not1_b32 vcc_lo, exec_lo, s0
	s_cbranch_vccnz .LBB240_1775
; %bb.1774:
	global_load_b32 v12, v[0:1], off
	s_waitcnt vmcnt(0)
	v_lshrrev_b32_e32 v11, 16, v12
.LBB240_1775:
	s_mov_b32 s0, 0
.LBB240_1776:
	s_delay_alu instid0(SALU_CYCLE_1)
	s_and_not1_b32 vcc_lo, exec_lo, s0
	s_cbranch_vccnz .LBB240_1788
; %bb.1777:
	v_cmp_gt_i16_e32 vcc_lo, 6, v4
	s_cbranch_vccnz .LBB240_1780
; %bb.1778:
	v_cmp_lt_i16_e32 vcc_lo, 6, v4
	s_cbranch_vccz .LBB240_1781
; %bb.1779:
	global_load_b64 v[11:12], v[0:1], off
	s_mov_b32 s1, 0
	s_mov_b32 s0, 0
	s_waitcnt vmcnt(0)
	v_cvt_f32_f64_e32 v11, v[11:12]
	s_delay_alu instid0(VALU_DEP_1)
	v_cvt_f16_f32_e32 v12, v11
	s_branch .LBB240_1782
.LBB240_1780:
	s_mov_b32 s1, -1
                                        ; implicit-def: $sgpr0
                                        ; implicit-def: $vgpr12
	s_branch .LBB240_1785
.LBB240_1781:
	s_mov_b32 s1, -1
                                        ; implicit-def: $sgpr0
                                        ; implicit-def: $vgpr12
.LBB240_1782:
	s_delay_alu instid0(SALU_CYCLE_1)
	s_and_not1_b32 vcc_lo, exec_lo, s1
	s_cbranch_vccnz .LBB240_1784
; %bb.1783:
	global_load_b32 v11, v[0:1], off
	s_mov_b32 s0, 0
	s_waitcnt vmcnt(0)
	v_cvt_f16_f32_e32 v12, v11
.LBB240_1784:
	s_mov_b32 s1, 0
.LBB240_1785:
	s_delay_alu instid0(SALU_CYCLE_1)
	s_and_not1_b32 vcc_lo, exec_lo, s1
	s_cbranch_vccnz .LBB240_1787
; %bb.1786:
	global_load_u16 v12, v[0:1], off
	s_mov_b32 s0, 0
.LBB240_1787:
	s_delay_alu instid0(SALU_CYCLE_1)
	v_mov_b32_e32 v11, s0
.LBB240_1788:
	s_mov_b32 s0, 0
.LBB240_1789:
	s_delay_alu instid0(SALU_CYCLE_1)
	s_and_not1_b32 vcc_lo, exec_lo, s0
	s_cbranch_vccnz .LBB240_1810
; %bb.1790:
	v_cmp_gt_i16_e32 vcc_lo, 2, v4
	s_cbranch_vccnz .LBB240_1794
; %bb.1791:
	v_cmp_gt_i16_e32 vcc_lo, 3, v4
	s_cbranch_vccnz .LBB240_1795
; %bb.1792:
	v_cmp_lt_i16_e32 vcc_lo, 3, v4
	s_cbranch_vccz .LBB240_1796
; %bb.1793:
	global_load_b64 v[11:12], v[0:1], off
	s_mov_b32 s1, 0
	s_mov_b32 s0, 0
	s_waitcnt vmcnt(0)
	v_xor_b32_e32 v13, v11, v12
	v_cls_i32_e32 v14, v12
	s_delay_alu instid0(VALU_DEP_2) | instskip(NEXT) | instid1(VALU_DEP_2)
	v_ashrrev_i32_e32 v13, 31, v13
	v_add_nc_u32_e32 v14, -1, v14
	s_delay_alu instid0(VALU_DEP_2) | instskip(NEXT) | instid1(VALU_DEP_1)
	v_add_nc_u32_e32 v13, 32, v13
	v_min_u32_e32 v13, v14, v13
	s_delay_alu instid0(VALU_DEP_1) | instskip(NEXT) | instid1(VALU_DEP_1)
	v_lshlrev_b64 v[11:12], v13, v[11:12]
	v_min_u32_e32 v11, 1, v11
	s_delay_alu instid0(VALU_DEP_1) | instskip(SKIP_1) | instid1(VALU_DEP_2)
	v_or_b32_e32 v11, v12, v11
	v_sub_nc_u32_e32 v12, 32, v13
	v_cvt_f32_i32_e32 v11, v11
	s_delay_alu instid0(VALU_DEP_1) | instskip(NEXT) | instid1(VALU_DEP_1)
	v_ldexp_f32 v11, v11, v12
	v_cvt_f16_f32_e32 v12, v11
	s_branch .LBB240_1797
.LBB240_1794:
	s_mov_b32 s1, -1
                                        ; implicit-def: $sgpr0
                                        ; implicit-def: $vgpr12
	s_branch .LBB240_1803
.LBB240_1795:
	s_mov_b32 s1, -1
                                        ; implicit-def: $sgpr0
                                        ; implicit-def: $vgpr12
	s_branch .LBB240_1800
.LBB240_1796:
	s_mov_b32 s1, -1
                                        ; implicit-def: $sgpr0
                                        ; implicit-def: $vgpr12
.LBB240_1797:
	s_delay_alu instid0(SALU_CYCLE_1)
	s_and_not1_b32 vcc_lo, exec_lo, s1
	s_cbranch_vccnz .LBB240_1799
; %bb.1798:
	global_load_b32 v11, v[0:1], off
	s_mov_b32 s0, 0
	s_waitcnt vmcnt(0)
	v_cvt_f32_i32_e32 v11, v11
	s_delay_alu instid0(VALU_DEP_1)
	v_cvt_f16_f32_e32 v12, v11
.LBB240_1799:
	s_mov_b32 s1, 0
.LBB240_1800:
	s_delay_alu instid0(SALU_CYCLE_1)
	s_and_not1_b32 vcc_lo, exec_lo, s1
	s_cbranch_vccnz .LBB240_1802
; %bb.1801:
	global_load_u16 v11, v[0:1], off
	s_mov_b32 s0, 0
	s_waitcnt vmcnt(0)
	v_cvt_f16_i16_e32 v12, v11
.LBB240_1802:
	s_mov_b32 s1, 0
.LBB240_1803:
	s_delay_alu instid0(SALU_CYCLE_1)
	s_and_not1_b32 vcc_lo, exec_lo, s1
	s_cbranch_vccnz .LBB240_1809
; %bb.1804:
	v_cmp_lt_i16_e32 vcc_lo, 0, v4
	s_mov_b32 s1, 0
	s_cbranch_vccz .LBB240_1806
; %bb.1805:
	global_load_i8 v4, v[0:1], off
	s_mov_b32 s0, 0
	s_waitcnt vmcnt(0)
	v_cvt_f16_i16_e32 v12, v4
	s_branch .LBB240_1807
.LBB240_1806:
	s_mov_b32 s1, -1
                                        ; implicit-def: $sgpr0
                                        ; implicit-def: $vgpr12
.LBB240_1807:
	s_delay_alu instid0(SALU_CYCLE_1)
	s_and_not1_b32 vcc_lo, exec_lo, s1
	s_cbranch_vccnz .LBB240_1809
; %bb.1808:
	global_load_u8 v0, v[0:1], off
	s_mov_b32 s0, 0
	s_waitcnt vmcnt(0)
	v_cvt_f16_u16_e32 v12, v0
.LBB240_1809:
	v_mov_b32_e32 v11, s0
.LBB240_1810:
	s_mov_b32 s3, -1
.LBB240_1811:
	s_delay_alu instid0(SALU_CYCLE_1)
	s_and_not1_b32 vcc_lo, exec_lo, s3
	s_cbranch_vccnz .LBB240_2275
; %bb.1812:
	s_waitcnt vmcnt(0)
	v_cmp_neq_f16_e32 vcc_lo, 0, v12
	v_cmp_neq_f16_e64 s0, 0, v11
	v_cvt_f32_f16_e32 v4, v11
	v_mov_b32_e32 v11, 0
	s_delay_alu instid0(VALU_DEP_3) | instskip(NEXT) | instid1(SALU_CYCLE_1)
	s_or_b32 s0, vcc_lo, s0
	s_and_saveexec_b32 s3, s0
	s_cbranch_execz .LBB240_1842
; %bb.1813:
	v_mov_b32_e32 v11, 0x7f800000
	s_mov_b32 s6, exec_lo
	v_cmpx_neq_f32_e64 0x7f800000, |v4|
	s_cbranch_execz .LBB240_1841
; %bb.1814:
	v_cvt_f32_f16_e32 v11, v12
	s_mov_b32 s0, exec_lo
	v_cmpx_o_f16_e32 v12, v12
	s_xor_b32 s7, exec_lo, s0
	s_cbranch_execz .LBB240_1838
; %bb.1815:
	s_mov_b32 s1, exec_lo
	v_cmpx_neq_f32_e64 0x7f800000, |v11|
	s_xor_b32 s11, exec_lo, s1
	s_cbranch_execz .LBB240_1831
; %bb.1816:
	v_max_f32_e64 v0, |v4|, |v4|
	v_max_f32_e64 v1, |v11|, |v11|
                                        ; implicit-def: $sgpr12
	s_delay_alu instid0(VALU_DEP_1) | instskip(NEXT) | instid1(VALU_DEP_1)
	v_max_f32_e32 v0, v1, v0
	v_cmp_nle_f32_e64 s0, 0x7ed413cb, v0
	s_delay_alu instid0(VALU_DEP_1) | instskip(NEXT) | instid1(SALU_CYCLE_1)
	s_and_saveexec_b32 s1, s0
	s_xor_b32 s1, exec_lo, s1
	s_cbranch_execz .LBB240_1820
; %bb.1817:
	v_cmp_ge_f32_e64 s12, 0x1000000, |v11|
	v_cmp_ge_f32_e64 s13, 0x1000000, |v4|
	s_delay_alu instid0(VALU_DEP_1)
	s_and_b32 s14, s12, s13
	s_mov_b32 s12, 0
	s_and_saveexec_b32 s13, s14
; %bb.1818:
	v_dual_mul_f32 v11, 4.0, v11 :: v_dual_mul_f32 v4, 4.0, v4
	s_mov_b32 s12, exec_lo
; %bb.1819:
	s_or_b32 exec_lo, exec_lo, s13
	s_delay_alu instid0(SALU_CYCLE_1)
	s_and_b32 s12, s12, exec_lo
.LBB240_1820:
	s_and_not1_saveexec_b32 s1, s1
; %bb.1821:
	v_dual_mul_f32 v11, 0x3e800000, v11 :: v_dual_mul_f32 v4, 0x3e800000, v4
	s_and_not1_b32 s12, s12, exec_lo
; %bb.1822:
	s_or_b32 exec_lo, exec_lo, s1
	s_delay_alu instid0(VALU_DEP_1) | instskip(NEXT) | instid1(VALU_DEP_2)
	v_max_f32_e64 v0, |v4|, |v4|
	v_max_f32_e64 v1, |v11|, |v11|
	s_delay_alu instid0(VALU_DEP_1) | instskip(NEXT) | instid1(VALU_DEP_1)
	v_max_f32_e32 v12, v1, v0
	v_cvt_f64_f32_e32 v[0:1], v12
	v_cmp_neq_f32_e64 s1, 0x7f800000, v12
	s_delay_alu instid0(VALU_DEP_2) | instskip(NEXT) | instid1(VALU_DEP_1)
	v_frexp_exp_i32_f64_e32 v0, v[0:1]
	v_sub_nc_u32_e32 v1, 0, v0
	s_delay_alu instid0(VALU_DEP_1) | instskip(SKIP_1) | instid1(VALU_DEP_2)
	v_ldexp_f32 v13, |v4|, v1
	v_ldexp_f32 v1, |v11|, v1
	v_mul_f32_e32 v13, v13, v13
	s_delay_alu instid0(VALU_DEP_1) | instskip(NEXT) | instid1(VALU_DEP_1)
	v_fmac_f32_e32 v13, v1, v1
	v_sqrt_f32_e32 v1, v13
	s_waitcnt_depctr 0xfff
	v_ldexp_f32 v0, v1, v0
                                        ; implicit-def: $vgpr1
	s_delay_alu instid0(VALU_DEP_1)
	v_cndmask_b32_e64 v12, 0x7f800000, v0, s1
                                        ; implicit-def: $vgpr0
	s_mov_b32 s1, exec_lo
	v_cmpx_le_f32_e32 0, v11
	s_xor_b32 s13, exec_lo, s1
	s_cbranch_execz .LBB240_1824
; %bb.1823:
	v_add_f32_e32 v0, v11, v12
	s_delay_alu instid0(VALU_DEP_1) | instskip(NEXT) | instid1(VALU_DEP_1)
	v_mul_f32_e32 v0, 0.5, v0
	v_mul_f32_e32 v1, 0x4f800000, v0
	v_cmp_gt_f32_e32 vcc_lo, 0xf800000, v0
	s_delay_alu instid0(VALU_DEP_2) | instskip(NEXT) | instid1(VALU_DEP_1)
	v_cndmask_b32_e32 v0, v0, v1, vcc_lo
	v_sqrt_f32_e32 v1, v0
	s_waitcnt_depctr 0xfff
	v_add_nc_u32_e32 v11, -1, v1
	v_add_nc_u32_e32 v12, 1, v1
	s_delay_alu instid0(VALU_DEP_2) | instskip(NEXT) | instid1(VALU_DEP_2)
	v_fma_f32 v13, -v11, v1, v0
	v_fma_f32 v14, -v12, v1, v0
	s_delay_alu instid0(VALU_DEP_2) | instskip(NEXT) | instid1(VALU_DEP_1)
	v_cmp_ge_f32_e64 s1, 0, v13
	v_cndmask_b32_e64 v1, v1, v11, s1
	s_delay_alu instid0(VALU_DEP_3) | instskip(NEXT) | instid1(VALU_DEP_1)
	v_cmp_lt_f32_e64 s1, 0, v14
	v_cndmask_b32_e64 v1, v1, v12, s1
	s_delay_alu instid0(VALU_DEP_1) | instskip(NEXT) | instid1(VALU_DEP_1)
	v_mul_f32_e32 v11, 0x37800000, v1
	v_cndmask_b32_e32 v1, v1, v11, vcc_lo
	v_cmp_class_f32_e64 vcc_lo, v0, 0x260
	s_delay_alu instid0(VALU_DEP_2) | instskip(NEXT) | instid1(VALU_DEP_1)
	v_cndmask_b32_e32 v0, v1, v0, vcc_lo
	v_add_f32_e32 v1, v0, v0
	s_delay_alu instid0(VALU_DEP_1) | instskip(NEXT) | instid1(VALU_DEP_1)
	v_div_scale_f32 v11, null, v1, v1, v4
	v_rcp_f32_e32 v12, v11
	s_waitcnt_depctr 0xfff
	v_fma_f32 v13, -v11, v12, 1.0
	s_delay_alu instid0(VALU_DEP_1) | instskip(SKIP_1) | instid1(VALU_DEP_1)
	v_fmac_f32_e32 v12, v13, v12
	v_div_scale_f32 v13, vcc_lo, v4, v1, v4
	v_mul_f32_e32 v14, v13, v12
	s_delay_alu instid0(VALU_DEP_1) | instskip(NEXT) | instid1(VALU_DEP_1)
	v_fma_f32 v15, -v11, v14, v13
	v_fmac_f32_e32 v14, v15, v12
	s_delay_alu instid0(VALU_DEP_1) | instskip(NEXT) | instid1(VALU_DEP_1)
	v_fma_f32 v11, -v11, v14, v13
	v_div_fmas_f32 v11, v11, v12, v14
                                        ; implicit-def: $vgpr12
	s_delay_alu instid0(VALU_DEP_1)
	v_div_fixup_f32 v1, v11, v1, v4
                                        ; implicit-def: $vgpr11
                                        ; implicit-def: $vgpr4
	s_and_not1_saveexec_b32 s13, s13
	s_cbranch_execz .LBB240_1826
	s_branch .LBB240_1825
.LBB240_1824:
	s_and_not1_saveexec_b32 s13, s13
	s_cbranch_execz .LBB240_1826
.LBB240_1825:
	v_sub_f32_e32 v0, v12, v11
	s_delay_alu instid0(VALU_DEP_1) | instskip(NEXT) | instid1(VALU_DEP_1)
	v_mul_f32_e32 v0, 0.5, v0
	v_mul_f32_e32 v1, 0x4f800000, v0
	v_cmp_gt_f32_e32 vcc_lo, 0xf800000, v0
	s_delay_alu instid0(VALU_DEP_2) | instskip(NEXT) | instid1(VALU_DEP_1)
	v_cndmask_b32_e32 v0, v0, v1, vcc_lo
	v_sqrt_f32_e32 v1, v0
	s_waitcnt_depctr 0xfff
	v_add_nc_u32_e32 v11, -1, v1
	v_add_nc_u32_e32 v12, 1, v1
	s_delay_alu instid0(VALU_DEP_2) | instskip(NEXT) | instid1(VALU_DEP_2)
	v_fma_f32 v13, -v11, v1, v0
	v_fma_f32 v14, -v12, v1, v0
	s_delay_alu instid0(VALU_DEP_2) | instskip(NEXT) | instid1(VALU_DEP_1)
	v_cmp_ge_f32_e64 s1, 0, v13
	v_cndmask_b32_e64 v1, v1, v11, s1
	s_delay_alu instid0(VALU_DEP_3) | instskip(NEXT) | instid1(VALU_DEP_1)
	v_cmp_lt_f32_e64 s1, 0, v14
	v_cndmask_b32_e64 v1, v1, v12, s1
	s_delay_alu instid0(VALU_DEP_1) | instskip(NEXT) | instid1(VALU_DEP_1)
	v_mul_f32_e32 v11, 0x37800000, v1
	v_cndmask_b32_e32 v1, v1, v11, vcc_lo
	v_cmp_class_f32_e64 vcc_lo, v0, 0x260
	s_delay_alu instid0(VALU_DEP_2) | instskip(NEXT) | instid1(VALU_DEP_1)
	v_cndmask_b32_e32 v1, v1, v0, vcc_lo
	v_dual_add_f32 v11, v1, v1 :: v_dual_and_b32 v0, 0x7fffffff, v4
	v_bfi_b32 v1, 0x7fffffff, v1, v4
	s_delay_alu instid0(VALU_DEP_2) | instskip(SKIP_1) | instid1(VALU_DEP_2)
	v_div_scale_f32 v12, null, v11, v11, v0
	v_div_scale_f32 v0, vcc_lo, v0, v11, v0
	v_rcp_f32_e32 v13, v12
	s_waitcnt_depctr 0xfff
	v_fma_f32 v14, -v12, v13, 1.0
	s_delay_alu instid0(VALU_DEP_1) | instskip(NEXT) | instid1(VALU_DEP_1)
	v_fmac_f32_e32 v13, v14, v13
	v_mul_f32_e32 v14, v0, v13
	s_delay_alu instid0(VALU_DEP_1) | instskip(NEXT) | instid1(VALU_DEP_1)
	v_fma_f32 v15, -v12, v14, v0
	v_fmac_f32_e32 v14, v15, v13
	s_delay_alu instid0(VALU_DEP_1) | instskip(NEXT) | instid1(VALU_DEP_1)
	v_fma_f32 v0, -v12, v14, v0
	v_div_fmas_f32 v0, v0, v13, v14
	s_delay_alu instid0(VALU_DEP_1)
	v_div_fixup_f32 v0, v0, v11, |v4|
.LBB240_1826:
	s_or_b32 exec_lo, exec_lo, s13
                                        ; implicit-def: $vgpr4
                                        ; implicit-def: $vgpr11
	s_and_saveexec_b32 s1, s0
	s_delay_alu instid0(SALU_CYCLE_1)
	s_xor_b32 s0, exec_lo, s1
	s_cbranch_execz .LBB240_1828
; %bb.1827:
	v_mul_f32_e32 v4, 0.5, v0
	v_mul_f32_e32 v12, 0.5, v1
	s_delay_alu instid0(VALU_DEP_2) | instskip(NEXT) | instid1(VALU_DEP_2)
	v_cndmask_b32_e64 v11, v0, v4, s12
	v_cndmask_b32_e64 v4, v1, v12, s12
                                        ; implicit-def: $vgpr0
                                        ; implicit-def: $vgpr1
	s_and_not1_saveexec_b32 s0, s0
	s_cbranch_execnz .LBB240_1829
	s_branch .LBB240_1830
.LBB240_1828:
	s_and_not1_saveexec_b32 s0, s0
.LBB240_1829:
	v_dual_add_f32 v11, v0, v0 :: v_dual_add_f32 v4, v1, v1
.LBB240_1830:
	s_or_b32 exec_lo, exec_lo, s0
                                        ; implicit-def: $vgpr12
.LBB240_1831:
	s_and_not1_saveexec_b32 s0, s11
	s_cbranch_execz .LBB240_1837
; %bb.1832:
	s_delay_alu instid0(VALU_DEP_1)
	v_sub_f32_e32 v0, v4, v4
	s_mov_b32 s1, exec_lo
	v_cmpx_lt_i16_e32 -1, v12
	s_xor_b32 s1, exec_lo, s1
; %bb.1833:
	s_delay_alu instid0(VALU_DEP_2)
	v_bfi_b32 v4, 0x7fffffff, v0, v4
                                        ; implicit-def: $vgpr0
; %bb.1834:
	s_and_not1_saveexec_b32 s1, s1
; %bb.1835:
	v_and_b32_e32 v0, 0x7fffffff, v0
	s_delay_alu instid0(VALU_DEP_2) | instskip(NEXT) | instid1(VALU_DEP_2)
	v_bfi_b32 v4, 0x7fffffff, v11, v4
	v_mov_b32_e32 v11, v0
; %bb.1836:
	s_or_b32 exec_lo, exec_lo, s1
.LBB240_1837:
	s_delay_alu instid0(SALU_CYCLE_1)
	s_or_b32 exec_lo, exec_lo, s0
.LBB240_1838:
	s_and_not1_saveexec_b32 s0, s7
; %bb.1839:
	v_sub_f32_e32 v0, v4, v4
	s_delay_alu instid0(VALU_DEP_1) | instskip(NEXT) | instid1(VALU_DEP_1)
	v_div_scale_f32 v1, vcc_lo, v0, v0, v0
	v_rcp_f32_e32 v4, v1
	s_waitcnt_depctr 0xfff
	v_fma_f32 v12, -v1, v4, 1.0
	s_delay_alu instid0(VALU_DEP_1) | instskip(NEXT) | instid1(VALU_DEP_1)
	v_fmac_f32_e32 v4, v12, v4
	v_mul_f32_e32 v12, v1, v4
	s_delay_alu instid0(VALU_DEP_1) | instskip(NEXT) | instid1(VALU_DEP_1)
	v_fma_f32 v13, -v1, v12, v1
	v_fmac_f32_e32 v12, v13, v4
	s_delay_alu instid0(VALU_DEP_1) | instskip(NEXT) | instid1(VALU_DEP_1)
	v_fma_f32 v1, -v1, v12, v1
	v_div_fmas_f32 v1, v1, v4, v12
	s_delay_alu instid0(VALU_DEP_1)
	v_div_fixup_f32 v4, v1, v0, v0
; %bb.1840:
	s_or_b32 exec_lo, exec_lo, s0
.LBB240_1841:
	s_delay_alu instid0(SALU_CYCLE_1)
	s_or_b32 exec_lo, exec_lo, s6
.LBB240_1842:
	s_delay_alu instid0(SALU_CYCLE_1) | instskip(SKIP_4) | instid1(VALU_DEP_3)
	s_or_b32 exec_lo, exec_lo, s3
	v_mul_lo_u32 v3, s2, v3
	v_cvt_f16_f32_e32 v12, v5
	v_cvt_f16_f32_e32 v6, v6
	v_and_b32_e32 v5, 0xff, v2
	v_lshlrev_b32_e32 v0, 16, v12
	s_delay_alu instid0(VALU_DEP_3) | instskip(SKIP_1) | instid1(VALU_DEP_4)
	v_and_b32_e32 v1, 0xffff, v6
	v_ashrrev_i32_e32 v13, 31, v3
	v_cmp_gt_i16_e32 vcc_lo, 11, v5
	s_delay_alu instid0(VALU_DEP_3) | instskip(SKIP_1) | instid1(VALU_DEP_1)
	v_or_b32_e32 v2, v0, v1
	v_add_co_u32 v0, s0, s4, v3
	v_add_co_ci_u32_e64 v1, s0, s5, v13, s0
	s_cbranch_vccnz .LBB240_1920
; %bb.1843:
	v_cmp_lt_i16_e32 vcc_lo, 25, v5
	s_mov_b32 s6, -1
	s_mov_b32 s1, 0
	s_mov_b32 s3, 0
	;; [unrolled: 1-line block ×3, first 2 shown]
	s_cbranch_vccz .LBB240_1876
; %bb.1844:
	v_cmp_lt_i16_e32 vcc_lo, 28, v5
	s_cbranch_vccz .LBB240_1859
; %bb.1845:
	v_cmp_lt_i16_e32 vcc_lo, 43, v5
	;; [unrolled: 3-line block ×3, first 2 shown]
	s_cbranch_vccz .LBB240_1849
; %bb.1847:
	v_cmp_eq_u16_e32 vcc_lo, 46, v5
	s_mov_b32 s0, -1
	s_mov_b32 s6, 0
	s_cbranch_vccz .LBB240_1849
; %bb.1848:
	v_cvt_f32_f16_e32 v13, v12
	v_cvt_f32_f16_e32 v14, v6
	v_cmp_o_f16_e32 vcc_lo, v12, v12
	s_mov_b32 s0, 0
	s_mov_b32 s3, -1
	v_bfe_u32 v15, v13, 16, 1
	v_bfe_u32 v16, v14, 16, 1
	s_delay_alu instid0(VALU_DEP_2) | instskip(NEXT) | instid1(VALU_DEP_2)
	v_add3_u32 v13, v13, v15, 0x7fff
	v_add3_u32 v14, v14, v16, 0x7fff
	s_delay_alu instid0(VALU_DEP_2) | instskip(NEXT) | instid1(VALU_DEP_2)
	v_and_b32_e32 v13, 0xffff0000, v13
	v_lshrrev_b32_e32 v14, 16, v14
	s_delay_alu instid0(VALU_DEP_2) | instskip(SKIP_1) | instid1(VALU_DEP_3)
	v_cndmask_b32_e32 v13, 0x7fc00000, v13, vcc_lo
	v_cmp_o_f16_e32 vcc_lo, v6, v6
	v_cndmask_b32_e32 v14, 0x7fc0, v14, vcc_lo
	s_delay_alu instid0(VALU_DEP_1)
	v_or_b32_e32 v13, v13, v14
	global_store_b32 v[0:1], v13, off
.LBB240_1849:
	s_and_b32 vcc_lo, exec_lo, s6
	s_cbranch_vccz .LBB240_1854
; %bb.1850:
	v_cmp_eq_u16_e32 vcc_lo, 44, v5
	s_mov_b32 s0, -1
	s_cbranch_vccz .LBB240_1854
; %bb.1851:
	v_cvt_f32_f16_e32 v13, v6
	v_mov_b32_e32 v14, 0xff
	s_mov_b32 s3, exec_lo
	s_delay_alu instid0(VALU_DEP_2) | instskip(NEXT) | instid1(VALU_DEP_1)
	v_bfe_u32 v15, v13, 23, 8
	v_cmpx_ne_u32_e32 0xff, v15
; %bb.1852:
	v_and_b32_e32 v14, 0x400000, v13
	v_and_or_b32 v15, 0x3fffff, v13, v15
	v_lshrrev_b32_e32 v13, 23, v13
	s_delay_alu instid0(VALU_DEP_3) | instskip(NEXT) | instid1(VALU_DEP_3)
	v_cmp_ne_u32_e32 vcc_lo, 0, v14
	v_cmp_ne_u32_e64 s0, 0, v15
	s_delay_alu instid0(VALU_DEP_1) | instskip(NEXT) | instid1(SALU_CYCLE_1)
	s_and_b32 s0, vcc_lo, s0
	v_cndmask_b32_e64 v14, 0, 1, s0
	s_delay_alu instid0(VALU_DEP_1)
	v_add_nc_u32_e32 v14, v13, v14
; %bb.1853:
	s_or_b32 exec_lo, exec_lo, s3
	s_mov_b32 s0, 0
	s_mov_b32 s3, -1
	global_store_b8 v[0:1], v14, off
.LBB240_1854:
	s_mov_b32 s6, 0
.LBB240_1855:
	s_delay_alu instid0(SALU_CYCLE_1)
	s_and_b32 vcc_lo, exec_lo, s6
	s_cbranch_vccz .LBB240_1858
; %bb.1856:
	v_cmp_eq_u16_e32 vcc_lo, 29, v5
	s_mov_b32 s0, -1
	s_cbranch_vccz .LBB240_1858
; %bb.1857:
	v_cvt_f32_f16_e32 v13, v6
	v_mov_b32_e32 v14, 0
	s_mov_b32 s0, 0
	s_mov_b32 s3, -1
	s_delay_alu instid0(VALU_DEP_2)
	v_cvt_u32_f32_e32 v13, v13
	global_store_b64 v[0:1], v[13:14], off
.LBB240_1858:
	s_mov_b32 s6, 0
.LBB240_1859:
	s_delay_alu instid0(SALU_CYCLE_1)
	s_and_b32 vcc_lo, exec_lo, s6
	s_cbranch_vccz .LBB240_1875
; %bb.1860:
	v_cmp_gt_i16_e32 vcc_lo, 27, v5
	s_mov_b32 s3, -1
	s_cbranch_vccnz .LBB240_1866
; %bb.1861:
	v_cmp_lt_i16_e32 vcc_lo, 27, v5
	s_cbranch_vccz .LBB240_1863
; %bb.1862:
	v_cvt_f32_f16_e32 v13, v6
	s_mov_b32 s3, 0
	s_delay_alu instid0(VALU_DEP_1)
	v_cvt_u32_f32_e32 v13, v13
	global_store_b32 v[0:1], v13, off
.LBB240_1863:
	s_and_not1_b32 vcc_lo, exec_lo, s3
	s_cbranch_vccnz .LBB240_1865
; %bb.1864:
	v_cvt_u16_f16_e32 v13, v6
	global_store_b16 v[0:1], v13, off
.LBB240_1865:
	s_mov_b32 s3, 0
.LBB240_1866:
	s_delay_alu instid0(SALU_CYCLE_1)
	s_and_not1_b32 vcc_lo, exec_lo, s3
	s_cbranch_vccnz .LBB240_1874
; %bb.1867:
	v_cvt_f32_f16_e32 v13, v6
	v_mov_b32_e32 v15, 0x80
	s_mov_b32 s3, exec_lo
	s_delay_alu instid0(VALU_DEP_2) | instskip(NEXT) | instid1(VALU_DEP_1)
	v_and_b32_e32 v14, 0x7fffffff, v13
	v_cmpx_gt_u32_e32 0x43800000, v14
	s_cbranch_execz .LBB240_1873
; %bb.1868:
	v_cmp_lt_u32_e32 vcc_lo, 0x3bffffff, v14
	s_mov_b32 s6, 0
                                        ; implicit-def: $vgpr14
	s_and_saveexec_b32 s7, vcc_lo
	s_delay_alu instid0(SALU_CYCLE_1)
	s_xor_b32 s7, exec_lo, s7
	s_cbranch_execz .LBB240_2324
; %bb.1869:
	v_bfe_u32 v14, v13, 20, 1
	s_mov_b32 s6, exec_lo
	s_delay_alu instid0(VALU_DEP_1) | instskip(NEXT) | instid1(VALU_DEP_1)
	v_add3_u32 v14, v13, v14, 0x487ffff
	v_lshrrev_b32_e32 v14, 20, v14
	s_or_saveexec_b32 s7, s7
                                        ; implicit-def: $sgpr11
	s_delay_alu instid0(SALU_CYCLE_1)
	s_xor_b32 exec_lo, exec_lo, s7
	s_cbranch_execnz .LBB240_2325
.LBB240_1870:
	s_or_b32 exec_lo, exec_lo, s7
	v_mov_b32_e32 v15, s11
	s_and_saveexec_b32 s7, s6
.LBB240_1871:
	v_lshrrev_b32_e32 v13, 24, v13
	s_delay_alu instid0(VALU_DEP_1)
	v_and_or_b32 v15, 0x80, v13, v14
.LBB240_1872:
	s_or_b32 exec_lo, exec_lo, s7
.LBB240_1873:
	s_delay_alu instid0(SALU_CYCLE_1)
	s_or_b32 exec_lo, exec_lo, s3
	global_store_b8 v[0:1], v15, off
.LBB240_1874:
	s_mov_b32 s3, -1
.LBB240_1875:
	s_mov_b32 s6, 0
.LBB240_1876:
	s_delay_alu instid0(SALU_CYCLE_1)
	s_and_b32 vcc_lo, exec_lo, s6
	s_cbranch_vccz .LBB240_1916
; %bb.1877:
	v_cmp_lt_i16_e32 vcc_lo, 22, v5
	s_mov_b32 s1, -1
	s_cbranch_vccz .LBB240_1909
; %bb.1878:
	v_cmp_gt_i16_e32 vcc_lo, 24, v5
	s_cbranch_vccnz .LBB240_1898
; %bb.1879:
	v_cmp_lt_i16_e32 vcc_lo, 24, v5
	s_cbranch_vccz .LBB240_1887
; %bb.1880:
	v_cvt_f32_f16_e32 v13, v6
	v_mov_b32_e32 v15, 0x80
	s_mov_b32 s1, exec_lo
	s_delay_alu instid0(VALU_DEP_2) | instskip(NEXT) | instid1(VALU_DEP_1)
	v_and_b32_e32 v14, 0x7fffffff, v13
	v_cmpx_gt_u32_e32 0x47800000, v14
	s_cbranch_execz .LBB240_1886
; %bb.1881:
	v_cmp_lt_u32_e32 vcc_lo, 0x37ffffff, v14
	s_mov_b32 s3, 0
                                        ; implicit-def: $vgpr14
	s_and_saveexec_b32 s6, vcc_lo
	s_delay_alu instid0(SALU_CYCLE_1)
	s_xor_b32 s6, exec_lo, s6
	s_cbranch_execz .LBB240_2330
; %bb.1882:
	v_bfe_u32 v14, v13, 21, 1
	s_mov_b32 s3, exec_lo
	s_delay_alu instid0(VALU_DEP_1) | instskip(NEXT) | instid1(VALU_DEP_1)
	v_add3_u32 v14, v13, v14, 0x88fffff
	v_lshrrev_b32_e32 v14, 21, v14
	s_or_saveexec_b32 s6, s6
                                        ; implicit-def: $sgpr7
	s_delay_alu instid0(SALU_CYCLE_1)
	s_xor_b32 exec_lo, exec_lo, s6
	s_cbranch_execnz .LBB240_2331
.LBB240_1883:
	s_or_b32 exec_lo, exec_lo, s6
	v_mov_b32_e32 v15, s7
	s_and_saveexec_b32 s6, s3
.LBB240_1884:
	v_lshrrev_b32_e32 v13, 24, v13
	s_delay_alu instid0(VALU_DEP_1)
	v_and_or_b32 v15, 0x80, v13, v14
.LBB240_1885:
	s_or_b32 exec_lo, exec_lo, s6
.LBB240_1886:
	s_delay_alu instid0(SALU_CYCLE_1)
	s_or_b32 exec_lo, exec_lo, s1
	s_mov_b32 s1, 0
	global_store_b8 v[0:1], v15, off
.LBB240_1887:
	s_and_b32 vcc_lo, exec_lo, s1
	s_cbranch_vccz .LBB240_1897
; %bb.1888:
	v_cvt_f32_f16_e32 v13, v6
	s_mov_b32 s1, exec_lo
                                        ; implicit-def: $vgpr14
	s_delay_alu instid0(VALU_DEP_1) | instskip(NEXT) | instid1(VALU_DEP_1)
	v_and_b32_e32 v15, 0x7fffffff, v13
	v_cmpx_gt_u32_e32 0x43f00000, v15
	s_xor_b32 s1, exec_lo, s1
	s_cbranch_execz .LBB240_1894
; %bb.1889:
	s_mov_b32 s3, exec_lo
                                        ; implicit-def: $vgpr14
	v_cmpx_lt_u32_e32 0x3c7fffff, v15
	s_xor_b32 s3, exec_lo, s3
; %bb.1890:
	v_bfe_u32 v14, v13, 20, 1
	s_delay_alu instid0(VALU_DEP_1) | instskip(NEXT) | instid1(VALU_DEP_1)
	v_add3_u32 v14, v13, v14, 0x407ffff
	v_and_b32_e32 v15, 0xff00000, v14
	v_lshrrev_b32_e32 v14, 20, v14
	s_delay_alu instid0(VALU_DEP_2) | instskip(NEXT) | instid1(VALU_DEP_2)
	v_cmp_ne_u32_e32 vcc_lo, 0x7f00000, v15
	v_cndmask_b32_e32 v14, 0x7e, v14, vcc_lo
; %bb.1891:
	s_and_not1_saveexec_b32 s3, s3
; %bb.1892:
	v_add_f32_e64 v14, 0x46800000, |v13|
; %bb.1893:
	s_or_b32 exec_lo, exec_lo, s3
                                        ; implicit-def: $vgpr15
.LBB240_1894:
	s_and_not1_saveexec_b32 s1, s1
; %bb.1895:
	v_mov_b32_e32 v14, 0x7f
	v_cmp_lt_u32_e32 vcc_lo, 0x7f800000, v15
	s_delay_alu instid0(VALU_DEP_2)
	v_cndmask_b32_e32 v14, 0x7e, v14, vcc_lo
; %bb.1896:
	s_or_b32 exec_lo, exec_lo, s1
	v_lshrrev_b32_e32 v13, 24, v13
	s_delay_alu instid0(VALU_DEP_1)
	v_and_or_b32 v13, 0x80, v13, v14
	global_store_b8 v[0:1], v13, off
.LBB240_1897:
	s_mov_b32 s1, 0
.LBB240_1898:
	s_delay_alu instid0(SALU_CYCLE_1)
	s_and_not1_b32 vcc_lo, exec_lo, s1
	s_cbranch_vccnz .LBB240_1908
; %bb.1899:
	v_cvt_f32_f16_e32 v13, v6
	s_mov_b32 s1, exec_lo
                                        ; implicit-def: $vgpr14
	s_delay_alu instid0(VALU_DEP_1) | instskip(NEXT) | instid1(VALU_DEP_1)
	v_and_b32_e32 v15, 0x7fffffff, v13
	v_cmpx_gt_u32_e32 0x47800000, v15
	s_xor_b32 s1, exec_lo, s1
	s_cbranch_execz .LBB240_1905
; %bb.1900:
	s_mov_b32 s3, exec_lo
                                        ; implicit-def: $vgpr14
	v_cmpx_lt_u32_e32 0x387fffff, v15
	s_xor_b32 s3, exec_lo, s3
; %bb.1901:
	v_bfe_u32 v14, v13, 21, 1
	s_delay_alu instid0(VALU_DEP_1) | instskip(NEXT) | instid1(VALU_DEP_1)
	v_add3_u32 v14, v13, v14, 0x80fffff
	v_lshrrev_b32_e32 v14, 21, v14
; %bb.1902:
	s_and_not1_saveexec_b32 s3, s3
; %bb.1903:
	v_add_f32_e64 v14, 0x43000000, |v13|
; %bb.1904:
	s_or_b32 exec_lo, exec_lo, s3
                                        ; implicit-def: $vgpr15
.LBB240_1905:
	s_and_not1_saveexec_b32 s1, s1
; %bb.1906:
	v_mov_b32_e32 v14, 0x7f
	v_cmp_lt_u32_e32 vcc_lo, 0x7f800000, v15
	s_delay_alu instid0(VALU_DEP_2)
	v_cndmask_b32_e32 v14, 0x7c, v14, vcc_lo
; %bb.1907:
	s_or_b32 exec_lo, exec_lo, s1
	v_lshrrev_b32_e32 v13, 24, v13
	s_delay_alu instid0(VALU_DEP_1)
	v_and_or_b32 v13, 0x80, v13, v14
	global_store_b8 v[0:1], v13, off
.LBB240_1908:
	s_mov_b32 s1, 0
	s_mov_b32 s3, -1
.LBB240_1909:
	s_and_not1_b32 vcc_lo, exec_lo, s1
	s_mov_b32 s1, 0
	s_cbranch_vccnz .LBB240_1916
; %bb.1910:
	v_cmp_lt_i16_e32 vcc_lo, 14, v5
	s_mov_b32 s1, -1
	s_cbranch_vccz .LBB240_1914
; %bb.1911:
	v_cmp_eq_u16_e32 vcc_lo, 15, v5
	s_mov_b32 s0, -1
	s_cbranch_vccz .LBB240_1913
; %bb.1912:
	v_cvt_f32_f16_e32 v13, v6
	v_cmp_o_f16_e32 vcc_lo, v6, v6
	s_mov_b32 s0, 0
	s_mov_b32 s3, -1
	s_delay_alu instid0(VALU_DEP_2) | instskip(NEXT) | instid1(VALU_DEP_1)
	v_bfe_u32 v14, v13, 16, 1
	v_add3_u32 v13, v13, v14, 0x7fff
	s_delay_alu instid0(VALU_DEP_1) | instskip(NEXT) | instid1(VALU_DEP_1)
	v_lshrrev_b32_e32 v13, 16, v13
	v_cndmask_b32_e32 v13, 0x7fc0, v13, vcc_lo
	global_store_b16 v[0:1], v13, off
.LBB240_1913:
	s_mov_b32 s1, 0
.LBB240_1914:
	s_delay_alu instid0(SALU_CYCLE_1)
	s_and_b32 vcc_lo, exec_lo, s1
	s_mov_b32 s1, 0
	s_cbranch_vccz .LBB240_1916
; %bb.1915:
	v_cmp_ne_u16_e64 s0, 11, v5
	s_mov_b32 s1, -1
.LBB240_1916:
	s_delay_alu instid0(VALU_DEP_1)
	s_and_b32 vcc_lo, exec_lo, s0
	s_cbranch_vccnz .LBB240_2328
; %bb.1917:
	s_and_not1_b32 vcc_lo, exec_lo, s1
	s_cbranch_vccnz .LBB240_1919
.LBB240_1918:
	v_and_b32_e32 v13, 0x7fff7fff, v2
	s_mov_b32 s3, -1
	s_delay_alu instid0(VALU_DEP_1)
	v_cmp_ne_u32_e32 vcc_lo, 0, v13
	v_cndmask_b32_e64 v13, 0, 1, vcc_lo
	global_store_b8 v[0:1], v13, off
.LBB240_1919:
	s_mov_b32 s0, 0
	s_branch .LBB240_1921
.LBB240_1920:
	s_mov_b32 s0, -1
	s_mov_b32 s3, 0
.LBB240_1921:
	s_and_b32 vcc_lo, exec_lo, s0
	s_cbranch_vccz .LBB240_1960
; %bb.1922:
	v_cmp_gt_i16_e32 vcc_lo, 5, v5
	s_mov_b32 s0, -1
	s_cbranch_vccnz .LBB240_1943
; %bb.1923:
	v_cmp_gt_i16_e32 vcc_lo, 8, v5
	s_cbranch_vccnz .LBB240_1933
; %bb.1924:
	v_cmp_gt_i16_e32 vcc_lo, 9, v5
	s_cbranch_vccnz .LBB240_1930
; %bb.1925:
	v_cmp_lt_i16_e32 vcc_lo, 9, v5
	s_cbranch_vccz .LBB240_1927
; %bb.1926:
	v_cvt_f32_f16_e32 v13, v6
	v_cvt_f32_f16_e32 v15, v12
	s_mov_b32 s0, 0
	s_delay_alu instid0(VALU_DEP_2) | instskip(NEXT) | instid1(VALU_DEP_2)
	v_cvt_f64_f32_e32 v[13:14], v13
	v_cvt_f64_f32_e32 v[15:16], v15
	global_store_b128 v[0:1], v[13:16], off
.LBB240_1927:
	s_and_not1_b32 vcc_lo, exec_lo, s0
	s_cbranch_vccnz .LBB240_1929
; %bb.1928:
	v_cvt_f32_f16_e32 v13, v6
	v_cvt_f32_f16_e32 v14, v12
	global_store_b64 v[0:1], v[13:14], off
.LBB240_1929:
	s_mov_b32 s0, 0
.LBB240_1930:
	s_delay_alu instid0(SALU_CYCLE_1)
	s_and_not1_b32 vcc_lo, exec_lo, s0
	s_cbranch_vccnz .LBB240_1932
; %bb.1931:
	global_store_b32 v[0:1], v2, off
.LBB240_1932:
	s_mov_b32 s0, 0
.LBB240_1933:
	s_delay_alu instid0(SALU_CYCLE_1)
	s_and_not1_b32 vcc_lo, exec_lo, s0
	s_cbranch_vccnz .LBB240_1942
; %bb.1934:
	v_cmp_gt_i16_e32 vcc_lo, 6, v5
	s_mov_b32 s0, -1
	s_cbranch_vccnz .LBB240_1940
; %bb.1935:
	v_cmp_lt_i16_e32 vcc_lo, 6, v5
	s_cbranch_vccz .LBB240_1937
; %bb.1936:
	v_cvt_f32_f16_e32 v2, v6
	s_mov_b32 s0, 0
	s_delay_alu instid0(VALU_DEP_1)
	v_cvt_f64_f32_e32 v[12:13], v2
	global_store_b64 v[0:1], v[12:13], off
.LBB240_1937:
	s_and_not1_b32 vcc_lo, exec_lo, s0
	s_cbranch_vccnz .LBB240_1939
; %bb.1938:
	v_cvt_f32_f16_e32 v2, v6
	global_store_b32 v[0:1], v2, off
.LBB240_1939:
	s_mov_b32 s0, 0
.LBB240_1940:
	s_delay_alu instid0(SALU_CYCLE_1)
	s_and_not1_b32 vcc_lo, exec_lo, s0
	s_cbranch_vccnz .LBB240_1942
; %bb.1941:
	global_store_b16 v[0:1], v6, off
.LBB240_1942:
	s_mov_b32 s0, 0
.LBB240_1943:
	s_delay_alu instid0(SALU_CYCLE_1)
	s_and_not1_b32 vcc_lo, exec_lo, s0
	s_cbranch_vccnz .LBB240_1959
; %bb.1944:
	v_cmp_gt_i16_e32 vcc_lo, 2, v5
	s_mov_b32 s0, -1
	s_cbranch_vccnz .LBB240_1954
; %bb.1945:
	v_cmp_gt_i16_e32 vcc_lo, 3, v5
	s_cbranch_vccnz .LBB240_1951
; %bb.1946:
	v_cmp_lt_i16_e32 vcc_lo, 3, v5
	s_cbranch_vccz .LBB240_1948
; %bb.1947:
	v_cvt_f32_f16_e32 v2, v6
	s_mov_b32 s0, 0
	s_delay_alu instid0(VALU_DEP_1) | instskip(NEXT) | instid1(VALU_DEP_1)
	v_cvt_i32_f32_e32 v12, v2
	v_ashrrev_i32_e32 v13, 31, v12
	global_store_b64 v[0:1], v[12:13], off
.LBB240_1948:
	s_and_not1_b32 vcc_lo, exec_lo, s0
	s_cbranch_vccnz .LBB240_1950
; %bb.1949:
	v_cvt_f32_f16_e32 v2, v6
	s_delay_alu instid0(VALU_DEP_1)
	v_cvt_i32_f32_e32 v2, v2
	global_store_b32 v[0:1], v2, off
.LBB240_1950:
	s_mov_b32 s0, 0
.LBB240_1951:
	s_delay_alu instid0(SALU_CYCLE_1)
	s_and_not1_b32 vcc_lo, exec_lo, s0
	s_cbranch_vccnz .LBB240_1953
; %bb.1952:
	v_cvt_i16_f16_e32 v2, v6
	global_store_b16 v[0:1], v2, off
.LBB240_1953:
	s_mov_b32 s0, 0
.LBB240_1954:
	s_delay_alu instid0(SALU_CYCLE_1)
	s_and_not1_b32 vcc_lo, exec_lo, s0
	s_cbranch_vccnz .LBB240_1959
; %bb.1955:
	v_cmp_lt_i16_e32 vcc_lo, 0, v5
	s_mov_b32 s0, -1
	s_cbranch_vccz .LBB240_1957
; %bb.1956:
	v_cvt_i16_f16_e32 v2, v6
	s_mov_b32 s0, 0
	global_store_b8 v[0:1], v2, off
.LBB240_1957:
	s_and_not1_b32 vcc_lo, exec_lo, s0
	s_cbranch_vccnz .LBB240_1959
; %bb.1958:
	v_cvt_f32_f16_e32 v2, v6
	s_delay_alu instid0(VALU_DEP_1)
	v_cvt_i32_f32_e32 v2, v2
	global_store_b8 v[0:1], v2, off
.LBB240_1959:
	s_mov_b32 s3, -1
.LBB240_1960:
	s_delay_alu instid0(SALU_CYCLE_1)
	s_and_not1_b32 vcc_lo, exec_lo, s3
	s_cbranch_vccnz .LBB240_2275
; %bb.1961:
	v_cvt_f16_f32_e32 v2, v7
	v_cvt_f16_f32_e32 v7, v8
	s_lshl_b32 s1, s2, 7
	v_cmp_gt_i16_e32 vcc_lo, 11, v5
	v_add_nc_u32_e32 v6, s1, v3
	v_lshlrev_b32_e32 v0, 16, v2
	v_and_b32_e32 v1, 0xffff, v7
	s_and_b32 vcc_lo, exec_lo, vcc_lo
	s_delay_alu instid0(VALU_DEP_3) | instskip(NEXT) | instid1(VALU_DEP_2)
	v_ashrrev_i32_e32 v3, 31, v6
	v_or_b32_e32 v8, v0, v1
	v_add_co_u32 v0, s0, s4, v6
	s_delay_alu instid0(VALU_DEP_1)
	v_add_co_ci_u32_e64 v1, s0, s5, v3, s0
	s_cbranch_vccnz .LBB240_2039
; %bb.1962:
	v_cmp_lt_i16_e32 vcc_lo, 25, v5
	s_mov_b32 s6, -1
	s_mov_b32 s2, 0
	s_mov_b32 s3, 0
	;; [unrolled: 1-line block ×3, first 2 shown]
	s_cbranch_vccz .LBB240_1995
; %bb.1963:
	v_cmp_lt_i16_e32 vcc_lo, 28, v5
	s_cbranch_vccz .LBB240_1978
; %bb.1964:
	v_cmp_lt_i16_e32 vcc_lo, 43, v5
	;; [unrolled: 3-line block ×3, first 2 shown]
	s_cbranch_vccz .LBB240_1968
; %bb.1966:
	v_cmp_eq_u16_e32 vcc_lo, 46, v5
	s_mov_b32 s0, -1
	s_mov_b32 s6, 0
	s_cbranch_vccz .LBB240_1968
; %bb.1967:
	v_cvt_f32_f16_e32 v3, v2
	v_cvt_f32_f16_e32 v12, v7
	v_cmp_o_f16_e32 vcc_lo, v2, v2
	s_mov_b32 s0, 0
	s_mov_b32 s3, -1
	v_bfe_u32 v13, v3, 16, 1
	v_bfe_u32 v14, v12, 16, 1
	s_delay_alu instid0(VALU_DEP_2) | instskip(NEXT) | instid1(VALU_DEP_2)
	v_add3_u32 v3, v3, v13, 0x7fff
	v_add3_u32 v12, v12, v14, 0x7fff
	s_delay_alu instid0(VALU_DEP_2) | instskip(NEXT) | instid1(VALU_DEP_2)
	v_and_b32_e32 v3, 0xffff0000, v3
	v_lshrrev_b32_e32 v12, 16, v12
	s_delay_alu instid0(VALU_DEP_2) | instskip(SKIP_1) | instid1(VALU_DEP_3)
	v_cndmask_b32_e32 v3, 0x7fc00000, v3, vcc_lo
	v_cmp_o_f16_e32 vcc_lo, v7, v7
	v_cndmask_b32_e32 v12, 0x7fc0, v12, vcc_lo
	s_delay_alu instid0(VALU_DEP_1)
	v_or_b32_e32 v3, v3, v12
	global_store_b32 v[0:1], v3, off
.LBB240_1968:
	s_and_b32 vcc_lo, exec_lo, s6
	s_cbranch_vccz .LBB240_1973
; %bb.1969:
	v_cmp_eq_u16_e32 vcc_lo, 44, v5
	s_mov_b32 s0, -1
	s_cbranch_vccz .LBB240_1973
; %bb.1970:
	v_cvt_f32_f16_e32 v3, v7
	v_mov_b32_e32 v12, 0xff
	s_mov_b32 s3, exec_lo
	s_delay_alu instid0(VALU_DEP_2) | instskip(NEXT) | instid1(VALU_DEP_1)
	v_bfe_u32 v13, v3, 23, 8
	v_cmpx_ne_u32_e32 0xff, v13
; %bb.1971:
	v_and_b32_e32 v12, 0x400000, v3
	v_and_or_b32 v13, 0x3fffff, v3, v13
	v_lshrrev_b32_e32 v3, 23, v3
	s_delay_alu instid0(VALU_DEP_3) | instskip(NEXT) | instid1(VALU_DEP_3)
	v_cmp_ne_u32_e32 vcc_lo, 0, v12
	v_cmp_ne_u32_e64 s0, 0, v13
	s_delay_alu instid0(VALU_DEP_1) | instskip(NEXT) | instid1(SALU_CYCLE_1)
	s_and_b32 s0, vcc_lo, s0
	v_cndmask_b32_e64 v12, 0, 1, s0
	s_delay_alu instid0(VALU_DEP_1)
	v_add_nc_u32_e32 v12, v3, v12
; %bb.1972:
	s_or_b32 exec_lo, exec_lo, s3
	s_mov_b32 s0, 0
	s_mov_b32 s3, -1
	global_store_b8 v[0:1], v12, off
.LBB240_1973:
	s_mov_b32 s6, 0
.LBB240_1974:
	s_delay_alu instid0(SALU_CYCLE_1)
	s_and_b32 vcc_lo, exec_lo, s6
	s_cbranch_vccz .LBB240_1977
; %bb.1975:
	v_cmp_eq_u16_e32 vcc_lo, 29, v5
	s_mov_b32 s0, -1
	s_cbranch_vccz .LBB240_1977
; %bb.1976:
	v_cvt_f32_f16_e32 v3, v7
	v_mov_b32_e32 v13, 0
	s_mov_b32 s0, 0
	s_mov_b32 s3, -1
	s_delay_alu instid0(VALU_DEP_2)
	v_cvt_u32_f32_e32 v12, v3
	global_store_b64 v[0:1], v[12:13], off
.LBB240_1977:
	s_mov_b32 s6, 0
.LBB240_1978:
	s_delay_alu instid0(SALU_CYCLE_1)
	s_and_b32 vcc_lo, exec_lo, s6
	s_cbranch_vccz .LBB240_1994
; %bb.1979:
	v_cmp_gt_i16_e32 vcc_lo, 27, v5
	s_mov_b32 s3, -1
	s_cbranch_vccnz .LBB240_1985
; %bb.1980:
	v_cmp_lt_i16_e32 vcc_lo, 27, v5
	s_cbranch_vccz .LBB240_1982
; %bb.1981:
	v_cvt_f32_f16_e32 v3, v7
	s_mov_b32 s3, 0
	s_delay_alu instid0(VALU_DEP_1)
	v_cvt_u32_f32_e32 v3, v3
	global_store_b32 v[0:1], v3, off
.LBB240_1982:
	s_and_not1_b32 vcc_lo, exec_lo, s3
	s_cbranch_vccnz .LBB240_1984
; %bb.1983:
	v_cvt_u16_f16_e32 v3, v7
	global_store_b16 v[0:1], v3, off
.LBB240_1984:
	s_mov_b32 s3, 0
.LBB240_1985:
	s_delay_alu instid0(SALU_CYCLE_1)
	s_and_not1_b32 vcc_lo, exec_lo, s3
	s_cbranch_vccnz .LBB240_1993
; %bb.1986:
	v_cvt_f32_f16_e32 v3, v7
	v_mov_b32_e32 v13, 0x80
	s_mov_b32 s3, exec_lo
	s_delay_alu instid0(VALU_DEP_2) | instskip(NEXT) | instid1(VALU_DEP_1)
	v_and_b32_e32 v12, 0x7fffffff, v3
	v_cmpx_gt_u32_e32 0x43800000, v12
	s_cbranch_execz .LBB240_1992
; %bb.1987:
	v_cmp_lt_u32_e32 vcc_lo, 0x3bffffff, v12
	s_mov_b32 s6, 0
                                        ; implicit-def: $vgpr12
	s_and_saveexec_b32 s7, vcc_lo
	s_delay_alu instid0(SALU_CYCLE_1)
	s_xor_b32 s7, exec_lo, s7
	s_cbranch_execz .LBB240_2332
; %bb.1988:
	v_bfe_u32 v12, v3, 20, 1
	s_mov_b32 s6, exec_lo
	s_delay_alu instid0(VALU_DEP_1) | instskip(NEXT) | instid1(VALU_DEP_1)
	v_add3_u32 v12, v3, v12, 0x487ffff
	v_lshrrev_b32_e32 v12, 20, v12
	s_or_saveexec_b32 s7, s7
                                        ; implicit-def: $sgpr11
	s_delay_alu instid0(SALU_CYCLE_1)
	s_xor_b32 exec_lo, exec_lo, s7
	s_cbranch_execnz .LBB240_2333
.LBB240_1989:
	s_or_b32 exec_lo, exec_lo, s7
	v_mov_b32_e32 v13, s11
	s_and_saveexec_b32 s7, s6
.LBB240_1990:
	v_lshrrev_b32_e32 v3, 24, v3
	s_delay_alu instid0(VALU_DEP_1)
	v_and_or_b32 v13, 0x80, v3, v12
.LBB240_1991:
	s_or_b32 exec_lo, exec_lo, s7
.LBB240_1992:
	s_delay_alu instid0(SALU_CYCLE_1)
	s_or_b32 exec_lo, exec_lo, s3
	global_store_b8 v[0:1], v13, off
.LBB240_1993:
	s_mov_b32 s3, -1
.LBB240_1994:
	s_mov_b32 s6, 0
.LBB240_1995:
	s_delay_alu instid0(SALU_CYCLE_1)
	s_and_b32 vcc_lo, exec_lo, s6
	s_cbranch_vccz .LBB240_2035
; %bb.1996:
	v_cmp_lt_i16_e32 vcc_lo, 22, v5
	s_mov_b32 s2, -1
	s_cbranch_vccz .LBB240_2028
; %bb.1997:
	v_cmp_gt_i16_e32 vcc_lo, 24, v5
	s_cbranch_vccnz .LBB240_2017
; %bb.1998:
	v_cmp_lt_i16_e32 vcc_lo, 24, v5
	s_cbranch_vccz .LBB240_2006
; %bb.1999:
	v_cvt_f32_f16_e32 v3, v7
	v_mov_b32_e32 v13, 0x80
	s_mov_b32 s2, exec_lo
	s_delay_alu instid0(VALU_DEP_2) | instskip(NEXT) | instid1(VALU_DEP_1)
	v_and_b32_e32 v12, 0x7fffffff, v3
	v_cmpx_gt_u32_e32 0x47800000, v12
	s_cbranch_execz .LBB240_2005
; %bb.2000:
	v_cmp_lt_u32_e32 vcc_lo, 0x37ffffff, v12
	s_mov_b32 s3, 0
                                        ; implicit-def: $vgpr12
	s_and_saveexec_b32 s6, vcc_lo
	s_delay_alu instid0(SALU_CYCLE_1)
	s_xor_b32 s6, exec_lo, s6
	s_cbranch_execz .LBB240_2338
; %bb.2001:
	v_bfe_u32 v12, v3, 21, 1
	s_mov_b32 s3, exec_lo
	s_delay_alu instid0(VALU_DEP_1) | instskip(NEXT) | instid1(VALU_DEP_1)
	v_add3_u32 v12, v3, v12, 0x88fffff
	v_lshrrev_b32_e32 v12, 21, v12
	s_or_saveexec_b32 s6, s6
                                        ; implicit-def: $sgpr7
	s_delay_alu instid0(SALU_CYCLE_1)
	s_xor_b32 exec_lo, exec_lo, s6
	s_cbranch_execnz .LBB240_2339
.LBB240_2002:
	s_or_b32 exec_lo, exec_lo, s6
	v_mov_b32_e32 v13, s7
	s_and_saveexec_b32 s6, s3
.LBB240_2003:
	v_lshrrev_b32_e32 v3, 24, v3
	s_delay_alu instid0(VALU_DEP_1)
	v_and_or_b32 v13, 0x80, v3, v12
.LBB240_2004:
	s_or_b32 exec_lo, exec_lo, s6
.LBB240_2005:
	s_delay_alu instid0(SALU_CYCLE_1)
	s_or_b32 exec_lo, exec_lo, s2
	s_mov_b32 s2, 0
	global_store_b8 v[0:1], v13, off
.LBB240_2006:
	s_and_b32 vcc_lo, exec_lo, s2
	s_cbranch_vccz .LBB240_2016
; %bb.2007:
	v_cvt_f32_f16_e32 v3, v7
	s_mov_b32 s2, exec_lo
                                        ; implicit-def: $vgpr12
	s_delay_alu instid0(VALU_DEP_1) | instskip(NEXT) | instid1(VALU_DEP_1)
	v_and_b32_e32 v13, 0x7fffffff, v3
	v_cmpx_gt_u32_e32 0x43f00000, v13
	s_xor_b32 s2, exec_lo, s2
	s_cbranch_execz .LBB240_2013
; %bb.2008:
	s_mov_b32 s3, exec_lo
                                        ; implicit-def: $vgpr12
	v_cmpx_lt_u32_e32 0x3c7fffff, v13
	s_xor_b32 s3, exec_lo, s3
; %bb.2009:
	v_bfe_u32 v12, v3, 20, 1
	s_delay_alu instid0(VALU_DEP_1) | instskip(NEXT) | instid1(VALU_DEP_1)
	v_add3_u32 v12, v3, v12, 0x407ffff
	v_and_b32_e32 v13, 0xff00000, v12
	v_lshrrev_b32_e32 v12, 20, v12
	s_delay_alu instid0(VALU_DEP_2) | instskip(NEXT) | instid1(VALU_DEP_2)
	v_cmp_ne_u32_e32 vcc_lo, 0x7f00000, v13
	v_cndmask_b32_e32 v12, 0x7e, v12, vcc_lo
; %bb.2010:
	s_and_not1_saveexec_b32 s3, s3
; %bb.2011:
	v_add_f32_e64 v12, 0x46800000, |v3|
; %bb.2012:
	s_or_b32 exec_lo, exec_lo, s3
                                        ; implicit-def: $vgpr13
.LBB240_2013:
	s_and_not1_saveexec_b32 s2, s2
; %bb.2014:
	v_mov_b32_e32 v12, 0x7f
	v_cmp_lt_u32_e32 vcc_lo, 0x7f800000, v13
	s_delay_alu instid0(VALU_DEP_2)
	v_cndmask_b32_e32 v12, 0x7e, v12, vcc_lo
; %bb.2015:
	s_or_b32 exec_lo, exec_lo, s2
	v_lshrrev_b32_e32 v3, 24, v3
	s_delay_alu instid0(VALU_DEP_1)
	v_and_or_b32 v3, 0x80, v3, v12
	global_store_b8 v[0:1], v3, off
.LBB240_2016:
	s_mov_b32 s2, 0
.LBB240_2017:
	s_delay_alu instid0(SALU_CYCLE_1)
	s_and_not1_b32 vcc_lo, exec_lo, s2
	s_cbranch_vccnz .LBB240_2027
; %bb.2018:
	v_cvt_f32_f16_e32 v3, v7
	s_mov_b32 s2, exec_lo
                                        ; implicit-def: $vgpr12
	s_delay_alu instid0(VALU_DEP_1) | instskip(NEXT) | instid1(VALU_DEP_1)
	v_and_b32_e32 v13, 0x7fffffff, v3
	v_cmpx_gt_u32_e32 0x47800000, v13
	s_xor_b32 s2, exec_lo, s2
	s_cbranch_execz .LBB240_2024
; %bb.2019:
	s_mov_b32 s3, exec_lo
                                        ; implicit-def: $vgpr12
	v_cmpx_lt_u32_e32 0x387fffff, v13
	s_xor_b32 s3, exec_lo, s3
; %bb.2020:
	v_bfe_u32 v12, v3, 21, 1
	s_delay_alu instid0(VALU_DEP_1) | instskip(NEXT) | instid1(VALU_DEP_1)
	v_add3_u32 v12, v3, v12, 0x80fffff
	v_lshrrev_b32_e32 v12, 21, v12
; %bb.2021:
	s_and_not1_saveexec_b32 s3, s3
; %bb.2022:
	v_add_f32_e64 v12, 0x43000000, |v3|
; %bb.2023:
	s_or_b32 exec_lo, exec_lo, s3
                                        ; implicit-def: $vgpr13
.LBB240_2024:
	s_and_not1_saveexec_b32 s2, s2
; %bb.2025:
	v_mov_b32_e32 v12, 0x7f
	v_cmp_lt_u32_e32 vcc_lo, 0x7f800000, v13
	s_delay_alu instid0(VALU_DEP_2)
	v_cndmask_b32_e32 v12, 0x7c, v12, vcc_lo
; %bb.2026:
	s_or_b32 exec_lo, exec_lo, s2
	v_lshrrev_b32_e32 v3, 24, v3
	s_delay_alu instid0(VALU_DEP_1)
	v_and_or_b32 v3, 0x80, v3, v12
	global_store_b8 v[0:1], v3, off
.LBB240_2027:
	s_mov_b32 s2, 0
	s_mov_b32 s3, -1
.LBB240_2028:
	s_and_not1_b32 vcc_lo, exec_lo, s2
	s_mov_b32 s2, 0
	s_cbranch_vccnz .LBB240_2035
; %bb.2029:
	v_cmp_lt_i16_e32 vcc_lo, 14, v5
	s_mov_b32 s2, -1
	s_cbranch_vccz .LBB240_2033
; %bb.2030:
	v_cmp_eq_u16_e32 vcc_lo, 15, v5
	s_mov_b32 s0, -1
	s_cbranch_vccz .LBB240_2032
; %bb.2031:
	v_cvt_f32_f16_e32 v3, v7
	v_cmp_o_f16_e32 vcc_lo, v7, v7
	s_mov_b32 s0, 0
	s_mov_b32 s3, -1
	s_delay_alu instid0(VALU_DEP_2) | instskip(NEXT) | instid1(VALU_DEP_1)
	v_bfe_u32 v12, v3, 16, 1
	v_add3_u32 v3, v3, v12, 0x7fff
	s_delay_alu instid0(VALU_DEP_1) | instskip(NEXT) | instid1(VALU_DEP_1)
	v_lshrrev_b32_e32 v3, 16, v3
	v_cndmask_b32_e32 v3, 0x7fc0, v3, vcc_lo
	global_store_b16 v[0:1], v3, off
.LBB240_2032:
	s_mov_b32 s2, 0
.LBB240_2033:
	s_delay_alu instid0(SALU_CYCLE_1)
	s_and_b32 vcc_lo, exec_lo, s2
	s_mov_b32 s2, 0
	s_cbranch_vccz .LBB240_2035
; %bb.2034:
	v_cmp_ne_u16_e64 s0, 11, v5
	s_mov_b32 s2, -1
.LBB240_2035:
	s_delay_alu instid0(VALU_DEP_1)
	s_and_b32 vcc_lo, exec_lo, s0
	s_cbranch_vccnz .LBB240_2336
; %bb.2036:
	s_and_not1_b32 vcc_lo, exec_lo, s2
	s_cbranch_vccnz .LBB240_2038
.LBB240_2037:
	v_and_b32_e32 v3, 0x7fff7fff, v8
	s_mov_b32 s3, -1
	s_delay_alu instid0(VALU_DEP_1)
	v_cmp_ne_u32_e32 vcc_lo, 0, v3
	v_cndmask_b32_e64 v3, 0, 1, vcc_lo
	global_store_b8 v[0:1], v3, off
.LBB240_2038:
	s_mov_b32 s0, 0
	s_branch .LBB240_2040
.LBB240_2039:
	s_mov_b32 s0, -1
	s_mov_b32 s3, 0
.LBB240_2040:
	s_and_b32 vcc_lo, exec_lo, s0
	s_cbranch_vccz .LBB240_2079
; %bb.2041:
	v_cmp_gt_i16_e32 vcc_lo, 5, v5
	s_mov_b32 s0, -1
	s_cbranch_vccnz .LBB240_2062
; %bb.2042:
	v_cmp_gt_i16_e32 vcc_lo, 8, v5
	s_cbranch_vccnz .LBB240_2052
; %bb.2043:
	v_cmp_gt_i16_e32 vcc_lo, 9, v5
	s_cbranch_vccnz .LBB240_2049
; %bb.2044:
	v_cmp_lt_i16_e32 vcc_lo, 9, v5
	v_cvt_f32_f16_e32 v3, v2
	s_cbranch_vccz .LBB240_2046
; %bb.2045:
	v_cvt_f32_f16_e32 v2, v7
	s_delay_alu instid0(VALU_DEP_2) | instskip(SKIP_1) | instid1(VALU_DEP_2)
	v_cvt_f64_f32_e32 v[14:15], v3
	s_mov_b32 s0, 0
	v_cvt_f64_f32_e32 v[12:13], v2
	global_store_b128 v[0:1], v[12:15], off
.LBB240_2046:
	s_and_not1_b32 vcc_lo, exec_lo, s0
	s_cbranch_vccnz .LBB240_2048
; %bb.2047:
	v_cvt_f32_f16_e32 v2, v7
	global_store_b64 v[0:1], v[2:3], off
.LBB240_2048:
	s_mov_b32 s0, 0
.LBB240_2049:
	s_delay_alu instid0(SALU_CYCLE_1)
	s_and_not1_b32 vcc_lo, exec_lo, s0
	s_cbranch_vccnz .LBB240_2051
; %bb.2050:
	global_store_b32 v[0:1], v8, off
.LBB240_2051:
	s_mov_b32 s0, 0
.LBB240_2052:
	s_delay_alu instid0(SALU_CYCLE_1)
	s_and_not1_b32 vcc_lo, exec_lo, s0
	s_cbranch_vccnz .LBB240_2061
; %bb.2053:
	v_cmp_gt_i16_e32 vcc_lo, 6, v5
	s_mov_b32 s0, -1
	s_cbranch_vccnz .LBB240_2059
; %bb.2054:
	v_cmp_lt_i16_e32 vcc_lo, 6, v5
	s_cbranch_vccz .LBB240_2056
; %bb.2055:
	v_cvt_f32_f16_e32 v2, v7
	s_mov_b32 s0, 0
	s_delay_alu instid0(VALU_DEP_1)
	v_cvt_f64_f32_e32 v[2:3], v2
	global_store_b64 v[0:1], v[2:3], off
.LBB240_2056:
	s_and_not1_b32 vcc_lo, exec_lo, s0
	s_cbranch_vccnz .LBB240_2058
; %bb.2057:
	v_cvt_f32_f16_e32 v2, v7
	global_store_b32 v[0:1], v2, off
.LBB240_2058:
	s_mov_b32 s0, 0
.LBB240_2059:
	s_delay_alu instid0(SALU_CYCLE_1)
	s_and_not1_b32 vcc_lo, exec_lo, s0
	s_cbranch_vccnz .LBB240_2061
; %bb.2060:
	global_store_b16 v[0:1], v7, off
.LBB240_2061:
	s_mov_b32 s0, 0
.LBB240_2062:
	s_delay_alu instid0(SALU_CYCLE_1)
	s_and_not1_b32 vcc_lo, exec_lo, s0
	s_cbranch_vccnz .LBB240_2078
; %bb.2063:
	v_cmp_gt_i16_e32 vcc_lo, 2, v5
	s_mov_b32 s0, -1
	s_cbranch_vccnz .LBB240_2073
; %bb.2064:
	v_cmp_gt_i16_e32 vcc_lo, 3, v5
	s_cbranch_vccnz .LBB240_2070
; %bb.2065:
	v_cmp_lt_i16_e32 vcc_lo, 3, v5
	s_cbranch_vccz .LBB240_2067
; %bb.2066:
	v_cvt_f32_f16_e32 v2, v7
	s_mov_b32 s0, 0
	s_delay_alu instid0(VALU_DEP_1) | instskip(NEXT) | instid1(VALU_DEP_1)
	v_cvt_i32_f32_e32 v2, v2
	v_ashrrev_i32_e32 v3, 31, v2
	global_store_b64 v[0:1], v[2:3], off
.LBB240_2067:
	s_and_not1_b32 vcc_lo, exec_lo, s0
	s_cbranch_vccnz .LBB240_2069
; %bb.2068:
	v_cvt_f32_f16_e32 v2, v7
	s_delay_alu instid0(VALU_DEP_1)
	v_cvt_i32_f32_e32 v2, v2
	global_store_b32 v[0:1], v2, off
.LBB240_2069:
	s_mov_b32 s0, 0
.LBB240_2070:
	s_delay_alu instid0(SALU_CYCLE_1)
	s_and_not1_b32 vcc_lo, exec_lo, s0
	s_cbranch_vccnz .LBB240_2072
; %bb.2071:
	v_cvt_i16_f16_e32 v2, v7
	global_store_b16 v[0:1], v2, off
.LBB240_2072:
	s_mov_b32 s0, 0
.LBB240_2073:
	s_delay_alu instid0(SALU_CYCLE_1)
	s_and_not1_b32 vcc_lo, exec_lo, s0
	s_cbranch_vccnz .LBB240_2078
; %bb.2074:
	v_cmp_lt_i16_e32 vcc_lo, 0, v5
	s_mov_b32 s0, -1
	s_cbranch_vccz .LBB240_2076
; %bb.2075:
	v_cvt_i16_f16_e32 v2, v7
	s_mov_b32 s0, 0
	global_store_b8 v[0:1], v2, off
.LBB240_2076:
	s_and_not1_b32 vcc_lo, exec_lo, s0
	s_cbranch_vccnz .LBB240_2078
; %bb.2077:
	v_cvt_f32_f16_e32 v2, v7
	s_delay_alu instid0(VALU_DEP_1)
	v_cvt_i32_f32_e32 v2, v2
	global_store_b8 v[0:1], v2, off
.LBB240_2078:
	s_mov_b32 s3, -1
.LBB240_2079:
	s_delay_alu instid0(SALU_CYCLE_1)
	s_and_not1_b32 vcc_lo, exec_lo, s3
	s_cbranch_vccnz .LBB240_2275
; %bb.2080:
	v_cvt_f16_f32_e32 v2, v9
	v_cvt_f16_f32_e32 v7, v10
	v_add_nc_u32_e32 v6, s1, v6
	v_cmp_gt_i16_e32 vcc_lo, 11, v5
	s_delay_alu instid0(VALU_DEP_4) | instskip(NEXT) | instid1(VALU_DEP_4)
	v_lshlrev_b32_e32 v0, 16, v2
	v_and_b32_e32 v1, 0xffff, v7
	s_delay_alu instid0(VALU_DEP_4) | instskip(NEXT) | instid1(VALU_DEP_2)
	v_ashrrev_i32_e32 v3, 31, v6
	v_or_b32_e32 v8, v0, v1
	v_add_co_u32 v0, s0, s4, v6
	s_delay_alu instid0(VALU_DEP_1)
	v_add_co_ci_u32_e64 v1, s0, s5, v3, s0
	s_cbranch_vccnz .LBB240_2158
; %bb.2081:
	v_cmp_lt_i16_e32 vcc_lo, 25, v5
	s_mov_b32 s6, -1
	s_mov_b32 s2, 0
	s_mov_b32 s3, 0
	;; [unrolled: 1-line block ×3, first 2 shown]
	s_cbranch_vccz .LBB240_2114
; %bb.2082:
	v_cmp_lt_i16_e32 vcc_lo, 28, v5
	s_cbranch_vccz .LBB240_2097
; %bb.2083:
	v_cmp_lt_i16_e32 vcc_lo, 43, v5
	;; [unrolled: 3-line block ×3, first 2 shown]
	s_cbranch_vccz .LBB240_2087
; %bb.2085:
	v_cmp_eq_u16_e32 vcc_lo, 46, v5
	s_mov_b32 s0, -1
	s_mov_b32 s6, 0
	s_cbranch_vccz .LBB240_2087
; %bb.2086:
	v_cvt_f32_f16_e32 v3, v2
	v_cvt_f32_f16_e32 v9, v7
	v_cmp_o_f16_e32 vcc_lo, v2, v2
	s_mov_b32 s0, 0
	s_mov_b32 s3, -1
	v_bfe_u32 v10, v3, 16, 1
	v_bfe_u32 v12, v9, 16, 1
	s_delay_alu instid0(VALU_DEP_2) | instskip(NEXT) | instid1(VALU_DEP_2)
	v_add3_u32 v3, v3, v10, 0x7fff
	v_add3_u32 v9, v9, v12, 0x7fff
	s_delay_alu instid0(VALU_DEP_2) | instskip(NEXT) | instid1(VALU_DEP_2)
	v_and_b32_e32 v3, 0xffff0000, v3
	v_lshrrev_b32_e32 v9, 16, v9
	s_delay_alu instid0(VALU_DEP_2) | instskip(SKIP_1) | instid1(VALU_DEP_3)
	v_cndmask_b32_e32 v3, 0x7fc00000, v3, vcc_lo
	v_cmp_o_f16_e32 vcc_lo, v7, v7
	v_cndmask_b32_e32 v9, 0x7fc0, v9, vcc_lo
	s_delay_alu instid0(VALU_DEP_1)
	v_or_b32_e32 v3, v3, v9
	global_store_b32 v[0:1], v3, off
.LBB240_2087:
	s_and_b32 vcc_lo, exec_lo, s6
	s_cbranch_vccz .LBB240_2092
; %bb.2088:
	v_cmp_eq_u16_e32 vcc_lo, 44, v5
	s_mov_b32 s0, -1
	s_cbranch_vccz .LBB240_2092
; %bb.2089:
	v_cvt_f32_f16_e32 v3, v7
	v_mov_b32_e32 v9, 0xff
	s_mov_b32 s3, exec_lo
	s_delay_alu instid0(VALU_DEP_2) | instskip(NEXT) | instid1(VALU_DEP_1)
	v_bfe_u32 v10, v3, 23, 8
	v_cmpx_ne_u32_e32 0xff, v10
; %bb.2090:
	v_and_b32_e32 v9, 0x400000, v3
	v_and_or_b32 v10, 0x3fffff, v3, v10
	v_lshrrev_b32_e32 v3, 23, v3
	s_delay_alu instid0(VALU_DEP_3) | instskip(NEXT) | instid1(VALU_DEP_3)
	v_cmp_ne_u32_e32 vcc_lo, 0, v9
	v_cmp_ne_u32_e64 s0, 0, v10
	s_delay_alu instid0(VALU_DEP_1) | instskip(NEXT) | instid1(SALU_CYCLE_1)
	s_and_b32 s0, vcc_lo, s0
	v_cndmask_b32_e64 v9, 0, 1, s0
	s_delay_alu instid0(VALU_DEP_1)
	v_add_nc_u32_e32 v9, v3, v9
; %bb.2091:
	s_or_b32 exec_lo, exec_lo, s3
	s_mov_b32 s0, 0
	s_mov_b32 s3, -1
	global_store_b8 v[0:1], v9, off
.LBB240_2092:
	s_mov_b32 s6, 0
.LBB240_2093:
	s_delay_alu instid0(SALU_CYCLE_1)
	s_and_b32 vcc_lo, exec_lo, s6
	s_cbranch_vccz .LBB240_2096
; %bb.2094:
	v_cmp_eq_u16_e32 vcc_lo, 29, v5
	s_mov_b32 s0, -1
	s_cbranch_vccz .LBB240_2096
; %bb.2095:
	v_cvt_f32_f16_e32 v3, v7
	v_mov_b32_e32 v10, 0
	s_mov_b32 s0, 0
	s_mov_b32 s3, -1
	s_delay_alu instid0(VALU_DEP_2)
	v_cvt_u32_f32_e32 v9, v3
	global_store_b64 v[0:1], v[9:10], off
.LBB240_2096:
	s_mov_b32 s6, 0
.LBB240_2097:
	s_delay_alu instid0(SALU_CYCLE_1)
	s_and_b32 vcc_lo, exec_lo, s6
	s_cbranch_vccz .LBB240_2113
; %bb.2098:
	v_cmp_gt_i16_e32 vcc_lo, 27, v5
	s_mov_b32 s3, -1
	s_cbranch_vccnz .LBB240_2104
; %bb.2099:
	v_cmp_lt_i16_e32 vcc_lo, 27, v5
	s_cbranch_vccz .LBB240_2101
; %bb.2100:
	v_cvt_f32_f16_e32 v3, v7
	s_mov_b32 s3, 0
	s_delay_alu instid0(VALU_DEP_1)
	v_cvt_u32_f32_e32 v3, v3
	global_store_b32 v[0:1], v3, off
.LBB240_2101:
	s_and_not1_b32 vcc_lo, exec_lo, s3
	s_cbranch_vccnz .LBB240_2103
; %bb.2102:
	v_cvt_u16_f16_e32 v3, v7
	global_store_b16 v[0:1], v3, off
.LBB240_2103:
	s_mov_b32 s3, 0
.LBB240_2104:
	s_delay_alu instid0(SALU_CYCLE_1)
	s_and_not1_b32 vcc_lo, exec_lo, s3
	s_cbranch_vccnz .LBB240_2112
; %bb.2105:
	v_cvt_f32_f16_e32 v3, v7
	v_mov_b32_e32 v10, 0x80
	s_mov_b32 s3, exec_lo
	s_delay_alu instid0(VALU_DEP_2) | instskip(NEXT) | instid1(VALU_DEP_1)
	v_and_b32_e32 v9, 0x7fffffff, v3
	v_cmpx_gt_u32_e32 0x43800000, v9
	s_cbranch_execz .LBB240_2111
; %bb.2106:
	v_cmp_lt_u32_e32 vcc_lo, 0x3bffffff, v9
	s_mov_b32 s6, 0
                                        ; implicit-def: $vgpr9
	s_and_saveexec_b32 s7, vcc_lo
	s_delay_alu instid0(SALU_CYCLE_1)
	s_xor_b32 s7, exec_lo, s7
	s_cbranch_execz .LBB240_2340
; %bb.2107:
	v_bfe_u32 v9, v3, 20, 1
	s_mov_b32 s6, exec_lo
	s_delay_alu instid0(VALU_DEP_1) | instskip(NEXT) | instid1(VALU_DEP_1)
	v_add3_u32 v9, v3, v9, 0x487ffff
	v_lshrrev_b32_e32 v9, 20, v9
	s_or_saveexec_b32 s7, s7
                                        ; implicit-def: $sgpr11
	s_delay_alu instid0(SALU_CYCLE_1)
	s_xor_b32 exec_lo, exec_lo, s7
	s_cbranch_execnz .LBB240_2341
.LBB240_2108:
	s_or_b32 exec_lo, exec_lo, s7
	v_mov_b32_e32 v10, s11
	s_and_saveexec_b32 s7, s6
.LBB240_2109:
	v_lshrrev_b32_e32 v3, 24, v3
	s_delay_alu instid0(VALU_DEP_1)
	v_and_or_b32 v10, 0x80, v3, v9
.LBB240_2110:
	s_or_b32 exec_lo, exec_lo, s7
.LBB240_2111:
	s_delay_alu instid0(SALU_CYCLE_1)
	s_or_b32 exec_lo, exec_lo, s3
	global_store_b8 v[0:1], v10, off
.LBB240_2112:
	s_mov_b32 s3, -1
.LBB240_2113:
	s_mov_b32 s6, 0
.LBB240_2114:
	s_delay_alu instid0(SALU_CYCLE_1)
	s_and_b32 vcc_lo, exec_lo, s6
	s_cbranch_vccz .LBB240_2154
; %bb.2115:
	v_cmp_lt_i16_e32 vcc_lo, 22, v5
	s_mov_b32 s2, -1
	s_cbranch_vccz .LBB240_2147
; %bb.2116:
	v_cmp_gt_i16_e32 vcc_lo, 24, v5
	s_cbranch_vccnz .LBB240_2136
; %bb.2117:
	v_cmp_lt_i16_e32 vcc_lo, 24, v5
	s_cbranch_vccz .LBB240_2125
; %bb.2118:
	v_cvt_f32_f16_e32 v3, v7
	v_mov_b32_e32 v10, 0x80
	s_mov_b32 s2, exec_lo
	s_delay_alu instid0(VALU_DEP_2) | instskip(NEXT) | instid1(VALU_DEP_1)
	v_and_b32_e32 v9, 0x7fffffff, v3
	v_cmpx_gt_u32_e32 0x47800000, v9
	s_cbranch_execz .LBB240_2124
; %bb.2119:
	v_cmp_lt_u32_e32 vcc_lo, 0x37ffffff, v9
	s_mov_b32 s3, 0
                                        ; implicit-def: $vgpr9
	s_and_saveexec_b32 s6, vcc_lo
	s_delay_alu instid0(SALU_CYCLE_1)
	s_xor_b32 s6, exec_lo, s6
	s_cbranch_execz .LBB240_2346
; %bb.2120:
	v_bfe_u32 v9, v3, 21, 1
	s_mov_b32 s3, exec_lo
	s_delay_alu instid0(VALU_DEP_1) | instskip(NEXT) | instid1(VALU_DEP_1)
	v_add3_u32 v9, v3, v9, 0x88fffff
	v_lshrrev_b32_e32 v9, 21, v9
	s_or_saveexec_b32 s6, s6
                                        ; implicit-def: $sgpr7
	s_delay_alu instid0(SALU_CYCLE_1)
	s_xor_b32 exec_lo, exec_lo, s6
	s_cbranch_execnz .LBB240_2347
.LBB240_2121:
	s_or_b32 exec_lo, exec_lo, s6
	v_mov_b32_e32 v10, s7
	s_and_saveexec_b32 s6, s3
.LBB240_2122:
	v_lshrrev_b32_e32 v3, 24, v3
	s_delay_alu instid0(VALU_DEP_1)
	v_and_or_b32 v10, 0x80, v3, v9
.LBB240_2123:
	s_or_b32 exec_lo, exec_lo, s6
.LBB240_2124:
	s_delay_alu instid0(SALU_CYCLE_1)
	s_or_b32 exec_lo, exec_lo, s2
	s_mov_b32 s2, 0
	global_store_b8 v[0:1], v10, off
.LBB240_2125:
	s_and_b32 vcc_lo, exec_lo, s2
	s_cbranch_vccz .LBB240_2135
; %bb.2126:
	v_cvt_f32_f16_e32 v3, v7
	s_mov_b32 s2, exec_lo
                                        ; implicit-def: $vgpr9
	s_delay_alu instid0(VALU_DEP_1) | instskip(NEXT) | instid1(VALU_DEP_1)
	v_and_b32_e32 v10, 0x7fffffff, v3
	v_cmpx_gt_u32_e32 0x43f00000, v10
	s_xor_b32 s2, exec_lo, s2
	s_cbranch_execz .LBB240_2132
; %bb.2127:
	s_mov_b32 s3, exec_lo
                                        ; implicit-def: $vgpr9
	v_cmpx_lt_u32_e32 0x3c7fffff, v10
	s_xor_b32 s3, exec_lo, s3
; %bb.2128:
	v_bfe_u32 v9, v3, 20, 1
	s_delay_alu instid0(VALU_DEP_1) | instskip(NEXT) | instid1(VALU_DEP_1)
	v_add3_u32 v9, v3, v9, 0x407ffff
	v_and_b32_e32 v10, 0xff00000, v9
	v_lshrrev_b32_e32 v9, 20, v9
	s_delay_alu instid0(VALU_DEP_2) | instskip(NEXT) | instid1(VALU_DEP_2)
	v_cmp_ne_u32_e32 vcc_lo, 0x7f00000, v10
	v_cndmask_b32_e32 v9, 0x7e, v9, vcc_lo
; %bb.2129:
	s_and_not1_saveexec_b32 s3, s3
; %bb.2130:
	v_add_f32_e64 v9, 0x46800000, |v3|
; %bb.2131:
	s_or_b32 exec_lo, exec_lo, s3
                                        ; implicit-def: $vgpr10
.LBB240_2132:
	s_and_not1_saveexec_b32 s2, s2
; %bb.2133:
	v_mov_b32_e32 v9, 0x7f
	v_cmp_lt_u32_e32 vcc_lo, 0x7f800000, v10
	s_delay_alu instid0(VALU_DEP_2)
	v_cndmask_b32_e32 v9, 0x7e, v9, vcc_lo
; %bb.2134:
	s_or_b32 exec_lo, exec_lo, s2
	v_lshrrev_b32_e32 v3, 24, v3
	s_delay_alu instid0(VALU_DEP_1)
	v_and_or_b32 v3, 0x80, v3, v9
	global_store_b8 v[0:1], v3, off
.LBB240_2135:
	s_mov_b32 s2, 0
.LBB240_2136:
	s_delay_alu instid0(SALU_CYCLE_1)
	s_and_not1_b32 vcc_lo, exec_lo, s2
	s_cbranch_vccnz .LBB240_2146
; %bb.2137:
	v_cvt_f32_f16_e32 v3, v7
	s_mov_b32 s2, exec_lo
                                        ; implicit-def: $vgpr9
	s_delay_alu instid0(VALU_DEP_1) | instskip(NEXT) | instid1(VALU_DEP_1)
	v_and_b32_e32 v10, 0x7fffffff, v3
	v_cmpx_gt_u32_e32 0x47800000, v10
	s_xor_b32 s2, exec_lo, s2
	s_cbranch_execz .LBB240_2143
; %bb.2138:
	s_mov_b32 s3, exec_lo
                                        ; implicit-def: $vgpr9
	v_cmpx_lt_u32_e32 0x387fffff, v10
	s_xor_b32 s3, exec_lo, s3
; %bb.2139:
	v_bfe_u32 v9, v3, 21, 1
	s_delay_alu instid0(VALU_DEP_1) | instskip(NEXT) | instid1(VALU_DEP_1)
	v_add3_u32 v9, v3, v9, 0x80fffff
	v_lshrrev_b32_e32 v9, 21, v9
; %bb.2140:
	s_and_not1_saveexec_b32 s3, s3
; %bb.2141:
	v_add_f32_e64 v9, 0x43000000, |v3|
; %bb.2142:
	s_or_b32 exec_lo, exec_lo, s3
                                        ; implicit-def: $vgpr10
.LBB240_2143:
	s_and_not1_saveexec_b32 s2, s2
; %bb.2144:
	v_mov_b32_e32 v9, 0x7f
	v_cmp_lt_u32_e32 vcc_lo, 0x7f800000, v10
	s_delay_alu instid0(VALU_DEP_2)
	v_cndmask_b32_e32 v9, 0x7c, v9, vcc_lo
; %bb.2145:
	s_or_b32 exec_lo, exec_lo, s2
	v_lshrrev_b32_e32 v3, 24, v3
	s_delay_alu instid0(VALU_DEP_1)
	v_and_or_b32 v3, 0x80, v3, v9
	global_store_b8 v[0:1], v3, off
.LBB240_2146:
	s_mov_b32 s2, 0
	s_mov_b32 s3, -1
.LBB240_2147:
	s_and_not1_b32 vcc_lo, exec_lo, s2
	s_mov_b32 s2, 0
	s_cbranch_vccnz .LBB240_2154
; %bb.2148:
	v_cmp_lt_i16_e32 vcc_lo, 14, v5
	s_mov_b32 s2, -1
	s_cbranch_vccz .LBB240_2152
; %bb.2149:
	v_cmp_eq_u16_e32 vcc_lo, 15, v5
	s_mov_b32 s0, -1
	s_cbranch_vccz .LBB240_2151
; %bb.2150:
	v_cvt_f32_f16_e32 v3, v7
	v_cmp_o_f16_e32 vcc_lo, v7, v7
	s_mov_b32 s0, 0
	s_mov_b32 s3, -1
	s_delay_alu instid0(VALU_DEP_2) | instskip(NEXT) | instid1(VALU_DEP_1)
	v_bfe_u32 v9, v3, 16, 1
	v_add3_u32 v3, v3, v9, 0x7fff
	s_delay_alu instid0(VALU_DEP_1) | instskip(NEXT) | instid1(VALU_DEP_1)
	v_lshrrev_b32_e32 v3, 16, v3
	v_cndmask_b32_e32 v3, 0x7fc0, v3, vcc_lo
	global_store_b16 v[0:1], v3, off
.LBB240_2151:
	s_mov_b32 s2, 0
.LBB240_2152:
	s_delay_alu instid0(SALU_CYCLE_1)
	s_and_b32 vcc_lo, exec_lo, s2
	s_mov_b32 s2, 0
	s_cbranch_vccz .LBB240_2154
; %bb.2153:
	v_cmp_ne_u16_e64 s0, 11, v5
	s_mov_b32 s2, -1
.LBB240_2154:
	s_delay_alu instid0(VALU_DEP_1)
	s_and_b32 vcc_lo, exec_lo, s0
	s_cbranch_vccnz .LBB240_2344
; %bb.2155:
	s_and_not1_b32 vcc_lo, exec_lo, s2
	s_cbranch_vccnz .LBB240_2157
.LBB240_2156:
	v_and_b32_e32 v3, 0x7fff7fff, v8
	s_mov_b32 s3, -1
	s_delay_alu instid0(VALU_DEP_1)
	v_cmp_ne_u32_e32 vcc_lo, 0, v3
	v_cndmask_b32_e64 v3, 0, 1, vcc_lo
	global_store_b8 v[0:1], v3, off
.LBB240_2157:
	s_mov_b32 s0, 0
	s_branch .LBB240_2159
.LBB240_2158:
	s_mov_b32 s0, -1
	s_mov_b32 s3, 0
.LBB240_2159:
	s_and_b32 vcc_lo, exec_lo, s0
	s_cbranch_vccz .LBB240_2198
; %bb.2160:
	v_cmp_gt_i16_e32 vcc_lo, 5, v5
	s_mov_b32 s0, -1
	s_cbranch_vccnz .LBB240_2181
; %bb.2161:
	v_cmp_gt_i16_e32 vcc_lo, 8, v5
	s_cbranch_vccnz .LBB240_2171
; %bb.2162:
	v_cmp_gt_i16_e32 vcc_lo, 9, v5
	s_cbranch_vccnz .LBB240_2168
; %bb.2163:
	v_cmp_lt_i16_e32 vcc_lo, 9, v5
	v_cvt_f32_f16_e32 v3, v2
	s_cbranch_vccz .LBB240_2165
; %bb.2164:
	v_cvt_f32_f16_e32 v2, v7
	s_delay_alu instid0(VALU_DEP_2) | instskip(SKIP_1) | instid1(VALU_DEP_2)
	v_cvt_f64_f32_e32 v[14:15], v3
	s_mov_b32 s0, 0
	v_cvt_f64_f32_e32 v[12:13], v2
	global_store_b128 v[0:1], v[12:15], off
.LBB240_2165:
	s_and_not1_b32 vcc_lo, exec_lo, s0
	s_cbranch_vccnz .LBB240_2167
; %bb.2166:
	v_cvt_f32_f16_e32 v2, v7
	global_store_b64 v[0:1], v[2:3], off
.LBB240_2167:
	s_mov_b32 s0, 0
.LBB240_2168:
	s_delay_alu instid0(SALU_CYCLE_1)
	s_and_not1_b32 vcc_lo, exec_lo, s0
	s_cbranch_vccnz .LBB240_2170
; %bb.2169:
	global_store_b32 v[0:1], v8, off
.LBB240_2170:
	s_mov_b32 s0, 0
.LBB240_2171:
	s_delay_alu instid0(SALU_CYCLE_1)
	s_and_not1_b32 vcc_lo, exec_lo, s0
	s_cbranch_vccnz .LBB240_2180
; %bb.2172:
	v_cmp_gt_i16_e32 vcc_lo, 6, v5
	s_mov_b32 s0, -1
	s_cbranch_vccnz .LBB240_2178
; %bb.2173:
	v_cmp_lt_i16_e32 vcc_lo, 6, v5
	s_cbranch_vccz .LBB240_2175
; %bb.2174:
	v_cvt_f32_f16_e32 v2, v7
	s_mov_b32 s0, 0
	s_delay_alu instid0(VALU_DEP_1)
	v_cvt_f64_f32_e32 v[2:3], v2
	global_store_b64 v[0:1], v[2:3], off
.LBB240_2175:
	s_and_not1_b32 vcc_lo, exec_lo, s0
	s_cbranch_vccnz .LBB240_2177
; %bb.2176:
	v_cvt_f32_f16_e32 v2, v7
	global_store_b32 v[0:1], v2, off
.LBB240_2177:
	s_mov_b32 s0, 0
.LBB240_2178:
	s_delay_alu instid0(SALU_CYCLE_1)
	s_and_not1_b32 vcc_lo, exec_lo, s0
	s_cbranch_vccnz .LBB240_2180
; %bb.2179:
	global_store_b16 v[0:1], v7, off
.LBB240_2180:
	s_mov_b32 s0, 0
.LBB240_2181:
	s_delay_alu instid0(SALU_CYCLE_1)
	s_and_not1_b32 vcc_lo, exec_lo, s0
	s_cbranch_vccnz .LBB240_2197
; %bb.2182:
	v_cmp_gt_i16_e32 vcc_lo, 2, v5
	s_mov_b32 s0, -1
	s_cbranch_vccnz .LBB240_2192
; %bb.2183:
	v_cmp_gt_i16_e32 vcc_lo, 3, v5
	s_cbranch_vccnz .LBB240_2189
; %bb.2184:
	v_cmp_lt_i16_e32 vcc_lo, 3, v5
	s_cbranch_vccz .LBB240_2186
; %bb.2185:
	v_cvt_f32_f16_e32 v2, v7
	s_mov_b32 s0, 0
	s_delay_alu instid0(VALU_DEP_1) | instskip(NEXT) | instid1(VALU_DEP_1)
	v_cvt_i32_f32_e32 v2, v2
	v_ashrrev_i32_e32 v3, 31, v2
	global_store_b64 v[0:1], v[2:3], off
.LBB240_2186:
	s_and_not1_b32 vcc_lo, exec_lo, s0
	s_cbranch_vccnz .LBB240_2188
; %bb.2187:
	v_cvt_f32_f16_e32 v2, v7
	s_delay_alu instid0(VALU_DEP_1)
	v_cvt_i32_f32_e32 v2, v2
	global_store_b32 v[0:1], v2, off
.LBB240_2188:
	s_mov_b32 s0, 0
.LBB240_2189:
	s_delay_alu instid0(SALU_CYCLE_1)
	s_and_not1_b32 vcc_lo, exec_lo, s0
	s_cbranch_vccnz .LBB240_2191
; %bb.2190:
	v_cvt_i16_f16_e32 v2, v7
	global_store_b16 v[0:1], v2, off
.LBB240_2191:
	s_mov_b32 s0, 0
.LBB240_2192:
	s_delay_alu instid0(SALU_CYCLE_1)
	s_and_not1_b32 vcc_lo, exec_lo, s0
	s_cbranch_vccnz .LBB240_2197
; %bb.2193:
	v_cmp_lt_i16_e32 vcc_lo, 0, v5
	s_mov_b32 s0, -1
	s_cbranch_vccz .LBB240_2195
; %bb.2194:
	v_cvt_i16_f16_e32 v2, v7
	s_mov_b32 s0, 0
	global_store_b8 v[0:1], v2, off
.LBB240_2195:
	s_and_not1_b32 vcc_lo, exec_lo, s0
	s_cbranch_vccnz .LBB240_2197
; %bb.2196:
	v_cvt_f32_f16_e32 v2, v7
	s_delay_alu instid0(VALU_DEP_1)
	v_cvt_i32_f32_e32 v2, v2
	global_store_b8 v[0:1], v2, off
.LBB240_2197:
	s_mov_b32 s3, -1
.LBB240_2198:
	s_delay_alu instid0(SALU_CYCLE_1)
	s_and_not1_b32 vcc_lo, exec_lo, s3
	s_cbranch_vccnz .LBB240_2275
; %bb.2199:
	v_add_nc_u32_e32 v0, s1, v6
	v_cmp_gt_i16_e32 vcc_lo, 11, v5
	v_cvt_f16_f32_e32 v6, v11
	v_cvt_f16_f32_e32 v7, v4
	s_delay_alu instid0(VALU_DEP_4) | instskip(SKIP_1) | instid1(VALU_DEP_1)
	v_ashrrev_i32_e32 v1, 31, v0
	v_add_co_u32 v0, s0, s4, v0
	v_add_co_ci_u32_e64 v1, s0, s5, v1, s0
	s_cbranch_vccnz .LBB240_2320
; %bb.2200:
	v_cmp_lt_i16_e32 vcc_lo, 25, v5
	s_mov_b32 s2, -1
	s_mov_b32 s1, 0
	s_mov_b32 s0, 0
	s_cbranch_vccz .LBB240_2233
; %bb.2201:
	v_cmp_lt_i16_e32 vcc_lo, 28, v5
	s_cbranch_vccz .LBB240_2217
; %bb.2202:
	v_cmp_lt_i16_e32 vcc_lo, 43, v5
	;; [unrolled: 3-line block ×3, first 2 shown]
	s_cbranch_vccz .LBB240_2207
; %bb.2204:
	v_cmp_eq_u16_e32 vcc_lo, 46, v5
	s_mov_b32 s0, -1
	s_cbranch_vccz .LBB240_2206
; %bb.2205:
	v_cvt_f32_f16_e32 v2, v7
	v_cvt_f32_f16_e32 v3, v6
	v_cmp_o_f16_e32 vcc_lo, v7, v7
	s_mov_b32 s0, 0
	s_delay_alu instid0(VALU_DEP_3) | instskip(NEXT) | instid1(VALU_DEP_3)
	v_bfe_u32 v4, v2, 16, 1
	v_bfe_u32 v8, v3, 16, 1
	s_delay_alu instid0(VALU_DEP_2) | instskip(NEXT) | instid1(VALU_DEP_2)
	v_add3_u32 v2, v2, v4, 0x7fff
	v_add3_u32 v3, v3, v8, 0x7fff
	s_delay_alu instid0(VALU_DEP_2) | instskip(NEXT) | instid1(VALU_DEP_2)
	v_and_b32_e32 v2, 0xffff0000, v2
	v_lshrrev_b32_e32 v3, 16, v3
	s_delay_alu instid0(VALU_DEP_2) | instskip(SKIP_1) | instid1(VALU_DEP_3)
	v_cndmask_b32_e32 v2, 0x7fc00000, v2, vcc_lo
	v_cmp_o_f16_e32 vcc_lo, v6, v6
	v_cndmask_b32_e32 v3, 0x7fc0, v3, vcc_lo
	s_delay_alu instid0(VALU_DEP_1)
	v_or_b32_e32 v2, v2, v3
	global_store_b32 v[0:1], v2, off
.LBB240_2206:
	s_mov_b32 s2, 0
.LBB240_2207:
	s_delay_alu instid0(SALU_CYCLE_1)
	s_and_b32 vcc_lo, exec_lo, s2
	s_cbranch_vccz .LBB240_2212
; %bb.2208:
	v_cmp_eq_u16_e32 vcc_lo, 44, v5
	s_mov_b32 s0, -1
	s_cbranch_vccz .LBB240_2212
; %bb.2209:
	v_cvt_f32_f16_e32 v2, v6
	v_mov_b32_e32 v3, 0xff
	s_mov_b32 s2, exec_lo
	s_delay_alu instid0(VALU_DEP_2) | instskip(NEXT) | instid1(VALU_DEP_1)
	v_bfe_u32 v4, v2, 23, 8
	v_cmpx_ne_u32_e32 0xff, v4
; %bb.2210:
	v_and_b32_e32 v3, 0x400000, v2
	v_and_or_b32 v4, 0x3fffff, v2, v4
	v_lshrrev_b32_e32 v2, 23, v2
	s_delay_alu instid0(VALU_DEP_3) | instskip(NEXT) | instid1(VALU_DEP_3)
	v_cmp_ne_u32_e32 vcc_lo, 0, v3
	v_cmp_ne_u32_e64 s0, 0, v4
	s_delay_alu instid0(VALU_DEP_1) | instskip(NEXT) | instid1(SALU_CYCLE_1)
	s_and_b32 s0, vcc_lo, s0
	v_cndmask_b32_e64 v3, 0, 1, s0
	s_delay_alu instid0(VALU_DEP_1)
	v_add_nc_u32_e32 v3, v2, v3
; %bb.2211:
	s_or_b32 exec_lo, exec_lo, s2
	s_mov_b32 s0, 0
	global_store_b8 v[0:1], v3, off
.LBB240_2212:
	s_mov_b32 s2, 0
.LBB240_2213:
	s_delay_alu instid0(SALU_CYCLE_1)
	s_and_b32 vcc_lo, exec_lo, s2
	s_cbranch_vccz .LBB240_2216
; %bb.2214:
	v_cmp_eq_u16_e32 vcc_lo, 29, v5
	s_mov_b32 s0, -1
	s_cbranch_vccz .LBB240_2216
; %bb.2215:
	v_cvt_f32_f16_e32 v2, v6
	v_mov_b32_e32 v3, 0
	s_mov_b32 s0, 0
	s_delay_alu instid0(VALU_DEP_2)
	v_cvt_u32_f32_e32 v2, v2
	global_store_b64 v[0:1], v[2:3], off
.LBB240_2216:
	s_mov_b32 s2, 0
.LBB240_2217:
	s_delay_alu instid0(SALU_CYCLE_1)
	s_and_b32 vcc_lo, exec_lo, s2
	s_cbranch_vccz .LBB240_2232
; %bb.2218:
	v_cmp_gt_i16_e32 vcc_lo, 27, v5
	s_mov_b32 s2, -1
	s_cbranch_vccnz .LBB240_2224
; %bb.2219:
	v_cmp_lt_i16_e32 vcc_lo, 27, v5
	s_cbranch_vccz .LBB240_2221
; %bb.2220:
	v_cvt_f32_f16_e32 v2, v6
	s_mov_b32 s2, 0
	s_delay_alu instid0(VALU_DEP_1)
	v_cvt_u32_f32_e32 v2, v2
	global_store_b32 v[0:1], v2, off
.LBB240_2221:
	s_and_not1_b32 vcc_lo, exec_lo, s2
	s_cbranch_vccnz .LBB240_2223
; %bb.2222:
	v_cvt_u16_f16_e32 v2, v6
	global_store_b16 v[0:1], v2, off
.LBB240_2223:
	s_mov_b32 s2, 0
.LBB240_2224:
	s_delay_alu instid0(SALU_CYCLE_1)
	s_and_not1_b32 vcc_lo, exec_lo, s2
	s_cbranch_vccnz .LBB240_2232
; %bb.2225:
	v_cvt_f32_f16_e32 v2, v6
	v_mov_b32_e32 v4, 0x80
	s_mov_b32 s2, exec_lo
	s_delay_alu instid0(VALU_DEP_2) | instskip(NEXT) | instid1(VALU_DEP_1)
	v_and_b32_e32 v3, 0x7fffffff, v2
	v_cmpx_gt_u32_e32 0x43800000, v3
	s_cbranch_execz .LBB240_2231
; %bb.2226:
	v_cmp_lt_u32_e32 vcc_lo, 0x3bffffff, v3
	s_mov_b32 s3, 0
                                        ; implicit-def: $vgpr3
	s_and_saveexec_b32 s4, vcc_lo
	s_delay_alu instid0(SALU_CYCLE_1)
	s_xor_b32 s4, exec_lo, s4
	s_cbranch_execz .LBB240_2348
; %bb.2227:
	v_bfe_u32 v3, v2, 20, 1
	s_mov_b32 s3, exec_lo
	s_delay_alu instid0(VALU_DEP_1) | instskip(NEXT) | instid1(VALU_DEP_1)
	v_add3_u32 v3, v2, v3, 0x487ffff
	v_lshrrev_b32_e32 v3, 20, v3
	s_or_saveexec_b32 s4, s4
                                        ; implicit-def: $sgpr5
	s_delay_alu instid0(SALU_CYCLE_1)
	s_xor_b32 exec_lo, exec_lo, s4
	s_cbranch_execnz .LBB240_2349
.LBB240_2228:
	s_or_b32 exec_lo, exec_lo, s4
	v_mov_b32_e32 v4, s5
	s_and_saveexec_b32 s4, s3
.LBB240_2229:
	v_lshrrev_b32_e32 v2, 24, v2
	s_delay_alu instid0(VALU_DEP_1)
	v_and_or_b32 v4, 0x80, v2, v3
.LBB240_2230:
	s_or_b32 exec_lo, exec_lo, s4
.LBB240_2231:
	s_delay_alu instid0(SALU_CYCLE_1)
	s_or_b32 exec_lo, exec_lo, s2
	global_store_b8 v[0:1], v4, off
.LBB240_2232:
	s_mov_b32 s2, 0
.LBB240_2233:
	s_delay_alu instid0(SALU_CYCLE_1)
	s_and_b32 vcc_lo, exec_lo, s2
	s_cbranch_vccz .LBB240_2273
; %bb.2234:
	v_cmp_lt_i16_e32 vcc_lo, 22, v5
	s_mov_b32 s1, -1
	s_cbranch_vccz .LBB240_2266
; %bb.2235:
	v_cmp_gt_i16_e32 vcc_lo, 24, v5
	s_cbranch_vccnz .LBB240_2255
; %bb.2236:
	v_cmp_lt_i16_e32 vcc_lo, 24, v5
	s_cbranch_vccz .LBB240_2244
; %bb.2237:
	v_cvt_f32_f16_e32 v2, v6
	v_mov_b32_e32 v4, 0x80
	s_mov_b32 s1, exec_lo
	s_delay_alu instid0(VALU_DEP_2) | instskip(NEXT) | instid1(VALU_DEP_1)
	v_and_b32_e32 v3, 0x7fffffff, v2
	v_cmpx_gt_u32_e32 0x47800000, v3
	s_cbranch_execz .LBB240_2243
; %bb.2238:
	v_cmp_lt_u32_e32 vcc_lo, 0x37ffffff, v3
	s_mov_b32 s2, 0
                                        ; implicit-def: $vgpr3
	s_and_saveexec_b32 s3, vcc_lo
	s_delay_alu instid0(SALU_CYCLE_1)
	s_xor_b32 s3, exec_lo, s3
	s_cbranch_execz .LBB240_2354
; %bb.2239:
	v_bfe_u32 v3, v2, 21, 1
	s_mov_b32 s2, exec_lo
	s_delay_alu instid0(VALU_DEP_1) | instskip(NEXT) | instid1(VALU_DEP_1)
	v_add3_u32 v3, v2, v3, 0x88fffff
	v_lshrrev_b32_e32 v3, 21, v3
	s_or_saveexec_b32 s3, s3
                                        ; implicit-def: $sgpr4
	s_delay_alu instid0(SALU_CYCLE_1)
	s_xor_b32 exec_lo, exec_lo, s3
	s_cbranch_execnz .LBB240_2355
.LBB240_2240:
	s_or_b32 exec_lo, exec_lo, s3
	v_mov_b32_e32 v4, s4
	s_and_saveexec_b32 s3, s2
.LBB240_2241:
	v_lshrrev_b32_e32 v2, 24, v2
	s_delay_alu instid0(VALU_DEP_1)
	v_and_or_b32 v4, 0x80, v2, v3
.LBB240_2242:
	s_or_b32 exec_lo, exec_lo, s3
.LBB240_2243:
	s_delay_alu instid0(SALU_CYCLE_1)
	s_or_b32 exec_lo, exec_lo, s1
	s_mov_b32 s1, 0
	global_store_b8 v[0:1], v4, off
.LBB240_2244:
	s_and_b32 vcc_lo, exec_lo, s1
	s_cbranch_vccz .LBB240_2254
; %bb.2245:
	v_cvt_f32_f16_e32 v2, v6
	s_mov_b32 s1, exec_lo
                                        ; implicit-def: $vgpr3
	s_delay_alu instid0(VALU_DEP_1) | instskip(NEXT) | instid1(VALU_DEP_1)
	v_and_b32_e32 v4, 0x7fffffff, v2
	v_cmpx_gt_u32_e32 0x43f00000, v4
	s_xor_b32 s1, exec_lo, s1
	s_cbranch_execz .LBB240_2251
; %bb.2246:
	s_mov_b32 s2, exec_lo
                                        ; implicit-def: $vgpr3
	v_cmpx_lt_u32_e32 0x3c7fffff, v4
	s_xor_b32 s2, exec_lo, s2
; %bb.2247:
	v_bfe_u32 v3, v2, 20, 1
	s_delay_alu instid0(VALU_DEP_1) | instskip(NEXT) | instid1(VALU_DEP_1)
	v_add3_u32 v3, v2, v3, 0x407ffff
	v_and_b32_e32 v4, 0xff00000, v3
	v_lshrrev_b32_e32 v3, 20, v3
	s_delay_alu instid0(VALU_DEP_2) | instskip(NEXT) | instid1(VALU_DEP_2)
	v_cmp_ne_u32_e32 vcc_lo, 0x7f00000, v4
	v_cndmask_b32_e32 v3, 0x7e, v3, vcc_lo
; %bb.2248:
	s_and_not1_saveexec_b32 s2, s2
; %bb.2249:
	v_add_f32_e64 v3, 0x46800000, |v2|
; %bb.2250:
	s_or_b32 exec_lo, exec_lo, s2
                                        ; implicit-def: $vgpr4
.LBB240_2251:
	s_and_not1_saveexec_b32 s1, s1
; %bb.2252:
	v_mov_b32_e32 v3, 0x7f
	v_cmp_lt_u32_e32 vcc_lo, 0x7f800000, v4
	s_delay_alu instid0(VALU_DEP_2)
	v_cndmask_b32_e32 v3, 0x7e, v3, vcc_lo
; %bb.2253:
	s_or_b32 exec_lo, exec_lo, s1
	v_lshrrev_b32_e32 v2, 24, v2
	s_delay_alu instid0(VALU_DEP_1)
	v_and_or_b32 v2, 0x80, v2, v3
	global_store_b8 v[0:1], v2, off
.LBB240_2254:
	s_mov_b32 s1, 0
.LBB240_2255:
	s_delay_alu instid0(SALU_CYCLE_1)
	s_and_not1_b32 vcc_lo, exec_lo, s1
	s_cbranch_vccnz .LBB240_2265
; %bb.2256:
	v_cvt_f32_f16_e32 v2, v6
	s_mov_b32 s1, exec_lo
                                        ; implicit-def: $vgpr3
	s_delay_alu instid0(VALU_DEP_1) | instskip(NEXT) | instid1(VALU_DEP_1)
	v_and_b32_e32 v4, 0x7fffffff, v2
	v_cmpx_gt_u32_e32 0x47800000, v4
	s_xor_b32 s1, exec_lo, s1
	s_cbranch_execz .LBB240_2262
; %bb.2257:
	s_mov_b32 s2, exec_lo
                                        ; implicit-def: $vgpr3
	v_cmpx_lt_u32_e32 0x387fffff, v4
	s_xor_b32 s2, exec_lo, s2
; %bb.2258:
	v_bfe_u32 v3, v2, 21, 1
	s_delay_alu instid0(VALU_DEP_1) | instskip(NEXT) | instid1(VALU_DEP_1)
	v_add3_u32 v3, v2, v3, 0x80fffff
	v_lshrrev_b32_e32 v3, 21, v3
; %bb.2259:
	s_and_not1_saveexec_b32 s2, s2
; %bb.2260:
	v_add_f32_e64 v3, 0x43000000, |v2|
; %bb.2261:
	s_or_b32 exec_lo, exec_lo, s2
                                        ; implicit-def: $vgpr4
.LBB240_2262:
	s_and_not1_saveexec_b32 s1, s1
; %bb.2263:
	v_mov_b32_e32 v3, 0x7f
	v_cmp_lt_u32_e32 vcc_lo, 0x7f800000, v4
	s_delay_alu instid0(VALU_DEP_2)
	v_cndmask_b32_e32 v3, 0x7c, v3, vcc_lo
; %bb.2264:
	s_or_b32 exec_lo, exec_lo, s1
	v_lshrrev_b32_e32 v2, 24, v2
	s_delay_alu instid0(VALU_DEP_1)
	v_and_or_b32 v2, 0x80, v2, v3
	global_store_b8 v[0:1], v2, off
.LBB240_2265:
	s_mov_b32 s1, 0
.LBB240_2266:
	s_delay_alu instid0(SALU_CYCLE_1)
	s_and_not1_b32 vcc_lo, exec_lo, s1
	s_mov_b32 s1, 0
	s_cbranch_vccnz .LBB240_2273
; %bb.2267:
	v_cmp_lt_i16_e32 vcc_lo, 14, v5
	s_mov_b32 s1, -1
	s_cbranch_vccz .LBB240_2271
; %bb.2268:
	v_cmp_eq_u16_e32 vcc_lo, 15, v5
	s_mov_b32 s0, -1
	s_cbranch_vccz .LBB240_2270
; %bb.2269:
	v_cvt_f32_f16_e32 v2, v6
	v_cmp_o_f16_e32 vcc_lo, v6, v6
	s_mov_b32 s0, 0
	s_delay_alu instid0(VALU_DEP_2) | instskip(NEXT) | instid1(VALU_DEP_1)
	v_bfe_u32 v3, v2, 16, 1
	v_add3_u32 v2, v2, v3, 0x7fff
	s_delay_alu instid0(VALU_DEP_1) | instskip(NEXT) | instid1(VALU_DEP_1)
	v_lshrrev_b32_e32 v2, 16, v2
	v_cndmask_b32_e32 v2, 0x7fc0, v2, vcc_lo
	global_store_b16 v[0:1], v2, off
.LBB240_2270:
	s_mov_b32 s1, 0
.LBB240_2271:
	s_delay_alu instid0(SALU_CYCLE_1)
	s_and_b32 vcc_lo, exec_lo, s1
	s_mov_b32 s1, 0
	s_cbranch_vccz .LBB240_2273
; %bb.2272:
	v_cmp_ne_u16_e64 s0, 11, v5
	s_mov_b32 s1, -1
.LBB240_2273:
	s_delay_alu instid0(VALU_DEP_1)
	s_and_b32 vcc_lo, exec_lo, s0
	s_cbranch_vccnz .LBB240_2352
.LBB240_2274:
	s_mov_b32 s0, 0
	s_branch .LBB240_2321
.LBB240_2275:
	s_mov_b32 s0, 0
	s_mov_b32 s1, 0
                                        ; implicit-def: $vgpr5
                                        ; implicit-def: $vgpr0_vgpr1
                                        ; implicit-def: $vgpr8
                                        ; implicit-def: $vgpr7
                                        ; implicit-def: $vgpr6
.LBB240_2276:
	s_and_not1_b32 s2, s10, exec_lo
	s_and_b32 s3, s8, exec_lo
	s_and_b32 s0, s0, exec_lo
	s_and_b32 s8, s1, exec_lo
	s_or_b32 s10, s2, s3
.LBB240_2277:
	s_or_b32 exec_lo, exec_lo, s9
	s_and_saveexec_b32 s1, s10
	s_cbranch_execz .LBB240_2280
; %bb.2278:
	; divergent unreachable
	s_or_b32 exec_lo, exec_lo, s1
	s_and_saveexec_b32 s1, s8
	s_delay_alu instid0(SALU_CYCLE_1)
	s_xor_b32 s1, exec_lo, s1
	s_cbranch_execnz .LBB240_2281
.LBB240_2279:
	s_or_b32 exec_lo, exec_lo, s1
	s_and_saveexec_b32 s1, s0
	s_cbranch_execnz .LBB240_2282
	s_branch .LBB240_2319
.LBB240_2280:
	s_or_b32 exec_lo, exec_lo, s1
	s_and_saveexec_b32 s1, s8
	s_delay_alu instid0(SALU_CYCLE_1)
	s_xor_b32 s1, exec_lo, s1
	s_cbranch_execz .LBB240_2279
.LBB240_2281:
	v_and_b32_e32 v2, 0x7fff7fff, v8
	s_delay_alu instid0(VALU_DEP_1)
	v_cmp_ne_u32_e32 vcc_lo, 0, v2
	v_cndmask_b32_e64 v2, 0, 1, vcc_lo
	global_store_b8 v[0:1], v2, off
	s_or_b32 exec_lo, exec_lo, s1
	s_and_saveexec_b32 s1, s0
	s_cbranch_execz .LBB240_2319
.LBB240_2282:
	s_waitcnt vmcnt(0)
	v_cmp_gt_i16_e32 vcc_lo, 5, v5
	s_mov_b32 s0, -1
	s_cbranch_vccnz .LBB240_2303
; %bb.2283:
	v_cmp_gt_i16_e32 vcc_lo, 8, v5
	s_cbranch_vccnz .LBB240_2293
; %bb.2284:
	v_cmp_gt_i16_e32 vcc_lo, 9, v5
	s_cbranch_vccnz .LBB240_2290
; %bb.2285:
	v_cmp_lt_i16_e32 vcc_lo, 9, v5
	s_cbranch_vccz .LBB240_2287
; %bb.2286:
	v_cvt_f32_f16_e32 v2, v6
	v_cvt_f32_f16_e32 v3, v7
	s_mov_b32 s0, 0
	s_delay_alu instid0(VALU_DEP_2) | instskip(NEXT) | instid1(VALU_DEP_2)
	v_cvt_f64_f32_e32 v[9:10], v2
	v_cvt_f64_f32_e32 v[11:12], v3
	global_store_b128 v[0:1], v[9:12], off
.LBB240_2287:
	s_and_not1_b32 vcc_lo, exec_lo, s0
	s_cbranch_vccnz .LBB240_2289
; %bb.2288:
	v_cvt_f32_f16_e32 v2, v6
	v_cvt_f32_f16_e32 v3, v7
	global_store_b64 v[0:1], v[2:3], off
.LBB240_2289:
	s_mov_b32 s0, 0
.LBB240_2290:
	s_delay_alu instid0(SALU_CYCLE_1)
	s_and_not1_b32 vcc_lo, exec_lo, s0
	s_cbranch_vccnz .LBB240_2292
; %bb.2291:
	global_store_b32 v[0:1], v8, off
.LBB240_2292:
	s_mov_b32 s0, 0
.LBB240_2293:
	s_delay_alu instid0(SALU_CYCLE_1)
	s_and_not1_b32 vcc_lo, exec_lo, s0
	s_cbranch_vccnz .LBB240_2302
; %bb.2294:
	v_cmp_gt_i16_e32 vcc_lo, 6, v5
	s_mov_b32 s0, -1
	s_cbranch_vccnz .LBB240_2300
; %bb.2295:
	v_cmp_lt_i16_e32 vcc_lo, 6, v5
	s_cbranch_vccz .LBB240_2297
; %bb.2296:
	v_cvt_f32_f16_e32 v2, v6
	s_mov_b32 s0, 0
	s_delay_alu instid0(VALU_DEP_1)
	v_cvt_f64_f32_e32 v[2:3], v2
	global_store_b64 v[0:1], v[2:3], off
.LBB240_2297:
	s_and_not1_b32 vcc_lo, exec_lo, s0
	s_cbranch_vccnz .LBB240_2299
; %bb.2298:
	v_cvt_f32_f16_e32 v2, v6
	global_store_b32 v[0:1], v2, off
.LBB240_2299:
	s_mov_b32 s0, 0
.LBB240_2300:
	s_delay_alu instid0(SALU_CYCLE_1)
	s_and_not1_b32 vcc_lo, exec_lo, s0
	s_cbranch_vccnz .LBB240_2302
; %bb.2301:
	global_store_b16 v[0:1], v6, off
.LBB240_2302:
	s_mov_b32 s0, 0
.LBB240_2303:
	s_delay_alu instid0(SALU_CYCLE_1)
	s_and_not1_b32 vcc_lo, exec_lo, s0
	s_cbranch_vccnz .LBB240_2319
; %bb.2304:
	v_cmp_gt_i16_e32 vcc_lo, 2, v5
	s_mov_b32 s0, -1
	s_cbranch_vccnz .LBB240_2314
; %bb.2305:
	v_cmp_gt_i16_e32 vcc_lo, 3, v5
	s_cbranch_vccnz .LBB240_2311
; %bb.2306:
	v_cmp_lt_i16_e32 vcc_lo, 3, v5
	s_cbranch_vccz .LBB240_2308
; %bb.2307:
	v_cvt_f32_f16_e32 v2, v6
	s_mov_b32 s0, 0
	s_delay_alu instid0(VALU_DEP_1) | instskip(NEXT) | instid1(VALU_DEP_1)
	v_cvt_i32_f32_e32 v2, v2
	v_ashrrev_i32_e32 v3, 31, v2
	global_store_b64 v[0:1], v[2:3], off
.LBB240_2308:
	s_and_not1_b32 vcc_lo, exec_lo, s0
	s_cbranch_vccnz .LBB240_2310
; %bb.2309:
	v_cvt_f32_f16_e32 v2, v6
	s_delay_alu instid0(VALU_DEP_1)
	v_cvt_i32_f32_e32 v2, v2
	global_store_b32 v[0:1], v2, off
.LBB240_2310:
	s_mov_b32 s0, 0
.LBB240_2311:
	s_delay_alu instid0(SALU_CYCLE_1)
	s_and_not1_b32 vcc_lo, exec_lo, s0
	s_cbranch_vccnz .LBB240_2313
; %bb.2312:
	v_cvt_i16_f16_e32 v2, v6
	global_store_b16 v[0:1], v2, off
.LBB240_2313:
	s_mov_b32 s0, 0
.LBB240_2314:
	s_delay_alu instid0(SALU_CYCLE_1)
	s_and_not1_b32 vcc_lo, exec_lo, s0
	s_cbranch_vccnz .LBB240_2319
; %bb.2315:
	v_cmp_lt_i16_e32 vcc_lo, 0, v5
	s_mov_b32 s0, -1
	s_cbranch_vccz .LBB240_2317
; %bb.2316:
	v_cvt_i16_f16_e32 v2, v6
	s_mov_b32 s0, 0
	global_store_b8 v[0:1], v2, off
.LBB240_2317:
	s_and_not1_b32 vcc_lo, exec_lo, s0
	s_cbranch_vccnz .LBB240_2319
; %bb.2318:
	v_cvt_f32_f16_e32 v2, v6
	s_delay_alu instid0(VALU_DEP_1)
	v_cvt_i32_f32_e32 v2, v2
	global_store_b8 v[0:1], v2, off
	s_nop 0
	s_sendmsg sendmsg(MSG_DEALLOC_VGPRS)
	s_endpgm
.LBB240_2319:
	s_nop 0
	s_sendmsg sendmsg(MSG_DEALLOC_VGPRS)
	s_endpgm
.LBB240_2320:
	s_mov_b32 s1, 0
	s_mov_b32 s0, -1
.LBB240_2321:
	v_lshlrev_b32_e32 v2, 16, v7
	v_and_b32_e32 v3, 0xffff, v6
	s_delay_alu instid0(VALU_DEP_1)
	v_or_b32_e32 v8, v2, v3
	s_branch .LBB240_2276
.LBB240_2322:
	s_cbranch_execnz .LBB240_2326
; %bb.2323:
	s_or_b32 s8, s8, exec_lo
                                        ; implicit-def: $vgpr11
                                        ; implicit-def: $vgpr12
	s_cbranch_execz .LBB240_1758
	s_branch .LBB240_1759
.LBB240_2324:
	s_or_saveexec_b32 s7, s7
                                        ; implicit-def: $sgpr11
	s_delay_alu instid0(SALU_CYCLE_1)
	s_xor_b32 exec_lo, exec_lo, s7
	s_cbranch_execz .LBB240_1870
.LBB240_2325:
	v_add_f32_e64 v14, 0x46000000, |v13|
	s_and_not1_b32 s6, s6, exec_lo
	s_mov_b32 s11, 0
	s_delay_alu instid0(VALU_DEP_1) | instskip(NEXT) | instid1(VALU_DEP_1)
	v_and_b32_e32 v14, 0xff, v14
	v_cmp_ne_u32_e32 vcc_lo, 0, v14
	s_and_b32 s12, vcc_lo, exec_lo
	s_delay_alu instid0(SALU_CYCLE_1)
	s_or_b32 s6, s6, s12
	s_or_b32 exec_lo, exec_lo, s7
	v_mov_b32_e32 v15, s11
	s_and_saveexec_b32 s7, s6
	s_cbranch_execnz .LBB240_1871
	s_branch .LBB240_1872
.LBB240_2326:
	s_trap 2
	s_sendmsg_rtn_b32 s0, sendmsg(MSG_RTN_GET_DOORBELL)
	s_mov_b32 ttmp2, m0
	s_waitcnt lgkmcnt(0)
	s_and_b32 s0, s0, 0x3ff
	s_delay_alu instid0(SALU_CYCLE_1) | instskip(NEXT) | instid1(SALU_CYCLE_1)
	s_bitset1_b32 s0, 10
	s_mov_b32 m0, s0
	s_sendmsg sendmsg(MSG_INTERRUPT)
	s_mov_b32 m0, ttmp2
.LBB240_2327:                           ; =>This Inner Loop Header: Depth=1
	s_sethalt 5
	s_branch .LBB240_2327
.LBB240_2328:
	s_cbranch_execnz .LBB240_2334
; %bb.2329:
	s_or_b32 s8, s8, exec_lo
	s_cbranch_execz .LBB240_1918
	s_branch .LBB240_1919
.LBB240_2330:
	s_or_saveexec_b32 s6, s6
                                        ; implicit-def: $sgpr7
	s_delay_alu instid0(SALU_CYCLE_1)
	s_xor_b32 exec_lo, exec_lo, s6
	s_cbranch_execz .LBB240_1883
.LBB240_2331:
	v_add_f32_e64 v14, 0x42800000, |v13|
	s_and_not1_b32 s3, s3, exec_lo
	s_mov_b32 s7, 0
	s_delay_alu instid0(VALU_DEP_1) | instskip(NEXT) | instid1(VALU_DEP_1)
	v_and_b32_e32 v14, 0xff, v14
	v_cmp_ne_u32_e32 vcc_lo, 0, v14
	s_and_b32 s11, vcc_lo, exec_lo
	s_delay_alu instid0(SALU_CYCLE_1)
	s_or_b32 s3, s3, s11
	s_or_b32 exec_lo, exec_lo, s6
	v_mov_b32_e32 v15, s7
	s_and_saveexec_b32 s6, s3
	s_cbranch_execnz .LBB240_1884
	s_branch .LBB240_1885
.LBB240_2332:
	s_or_saveexec_b32 s7, s7
                                        ; implicit-def: $sgpr11
	s_delay_alu instid0(SALU_CYCLE_1)
	s_xor_b32 exec_lo, exec_lo, s7
	s_cbranch_execz .LBB240_1989
.LBB240_2333:
	v_add_f32_e64 v12, 0x46000000, |v3|
	s_and_not1_b32 s6, s6, exec_lo
	s_mov_b32 s11, 0
	s_delay_alu instid0(VALU_DEP_1) | instskip(NEXT) | instid1(VALU_DEP_1)
	v_and_b32_e32 v12, 0xff, v12
	v_cmp_ne_u32_e32 vcc_lo, 0, v12
	s_and_b32 s12, vcc_lo, exec_lo
	s_delay_alu instid0(SALU_CYCLE_1)
	s_or_b32 s6, s6, s12
	s_or_b32 exec_lo, exec_lo, s7
	v_mov_b32_e32 v13, s11
	s_and_saveexec_b32 s7, s6
	s_cbranch_execnz .LBB240_1990
	s_branch .LBB240_1991
.LBB240_2334:
	s_trap 2
	s_sendmsg_rtn_b32 s0, sendmsg(MSG_RTN_GET_DOORBELL)
	s_mov_b32 ttmp2, m0
	s_waitcnt lgkmcnt(0)
	s_and_b32 s0, s0, 0x3ff
	s_delay_alu instid0(SALU_CYCLE_1) | instskip(NEXT) | instid1(SALU_CYCLE_1)
	s_bitset1_b32 s0, 10
	s_mov_b32 m0, s0
	s_sendmsg sendmsg(MSG_INTERRUPT)
	s_mov_b32 m0, ttmp2
.LBB240_2335:                           ; =>This Inner Loop Header: Depth=1
	s_sethalt 5
	s_branch .LBB240_2335
.LBB240_2336:
	s_cbranch_execnz .LBB240_2342
; %bb.2337:
	s_or_b32 s8, s8, exec_lo
	s_cbranch_execz .LBB240_2037
	s_branch .LBB240_2038
.LBB240_2338:
	s_or_saveexec_b32 s6, s6
                                        ; implicit-def: $sgpr7
	s_delay_alu instid0(SALU_CYCLE_1)
	s_xor_b32 exec_lo, exec_lo, s6
	s_cbranch_execz .LBB240_2002
.LBB240_2339:
	v_add_f32_e64 v12, 0x42800000, |v3|
	s_and_not1_b32 s3, s3, exec_lo
	s_mov_b32 s7, 0
	s_delay_alu instid0(VALU_DEP_1) | instskip(NEXT) | instid1(VALU_DEP_1)
	v_and_b32_e32 v12, 0xff, v12
	v_cmp_ne_u32_e32 vcc_lo, 0, v12
	s_and_b32 s11, vcc_lo, exec_lo
	s_delay_alu instid0(SALU_CYCLE_1)
	s_or_b32 s3, s3, s11
	s_or_b32 exec_lo, exec_lo, s6
	v_mov_b32_e32 v13, s7
	s_and_saveexec_b32 s6, s3
	s_cbranch_execnz .LBB240_2003
	s_branch .LBB240_2004
.LBB240_2340:
	s_or_saveexec_b32 s7, s7
                                        ; implicit-def: $sgpr11
	s_delay_alu instid0(SALU_CYCLE_1)
	s_xor_b32 exec_lo, exec_lo, s7
	s_cbranch_execz .LBB240_2108
.LBB240_2341:
	v_add_f32_e64 v9, 0x46000000, |v3|
	s_and_not1_b32 s6, s6, exec_lo
	s_mov_b32 s11, 0
	s_delay_alu instid0(VALU_DEP_1) | instskip(NEXT) | instid1(VALU_DEP_1)
	v_and_b32_e32 v9, 0xff, v9
	v_cmp_ne_u32_e32 vcc_lo, 0, v9
	s_and_b32 s12, vcc_lo, exec_lo
	s_delay_alu instid0(SALU_CYCLE_1)
	s_or_b32 s6, s6, s12
	s_or_b32 exec_lo, exec_lo, s7
	v_mov_b32_e32 v10, s11
	s_and_saveexec_b32 s7, s6
	s_cbranch_execnz .LBB240_2109
	s_branch .LBB240_2110
.LBB240_2342:
	s_trap 2
	s_sendmsg_rtn_b32 s0, sendmsg(MSG_RTN_GET_DOORBELL)
	s_mov_b32 ttmp2, m0
	s_waitcnt lgkmcnt(0)
	s_and_b32 s0, s0, 0x3ff
	s_delay_alu instid0(SALU_CYCLE_1) | instskip(NEXT) | instid1(SALU_CYCLE_1)
	s_bitset1_b32 s0, 10
	s_mov_b32 m0, s0
	s_sendmsg sendmsg(MSG_INTERRUPT)
	s_mov_b32 m0, ttmp2
.LBB240_2343:                           ; =>This Inner Loop Header: Depth=1
	s_sethalt 5
	s_branch .LBB240_2343
.LBB240_2344:
	s_cbranch_execnz .LBB240_2350
; %bb.2345:
	s_or_b32 s8, s8, exec_lo
	s_cbranch_execz .LBB240_2156
	s_branch .LBB240_2157
.LBB240_2346:
	s_or_saveexec_b32 s6, s6
                                        ; implicit-def: $sgpr7
	s_delay_alu instid0(SALU_CYCLE_1)
	s_xor_b32 exec_lo, exec_lo, s6
	s_cbranch_execz .LBB240_2121
.LBB240_2347:
	v_add_f32_e64 v9, 0x42800000, |v3|
	s_and_not1_b32 s3, s3, exec_lo
	s_mov_b32 s7, 0
	s_delay_alu instid0(VALU_DEP_1) | instskip(NEXT) | instid1(VALU_DEP_1)
	v_and_b32_e32 v9, 0xff, v9
	v_cmp_ne_u32_e32 vcc_lo, 0, v9
	s_and_b32 s11, vcc_lo, exec_lo
	s_delay_alu instid0(SALU_CYCLE_1)
	s_or_b32 s3, s3, s11
	s_or_b32 exec_lo, exec_lo, s6
	v_mov_b32_e32 v10, s7
	s_and_saveexec_b32 s6, s3
	s_cbranch_execnz .LBB240_2122
	s_branch .LBB240_2123
.LBB240_2348:
	s_or_saveexec_b32 s4, s4
                                        ; implicit-def: $sgpr5
	s_delay_alu instid0(SALU_CYCLE_1)
	s_xor_b32 exec_lo, exec_lo, s4
	s_cbranch_execz .LBB240_2228
.LBB240_2349:
	v_add_f32_e64 v3, 0x46000000, |v2|
	s_and_not1_b32 s3, s3, exec_lo
	s_mov_b32 s5, 0
	s_delay_alu instid0(VALU_DEP_1) | instskip(NEXT) | instid1(VALU_DEP_1)
	v_and_b32_e32 v3, 0xff, v3
	v_cmp_ne_u32_e32 vcc_lo, 0, v3
	s_and_b32 s6, vcc_lo, exec_lo
	s_delay_alu instid0(SALU_CYCLE_1)
	s_or_b32 s3, s3, s6
	s_or_b32 exec_lo, exec_lo, s4
	v_mov_b32_e32 v4, s5
	s_and_saveexec_b32 s4, s3
	s_cbranch_execnz .LBB240_2229
	s_branch .LBB240_2230
.LBB240_2350:
	s_trap 2
	s_sendmsg_rtn_b32 s0, sendmsg(MSG_RTN_GET_DOORBELL)
	s_mov_b32 ttmp2, m0
	s_waitcnt lgkmcnt(0)
	s_and_b32 s0, s0, 0x3ff
	s_delay_alu instid0(SALU_CYCLE_1) | instskip(NEXT) | instid1(SALU_CYCLE_1)
	s_bitset1_b32 s0, 10
	s_mov_b32 m0, s0
	s_sendmsg sendmsg(MSG_INTERRUPT)
	s_mov_b32 m0, ttmp2
.LBB240_2351:                           ; =>This Inner Loop Header: Depth=1
	s_sethalt 5
	s_branch .LBB240_2351
.LBB240_2352:
	s_cbranch_execnz .LBB240_2356
; %bb.2353:
	s_mov_b32 s1, 0
	s_or_b32 s8, s8, exec_lo
	s_branch .LBB240_2274
.LBB240_2354:
	s_or_saveexec_b32 s3, s3
                                        ; implicit-def: $sgpr4
	s_delay_alu instid0(SALU_CYCLE_1)
	s_xor_b32 exec_lo, exec_lo, s3
	s_cbranch_execz .LBB240_2240
.LBB240_2355:
	v_add_f32_e64 v3, 0x42800000, |v2|
	s_and_not1_b32 s2, s2, exec_lo
	s_mov_b32 s4, 0
	s_delay_alu instid0(VALU_DEP_1) | instskip(NEXT) | instid1(VALU_DEP_1)
	v_and_b32_e32 v3, 0xff, v3
	v_cmp_ne_u32_e32 vcc_lo, 0, v3
	s_and_b32 s5, vcc_lo, exec_lo
	s_delay_alu instid0(SALU_CYCLE_1)
	s_or_b32 s2, s2, s5
	s_or_b32 exec_lo, exec_lo, s3
	v_mov_b32_e32 v4, s4
	s_and_saveexec_b32 s3, s2
	s_cbranch_execnz .LBB240_2241
	s_branch .LBB240_2242
.LBB240_2356:
	s_trap 2
	s_sendmsg_rtn_b32 s0, sendmsg(MSG_RTN_GET_DOORBELL)
	s_mov_b32 ttmp2, m0
	s_waitcnt lgkmcnt(0)
	s_and_b32 s0, s0, 0x3ff
	s_delay_alu instid0(SALU_CYCLE_1) | instskip(NEXT) | instid1(SALU_CYCLE_1)
	s_bitset1_b32 s0, 10
	s_mov_b32 m0, s0
	s_sendmsg sendmsg(MSG_INTERRUPT)
	s_mov_b32 m0, ttmp2
.LBB240_2357:                           ; =>This Inner Loop Header: Depth=1
	s_sethalt 5
	s_branch .LBB240_2357
	.section	.rodata,"a",@progbits
	.p2align	6, 0x0
	.amdhsa_kernel _ZN2at6native32elementwise_kernel_manual_unrollILi128ELi4EZNS0_15gpu_kernel_implIZZZNS0_16sqrt_kernel_cudaERNS_18TensorIteratorBaseEENKUlvE_clEvENKUlvE1_clEvEUlN3c107complexINS7_4HalfEEEE_EEvS4_RKT_EUlibE_EEviT1_
		.amdhsa_group_segment_fixed_size 0
		.amdhsa_private_segment_fixed_size 0
		.amdhsa_kernarg_size 40
		.amdhsa_user_sgpr_count 15
		.amdhsa_user_sgpr_dispatch_ptr 0
		.amdhsa_user_sgpr_queue_ptr 0
		.amdhsa_user_sgpr_kernarg_segment_ptr 1
		.amdhsa_user_sgpr_dispatch_id 0
		.amdhsa_user_sgpr_private_segment_size 0
		.amdhsa_wavefront_size32 1
		.amdhsa_uses_dynamic_stack 0
		.amdhsa_enable_private_segment 0
		.amdhsa_system_sgpr_workgroup_id_x 1
		.amdhsa_system_sgpr_workgroup_id_y 0
		.amdhsa_system_sgpr_workgroup_id_z 0
		.amdhsa_system_sgpr_workgroup_info 0
		.amdhsa_system_vgpr_workitem_id 0
		.amdhsa_next_free_vgpr 17
		.amdhsa_next_free_sgpr 26
		.amdhsa_reserve_vcc 1
		.amdhsa_float_round_mode_32 0
		.amdhsa_float_round_mode_16_64 0
		.amdhsa_float_denorm_mode_32 3
		.amdhsa_float_denorm_mode_16_64 3
		.amdhsa_dx10_clamp 1
		.amdhsa_ieee_mode 1
		.amdhsa_fp16_overflow 0
		.amdhsa_workgroup_processor_mode 1
		.amdhsa_memory_ordered 1
		.amdhsa_forward_progress 0
		.amdhsa_shared_vgpr_count 0
		.amdhsa_exception_fp_ieee_invalid_op 0
		.amdhsa_exception_fp_denorm_src 0
		.amdhsa_exception_fp_ieee_div_zero 0
		.amdhsa_exception_fp_ieee_overflow 0
		.amdhsa_exception_fp_ieee_underflow 0
		.amdhsa_exception_fp_ieee_inexact 0
		.amdhsa_exception_int_div_zero 0
	.end_amdhsa_kernel
	.section	.text._ZN2at6native32elementwise_kernel_manual_unrollILi128ELi4EZNS0_15gpu_kernel_implIZZZNS0_16sqrt_kernel_cudaERNS_18TensorIteratorBaseEENKUlvE_clEvENKUlvE1_clEvEUlN3c107complexINS7_4HalfEEEE_EEvS4_RKT_EUlibE_EEviT1_,"axG",@progbits,_ZN2at6native32elementwise_kernel_manual_unrollILi128ELi4EZNS0_15gpu_kernel_implIZZZNS0_16sqrt_kernel_cudaERNS_18TensorIteratorBaseEENKUlvE_clEvENKUlvE1_clEvEUlN3c107complexINS7_4HalfEEEE_EEvS4_RKT_EUlibE_EEviT1_,comdat
.Lfunc_end240:
	.size	_ZN2at6native32elementwise_kernel_manual_unrollILi128ELi4EZNS0_15gpu_kernel_implIZZZNS0_16sqrt_kernel_cudaERNS_18TensorIteratorBaseEENKUlvE_clEvENKUlvE1_clEvEUlN3c107complexINS7_4HalfEEEE_EEvS4_RKT_EUlibE_EEviT1_, .Lfunc_end240-_ZN2at6native32elementwise_kernel_manual_unrollILi128ELi4EZNS0_15gpu_kernel_implIZZZNS0_16sqrt_kernel_cudaERNS_18TensorIteratorBaseEENKUlvE_clEvENKUlvE1_clEvEUlN3c107complexINS7_4HalfEEEE_EEvS4_RKT_EUlibE_EEviT1_
                                        ; -- End function
	.section	.AMDGPU.csdata,"",@progbits
; Kernel info:
; codeLenInByte = 46376
; NumSgprs: 28
; NumVgprs: 17
; ScratchSize: 0
; MemoryBound: 0
; FloatMode: 240
; IeeeMode: 1
; LDSByteSize: 0 bytes/workgroup (compile time only)
; SGPRBlocks: 3
; VGPRBlocks: 2
; NumSGPRsForWavesPerEU: 28
; NumVGPRsForWavesPerEU: 17
; Occupancy: 16
; WaveLimiterHint : 0
; COMPUTE_PGM_RSRC2:SCRATCH_EN: 0
; COMPUTE_PGM_RSRC2:USER_SGPR: 15
; COMPUTE_PGM_RSRC2:TRAP_HANDLER: 0
; COMPUTE_PGM_RSRC2:TGID_X_EN: 1
; COMPUTE_PGM_RSRC2:TGID_Y_EN: 0
; COMPUTE_PGM_RSRC2:TGID_Z_EN: 0
; COMPUTE_PGM_RSRC2:TIDIG_COMP_CNT: 0
	.section	.text._ZN2at6native32elementwise_kernel_manual_unrollILi128ELi4EZNS0_15gpu_kernel_implIZZZNS0_16sqrt_kernel_cudaERNS_18TensorIteratorBaseEENKUlvE_clEvENKUlvE1_clEvEUlN3c107complexINS7_4HalfEEEE_EEvS4_RKT_EUlibE0_EEviT1_,"axG",@progbits,_ZN2at6native32elementwise_kernel_manual_unrollILi128ELi4EZNS0_15gpu_kernel_implIZZZNS0_16sqrt_kernel_cudaERNS_18TensorIteratorBaseEENKUlvE_clEvENKUlvE1_clEvEUlN3c107complexINS7_4HalfEEEE_EEvS4_RKT_EUlibE0_EEviT1_,comdat
	.globl	_ZN2at6native32elementwise_kernel_manual_unrollILi128ELi4EZNS0_15gpu_kernel_implIZZZNS0_16sqrt_kernel_cudaERNS_18TensorIteratorBaseEENKUlvE_clEvENKUlvE1_clEvEUlN3c107complexINS7_4HalfEEEE_EEvS4_RKT_EUlibE0_EEviT1_ ; -- Begin function _ZN2at6native32elementwise_kernel_manual_unrollILi128ELi4EZNS0_15gpu_kernel_implIZZZNS0_16sqrt_kernel_cudaERNS_18TensorIteratorBaseEENKUlvE_clEvENKUlvE1_clEvEUlN3c107complexINS7_4HalfEEEE_EEvS4_RKT_EUlibE0_EEviT1_
	.p2align	8
	.type	_ZN2at6native32elementwise_kernel_manual_unrollILi128ELi4EZNS0_15gpu_kernel_implIZZZNS0_16sqrt_kernel_cudaERNS_18TensorIteratorBaseEENKUlvE_clEvENKUlvE1_clEvEUlN3c107complexINS7_4HalfEEEE_EEvS4_RKT_EUlibE0_EEviT1_,@function
_ZN2at6native32elementwise_kernel_manual_unrollILi128ELi4EZNS0_15gpu_kernel_implIZZZNS0_16sqrt_kernel_cudaERNS_18TensorIteratorBaseEENKUlvE_clEvENKUlvE1_clEvEUlN3c107complexINS7_4HalfEEEE_EEvS4_RKT_EUlibE0_EEviT1_: ; @_ZN2at6native32elementwise_kernel_manual_unrollILi128ELi4EZNS0_15gpu_kernel_implIZZZNS0_16sqrt_kernel_cudaERNS_18TensorIteratorBaseEENKUlvE_clEvENKUlvE1_clEvEUlN3c107complexINS7_4HalfEEEE_EEvS4_RKT_EUlibE0_EEviT1_
; %bb.0:
	s_clause 0x1
	s_load_b32 s24, s[0:1], 0x8
	s_load_b32 s30, s[0:1], 0x0
	v_lshl_or_b32 v5, s15, 9, v0
	s_or_b32 s16, s0, 8
	s_mov_b32 s3, -1
	s_mov_b32 s26, 0
	s_mov_b32 s17, s1
	v_or_b32_e32 v8, 0x180, v5
	s_mov_b32 s8, 0
	s_mov_b32 s2, exec_lo
	s_waitcnt lgkmcnt(0)
	s_add_i32 s25, s24, -1
	s_delay_alu instid0(SALU_CYCLE_1)
	s_cmp_gt_u32 s25, 1
	s_cselect_b32 s27, -1, 0
	v_cmpx_le_i32_e64 s30, v8
	s_xor_b32 s28, exec_lo, s2
	s_cbranch_execz .LBB241_1216
; %bb.1:
	v_mov_b32_e32 v0, 0
	s_clause 0x3
	s_load_b128 s[12:15], s[16:17], 0x4
	s_load_b64 s[18:19], s[16:17], 0x14
	s_load_b128 s[8:11], s[16:17], 0xc4
	s_load_b128 s[4:7], s[16:17], 0x148
	s_cmp_lg_u32 s24, 0
	s_mov_b32 s37, 0
	s_cselect_b32 s33, -1, 0
	global_load_u16 v3, v0, s[16:17] offset:345
	s_add_u32 s20, s16, 0xc4
	s_addc_u32 s21, s17, 0
	s_min_u32 s31, s25, 15
	s_cmp_gt_u32 s24, 1
	s_mov_b32 s35, 0
	s_cselect_b32 s29, -1, 0
	s_mov_b32 s34, 0
	s_mov_b32 s36, exec_lo
	s_waitcnt vmcnt(0)
	v_lshrrev_b16 v4, 8, v3
	v_cmpx_gt_i32_e64 s30, v5
	s_cbranch_execz .LBB241_298
; %bb.2:
	s_and_not1_b32 vcc_lo, exec_lo, s27
	s_cbranch_vccnz .LBB241_7
; %bb.3:
	v_dual_mov_b32 v0, 0 :: v_dual_mov_b32 v1, 0
	s_and_not1_b32 vcc_lo, exec_lo, s33
	s_cbranch_vccnz .LBB241_12
; %bb.4:
	v_mov_b32_e32 v0, 0
	s_add_i32 s38, s31, 1
	s_cmp_eq_u32 s25, 2
	s_cbranch_scc1 .LBB241_8
; %bb.5:
	v_dual_mov_b32 v1, 0 :: v_dual_mov_b32 v0, 0
	v_mov_b32_e32 v2, v5
	s_and_b32 s35, s38, 28
	s_mov_b32 s39, 0
	s_mov_b64 s[2:3], s[20:21]
	s_mov_b64 s[22:23], s[16:17]
.LBB241_6:                              ; =>This Inner Loop Header: Depth=1
	s_clause 0x1
	s_load_b256 s[40:47], s[22:23], 0x4
	s_load_b128 s[56:59], s[22:23], 0x24
	s_load_b256 s[48:55], s[2:3], 0x0
	s_add_u32 s22, s22, 48
	s_addc_u32 s23, s23, 0
	s_add_i32 s39, s39, 4
	s_add_u32 s2, s2, 32
	s_addc_u32 s3, s3, 0
	s_cmp_lg_u32 s35, s39
	s_waitcnt lgkmcnt(0)
	v_mul_hi_u32 v6, s41, v2
	s_delay_alu instid0(VALU_DEP_1) | instskip(NEXT) | instid1(VALU_DEP_1)
	v_add_nc_u32_e32 v6, v2, v6
	v_lshrrev_b32_e32 v6, s42, v6
	s_delay_alu instid0(VALU_DEP_1) | instskip(SKIP_1) | instid1(VALU_DEP_2)
	v_mul_hi_u32 v7, s44, v6
	v_mul_lo_u32 v9, v6, s40
	v_add_nc_u32_e32 v7, v6, v7
	s_delay_alu instid0(VALU_DEP_2) | instskip(NEXT) | instid1(VALU_DEP_2)
	v_sub_nc_u32_e32 v2, v2, v9
	v_lshrrev_b32_e32 v7, s45, v7
	s_delay_alu instid0(VALU_DEP_2) | instskip(SKIP_1) | instid1(VALU_DEP_3)
	v_mul_lo_u32 v9, v2, s48
	v_mul_lo_u32 v11, v2, s49
	v_mul_hi_u32 v8, s47, v7
	s_delay_alu instid0(VALU_DEP_1) | instskip(NEXT) | instid1(VALU_DEP_1)
	v_add_nc_u32_e32 v8, v7, v8
	v_lshrrev_b32_e32 v8, s56, v8
	s_delay_alu instid0(VALU_DEP_1) | instskip(SKIP_1) | instid1(VALU_DEP_2)
	v_mul_hi_u32 v10, s58, v8
	v_mul_lo_u32 v12, v8, s46
	v_add_nc_u32_e32 v2, v8, v10
	v_mul_lo_u32 v10, v7, s43
	s_delay_alu instid0(VALU_DEP_3) | instskip(NEXT) | instid1(VALU_DEP_3)
	v_sub_nc_u32_e32 v7, v7, v12
	v_lshrrev_b32_e32 v2, s59, v2
	s_delay_alu instid0(VALU_DEP_2) | instskip(SKIP_2) | instid1(VALU_DEP_4)
	v_mul_lo_u32 v12, v7, s52
	v_mul_lo_u32 v7, v7, s53
	v_sub_nc_u32_e32 v6, v6, v10
	v_mul_lo_u32 v13, v2, s57
	s_delay_alu instid0(VALU_DEP_2) | instskip(SKIP_1) | instid1(VALU_DEP_3)
	v_mul_lo_u32 v10, v6, s50
	v_mul_lo_u32 v6, v6, s51
	v_sub_nc_u32_e32 v8, v8, v13
	s_delay_alu instid0(VALU_DEP_3) | instskip(NEXT) | instid1(VALU_DEP_2)
	v_add3_u32 v0, v9, v0, v10
	v_mul_lo_u32 v13, v8, s54
	v_mul_lo_u32 v8, v8, s55
	v_add3_u32 v1, v11, v1, v6
	s_delay_alu instid0(VALU_DEP_3) | instskip(NEXT) | instid1(VALU_DEP_2)
	v_add3_u32 v0, v12, v0, v13
	v_add3_u32 v1, v7, v1, v8
	s_cbranch_scc1 .LBB241_6
	s_branch .LBB241_9
.LBB241_7:
	s_mov_b32 s34, -1
                                        ; implicit-def: $vgpr0
                                        ; implicit-def: $vgpr1
	s_branch .LBB241_12
.LBB241_8:
	v_dual_mov_b32 v2, v5 :: v_dual_mov_b32 v1, 0
.LBB241_9:
	s_and_b32 s38, s38, 3
	s_delay_alu instid0(SALU_CYCLE_1)
	s_cmp_eq_u32 s38, 0
	s_cbranch_scc1 .LBB241_12
; %bb.10:
	s_lshl_b32 s2, s35, 3
	s_mul_i32 s22, s35, 12
	s_add_u32 s2, s2, s16
	s_addc_u32 s3, s17, 0
	s_add_u32 s2, s2, 0xc4
	s_addc_u32 s3, s3, 0
	;; [unrolled: 2-line block ×3, first 2 shown]
	.p2align	6
.LBB241_11:                             ; =>This Inner Loop Header: Depth=1
	s_clause 0x1
	s_load_b64 s[40:41], s[22:23], 0x4
	s_load_b32 s35, s[22:23], 0xc
	s_load_b64 s[42:43], s[2:3], 0x0
	s_add_u32 s22, s22, 12
	s_addc_u32 s23, s23, 0
	s_add_u32 s2, s2, 8
	s_addc_u32 s3, s3, 0
	s_add_i32 s38, s38, -1
	s_delay_alu instid0(SALU_CYCLE_1) | instskip(SKIP_2) | instid1(VALU_DEP_1)
	s_cmp_lg_u32 s38, 0
	s_waitcnt lgkmcnt(0)
	v_mul_hi_u32 v6, s41, v2
	v_add_nc_u32_e32 v6, v2, v6
	s_delay_alu instid0(VALU_DEP_1) | instskip(NEXT) | instid1(VALU_DEP_1)
	v_lshrrev_b32_e32 v9, s35, v6
	v_mul_lo_u32 v6, v9, s40
	s_delay_alu instid0(VALU_DEP_1) | instskip(NEXT) | instid1(VALU_DEP_1)
	v_sub_nc_u32_e32 v2, v2, v6
	v_mad_u64_u32 v[6:7], null, v2, s42, v[0:1]
	v_mad_u64_u32 v[7:8], null, v2, s43, v[1:2]
	v_mov_b32_e32 v2, v9
	s_delay_alu instid0(VALU_DEP_2)
	v_dual_mov_b32 v0, v6 :: v_dual_mov_b32 v1, v7
	s_cbranch_scc1 .LBB241_11
.LBB241_12:
	s_and_not1_b32 vcc_lo, exec_lo, s34
	s_cbranch_vccnz .LBB241_15
; %bb.13:
	s_waitcnt lgkmcnt(0)
	v_mul_hi_u32 v0, s13, v5
	s_and_not1_b32 vcc_lo, exec_lo, s29
	s_delay_alu instid0(VALU_DEP_1) | instskip(NEXT) | instid1(VALU_DEP_1)
	v_add_nc_u32_e32 v0, v5, v0
	v_lshrrev_b32_e32 v2, s14, v0
	s_delay_alu instid0(VALU_DEP_1) | instskip(NEXT) | instid1(VALU_DEP_1)
	v_mul_lo_u32 v0, v2, s12
	v_sub_nc_u32_e32 v1, v5, v0
	s_delay_alu instid0(VALU_DEP_1)
	v_mul_lo_u32 v0, v1, s8
	v_mul_lo_u32 v1, v1, s9
	s_cbranch_vccnz .LBB241_15
; %bb.14:
	v_mul_hi_u32 v6, s18, v2
	s_delay_alu instid0(VALU_DEP_1) | instskip(NEXT) | instid1(VALU_DEP_1)
	v_add_nc_u32_e32 v6, v2, v6
	v_lshrrev_b32_e32 v6, s19, v6
	s_delay_alu instid0(VALU_DEP_1) | instskip(NEXT) | instid1(VALU_DEP_1)
	v_mul_lo_u32 v6, v6, s15
	v_sub_nc_u32_e32 v2, v2, v6
	s_delay_alu instid0(VALU_DEP_1) | instskip(SKIP_1) | instid1(VALU_DEP_1)
	v_mad_u64_u32 v[6:7], null, v2, s10, v[0:1]
	v_mad_u64_u32 v[7:8], null, v2, s11, v[1:2]
	v_dual_mov_b32 v0, v6 :: v_dual_mov_b32 v1, v7
.LBB241_15:
	v_cmp_gt_i16_e32 vcc_lo, 11, v4
	s_waitcnt lgkmcnt(0)
	s_delay_alu instid0(VALU_DEP_2) | instskip(NEXT) | instid1(VALU_DEP_1)
	v_add_co_u32 v1, s2, s6, v1
	v_add_co_ci_u32_e64 v2, null, s7, 0, s2
	s_mov_b32 s22, 0
	s_cbranch_vccnz .LBB241_22
; %bb.16:
	v_cmp_lt_i16_e32 vcc_lo, 25, v4
	s_cbranch_vccz .LBB241_36
; %bb.17:
	v_cmp_lt_i16_e32 vcc_lo, 28, v4
	s_cbranch_vccz .LBB241_37
	;; [unrolled: 3-line block ×4, first 2 shown]
; %bb.20:
	v_cmp_eq_u16_e32 vcc_lo, 46, v4
	s_mov_b32 s3, 0
	s_cbranch_vccz .LBB241_175
; %bb.21:
	global_load_b32 v6, v[1:2], off
	s_mov_b32 s2, -1
	s_waitcnt vmcnt(0)
	v_lshlrev_b32_e32 v7, 16, v6
	v_and_b32_e32 v8, 0xffff0000, v6
	s_delay_alu instid0(VALU_DEP_2) | instskip(NEXT) | instid1(VALU_DEP_2)
	v_cvt_f16_f32_e32 v6, v7
	v_cvt_f16_f32_e32 v7, v8
	s_branch .LBB241_177
.LBB241_22:
	s_mov_b32 s2, 0
                                        ; implicit-def: $vgpr7
                                        ; implicit-def: $vgpr6
	s_cbranch_execnz .LBB241_246
.LBB241_23:
	s_and_not1_b32 vcc_lo, exec_lo, s2
	s_cbranch_vccnz .LBB241_295
.LBB241_24:
	s_waitcnt vmcnt(0)
	s_delay_alu instid0(VALU_DEP_2) | instskip(NEXT) | instid1(VALU_DEP_2)
	v_cmp_neq_f16_e32 vcc_lo, 0, v6
	v_cmp_neq_f16_e64 s2, 0, v7
	v_cvt_f32_f16_e32 v1, v7
	v_mov_b32_e32 v2, 0
	s_delay_alu instid0(VALU_DEP_3) | instskip(NEXT) | instid1(SALU_CYCLE_1)
	s_or_b32 s2, vcc_lo, s2
	s_and_saveexec_b32 s23, s2
	s_cbranch_execz .LBB241_58
; %bb.25:
	v_mov_b32_e32 v2, 0x7f800000
	s_mov_b32 s34, exec_lo
	v_cmpx_neq_f32_e64 0x7f800000, |v1|
	s_cbranch_execz .LBB241_57
; %bb.26:
	v_cvt_f32_f16_e32 v2, v6
	s_mov_b32 s2, exec_lo
	v_cmpx_o_f16_e32 v6, v6
	s_xor_b32 s35, exec_lo, s2
	s_cbranch_execz .LBB241_54
; %bb.27:
	s_mov_b32 s3, exec_lo
	v_cmpx_neq_f32_e64 0x7f800000, |v2|
	s_xor_b32 s38, exec_lo, s3
	s_cbranch_execz .LBB241_47
; %bb.28:
	v_max_f32_e64 v6, |v1|, |v1|
	v_max_f32_e64 v7, |v2|, |v2|
                                        ; implicit-def: $sgpr39
	s_delay_alu instid0(VALU_DEP_1) | instskip(NEXT) | instid1(VALU_DEP_1)
	v_max_f32_e32 v6, v7, v6
	v_cmp_nle_f32_e64 s2, 0x7ed413cb, v6
	s_delay_alu instid0(VALU_DEP_1) | instskip(NEXT) | instid1(SALU_CYCLE_1)
	s_and_saveexec_b32 s3, s2
	s_xor_b32 s3, exec_lo, s3
	s_cbranch_execz .LBB241_32
; %bb.29:
	v_cmp_ge_f32_e64 s39, 0x1000000, |v2|
	v_cmp_ge_f32_e64 s40, 0x1000000, |v1|
	s_delay_alu instid0(VALU_DEP_1)
	s_and_b32 s41, s39, s40
	s_mov_b32 s39, 0
	s_and_saveexec_b32 s40, s41
; %bb.30:
	v_dual_mul_f32 v2, 4.0, v2 :: v_dual_mul_f32 v1, 4.0, v1
	s_mov_b32 s39, exec_lo
; %bb.31:
	s_or_b32 exec_lo, exec_lo, s40
	s_delay_alu instid0(SALU_CYCLE_1)
	s_and_b32 s39, s39, exec_lo
.LBB241_32:
	s_and_not1_saveexec_b32 s3, s3
; %bb.33:
	v_dual_mul_f32 v2, 0x3e800000, v2 :: v_dual_mul_f32 v1, 0x3e800000, v1
	s_and_not1_b32 s39, s39, exec_lo
; %bb.34:
	s_or_b32 exec_lo, exec_lo, s3
	s_delay_alu instid0(VALU_DEP_1) | instskip(NEXT) | instid1(VALU_DEP_2)
	v_max_f32_e64 v6, |v1|, |v1|
	v_max_f32_e64 v7, |v2|, |v2|
	s_delay_alu instid0(VALU_DEP_1) | instskip(NEXT) | instid1(VALU_DEP_1)
	v_max_f32_e32 v8, v7, v6
	v_cvt_f64_f32_e32 v[6:7], v8
	s_delay_alu instid0(VALU_DEP_1) | instskip(NEXT) | instid1(VALU_DEP_1)
	v_frexp_exp_i32_f64_e32 v6, v[6:7]
	v_sub_nc_u32_e32 v7, 0, v6
	s_delay_alu instid0(VALU_DEP_1) | instskip(SKIP_1) | instid1(VALU_DEP_2)
	v_ldexp_f32 v9, |v1|, v7
	v_ldexp_f32 v7, |v2|, v7
	v_mul_f32_e32 v9, v9, v9
	v_cmp_neq_f32_e64 s3, 0x7f800000, v8
	s_delay_alu instid0(VALU_DEP_2) | instskip(NEXT) | instid1(VALU_DEP_1)
	v_fmac_f32_e32 v9, v7, v7
	v_sqrt_f32_e32 v7, v9
	s_waitcnt_depctr 0xfff
	v_ldexp_f32 v6, v7, v6
                                        ; implicit-def: $vgpr7
	s_delay_alu instid0(VALU_DEP_1)
	v_cndmask_b32_e64 v8, 0x7f800000, v6, s3
                                        ; implicit-def: $vgpr6
	s_mov_b32 s3, exec_lo
	v_cmpx_le_f32_e32 0, v2
	s_xor_b32 s40, exec_lo, s3
	s_cbranch_execz .LBB241_40
; %bb.35:
	v_add_f32_e32 v2, v2, v8
	s_delay_alu instid0(VALU_DEP_1) | instskip(NEXT) | instid1(VALU_DEP_1)
	v_mul_f32_e32 v2, 0.5, v2
	v_mul_f32_e32 v6, 0x4f800000, v2
	v_cmp_gt_f32_e32 vcc_lo, 0xf800000, v2
	s_delay_alu instid0(VALU_DEP_2) | instskip(NEXT) | instid1(VALU_DEP_1)
	v_cndmask_b32_e32 v2, v2, v6, vcc_lo
	v_sqrt_f32_e32 v6, v2
	s_waitcnt_depctr 0xfff
	v_add_nc_u32_e32 v7, -1, v6
	v_add_nc_u32_e32 v8, 1, v6
	s_delay_alu instid0(VALU_DEP_2) | instskip(NEXT) | instid1(VALU_DEP_2)
	v_fma_f32 v9, -v7, v6, v2
	v_fma_f32 v10, -v8, v6, v2
	s_delay_alu instid0(VALU_DEP_2) | instskip(NEXT) | instid1(VALU_DEP_1)
	v_cmp_ge_f32_e64 s3, 0, v9
	v_cndmask_b32_e64 v6, v6, v7, s3
	s_delay_alu instid0(VALU_DEP_3) | instskip(NEXT) | instid1(VALU_DEP_1)
	v_cmp_lt_f32_e64 s3, 0, v10
	v_cndmask_b32_e64 v6, v6, v8, s3
	s_delay_alu instid0(VALU_DEP_1) | instskip(NEXT) | instid1(VALU_DEP_1)
	v_mul_f32_e32 v7, 0x37800000, v6
	v_cndmask_b32_e32 v6, v6, v7, vcc_lo
	v_cmp_class_f32_e64 vcc_lo, v2, 0x260
	s_delay_alu instid0(VALU_DEP_2) | instskip(NEXT) | instid1(VALU_DEP_1)
	v_cndmask_b32_e32 v6, v6, v2, vcc_lo
	v_add_f32_e32 v2, v6, v6
	s_delay_alu instid0(VALU_DEP_1) | instskip(NEXT) | instid1(VALU_DEP_1)
	v_div_scale_f32 v7, null, v2, v2, v1
	v_rcp_f32_e32 v8, v7
	s_waitcnt_depctr 0xfff
	v_fma_f32 v9, -v7, v8, 1.0
	s_delay_alu instid0(VALU_DEP_1) | instskip(SKIP_1) | instid1(VALU_DEP_1)
	v_fmac_f32_e32 v8, v9, v8
	v_div_scale_f32 v9, vcc_lo, v1, v2, v1
	v_mul_f32_e32 v10, v9, v8
	s_delay_alu instid0(VALU_DEP_1) | instskip(NEXT) | instid1(VALU_DEP_1)
	v_fma_f32 v11, -v7, v10, v9
	v_fmac_f32_e32 v10, v11, v8
	s_delay_alu instid0(VALU_DEP_1) | instskip(NEXT) | instid1(VALU_DEP_1)
	v_fma_f32 v7, -v7, v10, v9
	v_div_fmas_f32 v7, v7, v8, v10
                                        ; implicit-def: $vgpr8
	s_delay_alu instid0(VALU_DEP_1)
	v_div_fixup_f32 v7, v7, v2, v1
                                        ; implicit-def: $vgpr2
                                        ; implicit-def: $vgpr1
	s_and_not1_saveexec_b32 s40, s40
	s_cbranch_execz .LBB241_42
	s_branch .LBB241_41
.LBB241_36:
	s_mov_b32 s2, 0
                                        ; implicit-def: $vgpr7
                                        ; implicit-def: $vgpr6
	s_cbranch_execnz .LBB241_212
	s_branch .LBB241_245
.LBB241_37:
	s_mov_b32 s3, -1
	s_mov_b32 s2, 0
                                        ; implicit-def: $vgpr7
                                        ; implicit-def: $vgpr6
	s_branch .LBB241_191
.LBB241_38:
	s_mov_b32 s3, -1
	s_mov_b32 s2, 0
                                        ; implicit-def: $vgpr7
                                        ; implicit-def: $vgpr6
	s_branch .LBB241_185
.LBB241_39:
	s_mov_b32 s3, -1
	s_branch .LBB241_176
.LBB241_40:
	s_and_not1_saveexec_b32 s40, s40
	s_cbranch_execz .LBB241_42
.LBB241_41:
	v_sub_f32_e32 v2, v8, v2
	s_delay_alu instid0(VALU_DEP_1) | instskip(NEXT) | instid1(VALU_DEP_1)
	v_mul_f32_e32 v2, 0.5, v2
	v_mul_f32_e32 v6, 0x4f800000, v2
	v_cmp_gt_f32_e32 vcc_lo, 0xf800000, v2
	s_delay_alu instid0(VALU_DEP_2) | instskip(NEXT) | instid1(VALU_DEP_1)
	v_cndmask_b32_e32 v2, v2, v6, vcc_lo
	v_sqrt_f32_e32 v6, v2
	s_waitcnt_depctr 0xfff
	v_add_nc_u32_e32 v7, -1, v6
	v_add_nc_u32_e32 v8, 1, v6
	s_delay_alu instid0(VALU_DEP_2) | instskip(NEXT) | instid1(VALU_DEP_2)
	v_fma_f32 v9, -v7, v6, v2
	v_fma_f32 v10, -v8, v6, v2
	s_delay_alu instid0(VALU_DEP_2) | instskip(NEXT) | instid1(VALU_DEP_1)
	v_cmp_ge_f32_e64 s3, 0, v9
	v_cndmask_b32_e64 v6, v6, v7, s3
	s_delay_alu instid0(VALU_DEP_3) | instskip(NEXT) | instid1(VALU_DEP_1)
	v_cmp_lt_f32_e64 s3, 0, v10
	v_cndmask_b32_e64 v6, v6, v8, s3
	s_delay_alu instid0(VALU_DEP_1) | instskip(NEXT) | instid1(VALU_DEP_1)
	v_mul_f32_e32 v7, 0x37800000, v6
	v_cndmask_b32_e32 v6, v6, v7, vcc_lo
	v_cmp_class_f32_e64 vcc_lo, v2, 0x260
	s_delay_alu instid0(VALU_DEP_2) | instskip(NEXT) | instid1(VALU_DEP_1)
	v_cndmask_b32_e32 v2, v6, v2, vcc_lo
	v_dual_add_f32 v7, v2, v2 :: v_dual_and_b32 v6, 0x7fffffff, v1
	s_delay_alu instid0(VALU_DEP_1) | instskip(SKIP_1) | instid1(VALU_DEP_2)
	v_div_scale_f32 v8, null, v7, v7, v6
	v_div_scale_f32 v6, vcc_lo, v6, v7, v6
	v_rcp_f32_e32 v9, v8
	s_waitcnt_depctr 0xfff
	v_fma_f32 v10, -v8, v9, 1.0
	s_delay_alu instid0(VALU_DEP_1) | instskip(NEXT) | instid1(VALU_DEP_1)
	v_fmac_f32_e32 v9, v10, v9
	v_mul_f32_e32 v10, v6, v9
	s_delay_alu instid0(VALU_DEP_1) | instskip(NEXT) | instid1(VALU_DEP_1)
	v_fma_f32 v11, -v8, v10, v6
	v_fmac_f32_e32 v10, v11, v9
	s_delay_alu instid0(VALU_DEP_1) | instskip(NEXT) | instid1(VALU_DEP_1)
	v_fma_f32 v6, -v8, v10, v6
	v_div_fmas_f32 v6, v6, v9, v10
	s_delay_alu instid0(VALU_DEP_1)
	v_div_fixup_f32 v6, v6, v7, |v1|
	v_bfi_b32 v7, 0x7fffffff, v2, v1
.LBB241_42:
	s_or_b32 exec_lo, exec_lo, s40
                                        ; implicit-def: $vgpr1
                                        ; implicit-def: $vgpr2
	s_and_saveexec_b32 s3, s2
	s_delay_alu instid0(SALU_CYCLE_1)
	s_xor_b32 s2, exec_lo, s3
	s_cbranch_execz .LBB241_44
; %bb.43:
	v_dual_mul_f32 v1, 0.5, v6 :: v_dual_mul_f32 v8, 0.5, v7
	s_delay_alu instid0(VALU_DEP_1) | instskip(NEXT) | instid1(VALU_DEP_2)
	v_cndmask_b32_e64 v2, v6, v1, s39
	v_cndmask_b32_e64 v1, v7, v8, s39
                                        ; implicit-def: $vgpr6
                                        ; implicit-def: $vgpr7
	s_and_not1_saveexec_b32 s2, s2
	s_cbranch_execnz .LBB241_45
	s_branch .LBB241_46
.LBB241_44:
	s_and_not1_saveexec_b32 s2, s2
.LBB241_45:
	v_dual_add_f32 v2, v6, v6 :: v_dual_add_f32 v1, v7, v7
.LBB241_46:
	s_or_b32 exec_lo, exec_lo, s2
                                        ; implicit-def: $vgpr6
.LBB241_47:
	s_and_not1_saveexec_b32 s2, s38
	s_cbranch_execz .LBB241_53
; %bb.48:
	v_cmp_lt_i16_e32 vcc_lo, -1, v6
	v_sub_f32_e32 v6, v1, v1
	s_and_saveexec_b32 s3, vcc_lo
	s_delay_alu instid0(SALU_CYCLE_1)
	s_xor_b32 s3, exec_lo, s3
; %bb.49:
	s_delay_alu instid0(VALU_DEP_1)
	v_bfi_b32 v1, 0x7fffffff, v6, v1
                                        ; implicit-def: $vgpr6
; %bb.50:
	s_and_not1_saveexec_b32 s3, s3
; %bb.51:
	v_and_b32_e32 v6, 0x7fffffff, v6
	s_delay_alu instid0(VALU_DEP_2) | instskip(NEXT) | instid1(VALU_DEP_2)
	v_bfi_b32 v1, 0x7fffffff, v2, v1
	v_mov_b32_e32 v2, v6
; %bb.52:
	s_or_b32 exec_lo, exec_lo, s3
.LBB241_53:
	s_delay_alu instid0(SALU_CYCLE_1)
	s_or_b32 exec_lo, exec_lo, s2
.LBB241_54:
	s_and_not1_saveexec_b32 s2, s35
; %bb.55:
	v_sub_f32_e32 v1, v1, v1
	s_delay_alu instid0(VALU_DEP_1) | instskip(NEXT) | instid1(VALU_DEP_1)
	v_div_scale_f32 v6, vcc_lo, v1, v1, v1
	v_rcp_f32_e32 v7, v6
	s_waitcnt_depctr 0xfff
	v_fma_f32 v8, -v6, v7, 1.0
	s_delay_alu instid0(VALU_DEP_1) | instskip(NEXT) | instid1(VALU_DEP_1)
	v_fmac_f32_e32 v7, v8, v7
	v_mul_f32_e32 v8, v6, v7
	s_delay_alu instid0(VALU_DEP_1) | instskip(NEXT) | instid1(VALU_DEP_1)
	v_fma_f32 v9, -v6, v8, v6
	v_fmac_f32_e32 v8, v9, v7
	s_delay_alu instid0(VALU_DEP_1) | instskip(NEXT) | instid1(VALU_DEP_1)
	v_fma_f32 v6, -v6, v8, v6
	v_div_fmas_f32 v6, v6, v7, v8
	s_delay_alu instid0(VALU_DEP_1)
	v_div_fixup_f32 v1, v6, v1, v1
; %bb.56:
	s_or_b32 exec_lo, exec_lo, s2
.LBB241_57:
	s_delay_alu instid0(SALU_CYCLE_1)
	s_or_b32 exec_lo, exec_lo, s34
.LBB241_58:
	s_delay_alu instid0(SALU_CYCLE_1) | instskip(NEXT) | instid1(VALU_DEP_1)
	s_or_b32 exec_lo, exec_lo, s23
	v_cvt_f16_f32_e32 v8, v1
	v_cvt_f16_f32_e32 v2, v2
	v_and_b32_e32 v6, 0xff, v3
	v_add_co_u32 v0, s3, s4, v0
	s_delay_alu instid0(VALU_DEP_4) | instskip(NEXT) | instid1(VALU_DEP_4)
	v_lshlrev_b32_e32 v1, 16, v8
	v_and_b32_e32 v7, 0xffff, v2
	s_delay_alu instid0(VALU_DEP_4) | instskip(SKIP_2) | instid1(VALU_DEP_2)
	v_cmp_gt_i16_e32 vcc_lo, 11, v6
	s_mov_b32 s2, 0
	s_mov_b32 s23, -1
	v_or_b32_e32 v7, v1, v7
	v_add_co_ci_u32_e64 v1, null, s5, 0, s3
	s_mov_b32 s3, 0
	s_cbranch_vccnz .LBB241_135
; %bb.59:
	v_cmp_lt_i16_e32 vcc_lo, 25, v6
	s_cbranch_vccz .LBB241_92
; %bb.60:
	v_cmp_lt_i16_e32 vcc_lo, 28, v6
	s_cbranch_vccz .LBB241_75
	;; [unrolled: 3-line block ×4, first 2 shown]
; %bb.63:
	v_cmp_eq_u16_e32 vcc_lo, 46, v6
	s_mov_b32 s23, 0
	s_mov_b32 s2, -1
	s_cbranch_vccz .LBB241_65
; %bb.64:
	v_cvt_f32_f16_e32 v9, v8
	v_cvt_f32_f16_e32 v10, v2
	v_cmp_o_f16_e32 vcc_lo, v8, v8
	s_mov_b32 s3, -1
	s_mov_b32 s2, 0
	v_bfe_u32 v11, v9, 16, 1
	v_bfe_u32 v12, v10, 16, 1
	s_delay_alu instid0(VALU_DEP_2) | instskip(NEXT) | instid1(VALU_DEP_2)
	v_add3_u32 v9, v9, v11, 0x7fff
	v_add3_u32 v10, v10, v12, 0x7fff
	s_delay_alu instid0(VALU_DEP_2) | instskip(NEXT) | instid1(VALU_DEP_2)
	v_and_b32_e32 v9, 0xffff0000, v9
	v_lshrrev_b32_e32 v10, 16, v10
	s_delay_alu instid0(VALU_DEP_2) | instskip(SKIP_1) | instid1(VALU_DEP_3)
	v_cndmask_b32_e32 v9, 0x7fc00000, v9, vcc_lo
	v_cmp_o_f16_e32 vcc_lo, v2, v2
	v_cndmask_b32_e32 v10, 0x7fc0, v10, vcc_lo
	s_delay_alu instid0(VALU_DEP_1)
	v_or_b32_e32 v9, v9, v10
	global_store_b32 v[0:1], v9, off
.LBB241_65:
	s_and_b32 vcc_lo, exec_lo, s23
	s_cbranch_vccz .LBB241_70
; %bb.66:
	v_cmp_eq_u16_e32 vcc_lo, 44, v6
	s_mov_b32 s2, -1
	s_cbranch_vccz .LBB241_70
; %bb.67:
	v_cvt_f32_f16_e32 v9, v2
	v_mov_b32_e32 v10, 0xff
	s_mov_b32 s3, exec_lo
	s_delay_alu instid0(VALU_DEP_2) | instskip(NEXT) | instid1(VALU_DEP_1)
	v_bfe_u32 v11, v9, 23, 8
	v_cmpx_ne_u32_e32 0xff, v11
; %bb.68:
	v_and_b32_e32 v10, 0x400000, v9
	v_and_or_b32 v11, 0x3fffff, v9, v11
	v_lshrrev_b32_e32 v9, 23, v9
	s_delay_alu instid0(VALU_DEP_3) | instskip(NEXT) | instid1(VALU_DEP_3)
	v_cmp_ne_u32_e32 vcc_lo, 0, v10
	v_cmp_ne_u32_e64 s2, 0, v11
	s_delay_alu instid0(VALU_DEP_1) | instskip(NEXT) | instid1(SALU_CYCLE_1)
	s_and_b32 s2, vcc_lo, s2
	v_cndmask_b32_e64 v10, 0, 1, s2
	s_delay_alu instid0(VALU_DEP_1)
	v_add_nc_u32_e32 v10, v9, v10
; %bb.69:
	s_or_b32 exec_lo, exec_lo, s3
	s_mov_b32 s3, -1
	s_mov_b32 s2, 0
	global_store_b8 v[0:1], v10, off
.LBB241_70:
	s_mov_b32 s23, 0
.LBB241_71:
	s_delay_alu instid0(SALU_CYCLE_1)
	s_and_b32 vcc_lo, exec_lo, s23
	s_cbranch_vccz .LBB241_74
; %bb.72:
	v_cmp_eq_u16_e32 vcc_lo, 29, v6
	s_mov_b32 s2, -1
	s_cbranch_vccz .LBB241_74
; %bb.73:
	v_cvt_f32_f16_e32 v9, v2
	v_mov_b32_e32 v10, 0
	s_mov_b32 s2, 0
	s_mov_b32 s3, -1
	s_delay_alu instid0(VALU_DEP_2)
	v_cvt_u32_f32_e32 v9, v9
	global_store_b64 v[0:1], v[9:10], off
.LBB241_74:
	s_mov_b32 s23, 0
.LBB241_75:
	s_delay_alu instid0(SALU_CYCLE_1)
	s_and_b32 vcc_lo, exec_lo, s23
	s_cbranch_vccz .LBB241_91
; %bb.76:
	v_cmp_gt_i16_e32 vcc_lo, 27, v6
	s_mov_b32 s3, -1
	s_cbranch_vccnz .LBB241_82
; %bb.77:
	v_cmp_lt_i16_e32 vcc_lo, 27, v6
	s_cbranch_vccz .LBB241_79
; %bb.78:
	v_cvt_f32_f16_e32 v9, v2
	s_mov_b32 s3, 0
	s_delay_alu instid0(VALU_DEP_1)
	v_cvt_u32_f32_e32 v9, v9
	global_store_b32 v[0:1], v9, off
.LBB241_79:
	s_and_not1_b32 vcc_lo, exec_lo, s3
	s_cbranch_vccnz .LBB241_81
; %bb.80:
	v_cvt_u16_f16_e32 v9, v2
	global_store_b16 v[0:1], v9, off
.LBB241_81:
	s_mov_b32 s3, 0
.LBB241_82:
	s_delay_alu instid0(SALU_CYCLE_1)
	s_and_not1_b32 vcc_lo, exec_lo, s3
	s_cbranch_vccnz .LBB241_90
; %bb.83:
	v_cvt_f32_f16_e32 v9, v2
	v_mov_b32_e32 v11, 0x80
	s_mov_b32 s3, exec_lo
	s_delay_alu instid0(VALU_DEP_2) | instskip(NEXT) | instid1(VALU_DEP_1)
	v_and_b32_e32 v10, 0x7fffffff, v9
	v_cmpx_gt_u32_e32 0x43800000, v10
	s_cbranch_execz .LBB241_89
; %bb.84:
	v_cmp_lt_u32_e32 vcc_lo, 0x3bffffff, v10
	s_mov_b32 s23, 0
                                        ; implicit-def: $vgpr10
	s_and_saveexec_b32 s34, vcc_lo
	s_delay_alu instid0(SALU_CYCLE_1)
	s_xor_b32 s34, exec_lo, s34
	s_cbranch_execz .LBB241_180
; %bb.85:
	v_bfe_u32 v10, v9, 20, 1
	s_mov_b32 s23, exec_lo
	s_delay_alu instid0(VALU_DEP_1) | instskip(NEXT) | instid1(VALU_DEP_1)
	v_add3_u32 v10, v9, v10, 0x487ffff
	v_lshrrev_b32_e32 v10, 20, v10
	s_or_saveexec_b32 s34, s34
                                        ; implicit-def: $sgpr35
	s_delay_alu instid0(SALU_CYCLE_1)
	s_xor_b32 exec_lo, exec_lo, s34
	s_cbranch_execnz .LBB241_181
.LBB241_86:
	s_or_b32 exec_lo, exec_lo, s34
	v_mov_b32_e32 v11, s35
	s_and_saveexec_b32 s34, s23
.LBB241_87:
	v_lshrrev_b32_e32 v9, 24, v9
	s_delay_alu instid0(VALU_DEP_1)
	v_and_or_b32 v11, 0x80, v9, v10
.LBB241_88:
	s_or_b32 exec_lo, exec_lo, s34
.LBB241_89:
	s_delay_alu instid0(SALU_CYCLE_1)
	s_or_b32 exec_lo, exec_lo, s3
	global_store_b8 v[0:1], v11, off
.LBB241_90:
	s_mov_b32 s3, -1
.LBB241_91:
	s_mov_b32 s23, 0
.LBB241_92:
	s_delay_alu instid0(SALU_CYCLE_1)
	s_and_b32 vcc_lo, exec_lo, s23
	s_cbranch_vccz .LBB241_133
; %bb.93:
	v_cmp_lt_i16_e32 vcc_lo, 22, v6
	s_mov_b32 s23, -1
	s_cbranch_vccz .LBB241_125
; %bb.94:
	v_cmp_gt_i16_e32 vcc_lo, 24, v6
	s_mov_b32 s3, -1
	s_cbranch_vccnz .LBB241_114
; %bb.95:
	v_cmp_lt_i16_e32 vcc_lo, 24, v6
	s_cbranch_vccz .LBB241_103
; %bb.96:
	v_cvt_f32_f16_e32 v9, v2
	v_mov_b32_e32 v11, 0x80
	s_mov_b32 s3, exec_lo
	s_delay_alu instid0(VALU_DEP_2) | instskip(NEXT) | instid1(VALU_DEP_1)
	v_and_b32_e32 v10, 0x7fffffff, v9
	v_cmpx_gt_u32_e32 0x47800000, v10
	s_cbranch_execz .LBB241_102
; %bb.97:
	v_cmp_lt_u32_e32 vcc_lo, 0x37ffffff, v10
	s_mov_b32 s23, 0
                                        ; implicit-def: $vgpr10
	s_and_saveexec_b32 s34, vcc_lo
	s_delay_alu instid0(SALU_CYCLE_1)
	s_xor_b32 s34, exec_lo, s34
	s_cbranch_execz .LBB241_406
; %bb.98:
	v_bfe_u32 v10, v9, 21, 1
	s_mov_b32 s23, exec_lo
	s_delay_alu instid0(VALU_DEP_1) | instskip(NEXT) | instid1(VALU_DEP_1)
	v_add3_u32 v10, v9, v10, 0x88fffff
	v_lshrrev_b32_e32 v10, 21, v10
	s_or_saveexec_b32 s34, s34
                                        ; implicit-def: $sgpr35
	s_delay_alu instid0(SALU_CYCLE_1)
	s_xor_b32 exec_lo, exec_lo, s34
	s_cbranch_execnz .LBB241_407
.LBB241_99:
	s_or_b32 exec_lo, exec_lo, s34
	v_mov_b32_e32 v11, s35
	s_and_saveexec_b32 s34, s23
.LBB241_100:
	v_lshrrev_b32_e32 v9, 24, v9
	s_delay_alu instid0(VALU_DEP_1)
	v_and_or_b32 v11, 0x80, v9, v10
.LBB241_101:
	s_or_b32 exec_lo, exec_lo, s34
.LBB241_102:
	s_delay_alu instid0(SALU_CYCLE_1)
	s_or_b32 exec_lo, exec_lo, s3
	s_mov_b32 s3, 0
	global_store_b8 v[0:1], v11, off
.LBB241_103:
	s_and_b32 vcc_lo, exec_lo, s3
	s_cbranch_vccz .LBB241_113
; %bb.104:
	v_cvt_f32_f16_e32 v9, v2
	s_mov_b32 s3, exec_lo
                                        ; implicit-def: $vgpr10
	s_delay_alu instid0(VALU_DEP_1) | instskip(NEXT) | instid1(VALU_DEP_1)
	v_and_b32_e32 v11, 0x7fffffff, v9
	v_cmpx_gt_u32_e32 0x43f00000, v11
	s_xor_b32 s3, exec_lo, s3
	s_cbranch_execz .LBB241_110
; %bb.105:
	s_mov_b32 s23, exec_lo
                                        ; implicit-def: $vgpr10
	v_cmpx_lt_u32_e32 0x3c7fffff, v11
	s_xor_b32 s23, exec_lo, s23
; %bb.106:
	v_bfe_u32 v10, v9, 20, 1
	s_delay_alu instid0(VALU_DEP_1) | instskip(NEXT) | instid1(VALU_DEP_1)
	v_add3_u32 v10, v9, v10, 0x407ffff
	v_and_b32_e32 v11, 0xff00000, v10
	v_lshrrev_b32_e32 v10, 20, v10
	s_delay_alu instid0(VALU_DEP_2) | instskip(NEXT) | instid1(VALU_DEP_2)
	v_cmp_ne_u32_e32 vcc_lo, 0x7f00000, v11
	v_cndmask_b32_e32 v10, 0x7e, v10, vcc_lo
; %bb.107:
	s_and_not1_saveexec_b32 s23, s23
; %bb.108:
	v_add_f32_e64 v10, 0x46800000, |v9|
; %bb.109:
	s_or_b32 exec_lo, exec_lo, s23
                                        ; implicit-def: $vgpr11
.LBB241_110:
	s_and_not1_saveexec_b32 s3, s3
; %bb.111:
	v_mov_b32_e32 v10, 0x7f
	v_cmp_lt_u32_e32 vcc_lo, 0x7f800000, v11
	s_delay_alu instid0(VALU_DEP_2)
	v_cndmask_b32_e32 v10, 0x7e, v10, vcc_lo
; %bb.112:
	s_or_b32 exec_lo, exec_lo, s3
	v_lshrrev_b32_e32 v9, 24, v9
	s_delay_alu instid0(VALU_DEP_1)
	v_and_or_b32 v9, 0x80, v9, v10
	global_store_b8 v[0:1], v9, off
.LBB241_113:
	s_mov_b32 s3, 0
.LBB241_114:
	s_delay_alu instid0(SALU_CYCLE_1)
	s_and_not1_b32 vcc_lo, exec_lo, s3
	s_cbranch_vccnz .LBB241_124
; %bb.115:
	v_cvt_f32_f16_e32 v9, v2
	s_mov_b32 s3, exec_lo
                                        ; implicit-def: $vgpr10
	s_delay_alu instid0(VALU_DEP_1) | instskip(NEXT) | instid1(VALU_DEP_1)
	v_and_b32_e32 v11, 0x7fffffff, v9
	v_cmpx_gt_u32_e32 0x47800000, v11
	s_xor_b32 s3, exec_lo, s3
	s_cbranch_execz .LBB241_121
; %bb.116:
	s_mov_b32 s23, exec_lo
                                        ; implicit-def: $vgpr10
	v_cmpx_lt_u32_e32 0x387fffff, v11
	s_xor_b32 s23, exec_lo, s23
; %bb.117:
	v_bfe_u32 v10, v9, 21, 1
	s_delay_alu instid0(VALU_DEP_1) | instskip(NEXT) | instid1(VALU_DEP_1)
	v_add3_u32 v10, v9, v10, 0x80fffff
	v_lshrrev_b32_e32 v10, 21, v10
; %bb.118:
	s_and_not1_saveexec_b32 s23, s23
; %bb.119:
	v_add_f32_e64 v10, 0x43000000, |v9|
; %bb.120:
	s_or_b32 exec_lo, exec_lo, s23
                                        ; implicit-def: $vgpr11
.LBB241_121:
	s_and_not1_saveexec_b32 s3, s3
; %bb.122:
	v_mov_b32_e32 v10, 0x7f
	v_cmp_lt_u32_e32 vcc_lo, 0x7f800000, v11
	s_delay_alu instid0(VALU_DEP_2)
	v_cndmask_b32_e32 v10, 0x7c, v10, vcc_lo
; %bb.123:
	s_or_b32 exec_lo, exec_lo, s3
	v_lshrrev_b32_e32 v9, 24, v9
	s_delay_alu instid0(VALU_DEP_1)
	v_and_or_b32 v9, 0x80, v9, v10
	global_store_b8 v[0:1], v9, off
.LBB241_124:
	s_mov_b32 s23, 0
	s_mov_b32 s3, -1
.LBB241_125:
	s_and_not1_b32 vcc_lo, exec_lo, s23
	s_cbranch_vccnz .LBB241_133
; %bb.126:
	v_cmp_lt_i16_e32 vcc_lo, 14, v6
	s_mov_b32 s23, -1
	s_cbranch_vccz .LBB241_130
; %bb.127:
	v_cmp_eq_u16_e32 vcc_lo, 15, v6
	s_mov_b32 s2, -1
	s_cbranch_vccz .LBB241_129
; %bb.128:
	v_cvt_f32_f16_e32 v9, v2
	v_cmp_o_f16_e32 vcc_lo, v2, v2
	s_mov_b32 s3, -1
	s_mov_b32 s2, 0
	s_delay_alu instid0(VALU_DEP_2) | instskip(NEXT) | instid1(VALU_DEP_1)
	v_bfe_u32 v10, v9, 16, 1
	v_add3_u32 v9, v9, v10, 0x7fff
	s_delay_alu instid0(VALU_DEP_1) | instskip(NEXT) | instid1(VALU_DEP_1)
	v_lshrrev_b32_e32 v9, 16, v9
	v_cndmask_b32_e32 v9, 0x7fc0, v9, vcc_lo
	global_store_b16 v[0:1], v9, off
.LBB241_129:
	s_mov_b32 s23, 0
.LBB241_130:
	s_delay_alu instid0(SALU_CYCLE_1)
	s_and_b32 vcc_lo, exec_lo, s23
	s_cbranch_vccz .LBB241_133
; %bb.131:
	v_cmp_eq_u16_e32 vcc_lo, 11, v6
	s_mov_b32 s2, -1
	s_cbranch_vccz .LBB241_133
; %bb.132:
	v_and_b32_e32 v9, 0x7fff7fff, v7
	s_mov_b32 s2, 0
	s_mov_b32 s3, -1
	s_delay_alu instid0(VALU_DEP_1)
	v_cmp_ne_u32_e32 vcc_lo, 0, v9
	v_cndmask_b32_e64 v9, 0, 1, vcc_lo
	global_store_b8 v[0:1], v9, off
.LBB241_133:
.LBB241_134:
	s_and_not1_b32 vcc_lo, exec_lo, s3
	s_cbranch_vccz .LBB241_174
	s_branch .LBB241_296
.LBB241_135:
	s_and_b32 vcc_lo, exec_lo, s23
	s_cbranch_vccz .LBB241_134
; %bb.136:
	v_cmp_gt_i16_e32 vcc_lo, 5, v6
	s_mov_b32 s3, -1
	s_cbranch_vccnz .LBB241_157
; %bb.137:
	v_cmp_gt_i16_e32 vcc_lo, 8, v6
	s_cbranch_vccnz .LBB241_147
; %bb.138:
	v_cmp_gt_i16_e32 vcc_lo, 9, v6
	s_cbranch_vccnz .LBB241_144
; %bb.139:
	v_cmp_lt_i16_e32 vcc_lo, 9, v6
	s_cbranch_vccz .LBB241_141
; %bb.140:
	v_cvt_f32_f16_e32 v9, v2
	v_cvt_f32_f16_e32 v11, v8
	s_mov_b32 s3, 0
	s_delay_alu instid0(VALU_DEP_2) | instskip(NEXT) | instid1(VALU_DEP_2)
	v_cvt_f64_f32_e32 v[9:10], v9
	v_cvt_f64_f32_e32 v[11:12], v11
	global_store_b128 v[0:1], v[9:12], off
.LBB241_141:
	s_and_not1_b32 vcc_lo, exec_lo, s3
	s_cbranch_vccnz .LBB241_143
; %bb.142:
	v_cvt_f32_f16_e32 v9, v2
	v_cvt_f32_f16_e32 v10, v8
	global_store_b64 v[0:1], v[9:10], off
.LBB241_143:
	s_mov_b32 s3, 0
.LBB241_144:
	s_delay_alu instid0(SALU_CYCLE_1)
	s_and_not1_b32 vcc_lo, exec_lo, s3
	s_cbranch_vccnz .LBB241_146
; %bb.145:
	global_store_b32 v[0:1], v7, off
.LBB241_146:
	s_mov_b32 s3, 0
.LBB241_147:
	s_delay_alu instid0(SALU_CYCLE_1)
	s_and_not1_b32 vcc_lo, exec_lo, s3
	s_cbranch_vccnz .LBB241_156
; %bb.148:
	v_cmp_gt_i16_e32 vcc_lo, 6, v6
	s_mov_b32 s3, -1
	s_cbranch_vccnz .LBB241_154
; %bb.149:
	v_cmp_lt_i16_e32 vcc_lo, 6, v6
	s_cbranch_vccz .LBB241_151
; %bb.150:
	v_cvt_f32_f16_e32 v7, v2
	s_mov_b32 s3, 0
	s_delay_alu instid0(VALU_DEP_1)
	v_cvt_f64_f32_e32 v[7:8], v7
	global_store_b64 v[0:1], v[7:8], off
.LBB241_151:
	s_and_not1_b32 vcc_lo, exec_lo, s3
	s_cbranch_vccnz .LBB241_153
; %bb.152:
	v_cvt_f32_f16_e32 v7, v2
	global_store_b32 v[0:1], v7, off
.LBB241_153:
	s_mov_b32 s3, 0
.LBB241_154:
	s_delay_alu instid0(SALU_CYCLE_1)
	s_and_not1_b32 vcc_lo, exec_lo, s3
	s_cbranch_vccnz .LBB241_156
; %bb.155:
	global_store_b16 v[0:1], v2, off
.LBB241_156:
	s_mov_b32 s3, 0
.LBB241_157:
	s_delay_alu instid0(SALU_CYCLE_1)
	s_and_not1_b32 vcc_lo, exec_lo, s3
	s_cbranch_vccnz .LBB241_173
; %bb.158:
	v_cmp_gt_i16_e32 vcc_lo, 2, v6
	s_mov_b32 s3, -1
	s_cbranch_vccnz .LBB241_168
; %bb.159:
	v_cmp_gt_i16_e32 vcc_lo, 3, v6
	s_cbranch_vccnz .LBB241_165
; %bb.160:
	v_cmp_lt_i16_e32 vcc_lo, 3, v6
	s_cbranch_vccz .LBB241_162
; %bb.161:
	v_cvt_f32_f16_e32 v7, v2
	s_mov_b32 s3, 0
	s_delay_alu instid0(VALU_DEP_1) | instskip(NEXT) | instid1(VALU_DEP_1)
	v_cvt_i32_f32_e32 v7, v7
	v_ashrrev_i32_e32 v8, 31, v7
	global_store_b64 v[0:1], v[7:8], off
.LBB241_162:
	s_and_not1_b32 vcc_lo, exec_lo, s3
	s_cbranch_vccnz .LBB241_164
; %bb.163:
	v_cvt_f32_f16_e32 v7, v2
	s_delay_alu instid0(VALU_DEP_1)
	v_cvt_i32_f32_e32 v7, v7
	global_store_b32 v[0:1], v7, off
.LBB241_164:
	s_mov_b32 s3, 0
.LBB241_165:
	s_delay_alu instid0(SALU_CYCLE_1)
	s_and_not1_b32 vcc_lo, exec_lo, s3
	s_cbranch_vccnz .LBB241_167
; %bb.166:
	v_cvt_i16_f16_e32 v7, v2
	global_store_b16 v[0:1], v7, off
.LBB241_167:
	s_mov_b32 s3, 0
.LBB241_168:
	s_delay_alu instid0(SALU_CYCLE_1)
	s_and_not1_b32 vcc_lo, exec_lo, s3
	s_cbranch_vccnz .LBB241_173
; %bb.169:
	v_cmp_lt_i16_e32 vcc_lo, 0, v6
	s_mov_b32 s3, -1
	s_cbranch_vccz .LBB241_171
; %bb.170:
	v_cvt_i16_f16_e32 v6, v2
	s_mov_b32 s3, 0
	global_store_b8 v[0:1], v6, off
.LBB241_171:
	s_and_not1_b32 vcc_lo, exec_lo, s3
	s_cbranch_vccnz .LBB241_173
; %bb.172:
	v_cvt_f32_f16_e32 v2, v2
	s_delay_alu instid0(VALU_DEP_1)
	v_cvt_i32_f32_e32 v2, v2
	global_store_b8 v[0:1], v2, off
.LBB241_173:
.LBB241_174:
	v_add_nc_u32_e32 v5, 0x80, v5
	s_mov_b32 s3, -1
	s_branch .LBB241_297
.LBB241_175:
	s_mov_b32 s22, -1
.LBB241_176:
	s_mov_b32 s2, 0
                                        ; implicit-def: $vgpr7
                                        ; implicit-def: $vgpr6
.LBB241_177:
	s_and_b32 vcc_lo, exec_lo, s3
	s_cbranch_vccz .LBB241_184
; %bb.178:
	v_cmp_eq_u16_e32 vcc_lo, 44, v4
	s_cbranch_vccz .LBB241_182
; %bb.179:
	global_load_u8 v6, v[1:2], off
	s_mov_b32 s22, 0
	s_mov_b32 s2, -1
	s_waitcnt vmcnt(0)
	v_lshlrev_b32_e32 v7, 23, v6
	v_cmp_ne_u32_e32 vcc_lo, 0xff, v6
	s_delay_alu instid0(VALU_DEP_2) | instskip(NEXT) | instid1(VALU_DEP_1)
	v_cvt_f16_f32_e32 v7, v7
	v_cndmask_b32_e32 v7, 0x7e00, v7, vcc_lo
	v_cmp_ne_u32_e32 vcc_lo, 0, v6
	s_delay_alu instid0(VALU_DEP_2)
	v_cndmask_b32_e32 v6, 0, v7, vcc_lo
	s_branch .LBB241_183
.LBB241_180:
	s_or_saveexec_b32 s34, s34
                                        ; implicit-def: $sgpr35
	s_delay_alu instid0(SALU_CYCLE_1)
	s_xor_b32 exec_lo, exec_lo, s34
	s_cbranch_execz .LBB241_86
.LBB241_181:
	v_add_f32_e64 v10, 0x46000000, |v9|
	s_and_not1_b32 s23, s23, exec_lo
	s_mov_b32 s35, 0
	s_delay_alu instid0(VALU_DEP_1) | instskip(NEXT) | instid1(VALU_DEP_1)
	v_and_b32_e32 v10, 0xff, v10
	v_cmp_ne_u32_e32 vcc_lo, 0, v10
	s_and_b32 s38, vcc_lo, exec_lo
	s_delay_alu instid0(SALU_CYCLE_1)
	s_or_b32 s23, s23, s38
	s_or_b32 exec_lo, exec_lo, s34
	v_mov_b32_e32 v11, s35
	s_and_saveexec_b32 s34, s23
	s_cbranch_execnz .LBB241_87
	s_branch .LBB241_88
.LBB241_182:
	s_mov_b32 s22, -1
                                        ; implicit-def: $vgpr6
.LBB241_183:
	s_delay_alu instid0(SALU_CYCLE_1)
	v_mov_b32_e32 v7, s22
.LBB241_184:
	s_mov_b32 s3, 0
.LBB241_185:
	s_delay_alu instid0(SALU_CYCLE_1)
	s_and_b32 vcc_lo, exec_lo, s3
	s_cbranch_vccz .LBB241_190
; %bb.186:
	v_cmp_eq_u16_e32 vcc_lo, 29, v4
	s_cbranch_vccz .LBB241_188
; %bb.187:
	global_load_b64 v[6:7], v[1:2], off
	s_mov_b32 s2, -1
	s_mov_b32 s22, 0
	s_mov_b32 s3, 0
	s_waitcnt vmcnt(0)
	v_clz_i32_u32_e32 v8, v7
	s_delay_alu instid0(VALU_DEP_1) | instskip(NEXT) | instid1(VALU_DEP_1)
	v_min_u32_e32 v8, 32, v8
	v_lshlrev_b64 v[6:7], v8, v[6:7]
	s_delay_alu instid0(VALU_DEP_1) | instskip(NEXT) | instid1(VALU_DEP_1)
	v_min_u32_e32 v6, 1, v6
	v_or_b32_e32 v6, v7, v6
	v_sub_nc_u32_e32 v7, 32, v8
	s_delay_alu instid0(VALU_DEP_2) | instskip(NEXT) | instid1(VALU_DEP_1)
	v_cvt_f32_u32_e32 v6, v6
	v_ldexp_f32 v6, v6, v7
	s_delay_alu instid0(VALU_DEP_1)
	v_cvt_f16_f32_e32 v6, v6
	s_branch .LBB241_189
.LBB241_188:
	s_mov_b32 s22, -1
                                        ; implicit-def: $sgpr3
                                        ; implicit-def: $vgpr6
.LBB241_189:
	v_mov_b32_e32 v7, s3
.LBB241_190:
	s_mov_b32 s3, 0
.LBB241_191:
	s_delay_alu instid0(SALU_CYCLE_1)
	s_and_b32 vcc_lo, exec_lo, s3
	s_cbranch_vccz .LBB241_211
; %bb.192:
	v_cmp_gt_i16_e32 vcc_lo, 27, v4
	s_cbranch_vccnz .LBB241_195
; %bb.193:
	v_cmp_lt_i16_e32 vcc_lo, 27, v4
	s_cbranch_vccz .LBB241_196
; %bb.194:
	global_load_b32 v6, v[1:2], off
	s_mov_b32 s3, 0
	s_mov_b32 s2, 0
	s_waitcnt vmcnt(0)
	v_cvt_f32_u32_e32 v6, v6
	s_delay_alu instid0(VALU_DEP_1)
	v_cvt_f16_f32_e32 v6, v6
	s_branch .LBB241_197
.LBB241_195:
	s_mov_b32 s3, -1
                                        ; implicit-def: $sgpr2
                                        ; implicit-def: $vgpr6
	s_branch .LBB241_200
.LBB241_196:
	s_mov_b32 s3, -1
                                        ; implicit-def: $sgpr2
                                        ; implicit-def: $vgpr6
.LBB241_197:
	s_delay_alu instid0(SALU_CYCLE_1)
	s_and_not1_b32 vcc_lo, exec_lo, s3
	s_cbranch_vccnz .LBB241_199
; %bb.198:
	global_load_u16 v6, v[1:2], off
	s_mov_b32 s2, 0
	s_waitcnt vmcnt(0)
	v_cvt_f16_u16_e32 v6, v6
.LBB241_199:
	s_mov_b32 s3, 0
.LBB241_200:
	v_mov_b32_e32 v7, s2
	s_and_not1_b32 vcc_lo, exec_lo, s3
	s_cbranch_vccnz .LBB241_210
; %bb.201:
	global_load_u8 v8, v[1:2], off
	s_mov_b32 s2, 0
	s_mov_b32 s34, exec_lo
                                        ; implicit-def: $sgpr23
                                        ; implicit-def: $sgpr3
	s_waitcnt vmcnt(0)
	v_cmpx_lt_i16_e32 0x7f, v8
	s_xor_b32 s34, exec_lo, s34
	s_cbranch_execz .LBB241_205
; %bb.202:
	s_mov_b32 s2, -1
	s_mov_b32 s35, exec_lo
                                        ; implicit-def: $sgpr23
                                        ; implicit-def: $sgpr3
	v_cmpx_eq_u16_e32 0x80, v8
; %bb.203:
	s_movk_i32 s3, 0x7e00
	s_mov_b32 s23, 0
	s_xor_b32 s2, exec_lo, -1
; %bb.204:
	s_or_b32 exec_lo, exec_lo, s35
	s_delay_alu instid0(SALU_CYCLE_1)
	s_and_b32 s2, s2, exec_lo
.LBB241_205:
	s_or_saveexec_b32 s34, s34
	v_dual_mov_b32 v7, s23 :: v_dual_mov_b32 v6, s3
	s_xor_b32 exec_lo, exec_lo, s34
; %bb.206:
	v_cmp_ne_u16_e32 vcc_lo, 0, v8
	v_dual_mov_b32 v7, 0 :: v_dual_mov_b32 v6, v8
	s_and_not1_b32 s2, s2, exec_lo
	s_and_b32 s3, vcc_lo, exec_lo
	s_delay_alu instid0(SALU_CYCLE_1)
	s_or_b32 s2, s2, s3
; %bb.207:
	s_or_b32 exec_lo, exec_lo, s34
	s_and_saveexec_b32 s3, s2
	s_cbranch_execz .LBB241_209
; %bb.208:
	v_and_b32_e32 v6, 0xffff, v8
	v_lshlrev_b32_e32 v8, 24, v8
	s_delay_alu instid0(VALU_DEP_2) | instskip(NEXT) | instid1(VALU_DEP_2)
	v_and_b32_e32 v7, 7, v6
	v_and_b32_e32 v8, 0x80000000, v8
	s_delay_alu instid0(VALU_DEP_2) | instskip(NEXT) | instid1(VALU_DEP_1)
	v_clz_i32_u32_e32 v9, v7
	v_min_u32_e32 v9, 32, v9
	s_delay_alu instid0(VALU_DEP_1) | instskip(SKIP_1) | instid1(VALU_DEP_2)
	v_subrev_nc_u32_e32 v10, 28, v9
	v_sub_nc_u32_e32 v9, 29, v9
	v_lshlrev_b32_e32 v10, v10, v6
	v_bfe_u32 v6, v6, 3, 4
	s_delay_alu instid0(VALU_DEP_2) | instskip(NEXT) | instid1(VALU_DEP_2)
	v_and_b32_e32 v10, 7, v10
	v_cmp_eq_u32_e32 vcc_lo, 0, v6
	s_delay_alu instid0(VALU_DEP_2) | instskip(NEXT) | instid1(VALU_DEP_1)
	v_dual_cndmask_b32 v6, v6, v9 :: v_dual_cndmask_b32 v7, v7, v10
	v_lshl_add_u32 v6, v6, 23, 0x3b800000
	s_delay_alu instid0(VALU_DEP_2) | instskip(NEXT) | instid1(VALU_DEP_1)
	v_lshlrev_b32_e32 v7, 20, v7
	v_or3_b32 v6, v8, v6, v7
	v_mov_b32_e32 v7, 0
	s_delay_alu instid0(VALU_DEP_2)
	v_cvt_f16_f32_e32 v6, v6
.LBB241_209:
	s_or_b32 exec_lo, exec_lo, s3
.LBB241_210:
	s_mov_b32 s2, -1
.LBB241_211:
	s_branch .LBB241_245
.LBB241_212:
	v_cmp_lt_i16_e32 vcc_lo, 22, v4
	s_cbranch_vccz .LBB241_224
; %bb.213:
	v_cmp_gt_i16_e32 vcc_lo, 24, v4
	s_cbranch_vccnz .LBB241_225
; %bb.214:
	v_cmp_lt_i16_e32 vcc_lo, 24, v4
	s_cbranch_vccz .LBB241_226
; %bb.215:
	global_load_u8 v8, v[1:2], off
	s_mov_b32 s2, 0
	s_mov_b32 s34, exec_lo
                                        ; implicit-def: $sgpr23
                                        ; implicit-def: $sgpr3
	s_waitcnt vmcnt(0)
	v_cmpx_lt_i16_e32 0x7f, v8
	s_xor_b32 s34, exec_lo, s34
	s_cbranch_execz .LBB241_219
; %bb.216:
	s_mov_b32 s2, -1
	s_mov_b32 s35, exec_lo
                                        ; implicit-def: $sgpr23
                                        ; implicit-def: $sgpr3
	v_cmpx_eq_u16_e32 0x80, v8
; %bb.217:
	s_movk_i32 s3, 0x7e00
	s_mov_b32 s23, 0
	s_xor_b32 s2, exec_lo, -1
; %bb.218:
	s_or_b32 exec_lo, exec_lo, s35
	s_delay_alu instid0(SALU_CYCLE_1)
	s_and_b32 s2, s2, exec_lo
.LBB241_219:
	s_or_saveexec_b32 s34, s34
	v_dual_mov_b32 v7, s23 :: v_dual_mov_b32 v6, s3
	s_xor_b32 exec_lo, exec_lo, s34
; %bb.220:
	v_cmp_ne_u16_e32 vcc_lo, 0, v8
	v_dual_mov_b32 v7, 0 :: v_dual_mov_b32 v6, v8
	s_and_not1_b32 s2, s2, exec_lo
	s_and_b32 s3, vcc_lo, exec_lo
	s_delay_alu instid0(SALU_CYCLE_1)
	s_or_b32 s2, s2, s3
; %bb.221:
	s_or_b32 exec_lo, exec_lo, s34
	s_and_saveexec_b32 s3, s2
	s_cbranch_execz .LBB241_223
; %bb.222:
	v_and_b32_e32 v6, 0xffff, v8
	v_lshlrev_b32_e32 v8, 24, v8
	s_delay_alu instid0(VALU_DEP_2) | instskip(NEXT) | instid1(VALU_DEP_2)
	v_and_b32_e32 v7, 3, v6
	v_and_b32_e32 v8, 0x80000000, v8
	s_delay_alu instid0(VALU_DEP_2) | instskip(NEXT) | instid1(VALU_DEP_1)
	v_clz_i32_u32_e32 v9, v7
	v_min_u32_e32 v9, 32, v9
	s_delay_alu instid0(VALU_DEP_1) | instskip(SKIP_1) | instid1(VALU_DEP_2)
	v_subrev_nc_u32_e32 v10, 29, v9
	v_sub_nc_u32_e32 v9, 30, v9
	v_lshlrev_b32_e32 v10, v10, v6
	v_bfe_u32 v6, v6, 2, 5
	s_delay_alu instid0(VALU_DEP_2) | instskip(NEXT) | instid1(VALU_DEP_2)
	v_and_b32_e32 v10, 3, v10
	v_cmp_eq_u32_e32 vcc_lo, 0, v6
	s_delay_alu instid0(VALU_DEP_2) | instskip(NEXT) | instid1(VALU_DEP_1)
	v_dual_cndmask_b32 v6, v6, v9 :: v_dual_cndmask_b32 v7, v7, v10
	v_lshl_add_u32 v6, v6, 23, 0x37800000
	s_delay_alu instid0(VALU_DEP_2) | instskip(NEXT) | instid1(VALU_DEP_1)
	v_lshlrev_b32_e32 v7, 21, v7
	v_or3_b32 v6, v8, v6, v7
	v_mov_b32_e32 v7, 0
	s_delay_alu instid0(VALU_DEP_2)
	v_cvt_f16_f32_e32 v6, v6
.LBB241_223:
	s_or_b32 exec_lo, exec_lo, s3
	s_mov_b32 s2, 0
	s_branch .LBB241_227
.LBB241_224:
	s_mov_b32 s3, -1
                                        ; implicit-def: $vgpr7
                                        ; implicit-def: $vgpr6
	s_branch .LBB241_233
.LBB241_225:
	s_mov_b32 s2, -1
                                        ; implicit-def: $vgpr7
                                        ; implicit-def: $vgpr6
	s_branch .LBB241_230
.LBB241_226:
	s_mov_b32 s2, -1
                                        ; implicit-def: $vgpr7
                                        ; implicit-def: $vgpr6
.LBB241_227:
	s_delay_alu instid0(SALU_CYCLE_1)
	s_and_b32 vcc_lo, exec_lo, s2
	s_cbranch_vccz .LBB241_229
; %bb.228:
	global_load_u8 v6, v[1:2], off
	s_waitcnt vmcnt(0)
	v_lshlrev_b32_e32 v6, 24, v6
	s_delay_alu instid0(VALU_DEP_1) | instskip(NEXT) | instid1(VALU_DEP_1)
	v_and_b32_e32 v7, 0x7f000000, v6
	v_clz_i32_u32_e32 v8, v7
	v_add_nc_u32_e32 v10, 0x1000000, v7
	v_cmp_ne_u32_e32 vcc_lo, 0, v7
	s_delay_alu instid0(VALU_DEP_3) | instskip(NEXT) | instid1(VALU_DEP_1)
	v_min_u32_e32 v8, 32, v8
	v_sub_nc_u32_e64 v8, v8, 4 clamp
	s_delay_alu instid0(VALU_DEP_1) | instskip(SKIP_1) | instid1(VALU_DEP_2)
	v_lshlrev_b32_e32 v9, v8, v7
	v_lshlrev_b32_e32 v8, 23, v8
	v_lshrrev_b32_e32 v9, 4, v9
	s_delay_alu instid0(VALU_DEP_1) | instskip(SKIP_1) | instid1(VALU_DEP_2)
	v_sub_nc_u32_e32 v8, v9, v8
	v_ashrrev_i32_e32 v9, 8, v10
	v_add_nc_u32_e32 v8, 0x3c000000, v8
	s_delay_alu instid0(VALU_DEP_1) | instskip(NEXT) | instid1(VALU_DEP_1)
	v_and_or_b32 v8, 0x7f800000, v9, v8
	v_cndmask_b32_e32 v7, 0, v8, vcc_lo
	s_delay_alu instid0(VALU_DEP_1) | instskip(SKIP_1) | instid1(VALU_DEP_2)
	v_and_or_b32 v6, 0x80000000, v6, v7
	v_mov_b32_e32 v7, 0
	v_cvt_f16_f32_e32 v6, v6
.LBB241_229:
	s_mov_b32 s2, 0
.LBB241_230:
	s_delay_alu instid0(SALU_CYCLE_1)
	s_and_not1_b32 vcc_lo, exec_lo, s2
	s_cbranch_vccnz .LBB241_232
; %bb.231:
	global_load_u8 v6, v[1:2], off
	s_waitcnt vmcnt(0)
	v_lshlrev_b32_e32 v7, 25, v6
	v_lshlrev_b16 v6, 8, v6
	s_delay_alu instid0(VALU_DEP_2) | instskip(NEXT) | instid1(VALU_DEP_2)
	v_lshrrev_b32_e32 v8, 4, v7
	v_and_or_b32 v9, 0x7f00, v6, 0.5
	v_bfe_i32 v6, v6, 0, 16
	s_delay_alu instid0(VALU_DEP_3) | instskip(NEXT) | instid1(VALU_DEP_1)
	v_or_b32_e32 v8, 0x70000000, v8
	v_dual_add_f32 v9, -0.5, v9 :: v_dual_mul_f32 v8, 0x7800000, v8
	v_cmp_gt_u32_e32 vcc_lo, 0x8000000, v7
	s_delay_alu instid0(VALU_DEP_2) | instskip(NEXT) | instid1(VALU_DEP_1)
	v_cndmask_b32_e32 v7, v8, v9, vcc_lo
	v_and_or_b32 v6, 0x80000000, v6, v7
	v_mov_b32_e32 v7, 0
	s_delay_alu instid0(VALU_DEP_2)
	v_cvt_f16_f32_e32 v6, v6
.LBB241_232:
	s_mov_b32 s3, 0
	s_mov_b32 s2, -1
.LBB241_233:
	s_and_not1_b32 vcc_lo, exec_lo, s3
	s_cbranch_vccnz .LBB241_245
; %bb.234:
	v_cmp_lt_i16_e32 vcc_lo, 14, v4
	s_cbranch_vccz .LBB241_237
; %bb.235:
	v_cmp_eq_u16_e32 vcc_lo, 15, v4
	s_cbranch_vccz .LBB241_238
; %bb.236:
	global_load_u16 v6, v[1:2], off
	s_mov_b32 s2, -1
	s_mov_b32 s22, 0
	s_mov_b32 s3, 0
	s_waitcnt vmcnt(0)
	v_lshlrev_b32_e32 v6, 16, v6
	s_delay_alu instid0(VALU_DEP_1)
	v_cvt_f16_f32_e32 v6, v6
	s_branch .LBB241_239
.LBB241_237:
	s_mov_b32 s23, -1
                                        ; implicit-def: $sgpr3
                                        ; implicit-def: $vgpr6
	s_branch .LBB241_240
.LBB241_238:
	s_mov_b32 s22, -1
                                        ; implicit-def: $sgpr3
                                        ; implicit-def: $vgpr6
.LBB241_239:
	s_mov_b32 s23, 0
.LBB241_240:
	s_delay_alu instid0(SALU_CYCLE_1)
	s_and_b32 vcc_lo, exec_lo, s23
	s_cbranch_vccz .LBB241_244
; %bb.241:
	v_cmp_eq_u16_e32 vcc_lo, 11, v4
	s_cbranch_vccz .LBB241_243
; %bb.242:
	global_load_u8 v6, v[1:2], off
	s_mov_b32 s3, 0
	s_mov_b32 s2, -1
	s_mov_b32 s22, 0
	s_waitcnt vmcnt(0)
	v_cmp_ne_u16_e32 vcc_lo, 0, v6
	v_cndmask_b32_e64 v6, 0, 0x3c00, vcc_lo
	s_branch .LBB241_244
.LBB241_243:
	s_mov_b32 s22, -1
                                        ; implicit-def: $sgpr3
                                        ; implicit-def: $vgpr6
.LBB241_244:
	v_mov_b32_e32 v7, s3
.LBB241_245:
	s_branch .LBB241_23
.LBB241_246:
	v_cmp_gt_i16_e32 vcc_lo, 5, v4
	s_cbranch_vccnz .LBB241_251
; %bb.247:
	v_cmp_gt_i16_e32 vcc_lo, 8, v4
	s_cbranch_vccnz .LBB241_252
; %bb.248:
	;; [unrolled: 3-line block ×3, first 2 shown]
	v_cmp_lt_i16_e32 vcc_lo, 9, v4
	s_cbranch_vccz .LBB241_254
; %bb.250:
	global_load_b128 v[6:9], v[1:2], off
	s_mov_b32 s2, 0
	s_waitcnt vmcnt(0)
	v_cvt_f32_f64_e32 v6, v[6:7]
	v_cvt_f32_f64_e32 v7, v[8:9]
	s_delay_alu instid0(VALU_DEP_2) | instskip(NEXT) | instid1(VALU_DEP_2)
	v_cvt_f16_f32_e32 v6, v6
	v_cvt_f16_f32_e32 v7, v7
	s_branch .LBB241_255
.LBB241_251:
                                        ; implicit-def: $vgpr7
                                        ; implicit-def: $vgpr6
	s_branch .LBB241_274
.LBB241_252:
	s_mov_b32 s2, -1
                                        ; implicit-def: $vgpr7
                                        ; implicit-def: $vgpr6
	s_branch .LBB241_261
.LBB241_253:
	s_mov_b32 s2, -1
                                        ; implicit-def: $vgpr7
                                        ; implicit-def: $vgpr6
	s_branch .LBB241_258
.LBB241_254:
	s_mov_b32 s2, -1
                                        ; implicit-def: $vgpr7
                                        ; implicit-def: $vgpr6
.LBB241_255:
	s_delay_alu instid0(SALU_CYCLE_1)
	s_and_not1_b32 vcc_lo, exec_lo, s2
	s_cbranch_vccnz .LBB241_257
; %bb.256:
	global_load_b64 v[6:7], v[1:2], off
	s_waitcnt vmcnt(0)
	v_cvt_f16_f32_e32 v6, v6
	v_cvt_f16_f32_e32 v7, v7
.LBB241_257:
	s_mov_b32 s2, 0
.LBB241_258:
	s_delay_alu instid0(SALU_CYCLE_1)
	s_and_not1_b32 vcc_lo, exec_lo, s2
	s_cbranch_vccnz .LBB241_260
; %bb.259:
	global_load_b32 v6, v[1:2], off
	s_waitcnt vmcnt(0)
	v_lshrrev_b32_e32 v7, 16, v6
.LBB241_260:
	s_mov_b32 s2, 0
.LBB241_261:
	s_delay_alu instid0(SALU_CYCLE_1)
	s_and_not1_b32 vcc_lo, exec_lo, s2
	s_cbranch_vccnz .LBB241_273
; %bb.262:
	v_cmp_gt_i16_e32 vcc_lo, 6, v4
	s_cbranch_vccnz .LBB241_265
; %bb.263:
	v_cmp_lt_i16_e32 vcc_lo, 6, v4
	s_cbranch_vccz .LBB241_266
; %bb.264:
	global_load_b64 v[6:7], v[1:2], off
	s_mov_b32 s3, 0
	s_mov_b32 s2, 0
	s_waitcnt vmcnt(0)
	v_cvt_f32_f64_e32 v6, v[6:7]
	s_delay_alu instid0(VALU_DEP_1)
	v_cvt_f16_f32_e32 v6, v6
	s_branch .LBB241_267
.LBB241_265:
	s_mov_b32 s3, -1
                                        ; implicit-def: $sgpr2
                                        ; implicit-def: $vgpr6
	s_branch .LBB241_270
.LBB241_266:
	s_mov_b32 s3, -1
                                        ; implicit-def: $sgpr2
                                        ; implicit-def: $vgpr6
.LBB241_267:
	s_delay_alu instid0(SALU_CYCLE_1)
	s_and_not1_b32 vcc_lo, exec_lo, s3
	s_cbranch_vccnz .LBB241_269
; %bb.268:
	global_load_b32 v6, v[1:2], off
	s_mov_b32 s2, 0
	s_waitcnt vmcnt(0)
	v_cvt_f16_f32_e32 v6, v6
.LBB241_269:
	s_mov_b32 s3, 0
.LBB241_270:
	s_delay_alu instid0(SALU_CYCLE_1)
	s_and_not1_b32 vcc_lo, exec_lo, s3
	s_cbranch_vccnz .LBB241_272
; %bb.271:
	global_load_u16 v6, v[1:2], off
	s_mov_b32 s2, 0
.LBB241_272:
	s_delay_alu instid0(SALU_CYCLE_1)
	v_mov_b32_e32 v7, s2
.LBB241_273:
	s_cbranch_execnz .LBB241_294
.LBB241_274:
	v_cmp_gt_i16_e32 vcc_lo, 2, v4
	s_cbranch_vccnz .LBB241_278
; %bb.275:
	v_cmp_gt_i16_e32 vcc_lo, 3, v4
	s_cbranch_vccnz .LBB241_279
; %bb.276:
	v_cmp_lt_i16_e32 vcc_lo, 3, v4
	s_cbranch_vccz .LBB241_280
; %bb.277:
	global_load_b64 v[6:7], v[1:2], off
	s_mov_b32 s3, 0
	s_mov_b32 s2, 0
	s_waitcnt vmcnt(0)
	v_xor_b32_e32 v8, v6, v7
	v_cls_i32_e32 v9, v7
	s_delay_alu instid0(VALU_DEP_2) | instskip(NEXT) | instid1(VALU_DEP_2)
	v_ashrrev_i32_e32 v8, 31, v8
	v_add_nc_u32_e32 v9, -1, v9
	s_delay_alu instid0(VALU_DEP_2) | instskip(NEXT) | instid1(VALU_DEP_1)
	v_add_nc_u32_e32 v8, 32, v8
	v_min_u32_e32 v8, v9, v8
	s_delay_alu instid0(VALU_DEP_1) | instskip(NEXT) | instid1(VALU_DEP_1)
	v_lshlrev_b64 v[6:7], v8, v[6:7]
	v_min_u32_e32 v6, 1, v6
	s_delay_alu instid0(VALU_DEP_1) | instskip(SKIP_1) | instid1(VALU_DEP_2)
	v_or_b32_e32 v6, v7, v6
	v_sub_nc_u32_e32 v7, 32, v8
	v_cvt_f32_i32_e32 v6, v6
	s_delay_alu instid0(VALU_DEP_1) | instskip(NEXT) | instid1(VALU_DEP_1)
	v_ldexp_f32 v6, v6, v7
	v_cvt_f16_f32_e32 v6, v6
	s_branch .LBB241_281
.LBB241_278:
	s_mov_b32 s3, -1
                                        ; implicit-def: $sgpr2
                                        ; implicit-def: $vgpr6
	s_branch .LBB241_287
.LBB241_279:
	s_mov_b32 s3, -1
                                        ; implicit-def: $sgpr2
                                        ; implicit-def: $vgpr6
	s_branch .LBB241_284
.LBB241_280:
	s_mov_b32 s3, -1
                                        ; implicit-def: $sgpr2
                                        ; implicit-def: $vgpr6
.LBB241_281:
	s_delay_alu instid0(SALU_CYCLE_1)
	s_and_not1_b32 vcc_lo, exec_lo, s3
	s_cbranch_vccnz .LBB241_283
; %bb.282:
	global_load_b32 v6, v[1:2], off
	s_mov_b32 s2, 0
	s_waitcnt vmcnt(0)
	v_cvt_f32_i32_e32 v6, v6
	s_delay_alu instid0(VALU_DEP_1)
	v_cvt_f16_f32_e32 v6, v6
.LBB241_283:
	s_mov_b32 s3, 0
.LBB241_284:
	s_delay_alu instid0(SALU_CYCLE_1)
	s_and_not1_b32 vcc_lo, exec_lo, s3
	s_cbranch_vccnz .LBB241_286
; %bb.285:
	global_load_u16 v6, v[1:2], off
	s_mov_b32 s2, 0
	s_waitcnt vmcnt(0)
	v_cvt_f16_i16_e32 v6, v6
.LBB241_286:
	s_mov_b32 s3, 0
.LBB241_287:
	s_delay_alu instid0(SALU_CYCLE_1)
	s_and_not1_b32 vcc_lo, exec_lo, s3
	s_cbranch_vccnz .LBB241_293
; %bb.288:
	v_cmp_lt_i16_e32 vcc_lo, 0, v4
	s_mov_b32 s3, 0
	s_cbranch_vccz .LBB241_290
; %bb.289:
	global_load_i8 v6, v[1:2], off
	s_mov_b32 s2, 0
	s_waitcnt vmcnt(0)
	v_cvt_f16_i16_e32 v6, v6
	s_branch .LBB241_291
.LBB241_290:
	s_mov_b32 s3, -1
                                        ; implicit-def: $sgpr2
                                        ; implicit-def: $vgpr6
.LBB241_291:
	s_delay_alu instid0(SALU_CYCLE_1)
	s_and_not1_b32 vcc_lo, exec_lo, s3
	s_cbranch_vccnz .LBB241_293
; %bb.292:
	global_load_u8 v1, v[1:2], off
	s_mov_b32 s2, 0
	s_waitcnt vmcnt(0)
	v_cvt_f16_u16_e32 v6, v1
.LBB241_293:
	v_mov_b32_e32 v7, s2
.LBB241_294:
	s_branch .LBB241_24
.LBB241_295:
	s_mov_b32 s2, 0
.LBB241_296:
	s_mov_b32 s3, 0
                                        ; implicit-def: $vgpr5
.LBB241_297:
	s_and_b32 s34, s2, exec_lo
	s_and_b32 s35, s22, exec_lo
	s_or_not1_b32 s3, s3, exec_lo
.LBB241_298:
	s_or_b32 exec_lo, exec_lo, s36
	s_mov_b32 s22, 0
	s_mov_b32 s2, 0
                                        ; implicit-def: $vgpr1_vgpr2
                                        ; implicit-def: $vgpr0
                                        ; implicit-def: $vgpr8
                                        ; implicit-def: $vgpr6
	s_and_saveexec_b32 s36, s3
	s_cbranch_execz .LBB241_1014
; %bb.299:
	s_mov_b32 s2, -1
	s_mov_b32 s37, s35
	s_mov_b32 s38, s34
	s_mov_b32 s39, exec_lo
	v_cmpx_gt_i32_e64 s30, v5
	s_cbranch_execz .LBB241_603
; %bb.300:
	s_and_not1_b32 vcc_lo, exec_lo, s27
	s_cbranch_vccnz .LBB241_305
; %bb.301:
	v_dual_mov_b32 v0, 0 :: v_dual_mov_b32 v1, 0
	s_and_not1_b32 vcc_lo, exec_lo, s33
	s_mov_b32 s37, 0
	s_cbranch_vccnz .LBB241_310
; %bb.302:
	v_mov_b32_e32 v0, 0
	s_add_i32 s40, s31, 1
	s_cmp_eq_u32 s25, 2
	s_mov_b32 s38, 0
	s_cbranch_scc1 .LBB241_306
; %bb.303:
	v_dual_mov_b32 v1, 0 :: v_dual_mov_b32 v0, 0
	v_mov_b32_e32 v2, v5
	s_and_b32 s38, s40, 28
	s_mov_b32 s41, 0
	s_mov_b64 s[2:3], s[20:21]
	s_mov_b64 s[22:23], s[16:17]
.LBB241_304:                            ; =>This Inner Loop Header: Depth=1
	s_clause 0x1
	s_load_b256 s[44:51], s[22:23], 0x4
	s_load_b128 s[60:63], s[22:23], 0x24
	s_load_b256 s[52:59], s[2:3], 0x0
	s_add_u32 s22, s22, 48
	s_addc_u32 s23, s23, 0
	s_add_i32 s41, s41, 4
	s_add_u32 s2, s2, 32
	s_addc_u32 s3, s3, 0
	s_cmp_eq_u32 s38, s41
	s_waitcnt vmcnt(0) lgkmcnt(0)
	v_mul_hi_u32 v6, s45, v2
	s_delay_alu instid0(VALU_DEP_1) | instskip(NEXT) | instid1(VALU_DEP_1)
	v_add_nc_u32_e32 v6, v2, v6
	v_lshrrev_b32_e32 v6, s46, v6
	s_delay_alu instid0(VALU_DEP_1) | instskip(SKIP_1) | instid1(VALU_DEP_2)
	v_mul_hi_u32 v7, s48, v6
	v_mul_lo_u32 v9, v6, s44
	v_add_nc_u32_e32 v7, v6, v7
	s_delay_alu instid0(VALU_DEP_2) | instskip(NEXT) | instid1(VALU_DEP_2)
	v_sub_nc_u32_e32 v2, v2, v9
	v_lshrrev_b32_e32 v7, s49, v7
	s_delay_alu instid0(VALU_DEP_2) | instskip(SKIP_1) | instid1(VALU_DEP_3)
	v_mul_lo_u32 v9, v2, s52
	v_mul_lo_u32 v11, v2, s53
	v_mul_hi_u32 v8, s51, v7
	s_delay_alu instid0(VALU_DEP_1) | instskip(NEXT) | instid1(VALU_DEP_1)
	v_add_nc_u32_e32 v8, v7, v8
	v_lshrrev_b32_e32 v8, s60, v8
	s_delay_alu instid0(VALU_DEP_1) | instskip(SKIP_1) | instid1(VALU_DEP_2)
	v_mul_hi_u32 v10, s62, v8
	v_mul_lo_u32 v12, v8, s50
	v_add_nc_u32_e32 v2, v8, v10
	v_mul_lo_u32 v10, v7, s47
	s_delay_alu instid0(VALU_DEP_3) | instskip(NEXT) | instid1(VALU_DEP_3)
	v_sub_nc_u32_e32 v7, v7, v12
	v_lshrrev_b32_e32 v2, s63, v2
	s_delay_alu instid0(VALU_DEP_2) | instskip(SKIP_2) | instid1(VALU_DEP_4)
	v_mul_lo_u32 v12, v7, s56
	v_mul_lo_u32 v7, v7, s57
	v_sub_nc_u32_e32 v6, v6, v10
	v_mul_lo_u32 v13, v2, s61
	s_delay_alu instid0(VALU_DEP_2) | instskip(SKIP_1) | instid1(VALU_DEP_3)
	v_mul_lo_u32 v10, v6, s54
	v_mul_lo_u32 v6, v6, s55
	v_sub_nc_u32_e32 v8, v8, v13
	s_delay_alu instid0(VALU_DEP_3) | instskip(NEXT) | instid1(VALU_DEP_2)
	v_add3_u32 v0, v9, v0, v10
	v_mul_lo_u32 v13, v8, s58
	v_mul_lo_u32 v8, v8, s59
	v_add3_u32 v1, v11, v1, v6
	s_delay_alu instid0(VALU_DEP_3) | instskip(NEXT) | instid1(VALU_DEP_2)
	v_add3_u32 v0, v12, v0, v13
	v_add3_u32 v1, v7, v1, v8
	s_cbranch_scc0 .LBB241_304
	s_branch .LBB241_307
.LBB241_305:
	s_mov_b32 s37, -1
                                        ; implicit-def: $vgpr0
                                        ; implicit-def: $vgpr1
	s_branch .LBB241_310
.LBB241_306:
	v_dual_mov_b32 v2, v5 :: v_dual_mov_b32 v1, 0
.LBB241_307:
	s_and_b32 s40, s40, 3
	s_delay_alu instid0(SALU_CYCLE_1)
	s_cmp_eq_u32 s40, 0
	s_cbranch_scc1 .LBB241_310
; %bb.308:
	s_lshl_b32 s2, s38, 3
	s_mul_i32 s22, s38, 12
	s_add_u32 s2, s2, s16
	s_addc_u32 s3, s17, 0
	s_add_u32 s2, s2, 0xc4
	s_addc_u32 s3, s3, 0
	;; [unrolled: 2-line block ×3, first 2 shown]
	.p2align	6
.LBB241_309:                            ; =>This Inner Loop Header: Depth=1
	s_clause 0x1
	s_load_b64 s[42:43], s[22:23], 0x4
	s_load_b32 s38, s[22:23], 0xc
	s_load_b64 s[44:45], s[2:3], 0x0
	s_add_u32 s22, s22, 12
	s_addc_u32 s23, s23, 0
	s_add_u32 s2, s2, 8
	s_addc_u32 s3, s3, 0
	s_add_i32 s40, s40, -1
	s_delay_alu instid0(SALU_CYCLE_1) | instskip(SKIP_2) | instid1(VALU_DEP_1)
	s_cmp_lg_u32 s40, 0
	s_waitcnt vmcnt(0) lgkmcnt(0)
	v_mul_hi_u32 v6, s43, v2
	v_add_nc_u32_e32 v6, v2, v6
	s_delay_alu instid0(VALU_DEP_1) | instskip(NEXT) | instid1(VALU_DEP_1)
	v_lshrrev_b32_e32 v9, s38, v6
	v_mul_lo_u32 v6, v9, s42
	s_delay_alu instid0(VALU_DEP_1) | instskip(NEXT) | instid1(VALU_DEP_1)
	v_sub_nc_u32_e32 v2, v2, v6
	v_mad_u64_u32 v[6:7], null, v2, s44, v[0:1]
	v_mad_u64_u32 v[7:8], null, v2, s45, v[1:2]
	v_mov_b32_e32 v2, v9
	s_delay_alu instid0(VALU_DEP_2)
	v_dual_mov_b32 v0, v6 :: v_dual_mov_b32 v1, v7
	s_cbranch_scc1 .LBB241_309
.LBB241_310:
	s_and_not1_b32 vcc_lo, exec_lo, s37
	s_cbranch_vccnz .LBB241_313
; %bb.311:
	s_waitcnt lgkmcnt(0)
	v_mul_hi_u32 v0, s13, v5
	s_and_not1_b32 vcc_lo, exec_lo, s29
	s_delay_alu instid0(VALU_DEP_1) | instskip(NEXT) | instid1(VALU_DEP_1)
	v_add_nc_u32_e32 v0, v5, v0
	v_lshrrev_b32_e32 v2, s14, v0
	s_delay_alu instid0(VALU_DEP_1) | instskip(NEXT) | instid1(VALU_DEP_1)
	v_mul_lo_u32 v0, v2, s12
	v_sub_nc_u32_e32 v1, v5, v0
	s_delay_alu instid0(VALU_DEP_1)
	v_mul_lo_u32 v0, v1, s8
	v_mul_lo_u32 v1, v1, s9
	s_cbranch_vccnz .LBB241_313
; %bb.312:
	s_waitcnt vmcnt(0)
	v_mul_hi_u32 v6, s18, v2
	s_delay_alu instid0(VALU_DEP_1) | instskip(NEXT) | instid1(VALU_DEP_1)
	v_add_nc_u32_e32 v6, v2, v6
	v_lshrrev_b32_e32 v6, s19, v6
	s_delay_alu instid0(VALU_DEP_1) | instskip(NEXT) | instid1(VALU_DEP_1)
	v_mul_lo_u32 v6, v6, s15
	v_sub_nc_u32_e32 v2, v2, v6
	s_delay_alu instid0(VALU_DEP_1) | instskip(SKIP_1) | instid1(VALU_DEP_1)
	v_mad_u64_u32 v[6:7], null, v2, s10, v[0:1]
	v_mad_u64_u32 v[7:8], null, v2, s11, v[1:2]
	v_dual_mov_b32 v0, v6 :: v_dual_mov_b32 v1, v7
.LBB241_313:
	v_cmp_gt_i16_e32 vcc_lo, 11, v4
	s_waitcnt lgkmcnt(0)
	s_delay_alu instid0(VALU_DEP_2) | instskip(NEXT) | instid1(VALU_DEP_1)
	v_add_co_u32 v1, s2, s6, v1
	v_add_co_ci_u32_e64 v2, null, s7, 0, s2
	s_mov_b32 s2, 0
	s_cbranch_vccnz .LBB241_320
; %bb.314:
	v_cmp_lt_i16_e32 vcc_lo, 25, v4
	s_cbranch_vccz .LBB241_334
; %bb.315:
	v_cmp_lt_i16_e32 vcc_lo, 28, v4
	s_cbranch_vccz .LBB241_335
	;; [unrolled: 3-line block ×4, first 2 shown]
; %bb.318:
	v_cmp_eq_u16_e32 vcc_lo, 46, v4
	s_mov_b32 s3, 0
	s_cbranch_vccz .LBB241_408
; %bb.319:
	global_load_b32 v6, v[1:2], off
	s_mov_b32 s2, -1
	s_mov_b32 s22, 0
	s_waitcnt vmcnt(0)
	v_lshlrev_b32_e32 v7, 16, v6
	v_and_b32_e32 v8, 0xffff0000, v6
	s_delay_alu instid0(VALU_DEP_2) | instskip(NEXT) | instid1(VALU_DEP_2)
	v_cvt_f16_f32_e32 v6, v7
	v_cvt_f16_f32_e32 v7, v8
	s_branch .LBB241_410
.LBB241_320:
	s_mov_b32 s22, s35
                                        ; implicit-def: $vgpr7
                                        ; implicit-def: $vgpr6
	s_cbranch_execnz .LBB241_550
.LBB241_321:
	s_and_not1_b32 vcc_lo, exec_lo, s2
	s_cbranch_vccnz .LBB241_600
.LBB241_322:
	s_waitcnt vmcnt(0)
	s_delay_alu instid0(VALU_DEP_2) | instskip(NEXT) | instid1(VALU_DEP_2)
	v_cmp_neq_f16_e32 vcc_lo, 0, v6
	v_cmp_neq_f16_e64 s2, 0, v7
	v_cvt_f32_f16_e32 v1, v7
	v_mov_b32_e32 v2, 0
	s_delay_alu instid0(VALU_DEP_3) | instskip(NEXT) | instid1(SALU_CYCLE_1)
	s_or_b32 s2, vcc_lo, s2
	s_and_saveexec_b32 s23, s2
	s_cbranch_execz .LBB241_356
; %bb.323:
	v_mov_b32_e32 v2, 0x7f800000
	s_mov_b32 s37, exec_lo
	v_cmpx_neq_f32_e64 0x7f800000, |v1|
	s_cbranch_execz .LBB241_355
; %bb.324:
	v_cvt_f32_f16_e32 v2, v6
	s_mov_b32 s2, exec_lo
	v_cmpx_o_f16_e32 v6, v6
	s_xor_b32 s38, exec_lo, s2
	s_cbranch_execz .LBB241_352
; %bb.325:
	s_mov_b32 s3, exec_lo
	v_cmpx_neq_f32_e64 0x7f800000, |v2|
	s_xor_b32 s40, exec_lo, s3
	s_cbranch_execz .LBB241_345
; %bb.326:
	v_max_f32_e64 v6, |v1|, |v1|
	v_max_f32_e64 v7, |v2|, |v2|
                                        ; implicit-def: $sgpr41
	s_delay_alu instid0(VALU_DEP_1) | instskip(NEXT) | instid1(VALU_DEP_1)
	v_max_f32_e32 v6, v7, v6
	v_cmp_nle_f32_e64 s2, 0x7ed413cb, v6
	s_delay_alu instid0(VALU_DEP_1) | instskip(NEXT) | instid1(SALU_CYCLE_1)
	s_and_saveexec_b32 s3, s2
	s_xor_b32 s3, exec_lo, s3
	s_cbranch_execz .LBB241_330
; %bb.327:
	v_cmp_ge_f32_e64 s41, 0x1000000, |v2|
	v_cmp_ge_f32_e64 s42, 0x1000000, |v1|
	s_delay_alu instid0(VALU_DEP_1)
	s_and_b32 s43, s41, s42
	s_mov_b32 s41, 0
	s_and_saveexec_b32 s42, s43
; %bb.328:
	v_dual_mul_f32 v2, 4.0, v2 :: v_dual_mul_f32 v1, 4.0, v1
	s_mov_b32 s41, exec_lo
; %bb.329:
	s_or_b32 exec_lo, exec_lo, s42
	s_delay_alu instid0(SALU_CYCLE_1)
	s_and_b32 s41, s41, exec_lo
.LBB241_330:
	s_and_not1_saveexec_b32 s3, s3
; %bb.331:
	v_dual_mul_f32 v2, 0x3e800000, v2 :: v_dual_mul_f32 v1, 0x3e800000, v1
	s_and_not1_b32 s41, s41, exec_lo
; %bb.332:
	s_or_b32 exec_lo, exec_lo, s3
	s_delay_alu instid0(VALU_DEP_1) | instskip(NEXT) | instid1(VALU_DEP_2)
	v_max_f32_e64 v6, |v1|, |v1|
	v_max_f32_e64 v7, |v2|, |v2|
	s_delay_alu instid0(VALU_DEP_1) | instskip(NEXT) | instid1(VALU_DEP_1)
	v_max_f32_e32 v8, v7, v6
	v_cvt_f64_f32_e32 v[6:7], v8
	s_delay_alu instid0(VALU_DEP_1) | instskip(NEXT) | instid1(VALU_DEP_1)
	v_frexp_exp_i32_f64_e32 v6, v[6:7]
	v_sub_nc_u32_e32 v7, 0, v6
	s_delay_alu instid0(VALU_DEP_1) | instskip(SKIP_1) | instid1(VALU_DEP_2)
	v_ldexp_f32 v9, |v1|, v7
	v_ldexp_f32 v7, |v2|, v7
	v_mul_f32_e32 v9, v9, v9
	v_cmp_neq_f32_e64 s3, 0x7f800000, v8
	s_delay_alu instid0(VALU_DEP_2) | instskip(NEXT) | instid1(VALU_DEP_1)
	v_fmac_f32_e32 v9, v7, v7
	v_sqrt_f32_e32 v7, v9
	s_waitcnt_depctr 0xfff
	v_ldexp_f32 v6, v7, v6
                                        ; implicit-def: $vgpr7
	s_delay_alu instid0(VALU_DEP_1)
	v_cndmask_b32_e64 v8, 0x7f800000, v6, s3
                                        ; implicit-def: $vgpr6
	s_mov_b32 s3, exec_lo
	v_cmpx_le_f32_e32 0, v2
	s_xor_b32 s42, exec_lo, s3
	s_cbranch_execz .LBB241_338
; %bb.333:
	v_add_f32_e32 v2, v2, v8
	s_delay_alu instid0(VALU_DEP_1) | instskip(NEXT) | instid1(VALU_DEP_1)
	v_mul_f32_e32 v2, 0.5, v2
	v_mul_f32_e32 v6, 0x4f800000, v2
	v_cmp_gt_f32_e32 vcc_lo, 0xf800000, v2
	s_delay_alu instid0(VALU_DEP_2) | instskip(NEXT) | instid1(VALU_DEP_1)
	v_cndmask_b32_e32 v2, v2, v6, vcc_lo
	v_sqrt_f32_e32 v6, v2
	s_waitcnt_depctr 0xfff
	v_add_nc_u32_e32 v7, -1, v6
	v_add_nc_u32_e32 v8, 1, v6
	s_delay_alu instid0(VALU_DEP_2) | instskip(NEXT) | instid1(VALU_DEP_2)
	v_fma_f32 v9, -v7, v6, v2
	v_fma_f32 v10, -v8, v6, v2
	s_delay_alu instid0(VALU_DEP_2) | instskip(NEXT) | instid1(VALU_DEP_1)
	v_cmp_ge_f32_e64 s3, 0, v9
	v_cndmask_b32_e64 v6, v6, v7, s3
	s_delay_alu instid0(VALU_DEP_3) | instskip(NEXT) | instid1(VALU_DEP_1)
	v_cmp_lt_f32_e64 s3, 0, v10
	v_cndmask_b32_e64 v6, v6, v8, s3
	s_delay_alu instid0(VALU_DEP_1) | instskip(NEXT) | instid1(VALU_DEP_1)
	v_mul_f32_e32 v7, 0x37800000, v6
	v_cndmask_b32_e32 v6, v6, v7, vcc_lo
	v_cmp_class_f32_e64 vcc_lo, v2, 0x260
	s_delay_alu instid0(VALU_DEP_2) | instskip(NEXT) | instid1(VALU_DEP_1)
	v_cndmask_b32_e32 v6, v6, v2, vcc_lo
	v_add_f32_e32 v2, v6, v6
	s_delay_alu instid0(VALU_DEP_1) | instskip(NEXT) | instid1(VALU_DEP_1)
	v_div_scale_f32 v7, null, v2, v2, v1
	v_rcp_f32_e32 v8, v7
	s_waitcnt_depctr 0xfff
	v_fma_f32 v9, -v7, v8, 1.0
	s_delay_alu instid0(VALU_DEP_1) | instskip(SKIP_1) | instid1(VALU_DEP_1)
	v_fmac_f32_e32 v8, v9, v8
	v_div_scale_f32 v9, vcc_lo, v1, v2, v1
	v_mul_f32_e32 v10, v9, v8
	s_delay_alu instid0(VALU_DEP_1) | instskip(NEXT) | instid1(VALU_DEP_1)
	v_fma_f32 v11, -v7, v10, v9
	v_fmac_f32_e32 v10, v11, v8
	s_delay_alu instid0(VALU_DEP_1) | instskip(NEXT) | instid1(VALU_DEP_1)
	v_fma_f32 v7, -v7, v10, v9
	v_div_fmas_f32 v7, v7, v8, v10
                                        ; implicit-def: $vgpr8
	s_delay_alu instid0(VALU_DEP_1)
	v_div_fixup_f32 v7, v7, v2, v1
                                        ; implicit-def: $vgpr2
                                        ; implicit-def: $vgpr1
	s_and_not1_saveexec_b32 s42, s42
	s_cbranch_execz .LBB241_340
	s_branch .LBB241_339
.LBB241_334:
	s_mov_b32 s3, -1
	s_mov_b32 s22, s35
                                        ; implicit-def: $vgpr7
                                        ; implicit-def: $vgpr6
	s_branch .LBB241_515
.LBB241_335:
	s_mov_b32 s3, -1
	s_mov_b32 s22, s35
                                        ; implicit-def: $vgpr7
                                        ; implicit-def: $vgpr6
	s_branch .LBB241_494
.LBB241_336:
	s_mov_b32 s3, -1
	s_mov_b32 s22, s35
                                        ; implicit-def: $vgpr7
                                        ; implicit-def: $vgpr6
	s_branch .LBB241_488
.LBB241_337:
	s_mov_b32 s3, -1
	s_mov_b32 s22, s35
	s_branch .LBB241_409
.LBB241_338:
	s_and_not1_saveexec_b32 s42, s42
	s_cbranch_execz .LBB241_340
.LBB241_339:
	v_sub_f32_e32 v2, v8, v2
	s_delay_alu instid0(VALU_DEP_1) | instskip(NEXT) | instid1(VALU_DEP_1)
	v_mul_f32_e32 v2, 0.5, v2
	v_mul_f32_e32 v6, 0x4f800000, v2
	v_cmp_gt_f32_e32 vcc_lo, 0xf800000, v2
	s_delay_alu instid0(VALU_DEP_2) | instskip(NEXT) | instid1(VALU_DEP_1)
	v_cndmask_b32_e32 v2, v2, v6, vcc_lo
	v_sqrt_f32_e32 v6, v2
	s_waitcnt_depctr 0xfff
	v_add_nc_u32_e32 v7, -1, v6
	v_add_nc_u32_e32 v8, 1, v6
	s_delay_alu instid0(VALU_DEP_2) | instskip(NEXT) | instid1(VALU_DEP_2)
	v_fma_f32 v9, -v7, v6, v2
	v_fma_f32 v10, -v8, v6, v2
	s_delay_alu instid0(VALU_DEP_2) | instskip(NEXT) | instid1(VALU_DEP_1)
	v_cmp_ge_f32_e64 s3, 0, v9
	v_cndmask_b32_e64 v6, v6, v7, s3
	s_delay_alu instid0(VALU_DEP_3) | instskip(NEXT) | instid1(VALU_DEP_1)
	v_cmp_lt_f32_e64 s3, 0, v10
	v_cndmask_b32_e64 v6, v6, v8, s3
	s_delay_alu instid0(VALU_DEP_1) | instskip(NEXT) | instid1(VALU_DEP_1)
	v_mul_f32_e32 v7, 0x37800000, v6
	v_cndmask_b32_e32 v6, v6, v7, vcc_lo
	v_cmp_class_f32_e64 vcc_lo, v2, 0x260
	s_delay_alu instid0(VALU_DEP_2) | instskip(NEXT) | instid1(VALU_DEP_1)
	v_cndmask_b32_e32 v2, v6, v2, vcc_lo
	v_dual_add_f32 v7, v2, v2 :: v_dual_and_b32 v6, 0x7fffffff, v1
	s_delay_alu instid0(VALU_DEP_1) | instskip(SKIP_1) | instid1(VALU_DEP_2)
	v_div_scale_f32 v8, null, v7, v7, v6
	v_div_scale_f32 v6, vcc_lo, v6, v7, v6
	v_rcp_f32_e32 v9, v8
	s_waitcnt_depctr 0xfff
	v_fma_f32 v10, -v8, v9, 1.0
	s_delay_alu instid0(VALU_DEP_1) | instskip(NEXT) | instid1(VALU_DEP_1)
	v_fmac_f32_e32 v9, v10, v9
	v_mul_f32_e32 v10, v6, v9
	s_delay_alu instid0(VALU_DEP_1) | instskip(NEXT) | instid1(VALU_DEP_1)
	v_fma_f32 v11, -v8, v10, v6
	v_fmac_f32_e32 v10, v11, v9
	s_delay_alu instid0(VALU_DEP_1) | instskip(NEXT) | instid1(VALU_DEP_1)
	v_fma_f32 v6, -v8, v10, v6
	v_div_fmas_f32 v6, v6, v9, v10
	s_delay_alu instid0(VALU_DEP_1)
	v_div_fixup_f32 v6, v6, v7, |v1|
	v_bfi_b32 v7, 0x7fffffff, v2, v1
.LBB241_340:
	s_or_b32 exec_lo, exec_lo, s42
                                        ; implicit-def: $vgpr1
                                        ; implicit-def: $vgpr2
	s_and_saveexec_b32 s3, s2
	s_delay_alu instid0(SALU_CYCLE_1)
	s_xor_b32 s2, exec_lo, s3
	s_cbranch_execz .LBB241_342
; %bb.341:
	v_dual_mul_f32 v1, 0.5, v6 :: v_dual_mul_f32 v8, 0.5, v7
	s_delay_alu instid0(VALU_DEP_1) | instskip(NEXT) | instid1(VALU_DEP_2)
	v_cndmask_b32_e64 v2, v6, v1, s41
	v_cndmask_b32_e64 v1, v7, v8, s41
                                        ; implicit-def: $vgpr6
                                        ; implicit-def: $vgpr7
	s_and_not1_saveexec_b32 s2, s2
	s_cbranch_execnz .LBB241_343
	s_branch .LBB241_344
.LBB241_342:
	s_and_not1_saveexec_b32 s2, s2
.LBB241_343:
	v_dual_add_f32 v2, v6, v6 :: v_dual_add_f32 v1, v7, v7
.LBB241_344:
	s_or_b32 exec_lo, exec_lo, s2
                                        ; implicit-def: $vgpr6
.LBB241_345:
	s_and_not1_saveexec_b32 s2, s40
	s_cbranch_execz .LBB241_351
; %bb.346:
	v_cmp_lt_i16_e32 vcc_lo, -1, v6
	v_sub_f32_e32 v6, v1, v1
	s_and_saveexec_b32 s3, vcc_lo
	s_delay_alu instid0(SALU_CYCLE_1)
	s_xor_b32 s3, exec_lo, s3
; %bb.347:
	s_delay_alu instid0(VALU_DEP_1)
	v_bfi_b32 v1, 0x7fffffff, v6, v1
                                        ; implicit-def: $vgpr6
; %bb.348:
	s_and_not1_saveexec_b32 s3, s3
; %bb.349:
	v_and_b32_e32 v6, 0x7fffffff, v6
	s_delay_alu instid0(VALU_DEP_2) | instskip(NEXT) | instid1(VALU_DEP_2)
	v_bfi_b32 v1, 0x7fffffff, v2, v1
	v_mov_b32_e32 v2, v6
; %bb.350:
	s_or_b32 exec_lo, exec_lo, s3
.LBB241_351:
	s_delay_alu instid0(SALU_CYCLE_1)
	s_or_b32 exec_lo, exec_lo, s2
.LBB241_352:
	s_and_not1_saveexec_b32 s2, s38
; %bb.353:
	v_sub_f32_e32 v1, v1, v1
	s_delay_alu instid0(VALU_DEP_1) | instskip(NEXT) | instid1(VALU_DEP_1)
	v_div_scale_f32 v6, vcc_lo, v1, v1, v1
	v_rcp_f32_e32 v7, v6
	s_waitcnt_depctr 0xfff
	v_fma_f32 v8, -v6, v7, 1.0
	s_delay_alu instid0(VALU_DEP_1) | instskip(NEXT) | instid1(VALU_DEP_1)
	v_fmac_f32_e32 v7, v8, v7
	v_mul_f32_e32 v8, v6, v7
	s_delay_alu instid0(VALU_DEP_1) | instskip(NEXT) | instid1(VALU_DEP_1)
	v_fma_f32 v9, -v6, v8, v6
	v_fmac_f32_e32 v8, v9, v7
	s_delay_alu instid0(VALU_DEP_1) | instskip(NEXT) | instid1(VALU_DEP_1)
	v_fma_f32 v6, -v6, v8, v6
	v_div_fmas_f32 v6, v6, v7, v8
	s_delay_alu instid0(VALU_DEP_1)
	v_div_fixup_f32 v1, v6, v1, v1
; %bb.354:
	s_or_b32 exec_lo, exec_lo, s2
.LBB241_355:
	s_delay_alu instid0(SALU_CYCLE_1)
	s_or_b32 exec_lo, exec_lo, s37
.LBB241_356:
	s_delay_alu instid0(SALU_CYCLE_1) | instskip(NEXT) | instid1(VALU_DEP_1)
	s_or_b32 exec_lo, exec_lo, s23
	v_cvt_f16_f32_e32 v8, v1
	v_cvt_f16_f32_e32 v2, v2
	v_and_b32_e32 v6, 0xff, v3
	v_add_co_u32 v0, s2, s4, v0
	s_delay_alu instid0(VALU_DEP_4) | instskip(NEXT) | instid1(VALU_DEP_4)
	v_lshlrev_b32_e32 v1, 16, v8
	v_and_b32_e32 v7, 0xffff, v2
	s_delay_alu instid0(VALU_DEP_4) | instskip(SKIP_2) | instid1(VALU_DEP_2)
	v_cmp_gt_i16_e32 vcc_lo, 11, v6
	s_mov_b32 s3, 0
	s_mov_b32 s23, -1
	v_or_b32_e32 v7, v1, v7
	v_add_co_ci_u32_e64 v1, null, s5, 0, s2
	s_mov_b32 s2, s34
	s_cbranch_vccnz .LBB241_363
; %bb.357:
	v_cmp_lt_i16_e32 vcc_lo, 25, v6
	s_cbranch_vccz .LBB241_403
; %bb.358:
	v_cmp_lt_i16_e32 vcc_lo, 28, v6
	s_cbranch_vccz .LBB241_404
; %bb.359:
	v_cmp_lt_i16_e32 vcc_lo, 43, v6
	s_cbranch_vccz .LBB241_405
; %bb.360:
	v_cmp_lt_i16_e32 vcc_lo, 45, v6
	s_cbranch_vccz .LBB241_413
; %bb.361:
	v_cmp_eq_u16_e32 vcc_lo, 46, v6
	s_mov_b32 s23, 0
	s_mov_b32 s2, -1
	s_cbranch_vccz .LBB241_414
; %bb.362:
	v_cvt_f32_f16_e32 v9, v8
	v_cvt_f32_f16_e32 v10, v2
	v_cmp_o_f16_e32 vcc_lo, v8, v8
	s_mov_b32 s3, -1
	s_mov_b32 s2, 0
	v_bfe_u32 v11, v9, 16, 1
	v_bfe_u32 v12, v10, 16, 1
	s_delay_alu instid0(VALU_DEP_2) | instskip(NEXT) | instid1(VALU_DEP_2)
	v_add3_u32 v9, v9, v11, 0x7fff
	v_add3_u32 v10, v10, v12, 0x7fff
	s_delay_alu instid0(VALU_DEP_2) | instskip(NEXT) | instid1(VALU_DEP_2)
	v_and_b32_e32 v9, 0xffff0000, v9
	v_lshrrev_b32_e32 v10, 16, v10
	s_delay_alu instid0(VALU_DEP_2) | instskip(SKIP_1) | instid1(VALU_DEP_3)
	v_cndmask_b32_e32 v9, 0x7fc00000, v9, vcc_lo
	v_cmp_o_f16_e32 vcc_lo, v2, v2
	v_cndmask_b32_e32 v10, 0x7fc0, v10, vcc_lo
	s_delay_alu instid0(VALU_DEP_1)
	v_or_b32_e32 v9, v9, v10
	global_store_b32 v[0:1], v9, off
	s_branch .LBB241_414
.LBB241_363:
	s_and_b32 vcc_lo, exec_lo, s23
	s_cbranch_vccz .LBB241_483
; %bb.364:
	v_cmp_gt_i16_e32 vcc_lo, 5, v6
	s_mov_b32 s3, -1
	s_cbranch_vccnz .LBB241_385
; %bb.365:
	v_cmp_gt_i16_e32 vcc_lo, 8, v6
	s_cbranch_vccnz .LBB241_375
; %bb.366:
	v_cmp_gt_i16_e32 vcc_lo, 9, v6
	s_cbranch_vccnz .LBB241_372
; %bb.367:
	v_cmp_lt_i16_e32 vcc_lo, 9, v6
	s_cbranch_vccz .LBB241_369
; %bb.368:
	v_cvt_f32_f16_e32 v9, v2
	v_cvt_f32_f16_e32 v11, v8
	s_mov_b32 s3, 0
	s_delay_alu instid0(VALU_DEP_2) | instskip(NEXT) | instid1(VALU_DEP_2)
	v_cvt_f64_f32_e32 v[9:10], v9
	v_cvt_f64_f32_e32 v[11:12], v11
	global_store_b128 v[0:1], v[9:12], off
.LBB241_369:
	s_and_not1_b32 vcc_lo, exec_lo, s3
	s_cbranch_vccnz .LBB241_371
; %bb.370:
	v_cvt_f32_f16_e32 v9, v2
	v_cvt_f32_f16_e32 v10, v8
	global_store_b64 v[0:1], v[9:10], off
.LBB241_371:
	s_mov_b32 s3, 0
.LBB241_372:
	s_delay_alu instid0(SALU_CYCLE_1)
	s_and_not1_b32 vcc_lo, exec_lo, s3
	s_cbranch_vccnz .LBB241_374
; %bb.373:
	global_store_b32 v[0:1], v7, off
.LBB241_374:
	s_mov_b32 s3, 0
.LBB241_375:
	s_delay_alu instid0(SALU_CYCLE_1)
	s_and_not1_b32 vcc_lo, exec_lo, s3
	s_cbranch_vccnz .LBB241_384
; %bb.376:
	v_cmp_gt_i16_e32 vcc_lo, 6, v6
	s_mov_b32 s3, -1
	s_cbranch_vccnz .LBB241_382
; %bb.377:
	v_cmp_lt_i16_e32 vcc_lo, 6, v6
	s_cbranch_vccz .LBB241_379
; %bb.378:
	v_cvt_f32_f16_e32 v7, v2
	s_mov_b32 s3, 0
	s_delay_alu instid0(VALU_DEP_1)
	v_cvt_f64_f32_e32 v[7:8], v7
	global_store_b64 v[0:1], v[7:8], off
.LBB241_379:
	s_and_not1_b32 vcc_lo, exec_lo, s3
	s_cbranch_vccnz .LBB241_381
; %bb.380:
	v_cvt_f32_f16_e32 v7, v2
	global_store_b32 v[0:1], v7, off
.LBB241_381:
	s_mov_b32 s3, 0
.LBB241_382:
	s_delay_alu instid0(SALU_CYCLE_1)
	s_and_not1_b32 vcc_lo, exec_lo, s3
	s_cbranch_vccnz .LBB241_384
; %bb.383:
	global_store_b16 v[0:1], v2, off
.LBB241_384:
	s_mov_b32 s3, 0
.LBB241_385:
	s_delay_alu instid0(SALU_CYCLE_1)
	s_and_not1_b32 vcc_lo, exec_lo, s3
	s_cbranch_vccnz .LBB241_401
; %bb.386:
	v_cmp_gt_i16_e32 vcc_lo, 2, v6
	s_mov_b32 s3, -1
	s_cbranch_vccnz .LBB241_396
; %bb.387:
	v_cmp_gt_i16_e32 vcc_lo, 3, v6
	s_cbranch_vccnz .LBB241_393
; %bb.388:
	v_cmp_lt_i16_e32 vcc_lo, 3, v6
	s_cbranch_vccz .LBB241_390
; %bb.389:
	v_cvt_f32_f16_e32 v7, v2
	s_mov_b32 s3, 0
	s_delay_alu instid0(VALU_DEP_1) | instskip(NEXT) | instid1(VALU_DEP_1)
	v_cvt_i32_f32_e32 v7, v7
	v_ashrrev_i32_e32 v8, 31, v7
	global_store_b64 v[0:1], v[7:8], off
.LBB241_390:
	s_and_not1_b32 vcc_lo, exec_lo, s3
	s_cbranch_vccnz .LBB241_392
; %bb.391:
	v_cvt_f32_f16_e32 v7, v2
	s_delay_alu instid0(VALU_DEP_1)
	v_cvt_i32_f32_e32 v7, v7
	global_store_b32 v[0:1], v7, off
.LBB241_392:
	s_mov_b32 s3, 0
.LBB241_393:
	s_delay_alu instid0(SALU_CYCLE_1)
	s_and_not1_b32 vcc_lo, exec_lo, s3
	s_cbranch_vccnz .LBB241_395
; %bb.394:
	v_cvt_i16_f16_e32 v7, v2
	global_store_b16 v[0:1], v7, off
.LBB241_395:
	s_mov_b32 s3, 0
.LBB241_396:
	s_delay_alu instid0(SALU_CYCLE_1)
	s_and_not1_b32 vcc_lo, exec_lo, s3
	s_cbranch_vccnz .LBB241_401
; %bb.397:
	v_cmp_lt_i16_e32 vcc_lo, 0, v6
	s_mov_b32 s3, -1
	s_cbranch_vccz .LBB241_399
; %bb.398:
	v_cvt_i16_f16_e32 v6, v2
	s_mov_b32 s3, 0
	global_store_b8 v[0:1], v6, off
.LBB241_399:
	s_and_not1_b32 vcc_lo, exec_lo, s3
	s_cbranch_vccnz .LBB241_401
; %bb.400:
	v_cvt_f32_f16_e32 v2, v2
	s_delay_alu instid0(VALU_DEP_1)
	v_cvt_i32_f32_e32 v2, v2
	global_store_b8 v[0:1], v2, off
.LBB241_401:
	s_branch .LBB241_484
.LBB241_402:
	s_mov_b32 s3, 0
	s_branch .LBB241_601
.LBB241_403:
	s_mov_b32 s2, s34
	s_branch .LBB241_441
.LBB241_404:
	s_mov_b32 s2, s34
	s_branch .LBB241_424
.LBB241_405:
	s_mov_b32 s2, s34
	s_branch .LBB241_420
.LBB241_406:
	s_or_saveexec_b32 s34, s34
                                        ; implicit-def: $sgpr35
	s_delay_alu instid0(SALU_CYCLE_1)
	s_xor_b32 exec_lo, exec_lo, s34
	s_cbranch_execz .LBB241_99
.LBB241_407:
	v_add_f32_e64 v10, 0x42800000, |v9|
	s_and_not1_b32 s23, s23, exec_lo
	s_mov_b32 s35, 0
	s_delay_alu instid0(VALU_DEP_1) | instskip(NEXT) | instid1(VALU_DEP_1)
	v_and_b32_e32 v10, 0xff, v10
	v_cmp_ne_u32_e32 vcc_lo, 0, v10
	s_and_b32 s38, vcc_lo, exec_lo
	s_delay_alu instid0(SALU_CYCLE_1)
	s_or_b32 s23, s23, s38
	s_or_b32 exec_lo, exec_lo, s34
	v_mov_b32_e32 v11, s35
	s_and_saveexec_b32 s34, s23
	s_cbranch_execnz .LBB241_100
	s_branch .LBB241_101
.LBB241_408:
	s_mov_b32 s22, -1
.LBB241_409:
                                        ; implicit-def: $vgpr7
                                        ; implicit-def: $vgpr6
.LBB241_410:
	s_and_b32 vcc_lo, exec_lo, s3
	s_cbranch_vccz .LBB241_487
; %bb.411:
	v_cmp_eq_u16_e32 vcc_lo, 44, v4
	s_cbranch_vccz .LBB241_485
; %bb.412:
	global_load_u8 v6, v[1:2], off
	s_mov_b32 s22, 0
	s_mov_b32 s2, -1
	s_waitcnt vmcnt(0)
	v_lshlrev_b32_e32 v7, 23, v6
	v_cmp_ne_u32_e32 vcc_lo, 0xff, v6
	s_delay_alu instid0(VALU_DEP_2) | instskip(NEXT) | instid1(VALU_DEP_1)
	v_cvt_f16_f32_e32 v7, v7
	v_cndmask_b32_e32 v7, 0x7e00, v7, vcc_lo
	v_cmp_ne_u32_e32 vcc_lo, 0, v6
	s_delay_alu instid0(VALU_DEP_2)
	v_cndmask_b32_e32 v6, 0, v7, vcc_lo
	s_branch .LBB241_486
.LBB241_413:
	s_mov_b32 s2, s34
.LBB241_414:
	s_and_b32 vcc_lo, exec_lo, s23
	s_cbranch_vccz .LBB241_419
; %bb.415:
	v_cmp_eq_u16_e32 vcc_lo, 44, v6
	s_mov_b32 s2, -1
	s_cbranch_vccz .LBB241_419
; %bb.416:
	v_cvt_f32_f16_e32 v9, v2
	v_mov_b32_e32 v10, 0xff
	s_mov_b32 s3, exec_lo
	s_delay_alu instid0(VALU_DEP_2) | instskip(NEXT) | instid1(VALU_DEP_1)
	v_bfe_u32 v11, v9, 23, 8
	v_cmpx_ne_u32_e32 0xff, v11
; %bb.417:
	v_and_b32_e32 v10, 0x400000, v9
	v_and_or_b32 v11, 0x3fffff, v9, v11
	v_lshrrev_b32_e32 v9, 23, v9
	s_delay_alu instid0(VALU_DEP_3) | instskip(NEXT) | instid1(VALU_DEP_3)
	v_cmp_ne_u32_e32 vcc_lo, 0, v10
	v_cmp_ne_u32_e64 s2, 0, v11
	s_delay_alu instid0(VALU_DEP_1) | instskip(NEXT) | instid1(SALU_CYCLE_1)
	s_and_b32 s2, vcc_lo, s2
	v_cndmask_b32_e64 v10, 0, 1, s2
	s_delay_alu instid0(VALU_DEP_1)
	v_add_nc_u32_e32 v10, v9, v10
; %bb.418:
	s_or_b32 exec_lo, exec_lo, s3
	s_mov_b32 s3, -1
	s_mov_b32 s2, 0
	global_store_b8 v[0:1], v10, off
.LBB241_419:
	s_mov_b32 s23, 0
.LBB241_420:
	s_delay_alu instid0(SALU_CYCLE_1)
	s_and_b32 vcc_lo, exec_lo, s23
	s_cbranch_vccz .LBB241_423
; %bb.421:
	v_cmp_eq_u16_e32 vcc_lo, 29, v6
	s_mov_b32 s2, -1
	s_cbranch_vccz .LBB241_423
; %bb.422:
	v_cvt_f32_f16_e32 v9, v2
	v_mov_b32_e32 v10, 0
	s_mov_b32 s2, 0
	s_mov_b32 s3, -1
	s_mov_b32 s23, 0
	v_cvt_u32_f32_e32 v9, v9
	global_store_b64 v[0:1], v[9:10], off
	s_branch .LBB241_424
.LBB241_423:
	s_mov_b32 s23, 0
.LBB241_424:
	s_delay_alu instid0(SALU_CYCLE_1)
	s_and_b32 vcc_lo, exec_lo, s23
	s_cbranch_vccz .LBB241_440
; %bb.425:
	v_cmp_gt_i16_e32 vcc_lo, 27, v6
	s_mov_b32 s3, -1
	s_cbranch_vccnz .LBB241_431
; %bb.426:
	v_cmp_lt_i16_e32 vcc_lo, 27, v6
	s_cbranch_vccz .LBB241_428
; %bb.427:
	v_cvt_f32_f16_e32 v9, v2
	s_mov_b32 s3, 0
	s_delay_alu instid0(VALU_DEP_1)
	v_cvt_u32_f32_e32 v9, v9
	global_store_b32 v[0:1], v9, off
.LBB241_428:
	s_and_not1_b32 vcc_lo, exec_lo, s3
	s_cbranch_vccnz .LBB241_430
; %bb.429:
	v_cvt_u16_f16_e32 v9, v2
	global_store_b16 v[0:1], v9, off
.LBB241_430:
	s_mov_b32 s3, 0
.LBB241_431:
	s_delay_alu instid0(SALU_CYCLE_1)
	s_and_not1_b32 vcc_lo, exec_lo, s3
	s_cbranch_vccnz .LBB241_439
; %bb.432:
	v_cvt_f32_f16_e32 v9, v2
	v_mov_b32_e32 v11, 0x80
	s_mov_b32 s3, exec_lo
	s_delay_alu instid0(VALU_DEP_2) | instskip(NEXT) | instid1(VALU_DEP_1)
	v_and_b32_e32 v10, 0x7fffffff, v9
	v_cmpx_gt_u32_e32 0x43800000, v10
	s_cbranch_execz .LBB241_438
; %bb.433:
	v_cmp_lt_u32_e32 vcc_lo, 0x3bffffff, v10
	s_mov_b32 s23, 0
                                        ; implicit-def: $vgpr10
	s_and_saveexec_b32 s37, vcc_lo
	s_delay_alu instid0(SALU_CYCLE_1)
	s_xor_b32 s37, exec_lo, s37
	s_cbranch_execz .LBB241_629
; %bb.434:
	v_bfe_u32 v10, v9, 20, 1
	s_mov_b32 s23, exec_lo
	s_delay_alu instid0(VALU_DEP_1) | instskip(NEXT) | instid1(VALU_DEP_1)
	v_add3_u32 v10, v9, v10, 0x487ffff
	v_lshrrev_b32_e32 v10, 20, v10
	s_or_saveexec_b32 s37, s37
                                        ; implicit-def: $sgpr38
	s_delay_alu instid0(SALU_CYCLE_1)
	s_xor_b32 exec_lo, exec_lo, s37
	s_cbranch_execnz .LBB241_630
.LBB241_435:
	s_or_b32 exec_lo, exec_lo, s37
	v_mov_b32_e32 v11, s38
	s_and_saveexec_b32 s37, s23
.LBB241_436:
	v_lshrrev_b32_e32 v9, 24, v9
	s_delay_alu instid0(VALU_DEP_1)
	v_and_or_b32 v11, 0x80, v9, v10
.LBB241_437:
	s_or_b32 exec_lo, exec_lo, s37
.LBB241_438:
	s_delay_alu instid0(SALU_CYCLE_1)
	s_or_b32 exec_lo, exec_lo, s3
	global_store_b8 v[0:1], v11, off
.LBB241_439:
	s_mov_b32 s3, -1
.LBB241_440:
	s_mov_b32 s23, 0
.LBB241_441:
	s_delay_alu instid0(SALU_CYCLE_1)
	s_and_b32 vcc_lo, exec_lo, s23
	s_cbranch_vccz .LBB241_482
; %bb.442:
	v_cmp_lt_i16_e32 vcc_lo, 22, v6
	s_mov_b32 s23, -1
	s_cbranch_vccz .LBB241_474
; %bb.443:
	v_cmp_gt_i16_e32 vcc_lo, 24, v6
	s_mov_b32 s3, -1
	s_cbranch_vccnz .LBB241_463
; %bb.444:
	v_cmp_lt_i16_e32 vcc_lo, 24, v6
	s_cbranch_vccz .LBB241_452
; %bb.445:
	v_cvt_f32_f16_e32 v9, v2
	v_mov_b32_e32 v11, 0x80
	s_mov_b32 s3, exec_lo
	s_delay_alu instid0(VALU_DEP_2) | instskip(NEXT) | instid1(VALU_DEP_1)
	v_and_b32_e32 v10, 0x7fffffff, v9
	v_cmpx_gt_u32_e32 0x47800000, v10
	s_cbranch_execz .LBB241_451
; %bb.446:
	v_cmp_lt_u32_e32 vcc_lo, 0x37ffffff, v10
	s_mov_b32 s23, 0
                                        ; implicit-def: $vgpr10
	s_and_saveexec_b32 s37, vcc_lo
	s_delay_alu instid0(SALU_CYCLE_1)
	s_xor_b32 s37, exec_lo, s37
	s_cbranch_execz .LBB241_632
; %bb.447:
	v_bfe_u32 v10, v9, 21, 1
	s_mov_b32 s23, exec_lo
	s_delay_alu instid0(VALU_DEP_1) | instskip(NEXT) | instid1(VALU_DEP_1)
	v_add3_u32 v10, v9, v10, 0x88fffff
	v_lshrrev_b32_e32 v10, 21, v10
	s_or_saveexec_b32 s37, s37
                                        ; implicit-def: $sgpr38
	s_delay_alu instid0(SALU_CYCLE_1)
	s_xor_b32 exec_lo, exec_lo, s37
	s_cbranch_execnz .LBB241_633
.LBB241_448:
	s_or_b32 exec_lo, exec_lo, s37
	v_mov_b32_e32 v11, s38
	s_and_saveexec_b32 s37, s23
.LBB241_449:
	v_lshrrev_b32_e32 v9, 24, v9
	s_delay_alu instid0(VALU_DEP_1)
	v_and_or_b32 v11, 0x80, v9, v10
.LBB241_450:
	s_or_b32 exec_lo, exec_lo, s37
.LBB241_451:
	s_delay_alu instid0(SALU_CYCLE_1)
	s_or_b32 exec_lo, exec_lo, s3
	s_mov_b32 s3, 0
	global_store_b8 v[0:1], v11, off
.LBB241_452:
	s_and_b32 vcc_lo, exec_lo, s3
	s_cbranch_vccz .LBB241_462
; %bb.453:
	v_cvt_f32_f16_e32 v9, v2
	s_mov_b32 s3, exec_lo
                                        ; implicit-def: $vgpr10
	s_delay_alu instid0(VALU_DEP_1) | instskip(NEXT) | instid1(VALU_DEP_1)
	v_and_b32_e32 v11, 0x7fffffff, v9
	v_cmpx_gt_u32_e32 0x43f00000, v11
	s_xor_b32 s3, exec_lo, s3
	s_cbranch_execz .LBB241_459
; %bb.454:
	s_mov_b32 s23, exec_lo
                                        ; implicit-def: $vgpr10
	v_cmpx_lt_u32_e32 0x3c7fffff, v11
	s_xor_b32 s23, exec_lo, s23
; %bb.455:
	v_bfe_u32 v10, v9, 20, 1
	s_delay_alu instid0(VALU_DEP_1) | instskip(NEXT) | instid1(VALU_DEP_1)
	v_add3_u32 v10, v9, v10, 0x407ffff
	v_and_b32_e32 v11, 0xff00000, v10
	v_lshrrev_b32_e32 v10, 20, v10
	s_delay_alu instid0(VALU_DEP_2) | instskip(NEXT) | instid1(VALU_DEP_2)
	v_cmp_ne_u32_e32 vcc_lo, 0x7f00000, v11
	v_cndmask_b32_e32 v10, 0x7e, v10, vcc_lo
; %bb.456:
	s_and_not1_saveexec_b32 s23, s23
; %bb.457:
	v_add_f32_e64 v10, 0x46800000, |v9|
; %bb.458:
	s_or_b32 exec_lo, exec_lo, s23
                                        ; implicit-def: $vgpr11
.LBB241_459:
	s_and_not1_saveexec_b32 s3, s3
; %bb.460:
	v_mov_b32_e32 v10, 0x7f
	v_cmp_lt_u32_e32 vcc_lo, 0x7f800000, v11
	s_delay_alu instid0(VALU_DEP_2)
	v_cndmask_b32_e32 v10, 0x7e, v10, vcc_lo
; %bb.461:
	s_or_b32 exec_lo, exec_lo, s3
	v_lshrrev_b32_e32 v9, 24, v9
	s_delay_alu instid0(VALU_DEP_1)
	v_and_or_b32 v9, 0x80, v9, v10
	global_store_b8 v[0:1], v9, off
.LBB241_462:
	s_mov_b32 s3, 0
.LBB241_463:
	s_delay_alu instid0(SALU_CYCLE_1)
	s_and_not1_b32 vcc_lo, exec_lo, s3
	s_cbranch_vccnz .LBB241_473
; %bb.464:
	v_cvt_f32_f16_e32 v9, v2
	s_mov_b32 s3, exec_lo
                                        ; implicit-def: $vgpr10
	s_delay_alu instid0(VALU_DEP_1) | instskip(NEXT) | instid1(VALU_DEP_1)
	v_and_b32_e32 v11, 0x7fffffff, v9
	v_cmpx_gt_u32_e32 0x47800000, v11
	s_xor_b32 s3, exec_lo, s3
	s_cbranch_execz .LBB241_470
; %bb.465:
	s_mov_b32 s23, exec_lo
                                        ; implicit-def: $vgpr10
	v_cmpx_lt_u32_e32 0x387fffff, v11
	s_xor_b32 s23, exec_lo, s23
; %bb.466:
	v_bfe_u32 v10, v9, 21, 1
	s_delay_alu instid0(VALU_DEP_1) | instskip(NEXT) | instid1(VALU_DEP_1)
	v_add3_u32 v10, v9, v10, 0x80fffff
	v_lshrrev_b32_e32 v10, 21, v10
; %bb.467:
	s_and_not1_saveexec_b32 s23, s23
; %bb.468:
	v_add_f32_e64 v10, 0x43000000, |v9|
; %bb.469:
	s_or_b32 exec_lo, exec_lo, s23
                                        ; implicit-def: $vgpr11
.LBB241_470:
	s_and_not1_saveexec_b32 s3, s3
; %bb.471:
	v_mov_b32_e32 v10, 0x7f
	v_cmp_lt_u32_e32 vcc_lo, 0x7f800000, v11
	s_delay_alu instid0(VALU_DEP_2)
	v_cndmask_b32_e32 v10, 0x7c, v10, vcc_lo
; %bb.472:
	s_or_b32 exec_lo, exec_lo, s3
	v_lshrrev_b32_e32 v9, 24, v9
	s_delay_alu instid0(VALU_DEP_1)
	v_and_or_b32 v9, 0x80, v9, v10
	global_store_b8 v[0:1], v9, off
.LBB241_473:
	s_mov_b32 s23, 0
	s_mov_b32 s3, -1
.LBB241_474:
	s_and_not1_b32 vcc_lo, exec_lo, s23
	s_cbranch_vccnz .LBB241_482
; %bb.475:
	v_cmp_lt_i16_e32 vcc_lo, 14, v6
	s_mov_b32 s23, -1
	s_cbranch_vccz .LBB241_479
; %bb.476:
	v_cmp_eq_u16_e32 vcc_lo, 15, v6
	s_mov_b32 s2, -1
	s_cbranch_vccz .LBB241_478
; %bb.477:
	v_cvt_f32_f16_e32 v9, v2
	v_cmp_o_f16_e32 vcc_lo, v2, v2
	s_mov_b32 s3, -1
	s_mov_b32 s2, 0
	s_delay_alu instid0(VALU_DEP_2) | instskip(NEXT) | instid1(VALU_DEP_1)
	v_bfe_u32 v10, v9, 16, 1
	v_add3_u32 v9, v9, v10, 0x7fff
	s_delay_alu instid0(VALU_DEP_1) | instskip(NEXT) | instid1(VALU_DEP_1)
	v_lshrrev_b32_e32 v9, 16, v9
	v_cndmask_b32_e32 v9, 0x7fc0, v9, vcc_lo
	global_store_b16 v[0:1], v9, off
.LBB241_478:
	s_mov_b32 s23, 0
.LBB241_479:
	s_delay_alu instid0(SALU_CYCLE_1)
	s_and_b32 vcc_lo, exec_lo, s23
	s_cbranch_vccz .LBB241_482
; %bb.480:
	v_cmp_eq_u16_e32 vcc_lo, 11, v6
	s_mov_b32 s2, -1
	s_cbranch_vccz .LBB241_482
; %bb.481:
	v_and_b32_e32 v9, 0x7fff7fff, v7
	s_mov_b32 s2, 0
	s_mov_b32 s3, -1
	s_delay_alu instid0(VALU_DEP_1)
	v_cmp_ne_u32_e32 vcc_lo, 0, v9
	v_cndmask_b32_e64 v9, 0, 1, vcc_lo
	global_store_b8 v[0:1], v9, off
.LBB241_482:
.LBB241_483:
	s_and_not1_b32 vcc_lo, exec_lo, s3
	s_cbranch_vccnz .LBB241_402
.LBB241_484:
	v_add_nc_u32_e32 v5, 0x80, v5
	s_mov_b32 s3, -1
	s_branch .LBB241_602
.LBB241_485:
	s_mov_b32 s22, -1
                                        ; implicit-def: $vgpr6
.LBB241_486:
	s_delay_alu instid0(SALU_CYCLE_1)
	v_mov_b32_e32 v7, s22
.LBB241_487:
	s_mov_b32 s3, 0
.LBB241_488:
	s_delay_alu instid0(SALU_CYCLE_1)
	s_and_b32 vcc_lo, exec_lo, s3
	s_cbranch_vccz .LBB241_493
; %bb.489:
	v_cmp_eq_u16_e32 vcc_lo, 29, v4
	s_cbranch_vccz .LBB241_491
; %bb.490:
	global_load_b64 v[6:7], v[1:2], off
	s_mov_b32 s2, -1
	s_mov_b32 s22, 0
	s_mov_b32 s3, 0
	s_waitcnt vmcnt(0)
	v_clz_i32_u32_e32 v8, v7
	s_delay_alu instid0(VALU_DEP_1) | instskip(NEXT) | instid1(VALU_DEP_1)
	v_min_u32_e32 v8, 32, v8
	v_lshlrev_b64 v[6:7], v8, v[6:7]
	s_delay_alu instid0(VALU_DEP_1) | instskip(NEXT) | instid1(VALU_DEP_1)
	v_min_u32_e32 v6, 1, v6
	v_or_b32_e32 v6, v7, v6
	v_sub_nc_u32_e32 v7, 32, v8
	s_delay_alu instid0(VALU_DEP_2) | instskip(NEXT) | instid1(VALU_DEP_1)
	v_cvt_f32_u32_e32 v6, v6
	v_ldexp_f32 v6, v6, v7
	s_delay_alu instid0(VALU_DEP_1)
	v_cvt_f16_f32_e32 v6, v6
	s_branch .LBB241_492
.LBB241_491:
	s_mov_b32 s22, -1
                                        ; implicit-def: $sgpr3
                                        ; implicit-def: $vgpr6
.LBB241_492:
	v_mov_b32_e32 v7, s3
.LBB241_493:
	s_mov_b32 s3, 0
.LBB241_494:
	s_delay_alu instid0(SALU_CYCLE_1)
	s_and_b32 vcc_lo, exec_lo, s3
	s_cbranch_vccz .LBB241_514
; %bb.495:
	v_cmp_gt_i16_e32 vcc_lo, 27, v4
	s_cbranch_vccnz .LBB241_498
; %bb.496:
	v_cmp_lt_i16_e32 vcc_lo, 27, v4
	s_cbranch_vccz .LBB241_499
; %bb.497:
	global_load_b32 v6, v[1:2], off
	s_mov_b32 s3, 0
	s_mov_b32 s2, 0
	s_waitcnt vmcnt(0)
	v_cvt_f32_u32_e32 v6, v6
	s_delay_alu instid0(VALU_DEP_1)
	v_cvt_f16_f32_e32 v6, v6
	s_branch .LBB241_500
.LBB241_498:
	s_mov_b32 s3, -1
                                        ; implicit-def: $sgpr2
                                        ; implicit-def: $vgpr6
	s_branch .LBB241_503
.LBB241_499:
	s_mov_b32 s3, -1
                                        ; implicit-def: $sgpr2
                                        ; implicit-def: $vgpr6
.LBB241_500:
	s_delay_alu instid0(SALU_CYCLE_1)
	s_and_not1_b32 vcc_lo, exec_lo, s3
	s_cbranch_vccnz .LBB241_502
; %bb.501:
	global_load_u16 v6, v[1:2], off
	s_mov_b32 s2, 0
	s_waitcnt vmcnt(0)
	v_cvt_f16_u16_e32 v6, v6
.LBB241_502:
	s_mov_b32 s3, 0
.LBB241_503:
	v_mov_b32_e32 v7, s2
	s_and_not1_b32 vcc_lo, exec_lo, s3
	s_cbranch_vccnz .LBB241_513
; %bb.504:
	global_load_u8 v8, v[1:2], off
	s_mov_b32 s2, 0
	s_mov_b32 s37, exec_lo
                                        ; implicit-def: $sgpr23
                                        ; implicit-def: $sgpr3
	s_waitcnt vmcnt(0)
	v_cmpx_lt_i16_e32 0x7f, v8
	s_xor_b32 s37, exec_lo, s37
	s_cbranch_execz .LBB241_508
; %bb.505:
	s_mov_b32 s2, -1
	s_mov_b32 s38, exec_lo
                                        ; implicit-def: $sgpr23
                                        ; implicit-def: $sgpr3
	v_cmpx_eq_u16_e32 0x80, v8
; %bb.506:
	s_movk_i32 s3, 0x7e00
	s_mov_b32 s23, 0
	s_xor_b32 s2, exec_lo, -1
; %bb.507:
	s_or_b32 exec_lo, exec_lo, s38
	s_delay_alu instid0(SALU_CYCLE_1)
	s_and_b32 s2, s2, exec_lo
.LBB241_508:
	s_or_saveexec_b32 s37, s37
	v_dual_mov_b32 v7, s23 :: v_dual_mov_b32 v6, s3
	s_xor_b32 exec_lo, exec_lo, s37
; %bb.509:
	v_cmp_ne_u16_e32 vcc_lo, 0, v8
	v_dual_mov_b32 v7, 0 :: v_dual_mov_b32 v6, v8
	s_and_not1_b32 s2, s2, exec_lo
	s_and_b32 s3, vcc_lo, exec_lo
	s_delay_alu instid0(SALU_CYCLE_1)
	s_or_b32 s2, s2, s3
; %bb.510:
	s_or_b32 exec_lo, exec_lo, s37
	s_and_saveexec_b32 s3, s2
	s_cbranch_execz .LBB241_512
; %bb.511:
	v_and_b32_e32 v6, 0xffff, v8
	v_lshlrev_b32_e32 v8, 24, v8
	s_delay_alu instid0(VALU_DEP_2) | instskip(NEXT) | instid1(VALU_DEP_2)
	v_and_b32_e32 v7, 7, v6
	v_and_b32_e32 v8, 0x80000000, v8
	s_delay_alu instid0(VALU_DEP_2) | instskip(NEXT) | instid1(VALU_DEP_1)
	v_clz_i32_u32_e32 v9, v7
	v_min_u32_e32 v9, 32, v9
	s_delay_alu instid0(VALU_DEP_1) | instskip(SKIP_1) | instid1(VALU_DEP_2)
	v_subrev_nc_u32_e32 v10, 28, v9
	v_sub_nc_u32_e32 v9, 29, v9
	v_lshlrev_b32_e32 v10, v10, v6
	v_bfe_u32 v6, v6, 3, 4
	s_delay_alu instid0(VALU_DEP_2) | instskip(NEXT) | instid1(VALU_DEP_2)
	v_and_b32_e32 v10, 7, v10
	v_cmp_eq_u32_e32 vcc_lo, 0, v6
	s_delay_alu instid0(VALU_DEP_2) | instskip(NEXT) | instid1(VALU_DEP_1)
	v_dual_cndmask_b32 v6, v6, v9 :: v_dual_cndmask_b32 v7, v7, v10
	v_lshl_add_u32 v6, v6, 23, 0x3b800000
	s_delay_alu instid0(VALU_DEP_2) | instskip(NEXT) | instid1(VALU_DEP_1)
	v_lshlrev_b32_e32 v7, 20, v7
	v_or3_b32 v6, v8, v6, v7
	v_mov_b32_e32 v7, 0
	s_delay_alu instid0(VALU_DEP_2)
	v_cvt_f16_f32_e32 v6, v6
.LBB241_512:
	s_or_b32 exec_lo, exec_lo, s3
.LBB241_513:
	s_mov_b32 s2, -1
.LBB241_514:
	s_mov_b32 s3, 0
.LBB241_515:
	s_delay_alu instid0(SALU_CYCLE_1)
	s_and_b32 vcc_lo, exec_lo, s3
	s_cbranch_vccz .LBB241_549
; %bb.516:
	v_cmp_lt_i16_e32 vcc_lo, 22, v4
	s_cbranch_vccz .LBB241_528
; %bb.517:
	v_cmp_gt_i16_e32 vcc_lo, 24, v4
	s_cbranch_vccnz .LBB241_529
; %bb.518:
	v_cmp_lt_i16_e32 vcc_lo, 24, v4
	s_cbranch_vccz .LBB241_530
; %bb.519:
	global_load_u8 v8, v[1:2], off
	s_mov_b32 s2, 0
	s_mov_b32 s37, exec_lo
                                        ; implicit-def: $sgpr23
                                        ; implicit-def: $sgpr3
	s_waitcnt vmcnt(0)
	v_cmpx_lt_i16_e32 0x7f, v8
	s_xor_b32 s37, exec_lo, s37
	s_cbranch_execz .LBB241_523
; %bb.520:
	s_mov_b32 s2, -1
	s_mov_b32 s38, exec_lo
                                        ; implicit-def: $sgpr23
                                        ; implicit-def: $sgpr3
	v_cmpx_eq_u16_e32 0x80, v8
; %bb.521:
	s_movk_i32 s3, 0x7e00
	s_mov_b32 s23, 0
	s_xor_b32 s2, exec_lo, -1
; %bb.522:
	s_or_b32 exec_lo, exec_lo, s38
	s_delay_alu instid0(SALU_CYCLE_1)
	s_and_b32 s2, s2, exec_lo
.LBB241_523:
	s_or_saveexec_b32 s37, s37
	v_dual_mov_b32 v7, s23 :: v_dual_mov_b32 v6, s3
	s_xor_b32 exec_lo, exec_lo, s37
; %bb.524:
	v_cmp_ne_u16_e32 vcc_lo, 0, v8
	v_dual_mov_b32 v7, 0 :: v_dual_mov_b32 v6, v8
	s_and_not1_b32 s2, s2, exec_lo
	s_and_b32 s3, vcc_lo, exec_lo
	s_delay_alu instid0(SALU_CYCLE_1)
	s_or_b32 s2, s2, s3
; %bb.525:
	s_or_b32 exec_lo, exec_lo, s37
	s_and_saveexec_b32 s3, s2
	s_cbranch_execz .LBB241_527
; %bb.526:
	v_and_b32_e32 v6, 0xffff, v8
	v_lshlrev_b32_e32 v8, 24, v8
	s_delay_alu instid0(VALU_DEP_2) | instskip(NEXT) | instid1(VALU_DEP_2)
	v_and_b32_e32 v7, 3, v6
	v_and_b32_e32 v8, 0x80000000, v8
	s_delay_alu instid0(VALU_DEP_2) | instskip(NEXT) | instid1(VALU_DEP_1)
	v_clz_i32_u32_e32 v9, v7
	v_min_u32_e32 v9, 32, v9
	s_delay_alu instid0(VALU_DEP_1) | instskip(SKIP_1) | instid1(VALU_DEP_2)
	v_subrev_nc_u32_e32 v10, 29, v9
	v_sub_nc_u32_e32 v9, 30, v9
	v_lshlrev_b32_e32 v10, v10, v6
	v_bfe_u32 v6, v6, 2, 5
	s_delay_alu instid0(VALU_DEP_2) | instskip(NEXT) | instid1(VALU_DEP_2)
	v_and_b32_e32 v10, 3, v10
	v_cmp_eq_u32_e32 vcc_lo, 0, v6
	s_delay_alu instid0(VALU_DEP_2) | instskip(NEXT) | instid1(VALU_DEP_1)
	v_dual_cndmask_b32 v6, v6, v9 :: v_dual_cndmask_b32 v7, v7, v10
	v_lshl_add_u32 v6, v6, 23, 0x37800000
	s_delay_alu instid0(VALU_DEP_2) | instskip(NEXT) | instid1(VALU_DEP_1)
	v_lshlrev_b32_e32 v7, 21, v7
	v_or3_b32 v6, v8, v6, v7
	v_mov_b32_e32 v7, 0
	s_delay_alu instid0(VALU_DEP_2)
	v_cvt_f16_f32_e32 v6, v6
.LBB241_527:
	s_or_b32 exec_lo, exec_lo, s3
	s_mov_b32 s2, 0
	s_branch .LBB241_531
.LBB241_528:
	s_mov_b32 s3, -1
                                        ; implicit-def: $vgpr7
                                        ; implicit-def: $vgpr6
	s_branch .LBB241_537
.LBB241_529:
	s_mov_b32 s2, -1
                                        ; implicit-def: $vgpr7
                                        ; implicit-def: $vgpr6
	s_branch .LBB241_534
.LBB241_530:
	s_mov_b32 s2, -1
                                        ; implicit-def: $vgpr7
                                        ; implicit-def: $vgpr6
.LBB241_531:
	s_delay_alu instid0(SALU_CYCLE_1)
	s_and_b32 vcc_lo, exec_lo, s2
	s_cbranch_vccz .LBB241_533
; %bb.532:
	global_load_u8 v6, v[1:2], off
	s_waitcnt vmcnt(0)
	v_lshlrev_b32_e32 v6, 24, v6
	s_delay_alu instid0(VALU_DEP_1) | instskip(NEXT) | instid1(VALU_DEP_1)
	v_and_b32_e32 v7, 0x7f000000, v6
	v_clz_i32_u32_e32 v8, v7
	v_add_nc_u32_e32 v10, 0x1000000, v7
	v_cmp_ne_u32_e32 vcc_lo, 0, v7
	s_delay_alu instid0(VALU_DEP_3) | instskip(NEXT) | instid1(VALU_DEP_1)
	v_min_u32_e32 v8, 32, v8
	v_sub_nc_u32_e64 v8, v8, 4 clamp
	s_delay_alu instid0(VALU_DEP_1) | instskip(SKIP_1) | instid1(VALU_DEP_2)
	v_lshlrev_b32_e32 v9, v8, v7
	v_lshlrev_b32_e32 v8, 23, v8
	v_lshrrev_b32_e32 v9, 4, v9
	s_delay_alu instid0(VALU_DEP_1) | instskip(SKIP_1) | instid1(VALU_DEP_2)
	v_sub_nc_u32_e32 v8, v9, v8
	v_ashrrev_i32_e32 v9, 8, v10
	v_add_nc_u32_e32 v8, 0x3c000000, v8
	s_delay_alu instid0(VALU_DEP_1) | instskip(NEXT) | instid1(VALU_DEP_1)
	v_and_or_b32 v8, 0x7f800000, v9, v8
	v_cndmask_b32_e32 v7, 0, v8, vcc_lo
	s_delay_alu instid0(VALU_DEP_1) | instskip(SKIP_1) | instid1(VALU_DEP_2)
	v_and_or_b32 v6, 0x80000000, v6, v7
	v_mov_b32_e32 v7, 0
	v_cvt_f16_f32_e32 v6, v6
.LBB241_533:
	s_mov_b32 s2, 0
.LBB241_534:
	s_delay_alu instid0(SALU_CYCLE_1)
	s_and_not1_b32 vcc_lo, exec_lo, s2
	s_cbranch_vccnz .LBB241_536
; %bb.535:
	global_load_u8 v6, v[1:2], off
	s_waitcnt vmcnt(0)
	v_lshlrev_b32_e32 v7, 25, v6
	v_lshlrev_b16 v6, 8, v6
	s_delay_alu instid0(VALU_DEP_2) | instskip(NEXT) | instid1(VALU_DEP_2)
	v_lshrrev_b32_e32 v8, 4, v7
	v_and_or_b32 v9, 0x7f00, v6, 0.5
	v_bfe_i32 v6, v6, 0, 16
	s_delay_alu instid0(VALU_DEP_3) | instskip(NEXT) | instid1(VALU_DEP_1)
	v_or_b32_e32 v8, 0x70000000, v8
	v_dual_add_f32 v9, -0.5, v9 :: v_dual_mul_f32 v8, 0x7800000, v8
	v_cmp_gt_u32_e32 vcc_lo, 0x8000000, v7
	s_delay_alu instid0(VALU_DEP_2) | instskip(NEXT) | instid1(VALU_DEP_1)
	v_cndmask_b32_e32 v7, v8, v9, vcc_lo
	v_and_or_b32 v6, 0x80000000, v6, v7
	v_mov_b32_e32 v7, 0
	s_delay_alu instid0(VALU_DEP_2)
	v_cvt_f16_f32_e32 v6, v6
.LBB241_536:
	s_mov_b32 s3, 0
	s_mov_b32 s2, -1
.LBB241_537:
	s_and_not1_b32 vcc_lo, exec_lo, s3
	s_cbranch_vccnz .LBB241_549
; %bb.538:
	v_cmp_lt_i16_e32 vcc_lo, 14, v4
	s_cbranch_vccz .LBB241_541
; %bb.539:
	v_cmp_eq_u16_e32 vcc_lo, 15, v4
	s_cbranch_vccz .LBB241_542
; %bb.540:
	global_load_u16 v6, v[1:2], off
	s_mov_b32 s2, -1
	s_mov_b32 s22, 0
	s_mov_b32 s3, 0
	s_waitcnt vmcnt(0)
	v_lshlrev_b32_e32 v6, 16, v6
	s_delay_alu instid0(VALU_DEP_1)
	v_cvt_f16_f32_e32 v6, v6
	s_branch .LBB241_543
.LBB241_541:
	s_mov_b32 s23, -1
                                        ; implicit-def: $sgpr3
                                        ; implicit-def: $vgpr6
	s_branch .LBB241_544
.LBB241_542:
	s_mov_b32 s22, -1
                                        ; implicit-def: $sgpr3
                                        ; implicit-def: $vgpr6
.LBB241_543:
	s_mov_b32 s23, 0
.LBB241_544:
	s_delay_alu instid0(SALU_CYCLE_1)
	s_and_b32 vcc_lo, exec_lo, s23
	s_cbranch_vccz .LBB241_548
; %bb.545:
	v_cmp_eq_u16_e32 vcc_lo, 11, v4
	s_cbranch_vccz .LBB241_547
; %bb.546:
	global_load_u8 v6, v[1:2], off
	s_mov_b32 s3, 0
	s_mov_b32 s2, -1
	s_mov_b32 s22, 0
	s_waitcnt vmcnt(0)
	v_cmp_ne_u16_e32 vcc_lo, 0, v6
	v_cndmask_b32_e64 v6, 0, 0x3c00, vcc_lo
	s_branch .LBB241_548
.LBB241_547:
	s_mov_b32 s22, -1
                                        ; implicit-def: $sgpr3
                                        ; implicit-def: $vgpr6
.LBB241_548:
	v_mov_b32_e32 v7, s3
.LBB241_549:
	s_branch .LBB241_321
.LBB241_550:
	v_cmp_gt_i16_e32 vcc_lo, 5, v4
	s_cbranch_vccnz .LBB241_555
; %bb.551:
	v_cmp_gt_i16_e32 vcc_lo, 8, v4
	s_cbranch_vccnz .LBB241_556
; %bb.552:
	;; [unrolled: 3-line block ×3, first 2 shown]
	v_cmp_lt_i16_e32 vcc_lo, 9, v4
	s_cbranch_vccz .LBB241_558
; %bb.554:
	global_load_b128 v[6:9], v[1:2], off
	s_mov_b32 s2, 0
	s_waitcnt vmcnt(0)
	v_cvt_f32_f64_e32 v6, v[6:7]
	v_cvt_f32_f64_e32 v7, v[8:9]
	s_delay_alu instid0(VALU_DEP_2) | instskip(NEXT) | instid1(VALU_DEP_2)
	v_cvt_f16_f32_e32 v6, v6
	v_cvt_f16_f32_e32 v7, v7
	s_branch .LBB241_559
.LBB241_555:
	s_mov_b32 s2, -1
                                        ; implicit-def: $vgpr7
                                        ; implicit-def: $vgpr6
	s_branch .LBB241_578
.LBB241_556:
	s_mov_b32 s2, -1
                                        ; implicit-def: $vgpr7
                                        ; implicit-def: $vgpr6
	s_branch .LBB241_565
.LBB241_557:
	s_mov_b32 s2, -1
                                        ; implicit-def: $vgpr7
                                        ; implicit-def: $vgpr6
	s_branch .LBB241_562
.LBB241_558:
	s_mov_b32 s2, -1
                                        ; implicit-def: $vgpr7
                                        ; implicit-def: $vgpr6
.LBB241_559:
	s_delay_alu instid0(SALU_CYCLE_1)
	s_and_not1_b32 vcc_lo, exec_lo, s2
	s_cbranch_vccnz .LBB241_561
; %bb.560:
	global_load_b64 v[6:7], v[1:2], off
	s_waitcnt vmcnt(0)
	v_cvt_f16_f32_e32 v6, v6
	v_cvt_f16_f32_e32 v7, v7
.LBB241_561:
	s_mov_b32 s2, 0
.LBB241_562:
	s_delay_alu instid0(SALU_CYCLE_1)
	s_and_not1_b32 vcc_lo, exec_lo, s2
	s_cbranch_vccnz .LBB241_564
; %bb.563:
	global_load_b32 v6, v[1:2], off
	s_waitcnt vmcnt(0)
	v_lshrrev_b32_e32 v7, 16, v6
.LBB241_564:
	s_mov_b32 s2, 0
.LBB241_565:
	s_delay_alu instid0(SALU_CYCLE_1)
	s_and_not1_b32 vcc_lo, exec_lo, s2
	s_cbranch_vccnz .LBB241_577
; %bb.566:
	v_cmp_gt_i16_e32 vcc_lo, 6, v4
	s_cbranch_vccnz .LBB241_569
; %bb.567:
	v_cmp_lt_i16_e32 vcc_lo, 6, v4
	s_cbranch_vccz .LBB241_570
; %bb.568:
	global_load_b64 v[6:7], v[1:2], off
	s_mov_b32 s3, 0
	s_mov_b32 s2, 0
	s_waitcnt vmcnt(0)
	v_cvt_f32_f64_e32 v6, v[6:7]
	s_delay_alu instid0(VALU_DEP_1)
	v_cvt_f16_f32_e32 v6, v6
	s_branch .LBB241_571
.LBB241_569:
	s_mov_b32 s3, -1
                                        ; implicit-def: $sgpr2
                                        ; implicit-def: $vgpr6
	s_branch .LBB241_574
.LBB241_570:
	s_mov_b32 s3, -1
                                        ; implicit-def: $sgpr2
                                        ; implicit-def: $vgpr6
.LBB241_571:
	s_delay_alu instid0(SALU_CYCLE_1)
	s_and_not1_b32 vcc_lo, exec_lo, s3
	s_cbranch_vccnz .LBB241_573
; %bb.572:
	global_load_b32 v6, v[1:2], off
	s_mov_b32 s2, 0
	s_waitcnt vmcnt(0)
	v_cvt_f16_f32_e32 v6, v6
.LBB241_573:
	s_mov_b32 s3, 0
.LBB241_574:
	s_delay_alu instid0(SALU_CYCLE_1)
	s_and_not1_b32 vcc_lo, exec_lo, s3
	s_cbranch_vccnz .LBB241_576
; %bb.575:
	global_load_u16 v6, v[1:2], off
	s_mov_b32 s2, 0
.LBB241_576:
	s_delay_alu instid0(SALU_CYCLE_1)
	v_mov_b32_e32 v7, s2
.LBB241_577:
	s_mov_b32 s2, 0
.LBB241_578:
	s_delay_alu instid0(SALU_CYCLE_1)
	s_and_not1_b32 vcc_lo, exec_lo, s2
	s_cbranch_vccnz .LBB241_599
; %bb.579:
	v_cmp_gt_i16_e32 vcc_lo, 2, v4
	s_cbranch_vccnz .LBB241_583
; %bb.580:
	v_cmp_gt_i16_e32 vcc_lo, 3, v4
	s_cbranch_vccnz .LBB241_584
; %bb.581:
	v_cmp_lt_i16_e32 vcc_lo, 3, v4
	s_cbranch_vccz .LBB241_585
; %bb.582:
	global_load_b64 v[6:7], v[1:2], off
	s_mov_b32 s3, 0
	s_mov_b32 s2, 0
	s_waitcnt vmcnt(0)
	v_xor_b32_e32 v8, v6, v7
	v_cls_i32_e32 v9, v7
	s_delay_alu instid0(VALU_DEP_2) | instskip(NEXT) | instid1(VALU_DEP_2)
	v_ashrrev_i32_e32 v8, 31, v8
	v_add_nc_u32_e32 v9, -1, v9
	s_delay_alu instid0(VALU_DEP_2) | instskip(NEXT) | instid1(VALU_DEP_1)
	v_add_nc_u32_e32 v8, 32, v8
	v_min_u32_e32 v8, v9, v8
	s_delay_alu instid0(VALU_DEP_1) | instskip(NEXT) | instid1(VALU_DEP_1)
	v_lshlrev_b64 v[6:7], v8, v[6:7]
	v_min_u32_e32 v6, 1, v6
	s_delay_alu instid0(VALU_DEP_1) | instskip(SKIP_1) | instid1(VALU_DEP_2)
	v_or_b32_e32 v6, v7, v6
	v_sub_nc_u32_e32 v7, 32, v8
	v_cvt_f32_i32_e32 v6, v6
	s_delay_alu instid0(VALU_DEP_1) | instskip(NEXT) | instid1(VALU_DEP_1)
	v_ldexp_f32 v6, v6, v7
	v_cvt_f16_f32_e32 v6, v6
	s_branch .LBB241_586
.LBB241_583:
	s_mov_b32 s3, -1
                                        ; implicit-def: $sgpr2
                                        ; implicit-def: $vgpr6
	s_branch .LBB241_592
.LBB241_584:
	s_mov_b32 s3, -1
                                        ; implicit-def: $sgpr2
                                        ; implicit-def: $vgpr6
	s_branch .LBB241_589
.LBB241_585:
	s_mov_b32 s3, -1
                                        ; implicit-def: $sgpr2
                                        ; implicit-def: $vgpr6
.LBB241_586:
	s_delay_alu instid0(SALU_CYCLE_1)
	s_and_not1_b32 vcc_lo, exec_lo, s3
	s_cbranch_vccnz .LBB241_588
; %bb.587:
	global_load_b32 v6, v[1:2], off
	s_mov_b32 s2, 0
	s_waitcnt vmcnt(0)
	v_cvt_f32_i32_e32 v6, v6
	s_delay_alu instid0(VALU_DEP_1)
	v_cvt_f16_f32_e32 v6, v6
.LBB241_588:
	s_mov_b32 s3, 0
.LBB241_589:
	s_delay_alu instid0(SALU_CYCLE_1)
	s_and_not1_b32 vcc_lo, exec_lo, s3
	s_cbranch_vccnz .LBB241_591
; %bb.590:
	global_load_u16 v6, v[1:2], off
	s_mov_b32 s2, 0
	s_waitcnt vmcnt(0)
	v_cvt_f16_i16_e32 v6, v6
.LBB241_591:
	s_mov_b32 s3, 0
.LBB241_592:
	s_delay_alu instid0(SALU_CYCLE_1)
	s_and_not1_b32 vcc_lo, exec_lo, s3
	s_cbranch_vccnz .LBB241_598
; %bb.593:
	v_cmp_lt_i16_e32 vcc_lo, 0, v4
	s_mov_b32 s3, 0
	s_cbranch_vccz .LBB241_595
; %bb.594:
	global_load_i8 v6, v[1:2], off
	s_mov_b32 s2, 0
	s_waitcnt vmcnt(0)
	v_cvt_f16_i16_e32 v6, v6
	s_branch .LBB241_596
.LBB241_595:
	s_mov_b32 s3, -1
                                        ; implicit-def: $sgpr2
                                        ; implicit-def: $vgpr6
.LBB241_596:
	s_delay_alu instid0(SALU_CYCLE_1)
	s_and_not1_b32 vcc_lo, exec_lo, s3
	s_cbranch_vccnz .LBB241_598
; %bb.597:
	global_load_u8 v1, v[1:2], off
	s_mov_b32 s2, 0
	s_waitcnt vmcnt(0)
	v_cvt_f16_u16_e32 v6, v1
.LBB241_598:
	v_mov_b32_e32 v7, s2
.LBB241_599:
	s_branch .LBB241_322
.LBB241_600:
	s_mov_b32 s3, 0
	s_mov_b32 s2, s34
.LBB241_601:
                                        ; implicit-def: $vgpr5
.LBB241_602:
	s_and_not1_b32 s23, s34, exec_lo
	s_and_b32 s2, s2, exec_lo
	s_and_not1_b32 s37, s35, exec_lo
	s_and_b32 s22, s22, exec_lo
	s_or_b32 s38, s23, s2
	s_or_b32 s37, s37, s22
	s_or_not1_b32 s2, s3, exec_lo
.LBB241_603:
	s_or_b32 exec_lo, exec_lo, s39
	s_mov_b32 s3, 0
	s_mov_b32 s23, 0
	;; [unrolled: 1-line block ×3, first 2 shown]
                                        ; implicit-def: $vgpr1_vgpr2
                                        ; implicit-def: $vgpr0
                                        ; implicit-def: $vgpr8
                                        ; implicit-def: $vgpr6
	s_and_saveexec_b32 s39, s2
	s_cbranch_execz .LBB241_1013
; %bb.604:
	s_mov_b32 s42, -1
	s_mov_b32 s22, s37
	s_mov_b32 s23, s38
	s_mov_b32 s40, exec_lo
	v_cmpx_gt_i32_e64 s30, v5
	s_cbranch_execz .LBB241_911
; %bb.605:
	s_and_not1_b32 vcc_lo, exec_lo, s27
	s_cbranch_vccnz .LBB241_610
; %bb.606:
	v_dual_mov_b32 v0, 0 :: v_dual_mov_b32 v1, 0
	s_and_not1_b32 vcc_lo, exec_lo, s33
	s_mov_b32 s41, 0
	s_cbranch_vccnz .LBB241_615
; %bb.607:
	v_mov_b32_e32 v0, 0
	s_add_i32 s43, s31, 1
	s_cmp_eq_u32 s25, 2
	s_mov_b32 s42, 0
	s_cbranch_scc1 .LBB241_611
; %bb.608:
	v_dual_mov_b32 v1, 0 :: v_dual_mov_b32 v0, 0
	v_mov_b32_e32 v2, v5
	s_and_b32 s42, s43, 28
	s_mov_b32 s44, 0
	s_mov_b64 s[2:3], s[20:21]
	s_mov_b64 s[22:23], s[16:17]
.LBB241_609:                            ; =>This Inner Loop Header: Depth=1
	s_clause 0x1
	s_load_b256 s[48:55], s[22:23], 0x4
	s_load_b128 s[64:67], s[22:23], 0x24
	s_load_b256 s[56:63], s[2:3], 0x0
	s_add_u32 s22, s22, 48
	s_addc_u32 s23, s23, 0
	s_add_i32 s44, s44, 4
	s_add_u32 s2, s2, 32
	s_addc_u32 s3, s3, 0
	s_cmp_eq_u32 s42, s44
	s_waitcnt vmcnt(0) lgkmcnt(0)
	v_mul_hi_u32 v6, s49, v2
	s_delay_alu instid0(VALU_DEP_1) | instskip(NEXT) | instid1(VALU_DEP_1)
	v_add_nc_u32_e32 v6, v2, v6
	v_lshrrev_b32_e32 v6, s50, v6
	s_delay_alu instid0(VALU_DEP_1) | instskip(SKIP_1) | instid1(VALU_DEP_2)
	v_mul_hi_u32 v7, s52, v6
	v_mul_lo_u32 v9, v6, s48
	v_add_nc_u32_e32 v7, v6, v7
	s_delay_alu instid0(VALU_DEP_2) | instskip(NEXT) | instid1(VALU_DEP_2)
	v_sub_nc_u32_e32 v2, v2, v9
	v_lshrrev_b32_e32 v7, s53, v7
	s_delay_alu instid0(VALU_DEP_2) | instskip(SKIP_1) | instid1(VALU_DEP_3)
	v_mul_lo_u32 v9, v2, s56
	v_mul_lo_u32 v11, v2, s57
	v_mul_hi_u32 v8, s55, v7
	s_delay_alu instid0(VALU_DEP_1) | instskip(NEXT) | instid1(VALU_DEP_1)
	v_add_nc_u32_e32 v8, v7, v8
	v_lshrrev_b32_e32 v8, s64, v8
	s_delay_alu instid0(VALU_DEP_1) | instskip(SKIP_1) | instid1(VALU_DEP_2)
	v_mul_hi_u32 v10, s66, v8
	v_mul_lo_u32 v12, v8, s54
	v_add_nc_u32_e32 v2, v8, v10
	v_mul_lo_u32 v10, v7, s51
	s_delay_alu instid0(VALU_DEP_3) | instskip(NEXT) | instid1(VALU_DEP_3)
	v_sub_nc_u32_e32 v7, v7, v12
	v_lshrrev_b32_e32 v2, s67, v2
	s_delay_alu instid0(VALU_DEP_2) | instskip(SKIP_2) | instid1(VALU_DEP_4)
	v_mul_lo_u32 v12, v7, s60
	v_mul_lo_u32 v7, v7, s61
	v_sub_nc_u32_e32 v6, v6, v10
	v_mul_lo_u32 v13, v2, s65
	s_delay_alu instid0(VALU_DEP_2) | instskip(SKIP_1) | instid1(VALU_DEP_3)
	v_mul_lo_u32 v10, v6, s58
	v_mul_lo_u32 v6, v6, s59
	v_sub_nc_u32_e32 v8, v8, v13
	s_delay_alu instid0(VALU_DEP_3) | instskip(NEXT) | instid1(VALU_DEP_2)
	v_add3_u32 v0, v9, v0, v10
	v_mul_lo_u32 v13, v8, s62
	v_mul_lo_u32 v8, v8, s63
	v_add3_u32 v1, v11, v1, v6
	s_delay_alu instid0(VALU_DEP_3) | instskip(NEXT) | instid1(VALU_DEP_2)
	v_add3_u32 v0, v12, v0, v13
	v_add3_u32 v1, v7, v1, v8
	s_cbranch_scc0 .LBB241_609
	s_branch .LBB241_612
.LBB241_610:
	s_mov_b32 s41, -1
                                        ; implicit-def: $vgpr0
                                        ; implicit-def: $vgpr1
	s_branch .LBB241_615
.LBB241_611:
	v_dual_mov_b32 v2, v5 :: v_dual_mov_b32 v1, 0
.LBB241_612:
	s_and_b32 s43, s43, 3
	s_delay_alu instid0(SALU_CYCLE_1)
	s_cmp_eq_u32 s43, 0
	s_cbranch_scc1 .LBB241_615
; %bb.613:
	s_lshl_b32 s2, s42, 3
	s_mul_i32 s22, s42, 12
	s_add_u32 s2, s2, s16
	s_addc_u32 s3, s17, 0
	s_add_u32 s2, s2, 0xc4
	s_addc_u32 s3, s3, 0
	;; [unrolled: 2-line block ×3, first 2 shown]
	.p2align	6
.LBB241_614:                            ; =>This Inner Loop Header: Depth=1
	s_clause 0x1
	s_load_b64 s[44:45], s[22:23], 0x4
	s_load_b32 s42, s[22:23], 0xc
	s_load_b64 s[46:47], s[2:3], 0x0
	s_add_u32 s22, s22, 12
	s_addc_u32 s23, s23, 0
	s_add_u32 s2, s2, 8
	s_addc_u32 s3, s3, 0
	s_add_i32 s43, s43, -1
	s_delay_alu instid0(SALU_CYCLE_1) | instskip(SKIP_2) | instid1(VALU_DEP_1)
	s_cmp_lg_u32 s43, 0
	s_waitcnt vmcnt(0) lgkmcnt(0)
	v_mul_hi_u32 v6, s45, v2
	v_add_nc_u32_e32 v6, v2, v6
	s_delay_alu instid0(VALU_DEP_1) | instskip(NEXT) | instid1(VALU_DEP_1)
	v_lshrrev_b32_e32 v9, s42, v6
	v_mul_lo_u32 v6, v9, s44
	s_delay_alu instid0(VALU_DEP_1) | instskip(NEXT) | instid1(VALU_DEP_1)
	v_sub_nc_u32_e32 v2, v2, v6
	v_mad_u64_u32 v[6:7], null, v2, s46, v[0:1]
	v_mad_u64_u32 v[7:8], null, v2, s47, v[1:2]
	v_mov_b32_e32 v2, v9
	s_delay_alu instid0(VALU_DEP_2)
	v_dual_mov_b32 v0, v6 :: v_dual_mov_b32 v1, v7
	s_cbranch_scc1 .LBB241_614
.LBB241_615:
	s_and_not1_b32 vcc_lo, exec_lo, s41
	s_cbranch_vccnz .LBB241_618
; %bb.616:
	s_waitcnt lgkmcnt(0)
	v_mul_hi_u32 v0, s13, v5
	s_and_not1_b32 vcc_lo, exec_lo, s29
	s_delay_alu instid0(VALU_DEP_1) | instskip(NEXT) | instid1(VALU_DEP_1)
	v_add_nc_u32_e32 v0, v5, v0
	v_lshrrev_b32_e32 v2, s14, v0
	s_delay_alu instid0(VALU_DEP_1) | instskip(NEXT) | instid1(VALU_DEP_1)
	v_mul_lo_u32 v0, v2, s12
	v_sub_nc_u32_e32 v1, v5, v0
	s_delay_alu instid0(VALU_DEP_1)
	v_mul_lo_u32 v0, v1, s8
	v_mul_lo_u32 v1, v1, s9
	s_cbranch_vccnz .LBB241_618
; %bb.617:
	s_waitcnt vmcnt(0)
	v_mul_hi_u32 v6, s18, v2
	s_delay_alu instid0(VALU_DEP_1) | instskip(NEXT) | instid1(VALU_DEP_1)
	v_add_nc_u32_e32 v6, v2, v6
	v_lshrrev_b32_e32 v6, s19, v6
	s_delay_alu instid0(VALU_DEP_1) | instskip(NEXT) | instid1(VALU_DEP_1)
	v_mul_lo_u32 v6, v6, s15
	v_sub_nc_u32_e32 v2, v2, v6
	s_delay_alu instid0(VALU_DEP_1) | instskip(SKIP_1) | instid1(VALU_DEP_1)
	v_mad_u64_u32 v[6:7], null, v2, s10, v[0:1]
	v_mad_u64_u32 v[7:8], null, v2, s11, v[1:2]
	v_dual_mov_b32 v0, v6 :: v_dual_mov_b32 v1, v7
.LBB241_618:
	v_cmp_gt_i16_e32 vcc_lo, 11, v4
	s_waitcnt lgkmcnt(0)
	s_delay_alu instid0(VALU_DEP_2) | instskip(NEXT) | instid1(VALU_DEP_1)
	v_add_co_u32 v1, s2, s6, v1
	v_add_co_ci_u32_e64 v2, null, s7, 0, s2
	s_mov_b32 s2, 0
	s_cbranch_vccnz .LBB241_625
; %bb.619:
	v_cmp_lt_i16_e32 vcc_lo, 25, v4
	s_cbranch_vccz .LBB241_626
; %bb.620:
	v_cmp_lt_i16_e32 vcc_lo, 28, v4
	s_cbranch_vccz .LBB241_627
	;; [unrolled: 3-line block ×4, first 2 shown]
; %bb.623:
	v_cmp_eq_u16_e32 vcc_lo, 46, v4
	s_mov_b32 s3, 0
	s_cbranch_vccz .LBB241_634
; %bb.624:
	global_load_b32 v6, v[1:2], off
	s_mov_b32 s2, -1
	s_mov_b32 s22, 0
	s_waitcnt vmcnt(0)
	v_lshlrev_b32_e32 v7, 16, v6
	v_and_b32_e32 v8, 0xffff0000, v6
	s_delay_alu instid0(VALU_DEP_2) | instskip(NEXT) | instid1(VALU_DEP_2)
	v_cvt_f16_f32_e32 v6, v7
	v_cvt_f16_f32_e32 v7, v8
	s_branch .LBB241_636
.LBB241_625:
	s_mov_b32 s3, -1
	s_mov_b32 s22, s37
                                        ; implicit-def: $vgpr7
                                        ; implicit-def: $vgpr6
	s_branch .LBB241_704
.LBB241_626:
	s_mov_b32 s3, -1
	s_mov_b32 s22, s37
                                        ; implicit-def: $vgpr7
                                        ; implicit-def: $vgpr6
	s_branch .LBB241_669
.LBB241_627:
	s_mov_b32 s3, -1
	s_mov_b32 s22, s37
                                        ; implicit-def: $vgpr7
                                        ; implicit-def: $vgpr6
	s_branch .LBB241_648
.LBB241_628:
	s_mov_b32 s3, -1
	s_mov_b32 s22, s37
                                        ; implicit-def: $vgpr7
                                        ; implicit-def: $vgpr6
	s_branch .LBB241_642
.LBB241_629:
	s_or_saveexec_b32 s37, s37
                                        ; implicit-def: $sgpr38
	s_delay_alu instid0(SALU_CYCLE_1)
	s_xor_b32 exec_lo, exec_lo, s37
	s_cbranch_execz .LBB241_435
.LBB241_630:
	v_add_f32_e64 v10, 0x46000000, |v9|
	s_and_not1_b32 s23, s23, exec_lo
	s_mov_b32 s38, 0
	s_delay_alu instid0(VALU_DEP_1) | instskip(NEXT) | instid1(VALU_DEP_1)
	v_and_b32_e32 v10, 0xff, v10
	v_cmp_ne_u32_e32 vcc_lo, 0, v10
	s_and_b32 s40, vcc_lo, exec_lo
	s_delay_alu instid0(SALU_CYCLE_1)
	s_or_b32 s23, s23, s40
	s_or_b32 exec_lo, exec_lo, s37
	v_mov_b32_e32 v11, s38
	s_and_saveexec_b32 s37, s23
	s_cbranch_execnz .LBB241_436
	s_branch .LBB241_437
.LBB241_631:
	s_mov_b32 s3, -1
	s_mov_b32 s22, s37
	s_branch .LBB241_635
.LBB241_632:
	s_or_saveexec_b32 s37, s37
                                        ; implicit-def: $sgpr38
	s_delay_alu instid0(SALU_CYCLE_1)
	s_xor_b32 exec_lo, exec_lo, s37
	s_cbranch_execz .LBB241_448
.LBB241_633:
	v_add_f32_e64 v10, 0x42800000, |v9|
	s_and_not1_b32 s23, s23, exec_lo
	s_mov_b32 s38, 0
	s_delay_alu instid0(VALU_DEP_1) | instskip(NEXT) | instid1(VALU_DEP_1)
	v_and_b32_e32 v10, 0xff, v10
	v_cmp_ne_u32_e32 vcc_lo, 0, v10
	s_and_b32 s40, vcc_lo, exec_lo
	s_delay_alu instid0(SALU_CYCLE_1)
	s_or_b32 s23, s23, s40
	s_or_b32 exec_lo, exec_lo, s37
	v_mov_b32_e32 v11, s38
	s_and_saveexec_b32 s37, s23
	s_cbranch_execnz .LBB241_449
	s_branch .LBB241_450
.LBB241_634:
	s_mov_b32 s22, -1
.LBB241_635:
                                        ; implicit-def: $vgpr7
                                        ; implicit-def: $vgpr6
.LBB241_636:
	s_and_b32 vcc_lo, exec_lo, s3
	s_cbranch_vccz .LBB241_641
; %bb.637:
	v_cmp_eq_u16_e32 vcc_lo, 44, v4
	s_cbranch_vccz .LBB241_639
; %bb.638:
	global_load_u8 v6, v[1:2], off
	s_mov_b32 s22, 0
	s_mov_b32 s2, -1
	s_waitcnt vmcnt(0)
	v_lshlrev_b32_e32 v7, 23, v6
	v_cmp_ne_u32_e32 vcc_lo, 0xff, v6
	s_delay_alu instid0(VALU_DEP_2) | instskip(NEXT) | instid1(VALU_DEP_1)
	v_cvt_f16_f32_e32 v7, v7
	v_cndmask_b32_e32 v7, 0x7e00, v7, vcc_lo
	v_cmp_ne_u32_e32 vcc_lo, 0, v6
	s_delay_alu instid0(VALU_DEP_2)
	v_cndmask_b32_e32 v6, 0, v7, vcc_lo
	s_branch .LBB241_640
.LBB241_639:
	s_mov_b32 s22, -1
                                        ; implicit-def: $vgpr6
.LBB241_640:
	s_delay_alu instid0(SALU_CYCLE_1)
	v_mov_b32_e32 v7, s22
.LBB241_641:
	s_mov_b32 s3, 0
.LBB241_642:
	s_delay_alu instid0(SALU_CYCLE_1)
	s_and_b32 vcc_lo, exec_lo, s3
	s_cbranch_vccz .LBB241_647
; %bb.643:
	v_cmp_eq_u16_e32 vcc_lo, 29, v4
	s_cbranch_vccz .LBB241_645
; %bb.644:
	global_load_b64 v[6:7], v[1:2], off
	s_mov_b32 s2, -1
	s_mov_b32 s22, 0
	s_mov_b32 s3, 0
	s_waitcnt vmcnt(0)
	v_clz_i32_u32_e32 v8, v7
	s_delay_alu instid0(VALU_DEP_1) | instskip(NEXT) | instid1(VALU_DEP_1)
	v_min_u32_e32 v8, 32, v8
	v_lshlrev_b64 v[6:7], v8, v[6:7]
	s_delay_alu instid0(VALU_DEP_1) | instskip(NEXT) | instid1(VALU_DEP_1)
	v_min_u32_e32 v6, 1, v6
	v_or_b32_e32 v6, v7, v6
	v_sub_nc_u32_e32 v7, 32, v8
	s_delay_alu instid0(VALU_DEP_2) | instskip(NEXT) | instid1(VALU_DEP_1)
	v_cvt_f32_u32_e32 v6, v6
	v_ldexp_f32 v6, v6, v7
	s_delay_alu instid0(VALU_DEP_1)
	v_cvt_f16_f32_e32 v6, v6
	s_branch .LBB241_646
.LBB241_645:
	s_mov_b32 s22, -1
                                        ; implicit-def: $sgpr3
                                        ; implicit-def: $vgpr6
.LBB241_646:
	v_mov_b32_e32 v7, s3
.LBB241_647:
	s_mov_b32 s3, 0
.LBB241_648:
	s_delay_alu instid0(SALU_CYCLE_1)
	s_and_b32 vcc_lo, exec_lo, s3
	s_cbranch_vccz .LBB241_668
; %bb.649:
	v_cmp_gt_i16_e32 vcc_lo, 27, v4
	s_cbranch_vccnz .LBB241_652
; %bb.650:
	v_cmp_lt_i16_e32 vcc_lo, 27, v4
	s_cbranch_vccz .LBB241_653
; %bb.651:
	global_load_b32 v6, v[1:2], off
	s_mov_b32 s3, 0
	s_mov_b32 s2, 0
	s_waitcnt vmcnt(0)
	v_cvt_f32_u32_e32 v6, v6
	s_delay_alu instid0(VALU_DEP_1)
	v_cvt_f16_f32_e32 v6, v6
	s_branch .LBB241_654
.LBB241_652:
	s_mov_b32 s3, -1
                                        ; implicit-def: $sgpr2
                                        ; implicit-def: $vgpr6
	s_branch .LBB241_657
.LBB241_653:
	s_mov_b32 s3, -1
                                        ; implicit-def: $sgpr2
                                        ; implicit-def: $vgpr6
.LBB241_654:
	s_delay_alu instid0(SALU_CYCLE_1)
	s_and_not1_b32 vcc_lo, exec_lo, s3
	s_cbranch_vccnz .LBB241_656
; %bb.655:
	global_load_u16 v6, v[1:2], off
	s_mov_b32 s2, 0
	s_waitcnt vmcnt(0)
	v_cvt_f16_u16_e32 v6, v6
.LBB241_656:
	s_mov_b32 s3, 0
.LBB241_657:
	v_mov_b32_e32 v7, s2
	s_and_not1_b32 vcc_lo, exec_lo, s3
	s_cbranch_vccnz .LBB241_667
; %bb.658:
	global_load_u8 v8, v[1:2], off
	s_mov_b32 s2, 0
	s_mov_b32 s41, exec_lo
                                        ; implicit-def: $sgpr23
                                        ; implicit-def: $sgpr3
	s_waitcnt vmcnt(0)
	v_cmpx_lt_i16_e32 0x7f, v8
	s_xor_b32 s41, exec_lo, s41
	s_cbranch_execz .LBB241_662
; %bb.659:
	s_mov_b32 s2, -1
	s_mov_b32 s42, exec_lo
                                        ; implicit-def: $sgpr23
                                        ; implicit-def: $sgpr3
	v_cmpx_eq_u16_e32 0x80, v8
; %bb.660:
	s_movk_i32 s3, 0x7e00
	s_mov_b32 s23, 0
	s_xor_b32 s2, exec_lo, -1
; %bb.661:
	s_or_b32 exec_lo, exec_lo, s42
	s_delay_alu instid0(SALU_CYCLE_1)
	s_and_b32 s2, s2, exec_lo
.LBB241_662:
	s_or_saveexec_b32 s41, s41
	v_dual_mov_b32 v7, s23 :: v_dual_mov_b32 v6, s3
	s_xor_b32 exec_lo, exec_lo, s41
; %bb.663:
	v_cmp_ne_u16_e32 vcc_lo, 0, v8
	v_dual_mov_b32 v7, 0 :: v_dual_mov_b32 v6, v8
	s_and_not1_b32 s2, s2, exec_lo
	s_and_b32 s3, vcc_lo, exec_lo
	s_delay_alu instid0(SALU_CYCLE_1)
	s_or_b32 s2, s2, s3
; %bb.664:
	s_or_b32 exec_lo, exec_lo, s41
	s_and_saveexec_b32 s3, s2
	s_cbranch_execz .LBB241_666
; %bb.665:
	v_and_b32_e32 v6, 0xffff, v8
	v_lshlrev_b32_e32 v8, 24, v8
	s_delay_alu instid0(VALU_DEP_2) | instskip(NEXT) | instid1(VALU_DEP_2)
	v_and_b32_e32 v7, 7, v6
	v_and_b32_e32 v8, 0x80000000, v8
	s_delay_alu instid0(VALU_DEP_2) | instskip(NEXT) | instid1(VALU_DEP_1)
	v_clz_i32_u32_e32 v9, v7
	v_min_u32_e32 v9, 32, v9
	s_delay_alu instid0(VALU_DEP_1) | instskip(SKIP_1) | instid1(VALU_DEP_2)
	v_subrev_nc_u32_e32 v10, 28, v9
	v_sub_nc_u32_e32 v9, 29, v9
	v_lshlrev_b32_e32 v10, v10, v6
	v_bfe_u32 v6, v6, 3, 4
	s_delay_alu instid0(VALU_DEP_2) | instskip(NEXT) | instid1(VALU_DEP_2)
	v_and_b32_e32 v10, 7, v10
	v_cmp_eq_u32_e32 vcc_lo, 0, v6
	s_delay_alu instid0(VALU_DEP_2) | instskip(NEXT) | instid1(VALU_DEP_1)
	v_dual_cndmask_b32 v6, v6, v9 :: v_dual_cndmask_b32 v7, v7, v10
	v_lshl_add_u32 v6, v6, 23, 0x3b800000
	s_delay_alu instid0(VALU_DEP_2) | instskip(NEXT) | instid1(VALU_DEP_1)
	v_lshlrev_b32_e32 v7, 20, v7
	v_or3_b32 v6, v8, v6, v7
	v_mov_b32_e32 v7, 0
	s_delay_alu instid0(VALU_DEP_2)
	v_cvt_f16_f32_e32 v6, v6
.LBB241_666:
	s_or_b32 exec_lo, exec_lo, s3
.LBB241_667:
	s_mov_b32 s2, -1
.LBB241_668:
	s_mov_b32 s3, 0
.LBB241_669:
	s_delay_alu instid0(SALU_CYCLE_1)
	s_and_b32 vcc_lo, exec_lo, s3
	s_cbranch_vccz .LBB241_703
; %bb.670:
	v_cmp_lt_i16_e32 vcc_lo, 22, v4
	s_cbranch_vccz .LBB241_682
; %bb.671:
	v_cmp_gt_i16_e32 vcc_lo, 24, v4
	s_cbranch_vccnz .LBB241_683
; %bb.672:
	v_cmp_lt_i16_e32 vcc_lo, 24, v4
	s_cbranch_vccz .LBB241_684
; %bb.673:
	global_load_u8 v8, v[1:2], off
	s_mov_b32 s2, 0
	s_mov_b32 s41, exec_lo
                                        ; implicit-def: $sgpr23
                                        ; implicit-def: $sgpr3
	s_waitcnt vmcnt(0)
	v_cmpx_lt_i16_e32 0x7f, v8
	s_xor_b32 s41, exec_lo, s41
	s_cbranch_execz .LBB241_677
; %bb.674:
	s_mov_b32 s2, -1
	s_mov_b32 s42, exec_lo
                                        ; implicit-def: $sgpr23
                                        ; implicit-def: $sgpr3
	v_cmpx_eq_u16_e32 0x80, v8
; %bb.675:
	s_movk_i32 s3, 0x7e00
	s_mov_b32 s23, 0
	s_xor_b32 s2, exec_lo, -1
; %bb.676:
	s_or_b32 exec_lo, exec_lo, s42
	s_delay_alu instid0(SALU_CYCLE_1)
	s_and_b32 s2, s2, exec_lo
.LBB241_677:
	s_or_saveexec_b32 s41, s41
	v_dual_mov_b32 v7, s23 :: v_dual_mov_b32 v6, s3
	s_xor_b32 exec_lo, exec_lo, s41
; %bb.678:
	v_cmp_ne_u16_e32 vcc_lo, 0, v8
	v_dual_mov_b32 v7, 0 :: v_dual_mov_b32 v6, v8
	s_and_not1_b32 s2, s2, exec_lo
	s_and_b32 s3, vcc_lo, exec_lo
	s_delay_alu instid0(SALU_CYCLE_1)
	s_or_b32 s2, s2, s3
; %bb.679:
	s_or_b32 exec_lo, exec_lo, s41
	s_and_saveexec_b32 s3, s2
	s_cbranch_execz .LBB241_681
; %bb.680:
	v_and_b32_e32 v6, 0xffff, v8
	v_lshlrev_b32_e32 v8, 24, v8
	s_delay_alu instid0(VALU_DEP_2) | instskip(NEXT) | instid1(VALU_DEP_2)
	v_and_b32_e32 v7, 3, v6
	v_and_b32_e32 v8, 0x80000000, v8
	s_delay_alu instid0(VALU_DEP_2) | instskip(NEXT) | instid1(VALU_DEP_1)
	v_clz_i32_u32_e32 v9, v7
	v_min_u32_e32 v9, 32, v9
	s_delay_alu instid0(VALU_DEP_1) | instskip(SKIP_1) | instid1(VALU_DEP_2)
	v_subrev_nc_u32_e32 v10, 29, v9
	v_sub_nc_u32_e32 v9, 30, v9
	v_lshlrev_b32_e32 v10, v10, v6
	v_bfe_u32 v6, v6, 2, 5
	s_delay_alu instid0(VALU_DEP_2) | instskip(NEXT) | instid1(VALU_DEP_2)
	v_and_b32_e32 v10, 3, v10
	v_cmp_eq_u32_e32 vcc_lo, 0, v6
	s_delay_alu instid0(VALU_DEP_2) | instskip(NEXT) | instid1(VALU_DEP_1)
	v_dual_cndmask_b32 v6, v6, v9 :: v_dual_cndmask_b32 v7, v7, v10
	v_lshl_add_u32 v6, v6, 23, 0x37800000
	s_delay_alu instid0(VALU_DEP_2) | instskip(NEXT) | instid1(VALU_DEP_1)
	v_lshlrev_b32_e32 v7, 21, v7
	v_or3_b32 v6, v8, v6, v7
	v_mov_b32_e32 v7, 0
	s_delay_alu instid0(VALU_DEP_2)
	v_cvt_f16_f32_e32 v6, v6
.LBB241_681:
	s_or_b32 exec_lo, exec_lo, s3
	s_mov_b32 s2, 0
	s_branch .LBB241_685
.LBB241_682:
	s_mov_b32 s3, -1
                                        ; implicit-def: $vgpr7
                                        ; implicit-def: $vgpr6
	s_branch .LBB241_691
.LBB241_683:
	s_mov_b32 s2, -1
                                        ; implicit-def: $vgpr7
                                        ; implicit-def: $vgpr6
	s_branch .LBB241_688
.LBB241_684:
	s_mov_b32 s2, -1
                                        ; implicit-def: $vgpr7
                                        ; implicit-def: $vgpr6
.LBB241_685:
	s_delay_alu instid0(SALU_CYCLE_1)
	s_and_b32 vcc_lo, exec_lo, s2
	s_cbranch_vccz .LBB241_687
; %bb.686:
	global_load_u8 v6, v[1:2], off
	s_waitcnt vmcnt(0)
	v_lshlrev_b32_e32 v6, 24, v6
	s_delay_alu instid0(VALU_DEP_1) | instskip(NEXT) | instid1(VALU_DEP_1)
	v_and_b32_e32 v7, 0x7f000000, v6
	v_clz_i32_u32_e32 v8, v7
	v_add_nc_u32_e32 v10, 0x1000000, v7
	v_cmp_ne_u32_e32 vcc_lo, 0, v7
	s_delay_alu instid0(VALU_DEP_3) | instskip(NEXT) | instid1(VALU_DEP_1)
	v_min_u32_e32 v8, 32, v8
	v_sub_nc_u32_e64 v8, v8, 4 clamp
	s_delay_alu instid0(VALU_DEP_1) | instskip(SKIP_1) | instid1(VALU_DEP_2)
	v_lshlrev_b32_e32 v9, v8, v7
	v_lshlrev_b32_e32 v8, 23, v8
	v_lshrrev_b32_e32 v9, 4, v9
	s_delay_alu instid0(VALU_DEP_1) | instskip(SKIP_1) | instid1(VALU_DEP_2)
	v_sub_nc_u32_e32 v8, v9, v8
	v_ashrrev_i32_e32 v9, 8, v10
	v_add_nc_u32_e32 v8, 0x3c000000, v8
	s_delay_alu instid0(VALU_DEP_1) | instskip(NEXT) | instid1(VALU_DEP_1)
	v_and_or_b32 v8, 0x7f800000, v9, v8
	v_cndmask_b32_e32 v7, 0, v8, vcc_lo
	s_delay_alu instid0(VALU_DEP_1) | instskip(SKIP_1) | instid1(VALU_DEP_2)
	v_and_or_b32 v6, 0x80000000, v6, v7
	v_mov_b32_e32 v7, 0
	v_cvt_f16_f32_e32 v6, v6
.LBB241_687:
	s_mov_b32 s2, 0
.LBB241_688:
	s_delay_alu instid0(SALU_CYCLE_1)
	s_and_not1_b32 vcc_lo, exec_lo, s2
	s_cbranch_vccnz .LBB241_690
; %bb.689:
	global_load_u8 v6, v[1:2], off
	s_waitcnt vmcnt(0)
	v_lshlrev_b32_e32 v7, 25, v6
	v_lshlrev_b16 v6, 8, v6
	s_delay_alu instid0(VALU_DEP_2) | instskip(NEXT) | instid1(VALU_DEP_2)
	v_lshrrev_b32_e32 v8, 4, v7
	v_and_or_b32 v9, 0x7f00, v6, 0.5
	v_bfe_i32 v6, v6, 0, 16
	s_delay_alu instid0(VALU_DEP_3) | instskip(NEXT) | instid1(VALU_DEP_1)
	v_or_b32_e32 v8, 0x70000000, v8
	v_dual_add_f32 v9, -0.5, v9 :: v_dual_mul_f32 v8, 0x7800000, v8
	v_cmp_gt_u32_e32 vcc_lo, 0x8000000, v7
	s_delay_alu instid0(VALU_DEP_2) | instskip(NEXT) | instid1(VALU_DEP_1)
	v_cndmask_b32_e32 v7, v8, v9, vcc_lo
	v_and_or_b32 v6, 0x80000000, v6, v7
	v_mov_b32_e32 v7, 0
	s_delay_alu instid0(VALU_DEP_2)
	v_cvt_f16_f32_e32 v6, v6
.LBB241_690:
	s_mov_b32 s3, 0
	s_mov_b32 s2, -1
.LBB241_691:
	s_and_not1_b32 vcc_lo, exec_lo, s3
	s_cbranch_vccnz .LBB241_703
; %bb.692:
	v_cmp_lt_i16_e32 vcc_lo, 14, v4
	s_cbranch_vccz .LBB241_695
; %bb.693:
	v_cmp_eq_u16_e32 vcc_lo, 15, v4
	s_cbranch_vccz .LBB241_696
; %bb.694:
	global_load_u16 v6, v[1:2], off
	s_mov_b32 s2, -1
	s_mov_b32 s22, 0
	s_mov_b32 s3, 0
	s_waitcnt vmcnt(0)
	v_lshlrev_b32_e32 v6, 16, v6
	s_delay_alu instid0(VALU_DEP_1)
	v_cvt_f16_f32_e32 v6, v6
	s_branch .LBB241_697
.LBB241_695:
	s_mov_b32 s23, -1
                                        ; implicit-def: $sgpr3
                                        ; implicit-def: $vgpr6
	s_branch .LBB241_698
.LBB241_696:
	s_mov_b32 s22, -1
                                        ; implicit-def: $sgpr3
                                        ; implicit-def: $vgpr6
.LBB241_697:
	s_mov_b32 s23, 0
.LBB241_698:
	s_delay_alu instid0(SALU_CYCLE_1)
	s_and_b32 vcc_lo, exec_lo, s23
	s_cbranch_vccz .LBB241_702
; %bb.699:
	v_cmp_eq_u16_e32 vcc_lo, 11, v4
	s_cbranch_vccz .LBB241_701
; %bb.700:
	global_load_u8 v6, v[1:2], off
	s_mov_b32 s3, 0
	s_mov_b32 s2, -1
	s_mov_b32 s22, 0
	s_waitcnt vmcnt(0)
	v_cmp_ne_u16_e32 vcc_lo, 0, v6
	v_cndmask_b32_e64 v6, 0, 0x3c00, vcc_lo
	s_branch .LBB241_702
.LBB241_701:
	s_mov_b32 s22, -1
                                        ; implicit-def: $sgpr3
                                        ; implicit-def: $vgpr6
.LBB241_702:
	v_mov_b32_e32 v7, s3
.LBB241_703:
	s_mov_b32 s3, 0
.LBB241_704:
	s_delay_alu instid0(SALU_CYCLE_1)
	s_and_b32 vcc_lo, exec_lo, s3
	s_cbranch_vccz .LBB241_755
; %bb.705:
	v_cmp_gt_i16_e32 vcc_lo, 5, v4
	s_cbranch_vccnz .LBB241_710
; %bb.706:
	v_cmp_gt_i16_e32 vcc_lo, 8, v4
	s_cbranch_vccnz .LBB241_711
	;; [unrolled: 3-line block ×3, first 2 shown]
; %bb.708:
	v_cmp_lt_i16_e32 vcc_lo, 9, v4
	s_cbranch_vccz .LBB241_713
; %bb.709:
	global_load_b128 v[6:9], v[1:2], off
	s_mov_b32 s2, 0
	s_waitcnt vmcnt(0)
	v_cvt_f32_f64_e32 v6, v[6:7]
	v_cvt_f32_f64_e32 v7, v[8:9]
	s_delay_alu instid0(VALU_DEP_2) | instskip(NEXT) | instid1(VALU_DEP_2)
	v_cvt_f16_f32_e32 v6, v6
	v_cvt_f16_f32_e32 v7, v7
	s_branch .LBB241_714
.LBB241_710:
	s_mov_b32 s2, -1
                                        ; implicit-def: $vgpr7
                                        ; implicit-def: $vgpr6
	s_branch .LBB241_733
.LBB241_711:
	s_mov_b32 s2, -1
                                        ; implicit-def: $vgpr7
                                        ; implicit-def: $vgpr6
	s_branch .LBB241_720
.LBB241_712:
	s_mov_b32 s2, -1
                                        ; implicit-def: $vgpr7
                                        ; implicit-def: $vgpr6
	s_branch .LBB241_717
.LBB241_713:
	s_mov_b32 s2, -1
                                        ; implicit-def: $vgpr7
                                        ; implicit-def: $vgpr6
.LBB241_714:
	s_delay_alu instid0(SALU_CYCLE_1)
	s_and_not1_b32 vcc_lo, exec_lo, s2
	s_cbranch_vccnz .LBB241_716
; %bb.715:
	global_load_b64 v[6:7], v[1:2], off
	s_waitcnt vmcnt(0)
	v_cvt_f16_f32_e32 v6, v6
	v_cvt_f16_f32_e32 v7, v7
.LBB241_716:
	s_mov_b32 s2, 0
.LBB241_717:
	s_delay_alu instid0(SALU_CYCLE_1)
	s_and_not1_b32 vcc_lo, exec_lo, s2
	s_cbranch_vccnz .LBB241_719
; %bb.718:
	global_load_b32 v6, v[1:2], off
	s_waitcnt vmcnt(0)
	v_lshrrev_b32_e32 v7, 16, v6
.LBB241_719:
	s_mov_b32 s2, 0
.LBB241_720:
	s_delay_alu instid0(SALU_CYCLE_1)
	s_and_not1_b32 vcc_lo, exec_lo, s2
	s_cbranch_vccnz .LBB241_732
; %bb.721:
	v_cmp_gt_i16_e32 vcc_lo, 6, v4
	s_cbranch_vccnz .LBB241_724
; %bb.722:
	v_cmp_lt_i16_e32 vcc_lo, 6, v4
	s_cbranch_vccz .LBB241_725
; %bb.723:
	global_load_b64 v[6:7], v[1:2], off
	s_mov_b32 s3, 0
	s_mov_b32 s2, 0
	s_waitcnt vmcnt(0)
	v_cvt_f32_f64_e32 v6, v[6:7]
	s_delay_alu instid0(VALU_DEP_1)
	v_cvt_f16_f32_e32 v6, v6
	s_branch .LBB241_726
.LBB241_724:
	s_mov_b32 s3, -1
                                        ; implicit-def: $sgpr2
                                        ; implicit-def: $vgpr6
	s_branch .LBB241_729
.LBB241_725:
	s_mov_b32 s3, -1
                                        ; implicit-def: $sgpr2
                                        ; implicit-def: $vgpr6
.LBB241_726:
	s_delay_alu instid0(SALU_CYCLE_1)
	s_and_not1_b32 vcc_lo, exec_lo, s3
	s_cbranch_vccnz .LBB241_728
; %bb.727:
	global_load_b32 v6, v[1:2], off
	s_mov_b32 s2, 0
	s_waitcnt vmcnt(0)
	v_cvt_f16_f32_e32 v6, v6
.LBB241_728:
	s_mov_b32 s3, 0
.LBB241_729:
	s_delay_alu instid0(SALU_CYCLE_1)
	s_and_not1_b32 vcc_lo, exec_lo, s3
	s_cbranch_vccnz .LBB241_731
; %bb.730:
	global_load_u16 v6, v[1:2], off
	s_mov_b32 s2, 0
.LBB241_731:
	s_delay_alu instid0(SALU_CYCLE_1)
	v_mov_b32_e32 v7, s2
.LBB241_732:
	s_mov_b32 s2, 0
.LBB241_733:
	s_delay_alu instid0(SALU_CYCLE_1)
	s_and_not1_b32 vcc_lo, exec_lo, s2
	s_cbranch_vccnz .LBB241_754
; %bb.734:
	v_cmp_gt_i16_e32 vcc_lo, 2, v4
	s_cbranch_vccnz .LBB241_738
; %bb.735:
	v_cmp_gt_i16_e32 vcc_lo, 3, v4
	s_cbranch_vccnz .LBB241_739
; %bb.736:
	v_cmp_lt_i16_e32 vcc_lo, 3, v4
	s_cbranch_vccz .LBB241_740
; %bb.737:
	global_load_b64 v[6:7], v[1:2], off
	s_mov_b32 s3, 0
	s_mov_b32 s2, 0
	s_waitcnt vmcnt(0)
	v_xor_b32_e32 v8, v6, v7
	v_cls_i32_e32 v9, v7
	s_delay_alu instid0(VALU_DEP_2) | instskip(NEXT) | instid1(VALU_DEP_2)
	v_ashrrev_i32_e32 v8, 31, v8
	v_add_nc_u32_e32 v9, -1, v9
	s_delay_alu instid0(VALU_DEP_2) | instskip(NEXT) | instid1(VALU_DEP_1)
	v_add_nc_u32_e32 v8, 32, v8
	v_min_u32_e32 v8, v9, v8
	s_delay_alu instid0(VALU_DEP_1) | instskip(NEXT) | instid1(VALU_DEP_1)
	v_lshlrev_b64 v[6:7], v8, v[6:7]
	v_min_u32_e32 v6, 1, v6
	s_delay_alu instid0(VALU_DEP_1) | instskip(SKIP_1) | instid1(VALU_DEP_2)
	v_or_b32_e32 v6, v7, v6
	v_sub_nc_u32_e32 v7, 32, v8
	v_cvt_f32_i32_e32 v6, v6
	s_delay_alu instid0(VALU_DEP_1) | instskip(NEXT) | instid1(VALU_DEP_1)
	v_ldexp_f32 v6, v6, v7
	v_cvt_f16_f32_e32 v6, v6
	s_branch .LBB241_741
.LBB241_738:
	s_mov_b32 s3, -1
                                        ; implicit-def: $sgpr2
                                        ; implicit-def: $vgpr6
	s_branch .LBB241_747
.LBB241_739:
	s_mov_b32 s3, -1
                                        ; implicit-def: $sgpr2
                                        ; implicit-def: $vgpr6
	s_branch .LBB241_744
.LBB241_740:
	s_mov_b32 s3, -1
                                        ; implicit-def: $sgpr2
                                        ; implicit-def: $vgpr6
.LBB241_741:
	s_delay_alu instid0(SALU_CYCLE_1)
	s_and_not1_b32 vcc_lo, exec_lo, s3
	s_cbranch_vccnz .LBB241_743
; %bb.742:
	global_load_b32 v6, v[1:2], off
	s_mov_b32 s2, 0
	s_waitcnt vmcnt(0)
	v_cvt_f32_i32_e32 v6, v6
	s_delay_alu instid0(VALU_DEP_1)
	v_cvt_f16_f32_e32 v6, v6
.LBB241_743:
	s_mov_b32 s3, 0
.LBB241_744:
	s_delay_alu instid0(SALU_CYCLE_1)
	s_and_not1_b32 vcc_lo, exec_lo, s3
	s_cbranch_vccnz .LBB241_746
; %bb.745:
	global_load_u16 v6, v[1:2], off
	s_mov_b32 s2, 0
	s_waitcnt vmcnt(0)
	v_cvt_f16_i16_e32 v6, v6
.LBB241_746:
	s_mov_b32 s3, 0
.LBB241_747:
	s_delay_alu instid0(SALU_CYCLE_1)
	s_and_not1_b32 vcc_lo, exec_lo, s3
	s_cbranch_vccnz .LBB241_753
; %bb.748:
	v_cmp_lt_i16_e32 vcc_lo, 0, v4
	s_mov_b32 s3, 0
	s_cbranch_vccz .LBB241_750
; %bb.749:
	global_load_i8 v6, v[1:2], off
	s_mov_b32 s2, 0
	s_waitcnt vmcnt(0)
	v_cvt_f16_i16_e32 v6, v6
	s_branch .LBB241_751
.LBB241_750:
	s_mov_b32 s3, -1
                                        ; implicit-def: $sgpr2
                                        ; implicit-def: $vgpr6
.LBB241_751:
	s_delay_alu instid0(SALU_CYCLE_1)
	s_and_not1_b32 vcc_lo, exec_lo, s3
	s_cbranch_vccnz .LBB241_753
; %bb.752:
	global_load_u8 v1, v[1:2], off
	s_mov_b32 s2, 0
	s_waitcnt vmcnt(0)
	v_cvt_f16_u16_e32 v6, v1
.LBB241_753:
	v_mov_b32_e32 v7, s2
.LBB241_754:
	s_mov_b32 s2, -1
.LBB241_755:
	s_delay_alu instid0(SALU_CYCLE_1)
	s_and_not1_b32 vcc_lo, exec_lo, s2
	s_cbranch_vccnz .LBB241_768
; %bb.756:
	s_waitcnt vmcnt(0)
	v_cmp_neq_f16_e32 vcc_lo, 0, v6
	v_cmp_neq_f16_e64 s2, 0, v7
	v_cvt_f32_f16_e32 v1, v7
	v_mov_b32_e32 v2, 0
	s_delay_alu instid0(VALU_DEP_3) | instskip(NEXT) | instid1(SALU_CYCLE_1)
	s_or_b32 s2, vcc_lo, s2
	s_and_saveexec_b32 s23, s2
	s_cbranch_execz .LBB241_787
; %bb.757:
	v_mov_b32_e32 v2, 0x7f800000
	s_mov_b32 s41, exec_lo
	v_cmpx_neq_f32_e64 0x7f800000, |v1|
	s_cbranch_execz .LBB241_786
; %bb.758:
	v_cvt_f32_f16_e32 v2, v6
	s_mov_b32 s2, exec_lo
	v_cmpx_o_f16_e32 v6, v6
	s_xor_b32 s42, exec_lo, s2
	s_cbranch_execz .LBB241_783
; %bb.759:
	s_mov_b32 s3, exec_lo
	v_cmpx_neq_f32_e64 0x7f800000, |v2|
	s_xor_b32 s43, exec_lo, s3
	s_cbranch_execz .LBB241_776
; %bb.760:
	v_max_f32_e64 v6, |v1|, |v1|
	v_max_f32_e64 v7, |v2|, |v2|
                                        ; implicit-def: $sgpr44
	s_delay_alu instid0(VALU_DEP_1) | instskip(NEXT) | instid1(VALU_DEP_1)
	v_max_f32_e32 v6, v7, v6
	v_cmp_nle_f32_e64 s2, 0x7ed413cb, v6
	s_delay_alu instid0(VALU_DEP_1) | instskip(NEXT) | instid1(SALU_CYCLE_1)
	s_and_saveexec_b32 s3, s2
	s_xor_b32 s3, exec_lo, s3
	s_cbranch_execz .LBB241_764
; %bb.761:
	v_cmp_ge_f32_e64 s44, 0x1000000, |v2|
	v_cmp_ge_f32_e64 s45, 0x1000000, |v1|
	s_delay_alu instid0(VALU_DEP_1)
	s_and_b32 s46, s44, s45
	s_mov_b32 s44, 0
	s_and_saveexec_b32 s45, s46
; %bb.762:
	v_dual_mul_f32 v2, 4.0, v2 :: v_dual_mul_f32 v1, 4.0, v1
	s_mov_b32 s44, exec_lo
; %bb.763:
	s_or_b32 exec_lo, exec_lo, s45
	s_delay_alu instid0(SALU_CYCLE_1)
	s_and_b32 s44, s44, exec_lo
.LBB241_764:
	s_and_not1_saveexec_b32 s3, s3
; %bb.765:
	v_dual_mul_f32 v2, 0x3e800000, v2 :: v_dual_mul_f32 v1, 0x3e800000, v1
	s_and_not1_b32 s44, s44, exec_lo
; %bb.766:
	s_or_b32 exec_lo, exec_lo, s3
	s_delay_alu instid0(VALU_DEP_1) | instskip(NEXT) | instid1(VALU_DEP_2)
	v_max_f32_e64 v6, |v1|, |v1|
	v_max_f32_e64 v7, |v2|, |v2|
	s_delay_alu instid0(VALU_DEP_1) | instskip(NEXT) | instid1(VALU_DEP_1)
	v_max_f32_e32 v8, v7, v6
	v_cvt_f64_f32_e32 v[6:7], v8
	s_delay_alu instid0(VALU_DEP_1) | instskip(NEXT) | instid1(VALU_DEP_1)
	v_frexp_exp_i32_f64_e32 v6, v[6:7]
	v_sub_nc_u32_e32 v7, 0, v6
	s_delay_alu instid0(VALU_DEP_1) | instskip(SKIP_1) | instid1(VALU_DEP_2)
	v_ldexp_f32 v9, |v1|, v7
	v_ldexp_f32 v7, |v2|, v7
	v_mul_f32_e32 v9, v9, v9
	v_cmp_neq_f32_e64 s3, 0x7f800000, v8
	s_delay_alu instid0(VALU_DEP_2) | instskip(NEXT) | instid1(VALU_DEP_1)
	v_fmac_f32_e32 v9, v7, v7
	v_sqrt_f32_e32 v7, v9
	s_waitcnt_depctr 0xfff
	v_ldexp_f32 v6, v7, v6
                                        ; implicit-def: $vgpr7
	s_delay_alu instid0(VALU_DEP_1)
	v_cndmask_b32_e64 v8, 0x7f800000, v6, s3
                                        ; implicit-def: $vgpr6
	s_mov_b32 s3, exec_lo
	v_cmpx_le_f32_e32 0, v2
	s_xor_b32 s45, exec_lo, s3
	s_cbranch_execz .LBB241_769
; %bb.767:
	v_add_f32_e32 v2, v2, v8
	s_delay_alu instid0(VALU_DEP_1) | instskip(NEXT) | instid1(VALU_DEP_1)
	v_mul_f32_e32 v2, 0.5, v2
	v_mul_f32_e32 v6, 0x4f800000, v2
	v_cmp_gt_f32_e32 vcc_lo, 0xf800000, v2
	s_delay_alu instid0(VALU_DEP_2) | instskip(NEXT) | instid1(VALU_DEP_1)
	v_cndmask_b32_e32 v2, v2, v6, vcc_lo
	v_sqrt_f32_e32 v6, v2
	s_waitcnt_depctr 0xfff
	v_add_nc_u32_e32 v7, -1, v6
	v_add_nc_u32_e32 v8, 1, v6
	s_delay_alu instid0(VALU_DEP_2) | instskip(NEXT) | instid1(VALU_DEP_2)
	v_fma_f32 v9, -v7, v6, v2
	v_fma_f32 v10, -v8, v6, v2
	s_delay_alu instid0(VALU_DEP_2) | instskip(NEXT) | instid1(VALU_DEP_1)
	v_cmp_ge_f32_e64 s3, 0, v9
	v_cndmask_b32_e64 v6, v6, v7, s3
	s_delay_alu instid0(VALU_DEP_3) | instskip(NEXT) | instid1(VALU_DEP_1)
	v_cmp_lt_f32_e64 s3, 0, v10
	v_cndmask_b32_e64 v6, v6, v8, s3
	s_delay_alu instid0(VALU_DEP_1) | instskip(NEXT) | instid1(VALU_DEP_1)
	v_mul_f32_e32 v7, 0x37800000, v6
	v_cndmask_b32_e32 v6, v6, v7, vcc_lo
	v_cmp_class_f32_e64 vcc_lo, v2, 0x260
	s_delay_alu instid0(VALU_DEP_2) | instskip(NEXT) | instid1(VALU_DEP_1)
	v_cndmask_b32_e32 v6, v6, v2, vcc_lo
	v_add_f32_e32 v2, v6, v6
	s_delay_alu instid0(VALU_DEP_1) | instskip(NEXT) | instid1(VALU_DEP_1)
	v_div_scale_f32 v7, null, v2, v2, v1
	v_rcp_f32_e32 v8, v7
	s_waitcnt_depctr 0xfff
	v_fma_f32 v9, -v7, v8, 1.0
	s_delay_alu instid0(VALU_DEP_1) | instskip(SKIP_1) | instid1(VALU_DEP_1)
	v_fmac_f32_e32 v8, v9, v8
	v_div_scale_f32 v9, vcc_lo, v1, v2, v1
	v_mul_f32_e32 v10, v9, v8
	s_delay_alu instid0(VALU_DEP_1) | instskip(NEXT) | instid1(VALU_DEP_1)
	v_fma_f32 v11, -v7, v10, v9
	v_fmac_f32_e32 v10, v11, v8
	s_delay_alu instid0(VALU_DEP_1) | instskip(NEXT) | instid1(VALU_DEP_1)
	v_fma_f32 v7, -v7, v10, v9
	v_div_fmas_f32 v7, v7, v8, v10
                                        ; implicit-def: $vgpr8
	s_delay_alu instid0(VALU_DEP_1)
	v_div_fixup_f32 v7, v7, v2, v1
                                        ; implicit-def: $vgpr2
                                        ; implicit-def: $vgpr1
	s_and_not1_saveexec_b32 s45, s45
	s_cbranch_execz .LBB241_771
	s_branch .LBB241_770
.LBB241_768:
	s_mov_b32 s3, 0
	s_mov_b32 s2, s38
	s_branch .LBB241_834
.LBB241_769:
	s_and_not1_saveexec_b32 s45, s45
	s_cbranch_execz .LBB241_771
.LBB241_770:
	v_sub_f32_e32 v2, v8, v2
	s_delay_alu instid0(VALU_DEP_1) | instskip(NEXT) | instid1(VALU_DEP_1)
	v_mul_f32_e32 v2, 0.5, v2
	v_mul_f32_e32 v6, 0x4f800000, v2
	v_cmp_gt_f32_e32 vcc_lo, 0xf800000, v2
	s_delay_alu instid0(VALU_DEP_2) | instskip(NEXT) | instid1(VALU_DEP_1)
	v_cndmask_b32_e32 v2, v2, v6, vcc_lo
	v_sqrt_f32_e32 v6, v2
	s_waitcnt_depctr 0xfff
	v_add_nc_u32_e32 v7, -1, v6
	v_add_nc_u32_e32 v8, 1, v6
	s_delay_alu instid0(VALU_DEP_2) | instskip(NEXT) | instid1(VALU_DEP_2)
	v_fma_f32 v9, -v7, v6, v2
	v_fma_f32 v10, -v8, v6, v2
	s_delay_alu instid0(VALU_DEP_2) | instskip(NEXT) | instid1(VALU_DEP_1)
	v_cmp_ge_f32_e64 s3, 0, v9
	v_cndmask_b32_e64 v6, v6, v7, s3
	s_delay_alu instid0(VALU_DEP_3) | instskip(NEXT) | instid1(VALU_DEP_1)
	v_cmp_lt_f32_e64 s3, 0, v10
	v_cndmask_b32_e64 v6, v6, v8, s3
	s_delay_alu instid0(VALU_DEP_1) | instskip(NEXT) | instid1(VALU_DEP_1)
	v_mul_f32_e32 v7, 0x37800000, v6
	v_cndmask_b32_e32 v6, v6, v7, vcc_lo
	v_cmp_class_f32_e64 vcc_lo, v2, 0x260
	s_delay_alu instid0(VALU_DEP_2) | instskip(NEXT) | instid1(VALU_DEP_1)
	v_cndmask_b32_e32 v2, v6, v2, vcc_lo
	v_dual_add_f32 v7, v2, v2 :: v_dual_and_b32 v6, 0x7fffffff, v1
	s_delay_alu instid0(VALU_DEP_1) | instskip(SKIP_1) | instid1(VALU_DEP_2)
	v_div_scale_f32 v8, null, v7, v7, v6
	v_div_scale_f32 v6, vcc_lo, v6, v7, v6
	v_rcp_f32_e32 v9, v8
	s_waitcnt_depctr 0xfff
	v_fma_f32 v10, -v8, v9, 1.0
	s_delay_alu instid0(VALU_DEP_1) | instskip(NEXT) | instid1(VALU_DEP_1)
	v_fmac_f32_e32 v9, v10, v9
	v_mul_f32_e32 v10, v6, v9
	s_delay_alu instid0(VALU_DEP_1) | instskip(NEXT) | instid1(VALU_DEP_1)
	v_fma_f32 v11, -v8, v10, v6
	v_fmac_f32_e32 v10, v11, v9
	s_delay_alu instid0(VALU_DEP_1) | instskip(NEXT) | instid1(VALU_DEP_1)
	v_fma_f32 v6, -v8, v10, v6
	v_div_fmas_f32 v6, v6, v9, v10
	s_delay_alu instid0(VALU_DEP_1)
	v_div_fixup_f32 v6, v6, v7, |v1|
	v_bfi_b32 v7, 0x7fffffff, v2, v1
.LBB241_771:
	s_or_b32 exec_lo, exec_lo, s45
                                        ; implicit-def: $vgpr1
                                        ; implicit-def: $vgpr2
	s_and_saveexec_b32 s3, s2
	s_delay_alu instid0(SALU_CYCLE_1)
	s_xor_b32 s2, exec_lo, s3
	s_cbranch_execz .LBB241_773
; %bb.772:
	v_dual_mul_f32 v1, 0.5, v6 :: v_dual_mul_f32 v8, 0.5, v7
	s_delay_alu instid0(VALU_DEP_1) | instskip(NEXT) | instid1(VALU_DEP_2)
	v_cndmask_b32_e64 v2, v6, v1, s44
	v_cndmask_b32_e64 v1, v7, v8, s44
                                        ; implicit-def: $vgpr6
                                        ; implicit-def: $vgpr7
	s_and_not1_saveexec_b32 s2, s2
	s_cbranch_execnz .LBB241_774
	s_branch .LBB241_775
.LBB241_773:
	s_and_not1_saveexec_b32 s2, s2
.LBB241_774:
	v_dual_add_f32 v2, v6, v6 :: v_dual_add_f32 v1, v7, v7
.LBB241_775:
	s_or_b32 exec_lo, exec_lo, s2
                                        ; implicit-def: $vgpr6
.LBB241_776:
	s_and_not1_saveexec_b32 s2, s43
	s_cbranch_execz .LBB241_782
; %bb.777:
	v_cmp_lt_i16_e32 vcc_lo, -1, v6
	v_sub_f32_e32 v6, v1, v1
	s_and_saveexec_b32 s3, vcc_lo
	s_delay_alu instid0(SALU_CYCLE_1)
	s_xor_b32 s3, exec_lo, s3
; %bb.778:
	s_delay_alu instid0(VALU_DEP_1)
	v_bfi_b32 v1, 0x7fffffff, v6, v1
                                        ; implicit-def: $vgpr6
; %bb.779:
	s_and_not1_saveexec_b32 s3, s3
; %bb.780:
	v_and_b32_e32 v6, 0x7fffffff, v6
	s_delay_alu instid0(VALU_DEP_2) | instskip(NEXT) | instid1(VALU_DEP_2)
	v_bfi_b32 v1, 0x7fffffff, v2, v1
	v_mov_b32_e32 v2, v6
; %bb.781:
	s_or_b32 exec_lo, exec_lo, s3
.LBB241_782:
	s_delay_alu instid0(SALU_CYCLE_1)
	s_or_b32 exec_lo, exec_lo, s2
.LBB241_783:
	s_and_not1_saveexec_b32 s2, s42
; %bb.784:
	v_sub_f32_e32 v1, v1, v1
	s_delay_alu instid0(VALU_DEP_1) | instskip(NEXT) | instid1(VALU_DEP_1)
	v_div_scale_f32 v6, vcc_lo, v1, v1, v1
	v_rcp_f32_e32 v7, v6
	s_waitcnt_depctr 0xfff
	v_fma_f32 v8, -v6, v7, 1.0
	s_delay_alu instid0(VALU_DEP_1) | instskip(NEXT) | instid1(VALU_DEP_1)
	v_fmac_f32_e32 v7, v8, v7
	v_mul_f32_e32 v8, v6, v7
	s_delay_alu instid0(VALU_DEP_1) | instskip(NEXT) | instid1(VALU_DEP_1)
	v_fma_f32 v9, -v6, v8, v6
	v_fmac_f32_e32 v8, v9, v7
	s_delay_alu instid0(VALU_DEP_1) | instskip(NEXT) | instid1(VALU_DEP_1)
	v_fma_f32 v6, -v6, v8, v6
	v_div_fmas_f32 v6, v6, v7, v8
	s_delay_alu instid0(VALU_DEP_1)
	v_div_fixup_f32 v1, v6, v1, v1
; %bb.785:
	s_or_b32 exec_lo, exec_lo, s2
.LBB241_786:
	s_delay_alu instid0(SALU_CYCLE_1)
	s_or_b32 exec_lo, exec_lo, s41
.LBB241_787:
	s_delay_alu instid0(SALU_CYCLE_1) | instskip(NEXT) | instid1(VALU_DEP_1)
	s_or_b32 exec_lo, exec_lo, s23
	v_cvt_f16_f32_e32 v8, v1
	v_cvt_f16_f32_e32 v2, v2
	v_and_b32_e32 v6, 0xff, v3
	v_add_co_u32 v0, s2, s4, v0
	s_delay_alu instid0(VALU_DEP_4) | instskip(NEXT) | instid1(VALU_DEP_4)
	v_lshlrev_b32_e32 v1, 16, v8
	v_and_b32_e32 v7, 0xffff, v2
	s_delay_alu instid0(VALU_DEP_4) | instskip(SKIP_2) | instid1(VALU_DEP_2)
	v_cmp_gt_i16_e32 vcc_lo, 11, v6
	s_mov_b32 s3, 0
	s_mov_b32 s23, -1
	v_or_b32_e32 v7, v1, v7
	v_add_co_ci_u32_e64 v1, null, s5, 0, s2
	s_mov_b32 s2, s38
	s_cbranch_vccnz .LBB241_794
; %bb.788:
	v_cmp_lt_i16_e32 vcc_lo, 25, v6
	s_cbranch_vccz .LBB241_835
; %bb.789:
	v_cmp_lt_i16_e32 vcc_lo, 28, v6
	s_cbranch_vccz .LBB241_836
	;; [unrolled: 3-line block ×4, first 2 shown]
; %bb.792:
	v_cmp_eq_u16_e32 vcc_lo, 46, v6
	s_mov_b32 s23, 0
	s_mov_b32 s2, -1
	s_cbranch_vccz .LBB241_839
; %bb.793:
	v_cvt_f32_f16_e32 v9, v8
	v_cvt_f32_f16_e32 v10, v2
	v_cmp_o_f16_e32 vcc_lo, v8, v8
	s_mov_b32 s3, -1
	s_mov_b32 s2, 0
	v_bfe_u32 v11, v9, 16, 1
	v_bfe_u32 v12, v10, 16, 1
	s_delay_alu instid0(VALU_DEP_2) | instskip(NEXT) | instid1(VALU_DEP_2)
	v_add3_u32 v9, v9, v11, 0x7fff
	v_add3_u32 v10, v10, v12, 0x7fff
	s_delay_alu instid0(VALU_DEP_2) | instskip(NEXT) | instid1(VALU_DEP_2)
	v_and_b32_e32 v9, 0xffff0000, v9
	v_lshrrev_b32_e32 v10, 16, v10
	s_delay_alu instid0(VALU_DEP_2) | instskip(SKIP_1) | instid1(VALU_DEP_3)
	v_cndmask_b32_e32 v9, 0x7fc00000, v9, vcc_lo
	v_cmp_o_f16_e32 vcc_lo, v2, v2
	v_cndmask_b32_e32 v10, 0x7fc0, v10, vcc_lo
	s_delay_alu instid0(VALU_DEP_1)
	v_or_b32_e32 v9, v9, v10
	global_store_b32 v[0:1], v9, off
	s_branch .LBB241_839
.LBB241_794:
	s_and_b32 vcc_lo, exec_lo, s23
	s_cbranch_vccz .LBB241_908
; %bb.795:
	v_cmp_gt_i16_e32 vcc_lo, 5, v6
	s_mov_b32 s3, -1
	s_cbranch_vccnz .LBB241_816
; %bb.796:
	v_cmp_gt_i16_e32 vcc_lo, 8, v6
	s_cbranch_vccnz .LBB241_806
; %bb.797:
	v_cmp_gt_i16_e32 vcc_lo, 9, v6
	s_cbranch_vccnz .LBB241_803
; %bb.798:
	v_cmp_lt_i16_e32 vcc_lo, 9, v6
	s_cbranch_vccz .LBB241_800
; %bb.799:
	v_cvt_f32_f16_e32 v9, v2
	v_cvt_f32_f16_e32 v11, v8
	s_mov_b32 s3, 0
	s_delay_alu instid0(VALU_DEP_2) | instskip(NEXT) | instid1(VALU_DEP_2)
	v_cvt_f64_f32_e32 v[9:10], v9
	v_cvt_f64_f32_e32 v[11:12], v11
	global_store_b128 v[0:1], v[9:12], off
.LBB241_800:
	s_and_not1_b32 vcc_lo, exec_lo, s3
	s_cbranch_vccnz .LBB241_802
; %bb.801:
	v_cvt_f32_f16_e32 v9, v2
	v_cvt_f32_f16_e32 v10, v8
	global_store_b64 v[0:1], v[9:10], off
.LBB241_802:
	s_mov_b32 s3, 0
.LBB241_803:
	s_delay_alu instid0(SALU_CYCLE_1)
	s_and_not1_b32 vcc_lo, exec_lo, s3
	s_cbranch_vccnz .LBB241_805
; %bb.804:
	global_store_b32 v[0:1], v7, off
.LBB241_805:
	s_mov_b32 s3, 0
.LBB241_806:
	s_delay_alu instid0(SALU_CYCLE_1)
	s_and_not1_b32 vcc_lo, exec_lo, s3
	s_cbranch_vccnz .LBB241_815
; %bb.807:
	v_cmp_gt_i16_e32 vcc_lo, 6, v6
	s_mov_b32 s3, -1
	s_cbranch_vccnz .LBB241_813
; %bb.808:
	v_cmp_lt_i16_e32 vcc_lo, 6, v6
	s_cbranch_vccz .LBB241_810
; %bb.809:
	v_cvt_f32_f16_e32 v7, v2
	s_mov_b32 s3, 0
	s_delay_alu instid0(VALU_DEP_1)
	v_cvt_f64_f32_e32 v[7:8], v7
	global_store_b64 v[0:1], v[7:8], off
.LBB241_810:
	s_and_not1_b32 vcc_lo, exec_lo, s3
	s_cbranch_vccnz .LBB241_812
; %bb.811:
	v_cvt_f32_f16_e32 v7, v2
	global_store_b32 v[0:1], v7, off
.LBB241_812:
	s_mov_b32 s3, 0
.LBB241_813:
	s_delay_alu instid0(SALU_CYCLE_1)
	s_and_not1_b32 vcc_lo, exec_lo, s3
	s_cbranch_vccnz .LBB241_815
; %bb.814:
	global_store_b16 v[0:1], v2, off
.LBB241_815:
	s_mov_b32 s3, 0
.LBB241_816:
	s_delay_alu instid0(SALU_CYCLE_1)
	s_and_not1_b32 vcc_lo, exec_lo, s3
	s_cbranch_vccnz .LBB241_832
; %bb.817:
	v_cmp_gt_i16_e32 vcc_lo, 2, v6
	s_mov_b32 s3, -1
	s_cbranch_vccnz .LBB241_827
; %bb.818:
	v_cmp_gt_i16_e32 vcc_lo, 3, v6
	s_cbranch_vccnz .LBB241_824
; %bb.819:
	v_cmp_lt_i16_e32 vcc_lo, 3, v6
	s_cbranch_vccz .LBB241_821
; %bb.820:
	v_cvt_f32_f16_e32 v7, v2
	s_mov_b32 s3, 0
	s_delay_alu instid0(VALU_DEP_1) | instskip(NEXT) | instid1(VALU_DEP_1)
	v_cvt_i32_f32_e32 v7, v7
	v_ashrrev_i32_e32 v8, 31, v7
	global_store_b64 v[0:1], v[7:8], off
.LBB241_821:
	s_and_not1_b32 vcc_lo, exec_lo, s3
	s_cbranch_vccnz .LBB241_823
; %bb.822:
	v_cvt_f32_f16_e32 v7, v2
	s_delay_alu instid0(VALU_DEP_1)
	v_cvt_i32_f32_e32 v7, v7
	global_store_b32 v[0:1], v7, off
.LBB241_823:
	s_mov_b32 s3, 0
.LBB241_824:
	s_delay_alu instid0(SALU_CYCLE_1)
	s_and_not1_b32 vcc_lo, exec_lo, s3
	s_cbranch_vccnz .LBB241_826
; %bb.825:
	v_cvt_i16_f16_e32 v7, v2
	global_store_b16 v[0:1], v7, off
.LBB241_826:
	s_mov_b32 s3, 0
.LBB241_827:
	s_delay_alu instid0(SALU_CYCLE_1)
	s_and_not1_b32 vcc_lo, exec_lo, s3
	s_cbranch_vccnz .LBB241_832
; %bb.828:
	v_cmp_lt_i16_e32 vcc_lo, 0, v6
	s_mov_b32 s3, -1
	s_cbranch_vccz .LBB241_830
; %bb.829:
	v_cvt_i16_f16_e32 v6, v2
	s_mov_b32 s3, 0
	global_store_b8 v[0:1], v6, off
.LBB241_830:
	s_and_not1_b32 vcc_lo, exec_lo, s3
	s_cbranch_vccnz .LBB241_832
; %bb.831:
	v_cvt_f32_f16_e32 v2, v2
	s_delay_alu instid0(VALU_DEP_1)
	v_cvt_i32_f32_e32 v2, v2
	global_store_b8 v[0:1], v2, off
.LBB241_832:
	s_branch .LBB241_909
.LBB241_833:
	s_mov_b32 s3, 0
.LBB241_834:
                                        ; implicit-def: $vgpr5
	s_branch .LBB241_910
.LBB241_835:
	s_mov_b32 s2, s38
	s_branch .LBB241_866
.LBB241_836:
	s_mov_b32 s2, s38
	s_branch .LBB241_849
.LBB241_837:
	s_mov_b32 s2, s38
	s_branch .LBB241_845
.LBB241_838:
	s_mov_b32 s2, s38
.LBB241_839:
	s_and_b32 vcc_lo, exec_lo, s23
	s_cbranch_vccz .LBB241_844
; %bb.840:
	v_cmp_eq_u16_e32 vcc_lo, 44, v6
	s_mov_b32 s2, -1
	s_cbranch_vccz .LBB241_844
; %bb.841:
	v_cvt_f32_f16_e32 v9, v2
	v_mov_b32_e32 v10, 0xff
	s_mov_b32 s3, exec_lo
	s_delay_alu instid0(VALU_DEP_2) | instskip(NEXT) | instid1(VALU_DEP_1)
	v_bfe_u32 v11, v9, 23, 8
	v_cmpx_ne_u32_e32 0xff, v11
; %bb.842:
	v_and_b32_e32 v10, 0x400000, v9
	v_and_or_b32 v11, 0x3fffff, v9, v11
	v_lshrrev_b32_e32 v9, 23, v9
	s_delay_alu instid0(VALU_DEP_3) | instskip(NEXT) | instid1(VALU_DEP_3)
	v_cmp_ne_u32_e32 vcc_lo, 0, v10
	v_cmp_ne_u32_e64 s2, 0, v11
	s_delay_alu instid0(VALU_DEP_1) | instskip(NEXT) | instid1(SALU_CYCLE_1)
	s_and_b32 s2, vcc_lo, s2
	v_cndmask_b32_e64 v10, 0, 1, s2
	s_delay_alu instid0(VALU_DEP_1)
	v_add_nc_u32_e32 v10, v9, v10
; %bb.843:
	s_or_b32 exec_lo, exec_lo, s3
	s_mov_b32 s3, -1
	s_mov_b32 s2, 0
	global_store_b8 v[0:1], v10, off
.LBB241_844:
	s_mov_b32 s23, 0
.LBB241_845:
	s_delay_alu instid0(SALU_CYCLE_1)
	s_and_b32 vcc_lo, exec_lo, s23
	s_cbranch_vccz .LBB241_848
; %bb.846:
	v_cmp_eq_u16_e32 vcc_lo, 29, v6
	s_mov_b32 s2, -1
	s_cbranch_vccz .LBB241_848
; %bb.847:
	v_cvt_f32_f16_e32 v9, v2
	v_mov_b32_e32 v10, 0
	s_mov_b32 s2, 0
	s_mov_b32 s3, -1
	s_mov_b32 s23, 0
	v_cvt_u32_f32_e32 v9, v9
	global_store_b64 v[0:1], v[9:10], off
	s_branch .LBB241_849
.LBB241_848:
	s_mov_b32 s23, 0
.LBB241_849:
	s_delay_alu instid0(SALU_CYCLE_1)
	s_and_b32 vcc_lo, exec_lo, s23
	s_cbranch_vccz .LBB241_865
; %bb.850:
	v_cmp_gt_i16_e32 vcc_lo, 27, v6
	s_mov_b32 s3, -1
	s_cbranch_vccnz .LBB241_856
; %bb.851:
	v_cmp_lt_i16_e32 vcc_lo, 27, v6
	s_cbranch_vccz .LBB241_853
; %bb.852:
	v_cvt_f32_f16_e32 v9, v2
	s_mov_b32 s3, 0
	s_delay_alu instid0(VALU_DEP_1)
	v_cvt_u32_f32_e32 v9, v9
	global_store_b32 v[0:1], v9, off
.LBB241_853:
	s_and_not1_b32 vcc_lo, exec_lo, s3
	s_cbranch_vccnz .LBB241_855
; %bb.854:
	v_cvt_u16_f16_e32 v9, v2
	global_store_b16 v[0:1], v9, off
.LBB241_855:
	s_mov_b32 s3, 0
.LBB241_856:
	s_delay_alu instid0(SALU_CYCLE_1)
	s_and_not1_b32 vcc_lo, exec_lo, s3
	s_cbranch_vccnz .LBB241_864
; %bb.857:
	v_cvt_f32_f16_e32 v9, v2
	v_mov_b32_e32 v11, 0x80
	s_mov_b32 s3, exec_lo
	s_delay_alu instid0(VALU_DEP_2) | instskip(NEXT) | instid1(VALU_DEP_1)
	v_and_b32_e32 v10, 0x7fffffff, v9
	v_cmpx_gt_u32_e32 0x43800000, v10
	s_cbranch_execz .LBB241_863
; %bb.858:
	v_cmp_lt_u32_e32 vcc_lo, 0x3bffffff, v10
	s_mov_b32 s23, 0
                                        ; implicit-def: $vgpr10
	s_and_saveexec_b32 s41, vcc_lo
	s_delay_alu instid0(SALU_CYCLE_1)
	s_xor_b32 s41, exec_lo, s41
	s_cbranch_execz .LBB241_937
; %bb.859:
	v_bfe_u32 v10, v9, 20, 1
	s_mov_b32 s23, exec_lo
	s_delay_alu instid0(VALU_DEP_1) | instskip(NEXT) | instid1(VALU_DEP_1)
	v_add3_u32 v10, v9, v10, 0x487ffff
	v_lshrrev_b32_e32 v10, 20, v10
	s_or_saveexec_b32 s41, s41
                                        ; implicit-def: $sgpr42
	s_delay_alu instid0(SALU_CYCLE_1)
	s_xor_b32 exec_lo, exec_lo, s41
	s_cbranch_execnz .LBB241_938
.LBB241_860:
	s_or_b32 exec_lo, exec_lo, s41
	v_mov_b32_e32 v11, s42
	s_and_saveexec_b32 s41, s23
.LBB241_861:
	v_lshrrev_b32_e32 v9, 24, v9
	s_delay_alu instid0(VALU_DEP_1)
	v_and_or_b32 v11, 0x80, v9, v10
.LBB241_862:
	s_or_b32 exec_lo, exec_lo, s41
.LBB241_863:
	s_delay_alu instid0(SALU_CYCLE_1)
	s_or_b32 exec_lo, exec_lo, s3
	global_store_b8 v[0:1], v11, off
.LBB241_864:
	s_mov_b32 s3, -1
.LBB241_865:
	s_mov_b32 s23, 0
.LBB241_866:
	s_delay_alu instid0(SALU_CYCLE_1)
	s_and_b32 vcc_lo, exec_lo, s23
	s_cbranch_vccz .LBB241_907
; %bb.867:
	v_cmp_lt_i16_e32 vcc_lo, 22, v6
	s_mov_b32 s23, -1
	s_cbranch_vccz .LBB241_899
; %bb.868:
	v_cmp_gt_i16_e32 vcc_lo, 24, v6
	s_mov_b32 s3, -1
	s_cbranch_vccnz .LBB241_888
; %bb.869:
	v_cmp_lt_i16_e32 vcc_lo, 24, v6
	s_cbranch_vccz .LBB241_877
; %bb.870:
	v_cvt_f32_f16_e32 v9, v2
	v_mov_b32_e32 v11, 0x80
	s_mov_b32 s3, exec_lo
	s_delay_alu instid0(VALU_DEP_2) | instskip(NEXT) | instid1(VALU_DEP_1)
	v_and_b32_e32 v10, 0x7fffffff, v9
	v_cmpx_gt_u32_e32 0x47800000, v10
	s_cbranch_execz .LBB241_876
; %bb.871:
	v_cmp_lt_u32_e32 vcc_lo, 0x37ffffff, v10
	s_mov_b32 s23, 0
                                        ; implicit-def: $vgpr10
	s_and_saveexec_b32 s41, vcc_lo
	s_delay_alu instid0(SALU_CYCLE_1)
	s_xor_b32 s41, exec_lo, s41
	s_cbranch_execz .LBB241_940
; %bb.872:
	v_bfe_u32 v10, v9, 21, 1
	s_mov_b32 s23, exec_lo
	s_delay_alu instid0(VALU_DEP_1) | instskip(NEXT) | instid1(VALU_DEP_1)
	v_add3_u32 v10, v9, v10, 0x88fffff
	v_lshrrev_b32_e32 v10, 21, v10
	s_or_saveexec_b32 s41, s41
                                        ; implicit-def: $sgpr42
	s_delay_alu instid0(SALU_CYCLE_1)
	s_xor_b32 exec_lo, exec_lo, s41
	s_cbranch_execnz .LBB241_941
.LBB241_873:
	s_or_b32 exec_lo, exec_lo, s41
	v_mov_b32_e32 v11, s42
	s_and_saveexec_b32 s41, s23
.LBB241_874:
	v_lshrrev_b32_e32 v9, 24, v9
	s_delay_alu instid0(VALU_DEP_1)
	v_and_or_b32 v11, 0x80, v9, v10
.LBB241_875:
	s_or_b32 exec_lo, exec_lo, s41
.LBB241_876:
	s_delay_alu instid0(SALU_CYCLE_1)
	s_or_b32 exec_lo, exec_lo, s3
	s_mov_b32 s3, 0
	global_store_b8 v[0:1], v11, off
.LBB241_877:
	s_and_b32 vcc_lo, exec_lo, s3
	s_cbranch_vccz .LBB241_887
; %bb.878:
	v_cvt_f32_f16_e32 v9, v2
	s_mov_b32 s3, exec_lo
                                        ; implicit-def: $vgpr10
	s_delay_alu instid0(VALU_DEP_1) | instskip(NEXT) | instid1(VALU_DEP_1)
	v_and_b32_e32 v11, 0x7fffffff, v9
	v_cmpx_gt_u32_e32 0x43f00000, v11
	s_xor_b32 s3, exec_lo, s3
	s_cbranch_execz .LBB241_884
; %bb.879:
	s_mov_b32 s23, exec_lo
                                        ; implicit-def: $vgpr10
	v_cmpx_lt_u32_e32 0x3c7fffff, v11
	s_xor_b32 s23, exec_lo, s23
; %bb.880:
	v_bfe_u32 v10, v9, 20, 1
	s_delay_alu instid0(VALU_DEP_1) | instskip(NEXT) | instid1(VALU_DEP_1)
	v_add3_u32 v10, v9, v10, 0x407ffff
	v_and_b32_e32 v11, 0xff00000, v10
	v_lshrrev_b32_e32 v10, 20, v10
	s_delay_alu instid0(VALU_DEP_2) | instskip(NEXT) | instid1(VALU_DEP_2)
	v_cmp_ne_u32_e32 vcc_lo, 0x7f00000, v11
	v_cndmask_b32_e32 v10, 0x7e, v10, vcc_lo
; %bb.881:
	s_and_not1_saveexec_b32 s23, s23
; %bb.882:
	v_add_f32_e64 v10, 0x46800000, |v9|
; %bb.883:
	s_or_b32 exec_lo, exec_lo, s23
                                        ; implicit-def: $vgpr11
.LBB241_884:
	s_and_not1_saveexec_b32 s3, s3
; %bb.885:
	v_mov_b32_e32 v10, 0x7f
	v_cmp_lt_u32_e32 vcc_lo, 0x7f800000, v11
	s_delay_alu instid0(VALU_DEP_2)
	v_cndmask_b32_e32 v10, 0x7e, v10, vcc_lo
; %bb.886:
	s_or_b32 exec_lo, exec_lo, s3
	v_lshrrev_b32_e32 v9, 24, v9
	s_delay_alu instid0(VALU_DEP_1)
	v_and_or_b32 v9, 0x80, v9, v10
	global_store_b8 v[0:1], v9, off
.LBB241_887:
	s_mov_b32 s3, 0
.LBB241_888:
	s_delay_alu instid0(SALU_CYCLE_1)
	s_and_not1_b32 vcc_lo, exec_lo, s3
	s_cbranch_vccnz .LBB241_898
; %bb.889:
	v_cvt_f32_f16_e32 v9, v2
	s_mov_b32 s3, exec_lo
                                        ; implicit-def: $vgpr10
	s_delay_alu instid0(VALU_DEP_1) | instskip(NEXT) | instid1(VALU_DEP_1)
	v_and_b32_e32 v11, 0x7fffffff, v9
	v_cmpx_gt_u32_e32 0x47800000, v11
	s_xor_b32 s3, exec_lo, s3
	s_cbranch_execz .LBB241_895
; %bb.890:
	s_mov_b32 s23, exec_lo
                                        ; implicit-def: $vgpr10
	v_cmpx_lt_u32_e32 0x387fffff, v11
	s_xor_b32 s23, exec_lo, s23
; %bb.891:
	v_bfe_u32 v10, v9, 21, 1
	s_delay_alu instid0(VALU_DEP_1) | instskip(NEXT) | instid1(VALU_DEP_1)
	v_add3_u32 v10, v9, v10, 0x80fffff
	v_lshrrev_b32_e32 v10, 21, v10
; %bb.892:
	s_and_not1_saveexec_b32 s23, s23
; %bb.893:
	v_add_f32_e64 v10, 0x43000000, |v9|
; %bb.894:
	s_or_b32 exec_lo, exec_lo, s23
                                        ; implicit-def: $vgpr11
.LBB241_895:
	s_and_not1_saveexec_b32 s3, s3
; %bb.896:
	v_mov_b32_e32 v10, 0x7f
	v_cmp_lt_u32_e32 vcc_lo, 0x7f800000, v11
	s_delay_alu instid0(VALU_DEP_2)
	v_cndmask_b32_e32 v10, 0x7c, v10, vcc_lo
; %bb.897:
	s_or_b32 exec_lo, exec_lo, s3
	v_lshrrev_b32_e32 v9, 24, v9
	s_delay_alu instid0(VALU_DEP_1)
	v_and_or_b32 v9, 0x80, v9, v10
	global_store_b8 v[0:1], v9, off
.LBB241_898:
	s_mov_b32 s23, 0
	s_mov_b32 s3, -1
.LBB241_899:
	s_and_not1_b32 vcc_lo, exec_lo, s23
	s_cbranch_vccnz .LBB241_907
; %bb.900:
	v_cmp_lt_i16_e32 vcc_lo, 14, v6
	s_mov_b32 s23, -1
	s_cbranch_vccz .LBB241_904
; %bb.901:
	v_cmp_eq_u16_e32 vcc_lo, 15, v6
	s_mov_b32 s2, -1
	s_cbranch_vccz .LBB241_903
; %bb.902:
	v_cvt_f32_f16_e32 v9, v2
	v_cmp_o_f16_e32 vcc_lo, v2, v2
	s_mov_b32 s3, -1
	s_mov_b32 s2, 0
	s_delay_alu instid0(VALU_DEP_2) | instskip(NEXT) | instid1(VALU_DEP_1)
	v_bfe_u32 v10, v9, 16, 1
	v_add3_u32 v9, v9, v10, 0x7fff
	s_delay_alu instid0(VALU_DEP_1) | instskip(NEXT) | instid1(VALU_DEP_1)
	v_lshrrev_b32_e32 v9, 16, v9
	v_cndmask_b32_e32 v9, 0x7fc0, v9, vcc_lo
	global_store_b16 v[0:1], v9, off
.LBB241_903:
	s_mov_b32 s23, 0
.LBB241_904:
	s_delay_alu instid0(SALU_CYCLE_1)
	s_and_b32 vcc_lo, exec_lo, s23
	s_cbranch_vccz .LBB241_907
; %bb.905:
	v_cmp_eq_u16_e32 vcc_lo, 11, v6
	s_mov_b32 s2, -1
	s_cbranch_vccz .LBB241_907
; %bb.906:
	v_and_b32_e32 v9, 0x7fff7fff, v7
	s_mov_b32 s2, 0
	s_mov_b32 s3, -1
	s_delay_alu instid0(VALU_DEP_1)
	v_cmp_ne_u32_e32 vcc_lo, 0, v9
	v_cndmask_b32_e64 v9, 0, 1, vcc_lo
	global_store_b8 v[0:1], v9, off
.LBB241_907:
.LBB241_908:
	s_and_not1_b32 vcc_lo, exec_lo, s3
	s_cbranch_vccnz .LBB241_833
.LBB241_909:
	v_add_nc_u32_e32 v5, 0x80, v5
	s_mov_b32 s3, -1
.LBB241_910:
	s_and_not1_b32 s23, s38, exec_lo
	s_and_b32 s2, s2, exec_lo
	s_and_not1_b32 s41, s37, exec_lo
	s_and_b32 s22, s22, exec_lo
	s_or_b32 s23, s23, s2
	s_or_b32 s22, s41, s22
	s_or_not1_b32 s42, s3, exec_lo
.LBB241_911:
	s_or_b32 exec_lo, exec_lo, s40
	s_mov_b32 s2, 0
	s_mov_b32 s3, 0
	;; [unrolled: 1-line block ×3, first 2 shown]
                                        ; implicit-def: $vgpr1_vgpr2
                                        ; implicit-def: $vgpr0
                                        ; implicit-def: $vgpr8
                                        ; implicit-def: $vgpr6
	s_and_saveexec_b32 s40, s42
	s_cbranch_execz .LBB241_1012
; %bb.912:
	v_cmp_gt_i32_e32 vcc_lo, s30, v5
	s_mov_b32 s43, s22
	s_mov_b32 s42, 0
                                        ; implicit-def: $vgpr1_vgpr2
                                        ; implicit-def: $vgpr0
                                        ; implicit-def: $vgpr8
                                        ; implicit-def: $vgpr6
	s_and_saveexec_b32 s30, vcc_lo
	s_cbranch_execz .LBB241_1011
; %bb.913:
	s_and_not1_b32 vcc_lo, exec_lo, s27
	s_cbranch_vccnz .LBB241_918
; %bb.914:
	v_dual_mov_b32 v0, 0 :: v_dual_mov_b32 v1, 0
	s_and_not1_b32 vcc_lo, exec_lo, s33
	s_mov_b32 s33, 0
	s_cbranch_vccnz .LBB241_923
; %bb.915:
	v_mov_b32_e32 v0, 0
	s_add_i32 s41, s31, 1
	s_cmp_eq_u32 s25, 2
	s_mov_b32 s31, 0
	s_cbranch_scc1 .LBB241_919
; %bb.916:
	v_dual_mov_b32 v1, 0 :: v_dual_mov_b32 v0, 0
	v_mov_b32_e32 v2, v5
	s_and_b32 s31, s41, 28
	s_mov_b64 s[2:3], s[16:17]
.LBB241_917:                            ; =>This Inner Loop Header: Depth=1
	s_clause 0x1
	s_load_b256 s[44:51], s[2:3], 0x4
	s_load_b128 s[60:63], s[2:3], 0x24
	s_load_b256 s[52:59], s[20:21], 0x0
	s_add_u32 s2, s2, 48
	s_addc_u32 s3, s3, 0
	s_add_i32 s42, s42, 4
	s_add_u32 s20, s20, 32
	s_addc_u32 s21, s21, 0
	s_cmp_eq_u32 s31, s42
	s_waitcnt vmcnt(0) lgkmcnt(0)
	v_mul_hi_u32 v6, s45, v2
	s_delay_alu instid0(VALU_DEP_1) | instskip(NEXT) | instid1(VALU_DEP_1)
	v_add_nc_u32_e32 v6, v2, v6
	v_lshrrev_b32_e32 v6, s46, v6
	s_delay_alu instid0(VALU_DEP_1) | instskip(SKIP_1) | instid1(VALU_DEP_2)
	v_mul_hi_u32 v7, s48, v6
	v_mul_lo_u32 v9, v6, s44
	v_add_nc_u32_e32 v7, v6, v7
	s_delay_alu instid0(VALU_DEP_2) | instskip(NEXT) | instid1(VALU_DEP_2)
	v_sub_nc_u32_e32 v2, v2, v9
	v_lshrrev_b32_e32 v7, s49, v7
	s_delay_alu instid0(VALU_DEP_2) | instskip(SKIP_1) | instid1(VALU_DEP_3)
	v_mul_lo_u32 v9, v2, s52
	v_mul_lo_u32 v11, v2, s53
	v_mul_hi_u32 v8, s51, v7
	s_delay_alu instid0(VALU_DEP_1) | instskip(NEXT) | instid1(VALU_DEP_1)
	v_add_nc_u32_e32 v8, v7, v8
	v_lshrrev_b32_e32 v8, s60, v8
	s_delay_alu instid0(VALU_DEP_1) | instskip(SKIP_1) | instid1(VALU_DEP_2)
	v_mul_hi_u32 v10, s62, v8
	v_mul_lo_u32 v12, v8, s50
	v_add_nc_u32_e32 v2, v8, v10
	v_mul_lo_u32 v10, v7, s47
	s_delay_alu instid0(VALU_DEP_3) | instskip(NEXT) | instid1(VALU_DEP_3)
	v_sub_nc_u32_e32 v7, v7, v12
	v_lshrrev_b32_e32 v2, s63, v2
	s_delay_alu instid0(VALU_DEP_2) | instskip(SKIP_2) | instid1(VALU_DEP_4)
	v_mul_lo_u32 v12, v7, s56
	v_mul_lo_u32 v7, v7, s57
	v_sub_nc_u32_e32 v6, v6, v10
	v_mul_lo_u32 v13, v2, s61
	s_delay_alu instid0(VALU_DEP_2) | instskip(SKIP_1) | instid1(VALU_DEP_3)
	v_mul_lo_u32 v10, v6, s54
	v_mul_lo_u32 v6, v6, s55
	v_sub_nc_u32_e32 v8, v8, v13
	s_delay_alu instid0(VALU_DEP_3) | instskip(NEXT) | instid1(VALU_DEP_2)
	v_add3_u32 v0, v9, v0, v10
	v_mul_lo_u32 v13, v8, s58
	v_mul_lo_u32 v8, v8, s59
	v_add3_u32 v1, v11, v1, v6
	s_delay_alu instid0(VALU_DEP_3) | instskip(NEXT) | instid1(VALU_DEP_2)
	v_add3_u32 v0, v12, v0, v13
	v_add3_u32 v1, v7, v1, v8
	s_cbranch_scc0 .LBB241_917
	s_branch .LBB241_920
.LBB241_918:
	s_mov_b32 s33, -1
                                        ; implicit-def: $vgpr0
                                        ; implicit-def: $vgpr1
	s_branch .LBB241_923
.LBB241_919:
	v_dual_mov_b32 v2, v5 :: v_dual_mov_b32 v1, 0
.LBB241_920:
	s_and_b32 s41, s41, 3
	s_delay_alu instid0(SALU_CYCLE_1)
	s_cmp_eq_u32 s41, 0
	s_cbranch_scc1 .LBB241_923
; %bb.921:
	s_lshl_b32 s2, s31, 3
	s_mul_i32 s20, s31, 12
	s_add_u32 s2, s2, s16
	s_addc_u32 s3, s17, 0
	s_add_u32 s2, s2, 0xc4
	s_addc_u32 s3, s3, 0
	;; [unrolled: 2-line block ×3, first 2 shown]
.LBB241_922:                            ; =>This Inner Loop Header: Depth=1
	s_clause 0x1
	s_load_b64 s[42:43], s[20:21], 0x4
	s_load_b32 s31, s[20:21], 0xc
	s_load_b64 s[44:45], s[2:3], 0x0
	s_add_u32 s20, s20, 12
	s_addc_u32 s21, s21, 0
	s_add_u32 s2, s2, 8
	s_addc_u32 s3, s3, 0
	s_add_i32 s41, s41, -1
	s_delay_alu instid0(SALU_CYCLE_1) | instskip(SKIP_2) | instid1(VALU_DEP_1)
	s_cmp_lg_u32 s41, 0
	s_waitcnt vmcnt(0) lgkmcnt(0)
	v_mul_hi_u32 v6, s43, v2
	v_add_nc_u32_e32 v6, v2, v6
	s_delay_alu instid0(VALU_DEP_1) | instskip(NEXT) | instid1(VALU_DEP_1)
	v_lshrrev_b32_e32 v9, s31, v6
	v_mul_lo_u32 v6, v9, s42
	s_delay_alu instid0(VALU_DEP_1) | instskip(NEXT) | instid1(VALU_DEP_1)
	v_sub_nc_u32_e32 v2, v2, v6
	v_mad_u64_u32 v[6:7], null, v2, s44, v[0:1]
	v_mad_u64_u32 v[7:8], null, v2, s45, v[1:2]
	v_mov_b32_e32 v2, v9
	s_delay_alu instid0(VALU_DEP_2)
	v_dual_mov_b32 v0, v6 :: v_dual_mov_b32 v1, v7
	s_cbranch_scc1 .LBB241_922
.LBB241_923:
	s_and_not1_b32 vcc_lo, exec_lo, s33
	s_cbranch_vccnz .LBB241_926
; %bb.924:
	s_waitcnt lgkmcnt(0)
	v_mul_hi_u32 v0, s13, v5
	s_and_not1_b32 vcc_lo, exec_lo, s29
	s_delay_alu instid0(VALU_DEP_1) | instskip(NEXT) | instid1(VALU_DEP_1)
	v_add_nc_u32_e32 v0, v5, v0
	v_lshrrev_b32_e32 v2, s14, v0
	s_delay_alu instid0(VALU_DEP_1) | instskip(NEXT) | instid1(VALU_DEP_1)
	v_mul_lo_u32 v0, v2, s12
	v_sub_nc_u32_e32 v1, v5, v0
	s_delay_alu instid0(VALU_DEP_1)
	v_mul_lo_u32 v0, v1, s8
	v_mul_lo_u32 v1, v1, s9
	s_cbranch_vccnz .LBB241_926
; %bb.925:
	v_mul_hi_u32 v5, s18, v2
	s_delay_alu instid0(VALU_DEP_1) | instskip(NEXT) | instid1(VALU_DEP_1)
	v_add_nc_u32_e32 v5, v2, v5
	v_lshrrev_b32_e32 v5, s19, v5
	s_delay_alu instid0(VALU_DEP_1) | instskip(NEXT) | instid1(VALU_DEP_1)
	v_mul_lo_u32 v5, v5, s15
	v_sub_nc_u32_e32 v2, v2, v5
	s_waitcnt vmcnt(0)
	s_delay_alu instid0(VALU_DEP_1) | instskip(SKIP_1) | instid1(VALU_DEP_1)
	v_mad_u64_u32 v[5:6], null, v2, s10, v[0:1]
	v_mad_u64_u32 v[6:7], null, v2, s11, v[1:2]
	v_dual_mov_b32 v0, v5 :: v_dual_mov_b32 v1, v6
.LBB241_926:
	v_cmp_gt_i16_e32 vcc_lo, 11, v4
	s_waitcnt lgkmcnt(0)
	s_delay_alu instid0(VALU_DEP_2) | instskip(NEXT) | instid1(VALU_DEP_1)
	v_add_co_u32 v1, s2, s6, v1
	v_add_co_ci_u32_e64 v2, null, s7, 0, s2
	s_mov_b32 s6, 0
	s_cbranch_vccnz .LBB241_933
; %bb.927:
	v_cmp_lt_i16_e32 vcc_lo, 25, v4
	s_mov_b32 s3, 0
	s_cbranch_vccz .LBB241_934
; %bb.928:
	v_cmp_lt_i16_e32 vcc_lo, 28, v4
	s_cbranch_vccz .LBB241_935
; %bb.929:
	v_cmp_lt_i16_e32 vcc_lo, 43, v4
	;; [unrolled: 3-line block ×3, first 2 shown]
	s_cbranch_vccz .LBB241_939
; %bb.931:
	v_cmp_eq_u16_e32 vcc_lo, 46, v4
	s_mov_b32 s7, 0
	s_cbranch_vccz .LBB241_942
; %bb.932:
	global_load_b32 v5, v[1:2], off
	s_mov_b32 s2, 0
	s_mov_b32 s6, -1
	s_waitcnt vmcnt(0)
	v_lshlrev_b32_e32 v6, 16, v5
	v_and_b32_e32 v5, 0xffff0000, v5
	s_delay_alu instid0(VALU_DEP_2) | instskip(NEXT) | instid1(VALU_DEP_2)
	v_cvt_f16_f32_e32 v6, v6
	v_cvt_f16_f32_e32 v8, v5
	s_branch .LBB241_944
.LBB241_933:
	s_mov_b32 s7, -1
	s_mov_b32 s3, 0
	s_mov_b32 s2, s22
                                        ; implicit-def: $vgpr8
                                        ; implicit-def: $vgpr6
	s_branch .LBB241_1010
.LBB241_934:
	s_mov_b32 s7, -1
	s_mov_b32 s2, s22
                                        ; implicit-def: $vgpr8
                                        ; implicit-def: $vgpr6
	s_branch .LBB241_977
.LBB241_935:
	s_mov_b32 s7, -1
	s_mov_b32 s2, s22
                                        ; implicit-def: $vgpr8
                                        ; implicit-def: $vgpr6
	s_branch .LBB241_956
.LBB241_936:
	s_mov_b32 s7, -1
	s_mov_b32 s2, s22
                                        ; implicit-def: $vgpr8
                                        ; implicit-def: $vgpr6
	s_branch .LBB241_950
.LBB241_937:
	s_or_saveexec_b32 s41, s41
                                        ; implicit-def: $sgpr42
	s_delay_alu instid0(SALU_CYCLE_1)
	s_xor_b32 exec_lo, exec_lo, s41
	s_cbranch_execz .LBB241_860
.LBB241_938:
	v_add_f32_e64 v10, 0x46000000, |v9|
	s_and_not1_b32 s23, s23, exec_lo
	s_mov_b32 s42, 0
	s_delay_alu instid0(VALU_DEP_1) | instskip(NEXT) | instid1(VALU_DEP_1)
	v_and_b32_e32 v10, 0xff, v10
	v_cmp_ne_u32_e32 vcc_lo, 0, v10
	s_and_b32 s43, vcc_lo, exec_lo
	s_delay_alu instid0(SALU_CYCLE_1)
	s_or_b32 s23, s23, s43
	s_or_b32 exec_lo, exec_lo, s41
	v_mov_b32_e32 v11, s42
	s_and_saveexec_b32 s41, s23
	s_cbranch_execnz .LBB241_861
	s_branch .LBB241_862
.LBB241_939:
	s_mov_b32 s7, -1
	s_mov_b32 s2, s22
	s_branch .LBB241_943
.LBB241_940:
	s_or_saveexec_b32 s41, s41
                                        ; implicit-def: $sgpr42
	s_delay_alu instid0(SALU_CYCLE_1)
	s_xor_b32 exec_lo, exec_lo, s41
	s_cbranch_execz .LBB241_873
.LBB241_941:
	v_add_f32_e64 v10, 0x42800000, |v9|
	s_and_not1_b32 s23, s23, exec_lo
	s_mov_b32 s42, 0
	s_delay_alu instid0(VALU_DEP_1) | instskip(NEXT) | instid1(VALU_DEP_1)
	v_and_b32_e32 v10, 0xff, v10
	v_cmp_ne_u32_e32 vcc_lo, 0, v10
	s_and_b32 s43, vcc_lo, exec_lo
	s_delay_alu instid0(SALU_CYCLE_1)
	s_or_b32 s23, s23, s43
	s_or_b32 exec_lo, exec_lo, s41
	v_mov_b32_e32 v11, s42
	s_and_saveexec_b32 s41, s23
	s_cbranch_execnz .LBB241_874
	s_branch .LBB241_875
.LBB241_942:
	s_mov_b32 s2, -1
.LBB241_943:
                                        ; implicit-def: $vgpr8
                                        ; implicit-def: $vgpr6
.LBB241_944:
	s_and_b32 vcc_lo, exec_lo, s7
	s_cbranch_vccz .LBB241_949
; %bb.945:
	v_cmp_eq_u16_e32 vcc_lo, 44, v4
	s_cbranch_vccz .LBB241_947
; %bb.946:
	global_load_u8 v5, v[1:2], off
	s_mov_b32 s2, 0
	s_mov_b32 s6, -1
	s_waitcnt vmcnt(0)
	v_lshlrev_b32_e32 v6, 23, v5
	v_cmp_ne_u32_e32 vcc_lo, 0xff, v5
	s_delay_alu instid0(VALU_DEP_2) | instskip(NEXT) | instid1(VALU_DEP_1)
	v_cvt_f16_f32_e32 v6, v6
	v_cndmask_b32_e32 v6, 0x7e00, v6, vcc_lo
	v_cmp_ne_u32_e32 vcc_lo, 0, v5
	s_delay_alu instid0(VALU_DEP_2)
	v_cndmask_b32_e32 v6, 0, v6, vcc_lo
	s_branch .LBB241_948
.LBB241_947:
	s_mov_b32 s2, -1
                                        ; implicit-def: $vgpr6
.LBB241_948:
	s_delay_alu instid0(SALU_CYCLE_1)
	v_mov_b32_e32 v8, s2
.LBB241_949:
	s_mov_b32 s7, 0
.LBB241_950:
	s_delay_alu instid0(SALU_CYCLE_1)
	s_and_b32 vcc_lo, exec_lo, s7
	s_cbranch_vccz .LBB241_955
; %bb.951:
	v_cmp_eq_u16_e32 vcc_lo, 29, v4
	s_cbranch_vccz .LBB241_953
; %bb.952:
	global_load_b64 v[5:6], v[1:2], off
	s_mov_b32 s2, 0
	s_mov_b32 s6, -1
	s_mov_b32 s7, 0
	s_waitcnt vmcnt(0)
	v_clz_i32_u32_e32 v7, v6
	s_delay_alu instid0(VALU_DEP_1) | instskip(NEXT) | instid1(VALU_DEP_1)
	v_min_u32_e32 v7, 32, v7
	v_lshlrev_b64 v[5:6], v7, v[5:6]
	s_delay_alu instid0(VALU_DEP_1) | instskip(NEXT) | instid1(VALU_DEP_1)
	v_min_u32_e32 v5, 1, v5
	v_or_b32_e32 v5, v6, v5
	v_sub_nc_u32_e32 v6, 32, v7
	s_delay_alu instid0(VALU_DEP_2) | instskip(NEXT) | instid1(VALU_DEP_1)
	v_cvt_f32_u32_e32 v5, v5
	v_ldexp_f32 v5, v5, v6
	s_delay_alu instid0(VALU_DEP_1)
	v_cvt_f16_f32_e32 v6, v5
	s_branch .LBB241_954
.LBB241_953:
	s_mov_b32 s2, -1
                                        ; implicit-def: $sgpr7
                                        ; implicit-def: $vgpr6
.LBB241_954:
	v_mov_b32_e32 v8, s7
.LBB241_955:
	s_mov_b32 s7, 0
.LBB241_956:
	s_delay_alu instid0(SALU_CYCLE_1)
	s_and_b32 vcc_lo, exec_lo, s7
	s_cbranch_vccz .LBB241_976
; %bb.957:
	v_cmp_gt_i16_e32 vcc_lo, 27, v4
	s_cbranch_vccnz .LBB241_960
; %bb.958:
	v_cmp_lt_i16_e32 vcc_lo, 27, v4
	s_cbranch_vccz .LBB241_961
; %bb.959:
	global_load_b32 v5, v[1:2], off
	s_mov_b32 s7, 0
	s_mov_b32 s6, 0
	s_waitcnt vmcnt(0)
	v_cvt_f32_u32_e32 v5, v5
	s_delay_alu instid0(VALU_DEP_1)
	v_cvt_f16_f32_e32 v6, v5
	s_branch .LBB241_962
.LBB241_960:
	s_mov_b32 s7, -1
                                        ; implicit-def: $sgpr6
                                        ; implicit-def: $vgpr6
	s_branch .LBB241_965
.LBB241_961:
	s_mov_b32 s7, -1
                                        ; implicit-def: $sgpr6
                                        ; implicit-def: $vgpr6
.LBB241_962:
	s_delay_alu instid0(SALU_CYCLE_1)
	s_and_not1_b32 vcc_lo, exec_lo, s7
	s_cbranch_vccnz .LBB241_964
; %bb.963:
	global_load_u16 v5, v[1:2], off
	s_mov_b32 s6, 0
	s_waitcnt vmcnt(0)
	v_cvt_f16_u16_e32 v6, v5
.LBB241_964:
	s_mov_b32 s7, 0
.LBB241_965:
	v_mov_b32_e32 v8, s6
	s_and_not1_b32 vcc_lo, exec_lo, s7
	s_cbranch_vccnz .LBB241_975
; %bb.966:
	global_load_u8 v5, v[1:2], off
	s_mov_b32 s6, 0
	s_mov_b32 s9, exec_lo
                                        ; implicit-def: $sgpr8
                                        ; implicit-def: $sgpr7
	s_waitcnt vmcnt(0)
	v_cmpx_lt_i16_e32 0x7f, v5
	s_xor_b32 s9, exec_lo, s9
	s_cbranch_execz .LBB241_970
; %bb.967:
	s_mov_b32 s6, -1
	s_mov_b32 s10, exec_lo
                                        ; implicit-def: $sgpr8
                                        ; implicit-def: $sgpr7
	v_cmpx_eq_u16_e32 0x80, v5
; %bb.968:
	s_movk_i32 s7, 0x7e00
	s_mov_b32 s8, 0
	s_xor_b32 s6, exec_lo, -1
; %bb.969:
	s_or_b32 exec_lo, exec_lo, s10
	s_delay_alu instid0(SALU_CYCLE_1)
	s_and_b32 s6, s6, exec_lo
.LBB241_970:
	s_or_saveexec_b32 s9, s9
	v_mov_b32_e32 v8, s8
	v_mov_b32_e32 v6, s7
	s_xor_b32 exec_lo, exec_lo, s9
; %bb.971:
	v_cmp_ne_u16_e32 vcc_lo, 0, v5
	v_mov_b32_e32 v8, 0
	v_mov_b32_e32 v6, v5
	s_and_not1_b32 s6, s6, exec_lo
	s_and_b32 s7, vcc_lo, exec_lo
	s_delay_alu instid0(SALU_CYCLE_1)
	s_or_b32 s6, s6, s7
; %bb.972:
	s_or_b32 exec_lo, exec_lo, s9
	s_and_saveexec_b32 s7, s6
	s_cbranch_execz .LBB241_974
; %bb.973:
	v_and_b32_e32 v6, 0xffff, v5
	v_lshlrev_b32_e32 v5, 24, v5
	s_delay_alu instid0(VALU_DEP_2) | instskip(NEXT) | instid1(VALU_DEP_2)
	v_and_b32_e32 v7, 7, v6
	v_and_b32_e32 v5, 0x80000000, v5
	s_delay_alu instid0(VALU_DEP_2) | instskip(NEXT) | instid1(VALU_DEP_1)
	v_clz_i32_u32_e32 v8, v7
	v_min_u32_e32 v8, 32, v8
	s_delay_alu instid0(VALU_DEP_1) | instskip(SKIP_1) | instid1(VALU_DEP_2)
	v_subrev_nc_u32_e32 v9, 28, v8
	v_sub_nc_u32_e32 v8, 29, v8
	v_lshlrev_b32_e32 v9, v9, v6
	v_bfe_u32 v6, v6, 3, 4
	s_delay_alu instid0(VALU_DEP_1) | instskip(NEXT) | instid1(VALU_DEP_4)
	v_cmp_eq_u32_e32 vcc_lo, 0, v6
	v_cndmask_b32_e32 v6, v6, v8, vcc_lo
	s_delay_alu instid0(VALU_DEP_4) | instskip(NEXT) | instid1(VALU_DEP_2)
	v_dual_mov_b32 v8, 0 :: v_dual_and_b32 v9, 7, v9
	v_lshl_add_u32 v6, v6, 23, 0x3b800000
	s_delay_alu instid0(VALU_DEP_2) | instskip(NEXT) | instid1(VALU_DEP_1)
	v_cndmask_b32_e32 v7, v7, v9, vcc_lo
	v_lshlrev_b32_e32 v7, 20, v7
	s_delay_alu instid0(VALU_DEP_1) | instskip(NEXT) | instid1(VALU_DEP_1)
	v_or3_b32 v5, v5, v6, v7
	v_cvt_f16_f32_e32 v6, v5
.LBB241_974:
	s_or_b32 exec_lo, exec_lo, s7
.LBB241_975:
	s_mov_b32 s6, -1
.LBB241_976:
	s_mov_b32 s7, 0
.LBB241_977:
	s_delay_alu instid0(SALU_CYCLE_1)
	s_and_b32 vcc_lo, exec_lo, s7
	s_cbranch_vccz .LBB241_1009
; %bb.978:
	v_cmp_lt_i16_e32 vcc_lo, 22, v4
	s_cbranch_vccz .LBB241_990
; %bb.979:
	v_cmp_gt_i16_e32 vcc_lo, 24, v4
	s_cbranch_vccnz .LBB241_991
; %bb.980:
	v_cmp_lt_i16_e32 vcc_lo, 24, v4
	s_cbranch_vccz .LBB241_992
; %bb.981:
	global_load_u8 v5, v[1:2], off
	s_mov_b32 s8, exec_lo
                                        ; implicit-def: $sgpr7
                                        ; implicit-def: $sgpr6
	s_waitcnt vmcnt(0)
	v_cmpx_lt_i16_e32 0x7f, v5
	s_xor_b32 s8, exec_lo, s8
	s_cbranch_execz .LBB241_985
; %bb.982:
	s_mov_b32 s3, -1
	s_mov_b32 s9, exec_lo
                                        ; implicit-def: $sgpr7
                                        ; implicit-def: $sgpr6
	v_cmpx_eq_u16_e32 0x80, v5
; %bb.983:
	s_movk_i32 s6, 0x7e00
	s_mov_b32 s7, 0
	s_xor_b32 s3, exec_lo, -1
; %bb.984:
	s_or_b32 exec_lo, exec_lo, s9
	s_delay_alu instid0(SALU_CYCLE_1)
	s_and_b32 s3, s3, exec_lo
.LBB241_985:
	s_or_saveexec_b32 s8, s8
	v_mov_b32_e32 v8, s7
	v_mov_b32_e32 v6, s6
	s_xor_b32 exec_lo, exec_lo, s8
; %bb.986:
	v_cmp_ne_u16_e32 vcc_lo, 0, v5
	v_mov_b32_e32 v8, 0
	v_mov_b32_e32 v6, v5
	s_and_not1_b32 s3, s3, exec_lo
	s_and_b32 s6, vcc_lo, exec_lo
	s_delay_alu instid0(SALU_CYCLE_1)
	s_or_b32 s3, s3, s6
; %bb.987:
	s_or_b32 exec_lo, exec_lo, s8
	s_and_saveexec_b32 s6, s3
	s_cbranch_execz .LBB241_989
; %bb.988:
	v_and_b32_e32 v6, 0xffff, v5
	v_lshlrev_b32_e32 v5, 24, v5
	s_delay_alu instid0(VALU_DEP_2) | instskip(NEXT) | instid1(VALU_DEP_2)
	v_and_b32_e32 v7, 3, v6
	v_and_b32_e32 v5, 0x80000000, v5
	s_delay_alu instid0(VALU_DEP_2) | instskip(NEXT) | instid1(VALU_DEP_1)
	v_clz_i32_u32_e32 v8, v7
	v_min_u32_e32 v8, 32, v8
	s_delay_alu instid0(VALU_DEP_1) | instskip(SKIP_1) | instid1(VALU_DEP_2)
	v_subrev_nc_u32_e32 v9, 29, v8
	v_sub_nc_u32_e32 v8, 30, v8
	v_lshlrev_b32_e32 v9, v9, v6
	v_bfe_u32 v6, v6, 2, 5
	s_delay_alu instid0(VALU_DEP_1) | instskip(NEXT) | instid1(VALU_DEP_4)
	v_cmp_eq_u32_e32 vcc_lo, 0, v6
	v_cndmask_b32_e32 v6, v6, v8, vcc_lo
	s_delay_alu instid0(VALU_DEP_4) | instskip(NEXT) | instid1(VALU_DEP_2)
	v_dual_mov_b32 v8, 0 :: v_dual_and_b32 v9, 3, v9
	v_lshl_add_u32 v6, v6, 23, 0x37800000
	s_delay_alu instid0(VALU_DEP_2) | instskip(NEXT) | instid1(VALU_DEP_1)
	v_cndmask_b32_e32 v7, v7, v9, vcc_lo
	v_lshlrev_b32_e32 v7, 21, v7
	s_delay_alu instid0(VALU_DEP_1) | instskip(NEXT) | instid1(VALU_DEP_1)
	v_or3_b32 v5, v5, v6, v7
	v_cvt_f16_f32_e32 v6, v5
.LBB241_989:
	s_or_b32 exec_lo, exec_lo, s6
	s_mov_b32 s3, 0
	s_branch .LBB241_993
.LBB241_990:
	s_mov_b32 s3, -1
                                        ; implicit-def: $vgpr8
                                        ; implicit-def: $vgpr6
	s_branch .LBB241_999
.LBB241_991:
	s_mov_b32 s3, -1
                                        ; implicit-def: $vgpr8
                                        ; implicit-def: $vgpr6
	s_branch .LBB241_996
.LBB241_992:
	s_mov_b32 s3, -1
                                        ; implicit-def: $vgpr8
                                        ; implicit-def: $vgpr6
.LBB241_993:
	s_delay_alu instid0(SALU_CYCLE_1)
	s_and_b32 vcc_lo, exec_lo, s3
	s_cbranch_vccz .LBB241_995
; %bb.994:
	global_load_u8 v5, v[1:2], off
	s_waitcnt vmcnt(0)
	v_lshlrev_b32_e32 v5, 24, v5
	s_delay_alu instid0(VALU_DEP_1) | instskip(NEXT) | instid1(VALU_DEP_1)
	v_and_b32_e32 v6, 0x7f000000, v5
	v_clz_i32_u32_e32 v7, v6
	v_add_nc_u32_e32 v9, 0x1000000, v6
	v_cmp_ne_u32_e32 vcc_lo, 0, v6
	s_delay_alu instid0(VALU_DEP_3) | instskip(NEXT) | instid1(VALU_DEP_1)
	v_min_u32_e32 v7, 32, v7
	v_sub_nc_u32_e64 v7, v7, 4 clamp
	s_delay_alu instid0(VALU_DEP_1) | instskip(SKIP_1) | instid1(VALU_DEP_2)
	v_lshlrev_b32_e32 v8, v7, v6
	v_lshlrev_b32_e32 v7, 23, v7
	v_lshrrev_b32_e32 v8, 4, v8
	s_delay_alu instid0(VALU_DEP_1) | instskip(SKIP_1) | instid1(VALU_DEP_2)
	v_sub_nc_u32_e32 v7, v8, v7
	v_ashrrev_i32_e32 v8, 8, v9
	v_add_nc_u32_e32 v7, 0x3c000000, v7
	s_delay_alu instid0(VALU_DEP_1) | instskip(SKIP_1) | instid1(VALU_DEP_2)
	v_and_or_b32 v7, 0x7f800000, v8, v7
	v_mov_b32_e32 v8, 0
	v_cndmask_b32_e32 v6, 0, v7, vcc_lo
	s_delay_alu instid0(VALU_DEP_1) | instskip(NEXT) | instid1(VALU_DEP_1)
	v_and_or_b32 v5, 0x80000000, v5, v6
	v_cvt_f16_f32_e32 v6, v5
.LBB241_995:
	s_mov_b32 s3, 0
.LBB241_996:
	s_delay_alu instid0(SALU_CYCLE_1)
	s_and_not1_b32 vcc_lo, exec_lo, s3
	s_cbranch_vccnz .LBB241_998
; %bb.997:
	global_load_u8 v5, v[1:2], off
	s_waitcnt vmcnt(0)
	v_lshlrev_b32_e32 v6, 25, v5
	v_lshlrev_b16 v5, 8, v5
	s_delay_alu instid0(VALU_DEP_2) | instskip(NEXT) | instid1(VALU_DEP_2)
	v_lshrrev_b32_e32 v7, 4, v6
	v_and_or_b32 v8, 0x7f00, v5, 0.5
	v_bfe_i32 v5, v5, 0, 16
	s_delay_alu instid0(VALU_DEP_3) | instskip(NEXT) | instid1(VALU_DEP_1)
	v_or_b32_e32 v7, 0x70000000, v7
	v_dual_add_f32 v8, -0.5, v8 :: v_dual_mul_f32 v7, 0x7800000, v7
	v_cmp_gt_u32_e32 vcc_lo, 0x8000000, v6
	s_delay_alu instid0(VALU_DEP_2) | instskip(SKIP_1) | instid1(VALU_DEP_2)
	v_cndmask_b32_e32 v6, v7, v8, vcc_lo
	v_mov_b32_e32 v8, 0
	v_and_or_b32 v5, 0x80000000, v5, v6
	s_delay_alu instid0(VALU_DEP_1)
	v_cvt_f16_f32_e32 v6, v5
.LBB241_998:
	s_mov_b32 s3, 0
	s_mov_b32 s6, -1
.LBB241_999:
	s_and_not1_b32 vcc_lo, exec_lo, s3
	s_mov_b32 s3, 0
	s_cbranch_vccnz .LBB241_1009
; %bb.1000:
	v_cmp_lt_i16_e32 vcc_lo, 14, v4
	s_cbranch_vccz .LBB241_1003
; %bb.1001:
	v_cmp_eq_u16_e32 vcc_lo, 15, v4
	s_cbranch_vccz .LBB241_1004
; %bb.1002:
	global_load_u16 v5, v[1:2], off
	s_mov_b32 s2, 0
	s_mov_b32 s6, -1
	s_mov_b32 s7, 0
	s_waitcnt vmcnt(0)
	v_lshlrev_b32_e32 v5, 16, v5
	s_delay_alu instid0(VALU_DEP_1)
	v_cvt_f16_f32_e32 v6, v5
	s_branch .LBB241_1006
.LBB241_1003:
	s_mov_b32 s3, -1
	s_branch .LBB241_1005
.LBB241_1004:
	s_mov_b32 s2, -1
.LBB241_1005:
                                        ; implicit-def: $sgpr7
                                        ; implicit-def: $vgpr6
.LBB241_1006:
	s_and_b32 vcc_lo, exec_lo, s3
	s_mov_b32 s3, 0
	s_cbranch_vccz .LBB241_1008
; %bb.1007:
	v_cmp_ne_u16_e32 vcc_lo, 11, v4
	s_and_not1_b32 s2, s2, exec_lo
	s_mov_b32 s3, -1
                                        ; implicit-def: $vgpr6
	s_and_b32 s7, vcc_lo, exec_lo
	s_delay_alu instid0(SALU_CYCLE_1)
	s_or_b32 s2, s2, s7
                                        ; implicit-def: $sgpr7
.LBB241_1008:
	v_mov_b32_e32 v8, s7
.LBB241_1009:
	s_mov_b32 s7, 0
.LBB241_1010:
	s_and_b32 s41, s6, exec_lo
	s_and_b32 s42, s7, exec_lo
	s_and_not1_b32 s6, s22, exec_lo
	s_and_b32 s7, s2, exec_lo
	s_and_b32 s2, s3, exec_lo
	s_or_b32 s43, s6, s7
.LBB241_1011:
	s_or_b32 exec_lo, exec_lo, s30
	s_waitcnt lgkmcnt(0)
	s_and_not1_b32 s6, s22, exec_lo
	s_and_b32 s7, s43, exec_lo
	s_and_b32 s41, s41, exec_lo
	;; [unrolled: 1-line block ×4, first 2 shown]
	s_or_b32 s22, s6, s7
.LBB241_1012:
	s_or_b32 exec_lo, exec_lo, s40
	s_waitcnt lgkmcnt(0)
	s_and_not1_b32 s6, s38, exec_lo
	s_and_b32 s7, s23, exec_lo
	s_and_b32 s40, s41, exec_lo
	s_or_b32 s38, s6, s7
	s_and_not1_b32 s6, s37, exec_lo
	s_and_b32 s7, s22, exec_lo
	s_and_b32 s23, s3, exec_lo
	;; [unrolled: 1-line block ×3, first 2 shown]
	s_or_b32 s37, s6, s7
.LBB241_1013:
	s_or_b32 exec_lo, exec_lo, s39
	s_delay_alu instid0(SALU_CYCLE_1)
	s_and_not1_b32 s2, s34, exec_lo
	s_waitcnt lgkmcnt(0)
	s_and_b32 s6, s38, exec_lo
	s_and_b32 s7, s37, exec_lo
	s_or_b32 s34, s2, s6
	s_and_not1_b32 s6, s35, exec_lo
	s_and_b32 s2, s40, exec_lo
	s_and_b32 s22, s23, exec_lo
	s_and_b32 s37, s3, exec_lo
	s_or_b32 s35, s6, s7
.LBB241_1014:
	s_or_b32 exec_lo, exec_lo, s36
	s_waitcnt lgkmcnt(0)
	s_mov_b32 s6, 0
	s_and_saveexec_b32 s3, s35
	s_cbranch_execnz .LBB241_1026
; %bb.1015:
	s_or_b32 exec_lo, exec_lo, s3
	s_and_saveexec_b32 s3, s37
	s_delay_alu instid0(SALU_CYCLE_1)
	s_xor_b32 s3, exec_lo, s3
	s_cbranch_execz .LBB241_1017
.LBB241_1016:
	global_load_u8 v5, v[1:2], off
	v_mov_b32_e32 v8, 0
	s_or_b32 s2, s2, exec_lo
	s_waitcnt vmcnt(0)
	v_cmp_ne_u16_e32 vcc_lo, 0, v5
	v_cndmask_b32_e64 v6, 0, 0x3c00, vcc_lo
.LBB241_1017:
	s_or_b32 exec_lo, exec_lo, s3
	s_and_saveexec_b32 s3, s22
	s_cbranch_execz .LBB241_1067
; %bb.1018:
	v_cmp_gt_i16_e32 vcc_lo, 5, v4
	s_cbranch_vccnz .LBB241_1023
; %bb.1019:
	v_cmp_gt_i16_e32 vcc_lo, 8, v4
	s_cbranch_vccnz .LBB241_1024
	;; [unrolled: 3-line block ×3, first 2 shown]
; %bb.1021:
	v_cmp_lt_i16_e32 vcc_lo, 9, v4
	s_cbranch_vccz .LBB241_1028
; %bb.1022:
	global_load_b128 v[5:8], v[1:2], off
	s_mov_b32 s7, 0
	s_waitcnt vmcnt(0)
	v_cvt_f32_f64_e32 v5, v[5:6]
	v_cvt_f32_f64_e32 v7, v[7:8]
	s_delay_alu instid0(VALU_DEP_2) | instskip(NEXT) | instid1(VALU_DEP_2)
	v_cvt_f16_f32_e32 v6, v5
	v_cvt_f16_f32_e32 v8, v7
	s_branch .LBB241_1029
.LBB241_1023:
                                        ; implicit-def: $vgpr8
                                        ; implicit-def: $vgpr6
	s_branch .LBB241_1047
.LBB241_1024:
                                        ; implicit-def: $vgpr8
                                        ; implicit-def: $vgpr6
	s_branch .LBB241_1035
.LBB241_1025:
	s_mov_b32 s7, -1
                                        ; implicit-def: $vgpr8
                                        ; implicit-def: $vgpr6
	s_branch .LBB241_1032
.LBB241_1026:
	s_cbranch_execnz .LBB241_1330
; %bb.1027:
	s_mov_b32 s6, exec_lo
	s_and_not1_b32 s37, s37, exec_lo
                                        ; implicit-def: $vgpr8
                                        ; implicit-def: $vgpr6
	s_or_b32 exec_lo, exec_lo, s3
	s_and_saveexec_b32 s3, s37
	s_delay_alu instid0(SALU_CYCLE_1)
	s_xor_b32 s3, exec_lo, s3
	s_cbranch_execnz .LBB241_1016
	s_branch .LBB241_1017
.LBB241_1028:
	s_mov_b32 s7, -1
                                        ; implicit-def: $vgpr8
                                        ; implicit-def: $vgpr6
.LBB241_1029:
	s_delay_alu instid0(SALU_CYCLE_1)
	s_and_not1_b32 vcc_lo, exec_lo, s7
	s_cbranch_vccnz .LBB241_1031
; %bb.1030:
	global_load_b64 v[6:7], v[1:2], off
	s_waitcnt vmcnt(0)
	v_cvt_f16_f32_e32 v6, v6
	v_cvt_f16_f32_e32 v8, v7
.LBB241_1031:
	s_mov_b32 s7, 0
.LBB241_1032:
	s_delay_alu instid0(SALU_CYCLE_1)
	s_and_not1_b32 vcc_lo, exec_lo, s7
	s_cbranch_vccnz .LBB241_1034
; %bb.1033:
	global_load_b32 v6, v[1:2], off
	s_waitcnt vmcnt(0)
	v_lshrrev_b32_e32 v8, 16, v6
.LBB241_1034:
	s_cbranch_execnz .LBB241_1046
.LBB241_1035:
	v_cmp_gt_i16_e32 vcc_lo, 6, v4
	s_cbranch_vccnz .LBB241_1038
; %bb.1036:
	v_cmp_lt_i16_e32 vcc_lo, 6, v4
	s_cbranch_vccz .LBB241_1039
; %bb.1037:
	global_load_b64 v[5:6], v[1:2], off
	s_mov_b32 s8, 0
	s_mov_b32 s7, 0
	s_waitcnt vmcnt(0)
	v_cvt_f32_f64_e32 v5, v[5:6]
	s_delay_alu instid0(VALU_DEP_1)
	v_cvt_f16_f32_e32 v6, v5
	s_branch .LBB241_1040
.LBB241_1038:
	s_mov_b32 s8, -1
                                        ; implicit-def: $sgpr7
                                        ; implicit-def: $vgpr6
	s_branch .LBB241_1043
.LBB241_1039:
	s_mov_b32 s8, -1
                                        ; implicit-def: $sgpr7
                                        ; implicit-def: $vgpr6
.LBB241_1040:
	s_delay_alu instid0(SALU_CYCLE_1)
	s_and_not1_b32 vcc_lo, exec_lo, s8
	s_cbranch_vccnz .LBB241_1042
; %bb.1041:
	global_load_b32 v5, v[1:2], off
	s_mov_b32 s7, 0
	s_waitcnt vmcnt(0)
	v_cvt_f16_f32_e32 v6, v5
.LBB241_1042:
	s_mov_b32 s8, 0
.LBB241_1043:
	s_delay_alu instid0(SALU_CYCLE_1)
	s_and_not1_b32 vcc_lo, exec_lo, s8
	s_cbranch_vccnz .LBB241_1045
; %bb.1044:
	global_load_u16 v6, v[1:2], off
	s_mov_b32 s7, 0
.LBB241_1045:
	s_delay_alu instid0(SALU_CYCLE_1)
	v_mov_b32_e32 v8, s7
.LBB241_1046:
	s_cbranch_execnz .LBB241_1066
.LBB241_1047:
	v_cmp_gt_i16_e32 vcc_lo, 2, v4
	s_cbranch_vccnz .LBB241_1051
; %bb.1048:
	v_cmp_gt_i16_e32 vcc_lo, 3, v4
	s_cbranch_vccnz .LBB241_1052
; %bb.1049:
	v_cmp_lt_i16_e32 vcc_lo, 3, v4
	s_cbranch_vccz .LBB241_1053
; %bb.1050:
	global_load_b64 v[5:6], v[1:2], off
	s_mov_b32 s8, 0
	s_mov_b32 s7, 0
	s_waitcnt vmcnt(0)
	v_xor_b32_e32 v7, v5, v6
	v_cls_i32_e32 v8, v6
	s_delay_alu instid0(VALU_DEP_2) | instskip(NEXT) | instid1(VALU_DEP_2)
	v_ashrrev_i32_e32 v7, 31, v7
	v_add_nc_u32_e32 v8, -1, v8
	s_delay_alu instid0(VALU_DEP_2) | instskip(NEXT) | instid1(VALU_DEP_1)
	v_add_nc_u32_e32 v7, 32, v7
	v_min_u32_e32 v7, v8, v7
	s_delay_alu instid0(VALU_DEP_1) | instskip(NEXT) | instid1(VALU_DEP_1)
	v_lshlrev_b64 v[5:6], v7, v[5:6]
	v_min_u32_e32 v5, 1, v5
	s_delay_alu instid0(VALU_DEP_1) | instskip(SKIP_1) | instid1(VALU_DEP_2)
	v_or_b32_e32 v5, v6, v5
	v_sub_nc_u32_e32 v6, 32, v7
	v_cvt_f32_i32_e32 v5, v5
	s_delay_alu instid0(VALU_DEP_1) | instskip(NEXT) | instid1(VALU_DEP_1)
	v_ldexp_f32 v5, v5, v6
	v_cvt_f16_f32_e32 v6, v5
	s_branch .LBB241_1054
.LBB241_1051:
                                        ; implicit-def: $sgpr7
                                        ; implicit-def: $vgpr6
	s_branch .LBB241_1060
.LBB241_1052:
	s_mov_b32 s8, -1
                                        ; implicit-def: $sgpr7
                                        ; implicit-def: $vgpr6
	s_branch .LBB241_1057
.LBB241_1053:
	s_mov_b32 s8, -1
                                        ; implicit-def: $sgpr7
                                        ; implicit-def: $vgpr6
.LBB241_1054:
	s_delay_alu instid0(SALU_CYCLE_1)
	s_and_not1_b32 vcc_lo, exec_lo, s8
	s_cbranch_vccnz .LBB241_1056
; %bb.1055:
	global_load_b32 v5, v[1:2], off
	s_mov_b32 s7, 0
	s_waitcnt vmcnt(0)
	v_cvt_f32_i32_e32 v5, v5
	s_delay_alu instid0(VALU_DEP_1)
	v_cvt_f16_f32_e32 v6, v5
.LBB241_1056:
	s_mov_b32 s8, 0
.LBB241_1057:
	s_delay_alu instid0(SALU_CYCLE_1)
	s_and_not1_b32 vcc_lo, exec_lo, s8
	s_cbranch_vccnz .LBB241_1059
; %bb.1058:
	global_load_u16 v5, v[1:2], off
	s_mov_b32 s7, 0
	s_waitcnt vmcnt(0)
	v_cvt_f16_i16_e32 v6, v5
.LBB241_1059:
	s_cbranch_execnz .LBB241_1065
.LBB241_1060:
	v_cmp_lt_i16_e32 vcc_lo, 0, v4
	s_mov_b32 s8, 0
	s_cbranch_vccz .LBB241_1062
; %bb.1061:
	global_load_i8 v4, v[1:2], off
	s_mov_b32 s7, 0
	s_waitcnt vmcnt(0)
	v_cvt_f16_i16_e32 v6, v4
	s_branch .LBB241_1063
.LBB241_1062:
	s_mov_b32 s8, -1
                                        ; implicit-def: $sgpr7
                                        ; implicit-def: $vgpr6
.LBB241_1063:
	s_delay_alu instid0(SALU_CYCLE_1)
	s_and_not1_b32 vcc_lo, exec_lo, s8
	s_cbranch_vccnz .LBB241_1065
; %bb.1064:
	global_load_u8 v1, v[1:2], off
	s_mov_b32 s7, 0
	s_waitcnt vmcnt(0)
	v_cvt_f16_u16_e32 v6, v1
.LBB241_1065:
	v_mov_b32_e32 v8, s7
.LBB241_1066:
	s_or_b32 s2, s2, exec_lo
.LBB241_1067:
	s_or_b32 exec_lo, exec_lo, s3
	s_mov_b32 s8, 0
	s_mov_b32 s3, 0
                                        ; implicit-def: $vgpr5
                                        ; implicit-def: $vgpr1_vgpr2
                                        ; implicit-def: $vgpr9
                                        ; implicit-def: $vgpr7
                                        ; implicit-def: $vgpr4
	s_and_saveexec_b32 s7, s2
	s_cbranch_execz .LBB241_1174
; %bb.1068:
	s_waitcnt vmcnt(0)
	v_cmp_neq_f16_e32 vcc_lo, 0, v6
	v_cmp_neq_f16_e64 s2, 0, v8
	v_cvt_f32_f16_e32 v1, v8
	v_mov_b32_e32 v2, 0
	s_delay_alu instid0(VALU_DEP_3) | instskip(NEXT) | instid1(SALU_CYCLE_1)
	s_or_b32 s2, vcc_lo, s2
	s_and_saveexec_b32 s8, s2
	s_cbranch_execz .LBB241_1098
; %bb.1069:
	v_mov_b32_e32 v2, 0x7f800000
	s_mov_b32 s9, exec_lo
	v_cmpx_neq_f32_e64 0x7f800000, |v1|
	s_cbranch_execz .LBB241_1097
; %bb.1070:
	v_cvt_f32_f16_e32 v2, v6
	s_mov_b32 s2, exec_lo
	v_cmpx_o_f16_e32 v6, v6
	s_xor_b32 s10, exec_lo, s2
	s_cbranch_execz .LBB241_1094
; %bb.1071:
	s_mov_b32 s3, exec_lo
	v_cmpx_neq_f32_e64 0x7f800000, |v2|
	s_xor_b32 s11, exec_lo, s3
	s_cbranch_execz .LBB241_1087
; %bb.1072:
	v_max_f32_e64 v4, |v1|, |v1|
	v_max_f32_e64 v5, |v2|, |v2|
                                        ; implicit-def: $sgpr12
	s_delay_alu instid0(VALU_DEP_1) | instskip(NEXT) | instid1(VALU_DEP_1)
	v_max_f32_e32 v4, v5, v4
	v_cmp_nle_f32_e64 s2, 0x7ed413cb, v4
	s_delay_alu instid0(VALU_DEP_1) | instskip(NEXT) | instid1(SALU_CYCLE_1)
	s_and_saveexec_b32 s3, s2
	s_xor_b32 s3, exec_lo, s3
	s_cbranch_execz .LBB241_1076
; %bb.1073:
	v_cmp_ge_f32_e64 s12, 0x1000000, |v2|
	v_cmp_ge_f32_e64 s13, 0x1000000, |v1|
	s_delay_alu instid0(VALU_DEP_1)
	s_and_b32 s14, s12, s13
	s_mov_b32 s12, 0
	s_and_saveexec_b32 s13, s14
; %bb.1074:
	v_dual_mul_f32 v2, 4.0, v2 :: v_dual_mul_f32 v1, 4.0, v1
	s_mov_b32 s12, exec_lo
; %bb.1075:
	s_or_b32 exec_lo, exec_lo, s13
	s_delay_alu instid0(SALU_CYCLE_1)
	s_and_b32 s12, s12, exec_lo
.LBB241_1076:
	s_and_not1_saveexec_b32 s3, s3
; %bb.1077:
	v_dual_mul_f32 v2, 0x3e800000, v2 :: v_dual_mul_f32 v1, 0x3e800000, v1
	s_and_not1_b32 s12, s12, exec_lo
; %bb.1078:
	s_or_b32 exec_lo, exec_lo, s3
	s_delay_alu instid0(VALU_DEP_1) | instskip(NEXT) | instid1(VALU_DEP_2)
	v_max_f32_e64 v4, |v1|, |v1|
	v_max_f32_e64 v5, |v2|, |v2|
	s_delay_alu instid0(VALU_DEP_1) | instskip(NEXT) | instid1(VALU_DEP_1)
	v_max_f32_e32 v6, v5, v4
	v_cvt_f64_f32_e32 v[4:5], v6
	s_delay_alu instid0(VALU_DEP_1) | instskip(NEXT) | instid1(VALU_DEP_1)
	v_frexp_exp_i32_f64_e32 v4, v[4:5]
	v_sub_nc_u32_e32 v5, 0, v4
	s_delay_alu instid0(VALU_DEP_1) | instskip(SKIP_1) | instid1(VALU_DEP_2)
	v_ldexp_f32 v7, |v1|, v5
	v_ldexp_f32 v5, |v2|, v5
	v_mul_f32_e32 v7, v7, v7
	v_cmp_neq_f32_e64 s3, 0x7f800000, v6
	s_delay_alu instid0(VALU_DEP_2) | instskip(NEXT) | instid1(VALU_DEP_1)
	v_fmac_f32_e32 v7, v5, v5
	v_sqrt_f32_e32 v5, v7
	s_waitcnt_depctr 0xfff
	v_ldexp_f32 v4, v5, v4
                                        ; implicit-def: $vgpr5
	s_delay_alu instid0(VALU_DEP_1)
	v_cndmask_b32_e64 v6, 0x7f800000, v4, s3
                                        ; implicit-def: $vgpr4
	s_mov_b32 s3, exec_lo
	v_cmpx_le_f32_e32 0, v2
	s_xor_b32 s13, exec_lo, s3
	s_cbranch_execz .LBB241_1080
; %bb.1079:
	v_add_f32_e32 v2, v2, v6
	s_delay_alu instid0(VALU_DEP_1) | instskip(NEXT) | instid1(VALU_DEP_1)
	v_mul_f32_e32 v2, 0.5, v2
	v_mul_f32_e32 v4, 0x4f800000, v2
	v_cmp_gt_f32_e32 vcc_lo, 0xf800000, v2
	s_delay_alu instid0(VALU_DEP_2) | instskip(NEXT) | instid1(VALU_DEP_1)
	v_cndmask_b32_e32 v2, v2, v4, vcc_lo
	v_sqrt_f32_e32 v4, v2
	s_waitcnt_depctr 0xfff
	v_add_nc_u32_e32 v5, -1, v4
	v_add_nc_u32_e32 v6, 1, v4
	s_delay_alu instid0(VALU_DEP_2) | instskip(NEXT) | instid1(VALU_DEP_2)
	v_fma_f32 v7, -v5, v4, v2
	v_fma_f32 v8, -v6, v4, v2
	s_delay_alu instid0(VALU_DEP_2) | instskip(NEXT) | instid1(VALU_DEP_1)
	v_cmp_ge_f32_e64 s3, 0, v7
	v_cndmask_b32_e64 v4, v4, v5, s3
	s_delay_alu instid0(VALU_DEP_3) | instskip(NEXT) | instid1(VALU_DEP_1)
	v_cmp_lt_f32_e64 s3, 0, v8
	v_cndmask_b32_e64 v4, v4, v6, s3
	s_delay_alu instid0(VALU_DEP_1) | instskip(NEXT) | instid1(VALU_DEP_1)
	v_mul_f32_e32 v5, 0x37800000, v4
	v_cndmask_b32_e32 v4, v4, v5, vcc_lo
	v_cmp_class_f32_e64 vcc_lo, v2, 0x260
	s_delay_alu instid0(VALU_DEP_2) | instskip(NEXT) | instid1(VALU_DEP_1)
	v_cndmask_b32_e32 v4, v4, v2, vcc_lo
	v_add_f32_e32 v2, v4, v4
	s_delay_alu instid0(VALU_DEP_1) | instskip(NEXT) | instid1(VALU_DEP_1)
	v_div_scale_f32 v5, null, v2, v2, v1
	v_rcp_f32_e32 v6, v5
	s_waitcnt_depctr 0xfff
	v_fma_f32 v7, -v5, v6, 1.0
	s_delay_alu instid0(VALU_DEP_1) | instskip(SKIP_1) | instid1(VALU_DEP_1)
	v_fmac_f32_e32 v6, v7, v6
	v_div_scale_f32 v7, vcc_lo, v1, v2, v1
	v_mul_f32_e32 v8, v7, v6
	s_delay_alu instid0(VALU_DEP_1) | instskip(NEXT) | instid1(VALU_DEP_1)
	v_fma_f32 v9, -v5, v8, v7
	v_fmac_f32_e32 v8, v9, v6
	s_delay_alu instid0(VALU_DEP_1) | instskip(NEXT) | instid1(VALU_DEP_1)
	v_fma_f32 v5, -v5, v8, v7
	v_div_fmas_f32 v5, v5, v6, v8
                                        ; implicit-def: $vgpr6
	s_delay_alu instid0(VALU_DEP_1)
	v_div_fixup_f32 v5, v5, v2, v1
                                        ; implicit-def: $vgpr2
                                        ; implicit-def: $vgpr1
	s_and_not1_saveexec_b32 s13, s13
	s_cbranch_execz .LBB241_1082
	s_branch .LBB241_1081
.LBB241_1080:
	s_and_not1_saveexec_b32 s13, s13
	s_cbranch_execz .LBB241_1082
.LBB241_1081:
	v_sub_f32_e32 v2, v6, v2
	s_delay_alu instid0(VALU_DEP_1) | instskip(NEXT) | instid1(VALU_DEP_1)
	v_mul_f32_e32 v2, 0.5, v2
	v_mul_f32_e32 v4, 0x4f800000, v2
	v_cmp_gt_f32_e32 vcc_lo, 0xf800000, v2
	s_delay_alu instid0(VALU_DEP_2) | instskip(NEXT) | instid1(VALU_DEP_1)
	v_cndmask_b32_e32 v2, v2, v4, vcc_lo
	v_sqrt_f32_e32 v4, v2
	s_waitcnt_depctr 0xfff
	v_add_nc_u32_e32 v5, -1, v4
	v_add_nc_u32_e32 v6, 1, v4
	s_delay_alu instid0(VALU_DEP_2) | instskip(NEXT) | instid1(VALU_DEP_2)
	v_fma_f32 v7, -v5, v4, v2
	v_fma_f32 v8, -v6, v4, v2
	s_delay_alu instid0(VALU_DEP_2) | instskip(NEXT) | instid1(VALU_DEP_1)
	v_cmp_ge_f32_e64 s3, 0, v7
	v_cndmask_b32_e64 v4, v4, v5, s3
	s_delay_alu instid0(VALU_DEP_3) | instskip(NEXT) | instid1(VALU_DEP_1)
	v_cmp_lt_f32_e64 s3, 0, v8
	v_cndmask_b32_e64 v4, v4, v6, s3
	s_delay_alu instid0(VALU_DEP_1) | instskip(NEXT) | instid1(VALU_DEP_1)
	v_mul_f32_e32 v5, 0x37800000, v4
	v_cndmask_b32_e32 v4, v4, v5, vcc_lo
	v_cmp_class_f32_e64 vcc_lo, v2, 0x260
	s_delay_alu instid0(VALU_DEP_2) | instskip(NEXT) | instid1(VALU_DEP_1)
	v_cndmask_b32_e32 v2, v4, v2, vcc_lo
	v_dual_add_f32 v5, v2, v2 :: v_dual_and_b32 v4, 0x7fffffff, v1
	s_delay_alu instid0(VALU_DEP_1) | instskip(SKIP_1) | instid1(VALU_DEP_2)
	v_div_scale_f32 v6, null, v5, v5, v4
	v_div_scale_f32 v4, vcc_lo, v4, v5, v4
	v_rcp_f32_e32 v7, v6
	s_waitcnt_depctr 0xfff
	v_fma_f32 v8, -v6, v7, 1.0
	s_delay_alu instid0(VALU_DEP_1) | instskip(NEXT) | instid1(VALU_DEP_1)
	v_fmac_f32_e32 v7, v8, v7
	v_mul_f32_e32 v8, v4, v7
	s_delay_alu instid0(VALU_DEP_1) | instskip(NEXT) | instid1(VALU_DEP_1)
	v_fma_f32 v9, -v6, v8, v4
	v_fmac_f32_e32 v8, v9, v7
	s_delay_alu instid0(VALU_DEP_1) | instskip(NEXT) | instid1(VALU_DEP_1)
	v_fma_f32 v4, -v6, v8, v4
	v_div_fmas_f32 v4, v4, v7, v8
	s_delay_alu instid0(VALU_DEP_1)
	v_div_fixup_f32 v4, v4, v5, |v1|
	v_bfi_b32 v5, 0x7fffffff, v2, v1
.LBB241_1082:
	s_or_b32 exec_lo, exec_lo, s13
                                        ; implicit-def: $vgpr1
                                        ; implicit-def: $vgpr2
	s_and_saveexec_b32 s3, s2
	s_delay_alu instid0(SALU_CYCLE_1)
	s_xor_b32 s2, exec_lo, s3
	s_cbranch_execz .LBB241_1084
; %bb.1083:
	v_dual_mul_f32 v1, 0.5, v4 :: v_dual_mul_f32 v6, 0.5, v5
	s_delay_alu instid0(VALU_DEP_1) | instskip(NEXT) | instid1(VALU_DEP_2)
	v_cndmask_b32_e64 v2, v4, v1, s12
	v_cndmask_b32_e64 v1, v5, v6, s12
                                        ; implicit-def: $vgpr4
                                        ; implicit-def: $vgpr5
	s_and_not1_saveexec_b32 s2, s2
	s_cbranch_execnz .LBB241_1085
	s_branch .LBB241_1086
.LBB241_1084:
	s_and_not1_saveexec_b32 s2, s2
.LBB241_1085:
	v_dual_add_f32 v2, v4, v4 :: v_dual_add_f32 v1, v5, v5
.LBB241_1086:
	s_or_b32 exec_lo, exec_lo, s2
                                        ; implicit-def: $vgpr6
.LBB241_1087:
	s_and_not1_saveexec_b32 s2, s11
	s_cbranch_execz .LBB241_1093
; %bb.1088:
	s_delay_alu instid0(VALU_DEP_1)
	v_sub_f32_e32 v4, v1, v1
	s_mov_b32 s3, exec_lo
	v_cmpx_lt_i16_e32 -1, v6
	s_xor_b32 s3, exec_lo, s3
; %bb.1089:
	s_delay_alu instid0(VALU_DEP_2)
	v_bfi_b32 v1, 0x7fffffff, v4, v1
                                        ; implicit-def: $vgpr4
; %bb.1090:
	s_and_not1_saveexec_b32 s3, s3
; %bb.1091:
	v_and_b32_e32 v4, 0x7fffffff, v4
	s_delay_alu instid0(VALU_DEP_2) | instskip(NEXT) | instid1(VALU_DEP_2)
	v_bfi_b32 v1, 0x7fffffff, v2, v1
	v_mov_b32_e32 v2, v4
; %bb.1092:
	s_or_b32 exec_lo, exec_lo, s3
.LBB241_1093:
	s_delay_alu instid0(SALU_CYCLE_1)
	s_or_b32 exec_lo, exec_lo, s2
.LBB241_1094:
	s_and_not1_saveexec_b32 s2, s10
; %bb.1095:
	v_sub_f32_e32 v1, v1, v1
	s_delay_alu instid0(VALU_DEP_1) | instskip(NEXT) | instid1(VALU_DEP_1)
	v_div_scale_f32 v4, vcc_lo, v1, v1, v1
	v_rcp_f32_e32 v5, v4
	s_waitcnt_depctr 0xfff
	v_fma_f32 v6, -v4, v5, 1.0
	s_delay_alu instid0(VALU_DEP_1) | instskip(NEXT) | instid1(VALU_DEP_1)
	v_fmac_f32_e32 v5, v6, v5
	v_mul_f32_e32 v6, v4, v5
	s_delay_alu instid0(VALU_DEP_1) | instskip(NEXT) | instid1(VALU_DEP_1)
	v_fma_f32 v7, -v4, v6, v4
	v_fmac_f32_e32 v6, v7, v5
	s_delay_alu instid0(VALU_DEP_1) | instskip(NEXT) | instid1(VALU_DEP_1)
	v_fma_f32 v4, -v4, v6, v4
	v_div_fmas_f32 v4, v4, v5, v6
	s_delay_alu instid0(VALU_DEP_1)
	v_div_fixup_f32 v1, v4, v1, v1
; %bb.1096:
	s_or_b32 exec_lo, exec_lo, s2
.LBB241_1097:
	s_delay_alu instid0(SALU_CYCLE_1)
	s_or_b32 exec_lo, exec_lo, s9
.LBB241_1098:
	s_delay_alu instid0(SALU_CYCLE_1) | instskip(SKIP_4) | instid1(VALU_DEP_4)
	s_or_b32 exec_lo, exec_lo, s8
	v_and_b32_e32 v5, 0xff, v3
	v_cvt_f16_f32_e32 v7, v1
	v_cvt_f16_f32_e32 v4, v2
	v_add_co_u32 v1, s2, s4, v0
	v_cmp_gt_i16_e32 vcc_lo, 11, v5
	s_delay_alu instid0(VALU_DEP_4) | instskip(NEXT) | instid1(VALU_DEP_4)
	v_lshlrev_b32_e32 v3, 16, v7
	v_and_b32_e32 v6, 0xffff, v4
	v_add_co_ci_u32_e64 v2, null, s5, 0, s2
	s_mov_b32 s8, 0
	s_mov_b32 s3, -1
	s_mov_b32 s2, s34
	s_cbranch_vccnz .LBB241_1173
; %bb.1099:
	v_cmp_lt_i16_e32 vcc_lo, 25, v5
	s_mov_b32 s2, s34
	s_cbranch_vccz .LBB241_1132
; %bb.1100:
	v_cmp_lt_i16_e32 vcc_lo, 28, v5
	s_mov_b32 s2, s34
	s_cbranch_vccz .LBB241_1116
	;; [unrolled: 4-line block ×4, first 2 shown]
; %bb.1103:
	v_cmp_eq_u16_e32 vcc_lo, 46, v5
	s_mov_b32 s2, -1
	s_cbranch_vccz .LBB241_1105
; %bb.1104:
	v_cvt_f32_f16_e32 v0, v7
	v_cvt_f32_f16_e32 v8, v4
	v_cmp_o_f16_e32 vcc_lo, v7, v7
	s_mov_b32 s2, 0
	s_delay_alu instid0(VALU_DEP_3) | instskip(NEXT) | instid1(VALU_DEP_3)
	v_bfe_u32 v9, v0, 16, 1
	v_bfe_u32 v10, v8, 16, 1
	s_delay_alu instid0(VALU_DEP_2) | instskip(NEXT) | instid1(VALU_DEP_2)
	v_add3_u32 v0, v0, v9, 0x7fff
	v_add3_u32 v8, v8, v10, 0x7fff
	s_delay_alu instid0(VALU_DEP_2) | instskip(NEXT) | instid1(VALU_DEP_2)
	v_and_b32_e32 v0, 0xffff0000, v0
	v_lshrrev_b32_e32 v8, 16, v8
	s_delay_alu instid0(VALU_DEP_2) | instskip(SKIP_1) | instid1(VALU_DEP_3)
	v_cndmask_b32_e32 v0, 0x7fc00000, v0, vcc_lo
	v_cmp_o_f16_e32 vcc_lo, v4, v4
	v_cndmask_b32_e32 v8, 0x7fc0, v8, vcc_lo
	s_delay_alu instid0(VALU_DEP_1)
	v_or_b32_e32 v0, v0, v8
	global_store_b32 v[1:2], v0, off
.LBB241_1105:
	s_mov_b32 s3, 0
.LBB241_1106:
	s_delay_alu instid0(SALU_CYCLE_1)
	s_and_b32 vcc_lo, exec_lo, s3
	s_cbranch_vccz .LBB241_1111
; %bb.1107:
	v_cmp_eq_u16_e32 vcc_lo, 44, v5
	s_mov_b32 s2, -1
	s_cbranch_vccz .LBB241_1111
; %bb.1108:
	v_cvt_f32_f16_e32 v0, v4
	v_mov_b32_e32 v8, 0xff
	s_mov_b32 s3, exec_lo
	s_delay_alu instid0(VALU_DEP_2) | instskip(NEXT) | instid1(VALU_DEP_1)
	v_bfe_u32 v9, v0, 23, 8
	v_cmpx_ne_u32_e32 0xff, v9
; %bb.1109:
	v_and_b32_e32 v8, 0x400000, v0
	v_and_or_b32 v9, 0x3fffff, v0, v9
	v_lshrrev_b32_e32 v0, 23, v0
	s_delay_alu instid0(VALU_DEP_3) | instskip(NEXT) | instid1(VALU_DEP_3)
	v_cmp_ne_u32_e32 vcc_lo, 0, v8
	v_cmp_ne_u32_e64 s2, 0, v9
	s_delay_alu instid0(VALU_DEP_1) | instskip(NEXT) | instid1(SALU_CYCLE_1)
	s_and_b32 s2, vcc_lo, s2
	v_cndmask_b32_e64 v8, 0, 1, s2
	s_delay_alu instid0(VALU_DEP_1)
	v_add_nc_u32_e32 v8, v0, v8
; %bb.1110:
	s_or_b32 exec_lo, exec_lo, s3
	s_mov_b32 s2, 0
	global_store_b8 v[1:2], v8, off
.LBB241_1111:
	s_mov_b32 s3, 0
.LBB241_1112:
	s_delay_alu instid0(SALU_CYCLE_1)
	s_and_b32 vcc_lo, exec_lo, s3
	s_cbranch_vccz .LBB241_1115
; %bb.1113:
	v_cmp_eq_u16_e32 vcc_lo, 29, v5
	s_mov_b32 s2, -1
	s_cbranch_vccz .LBB241_1115
; %bb.1114:
	v_cvt_f32_f16_e32 v0, v4
	v_mov_b32_e32 v9, 0
	s_mov_b32 s2, 0
	s_delay_alu instid0(VALU_DEP_2)
	v_cvt_u32_f32_e32 v8, v0
	global_store_b64 v[1:2], v[8:9], off
.LBB241_1115:
	s_mov_b32 s3, 0
.LBB241_1116:
	s_delay_alu instid0(SALU_CYCLE_1)
	s_and_b32 vcc_lo, exec_lo, s3
	s_cbranch_vccz .LBB241_1131
; %bb.1117:
	v_cmp_gt_i16_e32 vcc_lo, 27, v5
	s_mov_b32 s3, -1
	s_cbranch_vccnz .LBB241_1123
; %bb.1118:
	v_cmp_lt_i16_e32 vcc_lo, 27, v5
	s_cbranch_vccz .LBB241_1120
; %bb.1119:
	v_cvt_f32_f16_e32 v0, v4
	s_mov_b32 s3, 0
	s_delay_alu instid0(VALU_DEP_1)
	v_cvt_u32_f32_e32 v0, v0
	global_store_b32 v[1:2], v0, off
.LBB241_1120:
	s_and_not1_b32 vcc_lo, exec_lo, s3
	s_cbranch_vccnz .LBB241_1122
; %bb.1121:
	v_cvt_u16_f16_e32 v0, v4
	global_store_b16 v[1:2], v0, off
.LBB241_1122:
	s_mov_b32 s3, 0
.LBB241_1123:
	s_delay_alu instid0(SALU_CYCLE_1)
	s_and_not1_b32 vcc_lo, exec_lo, s3
	s_cbranch_vccnz .LBB241_1131
; %bb.1124:
	v_cvt_f32_f16_e32 v0, v4
	v_mov_b32_e32 v9, 0x80
	s_mov_b32 s3, exec_lo
	s_delay_alu instid0(VALU_DEP_2) | instskip(NEXT) | instid1(VALU_DEP_1)
	v_and_b32_e32 v8, 0x7fffffff, v0
	v_cmpx_gt_u32_e32 0x43800000, v8
	s_cbranch_execz .LBB241_1130
; %bb.1125:
	v_cmp_lt_u32_e32 vcc_lo, 0x3bffffff, v8
	s_mov_b32 s4, 0
                                        ; implicit-def: $vgpr8
	s_and_saveexec_b32 s5, vcc_lo
	s_delay_alu instid0(SALU_CYCLE_1)
	s_xor_b32 s5, exec_lo, s5
	s_cbranch_execz .LBB241_1455
; %bb.1126:
	v_bfe_u32 v8, v0, 20, 1
	s_mov_b32 s4, exec_lo
	s_delay_alu instid0(VALU_DEP_1) | instskip(NEXT) | instid1(VALU_DEP_1)
	v_add3_u32 v8, v0, v8, 0x487ffff
	v_lshrrev_b32_e32 v8, 20, v8
	s_or_saveexec_b32 s5, s5
                                        ; implicit-def: $sgpr8
	s_delay_alu instid0(SALU_CYCLE_1)
	s_xor_b32 exec_lo, exec_lo, s5
	s_cbranch_execnz .LBB241_1456
.LBB241_1127:
	s_or_b32 exec_lo, exec_lo, s5
	v_mov_b32_e32 v9, s8
	s_and_saveexec_b32 s5, s4
.LBB241_1128:
	v_lshrrev_b32_e32 v0, 24, v0
	s_delay_alu instid0(VALU_DEP_1)
	v_and_or_b32 v9, 0x80, v0, v8
.LBB241_1129:
	s_or_b32 exec_lo, exec_lo, s5
.LBB241_1130:
	s_delay_alu instid0(SALU_CYCLE_1)
	s_or_b32 exec_lo, exec_lo, s3
	global_store_b8 v[1:2], v9, off
.LBB241_1131:
	s_mov_b32 s3, 0
.LBB241_1132:
	s_delay_alu instid0(SALU_CYCLE_1)
	s_and_b32 vcc_lo, exec_lo, s3
	s_mov_b32 s3, 0
	s_cbranch_vccz .LBB241_1172
; %bb.1133:
	v_cmp_lt_i16_e32 vcc_lo, 22, v5
	s_mov_b32 s4, -1
	s_cbranch_vccz .LBB241_1165
; %bb.1134:
	v_cmp_gt_i16_e32 vcc_lo, 24, v5
	s_cbranch_vccnz .LBB241_1154
; %bb.1135:
	v_cmp_lt_i16_e32 vcc_lo, 24, v5
	s_cbranch_vccz .LBB241_1143
; %bb.1136:
	v_cvt_f32_f16_e32 v0, v4
	v_mov_b32_e32 v9, 0x80
	s_mov_b32 s4, exec_lo
	s_delay_alu instid0(VALU_DEP_2) | instskip(NEXT) | instid1(VALU_DEP_1)
	v_and_b32_e32 v8, 0x7fffffff, v0
	v_cmpx_gt_u32_e32 0x47800000, v8
	s_cbranch_execz .LBB241_1142
; %bb.1137:
	v_cmp_lt_u32_e32 vcc_lo, 0x37ffffff, v8
	s_mov_b32 s5, 0
                                        ; implicit-def: $vgpr8
	s_and_saveexec_b32 s8, vcc_lo
	s_delay_alu instid0(SALU_CYCLE_1)
	s_xor_b32 s8, exec_lo, s8
	s_cbranch_execz .LBB241_1500
; %bb.1138:
	v_bfe_u32 v8, v0, 21, 1
	s_mov_b32 s5, exec_lo
	s_delay_alu instid0(VALU_DEP_1) | instskip(NEXT) | instid1(VALU_DEP_1)
	v_add3_u32 v8, v0, v8, 0x88fffff
	v_lshrrev_b32_e32 v8, 21, v8
	s_or_saveexec_b32 s8, s8
                                        ; implicit-def: $sgpr9
	s_delay_alu instid0(SALU_CYCLE_1)
	s_xor_b32 exec_lo, exec_lo, s8
	s_cbranch_execnz .LBB241_1501
.LBB241_1139:
	s_or_b32 exec_lo, exec_lo, s8
	v_mov_b32_e32 v9, s9
	s_and_saveexec_b32 s8, s5
.LBB241_1140:
	v_lshrrev_b32_e32 v0, 24, v0
	s_delay_alu instid0(VALU_DEP_1)
	v_and_or_b32 v9, 0x80, v0, v8
.LBB241_1141:
	s_or_b32 exec_lo, exec_lo, s8
.LBB241_1142:
	s_delay_alu instid0(SALU_CYCLE_1)
	s_or_b32 exec_lo, exec_lo, s4
	s_mov_b32 s4, 0
	global_store_b8 v[1:2], v9, off
.LBB241_1143:
	s_and_b32 vcc_lo, exec_lo, s4
	s_cbranch_vccz .LBB241_1153
; %bb.1144:
	v_cvt_f32_f16_e32 v0, v4
	s_mov_b32 s4, exec_lo
                                        ; implicit-def: $vgpr8
	s_delay_alu instid0(VALU_DEP_1) | instskip(NEXT) | instid1(VALU_DEP_1)
	v_and_b32_e32 v9, 0x7fffffff, v0
	v_cmpx_gt_u32_e32 0x43f00000, v9
	s_xor_b32 s4, exec_lo, s4
	s_cbranch_execz .LBB241_1150
; %bb.1145:
	s_mov_b32 s5, exec_lo
                                        ; implicit-def: $vgpr8
	v_cmpx_lt_u32_e32 0x3c7fffff, v9
	s_xor_b32 s5, exec_lo, s5
; %bb.1146:
	v_bfe_u32 v8, v0, 20, 1
	s_delay_alu instid0(VALU_DEP_1) | instskip(NEXT) | instid1(VALU_DEP_1)
	v_add3_u32 v8, v0, v8, 0x407ffff
	v_and_b32_e32 v9, 0xff00000, v8
	v_lshrrev_b32_e32 v8, 20, v8
	s_delay_alu instid0(VALU_DEP_2) | instskip(NEXT) | instid1(VALU_DEP_2)
	v_cmp_ne_u32_e32 vcc_lo, 0x7f00000, v9
	v_cndmask_b32_e32 v8, 0x7e, v8, vcc_lo
; %bb.1147:
	s_and_not1_saveexec_b32 s5, s5
; %bb.1148:
	v_add_f32_e64 v8, 0x46800000, |v0|
; %bb.1149:
	s_or_b32 exec_lo, exec_lo, s5
                                        ; implicit-def: $vgpr9
.LBB241_1150:
	s_and_not1_saveexec_b32 s4, s4
; %bb.1151:
	v_mov_b32_e32 v8, 0x7f
	v_cmp_lt_u32_e32 vcc_lo, 0x7f800000, v9
	s_delay_alu instid0(VALU_DEP_2)
	v_cndmask_b32_e32 v8, 0x7e, v8, vcc_lo
; %bb.1152:
	s_or_b32 exec_lo, exec_lo, s4
	v_lshrrev_b32_e32 v0, 24, v0
	s_delay_alu instid0(VALU_DEP_1)
	v_and_or_b32 v0, 0x80, v0, v8
	global_store_b8 v[1:2], v0, off
.LBB241_1153:
	s_mov_b32 s4, 0
.LBB241_1154:
	s_delay_alu instid0(SALU_CYCLE_1)
	s_and_not1_b32 vcc_lo, exec_lo, s4
	s_cbranch_vccnz .LBB241_1164
; %bb.1155:
	v_cvt_f32_f16_e32 v0, v4
	s_mov_b32 s4, exec_lo
                                        ; implicit-def: $vgpr8
	s_delay_alu instid0(VALU_DEP_1) | instskip(NEXT) | instid1(VALU_DEP_1)
	v_and_b32_e32 v9, 0x7fffffff, v0
	v_cmpx_gt_u32_e32 0x47800000, v9
	s_xor_b32 s4, exec_lo, s4
	s_cbranch_execz .LBB241_1161
; %bb.1156:
	s_mov_b32 s5, exec_lo
                                        ; implicit-def: $vgpr8
	v_cmpx_lt_u32_e32 0x387fffff, v9
	s_xor_b32 s5, exec_lo, s5
; %bb.1157:
	v_bfe_u32 v8, v0, 21, 1
	s_delay_alu instid0(VALU_DEP_1) | instskip(NEXT) | instid1(VALU_DEP_1)
	v_add3_u32 v8, v0, v8, 0x80fffff
	v_lshrrev_b32_e32 v8, 21, v8
; %bb.1158:
	s_and_not1_saveexec_b32 s5, s5
; %bb.1159:
	v_add_f32_e64 v8, 0x43000000, |v0|
; %bb.1160:
	s_or_b32 exec_lo, exec_lo, s5
                                        ; implicit-def: $vgpr9
.LBB241_1161:
	s_and_not1_saveexec_b32 s4, s4
; %bb.1162:
	v_mov_b32_e32 v8, 0x7f
	v_cmp_lt_u32_e32 vcc_lo, 0x7f800000, v9
	s_delay_alu instid0(VALU_DEP_2)
	v_cndmask_b32_e32 v8, 0x7c, v8, vcc_lo
; %bb.1163:
	s_or_b32 exec_lo, exec_lo, s4
	v_lshrrev_b32_e32 v0, 24, v0
	s_delay_alu instid0(VALU_DEP_1)
	v_and_or_b32 v0, 0x80, v0, v8
	global_store_b8 v[1:2], v0, off
.LBB241_1164:
	s_mov_b32 s4, 0
.LBB241_1165:
	s_delay_alu instid0(SALU_CYCLE_1)
	s_and_not1_b32 vcc_lo, exec_lo, s4
	s_mov_b32 s8, 0
	s_cbranch_vccnz .LBB241_1173
; %bb.1166:
	v_cmp_lt_i16_e32 vcc_lo, 14, v5
	s_mov_b32 s4, -1
	s_cbranch_vccz .LBB241_1170
; %bb.1167:
	v_cmp_eq_u16_e32 vcc_lo, 15, v5
	s_mov_b32 s2, -1
	s_cbranch_vccz .LBB241_1169
; %bb.1168:
	v_cvt_f32_f16_e32 v0, v4
	v_cmp_o_f16_e32 vcc_lo, v4, v4
	s_mov_b32 s2, 0
	s_delay_alu instid0(VALU_DEP_2) | instskip(NEXT) | instid1(VALU_DEP_1)
	v_bfe_u32 v8, v0, 16, 1
	v_add3_u32 v0, v0, v8, 0x7fff
	s_delay_alu instid0(VALU_DEP_1) | instskip(NEXT) | instid1(VALU_DEP_1)
	v_lshrrev_b32_e32 v0, 16, v0
	v_cndmask_b32_e32 v0, 0x7fc0, v0, vcc_lo
	global_store_b16 v[1:2], v0, off
.LBB241_1169:
	s_mov_b32 s4, 0
.LBB241_1170:
	s_delay_alu instid0(SALU_CYCLE_1)
	s_and_b32 vcc_lo, exec_lo, s4
	s_cbranch_vccz .LBB241_1173
; %bb.1171:
	v_cmp_ne_u16_e32 vcc_lo, 11, v5
	s_and_not1_b32 s2, s2, exec_lo
	s_mov_b32 s8, -1
	s_and_b32 s4, vcc_lo, exec_lo
	s_delay_alu instid0(SALU_CYCLE_1)
	s_or_b32 s2, s2, s4
	s_branch .LBB241_1173
.LBB241_1172:
	s_mov_b32 s8, 0
.LBB241_1173:
	v_or_b32_e32 v9, v3, v6
	s_and_not1_b32 s4, s34, exec_lo
	s_and_b32 s2, s2, exec_lo
	s_and_b32 s3, s3, exec_lo
	;; [unrolled: 1-line block ×3, first 2 shown]
	s_or_b32 s34, s4, s2
.LBB241_1174:
	s_or_b32 exec_lo, exec_lo, s7
	s_and_saveexec_b32 s2, s34
	s_cbranch_execnz .LBB241_1289
; %bb.1175:
	s_or_b32 exec_lo, exec_lo, s2
	s_and_saveexec_b32 s2, s8
	s_delay_alu instid0(SALU_CYCLE_1)
	s_xor_b32 s2, exec_lo, s2
	s_cbranch_execz .LBB241_1177
.LBB241_1176:
	v_and_b32_e32 v0, 0x7fff7fff, v9
	s_delay_alu instid0(VALU_DEP_1)
	v_cmp_ne_u32_e32 vcc_lo, 0, v0
	v_cndmask_b32_e64 v0, 0, 1, vcc_lo
	global_store_b8 v[1:2], v0, off
.LBB241_1177:
	s_or_b32 exec_lo, exec_lo, s2
	s_and_saveexec_b32 s2, s3
	s_delay_alu instid0(SALU_CYCLE_1)
	s_xor_b32 s2, exec_lo, s2
	s_cbranch_execz .LBB241_1215
; %bb.1178:
	v_cmp_gt_i16_e32 vcc_lo, 5, v5
	s_mov_b32 s3, -1
	s_cbranch_vccnz .LBB241_1199
; %bb.1179:
	v_cmp_gt_i16_e32 vcc_lo, 8, v5
	s_cbranch_vccnz .LBB241_1189
; %bb.1180:
	v_cmp_gt_i16_e32 vcc_lo, 9, v5
	s_cbranch_vccnz .LBB241_1186
; %bb.1181:
	v_cmp_lt_i16_e32 vcc_lo, 9, v5
	s_cbranch_vccz .LBB241_1183
; %bb.1182:
	v_cvt_f32_f16_e32 v0, v4
	v_cvt_f32_f16_e32 v3, v7
	s_mov_b32 s3, 0
	s_delay_alu instid0(VALU_DEP_2) | instskip(NEXT) | instid1(VALU_DEP_2)
	v_cvt_f64_f32_e32 v[10:11], v0
	v_cvt_f64_f32_e32 v[12:13], v3
	global_store_b128 v[1:2], v[10:13], off
.LBB241_1183:
	s_and_not1_b32 vcc_lo, exec_lo, s3
	s_cbranch_vccnz .LBB241_1185
; %bb.1184:
	s_waitcnt vmcnt(0)
	v_cvt_f32_f16_e32 v6, v4
	v_cvt_f32_f16_e32 v7, v7
	global_store_b64 v[1:2], v[6:7], off
.LBB241_1185:
	s_mov_b32 s3, 0
.LBB241_1186:
	s_delay_alu instid0(SALU_CYCLE_1)
	s_and_not1_b32 vcc_lo, exec_lo, s3
	s_cbranch_vccnz .LBB241_1188
; %bb.1187:
	global_store_b32 v[1:2], v9, off
.LBB241_1188:
	s_mov_b32 s3, 0
.LBB241_1189:
	s_delay_alu instid0(SALU_CYCLE_1)
	s_and_not1_b32 vcc_lo, exec_lo, s3
	s_cbranch_vccnz .LBB241_1198
; %bb.1190:
	v_cmp_gt_i16_e32 vcc_lo, 6, v5
	s_mov_b32 s3, -1
	s_cbranch_vccnz .LBB241_1196
; %bb.1191:
	v_cmp_lt_i16_e32 vcc_lo, 6, v5
	s_cbranch_vccz .LBB241_1193
; %bb.1192:
	v_cvt_f32_f16_e32 v0, v4
	s_mov_b32 s3, 0
	s_waitcnt vmcnt(0)
	s_delay_alu instid0(VALU_DEP_1)
	v_cvt_f64_f32_e32 v[6:7], v0
	global_store_b64 v[1:2], v[6:7], off
.LBB241_1193:
	s_and_not1_b32 vcc_lo, exec_lo, s3
	s_cbranch_vccnz .LBB241_1195
; %bb.1194:
	v_cvt_f32_f16_e32 v0, v4
	global_store_b32 v[1:2], v0, off
.LBB241_1195:
	s_mov_b32 s3, 0
.LBB241_1196:
	s_delay_alu instid0(SALU_CYCLE_1)
	s_and_not1_b32 vcc_lo, exec_lo, s3
	s_cbranch_vccnz .LBB241_1198
; %bb.1197:
	global_store_b16 v[1:2], v4, off
.LBB241_1198:
	s_mov_b32 s3, 0
.LBB241_1199:
	s_delay_alu instid0(SALU_CYCLE_1)
	s_and_not1_b32 vcc_lo, exec_lo, s3
	s_cbranch_vccnz .LBB241_1215
; %bb.1200:
	v_cmp_gt_i16_e32 vcc_lo, 2, v5
	s_mov_b32 s3, -1
	s_cbranch_vccnz .LBB241_1210
; %bb.1201:
	v_cmp_gt_i16_e32 vcc_lo, 3, v5
	s_cbranch_vccnz .LBB241_1207
; %bb.1202:
	v_cmp_lt_i16_e32 vcc_lo, 3, v5
	s_cbranch_vccz .LBB241_1204
; %bb.1203:
	v_cvt_f32_f16_e32 v0, v4
	s_mov_b32 s3, 0
	s_waitcnt vmcnt(0)
	s_delay_alu instid0(VALU_DEP_1) | instskip(NEXT) | instid1(VALU_DEP_1)
	v_cvt_i32_f32_e32 v6, v0
	v_ashrrev_i32_e32 v7, 31, v6
	global_store_b64 v[1:2], v[6:7], off
.LBB241_1204:
	s_and_not1_b32 vcc_lo, exec_lo, s3
	s_cbranch_vccnz .LBB241_1206
; %bb.1205:
	v_cvt_f32_f16_e32 v0, v4
	s_delay_alu instid0(VALU_DEP_1)
	v_cvt_i32_f32_e32 v0, v0
	global_store_b32 v[1:2], v0, off
.LBB241_1206:
	s_mov_b32 s3, 0
.LBB241_1207:
	s_delay_alu instid0(SALU_CYCLE_1)
	s_and_not1_b32 vcc_lo, exec_lo, s3
	s_cbranch_vccnz .LBB241_1209
; %bb.1208:
	v_cvt_i16_f16_e32 v0, v4
	global_store_b16 v[1:2], v0, off
.LBB241_1209:
	s_mov_b32 s3, 0
.LBB241_1210:
	s_delay_alu instid0(SALU_CYCLE_1)
	s_and_not1_b32 vcc_lo, exec_lo, s3
	s_cbranch_vccnz .LBB241_1215
; %bb.1211:
	v_cmp_lt_i16_e32 vcc_lo, 0, v5
	s_mov_b32 s3, -1
	s_cbranch_vccz .LBB241_1213
; %bb.1212:
	v_cvt_i16_f16_e32 v0, v4
	s_mov_b32 s3, 0
	global_store_b8 v[1:2], v0, off
.LBB241_1213:
	s_and_not1_b32 vcc_lo, exec_lo, s3
	s_cbranch_vccnz .LBB241_1215
; %bb.1214:
	v_cvt_f32_f16_e32 v0, v4
	s_delay_alu instid0(VALU_DEP_1)
	v_cvt_i32_f32_e32 v0, v0
	global_store_b8 v[1:2], v0, off
.LBB241_1215:
	s_or_b32 exec_lo, exec_lo, s2
	s_delay_alu instid0(SALU_CYCLE_1)
	s_and_b32 s8, s6, exec_lo
                                        ; implicit-def: $vgpr8
                                        ; implicit-def: $vgpr5
.LBB241_1216:
	s_or_saveexec_b32 s9, s28
	s_mov_b32 s3, 0
                                        ; implicit-def: $vgpr0_vgpr1
                                        ; implicit-def: $vgpr6
                                        ; implicit-def: $vgpr4
                                        ; implicit-def: $vgpr3
                                        ; implicit-def: $vgpr2
	s_xor_b32 exec_lo, exec_lo, s9
	s_cbranch_execz .LBB241_2373
; %bb.1217:
	v_cndmask_b32_e64 v0, 0, 1, s27
	s_and_not1_b32 vcc_lo, exec_lo, s27
	s_cbranch_vccnz .LBB241_1223
; %bb.1218:
	v_mov_b32_e32 v3, 0
	v_mov_b32_e32 v7, 0
	s_cmp_lg_u32 s24, 0
	s_mov_b32 s6, 0
	s_cbranch_scc0 .LBB241_1227
; %bb.1219:
	s_min_u32 s7, s25, 15
	v_mov_b32_e32 v3, 0
	s_add_i32 s7, s7, 1
	s_cmp_eq_u32 s25, 2
	s_mov_b32 s10, 0
	s_cbranch_scc1 .LBB241_1224
; %bb.1220:
	v_mov_b32_e32 v7, 0
	v_mov_b32_e32 v3, 0
	;; [unrolled: 1-line block ×3, first 2 shown]
	s_add_u32 s2, s16, 0xc4
	s_addc_u32 s3, s17, 0
	s_and_b32 s10, s7, 28
	s_mov_b32 s11, 0
	s_mov_b64 s[4:5], s[16:17]
.LBB241_1221:                           ; =>This Inner Loop Header: Depth=1
	s_clause 0x1
	s_load_b256 s[36:43], s[4:5], 0x4
	s_load_b128 s[12:15], s[4:5], 0x24
	s_load_b256 s[44:51], s[2:3], 0x0
	s_add_u32 s4, s4, 48
	s_addc_u32 s5, s5, 0
	s_add_i32 s11, s11, 4
	s_add_u32 s2, s2, 32
	s_addc_u32 s3, s3, 0
	s_cmp_lg_u32 s10, s11
	s_waitcnt lgkmcnt(0)
	v_mul_hi_u32 v2, s37, v1
	s_delay_alu instid0(VALU_DEP_1) | instskip(NEXT) | instid1(VALU_DEP_1)
	v_add_nc_u32_e32 v2, v1, v2
	v_lshrrev_b32_e32 v2, s38, v2
	s_delay_alu instid0(VALU_DEP_1) | instskip(SKIP_1) | instid1(VALU_DEP_2)
	v_mul_hi_u32 v4, s40, v2
	v_mul_lo_u32 v9, v2, s36
	v_add_nc_u32_e32 v4, v2, v4
	s_delay_alu instid0(VALU_DEP_2) | instskip(NEXT) | instid1(VALU_DEP_2)
	v_sub_nc_u32_e32 v1, v1, v9
	v_lshrrev_b32_e32 v4, s41, v4
	s_delay_alu instid0(VALU_DEP_2) | instskip(SKIP_2) | instid1(VALU_DEP_3)
	v_mul_lo_u32 v9, v1, s44
	v_mul_lo_u32 v11, v1, s45
	s_waitcnt vmcnt(0)
	v_mul_hi_u32 v6, s43, v4
	s_delay_alu instid0(VALU_DEP_1) | instskip(NEXT) | instid1(VALU_DEP_1)
	v_add_nc_u32_e32 v6, v4, v6
	v_lshrrev_b32_e32 v6, s12, v6
	s_delay_alu instid0(VALU_DEP_1) | instskip(SKIP_1) | instid1(VALU_DEP_2)
	v_mul_hi_u32 v10, s14, v6
	v_mul_lo_u32 v12, v6, s42
	v_add_nc_u32_e32 v1, v6, v10
	v_mul_lo_u32 v10, v4, s39
	s_delay_alu instid0(VALU_DEP_3) | instskip(NEXT) | instid1(VALU_DEP_3)
	v_sub_nc_u32_e32 v4, v4, v12
	v_lshrrev_b32_e32 v1, s15, v1
	s_delay_alu instid0(VALU_DEP_2) | instskip(SKIP_2) | instid1(VALU_DEP_4)
	v_mul_lo_u32 v12, v4, s48
	v_mul_lo_u32 v4, v4, s49
	v_sub_nc_u32_e32 v2, v2, v10
	v_mul_lo_u32 v13, v1, s13
	s_delay_alu instid0(VALU_DEP_2) | instskip(SKIP_1) | instid1(VALU_DEP_3)
	v_mul_lo_u32 v10, v2, s46
	v_mul_lo_u32 v2, v2, s47
	v_sub_nc_u32_e32 v6, v6, v13
	s_delay_alu instid0(VALU_DEP_3) | instskip(NEXT) | instid1(VALU_DEP_2)
	v_add3_u32 v3, v9, v3, v10
	v_mul_lo_u32 v13, v6, s50
	v_mul_lo_u32 v6, v6, s51
	v_add3_u32 v2, v11, v7, v2
	s_delay_alu instid0(VALU_DEP_3) | instskip(NEXT) | instid1(VALU_DEP_2)
	v_add3_u32 v3, v12, v3, v13
	v_add3_u32 v7, v4, v2, v6
	s_cbranch_scc1 .LBB241_1221
; %bb.1222:
	s_and_b32 s7, s7, 3
	s_delay_alu instid0(SALU_CYCLE_1)
	s_cmp_eq_u32 s7, 0
	s_cbranch_scc0 .LBB241_1225
	s_branch .LBB241_1227
.LBB241_1223:
	s_mov_b32 s6, -1
                                        ; implicit-def: $vgpr3
                                        ; implicit-def: $vgpr7
	s_branch .LBB241_1227
.LBB241_1224:
	v_mov_b32_e32 v1, v5
	v_mov_b32_e32 v7, 0
	s_and_b32 s7, s7, 3
	s_delay_alu instid0(SALU_CYCLE_1)
	s_cmp_eq_u32 s7, 0
	s_cbranch_scc1 .LBB241_1227
.LBB241_1225:
	s_lshl_b32 s2, s10, 3
	s_mul_i32 s4, s10, 12
	s_add_u32 s2, s2, s16
	s_addc_u32 s3, 0, s17
	s_add_u32 s2, s2, 0xc4
	s_addc_u32 s3, s3, 0
	;; [unrolled: 2-line block ×3, first 2 shown]
	.p2align	6
.LBB241_1226:                           ; =>This Inner Loop Header: Depth=1
	s_clause 0x1
	s_load_b64 s[10:11], s[4:5], 0x4
	s_load_b32 s14, s[4:5], 0xc
	s_load_b64 s[12:13], s[2:3], 0x0
	s_add_u32 s4, s4, 12
	s_addc_u32 s5, s5, 0
	s_add_u32 s2, s2, 8
	s_addc_u32 s3, s3, 0
	s_add_i32 s7, s7, -1
	s_delay_alu instid0(SALU_CYCLE_1) | instskip(SKIP_2) | instid1(VALU_DEP_1)
	s_cmp_lg_u32 s7, 0
	s_waitcnt lgkmcnt(0)
	v_mul_hi_u32 v2, s11, v1
	v_add_nc_u32_e32 v2, v1, v2
	s_delay_alu instid0(VALU_DEP_1) | instskip(NEXT) | instid1(VALU_DEP_1)
	v_lshrrev_b32_e32 v4, s14, v2
	v_mul_lo_u32 v2, v4, s10
	s_delay_alu instid0(VALU_DEP_1) | instskip(NEXT) | instid1(VALU_DEP_1)
	v_sub_nc_u32_e32 v1, v1, v2
	v_mad_u64_u32 v[9:10], null, v1, s12, v[3:4]
	v_mad_u64_u32 v[2:3], null, v1, s13, v[7:8]
	v_mov_b32_e32 v1, v4
	s_delay_alu instid0(VALU_DEP_3) | instskip(NEXT) | instid1(VALU_DEP_3)
	v_mov_b32_e32 v3, v9
	v_mov_b32_e32 v7, v2
	s_cbranch_scc1 .LBB241_1226
.LBB241_1227:
	s_and_not1_b32 vcc_lo, exec_lo, s6
	s_cbranch_vccnz .LBB241_1230
; %bb.1228:
	s_clause 0x1
	s_load_b128 s[4:7], s[16:17], 0x4
	s_load_b64 s[2:3], s[16:17], 0xc4
	s_cmp_lt_u32 s24, 2
	s_waitcnt lgkmcnt(0)
	v_mul_hi_u32 v1, s5, v5
	s_delay_alu instid0(VALU_DEP_1) | instskip(NEXT) | instid1(VALU_DEP_1)
	v_add_nc_u32_e32 v1, v5, v1
	v_lshrrev_b32_e32 v1, s6, v1
	s_delay_alu instid0(VALU_DEP_1) | instskip(NEXT) | instid1(VALU_DEP_1)
	v_mul_lo_u32 v2, v1, s4
	v_sub_nc_u32_e32 v2, v5, v2
	s_delay_alu instid0(VALU_DEP_1)
	v_mul_lo_u32 v3, v2, s2
	v_mul_lo_u32 v7, v2, s3
	s_cbranch_scc1 .LBB241_1230
; %bb.1229:
	s_clause 0x1
	s_load_b128 s[4:7], s[16:17], 0x10
	s_load_b64 s[2:3], s[16:17], 0xcc
	s_waitcnt lgkmcnt(0)
	v_mul_hi_u32 v2, s5, v1
	s_delay_alu instid0(VALU_DEP_1) | instskip(NEXT) | instid1(VALU_DEP_1)
	v_add_nc_u32_e32 v2, v1, v2
	v_lshrrev_b32_e32 v2, s6, v2
	s_delay_alu instid0(VALU_DEP_1) | instskip(NEXT) | instid1(VALU_DEP_1)
	v_mul_lo_u32 v2, v2, s4
	v_sub_nc_u32_e32 v4, v1, v2
	s_delay_alu instid0(VALU_DEP_1) | instskip(SKIP_1) | instid1(VALU_DEP_2)
	v_mad_u64_u32 v[1:2], null, v4, s2, v[3:4]
	v_mad_u64_u32 v[2:3], null, v4, s3, v[7:8]
	v_mov_b32_e32 v3, v1
	s_delay_alu instid0(VALU_DEP_2)
	v_mov_b32_e32 v7, v2
.LBB241_1230:
	v_cmp_ne_u32_e32 vcc_lo, 1, v0
	v_add_nc_u32_e32 v1, 0x80, v5
	s_cbranch_vccnz .LBB241_1236
; %bb.1231:
	v_mov_b32_e32 v2, 0
	s_waitcnt vmcnt(0)
	v_mov_b32_e32 v6, 0
	s_cmp_lg_u32 s24, 0
	s_mov_b32 s6, 0
	s_cbranch_scc0 .LBB241_1240
; %bb.1232:
	s_min_u32 s7, s25, 15
	v_mov_b32_e32 v2, 0
	s_add_i32 s7, s7, 1
	s_cmp_eq_u32 s25, 2
	s_mov_b32 s10, 0
	s_cbranch_scc1 .LBB241_1237
; %bb.1233:
	v_mov_b32_e32 v6, 0
	v_mov_b32_e32 v2, 0
	;; [unrolled: 1-line block ×3, first 2 shown]
	s_add_u32 s2, s16, 0xc4
	s_addc_u32 s3, s17, 0
	s_and_b32 s10, s7, 28
	s_mov_b32 s11, 0
	s_mov_b64 s[4:5], s[16:17]
.LBB241_1234:                           ; =>This Inner Loop Header: Depth=1
	s_clause 0x1
	s_load_b256 s[36:43], s[4:5], 0x4
	s_load_b128 s[12:15], s[4:5], 0x24
	s_load_b256 s[44:51], s[2:3], 0x0
	s_add_u32 s4, s4, 48
	s_addc_u32 s5, s5, 0
	s_add_i32 s11, s11, 4
	s_add_u32 s2, s2, 32
	s_addc_u32 s3, s3, 0
	s_cmp_lg_u32 s10, s11
	s_waitcnt lgkmcnt(0)
	v_mul_hi_u32 v9, s37, v4
	s_delay_alu instid0(VALU_DEP_1) | instskip(NEXT) | instid1(VALU_DEP_1)
	v_add_nc_u32_e32 v9, v4, v9
	v_lshrrev_b32_e32 v9, s38, v9
	s_delay_alu instid0(VALU_DEP_1) | instskip(SKIP_1) | instid1(VALU_DEP_2)
	v_mul_hi_u32 v10, s40, v9
	v_mul_lo_u32 v12, v9, s36
	v_add_nc_u32_e32 v10, v9, v10
	s_delay_alu instid0(VALU_DEP_2) | instskip(NEXT) | instid1(VALU_DEP_2)
	v_sub_nc_u32_e32 v4, v4, v12
	v_lshrrev_b32_e32 v10, s41, v10
	s_delay_alu instid0(VALU_DEP_2) | instskip(SKIP_1) | instid1(VALU_DEP_3)
	v_mul_lo_u32 v12, v4, s44
	v_mul_lo_u32 v14, v4, s45
	v_mul_hi_u32 v11, s43, v10
	s_delay_alu instid0(VALU_DEP_1) | instskip(NEXT) | instid1(VALU_DEP_1)
	v_add_nc_u32_e32 v11, v10, v11
	v_lshrrev_b32_e32 v11, s12, v11
	s_delay_alu instid0(VALU_DEP_1) | instskip(SKIP_1) | instid1(VALU_DEP_2)
	v_mul_hi_u32 v13, s14, v11
	v_mul_lo_u32 v15, v11, s42
	v_add_nc_u32_e32 v4, v11, v13
	v_mul_lo_u32 v13, v10, s39
	s_delay_alu instid0(VALU_DEP_3) | instskip(NEXT) | instid1(VALU_DEP_3)
	v_sub_nc_u32_e32 v10, v10, v15
	v_lshrrev_b32_e32 v4, s15, v4
	s_delay_alu instid0(VALU_DEP_2) | instskip(SKIP_2) | instid1(VALU_DEP_4)
	v_mul_lo_u32 v15, v10, s48
	v_mul_lo_u32 v10, v10, s49
	v_sub_nc_u32_e32 v9, v9, v13
	v_mul_lo_u32 v16, v4, s13
	s_delay_alu instid0(VALU_DEP_2) | instskip(SKIP_1) | instid1(VALU_DEP_3)
	v_mul_lo_u32 v13, v9, s46
	v_mul_lo_u32 v9, v9, s47
	v_sub_nc_u32_e32 v11, v11, v16
	s_delay_alu instid0(VALU_DEP_3) | instskip(NEXT) | instid1(VALU_DEP_2)
	v_add3_u32 v2, v12, v2, v13
	v_mul_lo_u32 v16, v11, s50
	v_mul_lo_u32 v11, v11, s51
	v_add3_u32 v6, v14, v6, v9
	s_delay_alu instid0(VALU_DEP_3) | instskip(NEXT) | instid1(VALU_DEP_2)
	v_add3_u32 v2, v15, v2, v16
	v_add3_u32 v6, v10, v6, v11
	s_cbranch_scc1 .LBB241_1234
; %bb.1235:
	s_and_b32 s7, s7, 3
	s_delay_alu instid0(SALU_CYCLE_1)
	s_cmp_eq_u32 s7, 0
	s_cbranch_scc0 .LBB241_1238
	s_branch .LBB241_1240
.LBB241_1236:
	s_mov_b32 s6, -1
                                        ; implicit-def: $vgpr2
                                        ; implicit-def: $vgpr6
	s_branch .LBB241_1240
.LBB241_1237:
	v_mov_b32_e32 v4, v1
	v_mov_b32_e32 v6, 0
	s_and_b32 s7, s7, 3
	s_delay_alu instid0(SALU_CYCLE_1)
	s_cmp_eq_u32 s7, 0
	s_cbranch_scc1 .LBB241_1240
.LBB241_1238:
	s_lshl_b32 s2, s10, 3
	s_mul_i32 s4, s10, 12
	s_add_u32 s2, s2, s16
	s_addc_u32 s3, 0, s17
	s_add_u32 s2, s2, 0xc4
	s_addc_u32 s3, s3, 0
	s_add_u32 s4, s16, s4
	s_addc_u32 s5, 0, s17
	.p2align	6
.LBB241_1239:                           ; =>This Inner Loop Header: Depth=1
	s_clause 0x1
	s_load_b64 s[10:11], s[4:5], 0x4
	s_load_b32 s14, s[4:5], 0xc
	s_load_b64 s[12:13], s[2:3], 0x0
	s_add_u32 s4, s4, 12
	s_addc_u32 s5, s5, 0
	s_add_u32 s2, s2, 8
	s_addc_u32 s3, s3, 0
	s_add_i32 s7, s7, -1
	s_delay_alu instid0(SALU_CYCLE_1) | instskip(SKIP_2) | instid1(VALU_DEP_1)
	s_cmp_lg_u32 s7, 0
	s_waitcnt lgkmcnt(0)
	v_mul_hi_u32 v9, s11, v4
	v_add_nc_u32_e32 v9, v4, v9
	s_delay_alu instid0(VALU_DEP_1) | instskip(NEXT) | instid1(VALU_DEP_1)
	v_lshrrev_b32_e32 v12, s14, v9
	v_mul_lo_u32 v9, v12, s10
	s_delay_alu instid0(VALU_DEP_1) | instskip(NEXT) | instid1(VALU_DEP_1)
	v_sub_nc_u32_e32 v4, v4, v9
	v_mad_u64_u32 v[9:10], null, v4, s12, v[2:3]
	v_mad_u64_u32 v[10:11], null, v4, s13, v[6:7]
	v_mov_b32_e32 v4, v12
	s_delay_alu instid0(VALU_DEP_3) | instskip(NEXT) | instid1(VALU_DEP_3)
	v_mov_b32_e32 v2, v9
	v_mov_b32_e32 v6, v10
	s_cbranch_scc1 .LBB241_1239
.LBB241_1240:
	s_and_not1_b32 vcc_lo, exec_lo, s6
	s_cbranch_vccnz .LBB241_1243
; %bb.1241:
	s_clause 0x1
	s_load_b128 s[4:7], s[16:17], 0x4
	s_load_b64 s[2:3], s[16:17], 0xc4
	s_cmp_lt_u32 s24, 2
	s_waitcnt lgkmcnt(0)
	v_mul_hi_u32 v2, s5, v1
	s_delay_alu instid0(VALU_DEP_1) | instskip(NEXT) | instid1(VALU_DEP_1)
	v_add_nc_u32_e32 v2, v1, v2
	v_lshrrev_b32_e32 v4, s6, v2
	s_delay_alu instid0(VALU_DEP_1) | instskip(NEXT) | instid1(VALU_DEP_1)
	v_mul_lo_u32 v2, v4, s4
	v_sub_nc_u32_e32 v1, v1, v2
	s_delay_alu instid0(VALU_DEP_1)
	v_mul_lo_u32 v2, v1, s2
	s_waitcnt vmcnt(0)
	v_mul_lo_u32 v6, v1, s3
	s_cbranch_scc1 .LBB241_1243
; %bb.1242:
	s_clause 0x1
	s_load_b128 s[4:7], s[16:17], 0x10
	s_load_b64 s[2:3], s[16:17], 0xcc
	s_waitcnt lgkmcnt(0)
	v_mul_hi_u32 v1, s5, v4
	s_delay_alu instid0(VALU_DEP_1) | instskip(NEXT) | instid1(VALU_DEP_1)
	v_add_nc_u32_e32 v1, v4, v1
	v_lshrrev_b32_e32 v1, s6, v1
	s_delay_alu instid0(VALU_DEP_1) | instskip(NEXT) | instid1(VALU_DEP_1)
	v_mul_lo_u32 v1, v1, s4
	v_sub_nc_u32_e32 v4, v4, v1
	s_delay_alu instid0(VALU_DEP_1) | instskip(SKIP_1) | instid1(VALU_DEP_2)
	v_mad_u64_u32 v[9:10], null, v4, s2, v[2:3]
	v_mad_u64_u32 v[1:2], null, v4, s3, v[6:7]
	v_mov_b32_e32 v2, v9
	s_delay_alu instid0(VALU_DEP_2)
	v_mov_b32_e32 v6, v1
.LBB241_1243:
	v_cmp_ne_u32_e32 vcc_lo, 1, v0
	v_add_nc_u32_e32 v4, 0x100, v5
	s_cbranch_vccnz .LBB241_1249
; %bb.1244:
	v_mov_b32_e32 v1, 0
	v_mov_b32_e32 v5, 0
	s_cmp_lg_u32 s24, 0
	s_mov_b32 s6, 0
	s_cbranch_scc0 .LBB241_1253
; %bb.1245:
	s_min_u32 s7, s25, 15
	v_mov_b32_e32 v1, 0
	s_add_i32 s7, s7, 1
	s_cmp_eq_u32 s25, 2
	s_mov_b32 s10, 0
	s_cbranch_scc1 .LBB241_1250
; %bb.1246:
	v_mov_b32_e32 v5, 0
	v_mov_b32_e32 v1, 0
	v_mov_b32_e32 v9, v4
	s_add_u32 s2, s16, 0xc4
	s_addc_u32 s3, s17, 0
	s_and_b32 s10, s7, 28
	s_mov_b32 s11, 0
	s_mov_b64 s[4:5], s[16:17]
.LBB241_1247:                           ; =>This Inner Loop Header: Depth=1
	s_clause 0x1
	s_load_b256 s[36:43], s[4:5], 0x4
	s_load_b128 s[12:15], s[4:5], 0x24
	s_load_b256 s[44:51], s[2:3], 0x0
	s_add_u32 s4, s4, 48
	s_addc_u32 s5, s5, 0
	s_add_i32 s11, s11, 4
	s_add_u32 s2, s2, 32
	s_addc_u32 s3, s3, 0
	s_cmp_lg_u32 s10, s11
	s_waitcnt lgkmcnt(0)
	v_mul_hi_u32 v10, s37, v9
	s_delay_alu instid0(VALU_DEP_1) | instskip(NEXT) | instid1(VALU_DEP_1)
	v_add_nc_u32_e32 v10, v9, v10
	v_lshrrev_b32_e32 v10, s38, v10
	s_delay_alu instid0(VALU_DEP_1) | instskip(SKIP_1) | instid1(VALU_DEP_2)
	v_mul_hi_u32 v11, s40, v10
	v_mul_lo_u32 v13, v10, s36
	v_add_nc_u32_e32 v11, v10, v11
	s_delay_alu instid0(VALU_DEP_2) | instskip(NEXT) | instid1(VALU_DEP_2)
	v_sub_nc_u32_e32 v9, v9, v13
	v_lshrrev_b32_e32 v11, s41, v11
	s_delay_alu instid0(VALU_DEP_2) | instskip(SKIP_1) | instid1(VALU_DEP_3)
	v_mul_lo_u32 v13, v9, s44
	v_mul_lo_u32 v15, v9, s45
	v_mul_hi_u32 v12, s43, v11
	s_delay_alu instid0(VALU_DEP_1) | instskip(NEXT) | instid1(VALU_DEP_1)
	v_add_nc_u32_e32 v12, v11, v12
	v_lshrrev_b32_e32 v12, s12, v12
	s_delay_alu instid0(VALU_DEP_1) | instskip(SKIP_1) | instid1(VALU_DEP_2)
	v_mul_hi_u32 v14, s14, v12
	v_mul_lo_u32 v16, v12, s42
	v_add_nc_u32_e32 v9, v12, v14
	v_mul_lo_u32 v14, v11, s39
	s_delay_alu instid0(VALU_DEP_3) | instskip(NEXT) | instid1(VALU_DEP_3)
	v_sub_nc_u32_e32 v11, v11, v16
	v_lshrrev_b32_e32 v9, s15, v9
	s_delay_alu instid0(VALU_DEP_2) | instskip(SKIP_2) | instid1(VALU_DEP_4)
	v_mul_lo_u32 v16, v11, s48
	v_mul_lo_u32 v11, v11, s49
	v_sub_nc_u32_e32 v10, v10, v14
	v_mul_lo_u32 v17, v9, s13
	s_delay_alu instid0(VALU_DEP_2) | instskip(SKIP_1) | instid1(VALU_DEP_3)
	v_mul_lo_u32 v14, v10, s46
	v_mul_lo_u32 v10, v10, s47
	v_sub_nc_u32_e32 v12, v12, v17
	s_delay_alu instid0(VALU_DEP_3) | instskip(NEXT) | instid1(VALU_DEP_2)
	v_add3_u32 v1, v13, v1, v14
	v_mul_lo_u32 v17, v12, s50
	v_mul_lo_u32 v12, v12, s51
	v_add3_u32 v5, v15, v5, v10
	s_delay_alu instid0(VALU_DEP_3) | instskip(NEXT) | instid1(VALU_DEP_2)
	v_add3_u32 v1, v16, v1, v17
	v_add3_u32 v5, v11, v5, v12
	s_cbranch_scc1 .LBB241_1247
; %bb.1248:
	s_and_b32 s7, s7, 3
	s_delay_alu instid0(SALU_CYCLE_1)
	s_cmp_eq_u32 s7, 0
	s_cbranch_scc0 .LBB241_1251
	s_branch .LBB241_1253
.LBB241_1249:
	s_mov_b32 s6, -1
                                        ; implicit-def: $vgpr1
                                        ; implicit-def: $vgpr5
	s_branch .LBB241_1253
.LBB241_1250:
	v_mov_b32_e32 v9, v4
	v_mov_b32_e32 v5, 0
	s_and_b32 s7, s7, 3
	s_delay_alu instid0(SALU_CYCLE_1)
	s_cmp_eq_u32 s7, 0
	s_cbranch_scc1 .LBB241_1253
.LBB241_1251:
	s_lshl_b32 s2, s10, 3
	s_mul_i32 s4, s10, 12
	s_add_u32 s2, s2, s16
	s_addc_u32 s3, 0, s17
	s_add_u32 s2, s2, 0xc4
	s_addc_u32 s3, s3, 0
	;; [unrolled: 2-line block ×3, first 2 shown]
	.p2align	6
.LBB241_1252:                           ; =>This Inner Loop Header: Depth=1
	s_clause 0x1
	s_load_b64 s[10:11], s[4:5], 0x4
	s_load_b32 s14, s[4:5], 0xc
	s_load_b64 s[12:13], s[2:3], 0x0
	s_add_u32 s4, s4, 12
	s_addc_u32 s5, s5, 0
	s_add_u32 s2, s2, 8
	s_addc_u32 s3, s3, 0
	s_add_i32 s7, s7, -1
	s_delay_alu instid0(SALU_CYCLE_1) | instskip(SKIP_2) | instid1(VALU_DEP_1)
	s_cmp_lg_u32 s7, 0
	s_waitcnt lgkmcnt(0)
	v_mul_hi_u32 v10, s11, v9
	v_add_nc_u32_e32 v10, v9, v10
	s_delay_alu instid0(VALU_DEP_1) | instskip(NEXT) | instid1(VALU_DEP_1)
	v_lshrrev_b32_e32 v13, s14, v10
	v_mul_lo_u32 v10, v13, s10
	s_delay_alu instid0(VALU_DEP_1) | instskip(NEXT) | instid1(VALU_DEP_1)
	v_sub_nc_u32_e32 v9, v9, v10
	v_mad_u64_u32 v[10:11], null, v9, s12, v[1:2]
	s_waitcnt vmcnt(0)
	v_mad_u64_u32 v[11:12], null, v9, s13, v[5:6]
	v_mov_b32_e32 v9, v13
	s_delay_alu instid0(VALU_DEP_3) | instskip(NEXT) | instid1(VALU_DEP_3)
	v_mov_b32_e32 v1, v10
	v_mov_b32_e32 v5, v11
	s_cbranch_scc1 .LBB241_1252
.LBB241_1253:
	s_and_not1_b32 vcc_lo, exec_lo, s6
	s_cbranch_vccnz .LBB241_1256
; %bb.1254:
	s_clause 0x1
	s_load_b128 s[4:7], s[16:17], 0x4
	s_load_b64 s[2:3], s[16:17], 0xc4
	s_cmp_lt_u32 s24, 2
	s_waitcnt lgkmcnt(0)
	v_mul_hi_u32 v1, s5, v4
	s_delay_alu instid0(VALU_DEP_1) | instskip(NEXT) | instid1(VALU_DEP_1)
	v_add_nc_u32_e32 v1, v4, v1
	v_lshrrev_b32_e32 v9, s6, v1
	s_delay_alu instid0(VALU_DEP_1) | instskip(NEXT) | instid1(VALU_DEP_1)
	v_mul_lo_u32 v1, v9, s4
	v_sub_nc_u32_e32 v4, v4, v1
	s_delay_alu instid0(VALU_DEP_1)
	v_mul_lo_u32 v1, v4, s2
	v_mul_lo_u32 v5, v4, s3
	s_cbranch_scc1 .LBB241_1256
; %bb.1255:
	s_clause 0x1
	s_load_b128 s[4:7], s[16:17], 0x10
	s_load_b64 s[2:3], s[16:17], 0xcc
	s_waitcnt lgkmcnt(0)
	v_mul_hi_u32 v4, s5, v9
	s_delay_alu instid0(VALU_DEP_1) | instskip(NEXT) | instid1(VALU_DEP_1)
	v_add_nc_u32_e32 v4, v9, v4
	v_lshrrev_b32_e32 v4, s6, v4
	s_delay_alu instid0(VALU_DEP_1) | instskip(NEXT) | instid1(VALU_DEP_1)
	v_mul_lo_u32 v4, v4, s4
	v_sub_nc_u32_e32 v4, v9, v4
	s_delay_alu instid0(VALU_DEP_1) | instskip(SKIP_2) | instid1(VALU_DEP_2)
	v_mad_u64_u32 v[9:10], null, v4, s2, v[1:2]
	s_waitcnt vmcnt(0)
	v_mad_u64_u32 v[10:11], null, v4, s3, v[5:6]
	v_mov_b32_e32 v1, v9
	s_delay_alu instid0(VALU_DEP_2)
	v_mov_b32_e32 v5, v10
.LBB241_1256:
	v_cmp_ne_u32_e32 vcc_lo, 1, v0
	s_cbranch_vccnz .LBB241_1262
; %bb.1257:
	v_mov_b32_e32 v0, 0
	v_mov_b32_e32 v4, 0
	s_cmp_lg_u32 s24, 0
	s_mov_b32 s6, 0
	s_cbranch_scc0 .LBB241_1266
; %bb.1258:
	s_min_u32 s7, s25, 15
	v_mov_b32_e32 v0, 0
	s_add_i32 s7, s7, 1
	s_cmp_eq_u32 s25, 2
	s_mov_b32 s10, 0
	s_cbranch_scc1 .LBB241_1263
; %bb.1259:
	v_dual_mov_b32 v4, 0 :: v_dual_mov_b32 v9, v8
	v_mov_b32_e32 v0, 0
	s_add_u32 s2, s16, 0xc4
	s_addc_u32 s3, s17, 0
	s_and_b32 s10, s7, 28
	s_mov_b32 s11, 0
	s_mov_b64 s[4:5], s[16:17]
.LBB241_1260:                           ; =>This Inner Loop Header: Depth=1
	s_clause 0x1
	s_load_b256 s[36:43], s[4:5], 0x4
	s_load_b128 s[12:15], s[4:5], 0x24
	s_load_b256 s[44:51], s[2:3], 0x0
	s_add_u32 s4, s4, 48
	s_addc_u32 s5, s5, 0
	s_add_i32 s11, s11, 4
	s_add_u32 s2, s2, 32
	s_addc_u32 s3, s3, 0
	s_cmp_lg_u32 s10, s11
	s_waitcnt lgkmcnt(0)
	v_mul_hi_u32 v10, s37, v9
	s_delay_alu instid0(VALU_DEP_1) | instskip(NEXT) | instid1(VALU_DEP_1)
	v_add_nc_u32_e32 v10, v9, v10
	v_lshrrev_b32_e32 v10, s38, v10
	s_delay_alu instid0(VALU_DEP_1) | instskip(SKIP_1) | instid1(VALU_DEP_2)
	v_mul_hi_u32 v11, s40, v10
	v_mul_lo_u32 v13, v10, s36
	v_add_nc_u32_e32 v11, v10, v11
	s_delay_alu instid0(VALU_DEP_2) | instskip(NEXT) | instid1(VALU_DEP_2)
	v_sub_nc_u32_e32 v9, v9, v13
	v_lshrrev_b32_e32 v11, s41, v11
	s_delay_alu instid0(VALU_DEP_2) | instskip(SKIP_1) | instid1(VALU_DEP_3)
	v_mul_lo_u32 v13, v9, s44
	v_mul_lo_u32 v15, v9, s45
	v_mul_hi_u32 v12, s43, v11
	s_delay_alu instid0(VALU_DEP_1) | instskip(NEXT) | instid1(VALU_DEP_1)
	v_add_nc_u32_e32 v12, v11, v12
	v_lshrrev_b32_e32 v12, s12, v12
	s_delay_alu instid0(VALU_DEP_1) | instskip(SKIP_1) | instid1(VALU_DEP_2)
	v_mul_hi_u32 v14, s14, v12
	v_mul_lo_u32 v16, v12, s42
	v_add_nc_u32_e32 v9, v12, v14
	v_mul_lo_u32 v14, v11, s39
	s_delay_alu instid0(VALU_DEP_3) | instskip(NEXT) | instid1(VALU_DEP_3)
	v_sub_nc_u32_e32 v11, v11, v16
	v_lshrrev_b32_e32 v9, s15, v9
	s_delay_alu instid0(VALU_DEP_2) | instskip(SKIP_2) | instid1(VALU_DEP_4)
	v_mul_lo_u32 v16, v11, s48
	v_mul_lo_u32 v11, v11, s49
	v_sub_nc_u32_e32 v10, v10, v14
	v_mul_lo_u32 v17, v9, s13
	s_delay_alu instid0(VALU_DEP_2) | instskip(SKIP_1) | instid1(VALU_DEP_3)
	v_mul_lo_u32 v14, v10, s46
	v_mul_lo_u32 v10, v10, s47
	v_sub_nc_u32_e32 v12, v12, v17
	s_delay_alu instid0(VALU_DEP_3) | instskip(NEXT) | instid1(VALU_DEP_2)
	v_add3_u32 v0, v13, v0, v14
	v_mul_lo_u32 v17, v12, s50
	v_mul_lo_u32 v12, v12, s51
	v_add3_u32 v4, v15, v4, v10
	s_delay_alu instid0(VALU_DEP_3) | instskip(NEXT) | instid1(VALU_DEP_2)
	v_add3_u32 v0, v16, v0, v17
	v_add3_u32 v4, v11, v4, v12
	s_cbranch_scc1 .LBB241_1260
; %bb.1261:
	s_and_b32 s7, s7, 3
	s_delay_alu instid0(SALU_CYCLE_1)
	s_cmp_eq_u32 s7, 0
	s_cbranch_scc0 .LBB241_1264
	s_branch .LBB241_1266
.LBB241_1262:
	s_mov_b32 s6, -1
                                        ; implicit-def: $vgpr0
                                        ; implicit-def: $vgpr4
	s_branch .LBB241_1266
.LBB241_1263:
	v_dual_mov_b32 v9, v8 :: v_dual_mov_b32 v4, 0
	s_and_b32 s7, s7, 3
	s_delay_alu instid0(SALU_CYCLE_1)
	s_cmp_eq_u32 s7, 0
	s_cbranch_scc1 .LBB241_1266
.LBB241_1264:
	s_lshl_b32 s2, s10, 3
	s_mul_i32 s4, s10, 12
	s_add_u32 s2, s2, s16
	s_addc_u32 s3, 0, s17
	s_add_u32 s2, s2, 0xc4
	s_addc_u32 s3, s3, 0
	;; [unrolled: 2-line block ×3, first 2 shown]
	.p2align	6
.LBB241_1265:                           ; =>This Inner Loop Header: Depth=1
	s_clause 0x1
	s_load_b64 s[10:11], s[4:5], 0x4
	s_load_b32 s14, s[4:5], 0xc
	s_load_b64 s[12:13], s[2:3], 0x0
	s_add_u32 s4, s4, 12
	s_addc_u32 s5, s5, 0
	s_add_u32 s2, s2, 8
	s_addc_u32 s3, s3, 0
	s_add_i32 s7, s7, -1
	s_delay_alu instid0(SALU_CYCLE_1) | instskip(SKIP_2) | instid1(VALU_DEP_1)
	s_cmp_lg_u32 s7, 0
	s_waitcnt lgkmcnt(0)
	v_mul_hi_u32 v10, s11, v9
	v_add_nc_u32_e32 v10, v9, v10
	s_delay_alu instid0(VALU_DEP_1) | instskip(NEXT) | instid1(VALU_DEP_1)
	v_lshrrev_b32_e32 v13, s14, v10
	v_mul_lo_u32 v10, v13, s10
	s_delay_alu instid0(VALU_DEP_1) | instskip(NEXT) | instid1(VALU_DEP_1)
	v_sub_nc_u32_e32 v9, v9, v10
	v_mad_u64_u32 v[10:11], null, v9, s12, v[0:1]
	v_mad_u64_u32 v[11:12], null, v9, s13, v[4:5]
	s_delay_alu instid0(VALU_DEP_2) | instskip(NEXT) | instid1(VALU_DEP_2)
	v_dual_mov_b32 v9, v13 :: v_dual_mov_b32 v0, v10
	v_mov_b32_e32 v4, v11
	s_cbranch_scc1 .LBB241_1265
.LBB241_1266:
	s_and_not1_b32 vcc_lo, exec_lo, s6
	s_cbranch_vccnz .LBB241_1269
; %bb.1267:
	s_clause 0x1
	s_load_b128 s[4:7], s[16:17], 0x4
	s_load_b64 s[2:3], s[16:17], 0xc4
	s_cmp_lt_u32 s24, 2
	s_waitcnt lgkmcnt(0)
	v_mul_hi_u32 v0, s5, v8
	s_delay_alu instid0(VALU_DEP_1) | instskip(NEXT) | instid1(VALU_DEP_1)
	v_add_nc_u32_e32 v0, v8, v0
	v_lshrrev_b32_e32 v9, s6, v0
	s_delay_alu instid0(VALU_DEP_1) | instskip(NEXT) | instid1(VALU_DEP_1)
	v_mul_lo_u32 v0, v9, s4
	v_sub_nc_u32_e32 v4, v8, v0
	s_delay_alu instid0(VALU_DEP_1)
	v_mul_lo_u32 v0, v4, s2
	v_mul_lo_u32 v4, v4, s3
	s_cbranch_scc1 .LBB241_1269
; %bb.1268:
	s_clause 0x1
	s_load_b128 s[4:7], s[16:17], 0x10
	s_load_b64 s[2:3], s[16:17], 0xcc
	s_waitcnt lgkmcnt(0)
	v_mul_hi_u32 v8, s5, v9
	s_delay_alu instid0(VALU_DEP_1) | instskip(NEXT) | instid1(VALU_DEP_1)
	v_add_nc_u32_e32 v8, v9, v8
	v_lshrrev_b32_e32 v8, s6, v8
	s_delay_alu instid0(VALU_DEP_1) | instskip(NEXT) | instid1(VALU_DEP_1)
	v_mul_lo_u32 v8, v8, s4
	v_sub_nc_u32_e32 v11, v9, v8
	s_delay_alu instid0(VALU_DEP_1) | instskip(SKIP_1) | instid1(VALU_DEP_2)
	v_mad_u64_u32 v[8:9], null, v11, s2, v[0:1]
	v_mad_u64_u32 v[9:10], null, v11, s3, v[4:5]
	v_mov_b32_e32 v0, v8
	s_delay_alu instid0(VALU_DEP_2)
	v_mov_b32_e32 v4, v9
.LBB241_1269:
	s_clause 0x1
	s_load_b32 s3, s[0:1], 0x160
	s_load_b128 s[4:7], s[16:17], 0x148
	s_mov_b32 s10, 0
	s_waitcnt lgkmcnt(0)
	s_lshr_b32 s0, s3, 16
	s_delay_alu instid0(SALU_CYCLE_1) | instskip(SKIP_1) | instid1(VALU_DEP_1)
	v_and_b32_e64 v9, 0xff, s0
	v_add_co_u32 v7, s0, s6, v7
	v_add_co_ci_u32_e64 v8, null, s7, 0, s0
	s_delay_alu instid0(VALU_DEP_3)
	v_cmp_gt_i16_e32 vcc_lo, 11, v9
	s_cbranch_vccnz .LBB241_1276
; %bb.1270:
	v_cmp_lt_i16_e32 vcc_lo, 25, v9
	s_mov_b32 s1, 0
	s_cbranch_vccz .LBB241_1282
; %bb.1271:
	v_cmp_lt_i16_e32 vcc_lo, 28, v9
	s_cbranch_vccz .LBB241_1285
; %bb.1272:
	v_cmp_lt_i16_e32 vcc_lo, 43, v9
	;; [unrolled: 3-line block ×3, first 2 shown]
	s_cbranch_vccz .LBB241_1291
; %bb.1274:
	v_cmp_eq_u16_e32 vcc_lo, 46, v9
	s_mov_b32 s2, 0
	s_cbranch_vccz .LBB241_1334
; %bb.1275:
	global_load_b32 v10, v[7:8], off
	s_mov_b32 s0, 0
	s_mov_b32 s10, -1
	s_waitcnt vmcnt(0)
	v_lshlrev_b32_e32 v11, 16, v10
	v_and_b32_e32 v10, 0xffff0000, v10
	s_delay_alu instid0(VALU_DEP_2) | instskip(NEXT) | instid1(VALU_DEP_2)
	v_cvt_f16_f32_e32 v11, v11
	v_cvt_f16_f32_e32 v10, v10
	s_branch .LBB241_1336
.LBB241_1276:
	s_mov_b32 s2, s8
                                        ; implicit-def: $vgpr10
                                        ; implicit-def: $vgpr11
	s_cbranch_execz .LBB241_1402
; %bb.1277:
	v_cmp_gt_i16_e32 vcc_lo, 5, v9
	s_cbranch_vccnz .LBB241_1283
; %bb.1278:
	v_cmp_gt_i16_e32 vcc_lo, 8, v9
	s_cbranch_vccnz .LBB241_1286
	;; [unrolled: 3-line block ×3, first 2 shown]
; %bb.1280:
	v_cmp_lt_i16_e32 vcc_lo, 9, v9
	s_cbranch_vccz .LBB241_1292
; %bb.1281:
	global_load_b128 v[10:13], v[7:8], off
	s_mov_b32 s0, 0
	s_waitcnt vmcnt(0)
	v_cvt_f32_f64_e32 v10, v[10:11]
	v_cvt_f32_f64_e32 v12, v[12:13]
	s_delay_alu instid0(VALU_DEP_2) | instskip(NEXT) | instid1(VALU_DEP_2)
	v_cvt_f16_f32_e32 v11, v10
	v_cvt_f16_f32_e32 v10, v12
	s_branch .LBB241_1293
.LBB241_1282:
	s_mov_b32 s0, 0
                                        ; implicit-def: $vgpr10
                                        ; implicit-def: $vgpr11
	s_cbranch_execnz .LBB241_1368
	s_branch .LBB241_1398
.LBB241_1283:
                                        ; implicit-def: $vgpr10
                                        ; implicit-def: $vgpr11
	s_branch .LBB241_1311
.LBB241_1284:
	s_branch .LBB241_1403
.LBB241_1285:
	s_mov_b32 s0, 0
                                        ; implicit-def: $vgpr10
                                        ; implicit-def: $vgpr11
	s_cbranch_execnz .LBB241_1348
	s_branch .LBB241_1367
.LBB241_1286:
                                        ; implicit-def: $vgpr10
                                        ; implicit-def: $vgpr11
	s_branch .LBB241_1299
.LBB241_1287:
	s_mov_b32 s2, -1
	s_mov_b32 s0, 0
                                        ; implicit-def: $vgpr10
                                        ; implicit-def: $vgpr11
	s_branch .LBB241_1342
.LBB241_1288:
	s_mov_b32 s0, -1
                                        ; implicit-def: $vgpr10
                                        ; implicit-def: $vgpr11
	s_branch .LBB241_1296
.LBB241_1289:
	s_cbranch_execnz .LBB241_1332
; %bb.1290:
	s_or_b32 s6, s6, exec_lo
	s_and_not1_b32 s8, s8, exec_lo
	s_or_b32 exec_lo, exec_lo, s2
	s_and_saveexec_b32 s2, s8
	s_delay_alu instid0(SALU_CYCLE_1)
	s_xor_b32 s2, exec_lo, s2
	s_cbranch_execnz .LBB241_1176
	s_branch .LBB241_1177
.LBB241_1291:
	s_mov_b32 s2, -1
	s_mov_b32 s0, 0
	s_branch .LBB241_1335
.LBB241_1292:
	s_mov_b32 s0, -1
                                        ; implicit-def: $vgpr10
                                        ; implicit-def: $vgpr11
.LBB241_1293:
	s_delay_alu instid0(SALU_CYCLE_1)
	s_and_not1_b32 vcc_lo, exec_lo, s0
	s_cbranch_vccnz .LBB241_1295
; %bb.1294:
	global_load_b64 v[11:12], v[7:8], off
	s_waitcnt vmcnt(0)
	v_cvt_f16_f32_e32 v11, v11
	v_cvt_f16_f32_e32 v10, v12
.LBB241_1295:
	s_mov_b32 s0, 0
.LBB241_1296:
	s_delay_alu instid0(SALU_CYCLE_1)
	s_and_not1_b32 vcc_lo, exec_lo, s0
	s_cbranch_vccnz .LBB241_1298
; %bb.1297:
	global_load_b32 v11, v[7:8], off
	s_waitcnt vmcnt(0)
	v_lshrrev_b32_e32 v10, 16, v11
.LBB241_1298:
	s_cbranch_execnz .LBB241_1310
.LBB241_1299:
	v_cmp_gt_i16_e32 vcc_lo, 6, v9
	s_cbranch_vccnz .LBB241_1302
; %bb.1300:
	v_cmp_lt_i16_e32 vcc_lo, 6, v9
	s_cbranch_vccz .LBB241_1303
; %bb.1301:
	global_load_b64 v[10:11], v[7:8], off
	s_mov_b32 s1, 0
	s_mov_b32 s0, 0
	s_waitcnt vmcnt(0)
	v_cvt_f32_f64_e32 v10, v[10:11]
	s_delay_alu instid0(VALU_DEP_1)
	v_cvt_f16_f32_e32 v11, v10
	s_branch .LBB241_1304
.LBB241_1302:
	s_mov_b32 s1, -1
                                        ; implicit-def: $sgpr0
                                        ; implicit-def: $vgpr11
	s_branch .LBB241_1307
.LBB241_1303:
	s_mov_b32 s1, -1
                                        ; implicit-def: $sgpr0
                                        ; implicit-def: $vgpr11
.LBB241_1304:
	s_delay_alu instid0(SALU_CYCLE_1)
	s_and_not1_b32 vcc_lo, exec_lo, s1
	s_cbranch_vccnz .LBB241_1306
; %bb.1305:
	global_load_b32 v10, v[7:8], off
	s_mov_b32 s0, 0
	s_waitcnt vmcnt(0)
	v_cvt_f16_f32_e32 v11, v10
.LBB241_1306:
	s_mov_b32 s1, 0
.LBB241_1307:
	s_delay_alu instid0(SALU_CYCLE_1)
	s_and_not1_b32 vcc_lo, exec_lo, s1
	s_cbranch_vccnz .LBB241_1309
; %bb.1308:
	global_load_u16 v11, v[7:8], off
	s_mov_b32 s0, 0
.LBB241_1309:
	s_delay_alu instid0(SALU_CYCLE_1)
	v_mov_b32_e32 v10, s0
.LBB241_1310:
	s_cbranch_execnz .LBB241_1284
.LBB241_1311:
	v_cmp_gt_i16_e32 vcc_lo, 2, v9
	s_cbranch_vccnz .LBB241_1315
; %bb.1312:
	v_cmp_gt_i16_e32 vcc_lo, 3, v9
	s_cbranch_vccnz .LBB241_1316
; %bb.1313:
	v_cmp_lt_i16_e32 vcc_lo, 3, v9
	s_cbranch_vccz .LBB241_1317
; %bb.1314:
	global_load_b64 v[10:11], v[7:8], off
	s_mov_b32 s1, 0
	s_mov_b32 s0, 0
	s_waitcnt vmcnt(0)
	v_xor_b32_e32 v12, v10, v11
	v_cls_i32_e32 v13, v11
	s_delay_alu instid0(VALU_DEP_2) | instskip(NEXT) | instid1(VALU_DEP_2)
	v_ashrrev_i32_e32 v12, 31, v12
	v_add_nc_u32_e32 v13, -1, v13
	s_delay_alu instid0(VALU_DEP_2) | instskip(NEXT) | instid1(VALU_DEP_1)
	v_add_nc_u32_e32 v12, 32, v12
	v_min_u32_e32 v12, v13, v12
	s_delay_alu instid0(VALU_DEP_1) | instskip(NEXT) | instid1(VALU_DEP_1)
	v_lshlrev_b64 v[10:11], v12, v[10:11]
	v_min_u32_e32 v10, 1, v10
	s_delay_alu instid0(VALU_DEP_1) | instskip(SKIP_1) | instid1(VALU_DEP_2)
	v_or_b32_e32 v10, v11, v10
	v_sub_nc_u32_e32 v11, 32, v12
	v_cvt_f32_i32_e32 v10, v10
	s_delay_alu instid0(VALU_DEP_1) | instskip(NEXT) | instid1(VALU_DEP_1)
	v_ldexp_f32 v10, v10, v11
	v_cvt_f16_f32_e32 v11, v10
	s_branch .LBB241_1318
.LBB241_1315:
                                        ; implicit-def: $sgpr0
                                        ; implicit-def: $vgpr11
	s_branch .LBB241_1324
.LBB241_1316:
	s_mov_b32 s1, -1
                                        ; implicit-def: $sgpr0
                                        ; implicit-def: $vgpr11
	s_branch .LBB241_1321
.LBB241_1317:
	s_mov_b32 s1, -1
                                        ; implicit-def: $sgpr0
                                        ; implicit-def: $vgpr11
.LBB241_1318:
	s_delay_alu instid0(SALU_CYCLE_1)
	s_and_not1_b32 vcc_lo, exec_lo, s1
	s_cbranch_vccnz .LBB241_1320
; %bb.1319:
	global_load_b32 v10, v[7:8], off
	s_mov_b32 s0, 0
	s_waitcnt vmcnt(0)
	v_cvt_f32_i32_e32 v10, v10
	s_delay_alu instid0(VALU_DEP_1)
	v_cvt_f16_f32_e32 v11, v10
.LBB241_1320:
	s_mov_b32 s1, 0
.LBB241_1321:
	s_delay_alu instid0(SALU_CYCLE_1)
	s_and_not1_b32 vcc_lo, exec_lo, s1
	s_cbranch_vccnz .LBB241_1323
; %bb.1322:
	global_load_u16 v10, v[7:8], off
	s_mov_b32 s0, 0
	s_waitcnt vmcnt(0)
	v_cvt_f16_i16_e32 v11, v10
.LBB241_1323:
	s_cbranch_execnz .LBB241_1329
.LBB241_1324:
	v_cmp_lt_i16_e32 vcc_lo, 0, v9
	s_mov_b32 s1, 0
	s_cbranch_vccz .LBB241_1326
; %bb.1325:
	global_load_i8 v10, v[7:8], off
	s_mov_b32 s0, 0
	s_waitcnt vmcnt(0)
	v_cvt_f16_i16_e32 v11, v10
	s_branch .LBB241_1327
.LBB241_1326:
	s_mov_b32 s1, -1
                                        ; implicit-def: $sgpr0
                                        ; implicit-def: $vgpr11
.LBB241_1327:
	s_delay_alu instid0(SALU_CYCLE_1)
	s_and_not1_b32 vcc_lo, exec_lo, s1
	s_cbranch_vccnz .LBB241_1329
; %bb.1328:
	global_load_u8 v7, v[7:8], off
	s_mov_b32 s0, 0
	s_waitcnt vmcnt(0)
	v_cvt_f16_u16_e32 v11, v7
.LBB241_1329:
	v_mov_b32_e32 v10, s0
	s_branch .LBB241_1403
.LBB241_1330:
	s_trap 2
	s_sendmsg_rtn_b32 s0, sendmsg(MSG_RTN_GET_DOORBELL)
	s_mov_b32 ttmp2, m0
	s_waitcnt lgkmcnt(0)
	s_and_b32 s0, s0, 0x3ff
	s_delay_alu instid0(SALU_CYCLE_1) | instskip(NEXT) | instid1(SALU_CYCLE_1)
	s_bitset1_b32 s0, 10
	s_mov_b32 m0, s0
	s_sendmsg sendmsg(MSG_INTERRUPT)
	s_mov_b32 m0, ttmp2
.LBB241_1331:                           ; =>This Inner Loop Header: Depth=1
	s_sethalt 5
	s_branch .LBB241_1331
.LBB241_1332:
	s_trap 2
	s_sendmsg_rtn_b32 s0, sendmsg(MSG_RTN_GET_DOORBELL)
	s_mov_b32 ttmp2, m0
	s_waitcnt lgkmcnt(0)
	s_and_b32 s0, s0, 0x3ff
	s_delay_alu instid0(SALU_CYCLE_1) | instskip(NEXT) | instid1(SALU_CYCLE_1)
	s_bitset1_b32 s0, 10
	s_mov_b32 m0, s0
	s_sendmsg sendmsg(MSG_INTERRUPT)
	s_mov_b32 m0, ttmp2
.LBB241_1333:                           ; =>This Inner Loop Header: Depth=1
	s_sethalt 5
	s_branch .LBB241_1333
.LBB241_1334:
	s_mov_b32 s0, -1
.LBB241_1335:
                                        ; implicit-def: $vgpr10
                                        ; implicit-def: $vgpr11
.LBB241_1336:
	s_and_b32 vcc_lo, exec_lo, s2
	s_cbranch_vccz .LBB241_1341
; %bb.1337:
	v_cmp_eq_u16_e32 vcc_lo, 44, v9
	s_cbranch_vccz .LBB241_1339
; %bb.1338:
	global_load_u8 v10, v[7:8], off
	s_mov_b32 s0, 0
	s_mov_b32 s10, -1
	s_waitcnt vmcnt(0)
	v_lshlrev_b32_e32 v11, 23, v10
	v_cmp_ne_u32_e32 vcc_lo, 0xff, v10
	s_delay_alu instid0(VALU_DEP_2) | instskip(NEXT) | instid1(VALU_DEP_1)
	v_cvt_f16_f32_e32 v11, v11
	v_cndmask_b32_e32 v11, 0x7e00, v11, vcc_lo
	v_cmp_ne_u32_e32 vcc_lo, 0, v10
	s_delay_alu instid0(VALU_DEP_2)
	v_cndmask_b32_e32 v11, 0, v11, vcc_lo
	s_branch .LBB241_1340
.LBB241_1339:
	s_mov_b32 s0, -1
                                        ; implicit-def: $vgpr11
.LBB241_1340:
	s_delay_alu instid0(SALU_CYCLE_1)
	v_mov_b32_e32 v10, s0
.LBB241_1341:
	s_mov_b32 s2, 0
.LBB241_1342:
	s_delay_alu instid0(SALU_CYCLE_1)
	s_and_b32 vcc_lo, exec_lo, s2
	s_cbranch_vccz .LBB241_1347
; %bb.1343:
	v_cmp_eq_u16_e32 vcc_lo, 29, v9
	s_cbranch_vccz .LBB241_1345
; %bb.1344:
	global_load_b64 v[10:11], v[7:8], off
	s_mov_b32 s0, 0
	s_mov_b32 s10, -1
	s_mov_b32 s2, 0
	s_waitcnt vmcnt(0)
	v_clz_i32_u32_e32 v12, v11
	s_delay_alu instid0(VALU_DEP_1) | instskip(NEXT) | instid1(VALU_DEP_1)
	v_min_u32_e32 v12, 32, v12
	v_lshlrev_b64 v[10:11], v12, v[10:11]
	s_delay_alu instid0(VALU_DEP_1) | instskip(NEXT) | instid1(VALU_DEP_1)
	v_min_u32_e32 v10, 1, v10
	v_or_b32_e32 v10, v11, v10
	v_sub_nc_u32_e32 v11, 32, v12
	s_delay_alu instid0(VALU_DEP_2) | instskip(NEXT) | instid1(VALU_DEP_1)
	v_cvt_f32_u32_e32 v10, v10
	v_ldexp_f32 v10, v10, v11
	s_delay_alu instid0(VALU_DEP_1)
	v_cvt_f16_f32_e32 v11, v10
	s_branch .LBB241_1346
.LBB241_1345:
	s_mov_b32 s0, -1
                                        ; implicit-def: $sgpr2
                                        ; implicit-def: $vgpr11
.LBB241_1346:
	v_mov_b32_e32 v10, s2
.LBB241_1347:
	s_branch .LBB241_1367
.LBB241_1348:
	v_cmp_gt_i16_e32 vcc_lo, 27, v9
	s_cbranch_vccnz .LBB241_1351
; %bb.1349:
	v_cmp_lt_i16_e32 vcc_lo, 27, v9
	s_cbranch_vccz .LBB241_1352
; %bb.1350:
	global_load_b32 v10, v[7:8], off
	s_mov_b32 s10, 0
	s_mov_b32 s2, 0
	s_waitcnt vmcnt(0)
	v_cvt_f32_u32_e32 v10, v10
	s_delay_alu instid0(VALU_DEP_1)
	v_cvt_f16_f32_e32 v11, v10
	s_branch .LBB241_1353
.LBB241_1351:
	s_mov_b32 s10, -1
                                        ; implicit-def: $sgpr2
                                        ; implicit-def: $vgpr11
	s_branch .LBB241_1356
.LBB241_1352:
	s_mov_b32 s10, -1
                                        ; implicit-def: $sgpr2
                                        ; implicit-def: $vgpr11
.LBB241_1353:
	s_delay_alu instid0(SALU_CYCLE_1)
	s_and_not1_b32 vcc_lo, exec_lo, s10
	s_cbranch_vccnz .LBB241_1355
; %bb.1354:
	global_load_u16 v10, v[7:8], off
	s_mov_b32 s2, 0
	s_waitcnt vmcnt(0)
	v_cvt_f16_u16_e32 v11, v10
.LBB241_1355:
	s_mov_b32 s10, 0
.LBB241_1356:
	v_mov_b32_e32 v10, s2
	s_and_not1_b32 vcc_lo, exec_lo, s10
	s_cbranch_vccnz .LBB241_1366
; %bb.1357:
	global_load_u8 v12, v[7:8], off
	s_mov_b32 s2, 0
	s_mov_b32 s12, exec_lo
                                        ; implicit-def: $sgpr11
                                        ; implicit-def: $sgpr10
	s_waitcnt vmcnt(0)
	v_cmpx_lt_i16_e32 0x7f, v12
	s_xor_b32 s12, exec_lo, s12
	s_cbranch_execz .LBB241_1361
; %bb.1358:
	s_mov_b32 s2, -1
	s_mov_b32 s13, exec_lo
                                        ; implicit-def: $sgpr11
                                        ; implicit-def: $sgpr10
	v_cmpx_eq_u16_e32 0x80, v12
; %bb.1359:
	s_movk_i32 s10, 0x7e00
	s_mov_b32 s11, 0
	s_xor_b32 s2, exec_lo, -1
; %bb.1360:
	s_or_b32 exec_lo, exec_lo, s13
	s_delay_alu instid0(SALU_CYCLE_1)
	s_and_b32 s2, s2, exec_lo
.LBB241_1361:
	s_or_saveexec_b32 s12, s12
	v_dual_mov_b32 v10, s11 :: v_dual_mov_b32 v11, s10
	s_xor_b32 exec_lo, exec_lo, s12
; %bb.1362:
	v_cmp_ne_u16_e32 vcc_lo, 0, v12
	v_dual_mov_b32 v10, 0 :: v_dual_mov_b32 v11, v12
	s_and_not1_b32 s2, s2, exec_lo
	s_and_b32 s10, vcc_lo, exec_lo
	s_delay_alu instid0(SALU_CYCLE_1)
	s_or_b32 s2, s2, s10
; %bb.1363:
	s_or_b32 exec_lo, exec_lo, s12
	s_and_saveexec_b32 s10, s2
	s_cbranch_execz .LBB241_1365
; %bb.1364:
	v_and_b32_e32 v10, 0xffff, v12
	v_lshlrev_b32_e32 v12, 24, v12
	s_delay_alu instid0(VALU_DEP_2) | instskip(NEXT) | instid1(VALU_DEP_2)
	v_and_b32_e32 v11, 7, v10
	v_and_b32_e32 v12, 0x80000000, v12
	s_delay_alu instid0(VALU_DEP_2) | instskip(NEXT) | instid1(VALU_DEP_1)
	v_clz_i32_u32_e32 v13, v11
	v_min_u32_e32 v13, 32, v13
	s_delay_alu instid0(VALU_DEP_1) | instskip(SKIP_1) | instid1(VALU_DEP_2)
	v_subrev_nc_u32_e32 v14, 28, v13
	v_sub_nc_u32_e32 v13, 29, v13
	v_lshlrev_b32_e32 v14, v14, v10
	v_bfe_u32 v10, v10, 3, 4
	s_delay_alu instid0(VALU_DEP_2) | instskip(NEXT) | instid1(VALU_DEP_2)
	v_and_b32_e32 v14, 7, v14
	v_cmp_eq_u32_e32 vcc_lo, 0, v10
	s_delay_alu instid0(VALU_DEP_2) | instskip(NEXT) | instid1(VALU_DEP_1)
	v_dual_cndmask_b32 v10, v10, v13 :: v_dual_cndmask_b32 v11, v11, v14
	v_lshl_add_u32 v10, v10, 23, 0x3b800000
	s_delay_alu instid0(VALU_DEP_2) | instskip(NEXT) | instid1(VALU_DEP_1)
	v_lshlrev_b32_e32 v11, 20, v11
	v_or3_b32 v10, v12, v10, v11
	s_delay_alu instid0(VALU_DEP_1)
	v_cvt_f16_f32_e32 v11, v10
	v_mov_b32_e32 v10, 0
.LBB241_1365:
	s_or_b32 exec_lo, exec_lo, s10
.LBB241_1366:
	s_mov_b32 s10, -1
.LBB241_1367:
	s_branch .LBB241_1398
.LBB241_1368:
	v_cmp_lt_i16_e32 vcc_lo, 22, v9
	s_cbranch_vccz .LBB241_1380
; %bb.1369:
	v_cmp_gt_i16_e32 vcc_lo, 24, v9
	s_cbranch_vccnz .LBB241_1381
; %bb.1370:
	v_cmp_lt_i16_e32 vcc_lo, 24, v9
	s_cbranch_vccz .LBB241_1382
; %bb.1371:
	global_load_u8 v12, v[7:8], off
	s_mov_b32 s11, exec_lo
                                        ; implicit-def: $sgpr10
                                        ; implicit-def: $sgpr2
	s_waitcnt vmcnt(0)
	v_cmpx_lt_i16_e32 0x7f, v12
	s_xor_b32 s11, exec_lo, s11
	s_cbranch_execz .LBB241_1375
; %bb.1372:
	s_mov_b32 s1, -1
	s_mov_b32 s12, exec_lo
                                        ; implicit-def: $sgpr10
                                        ; implicit-def: $sgpr2
	v_cmpx_eq_u16_e32 0x80, v12
; %bb.1373:
	s_movk_i32 s2, 0x7e00
	s_mov_b32 s10, 0
	s_xor_b32 s1, exec_lo, -1
; %bb.1374:
	s_or_b32 exec_lo, exec_lo, s12
	s_delay_alu instid0(SALU_CYCLE_1)
	s_and_b32 s1, s1, exec_lo
.LBB241_1375:
	s_or_saveexec_b32 s11, s11
	v_dual_mov_b32 v10, s10 :: v_dual_mov_b32 v11, s2
	s_xor_b32 exec_lo, exec_lo, s11
; %bb.1376:
	v_cmp_ne_u16_e32 vcc_lo, 0, v12
	v_dual_mov_b32 v10, 0 :: v_dual_mov_b32 v11, v12
	s_and_not1_b32 s1, s1, exec_lo
	s_and_b32 s2, vcc_lo, exec_lo
	s_delay_alu instid0(SALU_CYCLE_1)
	s_or_b32 s1, s1, s2
; %bb.1377:
	s_or_b32 exec_lo, exec_lo, s11
	s_and_saveexec_b32 s2, s1
	s_cbranch_execz .LBB241_1379
; %bb.1378:
	v_and_b32_e32 v10, 0xffff, v12
	v_lshlrev_b32_e32 v12, 24, v12
	s_delay_alu instid0(VALU_DEP_2) | instskip(NEXT) | instid1(VALU_DEP_2)
	v_and_b32_e32 v11, 3, v10
	v_and_b32_e32 v12, 0x80000000, v12
	s_delay_alu instid0(VALU_DEP_2) | instskip(NEXT) | instid1(VALU_DEP_1)
	v_clz_i32_u32_e32 v13, v11
	v_min_u32_e32 v13, 32, v13
	s_delay_alu instid0(VALU_DEP_1) | instskip(SKIP_1) | instid1(VALU_DEP_2)
	v_subrev_nc_u32_e32 v14, 29, v13
	v_sub_nc_u32_e32 v13, 30, v13
	v_lshlrev_b32_e32 v14, v14, v10
	v_bfe_u32 v10, v10, 2, 5
	s_delay_alu instid0(VALU_DEP_2) | instskip(NEXT) | instid1(VALU_DEP_2)
	v_and_b32_e32 v14, 3, v14
	v_cmp_eq_u32_e32 vcc_lo, 0, v10
	s_delay_alu instid0(VALU_DEP_2) | instskip(NEXT) | instid1(VALU_DEP_1)
	v_dual_cndmask_b32 v10, v10, v13 :: v_dual_cndmask_b32 v11, v11, v14
	v_lshl_add_u32 v10, v10, 23, 0x37800000
	s_delay_alu instid0(VALU_DEP_2) | instskip(NEXT) | instid1(VALU_DEP_1)
	v_lshlrev_b32_e32 v11, 21, v11
	v_or3_b32 v10, v12, v10, v11
	s_delay_alu instid0(VALU_DEP_1)
	v_cvt_f16_f32_e32 v11, v10
	v_mov_b32_e32 v10, 0
.LBB241_1379:
	s_or_b32 exec_lo, exec_lo, s2
	s_mov_b32 s1, 0
	s_branch .LBB241_1383
.LBB241_1380:
                                        ; implicit-def: $vgpr10
                                        ; implicit-def: $vgpr11
	s_mov_b32 s1, 0
	s_branch .LBB241_1389
.LBB241_1381:
	s_mov_b32 s1, -1
                                        ; implicit-def: $vgpr10
                                        ; implicit-def: $vgpr11
	s_branch .LBB241_1386
.LBB241_1382:
	s_mov_b32 s1, -1
                                        ; implicit-def: $vgpr10
                                        ; implicit-def: $vgpr11
.LBB241_1383:
	s_delay_alu instid0(SALU_CYCLE_1)
	s_and_b32 vcc_lo, exec_lo, s1
	s_cbranch_vccz .LBB241_1385
; %bb.1384:
	global_load_u8 v10, v[7:8], off
	s_waitcnt vmcnt(0)
	v_lshlrev_b32_e32 v10, 24, v10
	s_delay_alu instid0(VALU_DEP_1) | instskip(NEXT) | instid1(VALU_DEP_1)
	v_and_b32_e32 v11, 0x7f000000, v10
	v_clz_i32_u32_e32 v12, v11
	v_add_nc_u32_e32 v14, 0x1000000, v11
	v_cmp_ne_u32_e32 vcc_lo, 0, v11
	s_delay_alu instid0(VALU_DEP_3) | instskip(NEXT) | instid1(VALU_DEP_1)
	v_min_u32_e32 v12, 32, v12
	v_sub_nc_u32_e64 v12, v12, 4 clamp
	s_delay_alu instid0(VALU_DEP_1) | instskip(SKIP_1) | instid1(VALU_DEP_2)
	v_lshlrev_b32_e32 v13, v12, v11
	v_lshlrev_b32_e32 v12, 23, v12
	v_lshrrev_b32_e32 v13, 4, v13
	s_delay_alu instid0(VALU_DEP_1) | instskip(SKIP_1) | instid1(VALU_DEP_2)
	v_sub_nc_u32_e32 v12, v13, v12
	v_ashrrev_i32_e32 v13, 8, v14
	v_add_nc_u32_e32 v12, 0x3c000000, v12
	s_delay_alu instid0(VALU_DEP_1) | instskip(NEXT) | instid1(VALU_DEP_1)
	v_and_or_b32 v12, 0x7f800000, v13, v12
	v_cndmask_b32_e32 v11, 0, v12, vcc_lo
	s_delay_alu instid0(VALU_DEP_1) | instskip(NEXT) | instid1(VALU_DEP_1)
	v_and_or_b32 v10, 0x80000000, v10, v11
	v_cvt_f16_f32_e32 v11, v10
	v_mov_b32_e32 v10, 0
.LBB241_1385:
	s_mov_b32 s1, 0
.LBB241_1386:
	s_delay_alu instid0(SALU_CYCLE_1)
	s_and_not1_b32 vcc_lo, exec_lo, s1
	s_cbranch_vccnz .LBB241_1388
; %bb.1387:
	global_load_u8 v10, v[7:8], off
	s_waitcnt vmcnt(0)
	v_lshlrev_b32_e32 v11, 25, v10
	v_lshlrev_b16 v10, 8, v10
	s_delay_alu instid0(VALU_DEP_2) | instskip(NEXT) | instid1(VALU_DEP_2)
	v_lshrrev_b32_e32 v12, 4, v11
	v_and_or_b32 v13, 0x7f00, v10, 0.5
	v_bfe_i32 v10, v10, 0, 16
	s_delay_alu instid0(VALU_DEP_3) | instskip(NEXT) | instid1(VALU_DEP_1)
	v_or_b32_e32 v12, 0x70000000, v12
	v_dual_add_f32 v13, -0.5, v13 :: v_dual_mul_f32 v12, 0x7800000, v12
	v_cmp_gt_u32_e32 vcc_lo, 0x8000000, v11
	s_delay_alu instid0(VALU_DEP_2) | instskip(NEXT) | instid1(VALU_DEP_1)
	v_cndmask_b32_e32 v11, v12, v13, vcc_lo
	v_and_or_b32 v10, 0x80000000, v10, v11
	s_delay_alu instid0(VALU_DEP_1)
	v_cvt_f16_f32_e32 v11, v10
	v_mov_b32_e32 v10, 0
.LBB241_1388:
	s_mov_b32 s10, -1
	s_mov_b32 s1, 0
	s_cbranch_execnz .LBB241_1398
.LBB241_1389:
	v_cmp_lt_i16_e32 vcc_lo, 14, v9
	s_cbranch_vccz .LBB241_1392
; %bb.1390:
	v_cmp_eq_u16_e32 vcc_lo, 15, v9
	s_cbranch_vccz .LBB241_1393
; %bb.1391:
	global_load_u16 v10, v[7:8], off
	s_mov_b32 s0, 0
	s_mov_b32 s10, -1
	s_mov_b32 s2, 0
	s_waitcnt vmcnt(0)
	v_lshlrev_b32_e32 v10, 16, v10
	s_delay_alu instid0(VALU_DEP_1)
	v_cvt_f16_f32_e32 v11, v10
	s_branch .LBB241_1395
.LBB241_1392:
	s_mov_b32 s1, -1
	s_branch .LBB241_1394
.LBB241_1393:
	s_mov_b32 s0, -1
.LBB241_1394:
                                        ; implicit-def: $sgpr2
                                        ; implicit-def: $vgpr11
.LBB241_1395:
	s_and_b32 vcc_lo, exec_lo, s1
	s_mov_b32 s1, 0
	s_cbranch_vccz .LBB241_1397
; %bb.1396:
	v_cmp_ne_u16_e64 s0, 11, v9
	s_mov_b32 s1, -1
                                        ; implicit-def: $sgpr2
                                        ; implicit-def: $vgpr11
.LBB241_1397:
	v_mov_b32_e32 v10, s2
.LBB241_1398:
	s_delay_alu instid0(VALU_DEP_2)
	s_and_b32 vcc_lo, exec_lo, s0
	s_mov_b32 s2, s8
	s_cbranch_vccnz .LBB241_1453
; %bb.1399:
	s_and_not1_b32 vcc_lo, exec_lo, s1
	s_cbranch_vccnz .LBB241_1401
.LBB241_1400:
	global_load_u8 v10, v[7:8], off
	s_mov_b32 s10, -1
	s_waitcnt vmcnt(0)
	v_cmp_ne_u16_e32 vcc_lo, 0, v10
	v_mov_b32_e32 v10, 0
	v_cndmask_b32_e64 v11, 0, 0x3c00, vcc_lo
.LBB241_1401:
.LBB241_1402:
	s_and_not1_b32 vcc_lo, exec_lo, s10
	s_cbranch_vccnz .LBB241_2371
.LBB241_1403:
	s_waitcnt vmcnt(0)
	s_delay_alu instid0(VALU_DEP_1) | instskip(NEXT) | instid1(VALU_DEP_2)
	v_cmp_neq_f16_e32 vcc_lo, 0, v11
	v_cmp_neq_f16_e64 s0, 0, v10
	v_cvt_f32_f16_e32 v8, v10
	v_mov_b32_e32 v10, 0
	s_delay_alu instid0(VALU_DEP_3) | instskip(NEXT) | instid1(SALU_CYCLE_1)
	s_or_b32 s0, vcc_lo, s0
	s_and_saveexec_b32 s10, s0
	s_cbranch_execz .LBB241_1433
; %bb.1404:
	v_mov_b32_e32 v10, 0x7f800000
	s_mov_b32 s11, exec_lo
	v_cmpx_neq_f32_e64 0x7f800000, |v8|
	s_cbranch_execz .LBB241_1432
; %bb.1405:
	v_cvt_f32_f16_e32 v10, v11
	s_mov_b32 s0, exec_lo
	v_cmpx_o_f16_e32 v11, v11
	s_xor_b32 s12, exec_lo, s0
	s_cbranch_execz .LBB241_1429
; %bb.1406:
	s_mov_b32 s1, exec_lo
	v_cmpx_neq_f32_e64 0x7f800000, |v10|
	s_xor_b32 s13, exec_lo, s1
	s_cbranch_execz .LBB241_1422
; %bb.1407:
	v_max_f32_e64 v7, |v8|, |v8|
	v_max_f32_e64 v11, |v10|, |v10|
                                        ; implicit-def: $sgpr14
	s_delay_alu instid0(VALU_DEP_1) | instskip(NEXT) | instid1(VALU_DEP_1)
	v_max_f32_e32 v7, v11, v7
	v_cmp_nle_f32_e64 s0, 0x7ed413cb, v7
	s_delay_alu instid0(VALU_DEP_1) | instskip(NEXT) | instid1(SALU_CYCLE_1)
	s_and_saveexec_b32 s1, s0
	s_xor_b32 s1, exec_lo, s1
	s_cbranch_execz .LBB241_1411
; %bb.1408:
	v_cmp_ge_f32_e64 s14, 0x1000000, |v10|
	v_cmp_ge_f32_e64 s15, 0x1000000, |v8|
	s_delay_alu instid0(VALU_DEP_1)
	s_and_b32 s16, s14, s15
	s_mov_b32 s14, 0
	s_and_saveexec_b32 s15, s16
; %bb.1409:
	v_mul_f32_e32 v10, 4.0, v10
	v_mul_f32_e32 v8, 4.0, v8
	s_mov_b32 s14, exec_lo
; %bb.1410:
	s_or_b32 exec_lo, exec_lo, s15
	s_delay_alu instid0(SALU_CYCLE_1)
	s_and_b32 s14, s14, exec_lo
.LBB241_1411:
	s_and_not1_saveexec_b32 s1, s1
; %bb.1412:
	v_mul_f32_e32 v10, 0x3e800000, v10
	v_mul_f32_e32 v8, 0x3e800000, v8
	s_and_not1_b32 s14, s14, exec_lo
; %bb.1413:
	s_or_b32 exec_lo, exec_lo, s1
	s_delay_alu instid0(VALU_DEP_1) | instskip(SKIP_1) | instid1(VALU_DEP_1)
	v_max_f32_e64 v7, |v8|, |v8|
	v_max_f32_e64 v11, |v10|, |v10|
	v_max_f32_e32 v7, v11, v7
	s_delay_alu instid0(VALU_DEP_1) | instskip(SKIP_1) | instid1(VALU_DEP_2)
	v_cvt_f64_f32_e32 v[11:12], v7
	v_cmp_neq_f32_e64 s1, 0x7f800000, v7
                                        ; implicit-def: $vgpr7
	v_frexp_exp_i32_f64_e32 v11, v[11:12]
	s_delay_alu instid0(VALU_DEP_1) | instskip(NEXT) | instid1(VALU_DEP_1)
	v_sub_nc_u32_e32 v12, 0, v11
	v_ldexp_f32 v13, |v8|, v12
	v_ldexp_f32 v12, |v10|, v12
	s_delay_alu instid0(VALU_DEP_2) | instskip(NEXT) | instid1(VALU_DEP_1)
	v_mul_f32_e32 v13, v13, v13
	v_fmac_f32_e32 v13, v12, v12
	s_delay_alu instid0(VALU_DEP_1) | instskip(SKIP_2) | instid1(VALU_DEP_1)
	v_sqrt_f32_e32 v12, v13
	s_waitcnt_depctr 0xfff
	v_ldexp_f32 v11, v12, v11
	v_cndmask_b32_e64 v12, 0x7f800000, v11, s1
                                        ; implicit-def: $vgpr11
	s_mov_b32 s1, exec_lo
	v_cmpx_le_f32_e32 0, v10
	s_xor_b32 s15, exec_lo, s1
	s_cbranch_execz .LBB241_1415
; %bb.1414:
	v_add_f32_e32 v7, v10, v12
	s_delay_alu instid0(VALU_DEP_1) | instskip(NEXT) | instid1(VALU_DEP_1)
	v_mul_f32_e32 v7, 0.5, v7
	v_mul_f32_e32 v10, 0x4f800000, v7
	v_cmp_gt_f32_e32 vcc_lo, 0xf800000, v7
	s_delay_alu instid0(VALU_DEP_2) | instskip(NEXT) | instid1(VALU_DEP_1)
	v_cndmask_b32_e32 v7, v7, v10, vcc_lo
	v_sqrt_f32_e32 v10, v7
	s_waitcnt_depctr 0xfff
	v_add_nc_u32_e32 v11, -1, v10
	v_add_nc_u32_e32 v12, 1, v10
	s_delay_alu instid0(VALU_DEP_2) | instskip(NEXT) | instid1(VALU_DEP_2)
	v_fma_f32 v13, -v11, v10, v7
	v_fma_f32 v14, -v12, v10, v7
	s_delay_alu instid0(VALU_DEP_2) | instskip(NEXT) | instid1(VALU_DEP_1)
	v_cmp_ge_f32_e64 s1, 0, v13
	v_cndmask_b32_e64 v10, v10, v11, s1
	s_delay_alu instid0(VALU_DEP_3) | instskip(NEXT) | instid1(VALU_DEP_1)
	v_cmp_lt_f32_e64 s1, 0, v14
	v_cndmask_b32_e64 v10, v10, v12, s1
	s_delay_alu instid0(VALU_DEP_1) | instskip(NEXT) | instid1(VALU_DEP_1)
	v_mul_f32_e32 v11, 0x37800000, v10
	v_cndmask_b32_e32 v10, v10, v11, vcc_lo
	v_cmp_class_f32_e64 vcc_lo, v7, 0x260
	s_delay_alu instid0(VALU_DEP_2) | instskip(NEXT) | instid1(VALU_DEP_1)
	v_cndmask_b32_e32 v7, v10, v7, vcc_lo
	v_add_f32_e32 v10, v7, v7
	s_delay_alu instid0(VALU_DEP_1) | instskip(NEXT) | instid1(VALU_DEP_1)
	v_div_scale_f32 v11, null, v10, v10, v8
	v_rcp_f32_e32 v12, v11
	s_waitcnt_depctr 0xfff
	v_fma_f32 v13, -v11, v12, 1.0
	s_delay_alu instid0(VALU_DEP_1) | instskip(SKIP_1) | instid1(VALU_DEP_1)
	v_fmac_f32_e32 v12, v13, v12
	v_div_scale_f32 v13, vcc_lo, v8, v10, v8
	v_mul_f32_e32 v14, v13, v12
	s_delay_alu instid0(VALU_DEP_1) | instskip(NEXT) | instid1(VALU_DEP_1)
	v_fma_f32 v15, -v11, v14, v13
	v_fmac_f32_e32 v14, v15, v12
	s_delay_alu instid0(VALU_DEP_1) | instskip(NEXT) | instid1(VALU_DEP_1)
	v_fma_f32 v11, -v11, v14, v13
	v_div_fmas_f32 v11, v11, v12, v14
                                        ; implicit-def: $vgpr12
	s_delay_alu instid0(VALU_DEP_1)
	v_div_fixup_f32 v11, v11, v10, v8
                                        ; implicit-def: $vgpr10
                                        ; implicit-def: $vgpr8
	s_and_not1_saveexec_b32 s15, s15
	s_cbranch_execz .LBB241_1417
	s_branch .LBB241_1416
.LBB241_1415:
	s_and_not1_saveexec_b32 s15, s15
	s_cbranch_execz .LBB241_1417
.LBB241_1416:
	v_sub_f32_e32 v7, v12, v10
	s_delay_alu instid0(VALU_DEP_1) | instskip(NEXT) | instid1(VALU_DEP_1)
	v_mul_f32_e32 v7, 0.5, v7
	v_mul_f32_e32 v10, 0x4f800000, v7
	v_cmp_gt_f32_e32 vcc_lo, 0xf800000, v7
	s_delay_alu instid0(VALU_DEP_2) | instskip(NEXT) | instid1(VALU_DEP_1)
	v_cndmask_b32_e32 v7, v7, v10, vcc_lo
	v_sqrt_f32_e32 v10, v7
	s_waitcnt_depctr 0xfff
	v_add_nc_u32_e32 v11, -1, v10
	v_add_nc_u32_e32 v12, 1, v10
	s_delay_alu instid0(VALU_DEP_2) | instskip(NEXT) | instid1(VALU_DEP_2)
	v_fma_f32 v13, -v11, v10, v7
	v_fma_f32 v14, -v12, v10, v7
	s_delay_alu instid0(VALU_DEP_2) | instskip(NEXT) | instid1(VALU_DEP_1)
	v_cmp_ge_f32_e64 s1, 0, v13
	v_cndmask_b32_e64 v10, v10, v11, s1
	s_delay_alu instid0(VALU_DEP_3) | instskip(NEXT) | instid1(VALU_DEP_1)
	v_cmp_lt_f32_e64 s1, 0, v14
	v_cndmask_b32_e64 v10, v10, v12, s1
	s_delay_alu instid0(VALU_DEP_1) | instskip(NEXT) | instid1(VALU_DEP_1)
	v_mul_f32_e32 v11, 0x37800000, v10
	v_cndmask_b32_e32 v10, v10, v11, vcc_lo
	v_cmp_class_f32_e64 vcc_lo, v7, 0x260
	s_delay_alu instid0(VALU_DEP_2) | instskip(NEXT) | instid1(VALU_DEP_1)
	v_dual_cndmask_b32 v10, v10, v7 :: v_dual_and_b32 v7, 0x7fffffff, v8
	v_add_f32_e32 v11, v10, v10
	s_delay_alu instid0(VALU_DEP_1) | instskip(SKIP_1) | instid1(VALU_DEP_2)
	v_div_scale_f32 v12, null, v11, v11, v7
	v_div_scale_f32 v7, vcc_lo, v7, v11, v7
	v_rcp_f32_e32 v13, v12
	s_waitcnt_depctr 0xfff
	v_fma_f32 v14, -v12, v13, 1.0
	s_delay_alu instid0(VALU_DEP_1) | instskip(NEXT) | instid1(VALU_DEP_1)
	v_fmac_f32_e32 v13, v14, v13
	v_mul_f32_e32 v14, v7, v13
	s_delay_alu instid0(VALU_DEP_1) | instskip(NEXT) | instid1(VALU_DEP_1)
	v_fma_f32 v15, -v12, v14, v7
	v_fmac_f32_e32 v14, v15, v13
	s_delay_alu instid0(VALU_DEP_1) | instskip(NEXT) | instid1(VALU_DEP_1)
	v_fma_f32 v7, -v12, v14, v7
	v_div_fmas_f32 v7, v7, v13, v14
	s_delay_alu instid0(VALU_DEP_1)
	v_div_fixup_f32 v7, v7, v11, |v8|
	v_bfi_b32 v11, 0x7fffffff, v10, v8
.LBB241_1417:
	s_or_b32 exec_lo, exec_lo, s15
                                        ; implicit-def: $vgpr8
                                        ; implicit-def: $vgpr10
	s_and_saveexec_b32 s1, s0
	s_delay_alu instid0(SALU_CYCLE_1)
	s_xor_b32 s0, exec_lo, s1
	s_cbranch_execz .LBB241_1419
; %bb.1418:
	v_mul_f32_e32 v8, 0.5, v7
	v_mul_f32_e32 v12, 0.5, v11
	s_delay_alu instid0(VALU_DEP_2) | instskip(NEXT) | instid1(VALU_DEP_2)
	v_cndmask_b32_e64 v10, v7, v8, s14
	v_cndmask_b32_e64 v8, v11, v12, s14
                                        ; implicit-def: $vgpr7
                                        ; implicit-def: $vgpr11
	s_and_not1_saveexec_b32 s0, s0
	s_cbranch_execnz .LBB241_1420
	s_branch .LBB241_1421
.LBB241_1419:
	s_and_not1_saveexec_b32 s0, s0
.LBB241_1420:
	v_add_f32_e32 v10, v7, v7
	v_add_f32_e32 v8, v11, v11
.LBB241_1421:
	s_or_b32 exec_lo, exec_lo, s0
                                        ; implicit-def: $vgpr11
.LBB241_1422:
	s_and_not1_saveexec_b32 s0, s13
	s_cbranch_execz .LBB241_1428
; %bb.1423:
	s_delay_alu instid0(VALU_DEP_1)
	v_sub_f32_e32 v7, v8, v8
	s_mov_b32 s1, exec_lo
	v_cmpx_lt_i16_e32 -1, v11
	s_xor_b32 s1, exec_lo, s1
; %bb.1424:
	s_delay_alu instid0(VALU_DEP_2)
	v_bfi_b32 v8, 0x7fffffff, v7, v8
                                        ; implicit-def: $vgpr7
; %bb.1425:
	s_and_not1_saveexec_b32 s1, s1
; %bb.1426:
	v_and_b32_e32 v7, 0x7fffffff, v7
	s_delay_alu instid0(VALU_DEP_2) | instskip(NEXT) | instid1(VALU_DEP_2)
	v_bfi_b32 v8, 0x7fffffff, v10, v8
	v_mov_b32_e32 v10, v7
; %bb.1427:
	s_or_b32 exec_lo, exec_lo, s1
.LBB241_1428:
	s_delay_alu instid0(SALU_CYCLE_1)
	s_or_b32 exec_lo, exec_lo, s0
.LBB241_1429:
	s_and_not1_saveexec_b32 s0, s12
; %bb.1430:
	v_sub_f32_e32 v7, v8, v8
	s_delay_alu instid0(VALU_DEP_1) | instskip(NEXT) | instid1(VALU_DEP_1)
	v_div_scale_f32 v8, vcc_lo, v7, v7, v7
	v_rcp_f32_e32 v11, v8
	s_waitcnt_depctr 0xfff
	v_fma_f32 v12, -v8, v11, 1.0
	s_delay_alu instid0(VALU_DEP_1) | instskip(NEXT) | instid1(VALU_DEP_1)
	v_fmac_f32_e32 v11, v12, v11
	v_mul_f32_e32 v12, v8, v11
	s_delay_alu instid0(VALU_DEP_1) | instskip(NEXT) | instid1(VALU_DEP_1)
	v_fma_f32 v13, -v8, v12, v8
	v_fmac_f32_e32 v12, v13, v11
	s_delay_alu instid0(VALU_DEP_1) | instskip(NEXT) | instid1(VALU_DEP_1)
	v_fma_f32 v8, -v8, v12, v8
	v_div_fmas_f32 v8, v8, v11, v12
	s_delay_alu instid0(VALU_DEP_1)
	v_div_fixup_f32 v8, v8, v7, v7
; %bb.1431:
	s_or_b32 exec_lo, exec_lo, s0
.LBB241_1432:
	s_delay_alu instid0(SALU_CYCLE_1)
	s_or_b32 exec_lo, exec_lo, s11
.LBB241_1433:
	s_delay_alu instid0(SALU_CYCLE_1) | instskip(SKIP_2) | instid1(VALU_DEP_1)
	s_or_b32 exec_lo, exec_lo, s10
	v_cmp_gt_i16_e32 vcc_lo, 11, v9
	v_add_co_u32 v6, s0, s6, v6
	v_add_co_ci_u32_e64 v7, null, s7, 0, s0
	s_mov_b32 s10, 0
	s_cbranch_vccnz .LBB241_1440
; %bb.1434:
	v_cmp_lt_i16_e32 vcc_lo, 25, v9
	s_mov_b32 s1, 0
	s_cbranch_vccz .LBB241_1446
; %bb.1435:
	v_cmp_lt_i16_e32 vcc_lo, 28, v9
	s_cbranch_vccz .LBB241_1449
; %bb.1436:
	v_cmp_lt_i16_e32 vcc_lo, 43, v9
	;; [unrolled: 3-line block ×3, first 2 shown]
	s_cbranch_vccz .LBB241_1457
; %bb.1438:
	v_cmp_eq_u16_e32 vcc_lo, 46, v9
	s_mov_b32 s11, 0
	s_cbranch_vccz .LBB241_1502
; %bb.1439:
	global_load_b32 v11, v[6:7], off
	s_mov_b32 s0, 0
	s_mov_b32 s10, -1
	s_waitcnt vmcnt(0)
	v_lshlrev_b32_e32 v12, 16, v11
	v_and_b32_e32 v11, 0xffff0000, v11
	s_delay_alu instid0(VALU_DEP_2) | instskip(NEXT) | instid1(VALU_DEP_2)
	v_cvt_f16_f32_e32 v12, v12
	v_cvt_f16_f32_e32 v11, v11
	s_branch .LBB241_1504
.LBB241_1440:
                                        ; implicit-def: $vgpr11
                                        ; implicit-def: $vgpr12
	s_cbranch_execz .LBB241_1572
; %bb.1441:
	v_cmp_gt_i16_e32 vcc_lo, 5, v9
	s_cbranch_vccnz .LBB241_1447
; %bb.1442:
	v_cmp_gt_i16_e32 vcc_lo, 8, v9
	s_cbranch_vccnz .LBB241_1450
	;; [unrolled: 3-line block ×3, first 2 shown]
; %bb.1444:
	v_cmp_lt_i16_e32 vcc_lo, 9, v9
	s_cbranch_vccz .LBB241_1458
; %bb.1445:
	global_load_b128 v[11:14], v[6:7], off
	s_mov_b32 s0, 0
	s_waitcnt vmcnt(0)
	v_cvt_f32_f64_e32 v11, v[11:12]
	v_cvt_f32_f64_e32 v13, v[13:14]
	s_delay_alu instid0(VALU_DEP_2) | instskip(NEXT) | instid1(VALU_DEP_2)
	v_cvt_f16_f32_e32 v12, v11
	v_cvt_f16_f32_e32 v11, v13
	s_branch .LBB241_1459
.LBB241_1446:
	s_mov_b32 s0, 0
                                        ; implicit-def: $vgpr11
                                        ; implicit-def: $vgpr12
	s_cbranch_execnz .LBB241_1537
	s_branch .LBB241_1568
.LBB241_1447:
                                        ; implicit-def: $vgpr11
                                        ; implicit-def: $vgpr12
	s_branch .LBB241_1478
.LBB241_1448:
	s_branch .LBB241_1573
.LBB241_1449:
	s_mov_b32 s11, -1
	s_mov_b32 s0, 0
                                        ; implicit-def: $vgpr11
                                        ; implicit-def: $vgpr12
	s_branch .LBB241_1516
.LBB241_1450:
	s_mov_b32 s0, -1
                                        ; implicit-def: $vgpr11
                                        ; implicit-def: $vgpr12
	s_branch .LBB241_1465
.LBB241_1451:
	s_mov_b32 s11, -1
	s_mov_b32 s0, 0
                                        ; implicit-def: $vgpr11
                                        ; implicit-def: $vgpr12
	s_branch .LBB241_1510
.LBB241_1452:
	s_mov_b32 s0, -1
                                        ; implicit-def: $vgpr11
                                        ; implicit-def: $vgpr12
	s_branch .LBB241_1462
.LBB241_1453:
	s_cbranch_execnz .LBB241_1498
; %bb.1454:
	s_or_b32 s2, s8, exec_lo
                                        ; implicit-def: $vgpr10
                                        ; implicit-def: $vgpr11
	s_cbranch_execz .LBB241_1400
	s_branch .LBB241_1401
.LBB241_1455:
	s_or_saveexec_b32 s5, s5
                                        ; implicit-def: $sgpr8
	s_delay_alu instid0(SALU_CYCLE_1)
	s_xor_b32 exec_lo, exec_lo, s5
	s_cbranch_execz .LBB241_1127
.LBB241_1456:
	v_add_f32_e64 v8, 0x46000000, |v0|
	s_and_not1_b32 s4, s4, exec_lo
	s_mov_b32 s8, 0
	s_delay_alu instid0(VALU_DEP_1) | instskip(NEXT) | instid1(VALU_DEP_1)
	v_and_b32_e32 v8, 0xff, v8
	v_cmp_ne_u32_e32 vcc_lo, 0, v8
	s_and_b32 s9, vcc_lo, exec_lo
	s_delay_alu instid0(SALU_CYCLE_1)
	s_or_b32 s4, s4, s9
	s_or_b32 exec_lo, exec_lo, s5
	v_mov_b32_e32 v9, s8
	s_and_saveexec_b32 s5, s4
	s_cbranch_execnz .LBB241_1128
	s_branch .LBB241_1129
.LBB241_1457:
	s_mov_b32 s11, -1
	s_mov_b32 s0, 0
	s_branch .LBB241_1503
.LBB241_1458:
	s_mov_b32 s0, -1
                                        ; implicit-def: $vgpr11
                                        ; implicit-def: $vgpr12
.LBB241_1459:
	s_delay_alu instid0(SALU_CYCLE_1)
	s_and_not1_b32 vcc_lo, exec_lo, s0
	s_cbranch_vccnz .LBB241_1461
; %bb.1460:
	global_load_b64 v[12:13], v[6:7], off
	s_waitcnt vmcnt(0)
	v_cvt_f16_f32_e32 v12, v12
	v_cvt_f16_f32_e32 v11, v13
.LBB241_1461:
	s_mov_b32 s0, 0
.LBB241_1462:
	s_delay_alu instid0(SALU_CYCLE_1)
	s_and_not1_b32 vcc_lo, exec_lo, s0
	s_cbranch_vccnz .LBB241_1464
; %bb.1463:
	global_load_b32 v12, v[6:7], off
	s_waitcnt vmcnt(0)
	v_lshrrev_b32_e32 v11, 16, v12
.LBB241_1464:
	s_mov_b32 s0, 0
.LBB241_1465:
	s_delay_alu instid0(SALU_CYCLE_1)
	s_and_not1_b32 vcc_lo, exec_lo, s0
	s_cbranch_vccnz .LBB241_1477
; %bb.1466:
	v_cmp_gt_i16_e32 vcc_lo, 6, v9
	s_cbranch_vccnz .LBB241_1469
; %bb.1467:
	v_cmp_lt_i16_e32 vcc_lo, 6, v9
	s_cbranch_vccz .LBB241_1470
; %bb.1468:
	global_load_b64 v[11:12], v[6:7], off
	s_mov_b32 s1, 0
	s_mov_b32 s0, 0
	s_waitcnt vmcnt(0)
	v_cvt_f32_f64_e32 v11, v[11:12]
	s_delay_alu instid0(VALU_DEP_1)
	v_cvt_f16_f32_e32 v12, v11
	s_branch .LBB241_1471
.LBB241_1469:
	s_mov_b32 s1, -1
                                        ; implicit-def: $sgpr0
                                        ; implicit-def: $vgpr12
	s_branch .LBB241_1474
.LBB241_1470:
	s_mov_b32 s1, -1
                                        ; implicit-def: $sgpr0
                                        ; implicit-def: $vgpr12
.LBB241_1471:
	s_delay_alu instid0(SALU_CYCLE_1)
	s_and_not1_b32 vcc_lo, exec_lo, s1
	s_cbranch_vccnz .LBB241_1473
; %bb.1472:
	global_load_b32 v11, v[6:7], off
	s_mov_b32 s0, 0
	s_waitcnt vmcnt(0)
	v_cvt_f16_f32_e32 v12, v11
.LBB241_1473:
	s_mov_b32 s1, 0
.LBB241_1474:
	s_delay_alu instid0(SALU_CYCLE_1)
	s_and_not1_b32 vcc_lo, exec_lo, s1
	s_cbranch_vccnz .LBB241_1476
; %bb.1475:
	global_load_u16 v12, v[6:7], off
	s_mov_b32 s0, 0
.LBB241_1476:
	s_delay_alu instid0(SALU_CYCLE_1)
	v_mov_b32_e32 v11, s0
.LBB241_1477:
	s_cbranch_execnz .LBB241_1448
.LBB241_1478:
	v_cmp_gt_i16_e32 vcc_lo, 2, v9
	s_cbranch_vccnz .LBB241_1482
; %bb.1479:
	v_cmp_gt_i16_e32 vcc_lo, 3, v9
	s_cbranch_vccnz .LBB241_1483
; %bb.1480:
	v_cmp_lt_i16_e32 vcc_lo, 3, v9
	s_cbranch_vccz .LBB241_1484
; %bb.1481:
	global_load_b64 v[11:12], v[6:7], off
	s_mov_b32 s1, 0
	s_mov_b32 s0, 0
	s_waitcnt vmcnt(0)
	v_xor_b32_e32 v13, v11, v12
	v_cls_i32_e32 v14, v12
	s_delay_alu instid0(VALU_DEP_2) | instskip(NEXT) | instid1(VALU_DEP_2)
	v_ashrrev_i32_e32 v13, 31, v13
	v_add_nc_u32_e32 v14, -1, v14
	s_delay_alu instid0(VALU_DEP_2) | instskip(NEXT) | instid1(VALU_DEP_1)
	v_add_nc_u32_e32 v13, 32, v13
	v_min_u32_e32 v13, v14, v13
	s_delay_alu instid0(VALU_DEP_1) | instskip(NEXT) | instid1(VALU_DEP_1)
	v_lshlrev_b64 v[11:12], v13, v[11:12]
	v_min_u32_e32 v11, 1, v11
	s_delay_alu instid0(VALU_DEP_1) | instskip(SKIP_1) | instid1(VALU_DEP_2)
	v_or_b32_e32 v11, v12, v11
	v_sub_nc_u32_e32 v12, 32, v13
	v_cvt_f32_i32_e32 v11, v11
	s_delay_alu instid0(VALU_DEP_1) | instskip(NEXT) | instid1(VALU_DEP_1)
	v_ldexp_f32 v11, v11, v12
	v_cvt_f16_f32_e32 v12, v11
	s_branch .LBB241_1485
.LBB241_1482:
	s_mov_b32 s1, -1
                                        ; implicit-def: $sgpr0
                                        ; implicit-def: $vgpr12
	s_branch .LBB241_1491
.LBB241_1483:
	s_mov_b32 s1, -1
                                        ; implicit-def: $sgpr0
                                        ; implicit-def: $vgpr12
	s_branch .LBB241_1488
.LBB241_1484:
	s_mov_b32 s1, -1
                                        ; implicit-def: $sgpr0
                                        ; implicit-def: $vgpr12
.LBB241_1485:
	s_delay_alu instid0(SALU_CYCLE_1)
	s_and_not1_b32 vcc_lo, exec_lo, s1
	s_cbranch_vccnz .LBB241_1487
; %bb.1486:
	global_load_b32 v11, v[6:7], off
	s_mov_b32 s0, 0
	s_waitcnt vmcnt(0)
	v_cvt_f32_i32_e32 v11, v11
	s_delay_alu instid0(VALU_DEP_1)
	v_cvt_f16_f32_e32 v12, v11
.LBB241_1487:
	s_mov_b32 s1, 0
.LBB241_1488:
	s_delay_alu instid0(SALU_CYCLE_1)
	s_and_not1_b32 vcc_lo, exec_lo, s1
	s_cbranch_vccnz .LBB241_1490
; %bb.1489:
	global_load_u16 v11, v[6:7], off
	s_mov_b32 s0, 0
	s_waitcnt vmcnt(0)
	v_cvt_f16_i16_e32 v12, v11
.LBB241_1490:
	s_mov_b32 s1, 0
.LBB241_1491:
	s_delay_alu instid0(SALU_CYCLE_1)
	s_and_not1_b32 vcc_lo, exec_lo, s1
	s_cbranch_vccnz .LBB241_1497
; %bb.1492:
	v_cmp_lt_i16_e32 vcc_lo, 0, v9
	s_mov_b32 s1, 0
	s_cbranch_vccz .LBB241_1494
; %bb.1493:
	global_load_i8 v11, v[6:7], off
	s_mov_b32 s0, 0
	s_waitcnt vmcnt(0)
	v_cvt_f16_i16_e32 v12, v11
	s_branch .LBB241_1495
.LBB241_1494:
	s_mov_b32 s1, -1
                                        ; implicit-def: $sgpr0
                                        ; implicit-def: $vgpr12
.LBB241_1495:
	s_delay_alu instid0(SALU_CYCLE_1)
	s_and_not1_b32 vcc_lo, exec_lo, s1
	s_cbranch_vccnz .LBB241_1497
; %bb.1496:
	global_load_u8 v6, v[6:7], off
	s_mov_b32 s0, 0
	s_waitcnt vmcnt(0)
	v_cvt_f16_u16_e32 v12, v6
.LBB241_1497:
	v_mov_b32_e32 v11, s0
	s_branch .LBB241_1573
.LBB241_1498:
	s_trap 2
	s_sendmsg_rtn_b32 s0, sendmsg(MSG_RTN_GET_DOORBELL)
	s_mov_b32 ttmp2, m0
	s_waitcnt lgkmcnt(0)
	s_and_b32 s0, s0, 0x3ff
	s_delay_alu instid0(SALU_CYCLE_1) | instskip(NEXT) | instid1(SALU_CYCLE_1)
	s_bitset1_b32 s0, 10
	s_mov_b32 m0, s0
	s_sendmsg sendmsg(MSG_INTERRUPT)
	s_mov_b32 m0, ttmp2
.LBB241_1499:                           ; =>This Inner Loop Header: Depth=1
	s_sethalt 5
	s_branch .LBB241_1499
.LBB241_1500:
	s_or_saveexec_b32 s8, s8
                                        ; implicit-def: $sgpr9
	s_delay_alu instid0(SALU_CYCLE_1)
	s_xor_b32 exec_lo, exec_lo, s8
	s_cbranch_execz .LBB241_1139
.LBB241_1501:
	v_add_f32_e64 v8, 0x42800000, |v0|
	s_and_not1_b32 s5, s5, exec_lo
	s_mov_b32 s9, 0
	s_delay_alu instid0(VALU_DEP_1) | instskip(NEXT) | instid1(VALU_DEP_1)
	v_and_b32_e32 v8, 0xff, v8
	v_cmp_ne_u32_e32 vcc_lo, 0, v8
	s_and_b32 s10, vcc_lo, exec_lo
	s_delay_alu instid0(SALU_CYCLE_1)
	s_or_b32 s5, s5, s10
	s_or_b32 exec_lo, exec_lo, s8
	v_mov_b32_e32 v9, s9
	s_and_saveexec_b32 s8, s5
	s_cbranch_execnz .LBB241_1140
	s_branch .LBB241_1141
.LBB241_1502:
	s_mov_b32 s0, -1
.LBB241_1503:
                                        ; implicit-def: $vgpr11
                                        ; implicit-def: $vgpr12
.LBB241_1504:
	s_and_b32 vcc_lo, exec_lo, s11
	s_cbranch_vccz .LBB241_1509
; %bb.1505:
	v_cmp_eq_u16_e32 vcc_lo, 44, v9
	s_cbranch_vccz .LBB241_1507
; %bb.1506:
	global_load_u8 v11, v[6:7], off
	s_mov_b32 s0, 0
	s_mov_b32 s10, -1
	s_waitcnt vmcnt(0)
	v_lshlrev_b32_e32 v12, 23, v11
	v_cmp_ne_u32_e32 vcc_lo, 0xff, v11
	s_delay_alu instid0(VALU_DEP_2) | instskip(NEXT) | instid1(VALU_DEP_1)
	v_cvt_f16_f32_e32 v12, v12
	v_cndmask_b32_e32 v12, 0x7e00, v12, vcc_lo
	v_cmp_ne_u32_e32 vcc_lo, 0, v11
	s_delay_alu instid0(VALU_DEP_2)
	v_cndmask_b32_e32 v12, 0, v12, vcc_lo
	s_branch .LBB241_1508
.LBB241_1507:
	s_mov_b32 s0, -1
                                        ; implicit-def: $vgpr12
.LBB241_1508:
	s_delay_alu instid0(SALU_CYCLE_1)
	v_mov_b32_e32 v11, s0
.LBB241_1509:
	s_mov_b32 s11, 0
.LBB241_1510:
	s_delay_alu instid0(SALU_CYCLE_1)
	s_and_b32 vcc_lo, exec_lo, s11
	s_cbranch_vccz .LBB241_1515
; %bb.1511:
	v_cmp_eq_u16_e32 vcc_lo, 29, v9
	s_cbranch_vccz .LBB241_1513
; %bb.1512:
	global_load_b64 v[11:12], v[6:7], off
	s_mov_b32 s0, 0
	s_mov_b32 s10, -1
	s_mov_b32 s11, 0
	s_waitcnt vmcnt(0)
	v_clz_i32_u32_e32 v13, v12
	s_delay_alu instid0(VALU_DEP_1) | instskip(NEXT) | instid1(VALU_DEP_1)
	v_min_u32_e32 v13, 32, v13
	v_lshlrev_b64 v[11:12], v13, v[11:12]
	s_delay_alu instid0(VALU_DEP_1) | instskip(NEXT) | instid1(VALU_DEP_1)
	v_min_u32_e32 v11, 1, v11
	v_or_b32_e32 v11, v12, v11
	v_sub_nc_u32_e32 v12, 32, v13
	s_delay_alu instid0(VALU_DEP_2) | instskip(NEXT) | instid1(VALU_DEP_1)
	v_cvt_f32_u32_e32 v11, v11
	v_ldexp_f32 v11, v11, v12
	s_delay_alu instid0(VALU_DEP_1)
	v_cvt_f16_f32_e32 v12, v11
	s_branch .LBB241_1514
.LBB241_1513:
	s_mov_b32 s0, -1
                                        ; implicit-def: $sgpr11
                                        ; implicit-def: $vgpr12
.LBB241_1514:
	v_mov_b32_e32 v11, s11
.LBB241_1515:
	s_mov_b32 s11, 0
.LBB241_1516:
	s_delay_alu instid0(SALU_CYCLE_1)
	s_and_b32 vcc_lo, exec_lo, s11
	s_cbranch_vccz .LBB241_1536
; %bb.1517:
	v_cmp_gt_i16_e32 vcc_lo, 27, v9
	s_cbranch_vccnz .LBB241_1520
; %bb.1518:
	v_cmp_lt_i16_e32 vcc_lo, 27, v9
	s_cbranch_vccz .LBB241_1521
; %bb.1519:
	global_load_b32 v11, v[6:7], off
	s_mov_b32 s11, 0
	s_mov_b32 s10, 0
	s_waitcnt vmcnt(0)
	v_cvt_f32_u32_e32 v11, v11
	s_delay_alu instid0(VALU_DEP_1)
	v_cvt_f16_f32_e32 v12, v11
	s_branch .LBB241_1522
.LBB241_1520:
	s_mov_b32 s11, -1
                                        ; implicit-def: $sgpr10
                                        ; implicit-def: $vgpr12
	s_branch .LBB241_1525
.LBB241_1521:
	s_mov_b32 s11, -1
                                        ; implicit-def: $sgpr10
                                        ; implicit-def: $vgpr12
.LBB241_1522:
	s_delay_alu instid0(SALU_CYCLE_1)
	s_and_not1_b32 vcc_lo, exec_lo, s11
	s_cbranch_vccnz .LBB241_1524
; %bb.1523:
	global_load_u16 v11, v[6:7], off
	s_mov_b32 s10, 0
	s_waitcnt vmcnt(0)
	v_cvt_f16_u16_e32 v12, v11
.LBB241_1524:
	s_mov_b32 s11, 0
.LBB241_1525:
	v_mov_b32_e32 v11, s10
	s_and_not1_b32 vcc_lo, exec_lo, s11
	s_cbranch_vccnz .LBB241_1535
; %bb.1526:
	global_load_u8 v13, v[6:7], off
	s_mov_b32 s10, 0
	s_mov_b32 s13, exec_lo
                                        ; implicit-def: $sgpr12
                                        ; implicit-def: $sgpr11
	s_waitcnt vmcnt(0)
	v_cmpx_lt_i16_e32 0x7f, v13
	s_xor_b32 s13, exec_lo, s13
	s_cbranch_execz .LBB241_1530
; %bb.1527:
	s_mov_b32 s10, -1
	s_mov_b32 s14, exec_lo
                                        ; implicit-def: $sgpr12
                                        ; implicit-def: $sgpr11
	v_cmpx_eq_u16_e32 0x80, v13
; %bb.1528:
	s_movk_i32 s11, 0x7e00
	s_mov_b32 s12, 0
	s_xor_b32 s10, exec_lo, -1
; %bb.1529:
	s_or_b32 exec_lo, exec_lo, s14
	s_delay_alu instid0(SALU_CYCLE_1)
	s_and_b32 s10, s10, exec_lo
.LBB241_1530:
	s_or_saveexec_b32 s13, s13
	v_dual_mov_b32 v11, s12 :: v_dual_mov_b32 v12, s11
	s_xor_b32 exec_lo, exec_lo, s13
; %bb.1531:
	v_cmp_ne_u16_e32 vcc_lo, 0, v13
	v_dual_mov_b32 v11, 0 :: v_dual_mov_b32 v12, v13
	s_and_not1_b32 s10, s10, exec_lo
	s_and_b32 s11, vcc_lo, exec_lo
	s_delay_alu instid0(SALU_CYCLE_1)
	s_or_b32 s10, s10, s11
; %bb.1532:
	s_or_b32 exec_lo, exec_lo, s13
	s_and_saveexec_b32 s11, s10
	s_cbranch_execz .LBB241_1534
; %bb.1533:
	v_and_b32_e32 v11, 0xffff, v13
	v_lshlrev_b32_e32 v13, 24, v13
	s_delay_alu instid0(VALU_DEP_2) | instskip(NEXT) | instid1(VALU_DEP_2)
	v_and_b32_e32 v12, 7, v11
	v_and_b32_e32 v13, 0x80000000, v13
	s_delay_alu instid0(VALU_DEP_2) | instskip(NEXT) | instid1(VALU_DEP_1)
	v_clz_i32_u32_e32 v14, v12
	v_min_u32_e32 v14, 32, v14
	s_delay_alu instid0(VALU_DEP_1) | instskip(SKIP_1) | instid1(VALU_DEP_2)
	v_subrev_nc_u32_e32 v15, 28, v14
	v_sub_nc_u32_e32 v14, 29, v14
	v_lshlrev_b32_e32 v15, v15, v11
	v_bfe_u32 v11, v11, 3, 4
	s_delay_alu instid0(VALU_DEP_2) | instskip(NEXT) | instid1(VALU_DEP_2)
	v_and_b32_e32 v15, 7, v15
	v_cmp_eq_u32_e32 vcc_lo, 0, v11
	s_delay_alu instid0(VALU_DEP_2) | instskip(NEXT) | instid1(VALU_DEP_1)
	v_dual_cndmask_b32 v11, v11, v14 :: v_dual_cndmask_b32 v12, v12, v15
	v_lshl_add_u32 v11, v11, 23, 0x3b800000
	s_delay_alu instid0(VALU_DEP_2) | instskip(NEXT) | instid1(VALU_DEP_1)
	v_lshlrev_b32_e32 v12, 20, v12
	v_or3_b32 v11, v13, v11, v12
	s_delay_alu instid0(VALU_DEP_1)
	v_cvt_f16_f32_e32 v12, v11
	v_mov_b32_e32 v11, 0
.LBB241_1534:
	s_or_b32 exec_lo, exec_lo, s11
.LBB241_1535:
	s_mov_b32 s10, -1
.LBB241_1536:
	s_branch .LBB241_1568
.LBB241_1537:
	v_cmp_lt_i16_e32 vcc_lo, 22, v9
	s_cbranch_vccz .LBB241_1549
; %bb.1538:
	v_cmp_gt_i16_e32 vcc_lo, 24, v9
	s_cbranch_vccnz .LBB241_1550
; %bb.1539:
	v_cmp_lt_i16_e32 vcc_lo, 24, v9
	s_cbranch_vccz .LBB241_1551
; %bb.1540:
	global_load_u8 v13, v[6:7], off
	s_mov_b32 s12, exec_lo
                                        ; implicit-def: $sgpr11
                                        ; implicit-def: $sgpr10
	s_waitcnt vmcnt(0)
	v_cmpx_lt_i16_e32 0x7f, v13
	s_xor_b32 s12, exec_lo, s12
	s_cbranch_execz .LBB241_1544
; %bb.1541:
	s_mov_b32 s1, -1
	s_mov_b32 s13, exec_lo
                                        ; implicit-def: $sgpr11
                                        ; implicit-def: $sgpr10
	v_cmpx_eq_u16_e32 0x80, v13
; %bb.1542:
	s_movk_i32 s10, 0x7e00
	s_mov_b32 s11, 0
	s_xor_b32 s1, exec_lo, -1
; %bb.1543:
	s_or_b32 exec_lo, exec_lo, s13
	s_delay_alu instid0(SALU_CYCLE_1)
	s_and_b32 s1, s1, exec_lo
.LBB241_1544:
	s_or_saveexec_b32 s12, s12
	v_dual_mov_b32 v11, s11 :: v_dual_mov_b32 v12, s10
	s_xor_b32 exec_lo, exec_lo, s12
; %bb.1545:
	v_cmp_ne_u16_e32 vcc_lo, 0, v13
	v_dual_mov_b32 v11, 0 :: v_dual_mov_b32 v12, v13
	s_and_not1_b32 s1, s1, exec_lo
	s_and_b32 s10, vcc_lo, exec_lo
	s_delay_alu instid0(SALU_CYCLE_1)
	s_or_b32 s1, s1, s10
; %bb.1546:
	s_or_b32 exec_lo, exec_lo, s12
	s_and_saveexec_b32 s10, s1
	s_cbranch_execz .LBB241_1548
; %bb.1547:
	v_and_b32_e32 v11, 0xffff, v13
	v_lshlrev_b32_e32 v13, 24, v13
	s_delay_alu instid0(VALU_DEP_2) | instskip(NEXT) | instid1(VALU_DEP_2)
	v_and_b32_e32 v12, 3, v11
	v_and_b32_e32 v13, 0x80000000, v13
	s_delay_alu instid0(VALU_DEP_2) | instskip(NEXT) | instid1(VALU_DEP_1)
	v_clz_i32_u32_e32 v14, v12
	v_min_u32_e32 v14, 32, v14
	s_delay_alu instid0(VALU_DEP_1) | instskip(SKIP_1) | instid1(VALU_DEP_2)
	v_subrev_nc_u32_e32 v15, 29, v14
	v_sub_nc_u32_e32 v14, 30, v14
	v_lshlrev_b32_e32 v15, v15, v11
	v_bfe_u32 v11, v11, 2, 5
	s_delay_alu instid0(VALU_DEP_2) | instskip(NEXT) | instid1(VALU_DEP_2)
	v_and_b32_e32 v15, 3, v15
	v_cmp_eq_u32_e32 vcc_lo, 0, v11
	s_delay_alu instid0(VALU_DEP_2) | instskip(NEXT) | instid1(VALU_DEP_1)
	v_dual_cndmask_b32 v11, v11, v14 :: v_dual_cndmask_b32 v12, v12, v15
	v_lshl_add_u32 v11, v11, 23, 0x37800000
	s_delay_alu instid0(VALU_DEP_2) | instskip(NEXT) | instid1(VALU_DEP_1)
	v_lshlrev_b32_e32 v12, 21, v12
	v_or3_b32 v11, v13, v11, v12
	s_delay_alu instid0(VALU_DEP_1)
	v_cvt_f16_f32_e32 v12, v11
	v_mov_b32_e32 v11, 0
.LBB241_1548:
	s_or_b32 exec_lo, exec_lo, s10
	s_mov_b32 s1, 0
	s_branch .LBB241_1552
.LBB241_1549:
	s_mov_b32 s1, -1
                                        ; implicit-def: $vgpr11
                                        ; implicit-def: $vgpr12
	s_branch .LBB241_1558
.LBB241_1550:
	s_mov_b32 s1, -1
                                        ; implicit-def: $vgpr11
                                        ; implicit-def: $vgpr12
	s_branch .LBB241_1555
.LBB241_1551:
	s_mov_b32 s1, -1
                                        ; implicit-def: $vgpr11
                                        ; implicit-def: $vgpr12
.LBB241_1552:
	s_delay_alu instid0(SALU_CYCLE_1)
	s_and_b32 vcc_lo, exec_lo, s1
	s_cbranch_vccz .LBB241_1554
; %bb.1553:
	global_load_u8 v11, v[6:7], off
	s_waitcnt vmcnt(0)
	v_lshlrev_b32_e32 v11, 24, v11
	s_delay_alu instid0(VALU_DEP_1) | instskip(NEXT) | instid1(VALU_DEP_1)
	v_and_b32_e32 v12, 0x7f000000, v11
	v_clz_i32_u32_e32 v13, v12
	v_add_nc_u32_e32 v15, 0x1000000, v12
	v_cmp_ne_u32_e32 vcc_lo, 0, v12
	s_delay_alu instid0(VALU_DEP_3) | instskip(NEXT) | instid1(VALU_DEP_1)
	v_min_u32_e32 v13, 32, v13
	v_sub_nc_u32_e64 v13, v13, 4 clamp
	s_delay_alu instid0(VALU_DEP_1) | instskip(SKIP_1) | instid1(VALU_DEP_2)
	v_lshlrev_b32_e32 v14, v13, v12
	v_lshlrev_b32_e32 v13, 23, v13
	v_lshrrev_b32_e32 v14, 4, v14
	s_delay_alu instid0(VALU_DEP_1) | instskip(SKIP_1) | instid1(VALU_DEP_2)
	v_sub_nc_u32_e32 v13, v14, v13
	v_ashrrev_i32_e32 v14, 8, v15
	v_add_nc_u32_e32 v13, 0x3c000000, v13
	s_delay_alu instid0(VALU_DEP_1) | instskip(NEXT) | instid1(VALU_DEP_1)
	v_and_or_b32 v13, 0x7f800000, v14, v13
	v_cndmask_b32_e32 v12, 0, v13, vcc_lo
	s_delay_alu instid0(VALU_DEP_1) | instskip(NEXT) | instid1(VALU_DEP_1)
	v_and_or_b32 v11, 0x80000000, v11, v12
	v_cvt_f16_f32_e32 v12, v11
	v_mov_b32_e32 v11, 0
.LBB241_1554:
	s_mov_b32 s1, 0
.LBB241_1555:
	s_delay_alu instid0(SALU_CYCLE_1)
	s_and_not1_b32 vcc_lo, exec_lo, s1
	s_cbranch_vccnz .LBB241_1557
; %bb.1556:
	global_load_u8 v11, v[6:7], off
	s_waitcnt vmcnt(0)
	v_lshlrev_b32_e32 v12, 25, v11
	v_lshlrev_b16 v11, 8, v11
	s_delay_alu instid0(VALU_DEP_2) | instskip(NEXT) | instid1(VALU_DEP_2)
	v_lshrrev_b32_e32 v13, 4, v12
	v_and_or_b32 v14, 0x7f00, v11, 0.5
	v_bfe_i32 v11, v11, 0, 16
	s_delay_alu instid0(VALU_DEP_3) | instskip(NEXT) | instid1(VALU_DEP_1)
	v_or_b32_e32 v13, 0x70000000, v13
	v_dual_add_f32 v14, -0.5, v14 :: v_dual_mul_f32 v13, 0x7800000, v13
	v_cmp_gt_u32_e32 vcc_lo, 0x8000000, v12
	s_delay_alu instid0(VALU_DEP_2) | instskip(NEXT) | instid1(VALU_DEP_1)
	v_cndmask_b32_e32 v12, v13, v14, vcc_lo
	v_and_or_b32 v11, 0x80000000, v11, v12
	s_delay_alu instid0(VALU_DEP_1)
	v_cvt_f16_f32_e32 v12, v11
	v_mov_b32_e32 v11, 0
.LBB241_1557:
	s_mov_b32 s1, 0
	s_mov_b32 s10, -1
.LBB241_1558:
	s_and_not1_b32 vcc_lo, exec_lo, s1
	s_mov_b32 s1, 0
	s_cbranch_vccnz .LBB241_1568
; %bb.1559:
	v_cmp_lt_i16_e32 vcc_lo, 14, v9
	s_cbranch_vccz .LBB241_1562
; %bb.1560:
	v_cmp_eq_u16_e32 vcc_lo, 15, v9
	s_cbranch_vccz .LBB241_1563
; %bb.1561:
	global_load_u16 v11, v[6:7], off
	s_mov_b32 s0, 0
	s_mov_b32 s10, -1
	s_mov_b32 s11, 0
	s_waitcnt vmcnt(0)
	v_lshlrev_b32_e32 v11, 16, v11
	s_delay_alu instid0(VALU_DEP_1)
	v_cvt_f16_f32_e32 v12, v11
	s_branch .LBB241_1565
.LBB241_1562:
	s_mov_b32 s1, -1
	s_branch .LBB241_1564
.LBB241_1563:
	s_mov_b32 s0, -1
.LBB241_1564:
                                        ; implicit-def: $sgpr11
                                        ; implicit-def: $vgpr12
.LBB241_1565:
	s_and_b32 vcc_lo, exec_lo, s1
	s_mov_b32 s1, 0
	s_cbranch_vccz .LBB241_1567
; %bb.1566:
	v_cmp_ne_u16_e64 s0, 11, v9
	s_mov_b32 s1, -1
                                        ; implicit-def: $sgpr11
                                        ; implicit-def: $vgpr12
.LBB241_1567:
	v_mov_b32_e32 v11, s11
.LBB241_1568:
	s_delay_alu instid0(VALU_DEP_2)
	s_and_b32 vcc_lo, exec_lo, s0
	s_cbranch_vccnz .LBB241_1622
; %bb.1569:
	s_and_not1_b32 vcc_lo, exec_lo, s1
	s_cbranch_vccnz .LBB241_1571
.LBB241_1570:
	global_load_u8 v11, v[6:7], off
	s_mov_b32 s10, -1
	s_waitcnt vmcnt(0)
	v_cmp_ne_u16_e32 vcc_lo, 0, v11
	v_mov_b32_e32 v11, 0
	v_cndmask_b32_e64 v12, 0, 0x3c00, vcc_lo
.LBB241_1571:
.LBB241_1572:
	s_and_not1_b32 vcc_lo, exec_lo, s10
	s_cbranch_vccnz .LBB241_2371
.LBB241_1573:
	s_waitcnt vmcnt(0)
	s_delay_alu instid0(VALU_DEP_1) | instskip(NEXT) | instid1(VALU_DEP_2)
	v_cmp_neq_f16_e32 vcc_lo, 0, v12
	v_cmp_neq_f16_e64 s0, 0, v11
	v_cvt_f32_f16_e32 v7, v11
	v_mov_b32_e32 v11, 0
	s_delay_alu instid0(VALU_DEP_3) | instskip(NEXT) | instid1(SALU_CYCLE_1)
	s_or_b32 s0, vcc_lo, s0
	s_and_saveexec_b32 s10, s0
	s_cbranch_execz .LBB241_1603
; %bb.1574:
	v_mov_b32_e32 v11, 0x7f800000
	s_mov_b32 s11, exec_lo
	v_cmpx_neq_f32_e64 0x7f800000, |v7|
	s_cbranch_execz .LBB241_1602
; %bb.1575:
	v_cvt_f32_f16_e32 v11, v12
	s_mov_b32 s0, exec_lo
	v_cmpx_o_f16_e32 v12, v12
	s_xor_b32 s12, exec_lo, s0
	s_cbranch_execz .LBB241_1599
; %bb.1576:
	s_mov_b32 s1, exec_lo
	v_cmpx_neq_f32_e64 0x7f800000, |v11|
	s_xor_b32 s13, exec_lo, s1
	s_cbranch_execz .LBB241_1592
; %bb.1577:
	v_max_f32_e64 v6, |v7|, |v7|
	v_max_f32_e64 v12, |v11|, |v11|
                                        ; implicit-def: $sgpr14
	s_delay_alu instid0(VALU_DEP_1) | instskip(NEXT) | instid1(VALU_DEP_1)
	v_max_f32_e32 v6, v12, v6
	v_cmp_nle_f32_e64 s0, 0x7ed413cb, v6
	s_delay_alu instid0(VALU_DEP_1) | instskip(NEXT) | instid1(SALU_CYCLE_1)
	s_and_saveexec_b32 s1, s0
	s_xor_b32 s1, exec_lo, s1
	s_cbranch_execz .LBB241_1581
; %bb.1578:
	v_cmp_ge_f32_e64 s14, 0x1000000, |v11|
	v_cmp_ge_f32_e64 s15, 0x1000000, |v7|
	s_delay_alu instid0(VALU_DEP_1)
	s_and_b32 s16, s14, s15
	s_mov_b32 s14, 0
	s_and_saveexec_b32 s15, s16
; %bb.1579:
	v_mul_f32_e32 v11, 4.0, v11
	v_mul_f32_e32 v7, 4.0, v7
	s_mov_b32 s14, exec_lo
; %bb.1580:
	s_or_b32 exec_lo, exec_lo, s15
	s_delay_alu instid0(SALU_CYCLE_1)
	s_and_b32 s14, s14, exec_lo
.LBB241_1581:
	s_and_not1_saveexec_b32 s1, s1
; %bb.1582:
	v_mul_f32_e32 v11, 0x3e800000, v11
	v_mul_f32_e32 v7, 0x3e800000, v7
	s_and_not1_b32 s14, s14, exec_lo
; %bb.1583:
	s_or_b32 exec_lo, exec_lo, s1
	s_delay_alu instid0(VALU_DEP_1) | instskip(SKIP_1) | instid1(VALU_DEP_1)
	v_max_f32_e64 v6, |v7|, |v7|
	v_max_f32_e64 v12, |v11|, |v11|
	v_max_f32_e32 v6, v12, v6
	s_delay_alu instid0(VALU_DEP_1) | instskip(SKIP_1) | instid1(VALU_DEP_2)
	v_cvt_f64_f32_e32 v[12:13], v6
	v_cmp_neq_f32_e64 s1, 0x7f800000, v6
                                        ; implicit-def: $vgpr6
	v_frexp_exp_i32_f64_e32 v12, v[12:13]
	s_delay_alu instid0(VALU_DEP_1) | instskip(NEXT) | instid1(VALU_DEP_1)
	v_sub_nc_u32_e32 v13, 0, v12
	v_ldexp_f32 v14, |v7|, v13
	v_ldexp_f32 v13, |v11|, v13
	s_delay_alu instid0(VALU_DEP_2) | instskip(NEXT) | instid1(VALU_DEP_1)
	v_mul_f32_e32 v14, v14, v14
	v_fmac_f32_e32 v14, v13, v13
	s_delay_alu instid0(VALU_DEP_1) | instskip(SKIP_2) | instid1(VALU_DEP_1)
	v_sqrt_f32_e32 v13, v14
	s_waitcnt_depctr 0xfff
	v_ldexp_f32 v12, v13, v12
	v_cndmask_b32_e64 v13, 0x7f800000, v12, s1
                                        ; implicit-def: $vgpr12
	s_mov_b32 s1, exec_lo
	v_cmpx_le_f32_e32 0, v11
	s_xor_b32 s15, exec_lo, s1
	s_cbranch_execz .LBB241_1585
; %bb.1584:
	v_add_f32_e32 v6, v11, v13
	s_delay_alu instid0(VALU_DEP_1) | instskip(NEXT) | instid1(VALU_DEP_1)
	v_mul_f32_e32 v6, 0.5, v6
	v_mul_f32_e32 v11, 0x4f800000, v6
	v_cmp_gt_f32_e32 vcc_lo, 0xf800000, v6
	s_delay_alu instid0(VALU_DEP_2) | instskip(NEXT) | instid1(VALU_DEP_1)
	v_cndmask_b32_e32 v6, v6, v11, vcc_lo
	v_sqrt_f32_e32 v11, v6
	s_waitcnt_depctr 0xfff
	v_add_nc_u32_e32 v12, -1, v11
	v_add_nc_u32_e32 v13, 1, v11
	s_delay_alu instid0(VALU_DEP_2) | instskip(NEXT) | instid1(VALU_DEP_2)
	v_fma_f32 v14, -v12, v11, v6
	v_fma_f32 v15, -v13, v11, v6
	s_delay_alu instid0(VALU_DEP_2) | instskip(NEXT) | instid1(VALU_DEP_1)
	v_cmp_ge_f32_e64 s1, 0, v14
	v_cndmask_b32_e64 v11, v11, v12, s1
	s_delay_alu instid0(VALU_DEP_3) | instskip(NEXT) | instid1(VALU_DEP_1)
	v_cmp_lt_f32_e64 s1, 0, v15
	v_cndmask_b32_e64 v11, v11, v13, s1
	s_delay_alu instid0(VALU_DEP_1) | instskip(NEXT) | instid1(VALU_DEP_1)
	v_mul_f32_e32 v12, 0x37800000, v11
	v_cndmask_b32_e32 v11, v11, v12, vcc_lo
	v_cmp_class_f32_e64 vcc_lo, v6, 0x260
	s_delay_alu instid0(VALU_DEP_2) | instskip(NEXT) | instid1(VALU_DEP_1)
	v_cndmask_b32_e32 v6, v11, v6, vcc_lo
	v_add_f32_e32 v11, v6, v6
	s_delay_alu instid0(VALU_DEP_1) | instskip(NEXT) | instid1(VALU_DEP_1)
	v_div_scale_f32 v12, null, v11, v11, v7
	v_rcp_f32_e32 v13, v12
	s_waitcnt_depctr 0xfff
	v_fma_f32 v14, -v12, v13, 1.0
	s_delay_alu instid0(VALU_DEP_1) | instskip(SKIP_1) | instid1(VALU_DEP_1)
	v_fmac_f32_e32 v13, v14, v13
	v_div_scale_f32 v14, vcc_lo, v7, v11, v7
	v_mul_f32_e32 v15, v14, v13
	s_delay_alu instid0(VALU_DEP_1) | instskip(NEXT) | instid1(VALU_DEP_1)
	v_fma_f32 v16, -v12, v15, v14
	v_fmac_f32_e32 v15, v16, v13
	s_delay_alu instid0(VALU_DEP_1) | instskip(NEXT) | instid1(VALU_DEP_1)
	v_fma_f32 v12, -v12, v15, v14
	v_div_fmas_f32 v12, v12, v13, v15
                                        ; implicit-def: $vgpr13
	s_delay_alu instid0(VALU_DEP_1)
	v_div_fixup_f32 v12, v12, v11, v7
                                        ; implicit-def: $vgpr11
                                        ; implicit-def: $vgpr7
	s_and_not1_saveexec_b32 s15, s15
	s_cbranch_execz .LBB241_1587
	s_branch .LBB241_1586
.LBB241_1585:
	s_and_not1_saveexec_b32 s15, s15
	s_cbranch_execz .LBB241_1587
.LBB241_1586:
	v_sub_f32_e32 v6, v13, v11
	s_delay_alu instid0(VALU_DEP_1) | instskip(NEXT) | instid1(VALU_DEP_1)
	v_mul_f32_e32 v6, 0.5, v6
	v_mul_f32_e32 v11, 0x4f800000, v6
	v_cmp_gt_f32_e32 vcc_lo, 0xf800000, v6
	s_delay_alu instid0(VALU_DEP_2) | instskip(NEXT) | instid1(VALU_DEP_1)
	v_cndmask_b32_e32 v6, v6, v11, vcc_lo
	v_sqrt_f32_e32 v11, v6
	s_waitcnt_depctr 0xfff
	v_add_nc_u32_e32 v12, -1, v11
	v_add_nc_u32_e32 v13, 1, v11
	s_delay_alu instid0(VALU_DEP_2) | instskip(NEXT) | instid1(VALU_DEP_2)
	v_fma_f32 v14, -v12, v11, v6
	v_fma_f32 v15, -v13, v11, v6
	s_delay_alu instid0(VALU_DEP_2) | instskip(NEXT) | instid1(VALU_DEP_1)
	v_cmp_ge_f32_e64 s1, 0, v14
	v_cndmask_b32_e64 v11, v11, v12, s1
	s_delay_alu instid0(VALU_DEP_3) | instskip(NEXT) | instid1(VALU_DEP_1)
	v_cmp_lt_f32_e64 s1, 0, v15
	v_cndmask_b32_e64 v11, v11, v13, s1
	s_delay_alu instid0(VALU_DEP_1) | instskip(NEXT) | instid1(VALU_DEP_1)
	v_mul_f32_e32 v12, 0x37800000, v11
	v_cndmask_b32_e32 v11, v11, v12, vcc_lo
	v_cmp_class_f32_e64 vcc_lo, v6, 0x260
	s_delay_alu instid0(VALU_DEP_2) | instskip(NEXT) | instid1(VALU_DEP_1)
	v_dual_cndmask_b32 v11, v11, v6 :: v_dual_and_b32 v6, 0x7fffffff, v7
	v_add_f32_e32 v12, v11, v11
	s_delay_alu instid0(VALU_DEP_1) | instskip(SKIP_1) | instid1(VALU_DEP_2)
	v_div_scale_f32 v13, null, v12, v12, v6
	v_div_scale_f32 v6, vcc_lo, v6, v12, v6
	v_rcp_f32_e32 v14, v13
	s_waitcnt_depctr 0xfff
	v_fma_f32 v15, -v13, v14, 1.0
	s_delay_alu instid0(VALU_DEP_1) | instskip(NEXT) | instid1(VALU_DEP_1)
	v_fmac_f32_e32 v14, v15, v14
	v_mul_f32_e32 v15, v6, v14
	s_delay_alu instid0(VALU_DEP_1) | instskip(NEXT) | instid1(VALU_DEP_1)
	v_fma_f32 v16, -v13, v15, v6
	v_fmac_f32_e32 v15, v16, v14
	s_delay_alu instid0(VALU_DEP_1) | instskip(NEXT) | instid1(VALU_DEP_1)
	v_fma_f32 v6, -v13, v15, v6
	v_div_fmas_f32 v6, v6, v14, v15
	s_delay_alu instid0(VALU_DEP_1)
	v_div_fixup_f32 v6, v6, v12, |v7|
	v_bfi_b32 v12, 0x7fffffff, v11, v7
.LBB241_1587:
	s_or_b32 exec_lo, exec_lo, s15
                                        ; implicit-def: $vgpr7
                                        ; implicit-def: $vgpr11
	s_and_saveexec_b32 s1, s0
	s_delay_alu instid0(SALU_CYCLE_1)
	s_xor_b32 s0, exec_lo, s1
	s_cbranch_execz .LBB241_1589
; %bb.1588:
	v_mul_f32_e32 v7, 0.5, v6
	v_mul_f32_e32 v13, 0.5, v12
	s_delay_alu instid0(VALU_DEP_2) | instskip(NEXT) | instid1(VALU_DEP_2)
	v_cndmask_b32_e64 v11, v6, v7, s14
	v_cndmask_b32_e64 v7, v12, v13, s14
                                        ; implicit-def: $vgpr6
                                        ; implicit-def: $vgpr12
	s_and_not1_saveexec_b32 s0, s0
	s_cbranch_execnz .LBB241_1590
	s_branch .LBB241_1591
.LBB241_1589:
	s_and_not1_saveexec_b32 s0, s0
.LBB241_1590:
	v_add_f32_e32 v11, v6, v6
	v_add_f32_e32 v7, v12, v12
.LBB241_1591:
	s_or_b32 exec_lo, exec_lo, s0
                                        ; implicit-def: $vgpr12
.LBB241_1592:
	s_and_not1_saveexec_b32 s0, s13
	s_cbranch_execz .LBB241_1598
; %bb.1593:
	s_delay_alu instid0(VALU_DEP_1)
	v_sub_f32_e32 v6, v7, v7
	s_mov_b32 s1, exec_lo
	v_cmpx_lt_i16_e32 -1, v12
	s_xor_b32 s1, exec_lo, s1
; %bb.1594:
	s_delay_alu instid0(VALU_DEP_2)
	v_bfi_b32 v7, 0x7fffffff, v6, v7
                                        ; implicit-def: $vgpr6
; %bb.1595:
	s_and_not1_saveexec_b32 s1, s1
; %bb.1596:
	v_and_b32_e32 v6, 0x7fffffff, v6
	s_delay_alu instid0(VALU_DEP_2) | instskip(NEXT) | instid1(VALU_DEP_2)
	v_bfi_b32 v7, 0x7fffffff, v11, v7
	v_mov_b32_e32 v11, v6
; %bb.1597:
	s_or_b32 exec_lo, exec_lo, s1
.LBB241_1598:
	s_delay_alu instid0(SALU_CYCLE_1)
	s_or_b32 exec_lo, exec_lo, s0
.LBB241_1599:
	s_and_not1_saveexec_b32 s0, s12
; %bb.1600:
	v_sub_f32_e32 v6, v7, v7
	s_delay_alu instid0(VALU_DEP_1) | instskip(NEXT) | instid1(VALU_DEP_1)
	v_div_scale_f32 v7, vcc_lo, v6, v6, v6
	v_rcp_f32_e32 v12, v7
	s_waitcnt_depctr 0xfff
	v_fma_f32 v13, -v7, v12, 1.0
	s_delay_alu instid0(VALU_DEP_1) | instskip(NEXT) | instid1(VALU_DEP_1)
	v_fmac_f32_e32 v12, v13, v12
	v_mul_f32_e32 v13, v7, v12
	s_delay_alu instid0(VALU_DEP_1) | instskip(NEXT) | instid1(VALU_DEP_1)
	v_fma_f32 v14, -v7, v13, v7
	v_fmac_f32_e32 v13, v14, v12
	s_delay_alu instid0(VALU_DEP_1) | instskip(NEXT) | instid1(VALU_DEP_1)
	v_fma_f32 v7, -v7, v13, v7
	v_div_fmas_f32 v7, v7, v12, v13
	s_delay_alu instid0(VALU_DEP_1)
	v_div_fixup_f32 v7, v7, v6, v6
; %bb.1601:
	s_or_b32 exec_lo, exec_lo, s0
.LBB241_1602:
	s_delay_alu instid0(SALU_CYCLE_1)
	s_or_b32 exec_lo, exec_lo, s11
.LBB241_1603:
	s_delay_alu instid0(SALU_CYCLE_1) | instskip(SKIP_2) | instid1(VALU_DEP_1)
	s_or_b32 exec_lo, exec_lo, s10
	v_cmp_gt_i16_e32 vcc_lo, 11, v9
	v_add_co_u32 v5, s0, s6, v5
	v_add_co_ci_u32_e64 v6, null, s7, 0, s0
	s_mov_b32 s10, 0
	s_cbranch_vccnz .LBB241_1610
; %bb.1604:
	v_cmp_lt_i16_e32 vcc_lo, 25, v9
	s_mov_b32 s1, 0
	s_cbranch_vccz .LBB241_1616
; %bb.1605:
	v_cmp_lt_i16_e32 vcc_lo, 28, v9
	s_cbranch_vccz .LBB241_1618
; %bb.1606:
	v_cmp_lt_i16_e32 vcc_lo, 43, v9
	;; [unrolled: 3-line block ×3, first 2 shown]
	s_cbranch_vccz .LBB241_1624
; %bb.1608:
	v_cmp_eq_u16_e32 vcc_lo, 46, v9
	s_mov_b32 s11, 0
	s_cbranch_vccz .LBB241_1669
; %bb.1609:
	global_load_b32 v12, v[5:6], off
	s_mov_b32 s0, 0
	s_mov_b32 s10, -1
	s_waitcnt vmcnt(0)
	v_lshlrev_b32_e32 v13, 16, v12
	v_and_b32_e32 v12, 0xffff0000, v12
	s_delay_alu instid0(VALU_DEP_2) | instskip(NEXT) | instid1(VALU_DEP_2)
	v_cvt_f16_f32_e32 v14, v13
	v_cvt_f16_f32_e32 v12, v12
	s_branch .LBB241_1671
.LBB241_1610:
                                        ; implicit-def: $vgpr12
                                        ; implicit-def: $vgpr14
	s_cbranch_execz .LBB241_1740
; %bb.1611:
	v_cmp_gt_i16_e32 vcc_lo, 5, v9
	s_cbranch_vccnz .LBB241_1617
; %bb.1612:
	v_cmp_gt_i16_e32 vcc_lo, 8, v9
	s_cbranch_vccnz .LBB241_1619
; %bb.1613:
	v_cmp_gt_i16_e32 vcc_lo, 9, v9
	s_cbranch_vccnz .LBB241_1621
; %bb.1614:
	v_cmp_lt_i16_e32 vcc_lo, 9, v9
	s_cbranch_vccz .LBB241_1625
; %bb.1615:
	global_load_b128 v[12:15], v[5:6], off
	s_mov_b32 s0, 0
	s_waitcnt vmcnt(0)
	v_cvt_f32_f64_e32 v12, v[12:13]
	v_cvt_f32_f64_e32 v13, v[14:15]
	s_delay_alu instid0(VALU_DEP_2) | instskip(NEXT) | instid1(VALU_DEP_2)
	v_cvt_f16_f32_e32 v14, v12
	v_cvt_f16_f32_e32 v12, v13
	s_branch .LBB241_1626
.LBB241_1616:
	s_mov_b32 s11, -1
	s_mov_b32 s0, 0
                                        ; implicit-def: $vgpr12
                                        ; implicit-def: $vgpr14
	s_branch .LBB241_1704
.LBB241_1617:
	s_mov_b32 s0, -1
                                        ; implicit-def: $vgpr12
                                        ; implicit-def: $vgpr14
	s_branch .LBB241_1645
.LBB241_1618:
	s_mov_b32 s11, -1
	s_mov_b32 s0, 0
                                        ; implicit-def: $vgpr12
                                        ; implicit-def: $vgpr14
	s_branch .LBB241_1683
.LBB241_1619:
	s_mov_b32 s0, -1
                                        ; implicit-def: $vgpr12
                                        ; implicit-def: $vgpr14
	s_branch .LBB241_1632
.LBB241_1620:
	s_mov_b32 s11, -1
	s_mov_b32 s0, 0
                                        ; implicit-def: $vgpr12
                                        ; implicit-def: $vgpr14
	s_branch .LBB241_1677
.LBB241_1621:
	s_mov_b32 s0, -1
                                        ; implicit-def: $vgpr12
                                        ; implicit-def: $vgpr14
	s_branch .LBB241_1629
.LBB241_1622:
	s_cbranch_execnz .LBB241_1667
; %bb.1623:
	s_or_b32 s2, s2, exec_lo
                                        ; implicit-def: $vgpr11
                                        ; implicit-def: $vgpr12
	s_cbranch_execz .LBB241_1570
	s_branch .LBB241_1571
.LBB241_1624:
	s_mov_b32 s11, -1
	s_mov_b32 s0, 0
	s_branch .LBB241_1670
.LBB241_1625:
	s_mov_b32 s0, -1
                                        ; implicit-def: $vgpr12
                                        ; implicit-def: $vgpr14
.LBB241_1626:
	s_delay_alu instid0(SALU_CYCLE_1)
	s_and_not1_b32 vcc_lo, exec_lo, s0
	s_cbranch_vccnz .LBB241_1628
; %bb.1627:
	global_load_b64 v[12:13], v[5:6], off
	s_waitcnt vmcnt(0)
	v_cvt_f16_f32_e32 v14, v12
	v_cvt_f16_f32_e32 v12, v13
.LBB241_1628:
	s_mov_b32 s0, 0
.LBB241_1629:
	s_delay_alu instid0(SALU_CYCLE_1)
	s_and_not1_b32 vcc_lo, exec_lo, s0
	s_cbranch_vccnz .LBB241_1631
; %bb.1630:
	global_load_b32 v14, v[5:6], off
	s_waitcnt vmcnt(0)
	v_lshrrev_b32_e32 v12, 16, v14
.LBB241_1631:
	s_mov_b32 s0, 0
.LBB241_1632:
	s_delay_alu instid0(SALU_CYCLE_1)
	s_and_not1_b32 vcc_lo, exec_lo, s0
	s_cbranch_vccnz .LBB241_1644
; %bb.1633:
	v_cmp_gt_i16_e32 vcc_lo, 6, v9
	s_cbranch_vccnz .LBB241_1636
; %bb.1634:
	v_cmp_lt_i16_e32 vcc_lo, 6, v9
	s_cbranch_vccz .LBB241_1637
; %bb.1635:
	global_load_b64 v[12:13], v[5:6], off
	s_mov_b32 s1, 0
	s_mov_b32 s0, 0
	s_waitcnt vmcnt(0)
	v_cvt_f32_f64_e32 v12, v[12:13]
	s_delay_alu instid0(VALU_DEP_1)
	v_cvt_f16_f32_e32 v14, v12
	s_branch .LBB241_1638
.LBB241_1636:
	s_mov_b32 s1, -1
                                        ; implicit-def: $sgpr0
                                        ; implicit-def: $vgpr14
	s_branch .LBB241_1641
.LBB241_1637:
	s_mov_b32 s1, -1
                                        ; implicit-def: $sgpr0
                                        ; implicit-def: $vgpr14
.LBB241_1638:
	s_delay_alu instid0(SALU_CYCLE_1)
	s_and_not1_b32 vcc_lo, exec_lo, s1
	s_cbranch_vccnz .LBB241_1640
; %bb.1639:
	global_load_b32 v12, v[5:6], off
	s_mov_b32 s0, 0
	s_waitcnt vmcnt(0)
	v_cvt_f16_f32_e32 v14, v12
.LBB241_1640:
	s_mov_b32 s1, 0
.LBB241_1641:
	s_delay_alu instid0(SALU_CYCLE_1)
	s_and_not1_b32 vcc_lo, exec_lo, s1
	s_cbranch_vccnz .LBB241_1643
; %bb.1642:
	global_load_u16 v14, v[5:6], off
	s_mov_b32 s0, 0
.LBB241_1643:
	s_delay_alu instid0(SALU_CYCLE_1)
	v_mov_b32_e32 v12, s0
.LBB241_1644:
	s_mov_b32 s0, 0
.LBB241_1645:
	s_delay_alu instid0(SALU_CYCLE_1)
	s_and_not1_b32 vcc_lo, exec_lo, s0
	s_cbranch_vccnz .LBB241_1666
; %bb.1646:
	v_cmp_gt_i16_e32 vcc_lo, 2, v9
	s_cbranch_vccnz .LBB241_1650
; %bb.1647:
	v_cmp_gt_i16_e32 vcc_lo, 3, v9
	s_cbranch_vccnz .LBB241_1651
; %bb.1648:
	v_cmp_lt_i16_e32 vcc_lo, 3, v9
	s_cbranch_vccz .LBB241_1652
; %bb.1649:
	global_load_b64 v[12:13], v[5:6], off
	s_mov_b32 s1, 0
	s_mov_b32 s0, 0
	s_waitcnt vmcnt(0)
	v_xor_b32_e32 v14, v12, v13
	v_cls_i32_e32 v15, v13
	s_delay_alu instid0(VALU_DEP_2) | instskip(NEXT) | instid1(VALU_DEP_2)
	v_ashrrev_i32_e32 v14, 31, v14
	v_add_nc_u32_e32 v15, -1, v15
	s_delay_alu instid0(VALU_DEP_2) | instskip(NEXT) | instid1(VALU_DEP_1)
	v_add_nc_u32_e32 v14, 32, v14
	v_min_u32_e32 v14, v15, v14
	s_delay_alu instid0(VALU_DEP_1) | instskip(NEXT) | instid1(VALU_DEP_1)
	v_lshlrev_b64 v[12:13], v14, v[12:13]
	v_min_u32_e32 v12, 1, v12
	s_delay_alu instid0(VALU_DEP_1) | instskip(SKIP_1) | instid1(VALU_DEP_2)
	v_or_b32_e32 v12, v13, v12
	v_sub_nc_u32_e32 v13, 32, v14
	v_cvt_f32_i32_e32 v12, v12
	s_delay_alu instid0(VALU_DEP_1) | instskip(NEXT) | instid1(VALU_DEP_1)
	v_ldexp_f32 v12, v12, v13
	v_cvt_f16_f32_e32 v14, v12
	s_branch .LBB241_1653
.LBB241_1650:
	s_mov_b32 s1, -1
                                        ; implicit-def: $sgpr0
                                        ; implicit-def: $vgpr14
	s_branch .LBB241_1659
.LBB241_1651:
	s_mov_b32 s1, -1
                                        ; implicit-def: $sgpr0
                                        ; implicit-def: $vgpr14
	s_branch .LBB241_1656
.LBB241_1652:
	s_mov_b32 s1, -1
                                        ; implicit-def: $sgpr0
                                        ; implicit-def: $vgpr14
.LBB241_1653:
	s_delay_alu instid0(SALU_CYCLE_1)
	s_and_not1_b32 vcc_lo, exec_lo, s1
	s_cbranch_vccnz .LBB241_1655
; %bb.1654:
	global_load_b32 v12, v[5:6], off
	s_mov_b32 s0, 0
	s_waitcnt vmcnt(0)
	v_cvt_f32_i32_e32 v12, v12
	s_delay_alu instid0(VALU_DEP_1)
	v_cvt_f16_f32_e32 v14, v12
.LBB241_1655:
	s_mov_b32 s1, 0
.LBB241_1656:
	s_delay_alu instid0(SALU_CYCLE_1)
	s_and_not1_b32 vcc_lo, exec_lo, s1
	s_cbranch_vccnz .LBB241_1658
; %bb.1657:
	global_load_u16 v12, v[5:6], off
	s_mov_b32 s0, 0
	s_waitcnt vmcnt(0)
	v_cvt_f16_i16_e32 v14, v12
.LBB241_1658:
	s_mov_b32 s1, 0
.LBB241_1659:
	s_delay_alu instid0(SALU_CYCLE_1)
	s_and_not1_b32 vcc_lo, exec_lo, s1
	s_cbranch_vccnz .LBB241_1665
; %bb.1660:
	v_cmp_lt_i16_e32 vcc_lo, 0, v9
	s_mov_b32 s1, 0
	s_cbranch_vccz .LBB241_1662
; %bb.1661:
	global_load_i8 v12, v[5:6], off
	s_mov_b32 s0, 0
	s_waitcnt vmcnt(0)
	v_cvt_f16_i16_e32 v14, v12
	s_branch .LBB241_1663
.LBB241_1662:
	s_mov_b32 s1, -1
                                        ; implicit-def: $sgpr0
                                        ; implicit-def: $vgpr14
.LBB241_1663:
	s_delay_alu instid0(SALU_CYCLE_1)
	s_and_not1_b32 vcc_lo, exec_lo, s1
	s_cbranch_vccnz .LBB241_1665
; %bb.1664:
	global_load_u8 v5, v[5:6], off
	s_mov_b32 s0, 0
	s_waitcnt vmcnt(0)
	v_cvt_f16_u16_e32 v14, v5
.LBB241_1665:
	v_mov_b32_e32 v12, s0
.LBB241_1666:
	s_branch .LBB241_1741
.LBB241_1667:
	s_trap 2
	s_sendmsg_rtn_b32 s0, sendmsg(MSG_RTN_GET_DOORBELL)
	s_mov_b32 ttmp2, m0
	s_waitcnt lgkmcnt(0)
	s_and_b32 s0, s0, 0x3ff
	s_delay_alu instid0(SALU_CYCLE_1) | instskip(NEXT) | instid1(SALU_CYCLE_1)
	s_bitset1_b32 s0, 10
	s_mov_b32 m0, s0
	s_sendmsg sendmsg(MSG_INTERRUPT)
	s_mov_b32 m0, ttmp2
.LBB241_1668:                           ; =>This Inner Loop Header: Depth=1
	s_sethalt 5
	s_branch .LBB241_1668
.LBB241_1669:
	s_mov_b32 s0, -1
.LBB241_1670:
                                        ; implicit-def: $vgpr12
                                        ; implicit-def: $vgpr14
.LBB241_1671:
	s_and_b32 vcc_lo, exec_lo, s11
	s_cbranch_vccz .LBB241_1676
; %bb.1672:
	v_cmp_eq_u16_e32 vcc_lo, 44, v9
	s_cbranch_vccz .LBB241_1674
; %bb.1673:
	global_load_u8 v12, v[5:6], off
	s_mov_b32 s0, 0
	s_mov_b32 s10, -1
	s_waitcnt vmcnt(0)
	v_lshlrev_b32_e32 v13, 23, v12
	v_cmp_ne_u32_e32 vcc_lo, 0xff, v12
	s_delay_alu instid0(VALU_DEP_2) | instskip(NEXT) | instid1(VALU_DEP_1)
	v_cvt_f16_f32_e32 v13, v13
	v_cndmask_b32_e32 v13, 0x7e00, v13, vcc_lo
	v_cmp_ne_u32_e32 vcc_lo, 0, v12
	s_delay_alu instid0(VALU_DEP_2)
	v_cndmask_b32_e32 v14, 0, v13, vcc_lo
	s_branch .LBB241_1675
.LBB241_1674:
	s_mov_b32 s0, -1
                                        ; implicit-def: $vgpr14
.LBB241_1675:
	s_delay_alu instid0(SALU_CYCLE_1)
	v_mov_b32_e32 v12, s0
.LBB241_1676:
	s_mov_b32 s11, 0
.LBB241_1677:
	s_delay_alu instid0(SALU_CYCLE_1)
	s_and_b32 vcc_lo, exec_lo, s11
	s_cbranch_vccz .LBB241_1682
; %bb.1678:
	v_cmp_eq_u16_e32 vcc_lo, 29, v9
	s_cbranch_vccz .LBB241_1680
; %bb.1679:
	global_load_b64 v[12:13], v[5:6], off
	s_mov_b32 s0, 0
	s_mov_b32 s10, -1
	s_mov_b32 s11, 0
	s_waitcnt vmcnt(0)
	v_clz_i32_u32_e32 v14, v13
	s_delay_alu instid0(VALU_DEP_1) | instskip(NEXT) | instid1(VALU_DEP_1)
	v_min_u32_e32 v14, 32, v14
	v_lshlrev_b64 v[12:13], v14, v[12:13]
	s_delay_alu instid0(VALU_DEP_1) | instskip(NEXT) | instid1(VALU_DEP_1)
	v_min_u32_e32 v12, 1, v12
	v_or_b32_e32 v12, v13, v12
	v_sub_nc_u32_e32 v13, 32, v14
	s_delay_alu instid0(VALU_DEP_2) | instskip(NEXT) | instid1(VALU_DEP_1)
	v_cvt_f32_u32_e32 v12, v12
	v_ldexp_f32 v12, v12, v13
	s_delay_alu instid0(VALU_DEP_1)
	v_cvt_f16_f32_e32 v14, v12
	s_branch .LBB241_1681
.LBB241_1680:
	s_mov_b32 s0, -1
                                        ; implicit-def: $sgpr11
                                        ; implicit-def: $vgpr14
.LBB241_1681:
	v_mov_b32_e32 v12, s11
.LBB241_1682:
	s_mov_b32 s11, 0
.LBB241_1683:
	s_delay_alu instid0(SALU_CYCLE_1)
	s_and_b32 vcc_lo, exec_lo, s11
	s_cbranch_vccz .LBB241_1703
; %bb.1684:
	v_cmp_gt_i16_e32 vcc_lo, 27, v9
	s_cbranch_vccnz .LBB241_1687
; %bb.1685:
	v_cmp_lt_i16_e32 vcc_lo, 27, v9
	s_cbranch_vccz .LBB241_1688
; %bb.1686:
	global_load_b32 v12, v[5:6], off
	s_mov_b32 s11, 0
	s_mov_b32 s10, 0
	s_waitcnt vmcnt(0)
	v_cvt_f32_u32_e32 v12, v12
	s_delay_alu instid0(VALU_DEP_1)
	v_cvt_f16_f32_e32 v14, v12
	s_branch .LBB241_1689
.LBB241_1687:
	s_mov_b32 s11, -1
                                        ; implicit-def: $sgpr10
                                        ; implicit-def: $vgpr14
	s_branch .LBB241_1692
.LBB241_1688:
	s_mov_b32 s11, -1
                                        ; implicit-def: $sgpr10
                                        ; implicit-def: $vgpr14
.LBB241_1689:
	s_delay_alu instid0(SALU_CYCLE_1)
	s_and_not1_b32 vcc_lo, exec_lo, s11
	s_cbranch_vccnz .LBB241_1691
; %bb.1690:
	global_load_u16 v12, v[5:6], off
	s_mov_b32 s10, 0
	s_waitcnt vmcnt(0)
	v_cvt_f16_u16_e32 v14, v12
.LBB241_1691:
	s_mov_b32 s11, 0
.LBB241_1692:
	v_mov_b32_e32 v12, s10
	s_and_not1_b32 vcc_lo, exec_lo, s11
	s_cbranch_vccnz .LBB241_1702
; %bb.1693:
	global_load_u8 v13, v[5:6], off
	s_mov_b32 s10, 0
	s_mov_b32 s13, exec_lo
                                        ; implicit-def: $sgpr12
                                        ; implicit-def: $sgpr11
	s_waitcnt vmcnt(0)
	v_cmpx_lt_i16_e32 0x7f, v13
	s_xor_b32 s13, exec_lo, s13
	s_cbranch_execz .LBB241_1697
; %bb.1694:
	s_mov_b32 s10, -1
	s_mov_b32 s14, exec_lo
                                        ; implicit-def: $sgpr12
                                        ; implicit-def: $sgpr11
	v_cmpx_eq_u16_e32 0x80, v13
; %bb.1695:
	s_movk_i32 s11, 0x7e00
	s_mov_b32 s12, 0
	s_xor_b32 s10, exec_lo, -1
; %bb.1696:
	s_or_b32 exec_lo, exec_lo, s14
	s_delay_alu instid0(SALU_CYCLE_1)
	s_and_b32 s10, s10, exec_lo
.LBB241_1697:
	s_or_saveexec_b32 s13, s13
	v_mov_b32_e32 v12, s12
	v_mov_b32_e32 v14, s11
	s_xor_b32 exec_lo, exec_lo, s13
; %bb.1698:
	v_cmp_ne_u16_e32 vcc_lo, 0, v13
	v_mov_b32_e32 v12, 0
	v_mov_b32_e32 v14, v13
	s_and_not1_b32 s10, s10, exec_lo
	s_and_b32 s11, vcc_lo, exec_lo
	s_delay_alu instid0(SALU_CYCLE_1)
	s_or_b32 s10, s10, s11
; %bb.1699:
	s_or_b32 exec_lo, exec_lo, s13
	s_and_saveexec_b32 s11, s10
	s_cbranch_execz .LBB241_1701
; %bb.1700:
	v_and_b32_e32 v12, 0xffff, v13
	s_delay_alu instid0(VALU_DEP_1) | instskip(NEXT) | instid1(VALU_DEP_1)
	v_and_b32_e32 v14, 7, v12
	v_clz_i32_u32_e32 v15, v14
	s_delay_alu instid0(VALU_DEP_1) | instskip(NEXT) | instid1(VALU_DEP_1)
	v_min_u32_e32 v15, 32, v15
	v_subrev_nc_u32_e32 v16, 28, v15
	v_sub_nc_u32_e32 v15, 29, v15
	s_delay_alu instid0(VALU_DEP_2) | instskip(SKIP_1) | instid1(VALU_DEP_2)
	v_lshlrev_b32_e32 v16, v16, v12
	v_bfe_u32 v12, v12, 3, 4
	v_and_b32_e32 v16, 7, v16
	s_delay_alu instid0(VALU_DEP_2) | instskip(SKIP_1) | instid1(VALU_DEP_1)
	v_cmp_eq_u32_e32 vcc_lo, 0, v12
	v_dual_cndmask_b32 v12, v12, v15 :: v_dual_lshlrev_b32 v13, 24, v13
	v_dual_cndmask_b32 v14, v14, v16 :: v_dual_and_b32 v13, 0x80000000, v13
	s_delay_alu instid0(VALU_DEP_2) | instskip(NEXT) | instid1(VALU_DEP_2)
	v_lshl_add_u32 v12, v12, 23, 0x3b800000
	v_lshlrev_b32_e32 v14, 20, v14
	s_delay_alu instid0(VALU_DEP_1) | instskip(NEXT) | instid1(VALU_DEP_1)
	v_or3_b32 v12, v13, v12, v14
	v_cvt_f16_f32_e32 v14, v12
	v_mov_b32_e32 v12, 0
.LBB241_1701:
	s_or_b32 exec_lo, exec_lo, s11
.LBB241_1702:
	s_mov_b32 s10, -1
.LBB241_1703:
	s_mov_b32 s11, 0
.LBB241_1704:
	s_delay_alu instid0(SALU_CYCLE_1)
	s_and_b32 vcc_lo, exec_lo, s11
	s_cbranch_vccz .LBB241_1736
; %bb.1705:
	v_cmp_lt_i16_e32 vcc_lo, 22, v9
	s_cbranch_vccz .LBB241_1717
; %bb.1706:
	v_cmp_gt_i16_e32 vcc_lo, 24, v9
	s_cbranch_vccnz .LBB241_1718
; %bb.1707:
	v_cmp_lt_i16_e32 vcc_lo, 24, v9
	s_cbranch_vccz .LBB241_1719
; %bb.1708:
	global_load_u8 v13, v[5:6], off
	s_mov_b32 s12, exec_lo
                                        ; implicit-def: $sgpr11
                                        ; implicit-def: $sgpr10
	s_waitcnt vmcnt(0)
	v_cmpx_lt_i16_e32 0x7f, v13
	s_xor_b32 s12, exec_lo, s12
	s_cbranch_execz .LBB241_1712
; %bb.1709:
	s_mov_b32 s1, -1
	s_mov_b32 s13, exec_lo
                                        ; implicit-def: $sgpr11
                                        ; implicit-def: $sgpr10
	v_cmpx_eq_u16_e32 0x80, v13
; %bb.1710:
	s_movk_i32 s10, 0x7e00
	s_mov_b32 s11, 0
	s_xor_b32 s1, exec_lo, -1
; %bb.1711:
	s_or_b32 exec_lo, exec_lo, s13
	s_delay_alu instid0(SALU_CYCLE_1)
	s_and_b32 s1, s1, exec_lo
.LBB241_1712:
	s_or_saveexec_b32 s12, s12
	v_mov_b32_e32 v12, s11
	v_mov_b32_e32 v14, s10
	s_xor_b32 exec_lo, exec_lo, s12
; %bb.1713:
	v_cmp_ne_u16_e32 vcc_lo, 0, v13
	v_mov_b32_e32 v12, 0
	v_mov_b32_e32 v14, v13
	s_and_not1_b32 s1, s1, exec_lo
	s_and_b32 s10, vcc_lo, exec_lo
	s_delay_alu instid0(SALU_CYCLE_1)
	s_or_b32 s1, s1, s10
; %bb.1714:
	s_or_b32 exec_lo, exec_lo, s12
	s_and_saveexec_b32 s10, s1
	s_cbranch_execz .LBB241_1716
; %bb.1715:
	v_and_b32_e32 v12, 0xffff, v13
	s_delay_alu instid0(VALU_DEP_1) | instskip(NEXT) | instid1(VALU_DEP_1)
	v_and_b32_e32 v14, 3, v12
	v_clz_i32_u32_e32 v15, v14
	s_delay_alu instid0(VALU_DEP_1) | instskip(NEXT) | instid1(VALU_DEP_1)
	v_min_u32_e32 v15, 32, v15
	v_subrev_nc_u32_e32 v16, 29, v15
	v_sub_nc_u32_e32 v15, 30, v15
	s_delay_alu instid0(VALU_DEP_2) | instskip(SKIP_1) | instid1(VALU_DEP_2)
	v_lshlrev_b32_e32 v16, v16, v12
	v_bfe_u32 v12, v12, 2, 5
	v_and_b32_e32 v16, 3, v16
	s_delay_alu instid0(VALU_DEP_2) | instskip(SKIP_1) | instid1(VALU_DEP_1)
	v_cmp_eq_u32_e32 vcc_lo, 0, v12
	v_dual_cndmask_b32 v12, v12, v15 :: v_dual_lshlrev_b32 v13, 24, v13
	v_dual_cndmask_b32 v14, v14, v16 :: v_dual_and_b32 v13, 0x80000000, v13
	s_delay_alu instid0(VALU_DEP_2) | instskip(NEXT) | instid1(VALU_DEP_2)
	v_lshl_add_u32 v12, v12, 23, 0x37800000
	v_lshlrev_b32_e32 v14, 21, v14
	s_delay_alu instid0(VALU_DEP_1) | instskip(NEXT) | instid1(VALU_DEP_1)
	v_or3_b32 v12, v13, v12, v14
	v_cvt_f16_f32_e32 v14, v12
	v_mov_b32_e32 v12, 0
.LBB241_1716:
	s_or_b32 exec_lo, exec_lo, s10
	s_mov_b32 s1, 0
	s_branch .LBB241_1720
.LBB241_1717:
	s_mov_b32 s1, -1
                                        ; implicit-def: $vgpr12
                                        ; implicit-def: $vgpr14
	s_branch .LBB241_1726
.LBB241_1718:
	s_mov_b32 s1, -1
                                        ; implicit-def: $vgpr12
                                        ; implicit-def: $vgpr14
	s_branch .LBB241_1723
.LBB241_1719:
	s_mov_b32 s1, -1
                                        ; implicit-def: $vgpr12
                                        ; implicit-def: $vgpr14
.LBB241_1720:
	s_delay_alu instid0(SALU_CYCLE_1)
	s_and_b32 vcc_lo, exec_lo, s1
	s_cbranch_vccz .LBB241_1722
; %bb.1721:
	global_load_u8 v12, v[5:6], off
	s_waitcnt vmcnt(0)
	v_lshlrev_b32_e32 v12, 24, v12
	s_delay_alu instid0(VALU_DEP_1) | instskip(NEXT) | instid1(VALU_DEP_1)
	v_and_b32_e32 v13, 0x7f000000, v12
	v_clz_i32_u32_e32 v14, v13
	v_add_nc_u32_e32 v16, 0x1000000, v13
	v_cmp_ne_u32_e32 vcc_lo, 0, v13
	s_delay_alu instid0(VALU_DEP_3) | instskip(NEXT) | instid1(VALU_DEP_1)
	v_min_u32_e32 v14, 32, v14
	v_sub_nc_u32_e64 v14, v14, 4 clamp
	s_delay_alu instid0(VALU_DEP_1) | instskip(SKIP_1) | instid1(VALU_DEP_2)
	v_lshlrev_b32_e32 v15, v14, v13
	v_lshlrev_b32_e32 v14, 23, v14
	v_lshrrev_b32_e32 v15, 4, v15
	s_delay_alu instid0(VALU_DEP_1) | instskip(SKIP_1) | instid1(VALU_DEP_2)
	v_sub_nc_u32_e32 v14, v15, v14
	v_ashrrev_i32_e32 v15, 8, v16
	v_add_nc_u32_e32 v14, 0x3c000000, v14
	s_delay_alu instid0(VALU_DEP_1) | instskip(NEXT) | instid1(VALU_DEP_1)
	v_and_or_b32 v14, 0x7f800000, v15, v14
	v_cndmask_b32_e32 v13, 0, v14, vcc_lo
	s_delay_alu instid0(VALU_DEP_1) | instskip(NEXT) | instid1(VALU_DEP_1)
	v_and_or_b32 v12, 0x80000000, v12, v13
	v_cvt_f16_f32_e32 v14, v12
	v_mov_b32_e32 v12, 0
.LBB241_1722:
	s_mov_b32 s1, 0
.LBB241_1723:
	s_delay_alu instid0(SALU_CYCLE_1)
	s_and_not1_b32 vcc_lo, exec_lo, s1
	s_cbranch_vccnz .LBB241_1725
; %bb.1724:
	global_load_u8 v12, v[5:6], off
	s_waitcnt vmcnt(0)
	v_lshlrev_b32_e32 v13, 25, v12
	v_lshlrev_b16 v12, 8, v12
	s_delay_alu instid0(VALU_DEP_2) | instskip(NEXT) | instid1(VALU_DEP_2)
	v_lshrrev_b32_e32 v14, 4, v13
	v_and_or_b32 v15, 0x7f00, v12, 0.5
	v_bfe_i32 v12, v12, 0, 16
	s_delay_alu instid0(VALU_DEP_3) | instskip(NEXT) | instid1(VALU_DEP_1)
	v_or_b32_e32 v14, 0x70000000, v14
	v_dual_add_f32 v15, -0.5, v15 :: v_dual_mul_f32 v14, 0x7800000, v14
	v_cmp_gt_u32_e32 vcc_lo, 0x8000000, v13
	s_delay_alu instid0(VALU_DEP_2) | instskip(NEXT) | instid1(VALU_DEP_1)
	v_cndmask_b32_e32 v13, v14, v15, vcc_lo
	v_and_or_b32 v12, 0x80000000, v12, v13
	s_delay_alu instid0(VALU_DEP_1)
	v_cvt_f16_f32_e32 v14, v12
	v_mov_b32_e32 v12, 0
.LBB241_1725:
	s_mov_b32 s1, 0
	s_mov_b32 s10, -1
.LBB241_1726:
	s_and_not1_b32 vcc_lo, exec_lo, s1
	s_mov_b32 s1, 0
	s_cbranch_vccnz .LBB241_1736
; %bb.1727:
	v_cmp_lt_i16_e32 vcc_lo, 14, v9
	s_cbranch_vccz .LBB241_1730
; %bb.1728:
	v_cmp_eq_u16_e32 vcc_lo, 15, v9
	s_cbranch_vccz .LBB241_1731
; %bb.1729:
	global_load_u16 v12, v[5:6], off
	s_mov_b32 s0, 0
	s_mov_b32 s10, -1
	s_mov_b32 s11, 0
	s_waitcnt vmcnt(0)
	v_lshlrev_b32_e32 v12, 16, v12
	s_delay_alu instid0(VALU_DEP_1)
	v_cvt_f16_f32_e32 v14, v12
	s_branch .LBB241_1733
.LBB241_1730:
	s_mov_b32 s1, -1
	s_branch .LBB241_1732
.LBB241_1731:
	s_mov_b32 s0, -1
.LBB241_1732:
                                        ; implicit-def: $sgpr11
                                        ; implicit-def: $vgpr14
.LBB241_1733:
	s_and_b32 vcc_lo, exec_lo, s1
	s_mov_b32 s1, 0
	s_cbranch_vccz .LBB241_1735
; %bb.1734:
	v_cmp_ne_u16_e64 s0, 11, v9
	s_mov_b32 s1, -1
                                        ; implicit-def: $sgpr11
                                        ; implicit-def: $vgpr14
.LBB241_1735:
	v_mov_b32_e32 v12, s11
.LBB241_1736:
	s_delay_alu instid0(VALU_DEP_2)
	s_and_b32 vcc_lo, exec_lo, s0
	s_cbranch_vccnz .LBB241_1782
; %bb.1737:
	s_and_not1_b32 vcc_lo, exec_lo, s1
	s_cbranch_vccnz .LBB241_1739
.LBB241_1738:
	global_load_u8 v12, v[5:6], off
	s_mov_b32 s10, -1
	s_waitcnt vmcnt(0)
	v_cmp_ne_u16_e32 vcc_lo, 0, v12
	v_mov_b32_e32 v12, 0
	v_cndmask_b32_e64 v14, 0, 0x3c00, vcc_lo
.LBB241_1739:
.LBB241_1740:
	s_and_not1_b32 vcc_lo, exec_lo, s10
	s_cbranch_vccnz .LBB241_2371
.LBB241_1741:
	s_waitcnt vmcnt(0)
	s_delay_alu instid0(VALU_DEP_1) | instskip(NEXT) | instid1(VALU_DEP_2)
	v_cmp_neq_f16_e32 vcc_lo, 0, v14
	v_cmp_neq_f16_e64 s0, 0, v12
	v_cvt_f32_f16_e32 v12, v12
	v_mov_b32_e32 v13, 0
	s_delay_alu instid0(VALU_DEP_3) | instskip(NEXT) | instid1(SALU_CYCLE_1)
	s_or_b32 s0, vcc_lo, s0
	s_and_saveexec_b32 s10, s0
	s_cbranch_execz .LBB241_1771
; %bb.1742:
	v_mov_b32_e32 v13, 0x7f800000
	s_mov_b32 s11, exec_lo
	v_cmpx_neq_f32_e64 0x7f800000, |v12|
	s_cbranch_execz .LBB241_1770
; %bb.1743:
	v_cvt_f32_f16_e32 v13, v14
	s_mov_b32 s0, exec_lo
	v_cmpx_o_f16_e32 v14, v14
	s_xor_b32 s12, exec_lo, s0
	s_cbranch_execz .LBB241_1767
; %bb.1744:
	s_mov_b32 s1, exec_lo
	v_cmpx_neq_f32_e64 0x7f800000, |v13|
	s_xor_b32 s13, exec_lo, s1
	s_cbranch_execz .LBB241_1760
; %bb.1745:
	v_max_f32_e64 v5, |v12|, |v12|
	v_max_f32_e64 v6, |v13|, |v13|
                                        ; implicit-def: $sgpr14
	s_delay_alu instid0(VALU_DEP_1) | instskip(NEXT) | instid1(VALU_DEP_1)
	v_max_f32_e32 v5, v6, v5
	v_cmp_nle_f32_e64 s0, 0x7ed413cb, v5
	s_delay_alu instid0(VALU_DEP_1) | instskip(NEXT) | instid1(SALU_CYCLE_1)
	s_and_saveexec_b32 s1, s0
	s_xor_b32 s1, exec_lo, s1
	s_cbranch_execz .LBB241_1749
; %bb.1746:
	v_cmp_ge_f32_e64 s14, 0x1000000, |v13|
	v_cmp_ge_f32_e64 s15, 0x1000000, |v12|
	s_delay_alu instid0(VALU_DEP_1)
	s_and_b32 s16, s14, s15
	s_mov_b32 s14, 0
	s_and_saveexec_b32 s15, s16
; %bb.1747:
	v_dual_mul_f32 v13, 4.0, v13 :: v_dual_mul_f32 v12, 4.0, v12
	s_mov_b32 s14, exec_lo
; %bb.1748:
	s_or_b32 exec_lo, exec_lo, s15
	s_delay_alu instid0(SALU_CYCLE_1)
	s_and_b32 s14, s14, exec_lo
.LBB241_1749:
	s_and_not1_saveexec_b32 s1, s1
; %bb.1750:
	v_dual_mul_f32 v13, 0x3e800000, v13 :: v_dual_mul_f32 v12, 0x3e800000, v12
	s_and_not1_b32 s14, s14, exec_lo
; %bb.1751:
	s_or_b32 exec_lo, exec_lo, s1
	s_delay_alu instid0(VALU_DEP_1) | instskip(NEXT) | instid1(VALU_DEP_2)
	v_max_f32_e64 v5, |v12|, |v12|
	v_max_f32_e64 v6, |v13|, |v13|
	s_delay_alu instid0(VALU_DEP_1) | instskip(NEXT) | instid1(VALU_DEP_1)
	v_max_f32_e32 v14, v6, v5
	v_cvt_f64_f32_e32 v[5:6], v14
	s_delay_alu instid0(VALU_DEP_1) | instskip(NEXT) | instid1(VALU_DEP_1)
	v_frexp_exp_i32_f64_e32 v5, v[5:6]
	v_sub_nc_u32_e32 v6, 0, v5
	s_delay_alu instid0(VALU_DEP_1) | instskip(SKIP_1) | instid1(VALU_DEP_2)
	v_ldexp_f32 v15, |v12|, v6
	v_ldexp_f32 v6, |v13|, v6
	v_mul_f32_e32 v15, v15, v15
	v_cmp_neq_f32_e64 s1, 0x7f800000, v14
	s_delay_alu instid0(VALU_DEP_2) | instskip(NEXT) | instid1(VALU_DEP_1)
	v_fmac_f32_e32 v15, v6, v6
	v_sqrt_f32_e32 v6, v15
	s_waitcnt_depctr 0xfff
	v_ldexp_f32 v5, v6, v5
                                        ; implicit-def: $vgpr6
	s_delay_alu instid0(VALU_DEP_1)
	v_cndmask_b32_e64 v14, 0x7f800000, v5, s1
                                        ; implicit-def: $vgpr5
	s_mov_b32 s1, exec_lo
	v_cmpx_le_f32_e32 0, v13
	s_xor_b32 s15, exec_lo, s1
	s_cbranch_execz .LBB241_1753
; %bb.1752:
	v_add_f32_e32 v5, v13, v14
	s_delay_alu instid0(VALU_DEP_1) | instskip(NEXT) | instid1(VALU_DEP_1)
	v_mul_f32_e32 v5, 0.5, v5
	v_mul_f32_e32 v6, 0x4f800000, v5
	v_cmp_gt_f32_e32 vcc_lo, 0xf800000, v5
	s_delay_alu instid0(VALU_DEP_2) | instskip(NEXT) | instid1(VALU_DEP_1)
	v_cndmask_b32_e32 v5, v5, v6, vcc_lo
	v_sqrt_f32_e32 v6, v5
	s_waitcnt_depctr 0xfff
	v_add_nc_u32_e32 v14, 1, v6
	v_add_nc_u32_e32 v13, -1, v6
	s_delay_alu instid0(VALU_DEP_2) | instskip(NEXT) | instid1(VALU_DEP_2)
	v_fma_f32 v16, -v14, v6, v5
	v_fma_f32 v15, -v13, v6, v5
	s_delay_alu instid0(VALU_DEP_1) | instskip(NEXT) | instid1(VALU_DEP_1)
	v_cmp_ge_f32_e64 s1, 0, v15
	v_cndmask_b32_e64 v6, v6, v13, s1
	s_delay_alu instid0(VALU_DEP_4) | instskip(NEXT) | instid1(VALU_DEP_1)
	v_cmp_lt_f32_e64 s1, 0, v16
	v_cndmask_b32_e64 v6, v6, v14, s1
	s_delay_alu instid0(VALU_DEP_1) | instskip(NEXT) | instid1(VALU_DEP_1)
	v_mul_f32_e32 v13, 0x37800000, v6
	v_cndmask_b32_e32 v6, v6, v13, vcc_lo
	v_cmp_class_f32_e64 vcc_lo, v5, 0x260
	s_delay_alu instid0(VALU_DEP_2) | instskip(NEXT) | instid1(VALU_DEP_1)
	v_cndmask_b32_e32 v5, v6, v5, vcc_lo
	v_add_f32_e32 v6, v5, v5
	s_delay_alu instid0(VALU_DEP_1) | instskip(NEXT) | instid1(VALU_DEP_1)
	v_div_scale_f32 v13, null, v6, v6, v12
	v_rcp_f32_e32 v14, v13
	s_waitcnt_depctr 0xfff
	v_fma_f32 v15, -v13, v14, 1.0
	s_delay_alu instid0(VALU_DEP_1) | instskip(SKIP_1) | instid1(VALU_DEP_1)
	v_fmac_f32_e32 v14, v15, v14
	v_div_scale_f32 v15, vcc_lo, v12, v6, v12
	v_mul_f32_e32 v16, v15, v14
	s_delay_alu instid0(VALU_DEP_1) | instskip(NEXT) | instid1(VALU_DEP_1)
	v_fma_f32 v17, -v13, v16, v15
	v_fmac_f32_e32 v16, v17, v14
	s_delay_alu instid0(VALU_DEP_1) | instskip(NEXT) | instid1(VALU_DEP_1)
	v_fma_f32 v13, -v13, v16, v15
	v_div_fmas_f32 v13, v13, v14, v16
                                        ; implicit-def: $vgpr14
	s_delay_alu instid0(VALU_DEP_1)
	v_div_fixup_f32 v6, v13, v6, v12
                                        ; implicit-def: $vgpr13
                                        ; implicit-def: $vgpr12
	s_and_not1_saveexec_b32 s15, s15
	s_cbranch_execz .LBB241_1755
	s_branch .LBB241_1754
.LBB241_1753:
	s_and_not1_saveexec_b32 s15, s15
	s_cbranch_execz .LBB241_1755
.LBB241_1754:
	v_sub_f32_e32 v5, v14, v13
	s_delay_alu instid0(VALU_DEP_1) | instskip(NEXT) | instid1(VALU_DEP_1)
	v_mul_f32_e32 v5, 0.5, v5
	v_mul_f32_e32 v6, 0x4f800000, v5
	v_cmp_gt_f32_e32 vcc_lo, 0xf800000, v5
	s_delay_alu instid0(VALU_DEP_2) | instskip(NEXT) | instid1(VALU_DEP_1)
	v_cndmask_b32_e32 v5, v5, v6, vcc_lo
	v_sqrt_f32_e32 v6, v5
	s_waitcnt_depctr 0xfff
	v_add_nc_u32_e32 v13, -1, v6
	v_add_nc_u32_e32 v14, 1, v6
	s_delay_alu instid0(VALU_DEP_2) | instskip(NEXT) | instid1(VALU_DEP_2)
	v_fma_f32 v15, -v13, v6, v5
	v_fma_f32 v16, -v14, v6, v5
	s_delay_alu instid0(VALU_DEP_2) | instskip(NEXT) | instid1(VALU_DEP_1)
	v_cmp_ge_f32_e64 s1, 0, v15
	v_cndmask_b32_e64 v6, v6, v13, s1
	s_delay_alu instid0(VALU_DEP_3) | instskip(NEXT) | instid1(VALU_DEP_1)
	v_cmp_lt_f32_e64 s1, 0, v16
	v_cndmask_b32_e64 v6, v6, v14, s1
	s_delay_alu instid0(VALU_DEP_1) | instskip(NEXT) | instid1(VALU_DEP_1)
	v_mul_f32_e32 v13, 0x37800000, v6
	v_cndmask_b32_e32 v6, v6, v13, vcc_lo
	v_cmp_class_f32_e64 vcc_lo, v5, 0x260
	s_delay_alu instid0(VALU_DEP_2) | instskip(NEXT) | instid1(VALU_DEP_1)
	v_dual_cndmask_b32 v6, v6, v5 :: v_dual_and_b32 v5, 0x7fffffff, v12
	v_add_f32_e32 v13, v6, v6
	v_bfi_b32 v6, 0x7fffffff, v6, v12
	s_delay_alu instid0(VALU_DEP_2) | instskip(SKIP_1) | instid1(VALU_DEP_2)
	v_div_scale_f32 v14, null, v13, v13, v5
	v_div_scale_f32 v5, vcc_lo, v5, v13, v5
	v_rcp_f32_e32 v15, v14
	s_waitcnt_depctr 0xfff
	v_fma_f32 v16, -v14, v15, 1.0
	s_delay_alu instid0(VALU_DEP_1) | instskip(NEXT) | instid1(VALU_DEP_1)
	v_fmac_f32_e32 v15, v16, v15
	v_mul_f32_e32 v16, v5, v15
	s_delay_alu instid0(VALU_DEP_1) | instskip(NEXT) | instid1(VALU_DEP_1)
	v_fma_f32 v17, -v14, v16, v5
	v_fmac_f32_e32 v16, v17, v15
	s_delay_alu instid0(VALU_DEP_1) | instskip(NEXT) | instid1(VALU_DEP_1)
	v_fma_f32 v5, -v14, v16, v5
	v_div_fmas_f32 v5, v5, v15, v16
	s_delay_alu instid0(VALU_DEP_1)
	v_div_fixup_f32 v5, v5, v13, |v12|
.LBB241_1755:
	s_or_b32 exec_lo, exec_lo, s15
                                        ; implicit-def: $vgpr12
                                        ; implicit-def: $vgpr13
	s_and_saveexec_b32 s1, s0
	s_delay_alu instid0(SALU_CYCLE_1)
	s_xor_b32 s0, exec_lo, s1
	s_cbranch_execz .LBB241_1757
; %bb.1756:
	v_mul_f32_e32 v12, 0.5, v5
	v_mul_f32_e32 v14, 0.5, v6
	s_delay_alu instid0(VALU_DEP_2) | instskip(NEXT) | instid1(VALU_DEP_2)
	v_cndmask_b32_e64 v13, v5, v12, s14
	v_cndmask_b32_e64 v12, v6, v14, s14
                                        ; implicit-def: $vgpr5
                                        ; implicit-def: $vgpr6
	s_and_not1_saveexec_b32 s0, s0
	s_cbranch_execnz .LBB241_1758
	s_branch .LBB241_1759
.LBB241_1757:
	s_and_not1_saveexec_b32 s0, s0
.LBB241_1758:
	v_dual_add_f32 v13, v5, v5 :: v_dual_add_f32 v12, v6, v6
.LBB241_1759:
	s_or_b32 exec_lo, exec_lo, s0
                                        ; implicit-def: $vgpr14
.LBB241_1760:
	s_and_not1_saveexec_b32 s0, s13
	s_cbranch_execz .LBB241_1766
; %bb.1761:
	s_delay_alu instid0(VALU_DEP_1)
	v_sub_f32_e32 v5, v12, v12
	s_mov_b32 s1, exec_lo
	v_cmpx_lt_i16_e32 -1, v14
	s_xor_b32 s1, exec_lo, s1
; %bb.1762:
	s_delay_alu instid0(VALU_DEP_2)
	v_bfi_b32 v12, 0x7fffffff, v5, v12
                                        ; implicit-def: $vgpr5
; %bb.1763:
	s_and_not1_saveexec_b32 s1, s1
; %bb.1764:
	v_and_b32_e32 v5, 0x7fffffff, v5
	s_delay_alu instid0(VALU_DEP_2) | instskip(NEXT) | instid1(VALU_DEP_2)
	v_bfi_b32 v12, 0x7fffffff, v13, v12
	v_mov_b32_e32 v13, v5
; %bb.1765:
	s_or_b32 exec_lo, exec_lo, s1
.LBB241_1766:
	s_delay_alu instid0(SALU_CYCLE_1)
	s_or_b32 exec_lo, exec_lo, s0
.LBB241_1767:
	s_and_not1_saveexec_b32 s0, s12
; %bb.1768:
	v_sub_f32_e32 v5, v12, v12
	s_delay_alu instid0(VALU_DEP_1) | instskip(NEXT) | instid1(VALU_DEP_1)
	v_div_scale_f32 v6, vcc_lo, v5, v5, v5
	v_rcp_f32_e32 v12, v6
	s_waitcnt_depctr 0xfff
	v_fma_f32 v14, -v6, v12, 1.0
	s_delay_alu instid0(VALU_DEP_1) | instskip(NEXT) | instid1(VALU_DEP_1)
	v_fmac_f32_e32 v12, v14, v12
	v_mul_f32_e32 v14, v6, v12
	s_delay_alu instid0(VALU_DEP_1) | instskip(NEXT) | instid1(VALU_DEP_1)
	v_fma_f32 v15, -v6, v14, v6
	v_fmac_f32_e32 v14, v15, v12
	s_delay_alu instid0(VALU_DEP_1) | instskip(NEXT) | instid1(VALU_DEP_1)
	v_fma_f32 v6, -v6, v14, v6
	v_div_fmas_f32 v6, v6, v12, v14
	s_delay_alu instid0(VALU_DEP_1)
	v_div_fixup_f32 v12, v6, v5, v5
; %bb.1769:
	s_or_b32 exec_lo, exec_lo, s0
.LBB241_1770:
	s_delay_alu instid0(SALU_CYCLE_1)
	s_or_b32 exec_lo, exec_lo, s11
.LBB241_1771:
	s_delay_alu instid0(SALU_CYCLE_1) | instskip(SKIP_2) | instid1(VALU_DEP_1)
	s_or_b32 exec_lo, exec_lo, s10
	v_cmp_gt_i16_e32 vcc_lo, 11, v9
	v_add_co_u32 v4, s0, s6, v4
	v_add_co_ci_u32_e64 v5, null, s7, 0, s0
	s_mov_b32 s6, 0
	s_cbranch_vccnz .LBB241_1778
; %bb.1772:
	v_cmp_lt_i16_e32 vcc_lo, 25, v9
	s_mov_b32 s1, 0
	s_cbranch_vccz .LBB241_1779
; %bb.1773:
	v_cmp_lt_i16_e32 vcc_lo, 28, v9
	s_cbranch_vccz .LBB241_1780
; %bb.1774:
	v_cmp_lt_i16_e32 vcc_lo, 43, v9
	s_cbranch_vccz .LBB241_1781
; %bb.1775:
	v_cmp_lt_i16_e32 vcc_lo, 45, v9
	s_cbranch_vccz .LBB241_1784
; %bb.1776:
	v_cmp_eq_u16_e32 vcc_lo, 46, v9
	s_mov_b32 s7, 0
	s_cbranch_vccz .LBB241_1787
; %bb.1777:
	global_load_b32 v6, v[4:5], off
	s_mov_b32 s0, 0
	s_mov_b32 s6, -1
	s_waitcnt vmcnt(0)
	v_lshlrev_b32_e32 v14, 16, v6
	v_and_b32_e32 v15, 0xffff0000, v6
	s_delay_alu instid0(VALU_DEP_2) | instskip(NEXT) | instid1(VALU_DEP_2)
	v_cvt_f16_f32_e32 v6, v14
	v_cvt_f16_f32_e32 v14, v15
	s_branch .LBB241_1789
.LBB241_1778:
	s_mov_b32 s0, -1
                                        ; implicit-def: $vgpr14
                                        ; implicit-def: $vgpr6
	s_branch .LBB241_1858
.LBB241_1779:
	s_mov_b32 s7, -1
	s_mov_b32 s0, 0
                                        ; implicit-def: $vgpr14
                                        ; implicit-def: $vgpr6
	s_branch .LBB241_1822
.LBB241_1780:
	s_mov_b32 s7, -1
	s_mov_b32 s0, 0
                                        ; implicit-def: $vgpr14
                                        ; implicit-def: $vgpr6
	s_branch .LBB241_1801
.LBB241_1781:
	s_mov_b32 s7, -1
	s_mov_b32 s0, 0
                                        ; implicit-def: $vgpr14
                                        ; implicit-def: $vgpr6
	s_branch .LBB241_1795
.LBB241_1782:
	s_cbranch_execnz .LBB241_1785
; %bb.1783:
	s_or_b32 s2, s2, exec_lo
                                        ; implicit-def: $vgpr12
                                        ; implicit-def: $vgpr14
	s_cbranch_execz .LBB241_1738
	s_branch .LBB241_1739
.LBB241_1784:
	s_mov_b32 s7, -1
	s_mov_b32 s0, 0
	s_branch .LBB241_1788
.LBB241_1785:
	s_trap 2
	s_sendmsg_rtn_b32 s0, sendmsg(MSG_RTN_GET_DOORBELL)
	s_mov_b32 ttmp2, m0
	s_waitcnt lgkmcnt(0)
	s_and_b32 s0, s0, 0x3ff
	s_delay_alu instid0(SALU_CYCLE_1) | instskip(NEXT) | instid1(SALU_CYCLE_1)
	s_bitset1_b32 s0, 10
	s_mov_b32 m0, s0
	s_sendmsg sendmsg(MSG_INTERRUPT)
	s_mov_b32 m0, ttmp2
.LBB241_1786:                           ; =>This Inner Loop Header: Depth=1
	s_sethalt 5
	s_branch .LBB241_1786
.LBB241_1787:
	s_mov_b32 s0, -1
.LBB241_1788:
                                        ; implicit-def: $vgpr14
                                        ; implicit-def: $vgpr6
.LBB241_1789:
	s_and_b32 vcc_lo, exec_lo, s7
	s_cbranch_vccz .LBB241_1794
; %bb.1790:
	v_cmp_eq_u16_e32 vcc_lo, 44, v9
	s_cbranch_vccz .LBB241_1792
; %bb.1791:
	global_load_u8 v6, v[4:5], off
	s_mov_b32 s0, 0
	s_mov_b32 s6, -1
	s_waitcnt vmcnt(0)
	v_lshlrev_b32_e32 v14, 23, v6
	v_cmp_ne_u32_e32 vcc_lo, 0xff, v6
	s_delay_alu instid0(VALU_DEP_2) | instskip(NEXT) | instid1(VALU_DEP_1)
	v_cvt_f16_f32_e32 v14, v14
	v_cndmask_b32_e32 v14, 0x7e00, v14, vcc_lo
	v_cmp_ne_u32_e32 vcc_lo, 0, v6
	s_delay_alu instid0(VALU_DEP_2)
	v_cndmask_b32_e32 v6, 0, v14, vcc_lo
	s_branch .LBB241_1793
.LBB241_1792:
	s_mov_b32 s0, -1
                                        ; implicit-def: $vgpr6
.LBB241_1793:
	s_delay_alu instid0(SALU_CYCLE_1)
	v_mov_b32_e32 v14, s0
.LBB241_1794:
	s_mov_b32 s7, 0
.LBB241_1795:
	s_delay_alu instid0(SALU_CYCLE_1)
	s_and_b32 vcc_lo, exec_lo, s7
	s_cbranch_vccz .LBB241_1800
; %bb.1796:
	v_cmp_eq_u16_e32 vcc_lo, 29, v9
	s_cbranch_vccz .LBB241_1798
; %bb.1797:
	global_load_b64 v[14:15], v[4:5], off
	s_mov_b32 s0, 0
	s_mov_b32 s6, -1
	s_mov_b32 s7, 0
	s_waitcnt vmcnt(0)
	v_clz_i32_u32_e32 v6, v15
	s_delay_alu instid0(VALU_DEP_1) | instskip(NEXT) | instid1(VALU_DEP_1)
	v_min_u32_e32 v6, 32, v6
	v_lshlrev_b64 v[14:15], v6, v[14:15]
	v_sub_nc_u32_e32 v6, 32, v6
	s_delay_alu instid0(VALU_DEP_2) | instskip(NEXT) | instid1(VALU_DEP_1)
	v_min_u32_e32 v14, 1, v14
	v_or_b32_e32 v14, v15, v14
	s_delay_alu instid0(VALU_DEP_1) | instskip(NEXT) | instid1(VALU_DEP_1)
	v_cvt_f32_u32_e32 v14, v14
	v_ldexp_f32 v6, v14, v6
	s_delay_alu instid0(VALU_DEP_1)
	v_cvt_f16_f32_e32 v6, v6
	s_branch .LBB241_1799
.LBB241_1798:
	s_mov_b32 s0, -1
                                        ; implicit-def: $sgpr7
                                        ; implicit-def: $vgpr6
.LBB241_1799:
	v_mov_b32_e32 v14, s7
.LBB241_1800:
	s_mov_b32 s7, 0
.LBB241_1801:
	s_delay_alu instid0(SALU_CYCLE_1)
	s_and_b32 vcc_lo, exec_lo, s7
	s_cbranch_vccz .LBB241_1821
; %bb.1802:
	v_cmp_gt_i16_e32 vcc_lo, 27, v9
	s_cbranch_vccnz .LBB241_1805
; %bb.1803:
	v_cmp_lt_i16_e32 vcc_lo, 27, v9
	s_cbranch_vccz .LBB241_1806
; %bb.1804:
	global_load_b32 v6, v[4:5], off
	s_mov_b32 s7, 0
	s_mov_b32 s6, 0
	s_waitcnt vmcnt(0)
	v_cvt_f32_u32_e32 v6, v6
	s_delay_alu instid0(VALU_DEP_1)
	v_cvt_f16_f32_e32 v6, v6
	s_branch .LBB241_1807
.LBB241_1805:
	s_mov_b32 s7, -1
                                        ; implicit-def: $sgpr6
                                        ; implicit-def: $vgpr6
	s_branch .LBB241_1810
.LBB241_1806:
	s_mov_b32 s7, -1
                                        ; implicit-def: $sgpr6
                                        ; implicit-def: $vgpr6
.LBB241_1807:
	s_delay_alu instid0(SALU_CYCLE_1)
	s_and_not1_b32 vcc_lo, exec_lo, s7
	s_cbranch_vccnz .LBB241_1809
; %bb.1808:
	global_load_u16 v6, v[4:5], off
	s_mov_b32 s6, 0
	s_waitcnt vmcnt(0)
	v_cvt_f16_u16_e32 v6, v6
.LBB241_1809:
	s_mov_b32 s7, 0
.LBB241_1810:
	v_mov_b32_e32 v14, s6
	s_and_not1_b32 vcc_lo, exec_lo, s7
	s_cbranch_vccnz .LBB241_1820
; %bb.1811:
	global_load_u8 v15, v[4:5], off
	s_mov_b32 s6, 0
	s_mov_b32 s11, exec_lo
                                        ; implicit-def: $sgpr10
                                        ; implicit-def: $sgpr7
	s_waitcnt vmcnt(0)
	v_cmpx_lt_i16_e32 0x7f, v15
	s_xor_b32 s11, exec_lo, s11
	s_cbranch_execz .LBB241_1815
; %bb.1812:
	s_mov_b32 s6, -1
	s_mov_b32 s12, exec_lo
                                        ; implicit-def: $sgpr10
                                        ; implicit-def: $sgpr7
	v_cmpx_eq_u16_e32 0x80, v15
; %bb.1813:
	s_movk_i32 s7, 0x7e00
	s_mov_b32 s10, 0
	s_xor_b32 s6, exec_lo, -1
; %bb.1814:
	s_or_b32 exec_lo, exec_lo, s12
	s_delay_alu instid0(SALU_CYCLE_1)
	s_and_b32 s6, s6, exec_lo
.LBB241_1815:
	s_or_saveexec_b32 s11, s11
	v_mov_b32_e32 v14, s10
	v_mov_b32_e32 v6, s7
	s_xor_b32 exec_lo, exec_lo, s11
; %bb.1816:
	v_cmp_ne_u16_e32 vcc_lo, 0, v15
	v_mov_b32_e32 v14, 0
	v_mov_b32_e32 v6, v15
	s_and_not1_b32 s6, s6, exec_lo
	s_and_b32 s7, vcc_lo, exec_lo
	s_delay_alu instid0(SALU_CYCLE_1)
	s_or_b32 s6, s6, s7
; %bb.1817:
	s_or_b32 exec_lo, exec_lo, s11
	s_and_saveexec_b32 s7, s6
	s_cbranch_execz .LBB241_1819
; %bb.1818:
	v_and_b32_e32 v6, 0xffff, v15
	s_delay_alu instid0(VALU_DEP_1) | instskip(NEXT) | instid1(VALU_DEP_1)
	v_and_b32_e32 v14, 7, v6
	v_clz_i32_u32_e32 v16, v14
	s_delay_alu instid0(VALU_DEP_1) | instskip(NEXT) | instid1(VALU_DEP_1)
	v_min_u32_e32 v16, 32, v16
	v_subrev_nc_u32_e32 v17, 28, v16
	v_sub_nc_u32_e32 v16, 29, v16
	s_delay_alu instid0(VALU_DEP_2) | instskip(SKIP_1) | instid1(VALU_DEP_1)
	v_lshlrev_b32_e32 v17, v17, v6
	v_bfe_u32 v6, v6, 3, 4
	v_cmp_eq_u32_e32 vcc_lo, 0, v6
	s_delay_alu instid0(VALU_DEP_3) | instskip(SKIP_1) | instid1(VALU_DEP_2)
	v_dual_cndmask_b32 v6, v6, v16 :: v_dual_and_b32 v17, 7, v17
	v_lshlrev_b32_e32 v15, 24, v15
	v_lshl_add_u32 v6, v6, 23, 0x3b800000
	s_delay_alu instid0(VALU_DEP_2) | instskip(NEXT) | instid1(VALU_DEP_1)
	v_dual_cndmask_b32 v14, v14, v17 :: v_dual_and_b32 v15, 0x80000000, v15
	v_lshlrev_b32_e32 v14, 20, v14
	s_delay_alu instid0(VALU_DEP_1) | instskip(SKIP_1) | instid1(VALU_DEP_2)
	v_or3_b32 v6, v15, v6, v14
	v_mov_b32_e32 v14, 0
	v_cvt_f16_f32_e32 v6, v6
.LBB241_1819:
	s_or_b32 exec_lo, exec_lo, s7
.LBB241_1820:
	s_mov_b32 s6, -1
.LBB241_1821:
	s_mov_b32 s7, 0
.LBB241_1822:
	s_delay_alu instid0(SALU_CYCLE_1)
	s_and_b32 vcc_lo, exec_lo, s7
	s_cbranch_vccz .LBB241_1854
; %bb.1823:
	v_cmp_lt_i16_e32 vcc_lo, 22, v9
	s_cbranch_vccz .LBB241_1835
; %bb.1824:
	v_cmp_gt_i16_e32 vcc_lo, 24, v9
	s_cbranch_vccnz .LBB241_1836
; %bb.1825:
	v_cmp_lt_i16_e32 vcc_lo, 24, v9
	s_cbranch_vccz .LBB241_1837
; %bb.1826:
	global_load_u8 v15, v[4:5], off
	s_mov_b32 s10, exec_lo
                                        ; implicit-def: $sgpr7
                                        ; implicit-def: $sgpr6
	s_waitcnt vmcnt(0)
	v_cmpx_lt_i16_e32 0x7f, v15
	s_xor_b32 s10, exec_lo, s10
	s_cbranch_execz .LBB241_1830
; %bb.1827:
	s_mov_b32 s1, -1
	s_mov_b32 s11, exec_lo
                                        ; implicit-def: $sgpr7
                                        ; implicit-def: $sgpr6
	v_cmpx_eq_u16_e32 0x80, v15
; %bb.1828:
	s_movk_i32 s6, 0x7e00
	s_mov_b32 s7, 0
	s_xor_b32 s1, exec_lo, -1
; %bb.1829:
	s_or_b32 exec_lo, exec_lo, s11
	s_delay_alu instid0(SALU_CYCLE_1)
	s_and_b32 s1, s1, exec_lo
.LBB241_1830:
	s_or_saveexec_b32 s10, s10
	v_mov_b32_e32 v14, s7
	v_mov_b32_e32 v6, s6
	s_xor_b32 exec_lo, exec_lo, s10
; %bb.1831:
	v_cmp_ne_u16_e32 vcc_lo, 0, v15
	v_mov_b32_e32 v14, 0
	v_mov_b32_e32 v6, v15
	s_and_not1_b32 s1, s1, exec_lo
	s_and_b32 s6, vcc_lo, exec_lo
	s_delay_alu instid0(SALU_CYCLE_1)
	s_or_b32 s1, s1, s6
; %bb.1832:
	s_or_b32 exec_lo, exec_lo, s10
	s_and_saveexec_b32 s6, s1
	s_cbranch_execz .LBB241_1834
; %bb.1833:
	v_and_b32_e32 v6, 0xffff, v15
	s_delay_alu instid0(VALU_DEP_1) | instskip(NEXT) | instid1(VALU_DEP_1)
	v_and_b32_e32 v14, 3, v6
	v_clz_i32_u32_e32 v16, v14
	s_delay_alu instid0(VALU_DEP_1) | instskip(NEXT) | instid1(VALU_DEP_1)
	v_min_u32_e32 v16, 32, v16
	v_subrev_nc_u32_e32 v17, 29, v16
	v_sub_nc_u32_e32 v16, 30, v16
	s_delay_alu instid0(VALU_DEP_2) | instskip(SKIP_1) | instid1(VALU_DEP_1)
	v_lshlrev_b32_e32 v17, v17, v6
	v_bfe_u32 v6, v6, 2, 5
	v_cmp_eq_u32_e32 vcc_lo, 0, v6
	s_delay_alu instid0(VALU_DEP_3) | instskip(SKIP_1) | instid1(VALU_DEP_2)
	v_dual_cndmask_b32 v6, v6, v16 :: v_dual_and_b32 v17, 3, v17
	v_lshlrev_b32_e32 v15, 24, v15
	v_lshl_add_u32 v6, v6, 23, 0x37800000
	s_delay_alu instid0(VALU_DEP_2) | instskip(NEXT) | instid1(VALU_DEP_1)
	v_dual_cndmask_b32 v14, v14, v17 :: v_dual_and_b32 v15, 0x80000000, v15
	v_lshlrev_b32_e32 v14, 21, v14
	s_delay_alu instid0(VALU_DEP_1) | instskip(SKIP_1) | instid1(VALU_DEP_2)
	v_or3_b32 v6, v15, v6, v14
	v_mov_b32_e32 v14, 0
	v_cvt_f16_f32_e32 v6, v6
.LBB241_1834:
	s_or_b32 exec_lo, exec_lo, s6
	s_mov_b32 s1, 0
	s_branch .LBB241_1838
.LBB241_1835:
	s_mov_b32 s1, -1
                                        ; implicit-def: $vgpr14
                                        ; implicit-def: $vgpr6
	s_branch .LBB241_1844
.LBB241_1836:
	s_mov_b32 s1, -1
                                        ; implicit-def: $vgpr14
                                        ; implicit-def: $vgpr6
	s_branch .LBB241_1841
.LBB241_1837:
	s_mov_b32 s1, -1
                                        ; implicit-def: $vgpr14
                                        ; implicit-def: $vgpr6
.LBB241_1838:
	s_delay_alu instid0(SALU_CYCLE_1)
	s_and_b32 vcc_lo, exec_lo, s1
	s_cbranch_vccz .LBB241_1840
; %bb.1839:
	global_load_u8 v6, v[4:5], off
	s_waitcnt vmcnt(0)
	v_lshlrev_b32_e32 v6, 24, v6
	s_delay_alu instid0(VALU_DEP_1) | instskip(NEXT) | instid1(VALU_DEP_1)
	v_and_b32_e32 v14, 0x7f000000, v6
	v_clz_i32_u32_e32 v15, v14
	v_cmp_ne_u32_e32 vcc_lo, 0, v14
	v_add_nc_u32_e32 v17, 0x1000000, v14
	s_delay_alu instid0(VALU_DEP_3) | instskip(NEXT) | instid1(VALU_DEP_1)
	v_min_u32_e32 v15, 32, v15
	v_sub_nc_u32_e64 v15, v15, 4 clamp
	s_delay_alu instid0(VALU_DEP_1) | instskip(SKIP_1) | instid1(VALU_DEP_2)
	v_lshlrev_b32_e32 v16, v15, v14
	v_lshlrev_b32_e32 v15, 23, v15
	v_lshrrev_b32_e32 v16, 4, v16
	s_delay_alu instid0(VALU_DEP_1) | instskip(SKIP_1) | instid1(VALU_DEP_2)
	v_sub_nc_u32_e32 v15, v16, v15
	v_ashrrev_i32_e32 v16, 8, v17
	v_add_nc_u32_e32 v15, 0x3c000000, v15
	s_delay_alu instid0(VALU_DEP_1) | instskip(NEXT) | instid1(VALU_DEP_1)
	v_and_or_b32 v15, 0x7f800000, v16, v15
	v_cndmask_b32_e32 v14, 0, v15, vcc_lo
	s_delay_alu instid0(VALU_DEP_1) | instskip(SKIP_1) | instid1(VALU_DEP_2)
	v_and_or_b32 v6, 0x80000000, v6, v14
	v_mov_b32_e32 v14, 0
	v_cvt_f16_f32_e32 v6, v6
.LBB241_1840:
	s_mov_b32 s1, 0
.LBB241_1841:
	s_delay_alu instid0(SALU_CYCLE_1)
	s_and_not1_b32 vcc_lo, exec_lo, s1
	s_cbranch_vccnz .LBB241_1843
; %bb.1842:
	global_load_u8 v6, v[4:5], off
	s_waitcnt vmcnt(0)
	v_lshlrev_b32_e32 v14, 25, v6
	v_lshlrev_b16 v6, 8, v6
	s_delay_alu instid0(VALU_DEP_2) | instskip(NEXT) | instid1(VALU_DEP_2)
	v_lshrrev_b32_e32 v15, 4, v14
	v_and_or_b32 v16, 0x7f00, v6, 0.5
	v_bfe_i32 v6, v6, 0, 16
	s_delay_alu instid0(VALU_DEP_3) | instskip(NEXT) | instid1(VALU_DEP_1)
	v_or_b32_e32 v15, 0x70000000, v15
	v_dual_add_f32 v16, -0.5, v16 :: v_dual_mul_f32 v15, 0x7800000, v15
	v_cmp_gt_u32_e32 vcc_lo, 0x8000000, v14
	s_delay_alu instid0(VALU_DEP_2) | instskip(NEXT) | instid1(VALU_DEP_1)
	v_cndmask_b32_e32 v14, v15, v16, vcc_lo
	v_and_or_b32 v6, 0x80000000, v6, v14
	v_mov_b32_e32 v14, 0
	s_delay_alu instid0(VALU_DEP_2)
	v_cvt_f16_f32_e32 v6, v6
.LBB241_1843:
	s_mov_b32 s1, 0
	s_mov_b32 s6, -1
.LBB241_1844:
	s_and_not1_b32 vcc_lo, exec_lo, s1
	s_mov_b32 s1, 0
	s_cbranch_vccnz .LBB241_1854
; %bb.1845:
	v_cmp_lt_i16_e32 vcc_lo, 14, v9
	s_cbranch_vccz .LBB241_1848
; %bb.1846:
	v_cmp_eq_u16_e32 vcc_lo, 15, v9
	s_cbranch_vccz .LBB241_1849
; %bb.1847:
	global_load_u16 v6, v[4:5], off
	s_mov_b32 s0, 0
	s_mov_b32 s6, -1
	s_mov_b32 s7, 0
	s_waitcnt vmcnt(0)
	v_lshlrev_b32_e32 v6, 16, v6
	s_delay_alu instid0(VALU_DEP_1)
	v_cvt_f16_f32_e32 v6, v6
	s_branch .LBB241_1851
.LBB241_1848:
	s_mov_b32 s1, -1
	s_branch .LBB241_1850
.LBB241_1849:
	s_mov_b32 s0, -1
.LBB241_1850:
                                        ; implicit-def: $sgpr7
                                        ; implicit-def: $vgpr6
.LBB241_1851:
	s_and_b32 vcc_lo, exec_lo, s1
	s_mov_b32 s1, 0
	s_cbranch_vccz .LBB241_1853
; %bb.1852:
	v_cmp_ne_u16_e64 s0, 11, v9
	s_mov_b32 s1, -1
                                        ; implicit-def: $sgpr7
                                        ; implicit-def: $vgpr6
.LBB241_1853:
	v_mov_b32_e32 v14, s7
.LBB241_1854:
	s_delay_alu instid0(VALU_DEP_2)
	s_and_b32 vcc_lo, exec_lo, s0
	s_cbranch_vccnz .LBB241_2416
; %bb.1855:
	s_and_not1_b32 vcc_lo, exec_lo, s1
	s_cbranch_vccnz .LBB241_1857
.LBB241_1856:
	global_load_u8 v6, v[4:5], off
	v_mov_b32_e32 v14, 0
	s_mov_b32 s6, -1
	s_waitcnt vmcnt(0)
	v_cmp_ne_u16_e32 vcc_lo, 0, v6
	v_cndmask_b32_e64 v6, 0, 0x3c00, vcc_lo
.LBB241_1857:
	s_mov_b32 s0, 0
.LBB241_1858:
	s_delay_alu instid0(SALU_CYCLE_1)
	s_and_b32 vcc_lo, exec_lo, s0
	s_cbranch_vccz .LBB241_1909
; %bb.1859:
	v_cmp_gt_i16_e32 vcc_lo, 5, v9
	s_cbranch_vccnz .LBB241_1864
; %bb.1860:
	v_cmp_gt_i16_e32 vcc_lo, 8, v9
	s_cbranch_vccnz .LBB241_1865
	;; [unrolled: 3-line block ×3, first 2 shown]
; %bb.1862:
	v_cmp_lt_i16_e32 vcc_lo, 9, v9
	s_cbranch_vccz .LBB241_1867
; %bb.1863:
	global_load_b128 v[14:17], v[4:5], off
	s_mov_b32 s0, 0
	s_waitcnt vmcnt(0)
	v_cvt_f32_f64_e32 v6, v[14:15]
	v_cvt_f32_f64_e32 v14, v[16:17]
	s_delay_alu instid0(VALU_DEP_2) | instskip(NEXT) | instid1(VALU_DEP_2)
	v_cvt_f16_f32_e32 v6, v6
	v_cvt_f16_f32_e32 v14, v14
	s_branch .LBB241_1868
.LBB241_1864:
	s_mov_b32 s0, -1
                                        ; implicit-def: $vgpr14
                                        ; implicit-def: $vgpr6
	s_branch .LBB241_1887
.LBB241_1865:
	s_mov_b32 s0, -1
                                        ; implicit-def: $vgpr14
                                        ; implicit-def: $vgpr6
	s_branch .LBB241_1874
.LBB241_1866:
	s_mov_b32 s0, -1
                                        ; implicit-def: $vgpr14
                                        ; implicit-def: $vgpr6
	s_branch .LBB241_1871
.LBB241_1867:
	s_mov_b32 s0, -1
                                        ; implicit-def: $vgpr14
                                        ; implicit-def: $vgpr6
.LBB241_1868:
	s_delay_alu instid0(SALU_CYCLE_1)
	s_and_not1_b32 vcc_lo, exec_lo, s0
	s_cbranch_vccnz .LBB241_1870
; %bb.1869:
	global_load_b64 v[14:15], v[4:5], off
	s_waitcnt vmcnt(0)
	v_cvt_f16_f32_e32 v6, v14
	v_cvt_f16_f32_e32 v14, v15
.LBB241_1870:
	s_mov_b32 s0, 0
.LBB241_1871:
	s_delay_alu instid0(SALU_CYCLE_1)
	s_and_not1_b32 vcc_lo, exec_lo, s0
	s_cbranch_vccnz .LBB241_1873
; %bb.1872:
	global_load_b32 v6, v[4:5], off
	s_waitcnt vmcnt(0)
	v_lshrrev_b32_e32 v14, 16, v6
.LBB241_1873:
	s_mov_b32 s0, 0
.LBB241_1874:
	s_delay_alu instid0(SALU_CYCLE_1)
	s_and_not1_b32 vcc_lo, exec_lo, s0
	s_cbranch_vccnz .LBB241_1886
; %bb.1875:
	v_cmp_gt_i16_e32 vcc_lo, 6, v9
	s_cbranch_vccnz .LBB241_1878
; %bb.1876:
	v_cmp_lt_i16_e32 vcc_lo, 6, v9
	s_cbranch_vccz .LBB241_1879
; %bb.1877:
	global_load_b64 v[14:15], v[4:5], off
	s_mov_b32 s1, 0
	s_mov_b32 s0, 0
	s_waitcnt vmcnt(0)
	v_cvt_f32_f64_e32 v6, v[14:15]
	s_delay_alu instid0(VALU_DEP_1)
	v_cvt_f16_f32_e32 v6, v6
	s_branch .LBB241_1880
.LBB241_1878:
	s_mov_b32 s1, -1
                                        ; implicit-def: $sgpr0
                                        ; implicit-def: $vgpr6
	s_branch .LBB241_1883
.LBB241_1879:
	s_mov_b32 s1, -1
                                        ; implicit-def: $sgpr0
                                        ; implicit-def: $vgpr6
.LBB241_1880:
	s_delay_alu instid0(SALU_CYCLE_1)
	s_and_not1_b32 vcc_lo, exec_lo, s1
	s_cbranch_vccnz .LBB241_1882
; %bb.1881:
	global_load_b32 v6, v[4:5], off
	s_mov_b32 s0, 0
	s_waitcnt vmcnt(0)
	v_cvt_f16_f32_e32 v6, v6
.LBB241_1882:
	s_mov_b32 s1, 0
.LBB241_1883:
	s_delay_alu instid0(SALU_CYCLE_1)
	s_and_not1_b32 vcc_lo, exec_lo, s1
	s_cbranch_vccnz .LBB241_1885
; %bb.1884:
	global_load_u16 v6, v[4:5], off
	s_mov_b32 s0, 0
.LBB241_1885:
	s_delay_alu instid0(SALU_CYCLE_1)
	v_mov_b32_e32 v14, s0
.LBB241_1886:
	s_mov_b32 s0, 0
.LBB241_1887:
	s_delay_alu instid0(SALU_CYCLE_1)
	s_and_not1_b32 vcc_lo, exec_lo, s0
	s_cbranch_vccnz .LBB241_1908
; %bb.1888:
	v_cmp_gt_i16_e32 vcc_lo, 2, v9
	s_cbranch_vccnz .LBB241_1892
; %bb.1889:
	v_cmp_gt_i16_e32 vcc_lo, 3, v9
	s_cbranch_vccnz .LBB241_1893
; %bb.1890:
	v_cmp_lt_i16_e32 vcc_lo, 3, v9
	s_cbranch_vccz .LBB241_1894
; %bb.1891:
	global_load_b64 v[14:15], v[4:5], off
	s_mov_b32 s1, 0
	s_mov_b32 s0, 0
	s_waitcnt vmcnt(0)
	v_xor_b32_e32 v6, v14, v15
	v_cls_i32_e32 v16, v15
	s_delay_alu instid0(VALU_DEP_2) | instskip(NEXT) | instid1(VALU_DEP_2)
	v_ashrrev_i32_e32 v6, 31, v6
	v_add_nc_u32_e32 v16, -1, v16
	s_delay_alu instid0(VALU_DEP_2) | instskip(NEXT) | instid1(VALU_DEP_1)
	v_add_nc_u32_e32 v6, 32, v6
	v_min_u32_e32 v6, v16, v6
	s_delay_alu instid0(VALU_DEP_1) | instskip(SKIP_1) | instid1(VALU_DEP_2)
	v_lshlrev_b64 v[14:15], v6, v[14:15]
	v_sub_nc_u32_e32 v6, 32, v6
	v_min_u32_e32 v14, 1, v14
	s_delay_alu instid0(VALU_DEP_1) | instskip(NEXT) | instid1(VALU_DEP_1)
	v_or_b32_e32 v14, v15, v14
	v_cvt_f32_i32_e32 v14, v14
	s_delay_alu instid0(VALU_DEP_1) | instskip(NEXT) | instid1(VALU_DEP_1)
	v_ldexp_f32 v6, v14, v6
	v_cvt_f16_f32_e32 v6, v6
	s_branch .LBB241_1895
.LBB241_1892:
	s_mov_b32 s1, -1
                                        ; implicit-def: $sgpr0
                                        ; implicit-def: $vgpr6
	s_branch .LBB241_1901
.LBB241_1893:
	s_mov_b32 s1, -1
                                        ; implicit-def: $sgpr0
                                        ; implicit-def: $vgpr6
	s_branch .LBB241_1898
.LBB241_1894:
	s_mov_b32 s1, -1
                                        ; implicit-def: $sgpr0
                                        ; implicit-def: $vgpr6
.LBB241_1895:
	s_delay_alu instid0(SALU_CYCLE_1)
	s_and_not1_b32 vcc_lo, exec_lo, s1
	s_cbranch_vccnz .LBB241_1897
; %bb.1896:
	global_load_b32 v6, v[4:5], off
	s_mov_b32 s0, 0
	s_waitcnt vmcnt(0)
	v_cvt_f32_i32_e32 v6, v6
	s_delay_alu instid0(VALU_DEP_1)
	v_cvt_f16_f32_e32 v6, v6
.LBB241_1897:
	s_mov_b32 s1, 0
.LBB241_1898:
	s_delay_alu instid0(SALU_CYCLE_1)
	s_and_not1_b32 vcc_lo, exec_lo, s1
	s_cbranch_vccnz .LBB241_1900
; %bb.1899:
	global_load_u16 v6, v[4:5], off
	s_mov_b32 s0, 0
	s_waitcnt vmcnt(0)
	v_cvt_f16_i16_e32 v6, v6
.LBB241_1900:
	s_mov_b32 s1, 0
.LBB241_1901:
	s_delay_alu instid0(SALU_CYCLE_1)
	s_and_not1_b32 vcc_lo, exec_lo, s1
	s_cbranch_vccnz .LBB241_1907
; %bb.1902:
	v_cmp_lt_i16_e32 vcc_lo, 0, v9
	s_mov_b32 s1, 0
	s_cbranch_vccz .LBB241_1904
; %bb.1903:
	global_load_i8 v6, v[4:5], off
	s_mov_b32 s0, 0
	s_waitcnt vmcnt(0)
	v_cvt_f16_i16_e32 v6, v6
	s_branch .LBB241_1905
.LBB241_1904:
	s_mov_b32 s1, -1
                                        ; implicit-def: $sgpr0
                                        ; implicit-def: $vgpr6
.LBB241_1905:
	s_delay_alu instid0(SALU_CYCLE_1)
	s_and_not1_b32 vcc_lo, exec_lo, s1
	s_cbranch_vccnz .LBB241_1907
; %bb.1906:
	global_load_u8 v4, v[4:5], off
	s_mov_b32 s0, 0
	s_waitcnt vmcnt(0)
	v_cvt_f16_u16_e32 v6, v4
.LBB241_1907:
	v_mov_b32_e32 v14, s0
.LBB241_1908:
	s_mov_b32 s6, -1
.LBB241_1909:
	s_delay_alu instid0(SALU_CYCLE_1)
	s_and_not1_b32 vcc_lo, exec_lo, s6
	s_cbranch_vccnz .LBB241_2371
; %bb.1910:
	s_waitcnt vmcnt(0)
	v_cmp_neq_f16_e32 vcc_lo, 0, v6
	v_cmp_neq_f16_e64 s0, 0, v14
	v_cvt_f32_f16_e32 v9, v14
	v_mov_b32_e32 v14, 0
	s_delay_alu instid0(VALU_DEP_3) | instskip(NEXT) | instid1(SALU_CYCLE_1)
	s_or_b32 s0, vcc_lo, s0
	s_and_saveexec_b32 s6, s0
	s_cbranch_execz .LBB241_1940
; %bb.1911:
	v_mov_b32_e32 v14, 0x7f800000
	s_mov_b32 s7, exec_lo
	v_cmpx_neq_f32_e64 0x7f800000, |v9|
	s_cbranch_execz .LBB241_1939
; %bb.1912:
	v_cvt_f32_f16_e32 v14, v6
	s_mov_b32 s0, exec_lo
	v_cmpx_o_f16_e32 v6, v6
	s_xor_b32 s10, exec_lo, s0
	s_cbranch_execz .LBB241_1936
; %bb.1913:
	s_mov_b32 s1, exec_lo
	v_cmpx_neq_f32_e64 0x7f800000, |v14|
	s_xor_b32 s11, exec_lo, s1
	s_cbranch_execz .LBB241_1929
; %bb.1914:
	v_max_f32_e64 v4, |v9|, |v9|
	v_max_f32_e64 v5, |v14|, |v14|
                                        ; implicit-def: $sgpr12
	s_delay_alu instid0(VALU_DEP_1) | instskip(NEXT) | instid1(VALU_DEP_1)
	v_max_f32_e32 v4, v5, v4
	v_cmp_nle_f32_e64 s0, 0x7ed413cb, v4
	s_delay_alu instid0(VALU_DEP_1) | instskip(NEXT) | instid1(SALU_CYCLE_1)
	s_and_saveexec_b32 s1, s0
	s_xor_b32 s1, exec_lo, s1
	s_cbranch_execz .LBB241_1918
; %bb.1915:
	v_cmp_ge_f32_e64 s12, 0x1000000, |v14|
	v_cmp_ge_f32_e64 s13, 0x1000000, |v9|
	s_delay_alu instid0(VALU_DEP_1)
	s_and_b32 s14, s12, s13
	s_mov_b32 s12, 0
	s_and_saveexec_b32 s13, s14
; %bb.1916:
	v_dual_mul_f32 v14, 4.0, v14 :: v_dual_mul_f32 v9, 4.0, v9
	s_mov_b32 s12, exec_lo
; %bb.1917:
	s_or_b32 exec_lo, exec_lo, s13
	s_delay_alu instid0(SALU_CYCLE_1)
	s_and_b32 s12, s12, exec_lo
.LBB241_1918:
	s_and_not1_saveexec_b32 s1, s1
; %bb.1919:
	v_dual_mul_f32 v14, 0x3e800000, v14 :: v_dual_mul_f32 v9, 0x3e800000, v9
	s_and_not1_b32 s12, s12, exec_lo
; %bb.1920:
	s_or_b32 exec_lo, exec_lo, s1
	s_delay_alu instid0(VALU_DEP_1) | instskip(NEXT) | instid1(VALU_DEP_2)
	v_max_f32_e64 v4, |v9|, |v9|
	v_max_f32_e64 v5, |v14|, |v14|
	s_delay_alu instid0(VALU_DEP_1) | instskip(NEXT) | instid1(VALU_DEP_1)
	v_max_f32_e32 v6, v5, v4
	v_cvt_f64_f32_e32 v[4:5], v6
	s_delay_alu instid0(VALU_DEP_1) | instskip(NEXT) | instid1(VALU_DEP_1)
	v_frexp_exp_i32_f64_e32 v4, v[4:5]
	v_sub_nc_u32_e32 v5, 0, v4
	s_delay_alu instid0(VALU_DEP_1) | instskip(SKIP_1) | instid1(VALU_DEP_2)
	v_ldexp_f32 v15, |v9|, v5
	v_ldexp_f32 v5, |v14|, v5
	v_mul_f32_e32 v15, v15, v15
	v_cmp_neq_f32_e64 s1, 0x7f800000, v6
	s_delay_alu instid0(VALU_DEP_2) | instskip(NEXT) | instid1(VALU_DEP_1)
	v_fmac_f32_e32 v15, v5, v5
	v_sqrt_f32_e32 v5, v15
	s_waitcnt_depctr 0xfff
	v_ldexp_f32 v4, v5, v4
                                        ; implicit-def: $vgpr5
	s_delay_alu instid0(VALU_DEP_1)
	v_cndmask_b32_e64 v6, 0x7f800000, v4, s1
                                        ; implicit-def: $vgpr4
	s_mov_b32 s1, exec_lo
	v_cmpx_le_f32_e32 0, v14
	s_xor_b32 s13, exec_lo, s1
	s_cbranch_execz .LBB241_1922
; %bb.1921:
	v_add_f32_e32 v4, v14, v6
	s_delay_alu instid0(VALU_DEP_1) | instskip(NEXT) | instid1(VALU_DEP_1)
	v_mul_f32_e32 v4, 0.5, v4
	v_mul_f32_e32 v5, 0x4f800000, v4
	v_cmp_gt_f32_e32 vcc_lo, 0xf800000, v4
	s_delay_alu instid0(VALU_DEP_2) | instskip(NEXT) | instid1(VALU_DEP_1)
	v_cndmask_b32_e32 v4, v4, v5, vcc_lo
	v_sqrt_f32_e32 v5, v4
	s_waitcnt_depctr 0xfff
	v_add_nc_u32_e32 v6, -1, v5
	v_add_nc_u32_e32 v14, 1, v5
	s_delay_alu instid0(VALU_DEP_2) | instskip(NEXT) | instid1(VALU_DEP_2)
	v_fma_f32 v15, -v6, v5, v4
	v_fma_f32 v16, -v14, v5, v4
	s_delay_alu instid0(VALU_DEP_2) | instskip(NEXT) | instid1(VALU_DEP_1)
	v_cmp_ge_f32_e64 s1, 0, v15
	v_cndmask_b32_e64 v5, v5, v6, s1
	s_delay_alu instid0(VALU_DEP_3) | instskip(NEXT) | instid1(VALU_DEP_1)
	v_cmp_lt_f32_e64 s1, 0, v16
	v_cndmask_b32_e64 v5, v5, v14, s1
	s_delay_alu instid0(VALU_DEP_1) | instskip(NEXT) | instid1(VALU_DEP_1)
	v_mul_f32_e32 v6, 0x37800000, v5
	v_cndmask_b32_e32 v5, v5, v6, vcc_lo
	v_cmp_class_f32_e64 vcc_lo, v4, 0x260
	s_delay_alu instid0(VALU_DEP_2) | instskip(NEXT) | instid1(VALU_DEP_1)
	v_cndmask_b32_e32 v4, v5, v4, vcc_lo
	v_add_f32_e32 v5, v4, v4
	s_delay_alu instid0(VALU_DEP_1) | instskip(NEXT) | instid1(VALU_DEP_1)
	v_div_scale_f32 v6, null, v5, v5, v9
	v_rcp_f32_e32 v14, v6
	s_waitcnt_depctr 0xfff
	v_fma_f32 v15, -v6, v14, 1.0
	s_delay_alu instid0(VALU_DEP_1) | instskip(SKIP_1) | instid1(VALU_DEP_1)
	v_fmac_f32_e32 v14, v15, v14
	v_div_scale_f32 v15, vcc_lo, v9, v5, v9
	v_mul_f32_e32 v16, v15, v14
	s_delay_alu instid0(VALU_DEP_1) | instskip(NEXT) | instid1(VALU_DEP_1)
	v_fma_f32 v17, -v6, v16, v15
	v_fmac_f32_e32 v16, v17, v14
	s_delay_alu instid0(VALU_DEP_1) | instskip(NEXT) | instid1(VALU_DEP_1)
	v_fma_f32 v6, -v6, v16, v15
	v_div_fmas_f32 v6, v6, v14, v16
                                        ; implicit-def: $vgpr14
	s_delay_alu instid0(VALU_DEP_1)
	v_div_fixup_f32 v5, v6, v5, v9
                                        ; implicit-def: $vgpr6
                                        ; implicit-def: $vgpr9
	s_and_not1_saveexec_b32 s13, s13
	s_cbranch_execz .LBB241_1924
	s_branch .LBB241_1923
.LBB241_1922:
	s_and_not1_saveexec_b32 s13, s13
	s_cbranch_execz .LBB241_1924
.LBB241_1923:
	v_sub_f32_e32 v4, v6, v14
	s_delay_alu instid0(VALU_DEP_1) | instskip(NEXT) | instid1(VALU_DEP_1)
	v_mul_f32_e32 v4, 0.5, v4
	v_mul_f32_e32 v5, 0x4f800000, v4
	v_cmp_gt_f32_e32 vcc_lo, 0xf800000, v4
	s_delay_alu instid0(VALU_DEP_2) | instskip(NEXT) | instid1(VALU_DEP_1)
	v_cndmask_b32_e32 v4, v4, v5, vcc_lo
	v_sqrt_f32_e32 v5, v4
	s_waitcnt_depctr 0xfff
	v_add_nc_u32_e32 v6, -1, v5
	v_add_nc_u32_e32 v14, 1, v5
	s_delay_alu instid0(VALU_DEP_2) | instskip(NEXT) | instid1(VALU_DEP_2)
	v_fma_f32 v15, -v6, v5, v4
	v_fma_f32 v16, -v14, v5, v4
	s_delay_alu instid0(VALU_DEP_2) | instskip(NEXT) | instid1(VALU_DEP_1)
	v_cmp_ge_f32_e64 s1, 0, v15
	v_cndmask_b32_e64 v5, v5, v6, s1
	s_delay_alu instid0(VALU_DEP_3) | instskip(NEXT) | instid1(VALU_DEP_1)
	v_cmp_lt_f32_e64 s1, 0, v16
	v_cndmask_b32_e64 v5, v5, v14, s1
	s_delay_alu instid0(VALU_DEP_1) | instskip(NEXT) | instid1(VALU_DEP_1)
	v_mul_f32_e32 v6, 0x37800000, v5
	v_cndmask_b32_e32 v5, v5, v6, vcc_lo
	v_cmp_class_f32_e64 vcc_lo, v4, 0x260
	s_delay_alu instid0(VALU_DEP_2) | instskip(NEXT) | instid1(VALU_DEP_1)
	v_dual_cndmask_b32 v5, v5, v4 :: v_dual_and_b32 v4, 0x7fffffff, v9
	v_add_f32_e32 v6, v5, v5
	v_bfi_b32 v5, 0x7fffffff, v5, v9
	s_delay_alu instid0(VALU_DEP_2) | instskip(SKIP_1) | instid1(VALU_DEP_2)
	v_div_scale_f32 v14, null, v6, v6, v4
	v_div_scale_f32 v4, vcc_lo, v4, v6, v4
	v_rcp_f32_e32 v15, v14
	s_waitcnt_depctr 0xfff
	v_fma_f32 v16, -v14, v15, 1.0
	s_delay_alu instid0(VALU_DEP_1) | instskip(NEXT) | instid1(VALU_DEP_1)
	v_fmac_f32_e32 v15, v16, v15
	v_mul_f32_e32 v16, v4, v15
	s_delay_alu instid0(VALU_DEP_1) | instskip(NEXT) | instid1(VALU_DEP_1)
	v_fma_f32 v17, -v14, v16, v4
	v_fmac_f32_e32 v16, v17, v15
	s_delay_alu instid0(VALU_DEP_1) | instskip(NEXT) | instid1(VALU_DEP_1)
	v_fma_f32 v4, -v14, v16, v4
	v_div_fmas_f32 v4, v4, v15, v16
	s_delay_alu instid0(VALU_DEP_1)
	v_div_fixup_f32 v4, v4, v6, |v9|
.LBB241_1924:
	s_or_b32 exec_lo, exec_lo, s13
                                        ; implicit-def: $vgpr9
                                        ; implicit-def: $vgpr14
	s_and_saveexec_b32 s1, s0
	s_delay_alu instid0(SALU_CYCLE_1)
	s_xor_b32 s0, exec_lo, s1
	s_cbranch_execz .LBB241_1926
; %bb.1925:
	v_dual_mul_f32 v6, 0.5, v4 :: v_dual_mul_f32 v9, 0.5, v5
	s_delay_alu instid0(VALU_DEP_1) | instskip(NEXT) | instid1(VALU_DEP_2)
	v_cndmask_b32_e64 v14, v4, v6, s12
	v_cndmask_b32_e64 v9, v5, v9, s12
                                        ; implicit-def: $vgpr4
                                        ; implicit-def: $vgpr5
	s_and_not1_saveexec_b32 s0, s0
	s_cbranch_execnz .LBB241_1927
	s_branch .LBB241_1928
.LBB241_1926:
	s_and_not1_saveexec_b32 s0, s0
.LBB241_1927:
	v_dual_add_f32 v14, v4, v4 :: v_dual_add_f32 v9, v5, v5
.LBB241_1928:
	s_or_b32 exec_lo, exec_lo, s0
                                        ; implicit-def: $vgpr6
.LBB241_1929:
	s_and_not1_saveexec_b32 s0, s11
	s_cbranch_execz .LBB241_1935
; %bb.1930:
	s_delay_alu instid0(VALU_DEP_1)
	v_sub_f32_e32 v4, v9, v9
	s_mov_b32 s1, exec_lo
	v_cmpx_lt_i16_e32 -1, v6
	s_xor_b32 s1, exec_lo, s1
; %bb.1931:
	s_delay_alu instid0(VALU_DEP_2)
	v_bfi_b32 v9, 0x7fffffff, v4, v9
                                        ; implicit-def: $vgpr4
; %bb.1932:
	s_and_not1_saveexec_b32 s1, s1
; %bb.1933:
	v_and_b32_e32 v4, 0x7fffffff, v4
	s_delay_alu instid0(VALU_DEP_2) | instskip(NEXT) | instid1(VALU_DEP_2)
	v_bfi_b32 v9, 0x7fffffff, v14, v9
	v_mov_b32_e32 v14, v4
; %bb.1934:
	s_or_b32 exec_lo, exec_lo, s1
.LBB241_1935:
	s_delay_alu instid0(SALU_CYCLE_1)
	s_or_b32 exec_lo, exec_lo, s0
.LBB241_1936:
	s_and_not1_saveexec_b32 s0, s10
; %bb.1937:
	v_sub_f32_e32 v4, v9, v9
	s_delay_alu instid0(VALU_DEP_1) | instskip(NEXT) | instid1(VALU_DEP_1)
	v_div_scale_f32 v5, vcc_lo, v4, v4, v4
	v_rcp_f32_e32 v6, v5
	s_waitcnt_depctr 0xfff
	v_fma_f32 v9, -v5, v6, 1.0
	s_delay_alu instid0(VALU_DEP_1) | instskip(NEXT) | instid1(VALU_DEP_1)
	v_fmac_f32_e32 v6, v9, v6
	v_mul_f32_e32 v9, v5, v6
	s_delay_alu instid0(VALU_DEP_1) | instskip(NEXT) | instid1(VALU_DEP_1)
	v_fma_f32 v15, -v5, v9, v5
	v_fmac_f32_e32 v9, v15, v6
	s_delay_alu instid0(VALU_DEP_1) | instskip(NEXT) | instid1(VALU_DEP_1)
	v_fma_f32 v5, -v5, v9, v5
	v_div_fmas_f32 v5, v5, v6, v9
	s_delay_alu instid0(VALU_DEP_1)
	v_div_fixup_f32 v9, v5, v4, v4
; %bb.1938:
	s_or_b32 exec_lo, exec_lo, s0
.LBB241_1939:
	s_delay_alu instid0(SALU_CYCLE_1)
	s_or_b32 exec_lo, exec_lo, s7
.LBB241_1940:
	s_delay_alu instid0(SALU_CYCLE_1)
	s_or_b32 exec_lo, exec_lo, s6
	v_cvt_f16_f32_e32 v8, v8
	v_cvt_f16_f32_e32 v5, v10
	s_lshr_b32 s0, s3, 8
	s_mov_b32 s3, 0
	v_and_b32_e64 v6, 0xff, s0
	v_lshlrev_b32_e32 v4, 16, v8
	v_and_b32_e32 v10, 0xffff, v5
	v_add_co_u32 v3, s0, s4, v3
	s_delay_alu instid0(VALU_DEP_4) | instskip(NEXT) | instid1(VALU_DEP_3)
	v_cmp_gt_i16_e32 vcc_lo, 11, v6
	v_or_b32_e32 v10, v4, v10
	v_add_co_ci_u32_e64 v4, null, s5, 0, s0
	s_mov_b32 s0, -1
	s_cbranch_vccnz .LBB241_2018
; %bb.1941:
	v_cmp_lt_i16_e32 vcc_lo, 25, v6
	s_mov_b32 s6, -1
	s_mov_b32 s1, 0
	s_mov_b32 s0, 0
	s_cbranch_vccz .LBB241_1974
; %bb.1942:
	v_cmp_lt_i16_e32 vcc_lo, 28, v6
	s_cbranch_vccz .LBB241_1957
; %bb.1943:
	v_cmp_lt_i16_e32 vcc_lo, 43, v6
	s_cbranch_vccz .LBB241_1953
; %bb.1944:
	v_cmp_lt_i16_e32 vcc_lo, 45, v6
	s_cbranch_vccz .LBB241_1947
; %bb.1945:
	v_cmp_eq_u16_e32 vcc_lo, 46, v6
	s_mov_b32 s0, -1
	s_mov_b32 s6, 0
	s_cbranch_vccz .LBB241_1947
; %bb.1946:
	v_cvt_f32_f16_e32 v15, v8
	v_cvt_f32_f16_e32 v16, v5
	v_cmp_o_f16_e32 vcc_lo, v8, v8
	s_mov_b32 s0, 0
	s_mov_b32 s3, -1
	v_bfe_u32 v17, v15, 16, 1
	v_bfe_u32 v18, v16, 16, 1
	s_delay_alu instid0(VALU_DEP_2) | instskip(NEXT) | instid1(VALU_DEP_2)
	v_add3_u32 v15, v15, v17, 0x7fff
	v_add3_u32 v16, v16, v18, 0x7fff
	s_delay_alu instid0(VALU_DEP_2) | instskip(NEXT) | instid1(VALU_DEP_2)
	v_and_b32_e32 v15, 0xffff0000, v15
	v_lshrrev_b32_e32 v16, 16, v16
	s_delay_alu instid0(VALU_DEP_2) | instskip(SKIP_1) | instid1(VALU_DEP_3)
	v_cndmask_b32_e32 v15, 0x7fc00000, v15, vcc_lo
	v_cmp_o_f16_e32 vcc_lo, v5, v5
	v_cndmask_b32_e32 v16, 0x7fc0, v16, vcc_lo
	s_delay_alu instid0(VALU_DEP_1)
	v_or_b32_e32 v15, v15, v16
	global_store_b32 v[3:4], v15, off
.LBB241_1947:
	s_and_b32 vcc_lo, exec_lo, s6
	s_cbranch_vccz .LBB241_1952
; %bb.1948:
	v_cmp_eq_u16_e32 vcc_lo, 44, v6
	s_mov_b32 s0, -1
	s_cbranch_vccz .LBB241_1952
; %bb.1949:
	v_cvt_f32_f16_e32 v15, v5
	v_mov_b32_e32 v16, 0xff
	s_mov_b32 s3, exec_lo
	s_delay_alu instid0(VALU_DEP_2) | instskip(NEXT) | instid1(VALU_DEP_1)
	v_bfe_u32 v17, v15, 23, 8
	v_cmpx_ne_u32_e32 0xff, v17
; %bb.1950:
	v_and_b32_e32 v16, 0x400000, v15
	v_and_or_b32 v17, 0x3fffff, v15, v17
	v_lshrrev_b32_e32 v15, 23, v15
	s_delay_alu instid0(VALU_DEP_3) | instskip(NEXT) | instid1(VALU_DEP_3)
	v_cmp_ne_u32_e32 vcc_lo, 0, v16
	v_cmp_ne_u32_e64 s0, 0, v17
	s_delay_alu instid0(VALU_DEP_1) | instskip(NEXT) | instid1(SALU_CYCLE_1)
	s_and_b32 s0, vcc_lo, s0
	v_cndmask_b32_e64 v16, 0, 1, s0
	s_delay_alu instid0(VALU_DEP_1)
	v_add_nc_u32_e32 v16, v15, v16
; %bb.1951:
	s_or_b32 exec_lo, exec_lo, s3
	s_mov_b32 s0, 0
	s_mov_b32 s3, -1
	global_store_b8 v[3:4], v16, off
.LBB241_1952:
	s_mov_b32 s6, 0
.LBB241_1953:
	s_delay_alu instid0(SALU_CYCLE_1)
	s_and_b32 vcc_lo, exec_lo, s6
	s_cbranch_vccz .LBB241_1956
; %bb.1954:
	v_cmp_eq_u16_e32 vcc_lo, 29, v6
	s_mov_b32 s0, -1
	s_cbranch_vccz .LBB241_1956
; %bb.1955:
	v_cvt_f32_f16_e32 v15, v5
	v_mov_b32_e32 v16, 0
	s_mov_b32 s0, 0
	s_mov_b32 s3, -1
	s_delay_alu instid0(VALU_DEP_2)
	v_cvt_u32_f32_e32 v15, v15
	global_store_b64 v[3:4], v[15:16], off
.LBB241_1956:
	s_mov_b32 s6, 0
.LBB241_1957:
	s_delay_alu instid0(SALU_CYCLE_1)
	s_and_b32 vcc_lo, exec_lo, s6
	s_cbranch_vccz .LBB241_1973
; %bb.1958:
	v_cmp_gt_i16_e32 vcc_lo, 27, v6
	s_mov_b32 s3, -1
	s_cbranch_vccnz .LBB241_1964
; %bb.1959:
	v_cmp_lt_i16_e32 vcc_lo, 27, v6
	s_cbranch_vccz .LBB241_1961
; %bb.1960:
	v_cvt_f32_f16_e32 v15, v5
	s_mov_b32 s3, 0
	s_delay_alu instid0(VALU_DEP_1)
	v_cvt_u32_f32_e32 v15, v15
	global_store_b32 v[3:4], v15, off
.LBB241_1961:
	s_and_not1_b32 vcc_lo, exec_lo, s3
	s_cbranch_vccnz .LBB241_1963
; %bb.1962:
	v_cvt_u16_f16_e32 v15, v5
	global_store_b16 v[3:4], v15, off
.LBB241_1963:
	s_mov_b32 s3, 0
.LBB241_1964:
	s_delay_alu instid0(SALU_CYCLE_1)
	s_and_not1_b32 vcc_lo, exec_lo, s3
	s_cbranch_vccnz .LBB241_1972
; %bb.1965:
	v_cvt_f32_f16_e32 v15, v5
	v_mov_b32_e32 v17, 0x80
	s_mov_b32 s3, exec_lo
	s_delay_alu instid0(VALU_DEP_2) | instskip(NEXT) | instid1(VALU_DEP_1)
	v_and_b32_e32 v16, 0x7fffffff, v15
	v_cmpx_gt_u32_e32 0x43800000, v16
	s_cbranch_execz .LBB241_1971
; %bb.1966:
	v_cmp_lt_u32_e32 vcc_lo, 0x3bffffff, v16
	s_mov_b32 s6, 0
                                        ; implicit-def: $vgpr16
	s_and_saveexec_b32 s7, vcc_lo
	s_delay_alu instid0(SALU_CYCLE_1)
	s_xor_b32 s7, exec_lo, s7
	s_cbranch_execz .LBB241_2418
; %bb.1967:
	v_bfe_u32 v16, v15, 20, 1
	s_mov_b32 s6, exec_lo
	s_delay_alu instid0(VALU_DEP_1) | instskip(NEXT) | instid1(VALU_DEP_1)
	v_add3_u32 v16, v15, v16, 0x487ffff
	v_lshrrev_b32_e32 v16, 20, v16
	s_or_saveexec_b32 s7, s7
                                        ; implicit-def: $sgpr10
	s_delay_alu instid0(SALU_CYCLE_1)
	s_xor_b32 exec_lo, exec_lo, s7
	s_cbranch_execnz .LBB241_2419
.LBB241_1968:
	s_or_b32 exec_lo, exec_lo, s7
	v_mov_b32_e32 v17, s10
	s_and_saveexec_b32 s7, s6
.LBB241_1969:
	v_lshrrev_b32_e32 v15, 24, v15
	s_delay_alu instid0(VALU_DEP_1)
	v_and_or_b32 v17, 0x80, v15, v16
.LBB241_1970:
	s_or_b32 exec_lo, exec_lo, s7
.LBB241_1971:
	s_delay_alu instid0(SALU_CYCLE_1)
	s_or_b32 exec_lo, exec_lo, s3
	global_store_b8 v[3:4], v17, off
.LBB241_1972:
	s_mov_b32 s3, -1
.LBB241_1973:
	s_mov_b32 s6, 0
.LBB241_1974:
	s_delay_alu instid0(SALU_CYCLE_1)
	s_and_b32 vcc_lo, exec_lo, s6
	s_cbranch_vccz .LBB241_2014
; %bb.1975:
	v_cmp_lt_i16_e32 vcc_lo, 22, v6
	s_mov_b32 s1, -1
	s_cbranch_vccz .LBB241_2007
; %bb.1976:
	v_cmp_gt_i16_e32 vcc_lo, 24, v6
	s_cbranch_vccnz .LBB241_1996
; %bb.1977:
	v_cmp_lt_i16_e32 vcc_lo, 24, v6
	s_cbranch_vccz .LBB241_1985
; %bb.1978:
	v_cvt_f32_f16_e32 v15, v5
	v_mov_b32_e32 v17, 0x80
	s_mov_b32 s1, exec_lo
	s_delay_alu instid0(VALU_DEP_2) | instskip(NEXT) | instid1(VALU_DEP_1)
	v_and_b32_e32 v16, 0x7fffffff, v15
	v_cmpx_gt_u32_e32 0x47800000, v16
	s_cbranch_execz .LBB241_1984
; %bb.1979:
	v_cmp_lt_u32_e32 vcc_lo, 0x37ffffff, v16
	s_mov_b32 s3, 0
                                        ; implicit-def: $vgpr16
	s_and_saveexec_b32 s6, vcc_lo
	s_delay_alu instid0(SALU_CYCLE_1)
	s_xor_b32 s6, exec_lo, s6
	s_cbranch_execz .LBB241_2424
; %bb.1980:
	v_bfe_u32 v16, v15, 21, 1
	s_mov_b32 s3, exec_lo
	s_delay_alu instid0(VALU_DEP_1) | instskip(NEXT) | instid1(VALU_DEP_1)
	v_add3_u32 v16, v15, v16, 0x88fffff
	v_lshrrev_b32_e32 v16, 21, v16
	s_or_saveexec_b32 s6, s6
                                        ; implicit-def: $sgpr7
	s_delay_alu instid0(SALU_CYCLE_1)
	s_xor_b32 exec_lo, exec_lo, s6
	s_cbranch_execnz .LBB241_2425
.LBB241_1981:
	s_or_b32 exec_lo, exec_lo, s6
	v_mov_b32_e32 v17, s7
	s_and_saveexec_b32 s6, s3
.LBB241_1982:
	v_lshrrev_b32_e32 v15, 24, v15
	s_delay_alu instid0(VALU_DEP_1)
	v_and_or_b32 v17, 0x80, v15, v16
.LBB241_1983:
	s_or_b32 exec_lo, exec_lo, s6
.LBB241_1984:
	s_delay_alu instid0(SALU_CYCLE_1)
	s_or_b32 exec_lo, exec_lo, s1
	s_mov_b32 s1, 0
	global_store_b8 v[3:4], v17, off
.LBB241_1985:
	s_and_b32 vcc_lo, exec_lo, s1
	s_cbranch_vccz .LBB241_1995
; %bb.1986:
	v_cvt_f32_f16_e32 v15, v5
	s_mov_b32 s1, exec_lo
                                        ; implicit-def: $vgpr16
	s_delay_alu instid0(VALU_DEP_1) | instskip(NEXT) | instid1(VALU_DEP_1)
	v_and_b32_e32 v17, 0x7fffffff, v15
	v_cmpx_gt_u32_e32 0x43f00000, v17
	s_xor_b32 s1, exec_lo, s1
	s_cbranch_execz .LBB241_1992
; %bb.1987:
	s_mov_b32 s3, exec_lo
                                        ; implicit-def: $vgpr16
	v_cmpx_lt_u32_e32 0x3c7fffff, v17
	s_xor_b32 s3, exec_lo, s3
; %bb.1988:
	v_bfe_u32 v16, v15, 20, 1
	s_delay_alu instid0(VALU_DEP_1) | instskip(NEXT) | instid1(VALU_DEP_1)
	v_add3_u32 v16, v15, v16, 0x407ffff
	v_and_b32_e32 v17, 0xff00000, v16
	v_lshrrev_b32_e32 v16, 20, v16
	s_delay_alu instid0(VALU_DEP_2) | instskip(NEXT) | instid1(VALU_DEP_2)
	v_cmp_ne_u32_e32 vcc_lo, 0x7f00000, v17
	v_cndmask_b32_e32 v16, 0x7e, v16, vcc_lo
; %bb.1989:
	s_and_not1_saveexec_b32 s3, s3
; %bb.1990:
	v_add_f32_e64 v16, 0x46800000, |v15|
; %bb.1991:
	s_or_b32 exec_lo, exec_lo, s3
                                        ; implicit-def: $vgpr17
.LBB241_1992:
	s_and_not1_saveexec_b32 s1, s1
; %bb.1993:
	v_mov_b32_e32 v16, 0x7f
	v_cmp_lt_u32_e32 vcc_lo, 0x7f800000, v17
	s_delay_alu instid0(VALU_DEP_2)
	v_cndmask_b32_e32 v16, 0x7e, v16, vcc_lo
; %bb.1994:
	s_or_b32 exec_lo, exec_lo, s1
	v_lshrrev_b32_e32 v15, 24, v15
	s_delay_alu instid0(VALU_DEP_1)
	v_and_or_b32 v15, 0x80, v15, v16
	global_store_b8 v[3:4], v15, off
.LBB241_1995:
	s_mov_b32 s1, 0
.LBB241_1996:
	s_delay_alu instid0(SALU_CYCLE_1)
	s_and_not1_b32 vcc_lo, exec_lo, s1
	s_cbranch_vccnz .LBB241_2006
; %bb.1997:
	v_cvt_f32_f16_e32 v15, v5
	s_mov_b32 s1, exec_lo
                                        ; implicit-def: $vgpr16
	s_delay_alu instid0(VALU_DEP_1) | instskip(NEXT) | instid1(VALU_DEP_1)
	v_and_b32_e32 v17, 0x7fffffff, v15
	v_cmpx_gt_u32_e32 0x47800000, v17
	s_xor_b32 s1, exec_lo, s1
	s_cbranch_execz .LBB241_2003
; %bb.1998:
	s_mov_b32 s3, exec_lo
                                        ; implicit-def: $vgpr16
	v_cmpx_lt_u32_e32 0x387fffff, v17
	s_xor_b32 s3, exec_lo, s3
; %bb.1999:
	v_bfe_u32 v16, v15, 21, 1
	s_delay_alu instid0(VALU_DEP_1) | instskip(NEXT) | instid1(VALU_DEP_1)
	v_add3_u32 v16, v15, v16, 0x80fffff
	v_lshrrev_b32_e32 v16, 21, v16
; %bb.2000:
	s_and_not1_saveexec_b32 s3, s3
; %bb.2001:
	v_add_f32_e64 v16, 0x43000000, |v15|
; %bb.2002:
	s_or_b32 exec_lo, exec_lo, s3
                                        ; implicit-def: $vgpr17
.LBB241_2003:
	s_and_not1_saveexec_b32 s1, s1
; %bb.2004:
	v_mov_b32_e32 v16, 0x7f
	v_cmp_lt_u32_e32 vcc_lo, 0x7f800000, v17
	s_delay_alu instid0(VALU_DEP_2)
	v_cndmask_b32_e32 v16, 0x7c, v16, vcc_lo
; %bb.2005:
	s_or_b32 exec_lo, exec_lo, s1
	v_lshrrev_b32_e32 v15, 24, v15
	s_delay_alu instid0(VALU_DEP_1)
	v_and_or_b32 v15, 0x80, v15, v16
	global_store_b8 v[3:4], v15, off
.LBB241_2006:
	s_mov_b32 s1, 0
	s_mov_b32 s3, -1
.LBB241_2007:
	s_and_not1_b32 vcc_lo, exec_lo, s1
	s_mov_b32 s1, 0
	s_cbranch_vccnz .LBB241_2014
; %bb.2008:
	v_cmp_lt_i16_e32 vcc_lo, 14, v6
	s_mov_b32 s1, -1
	s_cbranch_vccz .LBB241_2012
; %bb.2009:
	v_cmp_eq_u16_e32 vcc_lo, 15, v6
	s_mov_b32 s0, -1
	s_cbranch_vccz .LBB241_2011
; %bb.2010:
	v_cvt_f32_f16_e32 v15, v5
	v_cmp_o_f16_e32 vcc_lo, v5, v5
	s_mov_b32 s0, 0
	s_mov_b32 s3, -1
	s_delay_alu instid0(VALU_DEP_2) | instskip(NEXT) | instid1(VALU_DEP_1)
	v_bfe_u32 v16, v15, 16, 1
	v_add3_u32 v15, v15, v16, 0x7fff
	s_delay_alu instid0(VALU_DEP_1) | instskip(NEXT) | instid1(VALU_DEP_1)
	v_lshrrev_b32_e32 v15, 16, v15
	v_cndmask_b32_e32 v15, 0x7fc0, v15, vcc_lo
	global_store_b16 v[3:4], v15, off
.LBB241_2011:
	s_mov_b32 s1, 0
.LBB241_2012:
	s_delay_alu instid0(SALU_CYCLE_1)
	s_and_b32 vcc_lo, exec_lo, s1
	s_mov_b32 s1, 0
	s_cbranch_vccz .LBB241_2014
; %bb.2013:
	v_cmp_ne_u16_e64 s0, 11, v6
	s_mov_b32 s1, -1
.LBB241_2014:
	s_delay_alu instid0(VALU_DEP_1)
	s_and_b32 vcc_lo, exec_lo, s0
	s_cbranch_vccnz .LBB241_2422
; %bb.2015:
	s_and_not1_b32 vcc_lo, exec_lo, s1
	s_cbranch_vccnz .LBB241_2017
.LBB241_2016:
	v_and_b32_e32 v15, 0x7fff7fff, v10
	s_mov_b32 s3, -1
	s_delay_alu instid0(VALU_DEP_1)
	v_cmp_ne_u32_e32 vcc_lo, 0, v15
	v_cndmask_b32_e64 v15, 0, 1, vcc_lo
	global_store_b8 v[3:4], v15, off
.LBB241_2017:
	s_mov_b32 s0, 0
.LBB241_2018:
	s_delay_alu instid0(SALU_CYCLE_1)
	s_and_b32 vcc_lo, exec_lo, s0
	s_cbranch_vccz .LBB241_2057
; %bb.2019:
	v_cmp_gt_i16_e32 vcc_lo, 5, v6
	s_mov_b32 s0, -1
	s_cbranch_vccnz .LBB241_2040
; %bb.2020:
	v_cmp_gt_i16_e32 vcc_lo, 8, v6
	s_cbranch_vccnz .LBB241_2030
; %bb.2021:
	v_cmp_gt_i16_e32 vcc_lo, 9, v6
	s_cbranch_vccnz .LBB241_2027
; %bb.2022:
	v_cmp_lt_i16_e32 vcc_lo, 9, v6
	s_cbranch_vccz .LBB241_2024
; %bb.2023:
	v_cvt_f32_f16_e32 v15, v5
	v_cvt_f32_f16_e32 v17, v8
	s_mov_b32 s0, 0
	s_delay_alu instid0(VALU_DEP_2) | instskip(NEXT) | instid1(VALU_DEP_2)
	v_cvt_f64_f32_e32 v[15:16], v15
	v_cvt_f64_f32_e32 v[17:18], v17
	global_store_b128 v[3:4], v[15:18], off
.LBB241_2024:
	s_and_not1_b32 vcc_lo, exec_lo, s0
	s_cbranch_vccnz .LBB241_2026
; %bb.2025:
	v_cvt_f32_f16_e32 v15, v5
	v_cvt_f32_f16_e32 v16, v8
	global_store_b64 v[3:4], v[15:16], off
.LBB241_2026:
	s_mov_b32 s0, 0
.LBB241_2027:
	s_delay_alu instid0(SALU_CYCLE_1)
	s_and_not1_b32 vcc_lo, exec_lo, s0
	s_cbranch_vccnz .LBB241_2029
; %bb.2028:
	global_store_b32 v[3:4], v10, off
.LBB241_2029:
	s_mov_b32 s0, 0
.LBB241_2030:
	s_delay_alu instid0(SALU_CYCLE_1)
	s_and_not1_b32 vcc_lo, exec_lo, s0
	s_cbranch_vccnz .LBB241_2039
; %bb.2031:
	v_cmp_gt_i16_e32 vcc_lo, 6, v6
	s_mov_b32 s0, -1
	s_cbranch_vccnz .LBB241_2037
; %bb.2032:
	v_cmp_lt_i16_e32 vcc_lo, 6, v6
	s_cbranch_vccz .LBB241_2034
; %bb.2033:
	v_cvt_f32_f16_e32 v8, v5
	s_mov_b32 s0, 0
	s_delay_alu instid0(VALU_DEP_1)
	v_cvt_f64_f32_e32 v[15:16], v8
	global_store_b64 v[3:4], v[15:16], off
.LBB241_2034:
	s_and_not1_b32 vcc_lo, exec_lo, s0
	s_cbranch_vccnz .LBB241_2036
; %bb.2035:
	v_cvt_f32_f16_e32 v8, v5
	global_store_b32 v[3:4], v8, off
.LBB241_2036:
	s_mov_b32 s0, 0
.LBB241_2037:
	s_delay_alu instid0(SALU_CYCLE_1)
	s_and_not1_b32 vcc_lo, exec_lo, s0
	s_cbranch_vccnz .LBB241_2039
; %bb.2038:
	global_store_b16 v[3:4], v5, off
.LBB241_2039:
	s_mov_b32 s0, 0
.LBB241_2040:
	s_delay_alu instid0(SALU_CYCLE_1)
	s_and_not1_b32 vcc_lo, exec_lo, s0
	s_cbranch_vccnz .LBB241_2056
; %bb.2041:
	v_cmp_gt_i16_e32 vcc_lo, 2, v6
	s_mov_b32 s0, -1
	s_cbranch_vccnz .LBB241_2051
; %bb.2042:
	v_cmp_gt_i16_e32 vcc_lo, 3, v6
	s_cbranch_vccnz .LBB241_2048
; %bb.2043:
	v_cmp_lt_i16_e32 vcc_lo, 3, v6
	s_cbranch_vccz .LBB241_2045
; %bb.2044:
	v_cvt_f32_f16_e32 v8, v5
	s_mov_b32 s0, 0
	s_delay_alu instid0(VALU_DEP_1) | instskip(NEXT) | instid1(VALU_DEP_1)
	v_cvt_i32_f32_e32 v15, v8
	v_ashrrev_i32_e32 v16, 31, v15
	global_store_b64 v[3:4], v[15:16], off
.LBB241_2045:
	s_and_not1_b32 vcc_lo, exec_lo, s0
	s_cbranch_vccnz .LBB241_2047
; %bb.2046:
	v_cvt_f32_f16_e32 v8, v5
	s_delay_alu instid0(VALU_DEP_1)
	v_cvt_i32_f32_e32 v8, v8
	global_store_b32 v[3:4], v8, off
.LBB241_2047:
	s_mov_b32 s0, 0
.LBB241_2048:
	s_delay_alu instid0(SALU_CYCLE_1)
	s_and_not1_b32 vcc_lo, exec_lo, s0
	s_cbranch_vccnz .LBB241_2050
; %bb.2049:
	v_cvt_i16_f16_e32 v8, v5
	global_store_b16 v[3:4], v8, off
.LBB241_2050:
	s_mov_b32 s0, 0
.LBB241_2051:
	s_delay_alu instid0(SALU_CYCLE_1)
	s_and_not1_b32 vcc_lo, exec_lo, s0
	s_cbranch_vccnz .LBB241_2056
; %bb.2052:
	v_cmp_lt_i16_e32 vcc_lo, 0, v6
	s_mov_b32 s0, -1
	s_cbranch_vccz .LBB241_2054
; %bb.2053:
	v_cvt_i16_f16_e32 v8, v5
	s_mov_b32 s0, 0
	global_store_b8 v[3:4], v8, off
.LBB241_2054:
	s_and_not1_b32 vcc_lo, exec_lo, s0
	s_cbranch_vccnz .LBB241_2056
; %bb.2055:
	v_cvt_f32_f16_e32 v5, v5
	s_delay_alu instid0(VALU_DEP_1)
	v_cvt_i32_f32_e32 v5, v5
	global_store_b8 v[3:4], v5, off
.LBB241_2056:
	s_mov_b32 s3, -1
.LBB241_2057:
	s_delay_alu instid0(SALU_CYCLE_1)
	s_and_not1_b32 vcc_lo, exec_lo, s3
	s_cbranch_vccnz .LBB241_2371
; %bb.2058:
	v_cvt_f16_f32_e32 v4, v7
	v_cvt_f16_f32_e32 v7, v11
	v_cmp_gt_i16_e32 vcc_lo, 11, v6
	v_add_co_u32 v2, s0, s4, v2
	s_delay_alu instid0(VALU_DEP_4) | instskip(NEXT) | instid1(VALU_DEP_4)
	v_lshlrev_b32_e32 v5, 16, v4
	v_and_b32_e32 v8, 0xffff, v7
	v_add_co_ci_u32_e64 v3, null, s5, 0, s0
	s_mov_b32 s3, 0
	s_delay_alu instid0(VALU_DEP_2)
	v_or_b32_e32 v8, v5, v8
	s_mov_b32 s0, -1
	s_cbranch_vccnz .LBB241_2136
; %bb.2059:
	v_cmp_lt_i16_e32 vcc_lo, 25, v6
	s_mov_b32 s6, -1
	s_mov_b32 s1, 0
	s_mov_b32 s0, 0
	s_cbranch_vccz .LBB241_2092
; %bb.2060:
	v_cmp_lt_i16_e32 vcc_lo, 28, v6
	s_cbranch_vccz .LBB241_2075
; %bb.2061:
	v_cmp_lt_i16_e32 vcc_lo, 43, v6
	;; [unrolled: 3-line block ×3, first 2 shown]
	s_cbranch_vccz .LBB241_2065
; %bb.2063:
	v_cmp_eq_u16_e32 vcc_lo, 46, v6
	s_mov_b32 s0, -1
	s_mov_b32 s6, 0
	s_cbranch_vccz .LBB241_2065
; %bb.2064:
	v_cvt_f32_f16_e32 v5, v4
	v_cvt_f32_f16_e32 v10, v7
	v_cmp_o_f16_e32 vcc_lo, v4, v4
	s_mov_b32 s0, 0
	s_mov_b32 s3, -1
	v_bfe_u32 v11, v5, 16, 1
	v_bfe_u32 v15, v10, 16, 1
	s_delay_alu instid0(VALU_DEP_2) | instskip(NEXT) | instid1(VALU_DEP_2)
	v_add3_u32 v5, v5, v11, 0x7fff
	v_add3_u32 v10, v10, v15, 0x7fff
	s_delay_alu instid0(VALU_DEP_2) | instskip(NEXT) | instid1(VALU_DEP_2)
	v_and_b32_e32 v5, 0xffff0000, v5
	v_lshrrev_b32_e32 v10, 16, v10
	s_delay_alu instid0(VALU_DEP_2) | instskip(SKIP_1) | instid1(VALU_DEP_3)
	v_cndmask_b32_e32 v5, 0x7fc00000, v5, vcc_lo
	v_cmp_o_f16_e32 vcc_lo, v7, v7
	v_cndmask_b32_e32 v10, 0x7fc0, v10, vcc_lo
	s_delay_alu instid0(VALU_DEP_1)
	v_or_b32_e32 v5, v5, v10
	global_store_b32 v[2:3], v5, off
.LBB241_2065:
	s_and_b32 vcc_lo, exec_lo, s6
	s_cbranch_vccz .LBB241_2070
; %bb.2066:
	v_cmp_eq_u16_e32 vcc_lo, 44, v6
	s_mov_b32 s0, -1
	s_cbranch_vccz .LBB241_2070
; %bb.2067:
	v_cvt_f32_f16_e32 v5, v7
	v_mov_b32_e32 v10, 0xff
	s_mov_b32 s3, exec_lo
	s_delay_alu instid0(VALU_DEP_2) | instskip(NEXT) | instid1(VALU_DEP_1)
	v_bfe_u32 v11, v5, 23, 8
	v_cmpx_ne_u32_e32 0xff, v11
; %bb.2068:
	v_and_b32_e32 v10, 0x400000, v5
	v_and_or_b32 v11, 0x3fffff, v5, v11
	v_lshrrev_b32_e32 v5, 23, v5
	s_delay_alu instid0(VALU_DEP_3) | instskip(NEXT) | instid1(VALU_DEP_3)
	v_cmp_ne_u32_e32 vcc_lo, 0, v10
	v_cmp_ne_u32_e64 s0, 0, v11
	s_delay_alu instid0(VALU_DEP_1) | instskip(NEXT) | instid1(SALU_CYCLE_1)
	s_and_b32 s0, vcc_lo, s0
	v_cndmask_b32_e64 v10, 0, 1, s0
	s_delay_alu instid0(VALU_DEP_1)
	v_add_nc_u32_e32 v10, v5, v10
; %bb.2069:
	s_or_b32 exec_lo, exec_lo, s3
	s_mov_b32 s0, 0
	s_mov_b32 s3, -1
	global_store_b8 v[2:3], v10, off
.LBB241_2070:
	s_mov_b32 s6, 0
.LBB241_2071:
	s_delay_alu instid0(SALU_CYCLE_1)
	s_and_b32 vcc_lo, exec_lo, s6
	s_cbranch_vccz .LBB241_2074
; %bb.2072:
	v_cmp_eq_u16_e32 vcc_lo, 29, v6
	s_mov_b32 s0, -1
	s_cbranch_vccz .LBB241_2074
; %bb.2073:
	v_cvt_f32_f16_e32 v5, v7
	v_mov_b32_e32 v11, 0
	s_mov_b32 s0, 0
	s_mov_b32 s3, -1
	s_delay_alu instid0(VALU_DEP_2)
	v_cvt_u32_f32_e32 v10, v5
	global_store_b64 v[2:3], v[10:11], off
.LBB241_2074:
	s_mov_b32 s6, 0
.LBB241_2075:
	s_delay_alu instid0(SALU_CYCLE_1)
	s_and_b32 vcc_lo, exec_lo, s6
	s_cbranch_vccz .LBB241_2091
; %bb.2076:
	v_cmp_gt_i16_e32 vcc_lo, 27, v6
	s_mov_b32 s3, -1
	s_cbranch_vccnz .LBB241_2082
; %bb.2077:
	v_cmp_lt_i16_e32 vcc_lo, 27, v6
	s_cbranch_vccz .LBB241_2079
; %bb.2078:
	v_cvt_f32_f16_e32 v5, v7
	s_mov_b32 s3, 0
	s_delay_alu instid0(VALU_DEP_1)
	v_cvt_u32_f32_e32 v5, v5
	global_store_b32 v[2:3], v5, off
.LBB241_2079:
	s_and_not1_b32 vcc_lo, exec_lo, s3
	s_cbranch_vccnz .LBB241_2081
; %bb.2080:
	v_cvt_u16_f16_e32 v5, v7
	global_store_b16 v[2:3], v5, off
.LBB241_2081:
	s_mov_b32 s3, 0
.LBB241_2082:
	s_delay_alu instid0(SALU_CYCLE_1)
	s_and_not1_b32 vcc_lo, exec_lo, s3
	s_cbranch_vccnz .LBB241_2090
; %bb.2083:
	v_cvt_f32_f16_e32 v5, v7
	v_mov_b32_e32 v11, 0x80
	s_mov_b32 s3, exec_lo
	s_delay_alu instid0(VALU_DEP_2) | instskip(NEXT) | instid1(VALU_DEP_1)
	v_and_b32_e32 v10, 0x7fffffff, v5
	v_cmpx_gt_u32_e32 0x43800000, v10
	s_cbranch_execz .LBB241_2089
; %bb.2084:
	v_cmp_lt_u32_e32 vcc_lo, 0x3bffffff, v10
	s_mov_b32 s6, 0
                                        ; implicit-def: $vgpr10
	s_and_saveexec_b32 s7, vcc_lo
	s_delay_alu instid0(SALU_CYCLE_1)
	s_xor_b32 s7, exec_lo, s7
	s_cbranch_execz .LBB241_2426
; %bb.2085:
	v_bfe_u32 v10, v5, 20, 1
	s_mov_b32 s6, exec_lo
	s_delay_alu instid0(VALU_DEP_1) | instskip(NEXT) | instid1(VALU_DEP_1)
	v_add3_u32 v10, v5, v10, 0x487ffff
	v_lshrrev_b32_e32 v10, 20, v10
	s_or_saveexec_b32 s7, s7
                                        ; implicit-def: $sgpr10
	s_delay_alu instid0(SALU_CYCLE_1)
	s_xor_b32 exec_lo, exec_lo, s7
	s_cbranch_execnz .LBB241_2427
.LBB241_2086:
	s_or_b32 exec_lo, exec_lo, s7
	v_mov_b32_e32 v11, s10
	s_and_saveexec_b32 s7, s6
.LBB241_2087:
	v_lshrrev_b32_e32 v5, 24, v5
	s_delay_alu instid0(VALU_DEP_1)
	v_and_or_b32 v11, 0x80, v5, v10
.LBB241_2088:
	s_or_b32 exec_lo, exec_lo, s7
.LBB241_2089:
	s_delay_alu instid0(SALU_CYCLE_1)
	s_or_b32 exec_lo, exec_lo, s3
	global_store_b8 v[2:3], v11, off
.LBB241_2090:
	s_mov_b32 s3, -1
.LBB241_2091:
	s_mov_b32 s6, 0
.LBB241_2092:
	s_delay_alu instid0(SALU_CYCLE_1)
	s_and_b32 vcc_lo, exec_lo, s6
	s_cbranch_vccz .LBB241_2132
; %bb.2093:
	v_cmp_lt_i16_e32 vcc_lo, 22, v6
	s_mov_b32 s1, -1
	s_cbranch_vccz .LBB241_2125
; %bb.2094:
	v_cmp_gt_i16_e32 vcc_lo, 24, v6
	s_cbranch_vccnz .LBB241_2114
; %bb.2095:
	v_cmp_lt_i16_e32 vcc_lo, 24, v6
	s_cbranch_vccz .LBB241_2103
; %bb.2096:
	v_cvt_f32_f16_e32 v5, v7
	v_mov_b32_e32 v11, 0x80
	s_mov_b32 s1, exec_lo
	s_delay_alu instid0(VALU_DEP_2) | instskip(NEXT) | instid1(VALU_DEP_1)
	v_and_b32_e32 v10, 0x7fffffff, v5
	v_cmpx_gt_u32_e32 0x47800000, v10
	s_cbranch_execz .LBB241_2102
; %bb.2097:
	v_cmp_lt_u32_e32 vcc_lo, 0x37ffffff, v10
	s_mov_b32 s3, 0
                                        ; implicit-def: $vgpr10
	s_and_saveexec_b32 s6, vcc_lo
	s_delay_alu instid0(SALU_CYCLE_1)
	s_xor_b32 s6, exec_lo, s6
	s_cbranch_execz .LBB241_2432
; %bb.2098:
	v_bfe_u32 v10, v5, 21, 1
	s_mov_b32 s3, exec_lo
	s_delay_alu instid0(VALU_DEP_1) | instskip(NEXT) | instid1(VALU_DEP_1)
	v_add3_u32 v10, v5, v10, 0x88fffff
	v_lshrrev_b32_e32 v10, 21, v10
	s_or_saveexec_b32 s6, s6
                                        ; implicit-def: $sgpr7
	s_delay_alu instid0(SALU_CYCLE_1)
	s_xor_b32 exec_lo, exec_lo, s6
	s_cbranch_execnz .LBB241_2433
.LBB241_2099:
	s_or_b32 exec_lo, exec_lo, s6
	v_mov_b32_e32 v11, s7
	s_and_saveexec_b32 s6, s3
.LBB241_2100:
	v_lshrrev_b32_e32 v5, 24, v5
	s_delay_alu instid0(VALU_DEP_1)
	v_and_or_b32 v11, 0x80, v5, v10
.LBB241_2101:
	s_or_b32 exec_lo, exec_lo, s6
.LBB241_2102:
	s_delay_alu instid0(SALU_CYCLE_1)
	s_or_b32 exec_lo, exec_lo, s1
	s_mov_b32 s1, 0
	global_store_b8 v[2:3], v11, off
.LBB241_2103:
	s_and_b32 vcc_lo, exec_lo, s1
	s_cbranch_vccz .LBB241_2113
; %bb.2104:
	v_cvt_f32_f16_e32 v5, v7
	s_mov_b32 s1, exec_lo
                                        ; implicit-def: $vgpr10
	s_delay_alu instid0(VALU_DEP_1) | instskip(NEXT) | instid1(VALU_DEP_1)
	v_and_b32_e32 v11, 0x7fffffff, v5
	v_cmpx_gt_u32_e32 0x43f00000, v11
	s_xor_b32 s1, exec_lo, s1
	s_cbranch_execz .LBB241_2110
; %bb.2105:
	s_mov_b32 s3, exec_lo
                                        ; implicit-def: $vgpr10
	v_cmpx_lt_u32_e32 0x3c7fffff, v11
	s_xor_b32 s3, exec_lo, s3
; %bb.2106:
	v_bfe_u32 v10, v5, 20, 1
	s_delay_alu instid0(VALU_DEP_1) | instskip(NEXT) | instid1(VALU_DEP_1)
	v_add3_u32 v10, v5, v10, 0x407ffff
	v_and_b32_e32 v11, 0xff00000, v10
	v_lshrrev_b32_e32 v10, 20, v10
	s_delay_alu instid0(VALU_DEP_2) | instskip(NEXT) | instid1(VALU_DEP_2)
	v_cmp_ne_u32_e32 vcc_lo, 0x7f00000, v11
	v_cndmask_b32_e32 v10, 0x7e, v10, vcc_lo
; %bb.2107:
	s_and_not1_saveexec_b32 s3, s3
; %bb.2108:
	v_add_f32_e64 v10, 0x46800000, |v5|
; %bb.2109:
	s_or_b32 exec_lo, exec_lo, s3
                                        ; implicit-def: $vgpr11
.LBB241_2110:
	s_and_not1_saveexec_b32 s1, s1
; %bb.2111:
	v_mov_b32_e32 v10, 0x7f
	v_cmp_lt_u32_e32 vcc_lo, 0x7f800000, v11
	s_delay_alu instid0(VALU_DEP_2)
	v_cndmask_b32_e32 v10, 0x7e, v10, vcc_lo
; %bb.2112:
	s_or_b32 exec_lo, exec_lo, s1
	v_lshrrev_b32_e32 v5, 24, v5
	s_delay_alu instid0(VALU_DEP_1)
	v_and_or_b32 v5, 0x80, v5, v10
	global_store_b8 v[2:3], v5, off
.LBB241_2113:
	s_mov_b32 s1, 0
.LBB241_2114:
	s_delay_alu instid0(SALU_CYCLE_1)
	s_and_not1_b32 vcc_lo, exec_lo, s1
	s_cbranch_vccnz .LBB241_2124
; %bb.2115:
	v_cvt_f32_f16_e32 v5, v7
	s_mov_b32 s1, exec_lo
                                        ; implicit-def: $vgpr10
	s_delay_alu instid0(VALU_DEP_1) | instskip(NEXT) | instid1(VALU_DEP_1)
	v_and_b32_e32 v11, 0x7fffffff, v5
	v_cmpx_gt_u32_e32 0x47800000, v11
	s_xor_b32 s1, exec_lo, s1
	s_cbranch_execz .LBB241_2121
; %bb.2116:
	s_mov_b32 s3, exec_lo
                                        ; implicit-def: $vgpr10
	v_cmpx_lt_u32_e32 0x387fffff, v11
	s_xor_b32 s3, exec_lo, s3
; %bb.2117:
	v_bfe_u32 v10, v5, 21, 1
	s_delay_alu instid0(VALU_DEP_1) | instskip(NEXT) | instid1(VALU_DEP_1)
	v_add3_u32 v10, v5, v10, 0x80fffff
	v_lshrrev_b32_e32 v10, 21, v10
; %bb.2118:
	s_and_not1_saveexec_b32 s3, s3
; %bb.2119:
	v_add_f32_e64 v10, 0x43000000, |v5|
; %bb.2120:
	s_or_b32 exec_lo, exec_lo, s3
                                        ; implicit-def: $vgpr11
.LBB241_2121:
	s_and_not1_saveexec_b32 s1, s1
; %bb.2122:
	v_mov_b32_e32 v10, 0x7f
	v_cmp_lt_u32_e32 vcc_lo, 0x7f800000, v11
	s_delay_alu instid0(VALU_DEP_2)
	v_cndmask_b32_e32 v10, 0x7c, v10, vcc_lo
; %bb.2123:
	s_or_b32 exec_lo, exec_lo, s1
	v_lshrrev_b32_e32 v5, 24, v5
	s_delay_alu instid0(VALU_DEP_1)
	v_and_or_b32 v5, 0x80, v5, v10
	global_store_b8 v[2:3], v5, off
.LBB241_2124:
	s_mov_b32 s1, 0
	s_mov_b32 s3, -1
.LBB241_2125:
	s_and_not1_b32 vcc_lo, exec_lo, s1
	s_mov_b32 s1, 0
	s_cbranch_vccnz .LBB241_2132
; %bb.2126:
	v_cmp_lt_i16_e32 vcc_lo, 14, v6
	s_mov_b32 s1, -1
	s_cbranch_vccz .LBB241_2130
; %bb.2127:
	v_cmp_eq_u16_e32 vcc_lo, 15, v6
	s_mov_b32 s0, -1
	s_cbranch_vccz .LBB241_2129
; %bb.2128:
	v_cvt_f32_f16_e32 v5, v7
	v_cmp_o_f16_e32 vcc_lo, v7, v7
	s_mov_b32 s0, 0
	s_mov_b32 s3, -1
	s_delay_alu instid0(VALU_DEP_2) | instskip(NEXT) | instid1(VALU_DEP_1)
	v_bfe_u32 v10, v5, 16, 1
	v_add3_u32 v5, v5, v10, 0x7fff
	s_delay_alu instid0(VALU_DEP_1) | instskip(NEXT) | instid1(VALU_DEP_1)
	v_lshrrev_b32_e32 v5, 16, v5
	v_cndmask_b32_e32 v5, 0x7fc0, v5, vcc_lo
	global_store_b16 v[2:3], v5, off
.LBB241_2129:
	s_mov_b32 s1, 0
.LBB241_2130:
	s_delay_alu instid0(SALU_CYCLE_1)
	s_and_b32 vcc_lo, exec_lo, s1
	s_mov_b32 s1, 0
	s_cbranch_vccz .LBB241_2132
; %bb.2131:
	v_cmp_ne_u16_e64 s0, 11, v6
	s_mov_b32 s1, -1
.LBB241_2132:
	s_delay_alu instid0(VALU_DEP_1)
	s_and_b32 vcc_lo, exec_lo, s0
	s_cbranch_vccnz .LBB241_2430
; %bb.2133:
	s_and_not1_b32 vcc_lo, exec_lo, s1
	s_cbranch_vccnz .LBB241_2135
.LBB241_2134:
	v_and_b32_e32 v5, 0x7fff7fff, v8
	s_mov_b32 s3, -1
	s_delay_alu instid0(VALU_DEP_1)
	v_cmp_ne_u32_e32 vcc_lo, 0, v5
	v_cndmask_b32_e64 v5, 0, 1, vcc_lo
	global_store_b8 v[2:3], v5, off
.LBB241_2135:
	s_mov_b32 s0, 0
.LBB241_2136:
	s_delay_alu instid0(SALU_CYCLE_1)
	s_and_b32 vcc_lo, exec_lo, s0
	s_cbranch_vccz .LBB241_2175
; %bb.2137:
	v_cmp_gt_i16_e32 vcc_lo, 5, v6
	s_mov_b32 s0, -1
	s_cbranch_vccnz .LBB241_2158
; %bb.2138:
	v_cmp_gt_i16_e32 vcc_lo, 8, v6
	s_cbranch_vccnz .LBB241_2148
; %bb.2139:
	v_cmp_gt_i16_e32 vcc_lo, 9, v6
	s_cbranch_vccnz .LBB241_2145
; %bb.2140:
	v_cmp_lt_i16_e32 vcc_lo, 9, v6
	v_cvt_f32_f16_e32 v5, v4
	s_cbranch_vccz .LBB241_2142
; %bb.2141:
	v_cvt_f32_f16_e32 v4, v7
	s_delay_alu instid0(VALU_DEP_2) | instskip(SKIP_1) | instid1(VALU_DEP_2)
	v_cvt_f64_f32_e32 v[17:18], v5
	s_mov_b32 s0, 0
	v_cvt_f64_f32_e32 v[15:16], v4
	global_store_b128 v[2:3], v[15:18], off
.LBB241_2142:
	s_and_not1_b32 vcc_lo, exec_lo, s0
	s_cbranch_vccnz .LBB241_2144
; %bb.2143:
	v_cvt_f32_f16_e32 v4, v7
	global_store_b64 v[2:3], v[4:5], off
.LBB241_2144:
	s_mov_b32 s0, 0
.LBB241_2145:
	s_delay_alu instid0(SALU_CYCLE_1)
	s_and_not1_b32 vcc_lo, exec_lo, s0
	s_cbranch_vccnz .LBB241_2147
; %bb.2146:
	global_store_b32 v[2:3], v8, off
.LBB241_2147:
	s_mov_b32 s0, 0
.LBB241_2148:
	s_delay_alu instid0(SALU_CYCLE_1)
	s_and_not1_b32 vcc_lo, exec_lo, s0
	s_cbranch_vccnz .LBB241_2157
; %bb.2149:
	v_cmp_gt_i16_e32 vcc_lo, 6, v6
	s_mov_b32 s0, -1
	s_cbranch_vccnz .LBB241_2155
; %bb.2150:
	v_cmp_lt_i16_e32 vcc_lo, 6, v6
	s_cbranch_vccz .LBB241_2152
; %bb.2151:
	v_cvt_f32_f16_e32 v4, v7
	s_mov_b32 s0, 0
	s_delay_alu instid0(VALU_DEP_1)
	v_cvt_f64_f32_e32 v[4:5], v4
	global_store_b64 v[2:3], v[4:5], off
.LBB241_2152:
	s_and_not1_b32 vcc_lo, exec_lo, s0
	s_cbranch_vccnz .LBB241_2154
; %bb.2153:
	v_cvt_f32_f16_e32 v4, v7
	global_store_b32 v[2:3], v4, off
.LBB241_2154:
	s_mov_b32 s0, 0
.LBB241_2155:
	s_delay_alu instid0(SALU_CYCLE_1)
	s_and_not1_b32 vcc_lo, exec_lo, s0
	s_cbranch_vccnz .LBB241_2157
; %bb.2156:
	global_store_b16 v[2:3], v7, off
.LBB241_2157:
	s_mov_b32 s0, 0
.LBB241_2158:
	s_delay_alu instid0(SALU_CYCLE_1)
	s_and_not1_b32 vcc_lo, exec_lo, s0
	s_cbranch_vccnz .LBB241_2174
; %bb.2159:
	v_cmp_gt_i16_e32 vcc_lo, 2, v6
	s_mov_b32 s0, -1
	s_cbranch_vccnz .LBB241_2169
; %bb.2160:
	v_cmp_gt_i16_e32 vcc_lo, 3, v6
	s_cbranch_vccnz .LBB241_2166
; %bb.2161:
	v_cmp_lt_i16_e32 vcc_lo, 3, v6
	s_cbranch_vccz .LBB241_2163
; %bb.2162:
	v_cvt_f32_f16_e32 v4, v7
	s_mov_b32 s0, 0
	s_delay_alu instid0(VALU_DEP_1) | instskip(NEXT) | instid1(VALU_DEP_1)
	v_cvt_i32_f32_e32 v4, v4
	v_ashrrev_i32_e32 v5, 31, v4
	global_store_b64 v[2:3], v[4:5], off
.LBB241_2163:
	s_and_not1_b32 vcc_lo, exec_lo, s0
	s_cbranch_vccnz .LBB241_2165
; %bb.2164:
	v_cvt_f32_f16_e32 v4, v7
	s_delay_alu instid0(VALU_DEP_1)
	v_cvt_i32_f32_e32 v4, v4
	global_store_b32 v[2:3], v4, off
.LBB241_2165:
	s_mov_b32 s0, 0
.LBB241_2166:
	s_delay_alu instid0(SALU_CYCLE_1)
	s_and_not1_b32 vcc_lo, exec_lo, s0
	s_cbranch_vccnz .LBB241_2168
; %bb.2167:
	v_cvt_i16_f16_e32 v4, v7
	global_store_b16 v[2:3], v4, off
.LBB241_2168:
	s_mov_b32 s0, 0
.LBB241_2169:
	s_delay_alu instid0(SALU_CYCLE_1)
	s_and_not1_b32 vcc_lo, exec_lo, s0
	s_cbranch_vccnz .LBB241_2174
; %bb.2170:
	v_cmp_lt_i16_e32 vcc_lo, 0, v6
	s_mov_b32 s0, -1
	s_cbranch_vccz .LBB241_2172
; %bb.2171:
	v_cvt_i16_f16_e32 v4, v7
	s_mov_b32 s0, 0
	global_store_b8 v[2:3], v4, off
.LBB241_2172:
	s_and_not1_b32 vcc_lo, exec_lo, s0
	s_cbranch_vccnz .LBB241_2174
; %bb.2173:
	v_cvt_f32_f16_e32 v4, v7
	s_delay_alu instid0(VALU_DEP_1)
	v_cvt_i32_f32_e32 v4, v4
	global_store_b8 v[2:3], v4, off
.LBB241_2174:
	s_mov_b32 s3, -1
.LBB241_2175:
	s_delay_alu instid0(SALU_CYCLE_1)
	s_and_not1_b32 vcc_lo, exec_lo, s3
	s_cbranch_vccnz .LBB241_2371
; %bb.2176:
	v_cvt_f16_f32_e32 v3, v12
	v_cvt_f16_f32_e32 v5, v13
	v_cmp_gt_i16_e32 vcc_lo, 11, v6
	v_add_co_u32 v1, s0, s4, v1
	s_delay_alu instid0(VALU_DEP_4) | instskip(NEXT) | instid1(VALU_DEP_4)
	v_lshlrev_b32_e32 v4, 16, v3
	v_and_b32_e32 v7, 0xffff, v5
	v_add_co_ci_u32_e64 v2, null, s5, 0, s0
	s_mov_b32 s3, 0
	s_delay_alu instid0(VALU_DEP_2)
	v_or_b32_e32 v7, v4, v7
	s_mov_b32 s0, -1
	s_cbranch_vccnz .LBB241_2254
; %bb.2177:
	v_cmp_lt_i16_e32 vcc_lo, 25, v6
	s_mov_b32 s6, -1
	s_mov_b32 s1, 0
	s_mov_b32 s0, 0
	s_cbranch_vccz .LBB241_2210
; %bb.2178:
	v_cmp_lt_i16_e32 vcc_lo, 28, v6
	s_cbranch_vccz .LBB241_2193
; %bb.2179:
	v_cmp_lt_i16_e32 vcc_lo, 43, v6
	;; [unrolled: 3-line block ×3, first 2 shown]
	s_cbranch_vccz .LBB241_2183
; %bb.2181:
	v_cmp_eq_u16_e32 vcc_lo, 46, v6
	s_mov_b32 s0, -1
	s_mov_b32 s6, 0
	s_cbranch_vccz .LBB241_2183
; %bb.2182:
	v_cvt_f32_f16_e32 v4, v3
	v_cvt_f32_f16_e32 v8, v5
	v_cmp_o_f16_e32 vcc_lo, v3, v3
	s_mov_b32 s0, 0
	s_mov_b32 s3, -1
	v_bfe_u32 v10, v4, 16, 1
	v_bfe_u32 v11, v8, 16, 1
	s_delay_alu instid0(VALU_DEP_2) | instskip(NEXT) | instid1(VALU_DEP_2)
	v_add3_u32 v4, v4, v10, 0x7fff
	v_add3_u32 v8, v8, v11, 0x7fff
	s_delay_alu instid0(VALU_DEP_2) | instskip(NEXT) | instid1(VALU_DEP_2)
	v_and_b32_e32 v4, 0xffff0000, v4
	v_lshrrev_b32_e32 v8, 16, v8
	s_delay_alu instid0(VALU_DEP_2) | instskip(SKIP_1) | instid1(VALU_DEP_3)
	v_cndmask_b32_e32 v4, 0x7fc00000, v4, vcc_lo
	v_cmp_o_f16_e32 vcc_lo, v5, v5
	v_cndmask_b32_e32 v8, 0x7fc0, v8, vcc_lo
	s_delay_alu instid0(VALU_DEP_1)
	v_or_b32_e32 v4, v4, v8
	global_store_b32 v[1:2], v4, off
.LBB241_2183:
	s_and_b32 vcc_lo, exec_lo, s6
	s_cbranch_vccz .LBB241_2188
; %bb.2184:
	v_cmp_eq_u16_e32 vcc_lo, 44, v6
	s_mov_b32 s0, -1
	s_cbranch_vccz .LBB241_2188
; %bb.2185:
	v_cvt_f32_f16_e32 v4, v5
	v_mov_b32_e32 v8, 0xff
	s_mov_b32 s3, exec_lo
	s_delay_alu instid0(VALU_DEP_2) | instskip(NEXT) | instid1(VALU_DEP_1)
	v_bfe_u32 v10, v4, 23, 8
	v_cmpx_ne_u32_e32 0xff, v10
; %bb.2186:
	v_and_b32_e32 v8, 0x400000, v4
	v_and_or_b32 v10, 0x3fffff, v4, v10
	v_lshrrev_b32_e32 v4, 23, v4
	s_delay_alu instid0(VALU_DEP_3) | instskip(NEXT) | instid1(VALU_DEP_3)
	v_cmp_ne_u32_e32 vcc_lo, 0, v8
	v_cmp_ne_u32_e64 s0, 0, v10
	s_delay_alu instid0(VALU_DEP_1) | instskip(NEXT) | instid1(SALU_CYCLE_1)
	s_and_b32 s0, vcc_lo, s0
	v_cndmask_b32_e64 v8, 0, 1, s0
	s_delay_alu instid0(VALU_DEP_1)
	v_add_nc_u32_e32 v8, v4, v8
; %bb.2187:
	s_or_b32 exec_lo, exec_lo, s3
	s_mov_b32 s0, 0
	s_mov_b32 s3, -1
	global_store_b8 v[1:2], v8, off
.LBB241_2188:
	s_mov_b32 s6, 0
.LBB241_2189:
	s_delay_alu instid0(SALU_CYCLE_1)
	s_and_b32 vcc_lo, exec_lo, s6
	s_cbranch_vccz .LBB241_2192
; %bb.2190:
	v_cmp_eq_u16_e32 vcc_lo, 29, v6
	s_mov_b32 s0, -1
	s_cbranch_vccz .LBB241_2192
; %bb.2191:
	v_cvt_f32_f16_e32 v4, v5
	v_mov_b32_e32 v11, 0
	s_mov_b32 s0, 0
	s_mov_b32 s3, -1
	s_delay_alu instid0(VALU_DEP_2)
	v_cvt_u32_f32_e32 v10, v4
	global_store_b64 v[1:2], v[10:11], off
.LBB241_2192:
	s_mov_b32 s6, 0
.LBB241_2193:
	s_delay_alu instid0(SALU_CYCLE_1)
	s_and_b32 vcc_lo, exec_lo, s6
	s_cbranch_vccz .LBB241_2209
; %bb.2194:
	v_cmp_gt_i16_e32 vcc_lo, 27, v6
	s_mov_b32 s3, -1
	s_cbranch_vccnz .LBB241_2200
; %bb.2195:
	v_cmp_lt_i16_e32 vcc_lo, 27, v6
	s_cbranch_vccz .LBB241_2197
; %bb.2196:
	v_cvt_f32_f16_e32 v4, v5
	s_mov_b32 s3, 0
	s_delay_alu instid0(VALU_DEP_1)
	v_cvt_u32_f32_e32 v4, v4
	global_store_b32 v[1:2], v4, off
.LBB241_2197:
	s_and_not1_b32 vcc_lo, exec_lo, s3
	s_cbranch_vccnz .LBB241_2199
; %bb.2198:
	v_cvt_u16_f16_e32 v4, v5
	global_store_b16 v[1:2], v4, off
.LBB241_2199:
	s_mov_b32 s3, 0
.LBB241_2200:
	s_delay_alu instid0(SALU_CYCLE_1)
	s_and_not1_b32 vcc_lo, exec_lo, s3
	s_cbranch_vccnz .LBB241_2208
; %bb.2201:
	v_cvt_f32_f16_e32 v4, v5
	v_mov_b32_e32 v10, 0x80
	s_mov_b32 s3, exec_lo
	s_delay_alu instid0(VALU_DEP_2) | instskip(NEXT) | instid1(VALU_DEP_1)
	v_and_b32_e32 v8, 0x7fffffff, v4
	v_cmpx_gt_u32_e32 0x43800000, v8
	s_cbranch_execz .LBB241_2207
; %bb.2202:
	v_cmp_lt_u32_e32 vcc_lo, 0x3bffffff, v8
	s_mov_b32 s6, 0
                                        ; implicit-def: $vgpr8
	s_and_saveexec_b32 s7, vcc_lo
	s_delay_alu instid0(SALU_CYCLE_1)
	s_xor_b32 s7, exec_lo, s7
	s_cbranch_execz .LBB241_2434
; %bb.2203:
	v_bfe_u32 v8, v4, 20, 1
	s_mov_b32 s6, exec_lo
	s_delay_alu instid0(VALU_DEP_1) | instskip(NEXT) | instid1(VALU_DEP_1)
	v_add3_u32 v8, v4, v8, 0x487ffff
	v_lshrrev_b32_e32 v8, 20, v8
	s_or_saveexec_b32 s7, s7
                                        ; implicit-def: $sgpr10
	s_delay_alu instid0(SALU_CYCLE_1)
	s_xor_b32 exec_lo, exec_lo, s7
	s_cbranch_execnz .LBB241_2435
.LBB241_2204:
	s_or_b32 exec_lo, exec_lo, s7
	v_mov_b32_e32 v10, s10
	s_and_saveexec_b32 s7, s6
.LBB241_2205:
	v_lshrrev_b32_e32 v4, 24, v4
	s_delay_alu instid0(VALU_DEP_1)
	v_and_or_b32 v10, 0x80, v4, v8
.LBB241_2206:
	s_or_b32 exec_lo, exec_lo, s7
.LBB241_2207:
	s_delay_alu instid0(SALU_CYCLE_1)
	s_or_b32 exec_lo, exec_lo, s3
	global_store_b8 v[1:2], v10, off
.LBB241_2208:
	s_mov_b32 s3, -1
.LBB241_2209:
	s_mov_b32 s6, 0
.LBB241_2210:
	s_delay_alu instid0(SALU_CYCLE_1)
	s_and_b32 vcc_lo, exec_lo, s6
	s_cbranch_vccz .LBB241_2250
; %bb.2211:
	v_cmp_lt_i16_e32 vcc_lo, 22, v6
	s_mov_b32 s1, -1
	s_cbranch_vccz .LBB241_2243
; %bb.2212:
	v_cmp_gt_i16_e32 vcc_lo, 24, v6
	s_cbranch_vccnz .LBB241_2232
; %bb.2213:
	v_cmp_lt_i16_e32 vcc_lo, 24, v6
	s_cbranch_vccz .LBB241_2221
; %bb.2214:
	v_cvt_f32_f16_e32 v4, v5
	v_mov_b32_e32 v10, 0x80
	s_mov_b32 s1, exec_lo
	s_delay_alu instid0(VALU_DEP_2) | instskip(NEXT) | instid1(VALU_DEP_1)
	v_and_b32_e32 v8, 0x7fffffff, v4
	v_cmpx_gt_u32_e32 0x47800000, v8
	s_cbranch_execz .LBB241_2220
; %bb.2215:
	v_cmp_lt_u32_e32 vcc_lo, 0x37ffffff, v8
	s_mov_b32 s3, 0
                                        ; implicit-def: $vgpr8
	s_and_saveexec_b32 s6, vcc_lo
	s_delay_alu instid0(SALU_CYCLE_1)
	s_xor_b32 s6, exec_lo, s6
	s_cbranch_execz .LBB241_2440
; %bb.2216:
	v_bfe_u32 v8, v4, 21, 1
	s_mov_b32 s3, exec_lo
	s_delay_alu instid0(VALU_DEP_1) | instskip(NEXT) | instid1(VALU_DEP_1)
	v_add3_u32 v8, v4, v8, 0x88fffff
	v_lshrrev_b32_e32 v8, 21, v8
	s_or_saveexec_b32 s6, s6
                                        ; implicit-def: $sgpr7
	s_delay_alu instid0(SALU_CYCLE_1)
	s_xor_b32 exec_lo, exec_lo, s6
	s_cbranch_execnz .LBB241_2441
.LBB241_2217:
	s_or_b32 exec_lo, exec_lo, s6
	v_mov_b32_e32 v10, s7
	s_and_saveexec_b32 s6, s3
.LBB241_2218:
	v_lshrrev_b32_e32 v4, 24, v4
	s_delay_alu instid0(VALU_DEP_1)
	v_and_or_b32 v10, 0x80, v4, v8
.LBB241_2219:
	s_or_b32 exec_lo, exec_lo, s6
.LBB241_2220:
	s_delay_alu instid0(SALU_CYCLE_1)
	s_or_b32 exec_lo, exec_lo, s1
	s_mov_b32 s1, 0
	global_store_b8 v[1:2], v10, off
.LBB241_2221:
	s_and_b32 vcc_lo, exec_lo, s1
	s_cbranch_vccz .LBB241_2231
; %bb.2222:
	v_cvt_f32_f16_e32 v4, v5
	s_mov_b32 s1, exec_lo
                                        ; implicit-def: $vgpr8
	s_delay_alu instid0(VALU_DEP_1) | instskip(NEXT) | instid1(VALU_DEP_1)
	v_and_b32_e32 v10, 0x7fffffff, v4
	v_cmpx_gt_u32_e32 0x43f00000, v10
	s_xor_b32 s1, exec_lo, s1
	s_cbranch_execz .LBB241_2228
; %bb.2223:
	s_mov_b32 s3, exec_lo
                                        ; implicit-def: $vgpr8
	v_cmpx_lt_u32_e32 0x3c7fffff, v10
	s_xor_b32 s3, exec_lo, s3
; %bb.2224:
	v_bfe_u32 v8, v4, 20, 1
	s_delay_alu instid0(VALU_DEP_1) | instskip(NEXT) | instid1(VALU_DEP_1)
	v_add3_u32 v8, v4, v8, 0x407ffff
	v_and_b32_e32 v10, 0xff00000, v8
	v_lshrrev_b32_e32 v8, 20, v8
	s_delay_alu instid0(VALU_DEP_2) | instskip(NEXT) | instid1(VALU_DEP_2)
	v_cmp_ne_u32_e32 vcc_lo, 0x7f00000, v10
	v_cndmask_b32_e32 v8, 0x7e, v8, vcc_lo
; %bb.2225:
	s_and_not1_saveexec_b32 s3, s3
; %bb.2226:
	v_add_f32_e64 v8, 0x46800000, |v4|
; %bb.2227:
	s_or_b32 exec_lo, exec_lo, s3
                                        ; implicit-def: $vgpr10
.LBB241_2228:
	s_and_not1_saveexec_b32 s1, s1
; %bb.2229:
	v_mov_b32_e32 v8, 0x7f
	v_cmp_lt_u32_e32 vcc_lo, 0x7f800000, v10
	s_delay_alu instid0(VALU_DEP_2)
	v_cndmask_b32_e32 v8, 0x7e, v8, vcc_lo
; %bb.2230:
	s_or_b32 exec_lo, exec_lo, s1
	v_lshrrev_b32_e32 v4, 24, v4
	s_delay_alu instid0(VALU_DEP_1)
	v_and_or_b32 v4, 0x80, v4, v8
	global_store_b8 v[1:2], v4, off
.LBB241_2231:
	s_mov_b32 s1, 0
.LBB241_2232:
	s_delay_alu instid0(SALU_CYCLE_1)
	s_and_not1_b32 vcc_lo, exec_lo, s1
	s_cbranch_vccnz .LBB241_2242
; %bb.2233:
	v_cvt_f32_f16_e32 v4, v5
	s_mov_b32 s1, exec_lo
                                        ; implicit-def: $vgpr8
	s_delay_alu instid0(VALU_DEP_1) | instskip(NEXT) | instid1(VALU_DEP_1)
	v_and_b32_e32 v10, 0x7fffffff, v4
	v_cmpx_gt_u32_e32 0x47800000, v10
	s_xor_b32 s1, exec_lo, s1
	s_cbranch_execz .LBB241_2239
; %bb.2234:
	s_mov_b32 s3, exec_lo
                                        ; implicit-def: $vgpr8
	v_cmpx_lt_u32_e32 0x387fffff, v10
	s_xor_b32 s3, exec_lo, s3
; %bb.2235:
	v_bfe_u32 v8, v4, 21, 1
	s_delay_alu instid0(VALU_DEP_1) | instskip(NEXT) | instid1(VALU_DEP_1)
	v_add3_u32 v8, v4, v8, 0x80fffff
	v_lshrrev_b32_e32 v8, 21, v8
; %bb.2236:
	s_and_not1_saveexec_b32 s3, s3
; %bb.2237:
	v_add_f32_e64 v8, 0x43000000, |v4|
; %bb.2238:
	s_or_b32 exec_lo, exec_lo, s3
                                        ; implicit-def: $vgpr10
.LBB241_2239:
	s_and_not1_saveexec_b32 s1, s1
; %bb.2240:
	v_mov_b32_e32 v8, 0x7f
	v_cmp_lt_u32_e32 vcc_lo, 0x7f800000, v10
	s_delay_alu instid0(VALU_DEP_2)
	v_cndmask_b32_e32 v8, 0x7c, v8, vcc_lo
; %bb.2241:
	s_or_b32 exec_lo, exec_lo, s1
	v_lshrrev_b32_e32 v4, 24, v4
	s_delay_alu instid0(VALU_DEP_1)
	v_and_or_b32 v4, 0x80, v4, v8
	global_store_b8 v[1:2], v4, off
.LBB241_2242:
	s_mov_b32 s1, 0
	s_mov_b32 s3, -1
.LBB241_2243:
	s_and_not1_b32 vcc_lo, exec_lo, s1
	s_mov_b32 s1, 0
	s_cbranch_vccnz .LBB241_2250
; %bb.2244:
	v_cmp_lt_i16_e32 vcc_lo, 14, v6
	s_mov_b32 s1, -1
	s_cbranch_vccz .LBB241_2248
; %bb.2245:
	v_cmp_eq_u16_e32 vcc_lo, 15, v6
	s_mov_b32 s0, -1
	s_cbranch_vccz .LBB241_2247
; %bb.2246:
	v_cvt_f32_f16_e32 v4, v5
	v_cmp_o_f16_e32 vcc_lo, v5, v5
	s_mov_b32 s0, 0
	s_mov_b32 s3, -1
	s_delay_alu instid0(VALU_DEP_2) | instskip(NEXT) | instid1(VALU_DEP_1)
	v_bfe_u32 v8, v4, 16, 1
	v_add3_u32 v4, v4, v8, 0x7fff
	s_delay_alu instid0(VALU_DEP_1) | instskip(NEXT) | instid1(VALU_DEP_1)
	v_lshrrev_b32_e32 v4, 16, v4
	v_cndmask_b32_e32 v4, 0x7fc0, v4, vcc_lo
	global_store_b16 v[1:2], v4, off
.LBB241_2247:
	s_mov_b32 s1, 0
.LBB241_2248:
	s_delay_alu instid0(SALU_CYCLE_1)
	s_and_b32 vcc_lo, exec_lo, s1
	s_mov_b32 s1, 0
	s_cbranch_vccz .LBB241_2250
; %bb.2249:
	v_cmp_ne_u16_e64 s0, 11, v6
	s_mov_b32 s1, -1
.LBB241_2250:
	s_delay_alu instid0(VALU_DEP_1)
	s_and_b32 vcc_lo, exec_lo, s0
	s_cbranch_vccnz .LBB241_2438
; %bb.2251:
	s_and_not1_b32 vcc_lo, exec_lo, s1
	s_cbranch_vccnz .LBB241_2253
.LBB241_2252:
	v_and_b32_e32 v4, 0x7fff7fff, v7
	s_mov_b32 s3, -1
	s_delay_alu instid0(VALU_DEP_1)
	v_cmp_ne_u32_e32 vcc_lo, 0, v4
	v_cndmask_b32_e64 v4, 0, 1, vcc_lo
	global_store_b8 v[1:2], v4, off
.LBB241_2253:
	s_mov_b32 s0, 0
.LBB241_2254:
	s_delay_alu instid0(SALU_CYCLE_1)
	s_and_b32 vcc_lo, exec_lo, s0
	s_cbranch_vccz .LBB241_2293
; %bb.2255:
	v_cmp_gt_i16_e32 vcc_lo, 5, v6
	s_mov_b32 s0, -1
	s_cbranch_vccnz .LBB241_2276
; %bb.2256:
	v_cmp_gt_i16_e32 vcc_lo, 8, v6
	s_cbranch_vccnz .LBB241_2266
; %bb.2257:
	v_cmp_gt_i16_e32 vcc_lo, 9, v6
	s_cbranch_vccnz .LBB241_2263
; %bb.2258:
	v_cmp_lt_i16_e32 vcc_lo, 9, v6
	v_cvt_f32_f16_e32 v4, v3
	s_cbranch_vccz .LBB241_2260
; %bb.2259:
	v_cvt_f32_f16_e32 v3, v5
	s_delay_alu instid0(VALU_DEP_2) | instskip(SKIP_1) | instid1(VALU_DEP_2)
	v_cvt_f64_f32_e32 v[12:13], v4
	s_mov_b32 s0, 0
	v_cvt_f64_f32_e32 v[10:11], v3
	global_store_b128 v[1:2], v[10:13], off
.LBB241_2260:
	s_and_not1_b32 vcc_lo, exec_lo, s0
	s_cbranch_vccnz .LBB241_2262
; %bb.2261:
	v_cvt_f32_f16_e32 v3, v5
	global_store_b64 v[1:2], v[3:4], off
.LBB241_2262:
	s_mov_b32 s0, 0
.LBB241_2263:
	s_delay_alu instid0(SALU_CYCLE_1)
	s_and_not1_b32 vcc_lo, exec_lo, s0
	s_cbranch_vccnz .LBB241_2265
; %bb.2264:
	global_store_b32 v[1:2], v7, off
.LBB241_2265:
	s_mov_b32 s0, 0
.LBB241_2266:
	s_delay_alu instid0(SALU_CYCLE_1)
	s_and_not1_b32 vcc_lo, exec_lo, s0
	s_cbranch_vccnz .LBB241_2275
; %bb.2267:
	v_cmp_gt_i16_e32 vcc_lo, 6, v6
	s_mov_b32 s0, -1
	s_cbranch_vccnz .LBB241_2273
; %bb.2268:
	v_cmp_lt_i16_e32 vcc_lo, 6, v6
	s_cbranch_vccz .LBB241_2270
; %bb.2269:
	v_cvt_f32_f16_e32 v3, v5
	s_mov_b32 s0, 0
	s_delay_alu instid0(VALU_DEP_1)
	v_cvt_f64_f32_e32 v[3:4], v3
	global_store_b64 v[1:2], v[3:4], off
.LBB241_2270:
	s_and_not1_b32 vcc_lo, exec_lo, s0
	s_cbranch_vccnz .LBB241_2272
; %bb.2271:
	v_cvt_f32_f16_e32 v3, v5
	global_store_b32 v[1:2], v3, off
.LBB241_2272:
	s_mov_b32 s0, 0
.LBB241_2273:
	s_delay_alu instid0(SALU_CYCLE_1)
	s_and_not1_b32 vcc_lo, exec_lo, s0
	s_cbranch_vccnz .LBB241_2275
; %bb.2274:
	global_store_b16 v[1:2], v5, off
.LBB241_2275:
	s_mov_b32 s0, 0
.LBB241_2276:
	s_delay_alu instid0(SALU_CYCLE_1)
	s_and_not1_b32 vcc_lo, exec_lo, s0
	s_cbranch_vccnz .LBB241_2292
; %bb.2277:
	v_cmp_gt_i16_e32 vcc_lo, 2, v6
	s_mov_b32 s0, -1
	s_cbranch_vccnz .LBB241_2287
; %bb.2278:
	v_cmp_gt_i16_e32 vcc_lo, 3, v6
	s_cbranch_vccnz .LBB241_2284
; %bb.2279:
	v_cmp_lt_i16_e32 vcc_lo, 3, v6
	s_cbranch_vccz .LBB241_2281
; %bb.2280:
	v_cvt_f32_f16_e32 v3, v5
	s_mov_b32 s0, 0
	s_delay_alu instid0(VALU_DEP_1) | instskip(NEXT) | instid1(VALU_DEP_1)
	v_cvt_i32_f32_e32 v3, v3
	v_ashrrev_i32_e32 v4, 31, v3
	global_store_b64 v[1:2], v[3:4], off
.LBB241_2281:
	s_and_not1_b32 vcc_lo, exec_lo, s0
	s_cbranch_vccnz .LBB241_2283
; %bb.2282:
	v_cvt_f32_f16_e32 v3, v5
	s_delay_alu instid0(VALU_DEP_1)
	v_cvt_i32_f32_e32 v3, v3
	global_store_b32 v[1:2], v3, off
.LBB241_2283:
	s_mov_b32 s0, 0
.LBB241_2284:
	s_delay_alu instid0(SALU_CYCLE_1)
	s_and_not1_b32 vcc_lo, exec_lo, s0
	s_cbranch_vccnz .LBB241_2286
; %bb.2285:
	v_cvt_i16_f16_e32 v3, v5
	global_store_b16 v[1:2], v3, off
.LBB241_2286:
	s_mov_b32 s0, 0
.LBB241_2287:
	s_delay_alu instid0(SALU_CYCLE_1)
	s_and_not1_b32 vcc_lo, exec_lo, s0
	s_cbranch_vccnz .LBB241_2292
; %bb.2288:
	v_cmp_lt_i16_e32 vcc_lo, 0, v6
	s_mov_b32 s0, -1
	s_cbranch_vccz .LBB241_2290
; %bb.2289:
	v_cvt_i16_f16_e32 v3, v5
	s_mov_b32 s0, 0
	global_store_b8 v[1:2], v3, off
.LBB241_2290:
	s_and_not1_b32 vcc_lo, exec_lo, s0
	s_cbranch_vccnz .LBB241_2292
; %bb.2291:
	v_cvt_f32_f16_e32 v3, v5
	s_delay_alu instid0(VALU_DEP_1)
	v_cvt_i32_f32_e32 v3, v3
	global_store_b8 v[1:2], v3, off
.LBB241_2292:
	s_mov_b32 s3, -1
.LBB241_2293:
	s_delay_alu instid0(SALU_CYCLE_1)
	s_and_not1_b32 vcc_lo, exec_lo, s3
	s_cbranch_vccnz .LBB241_2371
; %bb.2294:
	v_cmp_gt_i16_e32 vcc_lo, 11, v6
	v_add_co_u32 v0, s0, s4, v0
	v_cvt_f16_f32_e32 v2, v14
	v_cvt_f16_f32_e32 v3, v9
	v_add_co_ci_u32_e64 v1, null, s5, 0, s0
	s_mov_b32 s1, 0
	s_mov_b32 s0, -1
	s_cbranch_vccnz .LBB241_2370
; %bb.2295:
	v_cmp_lt_i16_e32 vcc_lo, 25, v6
	s_mov_b32 s3, -1
	s_mov_b32 s0, 0
	s_cbranch_vccz .LBB241_2328
; %bb.2296:
	v_cmp_lt_i16_e32 vcc_lo, 28, v6
	s_cbranch_vccz .LBB241_2312
; %bb.2297:
	v_cmp_lt_i16_e32 vcc_lo, 43, v6
	;; [unrolled: 3-line block ×3, first 2 shown]
	s_cbranch_vccz .LBB241_2302
; %bb.2299:
	v_cmp_eq_u16_e32 vcc_lo, 46, v6
	s_mov_b32 s0, -1
	s_cbranch_vccz .LBB241_2301
; %bb.2300:
	v_cvt_f32_f16_e32 v4, v3
	v_cvt_f32_f16_e32 v5, v2
	v_cmp_o_f16_e32 vcc_lo, v3, v3
	s_mov_b32 s0, 0
	s_delay_alu instid0(VALU_DEP_3) | instskip(NEXT) | instid1(VALU_DEP_3)
	v_bfe_u32 v7, v4, 16, 1
	v_bfe_u32 v8, v5, 16, 1
	s_delay_alu instid0(VALU_DEP_2) | instskip(NEXT) | instid1(VALU_DEP_2)
	v_add3_u32 v4, v4, v7, 0x7fff
	v_add3_u32 v5, v5, v8, 0x7fff
	s_delay_alu instid0(VALU_DEP_2) | instskip(NEXT) | instid1(VALU_DEP_2)
	v_and_b32_e32 v4, 0xffff0000, v4
	v_lshrrev_b32_e32 v5, 16, v5
	s_delay_alu instid0(VALU_DEP_2) | instskip(SKIP_1) | instid1(VALU_DEP_3)
	v_cndmask_b32_e32 v4, 0x7fc00000, v4, vcc_lo
	v_cmp_o_f16_e32 vcc_lo, v2, v2
	v_cndmask_b32_e32 v5, 0x7fc0, v5, vcc_lo
	s_delay_alu instid0(VALU_DEP_1)
	v_or_b32_e32 v4, v4, v5
	global_store_b32 v[0:1], v4, off
.LBB241_2301:
	s_mov_b32 s3, 0
.LBB241_2302:
	s_delay_alu instid0(SALU_CYCLE_1)
	s_and_b32 vcc_lo, exec_lo, s3
	s_cbranch_vccz .LBB241_2307
; %bb.2303:
	v_cmp_eq_u16_e32 vcc_lo, 44, v6
	s_mov_b32 s0, -1
	s_cbranch_vccz .LBB241_2307
; %bb.2304:
	v_cvt_f32_f16_e32 v4, v2
	v_mov_b32_e32 v5, 0xff
	s_mov_b32 s3, exec_lo
	s_delay_alu instid0(VALU_DEP_2) | instskip(NEXT) | instid1(VALU_DEP_1)
	v_bfe_u32 v7, v4, 23, 8
	v_cmpx_ne_u32_e32 0xff, v7
; %bb.2305:
	v_and_b32_e32 v5, 0x400000, v4
	v_and_or_b32 v7, 0x3fffff, v4, v7
	v_lshrrev_b32_e32 v4, 23, v4
	s_delay_alu instid0(VALU_DEP_3) | instskip(NEXT) | instid1(VALU_DEP_3)
	v_cmp_ne_u32_e32 vcc_lo, 0, v5
	v_cmp_ne_u32_e64 s0, 0, v7
	s_delay_alu instid0(VALU_DEP_1) | instskip(NEXT) | instid1(SALU_CYCLE_1)
	s_and_b32 s0, vcc_lo, s0
	v_cndmask_b32_e64 v5, 0, 1, s0
	s_delay_alu instid0(VALU_DEP_1)
	v_add_nc_u32_e32 v5, v4, v5
; %bb.2306:
	s_or_b32 exec_lo, exec_lo, s3
	s_mov_b32 s0, 0
	global_store_b8 v[0:1], v5, off
.LBB241_2307:
	s_mov_b32 s3, 0
.LBB241_2308:
	s_delay_alu instid0(SALU_CYCLE_1)
	s_and_b32 vcc_lo, exec_lo, s3
	s_cbranch_vccz .LBB241_2311
; %bb.2309:
	v_cmp_eq_u16_e32 vcc_lo, 29, v6
	s_mov_b32 s0, -1
	s_cbranch_vccz .LBB241_2311
; %bb.2310:
	v_cvt_f32_f16_e32 v4, v2
	v_mov_b32_e32 v5, 0
	s_mov_b32 s0, 0
	s_delay_alu instid0(VALU_DEP_2)
	v_cvt_u32_f32_e32 v4, v4
	global_store_b64 v[0:1], v[4:5], off
.LBB241_2311:
	s_mov_b32 s3, 0
.LBB241_2312:
	s_delay_alu instid0(SALU_CYCLE_1)
	s_and_b32 vcc_lo, exec_lo, s3
	s_cbranch_vccz .LBB241_2327
; %bb.2313:
	v_cmp_gt_i16_e32 vcc_lo, 27, v6
	s_mov_b32 s3, -1
	s_cbranch_vccnz .LBB241_2319
; %bb.2314:
	v_cmp_lt_i16_e32 vcc_lo, 27, v6
	s_cbranch_vccz .LBB241_2316
; %bb.2315:
	v_cvt_f32_f16_e32 v4, v2
	s_mov_b32 s3, 0
	s_delay_alu instid0(VALU_DEP_1)
	v_cvt_u32_f32_e32 v4, v4
	global_store_b32 v[0:1], v4, off
.LBB241_2316:
	s_and_not1_b32 vcc_lo, exec_lo, s3
	s_cbranch_vccnz .LBB241_2318
; %bb.2317:
	v_cvt_u16_f16_e32 v4, v2
	global_store_b16 v[0:1], v4, off
.LBB241_2318:
	s_mov_b32 s3, 0
.LBB241_2319:
	s_delay_alu instid0(SALU_CYCLE_1)
	s_and_not1_b32 vcc_lo, exec_lo, s3
	s_cbranch_vccnz .LBB241_2327
; %bb.2320:
	v_cvt_f32_f16_e32 v4, v2
	v_mov_b32_e32 v7, 0x80
	s_mov_b32 s3, exec_lo
	s_delay_alu instid0(VALU_DEP_2) | instskip(NEXT) | instid1(VALU_DEP_1)
	v_and_b32_e32 v5, 0x7fffffff, v4
	v_cmpx_gt_u32_e32 0x43800000, v5
	s_cbranch_execz .LBB241_2326
; %bb.2321:
	v_cmp_lt_u32_e32 vcc_lo, 0x3bffffff, v5
	s_mov_b32 s4, 0
                                        ; implicit-def: $vgpr5
	s_and_saveexec_b32 s5, vcc_lo
	s_delay_alu instid0(SALU_CYCLE_1)
	s_xor_b32 s5, exec_lo, s5
	s_cbranch_execz .LBB241_2442
; %bb.2322:
	v_bfe_u32 v5, v4, 20, 1
	s_mov_b32 s4, exec_lo
	s_delay_alu instid0(VALU_DEP_1) | instskip(NEXT) | instid1(VALU_DEP_1)
	v_add3_u32 v5, v4, v5, 0x487ffff
	v_lshrrev_b32_e32 v5, 20, v5
	s_or_saveexec_b32 s5, s5
                                        ; implicit-def: $sgpr6
	s_delay_alu instid0(SALU_CYCLE_1)
	s_xor_b32 exec_lo, exec_lo, s5
	s_cbranch_execnz .LBB241_2443
.LBB241_2323:
	s_or_b32 exec_lo, exec_lo, s5
	v_mov_b32_e32 v7, s6
	s_and_saveexec_b32 s5, s4
.LBB241_2324:
	v_lshrrev_b32_e32 v4, 24, v4
	s_delay_alu instid0(VALU_DEP_1)
	v_and_or_b32 v7, 0x80, v4, v5
.LBB241_2325:
	s_or_b32 exec_lo, exec_lo, s5
.LBB241_2326:
	s_delay_alu instid0(SALU_CYCLE_1)
	s_or_b32 exec_lo, exec_lo, s3
	global_store_b8 v[0:1], v7, off
.LBB241_2327:
	s_mov_b32 s3, 0
.LBB241_2328:
	s_delay_alu instid0(SALU_CYCLE_1)
	s_and_b32 vcc_lo, exec_lo, s3
	s_cbranch_vccz .LBB241_2368
; %bb.2329:
	v_cmp_lt_i16_e32 vcc_lo, 22, v6
	s_mov_b32 s1, -1
	s_cbranch_vccz .LBB241_2361
; %bb.2330:
	v_cmp_gt_i16_e32 vcc_lo, 24, v6
	s_cbranch_vccnz .LBB241_2350
; %bb.2331:
	v_cmp_lt_i16_e32 vcc_lo, 24, v6
	s_cbranch_vccz .LBB241_2339
; %bb.2332:
	v_cvt_f32_f16_e32 v4, v2
	v_mov_b32_e32 v7, 0x80
	s_mov_b32 s1, exec_lo
	s_delay_alu instid0(VALU_DEP_2) | instskip(NEXT) | instid1(VALU_DEP_1)
	v_and_b32_e32 v5, 0x7fffffff, v4
	v_cmpx_gt_u32_e32 0x47800000, v5
	s_cbranch_execz .LBB241_2338
; %bb.2333:
	v_cmp_lt_u32_e32 vcc_lo, 0x37ffffff, v5
	s_mov_b32 s3, 0
                                        ; implicit-def: $vgpr5
	s_and_saveexec_b32 s4, vcc_lo
	s_delay_alu instid0(SALU_CYCLE_1)
	s_xor_b32 s4, exec_lo, s4
	s_cbranch_execz .LBB241_2448
; %bb.2334:
	v_bfe_u32 v5, v4, 21, 1
	s_mov_b32 s3, exec_lo
	s_delay_alu instid0(VALU_DEP_1) | instskip(NEXT) | instid1(VALU_DEP_1)
	v_add3_u32 v5, v4, v5, 0x88fffff
	v_lshrrev_b32_e32 v5, 21, v5
	s_or_saveexec_b32 s4, s4
                                        ; implicit-def: $sgpr5
	s_delay_alu instid0(SALU_CYCLE_1)
	s_xor_b32 exec_lo, exec_lo, s4
	s_cbranch_execnz .LBB241_2449
.LBB241_2335:
	s_or_b32 exec_lo, exec_lo, s4
	v_mov_b32_e32 v7, s5
	s_and_saveexec_b32 s4, s3
.LBB241_2336:
	v_lshrrev_b32_e32 v4, 24, v4
	s_delay_alu instid0(VALU_DEP_1)
	v_and_or_b32 v7, 0x80, v4, v5
.LBB241_2337:
	s_or_b32 exec_lo, exec_lo, s4
.LBB241_2338:
	s_delay_alu instid0(SALU_CYCLE_1)
	s_or_b32 exec_lo, exec_lo, s1
	s_mov_b32 s1, 0
	global_store_b8 v[0:1], v7, off
.LBB241_2339:
	s_and_b32 vcc_lo, exec_lo, s1
	s_cbranch_vccz .LBB241_2349
; %bb.2340:
	v_cvt_f32_f16_e32 v4, v2
	s_mov_b32 s1, exec_lo
                                        ; implicit-def: $vgpr5
	s_delay_alu instid0(VALU_DEP_1) | instskip(NEXT) | instid1(VALU_DEP_1)
	v_and_b32_e32 v7, 0x7fffffff, v4
	v_cmpx_gt_u32_e32 0x43f00000, v7
	s_xor_b32 s1, exec_lo, s1
	s_cbranch_execz .LBB241_2346
; %bb.2341:
	s_mov_b32 s3, exec_lo
                                        ; implicit-def: $vgpr5
	v_cmpx_lt_u32_e32 0x3c7fffff, v7
	s_xor_b32 s3, exec_lo, s3
; %bb.2342:
	v_bfe_u32 v5, v4, 20, 1
	s_delay_alu instid0(VALU_DEP_1) | instskip(NEXT) | instid1(VALU_DEP_1)
	v_add3_u32 v5, v4, v5, 0x407ffff
	v_and_b32_e32 v7, 0xff00000, v5
	v_lshrrev_b32_e32 v5, 20, v5
	s_delay_alu instid0(VALU_DEP_2) | instskip(NEXT) | instid1(VALU_DEP_2)
	v_cmp_ne_u32_e32 vcc_lo, 0x7f00000, v7
	v_cndmask_b32_e32 v5, 0x7e, v5, vcc_lo
; %bb.2343:
	s_and_not1_saveexec_b32 s3, s3
; %bb.2344:
	v_add_f32_e64 v5, 0x46800000, |v4|
; %bb.2345:
	s_or_b32 exec_lo, exec_lo, s3
                                        ; implicit-def: $vgpr7
.LBB241_2346:
	s_and_not1_saveexec_b32 s1, s1
; %bb.2347:
	v_mov_b32_e32 v5, 0x7f
	v_cmp_lt_u32_e32 vcc_lo, 0x7f800000, v7
	s_delay_alu instid0(VALU_DEP_2)
	v_cndmask_b32_e32 v5, 0x7e, v5, vcc_lo
; %bb.2348:
	s_or_b32 exec_lo, exec_lo, s1
	v_lshrrev_b32_e32 v4, 24, v4
	s_delay_alu instid0(VALU_DEP_1)
	v_and_or_b32 v4, 0x80, v4, v5
	global_store_b8 v[0:1], v4, off
.LBB241_2349:
	s_mov_b32 s1, 0
.LBB241_2350:
	s_delay_alu instid0(SALU_CYCLE_1)
	s_and_not1_b32 vcc_lo, exec_lo, s1
	s_cbranch_vccnz .LBB241_2360
; %bb.2351:
	v_cvt_f32_f16_e32 v4, v2
	s_mov_b32 s1, exec_lo
                                        ; implicit-def: $vgpr5
	s_delay_alu instid0(VALU_DEP_1) | instskip(NEXT) | instid1(VALU_DEP_1)
	v_and_b32_e32 v7, 0x7fffffff, v4
	v_cmpx_gt_u32_e32 0x47800000, v7
	s_xor_b32 s1, exec_lo, s1
	s_cbranch_execz .LBB241_2357
; %bb.2352:
	s_mov_b32 s3, exec_lo
                                        ; implicit-def: $vgpr5
	v_cmpx_lt_u32_e32 0x387fffff, v7
	s_xor_b32 s3, exec_lo, s3
; %bb.2353:
	v_bfe_u32 v5, v4, 21, 1
	s_delay_alu instid0(VALU_DEP_1) | instskip(NEXT) | instid1(VALU_DEP_1)
	v_add3_u32 v5, v4, v5, 0x80fffff
	v_lshrrev_b32_e32 v5, 21, v5
; %bb.2354:
	s_and_not1_saveexec_b32 s3, s3
; %bb.2355:
	v_add_f32_e64 v5, 0x43000000, |v4|
; %bb.2356:
	s_or_b32 exec_lo, exec_lo, s3
                                        ; implicit-def: $vgpr7
.LBB241_2357:
	s_and_not1_saveexec_b32 s1, s1
; %bb.2358:
	v_mov_b32_e32 v5, 0x7f
	v_cmp_lt_u32_e32 vcc_lo, 0x7f800000, v7
	s_delay_alu instid0(VALU_DEP_2)
	v_cndmask_b32_e32 v5, 0x7c, v5, vcc_lo
; %bb.2359:
	s_or_b32 exec_lo, exec_lo, s1
	v_lshrrev_b32_e32 v4, 24, v4
	s_delay_alu instid0(VALU_DEP_1)
	v_and_or_b32 v4, 0x80, v4, v5
	global_store_b8 v[0:1], v4, off
.LBB241_2360:
	s_mov_b32 s1, 0
.LBB241_2361:
	s_delay_alu instid0(SALU_CYCLE_1)
	s_and_not1_b32 vcc_lo, exec_lo, s1
	s_mov_b32 s1, 0
	s_cbranch_vccnz .LBB241_2368
; %bb.2362:
	v_cmp_lt_i16_e32 vcc_lo, 14, v6
	s_mov_b32 s1, -1
	s_cbranch_vccz .LBB241_2366
; %bb.2363:
	v_cmp_eq_u16_e32 vcc_lo, 15, v6
	s_mov_b32 s0, -1
	s_cbranch_vccz .LBB241_2365
; %bb.2364:
	v_cvt_f32_f16_e32 v4, v2
	v_cmp_o_f16_e32 vcc_lo, v2, v2
	s_mov_b32 s0, 0
	s_delay_alu instid0(VALU_DEP_2) | instskip(NEXT) | instid1(VALU_DEP_1)
	v_bfe_u32 v5, v4, 16, 1
	v_add3_u32 v4, v4, v5, 0x7fff
	s_delay_alu instid0(VALU_DEP_1) | instskip(NEXT) | instid1(VALU_DEP_1)
	v_lshrrev_b32_e32 v4, 16, v4
	v_cndmask_b32_e32 v4, 0x7fc0, v4, vcc_lo
	global_store_b16 v[0:1], v4, off
.LBB241_2365:
	s_mov_b32 s1, 0
.LBB241_2366:
	s_delay_alu instid0(SALU_CYCLE_1)
	s_and_b32 vcc_lo, exec_lo, s1
	s_mov_b32 s1, 0
	s_cbranch_vccz .LBB241_2368
; %bb.2367:
	v_cmp_ne_u16_e64 s0, 11, v6
	s_mov_b32 s1, -1
.LBB241_2368:
	s_delay_alu instid0(VALU_DEP_1)
	s_and_b32 vcc_lo, exec_lo, s0
	s_cbranch_vccnz .LBB241_2446
.LBB241_2369:
	s_mov_b32 s0, 0
.LBB241_2370:
	v_lshlrev_b32_e32 v4, 16, v3
	v_and_b32_e32 v5, 0xffff, v2
	s_delay_alu instid0(VALU_DEP_1)
	v_or_b32_e32 v4, v4, v5
	s_branch .LBB241_2372
.LBB241_2371:
	s_mov_b32 s0, 0
	s_mov_b32 s1, 0
                                        ; implicit-def: $vgpr0_vgpr1
                                        ; implicit-def: $vgpr6
                                        ; implicit-def: $vgpr4
                                        ; implicit-def: $vgpr3
                                        ; implicit-def: $vgpr2
.LBB241_2372:
	s_and_b32 s3, s0, exec_lo
	s_and_not1_b32 s0, s8, exec_lo
	s_and_b32 s2, s2, exec_lo
	s_and_b32 s26, s1, exec_lo
	s_or_b32 s8, s0, s2
.LBB241_2373:
	s_or_b32 exec_lo, exec_lo, s9
	s_and_saveexec_b32 s0, s8
	s_cbranch_execz .LBB241_2376
; %bb.2374:
	; divergent unreachable
	s_or_b32 exec_lo, exec_lo, s0
	s_and_saveexec_b32 s0, s26
	s_delay_alu instid0(SALU_CYCLE_1)
	s_xor_b32 s0, exec_lo, s0
	s_cbranch_execnz .LBB241_2377
.LBB241_2375:
	s_or_b32 exec_lo, exec_lo, s0
	s_and_saveexec_b32 s0, s3
	s_cbranch_execnz .LBB241_2378
	s_branch .LBB241_2415
.LBB241_2376:
	s_or_b32 exec_lo, exec_lo, s0
	s_and_saveexec_b32 s0, s26
	s_delay_alu instid0(SALU_CYCLE_1)
	s_xor_b32 s0, exec_lo, s0
	s_cbranch_execz .LBB241_2375
.LBB241_2377:
	v_and_b32_e32 v5, 0x7fff7fff, v4
	s_delay_alu instid0(VALU_DEP_1)
	v_cmp_ne_u32_e32 vcc_lo, 0, v5
	v_cndmask_b32_e64 v5, 0, 1, vcc_lo
	global_store_b8 v[0:1], v5, off
	s_or_b32 exec_lo, exec_lo, s0
	s_and_saveexec_b32 s0, s3
	s_cbranch_execz .LBB241_2415
.LBB241_2378:
	s_waitcnt vmcnt(0)
	v_cmp_gt_i16_e32 vcc_lo, 5, v6
	s_mov_b32 s0, -1
	s_cbranch_vccnz .LBB241_2399
; %bb.2379:
	v_cmp_gt_i16_e32 vcc_lo, 8, v6
	s_cbranch_vccnz .LBB241_2389
; %bb.2380:
	v_cmp_gt_i16_e32 vcc_lo, 9, v6
	s_cbranch_vccnz .LBB241_2386
; %bb.2381:
	v_cmp_lt_i16_e32 vcc_lo, 9, v6
	s_cbranch_vccz .LBB241_2383
; %bb.2382:
	v_cvt_f32_f16_e32 v5, v2
	v_cvt_f32_f16_e32 v9, v3
	s_mov_b32 s0, 0
	s_delay_alu instid0(VALU_DEP_2) | instskip(NEXT) | instid1(VALU_DEP_2)
	v_cvt_f64_f32_e32 v[7:8], v5
	v_cvt_f64_f32_e32 v[9:10], v9
	global_store_b128 v[0:1], v[7:10], off
.LBB241_2383:
	s_and_not1_b32 vcc_lo, exec_lo, s0
	s_cbranch_vccnz .LBB241_2385
; %bb.2384:
	v_cvt_f32_f16_e32 v7, v2
	v_cvt_f32_f16_e32 v8, v3
	global_store_b64 v[0:1], v[7:8], off
.LBB241_2385:
	s_mov_b32 s0, 0
.LBB241_2386:
	s_delay_alu instid0(SALU_CYCLE_1)
	s_and_not1_b32 vcc_lo, exec_lo, s0
	s_cbranch_vccnz .LBB241_2388
; %bb.2387:
	global_store_b32 v[0:1], v4, off
.LBB241_2388:
	s_mov_b32 s0, 0
.LBB241_2389:
	s_delay_alu instid0(SALU_CYCLE_1)
	s_and_not1_b32 vcc_lo, exec_lo, s0
	s_cbranch_vccnz .LBB241_2398
; %bb.2390:
	v_cmp_gt_i16_e32 vcc_lo, 6, v6
	s_mov_b32 s0, -1
	s_cbranch_vccnz .LBB241_2396
; %bb.2391:
	v_cmp_lt_i16_e32 vcc_lo, 6, v6
	s_cbranch_vccz .LBB241_2393
; %bb.2392:
	v_cvt_f32_f16_e32 v3, v2
	s_mov_b32 s0, 0
	s_delay_alu instid0(VALU_DEP_1)
	v_cvt_f64_f32_e32 v[3:4], v3
	global_store_b64 v[0:1], v[3:4], off
.LBB241_2393:
	s_and_not1_b32 vcc_lo, exec_lo, s0
	s_cbranch_vccnz .LBB241_2395
; %bb.2394:
	v_cvt_f32_f16_e32 v3, v2
	global_store_b32 v[0:1], v3, off
.LBB241_2395:
	s_mov_b32 s0, 0
.LBB241_2396:
	s_delay_alu instid0(SALU_CYCLE_1)
	s_and_not1_b32 vcc_lo, exec_lo, s0
	s_cbranch_vccnz .LBB241_2398
; %bb.2397:
	global_store_b16 v[0:1], v2, off
.LBB241_2398:
	s_mov_b32 s0, 0
.LBB241_2399:
	s_delay_alu instid0(SALU_CYCLE_1)
	s_and_not1_b32 vcc_lo, exec_lo, s0
	s_cbranch_vccnz .LBB241_2415
; %bb.2400:
	v_cmp_gt_i16_e32 vcc_lo, 2, v6
	s_mov_b32 s0, -1
	s_cbranch_vccnz .LBB241_2410
; %bb.2401:
	v_cmp_gt_i16_e32 vcc_lo, 3, v6
	s_cbranch_vccnz .LBB241_2407
; %bb.2402:
	v_cmp_lt_i16_e32 vcc_lo, 3, v6
	s_cbranch_vccz .LBB241_2404
; %bb.2403:
	v_cvt_f32_f16_e32 v3, v2
	s_mov_b32 s0, 0
	s_delay_alu instid0(VALU_DEP_1) | instskip(NEXT) | instid1(VALU_DEP_1)
	v_cvt_i32_f32_e32 v3, v3
	v_ashrrev_i32_e32 v4, 31, v3
	global_store_b64 v[0:1], v[3:4], off
.LBB241_2404:
	s_and_not1_b32 vcc_lo, exec_lo, s0
	s_cbranch_vccnz .LBB241_2406
; %bb.2405:
	v_cvt_f32_f16_e32 v3, v2
	s_delay_alu instid0(VALU_DEP_1)
	v_cvt_i32_f32_e32 v3, v3
	global_store_b32 v[0:1], v3, off
.LBB241_2406:
	s_mov_b32 s0, 0
.LBB241_2407:
	s_delay_alu instid0(SALU_CYCLE_1)
	s_and_not1_b32 vcc_lo, exec_lo, s0
	s_cbranch_vccnz .LBB241_2409
; %bb.2408:
	v_cvt_i16_f16_e32 v3, v2
	global_store_b16 v[0:1], v3, off
.LBB241_2409:
	s_mov_b32 s0, 0
.LBB241_2410:
	s_delay_alu instid0(SALU_CYCLE_1)
	s_and_not1_b32 vcc_lo, exec_lo, s0
	s_cbranch_vccnz .LBB241_2415
; %bb.2411:
	v_cmp_lt_i16_e32 vcc_lo, 0, v6
	s_mov_b32 s0, -1
	s_cbranch_vccz .LBB241_2413
; %bb.2412:
	v_cvt_i16_f16_e32 v3, v2
	s_mov_b32 s0, 0
	global_store_b8 v[0:1], v3, off
.LBB241_2413:
	s_and_not1_b32 vcc_lo, exec_lo, s0
	s_cbranch_vccnz .LBB241_2415
; %bb.2414:
	v_cvt_f32_f16_e32 v2, v2
	s_delay_alu instid0(VALU_DEP_1)
	v_cvt_i32_f32_e32 v2, v2
	global_store_b8 v[0:1], v2, off
	s_nop 0
	s_sendmsg sendmsg(MSG_DEALLOC_VGPRS)
	s_endpgm
.LBB241_2415:
	s_nop 0
	s_sendmsg sendmsg(MSG_DEALLOC_VGPRS)
	s_endpgm
.LBB241_2416:
	s_cbranch_execnz .LBB241_2420
; %bb.2417:
	s_or_b32 s2, s2, exec_lo
                                        ; implicit-def: $vgpr14
                                        ; implicit-def: $vgpr6
	s_cbranch_execz .LBB241_1856
	s_branch .LBB241_1857
.LBB241_2418:
	s_or_saveexec_b32 s7, s7
                                        ; implicit-def: $sgpr10
	s_delay_alu instid0(SALU_CYCLE_1)
	s_xor_b32 exec_lo, exec_lo, s7
	s_cbranch_execz .LBB241_1968
.LBB241_2419:
	v_add_f32_e64 v16, 0x46000000, |v15|
	s_and_not1_b32 s6, s6, exec_lo
	s_mov_b32 s10, 0
	s_delay_alu instid0(VALU_DEP_1) | instskip(NEXT) | instid1(VALU_DEP_1)
	v_and_b32_e32 v16, 0xff, v16
	v_cmp_ne_u32_e32 vcc_lo, 0, v16
	s_and_b32 s11, vcc_lo, exec_lo
	s_delay_alu instid0(SALU_CYCLE_1)
	s_or_b32 s6, s6, s11
	s_or_b32 exec_lo, exec_lo, s7
	v_mov_b32_e32 v17, s10
	s_and_saveexec_b32 s7, s6
	s_cbranch_execnz .LBB241_1969
	s_branch .LBB241_1970
.LBB241_2420:
	s_trap 2
	s_sendmsg_rtn_b32 s0, sendmsg(MSG_RTN_GET_DOORBELL)
	s_mov_b32 ttmp2, m0
	s_waitcnt lgkmcnt(0)
	s_and_b32 s0, s0, 0x3ff
	s_delay_alu instid0(SALU_CYCLE_1) | instskip(NEXT) | instid1(SALU_CYCLE_1)
	s_bitset1_b32 s0, 10
	s_mov_b32 m0, s0
	s_sendmsg sendmsg(MSG_INTERRUPT)
	s_mov_b32 m0, ttmp2
.LBB241_2421:                           ; =>This Inner Loop Header: Depth=1
	s_sethalt 5
	s_branch .LBB241_2421
.LBB241_2422:
	s_cbranch_execnz .LBB241_2428
; %bb.2423:
	s_or_b32 s2, s2, exec_lo
	s_cbranch_execz .LBB241_2016
	s_branch .LBB241_2017
.LBB241_2424:
	s_or_saveexec_b32 s6, s6
                                        ; implicit-def: $sgpr7
	s_delay_alu instid0(SALU_CYCLE_1)
	s_xor_b32 exec_lo, exec_lo, s6
	s_cbranch_execz .LBB241_1981
.LBB241_2425:
	v_add_f32_e64 v16, 0x42800000, |v15|
	s_and_not1_b32 s3, s3, exec_lo
	s_mov_b32 s7, 0
	s_delay_alu instid0(VALU_DEP_1) | instskip(NEXT) | instid1(VALU_DEP_1)
	v_and_b32_e32 v16, 0xff, v16
	v_cmp_ne_u32_e32 vcc_lo, 0, v16
	s_and_b32 s10, vcc_lo, exec_lo
	s_delay_alu instid0(SALU_CYCLE_1)
	s_or_b32 s3, s3, s10
	s_or_b32 exec_lo, exec_lo, s6
	v_mov_b32_e32 v17, s7
	s_and_saveexec_b32 s6, s3
	s_cbranch_execnz .LBB241_1982
	s_branch .LBB241_1983
.LBB241_2426:
	s_or_saveexec_b32 s7, s7
                                        ; implicit-def: $sgpr10
	s_delay_alu instid0(SALU_CYCLE_1)
	s_xor_b32 exec_lo, exec_lo, s7
	s_cbranch_execz .LBB241_2086
.LBB241_2427:
	v_add_f32_e64 v10, 0x46000000, |v5|
	s_and_not1_b32 s6, s6, exec_lo
	s_mov_b32 s10, 0
	s_delay_alu instid0(VALU_DEP_1) | instskip(NEXT) | instid1(VALU_DEP_1)
	v_and_b32_e32 v10, 0xff, v10
	v_cmp_ne_u32_e32 vcc_lo, 0, v10
	s_and_b32 s11, vcc_lo, exec_lo
	s_delay_alu instid0(SALU_CYCLE_1)
	s_or_b32 s6, s6, s11
	s_or_b32 exec_lo, exec_lo, s7
	v_mov_b32_e32 v11, s10
	s_and_saveexec_b32 s7, s6
	s_cbranch_execnz .LBB241_2087
	s_branch .LBB241_2088
.LBB241_2428:
	s_trap 2
	s_sendmsg_rtn_b32 s0, sendmsg(MSG_RTN_GET_DOORBELL)
	s_mov_b32 ttmp2, m0
	s_waitcnt lgkmcnt(0)
	s_and_b32 s0, s0, 0x3ff
	s_delay_alu instid0(SALU_CYCLE_1) | instskip(NEXT) | instid1(SALU_CYCLE_1)
	s_bitset1_b32 s0, 10
	s_mov_b32 m0, s0
	s_sendmsg sendmsg(MSG_INTERRUPT)
	s_mov_b32 m0, ttmp2
.LBB241_2429:                           ; =>This Inner Loop Header: Depth=1
	s_sethalt 5
	s_branch .LBB241_2429
.LBB241_2430:
	s_cbranch_execnz .LBB241_2436
; %bb.2431:
	s_or_b32 s2, s2, exec_lo
	s_cbranch_execz .LBB241_2134
	s_branch .LBB241_2135
.LBB241_2432:
	s_or_saveexec_b32 s6, s6
                                        ; implicit-def: $sgpr7
	s_delay_alu instid0(SALU_CYCLE_1)
	s_xor_b32 exec_lo, exec_lo, s6
	s_cbranch_execz .LBB241_2099
.LBB241_2433:
	v_add_f32_e64 v10, 0x42800000, |v5|
	s_and_not1_b32 s3, s3, exec_lo
	s_mov_b32 s7, 0
	s_delay_alu instid0(VALU_DEP_1) | instskip(NEXT) | instid1(VALU_DEP_1)
	v_and_b32_e32 v10, 0xff, v10
	v_cmp_ne_u32_e32 vcc_lo, 0, v10
	s_and_b32 s10, vcc_lo, exec_lo
	s_delay_alu instid0(SALU_CYCLE_1)
	s_or_b32 s3, s3, s10
	s_or_b32 exec_lo, exec_lo, s6
	v_mov_b32_e32 v11, s7
	s_and_saveexec_b32 s6, s3
	s_cbranch_execnz .LBB241_2100
	s_branch .LBB241_2101
.LBB241_2434:
	s_or_saveexec_b32 s7, s7
                                        ; implicit-def: $sgpr10
	s_delay_alu instid0(SALU_CYCLE_1)
	s_xor_b32 exec_lo, exec_lo, s7
	s_cbranch_execz .LBB241_2204
.LBB241_2435:
	v_add_f32_e64 v8, 0x46000000, |v4|
	s_and_not1_b32 s6, s6, exec_lo
	s_mov_b32 s10, 0
	s_delay_alu instid0(VALU_DEP_1) | instskip(NEXT) | instid1(VALU_DEP_1)
	v_and_b32_e32 v8, 0xff, v8
	v_cmp_ne_u32_e32 vcc_lo, 0, v8
	s_and_b32 s11, vcc_lo, exec_lo
	s_delay_alu instid0(SALU_CYCLE_1)
	s_or_b32 s6, s6, s11
	s_or_b32 exec_lo, exec_lo, s7
	v_mov_b32_e32 v10, s10
	s_and_saveexec_b32 s7, s6
	s_cbranch_execnz .LBB241_2205
	s_branch .LBB241_2206
.LBB241_2436:
	s_trap 2
	s_sendmsg_rtn_b32 s0, sendmsg(MSG_RTN_GET_DOORBELL)
	s_mov_b32 ttmp2, m0
	s_waitcnt lgkmcnt(0)
	s_and_b32 s0, s0, 0x3ff
	s_delay_alu instid0(SALU_CYCLE_1) | instskip(NEXT) | instid1(SALU_CYCLE_1)
	s_bitset1_b32 s0, 10
	s_mov_b32 m0, s0
	s_sendmsg sendmsg(MSG_INTERRUPT)
	s_mov_b32 m0, ttmp2
.LBB241_2437:                           ; =>This Inner Loop Header: Depth=1
	s_sethalt 5
	s_branch .LBB241_2437
.LBB241_2438:
	s_cbranch_execnz .LBB241_2444
; %bb.2439:
	s_or_b32 s2, s2, exec_lo
	s_cbranch_execz .LBB241_2252
	s_branch .LBB241_2253
.LBB241_2440:
	s_or_saveexec_b32 s6, s6
                                        ; implicit-def: $sgpr7
	s_delay_alu instid0(SALU_CYCLE_1)
	s_xor_b32 exec_lo, exec_lo, s6
	s_cbranch_execz .LBB241_2217
.LBB241_2441:
	v_add_f32_e64 v8, 0x42800000, |v4|
	s_and_not1_b32 s3, s3, exec_lo
	s_mov_b32 s7, 0
	s_delay_alu instid0(VALU_DEP_1) | instskip(NEXT) | instid1(VALU_DEP_1)
	v_and_b32_e32 v8, 0xff, v8
	v_cmp_ne_u32_e32 vcc_lo, 0, v8
	s_and_b32 s10, vcc_lo, exec_lo
	s_delay_alu instid0(SALU_CYCLE_1)
	s_or_b32 s3, s3, s10
	s_or_b32 exec_lo, exec_lo, s6
	v_mov_b32_e32 v10, s7
	s_and_saveexec_b32 s6, s3
	s_cbranch_execnz .LBB241_2218
	s_branch .LBB241_2219
.LBB241_2442:
	s_or_saveexec_b32 s5, s5
                                        ; implicit-def: $sgpr6
	s_delay_alu instid0(SALU_CYCLE_1)
	s_xor_b32 exec_lo, exec_lo, s5
	s_cbranch_execz .LBB241_2323
.LBB241_2443:
	v_add_f32_e64 v5, 0x46000000, |v4|
	s_and_not1_b32 s4, s4, exec_lo
	s_mov_b32 s6, 0
	s_delay_alu instid0(VALU_DEP_1) | instskip(NEXT) | instid1(VALU_DEP_1)
	v_and_b32_e32 v5, 0xff, v5
	v_cmp_ne_u32_e32 vcc_lo, 0, v5
	s_and_b32 s7, vcc_lo, exec_lo
	s_delay_alu instid0(SALU_CYCLE_1)
	s_or_b32 s4, s4, s7
	s_or_b32 exec_lo, exec_lo, s5
	v_mov_b32_e32 v7, s6
	s_and_saveexec_b32 s5, s4
	s_cbranch_execnz .LBB241_2324
	s_branch .LBB241_2325
.LBB241_2444:
	s_trap 2
	s_sendmsg_rtn_b32 s0, sendmsg(MSG_RTN_GET_DOORBELL)
	s_mov_b32 ttmp2, m0
	s_waitcnt lgkmcnt(0)
	s_and_b32 s0, s0, 0x3ff
	s_delay_alu instid0(SALU_CYCLE_1) | instskip(NEXT) | instid1(SALU_CYCLE_1)
	s_bitset1_b32 s0, 10
	s_mov_b32 m0, s0
	s_sendmsg sendmsg(MSG_INTERRUPT)
	s_mov_b32 m0, ttmp2
.LBB241_2445:                           ; =>This Inner Loop Header: Depth=1
	s_sethalt 5
	s_branch .LBB241_2445
.LBB241_2446:
	s_cbranch_execnz .LBB241_2450
; %bb.2447:
	s_mov_b32 s1, 0
	s_or_b32 s2, s2, exec_lo
	s_branch .LBB241_2369
.LBB241_2448:
	s_or_saveexec_b32 s4, s4
                                        ; implicit-def: $sgpr5
	s_delay_alu instid0(SALU_CYCLE_1)
	s_xor_b32 exec_lo, exec_lo, s4
	s_cbranch_execz .LBB241_2335
.LBB241_2449:
	v_add_f32_e64 v5, 0x42800000, |v4|
	s_and_not1_b32 s3, s3, exec_lo
	s_mov_b32 s5, 0
	s_delay_alu instid0(VALU_DEP_1) | instskip(NEXT) | instid1(VALU_DEP_1)
	v_and_b32_e32 v5, 0xff, v5
	v_cmp_ne_u32_e32 vcc_lo, 0, v5
	s_and_b32 s6, vcc_lo, exec_lo
	s_delay_alu instid0(SALU_CYCLE_1)
	s_or_b32 s3, s3, s6
	s_or_b32 exec_lo, exec_lo, s4
	v_mov_b32_e32 v7, s5
	s_and_saveexec_b32 s4, s3
	s_cbranch_execnz .LBB241_2336
	s_branch .LBB241_2337
.LBB241_2450:
	s_trap 2
	s_sendmsg_rtn_b32 s0, sendmsg(MSG_RTN_GET_DOORBELL)
	s_mov_b32 ttmp2, m0
	s_waitcnt lgkmcnt(0)
	s_and_b32 s0, s0, 0x3ff
	s_delay_alu instid0(SALU_CYCLE_1) | instskip(NEXT) | instid1(SALU_CYCLE_1)
	s_bitset1_b32 s0, 10
	s_mov_b32 m0, s0
	s_sendmsg sendmsg(MSG_INTERRUPT)
	s_mov_b32 m0, ttmp2
.LBB241_2451:                           ; =>This Inner Loop Header: Depth=1
	s_sethalt 5
	s_branch .LBB241_2451
	.section	.rodata,"a",@progbits
	.p2align	6, 0x0
	.amdhsa_kernel _ZN2at6native32elementwise_kernel_manual_unrollILi128ELi4EZNS0_15gpu_kernel_implIZZZNS0_16sqrt_kernel_cudaERNS_18TensorIteratorBaseEENKUlvE_clEvENKUlvE1_clEvEUlN3c107complexINS7_4HalfEEEE_EEvS4_RKT_EUlibE0_EEviT1_
		.amdhsa_group_segment_fixed_size 0
		.amdhsa_private_segment_fixed_size 0
		.amdhsa_kernarg_size 360
		.amdhsa_user_sgpr_count 15
		.amdhsa_user_sgpr_dispatch_ptr 0
		.amdhsa_user_sgpr_queue_ptr 0
		.amdhsa_user_sgpr_kernarg_segment_ptr 1
		.amdhsa_user_sgpr_dispatch_id 0
		.amdhsa_user_sgpr_private_segment_size 0
		.amdhsa_wavefront_size32 1
		.amdhsa_uses_dynamic_stack 0
		.amdhsa_enable_private_segment 0
		.amdhsa_system_sgpr_workgroup_id_x 1
		.amdhsa_system_sgpr_workgroup_id_y 0
		.amdhsa_system_sgpr_workgroup_id_z 0
		.amdhsa_system_sgpr_workgroup_info 0
		.amdhsa_system_vgpr_workitem_id 0
		.amdhsa_next_free_vgpr 19
		.amdhsa_next_free_sgpr 68
		.amdhsa_reserve_vcc 1
		.amdhsa_float_round_mode_32 0
		.amdhsa_float_round_mode_16_64 0
		.amdhsa_float_denorm_mode_32 3
		.amdhsa_float_denorm_mode_16_64 3
		.amdhsa_dx10_clamp 1
		.amdhsa_ieee_mode 1
		.amdhsa_fp16_overflow 0
		.amdhsa_workgroup_processor_mode 1
		.amdhsa_memory_ordered 1
		.amdhsa_forward_progress 0
		.amdhsa_shared_vgpr_count 0
		.amdhsa_exception_fp_ieee_invalid_op 0
		.amdhsa_exception_fp_denorm_src 0
		.amdhsa_exception_fp_ieee_div_zero 0
		.amdhsa_exception_fp_ieee_overflow 0
		.amdhsa_exception_fp_ieee_underflow 0
		.amdhsa_exception_fp_ieee_inexact 0
		.amdhsa_exception_int_div_zero 0
	.end_amdhsa_kernel
	.section	.text._ZN2at6native32elementwise_kernel_manual_unrollILi128ELi4EZNS0_15gpu_kernel_implIZZZNS0_16sqrt_kernel_cudaERNS_18TensorIteratorBaseEENKUlvE_clEvENKUlvE1_clEvEUlN3c107complexINS7_4HalfEEEE_EEvS4_RKT_EUlibE0_EEviT1_,"axG",@progbits,_ZN2at6native32elementwise_kernel_manual_unrollILi128ELi4EZNS0_15gpu_kernel_implIZZZNS0_16sqrt_kernel_cudaERNS_18TensorIteratorBaseEENKUlvE_clEvENKUlvE1_clEvEUlN3c107complexINS7_4HalfEEEE_EEvS4_RKT_EUlibE0_EEviT1_,comdat
.Lfunc_end241:
	.size	_ZN2at6native32elementwise_kernel_manual_unrollILi128ELi4EZNS0_15gpu_kernel_implIZZZNS0_16sqrt_kernel_cudaERNS_18TensorIteratorBaseEENKUlvE_clEvENKUlvE1_clEvEUlN3c107complexINS7_4HalfEEEE_EEvS4_RKT_EUlibE0_EEviT1_, .Lfunc_end241-_ZN2at6native32elementwise_kernel_manual_unrollILi128ELi4EZNS0_15gpu_kernel_implIZZZNS0_16sqrt_kernel_cudaERNS_18TensorIteratorBaseEENKUlvE_clEvENKUlvE1_clEvEUlN3c107complexINS7_4HalfEEEE_EEvS4_RKT_EUlibE0_EEviT1_
                                        ; -- End function
	.section	.AMDGPU.csdata,"",@progbits
; Kernel info:
; codeLenInByte = 52184
; NumSgprs: 70
; NumVgprs: 19
; ScratchSize: 0
; MemoryBound: 0
; FloatMode: 240
; IeeeMode: 1
; LDSByteSize: 0 bytes/workgroup (compile time only)
; SGPRBlocks: 8
; VGPRBlocks: 2
; NumSGPRsForWavesPerEU: 70
; NumVGPRsForWavesPerEU: 19
; Occupancy: 16
; WaveLimiterHint : 1
; COMPUTE_PGM_RSRC2:SCRATCH_EN: 0
; COMPUTE_PGM_RSRC2:USER_SGPR: 15
; COMPUTE_PGM_RSRC2:TRAP_HANDLER: 0
; COMPUTE_PGM_RSRC2:TGID_X_EN: 1
; COMPUTE_PGM_RSRC2:TGID_Y_EN: 0
; COMPUTE_PGM_RSRC2:TGID_Z_EN: 0
; COMPUTE_PGM_RSRC2:TIDIG_COMP_CNT: 0
	.section	.text._ZN2at6native29vectorized_elementwise_kernelILi16EZZZNS0_16sqrt_kernel_cudaERNS_18TensorIteratorBaseEENKUlvE0_clEvENKUlvE_clEvEUldE_St5arrayIPcLm2EEEEviT0_T1_,"axG",@progbits,_ZN2at6native29vectorized_elementwise_kernelILi16EZZZNS0_16sqrt_kernel_cudaERNS_18TensorIteratorBaseEENKUlvE0_clEvENKUlvE_clEvEUldE_St5arrayIPcLm2EEEEviT0_T1_,comdat
	.globl	_ZN2at6native29vectorized_elementwise_kernelILi16EZZZNS0_16sqrt_kernel_cudaERNS_18TensorIteratorBaseEENKUlvE0_clEvENKUlvE_clEvEUldE_St5arrayIPcLm2EEEEviT0_T1_ ; -- Begin function _ZN2at6native29vectorized_elementwise_kernelILi16EZZZNS0_16sqrt_kernel_cudaERNS_18TensorIteratorBaseEENKUlvE0_clEvENKUlvE_clEvEUldE_St5arrayIPcLm2EEEEviT0_T1_
	.p2align	8
	.type	_ZN2at6native29vectorized_elementwise_kernelILi16EZZZNS0_16sqrt_kernel_cudaERNS_18TensorIteratorBaseEENKUlvE0_clEvENKUlvE_clEvEUldE_St5arrayIPcLm2EEEEviT0_T1_,@function
_ZN2at6native29vectorized_elementwise_kernelILi16EZZZNS0_16sqrt_kernel_cudaERNS_18TensorIteratorBaseEENKUlvE0_clEvENKUlvE_clEvEUldE_St5arrayIPcLm2EEEEviT0_T1_: ; @_ZN2at6native29vectorized_elementwise_kernelILi16EZZZNS0_16sqrt_kernel_cudaERNS_18TensorIteratorBaseEENKUlvE0_clEvENKUlvE_clEvEUldE_St5arrayIPcLm2EEEEviT0_T1_
; %bb.0:
	s_clause 0x1
	s_load_b32 s2, s[0:1], 0x0
	s_load_b128 s[4:7], s[0:1], 0x8
	s_lshl_b32 s8, s15, 10
	s_mov_b32 s0, -1
	s_waitcnt lgkmcnt(0)
	s_sub_i32 s12, s2, s8
	s_delay_alu instid0(SALU_CYCLE_1)
	s_cmpk_gt_i32 s12, 0x3ff
	s_cbranch_scc0 .LBB242_2
; %bb.1:
	s_ashr_i32 s9, s8, 31
	v_lshlrev_b32_e32 v33, 5, v0
	s_lshl_b64 s[10:11], s[8:9], 3
	s_delay_alu instid0(SALU_CYCLE_1)
	s_add_u32 s0, s6, s10
	s_addc_u32 s1, s7, s11
	s_clause 0x1
	global_load_b128 v[1:4], v33, s[0:1]
	global_load_b128 v[5:8], v33, s[0:1] offset:16
	s_waitcnt vmcnt(1)
	v_cmp_gt_f64_e32 vcc_lo, 0x10000000, v[1:2]
	v_cmp_gt_f64_e64 s0, 0x10000000, v[3:4]
	s_waitcnt vmcnt(0)
	v_cmp_gt_f64_e64 s1, 0x10000000, v[5:6]
	v_cmp_gt_f64_e64 s2, 0x10000000, v[7:8]
	v_cndmask_b32_e64 v9, 0, 1, vcc_lo
	s_delay_alu instid0(VALU_DEP_4) | instskip(NEXT) | instid1(VALU_DEP_4)
	v_cndmask_b32_e64 v10, 0, 1, s0
	v_cndmask_b32_e64 v11, 0, 1, s1
	s_delay_alu instid0(VALU_DEP_4) | instskip(NEXT) | instid1(VALU_DEP_4)
	v_cndmask_b32_e64 v12, 0, 1, s2
	v_lshlrev_b32_e32 v9, 8, v9
	s_delay_alu instid0(VALU_DEP_3) | instskip(NEXT) | instid1(VALU_DEP_2)
	v_lshlrev_b32_e32 v11, 8, v11
	v_ldexp_f64 v[1:2], v[1:2], v9
	v_lshlrev_b32_e32 v10, 8, v10
	v_lshlrev_b32_e32 v9, 8, v12
	s_delay_alu instid0(VALU_DEP_4) | instskip(NEXT) | instid1(VALU_DEP_3)
	v_ldexp_f64 v[5:6], v[5:6], v11
	v_ldexp_f64 v[3:4], v[3:4], v10
	s_delay_alu instid0(VALU_DEP_3) | instskip(SKIP_1) | instid1(VALU_DEP_3)
	v_ldexp_f64 v[7:8], v[7:8], v9
	v_rsq_f64_e32 v[9:10], v[1:2]
	v_rsq_f64_e32 v[13:14], v[5:6]
	s_delay_alu instid0(VALU_DEP_2) | instskip(NEXT) | instid1(VALU_DEP_1)
	v_rsq_f64_e32 v[11:12], v[3:4]
	v_rsq_f64_e32 v[15:16], v[7:8]
	v_mul_f64 v[17:18], v[1:2], v[9:10]
	v_mul_f64 v[9:10], v[9:10], 0.5
	s_delay_alu instid0(TRANS32_DEP_3)
	v_mul_f64 v[21:22], v[5:6], v[13:14]
	v_mul_f64 v[13:14], v[13:14], 0.5
	s_waitcnt_depctr 0xfff
	v_mul_f64 v[19:20], v[3:4], v[11:12]
	v_mul_f64 v[11:12], v[11:12], 0.5
	v_mul_f64 v[23:24], v[7:8], v[15:16]
	v_mul_f64 v[15:16], v[15:16], 0.5
	v_fma_f64 v[25:26], -v[9:10], v[17:18], 0.5
	v_fma_f64 v[29:30], -v[13:14], v[21:22], 0.5
	;; [unrolled: 1-line block ×3, first 2 shown]
	s_delay_alu instid0(VALU_DEP_4) | instskip(NEXT) | instid1(VALU_DEP_4)
	v_fma_f64 v[31:32], -v[15:16], v[23:24], 0.5
	v_fma_f64 v[17:18], v[17:18], v[25:26], v[17:18]
	v_fma_f64 v[9:10], v[9:10], v[25:26], v[9:10]
	;; [unrolled: 1-line block ×8, first 2 shown]
	v_fma_f64 v[25:26], -v[17:18], v[17:18], v[1:2]
	v_fma_f64 v[29:30], -v[21:22], v[21:22], v[5:6]
	;; [unrolled: 1-line block ×4, first 2 shown]
	s_delay_alu instid0(VALU_DEP_4) | instskip(NEXT) | instid1(VALU_DEP_4)
	v_fma_f64 v[17:18], v[25:26], v[9:10], v[17:18]
	v_fma_f64 v[21:22], v[29:30], v[13:14], v[21:22]
	s_delay_alu instid0(VALU_DEP_4) | instskip(NEXT) | instid1(VALU_DEP_4)
	v_fma_f64 v[19:20], v[27:28], v[11:12], v[19:20]
	v_fma_f64 v[23:24], v[31:32], v[15:16], v[23:24]
	s_delay_alu instid0(VALU_DEP_4) | instskip(NEXT) | instid1(VALU_DEP_4)
	v_fma_f64 v[25:26], -v[17:18], v[17:18], v[1:2]
	v_fma_f64 v[29:30], -v[21:22], v[21:22], v[5:6]
	s_delay_alu instid0(VALU_DEP_4) | instskip(NEXT) | instid1(VALU_DEP_4)
	v_fma_f64 v[27:28], -v[19:20], v[19:20], v[3:4]
	v_fma_f64 v[31:32], -v[23:24], v[23:24], v[7:8]
	s_delay_alu instid0(VALU_DEP_4)
	v_fma_f64 v[9:10], v[25:26], v[9:10], v[17:18]
	v_cndmask_b32_e64 v17, 0, 0xffffff80, vcc_lo
	v_cndmask_b32_e64 v18, 0, 0xffffff80, s0
	v_fma_f64 v[13:14], v[29:30], v[13:14], v[21:22]
	v_cmp_class_f64_e64 vcc_lo, v[1:2], 0x260
	v_cmp_class_f64_e64 s0, v[3:4], 0x260
	v_fma_f64 v[11:12], v[27:28], v[11:12], v[19:20]
	v_cndmask_b32_e64 v19, 0, 0xffffff80, s1
	v_fma_f64 v[15:16], v[31:32], v[15:16], v[23:24]
	v_cndmask_b32_e64 v20, 0, 0xffffff80, s2
	v_cmp_class_f64_e64 s1, v[5:6], 0x260
	v_cmp_class_f64_e64 s2, v[7:8], 0x260
	v_ldexp_f64 v[9:10], v[9:10], v17
	v_ldexp_f64 v[13:14], v[13:14], v19
	;; [unrolled: 1-line block ×4, first 2 shown]
	s_delay_alu instid0(VALU_DEP_4) | instskip(NEXT) | instid1(VALU_DEP_4)
	v_dual_cndmask_b32 v1, v9, v1 :: v_dual_cndmask_b32 v2, v10, v2
	v_cndmask_b32_e64 v6, v14, v6, s1
	v_cndmask_b32_e64 v5, v13, v5, s1
	;; [unrolled: 1-line block ×6, first 2 shown]
	s_add_u32 s2, s4, s10
	s_addc_u32 s3, s5, s11
	s_mov_b32 s0, 0
	s_clause 0x1
	global_store_b128 v33, v[1:4], s[2:3]
	global_store_b128 v33, v[5:8], s[2:3] offset:16
.LBB242_2:
	s_and_not1_b32 vcc_lo, exec_lo, s0
	s_cbranch_vccnz .LBB242_16
; %bb.3:
	v_dual_mov_b32 v3, 0 :: v_dual_mov_b32 v2, v0
	v_mov_b32_e32 v4, 0
	v_cmp_gt_i32_e32 vcc_lo, s12, v0
	v_or_b32_e32 v1, s8, v0
	v_or_b32_e32 v11, 0x100, v0
	s_delay_alu instid0(VALU_DEP_4)
	v_dual_mov_b32 v6, v4 :: v_dual_mov_b32 v5, v3
	s_and_saveexec_b32 s1, vcc_lo
	s_cbranch_execz .LBB242_5
; %bb.4:
	v_mov_b32_e32 v2, 0
	s_delay_alu instid0(VALU_DEP_1) | instskip(SKIP_1) | instid1(VALU_DEP_2)
	v_lshlrev_b64 v[5:6], 3, v[1:2]
	v_or_b32_e32 v2, 0x100, v0
	v_add_co_u32 v5, s0, s6, v5
	s_delay_alu instid0(VALU_DEP_1)
	v_add_co_ci_u32_e64 v6, s0, s7, v6, s0
	global_load_b64 v[5:6], v[5:6], off
.LBB242_5:
	s_or_b32 exec_lo, exec_lo, s1
	s_delay_alu instid0(SALU_CYCLE_1)
	s_mov_b32 s1, exec_lo
	v_cmpx_gt_i32_e64 s12, v2
	s_cbranch_execz .LBB242_7
; %bb.6:
	v_dual_mov_b32 v4, 0 :: v_dual_add_nc_u32 v3, s8, v2
	v_add_nc_u32_e32 v2, 0x100, v2
	s_delay_alu instid0(VALU_DEP_2) | instskip(NEXT) | instid1(VALU_DEP_1)
	v_lshlrev_b64 v[3:4], 3, v[3:4]
	v_add_co_u32 v3, s0, s6, v3
	s_delay_alu instid0(VALU_DEP_1)
	v_add_co_ci_u32_e64 v4, s0, s7, v4, s0
	global_load_b64 v[3:4], v[3:4], off
.LBB242_7:
	s_or_b32 exec_lo, exec_lo, s1
	v_mov_b32_e32 v7, 0
	v_mov_b32_e32 v8, 0
	s_mov_b32 s1, exec_lo
	s_delay_alu instid0(VALU_DEP_1)
	v_dual_mov_b32 v10, v8 :: v_dual_mov_b32 v9, v7
	v_cmpx_gt_i32_e64 s12, v2
	s_cbranch_execz .LBB242_9
; %bb.8:
	v_dual_mov_b32 v10, 0 :: v_dual_add_nc_u32 v9, s8, v2
	v_add_nc_u32_e32 v2, 0x100, v2
	s_delay_alu instid0(VALU_DEP_2) | instskip(NEXT) | instid1(VALU_DEP_1)
	v_lshlrev_b64 v[9:10], 3, v[9:10]
	v_add_co_u32 v9, s0, s6, v9
	s_delay_alu instid0(VALU_DEP_1)
	v_add_co_ci_u32_e64 v10, s0, s7, v10, s0
	global_load_b64 v[9:10], v[9:10], off
.LBB242_9:
	s_or_b32 exec_lo, exec_lo, s1
	s_delay_alu instid0(SALU_CYCLE_1)
	s_mov_b32 s1, exec_lo
	v_cmpx_gt_i32_e64 s12, v2
	s_cbranch_execz .LBB242_11
; %bb.10:
	v_dual_mov_b32 v8, 0 :: v_dual_add_nc_u32 v7, s8, v2
	s_delay_alu instid0(VALU_DEP_1) | instskip(NEXT) | instid1(VALU_DEP_1)
	v_lshlrev_b64 v[7:8], 3, v[7:8]
	v_add_co_u32 v7, s0, s6, v7
	s_delay_alu instid0(VALU_DEP_1)
	v_add_co_ci_u32_e64 v8, s0, s7, v8, s0
	global_load_b64 v[7:8], v[7:8], off
.LBB242_11:
	s_or_b32 exec_lo, exec_lo, s1
	s_waitcnt vmcnt(0)
	v_cmp_gt_f64_e64 s0, 0x10000000, v[5:6]
	v_cmp_gt_f64_e64 s1, 0x10000000, v[3:4]
	;; [unrolled: 1-line block ×4, first 2 shown]
	s_delay_alu instid0(VALU_DEP_4) | instskip(NEXT) | instid1(VALU_DEP_4)
	v_cndmask_b32_e64 v2, 0, 1, s0
	v_cndmask_b32_e64 v12, 0, 1, s1
	s_delay_alu instid0(VALU_DEP_4) | instskip(NEXT) | instid1(VALU_DEP_4)
	v_cndmask_b32_e64 v13, 0, 1, s2
	v_cndmask_b32_e64 v14, 0, 1, s3
	s_delay_alu instid0(VALU_DEP_4) | instskip(NEXT) | instid1(VALU_DEP_4)
	v_lshlrev_b32_e32 v2, 8, v2
	v_lshlrev_b32_e32 v12, 8, v12
	s_delay_alu instid0(VALU_DEP_4) | instskip(NEXT) | instid1(VALU_DEP_4)
	v_lshlrev_b32_e32 v13, 8, v13
	v_lshlrev_b32_e32 v14, 8, v14
	s_delay_alu instid0(VALU_DEP_4) | instskip(NEXT) | instid1(VALU_DEP_4)
	v_ldexp_f64 v[5:6], v[5:6], v2
	v_ldexp_f64 v[2:3], v[3:4], v12
	s_delay_alu instid0(VALU_DEP_4) | instskip(NEXT) | instid1(VALU_DEP_4)
	v_ldexp_f64 v[12:13], v[9:10], v13
	v_ldexp_f64 v[14:15], v[7:8], v14
	v_cndmask_b32_e64 v4, 0, 0xffffff80, s0
	v_rsq_f64_e32 v[7:8], v[5:6]
	s_delay_alu instid0(VALU_DEP_4) | instskip(NEXT) | instid1(VALU_DEP_3)
	v_rsq_f64_e32 v[9:10], v[2:3]
	v_rsq_f64_e32 v[16:17], v[12:13]
	s_delay_alu instid0(VALU_DEP_2) | instskip(SKIP_3) | instid1(TRANS32_DEP_3)
	v_rsq_f64_e32 v[18:19], v[14:15]
	v_cmp_class_f64_e64 s0, v[5:6], 0x260
	v_mul_f64 v[20:21], v[5:6], v[7:8]
	v_mul_f64 v[7:8], v[7:8], 0.5
	v_mul_f64 v[22:23], v[2:3], v[9:10]
	v_mul_f64 v[9:10], v[9:10], 0.5
	s_delay_alu instid0(TRANS32_DEP_2) | instskip(SKIP_1) | instid1(TRANS32_DEP_1)
	v_mul_f64 v[24:25], v[12:13], v[16:17]
	v_mul_f64 v[16:17], v[16:17], 0.5
	v_mul_f64 v[26:27], v[14:15], v[18:19]
	v_mul_f64 v[18:19], v[18:19], 0.5
	v_fma_f64 v[28:29], -v[7:8], v[20:21], 0.5
	v_fma_f64 v[30:31], -v[9:10], v[22:23], 0.5
	v_fma_f64 v[32:33], -v[16:17], v[24:25], 0.5
	s_delay_alu instid0(VALU_DEP_4) | instskip(NEXT) | instid1(VALU_DEP_4)
	v_fma_f64 v[34:35], -v[18:19], v[26:27], 0.5
	v_fma_f64 v[20:21], v[20:21], v[28:29], v[20:21]
	v_fma_f64 v[7:8], v[7:8], v[28:29], v[7:8]
	;; [unrolled: 1-line block ×8, first 2 shown]
	v_fma_f64 v[28:29], -v[20:21], v[20:21], v[5:6]
	v_fma_f64 v[30:31], -v[22:23], v[22:23], v[2:3]
	;; [unrolled: 1-line block ×4, first 2 shown]
	s_delay_alu instid0(VALU_DEP_4) | instskip(NEXT) | instid1(VALU_DEP_4)
	v_fma_f64 v[20:21], v[28:29], v[7:8], v[20:21]
	v_fma_f64 v[22:23], v[30:31], v[9:10], v[22:23]
	s_delay_alu instid0(VALU_DEP_4) | instskip(NEXT) | instid1(VALU_DEP_4)
	v_fma_f64 v[24:25], v[32:33], v[16:17], v[24:25]
	v_fma_f64 v[26:27], v[34:35], v[18:19], v[26:27]
	s_delay_alu instid0(VALU_DEP_4) | instskip(NEXT) | instid1(VALU_DEP_4)
	v_fma_f64 v[28:29], -v[20:21], v[20:21], v[5:6]
	v_fma_f64 v[30:31], -v[22:23], v[22:23], v[2:3]
	s_delay_alu instid0(VALU_DEP_4) | instskip(NEXT) | instid1(VALU_DEP_4)
	v_fma_f64 v[32:33], -v[24:25], v[24:25], v[12:13]
	v_fma_f64 v[34:35], -v[26:27], v[26:27], v[14:15]
	s_delay_alu instid0(VALU_DEP_4)
	v_fma_f64 v[7:8], v[28:29], v[7:8], v[20:21]
	v_cndmask_b32_e64 v20, 0, 0xffffff80, s1
	v_fma_f64 v[9:10], v[30:31], v[9:10], v[22:23]
	v_cndmask_b32_e64 v22, 0, 0xffffff80, s2
	v_fma_f64 v[16:17], v[32:33], v[16:17], v[24:25]
	v_cndmask_b32_e64 v23, 0, 0xffffff80, s3
	v_fma_f64 v[18:19], v[34:35], v[18:19], v[26:27]
	v_cmp_class_f64_e64 s1, v[2:3], 0x260
	v_cmp_class_f64_e64 s2, v[12:13], 0x260
	;; [unrolled: 1-line block ×3, first 2 shown]
	v_ldexp_f64 v[7:8], v[7:8], v4
	v_ldexp_f64 v[20:21], v[9:10], v20
	;; [unrolled: 1-line block ×4, first 2 shown]
	s_delay_alu instid0(VALU_DEP_4)
	v_cndmask_b32_e64 v10, v8, v6, s0
	v_cndmask_b32_e64 v9, v7, v5, s0
	;; [unrolled: 1-line block ×8, first 2 shown]
	s_and_saveexec_b32 s0, vcc_lo
	s_cbranch_execnz .LBB242_17
; %bb.12:
	s_or_b32 exec_lo, exec_lo, s0
	s_delay_alu instid0(SALU_CYCLE_1)
	s_mov_b32 s0, exec_lo
	v_cmpx_gt_i32_e64 s12, v0
	s_cbranch_execnz .LBB242_18
.LBB242_13:
	s_or_b32 exec_lo, exec_lo, s0
	s_delay_alu instid0(SALU_CYCLE_1)
	s_mov_b32 s0, exec_lo
	v_cmpx_gt_i32_e64 s12, v0
	s_cbranch_execnz .LBB242_19
.LBB242_14:
	s_or_b32 exec_lo, exec_lo, s0
	s_delay_alu instid0(SALU_CYCLE_1)
	s_mov_b32 s0, exec_lo
	v_cmpx_gt_i32_e64 s12, v0
	s_cbranch_execz .LBB242_16
.LBB242_15:
	v_dual_mov_b32 v1, 0 :: v_dual_add_nc_u32 v0, s8, v0
	s_delay_alu instid0(VALU_DEP_1) | instskip(NEXT) | instid1(VALU_DEP_1)
	v_lshlrev_b64 v[0:1], 3, v[0:1]
	v_add_co_u32 v0, vcc_lo, s4, v0
	s_delay_alu instid0(VALU_DEP_2)
	v_add_co_ci_u32_e32 v1, vcc_lo, s5, v1, vcc_lo
	global_store_b64 v[0:1], v[3:4], off
.LBB242_16:
	s_nop 0
	s_sendmsg sendmsg(MSG_DEALLOC_VGPRS)
	s_endpgm
.LBB242_17:
	v_mov_b32_e32 v2, 0
	s_delay_alu instid0(VALU_DEP_1) | instskip(NEXT) | instid1(VALU_DEP_1)
	v_lshlrev_b64 v[0:1], 3, v[1:2]
	v_add_co_u32 v12, vcc_lo, s4, v0
	s_delay_alu instid0(VALU_DEP_2) | instskip(SKIP_3) | instid1(SALU_CYCLE_1)
	v_add_co_ci_u32_e32 v13, vcc_lo, s5, v1, vcc_lo
	v_mov_b32_e32 v0, v11
	global_store_b64 v[12:13], v[9:10], off
	s_or_b32 exec_lo, exec_lo, s0
	s_mov_b32 s0, exec_lo
	v_cmpx_gt_i32_e64 s12, v0
	s_cbranch_execz .LBB242_13
.LBB242_18:
	v_dual_mov_b32 v2, 0 :: v_dual_add_nc_u32 v1, s8, v0
	v_add_nc_u32_e32 v0, 0x100, v0
	s_delay_alu instid0(VALU_DEP_2) | instskip(NEXT) | instid1(VALU_DEP_1)
	v_lshlrev_b64 v[1:2], 3, v[1:2]
	v_add_co_u32 v1, vcc_lo, s4, v1
	s_delay_alu instid0(VALU_DEP_2) | instskip(SKIP_2) | instid1(SALU_CYCLE_1)
	v_add_co_ci_u32_e32 v2, vcc_lo, s5, v2, vcc_lo
	global_store_b64 v[1:2], v[7:8], off
	s_or_b32 exec_lo, exec_lo, s0
	s_mov_b32 s0, exec_lo
	v_cmpx_gt_i32_e64 s12, v0
	s_cbranch_execz .LBB242_14
.LBB242_19:
	v_dual_mov_b32 v2, 0 :: v_dual_add_nc_u32 v1, s8, v0
	v_add_nc_u32_e32 v0, 0x100, v0
	s_delay_alu instid0(VALU_DEP_2) | instskip(NEXT) | instid1(VALU_DEP_1)
	v_lshlrev_b64 v[1:2], 3, v[1:2]
	v_add_co_u32 v1, vcc_lo, s4, v1
	s_delay_alu instid0(VALU_DEP_2) | instskip(SKIP_2) | instid1(SALU_CYCLE_1)
	v_add_co_ci_u32_e32 v2, vcc_lo, s5, v2, vcc_lo
	global_store_b64 v[1:2], v[5:6], off
	s_or_b32 exec_lo, exec_lo, s0
	s_mov_b32 s0, exec_lo
	v_cmpx_gt_i32_e64 s12, v0
	s_cbranch_execnz .LBB242_15
	s_branch .LBB242_16
	.section	.rodata,"a",@progbits
	.p2align	6, 0x0
	.amdhsa_kernel _ZN2at6native29vectorized_elementwise_kernelILi16EZZZNS0_16sqrt_kernel_cudaERNS_18TensorIteratorBaseEENKUlvE0_clEvENKUlvE_clEvEUldE_St5arrayIPcLm2EEEEviT0_T1_
		.amdhsa_group_segment_fixed_size 0
		.amdhsa_private_segment_fixed_size 0
		.amdhsa_kernarg_size 24
		.amdhsa_user_sgpr_count 15
		.amdhsa_user_sgpr_dispatch_ptr 0
		.amdhsa_user_sgpr_queue_ptr 0
		.amdhsa_user_sgpr_kernarg_segment_ptr 1
		.amdhsa_user_sgpr_dispatch_id 0
		.amdhsa_user_sgpr_private_segment_size 0
		.amdhsa_wavefront_size32 1
		.amdhsa_uses_dynamic_stack 0
		.amdhsa_enable_private_segment 0
		.amdhsa_system_sgpr_workgroup_id_x 1
		.amdhsa_system_sgpr_workgroup_id_y 0
		.amdhsa_system_sgpr_workgroup_id_z 0
		.amdhsa_system_sgpr_workgroup_info 0
		.amdhsa_system_vgpr_workitem_id 0
		.amdhsa_next_free_vgpr 36
		.amdhsa_next_free_sgpr 16
		.amdhsa_reserve_vcc 1
		.amdhsa_float_round_mode_32 0
		.amdhsa_float_round_mode_16_64 0
		.amdhsa_float_denorm_mode_32 3
		.amdhsa_float_denorm_mode_16_64 3
		.amdhsa_dx10_clamp 1
		.amdhsa_ieee_mode 1
		.amdhsa_fp16_overflow 0
		.amdhsa_workgroup_processor_mode 1
		.amdhsa_memory_ordered 1
		.amdhsa_forward_progress 0
		.amdhsa_shared_vgpr_count 0
		.amdhsa_exception_fp_ieee_invalid_op 0
		.amdhsa_exception_fp_denorm_src 0
		.amdhsa_exception_fp_ieee_div_zero 0
		.amdhsa_exception_fp_ieee_overflow 0
		.amdhsa_exception_fp_ieee_underflow 0
		.amdhsa_exception_fp_ieee_inexact 0
		.amdhsa_exception_int_div_zero 0
	.end_amdhsa_kernel
	.section	.text._ZN2at6native29vectorized_elementwise_kernelILi16EZZZNS0_16sqrt_kernel_cudaERNS_18TensorIteratorBaseEENKUlvE0_clEvENKUlvE_clEvEUldE_St5arrayIPcLm2EEEEviT0_T1_,"axG",@progbits,_ZN2at6native29vectorized_elementwise_kernelILi16EZZZNS0_16sqrt_kernel_cudaERNS_18TensorIteratorBaseEENKUlvE0_clEvENKUlvE_clEvEUldE_St5arrayIPcLm2EEEEviT0_T1_,comdat
.Lfunc_end242:
	.size	_ZN2at6native29vectorized_elementwise_kernelILi16EZZZNS0_16sqrt_kernel_cudaERNS_18TensorIteratorBaseEENKUlvE0_clEvENKUlvE_clEvEUldE_St5arrayIPcLm2EEEEviT0_T1_, .Lfunc_end242-_ZN2at6native29vectorized_elementwise_kernelILi16EZZZNS0_16sqrt_kernel_cudaERNS_18TensorIteratorBaseEENKUlvE0_clEvENKUlvE_clEvEUldE_St5arrayIPcLm2EEEEviT0_T1_
                                        ; -- End function
	.section	.AMDGPU.csdata,"",@progbits
; Kernel info:
; codeLenInByte = 2204
; NumSgprs: 18
; NumVgprs: 36
; ScratchSize: 0
; MemoryBound: 0
; FloatMode: 240
; IeeeMode: 1
; LDSByteSize: 0 bytes/workgroup (compile time only)
; SGPRBlocks: 2
; VGPRBlocks: 4
; NumSGPRsForWavesPerEU: 18
; NumVGPRsForWavesPerEU: 36
; Occupancy: 16
; WaveLimiterHint : 0
; COMPUTE_PGM_RSRC2:SCRATCH_EN: 0
; COMPUTE_PGM_RSRC2:USER_SGPR: 15
; COMPUTE_PGM_RSRC2:TRAP_HANDLER: 0
; COMPUTE_PGM_RSRC2:TGID_X_EN: 1
; COMPUTE_PGM_RSRC2:TGID_Y_EN: 0
; COMPUTE_PGM_RSRC2:TGID_Z_EN: 0
; COMPUTE_PGM_RSRC2:TIDIG_COMP_CNT: 0
	.section	.text._ZN2at6native29vectorized_elementwise_kernelILi8EZZZNS0_16sqrt_kernel_cudaERNS_18TensorIteratorBaseEENKUlvE0_clEvENKUlvE_clEvEUldE_St5arrayIPcLm2EEEEviT0_T1_,"axG",@progbits,_ZN2at6native29vectorized_elementwise_kernelILi8EZZZNS0_16sqrt_kernel_cudaERNS_18TensorIteratorBaseEENKUlvE0_clEvENKUlvE_clEvEUldE_St5arrayIPcLm2EEEEviT0_T1_,comdat
	.globl	_ZN2at6native29vectorized_elementwise_kernelILi8EZZZNS0_16sqrt_kernel_cudaERNS_18TensorIteratorBaseEENKUlvE0_clEvENKUlvE_clEvEUldE_St5arrayIPcLm2EEEEviT0_T1_ ; -- Begin function _ZN2at6native29vectorized_elementwise_kernelILi8EZZZNS0_16sqrt_kernel_cudaERNS_18TensorIteratorBaseEENKUlvE0_clEvENKUlvE_clEvEUldE_St5arrayIPcLm2EEEEviT0_T1_
	.p2align	8
	.type	_ZN2at6native29vectorized_elementwise_kernelILi8EZZZNS0_16sqrt_kernel_cudaERNS_18TensorIteratorBaseEENKUlvE0_clEvENKUlvE_clEvEUldE_St5arrayIPcLm2EEEEviT0_T1_,@function
_ZN2at6native29vectorized_elementwise_kernelILi8EZZZNS0_16sqrt_kernel_cudaERNS_18TensorIteratorBaseEENKUlvE0_clEvENKUlvE_clEvEUldE_St5arrayIPcLm2EEEEviT0_T1_: ; @_ZN2at6native29vectorized_elementwise_kernelILi8EZZZNS0_16sqrt_kernel_cudaERNS_18TensorIteratorBaseEENKUlvE0_clEvENKUlvE_clEvEUldE_St5arrayIPcLm2EEEEviT0_T1_
; %bb.0:
	s_clause 0x1
	s_load_b32 s2, s[0:1], 0x0
	s_load_b128 s[4:7], s[0:1], 0x8
	s_lshl_b32 s8, s15, 10
	s_mov_b32 s0, -1
	s_waitcnt lgkmcnt(0)
	s_sub_i32 s12, s2, s8
	s_delay_alu instid0(SALU_CYCLE_1)
	s_cmpk_gt_i32 s12, 0x3ff
	s_cbranch_scc0 .LBB243_2
; %bb.1:
	s_ashr_i32 s9, s8, 31
	v_lshlrev_b32_e32 v33, 5, v0
	s_lshl_b64 s[10:11], s[8:9], 3
	s_delay_alu instid0(SALU_CYCLE_1)
	s_add_u32 s0, s6, s10
	s_addc_u32 s1, s7, s11
	s_clause 0x1
	global_load_b128 v[1:4], v33, s[0:1]
	global_load_b128 v[5:8], v33, s[0:1] offset:16
	s_waitcnt vmcnt(1)
	v_cmp_gt_f64_e32 vcc_lo, 0x10000000, v[1:2]
	v_cmp_gt_f64_e64 s0, 0x10000000, v[3:4]
	s_waitcnt vmcnt(0)
	v_cmp_gt_f64_e64 s1, 0x10000000, v[5:6]
	v_cmp_gt_f64_e64 s2, 0x10000000, v[7:8]
	v_cndmask_b32_e64 v9, 0, 1, vcc_lo
	s_delay_alu instid0(VALU_DEP_4) | instskip(NEXT) | instid1(VALU_DEP_4)
	v_cndmask_b32_e64 v10, 0, 1, s0
	v_cndmask_b32_e64 v11, 0, 1, s1
	s_delay_alu instid0(VALU_DEP_4) | instskip(NEXT) | instid1(VALU_DEP_4)
	v_cndmask_b32_e64 v12, 0, 1, s2
	v_lshlrev_b32_e32 v9, 8, v9
	s_delay_alu instid0(VALU_DEP_3) | instskip(NEXT) | instid1(VALU_DEP_2)
	v_lshlrev_b32_e32 v11, 8, v11
	v_ldexp_f64 v[1:2], v[1:2], v9
	v_lshlrev_b32_e32 v10, 8, v10
	v_lshlrev_b32_e32 v9, 8, v12
	s_delay_alu instid0(VALU_DEP_4) | instskip(NEXT) | instid1(VALU_DEP_3)
	v_ldexp_f64 v[5:6], v[5:6], v11
	v_ldexp_f64 v[3:4], v[3:4], v10
	s_delay_alu instid0(VALU_DEP_3) | instskip(SKIP_1) | instid1(VALU_DEP_3)
	v_ldexp_f64 v[7:8], v[7:8], v9
	v_rsq_f64_e32 v[9:10], v[1:2]
	v_rsq_f64_e32 v[13:14], v[5:6]
	s_delay_alu instid0(VALU_DEP_2) | instskip(NEXT) | instid1(VALU_DEP_1)
	v_rsq_f64_e32 v[11:12], v[3:4]
	v_rsq_f64_e32 v[15:16], v[7:8]
	v_mul_f64 v[17:18], v[1:2], v[9:10]
	v_mul_f64 v[9:10], v[9:10], 0.5
	s_delay_alu instid0(TRANS32_DEP_3)
	v_mul_f64 v[21:22], v[5:6], v[13:14]
	v_mul_f64 v[13:14], v[13:14], 0.5
	s_waitcnt_depctr 0xfff
	v_mul_f64 v[19:20], v[3:4], v[11:12]
	v_mul_f64 v[11:12], v[11:12], 0.5
	v_mul_f64 v[23:24], v[7:8], v[15:16]
	v_mul_f64 v[15:16], v[15:16], 0.5
	v_fma_f64 v[25:26], -v[9:10], v[17:18], 0.5
	v_fma_f64 v[29:30], -v[13:14], v[21:22], 0.5
	v_fma_f64 v[27:28], -v[11:12], v[19:20], 0.5
	s_delay_alu instid0(VALU_DEP_4) | instskip(NEXT) | instid1(VALU_DEP_4)
	v_fma_f64 v[31:32], -v[15:16], v[23:24], 0.5
	v_fma_f64 v[17:18], v[17:18], v[25:26], v[17:18]
	v_fma_f64 v[9:10], v[9:10], v[25:26], v[9:10]
	;; [unrolled: 1-line block ×8, first 2 shown]
	v_fma_f64 v[25:26], -v[17:18], v[17:18], v[1:2]
	v_fma_f64 v[29:30], -v[21:22], v[21:22], v[5:6]
	;; [unrolled: 1-line block ×4, first 2 shown]
	s_delay_alu instid0(VALU_DEP_4) | instskip(NEXT) | instid1(VALU_DEP_4)
	v_fma_f64 v[17:18], v[25:26], v[9:10], v[17:18]
	v_fma_f64 v[21:22], v[29:30], v[13:14], v[21:22]
	s_delay_alu instid0(VALU_DEP_4) | instskip(NEXT) | instid1(VALU_DEP_4)
	v_fma_f64 v[19:20], v[27:28], v[11:12], v[19:20]
	v_fma_f64 v[23:24], v[31:32], v[15:16], v[23:24]
	s_delay_alu instid0(VALU_DEP_4) | instskip(NEXT) | instid1(VALU_DEP_4)
	v_fma_f64 v[25:26], -v[17:18], v[17:18], v[1:2]
	v_fma_f64 v[29:30], -v[21:22], v[21:22], v[5:6]
	s_delay_alu instid0(VALU_DEP_4) | instskip(NEXT) | instid1(VALU_DEP_4)
	v_fma_f64 v[27:28], -v[19:20], v[19:20], v[3:4]
	v_fma_f64 v[31:32], -v[23:24], v[23:24], v[7:8]
	s_delay_alu instid0(VALU_DEP_4)
	v_fma_f64 v[9:10], v[25:26], v[9:10], v[17:18]
	v_cndmask_b32_e64 v17, 0, 0xffffff80, vcc_lo
	v_cndmask_b32_e64 v18, 0, 0xffffff80, s0
	v_fma_f64 v[13:14], v[29:30], v[13:14], v[21:22]
	v_cmp_class_f64_e64 vcc_lo, v[1:2], 0x260
	v_cmp_class_f64_e64 s0, v[3:4], 0x260
	v_fma_f64 v[11:12], v[27:28], v[11:12], v[19:20]
	v_cndmask_b32_e64 v19, 0, 0xffffff80, s1
	v_fma_f64 v[15:16], v[31:32], v[15:16], v[23:24]
	v_cndmask_b32_e64 v20, 0, 0xffffff80, s2
	v_cmp_class_f64_e64 s1, v[5:6], 0x260
	v_cmp_class_f64_e64 s2, v[7:8], 0x260
	v_ldexp_f64 v[9:10], v[9:10], v17
	v_ldexp_f64 v[13:14], v[13:14], v19
	v_ldexp_f64 v[11:12], v[11:12], v18
	v_ldexp_f64 v[15:16], v[15:16], v20
	s_delay_alu instid0(VALU_DEP_4) | instskip(NEXT) | instid1(VALU_DEP_4)
	v_dual_cndmask_b32 v1, v9, v1 :: v_dual_cndmask_b32 v2, v10, v2
	v_cndmask_b32_e64 v6, v14, v6, s1
	v_cndmask_b32_e64 v5, v13, v5, s1
	;; [unrolled: 1-line block ×6, first 2 shown]
	s_add_u32 s2, s4, s10
	s_addc_u32 s3, s5, s11
	s_mov_b32 s0, 0
	s_clause 0x1
	global_store_b128 v33, v[1:4], s[2:3]
	global_store_b128 v33, v[5:8], s[2:3] offset:16
.LBB243_2:
	s_and_not1_b32 vcc_lo, exec_lo, s0
	s_cbranch_vccnz .LBB243_16
; %bb.3:
	v_dual_mov_b32 v3, 0 :: v_dual_mov_b32 v2, v0
	v_mov_b32_e32 v4, 0
	v_cmp_gt_i32_e32 vcc_lo, s12, v0
	v_or_b32_e32 v1, s8, v0
	v_or_b32_e32 v11, 0x100, v0
	s_delay_alu instid0(VALU_DEP_4)
	v_dual_mov_b32 v6, v4 :: v_dual_mov_b32 v5, v3
	s_and_saveexec_b32 s1, vcc_lo
	s_cbranch_execz .LBB243_5
; %bb.4:
	v_mov_b32_e32 v2, 0
	s_delay_alu instid0(VALU_DEP_1) | instskip(SKIP_1) | instid1(VALU_DEP_2)
	v_lshlrev_b64 v[5:6], 3, v[1:2]
	v_or_b32_e32 v2, 0x100, v0
	v_add_co_u32 v5, s0, s6, v5
	s_delay_alu instid0(VALU_DEP_1)
	v_add_co_ci_u32_e64 v6, s0, s7, v6, s0
	global_load_b64 v[5:6], v[5:6], off
.LBB243_5:
	s_or_b32 exec_lo, exec_lo, s1
	s_delay_alu instid0(SALU_CYCLE_1)
	s_mov_b32 s1, exec_lo
	v_cmpx_gt_i32_e64 s12, v2
	s_cbranch_execz .LBB243_7
; %bb.6:
	v_dual_mov_b32 v4, 0 :: v_dual_add_nc_u32 v3, s8, v2
	v_add_nc_u32_e32 v2, 0x100, v2
	s_delay_alu instid0(VALU_DEP_2) | instskip(NEXT) | instid1(VALU_DEP_1)
	v_lshlrev_b64 v[3:4], 3, v[3:4]
	v_add_co_u32 v3, s0, s6, v3
	s_delay_alu instid0(VALU_DEP_1)
	v_add_co_ci_u32_e64 v4, s0, s7, v4, s0
	global_load_b64 v[3:4], v[3:4], off
.LBB243_7:
	s_or_b32 exec_lo, exec_lo, s1
	v_mov_b32_e32 v7, 0
	v_mov_b32_e32 v8, 0
	s_mov_b32 s1, exec_lo
	s_delay_alu instid0(VALU_DEP_1)
	v_dual_mov_b32 v10, v8 :: v_dual_mov_b32 v9, v7
	v_cmpx_gt_i32_e64 s12, v2
	s_cbranch_execz .LBB243_9
; %bb.8:
	v_dual_mov_b32 v10, 0 :: v_dual_add_nc_u32 v9, s8, v2
	v_add_nc_u32_e32 v2, 0x100, v2
	s_delay_alu instid0(VALU_DEP_2) | instskip(NEXT) | instid1(VALU_DEP_1)
	v_lshlrev_b64 v[9:10], 3, v[9:10]
	v_add_co_u32 v9, s0, s6, v9
	s_delay_alu instid0(VALU_DEP_1)
	v_add_co_ci_u32_e64 v10, s0, s7, v10, s0
	global_load_b64 v[9:10], v[9:10], off
.LBB243_9:
	s_or_b32 exec_lo, exec_lo, s1
	s_delay_alu instid0(SALU_CYCLE_1)
	s_mov_b32 s1, exec_lo
	v_cmpx_gt_i32_e64 s12, v2
	s_cbranch_execz .LBB243_11
; %bb.10:
	v_dual_mov_b32 v8, 0 :: v_dual_add_nc_u32 v7, s8, v2
	s_delay_alu instid0(VALU_DEP_1) | instskip(NEXT) | instid1(VALU_DEP_1)
	v_lshlrev_b64 v[7:8], 3, v[7:8]
	v_add_co_u32 v7, s0, s6, v7
	s_delay_alu instid0(VALU_DEP_1)
	v_add_co_ci_u32_e64 v8, s0, s7, v8, s0
	global_load_b64 v[7:8], v[7:8], off
.LBB243_11:
	s_or_b32 exec_lo, exec_lo, s1
	s_waitcnt vmcnt(0)
	v_cmp_gt_f64_e64 s0, 0x10000000, v[5:6]
	v_cmp_gt_f64_e64 s1, 0x10000000, v[3:4]
	;; [unrolled: 1-line block ×4, first 2 shown]
	s_delay_alu instid0(VALU_DEP_4) | instskip(NEXT) | instid1(VALU_DEP_4)
	v_cndmask_b32_e64 v2, 0, 1, s0
	v_cndmask_b32_e64 v12, 0, 1, s1
	s_delay_alu instid0(VALU_DEP_4) | instskip(NEXT) | instid1(VALU_DEP_4)
	v_cndmask_b32_e64 v13, 0, 1, s2
	v_cndmask_b32_e64 v14, 0, 1, s3
	s_delay_alu instid0(VALU_DEP_4) | instskip(NEXT) | instid1(VALU_DEP_4)
	v_lshlrev_b32_e32 v2, 8, v2
	v_lshlrev_b32_e32 v12, 8, v12
	s_delay_alu instid0(VALU_DEP_4) | instskip(NEXT) | instid1(VALU_DEP_4)
	v_lshlrev_b32_e32 v13, 8, v13
	v_lshlrev_b32_e32 v14, 8, v14
	s_delay_alu instid0(VALU_DEP_4) | instskip(NEXT) | instid1(VALU_DEP_4)
	v_ldexp_f64 v[5:6], v[5:6], v2
	v_ldexp_f64 v[2:3], v[3:4], v12
	s_delay_alu instid0(VALU_DEP_4) | instskip(NEXT) | instid1(VALU_DEP_4)
	v_ldexp_f64 v[12:13], v[9:10], v13
	v_ldexp_f64 v[14:15], v[7:8], v14
	v_cndmask_b32_e64 v4, 0, 0xffffff80, s0
	v_rsq_f64_e32 v[7:8], v[5:6]
	s_delay_alu instid0(VALU_DEP_4) | instskip(NEXT) | instid1(VALU_DEP_3)
	v_rsq_f64_e32 v[9:10], v[2:3]
	v_rsq_f64_e32 v[16:17], v[12:13]
	s_delay_alu instid0(VALU_DEP_2) | instskip(SKIP_3) | instid1(TRANS32_DEP_3)
	v_rsq_f64_e32 v[18:19], v[14:15]
	v_cmp_class_f64_e64 s0, v[5:6], 0x260
	v_mul_f64 v[20:21], v[5:6], v[7:8]
	v_mul_f64 v[7:8], v[7:8], 0.5
	v_mul_f64 v[22:23], v[2:3], v[9:10]
	v_mul_f64 v[9:10], v[9:10], 0.5
	s_delay_alu instid0(TRANS32_DEP_2) | instskip(SKIP_1) | instid1(TRANS32_DEP_1)
	v_mul_f64 v[24:25], v[12:13], v[16:17]
	v_mul_f64 v[16:17], v[16:17], 0.5
	v_mul_f64 v[26:27], v[14:15], v[18:19]
	v_mul_f64 v[18:19], v[18:19], 0.5
	v_fma_f64 v[28:29], -v[7:8], v[20:21], 0.5
	v_fma_f64 v[30:31], -v[9:10], v[22:23], 0.5
	;; [unrolled: 1-line block ×3, first 2 shown]
	s_delay_alu instid0(VALU_DEP_4) | instskip(NEXT) | instid1(VALU_DEP_4)
	v_fma_f64 v[34:35], -v[18:19], v[26:27], 0.5
	v_fma_f64 v[20:21], v[20:21], v[28:29], v[20:21]
	v_fma_f64 v[7:8], v[7:8], v[28:29], v[7:8]
	;; [unrolled: 1-line block ×8, first 2 shown]
	v_fma_f64 v[28:29], -v[20:21], v[20:21], v[5:6]
	v_fma_f64 v[30:31], -v[22:23], v[22:23], v[2:3]
	;; [unrolled: 1-line block ×4, first 2 shown]
	s_delay_alu instid0(VALU_DEP_4) | instskip(NEXT) | instid1(VALU_DEP_4)
	v_fma_f64 v[20:21], v[28:29], v[7:8], v[20:21]
	v_fma_f64 v[22:23], v[30:31], v[9:10], v[22:23]
	s_delay_alu instid0(VALU_DEP_4) | instskip(NEXT) | instid1(VALU_DEP_4)
	v_fma_f64 v[24:25], v[32:33], v[16:17], v[24:25]
	v_fma_f64 v[26:27], v[34:35], v[18:19], v[26:27]
	s_delay_alu instid0(VALU_DEP_4) | instskip(NEXT) | instid1(VALU_DEP_4)
	v_fma_f64 v[28:29], -v[20:21], v[20:21], v[5:6]
	v_fma_f64 v[30:31], -v[22:23], v[22:23], v[2:3]
	s_delay_alu instid0(VALU_DEP_4) | instskip(NEXT) | instid1(VALU_DEP_4)
	v_fma_f64 v[32:33], -v[24:25], v[24:25], v[12:13]
	v_fma_f64 v[34:35], -v[26:27], v[26:27], v[14:15]
	s_delay_alu instid0(VALU_DEP_4)
	v_fma_f64 v[7:8], v[28:29], v[7:8], v[20:21]
	v_cndmask_b32_e64 v20, 0, 0xffffff80, s1
	v_fma_f64 v[9:10], v[30:31], v[9:10], v[22:23]
	v_cndmask_b32_e64 v22, 0, 0xffffff80, s2
	;; [unrolled: 2-line block ×3, first 2 shown]
	v_fma_f64 v[18:19], v[34:35], v[18:19], v[26:27]
	v_cmp_class_f64_e64 s1, v[2:3], 0x260
	v_cmp_class_f64_e64 s2, v[12:13], 0x260
	;; [unrolled: 1-line block ×3, first 2 shown]
	v_ldexp_f64 v[7:8], v[7:8], v4
	v_ldexp_f64 v[20:21], v[9:10], v20
	;; [unrolled: 1-line block ×4, first 2 shown]
	s_delay_alu instid0(VALU_DEP_4)
	v_cndmask_b32_e64 v10, v8, v6, s0
	v_cndmask_b32_e64 v9, v7, v5, s0
	;; [unrolled: 1-line block ×8, first 2 shown]
	s_and_saveexec_b32 s0, vcc_lo
	s_cbranch_execnz .LBB243_17
; %bb.12:
	s_or_b32 exec_lo, exec_lo, s0
	s_delay_alu instid0(SALU_CYCLE_1)
	s_mov_b32 s0, exec_lo
	v_cmpx_gt_i32_e64 s12, v0
	s_cbranch_execnz .LBB243_18
.LBB243_13:
	s_or_b32 exec_lo, exec_lo, s0
	s_delay_alu instid0(SALU_CYCLE_1)
	s_mov_b32 s0, exec_lo
	v_cmpx_gt_i32_e64 s12, v0
	s_cbranch_execnz .LBB243_19
.LBB243_14:
	s_or_b32 exec_lo, exec_lo, s0
	s_delay_alu instid0(SALU_CYCLE_1)
	s_mov_b32 s0, exec_lo
	v_cmpx_gt_i32_e64 s12, v0
	s_cbranch_execz .LBB243_16
.LBB243_15:
	v_dual_mov_b32 v1, 0 :: v_dual_add_nc_u32 v0, s8, v0
	s_delay_alu instid0(VALU_DEP_1) | instskip(NEXT) | instid1(VALU_DEP_1)
	v_lshlrev_b64 v[0:1], 3, v[0:1]
	v_add_co_u32 v0, vcc_lo, s4, v0
	s_delay_alu instid0(VALU_DEP_2)
	v_add_co_ci_u32_e32 v1, vcc_lo, s5, v1, vcc_lo
	global_store_b64 v[0:1], v[3:4], off
.LBB243_16:
	s_nop 0
	s_sendmsg sendmsg(MSG_DEALLOC_VGPRS)
	s_endpgm
.LBB243_17:
	v_mov_b32_e32 v2, 0
	s_delay_alu instid0(VALU_DEP_1) | instskip(NEXT) | instid1(VALU_DEP_1)
	v_lshlrev_b64 v[0:1], 3, v[1:2]
	v_add_co_u32 v12, vcc_lo, s4, v0
	s_delay_alu instid0(VALU_DEP_2) | instskip(SKIP_3) | instid1(SALU_CYCLE_1)
	v_add_co_ci_u32_e32 v13, vcc_lo, s5, v1, vcc_lo
	v_mov_b32_e32 v0, v11
	global_store_b64 v[12:13], v[9:10], off
	s_or_b32 exec_lo, exec_lo, s0
	s_mov_b32 s0, exec_lo
	v_cmpx_gt_i32_e64 s12, v0
	s_cbranch_execz .LBB243_13
.LBB243_18:
	v_dual_mov_b32 v2, 0 :: v_dual_add_nc_u32 v1, s8, v0
	v_add_nc_u32_e32 v0, 0x100, v0
	s_delay_alu instid0(VALU_DEP_2) | instskip(NEXT) | instid1(VALU_DEP_1)
	v_lshlrev_b64 v[1:2], 3, v[1:2]
	v_add_co_u32 v1, vcc_lo, s4, v1
	s_delay_alu instid0(VALU_DEP_2) | instskip(SKIP_2) | instid1(SALU_CYCLE_1)
	v_add_co_ci_u32_e32 v2, vcc_lo, s5, v2, vcc_lo
	global_store_b64 v[1:2], v[7:8], off
	s_or_b32 exec_lo, exec_lo, s0
	s_mov_b32 s0, exec_lo
	v_cmpx_gt_i32_e64 s12, v0
	s_cbranch_execz .LBB243_14
.LBB243_19:
	v_dual_mov_b32 v2, 0 :: v_dual_add_nc_u32 v1, s8, v0
	v_add_nc_u32_e32 v0, 0x100, v0
	s_delay_alu instid0(VALU_DEP_2) | instskip(NEXT) | instid1(VALU_DEP_1)
	v_lshlrev_b64 v[1:2], 3, v[1:2]
	v_add_co_u32 v1, vcc_lo, s4, v1
	s_delay_alu instid0(VALU_DEP_2) | instskip(SKIP_2) | instid1(SALU_CYCLE_1)
	v_add_co_ci_u32_e32 v2, vcc_lo, s5, v2, vcc_lo
	global_store_b64 v[1:2], v[5:6], off
	s_or_b32 exec_lo, exec_lo, s0
	s_mov_b32 s0, exec_lo
	v_cmpx_gt_i32_e64 s12, v0
	s_cbranch_execnz .LBB243_15
	s_branch .LBB243_16
	.section	.rodata,"a",@progbits
	.p2align	6, 0x0
	.amdhsa_kernel _ZN2at6native29vectorized_elementwise_kernelILi8EZZZNS0_16sqrt_kernel_cudaERNS_18TensorIteratorBaseEENKUlvE0_clEvENKUlvE_clEvEUldE_St5arrayIPcLm2EEEEviT0_T1_
		.amdhsa_group_segment_fixed_size 0
		.amdhsa_private_segment_fixed_size 0
		.amdhsa_kernarg_size 24
		.amdhsa_user_sgpr_count 15
		.amdhsa_user_sgpr_dispatch_ptr 0
		.amdhsa_user_sgpr_queue_ptr 0
		.amdhsa_user_sgpr_kernarg_segment_ptr 1
		.amdhsa_user_sgpr_dispatch_id 0
		.amdhsa_user_sgpr_private_segment_size 0
		.amdhsa_wavefront_size32 1
		.amdhsa_uses_dynamic_stack 0
		.amdhsa_enable_private_segment 0
		.amdhsa_system_sgpr_workgroup_id_x 1
		.amdhsa_system_sgpr_workgroup_id_y 0
		.amdhsa_system_sgpr_workgroup_id_z 0
		.amdhsa_system_sgpr_workgroup_info 0
		.amdhsa_system_vgpr_workitem_id 0
		.amdhsa_next_free_vgpr 36
		.amdhsa_next_free_sgpr 16
		.amdhsa_reserve_vcc 1
		.amdhsa_float_round_mode_32 0
		.amdhsa_float_round_mode_16_64 0
		.amdhsa_float_denorm_mode_32 3
		.amdhsa_float_denorm_mode_16_64 3
		.amdhsa_dx10_clamp 1
		.amdhsa_ieee_mode 1
		.amdhsa_fp16_overflow 0
		.amdhsa_workgroup_processor_mode 1
		.amdhsa_memory_ordered 1
		.amdhsa_forward_progress 0
		.amdhsa_shared_vgpr_count 0
		.amdhsa_exception_fp_ieee_invalid_op 0
		.amdhsa_exception_fp_denorm_src 0
		.amdhsa_exception_fp_ieee_div_zero 0
		.amdhsa_exception_fp_ieee_overflow 0
		.amdhsa_exception_fp_ieee_underflow 0
		.amdhsa_exception_fp_ieee_inexact 0
		.amdhsa_exception_int_div_zero 0
	.end_amdhsa_kernel
	.section	.text._ZN2at6native29vectorized_elementwise_kernelILi8EZZZNS0_16sqrt_kernel_cudaERNS_18TensorIteratorBaseEENKUlvE0_clEvENKUlvE_clEvEUldE_St5arrayIPcLm2EEEEviT0_T1_,"axG",@progbits,_ZN2at6native29vectorized_elementwise_kernelILi8EZZZNS0_16sqrt_kernel_cudaERNS_18TensorIteratorBaseEENKUlvE0_clEvENKUlvE_clEvEUldE_St5arrayIPcLm2EEEEviT0_T1_,comdat
.Lfunc_end243:
	.size	_ZN2at6native29vectorized_elementwise_kernelILi8EZZZNS0_16sqrt_kernel_cudaERNS_18TensorIteratorBaseEENKUlvE0_clEvENKUlvE_clEvEUldE_St5arrayIPcLm2EEEEviT0_T1_, .Lfunc_end243-_ZN2at6native29vectorized_elementwise_kernelILi8EZZZNS0_16sqrt_kernel_cudaERNS_18TensorIteratorBaseEENKUlvE0_clEvENKUlvE_clEvEUldE_St5arrayIPcLm2EEEEviT0_T1_
                                        ; -- End function
	.section	.AMDGPU.csdata,"",@progbits
; Kernel info:
; codeLenInByte = 2204
; NumSgprs: 18
; NumVgprs: 36
; ScratchSize: 0
; MemoryBound: 0
; FloatMode: 240
; IeeeMode: 1
; LDSByteSize: 0 bytes/workgroup (compile time only)
; SGPRBlocks: 2
; VGPRBlocks: 4
; NumSGPRsForWavesPerEU: 18
; NumVGPRsForWavesPerEU: 36
; Occupancy: 16
; WaveLimiterHint : 0
; COMPUTE_PGM_RSRC2:SCRATCH_EN: 0
; COMPUTE_PGM_RSRC2:USER_SGPR: 15
; COMPUTE_PGM_RSRC2:TRAP_HANDLER: 0
; COMPUTE_PGM_RSRC2:TGID_X_EN: 1
; COMPUTE_PGM_RSRC2:TGID_Y_EN: 0
; COMPUTE_PGM_RSRC2:TGID_Z_EN: 0
; COMPUTE_PGM_RSRC2:TIDIG_COMP_CNT: 0
	.section	.text._ZN2at6native29vectorized_elementwise_kernelILi4EZZZNS0_16sqrt_kernel_cudaERNS_18TensorIteratorBaseEENKUlvE0_clEvENKUlvE_clEvEUldE_St5arrayIPcLm2EEEEviT0_T1_,"axG",@progbits,_ZN2at6native29vectorized_elementwise_kernelILi4EZZZNS0_16sqrt_kernel_cudaERNS_18TensorIteratorBaseEENKUlvE0_clEvENKUlvE_clEvEUldE_St5arrayIPcLm2EEEEviT0_T1_,comdat
	.globl	_ZN2at6native29vectorized_elementwise_kernelILi4EZZZNS0_16sqrt_kernel_cudaERNS_18TensorIteratorBaseEENKUlvE0_clEvENKUlvE_clEvEUldE_St5arrayIPcLm2EEEEviT0_T1_ ; -- Begin function _ZN2at6native29vectorized_elementwise_kernelILi4EZZZNS0_16sqrt_kernel_cudaERNS_18TensorIteratorBaseEENKUlvE0_clEvENKUlvE_clEvEUldE_St5arrayIPcLm2EEEEviT0_T1_
	.p2align	8
	.type	_ZN2at6native29vectorized_elementwise_kernelILi4EZZZNS0_16sqrt_kernel_cudaERNS_18TensorIteratorBaseEENKUlvE0_clEvENKUlvE_clEvEUldE_St5arrayIPcLm2EEEEviT0_T1_,@function
_ZN2at6native29vectorized_elementwise_kernelILi4EZZZNS0_16sqrt_kernel_cudaERNS_18TensorIteratorBaseEENKUlvE0_clEvENKUlvE_clEvEUldE_St5arrayIPcLm2EEEEviT0_T1_: ; @_ZN2at6native29vectorized_elementwise_kernelILi4EZZZNS0_16sqrt_kernel_cudaERNS_18TensorIteratorBaseEENKUlvE0_clEvENKUlvE_clEvEUldE_St5arrayIPcLm2EEEEviT0_T1_
; %bb.0:
	s_clause 0x1
	s_load_b32 s2, s[0:1], 0x0
	s_load_b128 s[4:7], s[0:1], 0x8
	s_lshl_b32 s8, s15, 10
	s_mov_b32 s0, -1
	s_waitcnt lgkmcnt(0)
	s_sub_i32 s12, s2, s8
	s_delay_alu instid0(SALU_CYCLE_1)
	s_cmpk_gt_i32 s12, 0x3ff
	s_cbranch_scc0 .LBB244_2
; %bb.1:
	s_ashr_i32 s9, s8, 31
	v_lshlrev_b32_e32 v33, 5, v0
	s_lshl_b64 s[10:11], s[8:9], 3
	s_delay_alu instid0(SALU_CYCLE_1)
	s_add_u32 s0, s6, s10
	s_addc_u32 s1, s7, s11
	s_clause 0x1
	global_load_b128 v[1:4], v33, s[0:1]
	global_load_b128 v[5:8], v33, s[0:1] offset:16
	s_waitcnt vmcnt(1)
	v_cmp_gt_f64_e32 vcc_lo, 0x10000000, v[1:2]
	v_cmp_gt_f64_e64 s0, 0x10000000, v[3:4]
	s_waitcnt vmcnt(0)
	v_cmp_gt_f64_e64 s1, 0x10000000, v[5:6]
	v_cmp_gt_f64_e64 s2, 0x10000000, v[7:8]
	v_cndmask_b32_e64 v9, 0, 1, vcc_lo
	s_delay_alu instid0(VALU_DEP_4) | instskip(NEXT) | instid1(VALU_DEP_4)
	v_cndmask_b32_e64 v10, 0, 1, s0
	v_cndmask_b32_e64 v11, 0, 1, s1
	s_delay_alu instid0(VALU_DEP_4) | instskip(NEXT) | instid1(VALU_DEP_4)
	v_cndmask_b32_e64 v12, 0, 1, s2
	v_lshlrev_b32_e32 v9, 8, v9
	s_delay_alu instid0(VALU_DEP_3) | instskip(NEXT) | instid1(VALU_DEP_2)
	v_lshlrev_b32_e32 v11, 8, v11
	v_ldexp_f64 v[1:2], v[1:2], v9
	v_lshlrev_b32_e32 v10, 8, v10
	v_lshlrev_b32_e32 v9, 8, v12
	s_delay_alu instid0(VALU_DEP_4) | instskip(NEXT) | instid1(VALU_DEP_3)
	v_ldexp_f64 v[5:6], v[5:6], v11
	v_ldexp_f64 v[3:4], v[3:4], v10
	s_delay_alu instid0(VALU_DEP_3) | instskip(SKIP_1) | instid1(VALU_DEP_3)
	v_ldexp_f64 v[7:8], v[7:8], v9
	v_rsq_f64_e32 v[9:10], v[1:2]
	v_rsq_f64_e32 v[13:14], v[5:6]
	s_delay_alu instid0(VALU_DEP_2) | instskip(NEXT) | instid1(VALU_DEP_1)
	v_rsq_f64_e32 v[11:12], v[3:4]
	v_rsq_f64_e32 v[15:16], v[7:8]
	v_mul_f64 v[17:18], v[1:2], v[9:10]
	v_mul_f64 v[9:10], v[9:10], 0.5
	s_delay_alu instid0(TRANS32_DEP_3)
	v_mul_f64 v[21:22], v[5:6], v[13:14]
	v_mul_f64 v[13:14], v[13:14], 0.5
	s_waitcnt_depctr 0xfff
	v_mul_f64 v[19:20], v[3:4], v[11:12]
	v_mul_f64 v[11:12], v[11:12], 0.5
	v_mul_f64 v[23:24], v[7:8], v[15:16]
	v_mul_f64 v[15:16], v[15:16], 0.5
	v_fma_f64 v[25:26], -v[9:10], v[17:18], 0.5
	v_fma_f64 v[29:30], -v[13:14], v[21:22], 0.5
	;; [unrolled: 1-line block ×3, first 2 shown]
	s_delay_alu instid0(VALU_DEP_4) | instskip(NEXT) | instid1(VALU_DEP_4)
	v_fma_f64 v[31:32], -v[15:16], v[23:24], 0.5
	v_fma_f64 v[17:18], v[17:18], v[25:26], v[17:18]
	v_fma_f64 v[9:10], v[9:10], v[25:26], v[9:10]
	;; [unrolled: 1-line block ×8, first 2 shown]
	v_fma_f64 v[25:26], -v[17:18], v[17:18], v[1:2]
	v_fma_f64 v[29:30], -v[21:22], v[21:22], v[5:6]
	;; [unrolled: 1-line block ×4, first 2 shown]
	s_delay_alu instid0(VALU_DEP_4) | instskip(NEXT) | instid1(VALU_DEP_4)
	v_fma_f64 v[17:18], v[25:26], v[9:10], v[17:18]
	v_fma_f64 v[21:22], v[29:30], v[13:14], v[21:22]
	s_delay_alu instid0(VALU_DEP_4) | instskip(NEXT) | instid1(VALU_DEP_4)
	v_fma_f64 v[19:20], v[27:28], v[11:12], v[19:20]
	v_fma_f64 v[23:24], v[31:32], v[15:16], v[23:24]
	s_delay_alu instid0(VALU_DEP_4) | instskip(NEXT) | instid1(VALU_DEP_4)
	v_fma_f64 v[25:26], -v[17:18], v[17:18], v[1:2]
	v_fma_f64 v[29:30], -v[21:22], v[21:22], v[5:6]
	s_delay_alu instid0(VALU_DEP_4) | instskip(NEXT) | instid1(VALU_DEP_4)
	v_fma_f64 v[27:28], -v[19:20], v[19:20], v[3:4]
	v_fma_f64 v[31:32], -v[23:24], v[23:24], v[7:8]
	s_delay_alu instid0(VALU_DEP_4)
	v_fma_f64 v[9:10], v[25:26], v[9:10], v[17:18]
	v_cndmask_b32_e64 v17, 0, 0xffffff80, vcc_lo
	v_cndmask_b32_e64 v18, 0, 0xffffff80, s0
	v_fma_f64 v[13:14], v[29:30], v[13:14], v[21:22]
	v_cmp_class_f64_e64 vcc_lo, v[1:2], 0x260
	v_cmp_class_f64_e64 s0, v[3:4], 0x260
	v_fma_f64 v[11:12], v[27:28], v[11:12], v[19:20]
	v_cndmask_b32_e64 v19, 0, 0xffffff80, s1
	v_fma_f64 v[15:16], v[31:32], v[15:16], v[23:24]
	v_cndmask_b32_e64 v20, 0, 0xffffff80, s2
	v_cmp_class_f64_e64 s1, v[5:6], 0x260
	v_cmp_class_f64_e64 s2, v[7:8], 0x260
	v_ldexp_f64 v[9:10], v[9:10], v17
	v_ldexp_f64 v[13:14], v[13:14], v19
	;; [unrolled: 1-line block ×4, first 2 shown]
	s_delay_alu instid0(VALU_DEP_4) | instskip(NEXT) | instid1(VALU_DEP_4)
	v_dual_cndmask_b32 v1, v9, v1 :: v_dual_cndmask_b32 v2, v10, v2
	v_cndmask_b32_e64 v6, v14, v6, s1
	v_cndmask_b32_e64 v5, v13, v5, s1
	;; [unrolled: 1-line block ×6, first 2 shown]
	s_add_u32 s2, s4, s10
	s_addc_u32 s3, s5, s11
	s_mov_b32 s0, 0
	s_clause 0x1
	global_store_b128 v33, v[1:4], s[2:3]
	global_store_b128 v33, v[5:8], s[2:3] offset:16
.LBB244_2:
	s_and_not1_b32 vcc_lo, exec_lo, s0
	s_cbranch_vccnz .LBB244_16
; %bb.3:
	v_dual_mov_b32 v3, 0 :: v_dual_mov_b32 v2, v0
	v_mov_b32_e32 v4, 0
	v_cmp_gt_i32_e32 vcc_lo, s12, v0
	v_or_b32_e32 v1, s8, v0
	v_or_b32_e32 v11, 0x100, v0
	s_delay_alu instid0(VALU_DEP_4)
	v_dual_mov_b32 v6, v4 :: v_dual_mov_b32 v5, v3
	s_and_saveexec_b32 s1, vcc_lo
	s_cbranch_execz .LBB244_5
; %bb.4:
	v_mov_b32_e32 v2, 0
	s_delay_alu instid0(VALU_DEP_1) | instskip(SKIP_1) | instid1(VALU_DEP_2)
	v_lshlrev_b64 v[5:6], 3, v[1:2]
	v_or_b32_e32 v2, 0x100, v0
	v_add_co_u32 v5, s0, s6, v5
	s_delay_alu instid0(VALU_DEP_1)
	v_add_co_ci_u32_e64 v6, s0, s7, v6, s0
	global_load_b64 v[5:6], v[5:6], off
.LBB244_5:
	s_or_b32 exec_lo, exec_lo, s1
	s_delay_alu instid0(SALU_CYCLE_1)
	s_mov_b32 s1, exec_lo
	v_cmpx_gt_i32_e64 s12, v2
	s_cbranch_execz .LBB244_7
; %bb.6:
	v_dual_mov_b32 v4, 0 :: v_dual_add_nc_u32 v3, s8, v2
	v_add_nc_u32_e32 v2, 0x100, v2
	s_delay_alu instid0(VALU_DEP_2) | instskip(NEXT) | instid1(VALU_DEP_1)
	v_lshlrev_b64 v[3:4], 3, v[3:4]
	v_add_co_u32 v3, s0, s6, v3
	s_delay_alu instid0(VALU_DEP_1)
	v_add_co_ci_u32_e64 v4, s0, s7, v4, s0
	global_load_b64 v[3:4], v[3:4], off
.LBB244_7:
	s_or_b32 exec_lo, exec_lo, s1
	v_mov_b32_e32 v7, 0
	v_mov_b32_e32 v8, 0
	s_mov_b32 s1, exec_lo
	s_delay_alu instid0(VALU_DEP_1)
	v_dual_mov_b32 v10, v8 :: v_dual_mov_b32 v9, v7
	v_cmpx_gt_i32_e64 s12, v2
	s_cbranch_execz .LBB244_9
; %bb.8:
	v_dual_mov_b32 v10, 0 :: v_dual_add_nc_u32 v9, s8, v2
	v_add_nc_u32_e32 v2, 0x100, v2
	s_delay_alu instid0(VALU_DEP_2) | instskip(NEXT) | instid1(VALU_DEP_1)
	v_lshlrev_b64 v[9:10], 3, v[9:10]
	v_add_co_u32 v9, s0, s6, v9
	s_delay_alu instid0(VALU_DEP_1)
	v_add_co_ci_u32_e64 v10, s0, s7, v10, s0
	global_load_b64 v[9:10], v[9:10], off
.LBB244_9:
	s_or_b32 exec_lo, exec_lo, s1
	s_delay_alu instid0(SALU_CYCLE_1)
	s_mov_b32 s1, exec_lo
	v_cmpx_gt_i32_e64 s12, v2
	s_cbranch_execz .LBB244_11
; %bb.10:
	v_dual_mov_b32 v8, 0 :: v_dual_add_nc_u32 v7, s8, v2
	s_delay_alu instid0(VALU_DEP_1) | instskip(NEXT) | instid1(VALU_DEP_1)
	v_lshlrev_b64 v[7:8], 3, v[7:8]
	v_add_co_u32 v7, s0, s6, v7
	s_delay_alu instid0(VALU_DEP_1)
	v_add_co_ci_u32_e64 v8, s0, s7, v8, s0
	global_load_b64 v[7:8], v[7:8], off
.LBB244_11:
	s_or_b32 exec_lo, exec_lo, s1
	s_waitcnt vmcnt(0)
	v_cmp_gt_f64_e64 s0, 0x10000000, v[5:6]
	v_cmp_gt_f64_e64 s1, 0x10000000, v[3:4]
	;; [unrolled: 1-line block ×4, first 2 shown]
	s_delay_alu instid0(VALU_DEP_4) | instskip(NEXT) | instid1(VALU_DEP_4)
	v_cndmask_b32_e64 v2, 0, 1, s0
	v_cndmask_b32_e64 v12, 0, 1, s1
	s_delay_alu instid0(VALU_DEP_4) | instskip(NEXT) | instid1(VALU_DEP_4)
	v_cndmask_b32_e64 v13, 0, 1, s2
	v_cndmask_b32_e64 v14, 0, 1, s3
	s_delay_alu instid0(VALU_DEP_4) | instskip(NEXT) | instid1(VALU_DEP_4)
	v_lshlrev_b32_e32 v2, 8, v2
	v_lshlrev_b32_e32 v12, 8, v12
	s_delay_alu instid0(VALU_DEP_4) | instskip(NEXT) | instid1(VALU_DEP_4)
	v_lshlrev_b32_e32 v13, 8, v13
	v_lshlrev_b32_e32 v14, 8, v14
	s_delay_alu instid0(VALU_DEP_4) | instskip(NEXT) | instid1(VALU_DEP_4)
	v_ldexp_f64 v[5:6], v[5:6], v2
	v_ldexp_f64 v[2:3], v[3:4], v12
	s_delay_alu instid0(VALU_DEP_4) | instskip(NEXT) | instid1(VALU_DEP_4)
	v_ldexp_f64 v[12:13], v[9:10], v13
	v_ldexp_f64 v[14:15], v[7:8], v14
	v_cndmask_b32_e64 v4, 0, 0xffffff80, s0
	v_rsq_f64_e32 v[7:8], v[5:6]
	s_delay_alu instid0(VALU_DEP_4) | instskip(NEXT) | instid1(VALU_DEP_3)
	v_rsq_f64_e32 v[9:10], v[2:3]
	v_rsq_f64_e32 v[16:17], v[12:13]
	s_delay_alu instid0(VALU_DEP_2) | instskip(SKIP_3) | instid1(TRANS32_DEP_3)
	v_rsq_f64_e32 v[18:19], v[14:15]
	v_cmp_class_f64_e64 s0, v[5:6], 0x260
	v_mul_f64 v[20:21], v[5:6], v[7:8]
	v_mul_f64 v[7:8], v[7:8], 0.5
	v_mul_f64 v[22:23], v[2:3], v[9:10]
	v_mul_f64 v[9:10], v[9:10], 0.5
	s_delay_alu instid0(TRANS32_DEP_2) | instskip(SKIP_1) | instid1(TRANS32_DEP_1)
	v_mul_f64 v[24:25], v[12:13], v[16:17]
	v_mul_f64 v[16:17], v[16:17], 0.5
	v_mul_f64 v[26:27], v[14:15], v[18:19]
	v_mul_f64 v[18:19], v[18:19], 0.5
	v_fma_f64 v[28:29], -v[7:8], v[20:21], 0.5
	v_fma_f64 v[30:31], -v[9:10], v[22:23], 0.5
	v_fma_f64 v[32:33], -v[16:17], v[24:25], 0.5
	s_delay_alu instid0(VALU_DEP_4) | instskip(NEXT) | instid1(VALU_DEP_4)
	v_fma_f64 v[34:35], -v[18:19], v[26:27], 0.5
	v_fma_f64 v[20:21], v[20:21], v[28:29], v[20:21]
	v_fma_f64 v[7:8], v[7:8], v[28:29], v[7:8]
	;; [unrolled: 1-line block ×8, first 2 shown]
	v_fma_f64 v[28:29], -v[20:21], v[20:21], v[5:6]
	v_fma_f64 v[30:31], -v[22:23], v[22:23], v[2:3]
	;; [unrolled: 1-line block ×4, first 2 shown]
	s_delay_alu instid0(VALU_DEP_4) | instskip(NEXT) | instid1(VALU_DEP_4)
	v_fma_f64 v[20:21], v[28:29], v[7:8], v[20:21]
	v_fma_f64 v[22:23], v[30:31], v[9:10], v[22:23]
	s_delay_alu instid0(VALU_DEP_4) | instskip(NEXT) | instid1(VALU_DEP_4)
	v_fma_f64 v[24:25], v[32:33], v[16:17], v[24:25]
	v_fma_f64 v[26:27], v[34:35], v[18:19], v[26:27]
	s_delay_alu instid0(VALU_DEP_4) | instskip(NEXT) | instid1(VALU_DEP_4)
	v_fma_f64 v[28:29], -v[20:21], v[20:21], v[5:6]
	v_fma_f64 v[30:31], -v[22:23], v[22:23], v[2:3]
	s_delay_alu instid0(VALU_DEP_4) | instskip(NEXT) | instid1(VALU_DEP_4)
	v_fma_f64 v[32:33], -v[24:25], v[24:25], v[12:13]
	v_fma_f64 v[34:35], -v[26:27], v[26:27], v[14:15]
	s_delay_alu instid0(VALU_DEP_4)
	v_fma_f64 v[7:8], v[28:29], v[7:8], v[20:21]
	v_cndmask_b32_e64 v20, 0, 0xffffff80, s1
	v_fma_f64 v[9:10], v[30:31], v[9:10], v[22:23]
	v_cndmask_b32_e64 v22, 0, 0xffffff80, s2
	;; [unrolled: 2-line block ×3, first 2 shown]
	v_fma_f64 v[18:19], v[34:35], v[18:19], v[26:27]
	v_cmp_class_f64_e64 s1, v[2:3], 0x260
	v_cmp_class_f64_e64 s2, v[12:13], 0x260
	;; [unrolled: 1-line block ×3, first 2 shown]
	v_ldexp_f64 v[7:8], v[7:8], v4
	v_ldexp_f64 v[20:21], v[9:10], v20
	;; [unrolled: 1-line block ×4, first 2 shown]
	s_delay_alu instid0(VALU_DEP_4)
	v_cndmask_b32_e64 v10, v8, v6, s0
	v_cndmask_b32_e64 v9, v7, v5, s0
	;; [unrolled: 1-line block ×8, first 2 shown]
	s_and_saveexec_b32 s0, vcc_lo
	s_cbranch_execnz .LBB244_17
; %bb.12:
	s_or_b32 exec_lo, exec_lo, s0
	s_delay_alu instid0(SALU_CYCLE_1)
	s_mov_b32 s0, exec_lo
	v_cmpx_gt_i32_e64 s12, v0
	s_cbranch_execnz .LBB244_18
.LBB244_13:
	s_or_b32 exec_lo, exec_lo, s0
	s_delay_alu instid0(SALU_CYCLE_1)
	s_mov_b32 s0, exec_lo
	v_cmpx_gt_i32_e64 s12, v0
	s_cbranch_execnz .LBB244_19
.LBB244_14:
	s_or_b32 exec_lo, exec_lo, s0
	s_delay_alu instid0(SALU_CYCLE_1)
	s_mov_b32 s0, exec_lo
	v_cmpx_gt_i32_e64 s12, v0
	s_cbranch_execz .LBB244_16
.LBB244_15:
	v_dual_mov_b32 v1, 0 :: v_dual_add_nc_u32 v0, s8, v0
	s_delay_alu instid0(VALU_DEP_1) | instskip(NEXT) | instid1(VALU_DEP_1)
	v_lshlrev_b64 v[0:1], 3, v[0:1]
	v_add_co_u32 v0, vcc_lo, s4, v0
	s_delay_alu instid0(VALU_DEP_2)
	v_add_co_ci_u32_e32 v1, vcc_lo, s5, v1, vcc_lo
	global_store_b64 v[0:1], v[3:4], off
.LBB244_16:
	s_nop 0
	s_sendmsg sendmsg(MSG_DEALLOC_VGPRS)
	s_endpgm
.LBB244_17:
	v_mov_b32_e32 v2, 0
	s_delay_alu instid0(VALU_DEP_1) | instskip(NEXT) | instid1(VALU_DEP_1)
	v_lshlrev_b64 v[0:1], 3, v[1:2]
	v_add_co_u32 v12, vcc_lo, s4, v0
	s_delay_alu instid0(VALU_DEP_2) | instskip(SKIP_3) | instid1(SALU_CYCLE_1)
	v_add_co_ci_u32_e32 v13, vcc_lo, s5, v1, vcc_lo
	v_mov_b32_e32 v0, v11
	global_store_b64 v[12:13], v[9:10], off
	s_or_b32 exec_lo, exec_lo, s0
	s_mov_b32 s0, exec_lo
	v_cmpx_gt_i32_e64 s12, v0
	s_cbranch_execz .LBB244_13
.LBB244_18:
	v_dual_mov_b32 v2, 0 :: v_dual_add_nc_u32 v1, s8, v0
	v_add_nc_u32_e32 v0, 0x100, v0
	s_delay_alu instid0(VALU_DEP_2) | instskip(NEXT) | instid1(VALU_DEP_1)
	v_lshlrev_b64 v[1:2], 3, v[1:2]
	v_add_co_u32 v1, vcc_lo, s4, v1
	s_delay_alu instid0(VALU_DEP_2) | instskip(SKIP_2) | instid1(SALU_CYCLE_1)
	v_add_co_ci_u32_e32 v2, vcc_lo, s5, v2, vcc_lo
	global_store_b64 v[1:2], v[7:8], off
	s_or_b32 exec_lo, exec_lo, s0
	s_mov_b32 s0, exec_lo
	v_cmpx_gt_i32_e64 s12, v0
	s_cbranch_execz .LBB244_14
.LBB244_19:
	v_dual_mov_b32 v2, 0 :: v_dual_add_nc_u32 v1, s8, v0
	v_add_nc_u32_e32 v0, 0x100, v0
	s_delay_alu instid0(VALU_DEP_2) | instskip(NEXT) | instid1(VALU_DEP_1)
	v_lshlrev_b64 v[1:2], 3, v[1:2]
	v_add_co_u32 v1, vcc_lo, s4, v1
	s_delay_alu instid0(VALU_DEP_2) | instskip(SKIP_2) | instid1(SALU_CYCLE_1)
	v_add_co_ci_u32_e32 v2, vcc_lo, s5, v2, vcc_lo
	global_store_b64 v[1:2], v[5:6], off
	s_or_b32 exec_lo, exec_lo, s0
	s_mov_b32 s0, exec_lo
	v_cmpx_gt_i32_e64 s12, v0
	s_cbranch_execnz .LBB244_15
	s_branch .LBB244_16
	.section	.rodata,"a",@progbits
	.p2align	6, 0x0
	.amdhsa_kernel _ZN2at6native29vectorized_elementwise_kernelILi4EZZZNS0_16sqrt_kernel_cudaERNS_18TensorIteratorBaseEENKUlvE0_clEvENKUlvE_clEvEUldE_St5arrayIPcLm2EEEEviT0_T1_
		.amdhsa_group_segment_fixed_size 0
		.amdhsa_private_segment_fixed_size 0
		.amdhsa_kernarg_size 24
		.amdhsa_user_sgpr_count 15
		.amdhsa_user_sgpr_dispatch_ptr 0
		.amdhsa_user_sgpr_queue_ptr 0
		.amdhsa_user_sgpr_kernarg_segment_ptr 1
		.amdhsa_user_sgpr_dispatch_id 0
		.amdhsa_user_sgpr_private_segment_size 0
		.amdhsa_wavefront_size32 1
		.amdhsa_uses_dynamic_stack 0
		.amdhsa_enable_private_segment 0
		.amdhsa_system_sgpr_workgroup_id_x 1
		.amdhsa_system_sgpr_workgroup_id_y 0
		.amdhsa_system_sgpr_workgroup_id_z 0
		.amdhsa_system_sgpr_workgroup_info 0
		.amdhsa_system_vgpr_workitem_id 0
		.amdhsa_next_free_vgpr 36
		.amdhsa_next_free_sgpr 16
		.amdhsa_reserve_vcc 1
		.amdhsa_float_round_mode_32 0
		.amdhsa_float_round_mode_16_64 0
		.amdhsa_float_denorm_mode_32 3
		.amdhsa_float_denorm_mode_16_64 3
		.amdhsa_dx10_clamp 1
		.amdhsa_ieee_mode 1
		.amdhsa_fp16_overflow 0
		.amdhsa_workgroup_processor_mode 1
		.amdhsa_memory_ordered 1
		.amdhsa_forward_progress 0
		.amdhsa_shared_vgpr_count 0
		.amdhsa_exception_fp_ieee_invalid_op 0
		.amdhsa_exception_fp_denorm_src 0
		.amdhsa_exception_fp_ieee_div_zero 0
		.amdhsa_exception_fp_ieee_overflow 0
		.amdhsa_exception_fp_ieee_underflow 0
		.amdhsa_exception_fp_ieee_inexact 0
		.amdhsa_exception_int_div_zero 0
	.end_amdhsa_kernel
	.section	.text._ZN2at6native29vectorized_elementwise_kernelILi4EZZZNS0_16sqrt_kernel_cudaERNS_18TensorIteratorBaseEENKUlvE0_clEvENKUlvE_clEvEUldE_St5arrayIPcLm2EEEEviT0_T1_,"axG",@progbits,_ZN2at6native29vectorized_elementwise_kernelILi4EZZZNS0_16sqrt_kernel_cudaERNS_18TensorIteratorBaseEENKUlvE0_clEvENKUlvE_clEvEUldE_St5arrayIPcLm2EEEEviT0_T1_,comdat
.Lfunc_end244:
	.size	_ZN2at6native29vectorized_elementwise_kernelILi4EZZZNS0_16sqrt_kernel_cudaERNS_18TensorIteratorBaseEENKUlvE0_clEvENKUlvE_clEvEUldE_St5arrayIPcLm2EEEEviT0_T1_, .Lfunc_end244-_ZN2at6native29vectorized_elementwise_kernelILi4EZZZNS0_16sqrt_kernel_cudaERNS_18TensorIteratorBaseEENKUlvE0_clEvENKUlvE_clEvEUldE_St5arrayIPcLm2EEEEviT0_T1_
                                        ; -- End function
	.section	.AMDGPU.csdata,"",@progbits
; Kernel info:
; codeLenInByte = 2204
; NumSgprs: 18
; NumVgprs: 36
; ScratchSize: 0
; MemoryBound: 0
; FloatMode: 240
; IeeeMode: 1
; LDSByteSize: 0 bytes/workgroup (compile time only)
; SGPRBlocks: 2
; VGPRBlocks: 4
; NumSGPRsForWavesPerEU: 18
; NumVGPRsForWavesPerEU: 36
; Occupancy: 16
; WaveLimiterHint : 0
; COMPUTE_PGM_RSRC2:SCRATCH_EN: 0
; COMPUTE_PGM_RSRC2:USER_SGPR: 15
; COMPUTE_PGM_RSRC2:TRAP_HANDLER: 0
; COMPUTE_PGM_RSRC2:TGID_X_EN: 1
; COMPUTE_PGM_RSRC2:TGID_Y_EN: 0
; COMPUTE_PGM_RSRC2:TGID_Z_EN: 0
; COMPUTE_PGM_RSRC2:TIDIG_COMP_CNT: 0
	.section	.text._ZN2at6native29vectorized_elementwise_kernelILi2EZZZNS0_16sqrt_kernel_cudaERNS_18TensorIteratorBaseEENKUlvE0_clEvENKUlvE_clEvEUldE_St5arrayIPcLm2EEEEviT0_T1_,"axG",@progbits,_ZN2at6native29vectorized_elementwise_kernelILi2EZZZNS0_16sqrt_kernel_cudaERNS_18TensorIteratorBaseEENKUlvE0_clEvENKUlvE_clEvEUldE_St5arrayIPcLm2EEEEviT0_T1_,comdat
	.globl	_ZN2at6native29vectorized_elementwise_kernelILi2EZZZNS0_16sqrt_kernel_cudaERNS_18TensorIteratorBaseEENKUlvE0_clEvENKUlvE_clEvEUldE_St5arrayIPcLm2EEEEviT0_T1_ ; -- Begin function _ZN2at6native29vectorized_elementwise_kernelILi2EZZZNS0_16sqrt_kernel_cudaERNS_18TensorIteratorBaseEENKUlvE0_clEvENKUlvE_clEvEUldE_St5arrayIPcLm2EEEEviT0_T1_
	.p2align	8
	.type	_ZN2at6native29vectorized_elementwise_kernelILi2EZZZNS0_16sqrt_kernel_cudaERNS_18TensorIteratorBaseEENKUlvE0_clEvENKUlvE_clEvEUldE_St5arrayIPcLm2EEEEviT0_T1_,@function
_ZN2at6native29vectorized_elementwise_kernelILi2EZZZNS0_16sqrt_kernel_cudaERNS_18TensorIteratorBaseEENKUlvE0_clEvENKUlvE_clEvEUldE_St5arrayIPcLm2EEEEviT0_T1_: ; @_ZN2at6native29vectorized_elementwise_kernelILi2EZZZNS0_16sqrt_kernel_cudaERNS_18TensorIteratorBaseEENKUlvE0_clEvENKUlvE_clEvEUldE_St5arrayIPcLm2EEEEviT0_T1_
; %bb.0:
	s_clause 0x1
	s_load_b32 s2, s[0:1], 0x0
	s_load_b128 s[4:7], s[0:1], 0x8
	s_lshl_b32 s8, s15, 10
	s_mov_b32 s0, -1
	s_waitcnt lgkmcnt(0)
	s_sub_i32 s12, s2, s8
	s_delay_alu instid0(SALU_CYCLE_1)
	s_cmpk_gt_i32 s12, 0x3ff
	s_cbranch_scc0 .LBB245_2
; %bb.1:
	s_ashr_i32 s9, s8, 31
	v_lshlrev_b32_e32 v33, 4, v0
	s_lshl_b64 s[10:11], s[8:9], 3
	s_delay_alu instid0(SALU_CYCLE_1) | instskip(SKIP_1) | instid1(VALU_DEP_1)
	s_add_u32 s0, s6, s10
	s_addc_u32 s1, s7, s11
	v_add_co_u32 v5, s2, s0, v33
	s_delay_alu instid0(VALU_DEP_1)
	v_add_co_ci_u32_e64 v6, null, s1, 0, s2
	global_load_b128 v[1:4], v33, s[0:1]
	v_add_co_u32 v5, vcc_lo, 0x1000, v5
	v_add_co_ci_u32_e32 v6, vcc_lo, 0, v6, vcc_lo
	s_add_u32 s10, s4, s10
	s_addc_u32 s11, s5, s11
	global_load_b128 v[5:8], v[5:6], off
	s_waitcnt vmcnt(1)
	v_cmp_gt_f64_e32 vcc_lo, 0x10000000, v[1:2]
	v_cmp_gt_f64_e64 s0, 0x10000000, v[3:4]
	s_waitcnt vmcnt(0)
	v_cmp_gt_f64_e64 s1, 0x10000000, v[5:6]
	v_cmp_gt_f64_e64 s2, 0x10000000, v[7:8]
	v_cndmask_b32_e64 v9, 0, 1, vcc_lo
	s_delay_alu instid0(VALU_DEP_4) | instskip(NEXT) | instid1(VALU_DEP_2)
	v_cndmask_b32_e64 v10, 0, 1, s0
	v_lshlrev_b32_e32 v9, 8, v9
	v_cndmask_b32_e64 v11, 0, 1, s1
	v_cndmask_b32_e64 v12, 0, 1, s2
	s_delay_alu instid0(VALU_DEP_3) | instskip(SKIP_1) | instid1(VALU_DEP_4)
	v_ldexp_f64 v[1:2], v[1:2], v9
	v_lshlrev_b32_e32 v10, 8, v10
	v_lshlrev_b32_e32 v11, 8, v11
	s_delay_alu instid0(VALU_DEP_4) | instskip(NEXT) | instid1(VALU_DEP_3)
	v_lshlrev_b32_e32 v9, 8, v12
	v_ldexp_f64 v[3:4], v[3:4], v10
	s_delay_alu instid0(VALU_DEP_3) | instskip(NEXT) | instid1(VALU_DEP_3)
	v_ldexp_f64 v[5:6], v[5:6], v11
	v_ldexp_f64 v[7:8], v[7:8], v9
	v_rsq_f64_e32 v[9:10], v[1:2]
	s_delay_alu instid0(VALU_DEP_3) | instskip(NEXT) | instid1(VALU_DEP_2)
	v_rsq_f64_e32 v[11:12], v[3:4]
	v_rsq_f64_e32 v[13:14], v[5:6]
	s_delay_alu instid0(VALU_DEP_1) | instskip(SKIP_2) | instid1(TRANS32_DEP_3)
	v_rsq_f64_e32 v[15:16], v[7:8]
	v_mul_f64 v[17:18], v[1:2], v[9:10]
	v_mul_f64 v[9:10], v[9:10], 0.5
	v_mul_f64 v[19:20], v[3:4], v[11:12]
	v_mul_f64 v[11:12], v[11:12], 0.5
	s_waitcnt_depctr 0xfff
	v_mul_f64 v[21:22], v[5:6], v[13:14]
	v_mul_f64 v[13:14], v[13:14], 0.5
	v_mul_f64 v[23:24], v[7:8], v[15:16]
	v_mul_f64 v[15:16], v[15:16], 0.5
	v_fma_f64 v[25:26], -v[9:10], v[17:18], 0.5
	v_fma_f64 v[27:28], -v[11:12], v[19:20], 0.5
	;; [unrolled: 1-line block ×3, first 2 shown]
	s_delay_alu instid0(VALU_DEP_4) | instskip(NEXT) | instid1(VALU_DEP_4)
	v_fma_f64 v[31:32], -v[15:16], v[23:24], 0.5
	v_fma_f64 v[17:18], v[17:18], v[25:26], v[17:18]
	v_fma_f64 v[9:10], v[9:10], v[25:26], v[9:10]
	;; [unrolled: 1-line block ×8, first 2 shown]
	v_fma_f64 v[25:26], -v[17:18], v[17:18], v[1:2]
	v_fma_f64 v[27:28], -v[19:20], v[19:20], v[3:4]
	;; [unrolled: 1-line block ×4, first 2 shown]
	s_delay_alu instid0(VALU_DEP_4) | instskip(NEXT) | instid1(VALU_DEP_4)
	v_fma_f64 v[17:18], v[25:26], v[9:10], v[17:18]
	v_fma_f64 v[19:20], v[27:28], v[11:12], v[19:20]
	s_delay_alu instid0(VALU_DEP_4) | instskip(NEXT) | instid1(VALU_DEP_4)
	v_fma_f64 v[21:22], v[29:30], v[13:14], v[21:22]
	v_fma_f64 v[23:24], v[31:32], v[15:16], v[23:24]
	s_delay_alu instid0(VALU_DEP_4) | instskip(NEXT) | instid1(VALU_DEP_4)
	v_fma_f64 v[25:26], -v[17:18], v[17:18], v[1:2]
	v_fma_f64 v[27:28], -v[19:20], v[19:20], v[3:4]
	s_delay_alu instid0(VALU_DEP_4) | instskip(NEXT) | instid1(VALU_DEP_4)
	v_fma_f64 v[29:30], -v[21:22], v[21:22], v[5:6]
	v_fma_f64 v[31:32], -v[23:24], v[23:24], v[7:8]
	s_delay_alu instid0(VALU_DEP_4)
	v_fma_f64 v[9:10], v[25:26], v[9:10], v[17:18]
	v_cndmask_b32_e64 v17, 0, 0xffffff80, vcc_lo
	v_cmp_class_f64_e64 vcc_lo, v[1:2], 0x260
	v_cndmask_b32_e64 v18, 0, 0xffffff80, s0
	v_cmp_class_f64_e64 s0, v[3:4], 0x260
	v_fma_f64 v[11:12], v[27:28], v[11:12], v[19:20]
	v_cndmask_b32_e64 v19, 0, 0xffffff80, s1
	v_fma_f64 v[13:14], v[29:30], v[13:14], v[21:22]
	v_cndmask_b32_e64 v20, 0, 0xffffff80, s2
	v_fma_f64 v[15:16], v[31:32], v[15:16], v[23:24]
	v_cmp_class_f64_e64 s1, v[5:6], 0x260
	v_cmp_class_f64_e64 s2, v[7:8], 0x260
	v_ldexp_f64 v[9:10], v[9:10], v17
	v_ldexp_f64 v[11:12], v[11:12], v18
	;; [unrolled: 1-line block ×4, first 2 shown]
	s_delay_alu instid0(VALU_DEP_4) | instskip(SKIP_1) | instid1(VALU_DEP_1)
	v_dual_cndmask_b32 v1, v9, v1 :: v_dual_cndmask_b32 v2, v10, v2
	v_add_co_u32 v17, s3, s10, v33
	v_add_co_ci_u32_e64 v18, null, s11, 0, s3
	v_cndmask_b32_e64 v4, v12, v4, s0
	s_delay_alu instid0(VALU_DEP_3)
	v_add_co_u32 v9, vcc_lo, 0x1000, v17
	v_cndmask_b32_e64 v3, v11, v3, s0
	v_cndmask_b32_e64 v6, v14, v6, s1
	;; [unrolled: 1-line block ×5, first 2 shown]
	v_add_co_ci_u32_e32 v10, vcc_lo, 0, v18, vcc_lo
	s_mov_b32 s0, 0
	s_clause 0x1
	global_store_b128 v33, v[1:4], s[10:11]
	global_store_b128 v[9:10], v[5:8], off
.LBB245_2:
	s_and_not1_b32 vcc_lo, exec_lo, s0
	s_cbranch_vccnz .LBB245_16
; %bb.3:
	v_dual_mov_b32 v3, 0 :: v_dual_mov_b32 v2, v0
	v_mov_b32_e32 v4, 0
	v_cmp_gt_i32_e32 vcc_lo, s12, v0
	v_or_b32_e32 v1, s8, v0
	v_or_b32_e32 v11, 0x100, v0
	s_delay_alu instid0(VALU_DEP_4)
	v_dual_mov_b32 v6, v4 :: v_dual_mov_b32 v5, v3
	s_and_saveexec_b32 s1, vcc_lo
	s_cbranch_execz .LBB245_5
; %bb.4:
	v_mov_b32_e32 v2, 0
	s_delay_alu instid0(VALU_DEP_1) | instskip(SKIP_1) | instid1(VALU_DEP_2)
	v_lshlrev_b64 v[5:6], 3, v[1:2]
	v_or_b32_e32 v2, 0x100, v0
	v_add_co_u32 v5, s0, s6, v5
	s_delay_alu instid0(VALU_DEP_1)
	v_add_co_ci_u32_e64 v6, s0, s7, v6, s0
	global_load_b64 v[5:6], v[5:6], off
.LBB245_5:
	s_or_b32 exec_lo, exec_lo, s1
	s_delay_alu instid0(SALU_CYCLE_1)
	s_mov_b32 s1, exec_lo
	v_cmpx_gt_i32_e64 s12, v2
	s_cbranch_execz .LBB245_7
; %bb.6:
	v_dual_mov_b32 v4, 0 :: v_dual_add_nc_u32 v3, s8, v2
	v_add_nc_u32_e32 v2, 0x100, v2
	s_delay_alu instid0(VALU_DEP_2) | instskip(NEXT) | instid1(VALU_DEP_1)
	v_lshlrev_b64 v[3:4], 3, v[3:4]
	v_add_co_u32 v3, s0, s6, v3
	s_delay_alu instid0(VALU_DEP_1)
	v_add_co_ci_u32_e64 v4, s0, s7, v4, s0
	global_load_b64 v[3:4], v[3:4], off
.LBB245_7:
	s_or_b32 exec_lo, exec_lo, s1
	v_mov_b32_e32 v7, 0
	v_mov_b32_e32 v8, 0
	s_mov_b32 s1, exec_lo
	s_delay_alu instid0(VALU_DEP_1)
	v_dual_mov_b32 v10, v8 :: v_dual_mov_b32 v9, v7
	v_cmpx_gt_i32_e64 s12, v2
	s_cbranch_execz .LBB245_9
; %bb.8:
	v_dual_mov_b32 v10, 0 :: v_dual_add_nc_u32 v9, s8, v2
	v_add_nc_u32_e32 v2, 0x100, v2
	s_delay_alu instid0(VALU_DEP_2) | instskip(NEXT) | instid1(VALU_DEP_1)
	v_lshlrev_b64 v[9:10], 3, v[9:10]
	v_add_co_u32 v9, s0, s6, v9
	s_delay_alu instid0(VALU_DEP_1)
	v_add_co_ci_u32_e64 v10, s0, s7, v10, s0
	global_load_b64 v[9:10], v[9:10], off
.LBB245_9:
	s_or_b32 exec_lo, exec_lo, s1
	s_delay_alu instid0(SALU_CYCLE_1)
	s_mov_b32 s1, exec_lo
	v_cmpx_gt_i32_e64 s12, v2
	s_cbranch_execz .LBB245_11
; %bb.10:
	v_dual_mov_b32 v8, 0 :: v_dual_add_nc_u32 v7, s8, v2
	s_delay_alu instid0(VALU_DEP_1) | instskip(NEXT) | instid1(VALU_DEP_1)
	v_lshlrev_b64 v[7:8], 3, v[7:8]
	v_add_co_u32 v7, s0, s6, v7
	s_delay_alu instid0(VALU_DEP_1)
	v_add_co_ci_u32_e64 v8, s0, s7, v8, s0
	global_load_b64 v[7:8], v[7:8], off
.LBB245_11:
	s_or_b32 exec_lo, exec_lo, s1
	s_waitcnt vmcnt(0)
	v_cmp_gt_f64_e64 s0, 0x10000000, v[5:6]
	v_cmp_gt_f64_e64 s1, 0x10000000, v[3:4]
	;; [unrolled: 1-line block ×4, first 2 shown]
	s_delay_alu instid0(VALU_DEP_4) | instskip(NEXT) | instid1(VALU_DEP_4)
	v_cndmask_b32_e64 v2, 0, 1, s0
	v_cndmask_b32_e64 v12, 0, 1, s1
	s_delay_alu instid0(VALU_DEP_4) | instskip(NEXT) | instid1(VALU_DEP_4)
	v_cndmask_b32_e64 v13, 0, 1, s2
	v_cndmask_b32_e64 v14, 0, 1, s3
	s_delay_alu instid0(VALU_DEP_4) | instskip(NEXT) | instid1(VALU_DEP_4)
	v_lshlrev_b32_e32 v2, 8, v2
	v_lshlrev_b32_e32 v12, 8, v12
	s_delay_alu instid0(VALU_DEP_4) | instskip(NEXT) | instid1(VALU_DEP_4)
	v_lshlrev_b32_e32 v13, 8, v13
	v_lshlrev_b32_e32 v14, 8, v14
	s_delay_alu instid0(VALU_DEP_4) | instskip(NEXT) | instid1(VALU_DEP_4)
	v_ldexp_f64 v[5:6], v[5:6], v2
	v_ldexp_f64 v[2:3], v[3:4], v12
	s_delay_alu instid0(VALU_DEP_4) | instskip(NEXT) | instid1(VALU_DEP_4)
	v_ldexp_f64 v[12:13], v[9:10], v13
	v_ldexp_f64 v[14:15], v[7:8], v14
	v_cndmask_b32_e64 v4, 0, 0xffffff80, s0
	v_rsq_f64_e32 v[7:8], v[5:6]
	s_delay_alu instid0(VALU_DEP_4) | instskip(NEXT) | instid1(VALU_DEP_3)
	v_rsq_f64_e32 v[9:10], v[2:3]
	v_rsq_f64_e32 v[16:17], v[12:13]
	s_delay_alu instid0(VALU_DEP_2) | instskip(SKIP_3) | instid1(TRANS32_DEP_3)
	v_rsq_f64_e32 v[18:19], v[14:15]
	v_cmp_class_f64_e64 s0, v[5:6], 0x260
	v_mul_f64 v[20:21], v[5:6], v[7:8]
	v_mul_f64 v[7:8], v[7:8], 0.5
	v_mul_f64 v[22:23], v[2:3], v[9:10]
	v_mul_f64 v[9:10], v[9:10], 0.5
	s_delay_alu instid0(TRANS32_DEP_2) | instskip(SKIP_1) | instid1(TRANS32_DEP_1)
	v_mul_f64 v[24:25], v[12:13], v[16:17]
	v_mul_f64 v[16:17], v[16:17], 0.5
	v_mul_f64 v[26:27], v[14:15], v[18:19]
	v_mul_f64 v[18:19], v[18:19], 0.5
	v_fma_f64 v[28:29], -v[7:8], v[20:21], 0.5
	v_fma_f64 v[30:31], -v[9:10], v[22:23], 0.5
	;; [unrolled: 1-line block ×3, first 2 shown]
	s_delay_alu instid0(VALU_DEP_4) | instskip(NEXT) | instid1(VALU_DEP_4)
	v_fma_f64 v[34:35], -v[18:19], v[26:27], 0.5
	v_fma_f64 v[20:21], v[20:21], v[28:29], v[20:21]
	v_fma_f64 v[7:8], v[7:8], v[28:29], v[7:8]
	;; [unrolled: 1-line block ×8, first 2 shown]
	v_fma_f64 v[28:29], -v[20:21], v[20:21], v[5:6]
	v_fma_f64 v[30:31], -v[22:23], v[22:23], v[2:3]
	;; [unrolled: 1-line block ×4, first 2 shown]
	s_delay_alu instid0(VALU_DEP_4) | instskip(NEXT) | instid1(VALU_DEP_4)
	v_fma_f64 v[20:21], v[28:29], v[7:8], v[20:21]
	v_fma_f64 v[22:23], v[30:31], v[9:10], v[22:23]
	s_delay_alu instid0(VALU_DEP_4) | instskip(NEXT) | instid1(VALU_DEP_4)
	v_fma_f64 v[24:25], v[32:33], v[16:17], v[24:25]
	v_fma_f64 v[26:27], v[34:35], v[18:19], v[26:27]
	s_delay_alu instid0(VALU_DEP_4) | instskip(NEXT) | instid1(VALU_DEP_4)
	v_fma_f64 v[28:29], -v[20:21], v[20:21], v[5:6]
	v_fma_f64 v[30:31], -v[22:23], v[22:23], v[2:3]
	s_delay_alu instid0(VALU_DEP_4) | instskip(NEXT) | instid1(VALU_DEP_4)
	v_fma_f64 v[32:33], -v[24:25], v[24:25], v[12:13]
	v_fma_f64 v[34:35], -v[26:27], v[26:27], v[14:15]
	s_delay_alu instid0(VALU_DEP_4)
	v_fma_f64 v[7:8], v[28:29], v[7:8], v[20:21]
	v_cndmask_b32_e64 v20, 0, 0xffffff80, s1
	v_fma_f64 v[9:10], v[30:31], v[9:10], v[22:23]
	v_cndmask_b32_e64 v22, 0, 0xffffff80, s2
	;; [unrolled: 2-line block ×3, first 2 shown]
	v_fma_f64 v[18:19], v[34:35], v[18:19], v[26:27]
	v_cmp_class_f64_e64 s1, v[2:3], 0x260
	v_cmp_class_f64_e64 s2, v[12:13], 0x260
	;; [unrolled: 1-line block ×3, first 2 shown]
	v_ldexp_f64 v[7:8], v[7:8], v4
	v_ldexp_f64 v[20:21], v[9:10], v20
	;; [unrolled: 1-line block ×4, first 2 shown]
	s_delay_alu instid0(VALU_DEP_4)
	v_cndmask_b32_e64 v10, v8, v6, s0
	v_cndmask_b32_e64 v9, v7, v5, s0
	;; [unrolled: 1-line block ×8, first 2 shown]
	s_and_saveexec_b32 s0, vcc_lo
	s_cbranch_execnz .LBB245_17
; %bb.12:
	s_or_b32 exec_lo, exec_lo, s0
	s_delay_alu instid0(SALU_CYCLE_1)
	s_mov_b32 s0, exec_lo
	v_cmpx_gt_i32_e64 s12, v0
	s_cbranch_execnz .LBB245_18
.LBB245_13:
	s_or_b32 exec_lo, exec_lo, s0
	s_delay_alu instid0(SALU_CYCLE_1)
	s_mov_b32 s0, exec_lo
	v_cmpx_gt_i32_e64 s12, v0
	s_cbranch_execnz .LBB245_19
.LBB245_14:
	s_or_b32 exec_lo, exec_lo, s0
	s_delay_alu instid0(SALU_CYCLE_1)
	s_mov_b32 s0, exec_lo
	v_cmpx_gt_i32_e64 s12, v0
	s_cbranch_execz .LBB245_16
.LBB245_15:
	v_dual_mov_b32 v1, 0 :: v_dual_add_nc_u32 v0, s8, v0
	s_delay_alu instid0(VALU_DEP_1) | instskip(NEXT) | instid1(VALU_DEP_1)
	v_lshlrev_b64 v[0:1], 3, v[0:1]
	v_add_co_u32 v0, vcc_lo, s4, v0
	s_delay_alu instid0(VALU_DEP_2)
	v_add_co_ci_u32_e32 v1, vcc_lo, s5, v1, vcc_lo
	global_store_b64 v[0:1], v[3:4], off
.LBB245_16:
	s_nop 0
	s_sendmsg sendmsg(MSG_DEALLOC_VGPRS)
	s_endpgm
.LBB245_17:
	v_mov_b32_e32 v2, 0
	s_delay_alu instid0(VALU_DEP_1) | instskip(NEXT) | instid1(VALU_DEP_1)
	v_lshlrev_b64 v[0:1], 3, v[1:2]
	v_add_co_u32 v12, vcc_lo, s4, v0
	s_delay_alu instid0(VALU_DEP_2) | instskip(SKIP_3) | instid1(SALU_CYCLE_1)
	v_add_co_ci_u32_e32 v13, vcc_lo, s5, v1, vcc_lo
	v_mov_b32_e32 v0, v11
	global_store_b64 v[12:13], v[9:10], off
	s_or_b32 exec_lo, exec_lo, s0
	s_mov_b32 s0, exec_lo
	v_cmpx_gt_i32_e64 s12, v0
	s_cbranch_execz .LBB245_13
.LBB245_18:
	v_dual_mov_b32 v2, 0 :: v_dual_add_nc_u32 v1, s8, v0
	v_add_nc_u32_e32 v0, 0x100, v0
	s_delay_alu instid0(VALU_DEP_2) | instskip(NEXT) | instid1(VALU_DEP_1)
	v_lshlrev_b64 v[1:2], 3, v[1:2]
	v_add_co_u32 v1, vcc_lo, s4, v1
	s_delay_alu instid0(VALU_DEP_2) | instskip(SKIP_2) | instid1(SALU_CYCLE_1)
	v_add_co_ci_u32_e32 v2, vcc_lo, s5, v2, vcc_lo
	global_store_b64 v[1:2], v[7:8], off
	s_or_b32 exec_lo, exec_lo, s0
	s_mov_b32 s0, exec_lo
	v_cmpx_gt_i32_e64 s12, v0
	s_cbranch_execz .LBB245_14
.LBB245_19:
	v_dual_mov_b32 v2, 0 :: v_dual_add_nc_u32 v1, s8, v0
	v_add_nc_u32_e32 v0, 0x100, v0
	s_delay_alu instid0(VALU_DEP_2) | instskip(NEXT) | instid1(VALU_DEP_1)
	v_lshlrev_b64 v[1:2], 3, v[1:2]
	v_add_co_u32 v1, vcc_lo, s4, v1
	s_delay_alu instid0(VALU_DEP_2) | instskip(SKIP_2) | instid1(SALU_CYCLE_1)
	v_add_co_ci_u32_e32 v2, vcc_lo, s5, v2, vcc_lo
	global_store_b64 v[1:2], v[5:6], off
	s_or_b32 exec_lo, exec_lo, s0
	s_mov_b32 s0, exec_lo
	v_cmpx_gt_i32_e64 s12, v0
	s_cbranch_execnz .LBB245_15
	s_branch .LBB245_16
	.section	.rodata,"a",@progbits
	.p2align	6, 0x0
	.amdhsa_kernel _ZN2at6native29vectorized_elementwise_kernelILi2EZZZNS0_16sqrt_kernel_cudaERNS_18TensorIteratorBaseEENKUlvE0_clEvENKUlvE_clEvEUldE_St5arrayIPcLm2EEEEviT0_T1_
		.amdhsa_group_segment_fixed_size 0
		.amdhsa_private_segment_fixed_size 0
		.amdhsa_kernarg_size 24
		.amdhsa_user_sgpr_count 15
		.amdhsa_user_sgpr_dispatch_ptr 0
		.amdhsa_user_sgpr_queue_ptr 0
		.amdhsa_user_sgpr_kernarg_segment_ptr 1
		.amdhsa_user_sgpr_dispatch_id 0
		.amdhsa_user_sgpr_private_segment_size 0
		.amdhsa_wavefront_size32 1
		.amdhsa_uses_dynamic_stack 0
		.amdhsa_enable_private_segment 0
		.amdhsa_system_sgpr_workgroup_id_x 1
		.amdhsa_system_sgpr_workgroup_id_y 0
		.amdhsa_system_sgpr_workgroup_id_z 0
		.amdhsa_system_sgpr_workgroup_info 0
		.amdhsa_system_vgpr_workitem_id 0
		.amdhsa_next_free_vgpr 36
		.amdhsa_next_free_sgpr 16
		.amdhsa_reserve_vcc 1
		.amdhsa_float_round_mode_32 0
		.amdhsa_float_round_mode_16_64 0
		.amdhsa_float_denorm_mode_32 3
		.amdhsa_float_denorm_mode_16_64 3
		.amdhsa_dx10_clamp 1
		.amdhsa_ieee_mode 1
		.amdhsa_fp16_overflow 0
		.amdhsa_workgroup_processor_mode 1
		.amdhsa_memory_ordered 1
		.amdhsa_forward_progress 0
		.amdhsa_shared_vgpr_count 0
		.amdhsa_exception_fp_ieee_invalid_op 0
		.amdhsa_exception_fp_denorm_src 0
		.amdhsa_exception_fp_ieee_div_zero 0
		.amdhsa_exception_fp_ieee_overflow 0
		.amdhsa_exception_fp_ieee_underflow 0
		.amdhsa_exception_fp_ieee_inexact 0
		.amdhsa_exception_int_div_zero 0
	.end_amdhsa_kernel
	.section	.text._ZN2at6native29vectorized_elementwise_kernelILi2EZZZNS0_16sqrt_kernel_cudaERNS_18TensorIteratorBaseEENKUlvE0_clEvENKUlvE_clEvEUldE_St5arrayIPcLm2EEEEviT0_T1_,"axG",@progbits,_ZN2at6native29vectorized_elementwise_kernelILi2EZZZNS0_16sqrt_kernel_cudaERNS_18TensorIteratorBaseEENKUlvE0_clEvENKUlvE_clEvEUldE_St5arrayIPcLm2EEEEviT0_T1_,comdat
.Lfunc_end245:
	.size	_ZN2at6native29vectorized_elementwise_kernelILi2EZZZNS0_16sqrt_kernel_cudaERNS_18TensorIteratorBaseEENKUlvE0_clEvENKUlvE_clEvEUldE_St5arrayIPcLm2EEEEviT0_T1_, .Lfunc_end245-_ZN2at6native29vectorized_elementwise_kernelILi2EZZZNS0_16sqrt_kernel_cudaERNS_18TensorIteratorBaseEENKUlvE0_clEvENKUlvE_clEvEUldE_St5arrayIPcLm2EEEEviT0_T1_
                                        ; -- End function
	.section	.AMDGPU.csdata,"",@progbits
; Kernel info:
; codeLenInByte = 2268
; NumSgprs: 18
; NumVgprs: 36
; ScratchSize: 0
; MemoryBound: 0
; FloatMode: 240
; IeeeMode: 1
; LDSByteSize: 0 bytes/workgroup (compile time only)
; SGPRBlocks: 2
; VGPRBlocks: 4
; NumSGPRsForWavesPerEU: 18
; NumVGPRsForWavesPerEU: 36
; Occupancy: 16
; WaveLimiterHint : 1
; COMPUTE_PGM_RSRC2:SCRATCH_EN: 0
; COMPUTE_PGM_RSRC2:USER_SGPR: 15
; COMPUTE_PGM_RSRC2:TRAP_HANDLER: 0
; COMPUTE_PGM_RSRC2:TGID_X_EN: 1
; COMPUTE_PGM_RSRC2:TGID_Y_EN: 0
; COMPUTE_PGM_RSRC2:TGID_Z_EN: 0
; COMPUTE_PGM_RSRC2:TIDIG_COMP_CNT: 0
	.section	.text._ZN2at6native27unrolled_elementwise_kernelIZZZNS0_16sqrt_kernel_cudaERNS_18TensorIteratorBaseEENKUlvE0_clEvENKUlvE_clEvEUldE_St5arrayIPcLm2EELi4E23TrivialOffsetCalculatorILi1EjESB_NS0_6memory15LoadWithoutCastENSC_16StoreWithoutCastEEEviT_T0_T2_T3_T4_T5_,"axG",@progbits,_ZN2at6native27unrolled_elementwise_kernelIZZZNS0_16sqrt_kernel_cudaERNS_18TensorIteratorBaseEENKUlvE0_clEvENKUlvE_clEvEUldE_St5arrayIPcLm2EELi4E23TrivialOffsetCalculatorILi1EjESB_NS0_6memory15LoadWithoutCastENSC_16StoreWithoutCastEEEviT_T0_T2_T3_T4_T5_,comdat
	.globl	_ZN2at6native27unrolled_elementwise_kernelIZZZNS0_16sqrt_kernel_cudaERNS_18TensorIteratorBaseEENKUlvE0_clEvENKUlvE_clEvEUldE_St5arrayIPcLm2EELi4E23TrivialOffsetCalculatorILi1EjESB_NS0_6memory15LoadWithoutCastENSC_16StoreWithoutCastEEEviT_T0_T2_T3_T4_T5_ ; -- Begin function _ZN2at6native27unrolled_elementwise_kernelIZZZNS0_16sqrt_kernel_cudaERNS_18TensorIteratorBaseEENKUlvE0_clEvENKUlvE_clEvEUldE_St5arrayIPcLm2EELi4E23TrivialOffsetCalculatorILi1EjESB_NS0_6memory15LoadWithoutCastENSC_16StoreWithoutCastEEEviT_T0_T2_T3_T4_T5_
	.p2align	8
	.type	_ZN2at6native27unrolled_elementwise_kernelIZZZNS0_16sqrt_kernel_cudaERNS_18TensorIteratorBaseEENKUlvE0_clEvENKUlvE_clEvEUldE_St5arrayIPcLm2EELi4E23TrivialOffsetCalculatorILi1EjESB_NS0_6memory15LoadWithoutCastENSC_16StoreWithoutCastEEEviT_T0_T2_T3_T4_T5_,@function
_ZN2at6native27unrolled_elementwise_kernelIZZZNS0_16sqrt_kernel_cudaERNS_18TensorIteratorBaseEENKUlvE0_clEvENKUlvE_clEvEUldE_St5arrayIPcLm2EELi4E23TrivialOffsetCalculatorILi1EjESB_NS0_6memory15LoadWithoutCastENSC_16StoreWithoutCastEEEviT_T0_T2_T3_T4_T5_: ; @_ZN2at6native27unrolled_elementwise_kernelIZZZNS0_16sqrt_kernel_cudaERNS_18TensorIteratorBaseEENKUlvE0_clEvENKUlvE_clEvEUldE_St5arrayIPcLm2EELi4E23TrivialOffsetCalculatorILi1EjESB_NS0_6memory15LoadWithoutCastENSC_16StoreWithoutCastEEEviT_T0_T2_T3_T4_T5_
; %bb.0:
	s_clause 0x1
	s_load_b32 s2, s[0:1], 0x0
	s_load_b128 s[4:7], s[0:1], 0x8
	v_dual_mov_b32 v3, 0 :: v_dual_mov_b32 v2, v0
	v_mov_b32_e32 v4, 0
	s_lshl_b32 s8, s15, 10
	v_or_b32_e32 v11, 0x100, v0
	v_or_b32_e32 v1, s8, v0
	s_delay_alu instid0(VALU_DEP_3) | instskip(SKIP_2) | instid1(SALU_CYCLE_1)
	v_dual_mov_b32 v6, v4 :: v_dual_mov_b32 v5, v3
	s_waitcnt lgkmcnt(0)
	s_sub_i32 s9, s2, s8
	v_cmp_gt_i32_e32 vcc_lo, s9, v0
	s_and_saveexec_b32 s1, vcc_lo
	s_cbranch_execz .LBB246_2
; %bb.1:
	v_mov_b32_e32 v2, 0
	s_delay_alu instid0(VALU_DEP_1) | instskip(SKIP_1) | instid1(VALU_DEP_2)
	v_lshlrev_b64 v[5:6], 3, v[1:2]
	v_or_b32_e32 v2, 0x100, v0
	v_add_co_u32 v5, s0, s6, v5
	s_delay_alu instid0(VALU_DEP_1)
	v_add_co_ci_u32_e64 v6, s0, s7, v6, s0
	global_load_b64 v[5:6], v[5:6], off
.LBB246_2:
	s_or_b32 exec_lo, exec_lo, s1
	s_delay_alu instid0(SALU_CYCLE_1)
	s_mov_b32 s1, exec_lo
	v_cmpx_gt_i32_e64 s9, v2
	s_cbranch_execz .LBB246_4
; %bb.3:
	v_dual_mov_b32 v4, 0 :: v_dual_add_nc_u32 v3, s8, v2
	v_add_nc_u32_e32 v2, 0x100, v2
	s_delay_alu instid0(VALU_DEP_2) | instskip(NEXT) | instid1(VALU_DEP_1)
	v_lshlrev_b64 v[3:4], 3, v[3:4]
	v_add_co_u32 v3, s0, s6, v3
	s_delay_alu instid0(VALU_DEP_1)
	v_add_co_ci_u32_e64 v4, s0, s7, v4, s0
	global_load_b64 v[3:4], v[3:4], off
.LBB246_4:
	s_or_b32 exec_lo, exec_lo, s1
	v_mov_b32_e32 v7, 0
	v_mov_b32_e32 v8, 0
	s_mov_b32 s1, exec_lo
	s_delay_alu instid0(VALU_DEP_1)
	v_dual_mov_b32 v10, v8 :: v_dual_mov_b32 v9, v7
	v_cmpx_gt_i32_e64 s9, v2
	s_cbranch_execz .LBB246_6
; %bb.5:
	v_dual_mov_b32 v10, 0 :: v_dual_add_nc_u32 v9, s8, v2
	v_add_nc_u32_e32 v2, 0x100, v2
	s_delay_alu instid0(VALU_DEP_2) | instskip(NEXT) | instid1(VALU_DEP_1)
	v_lshlrev_b64 v[9:10], 3, v[9:10]
	v_add_co_u32 v9, s0, s6, v9
	s_delay_alu instid0(VALU_DEP_1)
	v_add_co_ci_u32_e64 v10, s0, s7, v10, s0
	global_load_b64 v[9:10], v[9:10], off
.LBB246_6:
	s_or_b32 exec_lo, exec_lo, s1
	s_delay_alu instid0(SALU_CYCLE_1)
	s_mov_b32 s1, exec_lo
	v_cmpx_gt_i32_e64 s9, v2
	s_cbranch_execz .LBB246_8
; %bb.7:
	v_dual_mov_b32 v8, 0 :: v_dual_add_nc_u32 v7, s8, v2
	s_delay_alu instid0(VALU_DEP_1) | instskip(NEXT) | instid1(VALU_DEP_1)
	v_lshlrev_b64 v[7:8], 3, v[7:8]
	v_add_co_u32 v7, s0, s6, v7
	s_delay_alu instid0(VALU_DEP_1)
	v_add_co_ci_u32_e64 v8, s0, s7, v8, s0
	global_load_b64 v[7:8], v[7:8], off
.LBB246_8:
	s_or_b32 exec_lo, exec_lo, s1
	s_waitcnt vmcnt(0)
	v_cmp_gt_f64_e64 s0, 0x10000000, v[5:6]
	v_cmp_gt_f64_e64 s1, 0x10000000, v[3:4]
	;; [unrolled: 1-line block ×4, first 2 shown]
	s_delay_alu instid0(VALU_DEP_4) | instskip(NEXT) | instid1(VALU_DEP_4)
	v_cndmask_b32_e64 v2, 0, 1, s0
	v_cndmask_b32_e64 v12, 0, 1, s1
	s_delay_alu instid0(VALU_DEP_4) | instskip(NEXT) | instid1(VALU_DEP_4)
	v_cndmask_b32_e64 v13, 0, 1, s2
	v_cndmask_b32_e64 v14, 0, 1, s3
	s_delay_alu instid0(VALU_DEP_4) | instskip(NEXT) | instid1(VALU_DEP_4)
	v_lshlrev_b32_e32 v2, 8, v2
	v_lshlrev_b32_e32 v12, 8, v12
	s_delay_alu instid0(VALU_DEP_4) | instskip(NEXT) | instid1(VALU_DEP_4)
	v_lshlrev_b32_e32 v13, 8, v13
	v_lshlrev_b32_e32 v14, 8, v14
	s_delay_alu instid0(VALU_DEP_4) | instskip(NEXT) | instid1(VALU_DEP_4)
	v_ldexp_f64 v[5:6], v[5:6], v2
	v_ldexp_f64 v[2:3], v[3:4], v12
	s_delay_alu instid0(VALU_DEP_4) | instskip(NEXT) | instid1(VALU_DEP_4)
	v_ldexp_f64 v[12:13], v[9:10], v13
	v_ldexp_f64 v[14:15], v[7:8], v14
	v_cndmask_b32_e64 v4, 0, 0xffffff80, s0
	v_rsq_f64_e32 v[7:8], v[5:6]
	s_delay_alu instid0(VALU_DEP_4) | instskip(NEXT) | instid1(VALU_DEP_3)
	v_rsq_f64_e32 v[9:10], v[2:3]
	v_rsq_f64_e32 v[16:17], v[12:13]
	s_delay_alu instid0(VALU_DEP_2) | instskip(SKIP_3) | instid1(TRANS32_DEP_3)
	v_rsq_f64_e32 v[18:19], v[14:15]
	v_cmp_class_f64_e64 s0, v[5:6], 0x260
	v_mul_f64 v[20:21], v[5:6], v[7:8]
	v_mul_f64 v[7:8], v[7:8], 0.5
	v_mul_f64 v[22:23], v[2:3], v[9:10]
	v_mul_f64 v[9:10], v[9:10], 0.5
	s_delay_alu instid0(TRANS32_DEP_2) | instskip(SKIP_1) | instid1(TRANS32_DEP_1)
	v_mul_f64 v[24:25], v[12:13], v[16:17]
	v_mul_f64 v[16:17], v[16:17], 0.5
	v_mul_f64 v[26:27], v[14:15], v[18:19]
	v_mul_f64 v[18:19], v[18:19], 0.5
	v_fma_f64 v[28:29], -v[7:8], v[20:21], 0.5
	v_fma_f64 v[30:31], -v[9:10], v[22:23], 0.5
	;; [unrolled: 1-line block ×3, first 2 shown]
	s_delay_alu instid0(VALU_DEP_4) | instskip(NEXT) | instid1(VALU_DEP_4)
	v_fma_f64 v[34:35], -v[18:19], v[26:27], 0.5
	v_fma_f64 v[20:21], v[20:21], v[28:29], v[20:21]
	v_fma_f64 v[7:8], v[7:8], v[28:29], v[7:8]
	;; [unrolled: 1-line block ×8, first 2 shown]
	v_fma_f64 v[28:29], -v[20:21], v[20:21], v[5:6]
	v_fma_f64 v[30:31], -v[22:23], v[22:23], v[2:3]
	;; [unrolled: 1-line block ×4, first 2 shown]
	s_delay_alu instid0(VALU_DEP_4) | instskip(NEXT) | instid1(VALU_DEP_4)
	v_fma_f64 v[20:21], v[28:29], v[7:8], v[20:21]
	v_fma_f64 v[22:23], v[30:31], v[9:10], v[22:23]
	s_delay_alu instid0(VALU_DEP_4) | instskip(NEXT) | instid1(VALU_DEP_4)
	v_fma_f64 v[24:25], v[32:33], v[16:17], v[24:25]
	v_fma_f64 v[26:27], v[34:35], v[18:19], v[26:27]
	s_delay_alu instid0(VALU_DEP_4) | instskip(NEXT) | instid1(VALU_DEP_4)
	v_fma_f64 v[28:29], -v[20:21], v[20:21], v[5:6]
	v_fma_f64 v[30:31], -v[22:23], v[22:23], v[2:3]
	s_delay_alu instid0(VALU_DEP_4) | instskip(NEXT) | instid1(VALU_DEP_4)
	v_fma_f64 v[32:33], -v[24:25], v[24:25], v[12:13]
	v_fma_f64 v[34:35], -v[26:27], v[26:27], v[14:15]
	s_delay_alu instid0(VALU_DEP_4)
	v_fma_f64 v[7:8], v[28:29], v[7:8], v[20:21]
	v_cndmask_b32_e64 v20, 0, 0xffffff80, s1
	v_fma_f64 v[9:10], v[30:31], v[9:10], v[22:23]
	v_cndmask_b32_e64 v22, 0, 0xffffff80, s2
	v_fma_f64 v[16:17], v[32:33], v[16:17], v[24:25]
	v_cndmask_b32_e64 v23, 0, 0xffffff80, s3
	v_fma_f64 v[18:19], v[34:35], v[18:19], v[26:27]
	v_cmp_class_f64_e64 s1, v[2:3], 0x260
	v_cmp_class_f64_e64 s2, v[12:13], 0x260
	;; [unrolled: 1-line block ×3, first 2 shown]
	v_ldexp_f64 v[7:8], v[7:8], v4
	v_ldexp_f64 v[20:21], v[9:10], v20
	;; [unrolled: 1-line block ×4, first 2 shown]
	s_delay_alu instid0(VALU_DEP_4)
	v_cndmask_b32_e64 v10, v8, v6, s0
	v_cndmask_b32_e64 v9, v7, v5, s0
	;; [unrolled: 1-line block ×8, first 2 shown]
	s_and_saveexec_b32 s0, vcc_lo
	s_cbranch_execnz .LBB246_13
; %bb.9:
	s_or_b32 exec_lo, exec_lo, s0
	s_delay_alu instid0(SALU_CYCLE_1)
	s_mov_b32 s0, exec_lo
	v_cmpx_gt_i32_e64 s9, v0
	s_cbranch_execnz .LBB246_14
.LBB246_10:
	s_or_b32 exec_lo, exec_lo, s0
	s_delay_alu instid0(SALU_CYCLE_1)
	s_mov_b32 s0, exec_lo
	v_cmpx_gt_i32_e64 s9, v0
	s_cbranch_execnz .LBB246_15
.LBB246_11:
	s_or_b32 exec_lo, exec_lo, s0
	s_delay_alu instid0(SALU_CYCLE_1)
	s_mov_b32 s0, exec_lo
	v_cmpx_gt_i32_e64 s9, v0
	s_cbranch_execnz .LBB246_16
.LBB246_12:
	s_nop 0
	s_sendmsg sendmsg(MSG_DEALLOC_VGPRS)
	s_endpgm
.LBB246_13:
	v_mov_b32_e32 v2, 0
	s_delay_alu instid0(VALU_DEP_1) | instskip(NEXT) | instid1(VALU_DEP_1)
	v_lshlrev_b64 v[0:1], 3, v[1:2]
	v_add_co_u32 v12, vcc_lo, s4, v0
	s_delay_alu instid0(VALU_DEP_2) | instskip(SKIP_3) | instid1(SALU_CYCLE_1)
	v_add_co_ci_u32_e32 v13, vcc_lo, s5, v1, vcc_lo
	v_mov_b32_e32 v0, v11
	global_store_b64 v[12:13], v[9:10], off
	s_or_b32 exec_lo, exec_lo, s0
	s_mov_b32 s0, exec_lo
	v_cmpx_gt_i32_e64 s9, v0
	s_cbranch_execz .LBB246_10
.LBB246_14:
	v_dual_mov_b32 v2, 0 :: v_dual_add_nc_u32 v1, s8, v0
	v_add_nc_u32_e32 v0, 0x100, v0
	s_delay_alu instid0(VALU_DEP_2) | instskip(NEXT) | instid1(VALU_DEP_1)
	v_lshlrev_b64 v[1:2], 3, v[1:2]
	v_add_co_u32 v1, vcc_lo, s4, v1
	s_delay_alu instid0(VALU_DEP_2) | instskip(SKIP_2) | instid1(SALU_CYCLE_1)
	v_add_co_ci_u32_e32 v2, vcc_lo, s5, v2, vcc_lo
	global_store_b64 v[1:2], v[7:8], off
	s_or_b32 exec_lo, exec_lo, s0
	s_mov_b32 s0, exec_lo
	v_cmpx_gt_i32_e64 s9, v0
	s_cbranch_execz .LBB246_11
.LBB246_15:
	v_dual_mov_b32 v2, 0 :: v_dual_add_nc_u32 v1, s8, v0
	v_add_nc_u32_e32 v0, 0x100, v0
	s_delay_alu instid0(VALU_DEP_2) | instskip(NEXT) | instid1(VALU_DEP_1)
	v_lshlrev_b64 v[1:2], 3, v[1:2]
	v_add_co_u32 v1, vcc_lo, s4, v1
	s_delay_alu instid0(VALU_DEP_2) | instskip(SKIP_2) | instid1(SALU_CYCLE_1)
	v_add_co_ci_u32_e32 v2, vcc_lo, s5, v2, vcc_lo
	global_store_b64 v[1:2], v[5:6], off
	s_or_b32 exec_lo, exec_lo, s0
	s_mov_b32 s0, exec_lo
	v_cmpx_gt_i32_e64 s9, v0
	s_cbranch_execz .LBB246_12
.LBB246_16:
	v_dual_mov_b32 v1, 0 :: v_dual_add_nc_u32 v0, s8, v0
	s_delay_alu instid0(VALU_DEP_1) | instskip(NEXT) | instid1(VALU_DEP_1)
	v_lshlrev_b64 v[0:1], 3, v[0:1]
	v_add_co_u32 v0, vcc_lo, s4, v0
	s_delay_alu instid0(VALU_DEP_2)
	v_add_co_ci_u32_e32 v1, vcc_lo, s5, v1, vcc_lo
	global_store_b64 v[0:1], v[3:4], off
	s_nop 0
	s_sendmsg sendmsg(MSG_DEALLOC_VGPRS)
	s_endpgm
	.section	.rodata,"a",@progbits
	.p2align	6, 0x0
	.amdhsa_kernel _ZN2at6native27unrolled_elementwise_kernelIZZZNS0_16sqrt_kernel_cudaERNS_18TensorIteratorBaseEENKUlvE0_clEvENKUlvE_clEvEUldE_St5arrayIPcLm2EELi4E23TrivialOffsetCalculatorILi1EjESB_NS0_6memory15LoadWithoutCastENSC_16StoreWithoutCastEEEviT_T0_T2_T3_T4_T5_
		.amdhsa_group_segment_fixed_size 0
		.amdhsa_private_segment_fixed_size 0
		.amdhsa_kernarg_size 28
		.amdhsa_user_sgpr_count 15
		.amdhsa_user_sgpr_dispatch_ptr 0
		.amdhsa_user_sgpr_queue_ptr 0
		.amdhsa_user_sgpr_kernarg_segment_ptr 1
		.amdhsa_user_sgpr_dispatch_id 0
		.amdhsa_user_sgpr_private_segment_size 0
		.amdhsa_wavefront_size32 1
		.amdhsa_uses_dynamic_stack 0
		.amdhsa_enable_private_segment 0
		.amdhsa_system_sgpr_workgroup_id_x 1
		.amdhsa_system_sgpr_workgroup_id_y 0
		.amdhsa_system_sgpr_workgroup_id_z 0
		.amdhsa_system_sgpr_workgroup_info 0
		.amdhsa_system_vgpr_workitem_id 0
		.amdhsa_next_free_vgpr 36
		.amdhsa_next_free_sgpr 16
		.amdhsa_reserve_vcc 1
		.amdhsa_float_round_mode_32 0
		.amdhsa_float_round_mode_16_64 0
		.amdhsa_float_denorm_mode_32 3
		.amdhsa_float_denorm_mode_16_64 3
		.amdhsa_dx10_clamp 1
		.amdhsa_ieee_mode 1
		.amdhsa_fp16_overflow 0
		.amdhsa_workgroup_processor_mode 1
		.amdhsa_memory_ordered 1
		.amdhsa_forward_progress 0
		.amdhsa_shared_vgpr_count 0
		.amdhsa_exception_fp_ieee_invalid_op 0
		.amdhsa_exception_fp_denorm_src 0
		.amdhsa_exception_fp_ieee_div_zero 0
		.amdhsa_exception_fp_ieee_overflow 0
		.amdhsa_exception_fp_ieee_underflow 0
		.amdhsa_exception_fp_ieee_inexact 0
		.amdhsa_exception_int_div_zero 0
	.end_amdhsa_kernel
	.section	.text._ZN2at6native27unrolled_elementwise_kernelIZZZNS0_16sqrt_kernel_cudaERNS_18TensorIteratorBaseEENKUlvE0_clEvENKUlvE_clEvEUldE_St5arrayIPcLm2EELi4E23TrivialOffsetCalculatorILi1EjESB_NS0_6memory15LoadWithoutCastENSC_16StoreWithoutCastEEEviT_T0_T2_T3_T4_T5_,"axG",@progbits,_ZN2at6native27unrolled_elementwise_kernelIZZZNS0_16sqrt_kernel_cudaERNS_18TensorIteratorBaseEENKUlvE0_clEvENKUlvE_clEvEUldE_St5arrayIPcLm2EELi4E23TrivialOffsetCalculatorILi1EjESB_NS0_6memory15LoadWithoutCastENSC_16StoreWithoutCastEEEviT_T0_T2_T3_T4_T5_,comdat
.Lfunc_end246:
	.size	_ZN2at6native27unrolled_elementwise_kernelIZZZNS0_16sqrt_kernel_cudaERNS_18TensorIteratorBaseEENKUlvE0_clEvENKUlvE_clEvEUldE_St5arrayIPcLm2EELi4E23TrivialOffsetCalculatorILi1EjESB_NS0_6memory15LoadWithoutCastENSC_16StoreWithoutCastEEEviT_T0_T2_T3_T4_T5_, .Lfunc_end246-_ZN2at6native27unrolled_elementwise_kernelIZZZNS0_16sqrt_kernel_cudaERNS_18TensorIteratorBaseEENKUlvE0_clEvENKUlvE_clEvEUldE_St5arrayIPcLm2EELi4E23TrivialOffsetCalculatorILi1EjESB_NS0_6memory15LoadWithoutCastENSC_16StoreWithoutCastEEEviT_T0_T2_T3_T4_T5_
                                        ; -- End function
	.section	.AMDGPU.csdata,"",@progbits
; Kernel info:
; codeLenInByte = 1432
; NumSgprs: 18
; NumVgprs: 36
; ScratchSize: 0
; MemoryBound: 0
; FloatMode: 240
; IeeeMode: 1
; LDSByteSize: 0 bytes/workgroup (compile time only)
; SGPRBlocks: 2
; VGPRBlocks: 4
; NumSGPRsForWavesPerEU: 18
; NumVGPRsForWavesPerEU: 36
; Occupancy: 16
; WaveLimiterHint : 0
; COMPUTE_PGM_RSRC2:SCRATCH_EN: 0
; COMPUTE_PGM_RSRC2:USER_SGPR: 15
; COMPUTE_PGM_RSRC2:TRAP_HANDLER: 0
; COMPUTE_PGM_RSRC2:TGID_X_EN: 1
; COMPUTE_PGM_RSRC2:TGID_Y_EN: 0
; COMPUTE_PGM_RSRC2:TGID_Z_EN: 0
; COMPUTE_PGM_RSRC2:TIDIG_COMP_CNT: 0
	.section	.text._ZN2at6native32elementwise_kernel_manual_unrollILi128ELi4EZNS0_22gpu_kernel_impl_nocastIZZZNS0_16sqrt_kernel_cudaERNS_18TensorIteratorBaseEENKUlvE0_clEvENKUlvE_clEvEUldE_EEvS4_RKT_EUlibE_EEviT1_,"axG",@progbits,_ZN2at6native32elementwise_kernel_manual_unrollILi128ELi4EZNS0_22gpu_kernel_impl_nocastIZZZNS0_16sqrt_kernel_cudaERNS_18TensorIteratorBaseEENKUlvE0_clEvENKUlvE_clEvEUldE_EEvS4_RKT_EUlibE_EEviT1_,comdat
	.globl	_ZN2at6native32elementwise_kernel_manual_unrollILi128ELi4EZNS0_22gpu_kernel_impl_nocastIZZZNS0_16sqrt_kernel_cudaERNS_18TensorIteratorBaseEENKUlvE0_clEvENKUlvE_clEvEUldE_EEvS4_RKT_EUlibE_EEviT1_ ; -- Begin function _ZN2at6native32elementwise_kernel_manual_unrollILi128ELi4EZNS0_22gpu_kernel_impl_nocastIZZZNS0_16sqrt_kernel_cudaERNS_18TensorIteratorBaseEENKUlvE0_clEvENKUlvE_clEvEUldE_EEvS4_RKT_EUlibE_EEviT1_
	.p2align	8
	.type	_ZN2at6native32elementwise_kernel_manual_unrollILi128ELi4EZNS0_22gpu_kernel_impl_nocastIZZZNS0_16sqrt_kernel_cudaERNS_18TensorIteratorBaseEENKUlvE0_clEvENKUlvE_clEvEUldE_EEvS4_RKT_EUlibE_EEviT1_,@function
_ZN2at6native32elementwise_kernel_manual_unrollILi128ELi4EZNS0_22gpu_kernel_impl_nocastIZZZNS0_16sqrt_kernel_cudaERNS_18TensorIteratorBaseEENKUlvE0_clEvENKUlvE_clEvEUldE_EEvS4_RKT_EUlibE_EEviT1_: ; @_ZN2at6native32elementwise_kernel_manual_unrollILi128ELi4EZNS0_22gpu_kernel_impl_nocastIZZZNS0_16sqrt_kernel_cudaERNS_18TensorIteratorBaseEENKUlvE0_clEvENKUlvE_clEvEUldE_EEvS4_RKT_EUlibE_EEviT1_
; %bb.0:
	s_clause 0x1
	s_load_b32 s22, s[0:1], 0x8
	s_load_b32 s27, s[0:1], 0x0
	v_lshl_or_b32 v4, s15, 9, v0
	s_or_b32 s0, s0, 8
	s_mov_b32 s2, exec_lo
	s_delay_alu instid0(VALU_DEP_1) | instskip(SKIP_2) | instid1(SALU_CYCLE_1)
	v_or_b32_e32 v8, 0x180, v4
	s_waitcnt lgkmcnt(0)
	s_add_i32 s23, s22, -1
	s_cmp_gt_u32 s23, 1
	s_cselect_b32 s24, -1, 0
	v_cmpx_le_i32_e64 s27, v8
	s_xor_b32 s25, exec_lo, s2
	s_cbranch_execz .LBB247_7
; %bb.1:
	s_clause 0x3
	s_load_b128 s[12:15], s[0:1], 0x4
	s_load_b64 s[2:3], s[0:1], 0x14
	s_load_b128 s[8:11], s[0:1], 0xc4
	s_load_b128 s[4:7], s[0:1], 0x148
	s_cmp_lg_u32 s22, 0
	s_mov_b32 s30, exec_lo
	s_cselect_b32 s29, -1, 0
	s_add_u32 s16, s0, 0xc4
	s_addc_u32 s17, s1, 0
	s_min_u32 s28, s23, 15
	s_cmp_gt_u32 s22, 1
	s_cselect_b32 s26, -1, 0
	v_cmpx_gt_i32_e64 s27, v4
	s_cbranch_execz .LBB247_14
; %bb.2:
	s_and_not1_b32 vcc_lo, exec_lo, s24
	s_cbranch_vccnz .LBB247_21
; %bb.3:
	v_dual_mov_b32 v0, 0 :: v_dual_mov_b32 v1, 0
	s_and_not1_b32 vcc_lo, exec_lo, s29
	s_mov_b32 s31, 0
	s_cbranch_vccnz .LBB247_73
; %bb.4:
	v_mov_b32_e32 v0, 0
	s_add_i32 s34, s28, 1
	s_cmp_eq_u32 s23, 2
	s_mov_b32 s33, 0
	s_cbranch_scc1 .LBB247_69
; %bb.5:
	v_dual_mov_b32 v1, 0 :: v_dual_mov_b32 v0, 0
	v_mov_b32_e32 v2, v4
	s_and_b32 s33, s34, 28
	s_mov_b32 s35, 0
	s_mov_b64 s[18:19], s[16:17]
	s_mov_b64 s[20:21], s[0:1]
.LBB247_6:                              ; =>This Inner Loop Header: Depth=1
	s_clause 0x1
	s_load_b256 s[36:43], s[20:21], 0x4
	s_load_b128 s[52:55], s[20:21], 0x24
	s_load_b256 s[44:51], s[18:19], 0x0
	s_add_u32 s20, s20, 48
	s_addc_u32 s21, s21, 0
	s_add_i32 s35, s35, 4
	s_add_u32 s18, s18, 32
	s_addc_u32 s19, s19, 0
	s_cmp_lg_u32 s33, s35
	s_waitcnt lgkmcnt(0)
	v_mul_hi_u32 v3, s37, v2
	s_delay_alu instid0(VALU_DEP_1) | instskip(NEXT) | instid1(VALU_DEP_1)
	v_add_nc_u32_e32 v3, v2, v3
	v_lshrrev_b32_e32 v3, s38, v3
	s_delay_alu instid0(VALU_DEP_1) | instskip(SKIP_1) | instid1(VALU_DEP_2)
	v_mul_hi_u32 v5, s40, v3
	v_mul_lo_u32 v7, v3, s36
	v_add_nc_u32_e32 v5, v3, v5
	s_delay_alu instid0(VALU_DEP_2) | instskip(NEXT) | instid1(VALU_DEP_2)
	v_sub_nc_u32_e32 v2, v2, v7
	v_lshrrev_b32_e32 v5, s41, v5
	s_delay_alu instid0(VALU_DEP_2) | instskip(SKIP_1) | instid1(VALU_DEP_3)
	v_mul_lo_u32 v7, v2, s44
	v_mul_lo_u32 v9, v2, s45
	v_mul_hi_u32 v6, s43, v5
	s_delay_alu instid0(VALU_DEP_1) | instskip(NEXT) | instid1(VALU_DEP_1)
	v_add_nc_u32_e32 v6, v5, v6
	v_lshrrev_b32_e32 v6, s52, v6
	s_delay_alu instid0(VALU_DEP_1) | instskip(SKIP_1) | instid1(VALU_DEP_2)
	v_mul_hi_u32 v8, s54, v6
	v_mul_lo_u32 v10, v6, s42
	v_add_nc_u32_e32 v2, v6, v8
	v_mul_lo_u32 v8, v5, s39
	s_delay_alu instid0(VALU_DEP_3) | instskip(NEXT) | instid1(VALU_DEP_3)
	v_sub_nc_u32_e32 v5, v5, v10
	v_lshrrev_b32_e32 v2, s55, v2
	s_delay_alu instid0(VALU_DEP_2) | instskip(SKIP_2) | instid1(VALU_DEP_4)
	v_mul_lo_u32 v10, v5, s48
	v_mul_lo_u32 v5, v5, s49
	v_sub_nc_u32_e32 v3, v3, v8
	v_mul_lo_u32 v11, v2, s53
	s_delay_alu instid0(VALU_DEP_2) | instskip(SKIP_1) | instid1(VALU_DEP_3)
	v_mul_lo_u32 v8, v3, s46
	v_mul_lo_u32 v3, v3, s47
	v_sub_nc_u32_e32 v6, v6, v11
	s_delay_alu instid0(VALU_DEP_3) | instskip(NEXT) | instid1(VALU_DEP_2)
	v_add3_u32 v0, v7, v0, v8
	v_mul_lo_u32 v11, v6, s50
	v_mul_lo_u32 v6, v6, s51
	v_add3_u32 v1, v9, v1, v3
	s_delay_alu instid0(VALU_DEP_3) | instskip(NEXT) | instid1(VALU_DEP_2)
	v_add3_u32 v0, v10, v0, v11
	v_add3_u32 v1, v5, v1, v6
	s_cbranch_scc1 .LBB247_6
	s_branch .LBB247_70
.LBB247_7:
	s_and_not1_saveexec_b32 s2, s25
	s_cbranch_execz .LBB247_94
.LBB247_8:
	v_cndmask_b32_e64 v6, 0, 1, s24
	s_and_not1_b32 vcc_lo, exec_lo, s24
	s_cbranch_vccnz .LBB247_20
; %bb.9:
	v_dual_mov_b32 v0, 0 :: v_dual_mov_b32 v1, 0
	s_cmp_lg_u32 s22, 0
	s_mov_b32 s6, 0
	s_cbranch_scc0 .LBB247_26
; %bb.10:
	s_min_u32 s7, s23, 15
	v_mov_b32_e32 v0, 0
	s_add_i32 s7, s7, 1
	s_cmp_eq_u32 s23, 2
	s_mov_b32 s8, 0
	s_cbranch_scc1 .LBB247_23
; %bb.11:
	v_dual_mov_b32 v1, 0 :: v_dual_mov_b32 v0, 0
	v_mov_b32_e32 v2, v4
	s_add_u32 s2, s0, 0xc4
	s_addc_u32 s3, s1, 0
	s_and_b32 s8, s7, 28
	s_mov_b32 s9, 0
	s_mov_b64 s[4:5], s[0:1]
.LBB247_12:                             ; =>This Inner Loop Header: Depth=1
	s_clause 0x1
	s_load_b256 s[12:19], s[4:5], 0x4
	s_load_b128 s[36:39], s[4:5], 0x24
	s_load_b256 s[24:31], s[2:3], 0x0
	s_add_u32 s4, s4, 48
	s_addc_u32 s5, s5, 0
	s_add_i32 s9, s9, 4
	s_add_u32 s2, s2, 32
	s_addc_u32 s3, s3, 0
	s_cmp_lg_u32 s8, s9
	s_waitcnt lgkmcnt(0)
	v_mul_hi_u32 v3, s13, v2
	s_delay_alu instid0(VALU_DEP_1) | instskip(NEXT) | instid1(VALU_DEP_1)
	v_add_nc_u32_e32 v3, v2, v3
	v_lshrrev_b32_e32 v3, s14, v3
	s_delay_alu instid0(VALU_DEP_1) | instskip(SKIP_1) | instid1(VALU_DEP_2)
	v_mul_hi_u32 v5, s16, v3
	v_mul_lo_u32 v9, v3, s12
	v_add_nc_u32_e32 v5, v3, v5
	s_delay_alu instid0(VALU_DEP_2) | instskip(NEXT) | instid1(VALU_DEP_2)
	v_sub_nc_u32_e32 v2, v2, v9
	v_lshrrev_b32_e32 v5, s17, v5
	s_delay_alu instid0(VALU_DEP_2) | instskip(SKIP_1) | instid1(VALU_DEP_3)
	v_mul_lo_u32 v9, v2, s24
	v_mul_lo_u32 v11, v2, s25
	v_mul_hi_u32 v7, s19, v5
	s_delay_alu instid0(VALU_DEP_1) | instskip(NEXT) | instid1(VALU_DEP_1)
	v_add_nc_u32_e32 v7, v5, v7
	v_lshrrev_b32_e32 v7, s36, v7
	s_delay_alu instid0(VALU_DEP_1) | instskip(SKIP_1) | instid1(VALU_DEP_2)
	v_mul_hi_u32 v10, s38, v7
	v_mul_lo_u32 v12, v7, s18
	v_add_nc_u32_e32 v2, v7, v10
	v_mul_lo_u32 v10, v5, s15
	s_delay_alu instid0(VALU_DEP_3) | instskip(NEXT) | instid1(VALU_DEP_3)
	v_sub_nc_u32_e32 v5, v5, v12
	v_lshrrev_b32_e32 v2, s39, v2
	s_delay_alu instid0(VALU_DEP_2) | instskip(SKIP_2) | instid1(VALU_DEP_4)
	v_mul_lo_u32 v12, v5, s28
	v_mul_lo_u32 v5, v5, s29
	v_sub_nc_u32_e32 v3, v3, v10
	v_mul_lo_u32 v13, v2, s37
	s_delay_alu instid0(VALU_DEP_2) | instskip(SKIP_1) | instid1(VALU_DEP_3)
	v_mul_lo_u32 v10, v3, s26
	v_mul_lo_u32 v3, v3, s27
	v_sub_nc_u32_e32 v7, v7, v13
	s_delay_alu instid0(VALU_DEP_3) | instskip(NEXT) | instid1(VALU_DEP_2)
	v_add3_u32 v0, v9, v0, v10
	v_mul_lo_u32 v13, v7, s30
	v_mul_lo_u32 v7, v7, s31
	v_add3_u32 v1, v11, v1, v3
	s_delay_alu instid0(VALU_DEP_3) | instskip(NEXT) | instid1(VALU_DEP_2)
	v_add3_u32 v0, v12, v0, v13
	v_add3_u32 v1, v5, v1, v7
	s_cbranch_scc1 .LBB247_12
; %bb.13:
	s_and_b32 s7, s7, 3
	s_delay_alu instid0(SALU_CYCLE_1)
	s_cmp_eq_u32 s7, 0
	s_cbranch_scc0 .LBB247_24
	s_branch .LBB247_26
.LBB247_14:
	s_or_b32 exec_lo, exec_lo, s30
	s_delay_alu instid0(SALU_CYCLE_1)
	s_mov_b32 s30, exec_lo
	v_cmpx_gt_i32_e64 s27, v4
	s_cbranch_execz .LBB247_77
.LBB247_15:
	s_and_not1_b32 vcc_lo, exec_lo, s24
	s_cbranch_vccnz .LBB247_22
; %bb.16:
	v_dual_mov_b32 v0, 0 :: v_dual_mov_b32 v1, 0
	s_and_not1_b32 vcc_lo, exec_lo, s29
	s_mov_b32 s31, 0
	s_cbranch_vccnz .LBB247_88
; %bb.17:
	v_mov_b32_e32 v0, 0
	s_add_i32 s34, s28, 1
	s_cmp_eq_u32 s23, 2
	s_mov_b32 s33, 0
	s_cbranch_scc1 .LBB247_84
; %bb.18:
	v_dual_mov_b32 v1, 0 :: v_dual_mov_b32 v0, 0
	v_mov_b32_e32 v2, v4
	s_and_b32 s33, s34, 28
	s_mov_b32 s35, 0
	s_mov_b64 s[18:19], s[16:17]
	s_mov_b64 s[20:21], s[0:1]
.LBB247_19:                             ; =>This Inner Loop Header: Depth=1
	s_clause 0x1
	s_load_b256 s[36:43], s[20:21], 0x4
	s_load_b128 s[52:55], s[20:21], 0x24
	s_load_b256 s[44:51], s[18:19], 0x0
	s_add_u32 s20, s20, 48
	s_addc_u32 s21, s21, 0
	s_add_i32 s35, s35, 4
	s_add_u32 s18, s18, 32
	s_addc_u32 s19, s19, 0
	s_cmp_eq_u32 s33, s35
	s_waitcnt lgkmcnt(0)
	v_mul_hi_u32 v3, s37, v2
	s_delay_alu instid0(VALU_DEP_1) | instskip(NEXT) | instid1(VALU_DEP_1)
	v_add_nc_u32_e32 v3, v2, v3
	v_lshrrev_b32_e32 v3, s38, v3
	s_delay_alu instid0(VALU_DEP_1) | instskip(SKIP_1) | instid1(VALU_DEP_2)
	v_mul_hi_u32 v5, s40, v3
	v_mul_lo_u32 v7, v3, s36
	v_add_nc_u32_e32 v5, v3, v5
	s_delay_alu instid0(VALU_DEP_2) | instskip(NEXT) | instid1(VALU_DEP_2)
	v_sub_nc_u32_e32 v2, v2, v7
	v_lshrrev_b32_e32 v5, s41, v5
	s_delay_alu instid0(VALU_DEP_2) | instskip(SKIP_1) | instid1(VALU_DEP_3)
	v_mul_lo_u32 v7, v2, s44
	v_mul_lo_u32 v9, v2, s45
	v_mul_hi_u32 v6, s43, v5
	s_delay_alu instid0(VALU_DEP_1) | instskip(NEXT) | instid1(VALU_DEP_1)
	v_add_nc_u32_e32 v6, v5, v6
	v_lshrrev_b32_e32 v6, s52, v6
	s_delay_alu instid0(VALU_DEP_1) | instskip(SKIP_1) | instid1(VALU_DEP_2)
	v_mul_hi_u32 v8, s54, v6
	v_mul_lo_u32 v10, v6, s42
	v_add_nc_u32_e32 v2, v6, v8
	v_mul_lo_u32 v8, v5, s39
	s_delay_alu instid0(VALU_DEP_3) | instskip(NEXT) | instid1(VALU_DEP_3)
	v_sub_nc_u32_e32 v5, v5, v10
	v_lshrrev_b32_e32 v2, s55, v2
	s_delay_alu instid0(VALU_DEP_2) | instskip(SKIP_2) | instid1(VALU_DEP_4)
	v_mul_lo_u32 v10, v5, s48
	v_mul_lo_u32 v5, v5, s49
	v_sub_nc_u32_e32 v3, v3, v8
	v_mul_lo_u32 v11, v2, s53
	s_delay_alu instid0(VALU_DEP_2) | instskip(SKIP_1) | instid1(VALU_DEP_3)
	v_mul_lo_u32 v8, v3, s46
	v_mul_lo_u32 v3, v3, s47
	v_sub_nc_u32_e32 v6, v6, v11
	s_delay_alu instid0(VALU_DEP_3) | instskip(NEXT) | instid1(VALU_DEP_2)
	v_add3_u32 v0, v7, v0, v8
	v_mul_lo_u32 v11, v6, s50
	v_mul_lo_u32 v6, v6, s51
	v_add3_u32 v1, v9, v1, v3
	s_delay_alu instid0(VALU_DEP_3) | instskip(NEXT) | instid1(VALU_DEP_2)
	v_add3_u32 v0, v10, v0, v11
	v_add3_u32 v1, v5, v1, v6
	s_cbranch_scc0 .LBB247_19
	s_branch .LBB247_85
.LBB247_20:
	s_mov_b32 s6, -1
                                        ; implicit-def: $vgpr0
                                        ; implicit-def: $vgpr1
	s_branch .LBB247_26
.LBB247_21:
	s_mov_b32 s31, -1
                                        ; implicit-def: $vgpr0
                                        ; implicit-def: $vgpr1
	s_branch .LBB247_73
.LBB247_22:
	s_mov_b32 s31, -1
                                        ; implicit-def: $vgpr0
                                        ; implicit-def: $vgpr1
	s_branch .LBB247_88
.LBB247_23:
	v_dual_mov_b32 v2, v4 :: v_dual_mov_b32 v1, 0
	s_and_b32 s7, s7, 3
	s_delay_alu instid0(SALU_CYCLE_1)
	s_cmp_eq_u32 s7, 0
	s_cbranch_scc1 .LBB247_26
.LBB247_24:
	s_lshl_b32 s2, s8, 3
	s_mul_i32 s4, s8, 12
	s_add_u32 s2, s2, s0
	s_addc_u32 s3, 0, s1
	s_add_u32 s2, s2, 0xc4
	s_addc_u32 s3, s3, 0
	;; [unrolled: 2-line block ×3, first 2 shown]
	.p2align	6
.LBB247_25:                             ; =>This Inner Loop Header: Depth=1
	s_clause 0x1
	s_load_b64 s[8:9], s[4:5], 0x4
	s_load_b32 s12, s[4:5], 0xc
	s_load_b64 s[10:11], s[2:3], 0x0
	s_add_u32 s4, s4, 12
	s_addc_u32 s5, s5, 0
	s_add_u32 s2, s2, 8
	s_addc_u32 s3, s3, 0
	s_add_i32 s7, s7, -1
	s_delay_alu instid0(SALU_CYCLE_1) | instskip(SKIP_2) | instid1(VALU_DEP_1)
	s_cmp_lg_u32 s7, 0
	s_waitcnt lgkmcnt(0)
	v_mul_hi_u32 v3, s9, v2
	v_add_nc_u32_e32 v3, v2, v3
	s_delay_alu instid0(VALU_DEP_1) | instskip(NEXT) | instid1(VALU_DEP_1)
	v_lshrrev_b32_e32 v3, s12, v3
	v_mul_lo_u32 v5, v3, s8
	s_delay_alu instid0(VALU_DEP_1) | instskip(NEXT) | instid1(VALU_DEP_1)
	v_sub_nc_u32_e32 v2, v2, v5
	v_mad_u64_u32 v[9:10], null, v2, s10, v[0:1]
	v_mad_u64_u32 v[10:11], null, v2, s11, v[1:2]
	v_mov_b32_e32 v2, v3
	s_delay_alu instid0(VALU_DEP_2)
	v_dual_mov_b32 v0, v9 :: v_dual_mov_b32 v1, v10
	s_cbranch_scc1 .LBB247_25
.LBB247_26:
	s_and_not1_b32 vcc_lo, exec_lo, s6
	s_cbranch_vccnz .LBB247_29
; %bb.27:
	s_clause 0x1
	s_load_b128 s[4:7], s[0:1], 0x4
	s_load_b64 s[2:3], s[0:1], 0xc4
	s_cmp_lt_u32 s22, 2
	s_waitcnt lgkmcnt(0)
	v_mul_hi_u32 v0, s5, v4
	s_delay_alu instid0(VALU_DEP_1) | instskip(NEXT) | instid1(VALU_DEP_1)
	v_add_nc_u32_e32 v0, v4, v0
	v_lshrrev_b32_e32 v2, s6, v0
	s_delay_alu instid0(VALU_DEP_1) | instskip(NEXT) | instid1(VALU_DEP_1)
	v_mul_lo_u32 v0, v2, s4
	v_sub_nc_u32_e32 v1, v4, v0
	s_delay_alu instid0(VALU_DEP_1)
	v_mul_lo_u32 v0, v1, s2
	v_mul_lo_u32 v1, v1, s3
	s_cbranch_scc1 .LBB247_29
; %bb.28:
	s_clause 0x1
	s_load_b128 s[4:7], s[0:1], 0x10
	s_load_b64 s[2:3], s[0:1], 0xcc
	s_waitcnt lgkmcnt(0)
	v_mul_hi_u32 v3, s5, v2
	s_delay_alu instid0(VALU_DEP_1) | instskip(NEXT) | instid1(VALU_DEP_1)
	v_add_nc_u32_e32 v3, v2, v3
	v_lshrrev_b32_e32 v3, s6, v3
	s_delay_alu instid0(VALU_DEP_1) | instskip(NEXT) | instid1(VALU_DEP_1)
	v_mul_lo_u32 v3, v3, s4
	v_sub_nc_u32_e32 v5, v2, v3
	s_delay_alu instid0(VALU_DEP_1) | instskip(NEXT) | instid1(VALU_DEP_1)
	v_mad_u64_u32 v[2:3], null, v5, s2, v[0:1]
	v_mad_u64_u32 v[9:10], null, v5, s3, v[1:2]
	s_delay_alu instid0(VALU_DEP_1)
	v_dual_mov_b32 v0, v2 :: v_dual_mov_b32 v1, v9
.LBB247_29:
	v_cmp_ne_u32_e32 vcc_lo, 1, v6
	v_add_nc_u32_e32 v5, 0x80, v4
	s_cbranch_vccnz .LBB247_35
; %bb.30:
	v_dual_mov_b32 v2, 0 :: v_dual_mov_b32 v3, 0
	s_cmp_lg_u32 s22, 0
	s_mov_b32 s6, 0
	s_cbranch_scc0 .LBB247_39
; %bb.31:
	s_min_u32 s7, s23, 15
	v_mov_b32_e32 v2, 0
	s_add_i32 s7, s7, 1
	s_cmp_eq_u32 s23, 2
	s_mov_b32 s8, 0
	s_cbranch_scc1 .LBB247_36
; %bb.32:
	v_dual_mov_b32 v3, 0 :: v_dual_mov_b32 v2, 0
	v_mov_b32_e32 v7, v5
	s_add_u32 s2, s0, 0xc4
	s_addc_u32 s3, s1, 0
	s_and_b32 s8, s7, 28
	s_mov_b32 s9, 0
	s_mov_b64 s[4:5], s[0:1]
.LBB247_33:                             ; =>This Inner Loop Header: Depth=1
	s_clause 0x1
	s_load_b256 s[12:19], s[4:5], 0x4
	s_load_b128 s[36:39], s[4:5], 0x24
	s_load_b256 s[24:31], s[2:3], 0x0
	s_add_u32 s4, s4, 48
	s_addc_u32 s5, s5, 0
	s_add_i32 s9, s9, 4
	s_add_u32 s2, s2, 32
	s_addc_u32 s3, s3, 0
	s_cmp_lg_u32 s8, s9
	s_waitcnt lgkmcnt(0)
	v_mul_hi_u32 v9, s13, v7
	s_delay_alu instid0(VALU_DEP_1) | instskip(NEXT) | instid1(VALU_DEP_1)
	v_add_nc_u32_e32 v9, v7, v9
	v_lshrrev_b32_e32 v9, s14, v9
	s_delay_alu instid0(VALU_DEP_1) | instskip(SKIP_1) | instid1(VALU_DEP_2)
	v_mul_hi_u32 v10, s16, v9
	v_mul_lo_u32 v12, v9, s12
	v_add_nc_u32_e32 v10, v9, v10
	s_delay_alu instid0(VALU_DEP_2) | instskip(NEXT) | instid1(VALU_DEP_2)
	v_sub_nc_u32_e32 v7, v7, v12
	v_lshrrev_b32_e32 v10, s17, v10
	s_delay_alu instid0(VALU_DEP_2) | instskip(SKIP_1) | instid1(VALU_DEP_3)
	v_mul_lo_u32 v12, v7, s24
	v_mul_lo_u32 v14, v7, s25
	v_mul_hi_u32 v11, s19, v10
	s_delay_alu instid0(VALU_DEP_1) | instskip(NEXT) | instid1(VALU_DEP_1)
	v_add_nc_u32_e32 v11, v10, v11
	v_lshrrev_b32_e32 v11, s36, v11
	s_delay_alu instid0(VALU_DEP_1) | instskip(SKIP_1) | instid1(VALU_DEP_2)
	v_mul_hi_u32 v13, s38, v11
	v_mul_lo_u32 v15, v11, s18
	v_add_nc_u32_e32 v7, v11, v13
	v_mul_lo_u32 v13, v10, s15
	s_delay_alu instid0(VALU_DEP_3) | instskip(NEXT) | instid1(VALU_DEP_3)
	v_sub_nc_u32_e32 v10, v10, v15
	v_lshrrev_b32_e32 v7, s39, v7
	s_delay_alu instid0(VALU_DEP_2) | instskip(SKIP_2) | instid1(VALU_DEP_4)
	v_mul_lo_u32 v15, v10, s28
	v_mul_lo_u32 v10, v10, s29
	v_sub_nc_u32_e32 v9, v9, v13
	v_mul_lo_u32 v16, v7, s37
	s_delay_alu instid0(VALU_DEP_2) | instskip(SKIP_1) | instid1(VALU_DEP_3)
	v_mul_lo_u32 v13, v9, s26
	v_mul_lo_u32 v9, v9, s27
	v_sub_nc_u32_e32 v11, v11, v16
	s_delay_alu instid0(VALU_DEP_3) | instskip(NEXT) | instid1(VALU_DEP_2)
	v_add3_u32 v2, v12, v2, v13
	v_mul_lo_u32 v16, v11, s30
	v_mul_lo_u32 v11, v11, s31
	v_add3_u32 v3, v14, v3, v9
	s_delay_alu instid0(VALU_DEP_3) | instskip(NEXT) | instid1(VALU_DEP_2)
	v_add3_u32 v2, v15, v2, v16
	v_add3_u32 v3, v10, v3, v11
	s_cbranch_scc1 .LBB247_33
; %bb.34:
	s_and_b32 s7, s7, 3
	s_delay_alu instid0(SALU_CYCLE_1)
	s_cmp_eq_u32 s7, 0
	s_cbranch_scc0 .LBB247_37
	s_branch .LBB247_39
.LBB247_35:
	s_mov_b32 s6, -1
                                        ; implicit-def: $vgpr2
                                        ; implicit-def: $vgpr3
	s_branch .LBB247_39
.LBB247_36:
	v_mov_b32_e32 v7, v5
	v_mov_b32_e32 v3, 0
	s_and_b32 s7, s7, 3
	s_delay_alu instid0(SALU_CYCLE_1)
	s_cmp_eq_u32 s7, 0
	s_cbranch_scc1 .LBB247_39
.LBB247_37:
	s_lshl_b32 s2, s8, 3
	s_mul_i32 s4, s8, 12
	s_add_u32 s2, s2, s0
	s_addc_u32 s3, 0, s1
	s_add_u32 s2, s2, 0xc4
	s_addc_u32 s3, s3, 0
	;; [unrolled: 2-line block ×3, first 2 shown]
	.p2align	6
.LBB247_38:                             ; =>This Inner Loop Header: Depth=1
	s_clause 0x1
	s_load_b64 s[8:9], s[4:5], 0x4
	s_load_b32 s12, s[4:5], 0xc
	s_load_b64 s[10:11], s[2:3], 0x0
	s_add_u32 s4, s4, 12
	s_addc_u32 s5, s5, 0
	s_add_u32 s2, s2, 8
	s_addc_u32 s3, s3, 0
	s_add_i32 s7, s7, -1
	s_delay_alu instid0(SALU_CYCLE_1) | instskip(SKIP_2) | instid1(VALU_DEP_1)
	s_cmp_lg_u32 s7, 0
	s_waitcnt lgkmcnt(0)
	v_mul_hi_u32 v9, s9, v7
	v_add_nc_u32_e32 v9, v7, v9
	s_delay_alu instid0(VALU_DEP_1) | instskip(NEXT) | instid1(VALU_DEP_1)
	v_lshrrev_b32_e32 v12, s12, v9
	v_mul_lo_u32 v9, v12, s8
	s_delay_alu instid0(VALU_DEP_1) | instskip(NEXT) | instid1(VALU_DEP_1)
	v_sub_nc_u32_e32 v7, v7, v9
	v_mad_u64_u32 v[9:10], null, v7, s10, v[2:3]
	v_mad_u64_u32 v[10:11], null, v7, s11, v[3:4]
	s_delay_alu instid0(VALU_DEP_2) | instskip(NEXT) | instid1(VALU_DEP_2)
	v_dual_mov_b32 v7, v12 :: v_dual_mov_b32 v2, v9
	v_mov_b32_e32 v3, v10
	s_cbranch_scc1 .LBB247_38
.LBB247_39:
	s_and_not1_b32 vcc_lo, exec_lo, s6
	s_cbranch_vccnz .LBB247_42
; %bb.40:
	s_clause 0x1
	s_load_b128 s[4:7], s[0:1], 0x4
	s_load_b64 s[2:3], s[0:1], 0xc4
	s_cmp_lt_u32 s22, 2
	s_waitcnt lgkmcnt(0)
	v_mul_hi_u32 v2, s5, v5
	s_delay_alu instid0(VALU_DEP_1) | instskip(NEXT) | instid1(VALU_DEP_1)
	v_add_nc_u32_e32 v2, v5, v2
	v_lshrrev_b32_e32 v7, s6, v2
	s_delay_alu instid0(VALU_DEP_1) | instskip(NEXT) | instid1(VALU_DEP_1)
	v_mul_lo_u32 v2, v7, s4
	v_sub_nc_u32_e32 v3, v5, v2
	s_delay_alu instid0(VALU_DEP_1)
	v_mul_lo_u32 v2, v3, s2
	v_mul_lo_u32 v3, v3, s3
	s_cbranch_scc1 .LBB247_42
; %bb.41:
	s_clause 0x1
	s_load_b128 s[4:7], s[0:1], 0x10
	s_load_b64 s[2:3], s[0:1], 0xcc
	s_waitcnt lgkmcnt(0)
	v_mul_hi_u32 v5, s5, v7
	s_delay_alu instid0(VALU_DEP_1) | instskip(NEXT) | instid1(VALU_DEP_1)
	v_add_nc_u32_e32 v5, v7, v5
	v_lshrrev_b32_e32 v5, s6, v5
	s_delay_alu instid0(VALU_DEP_1) | instskip(NEXT) | instid1(VALU_DEP_1)
	v_mul_lo_u32 v5, v5, s4
	v_sub_nc_u32_e32 v5, v7, v5
	s_delay_alu instid0(VALU_DEP_1) | instskip(SKIP_1) | instid1(VALU_DEP_1)
	v_mad_u64_u32 v[9:10], null, v5, s2, v[2:3]
	v_mad_u64_u32 v[10:11], null, v5, s3, v[3:4]
	v_dual_mov_b32 v2, v9 :: v_dual_mov_b32 v3, v10
.LBB247_42:
	v_cmp_ne_u32_e32 vcc_lo, 1, v6
	v_add_nc_u32_e32 v7, 0x100, v4
	s_cbranch_vccnz .LBB247_48
; %bb.43:
	v_dual_mov_b32 v4, 0 :: v_dual_mov_b32 v5, 0
	s_cmp_lg_u32 s22, 0
	s_mov_b32 s6, 0
	s_cbranch_scc0 .LBB247_52
; %bb.44:
	s_min_u32 s7, s23, 15
	v_mov_b32_e32 v4, 0
	s_add_i32 s7, s7, 1
	s_cmp_eq_u32 s23, 2
	s_mov_b32 s8, 0
	s_cbranch_scc1 .LBB247_49
; %bb.45:
	v_dual_mov_b32 v5, 0 :: v_dual_mov_b32 v4, 0
	v_mov_b32_e32 v9, v7
	s_add_u32 s2, s0, 0xc4
	s_addc_u32 s3, s1, 0
	s_and_b32 s8, s7, 28
	s_mov_b32 s9, 0
	s_mov_b64 s[4:5], s[0:1]
.LBB247_46:                             ; =>This Inner Loop Header: Depth=1
	s_clause 0x1
	s_load_b256 s[12:19], s[4:5], 0x4
	s_load_b128 s[36:39], s[4:5], 0x24
	s_load_b256 s[24:31], s[2:3], 0x0
	s_add_u32 s4, s4, 48
	s_addc_u32 s5, s5, 0
	s_add_i32 s9, s9, 4
	s_add_u32 s2, s2, 32
	s_addc_u32 s3, s3, 0
	s_cmp_lg_u32 s8, s9
	s_waitcnt lgkmcnt(0)
	v_mul_hi_u32 v10, s13, v9
	s_delay_alu instid0(VALU_DEP_1) | instskip(NEXT) | instid1(VALU_DEP_1)
	v_add_nc_u32_e32 v10, v9, v10
	v_lshrrev_b32_e32 v10, s14, v10
	s_delay_alu instid0(VALU_DEP_1) | instskip(SKIP_1) | instid1(VALU_DEP_2)
	v_mul_hi_u32 v11, s16, v10
	v_mul_lo_u32 v13, v10, s12
	v_add_nc_u32_e32 v11, v10, v11
	s_delay_alu instid0(VALU_DEP_2) | instskip(NEXT) | instid1(VALU_DEP_2)
	v_sub_nc_u32_e32 v9, v9, v13
	v_lshrrev_b32_e32 v11, s17, v11
	s_delay_alu instid0(VALU_DEP_2) | instskip(SKIP_1) | instid1(VALU_DEP_3)
	v_mul_lo_u32 v13, v9, s24
	v_mul_lo_u32 v15, v9, s25
	v_mul_hi_u32 v12, s19, v11
	s_delay_alu instid0(VALU_DEP_1) | instskip(NEXT) | instid1(VALU_DEP_1)
	v_add_nc_u32_e32 v12, v11, v12
	v_lshrrev_b32_e32 v12, s36, v12
	s_delay_alu instid0(VALU_DEP_1) | instskip(SKIP_1) | instid1(VALU_DEP_2)
	v_mul_hi_u32 v14, s38, v12
	v_mul_lo_u32 v16, v12, s18
	v_add_nc_u32_e32 v9, v12, v14
	v_mul_lo_u32 v14, v11, s15
	s_delay_alu instid0(VALU_DEP_3) | instskip(NEXT) | instid1(VALU_DEP_3)
	v_sub_nc_u32_e32 v11, v11, v16
	v_lshrrev_b32_e32 v9, s39, v9
	s_delay_alu instid0(VALU_DEP_2) | instskip(SKIP_2) | instid1(VALU_DEP_4)
	v_mul_lo_u32 v16, v11, s28
	v_mul_lo_u32 v11, v11, s29
	v_sub_nc_u32_e32 v10, v10, v14
	v_mul_lo_u32 v17, v9, s37
	s_delay_alu instid0(VALU_DEP_2) | instskip(SKIP_1) | instid1(VALU_DEP_3)
	v_mul_lo_u32 v14, v10, s26
	v_mul_lo_u32 v10, v10, s27
	v_sub_nc_u32_e32 v12, v12, v17
	s_delay_alu instid0(VALU_DEP_3) | instskip(NEXT) | instid1(VALU_DEP_2)
	v_add3_u32 v4, v13, v4, v14
	v_mul_lo_u32 v17, v12, s30
	v_mul_lo_u32 v12, v12, s31
	v_add3_u32 v5, v15, v5, v10
	s_delay_alu instid0(VALU_DEP_3) | instskip(NEXT) | instid1(VALU_DEP_2)
	v_add3_u32 v4, v16, v4, v17
	v_add3_u32 v5, v11, v5, v12
	s_cbranch_scc1 .LBB247_46
; %bb.47:
	s_and_b32 s7, s7, 3
	s_delay_alu instid0(SALU_CYCLE_1)
	s_cmp_eq_u32 s7, 0
	s_cbranch_scc0 .LBB247_50
	s_branch .LBB247_52
.LBB247_48:
	s_mov_b32 s6, -1
                                        ; implicit-def: $vgpr4
                                        ; implicit-def: $vgpr5
	s_branch .LBB247_52
.LBB247_49:
	v_mov_b32_e32 v9, v7
	v_mov_b32_e32 v5, 0
	s_and_b32 s7, s7, 3
	s_delay_alu instid0(SALU_CYCLE_1)
	s_cmp_eq_u32 s7, 0
	s_cbranch_scc1 .LBB247_52
.LBB247_50:
	s_lshl_b32 s2, s8, 3
	s_mul_i32 s4, s8, 12
	s_add_u32 s2, s2, s0
	s_addc_u32 s3, 0, s1
	s_add_u32 s2, s2, 0xc4
	s_addc_u32 s3, s3, 0
	;; [unrolled: 2-line block ×3, first 2 shown]
	.p2align	6
.LBB247_51:                             ; =>This Inner Loop Header: Depth=1
	s_clause 0x1
	s_load_b64 s[8:9], s[4:5], 0x4
	s_load_b32 s12, s[4:5], 0xc
	s_load_b64 s[10:11], s[2:3], 0x0
	s_add_u32 s4, s4, 12
	s_addc_u32 s5, s5, 0
	s_add_u32 s2, s2, 8
	s_addc_u32 s3, s3, 0
	s_add_i32 s7, s7, -1
	s_delay_alu instid0(SALU_CYCLE_1) | instskip(SKIP_2) | instid1(VALU_DEP_1)
	s_cmp_lg_u32 s7, 0
	s_waitcnt lgkmcnt(0)
	v_mul_hi_u32 v10, s9, v9
	v_add_nc_u32_e32 v10, v9, v10
	s_delay_alu instid0(VALU_DEP_1) | instskip(NEXT) | instid1(VALU_DEP_1)
	v_lshrrev_b32_e32 v13, s12, v10
	v_mul_lo_u32 v10, v13, s8
	s_delay_alu instid0(VALU_DEP_1) | instskip(NEXT) | instid1(VALU_DEP_1)
	v_sub_nc_u32_e32 v9, v9, v10
	v_mad_u64_u32 v[10:11], null, v9, s10, v[4:5]
	v_mad_u64_u32 v[11:12], null, v9, s11, v[5:6]
	s_delay_alu instid0(VALU_DEP_2) | instskip(NEXT) | instid1(VALU_DEP_2)
	v_dual_mov_b32 v9, v13 :: v_dual_mov_b32 v4, v10
	v_mov_b32_e32 v5, v11
	s_cbranch_scc1 .LBB247_51
.LBB247_52:
	s_and_not1_b32 vcc_lo, exec_lo, s6
	s_cbranch_vccnz .LBB247_55
; %bb.53:
	s_clause 0x1
	s_load_b128 s[4:7], s[0:1], 0x4
	s_load_b64 s[2:3], s[0:1], 0xc4
	s_cmp_lt_u32 s22, 2
	s_waitcnt lgkmcnt(0)
	v_mul_hi_u32 v4, s5, v7
	s_delay_alu instid0(VALU_DEP_1) | instskip(NEXT) | instid1(VALU_DEP_1)
	v_add_nc_u32_e32 v4, v7, v4
	v_lshrrev_b32_e32 v9, s6, v4
	s_delay_alu instid0(VALU_DEP_1) | instskip(NEXT) | instid1(VALU_DEP_1)
	v_mul_lo_u32 v4, v9, s4
	v_sub_nc_u32_e32 v5, v7, v4
	s_delay_alu instid0(VALU_DEP_1)
	v_mul_lo_u32 v4, v5, s2
	v_mul_lo_u32 v5, v5, s3
	s_cbranch_scc1 .LBB247_55
; %bb.54:
	s_clause 0x1
	s_load_b128 s[4:7], s[0:1], 0x10
	s_load_b64 s[2:3], s[0:1], 0xcc
	s_waitcnt lgkmcnt(0)
	v_mul_hi_u32 v7, s5, v9
	s_delay_alu instid0(VALU_DEP_1) | instskip(NEXT) | instid1(VALU_DEP_1)
	v_add_nc_u32_e32 v7, v9, v7
	v_lshrrev_b32_e32 v7, s6, v7
	s_delay_alu instid0(VALU_DEP_1) | instskip(NEXT) | instid1(VALU_DEP_1)
	v_mul_lo_u32 v7, v7, s4
	v_sub_nc_u32_e32 v7, v9, v7
	s_delay_alu instid0(VALU_DEP_1) | instskip(SKIP_1) | instid1(VALU_DEP_1)
	v_mad_u64_u32 v[9:10], null, v7, s2, v[4:5]
	v_mad_u64_u32 v[10:11], null, v7, s3, v[5:6]
	v_dual_mov_b32 v4, v9 :: v_dual_mov_b32 v5, v10
.LBB247_55:
	v_cmp_ne_u32_e32 vcc_lo, 1, v6
	s_cbranch_vccnz .LBB247_61
; %bb.56:
	v_dual_mov_b32 v6, 0 :: v_dual_mov_b32 v7, 0
	s_cmp_lg_u32 s22, 0
	s_mov_b32 s6, 0
	s_cbranch_scc0 .LBB247_65
; %bb.57:
	s_min_u32 s7, s23, 15
	v_mov_b32_e32 v6, 0
	s_add_i32 s7, s7, 1
	s_cmp_eq_u32 s23, 2
	s_mov_b32 s8, 0
	s_cbranch_scc1 .LBB247_62
; %bb.58:
	v_dual_mov_b32 v7, 0 :: v_dual_mov_b32 v6, 0
	v_mov_b32_e32 v9, v8
	s_add_u32 s2, s0, 0xc4
	s_addc_u32 s3, s1, 0
	s_and_b32 s8, s7, 28
	s_mov_b32 s9, 0
	s_mov_b64 s[4:5], s[0:1]
.LBB247_59:                             ; =>This Inner Loop Header: Depth=1
	s_clause 0x1
	s_load_b256 s[12:19], s[4:5], 0x4
	s_load_b128 s[36:39], s[4:5], 0x24
	s_load_b256 s[24:31], s[2:3], 0x0
	s_add_u32 s4, s4, 48
	s_addc_u32 s5, s5, 0
	s_add_i32 s9, s9, 4
	s_add_u32 s2, s2, 32
	s_addc_u32 s3, s3, 0
	s_cmp_lg_u32 s8, s9
	s_waitcnt lgkmcnt(0)
	v_mul_hi_u32 v10, s13, v9
	s_delay_alu instid0(VALU_DEP_1) | instskip(NEXT) | instid1(VALU_DEP_1)
	v_add_nc_u32_e32 v10, v9, v10
	v_lshrrev_b32_e32 v10, s14, v10
	s_delay_alu instid0(VALU_DEP_1) | instskip(SKIP_1) | instid1(VALU_DEP_2)
	v_mul_hi_u32 v11, s16, v10
	v_mul_lo_u32 v13, v10, s12
	v_add_nc_u32_e32 v11, v10, v11
	s_delay_alu instid0(VALU_DEP_2) | instskip(NEXT) | instid1(VALU_DEP_2)
	v_sub_nc_u32_e32 v9, v9, v13
	v_lshrrev_b32_e32 v11, s17, v11
	s_delay_alu instid0(VALU_DEP_2) | instskip(SKIP_1) | instid1(VALU_DEP_3)
	v_mul_lo_u32 v13, v9, s24
	v_mul_lo_u32 v15, v9, s25
	v_mul_hi_u32 v12, s19, v11
	s_delay_alu instid0(VALU_DEP_1) | instskip(NEXT) | instid1(VALU_DEP_1)
	v_add_nc_u32_e32 v12, v11, v12
	v_lshrrev_b32_e32 v12, s36, v12
	s_delay_alu instid0(VALU_DEP_1) | instskip(SKIP_1) | instid1(VALU_DEP_2)
	v_mul_hi_u32 v14, s38, v12
	v_mul_lo_u32 v16, v12, s18
	v_add_nc_u32_e32 v9, v12, v14
	v_mul_lo_u32 v14, v11, s15
	s_delay_alu instid0(VALU_DEP_3) | instskip(NEXT) | instid1(VALU_DEP_3)
	v_sub_nc_u32_e32 v11, v11, v16
	v_lshrrev_b32_e32 v9, s39, v9
	s_delay_alu instid0(VALU_DEP_2) | instskip(SKIP_2) | instid1(VALU_DEP_4)
	v_mul_lo_u32 v16, v11, s28
	v_mul_lo_u32 v11, v11, s29
	v_sub_nc_u32_e32 v10, v10, v14
	v_mul_lo_u32 v17, v9, s37
	s_delay_alu instid0(VALU_DEP_2) | instskip(SKIP_1) | instid1(VALU_DEP_3)
	v_mul_lo_u32 v14, v10, s26
	v_mul_lo_u32 v10, v10, s27
	v_sub_nc_u32_e32 v12, v12, v17
	s_delay_alu instid0(VALU_DEP_3) | instskip(NEXT) | instid1(VALU_DEP_2)
	v_add3_u32 v6, v13, v6, v14
	v_mul_lo_u32 v17, v12, s30
	v_mul_lo_u32 v12, v12, s31
	v_add3_u32 v7, v15, v7, v10
	s_delay_alu instid0(VALU_DEP_3) | instskip(NEXT) | instid1(VALU_DEP_2)
	v_add3_u32 v6, v16, v6, v17
	v_add3_u32 v7, v11, v7, v12
	s_cbranch_scc1 .LBB247_59
; %bb.60:
	s_and_b32 s7, s7, 3
	s_delay_alu instid0(SALU_CYCLE_1)
	s_cmp_eq_u32 s7, 0
	s_cbranch_scc0 .LBB247_63
	s_branch .LBB247_65
.LBB247_61:
	s_mov_b32 s6, -1
                                        ; implicit-def: $vgpr6
                                        ; implicit-def: $vgpr7
	s_branch .LBB247_65
.LBB247_62:
	v_mov_b32_e32 v9, v8
	v_mov_b32_e32 v7, 0
	s_and_b32 s7, s7, 3
	s_delay_alu instid0(SALU_CYCLE_1)
	s_cmp_eq_u32 s7, 0
	s_cbranch_scc1 .LBB247_65
.LBB247_63:
	s_lshl_b32 s2, s8, 3
	s_mul_i32 s4, s8, 12
	s_add_u32 s2, s2, s0
	s_addc_u32 s3, 0, s1
	s_add_u32 s2, s2, 0xc4
	s_addc_u32 s3, s3, 0
	;; [unrolled: 2-line block ×3, first 2 shown]
	.p2align	6
.LBB247_64:                             ; =>This Inner Loop Header: Depth=1
	s_clause 0x1
	s_load_b64 s[8:9], s[4:5], 0x4
	s_load_b32 s12, s[4:5], 0xc
	s_load_b64 s[10:11], s[2:3], 0x0
	s_add_u32 s4, s4, 12
	s_addc_u32 s5, s5, 0
	s_add_u32 s2, s2, 8
	s_addc_u32 s3, s3, 0
	s_add_i32 s7, s7, -1
	s_delay_alu instid0(SALU_CYCLE_1) | instskip(SKIP_2) | instid1(VALU_DEP_1)
	s_cmp_lg_u32 s7, 0
	s_waitcnt lgkmcnt(0)
	v_mul_hi_u32 v10, s9, v9
	v_add_nc_u32_e32 v10, v9, v10
	s_delay_alu instid0(VALU_DEP_1) | instskip(NEXT) | instid1(VALU_DEP_1)
	v_lshrrev_b32_e32 v13, s12, v10
	v_mul_lo_u32 v10, v13, s8
	s_delay_alu instid0(VALU_DEP_1) | instskip(NEXT) | instid1(VALU_DEP_1)
	v_sub_nc_u32_e32 v9, v9, v10
	v_mad_u64_u32 v[10:11], null, v9, s10, v[6:7]
	v_mad_u64_u32 v[11:12], null, v9, s11, v[7:8]
	s_delay_alu instid0(VALU_DEP_2) | instskip(NEXT) | instid1(VALU_DEP_2)
	v_dual_mov_b32 v9, v13 :: v_dual_mov_b32 v6, v10
	v_mov_b32_e32 v7, v11
	s_cbranch_scc1 .LBB247_64
.LBB247_65:
	s_and_not1_b32 vcc_lo, exec_lo, s6
	s_cbranch_vccnz .LBB247_68
; %bb.66:
	s_clause 0x1
	s_load_b128 s[4:7], s[0:1], 0x4
	s_load_b64 s[2:3], s[0:1], 0xc4
	s_cmp_lt_u32 s22, 2
	s_waitcnt lgkmcnt(0)
	v_mul_hi_u32 v6, s5, v8
	s_delay_alu instid0(VALU_DEP_1) | instskip(NEXT) | instid1(VALU_DEP_1)
	v_add_nc_u32_e32 v6, v8, v6
	v_lshrrev_b32_e32 v9, s6, v6
	s_delay_alu instid0(VALU_DEP_1) | instskip(NEXT) | instid1(VALU_DEP_1)
	v_mul_lo_u32 v6, v9, s4
	v_sub_nc_u32_e32 v7, v8, v6
	s_delay_alu instid0(VALU_DEP_1)
	v_mul_lo_u32 v6, v7, s2
	v_mul_lo_u32 v7, v7, s3
	s_cbranch_scc1 .LBB247_68
; %bb.67:
	s_clause 0x1
	s_load_b128 s[4:7], s[0:1], 0x10
	s_load_b64 s[2:3], s[0:1], 0xcc
	s_waitcnt lgkmcnt(0)
	v_mul_hi_u32 v8, s5, v9
	s_delay_alu instid0(VALU_DEP_1) | instskip(NEXT) | instid1(VALU_DEP_1)
	v_add_nc_u32_e32 v8, v9, v8
	v_lshrrev_b32_e32 v8, s6, v8
	s_delay_alu instid0(VALU_DEP_1) | instskip(NEXT) | instid1(VALU_DEP_1)
	v_mul_lo_u32 v8, v8, s4
	v_sub_nc_u32_e32 v11, v9, v8
	s_delay_alu instid0(VALU_DEP_1) | instskip(NEXT) | instid1(VALU_DEP_1)
	v_mad_u64_u32 v[8:9], null, v11, s2, v[6:7]
	v_mad_u64_u32 v[9:10], null, v11, s3, v[7:8]
	s_delay_alu instid0(VALU_DEP_1)
	v_dual_mov_b32 v6, v8 :: v_dual_mov_b32 v7, v9
.LBB247_68:
	s_load_b128 s[4:7], s[0:1], 0x148
	s_waitcnt lgkmcnt(0)
	s_clause 0x3
	global_load_b64 v[8:9], v1, s[6:7]
	global_load_b64 v[10:11], v3, s[6:7]
	;; [unrolled: 1-line block ×4, first 2 shown]
	s_waitcnt vmcnt(3)
	v_cmp_gt_f64_e32 vcc_lo, 0x10000000, v[8:9]
	s_waitcnt vmcnt(2)
	v_cmp_gt_f64_e64 s0, 0x10000000, v[10:11]
	s_waitcnt vmcnt(1)
	v_cmp_gt_f64_e64 s1, 0x10000000, v[12:13]
	;; [unrolled: 2-line block ×3, first 2 shown]
	v_cndmask_b32_e64 v1, 0, 1, vcc_lo
	s_delay_alu instid0(VALU_DEP_4) | instskip(NEXT) | instid1(VALU_DEP_4)
	v_cndmask_b32_e64 v3, 0, 1, s0
	v_cndmask_b32_e64 v5, 0, 1, s1
	s_delay_alu instid0(VALU_DEP_4) | instskip(NEXT) | instid1(VALU_DEP_4)
	v_cndmask_b32_e64 v16, 0, 1, s2
	v_lshlrev_b32_e32 v1, 8, v1
	s_delay_alu instid0(VALU_DEP_4) | instskip(NEXT) | instid1(VALU_DEP_4)
	v_lshlrev_b32_e32 v3, 8, v3
	v_lshlrev_b32_e32 v5, 8, v5
	s_delay_alu instid0(VALU_DEP_3) | instskip(SKIP_1) | instid1(VALU_DEP_4)
	v_ldexp_f64 v[7:8], v[8:9], v1
	v_lshlrev_b32_e32 v1, 8, v16
	v_ldexp_f64 v[9:10], v[10:11], v3
	s_delay_alu instid0(VALU_DEP_4)
	v_ldexp_f64 v[11:12], v[12:13], v5
	v_cndmask_b32_e64 v3, 0, 0xffffff80, s0
	v_cndmask_b32_e64 v5, 0, 0xffffff80, s1
	v_ldexp_f64 v[13:14], v[14:15], v1
	v_cndmask_b32_e64 v1, 0, 0xffffff80, vcc_lo
	v_rsq_f64_e32 v[15:16], v[7:8]
	v_cmp_class_f64_e64 vcc_lo, v[7:8], 0x260
	v_rsq_f64_e32 v[17:18], v[9:10]
	v_rsq_f64_e32 v[19:20], v[11:12]
	v_cmp_class_f64_e64 s0, v[9:10], 0x260
	v_cmp_class_f64_e64 s1, v[11:12], 0x260
	v_rsq_f64_e32 v[21:22], v[13:14]
	v_mul_f64 v[23:24], v[7:8], v[15:16]
	v_mul_f64 v[15:16], v[15:16], 0.5
	s_delay_alu instid0(TRANS32_DEP_3) | instskip(SKIP_1) | instid1(TRANS32_DEP_2)
	v_mul_f64 v[25:26], v[9:10], v[17:18]
	v_mul_f64 v[17:18], v[17:18], 0.5
	v_mul_f64 v[27:28], v[11:12], v[19:20]
	v_mul_f64 v[19:20], v[19:20], 0.5
	s_delay_alu instid0(TRANS32_DEP_1) | instskip(SKIP_4) | instid1(VALU_DEP_4)
	v_mul_f64 v[29:30], v[13:14], v[21:22]
	v_mul_f64 v[21:22], v[21:22], 0.5
	v_fma_f64 v[31:32], -v[15:16], v[23:24], 0.5
	v_fma_f64 v[33:34], -v[17:18], v[25:26], 0.5
	;; [unrolled: 1-line block ×4, first 2 shown]
	s_delay_alu instid0(VALU_DEP_4)
	v_fma_f64 v[23:24], v[23:24], v[31:32], v[23:24]
	v_fma_f64 v[15:16], v[15:16], v[31:32], v[15:16]
	;; [unrolled: 1-line block ×8, first 2 shown]
	v_fma_f64 v[31:32], -v[23:24], v[23:24], v[7:8]
	v_fma_f64 v[33:34], -v[25:26], v[25:26], v[9:10]
	;; [unrolled: 1-line block ×4, first 2 shown]
	s_delay_alu instid0(VALU_DEP_4) | instskip(NEXT) | instid1(VALU_DEP_4)
	v_fma_f64 v[23:24], v[31:32], v[15:16], v[23:24]
	v_fma_f64 v[25:26], v[33:34], v[17:18], v[25:26]
	s_delay_alu instid0(VALU_DEP_4) | instskip(NEXT) | instid1(VALU_DEP_4)
	v_fma_f64 v[27:28], v[35:36], v[19:20], v[27:28]
	v_fma_f64 v[29:30], v[37:38], v[21:22], v[29:30]
	s_delay_alu instid0(VALU_DEP_4) | instskip(NEXT) | instid1(VALU_DEP_4)
	v_fma_f64 v[31:32], -v[23:24], v[23:24], v[7:8]
	v_fma_f64 v[33:34], -v[25:26], v[25:26], v[9:10]
	s_delay_alu instid0(VALU_DEP_4) | instskip(NEXT) | instid1(VALU_DEP_4)
	v_fma_f64 v[35:36], -v[27:28], v[27:28], v[11:12]
	v_fma_f64 v[37:38], -v[29:30], v[29:30], v[13:14]
	s_delay_alu instid0(VALU_DEP_4)
	v_fma_f64 v[15:16], v[31:32], v[15:16], v[23:24]
	v_cndmask_b32_e64 v23, 0, 0xffffff80, s2
	v_fma_f64 v[17:18], v[33:34], v[17:18], v[25:26]
	v_cmp_class_f64_e64 s2, v[13:14], 0x260
	v_fma_f64 v[19:20], v[35:36], v[19:20], v[27:28]
	v_fma_f64 v[21:22], v[37:38], v[21:22], v[29:30]
	v_ldexp_f64 v[15:16], v[15:16], v1
	v_ldexp_f64 v[17:18], v[17:18], v3
	s_delay_alu instid0(VALU_DEP_4) | instskip(NEXT) | instid1(VALU_DEP_4)
	v_ldexp_f64 v[19:20], v[19:20], v5
	v_ldexp_f64 v[21:22], v[21:22], v23
	s_delay_alu instid0(VALU_DEP_4) | instskip(NEXT) | instid1(VALU_DEP_4)
	v_dual_cndmask_b32 v8, v16, v8 :: v_dual_cndmask_b32 v7, v15, v7
	v_cndmask_b32_e64 v10, v18, v10, s0
	v_cndmask_b32_e64 v9, v17, v9, s0
	;; [unrolled: 1-line block ×6, first 2 shown]
	s_clause 0x3
	global_store_b64 v0, v[7:8], s[4:5]
	global_store_b64 v2, v[9:10], s[4:5]
	;; [unrolled: 1-line block ×4, first 2 shown]
	s_nop 0
	s_sendmsg sendmsg(MSG_DEALLOC_VGPRS)
	s_endpgm
.LBB247_69:
	v_dual_mov_b32 v2, v4 :: v_dual_mov_b32 v1, 0
.LBB247_70:
	s_and_b32 s34, s34, 3
	s_delay_alu instid0(SALU_CYCLE_1)
	s_cmp_eq_u32 s34, 0
	s_cbranch_scc1 .LBB247_73
; %bb.71:
	s_lshl_b32 s18, s33, 3
	s_mul_i32 s20, s33, 12
	s_add_u32 s18, s18, s0
	s_addc_u32 s19, s1, 0
	s_add_u32 s18, s18, 0xc4
	s_addc_u32 s19, s19, 0
	;; [unrolled: 2-line block ×3, first 2 shown]
	.p2align	6
.LBB247_72:                             ; =>This Inner Loop Header: Depth=1
	s_clause 0x1
	s_load_b64 s[36:37], s[20:21], 0x4
	s_load_b32 s33, s[20:21], 0xc
	s_load_b64 s[38:39], s[18:19], 0x0
	s_add_u32 s20, s20, 12
	s_addc_u32 s21, s21, 0
	s_add_u32 s18, s18, 8
	s_addc_u32 s19, s19, 0
	s_add_i32 s34, s34, -1
	s_delay_alu instid0(SALU_CYCLE_1) | instskip(SKIP_2) | instid1(VALU_DEP_1)
	s_cmp_lg_u32 s34, 0
	s_waitcnt lgkmcnt(0)
	v_mul_hi_u32 v3, s37, v2
	v_add_nc_u32_e32 v3, v2, v3
	s_delay_alu instid0(VALU_DEP_1) | instskip(NEXT) | instid1(VALU_DEP_1)
	v_lshrrev_b32_e32 v3, s33, v3
	v_mul_lo_u32 v5, v3, s36
	s_delay_alu instid0(VALU_DEP_1) | instskip(NEXT) | instid1(VALU_DEP_1)
	v_sub_nc_u32_e32 v2, v2, v5
	v_mad_u64_u32 v[5:6], null, v2, s38, v[0:1]
	v_mad_u64_u32 v[6:7], null, v2, s39, v[1:2]
	v_mov_b32_e32 v2, v3
	s_delay_alu instid0(VALU_DEP_2)
	v_dual_mov_b32 v0, v5 :: v_dual_mov_b32 v1, v6
	s_cbranch_scc1 .LBB247_72
.LBB247_73:
	s_and_not1_b32 vcc_lo, exec_lo, s31
	s_cbranch_vccnz .LBB247_76
; %bb.74:
	s_waitcnt lgkmcnt(0)
	v_mul_hi_u32 v0, s13, v4
	s_and_not1_b32 vcc_lo, exec_lo, s26
	s_delay_alu instid0(VALU_DEP_1) | instskip(NEXT) | instid1(VALU_DEP_1)
	v_add_nc_u32_e32 v0, v4, v0
	v_lshrrev_b32_e32 v2, s14, v0
	s_delay_alu instid0(VALU_DEP_1) | instskip(NEXT) | instid1(VALU_DEP_1)
	v_mul_lo_u32 v0, v2, s12
	v_sub_nc_u32_e32 v1, v4, v0
	s_delay_alu instid0(VALU_DEP_1)
	v_mul_lo_u32 v0, v1, s8
	v_mul_lo_u32 v1, v1, s9
	s_cbranch_vccnz .LBB247_76
; %bb.75:
	v_mul_hi_u32 v3, s2, v2
	s_delay_alu instid0(VALU_DEP_1) | instskip(NEXT) | instid1(VALU_DEP_1)
	v_add_nc_u32_e32 v3, v2, v3
	v_lshrrev_b32_e32 v3, s3, v3
	s_delay_alu instid0(VALU_DEP_1) | instskip(NEXT) | instid1(VALU_DEP_1)
	v_mul_lo_u32 v3, v3, s15
	v_sub_nc_u32_e32 v7, v2, v3
	s_delay_alu instid0(VALU_DEP_1) | instskip(NEXT) | instid1(VALU_DEP_1)
	v_mad_u64_u32 v[2:3], null, v7, s10, v[0:1]
	v_mad_u64_u32 v[5:6], null, v7, s11, v[1:2]
	s_delay_alu instid0(VALU_DEP_1)
	v_dual_mov_b32 v0, v2 :: v_dual_mov_b32 v1, v5
.LBB247_76:
	s_waitcnt lgkmcnt(0)
	global_load_b64 v[1:2], v1, s[6:7]
	v_add_nc_u32_e32 v4, 0x80, v4
	s_waitcnt vmcnt(0)
	v_cmp_gt_f64_e32 vcc_lo, 0x10000000, v[1:2]
	v_cndmask_b32_e64 v3, 0, 1, vcc_lo
	s_delay_alu instid0(VALU_DEP_1) | instskip(NEXT) | instid1(VALU_DEP_1)
	v_lshlrev_b32_e32 v3, 8, v3
	v_ldexp_f64 v[1:2], v[1:2], v3
	v_cndmask_b32_e64 v3, 0, 0xffffff80, vcc_lo
	s_delay_alu instid0(VALU_DEP_2) | instskip(SKIP_4) | instid1(VALU_DEP_1)
	v_rsq_f64_e32 v[5:6], v[1:2]
	v_cmp_class_f64_e64 vcc_lo, v[1:2], 0x260
	s_waitcnt_depctr 0xfff
	v_mul_f64 v[7:8], v[1:2], v[5:6]
	v_mul_f64 v[5:6], v[5:6], 0.5
	v_fma_f64 v[9:10], -v[5:6], v[7:8], 0.5
	s_delay_alu instid0(VALU_DEP_1) | instskip(SKIP_1) | instid1(VALU_DEP_2)
	v_fma_f64 v[7:8], v[7:8], v[9:10], v[7:8]
	v_fma_f64 v[5:6], v[5:6], v[9:10], v[5:6]
	v_fma_f64 v[9:10], -v[7:8], v[7:8], v[1:2]
	s_delay_alu instid0(VALU_DEP_1) | instskip(NEXT) | instid1(VALU_DEP_1)
	v_fma_f64 v[7:8], v[9:10], v[5:6], v[7:8]
	v_fma_f64 v[9:10], -v[7:8], v[7:8], v[1:2]
	s_delay_alu instid0(VALU_DEP_1) | instskip(NEXT) | instid1(VALU_DEP_1)
	v_fma_f64 v[5:6], v[9:10], v[5:6], v[7:8]
	v_ldexp_f64 v[5:6], v[5:6], v3
	s_delay_alu instid0(VALU_DEP_1) | instskip(SKIP_2) | instid1(SALU_CYCLE_1)
	v_dual_cndmask_b32 v2, v6, v2 :: v_dual_cndmask_b32 v1, v5, v1
	global_store_b64 v0, v[1:2], s[4:5]
	s_or_b32 exec_lo, exec_lo, s30
	s_mov_b32 s30, exec_lo
	v_cmpx_gt_i32_e64 s27, v4
	s_cbranch_execnz .LBB247_15
.LBB247_77:
	s_or_b32 exec_lo, exec_lo, s30
	s_delay_alu instid0(SALU_CYCLE_1)
	s_mov_b32 s30, exec_lo
	v_cmpx_gt_i32_e64 s27, v4
	s_cbranch_execz .LBB247_92
.LBB247_78:
	s_and_not1_b32 vcc_lo, exec_lo, s24
	s_cbranch_vccnz .LBB247_83
; %bb.79:
	v_dual_mov_b32 v0, 0 :: v_dual_mov_b32 v1, 0
	s_and_not1_b32 vcc_lo, exec_lo, s29
	s_mov_b32 s31, 0
	s_cbranch_vccnz .LBB247_99
; %bb.80:
	v_mov_b32_e32 v0, 0
	s_add_i32 s34, s28, 1
	s_cmp_eq_u32 s23, 2
	s_mov_b32 s33, 0
	s_cbranch_scc1 .LBB247_95
; %bb.81:
	v_dual_mov_b32 v1, 0 :: v_dual_mov_b32 v0, 0
	v_mov_b32_e32 v2, v4
	s_and_b32 s33, s34, 28
	s_mov_b32 s35, 0
	s_mov_b64 s[18:19], s[16:17]
	s_mov_b64 s[20:21], s[0:1]
.LBB247_82:                             ; =>This Inner Loop Header: Depth=1
	s_clause 0x1
	s_load_b256 s[36:43], s[20:21], 0x4
	s_load_b128 s[52:55], s[20:21], 0x24
	s_load_b256 s[44:51], s[18:19], 0x0
	s_add_u32 s20, s20, 48
	s_addc_u32 s21, s21, 0
	s_add_i32 s35, s35, 4
	s_add_u32 s18, s18, 32
	s_addc_u32 s19, s19, 0
	s_cmp_eq_u32 s33, s35
	s_waitcnt lgkmcnt(0)
	v_mul_hi_u32 v3, s37, v2
	s_delay_alu instid0(VALU_DEP_1) | instskip(NEXT) | instid1(VALU_DEP_1)
	v_add_nc_u32_e32 v3, v2, v3
	v_lshrrev_b32_e32 v3, s38, v3
	s_delay_alu instid0(VALU_DEP_1) | instskip(SKIP_1) | instid1(VALU_DEP_2)
	v_mul_hi_u32 v5, s40, v3
	v_mul_lo_u32 v7, v3, s36
	v_add_nc_u32_e32 v5, v3, v5
	s_delay_alu instid0(VALU_DEP_2) | instskip(NEXT) | instid1(VALU_DEP_2)
	v_sub_nc_u32_e32 v2, v2, v7
	v_lshrrev_b32_e32 v5, s41, v5
	s_delay_alu instid0(VALU_DEP_2) | instskip(SKIP_1) | instid1(VALU_DEP_3)
	v_mul_lo_u32 v7, v2, s44
	v_mul_lo_u32 v9, v2, s45
	v_mul_hi_u32 v6, s43, v5
	s_delay_alu instid0(VALU_DEP_1) | instskip(NEXT) | instid1(VALU_DEP_1)
	v_add_nc_u32_e32 v6, v5, v6
	v_lshrrev_b32_e32 v6, s52, v6
	s_delay_alu instid0(VALU_DEP_1) | instskip(SKIP_1) | instid1(VALU_DEP_2)
	v_mul_hi_u32 v8, s54, v6
	v_mul_lo_u32 v10, v6, s42
	v_add_nc_u32_e32 v2, v6, v8
	v_mul_lo_u32 v8, v5, s39
	s_delay_alu instid0(VALU_DEP_3) | instskip(NEXT) | instid1(VALU_DEP_3)
	v_sub_nc_u32_e32 v5, v5, v10
	v_lshrrev_b32_e32 v2, s55, v2
	s_delay_alu instid0(VALU_DEP_2) | instskip(SKIP_2) | instid1(VALU_DEP_4)
	v_mul_lo_u32 v10, v5, s48
	v_mul_lo_u32 v5, v5, s49
	v_sub_nc_u32_e32 v3, v3, v8
	v_mul_lo_u32 v11, v2, s53
	s_delay_alu instid0(VALU_DEP_2) | instskip(SKIP_1) | instid1(VALU_DEP_3)
	v_mul_lo_u32 v8, v3, s46
	v_mul_lo_u32 v3, v3, s47
	v_sub_nc_u32_e32 v6, v6, v11
	s_delay_alu instid0(VALU_DEP_3) | instskip(NEXT) | instid1(VALU_DEP_2)
	v_add3_u32 v0, v7, v0, v8
	v_mul_lo_u32 v11, v6, s50
	v_mul_lo_u32 v6, v6, s51
	v_add3_u32 v1, v9, v1, v3
	s_delay_alu instid0(VALU_DEP_3) | instskip(NEXT) | instid1(VALU_DEP_2)
	v_add3_u32 v0, v10, v0, v11
	v_add3_u32 v1, v5, v1, v6
	s_cbranch_scc0 .LBB247_82
	s_branch .LBB247_96
.LBB247_83:
	s_mov_b32 s31, -1
                                        ; implicit-def: $vgpr0
                                        ; implicit-def: $vgpr1
	s_branch .LBB247_99
.LBB247_84:
	v_dual_mov_b32 v2, v4 :: v_dual_mov_b32 v1, 0
.LBB247_85:
	s_and_b32 s34, s34, 3
	s_delay_alu instid0(SALU_CYCLE_1)
	s_cmp_eq_u32 s34, 0
	s_cbranch_scc1 .LBB247_88
; %bb.86:
	s_lshl_b32 s18, s33, 3
	s_mul_i32 s20, s33, 12
	s_add_u32 s18, s18, s0
	s_addc_u32 s19, s1, 0
	s_add_u32 s18, s18, 0xc4
	s_addc_u32 s19, s19, 0
	;; [unrolled: 2-line block ×3, first 2 shown]
	.p2align	6
.LBB247_87:                             ; =>This Inner Loop Header: Depth=1
	s_clause 0x1
	s_load_b64 s[36:37], s[20:21], 0x4
	s_load_b32 s33, s[20:21], 0xc
	s_load_b64 s[38:39], s[18:19], 0x0
	s_add_u32 s20, s20, 12
	s_addc_u32 s21, s21, 0
	s_add_u32 s18, s18, 8
	s_addc_u32 s19, s19, 0
	s_add_i32 s34, s34, -1
	s_delay_alu instid0(SALU_CYCLE_1) | instskip(SKIP_2) | instid1(VALU_DEP_1)
	s_cmp_lg_u32 s34, 0
	s_waitcnt lgkmcnt(0)
	v_mul_hi_u32 v3, s37, v2
	v_add_nc_u32_e32 v3, v2, v3
	s_delay_alu instid0(VALU_DEP_1) | instskip(NEXT) | instid1(VALU_DEP_1)
	v_lshrrev_b32_e32 v3, s33, v3
	v_mul_lo_u32 v5, v3, s36
	s_delay_alu instid0(VALU_DEP_1) | instskip(NEXT) | instid1(VALU_DEP_1)
	v_sub_nc_u32_e32 v2, v2, v5
	v_mad_u64_u32 v[5:6], null, v2, s38, v[0:1]
	v_mad_u64_u32 v[6:7], null, v2, s39, v[1:2]
	v_mov_b32_e32 v2, v3
	s_delay_alu instid0(VALU_DEP_2)
	v_dual_mov_b32 v0, v5 :: v_dual_mov_b32 v1, v6
	s_cbranch_scc1 .LBB247_87
.LBB247_88:
	s_and_not1_b32 vcc_lo, exec_lo, s31
	s_cbranch_vccnz .LBB247_91
; %bb.89:
	s_waitcnt lgkmcnt(0)
	v_mul_hi_u32 v0, s13, v4
	s_and_not1_b32 vcc_lo, exec_lo, s26
	s_delay_alu instid0(VALU_DEP_1) | instskip(NEXT) | instid1(VALU_DEP_1)
	v_add_nc_u32_e32 v0, v4, v0
	v_lshrrev_b32_e32 v2, s14, v0
	s_delay_alu instid0(VALU_DEP_1) | instskip(NEXT) | instid1(VALU_DEP_1)
	v_mul_lo_u32 v0, v2, s12
	v_sub_nc_u32_e32 v1, v4, v0
	s_delay_alu instid0(VALU_DEP_1)
	v_mul_lo_u32 v0, v1, s8
	v_mul_lo_u32 v1, v1, s9
	s_cbranch_vccnz .LBB247_91
; %bb.90:
	v_mul_hi_u32 v3, s2, v2
	s_delay_alu instid0(VALU_DEP_1) | instskip(NEXT) | instid1(VALU_DEP_1)
	v_add_nc_u32_e32 v3, v2, v3
	v_lshrrev_b32_e32 v3, s3, v3
	s_delay_alu instid0(VALU_DEP_1) | instskip(NEXT) | instid1(VALU_DEP_1)
	v_mul_lo_u32 v3, v3, s15
	v_sub_nc_u32_e32 v7, v2, v3
	s_delay_alu instid0(VALU_DEP_1) | instskip(NEXT) | instid1(VALU_DEP_1)
	v_mad_u64_u32 v[2:3], null, v7, s10, v[0:1]
	v_mad_u64_u32 v[5:6], null, v7, s11, v[1:2]
	s_delay_alu instid0(VALU_DEP_1)
	v_dual_mov_b32 v0, v2 :: v_dual_mov_b32 v1, v5
.LBB247_91:
	s_waitcnt lgkmcnt(0)
	global_load_b64 v[1:2], v1, s[6:7]
	v_add_nc_u32_e32 v4, 0x80, v4
	s_waitcnt vmcnt(0)
	v_cmp_gt_f64_e32 vcc_lo, 0x10000000, v[1:2]
	v_cndmask_b32_e64 v3, 0, 1, vcc_lo
	s_delay_alu instid0(VALU_DEP_1) | instskip(NEXT) | instid1(VALU_DEP_1)
	v_lshlrev_b32_e32 v3, 8, v3
	v_ldexp_f64 v[1:2], v[1:2], v3
	v_cndmask_b32_e64 v3, 0, 0xffffff80, vcc_lo
	s_delay_alu instid0(VALU_DEP_2) | instskip(SKIP_4) | instid1(VALU_DEP_1)
	v_rsq_f64_e32 v[5:6], v[1:2]
	v_cmp_class_f64_e64 vcc_lo, v[1:2], 0x260
	s_waitcnt_depctr 0xfff
	v_mul_f64 v[7:8], v[1:2], v[5:6]
	v_mul_f64 v[5:6], v[5:6], 0.5
	v_fma_f64 v[9:10], -v[5:6], v[7:8], 0.5
	s_delay_alu instid0(VALU_DEP_1) | instskip(SKIP_1) | instid1(VALU_DEP_2)
	v_fma_f64 v[7:8], v[7:8], v[9:10], v[7:8]
	v_fma_f64 v[5:6], v[5:6], v[9:10], v[5:6]
	v_fma_f64 v[9:10], -v[7:8], v[7:8], v[1:2]
	s_delay_alu instid0(VALU_DEP_1) | instskip(NEXT) | instid1(VALU_DEP_1)
	v_fma_f64 v[7:8], v[9:10], v[5:6], v[7:8]
	v_fma_f64 v[9:10], -v[7:8], v[7:8], v[1:2]
	s_delay_alu instid0(VALU_DEP_1) | instskip(NEXT) | instid1(VALU_DEP_1)
	v_fma_f64 v[5:6], v[9:10], v[5:6], v[7:8]
	v_ldexp_f64 v[5:6], v[5:6], v3
	s_delay_alu instid0(VALU_DEP_1) | instskip(SKIP_2) | instid1(SALU_CYCLE_1)
	v_dual_cndmask_b32 v2, v6, v2 :: v_dual_cndmask_b32 v1, v5, v1
	global_store_b64 v0, v[1:2], s[4:5]
	s_or_b32 exec_lo, exec_lo, s30
	s_mov_b32 s30, exec_lo
	v_cmpx_gt_i32_e64 s27, v4
	s_cbranch_execnz .LBB247_78
.LBB247_92:
	s_or_b32 exec_lo, exec_lo, s30
	s_delay_alu instid0(SALU_CYCLE_1)
	s_mov_b32 s20, exec_lo
	v_cmpx_gt_i32_e64 s27, v4
	s_cbranch_execnz .LBB247_103
.LBB247_93:
	s_or_b32 exec_lo, exec_lo, s20
                                        ; implicit-def: $vgpr8
                                        ; implicit-def: $vgpr4
	s_waitcnt lgkmcnt(0)
	s_and_not1_saveexec_b32 s2, s25
	s_cbranch_execnz .LBB247_8
.LBB247_94:
	s_nop 0
	s_sendmsg sendmsg(MSG_DEALLOC_VGPRS)
	s_endpgm
.LBB247_95:
	v_dual_mov_b32 v2, v4 :: v_dual_mov_b32 v1, 0
.LBB247_96:
	s_and_b32 s34, s34, 3
	s_delay_alu instid0(SALU_CYCLE_1)
	s_cmp_eq_u32 s34, 0
	s_cbranch_scc1 .LBB247_99
; %bb.97:
	s_lshl_b32 s18, s33, 3
	s_mul_i32 s20, s33, 12
	s_add_u32 s18, s18, s0
	s_addc_u32 s19, s1, 0
	s_add_u32 s18, s18, 0xc4
	s_addc_u32 s19, s19, 0
	;; [unrolled: 2-line block ×3, first 2 shown]
	.p2align	6
.LBB247_98:                             ; =>This Inner Loop Header: Depth=1
	s_clause 0x1
	s_load_b64 s[36:37], s[20:21], 0x4
	s_load_b32 s33, s[20:21], 0xc
	s_load_b64 s[38:39], s[18:19], 0x0
	s_add_u32 s20, s20, 12
	s_addc_u32 s21, s21, 0
	s_add_u32 s18, s18, 8
	s_addc_u32 s19, s19, 0
	s_add_i32 s34, s34, -1
	s_delay_alu instid0(SALU_CYCLE_1) | instskip(SKIP_2) | instid1(VALU_DEP_1)
	s_cmp_lg_u32 s34, 0
	s_waitcnt lgkmcnt(0)
	v_mul_hi_u32 v3, s37, v2
	v_add_nc_u32_e32 v3, v2, v3
	s_delay_alu instid0(VALU_DEP_1) | instskip(NEXT) | instid1(VALU_DEP_1)
	v_lshrrev_b32_e32 v3, s33, v3
	v_mul_lo_u32 v5, v3, s36
	s_delay_alu instid0(VALU_DEP_1) | instskip(NEXT) | instid1(VALU_DEP_1)
	v_sub_nc_u32_e32 v2, v2, v5
	v_mad_u64_u32 v[5:6], null, v2, s38, v[0:1]
	v_mad_u64_u32 v[6:7], null, v2, s39, v[1:2]
	v_mov_b32_e32 v2, v3
	s_delay_alu instid0(VALU_DEP_2)
	v_dual_mov_b32 v0, v5 :: v_dual_mov_b32 v1, v6
	s_cbranch_scc1 .LBB247_98
.LBB247_99:
	s_and_not1_b32 vcc_lo, exec_lo, s31
	s_cbranch_vccnz .LBB247_102
; %bb.100:
	s_waitcnt lgkmcnt(0)
	v_mul_hi_u32 v0, s13, v4
	s_and_not1_b32 vcc_lo, exec_lo, s26
	s_delay_alu instid0(VALU_DEP_1) | instskip(NEXT) | instid1(VALU_DEP_1)
	v_add_nc_u32_e32 v0, v4, v0
	v_lshrrev_b32_e32 v2, s14, v0
	s_delay_alu instid0(VALU_DEP_1) | instskip(NEXT) | instid1(VALU_DEP_1)
	v_mul_lo_u32 v0, v2, s12
	v_sub_nc_u32_e32 v1, v4, v0
	s_delay_alu instid0(VALU_DEP_1)
	v_mul_lo_u32 v0, v1, s8
	v_mul_lo_u32 v1, v1, s9
	s_cbranch_vccnz .LBB247_102
; %bb.101:
	v_mul_hi_u32 v3, s2, v2
	s_delay_alu instid0(VALU_DEP_1) | instskip(NEXT) | instid1(VALU_DEP_1)
	v_add_nc_u32_e32 v3, v2, v3
	v_lshrrev_b32_e32 v3, s3, v3
	s_delay_alu instid0(VALU_DEP_1) | instskip(NEXT) | instid1(VALU_DEP_1)
	v_mul_lo_u32 v3, v3, s15
	v_sub_nc_u32_e32 v7, v2, v3
	s_delay_alu instid0(VALU_DEP_1) | instskip(NEXT) | instid1(VALU_DEP_1)
	v_mad_u64_u32 v[2:3], null, v7, s10, v[0:1]
	v_mad_u64_u32 v[5:6], null, v7, s11, v[1:2]
	s_delay_alu instid0(VALU_DEP_1)
	v_dual_mov_b32 v0, v2 :: v_dual_mov_b32 v1, v5
.LBB247_102:
	s_waitcnt lgkmcnt(0)
	global_load_b64 v[1:2], v1, s[6:7]
	v_add_nc_u32_e32 v4, 0x80, v4
	s_waitcnt vmcnt(0)
	v_cmp_gt_f64_e32 vcc_lo, 0x10000000, v[1:2]
	v_cndmask_b32_e64 v3, 0, 1, vcc_lo
	s_delay_alu instid0(VALU_DEP_1) | instskip(NEXT) | instid1(VALU_DEP_1)
	v_lshlrev_b32_e32 v3, 8, v3
	v_ldexp_f64 v[1:2], v[1:2], v3
	v_cndmask_b32_e64 v3, 0, 0xffffff80, vcc_lo
	s_delay_alu instid0(VALU_DEP_2) | instskip(SKIP_4) | instid1(VALU_DEP_1)
	v_rsq_f64_e32 v[5:6], v[1:2]
	v_cmp_class_f64_e64 vcc_lo, v[1:2], 0x260
	s_waitcnt_depctr 0xfff
	v_mul_f64 v[7:8], v[1:2], v[5:6]
	v_mul_f64 v[5:6], v[5:6], 0.5
	v_fma_f64 v[9:10], -v[5:6], v[7:8], 0.5
	s_delay_alu instid0(VALU_DEP_1) | instskip(SKIP_1) | instid1(VALU_DEP_2)
	v_fma_f64 v[7:8], v[7:8], v[9:10], v[7:8]
	v_fma_f64 v[5:6], v[5:6], v[9:10], v[5:6]
	v_fma_f64 v[9:10], -v[7:8], v[7:8], v[1:2]
	s_delay_alu instid0(VALU_DEP_1) | instskip(NEXT) | instid1(VALU_DEP_1)
	v_fma_f64 v[7:8], v[9:10], v[5:6], v[7:8]
	v_fma_f64 v[9:10], -v[7:8], v[7:8], v[1:2]
	s_delay_alu instid0(VALU_DEP_1) | instskip(NEXT) | instid1(VALU_DEP_1)
	v_fma_f64 v[5:6], v[9:10], v[5:6], v[7:8]
	v_ldexp_f64 v[5:6], v[5:6], v3
	s_delay_alu instid0(VALU_DEP_1) | instskip(SKIP_2) | instid1(SALU_CYCLE_1)
	v_dual_cndmask_b32 v2, v6, v2 :: v_dual_cndmask_b32 v1, v5, v1
	global_store_b64 v0, v[1:2], s[4:5]
	s_or_b32 exec_lo, exec_lo, s30
	s_mov_b32 s20, exec_lo
	v_cmpx_gt_i32_e64 s27, v4
	s_cbranch_execz .LBB247_93
.LBB247_103:
	s_and_not1_b32 vcc_lo, exec_lo, s24
	s_cbranch_vccnz .LBB247_108
; %bb.104:
	v_dual_mov_b32 v0, 0 :: v_dual_mov_b32 v1, 0
	s_and_not1_b32 vcc_lo, exec_lo, s29
	s_mov_b32 s21, 0
	s_cbranch_vccnz .LBB247_113
; %bb.105:
	v_mov_b32_e32 v0, 0
	s_add_i32 s28, s28, 1
	s_cmp_eq_u32 s23, 2
	s_mov_b32 s27, 0
	s_cbranch_scc1 .LBB247_109
; %bb.106:
	v_dual_mov_b32 v1, 0 :: v_dual_mov_b32 v0, 0
	v_mov_b32_e32 v2, v4
	s_and_b32 s27, s28, 28
	s_mov_b32 s29, 0
	s_mov_b64 s[18:19], s[0:1]
.LBB247_107:                            ; =>This Inner Loop Header: Depth=1
	s_clause 0x1
	s_load_b256 s[36:43], s[18:19], 0x4
	s_load_b128 s[52:55], s[18:19], 0x24
	s_load_b256 s[44:51], s[16:17], 0x0
	s_add_u32 s18, s18, 48
	s_addc_u32 s19, s19, 0
	s_add_i32 s29, s29, 4
	s_add_u32 s16, s16, 32
	s_addc_u32 s17, s17, 0
	s_cmp_eq_u32 s27, s29
	s_waitcnt lgkmcnt(0)
	v_mul_hi_u32 v3, s37, v2
	s_delay_alu instid0(VALU_DEP_1) | instskip(NEXT) | instid1(VALU_DEP_1)
	v_add_nc_u32_e32 v3, v2, v3
	v_lshrrev_b32_e32 v3, s38, v3
	s_delay_alu instid0(VALU_DEP_1) | instskip(SKIP_1) | instid1(VALU_DEP_2)
	v_mul_hi_u32 v5, s40, v3
	v_mul_lo_u32 v7, v3, s36
	v_add_nc_u32_e32 v5, v3, v5
	s_delay_alu instid0(VALU_DEP_2) | instskip(NEXT) | instid1(VALU_DEP_2)
	v_sub_nc_u32_e32 v2, v2, v7
	v_lshrrev_b32_e32 v5, s41, v5
	s_delay_alu instid0(VALU_DEP_2) | instskip(SKIP_1) | instid1(VALU_DEP_3)
	v_mul_lo_u32 v7, v2, s44
	v_mul_lo_u32 v9, v2, s45
	v_mul_hi_u32 v6, s43, v5
	s_delay_alu instid0(VALU_DEP_1) | instskip(NEXT) | instid1(VALU_DEP_1)
	v_add_nc_u32_e32 v6, v5, v6
	v_lshrrev_b32_e32 v6, s52, v6
	s_delay_alu instid0(VALU_DEP_1) | instskip(SKIP_1) | instid1(VALU_DEP_2)
	v_mul_hi_u32 v8, s54, v6
	v_mul_lo_u32 v10, v6, s42
	v_add_nc_u32_e32 v2, v6, v8
	v_mul_lo_u32 v8, v5, s39
	s_delay_alu instid0(VALU_DEP_3) | instskip(NEXT) | instid1(VALU_DEP_3)
	v_sub_nc_u32_e32 v5, v5, v10
	v_lshrrev_b32_e32 v2, s55, v2
	s_delay_alu instid0(VALU_DEP_2) | instskip(SKIP_2) | instid1(VALU_DEP_4)
	v_mul_lo_u32 v10, v5, s48
	v_mul_lo_u32 v5, v5, s49
	v_sub_nc_u32_e32 v3, v3, v8
	v_mul_lo_u32 v11, v2, s53
	s_delay_alu instid0(VALU_DEP_2) | instskip(SKIP_1) | instid1(VALU_DEP_3)
	v_mul_lo_u32 v8, v3, s46
	v_mul_lo_u32 v3, v3, s47
	v_sub_nc_u32_e32 v6, v6, v11
	s_delay_alu instid0(VALU_DEP_3) | instskip(NEXT) | instid1(VALU_DEP_2)
	v_add3_u32 v0, v7, v0, v8
	v_mul_lo_u32 v11, v6, s50
	v_mul_lo_u32 v6, v6, s51
	v_add3_u32 v1, v9, v1, v3
	s_delay_alu instid0(VALU_DEP_3) | instskip(NEXT) | instid1(VALU_DEP_2)
	v_add3_u32 v0, v10, v0, v11
	v_add3_u32 v1, v5, v1, v6
	s_cbranch_scc0 .LBB247_107
	s_branch .LBB247_110
.LBB247_108:
	s_mov_b32 s21, -1
                                        ; implicit-def: $vgpr0
                                        ; implicit-def: $vgpr1
	s_branch .LBB247_113
.LBB247_109:
	v_dual_mov_b32 v2, v4 :: v_dual_mov_b32 v1, 0
.LBB247_110:
	s_and_b32 s28, s28, 3
	s_delay_alu instid0(SALU_CYCLE_1)
	s_cmp_eq_u32 s28, 0
	s_cbranch_scc1 .LBB247_113
; %bb.111:
	s_lshl_b32 s16, s27, 3
	s_mul_i32 s18, s27, 12
	s_add_u32 s16, s16, s0
	s_addc_u32 s17, s1, 0
	s_add_u32 s16, s16, 0xc4
	s_addc_u32 s17, s17, 0
	;; [unrolled: 2-line block ×3, first 2 shown]
	.p2align	6
.LBB247_112:                            ; =>This Inner Loop Header: Depth=1
	s_clause 0x1
	s_load_b64 s[30:31], s[18:19], 0x4
	s_load_b32 s27, s[18:19], 0xc
	s_load_b64 s[34:35], s[16:17], 0x0
	s_add_u32 s18, s18, 12
	s_addc_u32 s19, s19, 0
	s_add_u32 s16, s16, 8
	s_addc_u32 s17, s17, 0
	s_add_i32 s28, s28, -1
	s_delay_alu instid0(SALU_CYCLE_1) | instskip(SKIP_2) | instid1(VALU_DEP_1)
	s_cmp_lg_u32 s28, 0
	s_waitcnt lgkmcnt(0)
	v_mul_hi_u32 v3, s31, v2
	v_add_nc_u32_e32 v3, v2, v3
	s_delay_alu instid0(VALU_DEP_1) | instskip(NEXT) | instid1(VALU_DEP_1)
	v_lshrrev_b32_e32 v3, s27, v3
	v_mul_lo_u32 v5, v3, s30
	s_delay_alu instid0(VALU_DEP_1) | instskip(NEXT) | instid1(VALU_DEP_1)
	v_sub_nc_u32_e32 v2, v2, v5
	v_mad_u64_u32 v[5:6], null, v2, s34, v[0:1]
	v_mad_u64_u32 v[6:7], null, v2, s35, v[1:2]
	v_mov_b32_e32 v2, v3
	s_delay_alu instid0(VALU_DEP_2)
	v_dual_mov_b32 v0, v5 :: v_dual_mov_b32 v1, v6
	s_cbranch_scc1 .LBB247_112
.LBB247_113:
	s_and_not1_b32 vcc_lo, exec_lo, s21
	s_cbranch_vccnz .LBB247_116
; %bb.114:
	s_waitcnt lgkmcnt(0)
	v_mul_hi_u32 v0, s13, v4
	s_and_not1_b32 vcc_lo, exec_lo, s26
	s_delay_alu instid0(VALU_DEP_1) | instskip(NEXT) | instid1(VALU_DEP_1)
	v_add_nc_u32_e32 v0, v4, v0
	v_lshrrev_b32_e32 v2, s14, v0
	s_delay_alu instid0(VALU_DEP_1) | instskip(NEXT) | instid1(VALU_DEP_1)
	v_mul_lo_u32 v0, v2, s12
	v_sub_nc_u32_e32 v1, v4, v0
	s_delay_alu instid0(VALU_DEP_1)
	v_mul_lo_u32 v0, v1, s8
	v_mul_lo_u32 v1, v1, s9
	s_cbranch_vccnz .LBB247_116
; %bb.115:
	v_mul_hi_u32 v3, s2, v2
	s_delay_alu instid0(VALU_DEP_1) | instskip(NEXT) | instid1(VALU_DEP_1)
	v_add_nc_u32_e32 v3, v2, v3
	v_lshrrev_b32_e32 v3, s3, v3
	s_delay_alu instid0(VALU_DEP_1) | instskip(NEXT) | instid1(VALU_DEP_1)
	v_mul_lo_u32 v3, v3, s15
	v_sub_nc_u32_e32 v5, v2, v3
	s_delay_alu instid0(VALU_DEP_1) | instskip(NEXT) | instid1(VALU_DEP_1)
	v_mad_u64_u32 v[2:3], null, v5, s10, v[0:1]
	v_mad_u64_u32 v[3:4], null, v5, s11, v[1:2]
	s_delay_alu instid0(VALU_DEP_1)
	v_dual_mov_b32 v0, v2 :: v_dual_mov_b32 v1, v3
.LBB247_116:
	s_waitcnt lgkmcnt(0)
	global_load_b64 v[1:2], v1, s[6:7]
	s_waitcnt vmcnt(0)
	v_cmp_gt_f64_e32 vcc_lo, 0x10000000, v[1:2]
	v_cndmask_b32_e64 v3, 0, 1, vcc_lo
	s_delay_alu instid0(VALU_DEP_1) | instskip(NEXT) | instid1(VALU_DEP_1)
	v_lshlrev_b32_e32 v3, 8, v3
	v_ldexp_f64 v[1:2], v[1:2], v3
	s_delay_alu instid0(VALU_DEP_1) | instskip(SKIP_3) | instid1(VALU_DEP_1)
	v_rsq_f64_e32 v[3:4], v[1:2]
	s_waitcnt_depctr 0xfff
	v_mul_f64 v[5:6], v[1:2], v[3:4]
	v_mul_f64 v[3:4], v[3:4], 0.5
	v_fma_f64 v[7:8], -v[3:4], v[5:6], 0.5
	s_delay_alu instid0(VALU_DEP_1) | instskip(SKIP_1) | instid1(VALU_DEP_2)
	v_fma_f64 v[5:6], v[5:6], v[7:8], v[5:6]
	v_fma_f64 v[3:4], v[3:4], v[7:8], v[3:4]
	v_fma_f64 v[7:8], -v[5:6], v[5:6], v[1:2]
	s_delay_alu instid0(VALU_DEP_1) | instskip(NEXT) | instid1(VALU_DEP_1)
	v_fma_f64 v[5:6], v[7:8], v[3:4], v[5:6]
	v_fma_f64 v[7:8], -v[5:6], v[5:6], v[1:2]
	s_delay_alu instid0(VALU_DEP_1) | instskip(SKIP_2) | instid1(VALU_DEP_2)
	v_fma_f64 v[3:4], v[7:8], v[3:4], v[5:6]
	v_cndmask_b32_e64 v5, 0, 0xffffff80, vcc_lo
	v_cmp_class_f64_e64 vcc_lo, v[1:2], 0x260
	v_ldexp_f64 v[3:4], v[3:4], v5
	s_delay_alu instid0(VALU_DEP_1)
	v_dual_cndmask_b32 v2, v4, v2 :: v_dual_cndmask_b32 v1, v3, v1
	global_store_b64 v0, v[1:2], s[4:5]
	s_or_b32 exec_lo, exec_lo, s20
                                        ; implicit-def: $vgpr8
                                        ; implicit-def: $vgpr4
	s_and_not1_saveexec_b32 s2, s25
	s_cbranch_execz .LBB247_94
	s_branch .LBB247_8
	.section	.rodata,"a",@progbits
	.p2align	6, 0x0
	.amdhsa_kernel _ZN2at6native32elementwise_kernel_manual_unrollILi128ELi4EZNS0_22gpu_kernel_impl_nocastIZZZNS0_16sqrt_kernel_cudaERNS_18TensorIteratorBaseEENKUlvE0_clEvENKUlvE_clEvEUldE_EEvS4_RKT_EUlibE_EEviT1_
		.amdhsa_group_segment_fixed_size 0
		.amdhsa_private_segment_fixed_size 0
		.amdhsa_kernarg_size 360
		.amdhsa_user_sgpr_count 15
		.amdhsa_user_sgpr_dispatch_ptr 0
		.amdhsa_user_sgpr_queue_ptr 0
		.amdhsa_user_sgpr_kernarg_segment_ptr 1
		.amdhsa_user_sgpr_dispatch_id 0
		.amdhsa_user_sgpr_private_segment_size 0
		.amdhsa_wavefront_size32 1
		.amdhsa_uses_dynamic_stack 0
		.amdhsa_enable_private_segment 0
		.amdhsa_system_sgpr_workgroup_id_x 1
		.amdhsa_system_sgpr_workgroup_id_y 0
		.amdhsa_system_sgpr_workgroup_id_z 0
		.amdhsa_system_sgpr_workgroup_info 0
		.amdhsa_system_vgpr_workitem_id 0
		.amdhsa_next_free_vgpr 39
		.amdhsa_next_free_sgpr 56
		.amdhsa_reserve_vcc 1
		.amdhsa_float_round_mode_32 0
		.amdhsa_float_round_mode_16_64 0
		.amdhsa_float_denorm_mode_32 3
		.amdhsa_float_denorm_mode_16_64 3
		.amdhsa_dx10_clamp 1
		.amdhsa_ieee_mode 1
		.amdhsa_fp16_overflow 0
		.amdhsa_workgroup_processor_mode 1
		.amdhsa_memory_ordered 1
		.amdhsa_forward_progress 0
		.amdhsa_shared_vgpr_count 0
		.amdhsa_exception_fp_ieee_invalid_op 0
		.amdhsa_exception_fp_denorm_src 0
		.amdhsa_exception_fp_ieee_div_zero 0
		.amdhsa_exception_fp_ieee_overflow 0
		.amdhsa_exception_fp_ieee_underflow 0
		.amdhsa_exception_fp_ieee_inexact 0
		.amdhsa_exception_int_div_zero 0
	.end_amdhsa_kernel
	.section	.text._ZN2at6native32elementwise_kernel_manual_unrollILi128ELi4EZNS0_22gpu_kernel_impl_nocastIZZZNS0_16sqrt_kernel_cudaERNS_18TensorIteratorBaseEENKUlvE0_clEvENKUlvE_clEvEUldE_EEvS4_RKT_EUlibE_EEviT1_,"axG",@progbits,_ZN2at6native32elementwise_kernel_manual_unrollILi128ELi4EZNS0_22gpu_kernel_impl_nocastIZZZNS0_16sqrt_kernel_cudaERNS_18TensorIteratorBaseEENKUlvE0_clEvENKUlvE_clEvEUldE_EEvS4_RKT_EUlibE_EEviT1_,comdat
.Lfunc_end247:
	.size	_ZN2at6native32elementwise_kernel_manual_unrollILi128ELi4EZNS0_22gpu_kernel_impl_nocastIZZZNS0_16sqrt_kernel_cudaERNS_18TensorIteratorBaseEENKUlvE0_clEvENKUlvE_clEvEUldE_EEvS4_RKT_EUlibE_EEviT1_, .Lfunc_end247-_ZN2at6native32elementwise_kernel_manual_unrollILi128ELi4EZNS0_22gpu_kernel_impl_nocastIZZZNS0_16sqrt_kernel_cudaERNS_18TensorIteratorBaseEENKUlvE0_clEvENKUlvE_clEvEUldE_EEvS4_RKT_EUlibE_EEviT1_
                                        ; -- End function
	.section	.AMDGPU.csdata,"",@progbits
; Kernel info:
; codeLenInByte = 8128
; NumSgprs: 58
; NumVgprs: 39
; ScratchSize: 0
; MemoryBound: 0
; FloatMode: 240
; IeeeMode: 1
; LDSByteSize: 0 bytes/workgroup (compile time only)
; SGPRBlocks: 7
; VGPRBlocks: 4
; NumSGPRsForWavesPerEU: 58
; NumVGPRsForWavesPerEU: 39
; Occupancy: 16
; WaveLimiterHint : 1
; COMPUTE_PGM_RSRC2:SCRATCH_EN: 0
; COMPUTE_PGM_RSRC2:USER_SGPR: 15
; COMPUTE_PGM_RSRC2:TRAP_HANDLER: 0
; COMPUTE_PGM_RSRC2:TGID_X_EN: 1
; COMPUTE_PGM_RSRC2:TGID_Y_EN: 0
; COMPUTE_PGM_RSRC2:TGID_Z_EN: 0
; COMPUTE_PGM_RSRC2:TIDIG_COMP_CNT: 0
	.section	.text._ZN2at6native32elementwise_kernel_manual_unrollILi128ELi4EZNS0_15gpu_kernel_implIZZZNS0_16sqrt_kernel_cudaERNS_18TensorIteratorBaseEENKUlvE0_clEvENKUlvE_clEvEUldE_EEvS4_RKT_EUlibE_EEviT1_,"axG",@progbits,_ZN2at6native32elementwise_kernel_manual_unrollILi128ELi4EZNS0_15gpu_kernel_implIZZZNS0_16sqrt_kernel_cudaERNS_18TensorIteratorBaseEENKUlvE0_clEvENKUlvE_clEvEUldE_EEvS4_RKT_EUlibE_EEviT1_,comdat
	.globl	_ZN2at6native32elementwise_kernel_manual_unrollILi128ELi4EZNS0_15gpu_kernel_implIZZZNS0_16sqrt_kernel_cudaERNS_18TensorIteratorBaseEENKUlvE0_clEvENKUlvE_clEvEUldE_EEvS4_RKT_EUlibE_EEviT1_ ; -- Begin function _ZN2at6native32elementwise_kernel_manual_unrollILi128ELi4EZNS0_15gpu_kernel_implIZZZNS0_16sqrt_kernel_cudaERNS_18TensorIteratorBaseEENKUlvE0_clEvENKUlvE_clEvEUldE_EEvS4_RKT_EUlibE_EEviT1_
	.p2align	8
	.type	_ZN2at6native32elementwise_kernel_manual_unrollILi128ELi4EZNS0_15gpu_kernel_implIZZZNS0_16sqrt_kernel_cudaERNS_18TensorIteratorBaseEENKUlvE0_clEvENKUlvE_clEvEUldE_EEvS4_RKT_EUlibE_EEviT1_,@function
_ZN2at6native32elementwise_kernel_manual_unrollILi128ELi4EZNS0_15gpu_kernel_implIZZZNS0_16sqrt_kernel_cudaERNS_18TensorIteratorBaseEENKUlvE0_clEvENKUlvE_clEvEUldE_EEvS4_RKT_EUlibE_EEviT1_: ; @_ZN2at6native32elementwise_kernel_manual_unrollILi128ELi4EZNS0_15gpu_kernel_implIZZZNS0_16sqrt_kernel_cudaERNS_18TensorIteratorBaseEENKUlvE0_clEvENKUlvE_clEvEUldE_EEvS4_RKT_EUlibE_EEviT1_
; %bb.0:
	v_mov_b32_e32 v1, 0
	s_clause 0x2
	s_load_b32 s11, s[0:1], 0x0
	s_load_b64 s[2:3], s[0:1], 0x18
	s_load_b128 s[4:7], s[0:1], 0x8
	v_lshl_or_b32 v11, s15, 9, v0
	s_mov_b32 s8, 0
	s_mov_b32 s10, 0
	global_load_u16 v10, v1, s[0:1] offset:33
	s_mov_b32 s0, exec_lo
	v_or_b32_e32 v0, 0x180, v11
	s_waitcnt vmcnt(0)
	v_lshrrev_b16 v12, 8, v10
	s_waitcnt lgkmcnt(0)
	s_delay_alu instid0(VALU_DEP_2)
	v_cmpx_le_i32_e64 s11, v0
	s_xor_b32 s9, exec_lo, s0
	s_cbranch_execz .LBB248_1027
; %bb.1:
	s_mov_b32 s1, -1
	s_mov_b32 s14, 0
	s_mov_b32 s12, 0
	s_mov_b32 s13, exec_lo
	v_cmpx_gt_i32_e64 s11, v11
	s_cbranch_execz .LBB248_251
; %bb.2:
	v_mul_lo_u32 v0, v11, s3
	v_cmp_gt_i16_e32 vcc_lo, 11, v12
	s_delay_alu instid0(VALU_DEP_2) | instskip(SKIP_1) | instid1(VALU_DEP_1)
	v_ashrrev_i32_e32 v1, 31, v0
	v_add_co_u32 v0, s0, s6, v0
	v_add_co_ci_u32_e64 v1, s0, s7, v1, s0
	s_cbranch_vccnz .LBB248_9
; %bb.3:
	v_cmp_lt_i16_e32 vcc_lo, 25, v12
	s_cbranch_vccz .LBB248_57
; %bb.4:
	v_cmp_lt_i16_e32 vcc_lo, 28, v12
	s_cbranch_vccz .LBB248_58
	;; [unrolled: 3-line block ×4, first 2 shown]
; %bb.7:
	v_cmp_eq_u16_e32 vcc_lo, 46, v12
	s_mov_b32 s1, 0
	s_cbranch_vccz .LBB248_63
; %bb.8:
	global_load_b32 v2, v[0:1], off
	s_mov_b32 s0, -1
	s_waitcnt vmcnt(0)
	v_lshlrev_b32_e32 v2, 16, v2
	s_delay_alu instid0(VALU_DEP_1)
	v_cvt_f64_f32_e32 v[2:3], v2
	s_branch .LBB248_65
.LBB248_9:
	s_mov_b32 s0, 0
                                        ; implicit-def: $vgpr2_vgpr3
	s_and_b32 vcc_lo, exec_lo, s1
	s_cbranch_vccnz .LBB248_201
.LBB248_10:
	s_and_not1_b32 vcc_lo, exec_lo, s0
	s_cbranch_vccnz .LBB248_248
.LBB248_11:
	s_waitcnt vmcnt(0)
	s_delay_alu instid0(VALU_DEP_1) | instskip(SKIP_3) | instid1(VALU_DEP_1)
	v_cmp_gt_f64_e32 vcc_lo, 0x10000000, v[2:3]
	s_mov_b32 s10, 0
	s_mov_b32 s15, -1
	v_cndmask_b32_e64 v0, 0, 1, vcc_lo
	v_lshlrev_b32_e32 v0, 8, v0
	s_delay_alu instid0(VALU_DEP_1) | instskip(NEXT) | instid1(VALU_DEP_1)
	v_ldexp_f64 v[0:1], v[2:3], v0
	v_rsq_f64_e32 v[2:3], v[0:1]
	s_waitcnt_depctr 0xfff
	v_mul_f64 v[4:5], v[0:1], v[2:3]
	v_mul_f64 v[2:3], v[2:3], 0.5
	s_delay_alu instid0(VALU_DEP_1) | instskip(NEXT) | instid1(VALU_DEP_1)
	v_fma_f64 v[6:7], -v[2:3], v[4:5], 0.5
	v_fma_f64 v[4:5], v[4:5], v[6:7], v[4:5]
	v_fma_f64 v[2:3], v[2:3], v[6:7], v[2:3]
	s_delay_alu instid0(VALU_DEP_2) | instskip(NEXT) | instid1(VALU_DEP_1)
	v_fma_f64 v[6:7], -v[4:5], v[4:5], v[0:1]
	v_fma_f64 v[4:5], v[6:7], v[2:3], v[4:5]
	s_delay_alu instid0(VALU_DEP_1) | instskip(NEXT) | instid1(VALU_DEP_1)
	v_fma_f64 v[6:7], -v[4:5], v[4:5], v[0:1]
	v_fma_f64 v[2:3], v[6:7], v[2:3], v[4:5]
	v_cndmask_b32_e64 v4, 0, 0xffffff80, vcc_lo
	v_cmp_class_f64_e64 vcc_lo, v[0:1], 0x260
	v_and_b32_e32 v6, 0xff, v10
	s_delay_alu instid0(VALU_DEP_1) | instskip(NEXT) | instid1(VALU_DEP_4)
	v_cmp_gt_i16_e64 s0, 11, v6
	v_ldexp_f64 v[2:3], v[2:3], v4
	v_mul_lo_u32 v4, v11, s2
	s_delay_alu instid0(VALU_DEP_1) | instskip(SKIP_1) | instid1(VALU_DEP_1)
	v_ashrrev_i32_e32 v5, 31, v4
	v_add_co_u32 v4, s1, s4, v4
	v_add_co_ci_u32_e64 v5, s1, s5, v5, s1
	v_dual_cndmask_b32 v1, v3, v1 :: v_dual_cndmask_b32 v0, v2, v0
	s_and_b32 vcc_lo, exec_lo, s0
	s_mov_b32 s0, 0
	s_cbranch_vccnz .LBB248_18
; %bb.12:
	v_cmp_lt_i16_e32 vcc_lo, 25, v6
	s_cbranch_vccz .LBB248_59
; %bb.13:
	v_cmp_lt_i16_e32 vcc_lo, 28, v6
	s_cbranch_vccz .LBB248_61
	;; [unrolled: 3-line block ×4, first 2 shown]
; %bb.16:
	v_cmp_eq_u16_e32 vcc_lo, 46, v6
	s_mov_b32 s1, 0
	s_mov_b32 s10, -1
	s_cbranch_vccz .LBB248_69
; %bb.17:
	v_cvt_f32_f64_e32 v2, v[0:1]
	s_mov_b32 s0, -1
	s_mov_b32 s10, 0
	s_delay_alu instid0(VALU_DEP_1) | instskip(SKIP_1) | instid1(VALU_DEP_2)
	v_bfe_u32 v3, v2, 16, 1
	v_cmp_o_f32_e32 vcc_lo, v2, v2
	v_add3_u32 v3, v2, v3, 0x7fff
	s_delay_alu instid0(VALU_DEP_1) | instskip(NEXT) | instid1(VALU_DEP_1)
	v_lshrrev_b32_e32 v3, 16, v3
	v_cndmask_b32_e32 v2, 0x7fc0, v3, vcc_lo
	global_store_b32 v[4:5], v2, off
	s_branch .LBB248_69
.LBB248_18:
	s_and_b32 vcc_lo, exec_lo, s15
	s_cbranch_vccz .LBB248_138
; %bb.19:
	v_cmp_gt_i16_e32 vcc_lo, 5, v6
	s_mov_b32 s0, -1
	s_cbranch_vccnz .LBB248_40
; %bb.20:
	v_cmp_gt_i16_e32 vcc_lo, 8, v6
	s_cbranch_vccnz .LBB248_30
; %bb.21:
	v_cmp_gt_i16_e32 vcc_lo, 9, v6
	s_cbranch_vccnz .LBB248_27
; %bb.22:
	v_cmp_lt_i16_e32 vcc_lo, 9, v6
	s_cbranch_vccz .LBB248_24
; %bb.23:
	v_mov_b32_e32 v2, 0
	s_mov_b32 s0, 0
	s_delay_alu instid0(VALU_DEP_1)
	v_mov_b32_e32 v3, v2
	global_store_b128 v[4:5], v[0:3], off
.LBB248_24:
	s_and_not1_b32 vcc_lo, exec_lo, s0
	s_cbranch_vccnz .LBB248_26
; %bb.25:
	v_cvt_f32_f64_e32 v2, v[0:1]
	v_mov_b32_e32 v3, 0
	global_store_b64 v[4:5], v[2:3], off
.LBB248_26:
	s_mov_b32 s0, 0
.LBB248_27:
	s_delay_alu instid0(SALU_CYCLE_1)
	s_and_not1_b32 vcc_lo, exec_lo, s0
	s_cbranch_vccnz .LBB248_29
; %bb.28:
	v_cvt_f32_f64_e32 v2, v[0:1]
	s_delay_alu instid0(VALU_DEP_1) | instskip(NEXT) | instid1(VALU_DEP_1)
	v_cvt_f16_f32_e32 v2, v2
	v_and_b32_e32 v2, 0xffff, v2
	global_store_b32 v[4:5], v2, off
.LBB248_29:
	s_mov_b32 s0, 0
.LBB248_30:
	s_delay_alu instid0(SALU_CYCLE_1)
	s_and_not1_b32 vcc_lo, exec_lo, s0
	s_cbranch_vccnz .LBB248_39
; %bb.31:
	v_cmp_gt_i16_e32 vcc_lo, 6, v6
	s_mov_b32 s0, -1
	s_cbranch_vccnz .LBB248_37
; %bb.32:
	v_cmp_lt_i16_e32 vcc_lo, 6, v6
	s_cbranch_vccz .LBB248_34
; %bb.33:
	s_mov_b32 s0, 0
	global_store_b64 v[4:5], v[0:1], off
.LBB248_34:
	s_and_not1_b32 vcc_lo, exec_lo, s0
	s_cbranch_vccnz .LBB248_36
; %bb.35:
	v_cvt_f32_f64_e32 v2, v[0:1]
	global_store_b32 v[4:5], v2, off
.LBB248_36:
	s_mov_b32 s0, 0
.LBB248_37:
	s_delay_alu instid0(SALU_CYCLE_1)
	s_and_not1_b32 vcc_lo, exec_lo, s0
	s_cbranch_vccnz .LBB248_39
; %bb.38:
	v_cvt_f32_f64_e32 v2, v[0:1]
	s_delay_alu instid0(VALU_DEP_1)
	v_cvt_f16_f32_e32 v2, v2
	global_store_b16 v[4:5], v2, off
.LBB248_39:
	s_mov_b32 s0, 0
.LBB248_40:
	s_delay_alu instid0(SALU_CYCLE_1)
	s_and_not1_b32 vcc_lo, exec_lo, s0
	s_cbranch_vccnz .LBB248_56
; %bb.41:
	v_cmp_gt_i16_e32 vcc_lo, 2, v6
	s_mov_b32 s0, -1
	s_cbranch_vccnz .LBB248_51
; %bb.42:
	v_cmp_gt_i16_e32 vcc_lo, 3, v6
	s_cbranch_vccnz .LBB248_48
; %bb.43:
	v_cmp_lt_i16_e32 vcc_lo, 3, v6
	s_cbranch_vccz .LBB248_45
; %bb.44:
	v_trunc_f64_e32 v[2:3], v[0:1]
	s_mov_b32 s0, 0
	s_delay_alu instid0(VALU_DEP_1) | instskip(NEXT) | instid1(VALU_DEP_1)
	v_ldexp_f64 v[7:8], v[2:3], 0xffffffe0
	v_floor_f64_e32 v[7:8], v[7:8]
	s_delay_alu instid0(VALU_DEP_1) | instskip(SKIP_1) | instid1(VALU_DEP_2)
	v_fma_f64 v[2:3], 0xc1f00000, v[7:8], v[2:3]
	v_cvt_i32_f64_e32 v8, v[7:8]
	v_cvt_u32_f64_e32 v7, v[2:3]
	global_store_b64 v[4:5], v[7:8], off
.LBB248_45:
	s_and_not1_b32 vcc_lo, exec_lo, s0
	s_cbranch_vccnz .LBB248_47
; %bb.46:
	v_cvt_i32_f64_e32 v2, v[0:1]
	global_store_b32 v[4:5], v2, off
.LBB248_47:
	s_mov_b32 s0, 0
.LBB248_48:
	s_delay_alu instid0(SALU_CYCLE_1)
	s_and_not1_b32 vcc_lo, exec_lo, s0
	s_cbranch_vccnz .LBB248_50
; %bb.49:
	v_cvt_i32_f64_e32 v2, v[0:1]
	global_store_b16 v[4:5], v2, off
.LBB248_50:
	s_mov_b32 s0, 0
.LBB248_51:
	s_delay_alu instid0(SALU_CYCLE_1)
	s_and_not1_b32 vcc_lo, exec_lo, s0
	s_cbranch_vccnz .LBB248_56
; %bb.52:
	v_cmp_lt_i16_e32 vcc_lo, 0, v6
	s_mov_b32 s0, -1
	s_cbranch_vccz .LBB248_54
; %bb.53:
	v_cvt_i32_f64_e32 v2, v[0:1]
	s_mov_b32 s0, 0
	global_store_b8 v[4:5], v2, off
.LBB248_54:
	s_and_not1_b32 vcc_lo, exec_lo, s0
	s_cbranch_vccnz .LBB248_56
; %bb.55:
	v_trunc_f64_e32 v[0:1], v[0:1]
	s_delay_alu instid0(VALU_DEP_1) | instskip(NEXT) | instid1(VALU_DEP_1)
	v_ldexp_f64 v[2:3], v[0:1], 0xffffffe0
	v_floor_f64_e32 v[2:3], v[2:3]
	s_delay_alu instid0(VALU_DEP_1) | instskip(NEXT) | instid1(VALU_DEP_1)
	v_fma_f64 v[0:1], 0xc1f00000, v[2:3], v[0:1]
	v_cvt_u32_f64_e32 v0, v[0:1]
	global_store_b8 v[4:5], v0, off
.LBB248_56:
	s_branch .LBB248_139
.LBB248_57:
	s_mov_b32 s0, 0
                                        ; implicit-def: $vgpr2_vgpr3
	s_and_b32 vcc_lo, exec_lo, s1
	s_cbranch_vccnz .LBB248_168
	s_branch .LBB248_200
.LBB248_58:
	s_mov_b32 s0, 0
                                        ; implicit-def: $vgpr2_vgpr3
	s_branch .LBB248_147
.LBB248_59:
	s_mov_b32 s1, -1
	s_branch .LBB248_96
.LBB248_60:
	s_mov_b32 s0, 0
                                        ; implicit-def: $vgpr2_vgpr3
	s_branch .LBB248_142
.LBB248_61:
	s_mov_b32 s1, -1
	s_branch .LBB248_79
.LBB248_62:
	s_mov_b32 s1, -1
	s_branch .LBB248_75
.LBB248_63:
	s_mov_b32 s12, -1
.LBB248_64:
	s_mov_b32 s0, 0
                                        ; implicit-def: $vgpr2_vgpr3
.LBB248_65:
	s_and_b32 vcc_lo, exec_lo, s1
	s_cbranch_vccz .LBB248_141
; %bb.66:
	v_cmp_eq_u16_e32 vcc_lo, 44, v12
	s_cbranch_vccz .LBB248_140
; %bb.67:
	global_load_u8 v4, v[0:1], off
	s_mov_b32 s12, 0
	s_mov_b32 s0, -1
	s_waitcnt vmcnt(0)
	v_cmp_ne_u32_e32 vcc_lo, 0xff, v4
	v_lshlrev_b32_e32 v2, 23, v4
	s_delay_alu instid0(VALU_DEP_1) | instskip(NEXT) | instid1(VALU_DEP_1)
	v_cvt_f64_f32_e32 v[2:3], v2
	v_cndmask_b32_e32 v3, 0x7ff80000, v3, vcc_lo
	s_delay_alu instid0(VALU_DEP_2) | instskip(SKIP_1) | instid1(VALU_DEP_3)
	v_cndmask_b32_e32 v2, 0x20000000, v2, vcc_lo
	v_cmp_ne_u32_e32 vcc_lo, 0, v4
	v_cndmask_b32_e32 v3, 0x38000000, v3, vcc_lo
	s_delay_alu instid0(VALU_DEP_3)
	v_cndmask_b32_e32 v2, 0, v2, vcc_lo
	s_branch .LBB248_141
.LBB248_68:
	s_mov_b32 s1, -1
.LBB248_69:
	s_delay_alu instid0(SALU_CYCLE_1)
	s_and_b32 vcc_lo, exec_lo, s1
	s_cbranch_vccz .LBB248_74
; %bb.70:
	v_cmp_eq_u16_e32 vcc_lo, 44, v6
	s_mov_b32 s10, -1
	s_cbranch_vccz .LBB248_74
; %bb.71:
	v_cvt_f32_f64_e32 v2, v[0:1]
	v_mov_b32_e32 v3, 0xff
	s_mov_b32 s1, exec_lo
	s_delay_alu instid0(VALU_DEP_2) | instskip(NEXT) | instid1(VALU_DEP_1)
	v_bfe_u32 v7, v2, 23, 8
	v_cmpx_ne_u32_e32 0xff, v7
; %bb.72:
	v_and_b32_e32 v3, 0x400000, v2
	v_and_or_b32 v7, 0x3fffff, v2, v7
	v_lshrrev_b32_e32 v2, 23, v2
	s_delay_alu instid0(VALU_DEP_3) | instskip(NEXT) | instid1(VALU_DEP_3)
	v_cmp_ne_u32_e32 vcc_lo, 0, v3
	v_cmp_ne_u32_e64 s0, 0, v7
	s_delay_alu instid0(VALU_DEP_1) | instskip(NEXT) | instid1(SALU_CYCLE_1)
	s_and_b32 s0, vcc_lo, s0
	v_cndmask_b32_e64 v3, 0, 1, s0
	s_delay_alu instid0(VALU_DEP_1)
	v_add_nc_u32_e32 v3, v2, v3
; %bb.73:
	s_or_b32 exec_lo, exec_lo, s1
	s_mov_b32 s0, -1
	s_mov_b32 s10, 0
	global_store_b8 v[4:5], v3, off
.LBB248_74:
	s_mov_b32 s1, 0
.LBB248_75:
	s_delay_alu instid0(SALU_CYCLE_1)
	s_and_b32 vcc_lo, exec_lo, s1
	s_cbranch_vccz .LBB248_78
; %bb.76:
	v_cmp_eq_u16_e32 vcc_lo, 29, v6
	s_mov_b32 s10, -1
	s_cbranch_vccz .LBB248_78
; %bb.77:
	v_trunc_f64_e32 v[2:3], v[0:1]
	s_mov_b32 s0, -1
	s_mov_b32 s10, 0
	s_mov_b32 s1, 0
	s_delay_alu instid0(VALU_DEP_1) | instskip(NEXT) | instid1(VALU_DEP_1)
	v_ldexp_f64 v[7:8], v[2:3], 0xffffffe0
	v_floor_f64_e32 v[7:8], v[7:8]
	s_delay_alu instid0(VALU_DEP_1) | instskip(SKIP_1) | instid1(VALU_DEP_2)
	v_fma_f64 v[2:3], 0xc1f00000, v[7:8], v[2:3]
	v_cvt_u32_f64_e32 v8, v[7:8]
	v_cvt_u32_f64_e32 v7, v[2:3]
	global_store_b64 v[4:5], v[7:8], off
	s_branch .LBB248_79
.LBB248_78:
	s_mov_b32 s1, 0
.LBB248_79:
	s_delay_alu instid0(SALU_CYCLE_1)
	s_and_b32 vcc_lo, exec_lo, s1
	s_cbranch_vccz .LBB248_95
; %bb.80:
	v_cmp_gt_i16_e32 vcc_lo, 27, v6
	s_mov_b32 s0, -1
	s_cbranch_vccnz .LBB248_86
; %bb.81:
	v_cmp_lt_i16_e32 vcc_lo, 27, v6
	s_cbranch_vccz .LBB248_83
; %bb.82:
	v_cvt_u32_f64_e32 v2, v[0:1]
	s_mov_b32 s0, 0
	global_store_b32 v[4:5], v2, off
.LBB248_83:
	s_and_not1_b32 vcc_lo, exec_lo, s0
	s_cbranch_vccnz .LBB248_85
; %bb.84:
	v_cvt_u32_f64_e32 v2, v[0:1]
	global_store_b16 v[4:5], v2, off
.LBB248_85:
	s_mov_b32 s0, 0
.LBB248_86:
	s_delay_alu instid0(SALU_CYCLE_1)
	s_and_not1_b32 vcc_lo, exec_lo, s0
	s_cbranch_vccnz .LBB248_94
; %bb.87:
	v_cvt_f32_f64_e32 v2, v[0:1]
	v_mov_b32_e32 v7, 0x80
	s_mov_b32 s0, exec_lo
	s_delay_alu instid0(VALU_DEP_2) | instskip(NEXT) | instid1(VALU_DEP_1)
	v_and_b32_e32 v3, 0x7fffffff, v2
	v_cmpx_gt_u32_e32 0x43800000, v3
	s_cbranch_execz .LBB248_93
; %bb.88:
	v_cmp_lt_u32_e32 vcc_lo, 0x3bffffff, v3
	s_mov_b32 s1, 0
                                        ; implicit-def: $vgpr3
	s_and_saveexec_b32 s15, vcc_lo
	s_delay_alu instid0(SALU_CYCLE_1)
	s_xor_b32 s15, exec_lo, s15
	s_cbranch_execz .LBB248_314
; %bb.89:
	v_bfe_u32 v3, v2, 20, 1
	s_mov_b32 s1, exec_lo
	s_delay_alu instid0(VALU_DEP_1) | instskip(NEXT) | instid1(VALU_DEP_1)
	v_add3_u32 v3, v2, v3, 0x487ffff
	v_lshrrev_b32_e32 v3, 20, v3
	s_or_saveexec_b32 s15, s15
                                        ; implicit-def: $sgpr16
	s_delay_alu instid0(SALU_CYCLE_1)
	s_xor_b32 exec_lo, exec_lo, s15
	s_cbranch_execnz .LBB248_315
.LBB248_90:
	s_or_b32 exec_lo, exec_lo, s15
	v_mov_b32_e32 v7, s16
	s_and_saveexec_b32 s15, s1
.LBB248_91:
	v_lshrrev_b32_e32 v2, 24, v2
	s_delay_alu instid0(VALU_DEP_1)
	v_and_or_b32 v7, 0x80, v2, v3
.LBB248_92:
	s_or_b32 exec_lo, exec_lo, s15
.LBB248_93:
	s_delay_alu instid0(SALU_CYCLE_1)
	s_or_b32 exec_lo, exec_lo, s0
	global_store_b8 v[4:5], v7, off
.LBB248_94:
	s_mov_b32 s0, -1
.LBB248_95:
	s_mov_b32 s1, 0
.LBB248_96:
	s_delay_alu instid0(SALU_CYCLE_1)
	s_and_b32 vcc_lo, exec_lo, s1
	s_cbranch_vccz .LBB248_137
; %bb.97:
	v_cmp_lt_i16_e32 vcc_lo, 22, v6
	s_mov_b32 s1, -1
	s_cbranch_vccz .LBB248_129
; %bb.98:
	v_cmp_gt_i16_e32 vcc_lo, 24, v6
	s_mov_b32 s0, -1
	s_cbranch_vccnz .LBB248_118
; %bb.99:
	v_cmp_lt_i16_e32 vcc_lo, 24, v6
	s_cbranch_vccz .LBB248_107
; %bb.100:
	v_cvt_f32_f64_e32 v2, v[0:1]
	v_mov_b32_e32 v7, 0x80
	s_mov_b32 s0, exec_lo
	s_delay_alu instid0(VALU_DEP_2) | instskip(NEXT) | instid1(VALU_DEP_1)
	v_and_b32_e32 v3, 0x7fffffff, v2
	v_cmpx_gt_u32_e32 0x47800000, v3
	s_cbranch_execz .LBB248_106
; %bb.101:
	v_cmp_lt_u32_e32 vcc_lo, 0x37ffffff, v3
	s_mov_b32 s1, 0
                                        ; implicit-def: $vgpr3
	s_and_saveexec_b32 s15, vcc_lo
	s_delay_alu instid0(SALU_CYCLE_1)
	s_xor_b32 s15, exec_lo, s15
	s_cbranch_execz .LBB248_318
; %bb.102:
	v_bfe_u32 v3, v2, 21, 1
	s_mov_b32 s1, exec_lo
	s_delay_alu instid0(VALU_DEP_1) | instskip(NEXT) | instid1(VALU_DEP_1)
	v_add3_u32 v3, v2, v3, 0x88fffff
	v_lshrrev_b32_e32 v3, 21, v3
	s_or_saveexec_b32 s15, s15
                                        ; implicit-def: $sgpr16
	s_delay_alu instid0(SALU_CYCLE_1)
	s_xor_b32 exec_lo, exec_lo, s15
	s_cbranch_execnz .LBB248_319
.LBB248_103:
	s_or_b32 exec_lo, exec_lo, s15
	v_mov_b32_e32 v7, s16
	s_and_saveexec_b32 s15, s1
.LBB248_104:
	v_lshrrev_b32_e32 v2, 24, v2
	s_delay_alu instid0(VALU_DEP_1)
	v_and_or_b32 v7, 0x80, v2, v3
.LBB248_105:
	s_or_b32 exec_lo, exec_lo, s15
.LBB248_106:
	s_delay_alu instid0(SALU_CYCLE_1)
	s_or_b32 exec_lo, exec_lo, s0
	s_mov_b32 s0, 0
	global_store_b8 v[4:5], v7, off
.LBB248_107:
	s_and_b32 vcc_lo, exec_lo, s0
	s_cbranch_vccz .LBB248_117
; %bb.108:
	v_cvt_f32_f64_e32 v2, v[0:1]
	s_mov_b32 s0, exec_lo
                                        ; implicit-def: $vgpr3
	s_delay_alu instid0(VALU_DEP_1) | instskip(NEXT) | instid1(VALU_DEP_1)
	v_and_b32_e32 v7, 0x7fffffff, v2
	v_cmpx_gt_u32_e32 0x43f00000, v7
	s_xor_b32 s0, exec_lo, s0
	s_cbranch_execz .LBB248_114
; %bb.109:
	s_mov_b32 s1, exec_lo
                                        ; implicit-def: $vgpr3
	v_cmpx_lt_u32_e32 0x3c7fffff, v7
	s_xor_b32 s1, exec_lo, s1
; %bb.110:
	v_bfe_u32 v3, v2, 20, 1
	s_delay_alu instid0(VALU_DEP_1) | instskip(NEXT) | instid1(VALU_DEP_1)
	v_add3_u32 v3, v2, v3, 0x407ffff
	v_and_b32_e32 v7, 0xff00000, v3
	v_lshrrev_b32_e32 v3, 20, v3
	s_delay_alu instid0(VALU_DEP_2) | instskip(NEXT) | instid1(VALU_DEP_2)
	v_cmp_ne_u32_e32 vcc_lo, 0x7f00000, v7
	v_cndmask_b32_e32 v3, 0x7e, v3, vcc_lo
; %bb.111:
	s_and_not1_saveexec_b32 s1, s1
; %bb.112:
	v_add_f32_e64 v3, 0x46800000, |v2|
; %bb.113:
	s_or_b32 exec_lo, exec_lo, s1
                                        ; implicit-def: $vgpr7
.LBB248_114:
	s_and_not1_saveexec_b32 s0, s0
; %bb.115:
	v_mov_b32_e32 v3, 0x7f
	v_cmp_lt_u32_e32 vcc_lo, 0x7f800000, v7
	s_delay_alu instid0(VALU_DEP_2)
	v_cndmask_b32_e32 v3, 0x7e, v3, vcc_lo
; %bb.116:
	s_or_b32 exec_lo, exec_lo, s0
	v_lshrrev_b32_e32 v2, 24, v2
	s_delay_alu instid0(VALU_DEP_1)
	v_and_or_b32 v2, 0x80, v2, v3
	global_store_b8 v[4:5], v2, off
.LBB248_117:
	s_mov_b32 s0, 0
.LBB248_118:
	s_delay_alu instid0(SALU_CYCLE_1)
	s_and_not1_b32 vcc_lo, exec_lo, s0
	s_cbranch_vccnz .LBB248_128
; %bb.119:
	v_cvt_f32_f64_e32 v2, v[0:1]
	s_mov_b32 s0, exec_lo
                                        ; implicit-def: $vgpr3
	s_delay_alu instid0(VALU_DEP_1) | instskip(NEXT) | instid1(VALU_DEP_1)
	v_and_b32_e32 v7, 0x7fffffff, v2
	v_cmpx_gt_u32_e32 0x47800000, v7
	s_xor_b32 s0, exec_lo, s0
	s_cbranch_execz .LBB248_125
; %bb.120:
	s_mov_b32 s1, exec_lo
                                        ; implicit-def: $vgpr3
	v_cmpx_lt_u32_e32 0x387fffff, v7
	s_xor_b32 s1, exec_lo, s1
; %bb.121:
	v_bfe_u32 v3, v2, 21, 1
	s_delay_alu instid0(VALU_DEP_1) | instskip(NEXT) | instid1(VALU_DEP_1)
	v_add3_u32 v3, v2, v3, 0x80fffff
	v_lshrrev_b32_e32 v3, 21, v3
; %bb.122:
	s_and_not1_saveexec_b32 s1, s1
; %bb.123:
	v_add_f32_e64 v3, 0x43000000, |v2|
; %bb.124:
	s_or_b32 exec_lo, exec_lo, s1
                                        ; implicit-def: $vgpr7
.LBB248_125:
	s_and_not1_saveexec_b32 s0, s0
; %bb.126:
	v_mov_b32_e32 v3, 0x7f
	v_cmp_lt_u32_e32 vcc_lo, 0x7f800000, v7
	s_delay_alu instid0(VALU_DEP_2)
	v_cndmask_b32_e32 v3, 0x7c, v3, vcc_lo
; %bb.127:
	s_or_b32 exec_lo, exec_lo, s0
	v_lshrrev_b32_e32 v2, 24, v2
	s_delay_alu instid0(VALU_DEP_1)
	v_and_or_b32 v2, 0x80, v2, v3
	global_store_b8 v[4:5], v2, off
.LBB248_128:
	s_mov_b32 s1, 0
	s_mov_b32 s0, -1
.LBB248_129:
	s_and_not1_b32 vcc_lo, exec_lo, s1
	s_cbranch_vccnz .LBB248_137
; %bb.130:
	v_cmp_lt_i16_e32 vcc_lo, 14, v6
	s_mov_b32 s1, -1
	s_cbranch_vccz .LBB248_134
; %bb.131:
	v_cmp_eq_u16_e32 vcc_lo, 15, v6
	s_mov_b32 s10, -1
	s_cbranch_vccz .LBB248_133
; %bb.132:
	v_cvt_f32_f64_e32 v2, v[0:1]
	s_mov_b32 s0, -1
	s_mov_b32 s10, 0
	s_delay_alu instid0(VALU_DEP_1) | instskip(SKIP_1) | instid1(VALU_DEP_2)
	v_bfe_u32 v3, v2, 16, 1
	v_cmp_o_f32_e32 vcc_lo, v2, v2
	v_add3_u32 v3, v2, v3, 0x7fff
	s_delay_alu instid0(VALU_DEP_1) | instskip(NEXT) | instid1(VALU_DEP_1)
	v_lshrrev_b32_e32 v3, 16, v3
	v_cndmask_b32_e32 v2, 0x7fc0, v3, vcc_lo
	global_store_b16 v[4:5], v2, off
.LBB248_133:
	s_mov_b32 s1, 0
.LBB248_134:
	s_delay_alu instid0(SALU_CYCLE_1)
	s_and_b32 vcc_lo, exec_lo, s1
	s_cbranch_vccz .LBB248_137
; %bb.135:
	v_cmp_eq_u16_e32 vcc_lo, 11, v6
	s_mov_b32 s10, -1
	s_cbranch_vccz .LBB248_137
; %bb.136:
	v_cmp_neq_f64_e32 vcc_lo, 0, v[0:1]
	s_mov_b32 s0, -1
	s_mov_b32 s10, 0
	v_cndmask_b32_e64 v2, 0, 1, vcc_lo
	global_store_b8 v[4:5], v2, off
.LBB248_137:
.LBB248_138:
	s_and_not1_b32 vcc_lo, exec_lo, s0
	s_cbranch_vccnz .LBB248_249
.LBB248_139:
	v_add_nc_u32_e32 v11, 0x80, v11
	s_mov_b32 s0, -1
	s_branch .LBB248_250
.LBB248_140:
	s_mov_b32 s12, -1
                                        ; implicit-def: $vgpr2_vgpr3
.LBB248_141:
	s_mov_b32 s1, 0
.LBB248_142:
	s_delay_alu instid0(SALU_CYCLE_1)
	s_and_b32 vcc_lo, exec_lo, s1
	s_cbranch_vccz .LBB248_146
; %bb.143:
	v_cmp_eq_u16_e32 vcc_lo, 29, v12
	s_cbranch_vccz .LBB248_145
; %bb.144:
	global_load_b64 v[2:3], v[0:1], off
	s_mov_b32 s0, -1
	s_mov_b32 s12, 0
	s_mov_b32 s1, 0
	s_waitcnt vmcnt(0)
	v_cvt_f64_u32_e32 v[3:4], v3
	v_cvt_f64_u32_e32 v[5:6], v2
	s_delay_alu instid0(VALU_DEP_2) | instskip(NEXT) | instid1(VALU_DEP_1)
	v_ldexp_f64 v[3:4], v[3:4], 32
	v_add_f64 v[2:3], v[3:4], v[5:6]
	s_branch .LBB248_147
.LBB248_145:
	s_mov_b32 s12, -1
                                        ; implicit-def: $vgpr2_vgpr3
.LBB248_146:
	s_mov_b32 s1, 0
.LBB248_147:
	s_delay_alu instid0(SALU_CYCLE_1)
	s_and_b32 vcc_lo, exec_lo, s1
	s_cbranch_vccz .LBB248_167
; %bb.148:
	v_cmp_gt_i16_e32 vcc_lo, 27, v12
	s_cbranch_vccnz .LBB248_151
; %bb.149:
	v_cmp_lt_i16_e32 vcc_lo, 27, v12
	s_cbranch_vccz .LBB248_152
; %bb.150:
	global_load_b32 v2, v[0:1], off
	s_mov_b32 s0, 0
	s_waitcnt vmcnt(0)
	v_cvt_f64_u32_e32 v[2:3], v2
	s_branch .LBB248_153
.LBB248_151:
	s_mov_b32 s0, -1
                                        ; implicit-def: $vgpr2_vgpr3
	s_branch .LBB248_156
.LBB248_152:
	s_mov_b32 s0, -1
                                        ; implicit-def: $vgpr2_vgpr3
.LBB248_153:
	s_delay_alu instid0(SALU_CYCLE_1)
	s_and_not1_b32 vcc_lo, exec_lo, s0
	s_cbranch_vccnz .LBB248_155
; %bb.154:
	global_load_u16 v2, v[0:1], off
	s_waitcnt vmcnt(0)
	v_cvt_f64_u32_e32 v[2:3], v2
.LBB248_155:
	s_mov_b32 s0, 0
.LBB248_156:
	s_delay_alu instid0(SALU_CYCLE_1)
	s_and_not1_b32 vcc_lo, exec_lo, s0
	s_cbranch_vccnz .LBB248_166
; %bb.157:
	global_load_u8 v4, v[0:1], off
	s_mov_b32 s15, exec_lo
                                        ; implicit-def: $sgpr0_sgpr1
	s_waitcnt vmcnt(0)
	v_cmpx_lt_i16_e32 0x7f, v4
	s_xor_b32 s15, exec_lo, s15
	s_cbranch_execz .LBB248_161
; %bb.158:
	s_mov_b32 s16, -1
	s_mov_b32 s10, exec_lo
                                        ; implicit-def: $sgpr0_sgpr1
	v_cmpx_eq_u16_e32 0x80, v4
; %bb.159:
	s_mov_b32 s1, 0x7ff80000
	s_brev_b32 s0, 4
	s_xor_b32 s16, exec_lo, -1
; %bb.160:
	s_or_b32 exec_lo, exec_lo, s10
	s_delay_alu instid0(SALU_CYCLE_1)
	s_and_b32 s10, s16, exec_lo
.LBB248_161:
	s_or_saveexec_b32 s15, s15
	v_dual_mov_b32 v3, s1 :: v_dual_mov_b32 v2, s0
	s_xor_b32 exec_lo, exec_lo, s15
; %bb.162:
	v_cmp_ne_u16_e32 vcc_lo, 0, v4
	v_mov_b32_e32 v2, 0
	v_mov_b32_e32 v3, 0
	s_and_not1_b32 s0, s10, exec_lo
	s_and_b32 s1, vcc_lo, exec_lo
	s_delay_alu instid0(SALU_CYCLE_1)
	s_or_b32 s10, s0, s1
; %bb.163:
	s_or_b32 exec_lo, exec_lo, s15
	s_and_saveexec_b32 s0, s10
	s_cbranch_execz .LBB248_165
; %bb.164:
	v_and_b32_e32 v2, 0xffff, v4
	v_lshlrev_b32_e32 v4, 24, v4
	s_delay_alu instid0(VALU_DEP_2) | instskip(NEXT) | instid1(VALU_DEP_2)
	v_and_b32_e32 v3, 7, v2
	v_and_b32_e32 v4, 0x80000000, v4
	s_delay_alu instid0(VALU_DEP_2) | instskip(NEXT) | instid1(VALU_DEP_1)
	v_clz_i32_u32_e32 v5, v3
	v_min_u32_e32 v5, 32, v5
	s_delay_alu instid0(VALU_DEP_1) | instskip(SKIP_1) | instid1(VALU_DEP_2)
	v_subrev_nc_u32_e32 v6, 28, v5
	v_sub_nc_u32_e32 v5, 29, v5
	v_lshlrev_b32_e32 v6, v6, v2
	v_bfe_u32 v2, v2, 3, 4
	s_delay_alu instid0(VALU_DEP_2) | instskip(NEXT) | instid1(VALU_DEP_2)
	v_and_b32_e32 v6, 7, v6
	v_cmp_eq_u32_e32 vcc_lo, 0, v2
	s_delay_alu instid0(VALU_DEP_2) | instskip(NEXT) | instid1(VALU_DEP_1)
	v_dual_cndmask_b32 v2, v2, v5 :: v_dual_cndmask_b32 v3, v3, v6
	v_lshl_add_u32 v2, v2, 23, 0x3b800000
	s_delay_alu instid0(VALU_DEP_2) | instskip(NEXT) | instid1(VALU_DEP_1)
	v_lshlrev_b32_e32 v3, 20, v3
	v_or3_b32 v2, v4, v2, v3
	s_delay_alu instid0(VALU_DEP_1)
	v_cvt_f64_f32_e32 v[2:3], v2
.LBB248_165:
	s_or_b32 exec_lo, exec_lo, s0
.LBB248_166:
	s_mov_b32 s0, -1
.LBB248_167:
	s_branch .LBB248_200
.LBB248_168:
	v_cmp_lt_i16_e32 vcc_lo, 22, v12
	s_cbranch_vccz .LBB248_180
; %bb.169:
	v_cmp_gt_i16_e32 vcc_lo, 24, v12
	s_cbranch_vccnz .LBB248_181
; %bb.170:
	v_cmp_lt_i16_e32 vcc_lo, 24, v12
	s_cbranch_vccz .LBB248_182
; %bb.171:
	global_load_u8 v4, v[0:1], off
	s_mov_b32 s10, 0
	s_mov_b32 s15, exec_lo
                                        ; implicit-def: $sgpr0_sgpr1
	s_waitcnt vmcnt(0)
	v_cmpx_lt_i16_e32 0x7f, v4
	s_xor_b32 s15, exec_lo, s15
	s_cbranch_execz .LBB248_175
; %bb.172:
	s_mov_b32 s16, -1
	s_mov_b32 s10, exec_lo
                                        ; implicit-def: $sgpr0_sgpr1
	v_cmpx_eq_u16_e32 0x80, v4
; %bb.173:
	s_mov_b32 s1, 0x7ff80000
	s_brev_b32 s0, 4
	s_xor_b32 s16, exec_lo, -1
; %bb.174:
	s_or_b32 exec_lo, exec_lo, s10
	s_delay_alu instid0(SALU_CYCLE_1)
	s_and_b32 s10, s16, exec_lo
.LBB248_175:
	s_or_saveexec_b32 s15, s15
	v_dual_mov_b32 v3, s1 :: v_dual_mov_b32 v2, s0
	s_xor_b32 exec_lo, exec_lo, s15
; %bb.176:
	v_cmp_ne_u16_e32 vcc_lo, 0, v4
	v_mov_b32_e32 v2, 0
	v_mov_b32_e32 v3, 0
	s_and_not1_b32 s0, s10, exec_lo
	s_and_b32 s1, vcc_lo, exec_lo
	s_delay_alu instid0(SALU_CYCLE_1)
	s_or_b32 s10, s0, s1
; %bb.177:
	s_or_b32 exec_lo, exec_lo, s15
	s_and_saveexec_b32 s0, s10
	s_cbranch_execz .LBB248_179
; %bb.178:
	v_and_b32_e32 v2, 0xffff, v4
	v_lshlrev_b32_e32 v4, 24, v4
	s_delay_alu instid0(VALU_DEP_2) | instskip(NEXT) | instid1(VALU_DEP_2)
	v_and_b32_e32 v3, 3, v2
	v_and_b32_e32 v4, 0x80000000, v4
	s_delay_alu instid0(VALU_DEP_2) | instskip(NEXT) | instid1(VALU_DEP_1)
	v_clz_i32_u32_e32 v5, v3
	v_min_u32_e32 v5, 32, v5
	s_delay_alu instid0(VALU_DEP_1) | instskip(SKIP_1) | instid1(VALU_DEP_2)
	v_subrev_nc_u32_e32 v6, 29, v5
	v_sub_nc_u32_e32 v5, 30, v5
	v_lshlrev_b32_e32 v6, v6, v2
	v_bfe_u32 v2, v2, 2, 5
	s_delay_alu instid0(VALU_DEP_2) | instskip(NEXT) | instid1(VALU_DEP_2)
	v_and_b32_e32 v6, 3, v6
	v_cmp_eq_u32_e32 vcc_lo, 0, v2
	s_delay_alu instid0(VALU_DEP_2) | instskip(NEXT) | instid1(VALU_DEP_1)
	v_dual_cndmask_b32 v2, v2, v5 :: v_dual_cndmask_b32 v3, v3, v6
	v_lshl_add_u32 v2, v2, 23, 0x37800000
	s_delay_alu instid0(VALU_DEP_2) | instskip(NEXT) | instid1(VALU_DEP_1)
	v_lshlrev_b32_e32 v3, 21, v3
	v_or3_b32 v2, v4, v2, v3
	s_delay_alu instid0(VALU_DEP_1)
	v_cvt_f64_f32_e32 v[2:3], v2
.LBB248_179:
	s_or_b32 exec_lo, exec_lo, s0
	s_mov_b32 s0, 0
	s_branch .LBB248_183
.LBB248_180:
	s_mov_b32 s1, -1
                                        ; implicit-def: $vgpr2_vgpr3
	s_branch .LBB248_189
.LBB248_181:
	s_mov_b32 s0, -1
                                        ; implicit-def: $vgpr2_vgpr3
	s_branch .LBB248_186
.LBB248_182:
	s_mov_b32 s0, -1
                                        ; implicit-def: $vgpr2_vgpr3
.LBB248_183:
	s_delay_alu instid0(SALU_CYCLE_1)
	s_and_b32 vcc_lo, exec_lo, s0
	s_cbranch_vccz .LBB248_185
; %bb.184:
	global_load_u8 v2, v[0:1], off
	s_waitcnt vmcnt(0)
	v_lshlrev_b32_e32 v2, 24, v2
	s_delay_alu instid0(VALU_DEP_1) | instskip(NEXT) | instid1(VALU_DEP_1)
	v_and_b32_e32 v3, 0x7f000000, v2
	v_clz_i32_u32_e32 v4, v3
	v_add_nc_u32_e32 v6, 0x1000000, v3
	v_cmp_ne_u32_e32 vcc_lo, 0, v3
	s_delay_alu instid0(VALU_DEP_3) | instskip(NEXT) | instid1(VALU_DEP_1)
	v_min_u32_e32 v4, 32, v4
	v_sub_nc_u32_e64 v4, v4, 4 clamp
	s_delay_alu instid0(VALU_DEP_1) | instskip(SKIP_1) | instid1(VALU_DEP_2)
	v_lshlrev_b32_e32 v5, v4, v3
	v_lshlrev_b32_e32 v4, 23, v4
	v_lshrrev_b32_e32 v5, 4, v5
	s_delay_alu instid0(VALU_DEP_1) | instskip(SKIP_1) | instid1(VALU_DEP_2)
	v_sub_nc_u32_e32 v4, v5, v4
	v_ashrrev_i32_e32 v5, 8, v6
	v_add_nc_u32_e32 v4, 0x3c000000, v4
	s_delay_alu instid0(VALU_DEP_1) | instskip(NEXT) | instid1(VALU_DEP_1)
	v_and_or_b32 v4, 0x7f800000, v5, v4
	v_cndmask_b32_e32 v3, 0, v4, vcc_lo
	s_delay_alu instid0(VALU_DEP_1) | instskip(NEXT) | instid1(VALU_DEP_1)
	v_and_or_b32 v2, 0x80000000, v2, v3
	v_cvt_f64_f32_e32 v[2:3], v2
.LBB248_185:
	s_mov_b32 s0, 0
.LBB248_186:
	s_delay_alu instid0(SALU_CYCLE_1)
	s_and_not1_b32 vcc_lo, exec_lo, s0
	s_cbranch_vccnz .LBB248_188
; %bb.187:
	global_load_u8 v2, v[0:1], off
	s_waitcnt vmcnt(0)
	v_lshlrev_b32_e32 v3, 25, v2
	v_lshlrev_b16 v2, 8, v2
	s_delay_alu instid0(VALU_DEP_2) | instskip(NEXT) | instid1(VALU_DEP_2)
	v_lshrrev_b32_e32 v4, 4, v3
	v_and_or_b32 v5, 0x7f00, v2, 0.5
	v_bfe_i32 v2, v2, 0, 16
	s_delay_alu instid0(VALU_DEP_3) | instskip(NEXT) | instid1(VALU_DEP_1)
	v_or_b32_e32 v4, 0x70000000, v4
	v_dual_add_f32 v5, -0.5, v5 :: v_dual_mul_f32 v4, 0x7800000, v4
	v_cmp_gt_u32_e32 vcc_lo, 0x8000000, v3
	s_delay_alu instid0(VALU_DEP_2) | instskip(NEXT) | instid1(VALU_DEP_1)
	v_cndmask_b32_e32 v3, v4, v5, vcc_lo
	v_and_or_b32 v2, 0x80000000, v2, v3
	s_delay_alu instid0(VALU_DEP_1)
	v_cvt_f64_f32_e32 v[2:3], v2
.LBB248_188:
	s_mov_b32 s1, 0
	s_mov_b32 s0, -1
.LBB248_189:
	s_and_not1_b32 vcc_lo, exec_lo, s1
	s_cbranch_vccnz .LBB248_200
; %bb.190:
	v_cmp_lt_i16_e32 vcc_lo, 14, v12
	s_cbranch_vccz .LBB248_193
; %bb.191:
	v_cmp_eq_u16_e32 vcc_lo, 15, v12
	s_cbranch_vccz .LBB248_194
; %bb.192:
	global_load_u16 v2, v[0:1], off
	s_mov_b32 s0, -1
	s_mov_b32 s12, 0
	s_waitcnt vmcnt(0)
	v_lshlrev_b32_e32 v2, 16, v2
	s_delay_alu instid0(VALU_DEP_1)
	v_cvt_f64_f32_e32 v[2:3], v2
	s_branch .LBB248_195
.LBB248_193:
	s_mov_b32 s1, -1
                                        ; implicit-def: $vgpr2_vgpr3
	s_branch .LBB248_196
.LBB248_194:
	s_mov_b32 s12, -1
                                        ; implicit-def: $vgpr2_vgpr3
.LBB248_195:
	s_mov_b32 s1, 0
.LBB248_196:
	s_delay_alu instid0(SALU_CYCLE_1)
	s_and_b32 vcc_lo, exec_lo, s1
	s_cbranch_vccz .LBB248_200
; %bb.197:
	v_cmp_eq_u16_e32 vcc_lo, 11, v12
	s_cbranch_vccz .LBB248_199
; %bb.198:
	global_load_u8 v2, v[0:1], off
	s_mov_b32 s12, 0
	s_mov_b32 s0, -1
	s_waitcnt vmcnt(0)
	v_cmp_ne_u16_e32 vcc_lo, 0, v2
	v_mov_b32_e32 v2, 0
	v_cndmask_b32_e64 v3, 0, 0x3ff00000, vcc_lo
	s_branch .LBB248_200
.LBB248_199:
	s_mov_b32 s12, -1
                                        ; implicit-def: $vgpr2_vgpr3
.LBB248_200:
	s_branch .LBB248_10
.LBB248_201:
	v_cmp_gt_i16_e32 vcc_lo, 5, v12
	s_cbranch_vccnz .LBB248_206
; %bb.202:
	v_cmp_gt_i16_e32 vcc_lo, 8, v12
	s_cbranch_vccnz .LBB248_207
; %bb.203:
	v_cmp_gt_i16_e32 vcc_lo, 9, v12
	s_cbranch_vccnz .LBB248_208
; %bb.204:
	v_cmp_lt_i16_e32 vcc_lo, 9, v12
	s_cbranch_vccz .LBB248_209
; %bb.205:
	global_load_b64 v[2:3], v[0:1], off
	s_mov_b32 s0, 0
	s_branch .LBB248_210
.LBB248_206:
                                        ; implicit-def: $vgpr2_vgpr3
	s_branch .LBB248_228
.LBB248_207:
	s_mov_b32 s0, -1
                                        ; implicit-def: $vgpr2_vgpr3
	s_branch .LBB248_216
.LBB248_208:
	s_mov_b32 s0, -1
                                        ; implicit-def: $vgpr2_vgpr3
	s_branch .LBB248_213
.LBB248_209:
	s_mov_b32 s0, -1
                                        ; implicit-def: $vgpr2_vgpr3
.LBB248_210:
	s_delay_alu instid0(SALU_CYCLE_1)
	s_and_not1_b32 vcc_lo, exec_lo, s0
	s_cbranch_vccnz .LBB248_212
; %bb.211:
	global_load_b32 v2, v[0:1], off
	s_waitcnt vmcnt(0)
	v_cvt_f64_f32_e32 v[2:3], v2
.LBB248_212:
	s_mov_b32 s0, 0
.LBB248_213:
	s_delay_alu instid0(SALU_CYCLE_1)
	s_and_not1_b32 vcc_lo, exec_lo, s0
	s_cbranch_vccnz .LBB248_215
; %bb.214:
	global_load_b32 v2, v[0:1], off
	s_waitcnt vmcnt(0)
	v_cvt_f32_f16_e32 v2, v2
	s_delay_alu instid0(VALU_DEP_1)
	v_cvt_f64_f32_e32 v[2:3], v2
.LBB248_215:
	s_mov_b32 s0, 0
.LBB248_216:
	s_delay_alu instid0(SALU_CYCLE_1)
	s_and_not1_b32 vcc_lo, exec_lo, s0
	s_cbranch_vccnz .LBB248_227
; %bb.217:
	v_cmp_gt_i16_e32 vcc_lo, 6, v12
	s_cbranch_vccnz .LBB248_220
; %bb.218:
	v_cmp_lt_i16_e32 vcc_lo, 6, v12
	s_cbranch_vccz .LBB248_221
; %bb.219:
	global_load_b64 v[2:3], v[0:1], off
	s_mov_b32 s0, 0
	s_branch .LBB248_222
.LBB248_220:
	s_mov_b32 s0, -1
                                        ; implicit-def: $vgpr2_vgpr3
	s_branch .LBB248_225
.LBB248_221:
	s_mov_b32 s0, -1
                                        ; implicit-def: $vgpr2_vgpr3
.LBB248_222:
	s_delay_alu instid0(SALU_CYCLE_1)
	s_and_not1_b32 vcc_lo, exec_lo, s0
	s_cbranch_vccnz .LBB248_224
; %bb.223:
	global_load_b32 v2, v[0:1], off
	s_waitcnt vmcnt(0)
	v_cvt_f64_f32_e32 v[2:3], v2
.LBB248_224:
	s_mov_b32 s0, 0
.LBB248_225:
	s_delay_alu instid0(SALU_CYCLE_1)
	s_and_not1_b32 vcc_lo, exec_lo, s0
	s_cbranch_vccnz .LBB248_227
; %bb.226:
	global_load_u16 v2, v[0:1], off
	s_waitcnt vmcnt(0)
	v_cvt_f32_f16_e32 v2, v2
	s_delay_alu instid0(VALU_DEP_1)
	v_cvt_f64_f32_e32 v[2:3], v2
.LBB248_227:
	s_cbranch_execnz .LBB248_247
.LBB248_228:
	v_cmp_gt_i16_e32 vcc_lo, 2, v12
	s_cbranch_vccnz .LBB248_232
; %bb.229:
	v_cmp_gt_i16_e32 vcc_lo, 3, v12
	s_cbranch_vccnz .LBB248_233
; %bb.230:
	v_cmp_lt_i16_e32 vcc_lo, 3, v12
	s_cbranch_vccz .LBB248_234
; %bb.231:
	global_load_b64 v[2:3], v[0:1], off
	s_mov_b32 s0, 0
	s_waitcnt vmcnt(0)
	v_cvt_f64_i32_e32 v[3:4], v3
	v_cvt_f64_u32_e32 v[5:6], v2
	s_delay_alu instid0(VALU_DEP_2) | instskip(NEXT) | instid1(VALU_DEP_1)
	v_ldexp_f64 v[3:4], v[3:4], 32
	v_add_f64 v[2:3], v[3:4], v[5:6]
	s_branch .LBB248_235
.LBB248_232:
	s_mov_b32 s0, -1
                                        ; implicit-def: $vgpr2_vgpr3
	s_branch .LBB248_241
.LBB248_233:
	s_mov_b32 s0, -1
                                        ; implicit-def: $vgpr2_vgpr3
	s_branch .LBB248_238
.LBB248_234:
	s_mov_b32 s0, -1
                                        ; implicit-def: $vgpr2_vgpr3
.LBB248_235:
	s_delay_alu instid0(SALU_CYCLE_1)
	s_and_not1_b32 vcc_lo, exec_lo, s0
	s_cbranch_vccnz .LBB248_237
; %bb.236:
	global_load_b32 v2, v[0:1], off
	s_waitcnt vmcnt(0)
	v_cvt_f64_i32_e32 v[2:3], v2
.LBB248_237:
	s_mov_b32 s0, 0
.LBB248_238:
	s_delay_alu instid0(SALU_CYCLE_1)
	s_and_not1_b32 vcc_lo, exec_lo, s0
	s_cbranch_vccnz .LBB248_240
; %bb.239:
	global_load_i16 v2, v[0:1], off
	s_waitcnt vmcnt(0)
	v_cvt_f64_i32_e32 v[2:3], v2
.LBB248_240:
	s_mov_b32 s0, 0
.LBB248_241:
	s_delay_alu instid0(SALU_CYCLE_1)
	s_and_not1_b32 vcc_lo, exec_lo, s0
	s_cbranch_vccnz .LBB248_247
; %bb.242:
	v_cmp_lt_i16_e32 vcc_lo, 0, v12
	s_mov_b32 s0, 0
	s_cbranch_vccz .LBB248_244
; %bb.243:
	global_load_i8 v2, v[0:1], off
	s_waitcnt vmcnt(0)
	v_cvt_f64_i32_e32 v[2:3], v2
	s_branch .LBB248_245
.LBB248_244:
	s_mov_b32 s0, -1
                                        ; implicit-def: $vgpr2_vgpr3
.LBB248_245:
	s_delay_alu instid0(SALU_CYCLE_1)
	s_and_not1_b32 vcc_lo, exec_lo, s0
	s_cbranch_vccnz .LBB248_247
; %bb.246:
	global_load_u8 v0, v[0:1], off
	s_waitcnt vmcnt(0)
	v_cvt_f64_u32_e32 v[2:3], v0
.LBB248_247:
	s_branch .LBB248_11
.LBB248_248:
	s_mov_b32 s10, 0
.LBB248_249:
	s_mov_b32 s0, 0
                                        ; implicit-def: $vgpr11
.LBB248_250:
	s_and_b32 s10, s10, exec_lo
	s_and_b32 s12, s12, exec_lo
	s_or_not1_b32 s1, s0, exec_lo
.LBB248_251:
	s_or_b32 exec_lo, exec_lo, s13
	s_mov_b32 s15, 0
	s_mov_b32 s0, 0
                                        ; implicit-def: $vgpr0_vgpr1
                                        ; implicit-def: $vgpr2_vgpr3
	s_and_saveexec_b32 s13, s1
	s_cbranch_execz .LBB248_857
; %bb.252:
	s_mov_b32 s18, -1
	s_mov_b32 s14, s12
	s_mov_b32 s15, s10
	s_mov_b32 s16, exec_lo
	v_cmpx_gt_i32_e64 s11, v11
	s_cbranch_execz .LBB248_510
; %bb.253:
	v_mul_lo_u32 v0, v11, s3
	v_cmp_gt_i16_e32 vcc_lo, 11, v12
	s_delay_alu instid0(VALU_DEP_2) | instskip(SKIP_1) | instid1(VALU_DEP_1)
	v_ashrrev_i32_e32 v1, 31, v0
	v_add_co_u32 v0, s0, s6, v0
	v_add_co_ci_u32_e64 v1, s0, s7, v1, s0
	s_cbranch_vccnz .LBB248_260
; %bb.254:
	v_cmp_lt_i16_e32 vcc_lo, 25, v12
	s_cbranch_vccz .LBB248_309
; %bb.255:
	v_cmp_lt_i16_e32 vcc_lo, 28, v12
	s_cbranch_vccz .LBB248_310
	;; [unrolled: 3-line block ×4, first 2 shown]
; %bb.258:
	v_cmp_eq_u16_e32 vcc_lo, 46, v12
	s_mov_b32 s1, 0
	s_cbranch_vccz .LBB248_320
; %bb.259:
	global_load_b32 v2, v[0:1], off
	s_mov_b32 s0, -1
	s_mov_b32 s14, 0
	s_waitcnt vmcnt(0)
	v_lshlrev_b32_e32 v2, 16, v2
	s_delay_alu instid0(VALU_DEP_1)
	v_cvt_f64_f32_e32 v[2:3], v2
	s_branch .LBB248_322
.LBB248_260:
	s_mov_b32 s0, 0
	s_mov_b32 s14, s12
                                        ; implicit-def: $vgpr2_vgpr3
	s_cbranch_execnz .LBB248_459
.LBB248_261:
	s_and_not1_b32 vcc_lo, exec_lo, s0
	s_cbranch_vccnz .LBB248_507
.LBB248_262:
	s_waitcnt vmcnt(0)
	s_delay_alu instid0(VALU_DEP_1) | instskip(SKIP_3) | instid1(VALU_DEP_1)
	v_cmp_gt_f64_e32 vcc_lo, 0x10000000, v[2:3]
	s_mov_b32 s15, 0
	s_mov_b32 s17, -1
	v_cndmask_b32_e64 v0, 0, 1, vcc_lo
	v_lshlrev_b32_e32 v0, 8, v0
	s_delay_alu instid0(VALU_DEP_1) | instskip(NEXT) | instid1(VALU_DEP_1)
	v_ldexp_f64 v[0:1], v[2:3], v0
	v_rsq_f64_e32 v[2:3], v[0:1]
	s_waitcnt_depctr 0xfff
	v_mul_f64 v[4:5], v[0:1], v[2:3]
	v_mul_f64 v[2:3], v[2:3], 0.5
	s_delay_alu instid0(VALU_DEP_1) | instskip(NEXT) | instid1(VALU_DEP_1)
	v_fma_f64 v[6:7], -v[2:3], v[4:5], 0.5
	v_fma_f64 v[4:5], v[4:5], v[6:7], v[4:5]
	v_fma_f64 v[2:3], v[2:3], v[6:7], v[2:3]
	s_delay_alu instid0(VALU_DEP_2) | instskip(NEXT) | instid1(VALU_DEP_1)
	v_fma_f64 v[6:7], -v[4:5], v[4:5], v[0:1]
	v_fma_f64 v[4:5], v[6:7], v[2:3], v[4:5]
	s_delay_alu instid0(VALU_DEP_1) | instskip(NEXT) | instid1(VALU_DEP_1)
	v_fma_f64 v[6:7], -v[4:5], v[4:5], v[0:1]
	v_fma_f64 v[2:3], v[6:7], v[2:3], v[4:5]
	v_cndmask_b32_e64 v4, 0, 0xffffff80, vcc_lo
	v_cmp_class_f64_e64 vcc_lo, v[0:1], 0x260
	v_and_b32_e32 v6, 0xff, v10
	s_delay_alu instid0(VALU_DEP_1) | instskip(NEXT) | instid1(VALU_DEP_4)
	v_cmp_gt_i16_e64 s0, 11, v6
	v_ldexp_f64 v[2:3], v[2:3], v4
	v_mul_lo_u32 v4, v11, s2
	s_delay_alu instid0(VALU_DEP_1) | instskip(SKIP_1) | instid1(VALU_DEP_1)
	v_ashrrev_i32_e32 v5, 31, v4
	v_add_co_u32 v4, s1, s4, v4
	v_add_co_ci_u32_e64 v5, s1, s5, v5, s1
	v_dual_cndmask_b32 v1, v3, v1 :: v_dual_cndmask_b32 v0, v2, v0
	s_and_b32 vcc_lo, exec_lo, s0
	s_mov_b32 s0, s10
	s_cbranch_vccnz .LBB248_269
; %bb.263:
	v_cmp_lt_i16_e32 vcc_lo, 25, v6
	s_cbranch_vccz .LBB248_311
; %bb.264:
	v_cmp_lt_i16_e32 vcc_lo, 28, v6
	s_cbranch_vccz .LBB248_313
	;; [unrolled: 3-line block ×4, first 2 shown]
; %bb.267:
	v_cmp_eq_u16_e32 vcc_lo, 46, v6
	s_mov_b32 s1, 0
	s_mov_b32 s0, -1
	s_cbranch_vccz .LBB248_326
; %bb.268:
	v_cvt_f32_f64_e32 v2, v[0:1]
	s_mov_b32 s15, -1
	s_mov_b32 s0, 0
	s_delay_alu instid0(VALU_DEP_1) | instskip(SKIP_1) | instid1(VALU_DEP_2)
	v_bfe_u32 v3, v2, 16, 1
	v_cmp_o_f32_e32 vcc_lo, v2, v2
	v_add3_u32 v3, v2, v3, 0x7fff
	s_delay_alu instid0(VALU_DEP_1) | instskip(NEXT) | instid1(VALU_DEP_1)
	v_lshrrev_b32_e32 v3, 16, v3
	v_cndmask_b32_e32 v2, 0x7fc0, v3, vcc_lo
	global_store_b32 v[4:5], v2, off
	s_branch .LBB248_326
.LBB248_269:
	s_and_b32 vcc_lo, exec_lo, s17
	s_cbranch_vccz .LBB248_395
; %bb.270:
	v_cmp_gt_i16_e32 vcc_lo, 5, v6
	s_mov_b32 s1, -1
	s_cbranch_vccnz .LBB248_291
; %bb.271:
	v_cmp_gt_i16_e32 vcc_lo, 8, v6
	s_cbranch_vccnz .LBB248_281
; %bb.272:
	v_cmp_gt_i16_e32 vcc_lo, 9, v6
	s_cbranch_vccnz .LBB248_278
; %bb.273:
	v_cmp_lt_i16_e32 vcc_lo, 9, v6
	s_cbranch_vccz .LBB248_275
; %bb.274:
	v_mov_b32_e32 v2, 0
	s_mov_b32 s1, 0
	s_delay_alu instid0(VALU_DEP_1)
	v_mov_b32_e32 v3, v2
	global_store_b128 v[4:5], v[0:3], off
.LBB248_275:
	s_and_not1_b32 vcc_lo, exec_lo, s1
	s_cbranch_vccnz .LBB248_277
; %bb.276:
	v_cvt_f32_f64_e32 v2, v[0:1]
	v_mov_b32_e32 v3, 0
	global_store_b64 v[4:5], v[2:3], off
.LBB248_277:
	s_mov_b32 s1, 0
.LBB248_278:
	s_delay_alu instid0(SALU_CYCLE_1)
	s_and_not1_b32 vcc_lo, exec_lo, s1
	s_cbranch_vccnz .LBB248_280
; %bb.279:
	v_cvt_f32_f64_e32 v2, v[0:1]
	s_delay_alu instid0(VALU_DEP_1) | instskip(NEXT) | instid1(VALU_DEP_1)
	v_cvt_f16_f32_e32 v2, v2
	v_and_b32_e32 v2, 0xffff, v2
	global_store_b32 v[4:5], v2, off
.LBB248_280:
	s_mov_b32 s1, 0
.LBB248_281:
	s_delay_alu instid0(SALU_CYCLE_1)
	s_and_not1_b32 vcc_lo, exec_lo, s1
	s_cbranch_vccnz .LBB248_290
; %bb.282:
	v_cmp_gt_i16_e32 vcc_lo, 6, v6
	s_mov_b32 s1, -1
	s_cbranch_vccnz .LBB248_288
; %bb.283:
	v_cmp_lt_i16_e32 vcc_lo, 6, v6
	s_cbranch_vccz .LBB248_285
; %bb.284:
	s_mov_b32 s1, 0
	global_store_b64 v[4:5], v[0:1], off
.LBB248_285:
	s_and_not1_b32 vcc_lo, exec_lo, s1
	s_cbranch_vccnz .LBB248_287
; %bb.286:
	v_cvt_f32_f64_e32 v2, v[0:1]
	global_store_b32 v[4:5], v2, off
.LBB248_287:
	s_mov_b32 s1, 0
.LBB248_288:
	s_delay_alu instid0(SALU_CYCLE_1)
	s_and_not1_b32 vcc_lo, exec_lo, s1
	s_cbranch_vccnz .LBB248_290
; %bb.289:
	v_cvt_f32_f64_e32 v2, v[0:1]
	s_delay_alu instid0(VALU_DEP_1)
	v_cvt_f16_f32_e32 v2, v2
	global_store_b16 v[4:5], v2, off
.LBB248_290:
	s_mov_b32 s1, 0
.LBB248_291:
	s_delay_alu instid0(SALU_CYCLE_1)
	s_and_not1_b32 vcc_lo, exec_lo, s1
	s_cbranch_vccnz .LBB248_307
; %bb.292:
	v_cmp_gt_i16_e32 vcc_lo, 2, v6
	s_mov_b32 s1, -1
	s_cbranch_vccnz .LBB248_302
; %bb.293:
	v_cmp_gt_i16_e32 vcc_lo, 3, v6
	s_cbranch_vccnz .LBB248_299
; %bb.294:
	v_cmp_lt_i16_e32 vcc_lo, 3, v6
	s_cbranch_vccz .LBB248_296
; %bb.295:
	v_trunc_f64_e32 v[2:3], v[0:1]
	s_mov_b32 s1, 0
	s_delay_alu instid0(VALU_DEP_1) | instskip(NEXT) | instid1(VALU_DEP_1)
	v_ldexp_f64 v[7:8], v[2:3], 0xffffffe0
	v_floor_f64_e32 v[7:8], v[7:8]
	s_delay_alu instid0(VALU_DEP_1) | instskip(SKIP_1) | instid1(VALU_DEP_2)
	v_fma_f64 v[2:3], 0xc1f00000, v[7:8], v[2:3]
	v_cvt_i32_f64_e32 v8, v[7:8]
	v_cvt_u32_f64_e32 v7, v[2:3]
	global_store_b64 v[4:5], v[7:8], off
.LBB248_296:
	s_and_not1_b32 vcc_lo, exec_lo, s1
	s_cbranch_vccnz .LBB248_298
; %bb.297:
	v_cvt_i32_f64_e32 v2, v[0:1]
	global_store_b32 v[4:5], v2, off
.LBB248_298:
	s_mov_b32 s1, 0
.LBB248_299:
	s_delay_alu instid0(SALU_CYCLE_1)
	s_and_not1_b32 vcc_lo, exec_lo, s1
	s_cbranch_vccnz .LBB248_301
; %bb.300:
	v_cvt_i32_f64_e32 v2, v[0:1]
	global_store_b16 v[4:5], v2, off
.LBB248_301:
	s_mov_b32 s1, 0
.LBB248_302:
	s_delay_alu instid0(SALU_CYCLE_1)
	s_and_not1_b32 vcc_lo, exec_lo, s1
	s_cbranch_vccnz .LBB248_307
; %bb.303:
	v_cmp_lt_i16_e32 vcc_lo, 0, v6
	s_mov_b32 s1, -1
	s_cbranch_vccz .LBB248_305
; %bb.304:
	v_cvt_i32_f64_e32 v2, v[0:1]
	s_mov_b32 s1, 0
	global_store_b8 v[4:5], v2, off
.LBB248_305:
	s_and_not1_b32 vcc_lo, exec_lo, s1
	s_cbranch_vccnz .LBB248_307
; %bb.306:
	v_trunc_f64_e32 v[0:1], v[0:1]
	s_delay_alu instid0(VALU_DEP_1) | instskip(NEXT) | instid1(VALU_DEP_1)
	v_ldexp_f64 v[2:3], v[0:1], 0xffffffe0
	v_floor_f64_e32 v[2:3], v[2:3]
	s_delay_alu instid0(VALU_DEP_1) | instskip(NEXT) | instid1(VALU_DEP_1)
	v_fma_f64 v[0:1], 0xc1f00000, v[2:3], v[0:1]
	v_cvt_u32_f64_e32 v0, v[0:1]
	global_store_b8 v[4:5], v0, off
.LBB248_307:
	s_branch .LBB248_396
.LBB248_308:
	s_mov_b32 s1, 0
	s_branch .LBB248_508
.LBB248_309:
	s_mov_b32 s1, -1
	s_mov_b32 s0, 0
	s_mov_b32 s14, s12
                                        ; implicit-def: $vgpr2_vgpr3
	s_branch .LBB248_425
.LBB248_310:
	s_mov_b32 s1, -1
	s_mov_b32 s0, 0
	s_mov_b32 s14, s12
                                        ; implicit-def: $vgpr2_vgpr3
	s_branch .LBB248_404
.LBB248_311:
	s_mov_b32 s1, -1
	s_mov_b32 s0, s10
	s_branch .LBB248_353
.LBB248_312:
	s_mov_b32 s1, -1
	s_mov_b32 s0, 0
	s_mov_b32 s14, s12
                                        ; implicit-def: $vgpr2_vgpr3
	s_branch .LBB248_399
.LBB248_313:
	s_mov_b32 s1, -1
	s_mov_b32 s0, s10
	s_branch .LBB248_336
.LBB248_314:
	s_or_saveexec_b32 s15, s15
                                        ; implicit-def: $sgpr16
	s_delay_alu instid0(SALU_CYCLE_1)
	s_xor_b32 exec_lo, exec_lo, s15
	s_cbranch_execz .LBB248_90
.LBB248_315:
	v_add_f32_e64 v3, 0x46000000, |v2|
	s_and_not1_b32 s1, s1, exec_lo
	s_mov_b32 s16, 0
	s_delay_alu instid0(VALU_DEP_1) | instskip(NEXT) | instid1(VALU_DEP_1)
	v_and_b32_e32 v3, 0xff, v3
	v_cmp_ne_u32_e32 vcc_lo, 0, v3
	s_and_b32 s17, vcc_lo, exec_lo
	s_delay_alu instid0(SALU_CYCLE_1)
	s_or_b32 s1, s1, s17
	s_or_b32 exec_lo, exec_lo, s15
	v_mov_b32_e32 v7, s16
	s_and_saveexec_b32 s15, s1
	s_cbranch_execnz .LBB248_91
	s_branch .LBB248_92
.LBB248_316:
	s_mov_b32 s1, -1
	s_mov_b32 s0, 0
	s_mov_b32 s14, s12
	s_branch .LBB248_321
.LBB248_317:
	s_mov_b32 s1, -1
	s_mov_b32 s0, s10
	s_branch .LBB248_332
.LBB248_318:
	s_or_saveexec_b32 s15, s15
                                        ; implicit-def: $sgpr16
	s_delay_alu instid0(SALU_CYCLE_1)
	s_xor_b32 exec_lo, exec_lo, s15
	s_cbranch_execz .LBB248_103
.LBB248_319:
	v_add_f32_e64 v3, 0x42800000, |v2|
	s_and_not1_b32 s1, s1, exec_lo
	s_mov_b32 s16, 0
	s_delay_alu instid0(VALU_DEP_1) | instskip(NEXT) | instid1(VALU_DEP_1)
	v_and_b32_e32 v3, 0xff, v3
	v_cmp_ne_u32_e32 vcc_lo, 0, v3
	s_and_b32 s17, vcc_lo, exec_lo
	s_delay_alu instid0(SALU_CYCLE_1)
	s_or_b32 s1, s1, s17
	s_or_b32 exec_lo, exec_lo, s15
	v_mov_b32_e32 v7, s16
	s_and_saveexec_b32 s15, s1
	s_cbranch_execnz .LBB248_104
	s_branch .LBB248_105
.LBB248_320:
	s_mov_b32 s14, -1
	s_mov_b32 s0, 0
.LBB248_321:
                                        ; implicit-def: $vgpr2_vgpr3
.LBB248_322:
	s_and_b32 vcc_lo, exec_lo, s1
	s_cbranch_vccz .LBB248_398
; %bb.323:
	v_cmp_eq_u16_e32 vcc_lo, 44, v12
	s_cbranch_vccz .LBB248_397
; %bb.324:
	global_load_u8 v4, v[0:1], off
	s_mov_b32 s14, 0
	s_mov_b32 s0, -1
	s_waitcnt vmcnt(0)
	v_cmp_ne_u32_e32 vcc_lo, 0xff, v4
	v_lshlrev_b32_e32 v2, 23, v4
	s_delay_alu instid0(VALU_DEP_1) | instskip(NEXT) | instid1(VALU_DEP_1)
	v_cvt_f64_f32_e32 v[2:3], v2
	v_cndmask_b32_e32 v3, 0x7ff80000, v3, vcc_lo
	s_delay_alu instid0(VALU_DEP_2) | instskip(SKIP_1) | instid1(VALU_DEP_3)
	v_cndmask_b32_e32 v2, 0x20000000, v2, vcc_lo
	v_cmp_ne_u32_e32 vcc_lo, 0, v4
	v_cndmask_b32_e32 v3, 0x38000000, v3, vcc_lo
	s_delay_alu instid0(VALU_DEP_3)
	v_cndmask_b32_e32 v2, 0, v2, vcc_lo
	s_branch .LBB248_398
.LBB248_325:
	s_mov_b32 s1, -1
	s_mov_b32 s0, s10
.LBB248_326:
	s_and_b32 vcc_lo, exec_lo, s1
	s_cbranch_vccz .LBB248_331
; %bb.327:
	v_cmp_eq_u16_e32 vcc_lo, 44, v6
	s_mov_b32 s0, -1
	s_cbranch_vccz .LBB248_331
; %bb.328:
	v_cvt_f32_f64_e32 v2, v[0:1]
	v_mov_b32_e32 v3, 0xff
	s_mov_b32 s1, exec_lo
	s_delay_alu instid0(VALU_DEP_2) | instskip(NEXT) | instid1(VALU_DEP_1)
	v_bfe_u32 v7, v2, 23, 8
	v_cmpx_ne_u32_e32 0xff, v7
; %bb.329:
	v_and_b32_e32 v3, 0x400000, v2
	v_and_or_b32 v7, 0x3fffff, v2, v7
	v_lshrrev_b32_e32 v2, 23, v2
	s_delay_alu instid0(VALU_DEP_3) | instskip(NEXT) | instid1(VALU_DEP_3)
	v_cmp_ne_u32_e32 vcc_lo, 0, v3
	v_cmp_ne_u32_e64 s0, 0, v7
	s_delay_alu instid0(VALU_DEP_1) | instskip(NEXT) | instid1(SALU_CYCLE_1)
	s_and_b32 s0, vcc_lo, s0
	v_cndmask_b32_e64 v3, 0, 1, s0
	s_delay_alu instid0(VALU_DEP_1)
	v_add_nc_u32_e32 v3, v2, v3
; %bb.330:
	s_or_b32 exec_lo, exec_lo, s1
	s_mov_b32 s15, -1
	s_mov_b32 s0, 0
	global_store_b8 v[4:5], v3, off
.LBB248_331:
	s_mov_b32 s1, 0
.LBB248_332:
	s_delay_alu instid0(SALU_CYCLE_1)
	s_and_b32 vcc_lo, exec_lo, s1
	s_cbranch_vccz .LBB248_335
; %bb.333:
	v_cmp_eq_u16_e32 vcc_lo, 29, v6
	s_mov_b32 s0, -1
	s_cbranch_vccz .LBB248_335
; %bb.334:
	v_trunc_f64_e32 v[2:3], v[0:1]
	s_mov_b32 s15, -1
	s_mov_b32 s0, 0
	s_mov_b32 s1, 0
	s_delay_alu instid0(VALU_DEP_1) | instskip(NEXT) | instid1(VALU_DEP_1)
	v_ldexp_f64 v[7:8], v[2:3], 0xffffffe0
	v_floor_f64_e32 v[7:8], v[7:8]
	s_delay_alu instid0(VALU_DEP_1) | instskip(SKIP_1) | instid1(VALU_DEP_2)
	v_fma_f64 v[2:3], 0xc1f00000, v[7:8], v[2:3]
	v_cvt_u32_f64_e32 v8, v[7:8]
	v_cvt_u32_f64_e32 v7, v[2:3]
	global_store_b64 v[4:5], v[7:8], off
	s_branch .LBB248_336
.LBB248_335:
	s_mov_b32 s1, 0
.LBB248_336:
	s_delay_alu instid0(SALU_CYCLE_1)
	s_and_b32 vcc_lo, exec_lo, s1
	s_cbranch_vccz .LBB248_352
; %bb.337:
	v_cmp_gt_i16_e32 vcc_lo, 27, v6
	s_mov_b32 s1, -1
	s_cbranch_vccnz .LBB248_343
; %bb.338:
	v_cmp_lt_i16_e32 vcc_lo, 27, v6
	s_cbranch_vccz .LBB248_340
; %bb.339:
	v_cvt_u32_f64_e32 v2, v[0:1]
	s_mov_b32 s1, 0
	global_store_b32 v[4:5], v2, off
.LBB248_340:
	s_and_not1_b32 vcc_lo, exec_lo, s1
	s_cbranch_vccnz .LBB248_342
; %bb.341:
	v_cvt_u32_f64_e32 v2, v[0:1]
	global_store_b16 v[4:5], v2, off
.LBB248_342:
	s_mov_b32 s1, 0
.LBB248_343:
	s_delay_alu instid0(SALU_CYCLE_1)
	s_and_not1_b32 vcc_lo, exec_lo, s1
	s_cbranch_vccnz .LBB248_351
; %bb.344:
	v_cvt_f32_f64_e32 v2, v[0:1]
	v_mov_b32_e32 v7, 0x80
	s_mov_b32 s1, exec_lo
	s_delay_alu instid0(VALU_DEP_2) | instskip(NEXT) | instid1(VALU_DEP_1)
	v_and_b32_e32 v3, 0x7fffffff, v2
	v_cmpx_gt_u32_e32 0x43800000, v3
	s_cbranch_execz .LBB248_350
; %bb.345:
	v_cmp_lt_u32_e32 vcc_lo, 0x3bffffff, v3
	s_mov_b32 s15, 0
                                        ; implicit-def: $vgpr3
	s_and_saveexec_b32 s17, vcc_lo
	s_delay_alu instid0(SALU_CYCLE_1)
	s_xor_b32 s17, exec_lo, s17
	s_cbranch_execz .LBB248_523
; %bb.346:
	v_bfe_u32 v3, v2, 20, 1
	s_mov_b32 s15, exec_lo
	s_delay_alu instid0(VALU_DEP_1) | instskip(NEXT) | instid1(VALU_DEP_1)
	v_add3_u32 v3, v2, v3, 0x487ffff
	v_lshrrev_b32_e32 v3, 20, v3
	s_or_saveexec_b32 s17, s17
                                        ; implicit-def: $sgpr18
	s_delay_alu instid0(SALU_CYCLE_1)
	s_xor_b32 exec_lo, exec_lo, s17
	s_cbranch_execnz .LBB248_524
.LBB248_347:
	s_or_b32 exec_lo, exec_lo, s17
	v_mov_b32_e32 v7, s18
	s_and_saveexec_b32 s17, s15
.LBB248_348:
	v_lshrrev_b32_e32 v2, 24, v2
	s_delay_alu instid0(VALU_DEP_1)
	v_and_or_b32 v7, 0x80, v2, v3
.LBB248_349:
	s_or_b32 exec_lo, exec_lo, s17
.LBB248_350:
	s_delay_alu instid0(SALU_CYCLE_1)
	s_or_b32 exec_lo, exec_lo, s1
	global_store_b8 v[4:5], v7, off
.LBB248_351:
	s_mov_b32 s15, -1
.LBB248_352:
	s_mov_b32 s1, 0
.LBB248_353:
	s_delay_alu instid0(SALU_CYCLE_1)
	s_and_b32 vcc_lo, exec_lo, s1
	s_cbranch_vccz .LBB248_394
; %bb.354:
	v_cmp_lt_i16_e32 vcc_lo, 22, v6
	s_mov_b32 s1, -1
	s_cbranch_vccz .LBB248_386
; %bb.355:
	v_cmp_gt_i16_e32 vcc_lo, 24, v6
	s_cbranch_vccnz .LBB248_375
; %bb.356:
	v_cmp_lt_i16_e32 vcc_lo, 24, v6
	s_cbranch_vccz .LBB248_364
; %bb.357:
	v_cvt_f32_f64_e32 v2, v[0:1]
	v_mov_b32_e32 v7, 0x80
	s_mov_b32 s1, exec_lo
	s_delay_alu instid0(VALU_DEP_2) | instskip(NEXT) | instid1(VALU_DEP_1)
	v_and_b32_e32 v3, 0x7fffffff, v2
	v_cmpx_gt_u32_e32 0x47800000, v3
	s_cbranch_execz .LBB248_363
; %bb.358:
	v_cmp_lt_u32_e32 vcc_lo, 0x37ffffff, v3
	s_mov_b32 s15, 0
                                        ; implicit-def: $vgpr3
	s_and_saveexec_b32 s17, vcc_lo
	s_delay_alu instid0(SALU_CYCLE_1)
	s_xor_b32 s17, exec_lo, s17
	s_cbranch_execz .LBB248_526
; %bb.359:
	v_bfe_u32 v3, v2, 21, 1
	s_mov_b32 s15, exec_lo
	s_delay_alu instid0(VALU_DEP_1) | instskip(NEXT) | instid1(VALU_DEP_1)
	v_add3_u32 v3, v2, v3, 0x88fffff
	v_lshrrev_b32_e32 v3, 21, v3
	s_or_saveexec_b32 s17, s17
                                        ; implicit-def: $sgpr18
	s_delay_alu instid0(SALU_CYCLE_1)
	s_xor_b32 exec_lo, exec_lo, s17
	s_cbranch_execnz .LBB248_527
.LBB248_360:
	s_or_b32 exec_lo, exec_lo, s17
	v_mov_b32_e32 v7, s18
	s_and_saveexec_b32 s17, s15
.LBB248_361:
	v_lshrrev_b32_e32 v2, 24, v2
	s_delay_alu instid0(VALU_DEP_1)
	v_and_or_b32 v7, 0x80, v2, v3
.LBB248_362:
	s_or_b32 exec_lo, exec_lo, s17
.LBB248_363:
	s_delay_alu instid0(SALU_CYCLE_1)
	s_or_b32 exec_lo, exec_lo, s1
	s_mov_b32 s1, 0
	global_store_b8 v[4:5], v7, off
.LBB248_364:
	s_and_b32 vcc_lo, exec_lo, s1
	s_cbranch_vccz .LBB248_374
; %bb.365:
	v_cvt_f32_f64_e32 v2, v[0:1]
	s_mov_b32 s1, exec_lo
                                        ; implicit-def: $vgpr3
	s_delay_alu instid0(VALU_DEP_1) | instskip(NEXT) | instid1(VALU_DEP_1)
	v_and_b32_e32 v7, 0x7fffffff, v2
	v_cmpx_gt_u32_e32 0x43f00000, v7
	s_xor_b32 s1, exec_lo, s1
	s_cbranch_execz .LBB248_371
; %bb.366:
	s_mov_b32 s15, exec_lo
                                        ; implicit-def: $vgpr3
	v_cmpx_lt_u32_e32 0x3c7fffff, v7
	s_xor_b32 s15, exec_lo, s15
; %bb.367:
	v_bfe_u32 v3, v2, 20, 1
	s_delay_alu instid0(VALU_DEP_1) | instskip(NEXT) | instid1(VALU_DEP_1)
	v_add3_u32 v3, v2, v3, 0x407ffff
	v_and_b32_e32 v7, 0xff00000, v3
	v_lshrrev_b32_e32 v3, 20, v3
	s_delay_alu instid0(VALU_DEP_2) | instskip(NEXT) | instid1(VALU_DEP_2)
	v_cmp_ne_u32_e32 vcc_lo, 0x7f00000, v7
	v_cndmask_b32_e32 v3, 0x7e, v3, vcc_lo
; %bb.368:
	s_and_not1_saveexec_b32 s15, s15
; %bb.369:
	v_add_f32_e64 v3, 0x46800000, |v2|
; %bb.370:
	s_or_b32 exec_lo, exec_lo, s15
                                        ; implicit-def: $vgpr7
.LBB248_371:
	s_and_not1_saveexec_b32 s1, s1
; %bb.372:
	v_mov_b32_e32 v3, 0x7f
	v_cmp_lt_u32_e32 vcc_lo, 0x7f800000, v7
	s_delay_alu instid0(VALU_DEP_2)
	v_cndmask_b32_e32 v3, 0x7e, v3, vcc_lo
; %bb.373:
	s_or_b32 exec_lo, exec_lo, s1
	v_lshrrev_b32_e32 v2, 24, v2
	s_delay_alu instid0(VALU_DEP_1)
	v_and_or_b32 v2, 0x80, v2, v3
	global_store_b8 v[4:5], v2, off
.LBB248_374:
	s_mov_b32 s1, 0
.LBB248_375:
	s_delay_alu instid0(SALU_CYCLE_1)
	s_and_not1_b32 vcc_lo, exec_lo, s1
	s_cbranch_vccnz .LBB248_385
; %bb.376:
	v_cvt_f32_f64_e32 v2, v[0:1]
	s_mov_b32 s1, exec_lo
                                        ; implicit-def: $vgpr3
	s_delay_alu instid0(VALU_DEP_1) | instskip(NEXT) | instid1(VALU_DEP_1)
	v_and_b32_e32 v7, 0x7fffffff, v2
	v_cmpx_gt_u32_e32 0x47800000, v7
	s_xor_b32 s1, exec_lo, s1
	s_cbranch_execz .LBB248_382
; %bb.377:
	s_mov_b32 s15, exec_lo
                                        ; implicit-def: $vgpr3
	v_cmpx_lt_u32_e32 0x387fffff, v7
	s_xor_b32 s15, exec_lo, s15
; %bb.378:
	v_bfe_u32 v3, v2, 21, 1
	s_delay_alu instid0(VALU_DEP_1) | instskip(NEXT) | instid1(VALU_DEP_1)
	v_add3_u32 v3, v2, v3, 0x80fffff
	v_lshrrev_b32_e32 v3, 21, v3
; %bb.379:
	s_and_not1_saveexec_b32 s15, s15
; %bb.380:
	v_add_f32_e64 v3, 0x43000000, |v2|
; %bb.381:
	s_or_b32 exec_lo, exec_lo, s15
                                        ; implicit-def: $vgpr7
.LBB248_382:
	s_and_not1_saveexec_b32 s1, s1
; %bb.383:
	v_mov_b32_e32 v3, 0x7f
	v_cmp_lt_u32_e32 vcc_lo, 0x7f800000, v7
	s_delay_alu instid0(VALU_DEP_2)
	v_cndmask_b32_e32 v3, 0x7c, v3, vcc_lo
; %bb.384:
	s_or_b32 exec_lo, exec_lo, s1
	v_lshrrev_b32_e32 v2, 24, v2
	s_delay_alu instid0(VALU_DEP_1)
	v_and_or_b32 v2, 0x80, v2, v3
	global_store_b8 v[4:5], v2, off
.LBB248_385:
	s_mov_b32 s1, 0
	s_mov_b32 s15, -1
.LBB248_386:
	s_and_not1_b32 vcc_lo, exec_lo, s1
	s_cbranch_vccnz .LBB248_394
; %bb.387:
	v_cmp_lt_i16_e32 vcc_lo, 14, v6
	s_mov_b32 s1, -1
	s_cbranch_vccz .LBB248_391
; %bb.388:
	v_cmp_eq_u16_e32 vcc_lo, 15, v6
	s_mov_b32 s0, -1
	s_cbranch_vccz .LBB248_390
; %bb.389:
	v_cvt_f32_f64_e32 v2, v[0:1]
	s_mov_b32 s15, -1
	s_mov_b32 s0, 0
	s_delay_alu instid0(VALU_DEP_1) | instskip(SKIP_1) | instid1(VALU_DEP_2)
	v_bfe_u32 v3, v2, 16, 1
	v_cmp_o_f32_e32 vcc_lo, v2, v2
	v_add3_u32 v3, v2, v3, 0x7fff
	s_delay_alu instid0(VALU_DEP_1) | instskip(NEXT) | instid1(VALU_DEP_1)
	v_lshrrev_b32_e32 v3, 16, v3
	v_cndmask_b32_e32 v2, 0x7fc0, v3, vcc_lo
	global_store_b16 v[4:5], v2, off
.LBB248_390:
	s_mov_b32 s1, 0
.LBB248_391:
	s_delay_alu instid0(SALU_CYCLE_1)
	s_and_b32 vcc_lo, exec_lo, s1
	s_cbranch_vccz .LBB248_394
; %bb.392:
	v_cmp_eq_u16_e32 vcc_lo, 11, v6
	s_mov_b32 s0, -1
	s_cbranch_vccz .LBB248_394
; %bb.393:
	v_cmp_neq_f64_e32 vcc_lo, 0, v[0:1]
	s_mov_b32 s15, -1
	s_mov_b32 s0, 0
	v_cndmask_b32_e64 v2, 0, 1, vcc_lo
	global_store_b8 v[4:5], v2, off
.LBB248_394:
.LBB248_395:
	s_and_not1_b32 vcc_lo, exec_lo, s15
	s_cbranch_vccnz .LBB248_308
.LBB248_396:
	v_add_nc_u32_e32 v11, 0x80, v11
	s_mov_b32 s1, -1
	s_branch .LBB248_509
.LBB248_397:
	s_mov_b32 s14, -1
                                        ; implicit-def: $vgpr2_vgpr3
.LBB248_398:
	s_mov_b32 s1, 0
.LBB248_399:
	s_delay_alu instid0(SALU_CYCLE_1)
	s_and_b32 vcc_lo, exec_lo, s1
	s_cbranch_vccz .LBB248_403
; %bb.400:
	v_cmp_eq_u16_e32 vcc_lo, 29, v12
	s_cbranch_vccz .LBB248_402
; %bb.401:
	global_load_b64 v[2:3], v[0:1], off
	s_mov_b32 s0, -1
	s_mov_b32 s14, 0
	s_mov_b32 s1, 0
	s_waitcnt vmcnt(0)
	v_cvt_f64_u32_e32 v[3:4], v3
	v_cvt_f64_u32_e32 v[5:6], v2
	s_delay_alu instid0(VALU_DEP_2) | instskip(NEXT) | instid1(VALU_DEP_1)
	v_ldexp_f64 v[3:4], v[3:4], 32
	v_add_f64 v[2:3], v[3:4], v[5:6]
	s_branch .LBB248_404
.LBB248_402:
	s_mov_b32 s14, -1
                                        ; implicit-def: $vgpr2_vgpr3
.LBB248_403:
	s_mov_b32 s1, 0
.LBB248_404:
	s_delay_alu instid0(SALU_CYCLE_1)
	s_and_b32 vcc_lo, exec_lo, s1
	s_cbranch_vccz .LBB248_424
; %bb.405:
	v_cmp_gt_i16_e32 vcc_lo, 27, v12
	s_cbranch_vccnz .LBB248_408
; %bb.406:
	v_cmp_lt_i16_e32 vcc_lo, 27, v12
	s_cbranch_vccz .LBB248_409
; %bb.407:
	global_load_b32 v2, v[0:1], off
	s_mov_b32 s0, 0
	s_waitcnt vmcnt(0)
	v_cvt_f64_u32_e32 v[2:3], v2
	s_branch .LBB248_410
.LBB248_408:
	s_mov_b32 s0, -1
                                        ; implicit-def: $vgpr2_vgpr3
	s_branch .LBB248_413
.LBB248_409:
	s_mov_b32 s0, -1
                                        ; implicit-def: $vgpr2_vgpr3
.LBB248_410:
	s_delay_alu instid0(SALU_CYCLE_1)
	s_and_not1_b32 vcc_lo, exec_lo, s0
	s_cbranch_vccnz .LBB248_412
; %bb.411:
	global_load_u16 v2, v[0:1], off
	s_waitcnt vmcnt(0)
	v_cvt_f64_u32_e32 v[2:3], v2
.LBB248_412:
	s_mov_b32 s0, 0
.LBB248_413:
	s_delay_alu instid0(SALU_CYCLE_1)
	s_and_not1_b32 vcc_lo, exec_lo, s0
	s_cbranch_vccnz .LBB248_423
; %bb.414:
	global_load_u8 v4, v[0:1], off
	s_mov_b32 s15, 0
	s_mov_b32 s17, exec_lo
                                        ; implicit-def: $sgpr0_sgpr1
	s_waitcnt vmcnt(0)
	v_cmpx_lt_i16_e32 0x7f, v4
	s_xor_b32 s17, exec_lo, s17
	s_cbranch_execz .LBB248_418
; %bb.415:
	s_mov_b32 s15, exec_lo
                                        ; implicit-def: $sgpr0_sgpr1
	v_cmpx_eq_u16_e32 0x80, v4
; %bb.416:
	s_mov_b32 s1, 0x7ff80000
	s_brev_b32 s0, 4
	s_xor_b32 s18, exec_lo, -1
; %bb.417:
	s_or_b32 exec_lo, exec_lo, s15
	s_delay_alu instid0(SALU_CYCLE_1)
	s_and_b32 s15, s18, exec_lo
.LBB248_418:
	s_or_saveexec_b32 s17, s17
	v_dual_mov_b32 v3, s1 :: v_dual_mov_b32 v2, s0
	s_xor_b32 exec_lo, exec_lo, s17
; %bb.419:
	v_cmp_ne_u16_e32 vcc_lo, 0, v4
	v_mov_b32_e32 v2, 0
	v_mov_b32_e32 v3, 0
	s_and_not1_b32 s0, s15, exec_lo
	s_and_b32 s1, vcc_lo, exec_lo
	s_delay_alu instid0(SALU_CYCLE_1)
	s_or_b32 s15, s0, s1
; %bb.420:
	s_or_b32 exec_lo, exec_lo, s17
	s_and_saveexec_b32 s0, s15
	s_cbranch_execz .LBB248_422
; %bb.421:
	v_and_b32_e32 v2, 0xffff, v4
	v_lshlrev_b32_e32 v4, 24, v4
	s_delay_alu instid0(VALU_DEP_2) | instskip(NEXT) | instid1(VALU_DEP_2)
	v_and_b32_e32 v3, 7, v2
	v_and_b32_e32 v4, 0x80000000, v4
	s_delay_alu instid0(VALU_DEP_2) | instskip(NEXT) | instid1(VALU_DEP_1)
	v_clz_i32_u32_e32 v5, v3
	v_min_u32_e32 v5, 32, v5
	s_delay_alu instid0(VALU_DEP_1) | instskip(SKIP_1) | instid1(VALU_DEP_2)
	v_subrev_nc_u32_e32 v6, 28, v5
	v_sub_nc_u32_e32 v5, 29, v5
	v_lshlrev_b32_e32 v6, v6, v2
	v_bfe_u32 v2, v2, 3, 4
	s_delay_alu instid0(VALU_DEP_2) | instskip(NEXT) | instid1(VALU_DEP_2)
	v_and_b32_e32 v6, 7, v6
	v_cmp_eq_u32_e32 vcc_lo, 0, v2
	s_delay_alu instid0(VALU_DEP_2) | instskip(NEXT) | instid1(VALU_DEP_1)
	v_dual_cndmask_b32 v2, v2, v5 :: v_dual_cndmask_b32 v3, v3, v6
	v_lshl_add_u32 v2, v2, 23, 0x3b800000
	s_delay_alu instid0(VALU_DEP_2) | instskip(NEXT) | instid1(VALU_DEP_1)
	v_lshlrev_b32_e32 v3, 20, v3
	v_or3_b32 v2, v4, v2, v3
	s_delay_alu instid0(VALU_DEP_1)
	v_cvt_f64_f32_e32 v[2:3], v2
.LBB248_422:
	s_or_b32 exec_lo, exec_lo, s0
.LBB248_423:
	s_mov_b32 s0, -1
.LBB248_424:
	s_mov_b32 s1, 0
.LBB248_425:
	s_delay_alu instid0(SALU_CYCLE_1)
	s_and_b32 vcc_lo, exec_lo, s1
	s_cbranch_vccz .LBB248_458
; %bb.426:
	v_cmp_lt_i16_e32 vcc_lo, 22, v12
	s_cbranch_vccz .LBB248_438
; %bb.427:
	v_cmp_gt_i16_e32 vcc_lo, 24, v12
	s_cbranch_vccnz .LBB248_439
; %bb.428:
	v_cmp_lt_i16_e32 vcc_lo, 24, v12
	s_cbranch_vccz .LBB248_440
; %bb.429:
	global_load_u8 v4, v[0:1], off
	s_mov_b32 s15, 0
	s_mov_b32 s17, exec_lo
                                        ; implicit-def: $sgpr0_sgpr1
	s_waitcnt vmcnt(0)
	v_cmpx_lt_i16_e32 0x7f, v4
	s_xor_b32 s17, exec_lo, s17
	s_cbranch_execz .LBB248_433
; %bb.430:
	s_mov_b32 s18, -1
	s_mov_b32 s15, exec_lo
                                        ; implicit-def: $sgpr0_sgpr1
	v_cmpx_eq_u16_e32 0x80, v4
; %bb.431:
	s_mov_b32 s1, 0x7ff80000
	s_brev_b32 s0, 4
	s_xor_b32 s18, exec_lo, -1
; %bb.432:
	s_or_b32 exec_lo, exec_lo, s15
	s_delay_alu instid0(SALU_CYCLE_1)
	s_and_b32 s15, s18, exec_lo
.LBB248_433:
	s_or_saveexec_b32 s17, s17
	v_dual_mov_b32 v3, s1 :: v_dual_mov_b32 v2, s0
	s_xor_b32 exec_lo, exec_lo, s17
; %bb.434:
	v_cmp_ne_u16_e32 vcc_lo, 0, v4
	v_mov_b32_e32 v2, 0
	v_mov_b32_e32 v3, 0
	s_and_not1_b32 s0, s15, exec_lo
	s_and_b32 s1, vcc_lo, exec_lo
	s_delay_alu instid0(SALU_CYCLE_1)
	s_or_b32 s15, s0, s1
; %bb.435:
	s_or_b32 exec_lo, exec_lo, s17
	s_and_saveexec_b32 s0, s15
	s_cbranch_execz .LBB248_437
; %bb.436:
	v_and_b32_e32 v2, 0xffff, v4
	v_lshlrev_b32_e32 v4, 24, v4
	s_delay_alu instid0(VALU_DEP_2) | instskip(NEXT) | instid1(VALU_DEP_2)
	v_and_b32_e32 v3, 3, v2
	v_and_b32_e32 v4, 0x80000000, v4
	s_delay_alu instid0(VALU_DEP_2) | instskip(NEXT) | instid1(VALU_DEP_1)
	v_clz_i32_u32_e32 v5, v3
	v_min_u32_e32 v5, 32, v5
	s_delay_alu instid0(VALU_DEP_1) | instskip(SKIP_1) | instid1(VALU_DEP_2)
	v_subrev_nc_u32_e32 v6, 29, v5
	v_sub_nc_u32_e32 v5, 30, v5
	v_lshlrev_b32_e32 v6, v6, v2
	v_bfe_u32 v2, v2, 2, 5
	s_delay_alu instid0(VALU_DEP_2) | instskip(NEXT) | instid1(VALU_DEP_2)
	v_and_b32_e32 v6, 3, v6
	v_cmp_eq_u32_e32 vcc_lo, 0, v2
	s_delay_alu instid0(VALU_DEP_2) | instskip(NEXT) | instid1(VALU_DEP_1)
	v_dual_cndmask_b32 v2, v2, v5 :: v_dual_cndmask_b32 v3, v3, v6
	v_lshl_add_u32 v2, v2, 23, 0x37800000
	s_delay_alu instid0(VALU_DEP_2) | instskip(NEXT) | instid1(VALU_DEP_1)
	v_lshlrev_b32_e32 v3, 21, v3
	v_or3_b32 v2, v4, v2, v3
	s_delay_alu instid0(VALU_DEP_1)
	v_cvt_f64_f32_e32 v[2:3], v2
.LBB248_437:
	s_or_b32 exec_lo, exec_lo, s0
	s_mov_b32 s0, 0
	s_branch .LBB248_441
.LBB248_438:
	s_mov_b32 s1, -1
                                        ; implicit-def: $vgpr2_vgpr3
	s_branch .LBB248_447
.LBB248_439:
	s_mov_b32 s0, -1
                                        ; implicit-def: $vgpr2_vgpr3
	s_branch .LBB248_444
.LBB248_440:
	s_mov_b32 s0, -1
                                        ; implicit-def: $vgpr2_vgpr3
.LBB248_441:
	s_delay_alu instid0(SALU_CYCLE_1)
	s_and_b32 vcc_lo, exec_lo, s0
	s_cbranch_vccz .LBB248_443
; %bb.442:
	global_load_u8 v2, v[0:1], off
	s_waitcnt vmcnt(0)
	v_lshlrev_b32_e32 v2, 24, v2
	s_delay_alu instid0(VALU_DEP_1) | instskip(NEXT) | instid1(VALU_DEP_1)
	v_and_b32_e32 v3, 0x7f000000, v2
	v_clz_i32_u32_e32 v4, v3
	v_add_nc_u32_e32 v6, 0x1000000, v3
	v_cmp_ne_u32_e32 vcc_lo, 0, v3
	s_delay_alu instid0(VALU_DEP_3) | instskip(NEXT) | instid1(VALU_DEP_1)
	v_min_u32_e32 v4, 32, v4
	v_sub_nc_u32_e64 v4, v4, 4 clamp
	s_delay_alu instid0(VALU_DEP_1) | instskip(SKIP_1) | instid1(VALU_DEP_2)
	v_lshlrev_b32_e32 v5, v4, v3
	v_lshlrev_b32_e32 v4, 23, v4
	v_lshrrev_b32_e32 v5, 4, v5
	s_delay_alu instid0(VALU_DEP_1) | instskip(SKIP_1) | instid1(VALU_DEP_2)
	v_sub_nc_u32_e32 v4, v5, v4
	v_ashrrev_i32_e32 v5, 8, v6
	v_add_nc_u32_e32 v4, 0x3c000000, v4
	s_delay_alu instid0(VALU_DEP_1) | instskip(NEXT) | instid1(VALU_DEP_1)
	v_and_or_b32 v4, 0x7f800000, v5, v4
	v_cndmask_b32_e32 v3, 0, v4, vcc_lo
	s_delay_alu instid0(VALU_DEP_1) | instskip(NEXT) | instid1(VALU_DEP_1)
	v_and_or_b32 v2, 0x80000000, v2, v3
	v_cvt_f64_f32_e32 v[2:3], v2
.LBB248_443:
	s_mov_b32 s0, 0
.LBB248_444:
	s_delay_alu instid0(SALU_CYCLE_1)
	s_and_not1_b32 vcc_lo, exec_lo, s0
	s_cbranch_vccnz .LBB248_446
; %bb.445:
	global_load_u8 v2, v[0:1], off
	s_waitcnt vmcnt(0)
	v_lshlrev_b32_e32 v3, 25, v2
	v_lshlrev_b16 v2, 8, v2
	s_delay_alu instid0(VALU_DEP_2) | instskip(NEXT) | instid1(VALU_DEP_2)
	v_lshrrev_b32_e32 v4, 4, v3
	v_and_or_b32 v5, 0x7f00, v2, 0.5
	v_bfe_i32 v2, v2, 0, 16
	s_delay_alu instid0(VALU_DEP_3) | instskip(NEXT) | instid1(VALU_DEP_1)
	v_or_b32_e32 v4, 0x70000000, v4
	v_dual_add_f32 v5, -0.5, v5 :: v_dual_mul_f32 v4, 0x7800000, v4
	v_cmp_gt_u32_e32 vcc_lo, 0x8000000, v3
	s_delay_alu instid0(VALU_DEP_2) | instskip(NEXT) | instid1(VALU_DEP_1)
	v_cndmask_b32_e32 v3, v4, v5, vcc_lo
	v_and_or_b32 v2, 0x80000000, v2, v3
	s_delay_alu instid0(VALU_DEP_1)
	v_cvt_f64_f32_e32 v[2:3], v2
.LBB248_446:
	s_mov_b32 s1, 0
	s_mov_b32 s0, -1
.LBB248_447:
	s_and_not1_b32 vcc_lo, exec_lo, s1
	s_cbranch_vccnz .LBB248_458
; %bb.448:
	v_cmp_lt_i16_e32 vcc_lo, 14, v12
	s_cbranch_vccz .LBB248_451
; %bb.449:
	v_cmp_eq_u16_e32 vcc_lo, 15, v12
	s_cbranch_vccz .LBB248_452
; %bb.450:
	global_load_u16 v2, v[0:1], off
	s_mov_b32 s0, -1
	s_mov_b32 s14, 0
	s_waitcnt vmcnt(0)
	v_lshlrev_b32_e32 v2, 16, v2
	s_delay_alu instid0(VALU_DEP_1)
	v_cvt_f64_f32_e32 v[2:3], v2
	s_branch .LBB248_453
.LBB248_451:
	s_mov_b32 s1, -1
                                        ; implicit-def: $vgpr2_vgpr3
	s_branch .LBB248_454
.LBB248_452:
	s_mov_b32 s14, -1
                                        ; implicit-def: $vgpr2_vgpr3
.LBB248_453:
	s_mov_b32 s1, 0
.LBB248_454:
	s_delay_alu instid0(SALU_CYCLE_1)
	s_and_b32 vcc_lo, exec_lo, s1
	s_cbranch_vccz .LBB248_458
; %bb.455:
	v_cmp_eq_u16_e32 vcc_lo, 11, v12
	s_cbranch_vccz .LBB248_457
; %bb.456:
	global_load_u8 v2, v[0:1], off
	s_mov_b32 s14, 0
	s_mov_b32 s0, -1
	s_waitcnt vmcnt(0)
	v_cmp_ne_u16_e32 vcc_lo, 0, v2
	v_mov_b32_e32 v2, 0
	v_cndmask_b32_e64 v3, 0, 0x3ff00000, vcc_lo
	s_branch .LBB248_458
.LBB248_457:
	s_mov_b32 s14, -1
                                        ; implicit-def: $vgpr2_vgpr3
.LBB248_458:
	s_branch .LBB248_261
.LBB248_459:
	v_cmp_gt_i16_e32 vcc_lo, 5, v12
	s_cbranch_vccnz .LBB248_464
; %bb.460:
	v_cmp_gt_i16_e32 vcc_lo, 8, v12
	s_cbranch_vccnz .LBB248_465
; %bb.461:
	;; [unrolled: 3-line block ×3, first 2 shown]
	v_cmp_lt_i16_e32 vcc_lo, 9, v12
	s_cbranch_vccz .LBB248_467
; %bb.463:
	global_load_b64 v[2:3], v[0:1], off
	s_mov_b32 s0, 0
	s_branch .LBB248_468
.LBB248_464:
	s_mov_b32 s0, -1
                                        ; implicit-def: $vgpr2_vgpr3
	s_branch .LBB248_486
.LBB248_465:
	s_mov_b32 s0, -1
                                        ; implicit-def: $vgpr2_vgpr3
	s_branch .LBB248_474
.LBB248_466:
	s_mov_b32 s0, -1
                                        ; implicit-def: $vgpr2_vgpr3
	s_branch .LBB248_471
.LBB248_467:
	s_mov_b32 s0, -1
                                        ; implicit-def: $vgpr2_vgpr3
.LBB248_468:
	s_delay_alu instid0(SALU_CYCLE_1)
	s_and_not1_b32 vcc_lo, exec_lo, s0
	s_cbranch_vccnz .LBB248_470
; %bb.469:
	global_load_b32 v2, v[0:1], off
	s_waitcnt vmcnt(0)
	v_cvt_f64_f32_e32 v[2:3], v2
.LBB248_470:
	s_mov_b32 s0, 0
.LBB248_471:
	s_delay_alu instid0(SALU_CYCLE_1)
	s_and_not1_b32 vcc_lo, exec_lo, s0
	s_cbranch_vccnz .LBB248_473
; %bb.472:
	global_load_b32 v2, v[0:1], off
	s_waitcnt vmcnt(0)
	v_cvt_f32_f16_e32 v2, v2
	s_delay_alu instid0(VALU_DEP_1)
	v_cvt_f64_f32_e32 v[2:3], v2
.LBB248_473:
	s_mov_b32 s0, 0
.LBB248_474:
	s_delay_alu instid0(SALU_CYCLE_1)
	s_and_not1_b32 vcc_lo, exec_lo, s0
	s_cbranch_vccnz .LBB248_485
; %bb.475:
	v_cmp_gt_i16_e32 vcc_lo, 6, v12
	s_cbranch_vccnz .LBB248_478
; %bb.476:
	v_cmp_lt_i16_e32 vcc_lo, 6, v12
	s_cbranch_vccz .LBB248_479
; %bb.477:
	global_load_b64 v[2:3], v[0:1], off
	s_mov_b32 s0, 0
	s_branch .LBB248_480
.LBB248_478:
	s_mov_b32 s0, -1
                                        ; implicit-def: $vgpr2_vgpr3
	s_branch .LBB248_483
.LBB248_479:
	s_mov_b32 s0, -1
                                        ; implicit-def: $vgpr2_vgpr3
.LBB248_480:
	s_delay_alu instid0(SALU_CYCLE_1)
	s_and_not1_b32 vcc_lo, exec_lo, s0
	s_cbranch_vccnz .LBB248_482
; %bb.481:
	global_load_b32 v2, v[0:1], off
	s_waitcnt vmcnt(0)
	v_cvt_f64_f32_e32 v[2:3], v2
.LBB248_482:
	s_mov_b32 s0, 0
.LBB248_483:
	s_delay_alu instid0(SALU_CYCLE_1)
	s_and_not1_b32 vcc_lo, exec_lo, s0
	s_cbranch_vccnz .LBB248_485
; %bb.484:
	global_load_u16 v2, v[0:1], off
	s_waitcnt vmcnt(0)
	v_cvt_f32_f16_e32 v2, v2
	s_delay_alu instid0(VALU_DEP_1)
	v_cvt_f64_f32_e32 v[2:3], v2
.LBB248_485:
	s_mov_b32 s0, 0
.LBB248_486:
	s_delay_alu instid0(SALU_CYCLE_1)
	s_and_not1_b32 vcc_lo, exec_lo, s0
	s_cbranch_vccnz .LBB248_506
; %bb.487:
	v_cmp_gt_i16_e32 vcc_lo, 2, v12
	s_cbranch_vccnz .LBB248_491
; %bb.488:
	v_cmp_gt_i16_e32 vcc_lo, 3, v12
	s_cbranch_vccnz .LBB248_492
; %bb.489:
	v_cmp_lt_i16_e32 vcc_lo, 3, v12
	s_cbranch_vccz .LBB248_493
; %bb.490:
	global_load_b64 v[2:3], v[0:1], off
	s_mov_b32 s0, 0
	s_waitcnt vmcnt(0)
	v_cvt_f64_i32_e32 v[3:4], v3
	v_cvt_f64_u32_e32 v[5:6], v2
	s_delay_alu instid0(VALU_DEP_2) | instskip(NEXT) | instid1(VALU_DEP_1)
	v_ldexp_f64 v[3:4], v[3:4], 32
	v_add_f64 v[2:3], v[3:4], v[5:6]
	s_branch .LBB248_494
.LBB248_491:
	s_mov_b32 s0, -1
                                        ; implicit-def: $vgpr2_vgpr3
	s_branch .LBB248_500
.LBB248_492:
	s_mov_b32 s0, -1
                                        ; implicit-def: $vgpr2_vgpr3
	s_branch .LBB248_497
.LBB248_493:
	s_mov_b32 s0, -1
                                        ; implicit-def: $vgpr2_vgpr3
.LBB248_494:
	s_delay_alu instid0(SALU_CYCLE_1)
	s_and_not1_b32 vcc_lo, exec_lo, s0
	s_cbranch_vccnz .LBB248_496
; %bb.495:
	global_load_b32 v2, v[0:1], off
	s_waitcnt vmcnt(0)
	v_cvt_f64_i32_e32 v[2:3], v2
.LBB248_496:
	s_mov_b32 s0, 0
.LBB248_497:
	s_delay_alu instid0(SALU_CYCLE_1)
	s_and_not1_b32 vcc_lo, exec_lo, s0
	s_cbranch_vccnz .LBB248_499
; %bb.498:
	global_load_i16 v2, v[0:1], off
	s_waitcnt vmcnt(0)
	v_cvt_f64_i32_e32 v[2:3], v2
.LBB248_499:
	s_mov_b32 s0, 0
.LBB248_500:
	s_delay_alu instid0(SALU_CYCLE_1)
	s_and_not1_b32 vcc_lo, exec_lo, s0
	s_cbranch_vccnz .LBB248_506
; %bb.501:
	v_cmp_lt_i16_e32 vcc_lo, 0, v12
	s_mov_b32 s0, 0
	s_cbranch_vccz .LBB248_503
; %bb.502:
	global_load_i8 v2, v[0:1], off
	s_waitcnt vmcnt(0)
	v_cvt_f64_i32_e32 v[2:3], v2
	s_branch .LBB248_504
.LBB248_503:
	s_mov_b32 s0, -1
                                        ; implicit-def: $vgpr2_vgpr3
.LBB248_504:
	s_delay_alu instid0(SALU_CYCLE_1)
	s_and_not1_b32 vcc_lo, exec_lo, s0
	s_cbranch_vccnz .LBB248_506
; %bb.505:
	global_load_u8 v0, v[0:1], off
	s_waitcnt vmcnt(0)
	v_cvt_f64_u32_e32 v[2:3], v0
.LBB248_506:
	s_branch .LBB248_262
.LBB248_507:
	s_mov_b32 s1, 0
	s_mov_b32 s0, s10
.LBB248_508:
                                        ; implicit-def: $vgpr11
.LBB248_509:
	s_and_not1_b32 s15, s10, exec_lo
	s_and_b32 s0, s0, exec_lo
	s_and_not1_b32 s17, s12, exec_lo
	s_and_b32 s14, s14, exec_lo
	s_or_b32 s15, s15, s0
	s_or_b32 s14, s17, s14
	s_or_not1_b32 s18, s1, exec_lo
.LBB248_510:
	s_or_b32 exec_lo, exec_lo, s16
	s_mov_b32 s1, 0
	s_mov_b32 s17, 0
	;; [unrolled: 1-line block ×3, first 2 shown]
                                        ; implicit-def: $vgpr0_vgpr1
                                        ; implicit-def: $vgpr2_vgpr3
	s_and_saveexec_b32 s16, s18
	s_cbranch_execz .LBB248_856
; %bb.511:
	s_mov_b32 s0, -1
	s_mov_b32 s18, s14
	s_mov_b32 s19, s15
	s_mov_b32 s17, exec_lo
	v_cmpx_gt_i32_e64 s11, v11
	s_cbranch_execz .LBB248_770
; %bb.512:
	v_mul_lo_u32 v0, v11, s3
	v_cmp_gt_i16_e32 vcc_lo, 11, v12
	s_delay_alu instid0(VALU_DEP_2) | instskip(SKIP_1) | instid1(VALU_DEP_1)
	v_ashrrev_i32_e32 v1, 31, v0
	v_add_co_u32 v0, s0, s6, v0
	v_add_co_ci_u32_e64 v1, s0, s7, v1, s0
	s_cbranch_vccnz .LBB248_519
; %bb.513:
	v_cmp_lt_i16_e32 vcc_lo, 25, v12
	s_cbranch_vccz .LBB248_520
; %bb.514:
	v_cmp_lt_i16_e32 vcc_lo, 28, v12
	s_cbranch_vccz .LBB248_521
	;; [unrolled: 3-line block ×4, first 2 shown]
; %bb.517:
	v_cmp_eq_u16_e32 vcc_lo, 46, v12
	s_cbranch_vccz .LBB248_528
; %bb.518:
	global_load_b32 v2, v[0:1], off
	s_mov_b32 s0, -1
	s_mov_b32 s18, 0
	s_waitcnt vmcnt(0)
	v_lshlrev_b32_e32 v2, 16, v2
	s_delay_alu instid0(VALU_DEP_1)
	v_cvt_f64_f32_e32 v[2:3], v2
	s_branch .LBB248_530
.LBB248_519:
	s_mov_b32 s1, -1
	s_mov_b32 s0, 0
	s_mov_b32 s18, s14
                                        ; implicit-def: $vgpr2_vgpr3
	s_branch .LBB248_595
.LBB248_520:
	s_mov_b32 s1, -1
	s_mov_b32 s0, 0
	s_mov_b32 s18, s14
                                        ; implicit-def: $vgpr2_vgpr3
	s_branch .LBB248_561
.LBB248_521:
	s_mov_b32 s1, -1
	s_mov_b32 s0, 0
	s_mov_b32 s18, s14
                                        ; implicit-def: $vgpr2_vgpr3
	s_branch .LBB248_540
.LBB248_522:
	s_mov_b32 s1, -1
	s_mov_b32 s0, 0
	s_mov_b32 s18, s14
                                        ; implicit-def: $vgpr2_vgpr3
	s_branch .LBB248_535
.LBB248_523:
	s_or_saveexec_b32 s17, s17
                                        ; implicit-def: $sgpr18
	s_delay_alu instid0(SALU_CYCLE_1)
	s_xor_b32 exec_lo, exec_lo, s17
	s_cbranch_execz .LBB248_347
.LBB248_524:
	v_add_f32_e64 v3, 0x46000000, |v2|
	s_and_not1_b32 s15, s15, exec_lo
	s_mov_b32 s18, 0
	s_delay_alu instid0(VALU_DEP_1) | instskip(NEXT) | instid1(VALU_DEP_1)
	v_and_b32_e32 v3, 0xff, v3
	v_cmp_ne_u32_e32 vcc_lo, 0, v3
	s_and_b32 s19, vcc_lo, exec_lo
	s_delay_alu instid0(SALU_CYCLE_1)
	s_or_b32 s15, s15, s19
	s_or_b32 exec_lo, exec_lo, s17
	v_mov_b32_e32 v7, s18
	s_and_saveexec_b32 s17, s15
	s_cbranch_execnz .LBB248_348
	s_branch .LBB248_349
.LBB248_525:
	s_mov_b32 s1, -1
	s_mov_b32 s0, 0
	s_mov_b32 s18, s14
	s_branch .LBB248_529
.LBB248_526:
	s_or_saveexec_b32 s17, s17
                                        ; implicit-def: $sgpr18
	s_delay_alu instid0(SALU_CYCLE_1)
	s_xor_b32 exec_lo, exec_lo, s17
	s_cbranch_execz .LBB248_360
.LBB248_527:
	v_add_f32_e64 v3, 0x42800000, |v2|
	s_and_not1_b32 s15, s15, exec_lo
	s_mov_b32 s18, 0
	s_delay_alu instid0(VALU_DEP_1) | instskip(NEXT) | instid1(VALU_DEP_1)
	v_and_b32_e32 v3, 0xff, v3
	v_cmp_ne_u32_e32 vcc_lo, 0, v3
	s_and_b32 s19, vcc_lo, exec_lo
	s_delay_alu instid0(SALU_CYCLE_1)
	s_or_b32 s15, s15, s19
	s_or_b32 exec_lo, exec_lo, s17
	v_mov_b32_e32 v7, s18
	s_and_saveexec_b32 s17, s15
	s_cbranch_execnz .LBB248_361
	s_branch .LBB248_362
.LBB248_528:
	s_mov_b32 s18, -1
	s_mov_b32 s0, 0
.LBB248_529:
                                        ; implicit-def: $vgpr2_vgpr3
.LBB248_530:
	s_and_b32 vcc_lo, exec_lo, s1
	s_cbranch_vccz .LBB248_534
; %bb.531:
	v_cmp_eq_u16_e32 vcc_lo, 44, v12
	s_cbranch_vccz .LBB248_533
; %bb.532:
	global_load_u8 v4, v[0:1], off
	s_mov_b32 s18, 0
	s_mov_b32 s0, -1
	s_waitcnt vmcnt(0)
	v_cmp_ne_u32_e32 vcc_lo, 0xff, v4
	v_lshlrev_b32_e32 v2, 23, v4
	s_delay_alu instid0(VALU_DEP_1) | instskip(NEXT) | instid1(VALU_DEP_1)
	v_cvt_f64_f32_e32 v[2:3], v2
	v_cndmask_b32_e32 v3, 0x7ff80000, v3, vcc_lo
	s_delay_alu instid0(VALU_DEP_2) | instskip(SKIP_1) | instid1(VALU_DEP_3)
	v_cndmask_b32_e32 v2, 0x20000000, v2, vcc_lo
	v_cmp_ne_u32_e32 vcc_lo, 0, v4
	v_cndmask_b32_e32 v3, 0x38000000, v3, vcc_lo
	s_delay_alu instid0(VALU_DEP_3)
	v_cndmask_b32_e32 v2, 0, v2, vcc_lo
	s_branch .LBB248_534
.LBB248_533:
	s_mov_b32 s18, -1
                                        ; implicit-def: $vgpr2_vgpr3
.LBB248_534:
	s_mov_b32 s1, 0
.LBB248_535:
	s_delay_alu instid0(SALU_CYCLE_1)
	s_and_b32 vcc_lo, exec_lo, s1
	s_cbranch_vccz .LBB248_539
; %bb.536:
	v_cmp_eq_u16_e32 vcc_lo, 29, v12
	s_cbranch_vccz .LBB248_538
; %bb.537:
	global_load_b64 v[2:3], v[0:1], off
	s_mov_b32 s0, -1
	s_mov_b32 s18, 0
	s_mov_b32 s1, 0
	s_waitcnt vmcnt(0)
	v_cvt_f64_u32_e32 v[3:4], v3
	v_cvt_f64_u32_e32 v[5:6], v2
	s_delay_alu instid0(VALU_DEP_2) | instskip(NEXT) | instid1(VALU_DEP_1)
	v_ldexp_f64 v[3:4], v[3:4], 32
	v_add_f64 v[2:3], v[3:4], v[5:6]
	s_branch .LBB248_540
.LBB248_538:
	s_mov_b32 s18, -1
                                        ; implicit-def: $vgpr2_vgpr3
.LBB248_539:
	s_mov_b32 s1, 0
.LBB248_540:
	s_delay_alu instid0(SALU_CYCLE_1)
	s_and_b32 vcc_lo, exec_lo, s1
	s_cbranch_vccz .LBB248_560
; %bb.541:
	v_cmp_gt_i16_e32 vcc_lo, 27, v12
	s_cbranch_vccnz .LBB248_544
; %bb.542:
	v_cmp_lt_i16_e32 vcc_lo, 27, v12
	s_cbranch_vccz .LBB248_545
; %bb.543:
	global_load_b32 v2, v[0:1], off
	s_mov_b32 s0, 0
	s_waitcnt vmcnt(0)
	v_cvt_f64_u32_e32 v[2:3], v2
	s_branch .LBB248_546
.LBB248_544:
	s_mov_b32 s0, -1
                                        ; implicit-def: $vgpr2_vgpr3
	s_branch .LBB248_549
.LBB248_545:
	s_mov_b32 s0, -1
                                        ; implicit-def: $vgpr2_vgpr3
.LBB248_546:
	s_delay_alu instid0(SALU_CYCLE_1)
	s_and_not1_b32 vcc_lo, exec_lo, s0
	s_cbranch_vccnz .LBB248_548
; %bb.547:
	global_load_u16 v2, v[0:1], off
	s_waitcnt vmcnt(0)
	v_cvt_f64_u32_e32 v[2:3], v2
.LBB248_548:
	s_mov_b32 s0, 0
.LBB248_549:
	s_delay_alu instid0(SALU_CYCLE_1)
	s_and_not1_b32 vcc_lo, exec_lo, s0
	s_cbranch_vccnz .LBB248_559
; %bb.550:
	global_load_u8 v4, v[0:1], off
	s_mov_b32 s19, 0
	s_mov_b32 s20, exec_lo
                                        ; implicit-def: $sgpr0_sgpr1
	s_waitcnt vmcnt(0)
	v_cmpx_lt_i16_e32 0x7f, v4
	s_xor_b32 s20, exec_lo, s20
	s_cbranch_execz .LBB248_554
; %bb.551:
	s_mov_b32 s21, -1
	s_mov_b32 s19, exec_lo
                                        ; implicit-def: $sgpr0_sgpr1
	v_cmpx_eq_u16_e32 0x80, v4
; %bb.552:
	s_mov_b32 s1, 0x7ff80000
	s_brev_b32 s0, 4
	s_xor_b32 s21, exec_lo, -1
; %bb.553:
	s_or_b32 exec_lo, exec_lo, s19
	s_delay_alu instid0(SALU_CYCLE_1)
	s_and_b32 s19, s21, exec_lo
.LBB248_554:
	s_or_saveexec_b32 s20, s20
	v_dual_mov_b32 v3, s1 :: v_dual_mov_b32 v2, s0
	s_xor_b32 exec_lo, exec_lo, s20
; %bb.555:
	v_cmp_ne_u16_e32 vcc_lo, 0, v4
	v_mov_b32_e32 v2, 0
	v_mov_b32_e32 v3, 0
	s_and_not1_b32 s0, s19, exec_lo
	s_and_b32 s1, vcc_lo, exec_lo
	s_delay_alu instid0(SALU_CYCLE_1)
	s_or_b32 s19, s0, s1
; %bb.556:
	s_or_b32 exec_lo, exec_lo, s20
	s_and_saveexec_b32 s0, s19
	s_cbranch_execz .LBB248_558
; %bb.557:
	v_and_b32_e32 v2, 0xffff, v4
	v_lshlrev_b32_e32 v4, 24, v4
	s_delay_alu instid0(VALU_DEP_2) | instskip(NEXT) | instid1(VALU_DEP_2)
	v_and_b32_e32 v3, 7, v2
	v_and_b32_e32 v4, 0x80000000, v4
	s_delay_alu instid0(VALU_DEP_2) | instskip(NEXT) | instid1(VALU_DEP_1)
	v_clz_i32_u32_e32 v5, v3
	v_min_u32_e32 v5, 32, v5
	s_delay_alu instid0(VALU_DEP_1) | instskip(SKIP_1) | instid1(VALU_DEP_2)
	v_subrev_nc_u32_e32 v6, 28, v5
	v_sub_nc_u32_e32 v5, 29, v5
	v_lshlrev_b32_e32 v6, v6, v2
	v_bfe_u32 v2, v2, 3, 4
	s_delay_alu instid0(VALU_DEP_2) | instskip(NEXT) | instid1(VALU_DEP_2)
	v_and_b32_e32 v6, 7, v6
	v_cmp_eq_u32_e32 vcc_lo, 0, v2
	s_delay_alu instid0(VALU_DEP_2) | instskip(NEXT) | instid1(VALU_DEP_1)
	v_dual_cndmask_b32 v2, v2, v5 :: v_dual_cndmask_b32 v3, v3, v6
	v_lshl_add_u32 v2, v2, 23, 0x3b800000
	s_delay_alu instid0(VALU_DEP_2) | instskip(NEXT) | instid1(VALU_DEP_1)
	v_lshlrev_b32_e32 v3, 20, v3
	v_or3_b32 v2, v4, v2, v3
	s_delay_alu instid0(VALU_DEP_1)
	v_cvt_f64_f32_e32 v[2:3], v2
.LBB248_558:
	s_or_b32 exec_lo, exec_lo, s0
.LBB248_559:
	s_mov_b32 s0, -1
.LBB248_560:
	s_mov_b32 s1, 0
.LBB248_561:
	s_delay_alu instid0(SALU_CYCLE_1)
	s_and_b32 vcc_lo, exec_lo, s1
	s_cbranch_vccz .LBB248_594
; %bb.562:
	v_cmp_lt_i16_e32 vcc_lo, 22, v12
	s_cbranch_vccz .LBB248_574
; %bb.563:
	v_cmp_gt_i16_e32 vcc_lo, 24, v12
	s_cbranch_vccnz .LBB248_575
; %bb.564:
	v_cmp_lt_i16_e32 vcc_lo, 24, v12
	s_cbranch_vccz .LBB248_576
; %bb.565:
	global_load_u8 v4, v[0:1], off
	s_mov_b32 s19, 0
	s_mov_b32 s20, exec_lo
                                        ; implicit-def: $sgpr0_sgpr1
	s_waitcnt vmcnt(0)
	v_cmpx_lt_i16_e32 0x7f, v4
	s_xor_b32 s20, exec_lo, s20
	s_cbranch_execz .LBB248_569
; %bb.566:
	s_mov_b32 s21, -1
	s_mov_b32 s19, exec_lo
                                        ; implicit-def: $sgpr0_sgpr1
	v_cmpx_eq_u16_e32 0x80, v4
; %bb.567:
	s_mov_b32 s1, 0x7ff80000
	s_brev_b32 s0, 4
	s_xor_b32 s21, exec_lo, -1
; %bb.568:
	s_or_b32 exec_lo, exec_lo, s19
	s_delay_alu instid0(SALU_CYCLE_1)
	s_and_b32 s19, s21, exec_lo
.LBB248_569:
	s_or_saveexec_b32 s20, s20
	v_dual_mov_b32 v3, s1 :: v_dual_mov_b32 v2, s0
	s_xor_b32 exec_lo, exec_lo, s20
; %bb.570:
	v_cmp_ne_u16_e32 vcc_lo, 0, v4
	v_mov_b32_e32 v2, 0
	v_mov_b32_e32 v3, 0
	s_and_not1_b32 s0, s19, exec_lo
	s_and_b32 s1, vcc_lo, exec_lo
	s_delay_alu instid0(SALU_CYCLE_1)
	s_or_b32 s19, s0, s1
; %bb.571:
	s_or_b32 exec_lo, exec_lo, s20
	s_and_saveexec_b32 s0, s19
	s_cbranch_execz .LBB248_573
; %bb.572:
	v_and_b32_e32 v2, 0xffff, v4
	v_lshlrev_b32_e32 v4, 24, v4
	s_delay_alu instid0(VALU_DEP_2) | instskip(NEXT) | instid1(VALU_DEP_2)
	v_and_b32_e32 v3, 3, v2
	v_and_b32_e32 v4, 0x80000000, v4
	s_delay_alu instid0(VALU_DEP_2) | instskip(NEXT) | instid1(VALU_DEP_1)
	v_clz_i32_u32_e32 v5, v3
	v_min_u32_e32 v5, 32, v5
	s_delay_alu instid0(VALU_DEP_1) | instskip(SKIP_1) | instid1(VALU_DEP_2)
	v_subrev_nc_u32_e32 v6, 29, v5
	v_sub_nc_u32_e32 v5, 30, v5
	v_lshlrev_b32_e32 v6, v6, v2
	v_bfe_u32 v2, v2, 2, 5
	s_delay_alu instid0(VALU_DEP_2) | instskip(NEXT) | instid1(VALU_DEP_2)
	v_and_b32_e32 v6, 3, v6
	v_cmp_eq_u32_e32 vcc_lo, 0, v2
	s_delay_alu instid0(VALU_DEP_2) | instskip(NEXT) | instid1(VALU_DEP_1)
	v_dual_cndmask_b32 v2, v2, v5 :: v_dual_cndmask_b32 v3, v3, v6
	v_lshl_add_u32 v2, v2, 23, 0x37800000
	s_delay_alu instid0(VALU_DEP_2) | instskip(NEXT) | instid1(VALU_DEP_1)
	v_lshlrev_b32_e32 v3, 21, v3
	v_or3_b32 v2, v4, v2, v3
	s_delay_alu instid0(VALU_DEP_1)
	v_cvt_f64_f32_e32 v[2:3], v2
.LBB248_573:
	s_or_b32 exec_lo, exec_lo, s0
	s_mov_b32 s0, 0
	s_branch .LBB248_577
.LBB248_574:
	s_mov_b32 s1, -1
                                        ; implicit-def: $vgpr2_vgpr3
	s_branch .LBB248_583
.LBB248_575:
	s_mov_b32 s0, -1
                                        ; implicit-def: $vgpr2_vgpr3
	s_branch .LBB248_580
.LBB248_576:
	s_mov_b32 s0, -1
                                        ; implicit-def: $vgpr2_vgpr3
.LBB248_577:
	s_delay_alu instid0(SALU_CYCLE_1)
	s_and_b32 vcc_lo, exec_lo, s0
	s_cbranch_vccz .LBB248_579
; %bb.578:
	global_load_u8 v2, v[0:1], off
	s_waitcnt vmcnt(0)
	v_lshlrev_b32_e32 v2, 24, v2
	s_delay_alu instid0(VALU_DEP_1) | instskip(NEXT) | instid1(VALU_DEP_1)
	v_and_b32_e32 v3, 0x7f000000, v2
	v_clz_i32_u32_e32 v4, v3
	v_add_nc_u32_e32 v6, 0x1000000, v3
	v_cmp_ne_u32_e32 vcc_lo, 0, v3
	s_delay_alu instid0(VALU_DEP_3) | instskip(NEXT) | instid1(VALU_DEP_1)
	v_min_u32_e32 v4, 32, v4
	v_sub_nc_u32_e64 v4, v4, 4 clamp
	s_delay_alu instid0(VALU_DEP_1) | instskip(SKIP_1) | instid1(VALU_DEP_2)
	v_lshlrev_b32_e32 v5, v4, v3
	v_lshlrev_b32_e32 v4, 23, v4
	v_lshrrev_b32_e32 v5, 4, v5
	s_delay_alu instid0(VALU_DEP_1) | instskip(SKIP_1) | instid1(VALU_DEP_2)
	v_sub_nc_u32_e32 v4, v5, v4
	v_ashrrev_i32_e32 v5, 8, v6
	v_add_nc_u32_e32 v4, 0x3c000000, v4
	s_delay_alu instid0(VALU_DEP_1) | instskip(NEXT) | instid1(VALU_DEP_1)
	v_and_or_b32 v4, 0x7f800000, v5, v4
	v_cndmask_b32_e32 v3, 0, v4, vcc_lo
	s_delay_alu instid0(VALU_DEP_1) | instskip(NEXT) | instid1(VALU_DEP_1)
	v_and_or_b32 v2, 0x80000000, v2, v3
	v_cvt_f64_f32_e32 v[2:3], v2
.LBB248_579:
	s_mov_b32 s0, 0
.LBB248_580:
	s_delay_alu instid0(SALU_CYCLE_1)
	s_and_not1_b32 vcc_lo, exec_lo, s0
	s_cbranch_vccnz .LBB248_582
; %bb.581:
	global_load_u8 v2, v[0:1], off
	s_waitcnt vmcnt(0)
	v_lshlrev_b32_e32 v3, 25, v2
	v_lshlrev_b16 v2, 8, v2
	s_delay_alu instid0(VALU_DEP_2) | instskip(NEXT) | instid1(VALU_DEP_2)
	v_lshrrev_b32_e32 v4, 4, v3
	v_and_or_b32 v5, 0x7f00, v2, 0.5
	v_bfe_i32 v2, v2, 0, 16
	s_delay_alu instid0(VALU_DEP_3) | instskip(NEXT) | instid1(VALU_DEP_1)
	v_or_b32_e32 v4, 0x70000000, v4
	v_dual_add_f32 v5, -0.5, v5 :: v_dual_mul_f32 v4, 0x7800000, v4
	v_cmp_gt_u32_e32 vcc_lo, 0x8000000, v3
	s_delay_alu instid0(VALU_DEP_2) | instskip(NEXT) | instid1(VALU_DEP_1)
	v_cndmask_b32_e32 v3, v4, v5, vcc_lo
	v_and_or_b32 v2, 0x80000000, v2, v3
	s_delay_alu instid0(VALU_DEP_1)
	v_cvt_f64_f32_e32 v[2:3], v2
.LBB248_582:
	s_mov_b32 s1, 0
	s_mov_b32 s0, -1
.LBB248_583:
	s_and_not1_b32 vcc_lo, exec_lo, s1
	s_cbranch_vccnz .LBB248_594
; %bb.584:
	v_cmp_lt_i16_e32 vcc_lo, 14, v12
	s_cbranch_vccz .LBB248_587
; %bb.585:
	v_cmp_eq_u16_e32 vcc_lo, 15, v12
	s_cbranch_vccz .LBB248_588
; %bb.586:
	global_load_u16 v2, v[0:1], off
	s_mov_b32 s0, -1
	s_mov_b32 s18, 0
	s_waitcnt vmcnt(0)
	v_lshlrev_b32_e32 v2, 16, v2
	s_delay_alu instid0(VALU_DEP_1)
	v_cvt_f64_f32_e32 v[2:3], v2
	s_branch .LBB248_589
.LBB248_587:
	s_mov_b32 s1, -1
                                        ; implicit-def: $vgpr2_vgpr3
	s_branch .LBB248_590
.LBB248_588:
	s_mov_b32 s18, -1
                                        ; implicit-def: $vgpr2_vgpr3
.LBB248_589:
	s_mov_b32 s1, 0
.LBB248_590:
	s_delay_alu instid0(SALU_CYCLE_1)
	s_and_b32 vcc_lo, exec_lo, s1
	s_cbranch_vccz .LBB248_594
; %bb.591:
	v_cmp_eq_u16_e32 vcc_lo, 11, v12
	s_cbranch_vccz .LBB248_593
; %bb.592:
	global_load_u8 v2, v[0:1], off
	s_mov_b32 s18, 0
	s_mov_b32 s0, -1
	s_waitcnt vmcnt(0)
	v_cmp_ne_u16_e32 vcc_lo, 0, v2
	v_mov_b32_e32 v2, 0
	v_cndmask_b32_e64 v3, 0, 0x3ff00000, vcc_lo
	s_branch .LBB248_594
.LBB248_593:
	s_mov_b32 s18, -1
                                        ; implicit-def: $vgpr2_vgpr3
.LBB248_594:
	s_mov_b32 s1, 0
.LBB248_595:
	s_delay_alu instid0(SALU_CYCLE_1)
	s_and_b32 vcc_lo, exec_lo, s1
	s_cbranch_vccz .LBB248_644
; %bb.596:
	v_cmp_gt_i16_e32 vcc_lo, 5, v12
	s_cbranch_vccnz .LBB248_601
; %bb.597:
	v_cmp_gt_i16_e32 vcc_lo, 8, v12
	s_cbranch_vccnz .LBB248_602
	;; [unrolled: 3-line block ×3, first 2 shown]
; %bb.599:
	v_cmp_lt_i16_e32 vcc_lo, 9, v12
	s_cbranch_vccz .LBB248_604
; %bb.600:
	global_load_b64 v[2:3], v[0:1], off
	s_mov_b32 s0, 0
	s_branch .LBB248_605
.LBB248_601:
	s_mov_b32 s0, -1
                                        ; implicit-def: $vgpr2_vgpr3
	s_branch .LBB248_623
.LBB248_602:
	s_mov_b32 s0, -1
                                        ; implicit-def: $vgpr2_vgpr3
	s_branch .LBB248_611
.LBB248_603:
	s_mov_b32 s0, -1
                                        ; implicit-def: $vgpr2_vgpr3
	s_branch .LBB248_608
.LBB248_604:
	s_mov_b32 s0, -1
                                        ; implicit-def: $vgpr2_vgpr3
.LBB248_605:
	s_delay_alu instid0(SALU_CYCLE_1)
	s_and_not1_b32 vcc_lo, exec_lo, s0
	s_cbranch_vccnz .LBB248_607
; %bb.606:
	global_load_b32 v2, v[0:1], off
	s_waitcnt vmcnt(0)
	v_cvt_f64_f32_e32 v[2:3], v2
.LBB248_607:
	s_mov_b32 s0, 0
.LBB248_608:
	s_delay_alu instid0(SALU_CYCLE_1)
	s_and_not1_b32 vcc_lo, exec_lo, s0
	s_cbranch_vccnz .LBB248_610
; %bb.609:
	global_load_b32 v2, v[0:1], off
	s_waitcnt vmcnt(0)
	v_cvt_f32_f16_e32 v2, v2
	s_delay_alu instid0(VALU_DEP_1)
	v_cvt_f64_f32_e32 v[2:3], v2
.LBB248_610:
	s_mov_b32 s0, 0
.LBB248_611:
	s_delay_alu instid0(SALU_CYCLE_1)
	s_and_not1_b32 vcc_lo, exec_lo, s0
	s_cbranch_vccnz .LBB248_622
; %bb.612:
	v_cmp_gt_i16_e32 vcc_lo, 6, v12
	s_cbranch_vccnz .LBB248_615
; %bb.613:
	v_cmp_lt_i16_e32 vcc_lo, 6, v12
	s_cbranch_vccz .LBB248_616
; %bb.614:
	global_load_b64 v[2:3], v[0:1], off
	s_mov_b32 s0, 0
	s_branch .LBB248_617
.LBB248_615:
	s_mov_b32 s0, -1
                                        ; implicit-def: $vgpr2_vgpr3
	s_branch .LBB248_620
.LBB248_616:
	s_mov_b32 s0, -1
                                        ; implicit-def: $vgpr2_vgpr3
.LBB248_617:
	s_delay_alu instid0(SALU_CYCLE_1)
	s_and_not1_b32 vcc_lo, exec_lo, s0
	s_cbranch_vccnz .LBB248_619
; %bb.618:
	global_load_b32 v2, v[0:1], off
	s_waitcnt vmcnt(0)
	v_cvt_f64_f32_e32 v[2:3], v2
.LBB248_619:
	s_mov_b32 s0, 0
.LBB248_620:
	s_delay_alu instid0(SALU_CYCLE_1)
	s_and_not1_b32 vcc_lo, exec_lo, s0
	s_cbranch_vccnz .LBB248_622
; %bb.621:
	global_load_u16 v2, v[0:1], off
	s_waitcnt vmcnt(0)
	v_cvt_f32_f16_e32 v2, v2
	s_delay_alu instid0(VALU_DEP_1)
	v_cvt_f64_f32_e32 v[2:3], v2
.LBB248_622:
	s_mov_b32 s0, 0
.LBB248_623:
	s_delay_alu instid0(SALU_CYCLE_1)
	s_and_not1_b32 vcc_lo, exec_lo, s0
	s_cbranch_vccnz .LBB248_643
; %bb.624:
	v_cmp_gt_i16_e32 vcc_lo, 2, v12
	s_cbranch_vccnz .LBB248_628
; %bb.625:
	v_cmp_gt_i16_e32 vcc_lo, 3, v12
	s_cbranch_vccnz .LBB248_629
; %bb.626:
	v_cmp_lt_i16_e32 vcc_lo, 3, v12
	s_cbranch_vccz .LBB248_630
; %bb.627:
	global_load_b64 v[2:3], v[0:1], off
	s_mov_b32 s0, 0
	s_waitcnt vmcnt(0)
	v_cvt_f64_i32_e32 v[3:4], v3
	v_cvt_f64_u32_e32 v[5:6], v2
	s_delay_alu instid0(VALU_DEP_2) | instskip(NEXT) | instid1(VALU_DEP_1)
	v_ldexp_f64 v[3:4], v[3:4], 32
	v_add_f64 v[2:3], v[3:4], v[5:6]
	s_branch .LBB248_631
.LBB248_628:
	s_mov_b32 s0, -1
                                        ; implicit-def: $vgpr2_vgpr3
	s_branch .LBB248_637
.LBB248_629:
	s_mov_b32 s0, -1
                                        ; implicit-def: $vgpr2_vgpr3
	s_branch .LBB248_634
.LBB248_630:
	s_mov_b32 s0, -1
                                        ; implicit-def: $vgpr2_vgpr3
.LBB248_631:
	s_delay_alu instid0(SALU_CYCLE_1)
	s_and_not1_b32 vcc_lo, exec_lo, s0
	s_cbranch_vccnz .LBB248_633
; %bb.632:
	global_load_b32 v2, v[0:1], off
	s_waitcnt vmcnt(0)
	v_cvt_f64_i32_e32 v[2:3], v2
.LBB248_633:
	s_mov_b32 s0, 0
.LBB248_634:
	s_delay_alu instid0(SALU_CYCLE_1)
	s_and_not1_b32 vcc_lo, exec_lo, s0
	s_cbranch_vccnz .LBB248_636
; %bb.635:
	global_load_i16 v2, v[0:1], off
	s_waitcnt vmcnt(0)
	v_cvt_f64_i32_e32 v[2:3], v2
.LBB248_636:
	s_mov_b32 s0, 0
.LBB248_637:
	s_delay_alu instid0(SALU_CYCLE_1)
	s_and_not1_b32 vcc_lo, exec_lo, s0
	s_cbranch_vccnz .LBB248_643
; %bb.638:
	v_cmp_lt_i16_e32 vcc_lo, 0, v12
	s_mov_b32 s0, 0
	s_cbranch_vccz .LBB248_640
; %bb.639:
	global_load_i8 v2, v[0:1], off
	s_waitcnt vmcnt(0)
	v_cvt_f64_i32_e32 v[2:3], v2
	s_branch .LBB248_641
.LBB248_640:
	s_mov_b32 s0, -1
                                        ; implicit-def: $vgpr2_vgpr3
.LBB248_641:
	s_delay_alu instid0(SALU_CYCLE_1)
	s_and_not1_b32 vcc_lo, exec_lo, s0
	s_cbranch_vccnz .LBB248_643
; %bb.642:
	global_load_u8 v0, v[0:1], off
	s_waitcnt vmcnt(0)
	v_cvt_f64_u32_e32 v[2:3], v0
.LBB248_643:
	s_mov_b32 s0, -1
.LBB248_644:
	s_delay_alu instid0(SALU_CYCLE_1)
	s_and_not1_b32 vcc_lo, exec_lo, s0
	s_cbranch_vccnz .LBB248_652
; %bb.645:
	s_waitcnt vmcnt(0)
	s_delay_alu instid0(VALU_DEP_1) | instskip(SKIP_3) | instid1(VALU_DEP_1)
	v_cmp_gt_f64_e32 vcc_lo, 0x10000000, v[2:3]
	s_mov_b32 s19, 0
	s_mov_b32 s20, -1
	v_cndmask_b32_e64 v0, 0, 1, vcc_lo
	v_lshlrev_b32_e32 v0, 8, v0
	s_delay_alu instid0(VALU_DEP_1) | instskip(NEXT) | instid1(VALU_DEP_1)
	v_ldexp_f64 v[0:1], v[2:3], v0
	v_rsq_f64_e32 v[2:3], v[0:1]
	s_waitcnt_depctr 0xfff
	v_mul_f64 v[4:5], v[0:1], v[2:3]
	v_mul_f64 v[2:3], v[2:3], 0.5
	s_delay_alu instid0(VALU_DEP_1) | instskip(NEXT) | instid1(VALU_DEP_1)
	v_fma_f64 v[6:7], -v[2:3], v[4:5], 0.5
	v_fma_f64 v[4:5], v[4:5], v[6:7], v[4:5]
	v_fma_f64 v[2:3], v[2:3], v[6:7], v[2:3]
	s_delay_alu instid0(VALU_DEP_2) | instskip(NEXT) | instid1(VALU_DEP_1)
	v_fma_f64 v[6:7], -v[4:5], v[4:5], v[0:1]
	v_fma_f64 v[4:5], v[6:7], v[2:3], v[4:5]
	s_delay_alu instid0(VALU_DEP_1) | instskip(NEXT) | instid1(VALU_DEP_1)
	v_fma_f64 v[6:7], -v[4:5], v[4:5], v[0:1]
	v_fma_f64 v[2:3], v[6:7], v[2:3], v[4:5]
	v_cndmask_b32_e64 v4, 0, 0xffffff80, vcc_lo
	v_cmp_class_f64_e64 vcc_lo, v[0:1], 0x260
	v_and_b32_e32 v6, 0xff, v10
	s_delay_alu instid0(VALU_DEP_1) | instskip(NEXT) | instid1(VALU_DEP_4)
	v_cmp_gt_i16_e64 s0, 11, v6
	v_ldexp_f64 v[2:3], v[2:3], v4
	v_mul_lo_u32 v4, v11, s2
	s_delay_alu instid0(VALU_DEP_1) | instskip(SKIP_1) | instid1(VALU_DEP_1)
	v_ashrrev_i32_e32 v5, 31, v4
	v_add_co_u32 v4, s1, s4, v4
	v_add_co_ci_u32_e64 v5, s1, s5, v5, s1
	v_dual_cndmask_b32 v1, v3, v1 :: v_dual_cndmask_b32 v0, v2, v0
	s_and_b32 vcc_lo, exec_lo, s0
	s_mov_b32 s0, s15
	s_cbranch_vccnz .LBB248_653
; %bb.646:
	v_cmp_lt_i16_e32 vcc_lo, 25, v6
	s_cbranch_vccz .LBB248_694
; %bb.647:
	v_cmp_lt_i16_e32 vcc_lo, 28, v6
	s_cbranch_vccz .LBB248_695
	;; [unrolled: 3-line block ×4, first 2 shown]
; %bb.650:
	v_cmp_eq_u16_e32 vcc_lo, 46, v6
	s_mov_b32 s1, 0
	s_mov_b32 s0, -1
	s_cbranch_vccz .LBB248_698
; %bb.651:
	v_cvt_f32_f64_e32 v2, v[0:1]
	s_mov_b32 s19, -1
	s_mov_b32 s0, 0
	s_delay_alu instid0(VALU_DEP_1) | instskip(SKIP_1) | instid1(VALU_DEP_2)
	v_bfe_u32 v3, v2, 16, 1
	v_cmp_o_f32_e32 vcc_lo, v2, v2
	v_add3_u32 v3, v2, v3, 0x7fff
	s_delay_alu instid0(VALU_DEP_1) | instskip(NEXT) | instid1(VALU_DEP_1)
	v_lshrrev_b32_e32 v3, 16, v3
	v_cndmask_b32_e32 v2, 0x7fc0, v3, vcc_lo
	global_store_b32 v[4:5], v2, off
	s_branch .LBB248_698
.LBB248_652:
	s_mov_b32 s1, 0
	s_mov_b32 s0, s15
	s_branch .LBB248_693
.LBB248_653:
	s_and_b32 vcc_lo, exec_lo, s20
	s_cbranch_vccz .LBB248_767
; %bb.654:
	v_cmp_gt_i16_e32 vcc_lo, 5, v6
	s_mov_b32 s1, -1
	s_cbranch_vccnz .LBB248_675
; %bb.655:
	v_cmp_gt_i16_e32 vcc_lo, 8, v6
	s_cbranch_vccnz .LBB248_665
; %bb.656:
	v_cmp_gt_i16_e32 vcc_lo, 9, v6
	s_cbranch_vccnz .LBB248_662
; %bb.657:
	v_cmp_lt_i16_e32 vcc_lo, 9, v6
	s_cbranch_vccz .LBB248_659
; %bb.658:
	v_mov_b32_e32 v2, 0
	s_mov_b32 s1, 0
	s_delay_alu instid0(VALU_DEP_1)
	v_mov_b32_e32 v3, v2
	global_store_b128 v[4:5], v[0:3], off
.LBB248_659:
	s_and_not1_b32 vcc_lo, exec_lo, s1
	s_cbranch_vccnz .LBB248_661
; %bb.660:
	v_cvt_f32_f64_e32 v2, v[0:1]
	v_mov_b32_e32 v3, 0
	global_store_b64 v[4:5], v[2:3], off
.LBB248_661:
	s_mov_b32 s1, 0
.LBB248_662:
	s_delay_alu instid0(SALU_CYCLE_1)
	s_and_not1_b32 vcc_lo, exec_lo, s1
	s_cbranch_vccnz .LBB248_664
; %bb.663:
	v_cvt_f32_f64_e32 v2, v[0:1]
	s_delay_alu instid0(VALU_DEP_1) | instskip(NEXT) | instid1(VALU_DEP_1)
	v_cvt_f16_f32_e32 v2, v2
	v_and_b32_e32 v2, 0xffff, v2
	global_store_b32 v[4:5], v2, off
.LBB248_664:
	s_mov_b32 s1, 0
.LBB248_665:
	s_delay_alu instid0(SALU_CYCLE_1)
	s_and_not1_b32 vcc_lo, exec_lo, s1
	s_cbranch_vccnz .LBB248_674
; %bb.666:
	v_cmp_gt_i16_e32 vcc_lo, 6, v6
	s_mov_b32 s1, -1
	s_cbranch_vccnz .LBB248_672
; %bb.667:
	v_cmp_lt_i16_e32 vcc_lo, 6, v6
	s_cbranch_vccz .LBB248_669
; %bb.668:
	s_mov_b32 s1, 0
	global_store_b64 v[4:5], v[0:1], off
.LBB248_669:
	s_and_not1_b32 vcc_lo, exec_lo, s1
	s_cbranch_vccnz .LBB248_671
; %bb.670:
	v_cvt_f32_f64_e32 v2, v[0:1]
	global_store_b32 v[4:5], v2, off
.LBB248_671:
	s_mov_b32 s1, 0
.LBB248_672:
	s_delay_alu instid0(SALU_CYCLE_1)
	s_and_not1_b32 vcc_lo, exec_lo, s1
	s_cbranch_vccnz .LBB248_674
; %bb.673:
	v_cvt_f32_f64_e32 v2, v[0:1]
	s_delay_alu instid0(VALU_DEP_1)
	v_cvt_f16_f32_e32 v2, v2
	global_store_b16 v[4:5], v2, off
.LBB248_674:
	s_mov_b32 s1, 0
.LBB248_675:
	s_delay_alu instid0(SALU_CYCLE_1)
	s_and_not1_b32 vcc_lo, exec_lo, s1
	s_cbranch_vccnz .LBB248_691
; %bb.676:
	v_cmp_gt_i16_e32 vcc_lo, 2, v6
	s_mov_b32 s1, -1
	s_cbranch_vccnz .LBB248_686
; %bb.677:
	v_cmp_gt_i16_e32 vcc_lo, 3, v6
	s_cbranch_vccnz .LBB248_683
; %bb.678:
	v_cmp_lt_i16_e32 vcc_lo, 3, v6
	s_cbranch_vccz .LBB248_680
; %bb.679:
	v_trunc_f64_e32 v[2:3], v[0:1]
	s_mov_b32 s1, 0
	s_delay_alu instid0(VALU_DEP_1) | instskip(NEXT) | instid1(VALU_DEP_1)
	v_ldexp_f64 v[7:8], v[2:3], 0xffffffe0
	v_floor_f64_e32 v[7:8], v[7:8]
	s_delay_alu instid0(VALU_DEP_1) | instskip(SKIP_1) | instid1(VALU_DEP_2)
	v_fma_f64 v[2:3], 0xc1f00000, v[7:8], v[2:3]
	v_cvt_i32_f64_e32 v8, v[7:8]
	v_cvt_u32_f64_e32 v7, v[2:3]
	global_store_b64 v[4:5], v[7:8], off
.LBB248_680:
	s_and_not1_b32 vcc_lo, exec_lo, s1
	s_cbranch_vccnz .LBB248_682
; %bb.681:
	v_cvt_i32_f64_e32 v2, v[0:1]
	global_store_b32 v[4:5], v2, off
.LBB248_682:
	s_mov_b32 s1, 0
.LBB248_683:
	s_delay_alu instid0(SALU_CYCLE_1)
	s_and_not1_b32 vcc_lo, exec_lo, s1
	s_cbranch_vccnz .LBB248_685
; %bb.684:
	v_cvt_i32_f64_e32 v2, v[0:1]
	global_store_b16 v[4:5], v2, off
.LBB248_685:
	s_mov_b32 s1, 0
.LBB248_686:
	s_delay_alu instid0(SALU_CYCLE_1)
	s_and_not1_b32 vcc_lo, exec_lo, s1
	s_cbranch_vccnz .LBB248_691
; %bb.687:
	v_cmp_lt_i16_e32 vcc_lo, 0, v6
	s_mov_b32 s1, -1
	s_cbranch_vccz .LBB248_689
; %bb.688:
	v_cvt_i32_f64_e32 v2, v[0:1]
	s_mov_b32 s1, 0
	global_store_b8 v[4:5], v2, off
.LBB248_689:
	s_and_not1_b32 vcc_lo, exec_lo, s1
	s_cbranch_vccnz .LBB248_691
; %bb.690:
	v_trunc_f64_e32 v[0:1], v[0:1]
	s_delay_alu instid0(VALU_DEP_1) | instskip(NEXT) | instid1(VALU_DEP_1)
	v_ldexp_f64 v[2:3], v[0:1], 0xffffffe0
	v_floor_f64_e32 v[2:3], v[2:3]
	s_delay_alu instid0(VALU_DEP_1) | instskip(NEXT) | instid1(VALU_DEP_1)
	v_fma_f64 v[0:1], 0xc1f00000, v[2:3], v[0:1]
	v_cvt_u32_f64_e32 v0, v[0:1]
	global_store_b8 v[4:5], v0, off
.LBB248_691:
	s_branch .LBB248_768
.LBB248_692:
	s_mov_b32 s1, 0
.LBB248_693:
                                        ; implicit-def: $vgpr11
	s_branch .LBB248_769
.LBB248_694:
	s_mov_b32 s1, -1
	s_mov_b32 s0, s15
	s_branch .LBB248_725
.LBB248_695:
	s_mov_b32 s1, -1
	s_mov_b32 s0, s15
	s_branch .LBB248_708
.LBB248_696:
	s_mov_b32 s1, -1
	s_mov_b32 s0, s15
	s_branch .LBB248_704
.LBB248_697:
	s_mov_b32 s1, -1
	s_mov_b32 s0, s15
.LBB248_698:
	s_and_b32 vcc_lo, exec_lo, s1
	s_cbranch_vccz .LBB248_703
; %bb.699:
	v_cmp_eq_u16_e32 vcc_lo, 44, v6
	s_mov_b32 s0, -1
	s_cbranch_vccz .LBB248_703
; %bb.700:
	v_cvt_f32_f64_e32 v2, v[0:1]
	v_mov_b32_e32 v3, 0xff
	s_mov_b32 s1, exec_lo
	s_delay_alu instid0(VALU_DEP_2) | instskip(NEXT) | instid1(VALU_DEP_1)
	v_bfe_u32 v7, v2, 23, 8
	v_cmpx_ne_u32_e32 0xff, v7
; %bb.701:
	v_and_b32_e32 v3, 0x400000, v2
	v_and_or_b32 v7, 0x3fffff, v2, v7
	v_lshrrev_b32_e32 v2, 23, v2
	s_delay_alu instid0(VALU_DEP_3) | instskip(NEXT) | instid1(VALU_DEP_3)
	v_cmp_ne_u32_e32 vcc_lo, 0, v3
	v_cmp_ne_u32_e64 s0, 0, v7
	s_delay_alu instid0(VALU_DEP_1) | instskip(NEXT) | instid1(SALU_CYCLE_1)
	s_and_b32 s0, vcc_lo, s0
	v_cndmask_b32_e64 v3, 0, 1, s0
	s_delay_alu instid0(VALU_DEP_1)
	v_add_nc_u32_e32 v3, v2, v3
; %bb.702:
	s_or_b32 exec_lo, exec_lo, s1
	s_mov_b32 s19, -1
	s_mov_b32 s0, 0
	global_store_b8 v[4:5], v3, off
.LBB248_703:
	s_mov_b32 s1, 0
.LBB248_704:
	s_delay_alu instid0(SALU_CYCLE_1)
	s_and_b32 vcc_lo, exec_lo, s1
	s_cbranch_vccz .LBB248_707
; %bb.705:
	v_cmp_eq_u16_e32 vcc_lo, 29, v6
	s_mov_b32 s0, -1
	s_cbranch_vccz .LBB248_707
; %bb.706:
	v_trunc_f64_e32 v[2:3], v[0:1]
	s_mov_b32 s19, -1
	s_mov_b32 s0, 0
	s_mov_b32 s1, 0
	s_delay_alu instid0(VALU_DEP_1) | instskip(NEXT) | instid1(VALU_DEP_1)
	v_ldexp_f64 v[7:8], v[2:3], 0xffffffe0
	v_floor_f64_e32 v[7:8], v[7:8]
	s_delay_alu instid0(VALU_DEP_1) | instskip(SKIP_1) | instid1(VALU_DEP_2)
	v_fma_f64 v[2:3], 0xc1f00000, v[7:8], v[2:3]
	v_cvt_u32_f64_e32 v8, v[7:8]
	v_cvt_u32_f64_e32 v7, v[2:3]
	global_store_b64 v[4:5], v[7:8], off
	s_branch .LBB248_708
.LBB248_707:
	s_mov_b32 s1, 0
.LBB248_708:
	s_delay_alu instid0(SALU_CYCLE_1)
	s_and_b32 vcc_lo, exec_lo, s1
	s_cbranch_vccz .LBB248_724
; %bb.709:
	v_cmp_gt_i16_e32 vcc_lo, 27, v6
	s_mov_b32 s1, -1
	s_cbranch_vccnz .LBB248_715
; %bb.710:
	v_cmp_lt_i16_e32 vcc_lo, 27, v6
	s_cbranch_vccz .LBB248_712
; %bb.711:
	v_cvt_u32_f64_e32 v2, v[0:1]
	s_mov_b32 s1, 0
	global_store_b32 v[4:5], v2, off
.LBB248_712:
	s_and_not1_b32 vcc_lo, exec_lo, s1
	s_cbranch_vccnz .LBB248_714
; %bb.713:
	v_cvt_u32_f64_e32 v2, v[0:1]
	global_store_b16 v[4:5], v2, off
.LBB248_714:
	s_mov_b32 s1, 0
.LBB248_715:
	s_delay_alu instid0(SALU_CYCLE_1)
	s_and_not1_b32 vcc_lo, exec_lo, s1
	s_cbranch_vccnz .LBB248_723
; %bb.716:
	v_cvt_f32_f64_e32 v2, v[0:1]
	v_mov_b32_e32 v7, 0x80
	s_mov_b32 s1, exec_lo
	s_delay_alu instid0(VALU_DEP_2) | instskip(NEXT) | instid1(VALU_DEP_1)
	v_and_b32_e32 v3, 0x7fffffff, v2
	v_cmpx_gt_u32_e32 0x43800000, v3
	s_cbranch_execz .LBB248_722
; %bb.717:
	v_cmp_lt_u32_e32 vcc_lo, 0x3bffffff, v3
	s_mov_b32 s19, 0
                                        ; implicit-def: $vgpr3
	s_and_saveexec_b32 s20, vcc_lo
	s_delay_alu instid0(SALU_CYCLE_1)
	s_xor_b32 s20, exec_lo, s20
	s_cbranch_execz .LBB248_783
; %bb.718:
	v_bfe_u32 v3, v2, 20, 1
	s_mov_b32 s19, exec_lo
	s_delay_alu instid0(VALU_DEP_1) | instskip(NEXT) | instid1(VALU_DEP_1)
	v_add3_u32 v3, v2, v3, 0x487ffff
	v_lshrrev_b32_e32 v3, 20, v3
	s_or_saveexec_b32 s20, s20
                                        ; implicit-def: $sgpr21
	s_delay_alu instid0(SALU_CYCLE_1)
	s_xor_b32 exec_lo, exec_lo, s20
	s_cbranch_execnz .LBB248_784
.LBB248_719:
	s_or_b32 exec_lo, exec_lo, s20
	v_mov_b32_e32 v7, s21
	s_and_saveexec_b32 s20, s19
.LBB248_720:
	v_lshrrev_b32_e32 v2, 24, v2
	s_delay_alu instid0(VALU_DEP_1)
	v_and_or_b32 v7, 0x80, v2, v3
.LBB248_721:
	s_or_b32 exec_lo, exec_lo, s20
.LBB248_722:
	s_delay_alu instid0(SALU_CYCLE_1)
	s_or_b32 exec_lo, exec_lo, s1
	global_store_b8 v[4:5], v7, off
.LBB248_723:
	s_mov_b32 s19, -1
.LBB248_724:
	s_mov_b32 s1, 0
.LBB248_725:
	s_delay_alu instid0(SALU_CYCLE_1)
	s_and_b32 vcc_lo, exec_lo, s1
	s_cbranch_vccz .LBB248_766
; %bb.726:
	v_cmp_lt_i16_e32 vcc_lo, 22, v6
	s_mov_b32 s1, -1
	s_cbranch_vccz .LBB248_758
; %bb.727:
	v_cmp_gt_i16_e32 vcc_lo, 24, v6
	s_cbranch_vccnz .LBB248_747
; %bb.728:
	v_cmp_lt_i16_e32 vcc_lo, 24, v6
	s_cbranch_vccz .LBB248_736
; %bb.729:
	v_cvt_f32_f64_e32 v2, v[0:1]
	v_mov_b32_e32 v7, 0x80
	s_mov_b32 s1, exec_lo
	s_delay_alu instid0(VALU_DEP_2) | instskip(NEXT) | instid1(VALU_DEP_1)
	v_and_b32_e32 v3, 0x7fffffff, v2
	v_cmpx_gt_u32_e32 0x47800000, v3
	s_cbranch_execz .LBB248_735
; %bb.730:
	v_cmp_lt_u32_e32 vcc_lo, 0x37ffffff, v3
	s_mov_b32 s19, 0
                                        ; implicit-def: $vgpr3
	s_and_saveexec_b32 s20, vcc_lo
	s_delay_alu instid0(SALU_CYCLE_1)
	s_xor_b32 s20, exec_lo, s20
	s_cbranch_execz .LBB248_786
; %bb.731:
	v_bfe_u32 v3, v2, 21, 1
	s_mov_b32 s19, exec_lo
	s_delay_alu instid0(VALU_DEP_1) | instskip(NEXT) | instid1(VALU_DEP_1)
	v_add3_u32 v3, v2, v3, 0x88fffff
	v_lshrrev_b32_e32 v3, 21, v3
	s_or_saveexec_b32 s20, s20
                                        ; implicit-def: $sgpr21
	s_delay_alu instid0(SALU_CYCLE_1)
	s_xor_b32 exec_lo, exec_lo, s20
	s_cbranch_execnz .LBB248_787
.LBB248_732:
	s_or_b32 exec_lo, exec_lo, s20
	v_mov_b32_e32 v7, s21
	s_and_saveexec_b32 s20, s19
.LBB248_733:
	v_lshrrev_b32_e32 v2, 24, v2
	s_delay_alu instid0(VALU_DEP_1)
	v_and_or_b32 v7, 0x80, v2, v3
.LBB248_734:
	s_or_b32 exec_lo, exec_lo, s20
.LBB248_735:
	s_delay_alu instid0(SALU_CYCLE_1)
	s_or_b32 exec_lo, exec_lo, s1
	s_mov_b32 s1, 0
	global_store_b8 v[4:5], v7, off
.LBB248_736:
	s_and_b32 vcc_lo, exec_lo, s1
	s_cbranch_vccz .LBB248_746
; %bb.737:
	v_cvt_f32_f64_e32 v2, v[0:1]
	s_mov_b32 s1, exec_lo
                                        ; implicit-def: $vgpr3
	s_delay_alu instid0(VALU_DEP_1) | instskip(NEXT) | instid1(VALU_DEP_1)
	v_and_b32_e32 v7, 0x7fffffff, v2
	v_cmpx_gt_u32_e32 0x43f00000, v7
	s_xor_b32 s1, exec_lo, s1
	s_cbranch_execz .LBB248_743
; %bb.738:
	s_mov_b32 s19, exec_lo
                                        ; implicit-def: $vgpr3
	v_cmpx_lt_u32_e32 0x3c7fffff, v7
	s_xor_b32 s19, exec_lo, s19
; %bb.739:
	v_bfe_u32 v3, v2, 20, 1
	s_delay_alu instid0(VALU_DEP_1) | instskip(NEXT) | instid1(VALU_DEP_1)
	v_add3_u32 v3, v2, v3, 0x407ffff
	v_and_b32_e32 v7, 0xff00000, v3
	v_lshrrev_b32_e32 v3, 20, v3
	s_delay_alu instid0(VALU_DEP_2) | instskip(NEXT) | instid1(VALU_DEP_2)
	v_cmp_ne_u32_e32 vcc_lo, 0x7f00000, v7
	v_cndmask_b32_e32 v3, 0x7e, v3, vcc_lo
; %bb.740:
	s_and_not1_saveexec_b32 s19, s19
; %bb.741:
	v_add_f32_e64 v3, 0x46800000, |v2|
; %bb.742:
	s_or_b32 exec_lo, exec_lo, s19
                                        ; implicit-def: $vgpr7
.LBB248_743:
	s_and_not1_saveexec_b32 s1, s1
; %bb.744:
	v_mov_b32_e32 v3, 0x7f
	v_cmp_lt_u32_e32 vcc_lo, 0x7f800000, v7
	s_delay_alu instid0(VALU_DEP_2)
	v_cndmask_b32_e32 v3, 0x7e, v3, vcc_lo
; %bb.745:
	s_or_b32 exec_lo, exec_lo, s1
	v_lshrrev_b32_e32 v2, 24, v2
	s_delay_alu instid0(VALU_DEP_1)
	v_and_or_b32 v2, 0x80, v2, v3
	global_store_b8 v[4:5], v2, off
.LBB248_746:
	s_mov_b32 s1, 0
.LBB248_747:
	s_delay_alu instid0(SALU_CYCLE_1)
	s_and_not1_b32 vcc_lo, exec_lo, s1
	s_cbranch_vccnz .LBB248_757
; %bb.748:
	v_cvt_f32_f64_e32 v2, v[0:1]
	s_mov_b32 s1, exec_lo
                                        ; implicit-def: $vgpr3
	s_delay_alu instid0(VALU_DEP_1) | instskip(NEXT) | instid1(VALU_DEP_1)
	v_and_b32_e32 v7, 0x7fffffff, v2
	v_cmpx_gt_u32_e32 0x47800000, v7
	s_xor_b32 s1, exec_lo, s1
	s_cbranch_execz .LBB248_754
; %bb.749:
	s_mov_b32 s19, exec_lo
                                        ; implicit-def: $vgpr3
	v_cmpx_lt_u32_e32 0x387fffff, v7
	s_xor_b32 s19, exec_lo, s19
; %bb.750:
	v_bfe_u32 v3, v2, 21, 1
	s_delay_alu instid0(VALU_DEP_1) | instskip(NEXT) | instid1(VALU_DEP_1)
	v_add3_u32 v3, v2, v3, 0x80fffff
	v_lshrrev_b32_e32 v3, 21, v3
; %bb.751:
	s_and_not1_saveexec_b32 s19, s19
; %bb.752:
	v_add_f32_e64 v3, 0x43000000, |v2|
; %bb.753:
	s_or_b32 exec_lo, exec_lo, s19
                                        ; implicit-def: $vgpr7
.LBB248_754:
	s_and_not1_saveexec_b32 s1, s1
; %bb.755:
	v_mov_b32_e32 v3, 0x7f
	v_cmp_lt_u32_e32 vcc_lo, 0x7f800000, v7
	s_delay_alu instid0(VALU_DEP_2)
	v_cndmask_b32_e32 v3, 0x7c, v3, vcc_lo
; %bb.756:
	s_or_b32 exec_lo, exec_lo, s1
	v_lshrrev_b32_e32 v2, 24, v2
	s_delay_alu instid0(VALU_DEP_1)
	v_and_or_b32 v2, 0x80, v2, v3
	global_store_b8 v[4:5], v2, off
.LBB248_757:
	s_mov_b32 s1, 0
	s_mov_b32 s19, -1
.LBB248_758:
	s_and_not1_b32 vcc_lo, exec_lo, s1
	s_cbranch_vccnz .LBB248_766
; %bb.759:
	v_cmp_lt_i16_e32 vcc_lo, 14, v6
	s_mov_b32 s1, -1
	s_cbranch_vccz .LBB248_763
; %bb.760:
	v_cmp_eq_u16_e32 vcc_lo, 15, v6
	s_mov_b32 s0, -1
	s_cbranch_vccz .LBB248_762
; %bb.761:
	v_cvt_f32_f64_e32 v2, v[0:1]
	s_mov_b32 s19, -1
	s_mov_b32 s0, 0
	s_delay_alu instid0(VALU_DEP_1) | instskip(SKIP_1) | instid1(VALU_DEP_2)
	v_bfe_u32 v3, v2, 16, 1
	v_cmp_o_f32_e32 vcc_lo, v2, v2
	v_add3_u32 v3, v2, v3, 0x7fff
	s_delay_alu instid0(VALU_DEP_1) | instskip(NEXT) | instid1(VALU_DEP_1)
	v_lshrrev_b32_e32 v3, 16, v3
	v_cndmask_b32_e32 v2, 0x7fc0, v3, vcc_lo
	global_store_b16 v[4:5], v2, off
.LBB248_762:
	s_mov_b32 s1, 0
.LBB248_763:
	s_delay_alu instid0(SALU_CYCLE_1)
	s_and_b32 vcc_lo, exec_lo, s1
	s_cbranch_vccz .LBB248_766
; %bb.764:
	v_cmp_eq_u16_e32 vcc_lo, 11, v6
	s_mov_b32 s0, -1
	s_cbranch_vccz .LBB248_766
; %bb.765:
	v_cmp_neq_f64_e32 vcc_lo, 0, v[0:1]
	s_mov_b32 s19, -1
	s_mov_b32 s0, 0
	v_cndmask_b32_e64 v2, 0, 1, vcc_lo
	global_store_b8 v[4:5], v2, off
.LBB248_766:
.LBB248_767:
	s_and_not1_b32 vcc_lo, exec_lo, s19
	s_cbranch_vccnz .LBB248_692
.LBB248_768:
	v_add_nc_u32_e32 v11, 0x80, v11
	s_mov_b32 s1, -1
.LBB248_769:
	s_and_not1_b32 s19, s15, exec_lo
	s_and_b32 s0, s0, exec_lo
	s_and_not1_b32 s20, s14, exec_lo
	s_and_b32 s18, s18, exec_lo
	s_or_b32 s19, s19, s0
	s_or_b32 s18, s20, s18
	s_or_not1_b32 s0, s1, exec_lo
.LBB248_770:
	s_or_b32 exec_lo, exec_lo, s17
	s_mov_b32 s1, 0
	s_mov_b32 s20, 0
	;; [unrolled: 1-line block ×3, first 2 shown]
                                        ; implicit-def: $vgpr0_vgpr1
                                        ; implicit-def: $vgpr2_vgpr3
	s_and_saveexec_b32 s17, s0
	s_cbranch_execz .LBB248_855
; %bb.771:
	v_cmp_gt_i32_e32 vcc_lo, s11, v11
	s_mov_b32 s0, 0
	s_mov_b32 s22, s18
	;; [unrolled: 1-line block ×3, first 2 shown]
                                        ; implicit-def: $vgpr0_vgpr1
                                        ; implicit-def: $vgpr2_vgpr3
	s_and_saveexec_b32 s11, vcc_lo
	s_cbranch_execz .LBB248_854
; %bb.772:
	v_mul_lo_u32 v0, v11, s3
	v_cmp_gt_i16_e32 vcc_lo, 11, v12
	s_delay_alu instid0(VALU_DEP_2) | instskip(SKIP_1) | instid1(VALU_DEP_1)
	v_ashrrev_i32_e32 v1, 31, v0
	v_add_co_u32 v0, s0, s6, v0
	v_add_co_ci_u32_e64 v1, s0, s7, v1, s0
	s_cbranch_vccnz .LBB248_779
; %bb.773:
	v_cmp_lt_i16_e32 vcc_lo, 25, v12
	s_cbranch_vccz .LBB248_780
; %bb.774:
	v_cmp_lt_i16_e32 vcc_lo, 28, v12
	s_cbranch_vccz .LBB248_781
	;; [unrolled: 3-line block ×4, first 2 shown]
; %bb.777:
	v_cmp_eq_u16_e32 vcc_lo, 46, v12
	s_cbranch_vccz .LBB248_788
; %bb.778:
	global_load_b32 v2, v[0:1], off
	s_mov_b32 s0, -1
	s_waitcnt vmcnt(0)
	v_lshlrev_b32_e32 v2, 16, v2
	s_delay_alu instid0(VALU_DEP_1)
	v_cvt_f64_f32_e32 v[2:3], v2
	s_branch .LBB248_790
.LBB248_779:
	s_mov_b32 s1, -1
	s_mov_b32 s0, 0
	s_mov_b32 s20, s18
                                        ; implicit-def: $vgpr2_vgpr3
	s_branch .LBB248_853
.LBB248_780:
	s_mov_b32 s1, -1
	s_mov_b32 s0, 0
	s_mov_b32 s20, s18
                                        ; implicit-def: $vgpr2_vgpr3
	s_branch .LBB248_821
.LBB248_781:
	s_mov_b32 s1, -1
	s_mov_b32 s0, 0
	s_mov_b32 s20, s18
                                        ; implicit-def: $vgpr2_vgpr3
	s_branch .LBB248_800
.LBB248_782:
	s_mov_b32 s1, -1
	s_mov_b32 s0, 0
	s_mov_b32 s20, s18
                                        ; implicit-def: $vgpr2_vgpr3
	s_branch .LBB248_795
.LBB248_783:
	s_or_saveexec_b32 s20, s20
                                        ; implicit-def: $sgpr21
	s_delay_alu instid0(SALU_CYCLE_1)
	s_xor_b32 exec_lo, exec_lo, s20
	s_cbranch_execz .LBB248_719
.LBB248_784:
	v_add_f32_e64 v3, 0x46000000, |v2|
	s_and_not1_b32 s19, s19, exec_lo
	s_mov_b32 s21, 0
	s_delay_alu instid0(VALU_DEP_1) | instskip(NEXT) | instid1(VALU_DEP_1)
	v_and_b32_e32 v3, 0xff, v3
	v_cmp_ne_u32_e32 vcc_lo, 0, v3
	s_and_b32 s22, vcc_lo, exec_lo
	s_delay_alu instid0(SALU_CYCLE_1)
	s_or_b32 s19, s19, s22
	s_or_b32 exec_lo, exec_lo, s20
	v_mov_b32_e32 v7, s21
	s_and_saveexec_b32 s20, s19
	s_cbranch_execnz .LBB248_720
	s_branch .LBB248_721
.LBB248_785:
	s_mov_b32 s1, -1
	s_mov_b32 s0, 0
	s_mov_b32 s20, s18
	s_branch .LBB248_789
.LBB248_786:
	s_or_saveexec_b32 s20, s20
                                        ; implicit-def: $sgpr21
	s_delay_alu instid0(SALU_CYCLE_1)
	s_xor_b32 exec_lo, exec_lo, s20
	s_cbranch_execz .LBB248_732
.LBB248_787:
	v_add_f32_e64 v3, 0x42800000, |v2|
	s_and_not1_b32 s19, s19, exec_lo
	s_mov_b32 s21, 0
	s_delay_alu instid0(VALU_DEP_1) | instskip(NEXT) | instid1(VALU_DEP_1)
	v_and_b32_e32 v3, 0xff, v3
	v_cmp_ne_u32_e32 vcc_lo, 0, v3
	s_and_b32 s22, vcc_lo, exec_lo
	s_delay_alu instid0(SALU_CYCLE_1)
	s_or_b32 s19, s19, s22
	s_or_b32 exec_lo, exec_lo, s20
	v_mov_b32_e32 v7, s21
	s_and_saveexec_b32 s20, s19
	s_cbranch_execnz .LBB248_733
	s_branch .LBB248_734
.LBB248_788:
	s_mov_b32 s20, -1
	s_mov_b32 s0, 0
.LBB248_789:
                                        ; implicit-def: $vgpr2_vgpr3
.LBB248_790:
	s_and_b32 vcc_lo, exec_lo, s1
	s_cbranch_vccz .LBB248_794
; %bb.791:
	v_cmp_eq_u16_e32 vcc_lo, 44, v12
	s_cbranch_vccz .LBB248_793
; %bb.792:
	global_load_u8 v4, v[0:1], off
	s_mov_b32 s20, 0
	s_mov_b32 s0, -1
	s_waitcnt vmcnt(0)
	v_cmp_ne_u32_e32 vcc_lo, 0xff, v4
	v_lshlrev_b32_e32 v2, 23, v4
	s_delay_alu instid0(VALU_DEP_1) | instskip(NEXT) | instid1(VALU_DEP_1)
	v_cvt_f64_f32_e32 v[2:3], v2
	v_cndmask_b32_e32 v3, 0x7ff80000, v3, vcc_lo
	s_delay_alu instid0(VALU_DEP_2) | instskip(SKIP_1) | instid1(VALU_DEP_3)
	v_cndmask_b32_e32 v2, 0x20000000, v2, vcc_lo
	v_cmp_ne_u32_e32 vcc_lo, 0, v4
	v_cndmask_b32_e32 v3, 0x38000000, v3, vcc_lo
	s_delay_alu instid0(VALU_DEP_3)
	v_cndmask_b32_e32 v2, 0, v2, vcc_lo
	s_branch .LBB248_794
.LBB248_793:
	s_mov_b32 s20, -1
                                        ; implicit-def: $vgpr2_vgpr3
.LBB248_794:
	s_mov_b32 s1, 0
.LBB248_795:
	s_delay_alu instid0(SALU_CYCLE_1)
	s_and_b32 vcc_lo, exec_lo, s1
	s_cbranch_vccz .LBB248_799
; %bb.796:
	v_cmp_eq_u16_e32 vcc_lo, 29, v12
	s_cbranch_vccz .LBB248_798
; %bb.797:
	global_load_b64 v[2:3], v[0:1], off
	s_mov_b32 s20, 0
	s_mov_b32 s0, -1
	s_mov_b32 s1, 0
	s_waitcnt vmcnt(0)
	v_cvt_f64_u32_e32 v[3:4], v3
	v_cvt_f64_u32_e32 v[5:6], v2
	s_delay_alu instid0(VALU_DEP_2) | instskip(NEXT) | instid1(VALU_DEP_1)
	v_ldexp_f64 v[3:4], v[3:4], 32
	v_add_f64 v[2:3], v[3:4], v[5:6]
	s_branch .LBB248_800
.LBB248_798:
	s_mov_b32 s20, -1
                                        ; implicit-def: $vgpr2_vgpr3
.LBB248_799:
	s_mov_b32 s1, 0
.LBB248_800:
	s_delay_alu instid0(SALU_CYCLE_1)
	s_and_b32 vcc_lo, exec_lo, s1
	s_cbranch_vccz .LBB248_820
; %bb.801:
	v_cmp_gt_i16_e32 vcc_lo, 27, v12
	s_cbranch_vccnz .LBB248_804
; %bb.802:
	v_cmp_lt_i16_e32 vcc_lo, 27, v12
	s_cbranch_vccz .LBB248_805
; %bb.803:
	global_load_b32 v2, v[0:1], off
	s_mov_b32 s0, 0
	s_waitcnt vmcnt(0)
	v_cvt_f64_u32_e32 v[2:3], v2
	s_branch .LBB248_806
.LBB248_804:
	s_mov_b32 s0, -1
                                        ; implicit-def: $vgpr2_vgpr3
	s_branch .LBB248_809
.LBB248_805:
	s_mov_b32 s0, -1
                                        ; implicit-def: $vgpr2_vgpr3
.LBB248_806:
	s_delay_alu instid0(SALU_CYCLE_1)
	s_and_not1_b32 vcc_lo, exec_lo, s0
	s_cbranch_vccnz .LBB248_808
; %bb.807:
	global_load_u16 v2, v[0:1], off
	s_waitcnt vmcnt(0)
	v_cvt_f64_u32_e32 v[2:3], v2
.LBB248_808:
	s_mov_b32 s0, 0
.LBB248_809:
	s_delay_alu instid0(SALU_CYCLE_1)
	s_and_not1_b32 vcc_lo, exec_lo, s0
	s_cbranch_vccnz .LBB248_819
; %bb.810:
	global_load_u8 v4, v[0:1], off
	s_mov_b32 s22, 0
	s_mov_b32 s23, exec_lo
                                        ; implicit-def: $sgpr0_sgpr1
	s_waitcnt vmcnt(0)
	v_cmpx_lt_i16_e32 0x7f, v4
	s_xor_b32 s23, exec_lo, s23
	s_cbranch_execz .LBB248_814
; %bb.811:
	s_mov_b32 s24, -1
	s_mov_b32 s22, exec_lo
                                        ; implicit-def: $sgpr0_sgpr1
	v_cmpx_eq_u16_e32 0x80, v4
; %bb.812:
	s_mov_b32 s1, 0x7ff80000
	s_brev_b32 s0, 4
	s_xor_b32 s24, exec_lo, -1
; %bb.813:
	s_or_b32 exec_lo, exec_lo, s22
	s_delay_alu instid0(SALU_CYCLE_1)
	s_and_b32 s22, s24, exec_lo
.LBB248_814:
	s_or_saveexec_b32 s23, s23
	v_dual_mov_b32 v3, s1 :: v_dual_mov_b32 v2, s0
	s_xor_b32 exec_lo, exec_lo, s23
; %bb.815:
	v_cmp_ne_u16_e32 vcc_lo, 0, v4
	v_mov_b32_e32 v2, 0
	v_mov_b32_e32 v3, 0
	s_and_not1_b32 s0, s22, exec_lo
	s_and_b32 s1, vcc_lo, exec_lo
	s_delay_alu instid0(SALU_CYCLE_1)
	s_or_b32 s22, s0, s1
; %bb.816:
	s_or_b32 exec_lo, exec_lo, s23
	s_and_saveexec_b32 s0, s22
	s_cbranch_execz .LBB248_818
; %bb.817:
	v_and_b32_e32 v2, 0xffff, v4
	v_lshlrev_b32_e32 v4, 24, v4
	s_delay_alu instid0(VALU_DEP_2) | instskip(NEXT) | instid1(VALU_DEP_2)
	v_and_b32_e32 v3, 7, v2
	v_and_b32_e32 v4, 0x80000000, v4
	s_delay_alu instid0(VALU_DEP_2) | instskip(NEXT) | instid1(VALU_DEP_1)
	v_clz_i32_u32_e32 v5, v3
	v_min_u32_e32 v5, 32, v5
	s_delay_alu instid0(VALU_DEP_1) | instskip(SKIP_1) | instid1(VALU_DEP_2)
	v_subrev_nc_u32_e32 v6, 28, v5
	v_sub_nc_u32_e32 v5, 29, v5
	v_lshlrev_b32_e32 v6, v6, v2
	v_bfe_u32 v2, v2, 3, 4
	s_delay_alu instid0(VALU_DEP_2) | instskip(NEXT) | instid1(VALU_DEP_2)
	v_and_b32_e32 v6, 7, v6
	v_cmp_eq_u32_e32 vcc_lo, 0, v2
	s_delay_alu instid0(VALU_DEP_2) | instskip(NEXT) | instid1(VALU_DEP_1)
	v_dual_cndmask_b32 v2, v2, v5 :: v_dual_cndmask_b32 v3, v3, v6
	v_lshl_add_u32 v2, v2, 23, 0x3b800000
	s_delay_alu instid0(VALU_DEP_2) | instskip(NEXT) | instid1(VALU_DEP_1)
	v_lshlrev_b32_e32 v3, 20, v3
	v_or3_b32 v2, v4, v2, v3
	s_delay_alu instid0(VALU_DEP_1)
	v_cvt_f64_f32_e32 v[2:3], v2
.LBB248_818:
	s_or_b32 exec_lo, exec_lo, s0
.LBB248_819:
	s_mov_b32 s0, -1
.LBB248_820:
	s_mov_b32 s1, 0
.LBB248_821:
	s_delay_alu instid0(SALU_CYCLE_1)
	s_and_b32 vcc_lo, exec_lo, s1
	s_cbranch_vccz .LBB248_852
; %bb.822:
	v_cmp_lt_i16_e32 vcc_lo, 22, v12
	s_cbranch_vccz .LBB248_834
; %bb.823:
	v_cmp_gt_i16_e32 vcc_lo, 24, v12
	s_cbranch_vccnz .LBB248_835
; %bb.824:
	v_cmp_lt_i16_e32 vcc_lo, 24, v12
	s_cbranch_vccz .LBB248_836
; %bb.825:
	global_load_u8 v4, v[0:1], off
	s_mov_b32 s22, exec_lo
                                        ; implicit-def: $sgpr0_sgpr1
	s_waitcnt vmcnt(0)
	v_cmpx_lt_i16_e32 0x7f, v4
	s_xor_b32 s22, exec_lo, s22
	s_cbranch_execz .LBB248_829
; %bb.826:
	s_mov_b32 s23, -1
	s_mov_b32 s21, exec_lo
                                        ; implicit-def: $sgpr0_sgpr1
	v_cmpx_eq_u16_e32 0x80, v4
; %bb.827:
	s_mov_b32 s1, 0x7ff80000
	s_brev_b32 s0, 4
	s_xor_b32 s23, exec_lo, -1
; %bb.828:
	s_or_b32 exec_lo, exec_lo, s21
	s_delay_alu instid0(SALU_CYCLE_1)
	s_and_b32 s21, s23, exec_lo
.LBB248_829:
	s_or_saveexec_b32 s22, s22
	v_dual_mov_b32 v3, s1 :: v_dual_mov_b32 v2, s0
	s_xor_b32 exec_lo, exec_lo, s22
; %bb.830:
	v_cmp_ne_u16_e32 vcc_lo, 0, v4
	v_mov_b32_e32 v2, 0
	v_mov_b32_e32 v3, 0
	s_and_not1_b32 s0, s21, exec_lo
	s_and_b32 s1, vcc_lo, exec_lo
	s_delay_alu instid0(SALU_CYCLE_1)
	s_or_b32 s21, s0, s1
; %bb.831:
	s_or_b32 exec_lo, exec_lo, s22
	s_and_saveexec_b32 s0, s21
	s_cbranch_execz .LBB248_833
; %bb.832:
	v_and_b32_e32 v2, 0xffff, v4
	v_lshlrev_b32_e32 v4, 24, v4
	s_delay_alu instid0(VALU_DEP_2) | instskip(NEXT) | instid1(VALU_DEP_2)
	v_and_b32_e32 v3, 3, v2
	v_and_b32_e32 v4, 0x80000000, v4
	s_delay_alu instid0(VALU_DEP_2) | instskip(NEXT) | instid1(VALU_DEP_1)
	v_clz_i32_u32_e32 v5, v3
	v_min_u32_e32 v5, 32, v5
	s_delay_alu instid0(VALU_DEP_1) | instskip(SKIP_1) | instid1(VALU_DEP_2)
	v_subrev_nc_u32_e32 v6, 29, v5
	v_sub_nc_u32_e32 v5, 30, v5
	v_lshlrev_b32_e32 v6, v6, v2
	v_bfe_u32 v2, v2, 2, 5
	s_delay_alu instid0(VALU_DEP_2) | instskip(NEXT) | instid1(VALU_DEP_2)
	v_and_b32_e32 v6, 3, v6
	v_cmp_eq_u32_e32 vcc_lo, 0, v2
	s_delay_alu instid0(VALU_DEP_2) | instskip(NEXT) | instid1(VALU_DEP_1)
	v_dual_cndmask_b32 v2, v2, v5 :: v_dual_cndmask_b32 v3, v3, v6
	v_lshl_add_u32 v2, v2, 23, 0x37800000
	s_delay_alu instid0(VALU_DEP_2) | instskip(NEXT) | instid1(VALU_DEP_1)
	v_lshlrev_b32_e32 v3, 21, v3
	v_or3_b32 v2, v4, v2, v3
	s_delay_alu instid0(VALU_DEP_1)
	v_cvt_f64_f32_e32 v[2:3], v2
.LBB248_833:
	s_or_b32 exec_lo, exec_lo, s0
	s_mov_b32 s0, 0
	s_branch .LBB248_837
.LBB248_834:
	s_mov_b32 s1, -1
                                        ; implicit-def: $vgpr2_vgpr3
	s_branch .LBB248_843
.LBB248_835:
	s_mov_b32 s0, -1
                                        ; implicit-def: $vgpr2_vgpr3
	s_branch .LBB248_840
.LBB248_836:
	s_mov_b32 s0, -1
                                        ; implicit-def: $vgpr2_vgpr3
.LBB248_837:
	s_delay_alu instid0(SALU_CYCLE_1)
	s_and_b32 vcc_lo, exec_lo, s0
	s_cbranch_vccz .LBB248_839
; %bb.838:
	global_load_u8 v2, v[0:1], off
	s_waitcnt vmcnt(0)
	v_lshlrev_b32_e32 v2, 24, v2
	s_delay_alu instid0(VALU_DEP_1) | instskip(NEXT) | instid1(VALU_DEP_1)
	v_and_b32_e32 v3, 0x7f000000, v2
	v_clz_i32_u32_e32 v4, v3
	v_add_nc_u32_e32 v6, 0x1000000, v3
	v_cmp_ne_u32_e32 vcc_lo, 0, v3
	s_delay_alu instid0(VALU_DEP_3) | instskip(NEXT) | instid1(VALU_DEP_1)
	v_min_u32_e32 v4, 32, v4
	v_sub_nc_u32_e64 v4, v4, 4 clamp
	s_delay_alu instid0(VALU_DEP_1) | instskip(SKIP_1) | instid1(VALU_DEP_2)
	v_lshlrev_b32_e32 v5, v4, v3
	v_lshlrev_b32_e32 v4, 23, v4
	v_lshrrev_b32_e32 v5, 4, v5
	s_delay_alu instid0(VALU_DEP_1) | instskip(SKIP_1) | instid1(VALU_DEP_2)
	v_sub_nc_u32_e32 v4, v5, v4
	v_ashrrev_i32_e32 v5, 8, v6
	v_add_nc_u32_e32 v4, 0x3c000000, v4
	s_delay_alu instid0(VALU_DEP_1) | instskip(NEXT) | instid1(VALU_DEP_1)
	v_and_or_b32 v4, 0x7f800000, v5, v4
	v_cndmask_b32_e32 v3, 0, v4, vcc_lo
	s_delay_alu instid0(VALU_DEP_1) | instskip(NEXT) | instid1(VALU_DEP_1)
	v_and_or_b32 v2, 0x80000000, v2, v3
	v_cvt_f64_f32_e32 v[2:3], v2
.LBB248_839:
	s_mov_b32 s0, 0
.LBB248_840:
	s_delay_alu instid0(SALU_CYCLE_1)
	s_and_not1_b32 vcc_lo, exec_lo, s0
	s_cbranch_vccnz .LBB248_842
; %bb.841:
	global_load_u8 v2, v[0:1], off
	s_waitcnt vmcnt(0)
	v_lshlrev_b32_e32 v3, 25, v2
	v_lshlrev_b16 v2, 8, v2
	s_delay_alu instid0(VALU_DEP_2) | instskip(NEXT) | instid1(VALU_DEP_2)
	v_lshrrev_b32_e32 v4, 4, v3
	v_and_or_b32 v5, 0x7f00, v2, 0.5
	v_bfe_i32 v2, v2, 0, 16
	s_delay_alu instid0(VALU_DEP_3) | instskip(NEXT) | instid1(VALU_DEP_1)
	v_or_b32_e32 v4, 0x70000000, v4
	v_dual_add_f32 v5, -0.5, v5 :: v_dual_mul_f32 v4, 0x7800000, v4
	v_cmp_gt_u32_e32 vcc_lo, 0x8000000, v3
	s_delay_alu instid0(VALU_DEP_2) | instskip(NEXT) | instid1(VALU_DEP_1)
	v_cndmask_b32_e32 v3, v4, v5, vcc_lo
	v_and_or_b32 v2, 0x80000000, v2, v3
	s_delay_alu instid0(VALU_DEP_1)
	v_cvt_f64_f32_e32 v[2:3], v2
.LBB248_842:
	s_mov_b32 s1, 0
	s_mov_b32 s0, -1
.LBB248_843:
	s_and_not1_b32 vcc_lo, exec_lo, s1
	s_mov_b32 s21, 0
	s_cbranch_vccnz .LBB248_852
; %bb.844:
	v_cmp_lt_i16_e32 vcc_lo, 14, v12
	s_cbranch_vccz .LBB248_847
; %bb.845:
	v_cmp_eq_u16_e32 vcc_lo, 15, v12
	s_cbranch_vccz .LBB248_848
; %bb.846:
	global_load_u16 v2, v[0:1], off
	s_mov_b32 s20, 0
	s_mov_b32 s0, -1
	s_waitcnt vmcnt(0)
	v_lshlrev_b32_e32 v2, 16, v2
	s_delay_alu instid0(VALU_DEP_1)
	v_cvt_f64_f32_e32 v[2:3], v2
	s_branch .LBB248_849
.LBB248_847:
	s_mov_b32 s1, -1
                                        ; implicit-def: $vgpr2_vgpr3
	s_branch .LBB248_850
.LBB248_848:
	s_mov_b32 s20, -1
                                        ; implicit-def: $vgpr2_vgpr3
.LBB248_849:
	s_mov_b32 s1, 0
.LBB248_850:
	s_delay_alu instid0(SALU_CYCLE_1)
	s_and_b32 vcc_lo, exec_lo, s1
	s_cbranch_vccz .LBB248_852
; %bb.851:
	v_cmp_ne_u16_e32 vcc_lo, 11, v12
	s_and_not1_b32 s1, s20, exec_lo
	s_mov_b32 s21, -1
                                        ; implicit-def: $vgpr2_vgpr3
	s_and_b32 s20, vcc_lo, exec_lo
	s_delay_alu instid0(SALU_CYCLE_1)
	s_or_b32 s20, s1, s20
.LBB248_852:
	s_mov_b32 s1, 0
.LBB248_853:
	s_and_not1_b32 s22, s18, exec_lo
	s_and_b32 s20, s20, exec_lo
	s_and_b32 s23, s0, exec_lo
	;; [unrolled: 1-line block ×4, first 2 shown]
	s_or_b32 s22, s22, s20
.LBB248_854:
	s_or_b32 exec_lo, exec_lo, s11
	s_delay_alu instid0(SALU_CYCLE_1)
	s_and_not1_b32 s11, s18, exec_lo
	s_and_b32 s18, s22, exec_lo
	s_and_b32 s21, s23, exec_lo
	;; [unrolled: 1-line block ×4, first 2 shown]
	s_or_b32 s18, s11, s18
.LBB248_855:
	s_or_b32 exec_lo, exec_lo, s17
	s_delay_alu instid0(SALU_CYCLE_1)
	s_and_not1_b32 s0, s15, exec_lo
	s_and_b32 s11, s19, exec_lo
	s_and_b32 s17, s20, exec_lo
	s_or_b32 s15, s0, s11
	s_and_not1_b32 s11, s14, exec_lo
	s_and_b32 s14, s18, exec_lo
	s_and_b32 s0, s21, exec_lo
	;; [unrolled: 1-line block ×3, first 2 shown]
	s_or_b32 s14, s11, s14
.LBB248_856:
	s_or_b32 exec_lo, exec_lo, s16
	s_delay_alu instid0(SALU_CYCLE_1)
	s_and_not1_b32 s10, s10, exec_lo
	s_and_b32 s11, s15, exec_lo
	s_and_b32 s0, s0, exec_lo
	s_or_b32 s10, s10, s11
	s_and_not1_b32 s11, s12, exec_lo
	s_and_b32 s12, s14, exec_lo
	s_and_b32 s15, s17, exec_lo
	;; [unrolled: 1-line block ×3, first 2 shown]
	s_or_b32 s12, s11, s12
.LBB248_857:
	s_or_b32 exec_lo, exec_lo, s13
	s_mov_b32 s11, 0
	s_and_saveexec_b32 s1, s12
	s_cbranch_execnz .LBB248_869
; %bb.858:
	s_or_b32 exec_lo, exec_lo, s1
	s_and_saveexec_b32 s1, s14
	s_delay_alu instid0(SALU_CYCLE_1)
	s_xor_b32 s1, exec_lo, s1
	s_cbranch_execz .LBB248_860
.LBB248_859:
	global_load_u8 v2, v[0:1], off
	s_or_b32 s0, s0, exec_lo
	s_waitcnt vmcnt(0)
	v_cmp_ne_u16_e32 vcc_lo, 0, v2
	v_mov_b32_e32 v2, 0
	v_cndmask_b32_e64 v3, 0, 0x3ff00000, vcc_lo
.LBB248_860:
	s_or_b32 exec_lo, exec_lo, s1
	s_and_saveexec_b32 s1, s15
	s_cbranch_execz .LBB248_908
; %bb.861:
	v_cmp_gt_i16_e32 vcc_lo, 5, v12
	s_cbranch_vccnz .LBB248_866
; %bb.862:
	v_cmp_gt_i16_e32 vcc_lo, 8, v12
	s_cbranch_vccnz .LBB248_867
	;; [unrolled: 3-line block ×3, first 2 shown]
; %bb.864:
	v_cmp_lt_i16_e32 vcc_lo, 9, v12
	s_cbranch_vccz .LBB248_871
; %bb.865:
	global_load_b64 v[2:3], v[0:1], off
	s_mov_b32 s12, 0
	s_branch .LBB248_872
.LBB248_866:
                                        ; implicit-def: $vgpr2_vgpr3
	s_branch .LBB248_889
.LBB248_867:
                                        ; implicit-def: $vgpr2_vgpr3
	s_branch .LBB248_878
.LBB248_868:
	s_mov_b32 s12, -1
                                        ; implicit-def: $vgpr2_vgpr3
	s_branch .LBB248_875
.LBB248_869:
	s_cbranch_execnz .LBB248_1087
; %bb.870:
	s_mov_b32 s11, exec_lo
	s_and_not1_b32 s14, s14, exec_lo
                                        ; implicit-def: $vgpr2_vgpr3
	s_or_b32 exec_lo, exec_lo, s1
	s_and_saveexec_b32 s1, s14
	s_delay_alu instid0(SALU_CYCLE_1)
	s_xor_b32 s1, exec_lo, s1
	s_cbranch_execnz .LBB248_859
	s_branch .LBB248_860
.LBB248_871:
	s_mov_b32 s12, -1
                                        ; implicit-def: $vgpr2_vgpr3
.LBB248_872:
	s_delay_alu instid0(SALU_CYCLE_1)
	s_and_not1_b32 vcc_lo, exec_lo, s12
	s_cbranch_vccnz .LBB248_874
; %bb.873:
	global_load_b32 v2, v[0:1], off
	s_waitcnt vmcnt(0)
	v_cvt_f64_f32_e32 v[2:3], v2
.LBB248_874:
	s_mov_b32 s12, 0
.LBB248_875:
	s_delay_alu instid0(SALU_CYCLE_1)
	s_and_not1_b32 vcc_lo, exec_lo, s12
	s_cbranch_vccnz .LBB248_877
; %bb.876:
	global_load_b32 v2, v[0:1], off
	s_waitcnt vmcnt(0)
	v_cvt_f32_f16_e32 v2, v2
	s_delay_alu instid0(VALU_DEP_1)
	v_cvt_f64_f32_e32 v[2:3], v2
.LBB248_877:
	s_cbranch_execnz .LBB248_888
.LBB248_878:
	v_cmp_gt_i16_e32 vcc_lo, 6, v12
	s_cbranch_vccnz .LBB248_881
; %bb.879:
	v_cmp_lt_i16_e32 vcc_lo, 6, v12
	s_cbranch_vccz .LBB248_882
; %bb.880:
	global_load_b64 v[2:3], v[0:1], off
	s_mov_b32 s12, 0
	s_branch .LBB248_883
.LBB248_881:
	s_mov_b32 s12, -1
                                        ; implicit-def: $vgpr2_vgpr3
	s_branch .LBB248_886
.LBB248_882:
	s_mov_b32 s12, -1
                                        ; implicit-def: $vgpr2_vgpr3
.LBB248_883:
	s_delay_alu instid0(SALU_CYCLE_1)
	s_and_not1_b32 vcc_lo, exec_lo, s12
	s_cbranch_vccnz .LBB248_885
; %bb.884:
	global_load_b32 v2, v[0:1], off
	s_waitcnt vmcnt(0)
	v_cvt_f64_f32_e32 v[2:3], v2
.LBB248_885:
	s_mov_b32 s12, 0
.LBB248_886:
	s_delay_alu instid0(SALU_CYCLE_1)
	s_and_not1_b32 vcc_lo, exec_lo, s12
	s_cbranch_vccnz .LBB248_888
; %bb.887:
	global_load_u16 v2, v[0:1], off
	s_waitcnt vmcnt(0)
	v_cvt_f32_f16_e32 v2, v2
	s_delay_alu instid0(VALU_DEP_1)
	v_cvt_f64_f32_e32 v[2:3], v2
.LBB248_888:
	s_cbranch_execnz .LBB248_907
.LBB248_889:
	v_cmp_gt_i16_e32 vcc_lo, 2, v12
	s_cbranch_vccnz .LBB248_893
; %bb.890:
	v_cmp_gt_i16_e32 vcc_lo, 3, v12
	s_cbranch_vccnz .LBB248_894
; %bb.891:
	v_cmp_lt_i16_e32 vcc_lo, 3, v12
	s_cbranch_vccz .LBB248_895
; %bb.892:
	global_load_b64 v[2:3], v[0:1], off
	s_mov_b32 s12, 0
	s_waitcnt vmcnt(0)
	v_cvt_f64_i32_e32 v[3:4], v3
	v_cvt_f64_u32_e32 v[5:6], v2
	s_delay_alu instid0(VALU_DEP_2) | instskip(NEXT) | instid1(VALU_DEP_1)
	v_ldexp_f64 v[3:4], v[3:4], 32
	v_add_f64 v[2:3], v[3:4], v[5:6]
	s_branch .LBB248_896
.LBB248_893:
                                        ; implicit-def: $vgpr2_vgpr3
	s_branch .LBB248_902
.LBB248_894:
	s_mov_b32 s12, -1
                                        ; implicit-def: $vgpr2_vgpr3
	s_branch .LBB248_899
.LBB248_895:
	s_mov_b32 s12, -1
                                        ; implicit-def: $vgpr2_vgpr3
.LBB248_896:
	s_delay_alu instid0(SALU_CYCLE_1)
	s_and_not1_b32 vcc_lo, exec_lo, s12
	s_cbranch_vccnz .LBB248_898
; %bb.897:
	global_load_b32 v2, v[0:1], off
	s_waitcnt vmcnt(0)
	v_cvt_f64_i32_e32 v[2:3], v2
.LBB248_898:
	s_mov_b32 s12, 0
.LBB248_899:
	s_delay_alu instid0(SALU_CYCLE_1)
	s_and_not1_b32 vcc_lo, exec_lo, s12
	s_cbranch_vccnz .LBB248_901
; %bb.900:
	global_load_i16 v2, v[0:1], off
	s_waitcnt vmcnt(0)
	v_cvt_f64_i32_e32 v[2:3], v2
.LBB248_901:
	s_cbranch_execnz .LBB248_907
.LBB248_902:
	v_cmp_lt_i16_e32 vcc_lo, 0, v12
	s_mov_b32 s12, 0
	s_cbranch_vccz .LBB248_904
; %bb.903:
	global_load_i8 v2, v[0:1], off
	s_waitcnt vmcnt(0)
	v_cvt_f64_i32_e32 v[2:3], v2
	s_branch .LBB248_905
.LBB248_904:
	s_mov_b32 s12, -1
                                        ; implicit-def: $vgpr2_vgpr3
.LBB248_905:
	s_delay_alu instid0(SALU_CYCLE_1)
	s_and_not1_b32 vcc_lo, exec_lo, s12
	s_cbranch_vccnz .LBB248_907
; %bb.906:
	global_load_u8 v0, v[0:1], off
	s_waitcnt vmcnt(0)
	v_cvt_f64_u32_e32 v[2:3], v0
.LBB248_907:
	s_or_b32 s0, s0, exec_lo
.LBB248_908:
	s_or_b32 exec_lo, exec_lo, s1
	s_mov_b32 s13, 0
	s_mov_b32 s1, 0
                                        ; implicit-def: $vgpr6
                                        ; implicit-def: $vgpr4_vgpr5
                                        ; implicit-def: $vgpr0_vgpr1
	s_and_saveexec_b32 s12, s0
	s_cbranch_execz .LBB248_985
; %bb.909:
	s_waitcnt vmcnt(0)
	s_delay_alu instid0(VALU_DEP_1) | instskip(SKIP_3) | instid1(VALU_DEP_1)
	v_cmp_gt_f64_e32 vcc_lo, 0x10000000, v[2:3]
	s_mov_b32 s14, 0
	s_mov_b32 s13, -1
	v_cndmask_b32_e64 v0, 0, 1, vcc_lo
	v_lshlrev_b32_e32 v0, 8, v0
	s_delay_alu instid0(VALU_DEP_1) | instskip(NEXT) | instid1(VALU_DEP_1)
	v_ldexp_f64 v[0:1], v[2:3], v0
	v_rsq_f64_e32 v[2:3], v[0:1]
	s_waitcnt_depctr 0xfff
	v_mul_f64 v[4:5], v[0:1], v[2:3]
	v_mul_f64 v[2:3], v[2:3], 0.5
	s_delay_alu instid0(VALU_DEP_1) | instskip(NEXT) | instid1(VALU_DEP_1)
	v_fma_f64 v[6:7], -v[2:3], v[4:5], 0.5
	v_fma_f64 v[4:5], v[4:5], v[6:7], v[4:5]
	v_fma_f64 v[2:3], v[2:3], v[6:7], v[2:3]
	s_delay_alu instid0(VALU_DEP_2) | instskip(NEXT) | instid1(VALU_DEP_1)
	v_fma_f64 v[6:7], -v[4:5], v[4:5], v[0:1]
	v_fma_f64 v[4:5], v[6:7], v[2:3], v[4:5]
	s_delay_alu instid0(VALU_DEP_1) | instskip(NEXT) | instid1(VALU_DEP_1)
	v_fma_f64 v[6:7], -v[4:5], v[4:5], v[0:1]
	v_fma_f64 v[2:3], v[6:7], v[2:3], v[4:5]
	v_cndmask_b32_e64 v4, 0, 0xffffff80, vcc_lo
	v_cmp_class_f64_e64 vcc_lo, v[0:1], 0x260
	v_and_b32_e32 v6, 0xff, v10
	s_delay_alu instid0(VALU_DEP_1) | instskip(NEXT) | instid1(VALU_DEP_4)
	v_cmp_gt_i16_e64 s0, 11, v6
	v_ldexp_f64 v[2:3], v[2:3], v4
	v_mul_lo_u32 v4, v11, s2
	s_delay_alu instid0(VALU_DEP_1) | instskip(SKIP_1) | instid1(VALU_DEP_1)
	v_ashrrev_i32_e32 v5, 31, v4
	v_add_co_u32 v4, s1, s4, v4
	v_add_co_ci_u32_e64 v5, s1, s5, v5, s1
	v_dual_cndmask_b32 v1, v3, v1 :: v_dual_cndmask_b32 v0, v2, v0
	s_and_b32 vcc_lo, exec_lo, s0
	s_mov_b32 s0, s10
	s_cbranch_vccnz .LBB248_984
; %bb.910:
	v_cmp_lt_i16_e32 vcc_lo, 25, v6
	s_mov_b32 s1, -1
	s_mov_b32 s0, s10
	s_cbranch_vccz .LBB248_943
; %bb.911:
	v_cmp_lt_i16_e32 vcc_lo, 28, v6
	s_mov_b32 s0, s10
	s_cbranch_vccz .LBB248_927
; %bb.912:
	v_cmp_lt_i16_e32 vcc_lo, 43, v6
	;; [unrolled: 4-line block ×3, first 2 shown]
	s_mov_b32 s0, s10
	s_cbranch_vccz .LBB248_917
; %bb.914:
	v_cmp_eq_u16_e32 vcc_lo, 46, v6
	s_mov_b32 s0, -1
	s_cbranch_vccz .LBB248_916
; %bb.915:
	v_cvt_f32_f64_e32 v2, v[0:1]
	s_mov_b32 s0, 0
	s_delay_alu instid0(VALU_DEP_1) | instskip(SKIP_1) | instid1(VALU_DEP_2)
	v_bfe_u32 v3, v2, 16, 1
	v_cmp_o_f32_e32 vcc_lo, v2, v2
	v_add3_u32 v3, v2, v3, 0x7fff
	s_delay_alu instid0(VALU_DEP_1) | instskip(NEXT) | instid1(VALU_DEP_1)
	v_lshrrev_b32_e32 v3, 16, v3
	v_cndmask_b32_e32 v2, 0x7fc0, v3, vcc_lo
	global_store_b32 v[4:5], v2, off
.LBB248_916:
	s_mov_b32 s1, 0
.LBB248_917:
	s_delay_alu instid0(SALU_CYCLE_1)
	s_and_b32 vcc_lo, exec_lo, s1
	s_cbranch_vccz .LBB248_922
; %bb.918:
	v_cmp_eq_u16_e32 vcc_lo, 44, v6
	s_mov_b32 s0, -1
	s_cbranch_vccz .LBB248_922
; %bb.919:
	v_cvt_f32_f64_e32 v2, v[0:1]
	v_mov_b32_e32 v3, 0xff
	s_mov_b32 s1, exec_lo
	s_delay_alu instid0(VALU_DEP_2) | instskip(NEXT) | instid1(VALU_DEP_1)
	v_bfe_u32 v7, v2, 23, 8
	v_cmpx_ne_u32_e32 0xff, v7
; %bb.920:
	v_and_b32_e32 v3, 0x400000, v2
	v_and_or_b32 v7, 0x3fffff, v2, v7
	v_lshrrev_b32_e32 v2, 23, v2
	s_delay_alu instid0(VALU_DEP_3) | instskip(NEXT) | instid1(VALU_DEP_3)
	v_cmp_ne_u32_e32 vcc_lo, 0, v3
	v_cmp_ne_u32_e64 s0, 0, v7
	s_delay_alu instid0(VALU_DEP_1) | instskip(NEXT) | instid1(SALU_CYCLE_1)
	s_and_b32 s0, vcc_lo, s0
	v_cndmask_b32_e64 v3, 0, 1, s0
	s_delay_alu instid0(VALU_DEP_1)
	v_add_nc_u32_e32 v3, v2, v3
; %bb.921:
	s_or_b32 exec_lo, exec_lo, s1
	s_mov_b32 s0, 0
	global_store_b8 v[4:5], v3, off
.LBB248_922:
	s_mov_b32 s1, 0
.LBB248_923:
	s_delay_alu instid0(SALU_CYCLE_1)
	s_and_b32 vcc_lo, exec_lo, s1
	s_cbranch_vccz .LBB248_926
; %bb.924:
	v_cmp_eq_u16_e32 vcc_lo, 29, v6
	s_mov_b32 s0, -1
	s_cbranch_vccz .LBB248_926
; %bb.925:
	v_trunc_f64_e32 v[2:3], v[0:1]
	s_mov_b32 s0, 0
	s_delay_alu instid0(VALU_DEP_1) | instskip(NEXT) | instid1(VALU_DEP_1)
	v_ldexp_f64 v[7:8], v[2:3], 0xffffffe0
	v_floor_f64_e32 v[7:8], v[7:8]
	s_delay_alu instid0(VALU_DEP_1) | instskip(SKIP_1) | instid1(VALU_DEP_2)
	v_fma_f64 v[2:3], 0xc1f00000, v[7:8], v[2:3]
	v_cvt_u32_f64_e32 v8, v[7:8]
	v_cvt_u32_f64_e32 v7, v[2:3]
	global_store_b64 v[4:5], v[7:8], off
.LBB248_926:
	s_mov_b32 s1, 0
.LBB248_927:
	s_delay_alu instid0(SALU_CYCLE_1)
	s_and_b32 vcc_lo, exec_lo, s1
	s_cbranch_vccz .LBB248_942
; %bb.928:
	v_cmp_gt_i16_e32 vcc_lo, 27, v6
	s_mov_b32 s1, -1
	s_cbranch_vccnz .LBB248_934
; %bb.929:
	v_cvt_u32_f64_e32 v2, v[0:1]
	v_cmp_lt_i16_e32 vcc_lo, 27, v6
	s_cbranch_vccz .LBB248_931
; %bb.930:
	s_mov_b32 s1, 0
	global_store_b32 v[4:5], v2, off
.LBB248_931:
	s_and_not1_b32 vcc_lo, exec_lo, s1
	s_cbranch_vccnz .LBB248_933
; %bb.932:
	global_store_b16 v[4:5], v2, off
.LBB248_933:
	s_mov_b32 s1, 0
.LBB248_934:
	s_delay_alu instid0(SALU_CYCLE_1)
	s_and_not1_b32 vcc_lo, exec_lo, s1
	s_cbranch_vccnz .LBB248_942
; %bb.935:
	v_cvt_f32_f64_e32 v2, v[0:1]
	v_mov_b32_e32 v7, 0x80
	s_mov_b32 s1, exec_lo
	s_delay_alu instid0(VALU_DEP_2) | instskip(NEXT) | instid1(VALU_DEP_1)
	v_and_b32_e32 v3, 0x7fffffff, v2
	v_cmpx_gt_u32_e32 0x43800000, v3
	s_cbranch_execz .LBB248_941
; %bb.936:
	v_cmp_lt_u32_e32 vcc_lo, 0x3bffffff, v3
	s_mov_b32 s13, 0
                                        ; implicit-def: $vgpr3
	s_and_saveexec_b32 s14, vcc_lo
	s_delay_alu instid0(SALU_CYCLE_1)
	s_xor_b32 s14, exec_lo, s14
	s_cbranch_execz .LBB248_1178
; %bb.937:
	v_bfe_u32 v3, v2, 20, 1
	s_mov_b32 s13, exec_lo
	s_delay_alu instid0(VALU_DEP_1) | instskip(NEXT) | instid1(VALU_DEP_1)
	v_add3_u32 v3, v2, v3, 0x487ffff
	v_lshrrev_b32_e32 v3, 20, v3
	s_or_saveexec_b32 s14, s14
                                        ; implicit-def: $sgpr15
	s_delay_alu instid0(SALU_CYCLE_1)
	s_xor_b32 exec_lo, exec_lo, s14
	s_cbranch_execnz .LBB248_1179
.LBB248_938:
	s_or_b32 exec_lo, exec_lo, s14
	v_mov_b32_e32 v7, s15
	s_and_saveexec_b32 s14, s13
.LBB248_939:
	v_lshrrev_b32_e32 v2, 24, v2
	s_delay_alu instid0(VALU_DEP_1)
	v_and_or_b32 v7, 0x80, v2, v3
.LBB248_940:
	s_or_b32 exec_lo, exec_lo, s14
.LBB248_941:
	s_delay_alu instid0(SALU_CYCLE_1)
	s_or_b32 exec_lo, exec_lo, s1
	global_store_b8 v[4:5], v7, off
.LBB248_942:
	s_mov_b32 s1, 0
.LBB248_943:
	s_delay_alu instid0(SALU_CYCLE_1)
	s_and_b32 vcc_lo, exec_lo, s1
	s_mov_b32 s13, 0
	s_cbranch_vccz .LBB248_983
; %bb.944:
	v_cmp_lt_i16_e32 vcc_lo, 22, v6
	s_mov_b32 s1, -1
	s_cbranch_vccz .LBB248_976
; %bb.945:
	v_cmp_gt_i16_e32 vcc_lo, 24, v6
	s_cbranch_vccnz .LBB248_965
; %bb.946:
	v_cmp_lt_i16_e32 vcc_lo, 24, v6
	s_cbranch_vccz .LBB248_954
; %bb.947:
	v_cvt_f32_f64_e32 v2, v[0:1]
	v_mov_b32_e32 v7, 0x80
	s_mov_b32 s1, exec_lo
	s_delay_alu instid0(VALU_DEP_2) | instskip(NEXT) | instid1(VALU_DEP_1)
	v_and_b32_e32 v3, 0x7fffffff, v2
	v_cmpx_gt_u32_e32 0x47800000, v3
	s_cbranch_execz .LBB248_953
; %bb.948:
	v_cmp_lt_u32_e32 vcc_lo, 0x37ffffff, v3
	s_mov_b32 s14, 0
                                        ; implicit-def: $vgpr3
	s_and_saveexec_b32 s15, vcc_lo
	s_delay_alu instid0(SALU_CYCLE_1)
	s_xor_b32 s15, exec_lo, s15
	s_cbranch_execz .LBB248_1222
; %bb.949:
	v_bfe_u32 v3, v2, 21, 1
	s_mov_b32 s14, exec_lo
	s_delay_alu instid0(VALU_DEP_1) | instskip(NEXT) | instid1(VALU_DEP_1)
	v_add3_u32 v3, v2, v3, 0x88fffff
	v_lshrrev_b32_e32 v3, 21, v3
	s_or_saveexec_b32 s15, s15
                                        ; implicit-def: $sgpr16
	s_delay_alu instid0(SALU_CYCLE_1)
	s_xor_b32 exec_lo, exec_lo, s15
	s_cbranch_execnz .LBB248_1223
.LBB248_950:
	s_or_b32 exec_lo, exec_lo, s15
	v_mov_b32_e32 v7, s16
	s_and_saveexec_b32 s15, s14
.LBB248_951:
	v_lshrrev_b32_e32 v2, 24, v2
	s_delay_alu instid0(VALU_DEP_1)
	v_and_or_b32 v7, 0x80, v2, v3
.LBB248_952:
	s_or_b32 exec_lo, exec_lo, s15
.LBB248_953:
	s_delay_alu instid0(SALU_CYCLE_1)
	s_or_b32 exec_lo, exec_lo, s1
	s_mov_b32 s1, 0
	global_store_b8 v[4:5], v7, off
.LBB248_954:
	s_and_b32 vcc_lo, exec_lo, s1
	s_cbranch_vccz .LBB248_964
; %bb.955:
	v_cvt_f32_f64_e32 v2, v[0:1]
	s_mov_b32 s1, exec_lo
                                        ; implicit-def: $vgpr3
	s_delay_alu instid0(VALU_DEP_1) | instskip(NEXT) | instid1(VALU_DEP_1)
	v_and_b32_e32 v7, 0x7fffffff, v2
	v_cmpx_gt_u32_e32 0x43f00000, v7
	s_xor_b32 s1, exec_lo, s1
	s_cbranch_execz .LBB248_961
; %bb.956:
	s_mov_b32 s14, exec_lo
                                        ; implicit-def: $vgpr3
	v_cmpx_lt_u32_e32 0x3c7fffff, v7
	s_xor_b32 s14, exec_lo, s14
; %bb.957:
	v_bfe_u32 v3, v2, 20, 1
	s_delay_alu instid0(VALU_DEP_1) | instskip(NEXT) | instid1(VALU_DEP_1)
	v_add3_u32 v3, v2, v3, 0x407ffff
	v_and_b32_e32 v7, 0xff00000, v3
	v_lshrrev_b32_e32 v3, 20, v3
	s_delay_alu instid0(VALU_DEP_2) | instskip(NEXT) | instid1(VALU_DEP_2)
	v_cmp_ne_u32_e32 vcc_lo, 0x7f00000, v7
	v_cndmask_b32_e32 v3, 0x7e, v3, vcc_lo
; %bb.958:
	s_and_not1_saveexec_b32 s14, s14
; %bb.959:
	v_add_f32_e64 v3, 0x46800000, |v2|
; %bb.960:
	s_or_b32 exec_lo, exec_lo, s14
                                        ; implicit-def: $vgpr7
.LBB248_961:
	s_and_not1_saveexec_b32 s1, s1
; %bb.962:
	v_mov_b32_e32 v3, 0x7f
	v_cmp_lt_u32_e32 vcc_lo, 0x7f800000, v7
	s_delay_alu instid0(VALU_DEP_2)
	v_cndmask_b32_e32 v3, 0x7e, v3, vcc_lo
; %bb.963:
	s_or_b32 exec_lo, exec_lo, s1
	v_lshrrev_b32_e32 v2, 24, v2
	s_delay_alu instid0(VALU_DEP_1)
	v_and_or_b32 v2, 0x80, v2, v3
	global_store_b8 v[4:5], v2, off
.LBB248_964:
	s_mov_b32 s1, 0
.LBB248_965:
	s_delay_alu instid0(SALU_CYCLE_1)
	s_and_not1_b32 vcc_lo, exec_lo, s1
	s_cbranch_vccnz .LBB248_975
; %bb.966:
	v_cvt_f32_f64_e32 v2, v[0:1]
	s_mov_b32 s1, exec_lo
                                        ; implicit-def: $vgpr3
	s_delay_alu instid0(VALU_DEP_1) | instskip(NEXT) | instid1(VALU_DEP_1)
	v_and_b32_e32 v7, 0x7fffffff, v2
	v_cmpx_gt_u32_e32 0x47800000, v7
	s_xor_b32 s1, exec_lo, s1
	s_cbranch_execz .LBB248_972
; %bb.967:
	s_mov_b32 s14, exec_lo
                                        ; implicit-def: $vgpr3
	v_cmpx_lt_u32_e32 0x387fffff, v7
	s_xor_b32 s14, exec_lo, s14
; %bb.968:
	v_bfe_u32 v3, v2, 21, 1
	s_delay_alu instid0(VALU_DEP_1) | instskip(NEXT) | instid1(VALU_DEP_1)
	v_add3_u32 v3, v2, v3, 0x80fffff
	v_lshrrev_b32_e32 v3, 21, v3
; %bb.969:
	s_and_not1_saveexec_b32 s14, s14
; %bb.970:
	v_add_f32_e64 v3, 0x43000000, |v2|
; %bb.971:
	s_or_b32 exec_lo, exec_lo, s14
                                        ; implicit-def: $vgpr7
.LBB248_972:
	s_and_not1_saveexec_b32 s1, s1
; %bb.973:
	v_mov_b32_e32 v3, 0x7f
	v_cmp_lt_u32_e32 vcc_lo, 0x7f800000, v7
	s_delay_alu instid0(VALU_DEP_2)
	v_cndmask_b32_e32 v3, 0x7c, v3, vcc_lo
; %bb.974:
	s_or_b32 exec_lo, exec_lo, s1
	v_lshrrev_b32_e32 v2, 24, v2
	s_delay_alu instid0(VALU_DEP_1)
	v_and_or_b32 v2, 0x80, v2, v3
	global_store_b8 v[4:5], v2, off
.LBB248_975:
	s_mov_b32 s1, 0
.LBB248_976:
	s_delay_alu instid0(SALU_CYCLE_1)
	s_and_not1_b32 vcc_lo, exec_lo, s1
	s_mov_b32 s14, 0
	s_cbranch_vccnz .LBB248_984
; %bb.977:
	v_cmp_lt_i16_e32 vcc_lo, 14, v6
	s_mov_b32 s1, -1
	s_cbranch_vccz .LBB248_981
; %bb.978:
	v_cmp_eq_u16_e32 vcc_lo, 15, v6
	s_mov_b32 s0, -1
	s_cbranch_vccz .LBB248_980
; %bb.979:
	v_cvt_f32_f64_e32 v2, v[0:1]
	s_mov_b32 s0, 0
	s_delay_alu instid0(VALU_DEP_1) | instskip(SKIP_1) | instid1(VALU_DEP_2)
	v_bfe_u32 v3, v2, 16, 1
	v_cmp_o_f32_e32 vcc_lo, v2, v2
	v_add3_u32 v3, v2, v3, 0x7fff
	s_delay_alu instid0(VALU_DEP_1) | instskip(NEXT) | instid1(VALU_DEP_1)
	v_lshrrev_b32_e32 v3, 16, v3
	v_cndmask_b32_e32 v2, 0x7fc0, v3, vcc_lo
	global_store_b16 v[4:5], v2, off
.LBB248_980:
	s_mov_b32 s1, 0
.LBB248_981:
	s_delay_alu instid0(SALU_CYCLE_1)
	s_and_b32 vcc_lo, exec_lo, s1
	s_cbranch_vccz .LBB248_984
; %bb.982:
	v_cmp_ne_u16_e32 vcc_lo, 11, v6
	s_and_not1_b32 s0, s0, exec_lo
	s_mov_b32 s14, -1
	s_and_b32 s1, vcc_lo, exec_lo
	s_delay_alu instid0(SALU_CYCLE_1)
	s_or_b32 s0, s0, s1
	s_branch .LBB248_984
.LBB248_983:
	s_mov_b32 s14, 0
.LBB248_984:
	s_and_not1_b32 s10, s10, exec_lo
	s_and_b32 s0, s0, exec_lo
	s_and_b32 s1, s13, exec_lo
	;; [unrolled: 1-line block ×3, first 2 shown]
	s_or_b32 s10, s10, s0
.LBB248_985:
	s_or_b32 exec_lo, exec_lo, s12
	s_and_saveexec_b32 s0, s10
	s_cbranch_execnz .LBB248_1047
; %bb.986:
	s_or_b32 exec_lo, exec_lo, s0
	s_and_saveexec_b32 s0, s13
	s_delay_alu instid0(SALU_CYCLE_1)
	s_xor_b32 s0, exec_lo, s0
	s_cbranch_execz .LBB248_988
.LBB248_987:
	v_cmp_neq_f64_e32 vcc_lo, 0, v[0:1]
	s_waitcnt vmcnt(0)
	v_cndmask_b32_e64 v2, 0, 1, vcc_lo
	global_store_b8 v[4:5], v2, off
.LBB248_988:
	s_or_b32 exec_lo, exec_lo, s0
	s_and_saveexec_b32 s0, s1
	s_delay_alu instid0(SALU_CYCLE_1)
	s_xor_b32 s0, exec_lo, s0
	s_cbranch_execz .LBB248_1026
; %bb.989:
	v_cmp_gt_i16_e32 vcc_lo, 5, v6
	s_mov_b32 s1, -1
	s_cbranch_vccnz .LBB248_1010
; %bb.990:
	v_cmp_gt_i16_e32 vcc_lo, 8, v6
	s_cbranch_vccnz .LBB248_1000
; %bb.991:
	v_cmp_gt_i16_e32 vcc_lo, 9, v6
	s_cbranch_vccnz .LBB248_997
; %bb.992:
	v_cmp_lt_i16_e32 vcc_lo, 9, v6
	s_cbranch_vccz .LBB248_994
; %bb.993:
	s_waitcnt vmcnt(0)
	v_mov_b32_e32 v2, 0
	s_mov_b32 s1, 0
	s_delay_alu instid0(VALU_DEP_1)
	v_mov_b32_e32 v3, v2
	global_store_b128 v[4:5], v[0:3], off
.LBB248_994:
	s_and_not1_b32 vcc_lo, exec_lo, s1
	s_cbranch_vccnz .LBB248_996
; %bb.995:
	s_waitcnt vmcnt(0)
	v_cvt_f32_f64_e32 v2, v[0:1]
	v_mov_b32_e32 v3, 0
	global_store_b64 v[4:5], v[2:3], off
.LBB248_996:
	s_mov_b32 s1, 0
.LBB248_997:
	s_delay_alu instid0(SALU_CYCLE_1)
	s_and_not1_b32 vcc_lo, exec_lo, s1
	s_cbranch_vccnz .LBB248_999
; %bb.998:
	s_waitcnt vmcnt(0)
	v_cvt_f32_f64_e32 v2, v[0:1]
	s_delay_alu instid0(VALU_DEP_1) | instskip(NEXT) | instid1(VALU_DEP_1)
	v_cvt_f16_f32_e32 v2, v2
	v_and_b32_e32 v2, 0xffff, v2
	global_store_b32 v[4:5], v2, off
.LBB248_999:
	s_mov_b32 s1, 0
.LBB248_1000:
	s_delay_alu instid0(SALU_CYCLE_1)
	s_and_not1_b32 vcc_lo, exec_lo, s1
	s_cbranch_vccnz .LBB248_1009
; %bb.1001:
	v_cmp_gt_i16_e32 vcc_lo, 6, v6
	s_mov_b32 s1, -1
	s_cbranch_vccnz .LBB248_1007
; %bb.1002:
	v_cmp_lt_i16_e32 vcc_lo, 6, v6
	s_cbranch_vccz .LBB248_1004
; %bb.1003:
	s_mov_b32 s1, 0
	global_store_b64 v[4:5], v[0:1], off
.LBB248_1004:
	s_and_not1_b32 vcc_lo, exec_lo, s1
	s_cbranch_vccnz .LBB248_1006
; %bb.1005:
	s_waitcnt vmcnt(0)
	v_cvt_f32_f64_e32 v2, v[0:1]
	global_store_b32 v[4:5], v2, off
.LBB248_1006:
	s_mov_b32 s1, 0
.LBB248_1007:
	s_delay_alu instid0(SALU_CYCLE_1)
	s_and_not1_b32 vcc_lo, exec_lo, s1
	s_cbranch_vccnz .LBB248_1009
; %bb.1008:
	s_waitcnt vmcnt(0)
	v_cvt_f32_f64_e32 v2, v[0:1]
	s_delay_alu instid0(VALU_DEP_1)
	v_cvt_f16_f32_e32 v2, v2
	global_store_b16 v[4:5], v2, off
.LBB248_1009:
	s_mov_b32 s1, 0
.LBB248_1010:
	s_delay_alu instid0(SALU_CYCLE_1)
	s_and_not1_b32 vcc_lo, exec_lo, s1
	s_cbranch_vccnz .LBB248_1026
; %bb.1011:
	v_cmp_gt_i16_e32 vcc_lo, 2, v6
	s_mov_b32 s1, -1
	s_cbranch_vccnz .LBB248_1021
; %bb.1012:
	v_cmp_gt_i16_e32 vcc_lo, 3, v6
	s_cbranch_vccnz .LBB248_1018
; %bb.1013:
	v_cmp_lt_i16_e32 vcc_lo, 3, v6
	s_cbranch_vccz .LBB248_1015
; %bb.1014:
	s_waitcnt vmcnt(0)
	v_trunc_f64_e32 v[2:3], v[0:1]
	s_mov_b32 s1, 0
	s_delay_alu instid0(VALU_DEP_1) | instskip(NEXT) | instid1(VALU_DEP_1)
	v_ldexp_f64 v[7:8], v[2:3], 0xffffffe0
	v_floor_f64_e32 v[7:8], v[7:8]
	s_delay_alu instid0(VALU_DEP_1) | instskip(SKIP_1) | instid1(VALU_DEP_2)
	v_fma_f64 v[2:3], 0xc1f00000, v[7:8], v[2:3]
	v_cvt_i32_f64_e32 v8, v[7:8]
	v_cvt_u32_f64_e32 v7, v[2:3]
	global_store_b64 v[4:5], v[7:8], off
.LBB248_1015:
	s_and_not1_b32 vcc_lo, exec_lo, s1
	s_cbranch_vccnz .LBB248_1017
; %bb.1016:
	s_waitcnt vmcnt(0)
	v_cvt_i32_f64_e32 v2, v[0:1]
	global_store_b32 v[4:5], v2, off
.LBB248_1017:
	s_mov_b32 s1, 0
.LBB248_1018:
	s_delay_alu instid0(SALU_CYCLE_1)
	s_and_not1_b32 vcc_lo, exec_lo, s1
	s_cbranch_vccnz .LBB248_1020
; %bb.1019:
	s_waitcnt vmcnt(0)
	v_cvt_i32_f64_e32 v2, v[0:1]
	global_store_b16 v[4:5], v2, off
.LBB248_1020:
	s_mov_b32 s1, 0
.LBB248_1021:
	s_delay_alu instid0(SALU_CYCLE_1)
	s_and_not1_b32 vcc_lo, exec_lo, s1
	s_cbranch_vccnz .LBB248_1026
; %bb.1022:
	v_cmp_lt_i16_e32 vcc_lo, 0, v6
	s_mov_b32 s1, -1
	s_cbranch_vccz .LBB248_1024
; %bb.1023:
	s_waitcnt vmcnt(0)
	v_cvt_i32_f64_e32 v2, v[0:1]
	s_mov_b32 s1, 0
	global_store_b8 v[4:5], v2, off
.LBB248_1024:
	s_and_not1_b32 vcc_lo, exec_lo, s1
	s_cbranch_vccnz .LBB248_1026
; %bb.1025:
	v_trunc_f64_e32 v[0:1], v[0:1]
	s_waitcnt vmcnt(0)
	s_delay_alu instid0(VALU_DEP_1) | instskip(NEXT) | instid1(VALU_DEP_1)
	v_ldexp_f64 v[2:3], v[0:1], 0xffffffe0
	v_floor_f64_e32 v[2:3], v[2:3]
	s_delay_alu instid0(VALU_DEP_1) | instskip(NEXT) | instid1(VALU_DEP_1)
	v_fma_f64 v[0:1], 0xc1f00000, v[2:3], v[0:1]
	v_cvt_u32_f64_e32 v0, v[0:1]
	global_store_b8 v[4:5], v0, off
.LBB248_1026:
	s_or_b32 exec_lo, exec_lo, s0
	s_delay_alu instid0(SALU_CYCLE_1)
	s_and_b32 s10, s11, exec_lo
                                        ; implicit-def: $vgpr11
                                        ; implicit-def: $vgpr12
                                        ; implicit-def: $vgpr10
.LBB248_1027:
	s_or_saveexec_b32 s9, s9
	s_mov_b32 s0, 0
                                        ; implicit-def: $vgpr13
                                        ; implicit-def: $vgpr4_vgpr5
                                        ; implicit-def: $vgpr0_vgpr1
	s_xor_b32 exec_lo, exec_lo, s9
	s_cbranch_execz .LBB248_1991
; %bb.1028:
	v_mul_lo_u32 v4, s3, v11
	v_cmp_gt_i16_e32 vcc_lo, 11, v12
	s_and_b32 vcc_lo, exec_lo, vcc_lo
	s_delay_alu instid0(VALU_DEP_2) | instskip(SKIP_2) | instid1(VALU_DEP_1)
	v_ashrrev_i32_e32 v0, 31, v4
	s_waitcnt vmcnt(0)
	v_add_co_u32 v2, s0, s6, v4
	v_add_co_ci_u32_e64 v3, s0, s7, v0, s0
	s_cbranch_vccnz .LBB248_1035
; %bb.1029:
	v_cmp_lt_i16_e32 vcc_lo, 25, v12
	s_mov_b32 s11, 0
	s_cbranch_vccz .LBB248_1041
; %bb.1030:
	v_cmp_lt_i16_e32 vcc_lo, 28, v12
	s_cbranch_vccz .LBB248_1043
; %bb.1031:
	v_cmp_lt_i16_e32 vcc_lo, 43, v12
	;; [unrolled: 3-line block ×3, first 2 shown]
	s_cbranch_vccz .LBB248_1049
; %bb.1033:
	v_cmp_eq_u16_e32 vcc_lo, 46, v12
	s_mov_b32 s1, 0
	s_cbranch_vccz .LBB248_1091
; %bb.1034:
	global_load_b32 v0, v[2:3], off
	s_mov_b32 s0, -1
	s_waitcnt vmcnt(0)
	v_lshlrev_b32_e32 v0, 16, v0
	s_delay_alu instid0(VALU_DEP_1)
	v_cvt_f64_f32_e32 v[0:1], v0
	s_branch .LBB248_1093
.LBB248_1035:
	s_mov_b32 s0, 0
	s_mov_b32 s8, s10
                                        ; implicit-def: $vgpr0_vgpr1
	s_cbranch_execz .LBB248_1156
; %bb.1036:
	v_cmp_gt_i16_e32 vcc_lo, 5, v12
	s_cbranch_vccnz .LBB248_1042
; %bb.1037:
	v_cmp_gt_i16_e32 vcc_lo, 8, v12
	s_cbranch_vccnz .LBB248_1044
	;; [unrolled: 3-line block ×3, first 2 shown]
; %bb.1039:
	v_cmp_lt_i16_e32 vcc_lo, 9, v12
	s_cbranch_vccz .LBB248_1050
; %bb.1040:
	global_load_b64 v[0:1], v[2:3], off
	s_mov_b32 s0, 0
	s_branch .LBB248_1051
.LBB248_1041:
	s_mov_b32 s0, 0
                                        ; implicit-def: $vgpr0_vgpr1
	s_cbranch_execnz .LBB248_1123
	s_branch .LBB248_1152
.LBB248_1042:
                                        ; implicit-def: $vgpr0_vgpr1
	s_branch .LBB248_1068
.LBB248_1043:
	s_mov_b32 s1, -1
	s_mov_b32 s0, 0
                                        ; implicit-def: $vgpr0_vgpr1
	s_branch .LBB248_1102
.LBB248_1044:
                                        ; implicit-def: $vgpr0_vgpr1
	s_branch .LBB248_1057
.LBB248_1045:
	s_mov_b32 s0, 0
                                        ; implicit-def: $vgpr0_vgpr1
	s_cbranch_execnz .LBB248_1098
	s_branch .LBB248_1101
.LBB248_1046:
	s_mov_b32 s0, -1
                                        ; implicit-def: $vgpr0_vgpr1
	s_branch .LBB248_1054
.LBB248_1047:
	s_cbranch_execnz .LBB248_1089
; %bb.1048:
	s_or_b32 s11, s11, exec_lo
	s_and_not1_b32 s13, s13, exec_lo
	s_or_b32 exec_lo, exec_lo, s0
	s_and_saveexec_b32 s0, s13
	s_delay_alu instid0(SALU_CYCLE_1)
	s_xor_b32 s0, exec_lo, s0
	s_cbranch_execnz .LBB248_987
	s_branch .LBB248_988
.LBB248_1049:
	s_mov_b32 s1, -1
	s_branch .LBB248_1092
.LBB248_1050:
	s_mov_b32 s0, -1
                                        ; implicit-def: $vgpr0_vgpr1
.LBB248_1051:
	s_delay_alu instid0(SALU_CYCLE_1)
	s_and_not1_b32 vcc_lo, exec_lo, s0
	s_cbranch_vccnz .LBB248_1053
; %bb.1052:
	global_load_b32 v0, v[2:3], off
	s_waitcnt vmcnt(0)
	v_cvt_f64_f32_e32 v[0:1], v0
.LBB248_1053:
	s_mov_b32 s0, 0
.LBB248_1054:
	s_delay_alu instid0(SALU_CYCLE_1)
	s_and_not1_b32 vcc_lo, exec_lo, s0
	s_cbranch_vccnz .LBB248_1056
; %bb.1055:
	global_load_b32 v0, v[2:3], off
	s_waitcnt vmcnt(0)
	v_cvt_f32_f16_e32 v0, v0
	s_delay_alu instid0(VALU_DEP_1)
	v_cvt_f64_f32_e32 v[0:1], v0
.LBB248_1056:
	s_cbranch_execnz .LBB248_1067
.LBB248_1057:
	v_cmp_gt_i16_e32 vcc_lo, 6, v12
	s_cbranch_vccnz .LBB248_1060
; %bb.1058:
	v_cmp_lt_i16_e32 vcc_lo, 6, v12
	s_cbranch_vccz .LBB248_1061
; %bb.1059:
	global_load_b64 v[0:1], v[2:3], off
	s_mov_b32 s0, 0
	s_branch .LBB248_1062
.LBB248_1060:
	s_mov_b32 s0, -1
                                        ; implicit-def: $vgpr0_vgpr1
	s_branch .LBB248_1065
.LBB248_1061:
	s_mov_b32 s0, -1
                                        ; implicit-def: $vgpr0_vgpr1
.LBB248_1062:
	s_delay_alu instid0(SALU_CYCLE_1)
	s_and_not1_b32 vcc_lo, exec_lo, s0
	s_cbranch_vccnz .LBB248_1064
; %bb.1063:
	global_load_b32 v0, v[2:3], off
	s_waitcnt vmcnt(0)
	v_cvt_f64_f32_e32 v[0:1], v0
.LBB248_1064:
	s_mov_b32 s0, 0
.LBB248_1065:
	s_delay_alu instid0(SALU_CYCLE_1)
	s_and_not1_b32 vcc_lo, exec_lo, s0
	s_cbranch_vccnz .LBB248_1067
; %bb.1066:
	global_load_u16 v0, v[2:3], off
	s_waitcnt vmcnt(0)
	v_cvt_f32_f16_e32 v0, v0
	s_delay_alu instid0(VALU_DEP_1)
	v_cvt_f64_f32_e32 v[0:1], v0
.LBB248_1067:
	s_cbranch_execnz .LBB248_1086
.LBB248_1068:
	v_cmp_gt_i16_e32 vcc_lo, 2, v12
	s_cbranch_vccnz .LBB248_1072
; %bb.1069:
	v_cmp_gt_i16_e32 vcc_lo, 3, v12
	s_cbranch_vccnz .LBB248_1073
; %bb.1070:
	v_cmp_lt_i16_e32 vcc_lo, 3, v12
	s_cbranch_vccz .LBB248_1074
; %bb.1071:
	global_load_b64 v[0:1], v[2:3], off
	s_mov_b32 s0, 0
	s_waitcnt vmcnt(0)
	v_cvt_f64_i32_e32 v[5:6], v1
	v_cvt_f64_u32_e32 v[0:1], v0
	s_delay_alu instid0(VALU_DEP_2) | instskip(NEXT) | instid1(VALU_DEP_1)
	v_ldexp_f64 v[5:6], v[5:6], 32
	v_add_f64 v[0:1], v[5:6], v[0:1]
	s_branch .LBB248_1075
.LBB248_1072:
                                        ; implicit-def: $vgpr0_vgpr1
	s_branch .LBB248_1081
.LBB248_1073:
	s_mov_b32 s0, -1
                                        ; implicit-def: $vgpr0_vgpr1
	s_branch .LBB248_1078
.LBB248_1074:
	s_mov_b32 s0, -1
                                        ; implicit-def: $vgpr0_vgpr1
.LBB248_1075:
	s_delay_alu instid0(SALU_CYCLE_1)
	s_and_not1_b32 vcc_lo, exec_lo, s0
	s_cbranch_vccnz .LBB248_1077
; %bb.1076:
	global_load_b32 v0, v[2:3], off
	s_waitcnt vmcnt(0)
	v_cvt_f64_i32_e32 v[0:1], v0
.LBB248_1077:
	s_mov_b32 s0, 0
.LBB248_1078:
	s_delay_alu instid0(SALU_CYCLE_1)
	s_and_not1_b32 vcc_lo, exec_lo, s0
	s_cbranch_vccnz .LBB248_1080
; %bb.1079:
	global_load_i16 v0, v[2:3], off
	s_waitcnt vmcnt(0)
	v_cvt_f64_i32_e32 v[0:1], v0
.LBB248_1080:
	s_cbranch_execnz .LBB248_1086
.LBB248_1081:
	v_cmp_lt_i16_e32 vcc_lo, 0, v12
	s_mov_b32 s0, 0
	s_cbranch_vccz .LBB248_1083
; %bb.1082:
	global_load_i8 v0, v[2:3], off
	s_waitcnt vmcnt(0)
	v_cvt_f64_i32_e32 v[0:1], v0
	s_branch .LBB248_1084
.LBB248_1083:
	s_mov_b32 s0, -1
                                        ; implicit-def: $vgpr0_vgpr1
.LBB248_1084:
	s_delay_alu instid0(SALU_CYCLE_1)
	s_and_not1_b32 vcc_lo, exec_lo, s0
	s_cbranch_vccnz .LBB248_1086
; %bb.1085:
	global_load_u8 v0, v[2:3], off
	s_waitcnt vmcnt(0)
	v_cvt_f64_u32_e32 v[0:1], v0
.LBB248_1086:
                                        ; implicit-def: $vgpr2_vgpr3
	s_branch .LBB248_1157
.LBB248_1087:
	s_trap 2
	s_sendmsg_rtn_b32 s0, sendmsg(MSG_RTN_GET_DOORBELL)
	s_mov_b32 ttmp2, m0
	s_waitcnt lgkmcnt(0)
	s_and_b32 s0, s0, 0x3ff
	s_delay_alu instid0(SALU_CYCLE_1) | instskip(NEXT) | instid1(SALU_CYCLE_1)
	s_bitset1_b32 s0, 10
	s_mov_b32 m0, s0
	s_sendmsg sendmsg(MSG_INTERRUPT)
	s_mov_b32 m0, ttmp2
.LBB248_1088:                           ; =>This Inner Loop Header: Depth=1
	s_sethalt 5
	s_branch .LBB248_1088
.LBB248_1089:
	s_trap 2
	s_sendmsg_rtn_b32 s0, sendmsg(MSG_RTN_GET_DOORBELL)
	s_mov_b32 ttmp2, m0
	s_waitcnt lgkmcnt(0)
	s_and_b32 s0, s0, 0x3ff
	s_delay_alu instid0(SALU_CYCLE_1) | instskip(NEXT) | instid1(SALU_CYCLE_1)
	s_bitset1_b32 s0, 10
	s_mov_b32 m0, s0
	s_sendmsg sendmsg(MSG_INTERRUPT)
	s_mov_b32 m0, ttmp2
.LBB248_1090:                           ; =>This Inner Loop Header: Depth=1
	s_sethalt 5
	s_branch .LBB248_1090
.LBB248_1091:
	s_mov_b32 s8, -1
.LBB248_1092:
	s_mov_b32 s0, 0
                                        ; implicit-def: $vgpr0_vgpr1
.LBB248_1093:
	s_and_b32 vcc_lo, exec_lo, s1
	s_cbranch_vccz .LBB248_1096
; %bb.1094:
	v_cmp_eq_u16_e32 vcc_lo, 44, v12
	s_cbranch_vccz .LBB248_1097
; %bb.1095:
	global_load_u8 v5, v[2:3], off
	s_mov_b32 s8, 0
	s_mov_b32 s0, -1
	s_waitcnt vmcnt(0)
	v_lshlrev_b32_e32 v0, 23, v5
	v_cmp_ne_u32_e32 vcc_lo, 0xff, v5
	s_delay_alu instid0(VALU_DEP_2) | instskip(NEXT) | instid1(VALU_DEP_1)
	v_cvt_f64_f32_e32 v[0:1], v0
	v_cndmask_b32_e32 v0, 0x20000000, v0, vcc_lo
	s_delay_alu instid0(VALU_DEP_2) | instskip(SKIP_1) | instid1(VALU_DEP_2)
	v_cndmask_b32_e32 v1, 0x7ff80000, v1, vcc_lo
	v_cmp_ne_u32_e32 vcc_lo, 0, v5
	v_cndmask_b32_e32 v1, 0x38000000, v1, vcc_lo
	s_delay_alu instid0(VALU_DEP_4)
	v_cndmask_b32_e32 v0, 0, v0, vcc_lo
.LBB248_1096:
	s_branch .LBB248_1101
.LBB248_1097:
	s_mov_b32 s8, -1
                                        ; implicit-def: $vgpr0_vgpr1
	s_branch .LBB248_1101
.LBB248_1098:
	v_cmp_eq_u16_e32 vcc_lo, 29, v12
	s_cbranch_vccz .LBB248_1100
; %bb.1099:
	global_load_b64 v[0:1], v[2:3], off
	s_mov_b32 s8, 0
	s_mov_b32 s0, -1
	s_mov_b32 s1, 0
	s_waitcnt vmcnt(0)
	v_cvt_f64_u32_e32 v[5:6], v1
	v_cvt_f64_u32_e32 v[0:1], v0
	s_delay_alu instid0(VALU_DEP_2) | instskip(NEXT) | instid1(VALU_DEP_1)
	v_ldexp_f64 v[5:6], v[5:6], 32
	v_add_f64 v[0:1], v[5:6], v[0:1]
	s_branch .LBB248_1102
.LBB248_1100:
	s_mov_b32 s8, -1
                                        ; implicit-def: $vgpr0_vgpr1
.LBB248_1101:
	s_mov_b32 s1, 0
.LBB248_1102:
	s_delay_alu instid0(SALU_CYCLE_1)
	s_and_b32 vcc_lo, exec_lo, s1
	s_cbranch_vccz .LBB248_1122
; %bb.1103:
	v_cmp_gt_i16_e32 vcc_lo, 27, v12
	s_cbranch_vccnz .LBB248_1106
; %bb.1104:
	v_cmp_lt_i16_e32 vcc_lo, 27, v12
	s_cbranch_vccz .LBB248_1107
; %bb.1105:
	global_load_b32 v0, v[2:3], off
	s_mov_b32 s0, 0
	s_waitcnt vmcnt(0)
	v_cvt_f64_u32_e32 v[0:1], v0
	s_branch .LBB248_1108
.LBB248_1106:
	s_mov_b32 s0, -1
                                        ; implicit-def: $vgpr0_vgpr1
	s_branch .LBB248_1111
.LBB248_1107:
	s_mov_b32 s0, -1
                                        ; implicit-def: $vgpr0_vgpr1
.LBB248_1108:
	s_delay_alu instid0(SALU_CYCLE_1)
	s_and_not1_b32 vcc_lo, exec_lo, s0
	s_cbranch_vccnz .LBB248_1110
; %bb.1109:
	global_load_u16 v0, v[2:3], off
	s_waitcnt vmcnt(0)
	v_cvt_f64_u32_e32 v[0:1], v0
.LBB248_1110:
	s_mov_b32 s0, 0
.LBB248_1111:
	s_delay_alu instid0(SALU_CYCLE_1)
	s_and_not1_b32 vcc_lo, exec_lo, s0
	s_cbranch_vccnz .LBB248_1121
; %bb.1112:
	global_load_u8 v5, v[2:3], off
	s_mov_b32 s12, 0
	s_mov_b32 s13, exec_lo
                                        ; implicit-def: $sgpr0_sgpr1
	s_waitcnt vmcnt(0)
	v_cmpx_lt_i16_e32 0x7f, v5
	s_xor_b32 s13, exec_lo, s13
	s_cbranch_execz .LBB248_1116
; %bb.1113:
	s_mov_b32 s14, -1
	s_mov_b32 s12, exec_lo
                                        ; implicit-def: $sgpr0_sgpr1
	v_cmpx_eq_u16_e32 0x80, v5
; %bb.1114:
	s_mov_b32 s1, 0x7ff80000
	s_brev_b32 s0, 4
	s_xor_b32 s14, exec_lo, -1
; %bb.1115:
	s_or_b32 exec_lo, exec_lo, s12
	s_delay_alu instid0(SALU_CYCLE_1)
	s_and_b32 s12, s14, exec_lo
.LBB248_1116:
	s_or_saveexec_b32 s13, s13
	v_dual_mov_b32 v0, s0 :: v_dual_mov_b32 v1, s1
	s_xor_b32 exec_lo, exec_lo, s13
; %bb.1117:
	v_cmp_ne_u16_e32 vcc_lo, 0, v5
	v_mov_b32_e32 v0, 0
	v_mov_b32_e32 v1, 0
	s_and_not1_b32 s0, s12, exec_lo
	s_and_b32 s1, vcc_lo, exec_lo
	s_delay_alu instid0(SALU_CYCLE_1)
	s_or_b32 s12, s0, s1
; %bb.1118:
	s_or_b32 exec_lo, exec_lo, s13
	s_and_saveexec_b32 s0, s12
	s_cbranch_execz .LBB248_1120
; %bb.1119:
	v_and_b32_e32 v0, 0xffff, v5
	v_lshlrev_b32_e32 v5, 24, v5
	s_delay_alu instid0(VALU_DEP_2) | instskip(NEXT) | instid1(VALU_DEP_2)
	v_and_b32_e32 v1, 7, v0
	v_and_b32_e32 v5, 0x80000000, v5
	s_delay_alu instid0(VALU_DEP_2) | instskip(NEXT) | instid1(VALU_DEP_1)
	v_clz_i32_u32_e32 v6, v1
	v_min_u32_e32 v6, 32, v6
	s_delay_alu instid0(VALU_DEP_1) | instskip(SKIP_1) | instid1(VALU_DEP_2)
	v_subrev_nc_u32_e32 v7, 28, v6
	v_sub_nc_u32_e32 v6, 29, v6
	v_lshlrev_b32_e32 v7, v7, v0
	v_bfe_u32 v0, v0, 3, 4
	s_delay_alu instid0(VALU_DEP_2) | instskip(NEXT) | instid1(VALU_DEP_2)
	v_and_b32_e32 v7, 7, v7
	v_cmp_eq_u32_e32 vcc_lo, 0, v0
	s_delay_alu instid0(VALU_DEP_2) | instskip(NEXT) | instid1(VALU_DEP_1)
	v_dual_cndmask_b32 v0, v0, v6 :: v_dual_cndmask_b32 v1, v1, v7
	v_lshl_add_u32 v0, v0, 23, 0x3b800000
	s_delay_alu instid0(VALU_DEP_2) | instskip(NEXT) | instid1(VALU_DEP_1)
	v_lshlrev_b32_e32 v1, 20, v1
	v_or3_b32 v0, v5, v0, v1
	s_delay_alu instid0(VALU_DEP_1)
	v_cvt_f64_f32_e32 v[0:1], v0
.LBB248_1120:
	s_or_b32 exec_lo, exec_lo, s0
.LBB248_1121:
	s_mov_b32 s0, -1
.LBB248_1122:
	s_branch .LBB248_1152
.LBB248_1123:
	v_cmp_lt_i16_e32 vcc_lo, 22, v12
	s_cbranch_vccz .LBB248_1135
; %bb.1124:
	v_cmp_gt_i16_e32 vcc_lo, 24, v12
	s_cbranch_vccnz .LBB248_1136
; %bb.1125:
	v_cmp_lt_i16_e32 vcc_lo, 24, v12
	s_cbranch_vccz .LBB248_1137
; %bb.1126:
	global_load_u8 v5, v[2:3], off
	s_mov_b32 s12, exec_lo
                                        ; implicit-def: $sgpr0_sgpr1
	s_waitcnt vmcnt(0)
	v_cmpx_lt_i16_e32 0x7f, v5
	s_xor_b32 s12, exec_lo, s12
	s_cbranch_execz .LBB248_1130
; %bb.1127:
	s_mov_b32 s13, -1
	s_mov_b32 s11, exec_lo
                                        ; implicit-def: $sgpr0_sgpr1
	v_cmpx_eq_u16_e32 0x80, v5
; %bb.1128:
	s_mov_b32 s1, 0x7ff80000
	s_brev_b32 s0, 4
	s_xor_b32 s13, exec_lo, -1
; %bb.1129:
	s_or_b32 exec_lo, exec_lo, s11
	s_delay_alu instid0(SALU_CYCLE_1)
	s_and_b32 s11, s13, exec_lo
.LBB248_1130:
	s_or_saveexec_b32 s12, s12
	v_dual_mov_b32 v0, s0 :: v_dual_mov_b32 v1, s1
	s_xor_b32 exec_lo, exec_lo, s12
; %bb.1131:
	v_cmp_ne_u16_e32 vcc_lo, 0, v5
	v_mov_b32_e32 v0, 0
	v_mov_b32_e32 v1, 0
	s_and_not1_b32 s0, s11, exec_lo
	s_and_b32 s1, vcc_lo, exec_lo
	s_delay_alu instid0(SALU_CYCLE_1)
	s_or_b32 s11, s0, s1
; %bb.1132:
	s_or_b32 exec_lo, exec_lo, s12
	s_and_saveexec_b32 s0, s11
	s_cbranch_execz .LBB248_1134
; %bb.1133:
	v_and_b32_e32 v0, 0xffff, v5
	v_lshlrev_b32_e32 v5, 24, v5
	s_delay_alu instid0(VALU_DEP_2) | instskip(NEXT) | instid1(VALU_DEP_2)
	v_and_b32_e32 v1, 3, v0
	v_and_b32_e32 v5, 0x80000000, v5
	s_delay_alu instid0(VALU_DEP_2) | instskip(NEXT) | instid1(VALU_DEP_1)
	v_clz_i32_u32_e32 v6, v1
	v_min_u32_e32 v6, 32, v6
	s_delay_alu instid0(VALU_DEP_1) | instskip(SKIP_1) | instid1(VALU_DEP_2)
	v_subrev_nc_u32_e32 v7, 29, v6
	v_sub_nc_u32_e32 v6, 30, v6
	v_lshlrev_b32_e32 v7, v7, v0
	v_bfe_u32 v0, v0, 2, 5
	s_delay_alu instid0(VALU_DEP_2) | instskip(NEXT) | instid1(VALU_DEP_2)
	v_and_b32_e32 v7, 3, v7
	v_cmp_eq_u32_e32 vcc_lo, 0, v0
	s_delay_alu instid0(VALU_DEP_2) | instskip(NEXT) | instid1(VALU_DEP_1)
	v_dual_cndmask_b32 v0, v0, v6 :: v_dual_cndmask_b32 v1, v1, v7
	v_lshl_add_u32 v0, v0, 23, 0x37800000
	s_delay_alu instid0(VALU_DEP_2) | instskip(NEXT) | instid1(VALU_DEP_1)
	v_lshlrev_b32_e32 v1, 21, v1
	v_or3_b32 v0, v5, v0, v1
	s_delay_alu instid0(VALU_DEP_1)
	v_cvt_f64_f32_e32 v[0:1], v0
.LBB248_1134:
	s_or_b32 exec_lo, exec_lo, s0
	s_mov_b32 s0, 0
	s_branch .LBB248_1138
.LBB248_1135:
                                        ; implicit-def: $vgpr0_vgpr1
	s_mov_b32 s11, 0
	s_branch .LBB248_1144
.LBB248_1136:
	s_mov_b32 s0, -1
                                        ; implicit-def: $vgpr0_vgpr1
	s_branch .LBB248_1141
.LBB248_1137:
	s_mov_b32 s0, -1
                                        ; implicit-def: $vgpr0_vgpr1
.LBB248_1138:
	s_delay_alu instid0(SALU_CYCLE_1)
	s_and_b32 vcc_lo, exec_lo, s0
	s_cbranch_vccz .LBB248_1140
; %bb.1139:
	global_load_u8 v0, v[2:3], off
	s_waitcnt vmcnt(0)
	v_lshlrev_b32_e32 v0, 24, v0
	s_delay_alu instid0(VALU_DEP_1) | instskip(NEXT) | instid1(VALU_DEP_1)
	v_and_b32_e32 v1, 0x7f000000, v0
	v_clz_i32_u32_e32 v5, v1
	v_add_nc_u32_e32 v7, 0x1000000, v1
	v_cmp_ne_u32_e32 vcc_lo, 0, v1
	s_delay_alu instid0(VALU_DEP_3) | instskip(NEXT) | instid1(VALU_DEP_1)
	v_min_u32_e32 v5, 32, v5
	v_sub_nc_u32_e64 v5, v5, 4 clamp
	s_delay_alu instid0(VALU_DEP_1) | instskip(SKIP_1) | instid1(VALU_DEP_2)
	v_lshlrev_b32_e32 v6, v5, v1
	v_lshlrev_b32_e32 v5, 23, v5
	v_lshrrev_b32_e32 v6, 4, v6
	s_delay_alu instid0(VALU_DEP_1) | instskip(SKIP_1) | instid1(VALU_DEP_2)
	v_sub_nc_u32_e32 v5, v6, v5
	v_ashrrev_i32_e32 v6, 8, v7
	v_add_nc_u32_e32 v5, 0x3c000000, v5
	s_delay_alu instid0(VALU_DEP_1) | instskip(NEXT) | instid1(VALU_DEP_1)
	v_and_or_b32 v5, 0x7f800000, v6, v5
	v_cndmask_b32_e32 v1, 0, v5, vcc_lo
	s_delay_alu instid0(VALU_DEP_1) | instskip(NEXT) | instid1(VALU_DEP_1)
	v_and_or_b32 v0, 0x80000000, v0, v1
	v_cvt_f64_f32_e32 v[0:1], v0
.LBB248_1140:
	s_mov_b32 s0, 0
.LBB248_1141:
	s_delay_alu instid0(SALU_CYCLE_1)
	s_and_not1_b32 vcc_lo, exec_lo, s0
	s_cbranch_vccnz .LBB248_1143
; %bb.1142:
	global_load_u8 v0, v[2:3], off
	s_waitcnt vmcnt(0)
	v_lshlrev_b32_e32 v1, 25, v0
	v_lshlrev_b16 v0, 8, v0
	s_delay_alu instid0(VALU_DEP_1) | instskip(SKIP_1) | instid1(VALU_DEP_2)
	v_and_or_b32 v6, 0x7f00, v0, 0.5
	v_bfe_i32 v0, v0, 0, 16
	v_add_f32_e32 v6, -0.5, v6
	v_lshrrev_b32_e32 v5, 4, v1
	v_cmp_gt_u32_e32 vcc_lo, 0x8000000, v1
	s_delay_alu instid0(VALU_DEP_2) | instskip(NEXT) | instid1(VALU_DEP_1)
	v_or_b32_e32 v5, 0x70000000, v5
	v_mul_f32_e32 v5, 0x7800000, v5
	s_delay_alu instid0(VALU_DEP_1) | instskip(NEXT) | instid1(VALU_DEP_1)
	v_cndmask_b32_e32 v1, v5, v6, vcc_lo
	v_and_or_b32 v0, 0x80000000, v0, v1
	s_delay_alu instid0(VALU_DEP_1)
	v_cvt_f64_f32_e32 v[0:1], v0
.LBB248_1143:
	s_mov_b32 s0, -1
	s_mov_b32 s11, 0
	s_cbranch_execnz .LBB248_1152
.LBB248_1144:
	v_cmp_lt_i16_e32 vcc_lo, 14, v12
	s_cbranch_vccz .LBB248_1147
; %bb.1145:
	v_cmp_eq_u16_e32 vcc_lo, 15, v12
	s_cbranch_vccz .LBB248_1148
; %bb.1146:
	global_load_u16 v0, v[2:3], off
	s_mov_b32 s8, 0
	s_mov_b32 s0, -1
	s_waitcnt vmcnt(0)
	v_lshlrev_b32_e32 v0, 16, v0
	s_delay_alu instid0(VALU_DEP_1)
	v_cvt_f64_f32_e32 v[0:1], v0
	s_branch .LBB248_1149
.LBB248_1147:
	s_mov_b32 s1, -1
                                        ; implicit-def: $vgpr0_vgpr1
	s_branch .LBB248_1150
.LBB248_1148:
	s_mov_b32 s8, -1
                                        ; implicit-def: $vgpr0_vgpr1
.LBB248_1149:
	s_mov_b32 s1, 0
.LBB248_1150:
	s_delay_alu instid0(SALU_CYCLE_1)
	s_and_b32 vcc_lo, exec_lo, s1
	s_cbranch_vccz .LBB248_1152
; %bb.1151:
	v_cmp_ne_u16_e64 s8, 11, v12
	s_mov_b32 s11, -1
                                        ; implicit-def: $vgpr0_vgpr1
.LBB248_1152:
	s_delay_alu instid0(VALU_DEP_1)
	s_and_b32 vcc_lo, exec_lo, s8
	s_mov_b32 s8, s10
	s_cbranch_vccnz .LBB248_1176
; %bb.1153:
	s_and_not1_b32 vcc_lo, exec_lo, s11
	s_cbranch_vccnz .LBB248_1155
.LBB248_1154:
	global_load_u8 v0, v[2:3], off
	s_mov_b32 s0, -1
	s_waitcnt vmcnt(0)
	v_cmp_ne_u16_e32 vcc_lo, 0, v0
	v_mov_b32_e32 v0, 0
	v_cndmask_b32_e64 v1, 0, 0x3ff00000, vcc_lo
.LBB248_1155:
.LBB248_1156:
	s_and_not1_b32 vcc_lo, exec_lo, s0
                                        ; implicit-def: $vgpr2_vgpr3
	s_cbranch_vccnz .LBB248_1989
.LBB248_1157:
	s_lshl_b32 s3, s3, 7
	v_cmp_gt_i16_e32 vcc_lo, 11, v12
	v_add_nc_u32_e32 v4, s3, v4
	s_delay_alu instid0(VALU_DEP_1) | instskip(SKIP_1) | instid1(VALU_DEP_1)
	v_ashrrev_i32_e32 v3, 31, v4
	v_add_co_u32 v2, s0, s6, v4
	v_add_co_ci_u32_e64 v3, s0, s7, v3, s0
	s_cbranch_vccnz .LBB248_1164
; %bb.1158:
	v_cmp_lt_i16_e32 vcc_lo, 25, v12
	s_mov_b32 s12, 0
	s_cbranch_vccz .LBB248_1170
; %bb.1159:
	v_cmp_lt_i16_e32 vcc_lo, 28, v12
	s_cbranch_vccz .LBB248_1172
; %bb.1160:
	v_cmp_lt_i16_e32 vcc_lo, 43, v12
	;; [unrolled: 3-line block ×3, first 2 shown]
	s_cbranch_vccz .LBB248_1180
; %bb.1162:
	v_cmp_eq_u16_e32 vcc_lo, 46, v12
	s_mov_b32 s1, 0
	s_cbranch_vccz .LBB248_1224
; %bb.1163:
	global_load_b32 v5, v[2:3], off
	s_mov_b32 s11, 0
	s_mov_b32 s0, -1
	s_waitcnt vmcnt(0)
	v_lshlrev_b32_e32 v5, 16, v5
	s_delay_alu instid0(VALU_DEP_1)
	v_cvt_f64_f32_e32 v[8:9], v5
	s_branch .LBB248_1226
.LBB248_1164:
	s_mov_b32 s0, 0
                                        ; implicit-def: $vgpr8_vgpr9
	s_cbranch_execz .LBB248_1291
; %bb.1165:
	v_cmp_gt_i16_e32 vcc_lo, 5, v12
	s_cbranch_vccnz .LBB248_1171
; %bb.1166:
	v_cmp_gt_i16_e32 vcc_lo, 8, v12
	s_cbranch_vccnz .LBB248_1173
	;; [unrolled: 3-line block ×3, first 2 shown]
; %bb.1168:
	v_cmp_lt_i16_e32 vcc_lo, 9, v12
	s_cbranch_vccz .LBB248_1181
; %bb.1169:
	global_load_b64 v[8:9], v[2:3], off
	s_mov_b32 s0, 0
	s_branch .LBB248_1182
.LBB248_1170:
	s_mov_b32 s0, 0
	s_mov_b32 s11, 0
                                        ; implicit-def: $vgpr8_vgpr9
	s_cbranch_execnz .LBB248_1257
	s_branch .LBB248_1287
.LBB248_1171:
                                        ; implicit-def: $vgpr8_vgpr9
	s_branch .LBB248_1200
.LBB248_1172:
	s_mov_b32 s1, -1
	s_mov_b32 s0, 0
	s_mov_b32 s11, 0
                                        ; implicit-def: $vgpr8_vgpr9
	s_branch .LBB248_1236
.LBB248_1173:
	s_mov_b32 s0, -1
                                        ; implicit-def: $vgpr8_vgpr9
	s_branch .LBB248_1188
.LBB248_1174:
	s_mov_b32 s1, -1
	s_mov_b32 s0, 0
	s_mov_b32 s11, 0
                                        ; implicit-def: $vgpr8_vgpr9
	s_branch .LBB248_1231
.LBB248_1175:
	s_mov_b32 s0, -1
                                        ; implicit-def: $vgpr8_vgpr9
	s_branch .LBB248_1185
.LBB248_1176:
	s_cbranch_execnz .LBB248_1220
; %bb.1177:
	s_or_b32 s8, s10, exec_lo
                                        ; implicit-def: $vgpr0_vgpr1
	s_cbranch_execz .LBB248_1154
	s_branch .LBB248_1155
.LBB248_1178:
	s_or_saveexec_b32 s14, s14
                                        ; implicit-def: $sgpr15
	s_delay_alu instid0(SALU_CYCLE_1)
	s_xor_b32 exec_lo, exec_lo, s14
	s_cbranch_execz .LBB248_938
.LBB248_1179:
	v_add_f32_e64 v3, 0x46000000, |v2|
	s_and_not1_b32 s13, s13, exec_lo
	s_mov_b32 s15, 0
	s_delay_alu instid0(VALU_DEP_1) | instskip(NEXT) | instid1(VALU_DEP_1)
	v_and_b32_e32 v3, 0xff, v3
	v_cmp_ne_u32_e32 vcc_lo, 0, v3
	s_and_b32 s16, vcc_lo, exec_lo
	s_delay_alu instid0(SALU_CYCLE_1)
	s_or_b32 s13, s13, s16
	s_or_b32 exec_lo, exec_lo, s14
	v_mov_b32_e32 v7, s15
	s_and_saveexec_b32 s14, s13
	s_cbranch_execnz .LBB248_939
	s_branch .LBB248_940
.LBB248_1180:
	s_mov_b32 s1, -1
	s_mov_b32 s0, 0
	s_mov_b32 s11, 0
	s_branch .LBB248_1225
.LBB248_1181:
	s_mov_b32 s0, -1
                                        ; implicit-def: $vgpr8_vgpr9
.LBB248_1182:
	s_delay_alu instid0(SALU_CYCLE_1)
	s_and_not1_b32 vcc_lo, exec_lo, s0
	s_cbranch_vccnz .LBB248_1184
; %bb.1183:
	global_load_b32 v5, v[2:3], off
	s_waitcnt vmcnt(0)
	v_cvt_f64_f32_e32 v[8:9], v5
.LBB248_1184:
	s_mov_b32 s0, 0
.LBB248_1185:
	s_delay_alu instid0(SALU_CYCLE_1)
	s_and_not1_b32 vcc_lo, exec_lo, s0
	s_cbranch_vccnz .LBB248_1187
; %bb.1186:
	global_load_b32 v5, v[2:3], off
	s_waitcnt vmcnt(0)
	v_cvt_f32_f16_e32 v5, v5
	s_delay_alu instid0(VALU_DEP_1)
	v_cvt_f64_f32_e32 v[8:9], v5
.LBB248_1187:
	s_mov_b32 s0, 0
.LBB248_1188:
	s_delay_alu instid0(SALU_CYCLE_1)
	s_and_not1_b32 vcc_lo, exec_lo, s0
	s_cbranch_vccnz .LBB248_1199
; %bb.1189:
	v_cmp_gt_i16_e32 vcc_lo, 6, v12
	s_cbranch_vccnz .LBB248_1192
; %bb.1190:
	v_cmp_lt_i16_e32 vcc_lo, 6, v12
	s_cbranch_vccz .LBB248_1193
; %bb.1191:
	global_load_b64 v[8:9], v[2:3], off
	s_mov_b32 s0, 0
	s_branch .LBB248_1194
.LBB248_1192:
	s_mov_b32 s0, -1
                                        ; implicit-def: $vgpr8_vgpr9
	s_branch .LBB248_1197
.LBB248_1193:
	s_mov_b32 s0, -1
                                        ; implicit-def: $vgpr8_vgpr9
.LBB248_1194:
	s_delay_alu instid0(SALU_CYCLE_1)
	s_and_not1_b32 vcc_lo, exec_lo, s0
	s_cbranch_vccnz .LBB248_1196
; %bb.1195:
	global_load_b32 v5, v[2:3], off
	s_waitcnt vmcnt(0)
	v_cvt_f64_f32_e32 v[8:9], v5
.LBB248_1196:
	s_mov_b32 s0, 0
.LBB248_1197:
	s_delay_alu instid0(SALU_CYCLE_1)
	s_and_not1_b32 vcc_lo, exec_lo, s0
	s_cbranch_vccnz .LBB248_1199
; %bb.1198:
	global_load_u16 v5, v[2:3], off
	s_waitcnt vmcnt(0)
	v_cvt_f32_f16_e32 v5, v5
	s_delay_alu instid0(VALU_DEP_1)
	v_cvt_f64_f32_e32 v[8:9], v5
.LBB248_1199:
	s_cbranch_execnz .LBB248_1219
.LBB248_1200:
	v_cmp_gt_i16_e32 vcc_lo, 2, v12
	s_cbranch_vccnz .LBB248_1204
; %bb.1201:
	v_cmp_gt_i16_e32 vcc_lo, 3, v12
	s_cbranch_vccnz .LBB248_1205
; %bb.1202:
	v_cmp_lt_i16_e32 vcc_lo, 3, v12
	s_cbranch_vccz .LBB248_1206
; %bb.1203:
	global_load_b64 v[5:6], v[2:3], off
	s_mov_b32 s0, 0
	s_waitcnt vmcnt(0)
	v_cvt_f64_i32_e32 v[6:7], v6
	v_cvt_f64_u32_e32 v[8:9], v5
	s_delay_alu instid0(VALU_DEP_2) | instskip(NEXT) | instid1(VALU_DEP_1)
	v_ldexp_f64 v[6:7], v[6:7], 32
	v_add_f64 v[8:9], v[6:7], v[8:9]
	s_branch .LBB248_1207
.LBB248_1204:
	s_mov_b32 s0, -1
                                        ; implicit-def: $vgpr8_vgpr9
	s_branch .LBB248_1213
.LBB248_1205:
	s_mov_b32 s0, -1
                                        ; implicit-def: $vgpr8_vgpr9
	s_branch .LBB248_1210
.LBB248_1206:
	s_mov_b32 s0, -1
                                        ; implicit-def: $vgpr8_vgpr9
.LBB248_1207:
	s_delay_alu instid0(SALU_CYCLE_1)
	s_and_not1_b32 vcc_lo, exec_lo, s0
	s_cbranch_vccnz .LBB248_1209
; %bb.1208:
	global_load_b32 v5, v[2:3], off
	s_waitcnt vmcnt(0)
	v_cvt_f64_i32_e32 v[8:9], v5
.LBB248_1209:
	s_mov_b32 s0, 0
.LBB248_1210:
	s_delay_alu instid0(SALU_CYCLE_1)
	s_and_not1_b32 vcc_lo, exec_lo, s0
	s_cbranch_vccnz .LBB248_1212
; %bb.1211:
	global_load_i16 v5, v[2:3], off
	s_waitcnt vmcnt(0)
	v_cvt_f64_i32_e32 v[8:9], v5
.LBB248_1212:
	s_mov_b32 s0, 0
.LBB248_1213:
	s_delay_alu instid0(SALU_CYCLE_1)
	s_and_not1_b32 vcc_lo, exec_lo, s0
	s_cbranch_vccnz .LBB248_1219
; %bb.1214:
	v_cmp_lt_i16_e32 vcc_lo, 0, v12
	s_mov_b32 s0, 0
	s_cbranch_vccz .LBB248_1216
; %bb.1215:
	global_load_i8 v5, v[2:3], off
	s_waitcnt vmcnt(0)
	v_cvt_f64_i32_e32 v[8:9], v5
	s_branch .LBB248_1217
.LBB248_1216:
	s_mov_b32 s0, -1
                                        ; implicit-def: $vgpr8_vgpr9
.LBB248_1217:
	s_delay_alu instid0(SALU_CYCLE_1)
	s_and_not1_b32 vcc_lo, exec_lo, s0
	s_cbranch_vccnz .LBB248_1219
; %bb.1218:
	global_load_u8 v2, v[2:3], off
	s_waitcnt vmcnt(0)
	v_cvt_f64_u32_e32 v[8:9], v2
.LBB248_1219:
	s_branch .LBB248_1292
.LBB248_1220:
	s_trap 2
	s_sendmsg_rtn_b32 s0, sendmsg(MSG_RTN_GET_DOORBELL)
	s_mov_b32 ttmp2, m0
	s_waitcnt lgkmcnt(0)
	s_and_b32 s0, s0, 0x3ff
	s_delay_alu instid0(SALU_CYCLE_1) | instskip(NEXT) | instid1(SALU_CYCLE_1)
	s_bitset1_b32 s0, 10
	s_mov_b32 m0, s0
	s_sendmsg sendmsg(MSG_INTERRUPT)
	s_mov_b32 m0, ttmp2
.LBB248_1221:                           ; =>This Inner Loop Header: Depth=1
	s_sethalt 5
	s_branch .LBB248_1221
.LBB248_1222:
	s_or_saveexec_b32 s15, s15
                                        ; implicit-def: $sgpr16
	s_delay_alu instid0(SALU_CYCLE_1)
	s_xor_b32 exec_lo, exec_lo, s15
	s_cbranch_execz .LBB248_950
.LBB248_1223:
	v_add_f32_e64 v3, 0x42800000, |v2|
	s_and_not1_b32 s14, s14, exec_lo
	s_mov_b32 s16, 0
	s_delay_alu instid0(VALU_DEP_1) | instskip(NEXT) | instid1(VALU_DEP_1)
	v_and_b32_e32 v3, 0xff, v3
	v_cmp_ne_u32_e32 vcc_lo, 0, v3
	s_and_b32 s17, vcc_lo, exec_lo
	s_delay_alu instid0(SALU_CYCLE_1)
	s_or_b32 s14, s14, s17
	s_or_b32 exec_lo, exec_lo, s15
	v_mov_b32_e32 v7, s16
	s_and_saveexec_b32 s15, s14
	s_cbranch_execnz .LBB248_951
	s_branch .LBB248_952
.LBB248_1224:
	s_mov_b32 s11, -1
	s_mov_b32 s0, 0
.LBB248_1225:
                                        ; implicit-def: $vgpr8_vgpr9
.LBB248_1226:
	s_and_b32 vcc_lo, exec_lo, s1
	s_cbranch_vccz .LBB248_1230
; %bb.1227:
	v_cmp_eq_u16_e32 vcc_lo, 44, v12
	s_cbranch_vccz .LBB248_1229
; %bb.1228:
	global_load_u8 v7, v[2:3], off
	s_mov_b32 s11, 0
	s_mov_b32 s0, -1
	s_waitcnt vmcnt(0)
	v_cmp_ne_u32_e32 vcc_lo, 0xff, v7
	v_lshlrev_b32_e32 v5, 23, v7
	s_delay_alu instid0(VALU_DEP_1) | instskip(NEXT) | instid1(VALU_DEP_1)
	v_cvt_f64_f32_e32 v[5:6], v5
	v_cndmask_b32_e32 v6, 0x7ff80000, v6, vcc_lo
	s_delay_alu instid0(VALU_DEP_2) | instskip(SKIP_1) | instid1(VALU_DEP_3)
	v_cndmask_b32_e32 v5, 0x20000000, v5, vcc_lo
	v_cmp_ne_u32_e32 vcc_lo, 0, v7
	v_cndmask_b32_e32 v9, 0x38000000, v6, vcc_lo
	s_delay_alu instid0(VALU_DEP_3)
	v_cndmask_b32_e32 v8, 0, v5, vcc_lo
	s_branch .LBB248_1230
.LBB248_1229:
	s_mov_b32 s11, -1
                                        ; implicit-def: $vgpr8_vgpr9
.LBB248_1230:
	s_mov_b32 s1, 0
.LBB248_1231:
	s_delay_alu instid0(SALU_CYCLE_1)
	s_and_b32 vcc_lo, exec_lo, s1
	s_cbranch_vccz .LBB248_1235
; %bb.1232:
	v_cmp_eq_u16_e32 vcc_lo, 29, v12
	s_cbranch_vccz .LBB248_1234
; %bb.1233:
	global_load_b64 v[5:6], v[2:3], off
	s_mov_b32 s11, 0
	s_mov_b32 s0, -1
	s_mov_b32 s1, 0
	s_waitcnt vmcnt(0)
	v_cvt_f64_u32_e32 v[6:7], v6
	v_cvt_f64_u32_e32 v[8:9], v5
	s_delay_alu instid0(VALU_DEP_2) | instskip(NEXT) | instid1(VALU_DEP_1)
	v_ldexp_f64 v[6:7], v[6:7], 32
	v_add_f64 v[8:9], v[6:7], v[8:9]
	s_branch .LBB248_1236
.LBB248_1234:
	s_mov_b32 s11, -1
                                        ; implicit-def: $vgpr8_vgpr9
.LBB248_1235:
	s_mov_b32 s1, 0
.LBB248_1236:
	s_delay_alu instid0(SALU_CYCLE_1)
	s_and_b32 vcc_lo, exec_lo, s1
	s_cbranch_vccz .LBB248_1256
; %bb.1237:
	v_cmp_gt_i16_e32 vcc_lo, 27, v12
	s_cbranch_vccnz .LBB248_1240
; %bb.1238:
	v_cmp_lt_i16_e32 vcc_lo, 27, v12
	s_cbranch_vccz .LBB248_1241
; %bb.1239:
	global_load_b32 v5, v[2:3], off
	s_mov_b32 s0, 0
	s_waitcnt vmcnt(0)
	v_cvt_f64_u32_e32 v[8:9], v5
	s_branch .LBB248_1242
.LBB248_1240:
	s_mov_b32 s0, -1
                                        ; implicit-def: $vgpr8_vgpr9
	s_branch .LBB248_1245
.LBB248_1241:
	s_mov_b32 s0, -1
                                        ; implicit-def: $vgpr8_vgpr9
.LBB248_1242:
	s_delay_alu instid0(SALU_CYCLE_1)
	s_and_not1_b32 vcc_lo, exec_lo, s0
	s_cbranch_vccnz .LBB248_1244
; %bb.1243:
	global_load_u16 v5, v[2:3], off
	s_waitcnt vmcnt(0)
	v_cvt_f64_u32_e32 v[8:9], v5
.LBB248_1244:
	s_mov_b32 s0, 0
.LBB248_1245:
	s_delay_alu instid0(SALU_CYCLE_1)
	s_and_not1_b32 vcc_lo, exec_lo, s0
	s_cbranch_vccnz .LBB248_1255
; %bb.1246:
	global_load_u8 v5, v[2:3], off
	s_mov_b32 s13, 0
	s_mov_b32 s14, exec_lo
                                        ; implicit-def: $sgpr0_sgpr1
	s_waitcnt vmcnt(0)
	v_cmpx_lt_i16_e32 0x7f, v5
	s_xor_b32 s14, exec_lo, s14
	s_cbranch_execz .LBB248_1250
; %bb.1247:
	s_mov_b32 s15, -1
	s_mov_b32 s13, exec_lo
                                        ; implicit-def: $sgpr0_sgpr1
	v_cmpx_eq_u16_e32 0x80, v5
; %bb.1248:
	s_mov_b32 s1, 0x7ff80000
	s_brev_b32 s0, 4
	s_xor_b32 s15, exec_lo, -1
; %bb.1249:
	s_or_b32 exec_lo, exec_lo, s13
	s_delay_alu instid0(SALU_CYCLE_1)
	s_and_b32 s13, s15, exec_lo
.LBB248_1250:
	s_or_saveexec_b32 s14, s14
	v_dual_mov_b32 v9, s1 :: v_dual_mov_b32 v8, s0
	s_xor_b32 exec_lo, exec_lo, s14
; %bb.1251:
	v_cmp_ne_u16_e32 vcc_lo, 0, v5
	v_mov_b32_e32 v8, 0
	v_mov_b32_e32 v9, 0
	s_and_not1_b32 s0, s13, exec_lo
	s_and_b32 s1, vcc_lo, exec_lo
	s_delay_alu instid0(SALU_CYCLE_1)
	s_or_b32 s13, s0, s1
; %bb.1252:
	s_or_b32 exec_lo, exec_lo, s14
	s_and_saveexec_b32 s0, s13
	s_cbranch_execz .LBB248_1254
; %bb.1253:
	v_and_b32_e32 v6, 0xffff, v5
	v_lshlrev_b32_e32 v5, 24, v5
	s_delay_alu instid0(VALU_DEP_2) | instskip(NEXT) | instid1(VALU_DEP_2)
	v_and_b32_e32 v7, 7, v6
	v_and_b32_e32 v5, 0x80000000, v5
	s_delay_alu instid0(VALU_DEP_2) | instskip(NEXT) | instid1(VALU_DEP_1)
	v_clz_i32_u32_e32 v8, v7
	v_min_u32_e32 v8, 32, v8
	s_delay_alu instid0(VALU_DEP_1) | instskip(SKIP_1) | instid1(VALU_DEP_2)
	v_subrev_nc_u32_e32 v9, 28, v8
	v_sub_nc_u32_e32 v8, 29, v8
	v_lshlrev_b32_e32 v9, v9, v6
	v_bfe_u32 v6, v6, 3, 4
	s_delay_alu instid0(VALU_DEP_2) | instskip(NEXT) | instid1(VALU_DEP_2)
	v_and_b32_e32 v9, 7, v9
	v_cmp_eq_u32_e32 vcc_lo, 0, v6
	s_delay_alu instid0(VALU_DEP_2) | instskip(NEXT) | instid1(VALU_DEP_1)
	v_dual_cndmask_b32 v6, v6, v8 :: v_dual_cndmask_b32 v7, v7, v9
	v_lshl_add_u32 v6, v6, 23, 0x3b800000
	s_delay_alu instid0(VALU_DEP_2) | instskip(NEXT) | instid1(VALU_DEP_1)
	v_lshlrev_b32_e32 v7, 20, v7
	v_or3_b32 v5, v5, v6, v7
	s_delay_alu instid0(VALU_DEP_1)
	v_cvt_f64_f32_e32 v[8:9], v5
.LBB248_1254:
	s_or_b32 exec_lo, exec_lo, s0
.LBB248_1255:
	s_mov_b32 s0, -1
.LBB248_1256:
	s_branch .LBB248_1287
.LBB248_1257:
	v_cmp_lt_i16_e32 vcc_lo, 22, v12
	s_cbranch_vccz .LBB248_1269
; %bb.1258:
	v_cmp_gt_i16_e32 vcc_lo, 24, v12
	s_cbranch_vccnz .LBB248_1270
; %bb.1259:
	v_cmp_lt_i16_e32 vcc_lo, 24, v12
	s_cbranch_vccz .LBB248_1271
; %bb.1260:
	global_load_u8 v5, v[2:3], off
	s_mov_b32 s13, exec_lo
                                        ; implicit-def: $sgpr0_sgpr1
	s_waitcnt vmcnt(0)
	v_cmpx_lt_i16_e32 0x7f, v5
	s_xor_b32 s13, exec_lo, s13
	s_cbranch_execz .LBB248_1264
; %bb.1261:
	s_mov_b32 s14, -1
	s_mov_b32 s12, exec_lo
                                        ; implicit-def: $sgpr0_sgpr1
	v_cmpx_eq_u16_e32 0x80, v5
; %bb.1262:
	s_mov_b32 s1, 0x7ff80000
	s_brev_b32 s0, 4
	s_xor_b32 s14, exec_lo, -1
; %bb.1263:
	s_or_b32 exec_lo, exec_lo, s12
	s_delay_alu instid0(SALU_CYCLE_1)
	s_and_b32 s12, s14, exec_lo
.LBB248_1264:
	s_or_saveexec_b32 s13, s13
	v_dual_mov_b32 v9, s1 :: v_dual_mov_b32 v8, s0
	s_xor_b32 exec_lo, exec_lo, s13
; %bb.1265:
	v_cmp_ne_u16_e32 vcc_lo, 0, v5
	v_mov_b32_e32 v8, 0
	v_mov_b32_e32 v9, 0
	s_and_not1_b32 s0, s12, exec_lo
	s_and_b32 s1, vcc_lo, exec_lo
	s_delay_alu instid0(SALU_CYCLE_1)
	s_or_b32 s12, s0, s1
; %bb.1266:
	s_or_b32 exec_lo, exec_lo, s13
	s_and_saveexec_b32 s0, s12
	s_cbranch_execz .LBB248_1268
; %bb.1267:
	v_and_b32_e32 v6, 0xffff, v5
	v_lshlrev_b32_e32 v5, 24, v5
	s_delay_alu instid0(VALU_DEP_2) | instskip(NEXT) | instid1(VALU_DEP_2)
	v_and_b32_e32 v7, 3, v6
	v_and_b32_e32 v5, 0x80000000, v5
	s_delay_alu instid0(VALU_DEP_2) | instskip(NEXT) | instid1(VALU_DEP_1)
	v_clz_i32_u32_e32 v8, v7
	v_min_u32_e32 v8, 32, v8
	s_delay_alu instid0(VALU_DEP_1) | instskip(SKIP_1) | instid1(VALU_DEP_2)
	v_subrev_nc_u32_e32 v9, 29, v8
	v_sub_nc_u32_e32 v8, 30, v8
	v_lshlrev_b32_e32 v9, v9, v6
	v_bfe_u32 v6, v6, 2, 5
	s_delay_alu instid0(VALU_DEP_2) | instskip(NEXT) | instid1(VALU_DEP_2)
	v_and_b32_e32 v9, 3, v9
	v_cmp_eq_u32_e32 vcc_lo, 0, v6
	s_delay_alu instid0(VALU_DEP_2) | instskip(NEXT) | instid1(VALU_DEP_1)
	v_dual_cndmask_b32 v6, v6, v8 :: v_dual_cndmask_b32 v7, v7, v9
	v_lshl_add_u32 v6, v6, 23, 0x37800000
	s_delay_alu instid0(VALU_DEP_2) | instskip(NEXT) | instid1(VALU_DEP_1)
	v_lshlrev_b32_e32 v7, 21, v7
	v_or3_b32 v5, v5, v6, v7
	s_delay_alu instid0(VALU_DEP_1)
	v_cvt_f64_f32_e32 v[8:9], v5
.LBB248_1268:
	s_or_b32 exec_lo, exec_lo, s0
	s_mov_b32 s0, 0
	s_branch .LBB248_1272
.LBB248_1269:
	s_mov_b32 s1, -1
                                        ; implicit-def: $vgpr8_vgpr9
	s_branch .LBB248_1278
.LBB248_1270:
	s_mov_b32 s0, -1
                                        ; implicit-def: $vgpr8_vgpr9
	s_branch .LBB248_1275
.LBB248_1271:
	s_mov_b32 s0, -1
                                        ; implicit-def: $vgpr8_vgpr9
.LBB248_1272:
	s_delay_alu instid0(SALU_CYCLE_1)
	s_and_b32 vcc_lo, exec_lo, s0
	s_cbranch_vccz .LBB248_1274
; %bb.1273:
	global_load_u8 v5, v[2:3], off
	s_waitcnt vmcnt(0)
	v_lshlrev_b32_e32 v5, 24, v5
	s_delay_alu instid0(VALU_DEP_1) | instskip(NEXT) | instid1(VALU_DEP_1)
	v_and_b32_e32 v6, 0x7f000000, v5
	v_clz_i32_u32_e32 v7, v6
	v_add_nc_u32_e32 v9, 0x1000000, v6
	v_cmp_ne_u32_e32 vcc_lo, 0, v6
	s_delay_alu instid0(VALU_DEP_3) | instskip(NEXT) | instid1(VALU_DEP_1)
	v_min_u32_e32 v7, 32, v7
	v_sub_nc_u32_e64 v7, v7, 4 clamp
	s_delay_alu instid0(VALU_DEP_1) | instskip(SKIP_1) | instid1(VALU_DEP_2)
	v_lshlrev_b32_e32 v8, v7, v6
	v_lshlrev_b32_e32 v7, 23, v7
	v_lshrrev_b32_e32 v8, 4, v8
	s_delay_alu instid0(VALU_DEP_1) | instskip(SKIP_1) | instid1(VALU_DEP_2)
	v_sub_nc_u32_e32 v7, v8, v7
	v_ashrrev_i32_e32 v8, 8, v9
	v_add_nc_u32_e32 v7, 0x3c000000, v7
	s_delay_alu instid0(VALU_DEP_1) | instskip(NEXT) | instid1(VALU_DEP_1)
	v_and_or_b32 v7, 0x7f800000, v8, v7
	v_cndmask_b32_e32 v6, 0, v7, vcc_lo
	s_delay_alu instid0(VALU_DEP_1) | instskip(NEXT) | instid1(VALU_DEP_1)
	v_and_or_b32 v5, 0x80000000, v5, v6
	v_cvt_f64_f32_e32 v[8:9], v5
.LBB248_1274:
	s_mov_b32 s0, 0
.LBB248_1275:
	s_delay_alu instid0(SALU_CYCLE_1)
	s_and_not1_b32 vcc_lo, exec_lo, s0
	s_cbranch_vccnz .LBB248_1277
; %bb.1276:
	global_load_u8 v5, v[2:3], off
	s_waitcnt vmcnt(0)
	v_lshlrev_b32_e32 v6, 25, v5
	v_lshlrev_b16 v5, 8, v5
	s_delay_alu instid0(VALU_DEP_2) | instskip(NEXT) | instid1(VALU_DEP_2)
	v_lshrrev_b32_e32 v7, 4, v6
	v_and_or_b32 v8, 0x7f00, v5, 0.5
	v_bfe_i32 v5, v5, 0, 16
	s_delay_alu instid0(VALU_DEP_3) | instskip(NEXT) | instid1(VALU_DEP_1)
	v_or_b32_e32 v7, 0x70000000, v7
	v_dual_add_f32 v8, -0.5, v8 :: v_dual_mul_f32 v7, 0x7800000, v7
	v_cmp_gt_u32_e32 vcc_lo, 0x8000000, v6
	s_delay_alu instid0(VALU_DEP_2) | instskip(NEXT) | instid1(VALU_DEP_1)
	v_cndmask_b32_e32 v6, v7, v8, vcc_lo
	v_and_or_b32 v5, 0x80000000, v5, v6
	s_delay_alu instid0(VALU_DEP_1)
	v_cvt_f64_f32_e32 v[8:9], v5
.LBB248_1277:
	s_mov_b32 s1, 0
	s_mov_b32 s0, -1
.LBB248_1278:
	s_and_not1_b32 vcc_lo, exec_lo, s1
	s_mov_b32 s12, 0
	s_cbranch_vccnz .LBB248_1287
; %bb.1279:
	v_cmp_lt_i16_e32 vcc_lo, 14, v12
	s_cbranch_vccz .LBB248_1282
; %bb.1280:
	v_cmp_eq_u16_e32 vcc_lo, 15, v12
	s_cbranch_vccz .LBB248_1283
; %bb.1281:
	global_load_u16 v5, v[2:3], off
	s_mov_b32 s11, 0
	s_mov_b32 s0, -1
	s_waitcnt vmcnt(0)
	v_lshlrev_b32_e32 v5, 16, v5
	s_delay_alu instid0(VALU_DEP_1)
	v_cvt_f64_f32_e32 v[8:9], v5
	s_branch .LBB248_1284
.LBB248_1282:
	s_mov_b32 s1, -1
                                        ; implicit-def: $vgpr8_vgpr9
	s_branch .LBB248_1285
.LBB248_1283:
	s_mov_b32 s11, -1
                                        ; implicit-def: $vgpr8_vgpr9
.LBB248_1284:
	s_mov_b32 s1, 0
.LBB248_1285:
	s_delay_alu instid0(SALU_CYCLE_1)
	s_and_b32 vcc_lo, exec_lo, s1
	s_cbranch_vccz .LBB248_1287
; %bb.1286:
	v_cmp_ne_u16_e64 s11, 11, v12
	s_mov_b32 s12, -1
                                        ; implicit-def: $vgpr8_vgpr9
.LBB248_1287:
	s_delay_alu instid0(VALU_DEP_1)
	s_and_b32 vcc_lo, exec_lo, s11
	s_cbranch_vccnz .LBB248_1311
; %bb.1288:
	s_and_not1_b32 vcc_lo, exec_lo, s12
	s_cbranch_vccnz .LBB248_1290
.LBB248_1289:
	global_load_u8 v5, v[2:3], off
	v_mov_b32_e32 v8, 0
	s_mov_b32 s0, -1
	s_waitcnt vmcnt(0)
	v_cmp_ne_u16_e32 vcc_lo, 0, v5
	v_cndmask_b32_e64 v9, 0, 0x3ff00000, vcc_lo
.LBB248_1290:
.LBB248_1291:
	s_and_not1_b32 vcc_lo, exec_lo, s0
	s_cbranch_vccnz .LBB248_1989
.LBB248_1292:
	v_add_nc_u32_e32 v4, s3, v4
	v_cmp_gt_i16_e32 vcc_lo, 11, v12
	s_delay_alu instid0(VALU_DEP_2) | instskip(SKIP_1) | instid1(VALU_DEP_1)
	v_ashrrev_i32_e32 v3, 31, v4
	v_add_co_u32 v2, s0, s6, v4
	v_add_co_ci_u32_e64 v3, s0, s7, v3, s0
	s_cbranch_vccnz .LBB248_1299
; %bb.1293:
	v_cmp_lt_i16_e32 vcc_lo, 25, v12
	s_mov_b32 s12, 0
	s_cbranch_vccz .LBB248_1305
; %bb.1294:
	v_cmp_lt_i16_e32 vcc_lo, 28, v12
	s_cbranch_vccz .LBB248_1307
; %bb.1295:
	v_cmp_lt_i16_e32 vcc_lo, 43, v12
	s_cbranch_vccz .LBB248_1309
; %bb.1296:
	v_cmp_lt_i16_e32 vcc_lo, 45, v12
	s_cbranch_vccz .LBB248_1313
; %bb.1297:
	v_cmp_eq_u16_e32 vcc_lo, 46, v12
	s_mov_b32 s1, 0
	s_cbranch_vccz .LBB248_1356
; %bb.1298:
	global_load_b32 v5, v[2:3], off
	s_mov_b32 s11, 0
	s_mov_b32 s0, -1
	s_waitcnt vmcnt(0)
	v_lshlrev_b32_e32 v5, 16, v5
	s_delay_alu instid0(VALU_DEP_1)
	v_cvt_f64_f32_e32 v[6:7], v5
	s_branch .LBB248_1358
.LBB248_1299:
	s_mov_b32 s0, 0
                                        ; implicit-def: $vgpr6_vgpr7
	s_cbranch_execz .LBB248_1424
; %bb.1300:
	v_cmp_gt_i16_e32 vcc_lo, 5, v12
	s_cbranch_vccnz .LBB248_1306
; %bb.1301:
	v_cmp_gt_i16_e32 vcc_lo, 8, v12
	s_cbranch_vccnz .LBB248_1308
	;; [unrolled: 3-line block ×3, first 2 shown]
; %bb.1303:
	v_cmp_lt_i16_e32 vcc_lo, 9, v12
	s_cbranch_vccz .LBB248_1314
; %bb.1304:
	global_load_b64 v[6:7], v[2:3], off
	s_mov_b32 s0, 0
	s_branch .LBB248_1315
.LBB248_1305:
	s_mov_b32 s1, -1
	s_mov_b32 s0, 0
	s_mov_b32 s11, 0
                                        ; implicit-def: $vgpr6_vgpr7
	s_branch .LBB248_1389
.LBB248_1306:
	s_mov_b32 s0, -1
                                        ; implicit-def: $vgpr6_vgpr7
	s_branch .LBB248_1333
.LBB248_1307:
	s_mov_b32 s1, -1
	s_mov_b32 s0, 0
	s_mov_b32 s11, 0
                                        ; implicit-def: $vgpr6_vgpr7
	s_branch .LBB248_1368
.LBB248_1308:
	s_mov_b32 s0, -1
                                        ; implicit-def: $vgpr6_vgpr7
	s_branch .LBB248_1321
.LBB248_1309:
	s_mov_b32 s1, -1
	s_mov_b32 s0, 0
	s_mov_b32 s11, 0
                                        ; implicit-def: $vgpr6_vgpr7
	s_branch .LBB248_1363
.LBB248_1310:
	s_mov_b32 s0, -1
                                        ; implicit-def: $vgpr6_vgpr7
	s_branch .LBB248_1318
.LBB248_1311:
	s_cbranch_execnz .LBB248_1354
; %bb.1312:
	s_or_b32 s8, s8, exec_lo
                                        ; implicit-def: $vgpr8_vgpr9
	s_cbranch_execz .LBB248_1289
	s_branch .LBB248_1290
.LBB248_1313:
	s_mov_b32 s1, -1
	s_mov_b32 s0, 0
	s_mov_b32 s11, 0
	s_branch .LBB248_1357
.LBB248_1314:
	s_mov_b32 s0, -1
                                        ; implicit-def: $vgpr6_vgpr7
.LBB248_1315:
	s_delay_alu instid0(SALU_CYCLE_1)
	s_and_not1_b32 vcc_lo, exec_lo, s0
	s_cbranch_vccnz .LBB248_1317
; %bb.1316:
	global_load_b32 v5, v[2:3], off
	s_waitcnt vmcnt(0)
	v_cvt_f64_f32_e32 v[6:7], v5
.LBB248_1317:
	s_mov_b32 s0, 0
.LBB248_1318:
	s_delay_alu instid0(SALU_CYCLE_1)
	s_and_not1_b32 vcc_lo, exec_lo, s0
	s_cbranch_vccnz .LBB248_1320
; %bb.1319:
	global_load_b32 v5, v[2:3], off
	s_waitcnt vmcnt(0)
	v_cvt_f32_f16_e32 v5, v5
	s_delay_alu instid0(VALU_DEP_1)
	v_cvt_f64_f32_e32 v[6:7], v5
.LBB248_1320:
	s_mov_b32 s0, 0
.LBB248_1321:
	s_delay_alu instid0(SALU_CYCLE_1)
	s_and_not1_b32 vcc_lo, exec_lo, s0
	s_cbranch_vccnz .LBB248_1332
; %bb.1322:
	v_cmp_gt_i16_e32 vcc_lo, 6, v12
	s_cbranch_vccnz .LBB248_1325
; %bb.1323:
	v_cmp_lt_i16_e32 vcc_lo, 6, v12
	s_cbranch_vccz .LBB248_1326
; %bb.1324:
	global_load_b64 v[6:7], v[2:3], off
	s_mov_b32 s0, 0
	s_branch .LBB248_1327
.LBB248_1325:
	s_mov_b32 s0, -1
                                        ; implicit-def: $vgpr6_vgpr7
	s_branch .LBB248_1330
.LBB248_1326:
	s_mov_b32 s0, -1
                                        ; implicit-def: $vgpr6_vgpr7
.LBB248_1327:
	s_delay_alu instid0(SALU_CYCLE_1)
	s_and_not1_b32 vcc_lo, exec_lo, s0
	s_cbranch_vccnz .LBB248_1329
; %bb.1328:
	global_load_b32 v5, v[2:3], off
	s_waitcnt vmcnt(0)
	v_cvt_f64_f32_e32 v[6:7], v5
.LBB248_1329:
	s_mov_b32 s0, 0
.LBB248_1330:
	s_delay_alu instid0(SALU_CYCLE_1)
	s_and_not1_b32 vcc_lo, exec_lo, s0
	s_cbranch_vccnz .LBB248_1332
; %bb.1331:
	global_load_u16 v5, v[2:3], off
	s_waitcnt vmcnt(0)
	v_cvt_f32_f16_e32 v5, v5
	s_delay_alu instid0(VALU_DEP_1)
	v_cvt_f64_f32_e32 v[6:7], v5
.LBB248_1332:
	s_mov_b32 s0, 0
.LBB248_1333:
	s_delay_alu instid0(SALU_CYCLE_1)
	s_and_not1_b32 vcc_lo, exec_lo, s0
	s_cbranch_vccnz .LBB248_1353
; %bb.1334:
	v_cmp_gt_i16_e32 vcc_lo, 2, v12
	s_cbranch_vccnz .LBB248_1338
; %bb.1335:
	v_cmp_gt_i16_e32 vcc_lo, 3, v12
	s_cbranch_vccnz .LBB248_1339
; %bb.1336:
	v_cmp_lt_i16_e32 vcc_lo, 3, v12
	s_cbranch_vccz .LBB248_1340
; %bb.1337:
	global_load_b64 v[5:6], v[2:3], off
	s_mov_b32 s0, 0
	s_waitcnt vmcnt(0)
	v_cvt_f64_i32_e32 v[6:7], v6
	v_cvt_f64_u32_e32 v[13:14], v5
	s_delay_alu instid0(VALU_DEP_2) | instskip(NEXT) | instid1(VALU_DEP_1)
	v_ldexp_f64 v[6:7], v[6:7], 32
	v_add_f64 v[6:7], v[6:7], v[13:14]
	s_branch .LBB248_1341
.LBB248_1338:
	s_mov_b32 s0, -1
                                        ; implicit-def: $vgpr6_vgpr7
	s_branch .LBB248_1347
.LBB248_1339:
	s_mov_b32 s0, -1
                                        ; implicit-def: $vgpr6_vgpr7
	s_branch .LBB248_1344
.LBB248_1340:
	s_mov_b32 s0, -1
                                        ; implicit-def: $vgpr6_vgpr7
.LBB248_1341:
	s_delay_alu instid0(SALU_CYCLE_1)
	s_and_not1_b32 vcc_lo, exec_lo, s0
	s_cbranch_vccnz .LBB248_1343
; %bb.1342:
	global_load_b32 v5, v[2:3], off
	s_waitcnt vmcnt(0)
	v_cvt_f64_i32_e32 v[6:7], v5
.LBB248_1343:
	s_mov_b32 s0, 0
.LBB248_1344:
	s_delay_alu instid0(SALU_CYCLE_1)
	s_and_not1_b32 vcc_lo, exec_lo, s0
	s_cbranch_vccnz .LBB248_1346
; %bb.1345:
	global_load_i16 v5, v[2:3], off
	s_waitcnt vmcnt(0)
	v_cvt_f64_i32_e32 v[6:7], v5
.LBB248_1346:
	s_mov_b32 s0, 0
.LBB248_1347:
	s_delay_alu instid0(SALU_CYCLE_1)
	s_and_not1_b32 vcc_lo, exec_lo, s0
	s_cbranch_vccnz .LBB248_1353
; %bb.1348:
	v_cmp_lt_i16_e32 vcc_lo, 0, v12
	s_mov_b32 s0, 0
	s_cbranch_vccz .LBB248_1350
; %bb.1349:
	global_load_i8 v5, v[2:3], off
	s_waitcnt vmcnt(0)
	v_cvt_f64_i32_e32 v[6:7], v5
	s_branch .LBB248_1351
.LBB248_1350:
	s_mov_b32 s0, -1
                                        ; implicit-def: $vgpr6_vgpr7
.LBB248_1351:
	s_delay_alu instid0(SALU_CYCLE_1)
	s_and_not1_b32 vcc_lo, exec_lo, s0
	s_cbranch_vccnz .LBB248_1353
; %bb.1352:
	global_load_u8 v2, v[2:3], off
	s_waitcnt vmcnt(0)
	v_cvt_f64_u32_e32 v[6:7], v2
.LBB248_1353:
	s_branch .LBB248_1425
.LBB248_1354:
	s_trap 2
	s_sendmsg_rtn_b32 s0, sendmsg(MSG_RTN_GET_DOORBELL)
	s_mov_b32 ttmp2, m0
	s_waitcnt lgkmcnt(0)
	s_and_b32 s0, s0, 0x3ff
	s_delay_alu instid0(SALU_CYCLE_1) | instskip(NEXT) | instid1(SALU_CYCLE_1)
	s_bitset1_b32 s0, 10
	s_mov_b32 m0, s0
	s_sendmsg sendmsg(MSG_INTERRUPT)
	s_mov_b32 m0, ttmp2
.LBB248_1355:                           ; =>This Inner Loop Header: Depth=1
	s_sethalt 5
	s_branch .LBB248_1355
.LBB248_1356:
	s_mov_b32 s11, -1
	s_mov_b32 s0, 0
.LBB248_1357:
                                        ; implicit-def: $vgpr6_vgpr7
.LBB248_1358:
	s_and_b32 vcc_lo, exec_lo, s1
	s_cbranch_vccz .LBB248_1362
; %bb.1359:
	v_cmp_eq_u16_e32 vcc_lo, 44, v12
	s_cbranch_vccz .LBB248_1361
; %bb.1360:
	global_load_u8 v7, v[2:3], off
	s_mov_b32 s11, 0
	s_mov_b32 s0, -1
	s_waitcnt vmcnt(0)
	v_cmp_ne_u32_e32 vcc_lo, 0xff, v7
	v_lshlrev_b32_e32 v5, 23, v7
	s_delay_alu instid0(VALU_DEP_1) | instskip(NEXT) | instid1(VALU_DEP_1)
	v_cvt_f64_f32_e32 v[5:6], v5
	v_cndmask_b32_e32 v6, 0x7ff80000, v6, vcc_lo
	s_delay_alu instid0(VALU_DEP_2) | instskip(SKIP_1) | instid1(VALU_DEP_3)
	v_cndmask_b32_e32 v5, 0x20000000, v5, vcc_lo
	v_cmp_ne_u32_e32 vcc_lo, 0, v7
	v_cndmask_b32_e32 v7, 0x38000000, v6, vcc_lo
	s_delay_alu instid0(VALU_DEP_3)
	v_cndmask_b32_e32 v6, 0, v5, vcc_lo
	s_branch .LBB248_1362
.LBB248_1361:
	s_mov_b32 s11, -1
                                        ; implicit-def: $vgpr6_vgpr7
.LBB248_1362:
	s_mov_b32 s1, 0
.LBB248_1363:
	s_delay_alu instid0(SALU_CYCLE_1)
	s_and_b32 vcc_lo, exec_lo, s1
	s_cbranch_vccz .LBB248_1367
; %bb.1364:
	v_cmp_eq_u16_e32 vcc_lo, 29, v12
	s_cbranch_vccz .LBB248_1366
; %bb.1365:
	global_load_b64 v[5:6], v[2:3], off
	s_mov_b32 s11, 0
	s_mov_b32 s0, -1
	s_mov_b32 s1, 0
	s_waitcnt vmcnt(0)
	v_cvt_f64_u32_e32 v[6:7], v6
	v_cvt_f64_u32_e32 v[13:14], v5
	s_delay_alu instid0(VALU_DEP_2) | instskip(NEXT) | instid1(VALU_DEP_1)
	v_ldexp_f64 v[6:7], v[6:7], 32
	v_add_f64 v[6:7], v[6:7], v[13:14]
	s_branch .LBB248_1368
.LBB248_1366:
	s_mov_b32 s11, -1
                                        ; implicit-def: $vgpr6_vgpr7
.LBB248_1367:
	s_mov_b32 s1, 0
.LBB248_1368:
	s_delay_alu instid0(SALU_CYCLE_1)
	s_and_b32 vcc_lo, exec_lo, s1
	s_cbranch_vccz .LBB248_1388
; %bb.1369:
	v_cmp_gt_i16_e32 vcc_lo, 27, v12
	s_cbranch_vccnz .LBB248_1372
; %bb.1370:
	v_cmp_lt_i16_e32 vcc_lo, 27, v12
	s_cbranch_vccz .LBB248_1373
; %bb.1371:
	global_load_b32 v5, v[2:3], off
	s_mov_b32 s0, 0
	s_waitcnt vmcnt(0)
	v_cvt_f64_u32_e32 v[6:7], v5
	s_branch .LBB248_1374
.LBB248_1372:
	s_mov_b32 s0, -1
                                        ; implicit-def: $vgpr6_vgpr7
	s_branch .LBB248_1377
.LBB248_1373:
	s_mov_b32 s0, -1
                                        ; implicit-def: $vgpr6_vgpr7
.LBB248_1374:
	s_delay_alu instid0(SALU_CYCLE_1)
	s_and_not1_b32 vcc_lo, exec_lo, s0
	s_cbranch_vccnz .LBB248_1376
; %bb.1375:
	global_load_u16 v5, v[2:3], off
	s_waitcnt vmcnt(0)
	v_cvt_f64_u32_e32 v[6:7], v5
.LBB248_1376:
	s_mov_b32 s0, 0
.LBB248_1377:
	s_delay_alu instid0(SALU_CYCLE_1)
	s_and_not1_b32 vcc_lo, exec_lo, s0
	s_cbranch_vccnz .LBB248_1387
; %bb.1378:
	global_load_u8 v5, v[2:3], off
	s_mov_b32 s13, 0
	s_mov_b32 s14, exec_lo
                                        ; implicit-def: $sgpr0_sgpr1
	s_waitcnt vmcnt(0)
	v_cmpx_lt_i16_e32 0x7f, v5
	s_xor_b32 s14, exec_lo, s14
	s_cbranch_execz .LBB248_1382
; %bb.1379:
	s_mov_b32 s15, -1
	s_mov_b32 s13, exec_lo
                                        ; implicit-def: $sgpr0_sgpr1
	v_cmpx_eq_u16_e32 0x80, v5
; %bb.1380:
	s_mov_b32 s1, 0x7ff80000
	s_brev_b32 s0, 4
	s_xor_b32 s15, exec_lo, -1
; %bb.1381:
	s_or_b32 exec_lo, exec_lo, s13
	s_delay_alu instid0(SALU_CYCLE_1)
	s_and_b32 s13, s15, exec_lo
.LBB248_1382:
	s_or_saveexec_b32 s14, s14
	v_dual_mov_b32 v7, s1 :: v_dual_mov_b32 v6, s0
	s_xor_b32 exec_lo, exec_lo, s14
; %bb.1383:
	v_cmp_ne_u16_e32 vcc_lo, 0, v5
	v_mov_b32_e32 v6, 0
	v_mov_b32_e32 v7, 0
	s_and_not1_b32 s0, s13, exec_lo
	s_and_b32 s1, vcc_lo, exec_lo
	s_delay_alu instid0(SALU_CYCLE_1)
	s_or_b32 s13, s0, s1
; %bb.1384:
	s_or_b32 exec_lo, exec_lo, s14
	s_and_saveexec_b32 s0, s13
	s_cbranch_execz .LBB248_1386
; %bb.1385:
	v_and_b32_e32 v6, 0xffff, v5
	v_lshlrev_b32_e32 v5, 24, v5
	s_delay_alu instid0(VALU_DEP_2) | instskip(NEXT) | instid1(VALU_DEP_2)
	v_and_b32_e32 v7, 7, v6
	v_and_b32_e32 v5, 0x80000000, v5
	s_delay_alu instid0(VALU_DEP_2) | instskip(NEXT) | instid1(VALU_DEP_1)
	v_clz_i32_u32_e32 v13, v7
	v_min_u32_e32 v13, 32, v13
	s_delay_alu instid0(VALU_DEP_1) | instskip(SKIP_1) | instid1(VALU_DEP_2)
	v_subrev_nc_u32_e32 v14, 28, v13
	v_sub_nc_u32_e32 v13, 29, v13
	v_lshlrev_b32_e32 v14, v14, v6
	v_bfe_u32 v6, v6, 3, 4
	s_delay_alu instid0(VALU_DEP_2) | instskip(NEXT) | instid1(VALU_DEP_2)
	v_and_b32_e32 v14, 7, v14
	v_cmp_eq_u32_e32 vcc_lo, 0, v6
	s_delay_alu instid0(VALU_DEP_2) | instskip(NEXT) | instid1(VALU_DEP_1)
	v_dual_cndmask_b32 v6, v6, v13 :: v_dual_cndmask_b32 v7, v7, v14
	v_lshl_add_u32 v6, v6, 23, 0x3b800000
	s_delay_alu instid0(VALU_DEP_2) | instskip(NEXT) | instid1(VALU_DEP_1)
	v_lshlrev_b32_e32 v7, 20, v7
	v_or3_b32 v5, v5, v6, v7
	s_delay_alu instid0(VALU_DEP_1)
	v_cvt_f64_f32_e32 v[6:7], v5
.LBB248_1386:
	s_or_b32 exec_lo, exec_lo, s0
.LBB248_1387:
	s_mov_b32 s0, -1
.LBB248_1388:
	s_mov_b32 s1, 0
.LBB248_1389:
	s_delay_alu instid0(SALU_CYCLE_1)
	s_and_b32 vcc_lo, exec_lo, s1
	s_cbranch_vccz .LBB248_1420
; %bb.1390:
	v_cmp_lt_i16_e32 vcc_lo, 22, v12
	s_cbranch_vccz .LBB248_1402
; %bb.1391:
	v_cmp_gt_i16_e32 vcc_lo, 24, v12
	s_cbranch_vccnz .LBB248_1403
; %bb.1392:
	v_cmp_lt_i16_e32 vcc_lo, 24, v12
	s_cbranch_vccz .LBB248_1404
; %bb.1393:
	global_load_u8 v5, v[2:3], off
	s_mov_b32 s13, exec_lo
                                        ; implicit-def: $sgpr0_sgpr1
	s_waitcnt vmcnt(0)
	v_cmpx_lt_i16_e32 0x7f, v5
	s_xor_b32 s13, exec_lo, s13
	s_cbranch_execz .LBB248_1397
; %bb.1394:
	s_mov_b32 s14, -1
	s_mov_b32 s12, exec_lo
                                        ; implicit-def: $sgpr0_sgpr1
	v_cmpx_eq_u16_e32 0x80, v5
; %bb.1395:
	s_mov_b32 s1, 0x7ff80000
	s_brev_b32 s0, 4
	s_xor_b32 s14, exec_lo, -1
; %bb.1396:
	s_or_b32 exec_lo, exec_lo, s12
	s_delay_alu instid0(SALU_CYCLE_1)
	s_and_b32 s12, s14, exec_lo
.LBB248_1397:
	s_or_saveexec_b32 s13, s13
	v_dual_mov_b32 v7, s1 :: v_dual_mov_b32 v6, s0
	s_xor_b32 exec_lo, exec_lo, s13
; %bb.1398:
	v_cmp_ne_u16_e32 vcc_lo, 0, v5
	v_mov_b32_e32 v6, 0
	v_mov_b32_e32 v7, 0
	s_and_not1_b32 s0, s12, exec_lo
	s_and_b32 s1, vcc_lo, exec_lo
	s_delay_alu instid0(SALU_CYCLE_1)
	s_or_b32 s12, s0, s1
; %bb.1399:
	s_or_b32 exec_lo, exec_lo, s13
	s_and_saveexec_b32 s0, s12
	s_cbranch_execz .LBB248_1401
; %bb.1400:
	v_and_b32_e32 v6, 0xffff, v5
	v_lshlrev_b32_e32 v5, 24, v5
	s_delay_alu instid0(VALU_DEP_2) | instskip(NEXT) | instid1(VALU_DEP_2)
	v_and_b32_e32 v7, 3, v6
	v_and_b32_e32 v5, 0x80000000, v5
	s_delay_alu instid0(VALU_DEP_2) | instskip(NEXT) | instid1(VALU_DEP_1)
	v_clz_i32_u32_e32 v13, v7
	v_min_u32_e32 v13, 32, v13
	s_delay_alu instid0(VALU_DEP_1) | instskip(SKIP_1) | instid1(VALU_DEP_2)
	v_subrev_nc_u32_e32 v14, 29, v13
	v_sub_nc_u32_e32 v13, 30, v13
	v_lshlrev_b32_e32 v14, v14, v6
	v_bfe_u32 v6, v6, 2, 5
	s_delay_alu instid0(VALU_DEP_2) | instskip(NEXT) | instid1(VALU_DEP_2)
	v_and_b32_e32 v14, 3, v14
	v_cmp_eq_u32_e32 vcc_lo, 0, v6
	s_delay_alu instid0(VALU_DEP_2) | instskip(NEXT) | instid1(VALU_DEP_1)
	v_dual_cndmask_b32 v6, v6, v13 :: v_dual_cndmask_b32 v7, v7, v14
	v_lshl_add_u32 v6, v6, 23, 0x37800000
	s_delay_alu instid0(VALU_DEP_2) | instskip(NEXT) | instid1(VALU_DEP_1)
	v_lshlrev_b32_e32 v7, 21, v7
	v_or3_b32 v5, v5, v6, v7
	s_delay_alu instid0(VALU_DEP_1)
	v_cvt_f64_f32_e32 v[6:7], v5
.LBB248_1401:
	s_or_b32 exec_lo, exec_lo, s0
	s_mov_b32 s0, 0
	s_branch .LBB248_1405
.LBB248_1402:
	s_mov_b32 s1, -1
                                        ; implicit-def: $vgpr6_vgpr7
	s_branch .LBB248_1411
.LBB248_1403:
	s_mov_b32 s0, -1
                                        ; implicit-def: $vgpr6_vgpr7
	s_branch .LBB248_1408
.LBB248_1404:
	s_mov_b32 s0, -1
                                        ; implicit-def: $vgpr6_vgpr7
.LBB248_1405:
	s_delay_alu instid0(SALU_CYCLE_1)
	s_and_b32 vcc_lo, exec_lo, s0
	s_cbranch_vccz .LBB248_1407
; %bb.1406:
	global_load_u8 v5, v[2:3], off
	s_waitcnt vmcnt(0)
	v_lshlrev_b32_e32 v5, 24, v5
	s_delay_alu instid0(VALU_DEP_1) | instskip(NEXT) | instid1(VALU_DEP_1)
	v_and_b32_e32 v6, 0x7f000000, v5
	v_clz_i32_u32_e32 v7, v6
	v_add_nc_u32_e32 v14, 0x1000000, v6
	v_cmp_ne_u32_e32 vcc_lo, 0, v6
	s_delay_alu instid0(VALU_DEP_3) | instskip(NEXT) | instid1(VALU_DEP_1)
	v_min_u32_e32 v7, 32, v7
	v_sub_nc_u32_e64 v7, v7, 4 clamp
	s_delay_alu instid0(VALU_DEP_1) | instskip(SKIP_1) | instid1(VALU_DEP_2)
	v_lshlrev_b32_e32 v13, v7, v6
	v_lshlrev_b32_e32 v7, 23, v7
	v_lshrrev_b32_e32 v13, 4, v13
	s_delay_alu instid0(VALU_DEP_1) | instskip(SKIP_1) | instid1(VALU_DEP_2)
	v_sub_nc_u32_e32 v7, v13, v7
	v_ashrrev_i32_e32 v13, 8, v14
	v_add_nc_u32_e32 v7, 0x3c000000, v7
	s_delay_alu instid0(VALU_DEP_1) | instskip(NEXT) | instid1(VALU_DEP_1)
	v_and_or_b32 v7, 0x7f800000, v13, v7
	v_cndmask_b32_e32 v6, 0, v7, vcc_lo
	s_delay_alu instid0(VALU_DEP_1) | instskip(NEXT) | instid1(VALU_DEP_1)
	v_and_or_b32 v5, 0x80000000, v5, v6
	v_cvt_f64_f32_e32 v[6:7], v5
.LBB248_1407:
	s_mov_b32 s0, 0
.LBB248_1408:
	s_delay_alu instid0(SALU_CYCLE_1)
	s_and_not1_b32 vcc_lo, exec_lo, s0
	s_cbranch_vccnz .LBB248_1410
; %bb.1409:
	global_load_u8 v5, v[2:3], off
	s_waitcnt vmcnt(0)
	v_lshlrev_b32_e32 v6, 25, v5
	v_lshlrev_b16 v5, 8, v5
	s_delay_alu instid0(VALU_DEP_2) | instskip(NEXT) | instid1(VALU_DEP_2)
	v_lshrrev_b32_e32 v7, 4, v6
	v_and_or_b32 v13, 0x7f00, v5, 0.5
	v_bfe_i32 v5, v5, 0, 16
	s_delay_alu instid0(VALU_DEP_3) | instskip(NEXT) | instid1(VALU_DEP_3)
	v_or_b32_e32 v7, 0x70000000, v7
	v_add_f32_e32 v13, -0.5, v13
	s_delay_alu instid0(VALU_DEP_2) | instskip(SKIP_1) | instid1(VALU_DEP_2)
	v_mul_f32_e32 v7, 0x7800000, v7
	v_cmp_gt_u32_e32 vcc_lo, 0x8000000, v6
	v_cndmask_b32_e32 v6, v7, v13, vcc_lo
	s_delay_alu instid0(VALU_DEP_1) | instskip(NEXT) | instid1(VALU_DEP_1)
	v_and_or_b32 v5, 0x80000000, v5, v6
	v_cvt_f64_f32_e32 v[6:7], v5
.LBB248_1410:
	s_mov_b32 s1, 0
	s_mov_b32 s0, -1
.LBB248_1411:
	s_and_not1_b32 vcc_lo, exec_lo, s1
	s_mov_b32 s12, 0
	s_cbranch_vccnz .LBB248_1420
; %bb.1412:
	v_cmp_lt_i16_e32 vcc_lo, 14, v12
	s_cbranch_vccz .LBB248_1415
; %bb.1413:
	v_cmp_eq_u16_e32 vcc_lo, 15, v12
	s_cbranch_vccz .LBB248_1416
; %bb.1414:
	global_load_u16 v5, v[2:3], off
	s_mov_b32 s11, 0
	s_mov_b32 s0, -1
	s_waitcnt vmcnt(0)
	v_lshlrev_b32_e32 v5, 16, v5
	s_delay_alu instid0(VALU_DEP_1)
	v_cvt_f64_f32_e32 v[6:7], v5
	s_branch .LBB248_1417
.LBB248_1415:
	s_mov_b32 s1, -1
                                        ; implicit-def: $vgpr6_vgpr7
	s_branch .LBB248_1418
.LBB248_1416:
	s_mov_b32 s11, -1
                                        ; implicit-def: $vgpr6_vgpr7
.LBB248_1417:
	s_mov_b32 s1, 0
.LBB248_1418:
	s_delay_alu instid0(SALU_CYCLE_1)
	s_and_b32 vcc_lo, exec_lo, s1
	s_cbranch_vccz .LBB248_1420
; %bb.1419:
	v_cmp_ne_u16_e64 s11, 11, v12
	s_mov_b32 s12, -1
                                        ; implicit-def: $vgpr6_vgpr7
.LBB248_1420:
	s_delay_alu instid0(VALU_DEP_1)
	s_and_b32 vcc_lo, exec_lo, s11
	s_cbranch_vccnz .LBB248_1436
; %bb.1421:
	s_and_not1_b32 vcc_lo, exec_lo, s12
	s_cbranch_vccnz .LBB248_1423
.LBB248_1422:
	global_load_u8 v5, v[2:3], off
	v_mov_b32_e32 v6, 0
	s_mov_b32 s0, -1
	s_waitcnt vmcnt(0)
	v_cmp_ne_u16_e32 vcc_lo, 0, v5
	v_cndmask_b32_e64 v7, 0, 0x3ff00000, vcc_lo
.LBB248_1423:
.LBB248_1424:
	s_and_not1_b32 vcc_lo, exec_lo, s0
	s_cbranch_vccnz .LBB248_1989
.LBB248_1425:
	v_add_nc_u32_e32 v2, s3, v4
	v_cmp_gt_i16_e32 vcc_lo, 11, v12
	s_delay_alu instid0(VALU_DEP_2) | instskip(SKIP_1) | instid1(VALU_DEP_1)
	v_ashrrev_i32_e32 v3, 31, v2
	v_add_co_u32 v2, s0, s6, v2
	v_add_co_ci_u32_e64 v3, s0, s7, v3, s0
	s_cbranch_vccnz .LBB248_1432
; %bb.1426:
	v_cmp_lt_i16_e32 vcc_lo, 25, v12
	s_mov_b32 s6, 0
	s_cbranch_vccz .LBB248_1433
; %bb.1427:
	v_cmp_lt_i16_e32 vcc_lo, 28, v12
	s_cbranch_vccz .LBB248_1434
; %bb.1428:
	v_cmp_lt_i16_e32 vcc_lo, 43, v12
	;; [unrolled: 3-line block ×3, first 2 shown]
	s_cbranch_vccz .LBB248_1438
; %bb.1430:
	v_cmp_eq_u16_e32 vcc_lo, 46, v12
	s_mov_b32 s1, 0
	s_cbranch_vccz .LBB248_1441
; %bb.1431:
	global_load_b32 v4, v[2:3], off
	s_mov_b32 s3, 0
	s_mov_b32 s0, -1
	s_waitcnt vmcnt(0)
	v_lshlrev_b32_e32 v4, 16, v4
	s_delay_alu instid0(VALU_DEP_1)
	v_cvt_f64_f32_e32 v[4:5], v4
	s_branch .LBB248_1443
.LBB248_1432:
	s_mov_b32 s1, -1
	s_mov_b32 s0, 0
                                        ; implicit-def: $vgpr4_vgpr5
	s_branch .LBB248_1509
.LBB248_1433:
	s_mov_b32 s1, -1
	s_mov_b32 s0, 0
	s_mov_b32 s3, 0
                                        ; implicit-def: $vgpr4_vgpr5
	s_branch .LBB248_1474
.LBB248_1434:
	s_mov_b32 s1, -1
	s_mov_b32 s0, 0
	s_mov_b32 s3, 0
                                        ; implicit-def: $vgpr4_vgpr5
	s_branch .LBB248_1453
.LBB248_1435:
	s_mov_b32 s1, -1
	s_mov_b32 s0, 0
	s_mov_b32 s3, 0
                                        ; implicit-def: $vgpr4_vgpr5
	s_branch .LBB248_1448
.LBB248_1436:
	s_cbranch_execnz .LBB248_1439
; %bb.1437:
	s_or_b32 s8, s8, exec_lo
                                        ; implicit-def: $vgpr6_vgpr7
	s_cbranch_execz .LBB248_1422
	s_branch .LBB248_1423
.LBB248_1438:
	s_mov_b32 s1, -1
	s_mov_b32 s0, 0
	s_mov_b32 s3, 0
	s_branch .LBB248_1442
.LBB248_1439:
	s_trap 2
	s_sendmsg_rtn_b32 s0, sendmsg(MSG_RTN_GET_DOORBELL)
	s_mov_b32 ttmp2, m0
	s_waitcnt lgkmcnt(0)
	s_and_b32 s0, s0, 0x3ff
	s_delay_alu instid0(SALU_CYCLE_1) | instskip(NEXT) | instid1(SALU_CYCLE_1)
	s_bitset1_b32 s0, 10
	s_mov_b32 m0, s0
	s_sendmsg sendmsg(MSG_INTERRUPT)
	s_mov_b32 m0, ttmp2
.LBB248_1440:                           ; =>This Inner Loop Header: Depth=1
	s_sethalt 5
	s_branch .LBB248_1440
.LBB248_1441:
	s_mov_b32 s3, -1
	s_mov_b32 s0, 0
.LBB248_1442:
                                        ; implicit-def: $vgpr4_vgpr5
.LBB248_1443:
	s_and_b32 vcc_lo, exec_lo, s1
	s_cbranch_vccz .LBB248_1447
; %bb.1444:
	v_cmp_eq_u16_e32 vcc_lo, 44, v12
	s_cbranch_vccz .LBB248_1446
; %bb.1445:
	global_load_u8 v13, v[2:3], off
	s_mov_b32 s3, 0
	s_mov_b32 s0, -1
	s_waitcnt vmcnt(0)
	v_lshlrev_b32_e32 v4, 23, v13
	v_cmp_ne_u32_e32 vcc_lo, 0xff, v13
	s_delay_alu instid0(VALU_DEP_2) | instskip(NEXT) | instid1(VALU_DEP_1)
	v_cvt_f64_f32_e32 v[4:5], v4
	v_cndmask_b32_e32 v4, 0x20000000, v4, vcc_lo
	s_delay_alu instid0(VALU_DEP_2) | instskip(SKIP_1) | instid1(VALU_DEP_2)
	v_cndmask_b32_e32 v5, 0x7ff80000, v5, vcc_lo
	v_cmp_ne_u32_e32 vcc_lo, 0, v13
	v_cndmask_b32_e32 v5, 0x38000000, v5, vcc_lo
	s_delay_alu instid0(VALU_DEP_4)
	v_cndmask_b32_e32 v4, 0, v4, vcc_lo
	s_branch .LBB248_1447
.LBB248_1446:
	s_mov_b32 s3, -1
                                        ; implicit-def: $vgpr4_vgpr5
.LBB248_1447:
	s_mov_b32 s1, 0
.LBB248_1448:
	s_delay_alu instid0(SALU_CYCLE_1)
	s_and_b32 vcc_lo, exec_lo, s1
	s_cbranch_vccz .LBB248_1452
; %bb.1449:
	v_cmp_eq_u16_e32 vcc_lo, 29, v12
	s_cbranch_vccz .LBB248_1451
; %bb.1450:
	global_load_b64 v[4:5], v[2:3], off
	s_mov_b32 s3, 0
	s_mov_b32 s0, -1
	s_mov_b32 s1, 0
	s_waitcnt vmcnt(0)
	v_cvt_f64_u32_e32 v[13:14], v5
	v_cvt_f64_u32_e32 v[4:5], v4
	s_delay_alu instid0(VALU_DEP_2) | instskip(NEXT) | instid1(VALU_DEP_1)
	v_ldexp_f64 v[13:14], v[13:14], 32
	v_add_f64 v[4:5], v[13:14], v[4:5]
	s_branch .LBB248_1453
.LBB248_1451:
	s_mov_b32 s3, -1
                                        ; implicit-def: $vgpr4_vgpr5
.LBB248_1452:
	s_mov_b32 s1, 0
.LBB248_1453:
	s_delay_alu instid0(SALU_CYCLE_1)
	s_and_b32 vcc_lo, exec_lo, s1
	s_cbranch_vccz .LBB248_1473
; %bb.1454:
	v_cmp_gt_i16_e32 vcc_lo, 27, v12
	s_cbranch_vccnz .LBB248_1457
; %bb.1455:
	v_cmp_lt_i16_e32 vcc_lo, 27, v12
	s_cbranch_vccz .LBB248_1458
; %bb.1456:
	global_load_b32 v4, v[2:3], off
	s_mov_b32 s0, 0
	s_waitcnt vmcnt(0)
	v_cvt_f64_u32_e32 v[4:5], v4
	s_branch .LBB248_1459
.LBB248_1457:
	s_mov_b32 s0, -1
                                        ; implicit-def: $vgpr4_vgpr5
	s_branch .LBB248_1462
.LBB248_1458:
	s_mov_b32 s0, -1
                                        ; implicit-def: $vgpr4_vgpr5
.LBB248_1459:
	s_delay_alu instid0(SALU_CYCLE_1)
	s_and_not1_b32 vcc_lo, exec_lo, s0
	s_cbranch_vccnz .LBB248_1461
; %bb.1460:
	global_load_u16 v4, v[2:3], off
	s_waitcnt vmcnt(0)
	v_cvt_f64_u32_e32 v[4:5], v4
.LBB248_1461:
	s_mov_b32 s0, 0
.LBB248_1462:
	s_delay_alu instid0(SALU_CYCLE_1)
	s_and_not1_b32 vcc_lo, exec_lo, s0
	s_cbranch_vccnz .LBB248_1472
; %bb.1463:
	global_load_u8 v13, v[2:3], off
	s_mov_b32 s7, 0
	s_mov_b32 s11, exec_lo
                                        ; implicit-def: $sgpr0_sgpr1
	s_waitcnt vmcnt(0)
	v_cmpx_lt_i16_e32 0x7f, v13
	s_xor_b32 s11, exec_lo, s11
	s_cbranch_execz .LBB248_1467
; %bb.1464:
	s_mov_b32 s12, -1
	s_mov_b32 s7, exec_lo
                                        ; implicit-def: $sgpr0_sgpr1
	v_cmpx_eq_u16_e32 0x80, v13
; %bb.1465:
	s_mov_b32 s1, 0x7ff80000
	s_brev_b32 s0, 4
	s_xor_b32 s12, exec_lo, -1
; %bb.1466:
	s_or_b32 exec_lo, exec_lo, s7
	s_delay_alu instid0(SALU_CYCLE_1)
	s_and_b32 s7, s12, exec_lo
.LBB248_1467:
	s_or_saveexec_b32 s11, s11
	v_dual_mov_b32 v5, s1 :: v_dual_mov_b32 v4, s0
	s_xor_b32 exec_lo, exec_lo, s11
; %bb.1468:
	v_cmp_ne_u16_e32 vcc_lo, 0, v13
	v_mov_b32_e32 v4, 0
	v_mov_b32_e32 v5, 0
	s_and_not1_b32 s0, s7, exec_lo
	s_and_b32 s1, vcc_lo, exec_lo
	s_delay_alu instid0(SALU_CYCLE_1)
	s_or_b32 s7, s0, s1
; %bb.1469:
	s_or_b32 exec_lo, exec_lo, s11
	s_and_saveexec_b32 s0, s7
	s_cbranch_execz .LBB248_1471
; %bb.1470:
	v_and_b32_e32 v4, 0xffff, v13
	v_lshlrev_b32_e32 v13, 24, v13
	s_delay_alu instid0(VALU_DEP_2) | instskip(NEXT) | instid1(VALU_DEP_2)
	v_and_b32_e32 v5, 7, v4
	v_and_b32_e32 v13, 0x80000000, v13
	s_delay_alu instid0(VALU_DEP_2) | instskip(NEXT) | instid1(VALU_DEP_1)
	v_clz_i32_u32_e32 v14, v5
	v_min_u32_e32 v14, 32, v14
	s_delay_alu instid0(VALU_DEP_1) | instskip(SKIP_1) | instid1(VALU_DEP_2)
	v_subrev_nc_u32_e32 v15, 28, v14
	v_sub_nc_u32_e32 v14, 29, v14
	v_lshlrev_b32_e32 v15, v15, v4
	v_bfe_u32 v4, v4, 3, 4
	s_delay_alu instid0(VALU_DEP_2) | instskip(NEXT) | instid1(VALU_DEP_2)
	v_and_b32_e32 v15, 7, v15
	v_cmp_eq_u32_e32 vcc_lo, 0, v4
	s_delay_alu instid0(VALU_DEP_2) | instskip(NEXT) | instid1(VALU_DEP_1)
	v_dual_cndmask_b32 v4, v4, v14 :: v_dual_cndmask_b32 v5, v5, v15
	v_lshl_add_u32 v4, v4, 23, 0x3b800000
	s_delay_alu instid0(VALU_DEP_2) | instskip(NEXT) | instid1(VALU_DEP_1)
	v_lshlrev_b32_e32 v5, 20, v5
	v_or3_b32 v4, v13, v4, v5
	s_delay_alu instid0(VALU_DEP_1)
	v_cvt_f64_f32_e32 v[4:5], v4
.LBB248_1471:
	s_or_b32 exec_lo, exec_lo, s0
.LBB248_1472:
	s_mov_b32 s0, -1
.LBB248_1473:
	s_mov_b32 s1, 0
.LBB248_1474:
	s_delay_alu instid0(SALU_CYCLE_1)
	s_and_b32 vcc_lo, exec_lo, s1
	s_cbranch_vccz .LBB248_1505
; %bb.1475:
	v_cmp_lt_i16_e32 vcc_lo, 22, v12
	s_cbranch_vccz .LBB248_1487
; %bb.1476:
	v_cmp_gt_i16_e32 vcc_lo, 24, v12
	s_cbranch_vccnz .LBB248_1488
; %bb.1477:
	v_cmp_lt_i16_e32 vcc_lo, 24, v12
	s_cbranch_vccz .LBB248_1489
; %bb.1478:
	global_load_u8 v13, v[2:3], off
	s_mov_b32 s7, exec_lo
                                        ; implicit-def: $sgpr0_sgpr1
	s_waitcnt vmcnt(0)
	v_cmpx_lt_i16_e32 0x7f, v13
	s_xor_b32 s7, exec_lo, s7
	s_cbranch_execz .LBB248_1482
; %bb.1479:
	s_mov_b32 s11, -1
	s_mov_b32 s6, exec_lo
                                        ; implicit-def: $sgpr0_sgpr1
	v_cmpx_eq_u16_e32 0x80, v13
; %bb.1480:
	s_mov_b32 s1, 0x7ff80000
	s_brev_b32 s0, 4
	s_xor_b32 s11, exec_lo, -1
; %bb.1481:
	s_or_b32 exec_lo, exec_lo, s6
	s_delay_alu instid0(SALU_CYCLE_1)
	s_and_b32 s6, s11, exec_lo
.LBB248_1482:
	s_or_saveexec_b32 s7, s7
	v_dual_mov_b32 v5, s1 :: v_dual_mov_b32 v4, s0
	s_xor_b32 exec_lo, exec_lo, s7
; %bb.1483:
	v_cmp_ne_u16_e32 vcc_lo, 0, v13
	v_mov_b32_e32 v4, 0
	v_mov_b32_e32 v5, 0
	s_and_not1_b32 s0, s6, exec_lo
	s_and_b32 s1, vcc_lo, exec_lo
	s_delay_alu instid0(SALU_CYCLE_1)
	s_or_b32 s6, s0, s1
; %bb.1484:
	s_or_b32 exec_lo, exec_lo, s7
	s_and_saveexec_b32 s0, s6
	s_cbranch_execz .LBB248_1486
; %bb.1485:
	v_and_b32_e32 v4, 0xffff, v13
	v_lshlrev_b32_e32 v13, 24, v13
	s_delay_alu instid0(VALU_DEP_2) | instskip(NEXT) | instid1(VALU_DEP_2)
	v_and_b32_e32 v5, 3, v4
	v_and_b32_e32 v13, 0x80000000, v13
	s_delay_alu instid0(VALU_DEP_2) | instskip(NEXT) | instid1(VALU_DEP_1)
	v_clz_i32_u32_e32 v14, v5
	v_min_u32_e32 v14, 32, v14
	s_delay_alu instid0(VALU_DEP_1) | instskip(SKIP_1) | instid1(VALU_DEP_2)
	v_subrev_nc_u32_e32 v15, 29, v14
	v_sub_nc_u32_e32 v14, 30, v14
	v_lshlrev_b32_e32 v15, v15, v4
	v_bfe_u32 v4, v4, 2, 5
	s_delay_alu instid0(VALU_DEP_2) | instskip(NEXT) | instid1(VALU_DEP_2)
	v_and_b32_e32 v15, 3, v15
	v_cmp_eq_u32_e32 vcc_lo, 0, v4
	s_delay_alu instid0(VALU_DEP_2) | instskip(NEXT) | instid1(VALU_DEP_1)
	v_dual_cndmask_b32 v4, v4, v14 :: v_dual_cndmask_b32 v5, v5, v15
	v_lshl_add_u32 v4, v4, 23, 0x37800000
	s_delay_alu instid0(VALU_DEP_2) | instskip(NEXT) | instid1(VALU_DEP_1)
	v_lshlrev_b32_e32 v5, 21, v5
	v_or3_b32 v4, v13, v4, v5
	s_delay_alu instid0(VALU_DEP_1)
	v_cvt_f64_f32_e32 v[4:5], v4
.LBB248_1486:
	s_or_b32 exec_lo, exec_lo, s0
	s_mov_b32 s0, 0
	s_branch .LBB248_1490
.LBB248_1487:
	s_mov_b32 s1, -1
                                        ; implicit-def: $vgpr4_vgpr5
	s_branch .LBB248_1496
.LBB248_1488:
	s_mov_b32 s0, -1
                                        ; implicit-def: $vgpr4_vgpr5
	s_branch .LBB248_1493
.LBB248_1489:
	s_mov_b32 s0, -1
                                        ; implicit-def: $vgpr4_vgpr5
.LBB248_1490:
	s_delay_alu instid0(SALU_CYCLE_1)
	s_and_b32 vcc_lo, exec_lo, s0
	s_cbranch_vccz .LBB248_1492
; %bb.1491:
	global_load_u8 v4, v[2:3], off
	s_waitcnt vmcnt(0)
	v_lshlrev_b32_e32 v4, 24, v4
	s_delay_alu instid0(VALU_DEP_1) | instskip(NEXT) | instid1(VALU_DEP_1)
	v_and_b32_e32 v5, 0x7f000000, v4
	v_clz_i32_u32_e32 v13, v5
	v_add_nc_u32_e32 v15, 0x1000000, v5
	v_cmp_ne_u32_e32 vcc_lo, 0, v5
	s_delay_alu instid0(VALU_DEP_3) | instskip(NEXT) | instid1(VALU_DEP_1)
	v_min_u32_e32 v13, 32, v13
	v_sub_nc_u32_e64 v13, v13, 4 clamp
	s_delay_alu instid0(VALU_DEP_1) | instskip(SKIP_1) | instid1(VALU_DEP_2)
	v_lshlrev_b32_e32 v14, v13, v5
	v_lshlrev_b32_e32 v13, 23, v13
	v_lshrrev_b32_e32 v14, 4, v14
	s_delay_alu instid0(VALU_DEP_1) | instskip(SKIP_1) | instid1(VALU_DEP_2)
	v_sub_nc_u32_e32 v13, v14, v13
	v_ashrrev_i32_e32 v14, 8, v15
	v_add_nc_u32_e32 v13, 0x3c000000, v13
	s_delay_alu instid0(VALU_DEP_1) | instskip(NEXT) | instid1(VALU_DEP_1)
	v_and_or_b32 v13, 0x7f800000, v14, v13
	v_cndmask_b32_e32 v5, 0, v13, vcc_lo
	s_delay_alu instid0(VALU_DEP_1) | instskip(NEXT) | instid1(VALU_DEP_1)
	v_and_or_b32 v4, 0x80000000, v4, v5
	v_cvt_f64_f32_e32 v[4:5], v4
.LBB248_1492:
	s_mov_b32 s0, 0
.LBB248_1493:
	s_delay_alu instid0(SALU_CYCLE_1)
	s_and_not1_b32 vcc_lo, exec_lo, s0
	s_cbranch_vccnz .LBB248_1495
; %bb.1494:
	global_load_u8 v4, v[2:3], off
	s_waitcnt vmcnt(0)
	v_lshlrev_b32_e32 v5, 25, v4
	v_lshlrev_b16 v4, 8, v4
	s_delay_alu instid0(VALU_DEP_1) | instskip(SKIP_1) | instid1(VALU_DEP_2)
	v_and_or_b32 v14, 0x7f00, v4, 0.5
	v_bfe_i32 v4, v4, 0, 16
	v_add_f32_e32 v14, -0.5, v14
	v_lshrrev_b32_e32 v13, 4, v5
	v_cmp_gt_u32_e32 vcc_lo, 0x8000000, v5
	s_delay_alu instid0(VALU_DEP_2) | instskip(NEXT) | instid1(VALU_DEP_1)
	v_or_b32_e32 v13, 0x70000000, v13
	v_mul_f32_e32 v13, 0x7800000, v13
	s_delay_alu instid0(VALU_DEP_1) | instskip(NEXT) | instid1(VALU_DEP_1)
	v_cndmask_b32_e32 v5, v13, v14, vcc_lo
	v_and_or_b32 v4, 0x80000000, v4, v5
	s_delay_alu instid0(VALU_DEP_1)
	v_cvt_f64_f32_e32 v[4:5], v4
.LBB248_1495:
	s_mov_b32 s1, 0
	s_mov_b32 s0, -1
.LBB248_1496:
	s_and_not1_b32 vcc_lo, exec_lo, s1
	s_mov_b32 s6, 0
	s_cbranch_vccnz .LBB248_1505
; %bb.1497:
	v_cmp_lt_i16_e32 vcc_lo, 14, v12
	s_cbranch_vccz .LBB248_1500
; %bb.1498:
	v_cmp_eq_u16_e32 vcc_lo, 15, v12
	s_cbranch_vccz .LBB248_1501
; %bb.1499:
	global_load_u16 v4, v[2:3], off
	s_mov_b32 s3, 0
	s_mov_b32 s0, -1
	s_waitcnt vmcnt(0)
	v_lshlrev_b32_e32 v4, 16, v4
	s_delay_alu instid0(VALU_DEP_1)
	v_cvt_f64_f32_e32 v[4:5], v4
	s_branch .LBB248_1502
.LBB248_1500:
	s_mov_b32 s1, -1
                                        ; implicit-def: $vgpr4_vgpr5
	s_branch .LBB248_1503
.LBB248_1501:
	s_mov_b32 s3, -1
                                        ; implicit-def: $vgpr4_vgpr5
.LBB248_1502:
	s_mov_b32 s1, 0
.LBB248_1503:
	s_delay_alu instid0(SALU_CYCLE_1)
	s_and_b32 vcc_lo, exec_lo, s1
	s_cbranch_vccz .LBB248_1505
; %bb.1504:
	v_cmp_ne_u16_e64 s3, 11, v12
	s_mov_b32 s6, -1
                                        ; implicit-def: $vgpr4_vgpr5
.LBB248_1505:
	s_delay_alu instid0(VALU_DEP_1)
	s_and_b32 vcc_lo, exec_lo, s3
	s_cbranch_vccnz .LBB248_2034
; %bb.1506:
	s_and_not1_b32 vcc_lo, exec_lo, s6
	s_cbranch_vccnz .LBB248_1508
.LBB248_1507:
	global_load_u8 v4, v[2:3], off
	s_mov_b32 s0, -1
	s_waitcnt vmcnt(0)
	v_cmp_ne_u16_e32 vcc_lo, 0, v4
	v_mov_b32_e32 v4, 0
	v_cndmask_b32_e64 v5, 0, 0x3ff00000, vcc_lo
.LBB248_1508:
	s_mov_b32 s1, 0
.LBB248_1509:
	s_delay_alu instid0(SALU_CYCLE_1)
	s_and_b32 vcc_lo, exec_lo, s1
	s_cbranch_vccz .LBB248_1558
; %bb.1510:
	v_cmp_gt_i16_e32 vcc_lo, 5, v12
	s_cbranch_vccnz .LBB248_1515
; %bb.1511:
	v_cmp_gt_i16_e32 vcc_lo, 8, v12
	s_cbranch_vccnz .LBB248_1516
	;; [unrolled: 3-line block ×3, first 2 shown]
; %bb.1513:
	v_cmp_lt_i16_e32 vcc_lo, 9, v12
	s_cbranch_vccz .LBB248_1518
; %bb.1514:
	global_load_b64 v[4:5], v[2:3], off
	s_mov_b32 s0, 0
	s_branch .LBB248_1519
.LBB248_1515:
	s_mov_b32 s0, -1
                                        ; implicit-def: $vgpr4_vgpr5
	s_branch .LBB248_1537
.LBB248_1516:
	s_mov_b32 s0, -1
                                        ; implicit-def: $vgpr4_vgpr5
	s_branch .LBB248_1525
.LBB248_1517:
	s_mov_b32 s0, -1
                                        ; implicit-def: $vgpr4_vgpr5
	s_branch .LBB248_1522
.LBB248_1518:
	s_mov_b32 s0, -1
                                        ; implicit-def: $vgpr4_vgpr5
.LBB248_1519:
	s_delay_alu instid0(SALU_CYCLE_1)
	s_and_not1_b32 vcc_lo, exec_lo, s0
	s_cbranch_vccnz .LBB248_1521
; %bb.1520:
	global_load_b32 v4, v[2:3], off
	s_waitcnt vmcnt(0)
	v_cvt_f64_f32_e32 v[4:5], v4
.LBB248_1521:
	s_mov_b32 s0, 0
.LBB248_1522:
	s_delay_alu instid0(SALU_CYCLE_1)
	s_and_not1_b32 vcc_lo, exec_lo, s0
	s_cbranch_vccnz .LBB248_1524
; %bb.1523:
	global_load_b32 v4, v[2:3], off
	s_waitcnt vmcnt(0)
	v_cvt_f32_f16_e32 v4, v4
	s_delay_alu instid0(VALU_DEP_1)
	v_cvt_f64_f32_e32 v[4:5], v4
.LBB248_1524:
	s_mov_b32 s0, 0
.LBB248_1525:
	s_delay_alu instid0(SALU_CYCLE_1)
	s_and_not1_b32 vcc_lo, exec_lo, s0
	s_cbranch_vccnz .LBB248_1536
; %bb.1526:
	v_cmp_gt_i16_e32 vcc_lo, 6, v12
	s_cbranch_vccnz .LBB248_1529
; %bb.1527:
	v_cmp_lt_i16_e32 vcc_lo, 6, v12
	s_cbranch_vccz .LBB248_1530
; %bb.1528:
	global_load_b64 v[4:5], v[2:3], off
	s_mov_b32 s0, 0
	s_branch .LBB248_1531
.LBB248_1529:
	s_mov_b32 s0, -1
                                        ; implicit-def: $vgpr4_vgpr5
	s_branch .LBB248_1534
.LBB248_1530:
	s_mov_b32 s0, -1
                                        ; implicit-def: $vgpr4_vgpr5
.LBB248_1531:
	s_delay_alu instid0(SALU_CYCLE_1)
	s_and_not1_b32 vcc_lo, exec_lo, s0
	s_cbranch_vccnz .LBB248_1533
; %bb.1532:
	global_load_b32 v4, v[2:3], off
	s_waitcnt vmcnt(0)
	v_cvt_f64_f32_e32 v[4:5], v4
.LBB248_1533:
	s_mov_b32 s0, 0
.LBB248_1534:
	s_delay_alu instid0(SALU_CYCLE_1)
	s_and_not1_b32 vcc_lo, exec_lo, s0
	s_cbranch_vccnz .LBB248_1536
; %bb.1535:
	global_load_u16 v4, v[2:3], off
	s_waitcnt vmcnt(0)
	v_cvt_f32_f16_e32 v4, v4
	s_delay_alu instid0(VALU_DEP_1)
	v_cvt_f64_f32_e32 v[4:5], v4
.LBB248_1536:
	s_mov_b32 s0, 0
.LBB248_1537:
	s_delay_alu instid0(SALU_CYCLE_1)
	s_and_not1_b32 vcc_lo, exec_lo, s0
	s_cbranch_vccnz .LBB248_1557
; %bb.1538:
	v_cmp_gt_i16_e32 vcc_lo, 2, v12
	s_cbranch_vccnz .LBB248_1542
; %bb.1539:
	v_cmp_gt_i16_e32 vcc_lo, 3, v12
	s_cbranch_vccnz .LBB248_1543
; %bb.1540:
	v_cmp_lt_i16_e32 vcc_lo, 3, v12
	s_cbranch_vccz .LBB248_1544
; %bb.1541:
	global_load_b64 v[4:5], v[2:3], off
	s_mov_b32 s0, 0
	s_waitcnt vmcnt(0)
	v_cvt_f64_i32_e32 v[13:14], v5
	v_cvt_f64_u32_e32 v[4:5], v4
	s_delay_alu instid0(VALU_DEP_2) | instskip(NEXT) | instid1(VALU_DEP_1)
	v_ldexp_f64 v[13:14], v[13:14], 32
	v_add_f64 v[4:5], v[13:14], v[4:5]
	s_branch .LBB248_1545
.LBB248_1542:
	s_mov_b32 s0, -1
                                        ; implicit-def: $vgpr4_vgpr5
	s_branch .LBB248_1551
.LBB248_1543:
	s_mov_b32 s0, -1
                                        ; implicit-def: $vgpr4_vgpr5
	s_branch .LBB248_1548
.LBB248_1544:
	s_mov_b32 s0, -1
                                        ; implicit-def: $vgpr4_vgpr5
.LBB248_1545:
	s_delay_alu instid0(SALU_CYCLE_1)
	s_and_not1_b32 vcc_lo, exec_lo, s0
	s_cbranch_vccnz .LBB248_1547
; %bb.1546:
	global_load_b32 v4, v[2:3], off
	s_waitcnt vmcnt(0)
	v_cvt_f64_i32_e32 v[4:5], v4
.LBB248_1547:
	s_mov_b32 s0, 0
.LBB248_1548:
	s_delay_alu instid0(SALU_CYCLE_1)
	s_and_not1_b32 vcc_lo, exec_lo, s0
	s_cbranch_vccnz .LBB248_1550
; %bb.1549:
	global_load_i16 v4, v[2:3], off
	s_waitcnt vmcnt(0)
	v_cvt_f64_i32_e32 v[4:5], v4
.LBB248_1550:
	s_mov_b32 s0, 0
.LBB248_1551:
	s_delay_alu instid0(SALU_CYCLE_1)
	s_and_not1_b32 vcc_lo, exec_lo, s0
	s_cbranch_vccnz .LBB248_1557
; %bb.1552:
	v_cmp_lt_i16_e32 vcc_lo, 0, v12
	s_mov_b32 s0, 0
	s_cbranch_vccz .LBB248_1554
; %bb.1553:
	global_load_i8 v4, v[2:3], off
	s_waitcnt vmcnt(0)
	v_cvt_f64_i32_e32 v[4:5], v4
	s_branch .LBB248_1555
.LBB248_1554:
	s_mov_b32 s0, -1
                                        ; implicit-def: $vgpr4_vgpr5
.LBB248_1555:
	s_delay_alu instid0(SALU_CYCLE_1)
	s_and_not1_b32 vcc_lo, exec_lo, s0
	s_cbranch_vccnz .LBB248_1557
; %bb.1556:
	global_load_u8 v2, v[2:3], off
	s_waitcnt vmcnt(0)
	v_cvt_f64_u32_e32 v[4:5], v2
.LBB248_1557:
	s_mov_b32 s0, -1
.LBB248_1558:
	s_delay_alu instid0(SALU_CYCLE_1)
	s_and_not1_b32 vcc_lo, exec_lo, s0
	s_cbranch_vccnz .LBB248_1989
; %bb.1559:
	s_waitcnt vmcnt(0)
	v_cmp_gt_f64_e32 vcc_lo, 0x10000000, v[0:1]
	s_mov_b32 s3, 0
	v_cndmask_b32_e64 v2, 0, 1, vcc_lo
	s_delay_alu instid0(VALU_DEP_1) | instskip(NEXT) | instid1(VALU_DEP_1)
	v_lshlrev_b32_e32 v2, 8, v2
	v_ldexp_f64 v[0:1], v[0:1], v2
	s_delay_alu instid0(VALU_DEP_1) | instskip(SKIP_3) | instid1(VALU_DEP_1)
	v_rsq_f64_e32 v[2:3], v[0:1]
	s_waitcnt_depctr 0xfff
	v_mul_f64 v[12:13], v[0:1], v[2:3]
	v_mul_f64 v[2:3], v[2:3], 0.5
	v_fma_f64 v[14:15], -v[2:3], v[12:13], 0.5
	s_delay_alu instid0(VALU_DEP_1) | instskip(SKIP_1) | instid1(VALU_DEP_2)
	v_fma_f64 v[12:13], v[12:13], v[14:15], v[12:13]
	v_fma_f64 v[2:3], v[2:3], v[14:15], v[2:3]
	v_fma_f64 v[14:15], -v[12:13], v[12:13], v[0:1]
	s_delay_alu instid0(VALU_DEP_1) | instskip(NEXT) | instid1(VALU_DEP_1)
	v_fma_f64 v[12:13], v[14:15], v[2:3], v[12:13]
	v_fma_f64 v[14:15], -v[12:13], v[12:13], v[0:1]
	s_delay_alu instid0(VALU_DEP_1) | instskip(SKIP_2) | instid1(VALU_DEP_2)
	v_fma_f64 v[2:3], v[14:15], v[2:3], v[12:13]
	v_cndmask_b32_e64 v12, 0, 0xffffff80, vcc_lo
	v_cmp_class_f64_e64 vcc_lo, v[0:1], 0x260
	v_ldexp_f64 v[2:3], v[2:3], v12
	v_mul_lo_u32 v12, s2, v11
	v_and_b32_e32 v13, 0xff, v10
	s_delay_alu instid0(VALU_DEP_2) | instskip(SKIP_1) | instid1(VALU_DEP_1)
	v_ashrrev_i32_e32 v11, 31, v12
	v_add_co_u32 v10, s1, s4, v12
	v_add_co_ci_u32_e64 v11, s1, s5, v11, s1
	v_cndmask_b32_e32 v0, v2, v0, vcc_lo
	v_cmp_gt_i16_e64 s0, 11, v13
	v_cndmask_b32_e32 v1, v3, v1, vcc_lo
	s_delay_alu instid0(VALU_DEP_2)
	s_and_b32 vcc_lo, exec_lo, s0
	s_mov_b32 s0, -1
	s_cbranch_vccnz .LBB248_1637
; %bb.1560:
	v_cmp_lt_i16_e32 vcc_lo, 25, v13
	s_mov_b32 s6, -1
	s_mov_b32 s1, 0
	s_mov_b32 s0, 0
	s_cbranch_vccz .LBB248_1593
; %bb.1561:
	v_cmp_lt_i16_e32 vcc_lo, 28, v13
	s_cbranch_vccz .LBB248_1576
; %bb.1562:
	v_cmp_lt_i16_e32 vcc_lo, 43, v13
	;; [unrolled: 3-line block ×3, first 2 shown]
	s_cbranch_vccz .LBB248_1566
; %bb.1564:
	v_cmp_eq_u16_e32 vcc_lo, 46, v13
	s_mov_b32 s0, -1
	s_mov_b32 s6, 0
	s_cbranch_vccz .LBB248_1566
; %bb.1565:
	v_cvt_f32_f64_e32 v2, v[0:1]
	s_mov_b32 s0, 0
	s_mov_b32 s3, -1
	s_delay_alu instid0(VALU_DEP_1) | instskip(SKIP_1) | instid1(VALU_DEP_2)
	v_bfe_u32 v3, v2, 16, 1
	v_cmp_o_f32_e32 vcc_lo, v2, v2
	v_add3_u32 v3, v2, v3, 0x7fff
	s_delay_alu instid0(VALU_DEP_1) | instskip(NEXT) | instid1(VALU_DEP_1)
	v_lshrrev_b32_e32 v3, 16, v3
	v_cndmask_b32_e32 v2, 0x7fc0, v3, vcc_lo
	global_store_b32 v[10:11], v2, off
.LBB248_1566:
	s_and_b32 vcc_lo, exec_lo, s6
	s_cbranch_vccz .LBB248_1571
; %bb.1567:
	v_cmp_eq_u16_e32 vcc_lo, 44, v13
	s_mov_b32 s0, -1
	s_cbranch_vccz .LBB248_1571
; %bb.1568:
	v_cvt_f32_f64_e32 v2, v[0:1]
	v_mov_b32_e32 v3, 0xff
	s_mov_b32 s3, exec_lo
	s_delay_alu instid0(VALU_DEP_2) | instskip(NEXT) | instid1(VALU_DEP_1)
	v_bfe_u32 v14, v2, 23, 8
	v_cmpx_ne_u32_e32 0xff, v14
; %bb.1569:
	v_and_b32_e32 v3, 0x400000, v2
	v_and_or_b32 v14, 0x3fffff, v2, v14
	v_lshrrev_b32_e32 v2, 23, v2
	s_delay_alu instid0(VALU_DEP_3) | instskip(NEXT) | instid1(VALU_DEP_3)
	v_cmp_ne_u32_e32 vcc_lo, 0, v3
	v_cmp_ne_u32_e64 s0, 0, v14
	s_delay_alu instid0(VALU_DEP_1) | instskip(NEXT) | instid1(SALU_CYCLE_1)
	s_and_b32 s0, vcc_lo, s0
	v_cndmask_b32_e64 v3, 0, 1, s0
	s_delay_alu instid0(VALU_DEP_1)
	v_add_nc_u32_e32 v3, v2, v3
; %bb.1570:
	s_or_b32 exec_lo, exec_lo, s3
	s_mov_b32 s0, 0
	s_mov_b32 s3, -1
	global_store_b8 v[10:11], v3, off
.LBB248_1571:
	s_mov_b32 s6, 0
.LBB248_1572:
	s_delay_alu instid0(SALU_CYCLE_1)
	s_and_b32 vcc_lo, exec_lo, s6
	s_cbranch_vccz .LBB248_1575
; %bb.1573:
	v_cmp_eq_u16_e32 vcc_lo, 29, v13
	s_mov_b32 s0, -1
	s_cbranch_vccz .LBB248_1575
; %bb.1574:
	v_trunc_f64_e32 v[2:3], v[0:1]
	s_mov_b32 s0, 0
	s_mov_b32 s3, -1
	s_delay_alu instid0(VALU_DEP_1) | instskip(NEXT) | instid1(VALU_DEP_1)
	v_ldexp_f64 v[14:15], v[2:3], 0xffffffe0
	v_floor_f64_e32 v[14:15], v[14:15]
	s_delay_alu instid0(VALU_DEP_1) | instskip(SKIP_1) | instid1(VALU_DEP_2)
	v_fma_f64 v[2:3], 0xc1f00000, v[14:15], v[2:3]
	v_cvt_u32_f64_e32 v15, v[14:15]
	v_cvt_u32_f64_e32 v14, v[2:3]
	global_store_b64 v[10:11], v[14:15], off
.LBB248_1575:
	s_mov_b32 s6, 0
.LBB248_1576:
	s_delay_alu instid0(SALU_CYCLE_1)
	s_and_b32 vcc_lo, exec_lo, s6
	s_cbranch_vccz .LBB248_1592
; %bb.1577:
	v_cmp_gt_i16_e32 vcc_lo, 27, v13
	s_mov_b32 s3, -1
	s_cbranch_vccnz .LBB248_1583
; %bb.1578:
	v_cvt_u32_f64_e32 v2, v[0:1]
	v_cmp_lt_i16_e32 vcc_lo, 27, v13
	s_cbranch_vccz .LBB248_1580
; %bb.1579:
	s_mov_b32 s3, 0
	global_store_b32 v[10:11], v2, off
.LBB248_1580:
	s_and_not1_b32 vcc_lo, exec_lo, s3
	s_cbranch_vccnz .LBB248_1582
; %bb.1581:
	global_store_b16 v[10:11], v2, off
.LBB248_1582:
	s_mov_b32 s3, 0
.LBB248_1583:
	s_delay_alu instid0(SALU_CYCLE_1)
	s_and_not1_b32 vcc_lo, exec_lo, s3
	s_cbranch_vccnz .LBB248_1591
; %bb.1584:
	v_cvt_f32_f64_e32 v2, v[0:1]
	v_mov_b32_e32 v14, 0x80
	s_mov_b32 s3, exec_lo
	s_delay_alu instid0(VALU_DEP_2) | instskip(NEXT) | instid1(VALU_DEP_1)
	v_and_b32_e32 v3, 0x7fffffff, v2
	v_cmpx_gt_u32_e32 0x43800000, v3
	s_cbranch_execz .LBB248_1590
; %bb.1585:
	v_cmp_lt_u32_e32 vcc_lo, 0x3bffffff, v3
	s_mov_b32 s6, 0
                                        ; implicit-def: $vgpr3
	s_and_saveexec_b32 s7, vcc_lo
	s_delay_alu instid0(SALU_CYCLE_1)
	s_xor_b32 s7, exec_lo, s7
	s_cbranch_execz .LBB248_2036
; %bb.1586:
	v_bfe_u32 v3, v2, 20, 1
	s_mov_b32 s6, exec_lo
	s_delay_alu instid0(VALU_DEP_1) | instskip(NEXT) | instid1(VALU_DEP_1)
	v_add3_u32 v3, v2, v3, 0x487ffff
	v_lshrrev_b32_e32 v3, 20, v3
	s_or_saveexec_b32 s7, s7
                                        ; implicit-def: $sgpr11
	s_delay_alu instid0(SALU_CYCLE_1)
	s_xor_b32 exec_lo, exec_lo, s7
	s_cbranch_execnz .LBB248_2037
.LBB248_1587:
	s_or_b32 exec_lo, exec_lo, s7
	v_mov_b32_e32 v14, s11
	s_and_saveexec_b32 s7, s6
.LBB248_1588:
	v_lshrrev_b32_e32 v2, 24, v2
	s_delay_alu instid0(VALU_DEP_1)
	v_and_or_b32 v14, 0x80, v2, v3
.LBB248_1589:
	s_or_b32 exec_lo, exec_lo, s7
.LBB248_1590:
	s_delay_alu instid0(SALU_CYCLE_1)
	s_or_b32 exec_lo, exec_lo, s3
	global_store_b8 v[10:11], v14, off
.LBB248_1591:
	s_mov_b32 s3, -1
.LBB248_1592:
	s_mov_b32 s6, 0
.LBB248_1593:
	s_delay_alu instid0(SALU_CYCLE_1)
	s_and_b32 vcc_lo, exec_lo, s6
	s_cbranch_vccz .LBB248_1633
; %bb.1594:
	v_cmp_lt_i16_e32 vcc_lo, 22, v13
	s_mov_b32 s1, -1
	s_cbranch_vccz .LBB248_1626
; %bb.1595:
	v_cmp_gt_i16_e32 vcc_lo, 24, v13
	s_cbranch_vccnz .LBB248_1615
; %bb.1596:
	v_cmp_lt_i16_e32 vcc_lo, 24, v13
	s_cbranch_vccz .LBB248_1604
; %bb.1597:
	v_cvt_f32_f64_e32 v2, v[0:1]
	v_mov_b32_e32 v14, 0x80
	s_mov_b32 s1, exec_lo
	s_delay_alu instid0(VALU_DEP_2) | instskip(NEXT) | instid1(VALU_DEP_1)
	v_and_b32_e32 v3, 0x7fffffff, v2
	v_cmpx_gt_u32_e32 0x47800000, v3
	s_cbranch_execz .LBB248_1603
; %bb.1598:
	v_cmp_lt_u32_e32 vcc_lo, 0x37ffffff, v3
	s_mov_b32 s3, 0
                                        ; implicit-def: $vgpr3
	s_and_saveexec_b32 s6, vcc_lo
	s_delay_alu instid0(SALU_CYCLE_1)
	s_xor_b32 s6, exec_lo, s6
	s_cbranch_execz .LBB248_2042
; %bb.1599:
	v_bfe_u32 v3, v2, 21, 1
	s_mov_b32 s3, exec_lo
	s_delay_alu instid0(VALU_DEP_1) | instskip(NEXT) | instid1(VALU_DEP_1)
	v_add3_u32 v3, v2, v3, 0x88fffff
	v_lshrrev_b32_e32 v3, 21, v3
	s_or_saveexec_b32 s6, s6
                                        ; implicit-def: $sgpr7
	s_delay_alu instid0(SALU_CYCLE_1)
	s_xor_b32 exec_lo, exec_lo, s6
	s_cbranch_execnz .LBB248_2043
.LBB248_1600:
	s_or_b32 exec_lo, exec_lo, s6
	v_mov_b32_e32 v14, s7
	s_and_saveexec_b32 s6, s3
.LBB248_1601:
	v_lshrrev_b32_e32 v2, 24, v2
	s_delay_alu instid0(VALU_DEP_1)
	v_and_or_b32 v14, 0x80, v2, v3
.LBB248_1602:
	s_or_b32 exec_lo, exec_lo, s6
.LBB248_1603:
	s_delay_alu instid0(SALU_CYCLE_1)
	s_or_b32 exec_lo, exec_lo, s1
	s_mov_b32 s1, 0
	global_store_b8 v[10:11], v14, off
.LBB248_1604:
	s_and_b32 vcc_lo, exec_lo, s1
	s_cbranch_vccz .LBB248_1614
; %bb.1605:
	v_cvt_f32_f64_e32 v2, v[0:1]
	s_mov_b32 s1, exec_lo
                                        ; implicit-def: $vgpr3
	s_delay_alu instid0(VALU_DEP_1) | instskip(NEXT) | instid1(VALU_DEP_1)
	v_and_b32_e32 v14, 0x7fffffff, v2
	v_cmpx_gt_u32_e32 0x43f00000, v14
	s_xor_b32 s1, exec_lo, s1
	s_cbranch_execz .LBB248_1611
; %bb.1606:
	s_mov_b32 s3, exec_lo
                                        ; implicit-def: $vgpr3
	v_cmpx_lt_u32_e32 0x3c7fffff, v14
	s_xor_b32 s3, exec_lo, s3
; %bb.1607:
	v_bfe_u32 v3, v2, 20, 1
	s_delay_alu instid0(VALU_DEP_1) | instskip(NEXT) | instid1(VALU_DEP_1)
	v_add3_u32 v3, v2, v3, 0x407ffff
	v_and_b32_e32 v14, 0xff00000, v3
	v_lshrrev_b32_e32 v3, 20, v3
	s_delay_alu instid0(VALU_DEP_2) | instskip(NEXT) | instid1(VALU_DEP_2)
	v_cmp_ne_u32_e32 vcc_lo, 0x7f00000, v14
	v_cndmask_b32_e32 v3, 0x7e, v3, vcc_lo
; %bb.1608:
	s_and_not1_saveexec_b32 s3, s3
; %bb.1609:
	v_add_f32_e64 v3, 0x46800000, |v2|
; %bb.1610:
	s_or_b32 exec_lo, exec_lo, s3
                                        ; implicit-def: $vgpr14
.LBB248_1611:
	s_and_not1_saveexec_b32 s1, s1
; %bb.1612:
	v_mov_b32_e32 v3, 0x7f
	v_cmp_lt_u32_e32 vcc_lo, 0x7f800000, v14
	s_delay_alu instid0(VALU_DEP_2)
	v_cndmask_b32_e32 v3, 0x7e, v3, vcc_lo
; %bb.1613:
	s_or_b32 exec_lo, exec_lo, s1
	v_lshrrev_b32_e32 v2, 24, v2
	s_delay_alu instid0(VALU_DEP_1)
	v_and_or_b32 v2, 0x80, v2, v3
	global_store_b8 v[10:11], v2, off
.LBB248_1614:
	s_mov_b32 s1, 0
.LBB248_1615:
	s_delay_alu instid0(SALU_CYCLE_1)
	s_and_not1_b32 vcc_lo, exec_lo, s1
	s_cbranch_vccnz .LBB248_1625
; %bb.1616:
	v_cvt_f32_f64_e32 v2, v[0:1]
	s_mov_b32 s1, exec_lo
                                        ; implicit-def: $vgpr3
	s_delay_alu instid0(VALU_DEP_1) | instskip(NEXT) | instid1(VALU_DEP_1)
	v_and_b32_e32 v14, 0x7fffffff, v2
	v_cmpx_gt_u32_e32 0x47800000, v14
	s_xor_b32 s1, exec_lo, s1
	s_cbranch_execz .LBB248_1622
; %bb.1617:
	s_mov_b32 s3, exec_lo
                                        ; implicit-def: $vgpr3
	v_cmpx_lt_u32_e32 0x387fffff, v14
	s_xor_b32 s3, exec_lo, s3
; %bb.1618:
	v_bfe_u32 v3, v2, 21, 1
	s_delay_alu instid0(VALU_DEP_1) | instskip(NEXT) | instid1(VALU_DEP_1)
	v_add3_u32 v3, v2, v3, 0x80fffff
	v_lshrrev_b32_e32 v3, 21, v3
; %bb.1619:
	s_and_not1_saveexec_b32 s3, s3
; %bb.1620:
	v_add_f32_e64 v3, 0x43000000, |v2|
; %bb.1621:
	s_or_b32 exec_lo, exec_lo, s3
                                        ; implicit-def: $vgpr14
.LBB248_1622:
	s_and_not1_saveexec_b32 s1, s1
; %bb.1623:
	v_mov_b32_e32 v3, 0x7f
	v_cmp_lt_u32_e32 vcc_lo, 0x7f800000, v14
	s_delay_alu instid0(VALU_DEP_2)
	v_cndmask_b32_e32 v3, 0x7c, v3, vcc_lo
; %bb.1624:
	s_or_b32 exec_lo, exec_lo, s1
	v_lshrrev_b32_e32 v2, 24, v2
	s_delay_alu instid0(VALU_DEP_1)
	v_and_or_b32 v2, 0x80, v2, v3
	global_store_b8 v[10:11], v2, off
.LBB248_1625:
	s_mov_b32 s1, 0
	s_mov_b32 s3, -1
.LBB248_1626:
	s_and_not1_b32 vcc_lo, exec_lo, s1
	s_mov_b32 s1, 0
	s_cbranch_vccnz .LBB248_1633
; %bb.1627:
	v_cmp_lt_i16_e32 vcc_lo, 14, v13
	s_mov_b32 s1, -1
	s_cbranch_vccz .LBB248_1631
; %bb.1628:
	v_cmp_eq_u16_e32 vcc_lo, 15, v13
	s_mov_b32 s0, -1
	s_cbranch_vccz .LBB248_1630
; %bb.1629:
	v_cvt_f32_f64_e32 v2, v[0:1]
	s_mov_b32 s0, 0
	s_mov_b32 s3, -1
	s_delay_alu instid0(VALU_DEP_1) | instskip(SKIP_1) | instid1(VALU_DEP_2)
	v_bfe_u32 v3, v2, 16, 1
	v_cmp_o_f32_e32 vcc_lo, v2, v2
	v_add3_u32 v3, v2, v3, 0x7fff
	s_delay_alu instid0(VALU_DEP_1) | instskip(NEXT) | instid1(VALU_DEP_1)
	v_lshrrev_b32_e32 v3, 16, v3
	v_cndmask_b32_e32 v2, 0x7fc0, v3, vcc_lo
	global_store_b16 v[10:11], v2, off
.LBB248_1630:
	s_mov_b32 s1, 0
.LBB248_1631:
	s_delay_alu instid0(SALU_CYCLE_1)
	s_and_b32 vcc_lo, exec_lo, s1
	s_mov_b32 s1, 0
	s_cbranch_vccz .LBB248_1633
; %bb.1632:
	v_cmp_ne_u16_e64 s0, 11, v13
	s_mov_b32 s1, -1
.LBB248_1633:
	s_delay_alu instid0(VALU_DEP_1)
	s_and_b32 vcc_lo, exec_lo, s0
	s_cbranch_vccnz .LBB248_2040
; %bb.1634:
	s_and_not1_b32 vcc_lo, exec_lo, s1
	s_cbranch_vccnz .LBB248_1636
.LBB248_1635:
	v_cmp_neq_f64_e32 vcc_lo, 0, v[0:1]
	s_mov_b32 s3, -1
	v_cndmask_b32_e64 v2, 0, 1, vcc_lo
	global_store_b8 v[10:11], v2, off
.LBB248_1636:
	s_mov_b32 s0, 0
.LBB248_1637:
	s_delay_alu instid0(SALU_CYCLE_1)
	s_and_b32 vcc_lo, exec_lo, s0
	s_cbranch_vccz .LBB248_1676
; %bb.1638:
	v_cmp_gt_i16_e32 vcc_lo, 5, v13
	s_mov_b32 s0, -1
	s_cbranch_vccnz .LBB248_1659
; %bb.1639:
	v_cmp_gt_i16_e32 vcc_lo, 8, v13
	s_cbranch_vccnz .LBB248_1649
; %bb.1640:
	v_cmp_gt_i16_e32 vcc_lo, 9, v13
	s_cbranch_vccnz .LBB248_1646
; %bb.1641:
	v_cmp_lt_i16_e32 vcc_lo, 9, v13
	s_cbranch_vccz .LBB248_1643
; %bb.1642:
	v_mov_b32_e32 v2, 0
	s_mov_b32 s0, 0
	s_delay_alu instid0(VALU_DEP_1)
	v_mov_b32_e32 v3, v2
	global_store_b128 v[10:11], v[0:3], off
.LBB248_1643:
	s_and_not1_b32 vcc_lo, exec_lo, s0
	s_cbranch_vccnz .LBB248_1645
; %bb.1644:
	v_cvt_f32_f64_e32 v2, v[0:1]
	v_mov_b32_e32 v3, 0
	global_store_b64 v[10:11], v[2:3], off
.LBB248_1645:
	s_mov_b32 s0, 0
.LBB248_1646:
	s_delay_alu instid0(SALU_CYCLE_1)
	s_and_not1_b32 vcc_lo, exec_lo, s0
	s_cbranch_vccnz .LBB248_1648
; %bb.1647:
	v_cvt_f32_f64_e32 v2, v[0:1]
	s_delay_alu instid0(VALU_DEP_1) | instskip(NEXT) | instid1(VALU_DEP_1)
	v_cvt_f16_f32_e32 v2, v2
	v_and_b32_e32 v2, 0xffff, v2
	global_store_b32 v[10:11], v2, off
.LBB248_1648:
	s_mov_b32 s0, 0
.LBB248_1649:
	s_delay_alu instid0(SALU_CYCLE_1)
	s_and_not1_b32 vcc_lo, exec_lo, s0
	s_cbranch_vccnz .LBB248_1658
; %bb.1650:
	v_cmp_gt_i16_e32 vcc_lo, 6, v13
	s_mov_b32 s0, -1
	s_cbranch_vccnz .LBB248_1656
; %bb.1651:
	v_cmp_lt_i16_e32 vcc_lo, 6, v13
	s_cbranch_vccz .LBB248_1653
; %bb.1652:
	s_mov_b32 s0, 0
	global_store_b64 v[10:11], v[0:1], off
.LBB248_1653:
	s_and_not1_b32 vcc_lo, exec_lo, s0
	s_cbranch_vccnz .LBB248_1655
; %bb.1654:
	v_cvt_f32_f64_e32 v2, v[0:1]
	global_store_b32 v[10:11], v2, off
.LBB248_1655:
	s_mov_b32 s0, 0
.LBB248_1656:
	s_delay_alu instid0(SALU_CYCLE_1)
	s_and_not1_b32 vcc_lo, exec_lo, s0
	s_cbranch_vccnz .LBB248_1658
; %bb.1657:
	v_cvt_f32_f64_e32 v2, v[0:1]
	s_delay_alu instid0(VALU_DEP_1)
	v_cvt_f16_f32_e32 v2, v2
	global_store_b16 v[10:11], v2, off
.LBB248_1658:
	s_mov_b32 s0, 0
.LBB248_1659:
	s_delay_alu instid0(SALU_CYCLE_1)
	s_and_not1_b32 vcc_lo, exec_lo, s0
	s_cbranch_vccnz .LBB248_1675
; %bb.1660:
	v_cmp_gt_i16_e32 vcc_lo, 2, v13
	s_mov_b32 s0, -1
	s_cbranch_vccnz .LBB248_1670
; %bb.1661:
	v_cmp_gt_i16_e32 vcc_lo, 3, v13
	s_cbranch_vccnz .LBB248_1667
; %bb.1662:
	v_cmp_lt_i16_e32 vcc_lo, 3, v13
	s_cbranch_vccz .LBB248_1664
; %bb.1663:
	v_trunc_f64_e32 v[2:3], v[0:1]
	s_mov_b32 s0, 0
	s_delay_alu instid0(VALU_DEP_1) | instskip(NEXT) | instid1(VALU_DEP_1)
	v_ldexp_f64 v[14:15], v[2:3], 0xffffffe0
	v_floor_f64_e32 v[14:15], v[14:15]
	s_delay_alu instid0(VALU_DEP_1) | instskip(SKIP_1) | instid1(VALU_DEP_2)
	v_fma_f64 v[2:3], 0xc1f00000, v[14:15], v[2:3]
	v_cvt_i32_f64_e32 v15, v[14:15]
	v_cvt_u32_f64_e32 v14, v[2:3]
	global_store_b64 v[10:11], v[14:15], off
.LBB248_1664:
	s_and_not1_b32 vcc_lo, exec_lo, s0
	s_cbranch_vccnz .LBB248_1666
; %bb.1665:
	v_cvt_i32_f64_e32 v2, v[0:1]
	global_store_b32 v[10:11], v2, off
.LBB248_1666:
	s_mov_b32 s0, 0
.LBB248_1667:
	s_delay_alu instid0(SALU_CYCLE_1)
	s_and_not1_b32 vcc_lo, exec_lo, s0
	s_cbranch_vccnz .LBB248_1669
; %bb.1668:
	v_cvt_i32_f64_e32 v2, v[0:1]
	global_store_b16 v[10:11], v2, off
.LBB248_1669:
	s_mov_b32 s0, 0
.LBB248_1670:
	s_delay_alu instid0(SALU_CYCLE_1)
	s_and_not1_b32 vcc_lo, exec_lo, s0
	s_cbranch_vccnz .LBB248_1675
; %bb.1671:
	v_cmp_lt_i16_e32 vcc_lo, 0, v13
	s_mov_b32 s0, -1
	s_cbranch_vccz .LBB248_1673
; %bb.1672:
	v_cvt_i32_f64_e32 v2, v[0:1]
	s_mov_b32 s0, 0
	global_store_b8 v[10:11], v2, off
.LBB248_1673:
	s_and_not1_b32 vcc_lo, exec_lo, s0
	s_cbranch_vccnz .LBB248_1675
; %bb.1674:
	v_trunc_f64_e32 v[0:1], v[0:1]
	s_delay_alu instid0(VALU_DEP_1) | instskip(NEXT) | instid1(VALU_DEP_1)
	v_ldexp_f64 v[2:3], v[0:1], 0xffffffe0
	v_floor_f64_e32 v[2:3], v[2:3]
	s_delay_alu instid0(VALU_DEP_1) | instskip(NEXT) | instid1(VALU_DEP_1)
	v_fma_f64 v[0:1], 0xc1f00000, v[2:3], v[0:1]
	v_cvt_u32_f64_e32 v0, v[0:1]
	global_store_b8 v[10:11], v0, off
.LBB248_1675:
	s_mov_b32 s3, -1
.LBB248_1676:
	s_delay_alu instid0(SALU_CYCLE_1)
	s_and_not1_b32 vcc_lo, exec_lo, s3
	s_cbranch_vccnz .LBB248_1989
; %bb.1677:
	v_cmp_gt_f64_e32 vcc_lo, 0x10000000, v[8:9]
	s_lshl_b32 s2, s2, 7
	v_cmp_gt_i16_e64 s0, 11, v13
	s_mov_b32 s3, 0
	v_cndmask_b32_e64 v0, 0, 1, vcc_lo
	s_delay_alu instid0(VALU_DEP_1) | instskip(NEXT) | instid1(VALU_DEP_1)
	v_lshlrev_b32_e32 v0, 8, v0
	v_ldexp_f64 v[0:1], v[8:9], v0
	s_delay_alu instid0(VALU_DEP_1) | instskip(SKIP_3) | instid1(VALU_DEP_1)
	v_rsq_f64_e32 v[2:3], v[0:1]
	s_waitcnt_depctr 0xfff
	v_mul_f64 v[8:9], v[0:1], v[2:3]
	v_mul_f64 v[2:3], v[2:3], 0.5
	v_fma_f64 v[10:11], -v[2:3], v[8:9], 0.5
	s_delay_alu instid0(VALU_DEP_1) | instskip(SKIP_1) | instid1(VALU_DEP_2)
	v_fma_f64 v[8:9], v[8:9], v[10:11], v[8:9]
	v_fma_f64 v[2:3], v[2:3], v[10:11], v[2:3]
	v_fma_f64 v[10:11], -v[8:9], v[8:9], v[0:1]
	s_delay_alu instid0(VALU_DEP_1) | instskip(NEXT) | instid1(VALU_DEP_1)
	v_fma_f64 v[8:9], v[10:11], v[2:3], v[8:9]
	v_fma_f64 v[10:11], -v[8:9], v[8:9], v[0:1]
	s_delay_alu instid0(VALU_DEP_1) | instskip(SKIP_3) | instid1(VALU_DEP_1)
	v_fma_f64 v[2:3], v[10:11], v[2:3], v[8:9]
	v_cndmask_b32_e64 v8, 0, 0xffffff80, vcc_lo
	v_cmp_class_f64_e64 vcc_lo, v[0:1], 0x260
	v_add_nc_u32_e32 v10, s2, v12
	v_ashrrev_i32_e32 v9, 31, v10
	s_delay_alu instid0(VALU_DEP_4) | instskip(SKIP_1) | instid1(VALU_DEP_1)
	v_ldexp_f64 v[2:3], v[2:3], v8
	v_add_co_u32 v8, s1, s4, v10
	v_add_co_ci_u32_e64 v9, s1, s5, v9, s1
	s_delay_alu instid0(VALU_DEP_3)
	v_dual_cndmask_b32 v1, v3, v1 :: v_dual_cndmask_b32 v0, v2, v0
	s_and_b32 vcc_lo, exec_lo, s0
	s_mov_b32 s0, -1
	s_cbranch_vccnz .LBB248_1755
; %bb.1678:
	v_cmp_lt_i16_e32 vcc_lo, 25, v13
	s_mov_b32 s6, -1
	s_mov_b32 s1, 0
	s_mov_b32 s0, 0
	s_cbranch_vccz .LBB248_1711
; %bb.1679:
	v_cmp_lt_i16_e32 vcc_lo, 28, v13
	s_cbranch_vccz .LBB248_1694
; %bb.1680:
	v_cmp_lt_i16_e32 vcc_lo, 43, v13
	;; [unrolled: 3-line block ×3, first 2 shown]
	s_cbranch_vccz .LBB248_1684
; %bb.1682:
	v_cmp_eq_u16_e32 vcc_lo, 46, v13
	s_mov_b32 s0, -1
	s_mov_b32 s6, 0
	s_cbranch_vccz .LBB248_1684
; %bb.1683:
	v_cvt_f32_f64_e32 v2, v[0:1]
	s_mov_b32 s0, 0
	s_mov_b32 s3, -1
	s_delay_alu instid0(VALU_DEP_1) | instskip(SKIP_1) | instid1(VALU_DEP_2)
	v_bfe_u32 v3, v2, 16, 1
	v_cmp_o_f32_e32 vcc_lo, v2, v2
	v_add3_u32 v3, v2, v3, 0x7fff
	s_delay_alu instid0(VALU_DEP_1) | instskip(NEXT) | instid1(VALU_DEP_1)
	v_lshrrev_b32_e32 v3, 16, v3
	v_cndmask_b32_e32 v2, 0x7fc0, v3, vcc_lo
	global_store_b32 v[8:9], v2, off
.LBB248_1684:
	s_and_b32 vcc_lo, exec_lo, s6
	s_cbranch_vccz .LBB248_1689
; %bb.1685:
	v_cmp_eq_u16_e32 vcc_lo, 44, v13
	s_mov_b32 s0, -1
	s_cbranch_vccz .LBB248_1689
; %bb.1686:
	v_cvt_f32_f64_e32 v2, v[0:1]
	v_mov_b32_e32 v3, 0xff
	s_mov_b32 s3, exec_lo
	s_delay_alu instid0(VALU_DEP_2) | instskip(NEXT) | instid1(VALU_DEP_1)
	v_bfe_u32 v11, v2, 23, 8
	v_cmpx_ne_u32_e32 0xff, v11
; %bb.1687:
	v_and_b32_e32 v3, 0x400000, v2
	v_and_or_b32 v11, 0x3fffff, v2, v11
	v_lshrrev_b32_e32 v2, 23, v2
	s_delay_alu instid0(VALU_DEP_3) | instskip(NEXT) | instid1(VALU_DEP_3)
	v_cmp_ne_u32_e32 vcc_lo, 0, v3
	v_cmp_ne_u32_e64 s0, 0, v11
	s_delay_alu instid0(VALU_DEP_1) | instskip(NEXT) | instid1(SALU_CYCLE_1)
	s_and_b32 s0, vcc_lo, s0
	v_cndmask_b32_e64 v3, 0, 1, s0
	s_delay_alu instid0(VALU_DEP_1)
	v_add_nc_u32_e32 v3, v2, v3
; %bb.1688:
	s_or_b32 exec_lo, exec_lo, s3
	s_mov_b32 s0, 0
	s_mov_b32 s3, -1
	global_store_b8 v[8:9], v3, off
.LBB248_1689:
	s_mov_b32 s6, 0
.LBB248_1690:
	s_delay_alu instid0(SALU_CYCLE_1)
	s_and_b32 vcc_lo, exec_lo, s6
	s_cbranch_vccz .LBB248_1693
; %bb.1691:
	v_cmp_eq_u16_e32 vcc_lo, 29, v13
	s_mov_b32 s0, -1
	s_cbranch_vccz .LBB248_1693
; %bb.1692:
	v_trunc_f64_e32 v[2:3], v[0:1]
	s_mov_b32 s0, 0
	s_mov_b32 s3, -1
	s_delay_alu instid0(VALU_DEP_1) | instskip(NEXT) | instid1(VALU_DEP_1)
	v_ldexp_f64 v[11:12], v[2:3], 0xffffffe0
	v_floor_f64_e32 v[11:12], v[11:12]
	s_delay_alu instid0(VALU_DEP_1) | instskip(SKIP_1) | instid1(VALU_DEP_2)
	v_fma_f64 v[2:3], 0xc1f00000, v[11:12], v[2:3]
	v_cvt_u32_f64_e32 v12, v[11:12]
	v_cvt_u32_f64_e32 v11, v[2:3]
	global_store_b64 v[8:9], v[11:12], off
.LBB248_1693:
	s_mov_b32 s6, 0
.LBB248_1694:
	s_delay_alu instid0(SALU_CYCLE_1)
	s_and_b32 vcc_lo, exec_lo, s6
	s_cbranch_vccz .LBB248_1710
; %bb.1695:
	v_cmp_gt_i16_e32 vcc_lo, 27, v13
	s_mov_b32 s3, -1
	s_cbranch_vccnz .LBB248_1701
; %bb.1696:
	v_cvt_u32_f64_e32 v2, v[0:1]
	v_cmp_lt_i16_e32 vcc_lo, 27, v13
	s_cbranch_vccz .LBB248_1698
; %bb.1697:
	s_mov_b32 s3, 0
	global_store_b32 v[8:9], v2, off
.LBB248_1698:
	s_and_not1_b32 vcc_lo, exec_lo, s3
	s_cbranch_vccnz .LBB248_1700
; %bb.1699:
	global_store_b16 v[8:9], v2, off
.LBB248_1700:
	s_mov_b32 s3, 0
.LBB248_1701:
	s_delay_alu instid0(SALU_CYCLE_1)
	s_and_not1_b32 vcc_lo, exec_lo, s3
	s_cbranch_vccnz .LBB248_1709
; %bb.1702:
	v_cvt_f32_f64_e32 v2, v[0:1]
	v_mov_b32_e32 v11, 0x80
	s_mov_b32 s3, exec_lo
	s_delay_alu instid0(VALU_DEP_2) | instskip(NEXT) | instid1(VALU_DEP_1)
	v_and_b32_e32 v3, 0x7fffffff, v2
	v_cmpx_gt_u32_e32 0x43800000, v3
	s_cbranch_execz .LBB248_1708
; %bb.1703:
	v_cmp_lt_u32_e32 vcc_lo, 0x3bffffff, v3
	s_mov_b32 s6, 0
                                        ; implicit-def: $vgpr3
	s_and_saveexec_b32 s7, vcc_lo
	s_delay_alu instid0(SALU_CYCLE_1)
	s_xor_b32 s7, exec_lo, s7
	s_cbranch_execz .LBB248_2044
; %bb.1704:
	v_bfe_u32 v3, v2, 20, 1
	s_mov_b32 s6, exec_lo
	s_delay_alu instid0(VALU_DEP_1) | instskip(NEXT) | instid1(VALU_DEP_1)
	v_add3_u32 v3, v2, v3, 0x487ffff
	v_lshrrev_b32_e32 v3, 20, v3
	s_or_saveexec_b32 s7, s7
                                        ; implicit-def: $sgpr11
	s_delay_alu instid0(SALU_CYCLE_1)
	s_xor_b32 exec_lo, exec_lo, s7
	s_cbranch_execnz .LBB248_2045
.LBB248_1705:
	s_or_b32 exec_lo, exec_lo, s7
	v_mov_b32_e32 v11, s11
	s_and_saveexec_b32 s7, s6
.LBB248_1706:
	v_lshrrev_b32_e32 v2, 24, v2
	s_delay_alu instid0(VALU_DEP_1)
	v_and_or_b32 v11, 0x80, v2, v3
.LBB248_1707:
	s_or_b32 exec_lo, exec_lo, s7
.LBB248_1708:
	s_delay_alu instid0(SALU_CYCLE_1)
	s_or_b32 exec_lo, exec_lo, s3
	global_store_b8 v[8:9], v11, off
.LBB248_1709:
	s_mov_b32 s3, -1
.LBB248_1710:
	s_mov_b32 s6, 0
.LBB248_1711:
	s_delay_alu instid0(SALU_CYCLE_1)
	s_and_b32 vcc_lo, exec_lo, s6
	s_cbranch_vccz .LBB248_1751
; %bb.1712:
	v_cmp_lt_i16_e32 vcc_lo, 22, v13
	s_mov_b32 s1, -1
	s_cbranch_vccz .LBB248_1744
; %bb.1713:
	v_cmp_gt_i16_e32 vcc_lo, 24, v13
	s_cbranch_vccnz .LBB248_1733
; %bb.1714:
	v_cmp_lt_i16_e32 vcc_lo, 24, v13
	s_cbranch_vccz .LBB248_1722
; %bb.1715:
	v_cvt_f32_f64_e32 v2, v[0:1]
	v_mov_b32_e32 v11, 0x80
	s_mov_b32 s1, exec_lo
	s_delay_alu instid0(VALU_DEP_2) | instskip(NEXT) | instid1(VALU_DEP_1)
	v_and_b32_e32 v3, 0x7fffffff, v2
	v_cmpx_gt_u32_e32 0x47800000, v3
	s_cbranch_execz .LBB248_1721
; %bb.1716:
	v_cmp_lt_u32_e32 vcc_lo, 0x37ffffff, v3
	s_mov_b32 s3, 0
                                        ; implicit-def: $vgpr3
	s_and_saveexec_b32 s6, vcc_lo
	s_delay_alu instid0(SALU_CYCLE_1)
	s_xor_b32 s6, exec_lo, s6
	s_cbranch_execz .LBB248_2050
; %bb.1717:
	v_bfe_u32 v3, v2, 21, 1
	s_mov_b32 s3, exec_lo
	s_delay_alu instid0(VALU_DEP_1) | instskip(NEXT) | instid1(VALU_DEP_1)
	v_add3_u32 v3, v2, v3, 0x88fffff
	v_lshrrev_b32_e32 v3, 21, v3
	s_or_saveexec_b32 s6, s6
                                        ; implicit-def: $sgpr7
	s_delay_alu instid0(SALU_CYCLE_1)
	s_xor_b32 exec_lo, exec_lo, s6
	s_cbranch_execnz .LBB248_2051
.LBB248_1718:
	s_or_b32 exec_lo, exec_lo, s6
	v_mov_b32_e32 v11, s7
	s_and_saveexec_b32 s6, s3
.LBB248_1719:
	v_lshrrev_b32_e32 v2, 24, v2
	s_delay_alu instid0(VALU_DEP_1)
	v_and_or_b32 v11, 0x80, v2, v3
.LBB248_1720:
	s_or_b32 exec_lo, exec_lo, s6
.LBB248_1721:
	s_delay_alu instid0(SALU_CYCLE_1)
	s_or_b32 exec_lo, exec_lo, s1
	s_mov_b32 s1, 0
	global_store_b8 v[8:9], v11, off
.LBB248_1722:
	s_and_b32 vcc_lo, exec_lo, s1
	s_cbranch_vccz .LBB248_1732
; %bb.1723:
	v_cvt_f32_f64_e32 v2, v[0:1]
	s_mov_b32 s1, exec_lo
                                        ; implicit-def: $vgpr3
	s_delay_alu instid0(VALU_DEP_1) | instskip(NEXT) | instid1(VALU_DEP_1)
	v_and_b32_e32 v11, 0x7fffffff, v2
	v_cmpx_gt_u32_e32 0x43f00000, v11
	s_xor_b32 s1, exec_lo, s1
	s_cbranch_execz .LBB248_1729
; %bb.1724:
	s_mov_b32 s3, exec_lo
                                        ; implicit-def: $vgpr3
	v_cmpx_lt_u32_e32 0x3c7fffff, v11
	s_xor_b32 s3, exec_lo, s3
; %bb.1725:
	v_bfe_u32 v3, v2, 20, 1
	s_delay_alu instid0(VALU_DEP_1) | instskip(NEXT) | instid1(VALU_DEP_1)
	v_add3_u32 v3, v2, v3, 0x407ffff
	v_and_b32_e32 v11, 0xff00000, v3
	v_lshrrev_b32_e32 v3, 20, v3
	s_delay_alu instid0(VALU_DEP_2) | instskip(NEXT) | instid1(VALU_DEP_2)
	v_cmp_ne_u32_e32 vcc_lo, 0x7f00000, v11
	v_cndmask_b32_e32 v3, 0x7e, v3, vcc_lo
; %bb.1726:
	s_and_not1_saveexec_b32 s3, s3
; %bb.1727:
	v_add_f32_e64 v3, 0x46800000, |v2|
; %bb.1728:
	s_or_b32 exec_lo, exec_lo, s3
                                        ; implicit-def: $vgpr11
.LBB248_1729:
	s_and_not1_saveexec_b32 s1, s1
; %bb.1730:
	v_mov_b32_e32 v3, 0x7f
	v_cmp_lt_u32_e32 vcc_lo, 0x7f800000, v11
	s_delay_alu instid0(VALU_DEP_2)
	v_cndmask_b32_e32 v3, 0x7e, v3, vcc_lo
; %bb.1731:
	s_or_b32 exec_lo, exec_lo, s1
	v_lshrrev_b32_e32 v2, 24, v2
	s_delay_alu instid0(VALU_DEP_1)
	v_and_or_b32 v2, 0x80, v2, v3
	global_store_b8 v[8:9], v2, off
.LBB248_1732:
	s_mov_b32 s1, 0
.LBB248_1733:
	s_delay_alu instid0(SALU_CYCLE_1)
	s_and_not1_b32 vcc_lo, exec_lo, s1
	s_cbranch_vccnz .LBB248_1743
; %bb.1734:
	v_cvt_f32_f64_e32 v2, v[0:1]
	s_mov_b32 s1, exec_lo
                                        ; implicit-def: $vgpr3
	s_delay_alu instid0(VALU_DEP_1) | instskip(NEXT) | instid1(VALU_DEP_1)
	v_and_b32_e32 v11, 0x7fffffff, v2
	v_cmpx_gt_u32_e32 0x47800000, v11
	s_xor_b32 s1, exec_lo, s1
	s_cbranch_execz .LBB248_1740
; %bb.1735:
	s_mov_b32 s3, exec_lo
                                        ; implicit-def: $vgpr3
	v_cmpx_lt_u32_e32 0x387fffff, v11
	s_xor_b32 s3, exec_lo, s3
; %bb.1736:
	v_bfe_u32 v3, v2, 21, 1
	s_delay_alu instid0(VALU_DEP_1) | instskip(NEXT) | instid1(VALU_DEP_1)
	v_add3_u32 v3, v2, v3, 0x80fffff
	v_lshrrev_b32_e32 v3, 21, v3
; %bb.1737:
	s_and_not1_saveexec_b32 s3, s3
; %bb.1738:
	v_add_f32_e64 v3, 0x43000000, |v2|
; %bb.1739:
	s_or_b32 exec_lo, exec_lo, s3
                                        ; implicit-def: $vgpr11
.LBB248_1740:
	s_and_not1_saveexec_b32 s1, s1
; %bb.1741:
	v_mov_b32_e32 v3, 0x7f
	v_cmp_lt_u32_e32 vcc_lo, 0x7f800000, v11
	s_delay_alu instid0(VALU_DEP_2)
	v_cndmask_b32_e32 v3, 0x7c, v3, vcc_lo
; %bb.1742:
	s_or_b32 exec_lo, exec_lo, s1
	v_lshrrev_b32_e32 v2, 24, v2
	s_delay_alu instid0(VALU_DEP_1)
	v_and_or_b32 v2, 0x80, v2, v3
	global_store_b8 v[8:9], v2, off
.LBB248_1743:
	s_mov_b32 s1, 0
	s_mov_b32 s3, -1
.LBB248_1744:
	s_and_not1_b32 vcc_lo, exec_lo, s1
	s_mov_b32 s1, 0
	s_cbranch_vccnz .LBB248_1751
; %bb.1745:
	v_cmp_lt_i16_e32 vcc_lo, 14, v13
	s_mov_b32 s1, -1
	s_cbranch_vccz .LBB248_1749
; %bb.1746:
	v_cmp_eq_u16_e32 vcc_lo, 15, v13
	s_mov_b32 s0, -1
	s_cbranch_vccz .LBB248_1748
; %bb.1747:
	v_cvt_f32_f64_e32 v2, v[0:1]
	s_mov_b32 s0, 0
	s_mov_b32 s3, -1
	s_delay_alu instid0(VALU_DEP_1) | instskip(SKIP_1) | instid1(VALU_DEP_2)
	v_bfe_u32 v3, v2, 16, 1
	v_cmp_o_f32_e32 vcc_lo, v2, v2
	v_add3_u32 v3, v2, v3, 0x7fff
	s_delay_alu instid0(VALU_DEP_1) | instskip(NEXT) | instid1(VALU_DEP_1)
	v_lshrrev_b32_e32 v3, 16, v3
	v_cndmask_b32_e32 v2, 0x7fc0, v3, vcc_lo
	global_store_b16 v[8:9], v2, off
.LBB248_1748:
	s_mov_b32 s1, 0
.LBB248_1749:
	s_delay_alu instid0(SALU_CYCLE_1)
	s_and_b32 vcc_lo, exec_lo, s1
	s_mov_b32 s1, 0
	s_cbranch_vccz .LBB248_1751
; %bb.1750:
	v_cmp_ne_u16_e64 s0, 11, v13
	s_mov_b32 s1, -1
.LBB248_1751:
	s_delay_alu instid0(VALU_DEP_1)
	s_and_b32 vcc_lo, exec_lo, s0
	s_cbranch_vccnz .LBB248_2048
; %bb.1752:
	s_and_not1_b32 vcc_lo, exec_lo, s1
	s_cbranch_vccnz .LBB248_1754
.LBB248_1753:
	v_cmp_neq_f64_e32 vcc_lo, 0, v[0:1]
	s_mov_b32 s3, -1
	v_cndmask_b32_e64 v2, 0, 1, vcc_lo
	global_store_b8 v[8:9], v2, off
.LBB248_1754:
	s_mov_b32 s0, 0
.LBB248_1755:
	s_delay_alu instid0(SALU_CYCLE_1)
	s_and_b32 vcc_lo, exec_lo, s0
	s_cbranch_vccz .LBB248_1794
; %bb.1756:
	v_cmp_gt_i16_e32 vcc_lo, 5, v13
	s_mov_b32 s0, -1
	s_cbranch_vccnz .LBB248_1777
; %bb.1757:
	v_cmp_gt_i16_e32 vcc_lo, 8, v13
	s_cbranch_vccnz .LBB248_1767
; %bb.1758:
	v_cmp_gt_i16_e32 vcc_lo, 9, v13
	s_cbranch_vccnz .LBB248_1764
; %bb.1759:
	v_cmp_lt_i16_e32 vcc_lo, 9, v13
	s_cbranch_vccz .LBB248_1761
; %bb.1760:
	v_mov_b32_e32 v2, 0
	s_mov_b32 s0, 0
	s_delay_alu instid0(VALU_DEP_1)
	v_mov_b32_e32 v3, v2
	global_store_b128 v[8:9], v[0:3], off
.LBB248_1761:
	s_and_not1_b32 vcc_lo, exec_lo, s0
	s_cbranch_vccnz .LBB248_1763
; %bb.1762:
	v_cvt_f32_f64_e32 v2, v[0:1]
	v_mov_b32_e32 v3, 0
	global_store_b64 v[8:9], v[2:3], off
.LBB248_1763:
	s_mov_b32 s0, 0
.LBB248_1764:
	s_delay_alu instid0(SALU_CYCLE_1)
	s_and_not1_b32 vcc_lo, exec_lo, s0
	s_cbranch_vccnz .LBB248_1766
; %bb.1765:
	v_cvt_f32_f64_e32 v2, v[0:1]
	s_delay_alu instid0(VALU_DEP_1) | instskip(NEXT) | instid1(VALU_DEP_1)
	v_cvt_f16_f32_e32 v2, v2
	v_and_b32_e32 v2, 0xffff, v2
	global_store_b32 v[8:9], v2, off
.LBB248_1766:
	s_mov_b32 s0, 0
.LBB248_1767:
	s_delay_alu instid0(SALU_CYCLE_1)
	s_and_not1_b32 vcc_lo, exec_lo, s0
	s_cbranch_vccnz .LBB248_1776
; %bb.1768:
	v_cmp_gt_i16_e32 vcc_lo, 6, v13
	s_mov_b32 s0, -1
	s_cbranch_vccnz .LBB248_1774
; %bb.1769:
	v_cmp_lt_i16_e32 vcc_lo, 6, v13
	s_cbranch_vccz .LBB248_1771
; %bb.1770:
	s_mov_b32 s0, 0
	global_store_b64 v[8:9], v[0:1], off
.LBB248_1771:
	s_and_not1_b32 vcc_lo, exec_lo, s0
	s_cbranch_vccnz .LBB248_1773
; %bb.1772:
	v_cvt_f32_f64_e32 v2, v[0:1]
	global_store_b32 v[8:9], v2, off
.LBB248_1773:
	s_mov_b32 s0, 0
.LBB248_1774:
	s_delay_alu instid0(SALU_CYCLE_1)
	s_and_not1_b32 vcc_lo, exec_lo, s0
	s_cbranch_vccnz .LBB248_1776
; %bb.1775:
	v_cvt_f32_f64_e32 v2, v[0:1]
	s_delay_alu instid0(VALU_DEP_1)
	v_cvt_f16_f32_e32 v2, v2
	global_store_b16 v[8:9], v2, off
.LBB248_1776:
	s_mov_b32 s0, 0
.LBB248_1777:
	s_delay_alu instid0(SALU_CYCLE_1)
	s_and_not1_b32 vcc_lo, exec_lo, s0
	s_cbranch_vccnz .LBB248_1793
; %bb.1778:
	v_cmp_gt_i16_e32 vcc_lo, 2, v13
	s_mov_b32 s0, -1
	s_cbranch_vccnz .LBB248_1788
; %bb.1779:
	v_cmp_gt_i16_e32 vcc_lo, 3, v13
	s_cbranch_vccnz .LBB248_1785
; %bb.1780:
	v_cmp_lt_i16_e32 vcc_lo, 3, v13
	s_cbranch_vccz .LBB248_1782
; %bb.1781:
	v_trunc_f64_e32 v[2:3], v[0:1]
	s_mov_b32 s0, 0
	s_delay_alu instid0(VALU_DEP_1) | instskip(NEXT) | instid1(VALU_DEP_1)
	v_ldexp_f64 v[11:12], v[2:3], 0xffffffe0
	v_floor_f64_e32 v[11:12], v[11:12]
	s_delay_alu instid0(VALU_DEP_1) | instskip(SKIP_1) | instid1(VALU_DEP_2)
	v_fma_f64 v[2:3], 0xc1f00000, v[11:12], v[2:3]
	v_cvt_i32_f64_e32 v12, v[11:12]
	v_cvt_u32_f64_e32 v11, v[2:3]
	global_store_b64 v[8:9], v[11:12], off
.LBB248_1782:
	s_and_not1_b32 vcc_lo, exec_lo, s0
	s_cbranch_vccnz .LBB248_1784
; %bb.1783:
	v_cvt_i32_f64_e32 v2, v[0:1]
	global_store_b32 v[8:9], v2, off
.LBB248_1784:
	s_mov_b32 s0, 0
.LBB248_1785:
	s_delay_alu instid0(SALU_CYCLE_1)
	s_and_not1_b32 vcc_lo, exec_lo, s0
	s_cbranch_vccnz .LBB248_1787
; %bb.1786:
	v_cvt_i32_f64_e32 v2, v[0:1]
	global_store_b16 v[8:9], v2, off
.LBB248_1787:
	s_mov_b32 s0, 0
.LBB248_1788:
	s_delay_alu instid0(SALU_CYCLE_1)
	s_and_not1_b32 vcc_lo, exec_lo, s0
	s_cbranch_vccnz .LBB248_1793
; %bb.1789:
	v_cmp_lt_i16_e32 vcc_lo, 0, v13
	s_mov_b32 s0, -1
	s_cbranch_vccz .LBB248_1791
; %bb.1790:
	v_cvt_i32_f64_e32 v2, v[0:1]
	s_mov_b32 s0, 0
	global_store_b8 v[8:9], v2, off
.LBB248_1791:
	s_and_not1_b32 vcc_lo, exec_lo, s0
	s_cbranch_vccnz .LBB248_1793
; %bb.1792:
	v_trunc_f64_e32 v[0:1], v[0:1]
	s_delay_alu instid0(VALU_DEP_1) | instskip(NEXT) | instid1(VALU_DEP_1)
	v_ldexp_f64 v[2:3], v[0:1], 0xffffffe0
	v_floor_f64_e32 v[2:3], v[2:3]
	s_delay_alu instid0(VALU_DEP_1) | instskip(NEXT) | instid1(VALU_DEP_1)
	v_fma_f64 v[0:1], 0xc1f00000, v[2:3], v[0:1]
	v_cvt_u32_f64_e32 v0, v[0:1]
	global_store_b8 v[8:9], v0, off
.LBB248_1793:
	s_mov_b32 s3, -1
.LBB248_1794:
	s_delay_alu instid0(SALU_CYCLE_1)
	s_and_not1_b32 vcc_lo, exec_lo, s3
	s_cbranch_vccnz .LBB248_1989
; %bb.1795:
	v_cmp_gt_f64_e32 vcc_lo, 0x10000000, v[6:7]
	v_cmp_gt_i16_e64 s0, 11, v13
	s_mov_b32 s3, 0
	v_cndmask_b32_e64 v0, 0, 1, vcc_lo
	s_delay_alu instid0(VALU_DEP_1) | instskip(NEXT) | instid1(VALU_DEP_1)
	v_lshlrev_b32_e32 v0, 8, v0
	v_ldexp_f64 v[0:1], v[6:7], v0
	s_delay_alu instid0(VALU_DEP_1) | instskip(SKIP_3) | instid1(VALU_DEP_1)
	v_rsq_f64_e32 v[2:3], v[0:1]
	s_waitcnt_depctr 0xfff
	v_mul_f64 v[6:7], v[0:1], v[2:3]
	v_mul_f64 v[2:3], v[2:3], 0.5
	v_fma_f64 v[8:9], -v[2:3], v[6:7], 0.5
	s_delay_alu instid0(VALU_DEP_1) | instskip(SKIP_1) | instid1(VALU_DEP_2)
	v_fma_f64 v[6:7], v[6:7], v[8:9], v[6:7]
	v_fma_f64 v[2:3], v[2:3], v[8:9], v[2:3]
	v_fma_f64 v[8:9], -v[6:7], v[6:7], v[0:1]
	s_delay_alu instid0(VALU_DEP_1) | instskip(NEXT) | instid1(VALU_DEP_1)
	v_fma_f64 v[6:7], v[8:9], v[2:3], v[6:7]
	v_fma_f64 v[8:9], -v[6:7], v[6:7], v[0:1]
	s_delay_alu instid0(VALU_DEP_1) | instskip(SKIP_3) | instid1(VALU_DEP_1)
	v_fma_f64 v[2:3], v[8:9], v[2:3], v[6:7]
	v_cndmask_b32_e64 v6, 0, 0xffffff80, vcc_lo
	v_cmp_class_f64_e64 vcc_lo, v[0:1], 0x260
	v_add_nc_u32_e32 v8, s2, v10
	v_ashrrev_i32_e32 v7, 31, v8
	s_delay_alu instid0(VALU_DEP_4) | instskip(SKIP_1) | instid1(VALU_DEP_1)
	v_ldexp_f64 v[2:3], v[2:3], v6
	v_add_co_u32 v6, s1, s4, v8
	v_add_co_ci_u32_e64 v7, s1, s5, v7, s1
	s_delay_alu instid0(VALU_DEP_3)
	v_dual_cndmask_b32 v1, v3, v1 :: v_dual_cndmask_b32 v0, v2, v0
	s_and_b32 vcc_lo, exec_lo, s0
	s_mov_b32 s0, -1
	s_cbranch_vccnz .LBB248_1873
; %bb.1796:
	v_cmp_lt_i16_e32 vcc_lo, 25, v13
	s_mov_b32 s6, -1
	s_mov_b32 s1, 0
	s_mov_b32 s0, 0
	s_cbranch_vccz .LBB248_1829
; %bb.1797:
	v_cmp_lt_i16_e32 vcc_lo, 28, v13
	s_cbranch_vccz .LBB248_1812
; %bb.1798:
	v_cmp_lt_i16_e32 vcc_lo, 43, v13
	;; [unrolled: 3-line block ×3, first 2 shown]
	s_cbranch_vccz .LBB248_1802
; %bb.1800:
	v_cmp_eq_u16_e32 vcc_lo, 46, v13
	s_mov_b32 s0, -1
	s_mov_b32 s6, 0
	s_cbranch_vccz .LBB248_1802
; %bb.1801:
	v_cvt_f32_f64_e32 v2, v[0:1]
	s_mov_b32 s0, 0
	s_mov_b32 s3, -1
	s_delay_alu instid0(VALU_DEP_1) | instskip(SKIP_1) | instid1(VALU_DEP_2)
	v_bfe_u32 v3, v2, 16, 1
	v_cmp_o_f32_e32 vcc_lo, v2, v2
	v_add3_u32 v3, v2, v3, 0x7fff
	s_delay_alu instid0(VALU_DEP_1) | instskip(NEXT) | instid1(VALU_DEP_1)
	v_lshrrev_b32_e32 v3, 16, v3
	v_cndmask_b32_e32 v2, 0x7fc0, v3, vcc_lo
	global_store_b32 v[6:7], v2, off
.LBB248_1802:
	s_and_b32 vcc_lo, exec_lo, s6
	s_cbranch_vccz .LBB248_1807
; %bb.1803:
	v_cmp_eq_u16_e32 vcc_lo, 44, v13
	s_mov_b32 s0, -1
	s_cbranch_vccz .LBB248_1807
; %bb.1804:
	v_cvt_f32_f64_e32 v2, v[0:1]
	v_mov_b32_e32 v3, 0xff
	s_mov_b32 s3, exec_lo
	s_delay_alu instid0(VALU_DEP_2) | instskip(NEXT) | instid1(VALU_DEP_1)
	v_bfe_u32 v9, v2, 23, 8
	v_cmpx_ne_u32_e32 0xff, v9
; %bb.1805:
	v_and_b32_e32 v3, 0x400000, v2
	v_and_or_b32 v9, 0x3fffff, v2, v9
	v_lshrrev_b32_e32 v2, 23, v2
	s_delay_alu instid0(VALU_DEP_3) | instskip(NEXT) | instid1(VALU_DEP_3)
	v_cmp_ne_u32_e32 vcc_lo, 0, v3
	v_cmp_ne_u32_e64 s0, 0, v9
	s_delay_alu instid0(VALU_DEP_1) | instskip(NEXT) | instid1(SALU_CYCLE_1)
	s_and_b32 s0, vcc_lo, s0
	v_cndmask_b32_e64 v3, 0, 1, s0
	s_delay_alu instid0(VALU_DEP_1)
	v_add_nc_u32_e32 v3, v2, v3
; %bb.1806:
	s_or_b32 exec_lo, exec_lo, s3
	s_mov_b32 s0, 0
	s_mov_b32 s3, -1
	global_store_b8 v[6:7], v3, off
.LBB248_1807:
	s_mov_b32 s6, 0
.LBB248_1808:
	s_delay_alu instid0(SALU_CYCLE_1)
	s_and_b32 vcc_lo, exec_lo, s6
	s_cbranch_vccz .LBB248_1811
; %bb.1809:
	v_cmp_eq_u16_e32 vcc_lo, 29, v13
	s_mov_b32 s0, -1
	s_cbranch_vccz .LBB248_1811
; %bb.1810:
	v_trunc_f64_e32 v[2:3], v[0:1]
	s_mov_b32 s0, 0
	s_mov_b32 s3, -1
	s_delay_alu instid0(VALU_DEP_1) | instskip(NEXT) | instid1(VALU_DEP_1)
	v_ldexp_f64 v[9:10], v[2:3], 0xffffffe0
	v_floor_f64_e32 v[9:10], v[9:10]
	s_delay_alu instid0(VALU_DEP_1) | instskip(SKIP_1) | instid1(VALU_DEP_2)
	v_fma_f64 v[2:3], 0xc1f00000, v[9:10], v[2:3]
	v_cvt_u32_f64_e32 v10, v[9:10]
	v_cvt_u32_f64_e32 v9, v[2:3]
	global_store_b64 v[6:7], v[9:10], off
.LBB248_1811:
	s_mov_b32 s6, 0
.LBB248_1812:
	s_delay_alu instid0(SALU_CYCLE_1)
	s_and_b32 vcc_lo, exec_lo, s6
	s_cbranch_vccz .LBB248_1828
; %bb.1813:
	v_cmp_gt_i16_e32 vcc_lo, 27, v13
	s_mov_b32 s3, -1
	s_cbranch_vccnz .LBB248_1819
; %bb.1814:
	v_cvt_u32_f64_e32 v2, v[0:1]
	v_cmp_lt_i16_e32 vcc_lo, 27, v13
	s_cbranch_vccz .LBB248_1816
; %bb.1815:
	s_mov_b32 s3, 0
	global_store_b32 v[6:7], v2, off
.LBB248_1816:
	s_and_not1_b32 vcc_lo, exec_lo, s3
	s_cbranch_vccnz .LBB248_1818
; %bb.1817:
	global_store_b16 v[6:7], v2, off
.LBB248_1818:
	s_mov_b32 s3, 0
.LBB248_1819:
	s_delay_alu instid0(SALU_CYCLE_1)
	s_and_not1_b32 vcc_lo, exec_lo, s3
	s_cbranch_vccnz .LBB248_1827
; %bb.1820:
	v_cvt_f32_f64_e32 v2, v[0:1]
	v_mov_b32_e32 v9, 0x80
	s_mov_b32 s3, exec_lo
	s_delay_alu instid0(VALU_DEP_2) | instskip(NEXT) | instid1(VALU_DEP_1)
	v_and_b32_e32 v3, 0x7fffffff, v2
	v_cmpx_gt_u32_e32 0x43800000, v3
	s_cbranch_execz .LBB248_1826
; %bb.1821:
	v_cmp_lt_u32_e32 vcc_lo, 0x3bffffff, v3
	s_mov_b32 s6, 0
                                        ; implicit-def: $vgpr3
	s_and_saveexec_b32 s7, vcc_lo
	s_delay_alu instid0(SALU_CYCLE_1)
	s_xor_b32 s7, exec_lo, s7
	s_cbranch_execz .LBB248_2052
; %bb.1822:
	v_bfe_u32 v3, v2, 20, 1
	s_mov_b32 s6, exec_lo
	s_delay_alu instid0(VALU_DEP_1) | instskip(NEXT) | instid1(VALU_DEP_1)
	v_add3_u32 v3, v2, v3, 0x487ffff
	v_lshrrev_b32_e32 v3, 20, v3
	s_or_saveexec_b32 s7, s7
                                        ; implicit-def: $sgpr11
	s_delay_alu instid0(SALU_CYCLE_1)
	s_xor_b32 exec_lo, exec_lo, s7
	s_cbranch_execnz .LBB248_2053
.LBB248_1823:
	s_or_b32 exec_lo, exec_lo, s7
	v_mov_b32_e32 v9, s11
	s_and_saveexec_b32 s7, s6
.LBB248_1824:
	v_lshrrev_b32_e32 v2, 24, v2
	s_delay_alu instid0(VALU_DEP_1)
	v_and_or_b32 v9, 0x80, v2, v3
.LBB248_1825:
	s_or_b32 exec_lo, exec_lo, s7
.LBB248_1826:
	s_delay_alu instid0(SALU_CYCLE_1)
	s_or_b32 exec_lo, exec_lo, s3
	global_store_b8 v[6:7], v9, off
.LBB248_1827:
	s_mov_b32 s3, -1
.LBB248_1828:
	s_mov_b32 s6, 0
.LBB248_1829:
	s_delay_alu instid0(SALU_CYCLE_1)
	s_and_b32 vcc_lo, exec_lo, s6
	s_cbranch_vccz .LBB248_1869
; %bb.1830:
	v_cmp_lt_i16_e32 vcc_lo, 22, v13
	s_mov_b32 s1, -1
	s_cbranch_vccz .LBB248_1862
; %bb.1831:
	v_cmp_gt_i16_e32 vcc_lo, 24, v13
	s_cbranch_vccnz .LBB248_1851
; %bb.1832:
	v_cmp_lt_i16_e32 vcc_lo, 24, v13
	s_cbranch_vccz .LBB248_1840
; %bb.1833:
	v_cvt_f32_f64_e32 v2, v[0:1]
	v_mov_b32_e32 v9, 0x80
	s_mov_b32 s1, exec_lo
	s_delay_alu instid0(VALU_DEP_2) | instskip(NEXT) | instid1(VALU_DEP_1)
	v_and_b32_e32 v3, 0x7fffffff, v2
	v_cmpx_gt_u32_e32 0x47800000, v3
	s_cbranch_execz .LBB248_1839
; %bb.1834:
	v_cmp_lt_u32_e32 vcc_lo, 0x37ffffff, v3
	s_mov_b32 s3, 0
                                        ; implicit-def: $vgpr3
	s_and_saveexec_b32 s6, vcc_lo
	s_delay_alu instid0(SALU_CYCLE_1)
	s_xor_b32 s6, exec_lo, s6
	s_cbranch_execz .LBB248_2058
; %bb.1835:
	v_bfe_u32 v3, v2, 21, 1
	s_mov_b32 s3, exec_lo
	s_delay_alu instid0(VALU_DEP_1) | instskip(NEXT) | instid1(VALU_DEP_1)
	v_add3_u32 v3, v2, v3, 0x88fffff
	v_lshrrev_b32_e32 v3, 21, v3
	s_or_saveexec_b32 s6, s6
                                        ; implicit-def: $sgpr7
	s_delay_alu instid0(SALU_CYCLE_1)
	s_xor_b32 exec_lo, exec_lo, s6
	s_cbranch_execnz .LBB248_2059
.LBB248_1836:
	s_or_b32 exec_lo, exec_lo, s6
	v_mov_b32_e32 v9, s7
	s_and_saveexec_b32 s6, s3
.LBB248_1837:
	v_lshrrev_b32_e32 v2, 24, v2
	s_delay_alu instid0(VALU_DEP_1)
	v_and_or_b32 v9, 0x80, v2, v3
.LBB248_1838:
	s_or_b32 exec_lo, exec_lo, s6
.LBB248_1839:
	s_delay_alu instid0(SALU_CYCLE_1)
	s_or_b32 exec_lo, exec_lo, s1
	s_mov_b32 s1, 0
	global_store_b8 v[6:7], v9, off
.LBB248_1840:
	s_and_b32 vcc_lo, exec_lo, s1
	s_cbranch_vccz .LBB248_1850
; %bb.1841:
	v_cvt_f32_f64_e32 v2, v[0:1]
	s_mov_b32 s1, exec_lo
                                        ; implicit-def: $vgpr3
	s_delay_alu instid0(VALU_DEP_1) | instskip(NEXT) | instid1(VALU_DEP_1)
	v_and_b32_e32 v9, 0x7fffffff, v2
	v_cmpx_gt_u32_e32 0x43f00000, v9
	s_xor_b32 s1, exec_lo, s1
	s_cbranch_execz .LBB248_1847
; %bb.1842:
	s_mov_b32 s3, exec_lo
                                        ; implicit-def: $vgpr3
	v_cmpx_lt_u32_e32 0x3c7fffff, v9
	s_xor_b32 s3, exec_lo, s3
; %bb.1843:
	v_bfe_u32 v3, v2, 20, 1
	s_delay_alu instid0(VALU_DEP_1) | instskip(NEXT) | instid1(VALU_DEP_1)
	v_add3_u32 v3, v2, v3, 0x407ffff
	v_and_b32_e32 v9, 0xff00000, v3
	v_lshrrev_b32_e32 v3, 20, v3
	s_delay_alu instid0(VALU_DEP_2) | instskip(NEXT) | instid1(VALU_DEP_2)
	v_cmp_ne_u32_e32 vcc_lo, 0x7f00000, v9
	v_cndmask_b32_e32 v3, 0x7e, v3, vcc_lo
; %bb.1844:
	s_and_not1_saveexec_b32 s3, s3
; %bb.1845:
	v_add_f32_e64 v3, 0x46800000, |v2|
; %bb.1846:
	s_or_b32 exec_lo, exec_lo, s3
                                        ; implicit-def: $vgpr9
.LBB248_1847:
	s_and_not1_saveexec_b32 s1, s1
; %bb.1848:
	v_mov_b32_e32 v3, 0x7f
	v_cmp_lt_u32_e32 vcc_lo, 0x7f800000, v9
	s_delay_alu instid0(VALU_DEP_2)
	v_cndmask_b32_e32 v3, 0x7e, v3, vcc_lo
; %bb.1849:
	s_or_b32 exec_lo, exec_lo, s1
	v_lshrrev_b32_e32 v2, 24, v2
	s_delay_alu instid0(VALU_DEP_1)
	v_and_or_b32 v2, 0x80, v2, v3
	global_store_b8 v[6:7], v2, off
.LBB248_1850:
	s_mov_b32 s1, 0
.LBB248_1851:
	s_delay_alu instid0(SALU_CYCLE_1)
	s_and_not1_b32 vcc_lo, exec_lo, s1
	s_cbranch_vccnz .LBB248_1861
; %bb.1852:
	v_cvt_f32_f64_e32 v2, v[0:1]
	s_mov_b32 s1, exec_lo
                                        ; implicit-def: $vgpr3
	s_delay_alu instid0(VALU_DEP_1) | instskip(NEXT) | instid1(VALU_DEP_1)
	v_and_b32_e32 v9, 0x7fffffff, v2
	v_cmpx_gt_u32_e32 0x47800000, v9
	s_xor_b32 s1, exec_lo, s1
	s_cbranch_execz .LBB248_1858
; %bb.1853:
	s_mov_b32 s3, exec_lo
                                        ; implicit-def: $vgpr3
	v_cmpx_lt_u32_e32 0x387fffff, v9
	s_xor_b32 s3, exec_lo, s3
; %bb.1854:
	v_bfe_u32 v3, v2, 21, 1
	s_delay_alu instid0(VALU_DEP_1) | instskip(NEXT) | instid1(VALU_DEP_1)
	v_add3_u32 v3, v2, v3, 0x80fffff
	v_lshrrev_b32_e32 v3, 21, v3
; %bb.1855:
	s_and_not1_saveexec_b32 s3, s3
; %bb.1856:
	v_add_f32_e64 v3, 0x43000000, |v2|
; %bb.1857:
	s_or_b32 exec_lo, exec_lo, s3
                                        ; implicit-def: $vgpr9
.LBB248_1858:
	s_and_not1_saveexec_b32 s1, s1
; %bb.1859:
	v_mov_b32_e32 v3, 0x7f
	v_cmp_lt_u32_e32 vcc_lo, 0x7f800000, v9
	s_delay_alu instid0(VALU_DEP_2)
	v_cndmask_b32_e32 v3, 0x7c, v3, vcc_lo
; %bb.1860:
	s_or_b32 exec_lo, exec_lo, s1
	v_lshrrev_b32_e32 v2, 24, v2
	s_delay_alu instid0(VALU_DEP_1)
	v_and_or_b32 v2, 0x80, v2, v3
	global_store_b8 v[6:7], v2, off
.LBB248_1861:
	s_mov_b32 s1, 0
	s_mov_b32 s3, -1
.LBB248_1862:
	s_and_not1_b32 vcc_lo, exec_lo, s1
	s_mov_b32 s1, 0
	s_cbranch_vccnz .LBB248_1869
; %bb.1863:
	v_cmp_lt_i16_e32 vcc_lo, 14, v13
	s_mov_b32 s1, -1
	s_cbranch_vccz .LBB248_1867
; %bb.1864:
	v_cmp_eq_u16_e32 vcc_lo, 15, v13
	s_mov_b32 s0, -1
	s_cbranch_vccz .LBB248_1866
; %bb.1865:
	v_cvt_f32_f64_e32 v2, v[0:1]
	s_mov_b32 s0, 0
	s_mov_b32 s3, -1
	s_delay_alu instid0(VALU_DEP_1) | instskip(SKIP_1) | instid1(VALU_DEP_2)
	v_bfe_u32 v3, v2, 16, 1
	v_cmp_o_f32_e32 vcc_lo, v2, v2
	v_add3_u32 v3, v2, v3, 0x7fff
	s_delay_alu instid0(VALU_DEP_1) | instskip(NEXT) | instid1(VALU_DEP_1)
	v_lshrrev_b32_e32 v3, 16, v3
	v_cndmask_b32_e32 v2, 0x7fc0, v3, vcc_lo
	global_store_b16 v[6:7], v2, off
.LBB248_1866:
	s_mov_b32 s1, 0
.LBB248_1867:
	s_delay_alu instid0(SALU_CYCLE_1)
	s_and_b32 vcc_lo, exec_lo, s1
	s_mov_b32 s1, 0
	s_cbranch_vccz .LBB248_1869
; %bb.1868:
	v_cmp_ne_u16_e64 s0, 11, v13
	s_mov_b32 s1, -1
.LBB248_1869:
	s_delay_alu instid0(VALU_DEP_1)
	s_and_b32 vcc_lo, exec_lo, s0
	s_cbranch_vccnz .LBB248_2056
; %bb.1870:
	s_and_not1_b32 vcc_lo, exec_lo, s1
	s_cbranch_vccnz .LBB248_1872
.LBB248_1871:
	v_cmp_neq_f64_e32 vcc_lo, 0, v[0:1]
	s_mov_b32 s3, -1
	v_cndmask_b32_e64 v2, 0, 1, vcc_lo
	global_store_b8 v[6:7], v2, off
.LBB248_1872:
	s_mov_b32 s0, 0
.LBB248_1873:
	s_delay_alu instid0(SALU_CYCLE_1)
	s_and_b32 vcc_lo, exec_lo, s0
	s_cbranch_vccz .LBB248_1912
; %bb.1874:
	v_cmp_gt_i16_e32 vcc_lo, 5, v13
	s_mov_b32 s0, -1
	s_cbranch_vccnz .LBB248_1895
; %bb.1875:
	v_cmp_gt_i16_e32 vcc_lo, 8, v13
	s_cbranch_vccnz .LBB248_1885
; %bb.1876:
	v_cmp_gt_i16_e32 vcc_lo, 9, v13
	s_cbranch_vccnz .LBB248_1882
; %bb.1877:
	v_cmp_lt_i16_e32 vcc_lo, 9, v13
	s_cbranch_vccz .LBB248_1879
; %bb.1878:
	v_mov_b32_e32 v2, 0
	s_mov_b32 s0, 0
	s_delay_alu instid0(VALU_DEP_1)
	v_mov_b32_e32 v3, v2
	global_store_b128 v[6:7], v[0:3], off
.LBB248_1879:
	s_and_not1_b32 vcc_lo, exec_lo, s0
	s_cbranch_vccnz .LBB248_1881
; %bb.1880:
	v_cvt_f32_f64_e32 v2, v[0:1]
	v_mov_b32_e32 v3, 0
	global_store_b64 v[6:7], v[2:3], off
.LBB248_1881:
	s_mov_b32 s0, 0
.LBB248_1882:
	s_delay_alu instid0(SALU_CYCLE_1)
	s_and_not1_b32 vcc_lo, exec_lo, s0
	s_cbranch_vccnz .LBB248_1884
; %bb.1883:
	v_cvt_f32_f64_e32 v2, v[0:1]
	s_delay_alu instid0(VALU_DEP_1) | instskip(NEXT) | instid1(VALU_DEP_1)
	v_cvt_f16_f32_e32 v2, v2
	v_and_b32_e32 v2, 0xffff, v2
	global_store_b32 v[6:7], v2, off
.LBB248_1884:
	s_mov_b32 s0, 0
.LBB248_1885:
	s_delay_alu instid0(SALU_CYCLE_1)
	s_and_not1_b32 vcc_lo, exec_lo, s0
	s_cbranch_vccnz .LBB248_1894
; %bb.1886:
	v_cmp_gt_i16_e32 vcc_lo, 6, v13
	s_mov_b32 s0, -1
	s_cbranch_vccnz .LBB248_1892
; %bb.1887:
	v_cmp_lt_i16_e32 vcc_lo, 6, v13
	s_cbranch_vccz .LBB248_1889
; %bb.1888:
	s_mov_b32 s0, 0
	global_store_b64 v[6:7], v[0:1], off
.LBB248_1889:
	s_and_not1_b32 vcc_lo, exec_lo, s0
	s_cbranch_vccnz .LBB248_1891
; %bb.1890:
	v_cvt_f32_f64_e32 v2, v[0:1]
	global_store_b32 v[6:7], v2, off
.LBB248_1891:
	s_mov_b32 s0, 0
.LBB248_1892:
	s_delay_alu instid0(SALU_CYCLE_1)
	s_and_not1_b32 vcc_lo, exec_lo, s0
	s_cbranch_vccnz .LBB248_1894
; %bb.1893:
	v_cvt_f32_f64_e32 v2, v[0:1]
	s_delay_alu instid0(VALU_DEP_1)
	v_cvt_f16_f32_e32 v2, v2
	global_store_b16 v[6:7], v2, off
.LBB248_1894:
	s_mov_b32 s0, 0
.LBB248_1895:
	s_delay_alu instid0(SALU_CYCLE_1)
	s_and_not1_b32 vcc_lo, exec_lo, s0
	s_cbranch_vccnz .LBB248_1911
; %bb.1896:
	v_cmp_gt_i16_e32 vcc_lo, 2, v13
	s_mov_b32 s0, -1
	s_cbranch_vccnz .LBB248_1906
; %bb.1897:
	v_cmp_gt_i16_e32 vcc_lo, 3, v13
	s_cbranch_vccnz .LBB248_1903
; %bb.1898:
	v_cmp_lt_i16_e32 vcc_lo, 3, v13
	s_cbranch_vccz .LBB248_1900
; %bb.1899:
	v_trunc_f64_e32 v[2:3], v[0:1]
	s_mov_b32 s0, 0
	s_delay_alu instid0(VALU_DEP_1) | instskip(NEXT) | instid1(VALU_DEP_1)
	v_ldexp_f64 v[9:10], v[2:3], 0xffffffe0
	v_floor_f64_e32 v[9:10], v[9:10]
	s_delay_alu instid0(VALU_DEP_1) | instskip(SKIP_1) | instid1(VALU_DEP_2)
	v_fma_f64 v[2:3], 0xc1f00000, v[9:10], v[2:3]
	v_cvt_i32_f64_e32 v10, v[9:10]
	v_cvt_u32_f64_e32 v9, v[2:3]
	global_store_b64 v[6:7], v[9:10], off
.LBB248_1900:
	s_and_not1_b32 vcc_lo, exec_lo, s0
	s_cbranch_vccnz .LBB248_1902
; %bb.1901:
	v_cvt_i32_f64_e32 v2, v[0:1]
	global_store_b32 v[6:7], v2, off
.LBB248_1902:
	s_mov_b32 s0, 0
.LBB248_1903:
	s_delay_alu instid0(SALU_CYCLE_1)
	s_and_not1_b32 vcc_lo, exec_lo, s0
	s_cbranch_vccnz .LBB248_1905
; %bb.1904:
	v_cvt_i32_f64_e32 v2, v[0:1]
	global_store_b16 v[6:7], v2, off
.LBB248_1905:
	s_mov_b32 s0, 0
.LBB248_1906:
	s_delay_alu instid0(SALU_CYCLE_1)
	s_and_not1_b32 vcc_lo, exec_lo, s0
	s_cbranch_vccnz .LBB248_1911
; %bb.1907:
	v_cmp_lt_i16_e32 vcc_lo, 0, v13
	s_mov_b32 s0, -1
	s_cbranch_vccz .LBB248_1909
; %bb.1908:
	v_cvt_i32_f64_e32 v2, v[0:1]
	s_mov_b32 s0, 0
	global_store_b8 v[6:7], v2, off
.LBB248_1909:
	s_and_not1_b32 vcc_lo, exec_lo, s0
	s_cbranch_vccnz .LBB248_1911
; %bb.1910:
	v_trunc_f64_e32 v[0:1], v[0:1]
	s_delay_alu instid0(VALU_DEP_1) | instskip(NEXT) | instid1(VALU_DEP_1)
	v_ldexp_f64 v[2:3], v[0:1], 0xffffffe0
	v_floor_f64_e32 v[2:3], v[2:3]
	s_delay_alu instid0(VALU_DEP_1) | instskip(NEXT) | instid1(VALU_DEP_1)
	v_fma_f64 v[0:1], 0xc1f00000, v[2:3], v[0:1]
	v_cvt_u32_f64_e32 v0, v[0:1]
	global_store_b8 v[6:7], v0, off
.LBB248_1911:
	s_mov_b32 s3, -1
.LBB248_1912:
	s_delay_alu instid0(SALU_CYCLE_1)
	s_and_not1_b32 vcc_lo, exec_lo, s3
	s_cbranch_vccnz .LBB248_1989
; %bb.1913:
	v_cmp_gt_f64_e32 vcc_lo, 0x10000000, v[4:5]
	v_cmp_gt_i16_e64 s0, 11, v13
	v_cndmask_b32_e64 v0, 0, 1, vcc_lo
	s_delay_alu instid0(VALU_DEP_1) | instskip(NEXT) | instid1(VALU_DEP_1)
	v_lshlrev_b32_e32 v0, 8, v0
	v_ldexp_f64 v[0:1], v[4:5], v0
	s_delay_alu instid0(VALU_DEP_1) | instskip(SKIP_3) | instid1(VALU_DEP_1)
	v_rsq_f64_e32 v[2:3], v[0:1]
	s_waitcnt_depctr 0xfff
	v_mul_f64 v[4:5], v[0:1], v[2:3]
	v_mul_f64 v[2:3], v[2:3], 0.5
	v_fma_f64 v[6:7], -v[2:3], v[4:5], 0.5
	s_delay_alu instid0(VALU_DEP_1) | instskip(SKIP_1) | instid1(VALU_DEP_2)
	v_fma_f64 v[4:5], v[4:5], v[6:7], v[4:5]
	v_fma_f64 v[2:3], v[2:3], v[6:7], v[2:3]
	v_fma_f64 v[6:7], -v[4:5], v[4:5], v[0:1]
	s_delay_alu instid0(VALU_DEP_1) | instskip(NEXT) | instid1(VALU_DEP_1)
	v_fma_f64 v[4:5], v[6:7], v[2:3], v[4:5]
	v_fma_f64 v[6:7], -v[4:5], v[4:5], v[0:1]
	s_delay_alu instid0(VALU_DEP_1) | instskip(SKIP_2) | instid1(VALU_DEP_2)
	v_fma_f64 v[2:3], v[6:7], v[2:3], v[4:5]
	v_cndmask_b32_e64 v4, 0, 0xffffff80, vcc_lo
	v_cmp_class_f64_e64 vcc_lo, v[0:1], 0x260
	v_ldexp_f64 v[2:3], v[2:3], v4
	v_add_nc_u32_e32 v4, s2, v8
	s_mov_b32 s2, 0
	s_delay_alu instid0(VALU_DEP_1) | instskip(SKIP_1) | instid1(VALU_DEP_1)
	v_ashrrev_i32_e32 v5, 31, v4
	v_add_co_u32 v4, s1, s4, v4
	v_add_co_ci_u32_e64 v5, s1, s5, v5, s1
	v_dual_cndmask_b32 v1, v3, v1 :: v_dual_cndmask_b32 v0, v2, v0
	s_and_b32 vcc_lo, exec_lo, s0
	s_mov_b32 s0, -1
	s_cbranch_vccnz .LBB248_1990
; %bb.1914:
	v_cmp_lt_i16_e32 vcc_lo, 25, v13
	s_mov_b32 s1, -1
	s_mov_b32 s0, 0
	s_cbranch_vccz .LBB248_1947
; %bb.1915:
	v_cmp_lt_i16_e32 vcc_lo, 28, v13
	s_cbranch_vccz .LBB248_1931
; %bb.1916:
	v_cmp_lt_i16_e32 vcc_lo, 43, v13
	;; [unrolled: 3-line block ×3, first 2 shown]
	s_cbranch_vccz .LBB248_1921
; %bb.1918:
	v_cmp_eq_u16_e32 vcc_lo, 46, v13
	s_mov_b32 s0, -1
	s_cbranch_vccz .LBB248_1920
; %bb.1919:
	v_cvt_f32_f64_e32 v2, v[0:1]
	s_mov_b32 s0, 0
	s_delay_alu instid0(VALU_DEP_1) | instskip(SKIP_1) | instid1(VALU_DEP_2)
	v_bfe_u32 v3, v2, 16, 1
	v_cmp_o_f32_e32 vcc_lo, v2, v2
	v_add3_u32 v3, v2, v3, 0x7fff
	s_delay_alu instid0(VALU_DEP_1) | instskip(NEXT) | instid1(VALU_DEP_1)
	v_lshrrev_b32_e32 v3, 16, v3
	v_cndmask_b32_e32 v2, 0x7fc0, v3, vcc_lo
	global_store_b32 v[4:5], v2, off
.LBB248_1920:
	s_mov_b32 s1, 0
.LBB248_1921:
	s_delay_alu instid0(SALU_CYCLE_1)
	s_and_b32 vcc_lo, exec_lo, s1
	s_cbranch_vccz .LBB248_1926
; %bb.1922:
	v_cmp_eq_u16_e32 vcc_lo, 44, v13
	s_mov_b32 s0, -1
	s_cbranch_vccz .LBB248_1926
; %bb.1923:
	v_cvt_f32_f64_e32 v2, v[0:1]
	v_mov_b32_e32 v3, 0xff
	s_mov_b32 s1, exec_lo
	s_delay_alu instid0(VALU_DEP_2) | instskip(NEXT) | instid1(VALU_DEP_1)
	v_bfe_u32 v6, v2, 23, 8
	v_cmpx_ne_u32_e32 0xff, v6
; %bb.1924:
	v_and_b32_e32 v3, 0x400000, v2
	v_and_or_b32 v6, 0x3fffff, v2, v6
	v_lshrrev_b32_e32 v2, 23, v2
	s_delay_alu instid0(VALU_DEP_3) | instskip(NEXT) | instid1(VALU_DEP_3)
	v_cmp_ne_u32_e32 vcc_lo, 0, v3
	v_cmp_ne_u32_e64 s0, 0, v6
	s_delay_alu instid0(VALU_DEP_1) | instskip(NEXT) | instid1(SALU_CYCLE_1)
	s_and_b32 s0, vcc_lo, s0
	v_cndmask_b32_e64 v3, 0, 1, s0
	s_delay_alu instid0(VALU_DEP_1)
	v_add_nc_u32_e32 v3, v2, v3
; %bb.1925:
	s_or_b32 exec_lo, exec_lo, s1
	s_mov_b32 s0, 0
	global_store_b8 v[4:5], v3, off
.LBB248_1926:
	s_mov_b32 s1, 0
.LBB248_1927:
	s_delay_alu instid0(SALU_CYCLE_1)
	s_and_b32 vcc_lo, exec_lo, s1
	s_cbranch_vccz .LBB248_1930
; %bb.1928:
	v_cmp_eq_u16_e32 vcc_lo, 29, v13
	s_mov_b32 s0, -1
	s_cbranch_vccz .LBB248_1930
; %bb.1929:
	v_trunc_f64_e32 v[2:3], v[0:1]
	s_mov_b32 s0, 0
	s_delay_alu instid0(VALU_DEP_1) | instskip(NEXT) | instid1(VALU_DEP_1)
	v_ldexp_f64 v[6:7], v[2:3], 0xffffffe0
	v_floor_f64_e32 v[6:7], v[6:7]
	s_delay_alu instid0(VALU_DEP_1) | instskip(SKIP_1) | instid1(VALU_DEP_2)
	v_fma_f64 v[2:3], 0xc1f00000, v[6:7], v[2:3]
	v_cvt_u32_f64_e32 v7, v[6:7]
	v_cvt_u32_f64_e32 v6, v[2:3]
	global_store_b64 v[4:5], v[6:7], off
.LBB248_1930:
	s_mov_b32 s1, 0
.LBB248_1931:
	s_delay_alu instid0(SALU_CYCLE_1)
	s_and_b32 vcc_lo, exec_lo, s1
	s_cbranch_vccz .LBB248_1946
; %bb.1932:
	v_cmp_gt_i16_e32 vcc_lo, 27, v13
	s_mov_b32 s1, -1
	s_cbranch_vccnz .LBB248_1938
; %bb.1933:
	v_cvt_u32_f64_e32 v2, v[0:1]
	v_cmp_lt_i16_e32 vcc_lo, 27, v13
	s_cbranch_vccz .LBB248_1935
; %bb.1934:
	s_mov_b32 s1, 0
	global_store_b32 v[4:5], v2, off
.LBB248_1935:
	s_and_not1_b32 vcc_lo, exec_lo, s1
	s_cbranch_vccnz .LBB248_1937
; %bb.1936:
	global_store_b16 v[4:5], v2, off
.LBB248_1937:
	s_mov_b32 s1, 0
.LBB248_1938:
	s_delay_alu instid0(SALU_CYCLE_1)
	s_and_not1_b32 vcc_lo, exec_lo, s1
	s_cbranch_vccnz .LBB248_1946
; %bb.1939:
	v_cvt_f32_f64_e32 v2, v[0:1]
	v_mov_b32_e32 v6, 0x80
	s_mov_b32 s1, exec_lo
	s_delay_alu instid0(VALU_DEP_2) | instskip(NEXT) | instid1(VALU_DEP_1)
	v_and_b32_e32 v3, 0x7fffffff, v2
	v_cmpx_gt_u32_e32 0x43800000, v3
	s_cbranch_execz .LBB248_1945
; %bb.1940:
	v_cmp_lt_u32_e32 vcc_lo, 0x3bffffff, v3
	s_mov_b32 s3, 0
                                        ; implicit-def: $vgpr3
	s_and_saveexec_b32 s4, vcc_lo
	s_delay_alu instid0(SALU_CYCLE_1)
	s_xor_b32 s4, exec_lo, s4
	s_cbranch_execz .LBB248_2060
; %bb.1941:
	v_bfe_u32 v3, v2, 20, 1
	s_mov_b32 s3, exec_lo
	s_delay_alu instid0(VALU_DEP_1) | instskip(NEXT) | instid1(VALU_DEP_1)
	v_add3_u32 v3, v2, v3, 0x487ffff
	v_lshrrev_b32_e32 v3, 20, v3
	s_or_saveexec_b32 s4, s4
                                        ; implicit-def: $sgpr5
	s_delay_alu instid0(SALU_CYCLE_1)
	s_xor_b32 exec_lo, exec_lo, s4
	s_cbranch_execnz .LBB248_2061
.LBB248_1942:
	s_or_b32 exec_lo, exec_lo, s4
	v_mov_b32_e32 v6, s5
	s_and_saveexec_b32 s4, s3
.LBB248_1943:
	v_lshrrev_b32_e32 v2, 24, v2
	s_delay_alu instid0(VALU_DEP_1)
	v_and_or_b32 v6, 0x80, v2, v3
.LBB248_1944:
	s_or_b32 exec_lo, exec_lo, s4
.LBB248_1945:
	s_delay_alu instid0(SALU_CYCLE_1)
	s_or_b32 exec_lo, exec_lo, s1
	global_store_b8 v[4:5], v6, off
.LBB248_1946:
	s_mov_b32 s1, 0
.LBB248_1947:
	s_delay_alu instid0(SALU_CYCLE_1)
	s_and_b32 vcc_lo, exec_lo, s1
	s_cbranch_vccz .LBB248_1987
; %bb.1948:
	v_cmp_lt_i16_e32 vcc_lo, 22, v13
	s_mov_b32 s1, -1
	s_cbranch_vccz .LBB248_1980
; %bb.1949:
	v_cmp_gt_i16_e32 vcc_lo, 24, v13
	s_cbranch_vccnz .LBB248_1969
; %bb.1950:
	v_cmp_lt_i16_e32 vcc_lo, 24, v13
	s_cbranch_vccz .LBB248_1958
; %bb.1951:
	v_cvt_f32_f64_e32 v2, v[0:1]
	v_mov_b32_e32 v6, 0x80
	s_mov_b32 s1, exec_lo
	s_delay_alu instid0(VALU_DEP_2) | instskip(NEXT) | instid1(VALU_DEP_1)
	v_and_b32_e32 v3, 0x7fffffff, v2
	v_cmpx_gt_u32_e32 0x47800000, v3
	s_cbranch_execz .LBB248_1957
; %bb.1952:
	v_cmp_lt_u32_e32 vcc_lo, 0x37ffffff, v3
                                        ; implicit-def: $vgpr3
	s_and_saveexec_b32 s3, vcc_lo
	s_delay_alu instid0(SALU_CYCLE_1)
	s_xor_b32 s3, exec_lo, s3
	s_cbranch_execz .LBB248_2066
; %bb.1953:
	v_bfe_u32 v3, v2, 21, 1
	s_mov_b32 s2, exec_lo
	s_delay_alu instid0(VALU_DEP_1) | instskip(NEXT) | instid1(VALU_DEP_1)
	v_add3_u32 v3, v2, v3, 0x88fffff
	v_lshrrev_b32_e32 v3, 21, v3
	s_or_saveexec_b32 s3, s3
                                        ; implicit-def: $sgpr4
	s_delay_alu instid0(SALU_CYCLE_1)
	s_xor_b32 exec_lo, exec_lo, s3
	s_cbranch_execnz .LBB248_2067
.LBB248_1954:
	s_or_b32 exec_lo, exec_lo, s3
	v_mov_b32_e32 v6, s4
	s_and_saveexec_b32 s3, s2
.LBB248_1955:
	v_lshrrev_b32_e32 v2, 24, v2
	s_delay_alu instid0(VALU_DEP_1)
	v_and_or_b32 v6, 0x80, v2, v3
.LBB248_1956:
	s_or_b32 exec_lo, exec_lo, s3
.LBB248_1957:
	s_delay_alu instid0(SALU_CYCLE_1)
	s_or_b32 exec_lo, exec_lo, s1
	s_mov_b32 s1, 0
	global_store_b8 v[4:5], v6, off
.LBB248_1958:
	s_and_b32 vcc_lo, exec_lo, s1
	s_cbranch_vccz .LBB248_1968
; %bb.1959:
	v_cvt_f32_f64_e32 v2, v[0:1]
	s_mov_b32 s1, exec_lo
                                        ; implicit-def: $vgpr3
	s_delay_alu instid0(VALU_DEP_1) | instskip(NEXT) | instid1(VALU_DEP_1)
	v_and_b32_e32 v6, 0x7fffffff, v2
	v_cmpx_gt_u32_e32 0x43f00000, v6
	s_xor_b32 s1, exec_lo, s1
	s_cbranch_execz .LBB248_1965
; %bb.1960:
	s_mov_b32 s2, exec_lo
                                        ; implicit-def: $vgpr3
	v_cmpx_lt_u32_e32 0x3c7fffff, v6
	s_xor_b32 s2, exec_lo, s2
; %bb.1961:
	v_bfe_u32 v3, v2, 20, 1
	s_delay_alu instid0(VALU_DEP_1) | instskip(NEXT) | instid1(VALU_DEP_1)
	v_add3_u32 v3, v2, v3, 0x407ffff
	v_and_b32_e32 v6, 0xff00000, v3
	v_lshrrev_b32_e32 v3, 20, v3
	s_delay_alu instid0(VALU_DEP_2) | instskip(NEXT) | instid1(VALU_DEP_2)
	v_cmp_ne_u32_e32 vcc_lo, 0x7f00000, v6
	v_cndmask_b32_e32 v3, 0x7e, v3, vcc_lo
; %bb.1962:
	s_and_not1_saveexec_b32 s2, s2
; %bb.1963:
	v_add_f32_e64 v3, 0x46800000, |v2|
; %bb.1964:
	s_or_b32 exec_lo, exec_lo, s2
                                        ; implicit-def: $vgpr6
.LBB248_1965:
	s_and_not1_saveexec_b32 s1, s1
; %bb.1966:
	v_mov_b32_e32 v3, 0x7f
	v_cmp_lt_u32_e32 vcc_lo, 0x7f800000, v6
	s_delay_alu instid0(VALU_DEP_2)
	v_cndmask_b32_e32 v3, 0x7e, v3, vcc_lo
; %bb.1967:
	s_or_b32 exec_lo, exec_lo, s1
	v_lshrrev_b32_e32 v2, 24, v2
	s_delay_alu instid0(VALU_DEP_1)
	v_and_or_b32 v2, 0x80, v2, v3
	global_store_b8 v[4:5], v2, off
.LBB248_1968:
	s_mov_b32 s1, 0
.LBB248_1969:
	s_delay_alu instid0(SALU_CYCLE_1)
	s_and_not1_b32 vcc_lo, exec_lo, s1
	s_cbranch_vccnz .LBB248_1979
; %bb.1970:
	v_cvt_f32_f64_e32 v2, v[0:1]
	s_mov_b32 s1, exec_lo
                                        ; implicit-def: $vgpr3
	s_delay_alu instid0(VALU_DEP_1) | instskip(NEXT) | instid1(VALU_DEP_1)
	v_and_b32_e32 v6, 0x7fffffff, v2
	v_cmpx_gt_u32_e32 0x47800000, v6
	s_xor_b32 s1, exec_lo, s1
	s_cbranch_execz .LBB248_1976
; %bb.1971:
	s_mov_b32 s2, exec_lo
                                        ; implicit-def: $vgpr3
	v_cmpx_lt_u32_e32 0x387fffff, v6
	s_xor_b32 s2, exec_lo, s2
; %bb.1972:
	v_bfe_u32 v3, v2, 21, 1
	s_delay_alu instid0(VALU_DEP_1) | instskip(NEXT) | instid1(VALU_DEP_1)
	v_add3_u32 v3, v2, v3, 0x80fffff
	v_lshrrev_b32_e32 v3, 21, v3
; %bb.1973:
	s_and_not1_saveexec_b32 s2, s2
; %bb.1974:
	v_add_f32_e64 v3, 0x43000000, |v2|
; %bb.1975:
	s_or_b32 exec_lo, exec_lo, s2
                                        ; implicit-def: $vgpr6
.LBB248_1976:
	s_and_not1_saveexec_b32 s1, s1
; %bb.1977:
	v_mov_b32_e32 v3, 0x7f
	v_cmp_lt_u32_e32 vcc_lo, 0x7f800000, v6
	s_delay_alu instid0(VALU_DEP_2)
	v_cndmask_b32_e32 v3, 0x7c, v3, vcc_lo
; %bb.1978:
	s_or_b32 exec_lo, exec_lo, s1
	v_lshrrev_b32_e32 v2, 24, v2
	s_delay_alu instid0(VALU_DEP_1)
	v_and_or_b32 v2, 0x80, v2, v3
	global_store_b8 v[4:5], v2, off
.LBB248_1979:
	s_mov_b32 s1, 0
.LBB248_1980:
	s_delay_alu instid0(SALU_CYCLE_1)
	s_and_not1_b32 vcc_lo, exec_lo, s1
	s_mov_b32 s2, 0
	s_cbranch_vccnz .LBB248_1987
; %bb.1981:
	v_cmp_lt_i16_e32 vcc_lo, 14, v13
	s_mov_b32 s1, -1
	s_cbranch_vccz .LBB248_1985
; %bb.1982:
	v_cmp_eq_u16_e32 vcc_lo, 15, v13
	s_mov_b32 s0, -1
	s_cbranch_vccz .LBB248_1984
; %bb.1983:
	v_cvt_f32_f64_e32 v2, v[0:1]
	s_mov_b32 s0, 0
	s_delay_alu instid0(VALU_DEP_1) | instskip(SKIP_1) | instid1(VALU_DEP_2)
	v_bfe_u32 v3, v2, 16, 1
	v_cmp_o_f32_e32 vcc_lo, v2, v2
	v_add3_u32 v3, v2, v3, 0x7fff
	s_delay_alu instid0(VALU_DEP_1) | instskip(NEXT) | instid1(VALU_DEP_1)
	v_lshrrev_b32_e32 v3, 16, v3
	v_cndmask_b32_e32 v2, 0x7fc0, v3, vcc_lo
	global_store_b16 v[4:5], v2, off
.LBB248_1984:
	s_mov_b32 s1, 0
.LBB248_1985:
	s_delay_alu instid0(SALU_CYCLE_1)
	s_and_b32 vcc_lo, exec_lo, s1
	s_cbranch_vccz .LBB248_1987
; %bb.1986:
	v_cmp_ne_u16_e64 s0, 11, v13
	s_mov_b32 s2, -1
.LBB248_1987:
	s_delay_alu instid0(VALU_DEP_1)
	s_and_b32 vcc_lo, exec_lo, s0
	s_cbranch_vccnz .LBB248_2064
.LBB248_1988:
	s_mov_b32 s0, 0
	s_branch .LBB248_1990
.LBB248_1989:
	s_mov_b32 s0, 0
	s_mov_b32 s2, 0
                                        ; implicit-def: $vgpr13
                                        ; implicit-def: $vgpr4_vgpr5
                                        ; implicit-def: $vgpr0_vgpr1
.LBB248_1990:
	s_and_not1_b32 s1, s10, exec_lo
	s_and_b32 s3, s8, exec_lo
	s_and_b32 s0, s0, exec_lo
	;; [unrolled: 1-line block ×3, first 2 shown]
	s_or_b32 s10, s1, s3
.LBB248_1991:
	s_or_b32 exec_lo, exec_lo, s9
	s_and_saveexec_b32 s1, s10
	s_cbranch_execz .LBB248_1994
; %bb.1992:
	; divergent unreachable
	s_or_b32 exec_lo, exec_lo, s1
	s_and_saveexec_b32 s1, s8
	s_delay_alu instid0(SALU_CYCLE_1)
	s_xor_b32 s1, exec_lo, s1
	s_cbranch_execnz .LBB248_1995
.LBB248_1993:
	s_or_b32 exec_lo, exec_lo, s1
	s_and_saveexec_b32 s1, s0
	s_cbranch_execnz .LBB248_1996
	s_branch .LBB248_2033
.LBB248_1994:
	s_or_b32 exec_lo, exec_lo, s1
	s_and_saveexec_b32 s1, s8
	s_delay_alu instid0(SALU_CYCLE_1)
	s_xor_b32 s1, exec_lo, s1
	s_cbranch_execz .LBB248_1993
.LBB248_1995:
	s_waitcnt vmcnt(0)
	s_delay_alu instid0(VALU_DEP_1)
	v_cmp_neq_f64_e32 vcc_lo, 0, v[0:1]
	v_cndmask_b32_e64 v2, 0, 1, vcc_lo
	global_store_b8 v[4:5], v2, off
	s_or_b32 exec_lo, exec_lo, s1
	s_and_saveexec_b32 s1, s0
	s_cbranch_execz .LBB248_2033
.LBB248_1996:
	v_cmp_gt_i16_e32 vcc_lo, 5, v13
	s_mov_b32 s0, -1
	s_cbranch_vccnz .LBB248_2017
; %bb.1997:
	v_cmp_gt_i16_e32 vcc_lo, 8, v13
	s_cbranch_vccnz .LBB248_2007
; %bb.1998:
	v_cmp_gt_i16_e32 vcc_lo, 9, v13
	s_cbranch_vccnz .LBB248_2004
; %bb.1999:
	v_cmp_lt_i16_e32 vcc_lo, 9, v13
	s_cbranch_vccz .LBB248_2001
; %bb.2000:
	s_waitcnt vmcnt(0)
	v_mov_b32_e32 v2, 0
	s_mov_b32 s0, 0
	s_delay_alu instid0(VALU_DEP_1)
	v_mov_b32_e32 v3, v2
	global_store_b128 v[4:5], v[0:3], off
.LBB248_2001:
	s_and_not1_b32 vcc_lo, exec_lo, s0
	s_cbranch_vccnz .LBB248_2003
; %bb.2002:
	s_waitcnt vmcnt(0)
	v_cvt_f32_f64_e32 v2, v[0:1]
	v_mov_b32_e32 v3, 0
	global_store_b64 v[4:5], v[2:3], off
.LBB248_2003:
	s_mov_b32 s0, 0
.LBB248_2004:
	s_delay_alu instid0(SALU_CYCLE_1)
	s_and_not1_b32 vcc_lo, exec_lo, s0
	s_cbranch_vccnz .LBB248_2006
; %bb.2005:
	s_waitcnt vmcnt(0)
	v_cvt_f32_f64_e32 v2, v[0:1]
	s_delay_alu instid0(VALU_DEP_1) | instskip(NEXT) | instid1(VALU_DEP_1)
	v_cvt_f16_f32_e32 v2, v2
	v_and_b32_e32 v2, 0xffff, v2
	global_store_b32 v[4:5], v2, off
.LBB248_2006:
	s_mov_b32 s0, 0
.LBB248_2007:
	s_delay_alu instid0(SALU_CYCLE_1)
	s_and_not1_b32 vcc_lo, exec_lo, s0
	s_cbranch_vccnz .LBB248_2016
; %bb.2008:
	v_cmp_gt_i16_e32 vcc_lo, 6, v13
	s_mov_b32 s0, -1
	s_cbranch_vccnz .LBB248_2014
; %bb.2009:
	v_cmp_lt_i16_e32 vcc_lo, 6, v13
	s_cbranch_vccz .LBB248_2011
; %bb.2010:
	s_mov_b32 s0, 0
	s_waitcnt vmcnt(0)
	global_store_b64 v[4:5], v[0:1], off
.LBB248_2011:
	s_and_not1_b32 vcc_lo, exec_lo, s0
	s_cbranch_vccnz .LBB248_2013
; %bb.2012:
	s_waitcnt vmcnt(0)
	v_cvt_f32_f64_e32 v2, v[0:1]
	global_store_b32 v[4:5], v2, off
.LBB248_2013:
	s_mov_b32 s0, 0
.LBB248_2014:
	s_delay_alu instid0(SALU_CYCLE_1)
	s_and_not1_b32 vcc_lo, exec_lo, s0
	s_cbranch_vccnz .LBB248_2016
; %bb.2015:
	s_waitcnt vmcnt(0)
	v_cvt_f32_f64_e32 v2, v[0:1]
	s_delay_alu instid0(VALU_DEP_1)
	v_cvt_f16_f32_e32 v2, v2
	global_store_b16 v[4:5], v2, off
.LBB248_2016:
	s_mov_b32 s0, 0
.LBB248_2017:
	s_delay_alu instid0(SALU_CYCLE_1)
	s_and_not1_b32 vcc_lo, exec_lo, s0
	s_cbranch_vccnz .LBB248_2033
; %bb.2018:
	v_cmp_gt_i16_e32 vcc_lo, 2, v13
	s_mov_b32 s0, -1
	s_cbranch_vccnz .LBB248_2028
; %bb.2019:
	v_cmp_gt_i16_e32 vcc_lo, 3, v13
	s_cbranch_vccnz .LBB248_2025
; %bb.2020:
	v_cmp_lt_i16_e32 vcc_lo, 3, v13
	s_cbranch_vccz .LBB248_2022
; %bb.2021:
	s_waitcnt vmcnt(0)
	v_trunc_f64_e32 v[2:3], v[0:1]
	s_mov_b32 s0, 0
	s_delay_alu instid0(VALU_DEP_1) | instskip(NEXT) | instid1(VALU_DEP_1)
	v_ldexp_f64 v[6:7], v[2:3], 0xffffffe0
	v_floor_f64_e32 v[6:7], v[6:7]
	s_delay_alu instid0(VALU_DEP_1) | instskip(SKIP_1) | instid1(VALU_DEP_2)
	v_fma_f64 v[2:3], 0xc1f00000, v[6:7], v[2:3]
	v_cvt_i32_f64_e32 v7, v[6:7]
	v_cvt_u32_f64_e32 v6, v[2:3]
	global_store_b64 v[4:5], v[6:7], off
.LBB248_2022:
	s_and_not1_b32 vcc_lo, exec_lo, s0
	s_cbranch_vccnz .LBB248_2024
; %bb.2023:
	s_waitcnt vmcnt(0)
	v_cvt_i32_f64_e32 v2, v[0:1]
	global_store_b32 v[4:5], v2, off
.LBB248_2024:
	s_mov_b32 s0, 0
.LBB248_2025:
	s_delay_alu instid0(SALU_CYCLE_1)
	s_and_not1_b32 vcc_lo, exec_lo, s0
	s_cbranch_vccnz .LBB248_2027
; %bb.2026:
	s_waitcnt vmcnt(0)
	v_cvt_i32_f64_e32 v2, v[0:1]
	global_store_b16 v[4:5], v2, off
.LBB248_2027:
	s_mov_b32 s0, 0
.LBB248_2028:
	s_delay_alu instid0(SALU_CYCLE_1)
	s_and_not1_b32 vcc_lo, exec_lo, s0
	s_cbranch_vccnz .LBB248_2033
; %bb.2029:
	v_cmp_lt_i16_e32 vcc_lo, 0, v13
	s_mov_b32 s0, -1
	s_cbranch_vccz .LBB248_2031
; %bb.2030:
	s_waitcnt vmcnt(0)
	v_cvt_i32_f64_e32 v2, v[0:1]
	s_mov_b32 s0, 0
	global_store_b8 v[4:5], v2, off
.LBB248_2031:
	s_and_not1_b32 vcc_lo, exec_lo, s0
	s_cbranch_vccnz .LBB248_2033
; %bb.2032:
	s_waitcnt vmcnt(0)
	v_trunc_f64_e32 v[0:1], v[0:1]
	s_delay_alu instid0(VALU_DEP_1) | instskip(NEXT) | instid1(VALU_DEP_1)
	v_ldexp_f64 v[2:3], v[0:1], 0xffffffe0
	v_floor_f64_e32 v[2:3], v[2:3]
	s_delay_alu instid0(VALU_DEP_1) | instskip(NEXT) | instid1(VALU_DEP_1)
	v_fma_f64 v[0:1], 0xc1f00000, v[2:3], v[0:1]
	v_cvt_u32_f64_e32 v0, v[0:1]
	global_store_b8 v[4:5], v0, off
	s_nop 0
	s_sendmsg sendmsg(MSG_DEALLOC_VGPRS)
	s_endpgm
.LBB248_2033:
	s_nop 0
	s_sendmsg sendmsg(MSG_DEALLOC_VGPRS)
	s_endpgm
.LBB248_2034:
	s_cbranch_execnz .LBB248_2038
; %bb.2035:
	s_or_b32 s8, s8, exec_lo
                                        ; implicit-def: $vgpr4_vgpr5
	s_cbranch_execz .LBB248_1507
	s_branch .LBB248_1508
.LBB248_2036:
	s_or_saveexec_b32 s7, s7
                                        ; implicit-def: $sgpr11
	s_delay_alu instid0(SALU_CYCLE_1)
	s_xor_b32 exec_lo, exec_lo, s7
	s_cbranch_execz .LBB248_1587
.LBB248_2037:
	v_add_f32_e64 v3, 0x46000000, |v2|
	s_and_not1_b32 s6, s6, exec_lo
	s_mov_b32 s11, 0
	s_delay_alu instid0(VALU_DEP_1) | instskip(NEXT) | instid1(VALU_DEP_1)
	v_and_b32_e32 v3, 0xff, v3
	v_cmp_ne_u32_e32 vcc_lo, 0, v3
	s_and_b32 s12, vcc_lo, exec_lo
	s_delay_alu instid0(SALU_CYCLE_1)
	s_or_b32 s6, s6, s12
	s_or_b32 exec_lo, exec_lo, s7
	v_mov_b32_e32 v14, s11
	s_and_saveexec_b32 s7, s6
	s_cbranch_execnz .LBB248_1588
	s_branch .LBB248_1589
.LBB248_2038:
	s_trap 2
	s_sendmsg_rtn_b32 s0, sendmsg(MSG_RTN_GET_DOORBELL)
	s_mov_b32 ttmp2, m0
	s_waitcnt lgkmcnt(0)
	s_and_b32 s0, s0, 0x3ff
	s_delay_alu instid0(SALU_CYCLE_1) | instskip(NEXT) | instid1(SALU_CYCLE_1)
	s_bitset1_b32 s0, 10
	s_mov_b32 m0, s0
	s_sendmsg sendmsg(MSG_INTERRUPT)
	s_mov_b32 m0, ttmp2
.LBB248_2039:                           ; =>This Inner Loop Header: Depth=1
	s_sethalt 5
	s_branch .LBB248_2039
.LBB248_2040:
	s_cbranch_execnz .LBB248_2046
; %bb.2041:
	s_or_b32 s8, s8, exec_lo
	s_cbranch_execz .LBB248_1635
	s_branch .LBB248_1636
.LBB248_2042:
	s_or_saveexec_b32 s6, s6
                                        ; implicit-def: $sgpr7
	s_delay_alu instid0(SALU_CYCLE_1)
	s_xor_b32 exec_lo, exec_lo, s6
	s_cbranch_execz .LBB248_1600
.LBB248_2043:
	v_add_f32_e64 v3, 0x42800000, |v2|
	s_and_not1_b32 s3, s3, exec_lo
	s_mov_b32 s7, 0
	s_delay_alu instid0(VALU_DEP_1) | instskip(NEXT) | instid1(VALU_DEP_1)
	v_and_b32_e32 v3, 0xff, v3
	v_cmp_ne_u32_e32 vcc_lo, 0, v3
	s_and_b32 s11, vcc_lo, exec_lo
	s_delay_alu instid0(SALU_CYCLE_1)
	s_or_b32 s3, s3, s11
	s_or_b32 exec_lo, exec_lo, s6
	v_mov_b32_e32 v14, s7
	s_and_saveexec_b32 s6, s3
	s_cbranch_execnz .LBB248_1601
	s_branch .LBB248_1602
.LBB248_2044:
	s_or_saveexec_b32 s7, s7
                                        ; implicit-def: $sgpr11
	s_delay_alu instid0(SALU_CYCLE_1)
	s_xor_b32 exec_lo, exec_lo, s7
	s_cbranch_execz .LBB248_1705
.LBB248_2045:
	v_add_f32_e64 v3, 0x46000000, |v2|
	s_and_not1_b32 s6, s6, exec_lo
	s_mov_b32 s11, 0
	s_delay_alu instid0(VALU_DEP_1) | instskip(NEXT) | instid1(VALU_DEP_1)
	v_and_b32_e32 v3, 0xff, v3
	v_cmp_ne_u32_e32 vcc_lo, 0, v3
	s_and_b32 s12, vcc_lo, exec_lo
	s_delay_alu instid0(SALU_CYCLE_1)
	s_or_b32 s6, s6, s12
	s_or_b32 exec_lo, exec_lo, s7
	v_mov_b32_e32 v11, s11
	s_and_saveexec_b32 s7, s6
	s_cbranch_execnz .LBB248_1706
	s_branch .LBB248_1707
.LBB248_2046:
	s_trap 2
	s_sendmsg_rtn_b32 s0, sendmsg(MSG_RTN_GET_DOORBELL)
	s_mov_b32 ttmp2, m0
	s_waitcnt lgkmcnt(0)
	s_and_b32 s0, s0, 0x3ff
	s_delay_alu instid0(SALU_CYCLE_1) | instskip(NEXT) | instid1(SALU_CYCLE_1)
	s_bitset1_b32 s0, 10
	s_mov_b32 m0, s0
	s_sendmsg sendmsg(MSG_INTERRUPT)
	s_mov_b32 m0, ttmp2
.LBB248_2047:                           ; =>This Inner Loop Header: Depth=1
	s_sethalt 5
	s_branch .LBB248_2047
.LBB248_2048:
	s_cbranch_execnz .LBB248_2054
; %bb.2049:
	s_or_b32 s8, s8, exec_lo
	s_cbranch_execz .LBB248_1753
	s_branch .LBB248_1754
.LBB248_2050:
	s_or_saveexec_b32 s6, s6
                                        ; implicit-def: $sgpr7
	s_delay_alu instid0(SALU_CYCLE_1)
	s_xor_b32 exec_lo, exec_lo, s6
	s_cbranch_execz .LBB248_1718
.LBB248_2051:
	v_add_f32_e64 v3, 0x42800000, |v2|
	s_and_not1_b32 s3, s3, exec_lo
	s_mov_b32 s7, 0
	s_delay_alu instid0(VALU_DEP_1) | instskip(NEXT) | instid1(VALU_DEP_1)
	v_and_b32_e32 v3, 0xff, v3
	v_cmp_ne_u32_e32 vcc_lo, 0, v3
	s_and_b32 s11, vcc_lo, exec_lo
	s_delay_alu instid0(SALU_CYCLE_1)
	s_or_b32 s3, s3, s11
	s_or_b32 exec_lo, exec_lo, s6
	v_mov_b32_e32 v11, s7
	s_and_saveexec_b32 s6, s3
	s_cbranch_execnz .LBB248_1719
	s_branch .LBB248_1720
.LBB248_2052:
	s_or_saveexec_b32 s7, s7
                                        ; implicit-def: $sgpr11
	s_delay_alu instid0(SALU_CYCLE_1)
	s_xor_b32 exec_lo, exec_lo, s7
	s_cbranch_execz .LBB248_1823
.LBB248_2053:
	v_add_f32_e64 v3, 0x46000000, |v2|
	s_and_not1_b32 s6, s6, exec_lo
	s_mov_b32 s11, 0
	s_delay_alu instid0(VALU_DEP_1) | instskip(NEXT) | instid1(VALU_DEP_1)
	v_and_b32_e32 v3, 0xff, v3
	v_cmp_ne_u32_e32 vcc_lo, 0, v3
	s_and_b32 s12, vcc_lo, exec_lo
	s_delay_alu instid0(SALU_CYCLE_1)
	s_or_b32 s6, s6, s12
	s_or_b32 exec_lo, exec_lo, s7
	v_mov_b32_e32 v9, s11
	s_and_saveexec_b32 s7, s6
	s_cbranch_execnz .LBB248_1824
	s_branch .LBB248_1825
.LBB248_2054:
	s_trap 2
	s_sendmsg_rtn_b32 s0, sendmsg(MSG_RTN_GET_DOORBELL)
	s_mov_b32 ttmp2, m0
	s_waitcnt lgkmcnt(0)
	s_and_b32 s0, s0, 0x3ff
	s_delay_alu instid0(SALU_CYCLE_1) | instskip(NEXT) | instid1(SALU_CYCLE_1)
	s_bitset1_b32 s0, 10
	s_mov_b32 m0, s0
	s_sendmsg sendmsg(MSG_INTERRUPT)
	s_mov_b32 m0, ttmp2
.LBB248_2055:                           ; =>This Inner Loop Header: Depth=1
	s_sethalt 5
	s_branch .LBB248_2055
.LBB248_2056:
	s_cbranch_execnz .LBB248_2062
; %bb.2057:
	s_or_b32 s8, s8, exec_lo
	s_cbranch_execz .LBB248_1871
	s_branch .LBB248_1872
.LBB248_2058:
	s_or_saveexec_b32 s6, s6
                                        ; implicit-def: $sgpr7
	s_delay_alu instid0(SALU_CYCLE_1)
	s_xor_b32 exec_lo, exec_lo, s6
	s_cbranch_execz .LBB248_1836
.LBB248_2059:
	v_add_f32_e64 v3, 0x42800000, |v2|
	s_and_not1_b32 s3, s3, exec_lo
	s_mov_b32 s7, 0
	s_delay_alu instid0(VALU_DEP_1) | instskip(NEXT) | instid1(VALU_DEP_1)
	v_and_b32_e32 v3, 0xff, v3
	v_cmp_ne_u32_e32 vcc_lo, 0, v3
	s_and_b32 s11, vcc_lo, exec_lo
	s_delay_alu instid0(SALU_CYCLE_1)
	s_or_b32 s3, s3, s11
	s_or_b32 exec_lo, exec_lo, s6
	v_mov_b32_e32 v9, s7
	s_and_saveexec_b32 s6, s3
	s_cbranch_execnz .LBB248_1837
	s_branch .LBB248_1838
.LBB248_2060:
	s_or_saveexec_b32 s4, s4
                                        ; implicit-def: $sgpr5
	s_delay_alu instid0(SALU_CYCLE_1)
	s_xor_b32 exec_lo, exec_lo, s4
	s_cbranch_execz .LBB248_1942
.LBB248_2061:
	v_add_f32_e64 v3, 0x46000000, |v2|
	s_and_not1_b32 s3, s3, exec_lo
	s_mov_b32 s5, 0
	s_delay_alu instid0(VALU_DEP_1) | instskip(NEXT) | instid1(VALU_DEP_1)
	v_and_b32_e32 v3, 0xff, v3
	v_cmp_ne_u32_e32 vcc_lo, 0, v3
	s_and_b32 s6, vcc_lo, exec_lo
	s_delay_alu instid0(SALU_CYCLE_1)
	s_or_b32 s3, s3, s6
	s_or_b32 exec_lo, exec_lo, s4
	v_mov_b32_e32 v6, s5
	s_and_saveexec_b32 s4, s3
	s_cbranch_execnz .LBB248_1943
	s_branch .LBB248_1944
.LBB248_2062:
	s_trap 2
	s_sendmsg_rtn_b32 s0, sendmsg(MSG_RTN_GET_DOORBELL)
	s_mov_b32 ttmp2, m0
	s_waitcnt lgkmcnt(0)
	s_and_b32 s0, s0, 0x3ff
	s_delay_alu instid0(SALU_CYCLE_1) | instskip(NEXT) | instid1(SALU_CYCLE_1)
	s_bitset1_b32 s0, 10
	s_mov_b32 m0, s0
	s_sendmsg sendmsg(MSG_INTERRUPT)
	s_mov_b32 m0, ttmp2
.LBB248_2063:                           ; =>This Inner Loop Header: Depth=1
	s_sethalt 5
	s_branch .LBB248_2063
.LBB248_2064:
	s_cbranch_execnz .LBB248_2068
; %bb.2065:
	s_mov_b32 s2, 0
	s_or_b32 s8, s8, exec_lo
	s_branch .LBB248_1988
.LBB248_2066:
	s_or_saveexec_b32 s3, s3
                                        ; implicit-def: $sgpr4
	s_delay_alu instid0(SALU_CYCLE_1)
	s_xor_b32 exec_lo, exec_lo, s3
	s_cbranch_execz .LBB248_1954
.LBB248_2067:
	v_add_f32_e64 v3, 0x42800000, |v2|
	s_and_not1_b32 s2, s2, exec_lo
	s_mov_b32 s4, 0
	s_delay_alu instid0(VALU_DEP_1) | instskip(NEXT) | instid1(VALU_DEP_1)
	v_and_b32_e32 v3, 0xff, v3
	v_cmp_ne_u32_e32 vcc_lo, 0, v3
	s_and_b32 s5, vcc_lo, exec_lo
	s_delay_alu instid0(SALU_CYCLE_1)
	s_or_b32 s2, s2, s5
	s_or_b32 exec_lo, exec_lo, s3
	v_mov_b32_e32 v6, s4
	s_and_saveexec_b32 s3, s2
	s_cbranch_execnz .LBB248_1955
	s_branch .LBB248_1956
.LBB248_2068:
	s_trap 2
	s_sendmsg_rtn_b32 s0, sendmsg(MSG_RTN_GET_DOORBELL)
	s_mov_b32 ttmp2, m0
	s_waitcnt lgkmcnt(0)
	s_and_b32 s0, s0, 0x3ff
	s_delay_alu instid0(SALU_CYCLE_1) | instskip(NEXT) | instid1(SALU_CYCLE_1)
	s_bitset1_b32 s0, 10
	s_mov_b32 m0, s0
	s_sendmsg sendmsg(MSG_INTERRUPT)
	s_mov_b32 m0, ttmp2
.LBB248_2069:                           ; =>This Inner Loop Header: Depth=1
	s_sethalt 5
	s_branch .LBB248_2069
	.section	.rodata,"a",@progbits
	.p2align	6, 0x0
	.amdhsa_kernel _ZN2at6native32elementwise_kernel_manual_unrollILi128ELi4EZNS0_15gpu_kernel_implIZZZNS0_16sqrt_kernel_cudaERNS_18TensorIteratorBaseEENKUlvE0_clEvENKUlvE_clEvEUldE_EEvS4_RKT_EUlibE_EEviT1_
		.amdhsa_group_segment_fixed_size 0
		.amdhsa_private_segment_fixed_size 0
		.amdhsa_kernarg_size 40
		.amdhsa_user_sgpr_count 15
		.amdhsa_user_sgpr_dispatch_ptr 0
		.amdhsa_user_sgpr_queue_ptr 0
		.amdhsa_user_sgpr_kernarg_segment_ptr 1
		.amdhsa_user_sgpr_dispatch_id 0
		.amdhsa_user_sgpr_private_segment_size 0
		.amdhsa_wavefront_size32 1
		.amdhsa_uses_dynamic_stack 0
		.amdhsa_enable_private_segment 0
		.amdhsa_system_sgpr_workgroup_id_x 1
		.amdhsa_system_sgpr_workgroup_id_y 0
		.amdhsa_system_sgpr_workgroup_id_z 0
		.amdhsa_system_sgpr_workgroup_info 0
		.amdhsa_system_vgpr_workitem_id 0
		.amdhsa_next_free_vgpr 16
		.amdhsa_next_free_sgpr 25
		.amdhsa_reserve_vcc 1
		.amdhsa_float_round_mode_32 0
		.amdhsa_float_round_mode_16_64 0
		.amdhsa_float_denorm_mode_32 3
		.amdhsa_float_denorm_mode_16_64 3
		.amdhsa_dx10_clamp 1
		.amdhsa_ieee_mode 1
		.amdhsa_fp16_overflow 0
		.amdhsa_workgroup_processor_mode 1
		.amdhsa_memory_ordered 1
		.amdhsa_forward_progress 0
		.amdhsa_shared_vgpr_count 0
		.amdhsa_exception_fp_ieee_invalid_op 0
		.amdhsa_exception_fp_denorm_src 0
		.amdhsa_exception_fp_ieee_div_zero 0
		.amdhsa_exception_fp_ieee_overflow 0
		.amdhsa_exception_fp_ieee_underflow 0
		.amdhsa_exception_fp_ieee_inexact 0
		.amdhsa_exception_int_div_zero 0
	.end_amdhsa_kernel
	.section	.text._ZN2at6native32elementwise_kernel_manual_unrollILi128ELi4EZNS0_15gpu_kernel_implIZZZNS0_16sqrt_kernel_cudaERNS_18TensorIteratorBaseEENKUlvE0_clEvENKUlvE_clEvEUldE_EEvS4_RKT_EUlibE_EEviT1_,"axG",@progbits,_ZN2at6native32elementwise_kernel_manual_unrollILi128ELi4EZNS0_15gpu_kernel_implIZZZNS0_16sqrt_kernel_cudaERNS_18TensorIteratorBaseEENKUlvE0_clEvENKUlvE_clEvEUldE_EEvS4_RKT_EUlibE_EEviT1_,comdat
.Lfunc_end248:
	.size	_ZN2at6native32elementwise_kernel_manual_unrollILi128ELi4EZNS0_15gpu_kernel_implIZZZNS0_16sqrt_kernel_cudaERNS_18TensorIteratorBaseEENKUlvE0_clEvENKUlvE_clEvEUldE_EEvS4_RKT_EUlibE_EEviT1_, .Lfunc_end248-_ZN2at6native32elementwise_kernel_manual_unrollILi128ELi4EZNS0_15gpu_kernel_implIZZZNS0_16sqrt_kernel_cudaERNS_18TensorIteratorBaseEENKUlvE0_clEvENKUlvE_clEvEUldE_EEvS4_RKT_EUlibE_EEviT1_
                                        ; -- End function
	.section	.AMDGPU.csdata,"",@progbits
; Kernel info:
; codeLenInByte = 36508
; NumSgprs: 27
; NumVgprs: 16
; ScratchSize: 0
; MemoryBound: 1
; FloatMode: 240
; IeeeMode: 1
; LDSByteSize: 0 bytes/workgroup (compile time only)
; SGPRBlocks: 3
; VGPRBlocks: 1
; NumSGPRsForWavesPerEU: 27
; NumVGPRsForWavesPerEU: 16
; Occupancy: 16
; WaveLimiterHint : 0
; COMPUTE_PGM_RSRC2:SCRATCH_EN: 0
; COMPUTE_PGM_RSRC2:USER_SGPR: 15
; COMPUTE_PGM_RSRC2:TRAP_HANDLER: 0
; COMPUTE_PGM_RSRC2:TGID_X_EN: 1
; COMPUTE_PGM_RSRC2:TGID_Y_EN: 0
; COMPUTE_PGM_RSRC2:TGID_Z_EN: 0
; COMPUTE_PGM_RSRC2:TIDIG_COMP_CNT: 0
	.section	.text._ZN2at6native32elementwise_kernel_manual_unrollILi128ELi4EZNS0_15gpu_kernel_implIZZZNS0_16sqrt_kernel_cudaERNS_18TensorIteratorBaseEENKUlvE0_clEvENKUlvE_clEvEUldE_EEvS4_RKT_EUlibE0_EEviT1_,"axG",@progbits,_ZN2at6native32elementwise_kernel_manual_unrollILi128ELi4EZNS0_15gpu_kernel_implIZZZNS0_16sqrt_kernel_cudaERNS_18TensorIteratorBaseEENKUlvE0_clEvENKUlvE_clEvEUldE_EEvS4_RKT_EUlibE0_EEviT1_,comdat
	.globl	_ZN2at6native32elementwise_kernel_manual_unrollILi128ELi4EZNS0_15gpu_kernel_implIZZZNS0_16sqrt_kernel_cudaERNS_18TensorIteratorBaseEENKUlvE0_clEvENKUlvE_clEvEUldE_EEvS4_RKT_EUlibE0_EEviT1_ ; -- Begin function _ZN2at6native32elementwise_kernel_manual_unrollILi128ELi4EZNS0_15gpu_kernel_implIZZZNS0_16sqrt_kernel_cudaERNS_18TensorIteratorBaseEENKUlvE0_clEvENKUlvE_clEvEUldE_EEvS4_RKT_EUlibE0_EEviT1_
	.p2align	8
	.type	_ZN2at6native32elementwise_kernel_manual_unrollILi128ELi4EZNS0_15gpu_kernel_implIZZZNS0_16sqrt_kernel_cudaERNS_18TensorIteratorBaseEENKUlvE0_clEvENKUlvE_clEvEUldE_EEvS4_RKT_EUlibE0_EEviT1_,@function
_ZN2at6native32elementwise_kernel_manual_unrollILi128ELi4EZNS0_15gpu_kernel_implIZZZNS0_16sqrt_kernel_cudaERNS_18TensorIteratorBaseEENKUlvE0_clEvENKUlvE_clEvEUldE_EEvS4_RKT_EUlibE0_EEviT1_: ; @_ZN2at6native32elementwise_kernel_manual_unrollILi128ELi4EZNS0_15gpu_kernel_implIZZZNS0_16sqrt_kernel_cudaERNS_18TensorIteratorBaseEENKUlvE0_clEvENKUlvE_clEvEUldE_EEvS4_RKT_EUlibE0_EEviT1_
; %bb.0:
	s_clause 0x1
	s_load_b32 s24, s[0:1], 0x8
	s_load_b32 s30, s[0:1], 0x0
	v_lshl_or_b32 v10, s15, 9, v0
	s_or_b32 s16, s0, 8
	s_mov_b32 s3, -1
	s_mov_b32 s26, 0
	s_mov_b32 s17, s1
	v_or_b32_e32 v2, 0x180, v10
	s_mov_b32 s8, 0
	s_mov_b32 s2, exec_lo
	s_waitcnt lgkmcnt(0)
	s_add_i32 s25, s24, -1
	s_delay_alu instid0(SALU_CYCLE_1)
	s_cmp_gt_u32 s25, 1
	s_cselect_b32 s27, -1, 0
	v_cmpx_le_i32_e64 s30, v2
	s_xor_b32 s28, exec_lo, s2
	s_cbranch_execz .LBB249_1076
; %bb.1:
	v_mov_b32_e32 v0, 0
	s_clause 0x3
	s_load_b128 s[12:15], s[16:17], 0x4
	s_load_b64 s[18:19], s[16:17], 0x14
	s_load_b128 s[8:11], s[16:17], 0xc4
	s_load_b128 s[4:7], s[16:17], 0x148
	s_cmp_lg_u32 s24, 0
	s_mov_b32 s37, 0
	s_cselect_b32 s33, -1, 0
	global_load_u16 v8, v0, s[16:17] offset:345
	s_add_u32 s20, s16, 0xc4
	s_addc_u32 s21, s17, 0
	s_min_u32 s31, s25, 15
	s_cmp_gt_u32 s24, 1
	s_mov_b32 s35, 0
	s_cselect_b32 s29, -1, 0
	s_mov_b32 s34, 0
	s_mov_b32 s36, exec_lo
	s_waitcnt vmcnt(0)
	v_lshrrev_b16 v9, 8, v8
	v_cmpx_gt_i32_e64 s30, v10
	s_cbranch_execz .LBB249_263
; %bb.2:
	s_and_not1_b32 vcc_lo, exec_lo, s27
	s_cbranch_vccnz .LBB249_7
; %bb.3:
	v_dual_mov_b32 v0, 0 :: v_dual_mov_b32 v1, 0
	s_and_not1_b32 vcc_lo, exec_lo, s33
	s_cbranch_vccnz .LBB249_12
; %bb.4:
	v_mov_b32_e32 v0, 0
	s_add_i32 s38, s31, 1
	s_cmp_eq_u32 s25, 2
	s_cbranch_scc1 .LBB249_8
; %bb.5:
	v_dual_mov_b32 v1, 0 :: v_dual_mov_b32 v0, 0
	v_mov_b32_e32 v2, v10
	s_and_b32 s35, s38, 28
	s_mov_b32 s39, 0
	s_mov_b64 s[2:3], s[20:21]
	s_mov_b64 s[22:23], s[16:17]
.LBB249_6:                              ; =>This Inner Loop Header: Depth=1
	s_clause 0x1
	s_load_b256 s[40:47], s[22:23], 0x4
	s_load_b128 s[56:59], s[22:23], 0x24
	s_load_b256 s[48:55], s[2:3], 0x0
	s_add_u32 s22, s22, 48
	s_addc_u32 s23, s23, 0
	s_add_i32 s39, s39, 4
	s_add_u32 s2, s2, 32
	s_addc_u32 s3, s3, 0
	s_cmp_lg_u32 s35, s39
	s_waitcnt lgkmcnt(0)
	v_mul_hi_u32 v3, s41, v2
	s_delay_alu instid0(VALU_DEP_1) | instskip(NEXT) | instid1(VALU_DEP_1)
	v_add_nc_u32_e32 v3, v2, v3
	v_lshrrev_b32_e32 v3, s42, v3
	s_delay_alu instid0(VALU_DEP_1) | instskip(SKIP_1) | instid1(VALU_DEP_2)
	v_mul_hi_u32 v4, s44, v3
	v_mul_lo_u32 v6, v3, s40
	v_add_nc_u32_e32 v4, v3, v4
	s_delay_alu instid0(VALU_DEP_2) | instskip(NEXT) | instid1(VALU_DEP_2)
	v_sub_nc_u32_e32 v2, v2, v6
	v_lshrrev_b32_e32 v4, s45, v4
	s_delay_alu instid0(VALU_DEP_2) | instskip(SKIP_1) | instid1(VALU_DEP_3)
	v_mul_lo_u32 v6, v2, s48
	v_mul_lo_u32 v11, v2, s49
	v_mul_hi_u32 v5, s47, v4
	s_delay_alu instid0(VALU_DEP_1) | instskip(NEXT) | instid1(VALU_DEP_1)
	v_add_nc_u32_e32 v5, v4, v5
	v_lshrrev_b32_e32 v5, s56, v5
	s_delay_alu instid0(VALU_DEP_1) | instskip(SKIP_1) | instid1(VALU_DEP_2)
	v_mul_hi_u32 v7, s58, v5
	v_mul_lo_u32 v12, v5, s46
	v_add_nc_u32_e32 v2, v5, v7
	v_mul_lo_u32 v7, v4, s43
	s_delay_alu instid0(VALU_DEP_3) | instskip(NEXT) | instid1(VALU_DEP_3)
	v_sub_nc_u32_e32 v4, v4, v12
	v_lshrrev_b32_e32 v2, s59, v2
	s_delay_alu instid0(VALU_DEP_2) | instskip(SKIP_2) | instid1(VALU_DEP_4)
	v_mul_lo_u32 v12, v4, s52
	v_mul_lo_u32 v4, v4, s53
	v_sub_nc_u32_e32 v3, v3, v7
	v_mul_lo_u32 v13, v2, s57
	s_delay_alu instid0(VALU_DEP_2) | instskip(SKIP_1) | instid1(VALU_DEP_3)
	v_mul_lo_u32 v7, v3, s50
	v_mul_lo_u32 v3, v3, s51
	v_sub_nc_u32_e32 v5, v5, v13
	s_delay_alu instid0(VALU_DEP_3) | instskip(NEXT) | instid1(VALU_DEP_2)
	v_add3_u32 v0, v6, v0, v7
	v_mul_lo_u32 v13, v5, s54
	v_mul_lo_u32 v5, v5, s55
	v_add3_u32 v1, v11, v1, v3
	s_delay_alu instid0(VALU_DEP_3) | instskip(NEXT) | instid1(VALU_DEP_2)
	v_add3_u32 v0, v12, v0, v13
	v_add3_u32 v1, v4, v1, v5
	s_cbranch_scc1 .LBB249_6
	s_branch .LBB249_9
.LBB249_7:
	s_mov_b32 s34, -1
                                        ; implicit-def: $vgpr0
                                        ; implicit-def: $vgpr1
	s_branch .LBB249_12
.LBB249_8:
	v_dual_mov_b32 v2, v10 :: v_dual_mov_b32 v1, 0
.LBB249_9:
	s_and_b32 s38, s38, 3
	s_delay_alu instid0(SALU_CYCLE_1)
	s_cmp_eq_u32 s38, 0
	s_cbranch_scc1 .LBB249_12
; %bb.10:
	s_lshl_b32 s2, s35, 3
	s_mul_i32 s22, s35, 12
	s_add_u32 s2, s2, s16
	s_addc_u32 s3, s17, 0
	s_add_u32 s2, s2, 0xc4
	s_addc_u32 s3, s3, 0
	s_add_u32 s22, s16, s22
	s_addc_u32 s23, s17, 0
	.p2align	6
.LBB249_11:                             ; =>This Inner Loop Header: Depth=1
	s_clause 0x1
	s_load_b64 s[40:41], s[22:23], 0x4
	s_load_b32 s35, s[22:23], 0xc
	s_load_b64 s[42:43], s[2:3], 0x0
	s_add_u32 s22, s22, 12
	s_addc_u32 s23, s23, 0
	s_add_u32 s2, s2, 8
	s_addc_u32 s3, s3, 0
	s_add_i32 s38, s38, -1
	s_delay_alu instid0(SALU_CYCLE_1) | instskip(SKIP_2) | instid1(VALU_DEP_1)
	s_cmp_lg_u32 s38, 0
	s_waitcnt lgkmcnt(0)
	v_mul_hi_u32 v3, s41, v2
	v_add_nc_u32_e32 v3, v2, v3
	s_delay_alu instid0(VALU_DEP_1) | instskip(NEXT) | instid1(VALU_DEP_1)
	v_lshrrev_b32_e32 v6, s35, v3
	v_mul_lo_u32 v3, v6, s40
	s_delay_alu instid0(VALU_DEP_1) | instskip(NEXT) | instid1(VALU_DEP_1)
	v_sub_nc_u32_e32 v2, v2, v3
	v_mad_u64_u32 v[3:4], null, v2, s42, v[0:1]
	v_mad_u64_u32 v[4:5], null, v2, s43, v[1:2]
	v_mov_b32_e32 v2, v6
	s_delay_alu instid0(VALU_DEP_2)
	v_dual_mov_b32 v0, v3 :: v_dual_mov_b32 v1, v4
	s_cbranch_scc1 .LBB249_11
.LBB249_12:
	s_and_not1_b32 vcc_lo, exec_lo, s34
	s_cbranch_vccnz .LBB249_15
; %bb.13:
	s_waitcnt lgkmcnt(0)
	v_mul_hi_u32 v0, s13, v10
	s_and_not1_b32 vcc_lo, exec_lo, s29
	s_delay_alu instid0(VALU_DEP_1) | instskip(NEXT) | instid1(VALU_DEP_1)
	v_add_nc_u32_e32 v0, v10, v0
	v_lshrrev_b32_e32 v2, s14, v0
	s_delay_alu instid0(VALU_DEP_1) | instskip(NEXT) | instid1(VALU_DEP_1)
	v_mul_lo_u32 v0, v2, s12
	v_sub_nc_u32_e32 v1, v10, v0
	s_delay_alu instid0(VALU_DEP_1)
	v_mul_lo_u32 v0, v1, s8
	v_mul_lo_u32 v1, v1, s9
	s_cbranch_vccnz .LBB249_15
; %bb.14:
	v_mul_hi_u32 v3, s18, v2
	s_delay_alu instid0(VALU_DEP_1) | instskip(NEXT) | instid1(VALU_DEP_1)
	v_add_nc_u32_e32 v3, v2, v3
	v_lshrrev_b32_e32 v3, s19, v3
	s_delay_alu instid0(VALU_DEP_1) | instskip(NEXT) | instid1(VALU_DEP_1)
	v_mul_lo_u32 v3, v3, s15
	v_sub_nc_u32_e32 v5, v2, v3
	s_delay_alu instid0(VALU_DEP_1) | instskip(NEXT) | instid1(VALU_DEP_1)
	v_mad_u64_u32 v[2:3], null, v5, s10, v[0:1]
	v_mad_u64_u32 v[3:4], null, v5, s11, v[1:2]
	s_delay_alu instid0(VALU_DEP_1)
	v_dual_mov_b32 v0, v2 :: v_dual_mov_b32 v1, v3
.LBB249_15:
	v_cmp_gt_i16_e32 vcc_lo, 11, v9
	s_waitcnt lgkmcnt(0)
	s_delay_alu instid0(VALU_DEP_2) | instskip(NEXT) | instid1(VALU_DEP_1)
	v_add_co_u32 v1, s2, s6, v1
	v_add_co_ci_u32_e64 v2, null, s7, 0, s2
	s_mov_b32 s22, 0
	s_cbranch_vccnz .LBB249_22
; %bb.16:
	v_cmp_lt_i16_e32 vcc_lo, 25, v9
	s_cbranch_vccz .LBB249_141
; %bb.17:
	v_cmp_lt_i16_e32 vcc_lo, 28, v9
	s_cbranch_vccz .LBB249_142
	;; [unrolled: 3-line block ×4, first 2 shown]
; %bb.20:
	v_cmp_eq_u16_e32 vcc_lo, 46, v9
	s_mov_b32 s3, 0
	s_cbranch_vccz .LBB249_145
; %bb.21:
	global_load_b32 v3, v[1:2], off
	s_mov_b32 s2, -1
	s_waitcnt vmcnt(0)
	v_lshlrev_b32_e32 v3, 16, v3
	s_delay_alu instid0(VALU_DEP_1)
	v_cvt_f64_f32_e32 v[3:4], v3
	s_branch .LBB249_147
.LBB249_22:
	s_mov_b32 s2, 0
                                        ; implicit-def: $vgpr3_vgpr4
	s_cbranch_execnz .LBB249_213
.LBB249_23:
	s_and_not1_b32 vcc_lo, exec_lo, s2
	s_cbranch_vccnz .LBB249_260
.LBB249_24:
	s_waitcnt vmcnt(0)
	s_delay_alu instid0(VALU_DEP_1) | instskip(SKIP_2) | instid1(VALU_DEP_1)
	v_cmp_gt_f64_e32 vcc_lo, 0x10000000, v[3:4]
	s_mov_b32 s3, 0
	v_cndmask_b32_e64 v1, 0, 1, vcc_lo
	v_lshlrev_b32_e32 v1, 8, v1
	s_delay_alu instid0(VALU_DEP_1) | instskip(SKIP_1) | instid1(VALU_DEP_2)
	v_ldexp_f64 v[2:3], v[3:4], v1
	v_cndmask_b32_e64 v1, 0, 0xffffff80, vcc_lo
	v_rsq_f64_e32 v[4:5], v[2:3]
	v_cmp_class_f64_e64 vcc_lo, v[2:3], 0x260
	s_waitcnt_depctr 0xfff
	v_mul_f64 v[6:7], v[2:3], v[4:5]
	v_mul_f64 v[4:5], v[4:5], 0.5
	s_delay_alu instid0(VALU_DEP_1) | instskip(NEXT) | instid1(VALU_DEP_1)
	v_fma_f64 v[11:12], -v[4:5], v[6:7], 0.5
	v_fma_f64 v[6:7], v[6:7], v[11:12], v[6:7]
	v_fma_f64 v[4:5], v[4:5], v[11:12], v[4:5]
	s_delay_alu instid0(VALU_DEP_2) | instskip(NEXT) | instid1(VALU_DEP_1)
	v_fma_f64 v[11:12], -v[6:7], v[6:7], v[2:3]
	v_fma_f64 v[6:7], v[11:12], v[4:5], v[6:7]
	s_delay_alu instid0(VALU_DEP_1) | instskip(NEXT) | instid1(VALU_DEP_1)
	v_fma_f64 v[11:12], -v[6:7], v[6:7], v[2:3]
	v_fma_f64 v[4:5], v[11:12], v[4:5], v[6:7]
	s_delay_alu instid0(VALU_DEP_1) | instskip(SKIP_2) | instid1(VALU_DEP_1)
	v_ldexp_f64 v[11:12], v[4:5], v1
	v_and_b32_e32 v6, 0xff, v8
	v_add_co_u32 v4, s23, s4, v0
	v_add_co_ci_u32_e64 v5, null, s5, 0, s23
	s_mov_b32 s23, -1
	s_delay_alu instid0(VALU_DEP_4) | instskip(SKIP_2) | instid1(VALU_DEP_2)
	v_cndmask_b32_e32 v1, v12, v3, vcc_lo
	v_cmp_gt_i16_e64 s2, 11, v6
	v_cndmask_b32_e32 v0, v11, v2, vcc_lo
	s_and_b32 vcc_lo, exec_lo, s2
	s_mov_b32 s2, 0
	s_cbranch_vccnz .LBB249_101
; %bb.25:
	v_cmp_lt_i16_e32 vcc_lo, 25, v6
	s_cbranch_vccz .LBB249_58
; %bb.26:
	v_cmp_lt_i16_e32 vcc_lo, 28, v6
	s_cbranch_vccz .LBB249_41
; %bb.27:
	v_cmp_lt_i16_e32 vcc_lo, 43, v6
	s_cbranch_vccz .LBB249_37
; %bb.28:
	v_cmp_lt_i16_e32 vcc_lo, 45, v6
	s_cbranch_vccz .LBB249_31
; %bb.29:
	v_cmp_eq_u16_e32 vcc_lo, 46, v6
	s_mov_b32 s23, 0
	s_mov_b32 s3, -1
	s_cbranch_vccz .LBB249_31
; %bb.30:
	v_cvt_f32_f64_e32 v2, v[0:1]
	s_mov_b32 s2, -1
	s_mov_b32 s3, 0
	s_delay_alu instid0(VALU_DEP_1) | instskip(SKIP_1) | instid1(VALU_DEP_2)
	v_bfe_u32 v3, v2, 16, 1
	v_cmp_o_f32_e32 vcc_lo, v2, v2
	v_add3_u32 v3, v2, v3, 0x7fff
	s_delay_alu instid0(VALU_DEP_1) | instskip(NEXT) | instid1(VALU_DEP_1)
	v_lshrrev_b32_e32 v3, 16, v3
	v_cndmask_b32_e32 v2, 0x7fc0, v3, vcc_lo
	global_store_b32 v[4:5], v2, off
.LBB249_31:
	s_and_b32 vcc_lo, exec_lo, s23
	s_cbranch_vccz .LBB249_36
; %bb.32:
	v_cmp_eq_u16_e32 vcc_lo, 44, v6
	s_mov_b32 s3, -1
	s_cbranch_vccz .LBB249_36
; %bb.33:
	v_cvt_f32_f64_e32 v2, v[0:1]
	v_mov_b32_e32 v3, 0xff
	s_mov_b32 s3, exec_lo
	s_delay_alu instid0(VALU_DEP_2) | instskip(NEXT) | instid1(VALU_DEP_1)
	v_bfe_u32 v7, v2, 23, 8
	v_cmpx_ne_u32_e32 0xff, v7
; %bb.34:
	v_and_b32_e32 v3, 0x400000, v2
	v_and_or_b32 v7, 0x3fffff, v2, v7
	v_lshrrev_b32_e32 v2, 23, v2
	s_delay_alu instid0(VALU_DEP_3) | instskip(NEXT) | instid1(VALU_DEP_3)
	v_cmp_ne_u32_e32 vcc_lo, 0, v3
	v_cmp_ne_u32_e64 s2, 0, v7
	s_delay_alu instid0(VALU_DEP_1) | instskip(NEXT) | instid1(SALU_CYCLE_1)
	s_and_b32 s2, vcc_lo, s2
	v_cndmask_b32_e64 v3, 0, 1, s2
	s_delay_alu instid0(VALU_DEP_1)
	v_add_nc_u32_e32 v3, v2, v3
; %bb.35:
	s_or_b32 exec_lo, exec_lo, s3
	s_mov_b32 s2, -1
	s_mov_b32 s3, 0
	global_store_b8 v[4:5], v3, off
.LBB249_36:
	s_mov_b32 s23, 0
.LBB249_37:
	s_delay_alu instid0(SALU_CYCLE_1)
	s_and_b32 vcc_lo, exec_lo, s23
	s_cbranch_vccz .LBB249_40
; %bb.38:
	v_cmp_eq_u16_e32 vcc_lo, 29, v6
	s_mov_b32 s3, -1
	s_cbranch_vccz .LBB249_40
; %bb.39:
	v_trunc_f64_e32 v[2:3], v[0:1]
	s_mov_b32 s2, -1
	s_mov_b32 s3, 0
	s_delay_alu instid0(VALU_DEP_1) | instskip(NEXT) | instid1(VALU_DEP_1)
	v_ldexp_f64 v[11:12], v[2:3], 0xffffffe0
	v_floor_f64_e32 v[11:12], v[11:12]
	s_delay_alu instid0(VALU_DEP_1) | instskip(SKIP_1) | instid1(VALU_DEP_2)
	v_fma_f64 v[2:3], 0xc1f00000, v[11:12], v[2:3]
	v_cvt_u32_f64_e32 v12, v[11:12]
	v_cvt_u32_f64_e32 v11, v[2:3]
	global_store_b64 v[4:5], v[11:12], off
.LBB249_40:
	s_mov_b32 s23, 0
.LBB249_41:
	s_delay_alu instid0(SALU_CYCLE_1)
	s_and_b32 vcc_lo, exec_lo, s23
	s_cbranch_vccz .LBB249_57
; %bb.42:
	v_cmp_gt_i16_e32 vcc_lo, 27, v6
	s_mov_b32 s2, -1
	s_cbranch_vccnz .LBB249_48
; %bb.43:
	v_cmp_lt_i16_e32 vcc_lo, 27, v6
	s_cbranch_vccz .LBB249_45
; %bb.44:
	v_cvt_u32_f64_e32 v2, v[0:1]
	s_mov_b32 s2, 0
	global_store_b32 v[4:5], v2, off
.LBB249_45:
	s_and_not1_b32 vcc_lo, exec_lo, s2
	s_cbranch_vccnz .LBB249_47
; %bb.46:
	v_cvt_u32_f64_e32 v2, v[0:1]
	global_store_b16 v[4:5], v2, off
.LBB249_47:
	s_mov_b32 s2, 0
.LBB249_48:
	s_delay_alu instid0(SALU_CYCLE_1)
	s_and_not1_b32 vcc_lo, exec_lo, s2
	s_cbranch_vccnz .LBB249_56
; %bb.49:
	v_cvt_f32_f64_e32 v2, v[0:1]
	v_mov_b32_e32 v7, 0x80
	s_mov_b32 s2, exec_lo
	s_delay_alu instid0(VALU_DEP_2) | instskip(NEXT) | instid1(VALU_DEP_1)
	v_and_b32_e32 v3, 0x7fffffff, v2
	v_cmpx_gt_u32_e32 0x43800000, v3
	s_cbranch_execz .LBB249_55
; %bb.50:
	v_cmp_lt_u32_e32 vcc_lo, 0x3bffffff, v3
	s_mov_b32 s23, 0
                                        ; implicit-def: $vgpr3
	s_and_saveexec_b32 s34, vcc_lo
	s_delay_alu instid0(SALU_CYCLE_1)
	s_xor_b32 s34, exec_lo, s34
	s_cbranch_execz .LBB249_150
; %bb.51:
	v_bfe_u32 v3, v2, 20, 1
	s_mov_b32 s23, exec_lo
	s_delay_alu instid0(VALU_DEP_1) | instskip(NEXT) | instid1(VALU_DEP_1)
	v_add3_u32 v3, v2, v3, 0x487ffff
	v_lshrrev_b32_e32 v3, 20, v3
	s_or_saveexec_b32 s34, s34
                                        ; implicit-def: $sgpr35
	s_delay_alu instid0(SALU_CYCLE_1)
	s_xor_b32 exec_lo, exec_lo, s34
	s_cbranch_execnz .LBB249_151
.LBB249_52:
	s_or_b32 exec_lo, exec_lo, s34
	v_mov_b32_e32 v7, s35
	s_and_saveexec_b32 s34, s23
.LBB249_53:
	v_lshrrev_b32_e32 v2, 24, v2
	s_delay_alu instid0(VALU_DEP_1)
	v_and_or_b32 v7, 0x80, v2, v3
.LBB249_54:
	s_or_b32 exec_lo, exec_lo, s34
.LBB249_55:
	s_delay_alu instid0(SALU_CYCLE_1)
	s_or_b32 exec_lo, exec_lo, s2
	global_store_b8 v[4:5], v7, off
.LBB249_56:
	s_mov_b32 s2, -1
.LBB249_57:
	s_mov_b32 s23, 0
.LBB249_58:
	s_delay_alu instid0(SALU_CYCLE_1)
	s_and_b32 vcc_lo, exec_lo, s23
	s_cbranch_vccz .LBB249_99
; %bb.59:
	v_cmp_lt_i16_e32 vcc_lo, 22, v6
	s_mov_b32 s23, -1
	s_cbranch_vccz .LBB249_91
; %bb.60:
	v_cmp_gt_i16_e32 vcc_lo, 24, v6
	s_mov_b32 s2, -1
	s_cbranch_vccnz .LBB249_80
; %bb.61:
	v_cmp_lt_i16_e32 vcc_lo, 24, v6
	s_cbranch_vccz .LBB249_69
; %bb.62:
	v_cvt_f32_f64_e32 v2, v[0:1]
	v_mov_b32_e32 v7, 0x80
	s_mov_b32 s2, exec_lo
	s_delay_alu instid0(VALU_DEP_2) | instskip(NEXT) | instid1(VALU_DEP_1)
	v_and_b32_e32 v3, 0x7fffffff, v2
	v_cmpx_gt_u32_e32 0x47800000, v3
	s_cbranch_execz .LBB249_68
; %bb.63:
	v_cmp_lt_u32_e32 vcc_lo, 0x37ffffff, v3
	s_mov_b32 s23, 0
                                        ; implicit-def: $vgpr3
	s_and_saveexec_b32 s34, vcc_lo
	s_delay_alu instid0(SALU_CYCLE_1)
	s_xor_b32 s34, exec_lo, s34
	s_cbranch_execz .LBB249_341
; %bb.64:
	v_bfe_u32 v3, v2, 21, 1
	s_mov_b32 s23, exec_lo
	s_delay_alu instid0(VALU_DEP_1) | instskip(NEXT) | instid1(VALU_DEP_1)
	v_add3_u32 v3, v2, v3, 0x88fffff
	v_lshrrev_b32_e32 v3, 21, v3
	s_or_saveexec_b32 s34, s34
                                        ; implicit-def: $sgpr35
	s_delay_alu instid0(SALU_CYCLE_1)
	s_xor_b32 exec_lo, exec_lo, s34
	s_cbranch_execnz .LBB249_342
.LBB249_65:
	s_or_b32 exec_lo, exec_lo, s34
	v_mov_b32_e32 v7, s35
	s_and_saveexec_b32 s34, s23
.LBB249_66:
	v_lshrrev_b32_e32 v2, 24, v2
	s_delay_alu instid0(VALU_DEP_1)
	v_and_or_b32 v7, 0x80, v2, v3
.LBB249_67:
	s_or_b32 exec_lo, exec_lo, s34
.LBB249_68:
	s_delay_alu instid0(SALU_CYCLE_1)
	s_or_b32 exec_lo, exec_lo, s2
	s_mov_b32 s2, 0
	global_store_b8 v[4:5], v7, off
.LBB249_69:
	s_and_b32 vcc_lo, exec_lo, s2
	s_cbranch_vccz .LBB249_79
; %bb.70:
	v_cvt_f32_f64_e32 v2, v[0:1]
	s_mov_b32 s2, exec_lo
                                        ; implicit-def: $vgpr3
	s_delay_alu instid0(VALU_DEP_1) | instskip(NEXT) | instid1(VALU_DEP_1)
	v_and_b32_e32 v7, 0x7fffffff, v2
	v_cmpx_gt_u32_e32 0x43f00000, v7
	s_xor_b32 s2, exec_lo, s2
	s_cbranch_execz .LBB249_76
; %bb.71:
	s_mov_b32 s23, exec_lo
                                        ; implicit-def: $vgpr3
	v_cmpx_lt_u32_e32 0x3c7fffff, v7
	s_xor_b32 s23, exec_lo, s23
; %bb.72:
	v_bfe_u32 v3, v2, 20, 1
	s_delay_alu instid0(VALU_DEP_1) | instskip(NEXT) | instid1(VALU_DEP_1)
	v_add3_u32 v3, v2, v3, 0x407ffff
	v_and_b32_e32 v7, 0xff00000, v3
	v_lshrrev_b32_e32 v3, 20, v3
	s_delay_alu instid0(VALU_DEP_2) | instskip(NEXT) | instid1(VALU_DEP_2)
	v_cmp_ne_u32_e32 vcc_lo, 0x7f00000, v7
	v_cndmask_b32_e32 v3, 0x7e, v3, vcc_lo
; %bb.73:
	s_and_not1_saveexec_b32 s23, s23
; %bb.74:
	v_add_f32_e64 v3, 0x46800000, |v2|
; %bb.75:
	s_or_b32 exec_lo, exec_lo, s23
                                        ; implicit-def: $vgpr7
.LBB249_76:
	s_and_not1_saveexec_b32 s2, s2
; %bb.77:
	v_mov_b32_e32 v3, 0x7f
	v_cmp_lt_u32_e32 vcc_lo, 0x7f800000, v7
	s_delay_alu instid0(VALU_DEP_2)
	v_cndmask_b32_e32 v3, 0x7e, v3, vcc_lo
; %bb.78:
	s_or_b32 exec_lo, exec_lo, s2
	v_lshrrev_b32_e32 v2, 24, v2
	s_delay_alu instid0(VALU_DEP_1)
	v_and_or_b32 v2, 0x80, v2, v3
	global_store_b8 v[4:5], v2, off
.LBB249_79:
	s_mov_b32 s2, 0
.LBB249_80:
	s_delay_alu instid0(SALU_CYCLE_1)
	s_and_not1_b32 vcc_lo, exec_lo, s2
	s_cbranch_vccnz .LBB249_90
; %bb.81:
	v_cvt_f32_f64_e32 v2, v[0:1]
	s_mov_b32 s2, exec_lo
                                        ; implicit-def: $vgpr3
	s_delay_alu instid0(VALU_DEP_1) | instskip(NEXT) | instid1(VALU_DEP_1)
	v_and_b32_e32 v7, 0x7fffffff, v2
	v_cmpx_gt_u32_e32 0x47800000, v7
	s_xor_b32 s2, exec_lo, s2
	s_cbranch_execz .LBB249_87
; %bb.82:
	s_mov_b32 s23, exec_lo
                                        ; implicit-def: $vgpr3
	v_cmpx_lt_u32_e32 0x387fffff, v7
	s_xor_b32 s23, exec_lo, s23
; %bb.83:
	v_bfe_u32 v3, v2, 21, 1
	s_delay_alu instid0(VALU_DEP_1) | instskip(NEXT) | instid1(VALU_DEP_1)
	v_add3_u32 v3, v2, v3, 0x80fffff
	v_lshrrev_b32_e32 v3, 21, v3
; %bb.84:
	s_and_not1_saveexec_b32 s23, s23
; %bb.85:
	v_add_f32_e64 v3, 0x43000000, |v2|
; %bb.86:
	s_or_b32 exec_lo, exec_lo, s23
                                        ; implicit-def: $vgpr7
.LBB249_87:
	s_and_not1_saveexec_b32 s2, s2
; %bb.88:
	v_mov_b32_e32 v3, 0x7f
	v_cmp_lt_u32_e32 vcc_lo, 0x7f800000, v7
	s_delay_alu instid0(VALU_DEP_2)
	v_cndmask_b32_e32 v3, 0x7c, v3, vcc_lo
; %bb.89:
	s_or_b32 exec_lo, exec_lo, s2
	v_lshrrev_b32_e32 v2, 24, v2
	s_delay_alu instid0(VALU_DEP_1)
	v_and_or_b32 v2, 0x80, v2, v3
	global_store_b8 v[4:5], v2, off
.LBB249_90:
	s_mov_b32 s23, 0
	s_mov_b32 s2, -1
.LBB249_91:
	s_and_not1_b32 vcc_lo, exec_lo, s23
	s_cbranch_vccnz .LBB249_99
; %bb.92:
	v_cmp_lt_i16_e32 vcc_lo, 14, v6
	s_mov_b32 s23, -1
	s_cbranch_vccz .LBB249_96
; %bb.93:
	v_cmp_eq_u16_e32 vcc_lo, 15, v6
	s_mov_b32 s3, -1
	s_cbranch_vccz .LBB249_95
; %bb.94:
	v_cvt_f32_f64_e32 v2, v[0:1]
	s_mov_b32 s2, -1
	s_mov_b32 s3, 0
	s_delay_alu instid0(VALU_DEP_1) | instskip(SKIP_1) | instid1(VALU_DEP_2)
	v_bfe_u32 v3, v2, 16, 1
	v_cmp_o_f32_e32 vcc_lo, v2, v2
	v_add3_u32 v3, v2, v3, 0x7fff
	s_delay_alu instid0(VALU_DEP_1) | instskip(NEXT) | instid1(VALU_DEP_1)
	v_lshrrev_b32_e32 v3, 16, v3
	v_cndmask_b32_e32 v2, 0x7fc0, v3, vcc_lo
	global_store_b16 v[4:5], v2, off
.LBB249_95:
	s_mov_b32 s23, 0
.LBB249_96:
	s_delay_alu instid0(SALU_CYCLE_1)
	s_and_b32 vcc_lo, exec_lo, s23
	s_cbranch_vccz .LBB249_99
; %bb.97:
	v_cmp_eq_u16_e32 vcc_lo, 11, v6
	s_mov_b32 s3, -1
	s_cbranch_vccz .LBB249_99
; %bb.98:
	v_cmp_neq_f64_e32 vcc_lo, 0, v[0:1]
	s_mov_b32 s2, -1
	s_mov_b32 s3, 0
	v_cndmask_b32_e64 v2, 0, 1, vcc_lo
	global_store_b8 v[4:5], v2, off
.LBB249_99:
.LBB249_100:
	s_and_not1_b32 vcc_lo, exec_lo, s2
	s_cbranch_vccz .LBB249_140
	s_branch .LBB249_261
.LBB249_101:
	s_and_b32 vcc_lo, exec_lo, s23
	s_cbranch_vccz .LBB249_100
; %bb.102:
	v_cmp_gt_i16_e32 vcc_lo, 5, v6
	s_mov_b32 s2, -1
	s_cbranch_vccnz .LBB249_123
; %bb.103:
	v_cmp_gt_i16_e32 vcc_lo, 8, v6
	s_cbranch_vccnz .LBB249_113
; %bb.104:
	v_cmp_gt_i16_e32 vcc_lo, 9, v6
	s_cbranch_vccnz .LBB249_110
; %bb.105:
	v_cmp_lt_i16_e32 vcc_lo, 9, v6
	s_cbranch_vccz .LBB249_107
; %bb.106:
	v_mov_b32_e32 v2, 0
	s_mov_b32 s2, 0
	s_delay_alu instid0(VALU_DEP_1)
	v_mov_b32_e32 v3, v2
	global_store_b128 v[4:5], v[0:3], off
.LBB249_107:
	s_and_not1_b32 vcc_lo, exec_lo, s2
	s_cbranch_vccnz .LBB249_109
; %bb.108:
	v_cvt_f32_f64_e32 v2, v[0:1]
	v_mov_b32_e32 v3, 0
	global_store_b64 v[4:5], v[2:3], off
.LBB249_109:
	s_mov_b32 s2, 0
.LBB249_110:
	s_delay_alu instid0(SALU_CYCLE_1)
	s_and_not1_b32 vcc_lo, exec_lo, s2
	s_cbranch_vccnz .LBB249_112
; %bb.111:
	v_cvt_f32_f64_e32 v2, v[0:1]
	s_delay_alu instid0(VALU_DEP_1) | instskip(NEXT) | instid1(VALU_DEP_1)
	v_cvt_f16_f32_e32 v2, v2
	v_and_b32_e32 v2, 0xffff, v2
	global_store_b32 v[4:5], v2, off
.LBB249_112:
	s_mov_b32 s2, 0
.LBB249_113:
	s_delay_alu instid0(SALU_CYCLE_1)
	s_and_not1_b32 vcc_lo, exec_lo, s2
	s_cbranch_vccnz .LBB249_122
; %bb.114:
	v_cmp_gt_i16_e32 vcc_lo, 6, v6
	s_mov_b32 s2, -1
	s_cbranch_vccnz .LBB249_120
; %bb.115:
	v_cmp_lt_i16_e32 vcc_lo, 6, v6
	s_cbranch_vccz .LBB249_117
; %bb.116:
	s_mov_b32 s2, 0
	global_store_b64 v[4:5], v[0:1], off
.LBB249_117:
	s_and_not1_b32 vcc_lo, exec_lo, s2
	s_cbranch_vccnz .LBB249_119
; %bb.118:
	v_cvt_f32_f64_e32 v2, v[0:1]
	global_store_b32 v[4:5], v2, off
.LBB249_119:
	s_mov_b32 s2, 0
.LBB249_120:
	s_delay_alu instid0(SALU_CYCLE_1)
	s_and_not1_b32 vcc_lo, exec_lo, s2
	s_cbranch_vccnz .LBB249_122
; %bb.121:
	v_cvt_f32_f64_e32 v2, v[0:1]
	s_delay_alu instid0(VALU_DEP_1)
	v_cvt_f16_f32_e32 v2, v2
	global_store_b16 v[4:5], v2, off
.LBB249_122:
	s_mov_b32 s2, 0
.LBB249_123:
	s_delay_alu instid0(SALU_CYCLE_1)
	s_and_not1_b32 vcc_lo, exec_lo, s2
	s_cbranch_vccnz .LBB249_139
; %bb.124:
	v_cmp_gt_i16_e32 vcc_lo, 2, v6
	s_mov_b32 s2, -1
	s_cbranch_vccnz .LBB249_134
; %bb.125:
	v_cmp_gt_i16_e32 vcc_lo, 3, v6
	s_cbranch_vccnz .LBB249_131
; %bb.126:
	v_cmp_lt_i16_e32 vcc_lo, 3, v6
	s_cbranch_vccz .LBB249_128
; %bb.127:
	v_trunc_f64_e32 v[2:3], v[0:1]
	s_mov_b32 s2, 0
	s_delay_alu instid0(VALU_DEP_1) | instskip(NEXT) | instid1(VALU_DEP_1)
	v_ldexp_f64 v[11:12], v[2:3], 0xffffffe0
	v_floor_f64_e32 v[11:12], v[11:12]
	s_delay_alu instid0(VALU_DEP_1) | instskip(SKIP_1) | instid1(VALU_DEP_2)
	v_fma_f64 v[2:3], 0xc1f00000, v[11:12], v[2:3]
	v_cvt_i32_f64_e32 v12, v[11:12]
	v_cvt_u32_f64_e32 v11, v[2:3]
	global_store_b64 v[4:5], v[11:12], off
.LBB249_128:
	s_and_not1_b32 vcc_lo, exec_lo, s2
	s_cbranch_vccnz .LBB249_130
; %bb.129:
	v_cvt_i32_f64_e32 v2, v[0:1]
	global_store_b32 v[4:5], v2, off
.LBB249_130:
	s_mov_b32 s2, 0
.LBB249_131:
	s_delay_alu instid0(SALU_CYCLE_1)
	s_and_not1_b32 vcc_lo, exec_lo, s2
	s_cbranch_vccnz .LBB249_133
; %bb.132:
	v_cvt_i32_f64_e32 v2, v[0:1]
	global_store_b16 v[4:5], v2, off
.LBB249_133:
	s_mov_b32 s2, 0
.LBB249_134:
	s_delay_alu instid0(SALU_CYCLE_1)
	s_and_not1_b32 vcc_lo, exec_lo, s2
	s_cbranch_vccnz .LBB249_139
; %bb.135:
	v_cmp_lt_i16_e32 vcc_lo, 0, v6
	s_mov_b32 s2, -1
	s_cbranch_vccz .LBB249_137
; %bb.136:
	v_cvt_i32_f64_e32 v2, v[0:1]
	s_mov_b32 s2, 0
	global_store_b8 v[4:5], v2, off
.LBB249_137:
	s_and_not1_b32 vcc_lo, exec_lo, s2
	s_cbranch_vccnz .LBB249_139
; %bb.138:
	v_trunc_f64_e32 v[0:1], v[0:1]
	s_delay_alu instid0(VALU_DEP_1) | instskip(NEXT) | instid1(VALU_DEP_1)
	v_ldexp_f64 v[2:3], v[0:1], 0xffffffe0
	v_floor_f64_e32 v[2:3], v[2:3]
	s_delay_alu instid0(VALU_DEP_1) | instskip(NEXT) | instid1(VALU_DEP_1)
	v_fma_f64 v[0:1], 0xc1f00000, v[2:3], v[0:1]
	v_cvt_u32_f64_e32 v0, v[0:1]
	global_store_b8 v[4:5], v0, off
.LBB249_139:
.LBB249_140:
	v_add_nc_u32_e32 v10, 0x80, v10
	s_mov_b32 s2, -1
	s_branch .LBB249_262
.LBB249_141:
	s_mov_b32 s2, 0
                                        ; implicit-def: $vgpr3_vgpr4
	s_cbranch_execnz .LBB249_180
	s_branch .LBB249_212
.LBB249_142:
	s_mov_b32 s3, -1
	s_mov_b32 s2, 0
                                        ; implicit-def: $vgpr3_vgpr4
	s_branch .LBB249_159
.LBB249_143:
	s_mov_b32 s3, -1
	s_mov_b32 s2, 0
                                        ; implicit-def: $vgpr3_vgpr4
	s_branch .LBB249_154
.LBB249_144:
	s_mov_b32 s3, -1
	s_branch .LBB249_146
.LBB249_145:
	s_mov_b32 s22, -1
.LBB249_146:
	s_mov_b32 s2, 0
                                        ; implicit-def: $vgpr3_vgpr4
.LBB249_147:
	s_and_b32 vcc_lo, exec_lo, s3
	s_cbranch_vccz .LBB249_153
; %bb.148:
	v_cmp_eq_u16_e32 vcc_lo, 44, v9
	s_cbranch_vccz .LBB249_152
; %bb.149:
	global_load_u8 v5, v[1:2], off
	s_mov_b32 s22, 0
	s_mov_b32 s2, -1
	s_waitcnt vmcnt(0)
	v_cmp_ne_u32_e32 vcc_lo, 0xff, v5
	v_lshlrev_b32_e32 v3, 23, v5
	s_delay_alu instid0(VALU_DEP_1) | instskip(NEXT) | instid1(VALU_DEP_1)
	v_cvt_f64_f32_e32 v[3:4], v3
	v_cndmask_b32_e32 v4, 0x7ff80000, v4, vcc_lo
	s_delay_alu instid0(VALU_DEP_2) | instskip(SKIP_1) | instid1(VALU_DEP_3)
	v_cndmask_b32_e32 v3, 0x20000000, v3, vcc_lo
	v_cmp_ne_u32_e32 vcc_lo, 0, v5
	v_cndmask_b32_e32 v4, 0x38000000, v4, vcc_lo
	s_delay_alu instid0(VALU_DEP_3)
	v_cndmask_b32_e32 v3, 0, v3, vcc_lo
	s_branch .LBB249_153
.LBB249_150:
	s_or_saveexec_b32 s34, s34
                                        ; implicit-def: $sgpr35
	s_delay_alu instid0(SALU_CYCLE_1)
	s_xor_b32 exec_lo, exec_lo, s34
	s_cbranch_execz .LBB249_52
.LBB249_151:
	v_add_f32_e64 v3, 0x46000000, |v2|
	s_and_not1_b32 s23, s23, exec_lo
	s_mov_b32 s35, 0
	s_delay_alu instid0(VALU_DEP_1) | instskip(NEXT) | instid1(VALU_DEP_1)
	v_and_b32_e32 v3, 0xff, v3
	v_cmp_ne_u32_e32 vcc_lo, 0, v3
	s_and_b32 s38, vcc_lo, exec_lo
	s_delay_alu instid0(SALU_CYCLE_1)
	s_or_b32 s23, s23, s38
	s_or_b32 exec_lo, exec_lo, s34
	v_mov_b32_e32 v7, s35
	s_and_saveexec_b32 s34, s23
	s_cbranch_execnz .LBB249_53
	s_branch .LBB249_54
.LBB249_152:
	s_mov_b32 s22, -1
                                        ; implicit-def: $vgpr3_vgpr4
.LBB249_153:
	s_mov_b32 s3, 0
.LBB249_154:
	s_delay_alu instid0(SALU_CYCLE_1)
	s_and_b32 vcc_lo, exec_lo, s3
	s_cbranch_vccz .LBB249_158
; %bb.155:
	v_cmp_eq_u16_e32 vcc_lo, 29, v9
	s_cbranch_vccz .LBB249_157
; %bb.156:
	global_load_b64 v[3:4], v[1:2], off
	s_mov_b32 s2, -1
	s_mov_b32 s22, 0
	s_mov_b32 s3, 0
	s_waitcnt vmcnt(0)
	v_cvt_f64_u32_e32 v[4:5], v4
	v_cvt_f64_u32_e32 v[6:7], v3
	s_delay_alu instid0(VALU_DEP_2) | instskip(NEXT) | instid1(VALU_DEP_1)
	v_ldexp_f64 v[4:5], v[4:5], 32
	v_add_f64 v[3:4], v[4:5], v[6:7]
	s_branch .LBB249_159
.LBB249_157:
	s_mov_b32 s22, -1
                                        ; implicit-def: $vgpr3_vgpr4
.LBB249_158:
	s_mov_b32 s3, 0
.LBB249_159:
	s_delay_alu instid0(SALU_CYCLE_1)
	s_and_b32 vcc_lo, exec_lo, s3
	s_cbranch_vccz .LBB249_179
; %bb.160:
	v_cmp_gt_i16_e32 vcc_lo, 27, v9
	s_cbranch_vccnz .LBB249_163
; %bb.161:
	v_cmp_lt_i16_e32 vcc_lo, 27, v9
	s_cbranch_vccz .LBB249_164
; %bb.162:
	global_load_b32 v3, v[1:2], off
	s_mov_b32 s2, 0
	s_waitcnt vmcnt(0)
	v_cvt_f64_u32_e32 v[3:4], v3
	s_branch .LBB249_165
.LBB249_163:
	s_mov_b32 s2, -1
                                        ; implicit-def: $vgpr3_vgpr4
	s_branch .LBB249_168
.LBB249_164:
	s_mov_b32 s2, -1
                                        ; implicit-def: $vgpr3_vgpr4
.LBB249_165:
	s_delay_alu instid0(SALU_CYCLE_1)
	s_and_not1_b32 vcc_lo, exec_lo, s2
	s_cbranch_vccnz .LBB249_167
; %bb.166:
	global_load_u16 v3, v[1:2], off
	s_waitcnt vmcnt(0)
	v_cvt_f64_u32_e32 v[3:4], v3
.LBB249_167:
	s_mov_b32 s2, 0
.LBB249_168:
	s_delay_alu instid0(SALU_CYCLE_1)
	s_and_not1_b32 vcc_lo, exec_lo, s2
	s_cbranch_vccnz .LBB249_178
; %bb.169:
	global_load_u8 v5, v[1:2], off
	s_mov_b32 s23, 0
	s_mov_b32 s34, exec_lo
                                        ; implicit-def: $sgpr2_sgpr3
	s_waitcnt vmcnt(0)
	v_cmpx_lt_i16_e32 0x7f, v5
	s_xor_b32 s34, exec_lo, s34
	s_cbranch_execz .LBB249_173
; %bb.170:
	s_mov_b32 s35, -1
	s_mov_b32 s23, exec_lo
                                        ; implicit-def: $sgpr2_sgpr3
	v_cmpx_eq_u16_e32 0x80, v5
; %bb.171:
	s_mov_b32 s3, 0x7ff80000
	s_brev_b32 s2, 4
	s_xor_b32 s35, exec_lo, -1
; %bb.172:
	s_or_b32 exec_lo, exec_lo, s23
	s_delay_alu instid0(SALU_CYCLE_1)
	s_and_b32 s23, s35, exec_lo
.LBB249_173:
	s_or_saveexec_b32 s34, s34
	v_dual_mov_b32 v4, s3 :: v_dual_mov_b32 v3, s2
	s_xor_b32 exec_lo, exec_lo, s34
; %bb.174:
	v_cmp_ne_u16_e32 vcc_lo, 0, v5
	v_mov_b32_e32 v3, 0
	v_mov_b32_e32 v4, 0
	s_and_not1_b32 s2, s23, exec_lo
	s_and_b32 s3, vcc_lo, exec_lo
	s_delay_alu instid0(SALU_CYCLE_1)
	s_or_b32 s23, s2, s3
; %bb.175:
	s_or_b32 exec_lo, exec_lo, s34
	s_and_saveexec_b32 s2, s23
	s_cbranch_execz .LBB249_177
; %bb.176:
	v_and_b32_e32 v3, 0xffff, v5
	v_lshlrev_b32_e32 v5, 24, v5
	s_delay_alu instid0(VALU_DEP_2) | instskip(NEXT) | instid1(VALU_DEP_2)
	v_and_b32_e32 v4, 7, v3
	v_and_b32_e32 v5, 0x80000000, v5
	s_delay_alu instid0(VALU_DEP_2) | instskip(NEXT) | instid1(VALU_DEP_1)
	v_clz_i32_u32_e32 v6, v4
	v_min_u32_e32 v6, 32, v6
	s_delay_alu instid0(VALU_DEP_1) | instskip(SKIP_1) | instid1(VALU_DEP_2)
	v_subrev_nc_u32_e32 v7, 28, v6
	v_sub_nc_u32_e32 v6, 29, v6
	v_lshlrev_b32_e32 v7, v7, v3
	v_bfe_u32 v3, v3, 3, 4
	s_delay_alu instid0(VALU_DEP_2) | instskip(NEXT) | instid1(VALU_DEP_2)
	v_and_b32_e32 v7, 7, v7
	v_cmp_eq_u32_e32 vcc_lo, 0, v3
	s_delay_alu instid0(VALU_DEP_2) | instskip(NEXT) | instid1(VALU_DEP_1)
	v_dual_cndmask_b32 v3, v3, v6 :: v_dual_cndmask_b32 v4, v4, v7
	v_lshl_add_u32 v3, v3, 23, 0x3b800000
	s_delay_alu instid0(VALU_DEP_2) | instskip(NEXT) | instid1(VALU_DEP_1)
	v_lshlrev_b32_e32 v4, 20, v4
	v_or3_b32 v3, v5, v3, v4
	s_delay_alu instid0(VALU_DEP_1)
	v_cvt_f64_f32_e32 v[3:4], v3
.LBB249_177:
	s_or_b32 exec_lo, exec_lo, s2
.LBB249_178:
	s_mov_b32 s2, -1
.LBB249_179:
	s_branch .LBB249_212
.LBB249_180:
	v_cmp_lt_i16_e32 vcc_lo, 22, v9
	s_cbranch_vccz .LBB249_192
; %bb.181:
	v_cmp_gt_i16_e32 vcc_lo, 24, v9
	s_cbranch_vccnz .LBB249_193
; %bb.182:
	v_cmp_lt_i16_e32 vcc_lo, 24, v9
	s_cbranch_vccz .LBB249_194
; %bb.183:
	global_load_u8 v5, v[1:2], off
	s_mov_b32 s23, 0
	s_mov_b32 s34, exec_lo
                                        ; implicit-def: $sgpr2_sgpr3
	s_waitcnt vmcnt(0)
	v_cmpx_lt_i16_e32 0x7f, v5
	s_xor_b32 s34, exec_lo, s34
	s_cbranch_execz .LBB249_187
; %bb.184:
	s_mov_b32 s35, -1
	s_mov_b32 s23, exec_lo
                                        ; implicit-def: $sgpr2_sgpr3
	v_cmpx_eq_u16_e32 0x80, v5
; %bb.185:
	s_mov_b32 s3, 0x7ff80000
	s_brev_b32 s2, 4
	s_xor_b32 s35, exec_lo, -1
; %bb.186:
	s_or_b32 exec_lo, exec_lo, s23
	s_delay_alu instid0(SALU_CYCLE_1)
	s_and_b32 s23, s35, exec_lo
.LBB249_187:
	s_or_saveexec_b32 s34, s34
	v_dual_mov_b32 v4, s3 :: v_dual_mov_b32 v3, s2
	s_xor_b32 exec_lo, exec_lo, s34
; %bb.188:
	v_cmp_ne_u16_e32 vcc_lo, 0, v5
	v_mov_b32_e32 v3, 0
	v_mov_b32_e32 v4, 0
	s_and_not1_b32 s2, s23, exec_lo
	s_and_b32 s3, vcc_lo, exec_lo
	s_delay_alu instid0(SALU_CYCLE_1)
	s_or_b32 s23, s2, s3
; %bb.189:
	s_or_b32 exec_lo, exec_lo, s34
	s_and_saveexec_b32 s2, s23
	s_cbranch_execz .LBB249_191
; %bb.190:
	v_and_b32_e32 v3, 0xffff, v5
	v_lshlrev_b32_e32 v5, 24, v5
	s_delay_alu instid0(VALU_DEP_2) | instskip(NEXT) | instid1(VALU_DEP_2)
	v_and_b32_e32 v4, 3, v3
	v_and_b32_e32 v5, 0x80000000, v5
	s_delay_alu instid0(VALU_DEP_2) | instskip(NEXT) | instid1(VALU_DEP_1)
	v_clz_i32_u32_e32 v6, v4
	v_min_u32_e32 v6, 32, v6
	s_delay_alu instid0(VALU_DEP_1) | instskip(SKIP_1) | instid1(VALU_DEP_2)
	v_subrev_nc_u32_e32 v7, 29, v6
	v_sub_nc_u32_e32 v6, 30, v6
	v_lshlrev_b32_e32 v7, v7, v3
	v_bfe_u32 v3, v3, 2, 5
	s_delay_alu instid0(VALU_DEP_2) | instskip(NEXT) | instid1(VALU_DEP_2)
	v_and_b32_e32 v7, 3, v7
	v_cmp_eq_u32_e32 vcc_lo, 0, v3
	s_delay_alu instid0(VALU_DEP_2) | instskip(NEXT) | instid1(VALU_DEP_1)
	v_dual_cndmask_b32 v3, v3, v6 :: v_dual_cndmask_b32 v4, v4, v7
	v_lshl_add_u32 v3, v3, 23, 0x37800000
	s_delay_alu instid0(VALU_DEP_2) | instskip(NEXT) | instid1(VALU_DEP_1)
	v_lshlrev_b32_e32 v4, 21, v4
	v_or3_b32 v3, v5, v3, v4
	s_delay_alu instid0(VALU_DEP_1)
	v_cvt_f64_f32_e32 v[3:4], v3
.LBB249_191:
	s_or_b32 exec_lo, exec_lo, s2
	s_mov_b32 s2, 0
	s_branch .LBB249_195
.LBB249_192:
	s_mov_b32 s3, -1
                                        ; implicit-def: $vgpr3_vgpr4
	s_branch .LBB249_201
.LBB249_193:
	s_mov_b32 s2, -1
                                        ; implicit-def: $vgpr3_vgpr4
	s_branch .LBB249_198
.LBB249_194:
	s_mov_b32 s2, -1
                                        ; implicit-def: $vgpr3_vgpr4
.LBB249_195:
	s_delay_alu instid0(SALU_CYCLE_1)
	s_and_b32 vcc_lo, exec_lo, s2
	s_cbranch_vccz .LBB249_197
; %bb.196:
	global_load_u8 v3, v[1:2], off
	s_waitcnt vmcnt(0)
	v_lshlrev_b32_e32 v3, 24, v3
	s_delay_alu instid0(VALU_DEP_1) | instskip(NEXT) | instid1(VALU_DEP_1)
	v_and_b32_e32 v4, 0x7f000000, v3
	v_clz_i32_u32_e32 v5, v4
	v_add_nc_u32_e32 v7, 0x1000000, v4
	v_cmp_ne_u32_e32 vcc_lo, 0, v4
	s_delay_alu instid0(VALU_DEP_3) | instskip(NEXT) | instid1(VALU_DEP_1)
	v_min_u32_e32 v5, 32, v5
	v_sub_nc_u32_e64 v5, v5, 4 clamp
	s_delay_alu instid0(VALU_DEP_1) | instskip(SKIP_1) | instid1(VALU_DEP_2)
	v_lshlrev_b32_e32 v6, v5, v4
	v_lshlrev_b32_e32 v5, 23, v5
	v_lshrrev_b32_e32 v6, 4, v6
	s_delay_alu instid0(VALU_DEP_1) | instskip(SKIP_1) | instid1(VALU_DEP_2)
	v_sub_nc_u32_e32 v5, v6, v5
	v_ashrrev_i32_e32 v6, 8, v7
	v_add_nc_u32_e32 v5, 0x3c000000, v5
	s_delay_alu instid0(VALU_DEP_1) | instskip(NEXT) | instid1(VALU_DEP_1)
	v_and_or_b32 v5, 0x7f800000, v6, v5
	v_cndmask_b32_e32 v4, 0, v5, vcc_lo
	s_delay_alu instid0(VALU_DEP_1) | instskip(NEXT) | instid1(VALU_DEP_1)
	v_and_or_b32 v3, 0x80000000, v3, v4
	v_cvt_f64_f32_e32 v[3:4], v3
.LBB249_197:
	s_mov_b32 s2, 0
.LBB249_198:
	s_delay_alu instid0(SALU_CYCLE_1)
	s_and_not1_b32 vcc_lo, exec_lo, s2
	s_cbranch_vccnz .LBB249_200
; %bb.199:
	global_load_u8 v3, v[1:2], off
	s_waitcnt vmcnt(0)
	v_lshlrev_b32_e32 v4, 25, v3
	v_lshlrev_b16 v3, 8, v3
	s_delay_alu instid0(VALU_DEP_2) | instskip(NEXT) | instid1(VALU_DEP_2)
	v_lshrrev_b32_e32 v5, 4, v4
	v_and_or_b32 v6, 0x7f00, v3, 0.5
	v_bfe_i32 v3, v3, 0, 16
	s_delay_alu instid0(VALU_DEP_3) | instskip(NEXT) | instid1(VALU_DEP_1)
	v_or_b32_e32 v5, 0x70000000, v5
	v_dual_add_f32 v6, -0.5, v6 :: v_dual_mul_f32 v5, 0x7800000, v5
	v_cmp_gt_u32_e32 vcc_lo, 0x8000000, v4
	s_delay_alu instid0(VALU_DEP_2) | instskip(NEXT) | instid1(VALU_DEP_1)
	v_cndmask_b32_e32 v4, v5, v6, vcc_lo
	v_and_or_b32 v3, 0x80000000, v3, v4
	s_delay_alu instid0(VALU_DEP_1)
	v_cvt_f64_f32_e32 v[3:4], v3
.LBB249_200:
	s_mov_b32 s3, 0
	s_mov_b32 s2, -1
.LBB249_201:
	s_and_not1_b32 vcc_lo, exec_lo, s3
	s_cbranch_vccnz .LBB249_212
; %bb.202:
	v_cmp_lt_i16_e32 vcc_lo, 14, v9
	s_cbranch_vccz .LBB249_205
; %bb.203:
	v_cmp_eq_u16_e32 vcc_lo, 15, v9
	s_cbranch_vccz .LBB249_206
; %bb.204:
	global_load_u16 v3, v[1:2], off
	s_mov_b32 s2, -1
	s_mov_b32 s22, 0
	s_waitcnt vmcnt(0)
	v_lshlrev_b32_e32 v3, 16, v3
	s_delay_alu instid0(VALU_DEP_1)
	v_cvt_f64_f32_e32 v[3:4], v3
	s_branch .LBB249_207
.LBB249_205:
	s_mov_b32 s3, -1
                                        ; implicit-def: $vgpr3_vgpr4
	s_branch .LBB249_208
.LBB249_206:
	s_mov_b32 s22, -1
                                        ; implicit-def: $vgpr3_vgpr4
.LBB249_207:
	s_mov_b32 s3, 0
.LBB249_208:
	s_delay_alu instid0(SALU_CYCLE_1)
	s_and_b32 vcc_lo, exec_lo, s3
	s_cbranch_vccz .LBB249_212
; %bb.209:
	v_cmp_eq_u16_e32 vcc_lo, 11, v9
	s_cbranch_vccz .LBB249_211
; %bb.210:
	global_load_u8 v3, v[1:2], off
	s_mov_b32 s22, 0
	s_mov_b32 s2, -1
	s_waitcnt vmcnt(0)
	v_cmp_ne_u16_e32 vcc_lo, 0, v3
	v_mov_b32_e32 v3, 0
	v_cndmask_b32_e64 v4, 0, 0x3ff00000, vcc_lo
	s_branch .LBB249_212
.LBB249_211:
	s_mov_b32 s22, -1
                                        ; implicit-def: $vgpr3_vgpr4
.LBB249_212:
	s_branch .LBB249_23
.LBB249_213:
	v_cmp_gt_i16_e32 vcc_lo, 5, v9
	s_cbranch_vccnz .LBB249_218
; %bb.214:
	v_cmp_gt_i16_e32 vcc_lo, 8, v9
	s_cbranch_vccnz .LBB249_219
; %bb.215:
	;; [unrolled: 3-line block ×3, first 2 shown]
	v_cmp_lt_i16_e32 vcc_lo, 9, v9
	s_cbranch_vccz .LBB249_221
; %bb.217:
	global_load_b64 v[3:4], v[1:2], off
	s_mov_b32 s2, 0
	s_branch .LBB249_222
.LBB249_218:
                                        ; implicit-def: $vgpr3_vgpr4
	s_branch .LBB249_240
.LBB249_219:
	s_mov_b32 s2, -1
                                        ; implicit-def: $vgpr3_vgpr4
	s_branch .LBB249_228
.LBB249_220:
	s_mov_b32 s2, -1
                                        ; implicit-def: $vgpr3_vgpr4
	s_branch .LBB249_225
.LBB249_221:
	s_mov_b32 s2, -1
                                        ; implicit-def: $vgpr3_vgpr4
.LBB249_222:
	s_delay_alu instid0(SALU_CYCLE_1)
	s_and_not1_b32 vcc_lo, exec_lo, s2
	s_cbranch_vccnz .LBB249_224
; %bb.223:
	global_load_b32 v3, v[1:2], off
	s_waitcnt vmcnt(0)
	v_cvt_f64_f32_e32 v[3:4], v3
.LBB249_224:
	s_mov_b32 s2, 0
.LBB249_225:
	s_delay_alu instid0(SALU_CYCLE_1)
	s_and_not1_b32 vcc_lo, exec_lo, s2
	s_cbranch_vccnz .LBB249_227
; %bb.226:
	global_load_b32 v3, v[1:2], off
	s_waitcnt vmcnt(0)
	v_cvt_f32_f16_e32 v3, v3
	s_delay_alu instid0(VALU_DEP_1)
	v_cvt_f64_f32_e32 v[3:4], v3
.LBB249_227:
	s_mov_b32 s2, 0
.LBB249_228:
	s_delay_alu instid0(SALU_CYCLE_1)
	s_and_not1_b32 vcc_lo, exec_lo, s2
	s_cbranch_vccnz .LBB249_239
; %bb.229:
	v_cmp_gt_i16_e32 vcc_lo, 6, v9
	s_cbranch_vccnz .LBB249_232
; %bb.230:
	v_cmp_lt_i16_e32 vcc_lo, 6, v9
	s_cbranch_vccz .LBB249_233
; %bb.231:
	global_load_b64 v[3:4], v[1:2], off
	s_mov_b32 s2, 0
	s_branch .LBB249_234
.LBB249_232:
	s_mov_b32 s2, -1
                                        ; implicit-def: $vgpr3_vgpr4
	s_branch .LBB249_237
.LBB249_233:
	s_mov_b32 s2, -1
                                        ; implicit-def: $vgpr3_vgpr4
.LBB249_234:
	s_delay_alu instid0(SALU_CYCLE_1)
	s_and_not1_b32 vcc_lo, exec_lo, s2
	s_cbranch_vccnz .LBB249_236
; %bb.235:
	global_load_b32 v3, v[1:2], off
	s_waitcnt vmcnt(0)
	v_cvt_f64_f32_e32 v[3:4], v3
.LBB249_236:
	s_mov_b32 s2, 0
.LBB249_237:
	s_delay_alu instid0(SALU_CYCLE_1)
	s_and_not1_b32 vcc_lo, exec_lo, s2
	s_cbranch_vccnz .LBB249_239
; %bb.238:
	global_load_u16 v3, v[1:2], off
	s_waitcnt vmcnt(0)
	v_cvt_f32_f16_e32 v3, v3
	s_delay_alu instid0(VALU_DEP_1)
	v_cvt_f64_f32_e32 v[3:4], v3
.LBB249_239:
	s_cbranch_execnz .LBB249_259
.LBB249_240:
	v_cmp_gt_i16_e32 vcc_lo, 2, v9
	s_cbranch_vccnz .LBB249_244
; %bb.241:
	v_cmp_gt_i16_e32 vcc_lo, 3, v9
	s_cbranch_vccnz .LBB249_245
; %bb.242:
	v_cmp_lt_i16_e32 vcc_lo, 3, v9
	s_cbranch_vccz .LBB249_246
; %bb.243:
	global_load_b64 v[3:4], v[1:2], off
	s_mov_b32 s2, 0
	s_waitcnt vmcnt(0)
	v_cvt_f64_i32_e32 v[4:5], v4
	v_cvt_f64_u32_e32 v[6:7], v3
	s_delay_alu instid0(VALU_DEP_2) | instskip(NEXT) | instid1(VALU_DEP_1)
	v_ldexp_f64 v[4:5], v[4:5], 32
	v_add_f64 v[3:4], v[4:5], v[6:7]
	s_branch .LBB249_247
.LBB249_244:
	s_mov_b32 s2, -1
                                        ; implicit-def: $vgpr3_vgpr4
	s_branch .LBB249_253
.LBB249_245:
	s_mov_b32 s2, -1
                                        ; implicit-def: $vgpr3_vgpr4
	s_branch .LBB249_250
.LBB249_246:
	s_mov_b32 s2, -1
                                        ; implicit-def: $vgpr3_vgpr4
.LBB249_247:
	s_delay_alu instid0(SALU_CYCLE_1)
	s_and_not1_b32 vcc_lo, exec_lo, s2
	s_cbranch_vccnz .LBB249_249
; %bb.248:
	global_load_b32 v3, v[1:2], off
	s_waitcnt vmcnt(0)
	v_cvt_f64_i32_e32 v[3:4], v3
.LBB249_249:
	s_mov_b32 s2, 0
.LBB249_250:
	s_delay_alu instid0(SALU_CYCLE_1)
	s_and_not1_b32 vcc_lo, exec_lo, s2
	s_cbranch_vccnz .LBB249_252
; %bb.251:
	global_load_i16 v3, v[1:2], off
	s_waitcnt vmcnt(0)
	v_cvt_f64_i32_e32 v[3:4], v3
.LBB249_252:
	s_mov_b32 s2, 0
.LBB249_253:
	s_delay_alu instid0(SALU_CYCLE_1)
	s_and_not1_b32 vcc_lo, exec_lo, s2
	s_cbranch_vccnz .LBB249_259
; %bb.254:
	v_cmp_lt_i16_e32 vcc_lo, 0, v9
	s_mov_b32 s2, 0
	s_cbranch_vccz .LBB249_256
; %bb.255:
	global_load_i8 v3, v[1:2], off
	s_waitcnt vmcnt(0)
	v_cvt_f64_i32_e32 v[3:4], v3
	s_branch .LBB249_257
.LBB249_256:
	s_mov_b32 s2, -1
                                        ; implicit-def: $vgpr3_vgpr4
.LBB249_257:
	s_delay_alu instid0(SALU_CYCLE_1)
	s_and_not1_b32 vcc_lo, exec_lo, s2
	s_cbranch_vccnz .LBB249_259
; %bb.258:
	global_load_u8 v1, v[1:2], off
	s_waitcnt vmcnt(0)
	v_cvt_f64_u32_e32 v[3:4], v1
.LBB249_259:
	s_branch .LBB249_24
.LBB249_260:
	s_mov_b32 s3, 0
.LBB249_261:
	s_mov_b32 s2, 0
                                        ; implicit-def: $vgpr10
.LBB249_262:
	s_and_b32 s34, s3, exec_lo
	s_and_b32 s35, s22, exec_lo
	s_or_not1_b32 s3, s2, exec_lo
.LBB249_263:
	s_or_b32 exec_lo, exec_lo, s36
	s_mov_b32 s22, 0
	s_mov_b32 s2, 0
                                        ; implicit-def: $vgpr0_vgpr1
                                        ; implicit-def: $vgpr2
                                        ; implicit-def: $vgpr6_vgpr7
	s_and_saveexec_b32 s36, s3
	s_cbranch_execz .LBB249_906
; %bb.264:
	s_mov_b32 s2, -1
	s_mov_b32 s37, s35
	s_mov_b32 s38, s34
	s_mov_b32 s39, exec_lo
	v_cmpx_gt_i32_e64 s30, v10
	s_cbranch_execz .LBB249_533
; %bb.265:
	s_and_not1_b32 vcc_lo, exec_lo, s27
	s_cbranch_vccnz .LBB249_270
; %bb.266:
	v_dual_mov_b32 v0, 0 :: v_dual_mov_b32 v1, 0
	s_and_not1_b32 vcc_lo, exec_lo, s33
	s_mov_b32 s37, 0
	s_cbranch_vccnz .LBB249_275
; %bb.267:
	v_mov_b32_e32 v0, 0
	s_add_i32 s40, s31, 1
	s_cmp_eq_u32 s25, 2
	s_mov_b32 s38, 0
	s_cbranch_scc1 .LBB249_271
; %bb.268:
	v_dual_mov_b32 v1, 0 :: v_dual_mov_b32 v0, 0
	v_mov_b32_e32 v2, v10
	s_and_b32 s38, s40, 28
	s_mov_b32 s41, 0
	s_mov_b64 s[2:3], s[20:21]
	s_mov_b64 s[22:23], s[16:17]
.LBB249_269:                            ; =>This Inner Loop Header: Depth=1
	s_clause 0x1
	s_load_b256 s[44:51], s[22:23], 0x4
	s_load_b128 s[60:63], s[22:23], 0x24
	s_load_b256 s[52:59], s[2:3], 0x0
	s_add_u32 s22, s22, 48
	s_addc_u32 s23, s23, 0
	s_add_i32 s41, s41, 4
	s_add_u32 s2, s2, 32
	s_addc_u32 s3, s3, 0
	s_cmp_eq_u32 s38, s41
	s_waitcnt vmcnt(0) lgkmcnt(0)
	v_mul_hi_u32 v3, s45, v2
	s_delay_alu instid0(VALU_DEP_1) | instskip(NEXT) | instid1(VALU_DEP_1)
	v_add_nc_u32_e32 v3, v2, v3
	v_lshrrev_b32_e32 v3, s46, v3
	s_delay_alu instid0(VALU_DEP_1) | instskip(SKIP_1) | instid1(VALU_DEP_2)
	v_mul_hi_u32 v4, s48, v3
	v_mul_lo_u32 v6, v3, s44
	v_add_nc_u32_e32 v4, v3, v4
	s_delay_alu instid0(VALU_DEP_2) | instskip(NEXT) | instid1(VALU_DEP_2)
	v_sub_nc_u32_e32 v2, v2, v6
	v_lshrrev_b32_e32 v4, s49, v4
	s_delay_alu instid0(VALU_DEP_2) | instskip(SKIP_1) | instid1(VALU_DEP_3)
	v_mul_lo_u32 v6, v2, s52
	v_mul_lo_u32 v11, v2, s53
	v_mul_hi_u32 v5, s51, v4
	s_delay_alu instid0(VALU_DEP_1) | instskip(NEXT) | instid1(VALU_DEP_1)
	v_add_nc_u32_e32 v5, v4, v5
	v_lshrrev_b32_e32 v5, s60, v5
	s_delay_alu instid0(VALU_DEP_1) | instskip(SKIP_1) | instid1(VALU_DEP_2)
	v_mul_hi_u32 v7, s62, v5
	v_mul_lo_u32 v12, v5, s50
	v_add_nc_u32_e32 v2, v5, v7
	v_mul_lo_u32 v7, v4, s47
	s_delay_alu instid0(VALU_DEP_3) | instskip(NEXT) | instid1(VALU_DEP_3)
	v_sub_nc_u32_e32 v4, v4, v12
	v_lshrrev_b32_e32 v2, s63, v2
	s_delay_alu instid0(VALU_DEP_2) | instskip(SKIP_2) | instid1(VALU_DEP_4)
	v_mul_lo_u32 v12, v4, s56
	v_mul_lo_u32 v4, v4, s57
	v_sub_nc_u32_e32 v3, v3, v7
	v_mul_lo_u32 v13, v2, s61
	s_delay_alu instid0(VALU_DEP_2) | instskip(SKIP_1) | instid1(VALU_DEP_3)
	v_mul_lo_u32 v7, v3, s54
	v_mul_lo_u32 v3, v3, s55
	v_sub_nc_u32_e32 v5, v5, v13
	s_delay_alu instid0(VALU_DEP_3) | instskip(NEXT) | instid1(VALU_DEP_2)
	v_add3_u32 v0, v6, v0, v7
	v_mul_lo_u32 v13, v5, s58
	v_mul_lo_u32 v5, v5, s59
	v_add3_u32 v1, v11, v1, v3
	s_delay_alu instid0(VALU_DEP_3) | instskip(NEXT) | instid1(VALU_DEP_2)
	v_add3_u32 v0, v12, v0, v13
	v_add3_u32 v1, v4, v1, v5
	s_cbranch_scc0 .LBB249_269
	s_branch .LBB249_272
.LBB249_270:
	s_mov_b32 s37, -1
                                        ; implicit-def: $vgpr0
                                        ; implicit-def: $vgpr1
	s_branch .LBB249_275
.LBB249_271:
	v_dual_mov_b32 v2, v10 :: v_dual_mov_b32 v1, 0
.LBB249_272:
	s_and_b32 s40, s40, 3
	s_delay_alu instid0(SALU_CYCLE_1)
	s_cmp_eq_u32 s40, 0
	s_cbranch_scc1 .LBB249_275
; %bb.273:
	s_lshl_b32 s2, s38, 3
	s_mul_i32 s22, s38, 12
	s_add_u32 s2, s2, s16
	s_addc_u32 s3, s17, 0
	s_add_u32 s2, s2, 0xc4
	s_addc_u32 s3, s3, 0
	;; [unrolled: 2-line block ×3, first 2 shown]
	.p2align	6
.LBB249_274:                            ; =>This Inner Loop Header: Depth=1
	s_clause 0x1
	s_load_b64 s[42:43], s[22:23], 0x4
	s_load_b32 s38, s[22:23], 0xc
	s_load_b64 s[44:45], s[2:3], 0x0
	s_add_u32 s22, s22, 12
	s_addc_u32 s23, s23, 0
	s_add_u32 s2, s2, 8
	s_addc_u32 s3, s3, 0
	s_add_i32 s40, s40, -1
	s_delay_alu instid0(SALU_CYCLE_1) | instskip(SKIP_2) | instid1(VALU_DEP_1)
	s_cmp_lg_u32 s40, 0
	s_waitcnt vmcnt(0) lgkmcnt(0)
	v_mul_hi_u32 v3, s43, v2
	v_add_nc_u32_e32 v3, v2, v3
	s_delay_alu instid0(VALU_DEP_1) | instskip(NEXT) | instid1(VALU_DEP_1)
	v_lshrrev_b32_e32 v6, s38, v3
	v_mul_lo_u32 v3, v6, s42
	s_delay_alu instid0(VALU_DEP_1) | instskip(NEXT) | instid1(VALU_DEP_1)
	v_sub_nc_u32_e32 v2, v2, v3
	v_mad_u64_u32 v[3:4], null, v2, s44, v[0:1]
	v_mad_u64_u32 v[4:5], null, v2, s45, v[1:2]
	v_mov_b32_e32 v2, v6
	s_delay_alu instid0(VALU_DEP_2)
	v_dual_mov_b32 v0, v3 :: v_dual_mov_b32 v1, v4
	s_cbranch_scc1 .LBB249_274
.LBB249_275:
	s_and_not1_b32 vcc_lo, exec_lo, s37
	s_cbranch_vccnz .LBB249_278
; %bb.276:
	s_waitcnt lgkmcnt(0)
	v_mul_hi_u32 v0, s13, v10
	s_and_not1_b32 vcc_lo, exec_lo, s29
	s_delay_alu instid0(VALU_DEP_1) | instskip(NEXT) | instid1(VALU_DEP_1)
	v_add_nc_u32_e32 v0, v10, v0
	v_lshrrev_b32_e32 v2, s14, v0
	s_delay_alu instid0(VALU_DEP_1) | instskip(NEXT) | instid1(VALU_DEP_1)
	v_mul_lo_u32 v0, v2, s12
	v_sub_nc_u32_e32 v1, v10, v0
	s_delay_alu instid0(VALU_DEP_1)
	v_mul_lo_u32 v0, v1, s8
	v_mul_lo_u32 v1, v1, s9
	s_cbranch_vccnz .LBB249_278
; %bb.277:
	s_waitcnt vmcnt(0)
	v_mul_hi_u32 v3, s18, v2
	s_delay_alu instid0(VALU_DEP_1) | instskip(NEXT) | instid1(VALU_DEP_1)
	v_add_nc_u32_e32 v3, v2, v3
	v_lshrrev_b32_e32 v3, s19, v3
	s_delay_alu instid0(VALU_DEP_1) | instskip(NEXT) | instid1(VALU_DEP_1)
	v_mul_lo_u32 v3, v3, s15
	v_sub_nc_u32_e32 v5, v2, v3
	s_delay_alu instid0(VALU_DEP_1) | instskip(NEXT) | instid1(VALU_DEP_1)
	v_mad_u64_u32 v[2:3], null, v5, s10, v[0:1]
	v_mad_u64_u32 v[3:4], null, v5, s11, v[1:2]
	s_delay_alu instid0(VALU_DEP_1)
	v_dual_mov_b32 v0, v2 :: v_dual_mov_b32 v1, v3
.LBB249_278:
	v_cmp_gt_i16_e32 vcc_lo, 11, v9
	s_waitcnt lgkmcnt(0)
	s_delay_alu instid0(VALU_DEP_2) | instskip(NEXT) | instid1(VALU_DEP_1)
	v_add_co_u32 v1, s2, s6, v1
	v_add_co_ci_u32_e64 v2, null, s7, 0, s2
	s_mov_b32 s2, 0
	s_cbranch_vccnz .LBB249_285
; %bb.279:
	v_cmp_lt_i16_e32 vcc_lo, 25, v9
	s_cbranch_vccz .LBB249_334
; %bb.280:
	v_cmp_lt_i16_e32 vcc_lo, 28, v9
	s_cbranch_vccz .LBB249_335
	;; [unrolled: 3-line block ×4, first 2 shown]
; %bb.283:
	v_cmp_eq_u16_e32 vcc_lo, 46, v9
	s_mov_b32 s3, 0
	s_cbranch_vccz .LBB249_343
; %bb.284:
	global_load_b32 v3, v[1:2], off
	s_mov_b32 s2, -1
	s_mov_b32 s22, 0
	s_waitcnt vmcnt(0)
	v_lshlrev_b32_e32 v3, 16, v3
	s_delay_alu instid0(VALU_DEP_1)
	v_cvt_f64_f32_e32 v[3:4], v3
	s_branch .LBB249_345
.LBB249_285:
	s_mov_b32 s22, s35
                                        ; implicit-def: $vgpr3_vgpr4
	s_cbranch_execnz .LBB249_482
.LBB249_286:
	s_and_not1_b32 vcc_lo, exec_lo, s2
	s_cbranch_vccnz .LBB249_530
.LBB249_287:
	s_waitcnt vmcnt(0)
	s_delay_alu instid0(VALU_DEP_1) | instskip(SKIP_2) | instid1(VALU_DEP_1)
	v_cmp_gt_f64_e32 vcc_lo, 0x10000000, v[3:4]
	s_mov_b32 s3, 0
	v_cndmask_b32_e64 v1, 0, 1, vcc_lo
	v_lshlrev_b32_e32 v1, 8, v1
	s_delay_alu instid0(VALU_DEP_1) | instskip(SKIP_1) | instid1(VALU_DEP_2)
	v_ldexp_f64 v[2:3], v[3:4], v1
	v_cndmask_b32_e64 v1, 0, 0xffffff80, vcc_lo
	v_rsq_f64_e32 v[4:5], v[2:3]
	v_cmp_class_f64_e64 vcc_lo, v[2:3], 0x260
	s_waitcnt_depctr 0xfff
	v_mul_f64 v[6:7], v[2:3], v[4:5]
	v_mul_f64 v[4:5], v[4:5], 0.5
	s_delay_alu instid0(VALU_DEP_1) | instskip(NEXT) | instid1(VALU_DEP_1)
	v_fma_f64 v[11:12], -v[4:5], v[6:7], 0.5
	v_fma_f64 v[6:7], v[6:7], v[11:12], v[6:7]
	v_fma_f64 v[4:5], v[4:5], v[11:12], v[4:5]
	s_delay_alu instid0(VALU_DEP_2) | instskip(NEXT) | instid1(VALU_DEP_1)
	v_fma_f64 v[11:12], -v[6:7], v[6:7], v[2:3]
	v_fma_f64 v[6:7], v[11:12], v[4:5], v[6:7]
	s_delay_alu instid0(VALU_DEP_1) | instskip(NEXT) | instid1(VALU_DEP_1)
	v_fma_f64 v[11:12], -v[6:7], v[6:7], v[2:3]
	v_fma_f64 v[4:5], v[11:12], v[4:5], v[6:7]
	s_delay_alu instid0(VALU_DEP_1) | instskip(SKIP_2) | instid1(VALU_DEP_1)
	v_ldexp_f64 v[11:12], v[4:5], v1
	v_and_b32_e32 v6, 0xff, v8
	v_add_co_u32 v4, s23, s4, v0
	v_add_co_ci_u32_e64 v5, null, s5, 0, s23
	s_mov_b32 s23, -1
	s_delay_alu instid0(VALU_DEP_4) | instskip(SKIP_2) | instid1(VALU_DEP_2)
	v_cndmask_b32_e32 v1, v12, v3, vcc_lo
	v_cmp_gt_i16_e64 s2, 11, v6
	v_cndmask_b32_e32 v0, v11, v2, vcc_lo
	s_and_b32 vcc_lo, exec_lo, s2
	s_mov_b32 s2, s34
	s_cbranch_vccnz .LBB249_294
; %bb.288:
	v_cmp_lt_i16_e32 vcc_lo, 25, v6
	s_cbranch_vccz .LBB249_336
; %bb.289:
	v_cmp_lt_i16_e32 vcc_lo, 28, v6
	s_cbranch_vccz .LBB249_338
	;; [unrolled: 3-line block ×4, first 2 shown]
; %bb.292:
	v_cmp_eq_u16_e32 vcc_lo, 46, v6
	s_mov_b32 s23, 0
	s_mov_b32 s2, -1
	s_cbranch_vccz .LBB249_349
; %bb.293:
	v_cvt_f32_f64_e32 v2, v[0:1]
	s_mov_b32 s3, -1
	s_mov_b32 s2, 0
	s_delay_alu instid0(VALU_DEP_1) | instskip(SKIP_1) | instid1(VALU_DEP_2)
	v_bfe_u32 v3, v2, 16, 1
	v_cmp_o_f32_e32 vcc_lo, v2, v2
	v_add3_u32 v3, v2, v3, 0x7fff
	s_delay_alu instid0(VALU_DEP_1) | instskip(NEXT) | instid1(VALU_DEP_1)
	v_lshrrev_b32_e32 v3, 16, v3
	v_cndmask_b32_e32 v2, 0x7fc0, v3, vcc_lo
	global_store_b32 v[4:5], v2, off
	s_branch .LBB249_349
.LBB249_294:
	s_and_b32 vcc_lo, exec_lo, s23
	s_cbranch_vccz .LBB249_418
; %bb.295:
	v_cmp_gt_i16_e32 vcc_lo, 5, v6
	s_mov_b32 s3, -1
	s_cbranch_vccnz .LBB249_316
; %bb.296:
	v_cmp_gt_i16_e32 vcc_lo, 8, v6
	s_cbranch_vccnz .LBB249_306
; %bb.297:
	v_cmp_gt_i16_e32 vcc_lo, 9, v6
	s_cbranch_vccnz .LBB249_303
; %bb.298:
	v_cmp_lt_i16_e32 vcc_lo, 9, v6
	s_cbranch_vccz .LBB249_300
; %bb.299:
	v_mov_b32_e32 v2, 0
	s_mov_b32 s3, 0
	s_delay_alu instid0(VALU_DEP_1)
	v_mov_b32_e32 v3, v2
	global_store_b128 v[4:5], v[0:3], off
.LBB249_300:
	s_and_not1_b32 vcc_lo, exec_lo, s3
	s_cbranch_vccnz .LBB249_302
; %bb.301:
	v_cvt_f32_f64_e32 v2, v[0:1]
	v_mov_b32_e32 v3, 0
	global_store_b64 v[4:5], v[2:3], off
.LBB249_302:
	s_mov_b32 s3, 0
.LBB249_303:
	s_delay_alu instid0(SALU_CYCLE_1)
	s_and_not1_b32 vcc_lo, exec_lo, s3
	s_cbranch_vccnz .LBB249_305
; %bb.304:
	v_cvt_f32_f64_e32 v2, v[0:1]
	s_delay_alu instid0(VALU_DEP_1) | instskip(NEXT) | instid1(VALU_DEP_1)
	v_cvt_f16_f32_e32 v2, v2
	v_and_b32_e32 v2, 0xffff, v2
	global_store_b32 v[4:5], v2, off
.LBB249_305:
	s_mov_b32 s3, 0
.LBB249_306:
	s_delay_alu instid0(SALU_CYCLE_1)
	s_and_not1_b32 vcc_lo, exec_lo, s3
	s_cbranch_vccnz .LBB249_315
; %bb.307:
	v_cmp_gt_i16_e32 vcc_lo, 6, v6
	s_mov_b32 s3, -1
	s_cbranch_vccnz .LBB249_313
; %bb.308:
	v_cmp_lt_i16_e32 vcc_lo, 6, v6
	s_cbranch_vccz .LBB249_310
; %bb.309:
	s_mov_b32 s3, 0
	global_store_b64 v[4:5], v[0:1], off
.LBB249_310:
	s_and_not1_b32 vcc_lo, exec_lo, s3
	s_cbranch_vccnz .LBB249_312
; %bb.311:
	v_cvt_f32_f64_e32 v2, v[0:1]
	global_store_b32 v[4:5], v2, off
.LBB249_312:
	s_mov_b32 s3, 0
.LBB249_313:
	s_delay_alu instid0(SALU_CYCLE_1)
	s_and_not1_b32 vcc_lo, exec_lo, s3
	s_cbranch_vccnz .LBB249_315
; %bb.314:
	v_cvt_f32_f64_e32 v2, v[0:1]
	s_delay_alu instid0(VALU_DEP_1)
	v_cvt_f16_f32_e32 v2, v2
	global_store_b16 v[4:5], v2, off
.LBB249_315:
	s_mov_b32 s3, 0
.LBB249_316:
	s_delay_alu instid0(SALU_CYCLE_1)
	s_and_not1_b32 vcc_lo, exec_lo, s3
	s_cbranch_vccnz .LBB249_332
; %bb.317:
	v_cmp_gt_i16_e32 vcc_lo, 2, v6
	s_mov_b32 s3, -1
	s_cbranch_vccnz .LBB249_327
; %bb.318:
	v_cmp_gt_i16_e32 vcc_lo, 3, v6
	s_cbranch_vccnz .LBB249_324
; %bb.319:
	v_cmp_lt_i16_e32 vcc_lo, 3, v6
	s_cbranch_vccz .LBB249_321
; %bb.320:
	v_trunc_f64_e32 v[2:3], v[0:1]
	s_mov_b32 s3, 0
	s_delay_alu instid0(VALU_DEP_1) | instskip(NEXT) | instid1(VALU_DEP_1)
	v_ldexp_f64 v[11:12], v[2:3], 0xffffffe0
	v_floor_f64_e32 v[11:12], v[11:12]
	s_delay_alu instid0(VALU_DEP_1) | instskip(SKIP_1) | instid1(VALU_DEP_2)
	v_fma_f64 v[2:3], 0xc1f00000, v[11:12], v[2:3]
	v_cvt_i32_f64_e32 v12, v[11:12]
	v_cvt_u32_f64_e32 v11, v[2:3]
	global_store_b64 v[4:5], v[11:12], off
.LBB249_321:
	s_and_not1_b32 vcc_lo, exec_lo, s3
	s_cbranch_vccnz .LBB249_323
; %bb.322:
	v_cvt_i32_f64_e32 v2, v[0:1]
	global_store_b32 v[4:5], v2, off
.LBB249_323:
	s_mov_b32 s3, 0
.LBB249_324:
	s_delay_alu instid0(SALU_CYCLE_1)
	s_and_not1_b32 vcc_lo, exec_lo, s3
	s_cbranch_vccnz .LBB249_326
; %bb.325:
	v_cvt_i32_f64_e32 v2, v[0:1]
	global_store_b16 v[4:5], v2, off
.LBB249_326:
	s_mov_b32 s3, 0
.LBB249_327:
	s_delay_alu instid0(SALU_CYCLE_1)
	s_and_not1_b32 vcc_lo, exec_lo, s3
	s_cbranch_vccnz .LBB249_332
; %bb.328:
	v_cmp_lt_i16_e32 vcc_lo, 0, v6
	s_mov_b32 s3, -1
	s_cbranch_vccz .LBB249_330
; %bb.329:
	v_cvt_i32_f64_e32 v2, v[0:1]
	s_mov_b32 s3, 0
	global_store_b8 v[4:5], v2, off
.LBB249_330:
	s_and_not1_b32 vcc_lo, exec_lo, s3
	s_cbranch_vccnz .LBB249_332
; %bb.331:
	v_trunc_f64_e32 v[0:1], v[0:1]
	s_delay_alu instid0(VALU_DEP_1) | instskip(NEXT) | instid1(VALU_DEP_1)
	v_ldexp_f64 v[2:3], v[0:1], 0xffffffe0
	v_floor_f64_e32 v[2:3], v[2:3]
	s_delay_alu instid0(VALU_DEP_1) | instskip(NEXT) | instid1(VALU_DEP_1)
	v_fma_f64 v[0:1], 0xc1f00000, v[2:3], v[0:1]
	v_cvt_u32_f64_e32 v0, v[0:1]
	global_store_b8 v[4:5], v0, off
.LBB249_332:
	s_branch .LBB249_419
.LBB249_333:
	s_mov_b32 s3, 0
	s_branch .LBB249_531
.LBB249_334:
	s_mov_b32 s3, -1
	s_mov_b32 s22, s35
                                        ; implicit-def: $vgpr3_vgpr4
	s_branch .LBB249_448
.LBB249_335:
	s_mov_b32 s3, -1
	s_mov_b32 s22, s35
                                        ; implicit-def: $vgpr3_vgpr4
	s_branch .LBB249_427
.LBB249_336:
	s_mov_b32 s2, s34
	s_branch .LBB249_376
.LBB249_337:
	s_mov_b32 s3, -1
	s_mov_b32 s22, s35
                                        ; implicit-def: $vgpr3_vgpr4
	s_branch .LBB249_422
.LBB249_338:
	s_mov_b32 s2, s34
	s_branch .LBB249_359
.LBB249_339:
	s_mov_b32 s3, -1
	s_mov_b32 s22, s35
	s_branch .LBB249_344
.LBB249_340:
	s_mov_b32 s2, s34
	s_branch .LBB249_355
.LBB249_341:
	s_or_saveexec_b32 s34, s34
                                        ; implicit-def: $sgpr35
	s_delay_alu instid0(SALU_CYCLE_1)
	s_xor_b32 exec_lo, exec_lo, s34
	s_cbranch_execz .LBB249_65
.LBB249_342:
	v_add_f32_e64 v3, 0x42800000, |v2|
	s_and_not1_b32 s23, s23, exec_lo
	s_mov_b32 s35, 0
	s_delay_alu instid0(VALU_DEP_1) | instskip(NEXT) | instid1(VALU_DEP_1)
	v_and_b32_e32 v3, 0xff, v3
	v_cmp_ne_u32_e32 vcc_lo, 0, v3
	s_and_b32 s38, vcc_lo, exec_lo
	s_delay_alu instid0(SALU_CYCLE_1)
	s_or_b32 s23, s23, s38
	s_or_b32 exec_lo, exec_lo, s34
	v_mov_b32_e32 v7, s35
	s_and_saveexec_b32 s34, s23
	s_cbranch_execnz .LBB249_66
	s_branch .LBB249_67
.LBB249_343:
	s_mov_b32 s22, -1
.LBB249_344:
                                        ; implicit-def: $vgpr3_vgpr4
.LBB249_345:
	s_and_b32 vcc_lo, exec_lo, s3
	s_cbranch_vccz .LBB249_421
; %bb.346:
	v_cmp_eq_u16_e32 vcc_lo, 44, v9
	s_cbranch_vccz .LBB249_420
; %bb.347:
	global_load_u8 v5, v[1:2], off
	s_mov_b32 s22, 0
	s_mov_b32 s2, -1
	s_waitcnt vmcnt(0)
	v_cmp_ne_u32_e32 vcc_lo, 0xff, v5
	v_lshlrev_b32_e32 v3, 23, v5
	s_delay_alu instid0(VALU_DEP_1) | instskip(NEXT) | instid1(VALU_DEP_1)
	v_cvt_f64_f32_e32 v[3:4], v3
	v_cndmask_b32_e32 v4, 0x7ff80000, v4, vcc_lo
	s_delay_alu instid0(VALU_DEP_2) | instskip(SKIP_1) | instid1(VALU_DEP_3)
	v_cndmask_b32_e32 v3, 0x20000000, v3, vcc_lo
	v_cmp_ne_u32_e32 vcc_lo, 0, v5
	v_cndmask_b32_e32 v4, 0x38000000, v4, vcc_lo
	s_delay_alu instid0(VALU_DEP_3)
	v_cndmask_b32_e32 v3, 0, v3, vcc_lo
	s_branch .LBB249_421
.LBB249_348:
	s_mov_b32 s2, s34
.LBB249_349:
	s_and_b32 vcc_lo, exec_lo, s23
	s_cbranch_vccz .LBB249_354
; %bb.350:
	v_cmp_eq_u16_e32 vcc_lo, 44, v6
	s_mov_b32 s2, -1
	s_cbranch_vccz .LBB249_354
; %bb.351:
	v_cvt_f32_f64_e32 v2, v[0:1]
	v_mov_b32_e32 v3, 0xff
	s_mov_b32 s3, exec_lo
	s_delay_alu instid0(VALU_DEP_2) | instskip(NEXT) | instid1(VALU_DEP_1)
	v_bfe_u32 v7, v2, 23, 8
	v_cmpx_ne_u32_e32 0xff, v7
; %bb.352:
	v_and_b32_e32 v3, 0x400000, v2
	v_and_or_b32 v7, 0x3fffff, v2, v7
	v_lshrrev_b32_e32 v2, 23, v2
	s_delay_alu instid0(VALU_DEP_3) | instskip(NEXT) | instid1(VALU_DEP_3)
	v_cmp_ne_u32_e32 vcc_lo, 0, v3
	v_cmp_ne_u32_e64 s2, 0, v7
	s_delay_alu instid0(VALU_DEP_1) | instskip(NEXT) | instid1(SALU_CYCLE_1)
	s_and_b32 s2, vcc_lo, s2
	v_cndmask_b32_e64 v3, 0, 1, s2
	s_delay_alu instid0(VALU_DEP_1)
	v_add_nc_u32_e32 v3, v2, v3
; %bb.353:
	s_or_b32 exec_lo, exec_lo, s3
	s_mov_b32 s3, -1
	s_mov_b32 s2, 0
	global_store_b8 v[4:5], v3, off
.LBB249_354:
	s_mov_b32 s23, 0
.LBB249_355:
	s_delay_alu instid0(SALU_CYCLE_1)
	s_and_b32 vcc_lo, exec_lo, s23
	s_cbranch_vccz .LBB249_358
; %bb.356:
	v_cmp_eq_u16_e32 vcc_lo, 29, v6
	s_mov_b32 s2, -1
	s_cbranch_vccz .LBB249_358
; %bb.357:
	v_trunc_f64_e32 v[2:3], v[0:1]
	s_mov_b32 s3, -1
	s_mov_b32 s2, 0
	s_mov_b32 s23, 0
	s_delay_alu instid0(VALU_DEP_1) | instskip(NEXT) | instid1(VALU_DEP_1)
	v_ldexp_f64 v[11:12], v[2:3], 0xffffffe0
	v_floor_f64_e32 v[11:12], v[11:12]
	s_delay_alu instid0(VALU_DEP_1) | instskip(SKIP_1) | instid1(VALU_DEP_2)
	v_fma_f64 v[2:3], 0xc1f00000, v[11:12], v[2:3]
	v_cvt_u32_f64_e32 v12, v[11:12]
	v_cvt_u32_f64_e32 v11, v[2:3]
	global_store_b64 v[4:5], v[11:12], off
	s_branch .LBB249_359
.LBB249_358:
	s_mov_b32 s23, 0
.LBB249_359:
	s_delay_alu instid0(SALU_CYCLE_1)
	s_and_b32 vcc_lo, exec_lo, s23
	s_cbranch_vccz .LBB249_375
; %bb.360:
	v_cmp_gt_i16_e32 vcc_lo, 27, v6
	s_mov_b32 s3, -1
	s_cbranch_vccnz .LBB249_366
; %bb.361:
	v_cmp_lt_i16_e32 vcc_lo, 27, v6
	s_cbranch_vccz .LBB249_363
; %bb.362:
	v_cvt_u32_f64_e32 v2, v[0:1]
	s_mov_b32 s3, 0
	global_store_b32 v[4:5], v2, off
.LBB249_363:
	s_and_not1_b32 vcc_lo, exec_lo, s3
	s_cbranch_vccnz .LBB249_365
; %bb.364:
	v_cvt_u32_f64_e32 v2, v[0:1]
	global_store_b16 v[4:5], v2, off
.LBB249_365:
	s_mov_b32 s3, 0
.LBB249_366:
	s_delay_alu instid0(SALU_CYCLE_1)
	s_and_not1_b32 vcc_lo, exec_lo, s3
	s_cbranch_vccnz .LBB249_374
; %bb.367:
	v_cvt_f32_f64_e32 v2, v[0:1]
	v_mov_b32_e32 v7, 0x80
	s_mov_b32 s3, exec_lo
	s_delay_alu instid0(VALU_DEP_2) | instskip(NEXT) | instid1(VALU_DEP_1)
	v_and_b32_e32 v3, 0x7fffffff, v2
	v_cmpx_gt_u32_e32 0x43800000, v3
	s_cbranch_execz .LBB249_373
; %bb.368:
	v_cmp_lt_u32_e32 vcc_lo, 0x3bffffff, v3
	s_mov_b32 s23, 0
                                        ; implicit-def: $vgpr3
	s_and_saveexec_b32 s37, vcc_lo
	s_delay_alu instid0(SALU_CYCLE_1)
	s_xor_b32 s37, exec_lo, s37
	s_cbranch_execz .LBB249_559
; %bb.369:
	v_bfe_u32 v3, v2, 20, 1
	s_mov_b32 s23, exec_lo
	s_delay_alu instid0(VALU_DEP_1) | instskip(NEXT) | instid1(VALU_DEP_1)
	v_add3_u32 v3, v2, v3, 0x487ffff
	v_lshrrev_b32_e32 v3, 20, v3
	s_or_saveexec_b32 s37, s37
                                        ; implicit-def: $sgpr38
	s_delay_alu instid0(SALU_CYCLE_1)
	s_xor_b32 exec_lo, exec_lo, s37
	s_cbranch_execnz .LBB249_560
.LBB249_370:
	s_or_b32 exec_lo, exec_lo, s37
	v_mov_b32_e32 v7, s38
	s_and_saveexec_b32 s37, s23
.LBB249_371:
	v_lshrrev_b32_e32 v2, 24, v2
	s_delay_alu instid0(VALU_DEP_1)
	v_and_or_b32 v7, 0x80, v2, v3
.LBB249_372:
	s_or_b32 exec_lo, exec_lo, s37
.LBB249_373:
	s_delay_alu instid0(SALU_CYCLE_1)
	s_or_b32 exec_lo, exec_lo, s3
	global_store_b8 v[4:5], v7, off
.LBB249_374:
	s_mov_b32 s3, -1
.LBB249_375:
	s_mov_b32 s23, 0
.LBB249_376:
	s_delay_alu instid0(SALU_CYCLE_1)
	s_and_b32 vcc_lo, exec_lo, s23
	s_cbranch_vccz .LBB249_417
; %bb.377:
	v_cmp_lt_i16_e32 vcc_lo, 22, v6
	s_mov_b32 s23, -1
	s_cbranch_vccz .LBB249_409
; %bb.378:
	v_cmp_gt_i16_e32 vcc_lo, 24, v6
	s_mov_b32 s3, -1
	s_cbranch_vccnz .LBB249_398
; %bb.379:
	v_cmp_lt_i16_e32 vcc_lo, 24, v6
	s_cbranch_vccz .LBB249_387
; %bb.380:
	v_cvt_f32_f64_e32 v2, v[0:1]
	v_mov_b32_e32 v7, 0x80
	s_mov_b32 s3, exec_lo
	s_delay_alu instid0(VALU_DEP_2) | instskip(NEXT) | instid1(VALU_DEP_1)
	v_and_b32_e32 v3, 0x7fffffff, v2
	v_cmpx_gt_u32_e32 0x47800000, v3
	s_cbranch_execz .LBB249_386
; %bb.381:
	v_cmp_lt_u32_e32 vcc_lo, 0x37ffffff, v3
	s_mov_b32 s23, 0
                                        ; implicit-def: $vgpr3
	s_and_saveexec_b32 s37, vcc_lo
	s_delay_alu instid0(SALU_CYCLE_1)
	s_xor_b32 s37, exec_lo, s37
	s_cbranch_execz .LBB249_562
; %bb.382:
	v_bfe_u32 v3, v2, 21, 1
	s_mov_b32 s23, exec_lo
	s_delay_alu instid0(VALU_DEP_1) | instskip(NEXT) | instid1(VALU_DEP_1)
	v_add3_u32 v3, v2, v3, 0x88fffff
	v_lshrrev_b32_e32 v3, 21, v3
	s_or_saveexec_b32 s37, s37
                                        ; implicit-def: $sgpr38
	s_delay_alu instid0(SALU_CYCLE_1)
	s_xor_b32 exec_lo, exec_lo, s37
	s_cbranch_execnz .LBB249_563
.LBB249_383:
	s_or_b32 exec_lo, exec_lo, s37
	v_mov_b32_e32 v7, s38
	s_and_saveexec_b32 s37, s23
.LBB249_384:
	v_lshrrev_b32_e32 v2, 24, v2
	s_delay_alu instid0(VALU_DEP_1)
	v_and_or_b32 v7, 0x80, v2, v3
.LBB249_385:
	s_or_b32 exec_lo, exec_lo, s37
.LBB249_386:
	s_delay_alu instid0(SALU_CYCLE_1)
	s_or_b32 exec_lo, exec_lo, s3
	s_mov_b32 s3, 0
	global_store_b8 v[4:5], v7, off
.LBB249_387:
	s_and_b32 vcc_lo, exec_lo, s3
	s_cbranch_vccz .LBB249_397
; %bb.388:
	v_cvt_f32_f64_e32 v2, v[0:1]
	s_mov_b32 s3, exec_lo
                                        ; implicit-def: $vgpr3
	s_delay_alu instid0(VALU_DEP_1) | instskip(NEXT) | instid1(VALU_DEP_1)
	v_and_b32_e32 v7, 0x7fffffff, v2
	v_cmpx_gt_u32_e32 0x43f00000, v7
	s_xor_b32 s3, exec_lo, s3
	s_cbranch_execz .LBB249_394
; %bb.389:
	s_mov_b32 s23, exec_lo
                                        ; implicit-def: $vgpr3
	v_cmpx_lt_u32_e32 0x3c7fffff, v7
	s_xor_b32 s23, exec_lo, s23
; %bb.390:
	v_bfe_u32 v3, v2, 20, 1
	s_delay_alu instid0(VALU_DEP_1) | instskip(NEXT) | instid1(VALU_DEP_1)
	v_add3_u32 v3, v2, v3, 0x407ffff
	v_and_b32_e32 v7, 0xff00000, v3
	v_lshrrev_b32_e32 v3, 20, v3
	s_delay_alu instid0(VALU_DEP_2) | instskip(NEXT) | instid1(VALU_DEP_2)
	v_cmp_ne_u32_e32 vcc_lo, 0x7f00000, v7
	v_cndmask_b32_e32 v3, 0x7e, v3, vcc_lo
; %bb.391:
	s_and_not1_saveexec_b32 s23, s23
; %bb.392:
	v_add_f32_e64 v3, 0x46800000, |v2|
; %bb.393:
	s_or_b32 exec_lo, exec_lo, s23
                                        ; implicit-def: $vgpr7
.LBB249_394:
	s_and_not1_saveexec_b32 s3, s3
; %bb.395:
	v_mov_b32_e32 v3, 0x7f
	v_cmp_lt_u32_e32 vcc_lo, 0x7f800000, v7
	s_delay_alu instid0(VALU_DEP_2)
	v_cndmask_b32_e32 v3, 0x7e, v3, vcc_lo
; %bb.396:
	s_or_b32 exec_lo, exec_lo, s3
	v_lshrrev_b32_e32 v2, 24, v2
	s_delay_alu instid0(VALU_DEP_1)
	v_and_or_b32 v2, 0x80, v2, v3
	global_store_b8 v[4:5], v2, off
.LBB249_397:
	s_mov_b32 s3, 0
.LBB249_398:
	s_delay_alu instid0(SALU_CYCLE_1)
	s_and_not1_b32 vcc_lo, exec_lo, s3
	s_cbranch_vccnz .LBB249_408
; %bb.399:
	v_cvt_f32_f64_e32 v2, v[0:1]
	s_mov_b32 s3, exec_lo
                                        ; implicit-def: $vgpr3
	s_delay_alu instid0(VALU_DEP_1) | instskip(NEXT) | instid1(VALU_DEP_1)
	v_and_b32_e32 v7, 0x7fffffff, v2
	v_cmpx_gt_u32_e32 0x47800000, v7
	s_xor_b32 s3, exec_lo, s3
	s_cbranch_execz .LBB249_405
; %bb.400:
	s_mov_b32 s23, exec_lo
                                        ; implicit-def: $vgpr3
	v_cmpx_lt_u32_e32 0x387fffff, v7
	s_xor_b32 s23, exec_lo, s23
; %bb.401:
	v_bfe_u32 v3, v2, 21, 1
	s_delay_alu instid0(VALU_DEP_1) | instskip(NEXT) | instid1(VALU_DEP_1)
	v_add3_u32 v3, v2, v3, 0x80fffff
	v_lshrrev_b32_e32 v3, 21, v3
; %bb.402:
	s_and_not1_saveexec_b32 s23, s23
; %bb.403:
	v_add_f32_e64 v3, 0x43000000, |v2|
; %bb.404:
	s_or_b32 exec_lo, exec_lo, s23
                                        ; implicit-def: $vgpr7
.LBB249_405:
	s_and_not1_saveexec_b32 s3, s3
; %bb.406:
	v_mov_b32_e32 v3, 0x7f
	v_cmp_lt_u32_e32 vcc_lo, 0x7f800000, v7
	s_delay_alu instid0(VALU_DEP_2)
	v_cndmask_b32_e32 v3, 0x7c, v3, vcc_lo
; %bb.407:
	s_or_b32 exec_lo, exec_lo, s3
	v_lshrrev_b32_e32 v2, 24, v2
	s_delay_alu instid0(VALU_DEP_1)
	v_and_or_b32 v2, 0x80, v2, v3
	global_store_b8 v[4:5], v2, off
.LBB249_408:
	s_mov_b32 s23, 0
	s_mov_b32 s3, -1
.LBB249_409:
	s_and_not1_b32 vcc_lo, exec_lo, s23
	s_cbranch_vccnz .LBB249_417
; %bb.410:
	v_cmp_lt_i16_e32 vcc_lo, 14, v6
	s_mov_b32 s23, -1
	s_cbranch_vccz .LBB249_414
; %bb.411:
	v_cmp_eq_u16_e32 vcc_lo, 15, v6
	s_mov_b32 s2, -1
	s_cbranch_vccz .LBB249_413
; %bb.412:
	v_cvt_f32_f64_e32 v2, v[0:1]
	s_mov_b32 s3, -1
	s_mov_b32 s2, 0
	s_delay_alu instid0(VALU_DEP_1) | instskip(SKIP_1) | instid1(VALU_DEP_2)
	v_bfe_u32 v3, v2, 16, 1
	v_cmp_o_f32_e32 vcc_lo, v2, v2
	v_add3_u32 v3, v2, v3, 0x7fff
	s_delay_alu instid0(VALU_DEP_1) | instskip(NEXT) | instid1(VALU_DEP_1)
	v_lshrrev_b32_e32 v3, 16, v3
	v_cndmask_b32_e32 v2, 0x7fc0, v3, vcc_lo
	global_store_b16 v[4:5], v2, off
.LBB249_413:
	s_mov_b32 s23, 0
.LBB249_414:
	s_delay_alu instid0(SALU_CYCLE_1)
	s_and_b32 vcc_lo, exec_lo, s23
	s_cbranch_vccz .LBB249_417
; %bb.415:
	v_cmp_eq_u16_e32 vcc_lo, 11, v6
	s_mov_b32 s2, -1
	s_cbranch_vccz .LBB249_417
; %bb.416:
	v_cmp_neq_f64_e32 vcc_lo, 0, v[0:1]
	s_mov_b32 s3, -1
	s_mov_b32 s2, 0
	v_cndmask_b32_e64 v2, 0, 1, vcc_lo
	global_store_b8 v[4:5], v2, off
.LBB249_417:
.LBB249_418:
	s_and_not1_b32 vcc_lo, exec_lo, s3
	s_cbranch_vccnz .LBB249_333
.LBB249_419:
	v_add_nc_u32_e32 v10, 0x80, v10
	s_mov_b32 s3, -1
	s_branch .LBB249_532
.LBB249_420:
	s_mov_b32 s22, -1
                                        ; implicit-def: $vgpr3_vgpr4
.LBB249_421:
	s_mov_b32 s3, 0
.LBB249_422:
	s_delay_alu instid0(SALU_CYCLE_1)
	s_and_b32 vcc_lo, exec_lo, s3
	s_cbranch_vccz .LBB249_426
; %bb.423:
	v_cmp_eq_u16_e32 vcc_lo, 29, v9
	s_cbranch_vccz .LBB249_425
; %bb.424:
	global_load_b64 v[3:4], v[1:2], off
	s_mov_b32 s2, -1
	s_mov_b32 s22, 0
	s_mov_b32 s3, 0
	s_waitcnt vmcnt(0)
	v_cvt_f64_u32_e32 v[4:5], v4
	v_cvt_f64_u32_e32 v[6:7], v3
	s_delay_alu instid0(VALU_DEP_2) | instskip(NEXT) | instid1(VALU_DEP_1)
	v_ldexp_f64 v[4:5], v[4:5], 32
	v_add_f64 v[3:4], v[4:5], v[6:7]
	s_branch .LBB249_427
.LBB249_425:
	s_mov_b32 s22, -1
                                        ; implicit-def: $vgpr3_vgpr4
.LBB249_426:
	s_mov_b32 s3, 0
.LBB249_427:
	s_delay_alu instid0(SALU_CYCLE_1)
	s_and_b32 vcc_lo, exec_lo, s3
	s_cbranch_vccz .LBB249_447
; %bb.428:
	v_cmp_gt_i16_e32 vcc_lo, 27, v9
	s_cbranch_vccnz .LBB249_431
; %bb.429:
	v_cmp_lt_i16_e32 vcc_lo, 27, v9
	s_cbranch_vccz .LBB249_432
; %bb.430:
	global_load_b32 v3, v[1:2], off
	s_mov_b32 s2, 0
	s_waitcnt vmcnt(0)
	v_cvt_f64_u32_e32 v[3:4], v3
	s_branch .LBB249_433
.LBB249_431:
	s_mov_b32 s2, -1
                                        ; implicit-def: $vgpr3_vgpr4
	s_branch .LBB249_436
.LBB249_432:
	s_mov_b32 s2, -1
                                        ; implicit-def: $vgpr3_vgpr4
.LBB249_433:
	s_delay_alu instid0(SALU_CYCLE_1)
	s_and_not1_b32 vcc_lo, exec_lo, s2
	s_cbranch_vccnz .LBB249_435
; %bb.434:
	global_load_u16 v3, v[1:2], off
	s_waitcnt vmcnt(0)
	v_cvt_f64_u32_e32 v[3:4], v3
.LBB249_435:
	s_mov_b32 s2, 0
.LBB249_436:
	s_delay_alu instid0(SALU_CYCLE_1)
	s_and_not1_b32 vcc_lo, exec_lo, s2
	s_cbranch_vccnz .LBB249_446
; %bb.437:
	global_load_u8 v5, v[1:2], off
	s_mov_b32 s23, 0
	s_mov_b32 s37, exec_lo
                                        ; implicit-def: $sgpr2_sgpr3
	s_waitcnt vmcnt(0)
	v_cmpx_lt_i16_e32 0x7f, v5
	s_xor_b32 s37, exec_lo, s37
	s_cbranch_execz .LBB249_441
; %bb.438:
	s_mov_b32 s38, -1
	s_mov_b32 s23, exec_lo
                                        ; implicit-def: $sgpr2_sgpr3
	v_cmpx_eq_u16_e32 0x80, v5
; %bb.439:
	s_mov_b32 s3, 0x7ff80000
	s_brev_b32 s2, 4
	s_xor_b32 s38, exec_lo, -1
; %bb.440:
	s_or_b32 exec_lo, exec_lo, s23
	s_delay_alu instid0(SALU_CYCLE_1)
	s_and_b32 s23, s38, exec_lo
.LBB249_441:
	s_or_saveexec_b32 s37, s37
	v_dual_mov_b32 v4, s3 :: v_dual_mov_b32 v3, s2
	s_xor_b32 exec_lo, exec_lo, s37
; %bb.442:
	v_cmp_ne_u16_e32 vcc_lo, 0, v5
	v_mov_b32_e32 v3, 0
	v_mov_b32_e32 v4, 0
	s_and_not1_b32 s2, s23, exec_lo
	s_and_b32 s3, vcc_lo, exec_lo
	s_delay_alu instid0(SALU_CYCLE_1)
	s_or_b32 s23, s2, s3
; %bb.443:
	s_or_b32 exec_lo, exec_lo, s37
	s_and_saveexec_b32 s2, s23
	s_cbranch_execz .LBB249_445
; %bb.444:
	v_and_b32_e32 v3, 0xffff, v5
	v_lshlrev_b32_e32 v5, 24, v5
	s_delay_alu instid0(VALU_DEP_2) | instskip(NEXT) | instid1(VALU_DEP_2)
	v_and_b32_e32 v4, 7, v3
	v_and_b32_e32 v5, 0x80000000, v5
	s_delay_alu instid0(VALU_DEP_2) | instskip(NEXT) | instid1(VALU_DEP_1)
	v_clz_i32_u32_e32 v6, v4
	v_min_u32_e32 v6, 32, v6
	s_delay_alu instid0(VALU_DEP_1) | instskip(SKIP_1) | instid1(VALU_DEP_2)
	v_subrev_nc_u32_e32 v7, 28, v6
	v_sub_nc_u32_e32 v6, 29, v6
	v_lshlrev_b32_e32 v7, v7, v3
	v_bfe_u32 v3, v3, 3, 4
	s_delay_alu instid0(VALU_DEP_2) | instskip(NEXT) | instid1(VALU_DEP_2)
	v_and_b32_e32 v7, 7, v7
	v_cmp_eq_u32_e32 vcc_lo, 0, v3
	s_delay_alu instid0(VALU_DEP_2) | instskip(NEXT) | instid1(VALU_DEP_1)
	v_dual_cndmask_b32 v3, v3, v6 :: v_dual_cndmask_b32 v4, v4, v7
	v_lshl_add_u32 v3, v3, 23, 0x3b800000
	s_delay_alu instid0(VALU_DEP_2) | instskip(NEXT) | instid1(VALU_DEP_1)
	v_lshlrev_b32_e32 v4, 20, v4
	v_or3_b32 v3, v5, v3, v4
	s_delay_alu instid0(VALU_DEP_1)
	v_cvt_f64_f32_e32 v[3:4], v3
.LBB249_445:
	s_or_b32 exec_lo, exec_lo, s2
.LBB249_446:
	s_mov_b32 s2, -1
.LBB249_447:
	s_mov_b32 s3, 0
.LBB249_448:
	s_delay_alu instid0(SALU_CYCLE_1)
	s_and_b32 vcc_lo, exec_lo, s3
	s_cbranch_vccz .LBB249_481
; %bb.449:
	v_cmp_lt_i16_e32 vcc_lo, 22, v9
	s_cbranch_vccz .LBB249_461
; %bb.450:
	v_cmp_gt_i16_e32 vcc_lo, 24, v9
	s_cbranch_vccnz .LBB249_462
; %bb.451:
	v_cmp_lt_i16_e32 vcc_lo, 24, v9
	s_cbranch_vccz .LBB249_463
; %bb.452:
	global_load_u8 v5, v[1:2], off
	s_mov_b32 s23, 0
	s_mov_b32 s37, exec_lo
                                        ; implicit-def: $sgpr2_sgpr3
	s_waitcnt vmcnt(0)
	v_cmpx_lt_i16_e32 0x7f, v5
	s_xor_b32 s37, exec_lo, s37
	s_cbranch_execz .LBB249_456
; %bb.453:
	s_mov_b32 s38, -1
	s_mov_b32 s23, exec_lo
                                        ; implicit-def: $sgpr2_sgpr3
	v_cmpx_eq_u16_e32 0x80, v5
; %bb.454:
	s_mov_b32 s3, 0x7ff80000
	s_brev_b32 s2, 4
	s_xor_b32 s38, exec_lo, -1
; %bb.455:
	s_or_b32 exec_lo, exec_lo, s23
	s_delay_alu instid0(SALU_CYCLE_1)
	s_and_b32 s23, s38, exec_lo
.LBB249_456:
	s_or_saveexec_b32 s37, s37
	v_dual_mov_b32 v4, s3 :: v_dual_mov_b32 v3, s2
	s_xor_b32 exec_lo, exec_lo, s37
; %bb.457:
	v_cmp_ne_u16_e32 vcc_lo, 0, v5
	v_mov_b32_e32 v3, 0
	v_mov_b32_e32 v4, 0
	s_and_not1_b32 s2, s23, exec_lo
	s_and_b32 s3, vcc_lo, exec_lo
	s_delay_alu instid0(SALU_CYCLE_1)
	s_or_b32 s23, s2, s3
; %bb.458:
	s_or_b32 exec_lo, exec_lo, s37
	s_and_saveexec_b32 s2, s23
	s_cbranch_execz .LBB249_460
; %bb.459:
	v_and_b32_e32 v3, 0xffff, v5
	v_lshlrev_b32_e32 v5, 24, v5
	s_delay_alu instid0(VALU_DEP_2) | instskip(NEXT) | instid1(VALU_DEP_2)
	v_and_b32_e32 v4, 3, v3
	v_and_b32_e32 v5, 0x80000000, v5
	s_delay_alu instid0(VALU_DEP_2) | instskip(NEXT) | instid1(VALU_DEP_1)
	v_clz_i32_u32_e32 v6, v4
	v_min_u32_e32 v6, 32, v6
	s_delay_alu instid0(VALU_DEP_1) | instskip(SKIP_1) | instid1(VALU_DEP_2)
	v_subrev_nc_u32_e32 v7, 29, v6
	v_sub_nc_u32_e32 v6, 30, v6
	v_lshlrev_b32_e32 v7, v7, v3
	v_bfe_u32 v3, v3, 2, 5
	s_delay_alu instid0(VALU_DEP_2) | instskip(NEXT) | instid1(VALU_DEP_2)
	v_and_b32_e32 v7, 3, v7
	v_cmp_eq_u32_e32 vcc_lo, 0, v3
	s_delay_alu instid0(VALU_DEP_2) | instskip(NEXT) | instid1(VALU_DEP_1)
	v_dual_cndmask_b32 v3, v3, v6 :: v_dual_cndmask_b32 v4, v4, v7
	v_lshl_add_u32 v3, v3, 23, 0x37800000
	s_delay_alu instid0(VALU_DEP_2) | instskip(NEXT) | instid1(VALU_DEP_1)
	v_lshlrev_b32_e32 v4, 21, v4
	v_or3_b32 v3, v5, v3, v4
	s_delay_alu instid0(VALU_DEP_1)
	v_cvt_f64_f32_e32 v[3:4], v3
.LBB249_460:
	s_or_b32 exec_lo, exec_lo, s2
	s_mov_b32 s2, 0
	s_branch .LBB249_464
.LBB249_461:
	s_mov_b32 s3, -1
                                        ; implicit-def: $vgpr3_vgpr4
	s_branch .LBB249_470
.LBB249_462:
	s_mov_b32 s2, -1
                                        ; implicit-def: $vgpr3_vgpr4
	s_branch .LBB249_467
.LBB249_463:
	s_mov_b32 s2, -1
                                        ; implicit-def: $vgpr3_vgpr4
.LBB249_464:
	s_delay_alu instid0(SALU_CYCLE_1)
	s_and_b32 vcc_lo, exec_lo, s2
	s_cbranch_vccz .LBB249_466
; %bb.465:
	global_load_u8 v3, v[1:2], off
	s_waitcnt vmcnt(0)
	v_lshlrev_b32_e32 v3, 24, v3
	s_delay_alu instid0(VALU_DEP_1) | instskip(NEXT) | instid1(VALU_DEP_1)
	v_and_b32_e32 v4, 0x7f000000, v3
	v_clz_i32_u32_e32 v5, v4
	v_add_nc_u32_e32 v7, 0x1000000, v4
	v_cmp_ne_u32_e32 vcc_lo, 0, v4
	s_delay_alu instid0(VALU_DEP_3) | instskip(NEXT) | instid1(VALU_DEP_1)
	v_min_u32_e32 v5, 32, v5
	v_sub_nc_u32_e64 v5, v5, 4 clamp
	s_delay_alu instid0(VALU_DEP_1) | instskip(SKIP_1) | instid1(VALU_DEP_2)
	v_lshlrev_b32_e32 v6, v5, v4
	v_lshlrev_b32_e32 v5, 23, v5
	v_lshrrev_b32_e32 v6, 4, v6
	s_delay_alu instid0(VALU_DEP_1) | instskip(SKIP_1) | instid1(VALU_DEP_2)
	v_sub_nc_u32_e32 v5, v6, v5
	v_ashrrev_i32_e32 v6, 8, v7
	v_add_nc_u32_e32 v5, 0x3c000000, v5
	s_delay_alu instid0(VALU_DEP_1) | instskip(NEXT) | instid1(VALU_DEP_1)
	v_and_or_b32 v5, 0x7f800000, v6, v5
	v_cndmask_b32_e32 v4, 0, v5, vcc_lo
	s_delay_alu instid0(VALU_DEP_1) | instskip(NEXT) | instid1(VALU_DEP_1)
	v_and_or_b32 v3, 0x80000000, v3, v4
	v_cvt_f64_f32_e32 v[3:4], v3
.LBB249_466:
	s_mov_b32 s2, 0
.LBB249_467:
	s_delay_alu instid0(SALU_CYCLE_1)
	s_and_not1_b32 vcc_lo, exec_lo, s2
	s_cbranch_vccnz .LBB249_469
; %bb.468:
	global_load_u8 v3, v[1:2], off
	s_waitcnt vmcnt(0)
	v_lshlrev_b32_e32 v4, 25, v3
	v_lshlrev_b16 v3, 8, v3
	s_delay_alu instid0(VALU_DEP_2) | instskip(NEXT) | instid1(VALU_DEP_2)
	v_lshrrev_b32_e32 v5, 4, v4
	v_and_or_b32 v6, 0x7f00, v3, 0.5
	v_bfe_i32 v3, v3, 0, 16
	s_delay_alu instid0(VALU_DEP_3) | instskip(NEXT) | instid1(VALU_DEP_1)
	v_or_b32_e32 v5, 0x70000000, v5
	v_dual_add_f32 v6, -0.5, v6 :: v_dual_mul_f32 v5, 0x7800000, v5
	v_cmp_gt_u32_e32 vcc_lo, 0x8000000, v4
	s_delay_alu instid0(VALU_DEP_2) | instskip(NEXT) | instid1(VALU_DEP_1)
	v_cndmask_b32_e32 v4, v5, v6, vcc_lo
	v_and_or_b32 v3, 0x80000000, v3, v4
	s_delay_alu instid0(VALU_DEP_1)
	v_cvt_f64_f32_e32 v[3:4], v3
.LBB249_469:
	s_mov_b32 s3, 0
	s_mov_b32 s2, -1
.LBB249_470:
	s_and_not1_b32 vcc_lo, exec_lo, s3
	s_cbranch_vccnz .LBB249_481
; %bb.471:
	v_cmp_lt_i16_e32 vcc_lo, 14, v9
	s_cbranch_vccz .LBB249_474
; %bb.472:
	v_cmp_eq_u16_e32 vcc_lo, 15, v9
	s_cbranch_vccz .LBB249_475
; %bb.473:
	global_load_u16 v3, v[1:2], off
	s_mov_b32 s2, -1
	s_mov_b32 s22, 0
	s_waitcnt vmcnt(0)
	v_lshlrev_b32_e32 v3, 16, v3
	s_delay_alu instid0(VALU_DEP_1)
	v_cvt_f64_f32_e32 v[3:4], v3
	s_branch .LBB249_476
.LBB249_474:
	s_mov_b32 s3, -1
                                        ; implicit-def: $vgpr3_vgpr4
	s_branch .LBB249_477
.LBB249_475:
	s_mov_b32 s22, -1
                                        ; implicit-def: $vgpr3_vgpr4
.LBB249_476:
	s_mov_b32 s3, 0
.LBB249_477:
	s_delay_alu instid0(SALU_CYCLE_1)
	s_and_b32 vcc_lo, exec_lo, s3
	s_cbranch_vccz .LBB249_481
; %bb.478:
	v_cmp_eq_u16_e32 vcc_lo, 11, v9
	s_cbranch_vccz .LBB249_480
; %bb.479:
	global_load_u8 v3, v[1:2], off
	s_mov_b32 s22, 0
	s_mov_b32 s2, -1
	s_waitcnt vmcnt(0)
	v_cmp_ne_u16_e32 vcc_lo, 0, v3
	v_mov_b32_e32 v3, 0
	v_cndmask_b32_e64 v4, 0, 0x3ff00000, vcc_lo
	s_branch .LBB249_481
.LBB249_480:
	s_mov_b32 s22, -1
                                        ; implicit-def: $vgpr3_vgpr4
.LBB249_481:
	s_branch .LBB249_286
.LBB249_482:
	v_cmp_gt_i16_e32 vcc_lo, 5, v9
	s_cbranch_vccnz .LBB249_487
; %bb.483:
	v_cmp_gt_i16_e32 vcc_lo, 8, v9
	s_cbranch_vccnz .LBB249_488
; %bb.484:
	;; [unrolled: 3-line block ×3, first 2 shown]
	v_cmp_lt_i16_e32 vcc_lo, 9, v9
	s_cbranch_vccz .LBB249_490
; %bb.486:
	global_load_b64 v[3:4], v[1:2], off
	s_mov_b32 s2, 0
	s_branch .LBB249_491
.LBB249_487:
	s_mov_b32 s2, -1
                                        ; implicit-def: $vgpr3_vgpr4
	s_branch .LBB249_509
.LBB249_488:
	s_mov_b32 s2, -1
                                        ; implicit-def: $vgpr3_vgpr4
	s_branch .LBB249_497
.LBB249_489:
	s_mov_b32 s2, -1
                                        ; implicit-def: $vgpr3_vgpr4
	s_branch .LBB249_494
.LBB249_490:
	s_mov_b32 s2, -1
                                        ; implicit-def: $vgpr3_vgpr4
.LBB249_491:
	s_delay_alu instid0(SALU_CYCLE_1)
	s_and_not1_b32 vcc_lo, exec_lo, s2
	s_cbranch_vccnz .LBB249_493
; %bb.492:
	global_load_b32 v3, v[1:2], off
	s_waitcnt vmcnt(0)
	v_cvt_f64_f32_e32 v[3:4], v3
.LBB249_493:
	s_mov_b32 s2, 0
.LBB249_494:
	s_delay_alu instid0(SALU_CYCLE_1)
	s_and_not1_b32 vcc_lo, exec_lo, s2
	s_cbranch_vccnz .LBB249_496
; %bb.495:
	global_load_b32 v3, v[1:2], off
	s_waitcnt vmcnt(0)
	v_cvt_f32_f16_e32 v3, v3
	s_delay_alu instid0(VALU_DEP_1)
	v_cvt_f64_f32_e32 v[3:4], v3
.LBB249_496:
	s_mov_b32 s2, 0
.LBB249_497:
	s_delay_alu instid0(SALU_CYCLE_1)
	s_and_not1_b32 vcc_lo, exec_lo, s2
	s_cbranch_vccnz .LBB249_508
; %bb.498:
	v_cmp_gt_i16_e32 vcc_lo, 6, v9
	s_cbranch_vccnz .LBB249_501
; %bb.499:
	v_cmp_lt_i16_e32 vcc_lo, 6, v9
	s_cbranch_vccz .LBB249_502
; %bb.500:
	global_load_b64 v[3:4], v[1:2], off
	s_mov_b32 s2, 0
	s_branch .LBB249_503
.LBB249_501:
	s_mov_b32 s2, -1
                                        ; implicit-def: $vgpr3_vgpr4
	s_branch .LBB249_506
.LBB249_502:
	s_mov_b32 s2, -1
                                        ; implicit-def: $vgpr3_vgpr4
.LBB249_503:
	s_delay_alu instid0(SALU_CYCLE_1)
	s_and_not1_b32 vcc_lo, exec_lo, s2
	s_cbranch_vccnz .LBB249_505
; %bb.504:
	global_load_b32 v3, v[1:2], off
	s_waitcnt vmcnt(0)
	v_cvt_f64_f32_e32 v[3:4], v3
.LBB249_505:
	s_mov_b32 s2, 0
.LBB249_506:
	s_delay_alu instid0(SALU_CYCLE_1)
	s_and_not1_b32 vcc_lo, exec_lo, s2
	s_cbranch_vccnz .LBB249_508
; %bb.507:
	global_load_u16 v3, v[1:2], off
	s_waitcnt vmcnt(0)
	v_cvt_f32_f16_e32 v3, v3
	s_delay_alu instid0(VALU_DEP_1)
	v_cvt_f64_f32_e32 v[3:4], v3
.LBB249_508:
	s_mov_b32 s2, 0
.LBB249_509:
	s_delay_alu instid0(SALU_CYCLE_1)
	s_and_not1_b32 vcc_lo, exec_lo, s2
	s_cbranch_vccnz .LBB249_529
; %bb.510:
	v_cmp_gt_i16_e32 vcc_lo, 2, v9
	s_cbranch_vccnz .LBB249_514
; %bb.511:
	v_cmp_gt_i16_e32 vcc_lo, 3, v9
	s_cbranch_vccnz .LBB249_515
; %bb.512:
	v_cmp_lt_i16_e32 vcc_lo, 3, v9
	s_cbranch_vccz .LBB249_516
; %bb.513:
	global_load_b64 v[3:4], v[1:2], off
	s_mov_b32 s2, 0
	s_waitcnt vmcnt(0)
	v_cvt_f64_i32_e32 v[4:5], v4
	v_cvt_f64_u32_e32 v[6:7], v3
	s_delay_alu instid0(VALU_DEP_2) | instskip(NEXT) | instid1(VALU_DEP_1)
	v_ldexp_f64 v[4:5], v[4:5], 32
	v_add_f64 v[3:4], v[4:5], v[6:7]
	s_branch .LBB249_517
.LBB249_514:
	s_mov_b32 s2, -1
                                        ; implicit-def: $vgpr3_vgpr4
	s_branch .LBB249_523
.LBB249_515:
	s_mov_b32 s2, -1
                                        ; implicit-def: $vgpr3_vgpr4
	s_branch .LBB249_520
.LBB249_516:
	s_mov_b32 s2, -1
                                        ; implicit-def: $vgpr3_vgpr4
.LBB249_517:
	s_delay_alu instid0(SALU_CYCLE_1)
	s_and_not1_b32 vcc_lo, exec_lo, s2
	s_cbranch_vccnz .LBB249_519
; %bb.518:
	global_load_b32 v3, v[1:2], off
	s_waitcnt vmcnt(0)
	v_cvt_f64_i32_e32 v[3:4], v3
.LBB249_519:
	s_mov_b32 s2, 0
.LBB249_520:
	s_delay_alu instid0(SALU_CYCLE_1)
	s_and_not1_b32 vcc_lo, exec_lo, s2
	s_cbranch_vccnz .LBB249_522
; %bb.521:
	global_load_i16 v3, v[1:2], off
	s_waitcnt vmcnt(0)
	v_cvt_f64_i32_e32 v[3:4], v3
.LBB249_522:
	s_mov_b32 s2, 0
.LBB249_523:
	s_delay_alu instid0(SALU_CYCLE_1)
	s_and_not1_b32 vcc_lo, exec_lo, s2
	s_cbranch_vccnz .LBB249_529
; %bb.524:
	v_cmp_lt_i16_e32 vcc_lo, 0, v9
	s_mov_b32 s2, 0
	s_cbranch_vccz .LBB249_526
; %bb.525:
	global_load_i8 v3, v[1:2], off
	s_waitcnt vmcnt(0)
	v_cvt_f64_i32_e32 v[3:4], v3
	s_branch .LBB249_527
.LBB249_526:
	s_mov_b32 s2, -1
                                        ; implicit-def: $vgpr3_vgpr4
.LBB249_527:
	s_delay_alu instid0(SALU_CYCLE_1)
	s_and_not1_b32 vcc_lo, exec_lo, s2
	s_cbranch_vccnz .LBB249_529
; %bb.528:
	global_load_u8 v1, v[1:2], off
	s_waitcnt vmcnt(0)
	v_cvt_f64_u32_e32 v[3:4], v1
.LBB249_529:
	s_branch .LBB249_287
.LBB249_530:
	s_mov_b32 s3, 0
	s_mov_b32 s2, s34
.LBB249_531:
                                        ; implicit-def: $vgpr10
.LBB249_532:
	s_and_not1_b32 s23, s34, exec_lo
	s_and_b32 s2, s2, exec_lo
	s_and_not1_b32 s37, s35, exec_lo
	s_and_b32 s22, s22, exec_lo
	s_or_b32 s38, s23, s2
	s_or_b32 s37, s37, s22
	s_or_not1_b32 s2, s3, exec_lo
.LBB249_533:
	s_or_b32 exec_lo, exec_lo, s39
	s_mov_b32 s3, 0
	s_mov_b32 s23, 0
	;; [unrolled: 1-line block ×3, first 2 shown]
                                        ; implicit-def: $vgpr0_vgpr1
                                        ; implicit-def: $vgpr2
                                        ; implicit-def: $vgpr6_vgpr7
	s_and_saveexec_b32 s39, s2
	s_cbranch_execz .LBB249_905
; %bb.534:
	s_mov_b32 s42, -1
	s_mov_b32 s22, s37
	s_mov_b32 s23, s38
	s_mov_b32 s40, exec_lo
	v_cmpx_gt_i32_e64 s30, v10
	s_cbranch_execz .LBB249_806
; %bb.535:
	s_and_not1_b32 vcc_lo, exec_lo, s27
	s_cbranch_vccnz .LBB249_540
; %bb.536:
	v_dual_mov_b32 v0, 0 :: v_dual_mov_b32 v1, 0
	s_and_not1_b32 vcc_lo, exec_lo, s33
	s_mov_b32 s41, 0
	s_cbranch_vccnz .LBB249_545
; %bb.537:
	v_mov_b32_e32 v0, 0
	s_add_i32 s43, s31, 1
	s_cmp_eq_u32 s25, 2
	s_mov_b32 s42, 0
	s_cbranch_scc1 .LBB249_541
; %bb.538:
	v_dual_mov_b32 v1, 0 :: v_dual_mov_b32 v0, 0
	v_mov_b32_e32 v2, v10
	s_and_b32 s42, s43, 28
	s_mov_b32 s44, 0
	s_mov_b64 s[2:3], s[20:21]
	s_mov_b64 s[22:23], s[16:17]
.LBB249_539:                            ; =>This Inner Loop Header: Depth=1
	s_clause 0x1
	s_load_b256 s[48:55], s[22:23], 0x4
	s_load_b128 s[64:67], s[22:23], 0x24
	s_load_b256 s[56:63], s[2:3], 0x0
	s_add_u32 s22, s22, 48
	s_addc_u32 s23, s23, 0
	s_add_i32 s44, s44, 4
	s_add_u32 s2, s2, 32
	s_addc_u32 s3, s3, 0
	s_cmp_eq_u32 s42, s44
	s_waitcnt vmcnt(0) lgkmcnt(0)
	v_mul_hi_u32 v3, s49, v2
	s_delay_alu instid0(VALU_DEP_1) | instskip(NEXT) | instid1(VALU_DEP_1)
	v_add_nc_u32_e32 v3, v2, v3
	v_lshrrev_b32_e32 v3, s50, v3
	s_delay_alu instid0(VALU_DEP_1) | instskip(SKIP_1) | instid1(VALU_DEP_2)
	v_mul_hi_u32 v4, s52, v3
	v_mul_lo_u32 v6, v3, s48
	v_add_nc_u32_e32 v4, v3, v4
	s_delay_alu instid0(VALU_DEP_2) | instskip(NEXT) | instid1(VALU_DEP_2)
	v_sub_nc_u32_e32 v2, v2, v6
	v_lshrrev_b32_e32 v4, s53, v4
	s_delay_alu instid0(VALU_DEP_2) | instskip(SKIP_1) | instid1(VALU_DEP_3)
	v_mul_lo_u32 v6, v2, s56
	v_mul_lo_u32 v11, v2, s57
	v_mul_hi_u32 v5, s55, v4
	s_delay_alu instid0(VALU_DEP_1) | instskip(NEXT) | instid1(VALU_DEP_1)
	v_add_nc_u32_e32 v5, v4, v5
	v_lshrrev_b32_e32 v5, s64, v5
	s_delay_alu instid0(VALU_DEP_1) | instskip(SKIP_1) | instid1(VALU_DEP_2)
	v_mul_hi_u32 v7, s66, v5
	v_mul_lo_u32 v12, v5, s54
	v_add_nc_u32_e32 v2, v5, v7
	v_mul_lo_u32 v7, v4, s51
	s_delay_alu instid0(VALU_DEP_3) | instskip(NEXT) | instid1(VALU_DEP_3)
	v_sub_nc_u32_e32 v4, v4, v12
	v_lshrrev_b32_e32 v2, s67, v2
	s_delay_alu instid0(VALU_DEP_2) | instskip(SKIP_2) | instid1(VALU_DEP_4)
	v_mul_lo_u32 v12, v4, s60
	v_mul_lo_u32 v4, v4, s61
	v_sub_nc_u32_e32 v3, v3, v7
	v_mul_lo_u32 v13, v2, s65
	s_delay_alu instid0(VALU_DEP_2) | instskip(SKIP_1) | instid1(VALU_DEP_3)
	v_mul_lo_u32 v7, v3, s58
	v_mul_lo_u32 v3, v3, s59
	v_sub_nc_u32_e32 v5, v5, v13
	s_delay_alu instid0(VALU_DEP_3) | instskip(NEXT) | instid1(VALU_DEP_2)
	v_add3_u32 v0, v6, v0, v7
	v_mul_lo_u32 v13, v5, s62
	v_mul_lo_u32 v5, v5, s63
	v_add3_u32 v1, v11, v1, v3
	s_delay_alu instid0(VALU_DEP_3) | instskip(NEXT) | instid1(VALU_DEP_2)
	v_add3_u32 v0, v12, v0, v13
	v_add3_u32 v1, v4, v1, v5
	s_cbranch_scc0 .LBB249_539
	s_branch .LBB249_542
.LBB249_540:
	s_mov_b32 s41, -1
                                        ; implicit-def: $vgpr0
                                        ; implicit-def: $vgpr1
	s_branch .LBB249_545
.LBB249_541:
	v_dual_mov_b32 v2, v10 :: v_dual_mov_b32 v1, 0
.LBB249_542:
	s_and_b32 s43, s43, 3
	s_delay_alu instid0(SALU_CYCLE_1)
	s_cmp_eq_u32 s43, 0
	s_cbranch_scc1 .LBB249_545
; %bb.543:
	s_lshl_b32 s2, s42, 3
	s_mul_i32 s22, s42, 12
	s_add_u32 s2, s2, s16
	s_addc_u32 s3, s17, 0
	s_add_u32 s2, s2, 0xc4
	s_addc_u32 s3, s3, 0
	;; [unrolled: 2-line block ×3, first 2 shown]
	.p2align	6
.LBB249_544:                            ; =>This Inner Loop Header: Depth=1
	s_clause 0x1
	s_load_b64 s[44:45], s[22:23], 0x4
	s_load_b32 s42, s[22:23], 0xc
	s_load_b64 s[46:47], s[2:3], 0x0
	s_add_u32 s22, s22, 12
	s_addc_u32 s23, s23, 0
	s_add_u32 s2, s2, 8
	s_addc_u32 s3, s3, 0
	s_add_i32 s43, s43, -1
	s_delay_alu instid0(SALU_CYCLE_1) | instskip(SKIP_2) | instid1(VALU_DEP_1)
	s_cmp_lg_u32 s43, 0
	s_waitcnt vmcnt(0) lgkmcnt(0)
	v_mul_hi_u32 v3, s45, v2
	v_add_nc_u32_e32 v3, v2, v3
	s_delay_alu instid0(VALU_DEP_1) | instskip(NEXT) | instid1(VALU_DEP_1)
	v_lshrrev_b32_e32 v6, s42, v3
	v_mul_lo_u32 v3, v6, s44
	s_delay_alu instid0(VALU_DEP_1) | instskip(NEXT) | instid1(VALU_DEP_1)
	v_sub_nc_u32_e32 v2, v2, v3
	v_mad_u64_u32 v[3:4], null, v2, s46, v[0:1]
	v_mad_u64_u32 v[4:5], null, v2, s47, v[1:2]
	v_mov_b32_e32 v2, v6
	s_delay_alu instid0(VALU_DEP_2)
	v_dual_mov_b32 v0, v3 :: v_dual_mov_b32 v1, v4
	s_cbranch_scc1 .LBB249_544
.LBB249_545:
	s_and_not1_b32 vcc_lo, exec_lo, s41
	s_cbranch_vccnz .LBB249_548
; %bb.546:
	s_waitcnt lgkmcnt(0)
	v_mul_hi_u32 v0, s13, v10
	s_and_not1_b32 vcc_lo, exec_lo, s29
	s_delay_alu instid0(VALU_DEP_1) | instskip(NEXT) | instid1(VALU_DEP_1)
	v_add_nc_u32_e32 v0, v10, v0
	v_lshrrev_b32_e32 v2, s14, v0
	s_delay_alu instid0(VALU_DEP_1) | instskip(NEXT) | instid1(VALU_DEP_1)
	v_mul_lo_u32 v0, v2, s12
	v_sub_nc_u32_e32 v1, v10, v0
	s_delay_alu instid0(VALU_DEP_1)
	v_mul_lo_u32 v0, v1, s8
	v_mul_lo_u32 v1, v1, s9
	s_cbranch_vccnz .LBB249_548
; %bb.547:
	s_waitcnt vmcnt(0)
	v_mul_hi_u32 v3, s18, v2
	s_delay_alu instid0(VALU_DEP_1) | instskip(NEXT) | instid1(VALU_DEP_1)
	v_add_nc_u32_e32 v3, v2, v3
	v_lshrrev_b32_e32 v3, s19, v3
	s_delay_alu instid0(VALU_DEP_1) | instskip(NEXT) | instid1(VALU_DEP_1)
	v_mul_lo_u32 v3, v3, s15
	v_sub_nc_u32_e32 v5, v2, v3
	s_delay_alu instid0(VALU_DEP_1) | instskip(NEXT) | instid1(VALU_DEP_1)
	v_mad_u64_u32 v[2:3], null, v5, s10, v[0:1]
	v_mad_u64_u32 v[3:4], null, v5, s11, v[1:2]
	s_delay_alu instid0(VALU_DEP_1)
	v_dual_mov_b32 v0, v2 :: v_dual_mov_b32 v1, v3
.LBB249_548:
	v_cmp_gt_i16_e32 vcc_lo, 11, v9
	s_waitcnt lgkmcnt(0)
	s_delay_alu instid0(VALU_DEP_2) | instskip(NEXT) | instid1(VALU_DEP_1)
	v_add_co_u32 v1, s2, s6, v1
	v_add_co_ci_u32_e64 v2, null, s7, 0, s2
	s_mov_b32 s2, 0
	s_cbranch_vccnz .LBB249_555
; %bb.549:
	v_cmp_lt_i16_e32 vcc_lo, 25, v9
	s_cbranch_vccz .LBB249_556
; %bb.550:
	v_cmp_lt_i16_e32 vcc_lo, 28, v9
	s_cbranch_vccz .LBB249_557
	;; [unrolled: 3-line block ×4, first 2 shown]
; %bb.553:
	v_cmp_eq_u16_e32 vcc_lo, 46, v9
	s_mov_b32 s3, 0
	s_cbranch_vccz .LBB249_564
; %bb.554:
	global_load_b32 v3, v[1:2], off
	s_mov_b32 s2, -1
	s_mov_b32 s22, 0
	s_waitcnt vmcnt(0)
	v_lshlrev_b32_e32 v3, 16, v3
	s_delay_alu instid0(VALU_DEP_1)
	v_cvt_f64_f32_e32 v[3:4], v3
	s_branch .LBB249_566
.LBB249_555:
	s_mov_b32 s3, -1
	s_mov_b32 s22, s37
                                        ; implicit-def: $vgpr3_vgpr4
	s_branch .LBB249_631
.LBB249_556:
	s_mov_b32 s3, -1
	s_mov_b32 s22, s37
                                        ; implicit-def: $vgpr3_vgpr4
	s_branch .LBB249_597
.LBB249_557:
	s_mov_b32 s3, -1
	s_mov_b32 s22, s37
                                        ; implicit-def: $vgpr3_vgpr4
	s_branch .LBB249_576
.LBB249_558:
	s_mov_b32 s3, -1
	s_mov_b32 s22, s37
                                        ; implicit-def: $vgpr3_vgpr4
	s_branch .LBB249_571
.LBB249_559:
	s_or_saveexec_b32 s37, s37
                                        ; implicit-def: $sgpr38
	s_delay_alu instid0(SALU_CYCLE_1)
	s_xor_b32 exec_lo, exec_lo, s37
	s_cbranch_execz .LBB249_370
.LBB249_560:
	v_add_f32_e64 v3, 0x46000000, |v2|
	s_and_not1_b32 s23, s23, exec_lo
	s_mov_b32 s38, 0
	s_delay_alu instid0(VALU_DEP_1) | instskip(NEXT) | instid1(VALU_DEP_1)
	v_and_b32_e32 v3, 0xff, v3
	v_cmp_ne_u32_e32 vcc_lo, 0, v3
	s_and_b32 s40, vcc_lo, exec_lo
	s_delay_alu instid0(SALU_CYCLE_1)
	s_or_b32 s23, s23, s40
	s_or_b32 exec_lo, exec_lo, s37
	v_mov_b32_e32 v7, s38
	s_and_saveexec_b32 s37, s23
	s_cbranch_execnz .LBB249_371
	s_branch .LBB249_372
.LBB249_561:
	s_mov_b32 s3, -1
	s_mov_b32 s22, s37
	s_branch .LBB249_565
.LBB249_562:
	s_or_saveexec_b32 s37, s37
                                        ; implicit-def: $sgpr38
	s_delay_alu instid0(SALU_CYCLE_1)
	s_xor_b32 exec_lo, exec_lo, s37
	s_cbranch_execz .LBB249_383
.LBB249_563:
	v_add_f32_e64 v3, 0x42800000, |v2|
	s_and_not1_b32 s23, s23, exec_lo
	s_mov_b32 s38, 0
	s_delay_alu instid0(VALU_DEP_1) | instskip(NEXT) | instid1(VALU_DEP_1)
	v_and_b32_e32 v3, 0xff, v3
	v_cmp_ne_u32_e32 vcc_lo, 0, v3
	s_and_b32 s40, vcc_lo, exec_lo
	s_delay_alu instid0(SALU_CYCLE_1)
	s_or_b32 s23, s23, s40
	s_or_b32 exec_lo, exec_lo, s37
	v_mov_b32_e32 v7, s38
	s_and_saveexec_b32 s37, s23
	s_cbranch_execnz .LBB249_384
	s_branch .LBB249_385
.LBB249_564:
	s_mov_b32 s22, -1
.LBB249_565:
                                        ; implicit-def: $vgpr3_vgpr4
.LBB249_566:
	s_and_b32 vcc_lo, exec_lo, s3
	s_cbranch_vccz .LBB249_570
; %bb.567:
	v_cmp_eq_u16_e32 vcc_lo, 44, v9
	s_cbranch_vccz .LBB249_569
; %bb.568:
	global_load_u8 v5, v[1:2], off
	s_mov_b32 s22, 0
	s_mov_b32 s2, -1
	s_waitcnt vmcnt(0)
	v_cmp_ne_u32_e32 vcc_lo, 0xff, v5
	v_lshlrev_b32_e32 v3, 23, v5
	s_delay_alu instid0(VALU_DEP_1) | instskip(NEXT) | instid1(VALU_DEP_1)
	v_cvt_f64_f32_e32 v[3:4], v3
	v_cndmask_b32_e32 v4, 0x7ff80000, v4, vcc_lo
	s_delay_alu instid0(VALU_DEP_2) | instskip(SKIP_1) | instid1(VALU_DEP_3)
	v_cndmask_b32_e32 v3, 0x20000000, v3, vcc_lo
	v_cmp_ne_u32_e32 vcc_lo, 0, v5
	v_cndmask_b32_e32 v4, 0x38000000, v4, vcc_lo
	s_delay_alu instid0(VALU_DEP_3)
	v_cndmask_b32_e32 v3, 0, v3, vcc_lo
	s_branch .LBB249_570
.LBB249_569:
	s_mov_b32 s22, -1
                                        ; implicit-def: $vgpr3_vgpr4
.LBB249_570:
	s_mov_b32 s3, 0
.LBB249_571:
	s_delay_alu instid0(SALU_CYCLE_1)
	s_and_b32 vcc_lo, exec_lo, s3
	s_cbranch_vccz .LBB249_575
; %bb.572:
	v_cmp_eq_u16_e32 vcc_lo, 29, v9
	s_cbranch_vccz .LBB249_574
; %bb.573:
	global_load_b64 v[3:4], v[1:2], off
	s_mov_b32 s2, -1
	s_mov_b32 s22, 0
	s_mov_b32 s3, 0
	s_waitcnt vmcnt(0)
	v_cvt_f64_u32_e32 v[4:5], v4
	v_cvt_f64_u32_e32 v[6:7], v3
	s_delay_alu instid0(VALU_DEP_2) | instskip(NEXT) | instid1(VALU_DEP_1)
	v_ldexp_f64 v[4:5], v[4:5], 32
	v_add_f64 v[3:4], v[4:5], v[6:7]
	s_branch .LBB249_576
.LBB249_574:
	s_mov_b32 s22, -1
                                        ; implicit-def: $vgpr3_vgpr4
.LBB249_575:
	s_mov_b32 s3, 0
.LBB249_576:
	s_delay_alu instid0(SALU_CYCLE_1)
	s_and_b32 vcc_lo, exec_lo, s3
	s_cbranch_vccz .LBB249_596
; %bb.577:
	v_cmp_gt_i16_e32 vcc_lo, 27, v9
	s_cbranch_vccnz .LBB249_580
; %bb.578:
	v_cmp_lt_i16_e32 vcc_lo, 27, v9
	s_cbranch_vccz .LBB249_581
; %bb.579:
	global_load_b32 v3, v[1:2], off
	s_mov_b32 s2, 0
	s_waitcnt vmcnt(0)
	v_cvt_f64_u32_e32 v[3:4], v3
	s_branch .LBB249_582
.LBB249_580:
	s_mov_b32 s2, -1
                                        ; implicit-def: $vgpr3_vgpr4
	s_branch .LBB249_585
.LBB249_581:
	s_mov_b32 s2, -1
                                        ; implicit-def: $vgpr3_vgpr4
.LBB249_582:
	s_delay_alu instid0(SALU_CYCLE_1)
	s_and_not1_b32 vcc_lo, exec_lo, s2
	s_cbranch_vccnz .LBB249_584
; %bb.583:
	global_load_u16 v3, v[1:2], off
	s_waitcnt vmcnt(0)
	v_cvt_f64_u32_e32 v[3:4], v3
.LBB249_584:
	s_mov_b32 s2, 0
.LBB249_585:
	s_delay_alu instid0(SALU_CYCLE_1)
	s_and_not1_b32 vcc_lo, exec_lo, s2
	s_cbranch_vccnz .LBB249_595
; %bb.586:
	global_load_u8 v5, v[1:2], off
	s_mov_b32 s23, 0
	s_mov_b32 s41, exec_lo
                                        ; implicit-def: $sgpr2_sgpr3
	s_waitcnt vmcnt(0)
	v_cmpx_lt_i16_e32 0x7f, v5
	s_xor_b32 s41, exec_lo, s41
	s_cbranch_execz .LBB249_590
; %bb.587:
	s_mov_b32 s42, -1
	s_mov_b32 s23, exec_lo
                                        ; implicit-def: $sgpr2_sgpr3
	v_cmpx_eq_u16_e32 0x80, v5
; %bb.588:
	s_mov_b32 s3, 0x7ff80000
	s_brev_b32 s2, 4
	s_xor_b32 s42, exec_lo, -1
; %bb.589:
	s_or_b32 exec_lo, exec_lo, s23
	s_delay_alu instid0(SALU_CYCLE_1)
	s_and_b32 s23, s42, exec_lo
.LBB249_590:
	s_or_saveexec_b32 s41, s41
	v_dual_mov_b32 v4, s3 :: v_dual_mov_b32 v3, s2
	s_xor_b32 exec_lo, exec_lo, s41
; %bb.591:
	v_cmp_ne_u16_e32 vcc_lo, 0, v5
	v_mov_b32_e32 v3, 0
	v_mov_b32_e32 v4, 0
	s_and_not1_b32 s2, s23, exec_lo
	s_and_b32 s3, vcc_lo, exec_lo
	s_delay_alu instid0(SALU_CYCLE_1)
	s_or_b32 s23, s2, s3
; %bb.592:
	s_or_b32 exec_lo, exec_lo, s41
	s_and_saveexec_b32 s2, s23
	s_cbranch_execz .LBB249_594
; %bb.593:
	v_and_b32_e32 v3, 0xffff, v5
	v_lshlrev_b32_e32 v5, 24, v5
	s_delay_alu instid0(VALU_DEP_2) | instskip(NEXT) | instid1(VALU_DEP_2)
	v_and_b32_e32 v4, 7, v3
	v_and_b32_e32 v5, 0x80000000, v5
	s_delay_alu instid0(VALU_DEP_2) | instskip(NEXT) | instid1(VALU_DEP_1)
	v_clz_i32_u32_e32 v6, v4
	v_min_u32_e32 v6, 32, v6
	s_delay_alu instid0(VALU_DEP_1) | instskip(SKIP_1) | instid1(VALU_DEP_2)
	v_subrev_nc_u32_e32 v7, 28, v6
	v_sub_nc_u32_e32 v6, 29, v6
	v_lshlrev_b32_e32 v7, v7, v3
	v_bfe_u32 v3, v3, 3, 4
	s_delay_alu instid0(VALU_DEP_2) | instskip(NEXT) | instid1(VALU_DEP_2)
	v_and_b32_e32 v7, 7, v7
	v_cmp_eq_u32_e32 vcc_lo, 0, v3
	s_delay_alu instid0(VALU_DEP_2) | instskip(NEXT) | instid1(VALU_DEP_1)
	v_dual_cndmask_b32 v3, v3, v6 :: v_dual_cndmask_b32 v4, v4, v7
	v_lshl_add_u32 v3, v3, 23, 0x3b800000
	s_delay_alu instid0(VALU_DEP_2) | instskip(NEXT) | instid1(VALU_DEP_1)
	v_lshlrev_b32_e32 v4, 20, v4
	v_or3_b32 v3, v5, v3, v4
	s_delay_alu instid0(VALU_DEP_1)
	v_cvt_f64_f32_e32 v[3:4], v3
.LBB249_594:
	s_or_b32 exec_lo, exec_lo, s2
.LBB249_595:
	s_mov_b32 s2, -1
.LBB249_596:
	s_mov_b32 s3, 0
.LBB249_597:
	s_delay_alu instid0(SALU_CYCLE_1)
	s_and_b32 vcc_lo, exec_lo, s3
	s_cbranch_vccz .LBB249_630
; %bb.598:
	v_cmp_lt_i16_e32 vcc_lo, 22, v9
	s_cbranch_vccz .LBB249_610
; %bb.599:
	v_cmp_gt_i16_e32 vcc_lo, 24, v9
	s_cbranch_vccnz .LBB249_611
; %bb.600:
	v_cmp_lt_i16_e32 vcc_lo, 24, v9
	s_cbranch_vccz .LBB249_612
; %bb.601:
	global_load_u8 v5, v[1:2], off
	s_mov_b32 s23, 0
	s_mov_b32 s41, exec_lo
                                        ; implicit-def: $sgpr2_sgpr3
	s_waitcnt vmcnt(0)
	v_cmpx_lt_i16_e32 0x7f, v5
	s_xor_b32 s41, exec_lo, s41
	s_cbranch_execz .LBB249_605
; %bb.602:
	s_mov_b32 s42, -1
	s_mov_b32 s23, exec_lo
                                        ; implicit-def: $sgpr2_sgpr3
	v_cmpx_eq_u16_e32 0x80, v5
; %bb.603:
	s_mov_b32 s3, 0x7ff80000
	s_brev_b32 s2, 4
	s_xor_b32 s42, exec_lo, -1
; %bb.604:
	s_or_b32 exec_lo, exec_lo, s23
	s_delay_alu instid0(SALU_CYCLE_1)
	s_and_b32 s23, s42, exec_lo
.LBB249_605:
	s_or_saveexec_b32 s41, s41
	v_dual_mov_b32 v4, s3 :: v_dual_mov_b32 v3, s2
	s_xor_b32 exec_lo, exec_lo, s41
; %bb.606:
	v_cmp_ne_u16_e32 vcc_lo, 0, v5
	v_mov_b32_e32 v3, 0
	v_mov_b32_e32 v4, 0
	s_and_not1_b32 s2, s23, exec_lo
	s_and_b32 s3, vcc_lo, exec_lo
	s_delay_alu instid0(SALU_CYCLE_1)
	s_or_b32 s23, s2, s3
; %bb.607:
	s_or_b32 exec_lo, exec_lo, s41
	s_and_saveexec_b32 s2, s23
	s_cbranch_execz .LBB249_609
; %bb.608:
	v_and_b32_e32 v3, 0xffff, v5
	v_lshlrev_b32_e32 v5, 24, v5
	s_delay_alu instid0(VALU_DEP_2) | instskip(NEXT) | instid1(VALU_DEP_2)
	v_and_b32_e32 v4, 3, v3
	v_and_b32_e32 v5, 0x80000000, v5
	s_delay_alu instid0(VALU_DEP_2) | instskip(NEXT) | instid1(VALU_DEP_1)
	v_clz_i32_u32_e32 v6, v4
	v_min_u32_e32 v6, 32, v6
	s_delay_alu instid0(VALU_DEP_1) | instskip(SKIP_1) | instid1(VALU_DEP_2)
	v_subrev_nc_u32_e32 v7, 29, v6
	v_sub_nc_u32_e32 v6, 30, v6
	v_lshlrev_b32_e32 v7, v7, v3
	v_bfe_u32 v3, v3, 2, 5
	s_delay_alu instid0(VALU_DEP_2) | instskip(NEXT) | instid1(VALU_DEP_2)
	v_and_b32_e32 v7, 3, v7
	v_cmp_eq_u32_e32 vcc_lo, 0, v3
	s_delay_alu instid0(VALU_DEP_2) | instskip(NEXT) | instid1(VALU_DEP_1)
	v_dual_cndmask_b32 v3, v3, v6 :: v_dual_cndmask_b32 v4, v4, v7
	v_lshl_add_u32 v3, v3, 23, 0x37800000
	s_delay_alu instid0(VALU_DEP_2) | instskip(NEXT) | instid1(VALU_DEP_1)
	v_lshlrev_b32_e32 v4, 21, v4
	v_or3_b32 v3, v5, v3, v4
	s_delay_alu instid0(VALU_DEP_1)
	v_cvt_f64_f32_e32 v[3:4], v3
.LBB249_609:
	s_or_b32 exec_lo, exec_lo, s2
	s_mov_b32 s2, 0
	s_branch .LBB249_613
.LBB249_610:
	s_mov_b32 s3, -1
                                        ; implicit-def: $vgpr3_vgpr4
	s_branch .LBB249_619
.LBB249_611:
	s_mov_b32 s2, -1
                                        ; implicit-def: $vgpr3_vgpr4
	s_branch .LBB249_616
.LBB249_612:
	s_mov_b32 s2, -1
                                        ; implicit-def: $vgpr3_vgpr4
.LBB249_613:
	s_delay_alu instid0(SALU_CYCLE_1)
	s_and_b32 vcc_lo, exec_lo, s2
	s_cbranch_vccz .LBB249_615
; %bb.614:
	global_load_u8 v3, v[1:2], off
	s_waitcnt vmcnt(0)
	v_lshlrev_b32_e32 v3, 24, v3
	s_delay_alu instid0(VALU_DEP_1) | instskip(NEXT) | instid1(VALU_DEP_1)
	v_and_b32_e32 v4, 0x7f000000, v3
	v_clz_i32_u32_e32 v5, v4
	v_add_nc_u32_e32 v7, 0x1000000, v4
	v_cmp_ne_u32_e32 vcc_lo, 0, v4
	s_delay_alu instid0(VALU_DEP_3) | instskip(NEXT) | instid1(VALU_DEP_1)
	v_min_u32_e32 v5, 32, v5
	v_sub_nc_u32_e64 v5, v5, 4 clamp
	s_delay_alu instid0(VALU_DEP_1) | instskip(SKIP_1) | instid1(VALU_DEP_2)
	v_lshlrev_b32_e32 v6, v5, v4
	v_lshlrev_b32_e32 v5, 23, v5
	v_lshrrev_b32_e32 v6, 4, v6
	s_delay_alu instid0(VALU_DEP_1) | instskip(SKIP_1) | instid1(VALU_DEP_2)
	v_sub_nc_u32_e32 v5, v6, v5
	v_ashrrev_i32_e32 v6, 8, v7
	v_add_nc_u32_e32 v5, 0x3c000000, v5
	s_delay_alu instid0(VALU_DEP_1) | instskip(NEXT) | instid1(VALU_DEP_1)
	v_and_or_b32 v5, 0x7f800000, v6, v5
	v_cndmask_b32_e32 v4, 0, v5, vcc_lo
	s_delay_alu instid0(VALU_DEP_1) | instskip(NEXT) | instid1(VALU_DEP_1)
	v_and_or_b32 v3, 0x80000000, v3, v4
	v_cvt_f64_f32_e32 v[3:4], v3
.LBB249_615:
	s_mov_b32 s2, 0
.LBB249_616:
	s_delay_alu instid0(SALU_CYCLE_1)
	s_and_not1_b32 vcc_lo, exec_lo, s2
	s_cbranch_vccnz .LBB249_618
; %bb.617:
	global_load_u8 v3, v[1:2], off
	s_waitcnt vmcnt(0)
	v_lshlrev_b32_e32 v4, 25, v3
	v_lshlrev_b16 v3, 8, v3
	s_delay_alu instid0(VALU_DEP_2) | instskip(NEXT) | instid1(VALU_DEP_2)
	v_lshrrev_b32_e32 v5, 4, v4
	v_and_or_b32 v6, 0x7f00, v3, 0.5
	v_bfe_i32 v3, v3, 0, 16
	s_delay_alu instid0(VALU_DEP_3) | instskip(NEXT) | instid1(VALU_DEP_1)
	v_or_b32_e32 v5, 0x70000000, v5
	v_dual_add_f32 v6, -0.5, v6 :: v_dual_mul_f32 v5, 0x7800000, v5
	v_cmp_gt_u32_e32 vcc_lo, 0x8000000, v4
	s_delay_alu instid0(VALU_DEP_2) | instskip(NEXT) | instid1(VALU_DEP_1)
	v_cndmask_b32_e32 v4, v5, v6, vcc_lo
	v_and_or_b32 v3, 0x80000000, v3, v4
	s_delay_alu instid0(VALU_DEP_1)
	v_cvt_f64_f32_e32 v[3:4], v3
.LBB249_618:
	s_mov_b32 s3, 0
	s_mov_b32 s2, -1
.LBB249_619:
	s_and_not1_b32 vcc_lo, exec_lo, s3
	s_cbranch_vccnz .LBB249_630
; %bb.620:
	v_cmp_lt_i16_e32 vcc_lo, 14, v9
	s_cbranch_vccz .LBB249_623
; %bb.621:
	v_cmp_eq_u16_e32 vcc_lo, 15, v9
	s_cbranch_vccz .LBB249_624
; %bb.622:
	global_load_u16 v3, v[1:2], off
	s_mov_b32 s2, -1
	s_mov_b32 s22, 0
	s_waitcnt vmcnt(0)
	v_lshlrev_b32_e32 v3, 16, v3
	s_delay_alu instid0(VALU_DEP_1)
	v_cvt_f64_f32_e32 v[3:4], v3
	s_branch .LBB249_625
.LBB249_623:
	s_mov_b32 s3, -1
                                        ; implicit-def: $vgpr3_vgpr4
	s_branch .LBB249_626
.LBB249_624:
	s_mov_b32 s22, -1
                                        ; implicit-def: $vgpr3_vgpr4
.LBB249_625:
	s_mov_b32 s3, 0
.LBB249_626:
	s_delay_alu instid0(SALU_CYCLE_1)
	s_and_b32 vcc_lo, exec_lo, s3
	s_cbranch_vccz .LBB249_630
; %bb.627:
	v_cmp_eq_u16_e32 vcc_lo, 11, v9
	s_cbranch_vccz .LBB249_629
; %bb.628:
	global_load_u8 v3, v[1:2], off
	s_mov_b32 s22, 0
	s_mov_b32 s2, -1
	s_waitcnt vmcnt(0)
	v_cmp_ne_u16_e32 vcc_lo, 0, v3
	v_mov_b32_e32 v3, 0
	v_cndmask_b32_e64 v4, 0, 0x3ff00000, vcc_lo
	s_branch .LBB249_630
.LBB249_629:
	s_mov_b32 s22, -1
                                        ; implicit-def: $vgpr3_vgpr4
.LBB249_630:
	s_mov_b32 s3, 0
.LBB249_631:
	s_delay_alu instid0(SALU_CYCLE_1)
	s_and_b32 vcc_lo, exec_lo, s3
	s_cbranch_vccz .LBB249_680
; %bb.632:
	v_cmp_gt_i16_e32 vcc_lo, 5, v9
	s_cbranch_vccnz .LBB249_637
; %bb.633:
	v_cmp_gt_i16_e32 vcc_lo, 8, v9
	s_cbranch_vccnz .LBB249_638
	;; [unrolled: 3-line block ×3, first 2 shown]
; %bb.635:
	v_cmp_lt_i16_e32 vcc_lo, 9, v9
	s_cbranch_vccz .LBB249_640
; %bb.636:
	global_load_b64 v[3:4], v[1:2], off
	s_mov_b32 s2, 0
	s_branch .LBB249_641
.LBB249_637:
	s_mov_b32 s2, -1
                                        ; implicit-def: $vgpr3_vgpr4
	s_branch .LBB249_659
.LBB249_638:
	s_mov_b32 s2, -1
                                        ; implicit-def: $vgpr3_vgpr4
	s_branch .LBB249_647
.LBB249_639:
	s_mov_b32 s2, -1
                                        ; implicit-def: $vgpr3_vgpr4
	s_branch .LBB249_644
.LBB249_640:
	s_mov_b32 s2, -1
                                        ; implicit-def: $vgpr3_vgpr4
.LBB249_641:
	s_delay_alu instid0(SALU_CYCLE_1)
	s_and_not1_b32 vcc_lo, exec_lo, s2
	s_cbranch_vccnz .LBB249_643
; %bb.642:
	global_load_b32 v3, v[1:2], off
	s_waitcnt vmcnt(0)
	v_cvt_f64_f32_e32 v[3:4], v3
.LBB249_643:
	s_mov_b32 s2, 0
.LBB249_644:
	s_delay_alu instid0(SALU_CYCLE_1)
	s_and_not1_b32 vcc_lo, exec_lo, s2
	s_cbranch_vccnz .LBB249_646
; %bb.645:
	global_load_b32 v3, v[1:2], off
	s_waitcnt vmcnt(0)
	v_cvt_f32_f16_e32 v3, v3
	s_delay_alu instid0(VALU_DEP_1)
	v_cvt_f64_f32_e32 v[3:4], v3
.LBB249_646:
	s_mov_b32 s2, 0
.LBB249_647:
	s_delay_alu instid0(SALU_CYCLE_1)
	s_and_not1_b32 vcc_lo, exec_lo, s2
	s_cbranch_vccnz .LBB249_658
; %bb.648:
	v_cmp_gt_i16_e32 vcc_lo, 6, v9
	s_cbranch_vccnz .LBB249_651
; %bb.649:
	v_cmp_lt_i16_e32 vcc_lo, 6, v9
	s_cbranch_vccz .LBB249_652
; %bb.650:
	global_load_b64 v[3:4], v[1:2], off
	s_mov_b32 s2, 0
	s_branch .LBB249_653
.LBB249_651:
	s_mov_b32 s2, -1
                                        ; implicit-def: $vgpr3_vgpr4
	s_branch .LBB249_656
.LBB249_652:
	s_mov_b32 s2, -1
                                        ; implicit-def: $vgpr3_vgpr4
.LBB249_653:
	s_delay_alu instid0(SALU_CYCLE_1)
	s_and_not1_b32 vcc_lo, exec_lo, s2
	s_cbranch_vccnz .LBB249_655
; %bb.654:
	global_load_b32 v3, v[1:2], off
	s_waitcnt vmcnt(0)
	v_cvt_f64_f32_e32 v[3:4], v3
.LBB249_655:
	s_mov_b32 s2, 0
.LBB249_656:
	s_delay_alu instid0(SALU_CYCLE_1)
	s_and_not1_b32 vcc_lo, exec_lo, s2
	s_cbranch_vccnz .LBB249_658
; %bb.657:
	global_load_u16 v3, v[1:2], off
	s_waitcnt vmcnt(0)
	v_cvt_f32_f16_e32 v3, v3
	s_delay_alu instid0(VALU_DEP_1)
	v_cvt_f64_f32_e32 v[3:4], v3
.LBB249_658:
	s_mov_b32 s2, 0
.LBB249_659:
	s_delay_alu instid0(SALU_CYCLE_1)
	s_and_not1_b32 vcc_lo, exec_lo, s2
	s_cbranch_vccnz .LBB249_679
; %bb.660:
	v_cmp_gt_i16_e32 vcc_lo, 2, v9
	s_cbranch_vccnz .LBB249_664
; %bb.661:
	v_cmp_gt_i16_e32 vcc_lo, 3, v9
	s_cbranch_vccnz .LBB249_665
; %bb.662:
	v_cmp_lt_i16_e32 vcc_lo, 3, v9
	s_cbranch_vccz .LBB249_666
; %bb.663:
	global_load_b64 v[3:4], v[1:2], off
	s_mov_b32 s2, 0
	s_waitcnt vmcnt(0)
	v_cvt_f64_i32_e32 v[4:5], v4
	v_cvt_f64_u32_e32 v[6:7], v3
	s_delay_alu instid0(VALU_DEP_2) | instskip(NEXT) | instid1(VALU_DEP_1)
	v_ldexp_f64 v[4:5], v[4:5], 32
	v_add_f64 v[3:4], v[4:5], v[6:7]
	s_branch .LBB249_667
.LBB249_664:
	s_mov_b32 s2, -1
                                        ; implicit-def: $vgpr3_vgpr4
	s_branch .LBB249_673
.LBB249_665:
	s_mov_b32 s2, -1
                                        ; implicit-def: $vgpr3_vgpr4
	s_branch .LBB249_670
.LBB249_666:
	s_mov_b32 s2, -1
                                        ; implicit-def: $vgpr3_vgpr4
.LBB249_667:
	s_delay_alu instid0(SALU_CYCLE_1)
	s_and_not1_b32 vcc_lo, exec_lo, s2
	s_cbranch_vccnz .LBB249_669
; %bb.668:
	global_load_b32 v3, v[1:2], off
	s_waitcnt vmcnt(0)
	v_cvt_f64_i32_e32 v[3:4], v3
.LBB249_669:
	s_mov_b32 s2, 0
.LBB249_670:
	s_delay_alu instid0(SALU_CYCLE_1)
	s_and_not1_b32 vcc_lo, exec_lo, s2
	s_cbranch_vccnz .LBB249_672
; %bb.671:
	global_load_i16 v3, v[1:2], off
	s_waitcnt vmcnt(0)
	v_cvt_f64_i32_e32 v[3:4], v3
.LBB249_672:
	s_mov_b32 s2, 0
.LBB249_673:
	s_delay_alu instid0(SALU_CYCLE_1)
	s_and_not1_b32 vcc_lo, exec_lo, s2
	s_cbranch_vccnz .LBB249_679
; %bb.674:
	v_cmp_lt_i16_e32 vcc_lo, 0, v9
	s_mov_b32 s2, 0
	s_cbranch_vccz .LBB249_676
; %bb.675:
	global_load_i8 v3, v[1:2], off
	s_waitcnt vmcnt(0)
	v_cvt_f64_i32_e32 v[3:4], v3
	s_branch .LBB249_677
.LBB249_676:
	s_mov_b32 s2, -1
                                        ; implicit-def: $vgpr3_vgpr4
.LBB249_677:
	s_delay_alu instid0(SALU_CYCLE_1)
	s_and_not1_b32 vcc_lo, exec_lo, s2
	s_cbranch_vccnz .LBB249_679
; %bb.678:
	global_load_u8 v1, v[1:2], off
	s_waitcnt vmcnt(0)
	v_cvt_f64_u32_e32 v[3:4], v1
.LBB249_679:
	s_mov_b32 s2, -1
.LBB249_680:
	s_delay_alu instid0(SALU_CYCLE_1)
	s_and_not1_b32 vcc_lo, exec_lo, s2
	s_cbranch_vccnz .LBB249_688
; %bb.681:
	s_waitcnt vmcnt(0)
	s_delay_alu instid0(VALU_DEP_1) | instskip(SKIP_2) | instid1(VALU_DEP_1)
	v_cmp_gt_f64_e32 vcc_lo, 0x10000000, v[3:4]
	s_mov_b32 s3, 0
	v_cndmask_b32_e64 v1, 0, 1, vcc_lo
	v_lshlrev_b32_e32 v1, 8, v1
	s_delay_alu instid0(VALU_DEP_1) | instskip(SKIP_1) | instid1(VALU_DEP_2)
	v_ldexp_f64 v[2:3], v[3:4], v1
	v_cndmask_b32_e64 v1, 0, 0xffffff80, vcc_lo
	v_rsq_f64_e32 v[4:5], v[2:3]
	v_cmp_class_f64_e64 vcc_lo, v[2:3], 0x260
	s_waitcnt_depctr 0xfff
	v_mul_f64 v[6:7], v[2:3], v[4:5]
	v_mul_f64 v[4:5], v[4:5], 0.5
	s_delay_alu instid0(VALU_DEP_1) | instskip(NEXT) | instid1(VALU_DEP_1)
	v_fma_f64 v[11:12], -v[4:5], v[6:7], 0.5
	v_fma_f64 v[6:7], v[6:7], v[11:12], v[6:7]
	v_fma_f64 v[4:5], v[4:5], v[11:12], v[4:5]
	s_delay_alu instid0(VALU_DEP_2) | instskip(NEXT) | instid1(VALU_DEP_1)
	v_fma_f64 v[11:12], -v[6:7], v[6:7], v[2:3]
	v_fma_f64 v[6:7], v[11:12], v[4:5], v[6:7]
	s_delay_alu instid0(VALU_DEP_1) | instskip(NEXT) | instid1(VALU_DEP_1)
	v_fma_f64 v[11:12], -v[6:7], v[6:7], v[2:3]
	v_fma_f64 v[4:5], v[11:12], v[4:5], v[6:7]
	s_delay_alu instid0(VALU_DEP_1) | instskip(SKIP_2) | instid1(VALU_DEP_1)
	v_ldexp_f64 v[11:12], v[4:5], v1
	v_and_b32_e32 v6, 0xff, v8
	v_add_co_u32 v4, s23, s4, v0
	v_add_co_ci_u32_e64 v5, null, s5, 0, s23
	s_mov_b32 s23, -1
	s_delay_alu instid0(VALU_DEP_4) | instskip(SKIP_2) | instid1(VALU_DEP_2)
	v_cndmask_b32_e32 v1, v12, v3, vcc_lo
	v_cmp_gt_i16_e64 s2, 11, v6
	v_cndmask_b32_e32 v0, v11, v2, vcc_lo
	s_and_b32 vcc_lo, exec_lo, s2
	s_mov_b32 s2, s38
	s_cbranch_vccnz .LBB249_689
; %bb.682:
	v_cmp_lt_i16_e32 vcc_lo, 25, v6
	s_cbranch_vccz .LBB249_730
; %bb.683:
	v_cmp_lt_i16_e32 vcc_lo, 28, v6
	s_cbranch_vccz .LBB249_731
	;; [unrolled: 3-line block ×4, first 2 shown]
; %bb.686:
	v_cmp_eq_u16_e32 vcc_lo, 46, v6
	s_mov_b32 s23, 0
	s_mov_b32 s2, -1
	s_cbranch_vccz .LBB249_734
; %bb.687:
	v_cvt_f32_f64_e32 v2, v[0:1]
	s_mov_b32 s3, -1
	s_mov_b32 s2, 0
	s_delay_alu instid0(VALU_DEP_1) | instskip(SKIP_1) | instid1(VALU_DEP_2)
	v_bfe_u32 v3, v2, 16, 1
	v_cmp_o_f32_e32 vcc_lo, v2, v2
	v_add3_u32 v3, v2, v3, 0x7fff
	s_delay_alu instid0(VALU_DEP_1) | instskip(NEXT) | instid1(VALU_DEP_1)
	v_lshrrev_b32_e32 v3, 16, v3
	v_cndmask_b32_e32 v2, 0x7fc0, v3, vcc_lo
	global_store_b32 v[4:5], v2, off
	s_branch .LBB249_734
.LBB249_688:
	s_mov_b32 s3, 0
	s_mov_b32 s2, s38
	s_branch .LBB249_729
.LBB249_689:
	s_and_b32 vcc_lo, exec_lo, s23
	s_cbranch_vccz .LBB249_803
; %bb.690:
	v_cmp_gt_i16_e32 vcc_lo, 5, v6
	s_mov_b32 s3, -1
	s_cbranch_vccnz .LBB249_711
; %bb.691:
	v_cmp_gt_i16_e32 vcc_lo, 8, v6
	s_cbranch_vccnz .LBB249_701
; %bb.692:
	v_cmp_gt_i16_e32 vcc_lo, 9, v6
	s_cbranch_vccnz .LBB249_698
; %bb.693:
	v_cmp_lt_i16_e32 vcc_lo, 9, v6
	s_cbranch_vccz .LBB249_695
; %bb.694:
	v_mov_b32_e32 v2, 0
	s_mov_b32 s3, 0
	s_delay_alu instid0(VALU_DEP_1)
	v_mov_b32_e32 v3, v2
	global_store_b128 v[4:5], v[0:3], off
.LBB249_695:
	s_and_not1_b32 vcc_lo, exec_lo, s3
	s_cbranch_vccnz .LBB249_697
; %bb.696:
	v_cvt_f32_f64_e32 v2, v[0:1]
	v_mov_b32_e32 v3, 0
	global_store_b64 v[4:5], v[2:3], off
.LBB249_697:
	s_mov_b32 s3, 0
.LBB249_698:
	s_delay_alu instid0(SALU_CYCLE_1)
	s_and_not1_b32 vcc_lo, exec_lo, s3
	s_cbranch_vccnz .LBB249_700
; %bb.699:
	v_cvt_f32_f64_e32 v2, v[0:1]
	s_delay_alu instid0(VALU_DEP_1) | instskip(NEXT) | instid1(VALU_DEP_1)
	v_cvt_f16_f32_e32 v2, v2
	v_and_b32_e32 v2, 0xffff, v2
	global_store_b32 v[4:5], v2, off
.LBB249_700:
	s_mov_b32 s3, 0
.LBB249_701:
	s_delay_alu instid0(SALU_CYCLE_1)
	s_and_not1_b32 vcc_lo, exec_lo, s3
	s_cbranch_vccnz .LBB249_710
; %bb.702:
	v_cmp_gt_i16_e32 vcc_lo, 6, v6
	s_mov_b32 s3, -1
	s_cbranch_vccnz .LBB249_708
; %bb.703:
	v_cmp_lt_i16_e32 vcc_lo, 6, v6
	s_cbranch_vccz .LBB249_705
; %bb.704:
	s_mov_b32 s3, 0
	global_store_b64 v[4:5], v[0:1], off
.LBB249_705:
	s_and_not1_b32 vcc_lo, exec_lo, s3
	s_cbranch_vccnz .LBB249_707
; %bb.706:
	v_cvt_f32_f64_e32 v2, v[0:1]
	global_store_b32 v[4:5], v2, off
.LBB249_707:
	s_mov_b32 s3, 0
.LBB249_708:
	s_delay_alu instid0(SALU_CYCLE_1)
	s_and_not1_b32 vcc_lo, exec_lo, s3
	s_cbranch_vccnz .LBB249_710
; %bb.709:
	v_cvt_f32_f64_e32 v2, v[0:1]
	s_delay_alu instid0(VALU_DEP_1)
	v_cvt_f16_f32_e32 v2, v2
	global_store_b16 v[4:5], v2, off
.LBB249_710:
	s_mov_b32 s3, 0
.LBB249_711:
	s_delay_alu instid0(SALU_CYCLE_1)
	s_and_not1_b32 vcc_lo, exec_lo, s3
	s_cbranch_vccnz .LBB249_727
; %bb.712:
	v_cmp_gt_i16_e32 vcc_lo, 2, v6
	s_mov_b32 s3, -1
	s_cbranch_vccnz .LBB249_722
; %bb.713:
	v_cmp_gt_i16_e32 vcc_lo, 3, v6
	s_cbranch_vccnz .LBB249_719
; %bb.714:
	v_cmp_lt_i16_e32 vcc_lo, 3, v6
	s_cbranch_vccz .LBB249_716
; %bb.715:
	v_trunc_f64_e32 v[2:3], v[0:1]
	s_mov_b32 s3, 0
	s_delay_alu instid0(VALU_DEP_1) | instskip(NEXT) | instid1(VALU_DEP_1)
	v_ldexp_f64 v[11:12], v[2:3], 0xffffffe0
	v_floor_f64_e32 v[11:12], v[11:12]
	s_delay_alu instid0(VALU_DEP_1) | instskip(SKIP_1) | instid1(VALU_DEP_2)
	v_fma_f64 v[2:3], 0xc1f00000, v[11:12], v[2:3]
	v_cvt_i32_f64_e32 v12, v[11:12]
	v_cvt_u32_f64_e32 v11, v[2:3]
	global_store_b64 v[4:5], v[11:12], off
.LBB249_716:
	s_and_not1_b32 vcc_lo, exec_lo, s3
	s_cbranch_vccnz .LBB249_718
; %bb.717:
	v_cvt_i32_f64_e32 v2, v[0:1]
	global_store_b32 v[4:5], v2, off
.LBB249_718:
	s_mov_b32 s3, 0
.LBB249_719:
	s_delay_alu instid0(SALU_CYCLE_1)
	s_and_not1_b32 vcc_lo, exec_lo, s3
	s_cbranch_vccnz .LBB249_721
; %bb.720:
	v_cvt_i32_f64_e32 v2, v[0:1]
	global_store_b16 v[4:5], v2, off
.LBB249_721:
	s_mov_b32 s3, 0
.LBB249_722:
	s_delay_alu instid0(SALU_CYCLE_1)
	s_and_not1_b32 vcc_lo, exec_lo, s3
	s_cbranch_vccnz .LBB249_727
; %bb.723:
	v_cmp_lt_i16_e32 vcc_lo, 0, v6
	s_mov_b32 s3, -1
	s_cbranch_vccz .LBB249_725
; %bb.724:
	v_cvt_i32_f64_e32 v2, v[0:1]
	s_mov_b32 s3, 0
	global_store_b8 v[4:5], v2, off
.LBB249_725:
	s_and_not1_b32 vcc_lo, exec_lo, s3
	s_cbranch_vccnz .LBB249_727
; %bb.726:
	v_trunc_f64_e32 v[0:1], v[0:1]
	s_delay_alu instid0(VALU_DEP_1) | instskip(NEXT) | instid1(VALU_DEP_1)
	v_ldexp_f64 v[2:3], v[0:1], 0xffffffe0
	v_floor_f64_e32 v[2:3], v[2:3]
	s_delay_alu instid0(VALU_DEP_1) | instskip(NEXT) | instid1(VALU_DEP_1)
	v_fma_f64 v[0:1], 0xc1f00000, v[2:3], v[0:1]
	v_cvt_u32_f64_e32 v0, v[0:1]
	global_store_b8 v[4:5], v0, off
.LBB249_727:
	s_branch .LBB249_804
.LBB249_728:
	s_mov_b32 s3, 0
.LBB249_729:
                                        ; implicit-def: $vgpr10
	s_branch .LBB249_805
.LBB249_730:
	s_mov_b32 s2, s38
	s_branch .LBB249_761
.LBB249_731:
	s_mov_b32 s2, s38
	s_branch .LBB249_744
.LBB249_732:
	s_mov_b32 s2, s38
	s_branch .LBB249_740
.LBB249_733:
	s_mov_b32 s2, s38
.LBB249_734:
	s_and_b32 vcc_lo, exec_lo, s23
	s_cbranch_vccz .LBB249_739
; %bb.735:
	v_cmp_eq_u16_e32 vcc_lo, 44, v6
	s_mov_b32 s2, -1
	s_cbranch_vccz .LBB249_739
; %bb.736:
	v_cvt_f32_f64_e32 v2, v[0:1]
	v_mov_b32_e32 v3, 0xff
	s_mov_b32 s3, exec_lo
	s_delay_alu instid0(VALU_DEP_2) | instskip(NEXT) | instid1(VALU_DEP_1)
	v_bfe_u32 v7, v2, 23, 8
	v_cmpx_ne_u32_e32 0xff, v7
; %bb.737:
	v_and_b32_e32 v3, 0x400000, v2
	v_and_or_b32 v7, 0x3fffff, v2, v7
	v_lshrrev_b32_e32 v2, 23, v2
	s_delay_alu instid0(VALU_DEP_3) | instskip(NEXT) | instid1(VALU_DEP_3)
	v_cmp_ne_u32_e32 vcc_lo, 0, v3
	v_cmp_ne_u32_e64 s2, 0, v7
	s_delay_alu instid0(VALU_DEP_1) | instskip(NEXT) | instid1(SALU_CYCLE_1)
	s_and_b32 s2, vcc_lo, s2
	v_cndmask_b32_e64 v3, 0, 1, s2
	s_delay_alu instid0(VALU_DEP_1)
	v_add_nc_u32_e32 v3, v2, v3
; %bb.738:
	s_or_b32 exec_lo, exec_lo, s3
	s_mov_b32 s3, -1
	s_mov_b32 s2, 0
	global_store_b8 v[4:5], v3, off
.LBB249_739:
	s_mov_b32 s23, 0
.LBB249_740:
	s_delay_alu instid0(SALU_CYCLE_1)
	s_and_b32 vcc_lo, exec_lo, s23
	s_cbranch_vccz .LBB249_743
; %bb.741:
	v_cmp_eq_u16_e32 vcc_lo, 29, v6
	s_mov_b32 s2, -1
	s_cbranch_vccz .LBB249_743
; %bb.742:
	v_trunc_f64_e32 v[2:3], v[0:1]
	s_mov_b32 s3, -1
	s_mov_b32 s2, 0
	s_mov_b32 s23, 0
	s_delay_alu instid0(VALU_DEP_1) | instskip(NEXT) | instid1(VALU_DEP_1)
	v_ldexp_f64 v[11:12], v[2:3], 0xffffffe0
	v_floor_f64_e32 v[11:12], v[11:12]
	s_delay_alu instid0(VALU_DEP_1) | instskip(SKIP_1) | instid1(VALU_DEP_2)
	v_fma_f64 v[2:3], 0xc1f00000, v[11:12], v[2:3]
	v_cvt_u32_f64_e32 v12, v[11:12]
	v_cvt_u32_f64_e32 v11, v[2:3]
	global_store_b64 v[4:5], v[11:12], off
	s_branch .LBB249_744
.LBB249_743:
	s_mov_b32 s23, 0
.LBB249_744:
	s_delay_alu instid0(SALU_CYCLE_1)
	s_and_b32 vcc_lo, exec_lo, s23
	s_cbranch_vccz .LBB249_760
; %bb.745:
	v_cmp_gt_i16_e32 vcc_lo, 27, v6
	s_mov_b32 s3, -1
	s_cbranch_vccnz .LBB249_751
; %bb.746:
	v_cmp_lt_i16_e32 vcc_lo, 27, v6
	s_cbranch_vccz .LBB249_748
; %bb.747:
	v_cvt_u32_f64_e32 v2, v[0:1]
	s_mov_b32 s3, 0
	global_store_b32 v[4:5], v2, off
.LBB249_748:
	s_and_not1_b32 vcc_lo, exec_lo, s3
	s_cbranch_vccnz .LBB249_750
; %bb.749:
	v_cvt_u32_f64_e32 v2, v[0:1]
	global_store_b16 v[4:5], v2, off
.LBB249_750:
	s_mov_b32 s3, 0
.LBB249_751:
	s_delay_alu instid0(SALU_CYCLE_1)
	s_and_not1_b32 vcc_lo, exec_lo, s3
	s_cbranch_vccnz .LBB249_759
; %bb.752:
	v_cvt_f32_f64_e32 v2, v[0:1]
	v_mov_b32_e32 v7, 0x80
	s_mov_b32 s3, exec_lo
	s_delay_alu instid0(VALU_DEP_2) | instskip(NEXT) | instid1(VALU_DEP_1)
	v_and_b32_e32 v3, 0x7fffffff, v2
	v_cmpx_gt_u32_e32 0x43800000, v3
	s_cbranch_execz .LBB249_758
; %bb.753:
	v_cmp_lt_u32_e32 vcc_lo, 0x3bffffff, v3
	s_mov_b32 s23, 0
                                        ; implicit-def: $vgpr3
	s_and_saveexec_b32 s41, vcc_lo
	s_delay_alu instid0(SALU_CYCLE_1)
	s_xor_b32 s41, exec_lo, s41
	s_cbranch_execz .LBB249_832
; %bb.754:
	v_bfe_u32 v3, v2, 20, 1
	s_mov_b32 s23, exec_lo
	s_delay_alu instid0(VALU_DEP_1) | instskip(NEXT) | instid1(VALU_DEP_1)
	v_add3_u32 v3, v2, v3, 0x487ffff
	v_lshrrev_b32_e32 v3, 20, v3
	s_or_saveexec_b32 s41, s41
                                        ; implicit-def: $sgpr42
	s_delay_alu instid0(SALU_CYCLE_1)
	s_xor_b32 exec_lo, exec_lo, s41
	s_cbranch_execnz .LBB249_833
.LBB249_755:
	s_or_b32 exec_lo, exec_lo, s41
	v_mov_b32_e32 v7, s42
	s_and_saveexec_b32 s41, s23
.LBB249_756:
	v_lshrrev_b32_e32 v2, 24, v2
	s_delay_alu instid0(VALU_DEP_1)
	v_and_or_b32 v7, 0x80, v2, v3
.LBB249_757:
	s_or_b32 exec_lo, exec_lo, s41
.LBB249_758:
	s_delay_alu instid0(SALU_CYCLE_1)
	s_or_b32 exec_lo, exec_lo, s3
	global_store_b8 v[4:5], v7, off
.LBB249_759:
	s_mov_b32 s3, -1
.LBB249_760:
	s_mov_b32 s23, 0
.LBB249_761:
	s_delay_alu instid0(SALU_CYCLE_1)
	s_and_b32 vcc_lo, exec_lo, s23
	s_cbranch_vccz .LBB249_802
; %bb.762:
	v_cmp_lt_i16_e32 vcc_lo, 22, v6
	s_mov_b32 s23, -1
	s_cbranch_vccz .LBB249_794
; %bb.763:
	v_cmp_gt_i16_e32 vcc_lo, 24, v6
	s_mov_b32 s3, -1
	s_cbranch_vccnz .LBB249_783
; %bb.764:
	v_cmp_lt_i16_e32 vcc_lo, 24, v6
	s_cbranch_vccz .LBB249_772
; %bb.765:
	v_cvt_f32_f64_e32 v2, v[0:1]
	v_mov_b32_e32 v7, 0x80
	s_mov_b32 s3, exec_lo
	s_delay_alu instid0(VALU_DEP_2) | instskip(NEXT) | instid1(VALU_DEP_1)
	v_and_b32_e32 v3, 0x7fffffff, v2
	v_cmpx_gt_u32_e32 0x47800000, v3
	s_cbranch_execz .LBB249_771
; %bb.766:
	v_cmp_lt_u32_e32 vcc_lo, 0x37ffffff, v3
	s_mov_b32 s23, 0
                                        ; implicit-def: $vgpr3
	s_and_saveexec_b32 s41, vcc_lo
	s_delay_alu instid0(SALU_CYCLE_1)
	s_xor_b32 s41, exec_lo, s41
	s_cbranch_execz .LBB249_835
; %bb.767:
	v_bfe_u32 v3, v2, 21, 1
	s_mov_b32 s23, exec_lo
	s_delay_alu instid0(VALU_DEP_1) | instskip(NEXT) | instid1(VALU_DEP_1)
	v_add3_u32 v3, v2, v3, 0x88fffff
	v_lshrrev_b32_e32 v3, 21, v3
	s_or_saveexec_b32 s41, s41
                                        ; implicit-def: $sgpr42
	s_delay_alu instid0(SALU_CYCLE_1)
	s_xor_b32 exec_lo, exec_lo, s41
	s_cbranch_execnz .LBB249_836
.LBB249_768:
	s_or_b32 exec_lo, exec_lo, s41
	v_mov_b32_e32 v7, s42
	s_and_saveexec_b32 s41, s23
.LBB249_769:
	v_lshrrev_b32_e32 v2, 24, v2
	s_delay_alu instid0(VALU_DEP_1)
	v_and_or_b32 v7, 0x80, v2, v3
.LBB249_770:
	s_or_b32 exec_lo, exec_lo, s41
.LBB249_771:
	s_delay_alu instid0(SALU_CYCLE_1)
	s_or_b32 exec_lo, exec_lo, s3
	s_mov_b32 s3, 0
	global_store_b8 v[4:5], v7, off
.LBB249_772:
	s_and_b32 vcc_lo, exec_lo, s3
	s_cbranch_vccz .LBB249_782
; %bb.773:
	v_cvt_f32_f64_e32 v2, v[0:1]
	s_mov_b32 s3, exec_lo
                                        ; implicit-def: $vgpr3
	s_delay_alu instid0(VALU_DEP_1) | instskip(NEXT) | instid1(VALU_DEP_1)
	v_and_b32_e32 v7, 0x7fffffff, v2
	v_cmpx_gt_u32_e32 0x43f00000, v7
	s_xor_b32 s3, exec_lo, s3
	s_cbranch_execz .LBB249_779
; %bb.774:
	s_mov_b32 s23, exec_lo
                                        ; implicit-def: $vgpr3
	v_cmpx_lt_u32_e32 0x3c7fffff, v7
	s_xor_b32 s23, exec_lo, s23
; %bb.775:
	v_bfe_u32 v3, v2, 20, 1
	s_delay_alu instid0(VALU_DEP_1) | instskip(NEXT) | instid1(VALU_DEP_1)
	v_add3_u32 v3, v2, v3, 0x407ffff
	v_and_b32_e32 v7, 0xff00000, v3
	v_lshrrev_b32_e32 v3, 20, v3
	s_delay_alu instid0(VALU_DEP_2) | instskip(NEXT) | instid1(VALU_DEP_2)
	v_cmp_ne_u32_e32 vcc_lo, 0x7f00000, v7
	v_cndmask_b32_e32 v3, 0x7e, v3, vcc_lo
; %bb.776:
	s_and_not1_saveexec_b32 s23, s23
; %bb.777:
	v_add_f32_e64 v3, 0x46800000, |v2|
; %bb.778:
	s_or_b32 exec_lo, exec_lo, s23
                                        ; implicit-def: $vgpr7
.LBB249_779:
	s_and_not1_saveexec_b32 s3, s3
; %bb.780:
	v_mov_b32_e32 v3, 0x7f
	v_cmp_lt_u32_e32 vcc_lo, 0x7f800000, v7
	s_delay_alu instid0(VALU_DEP_2)
	v_cndmask_b32_e32 v3, 0x7e, v3, vcc_lo
; %bb.781:
	s_or_b32 exec_lo, exec_lo, s3
	v_lshrrev_b32_e32 v2, 24, v2
	s_delay_alu instid0(VALU_DEP_1)
	v_and_or_b32 v2, 0x80, v2, v3
	global_store_b8 v[4:5], v2, off
.LBB249_782:
	s_mov_b32 s3, 0
.LBB249_783:
	s_delay_alu instid0(SALU_CYCLE_1)
	s_and_not1_b32 vcc_lo, exec_lo, s3
	s_cbranch_vccnz .LBB249_793
; %bb.784:
	v_cvt_f32_f64_e32 v2, v[0:1]
	s_mov_b32 s3, exec_lo
                                        ; implicit-def: $vgpr3
	s_delay_alu instid0(VALU_DEP_1) | instskip(NEXT) | instid1(VALU_DEP_1)
	v_and_b32_e32 v7, 0x7fffffff, v2
	v_cmpx_gt_u32_e32 0x47800000, v7
	s_xor_b32 s3, exec_lo, s3
	s_cbranch_execz .LBB249_790
; %bb.785:
	s_mov_b32 s23, exec_lo
                                        ; implicit-def: $vgpr3
	v_cmpx_lt_u32_e32 0x387fffff, v7
	s_xor_b32 s23, exec_lo, s23
; %bb.786:
	v_bfe_u32 v3, v2, 21, 1
	s_delay_alu instid0(VALU_DEP_1) | instskip(NEXT) | instid1(VALU_DEP_1)
	v_add3_u32 v3, v2, v3, 0x80fffff
	v_lshrrev_b32_e32 v3, 21, v3
; %bb.787:
	s_and_not1_saveexec_b32 s23, s23
; %bb.788:
	v_add_f32_e64 v3, 0x43000000, |v2|
; %bb.789:
	s_or_b32 exec_lo, exec_lo, s23
                                        ; implicit-def: $vgpr7
.LBB249_790:
	s_and_not1_saveexec_b32 s3, s3
; %bb.791:
	v_mov_b32_e32 v3, 0x7f
	v_cmp_lt_u32_e32 vcc_lo, 0x7f800000, v7
	s_delay_alu instid0(VALU_DEP_2)
	v_cndmask_b32_e32 v3, 0x7c, v3, vcc_lo
; %bb.792:
	s_or_b32 exec_lo, exec_lo, s3
	v_lshrrev_b32_e32 v2, 24, v2
	s_delay_alu instid0(VALU_DEP_1)
	v_and_or_b32 v2, 0x80, v2, v3
	global_store_b8 v[4:5], v2, off
.LBB249_793:
	s_mov_b32 s23, 0
	s_mov_b32 s3, -1
.LBB249_794:
	s_and_not1_b32 vcc_lo, exec_lo, s23
	s_cbranch_vccnz .LBB249_802
; %bb.795:
	v_cmp_lt_i16_e32 vcc_lo, 14, v6
	s_mov_b32 s23, -1
	s_cbranch_vccz .LBB249_799
; %bb.796:
	v_cmp_eq_u16_e32 vcc_lo, 15, v6
	s_mov_b32 s2, -1
	s_cbranch_vccz .LBB249_798
; %bb.797:
	v_cvt_f32_f64_e32 v2, v[0:1]
	s_mov_b32 s3, -1
	s_mov_b32 s2, 0
	s_delay_alu instid0(VALU_DEP_1) | instskip(SKIP_1) | instid1(VALU_DEP_2)
	v_bfe_u32 v3, v2, 16, 1
	v_cmp_o_f32_e32 vcc_lo, v2, v2
	v_add3_u32 v3, v2, v3, 0x7fff
	s_delay_alu instid0(VALU_DEP_1) | instskip(NEXT) | instid1(VALU_DEP_1)
	v_lshrrev_b32_e32 v3, 16, v3
	v_cndmask_b32_e32 v2, 0x7fc0, v3, vcc_lo
	global_store_b16 v[4:5], v2, off
.LBB249_798:
	s_mov_b32 s23, 0
.LBB249_799:
	s_delay_alu instid0(SALU_CYCLE_1)
	s_and_b32 vcc_lo, exec_lo, s23
	s_cbranch_vccz .LBB249_802
; %bb.800:
	v_cmp_eq_u16_e32 vcc_lo, 11, v6
	s_mov_b32 s2, -1
	s_cbranch_vccz .LBB249_802
; %bb.801:
	v_cmp_neq_f64_e32 vcc_lo, 0, v[0:1]
	s_mov_b32 s3, -1
	s_mov_b32 s2, 0
	v_cndmask_b32_e64 v2, 0, 1, vcc_lo
	global_store_b8 v[4:5], v2, off
.LBB249_802:
.LBB249_803:
	s_and_not1_b32 vcc_lo, exec_lo, s3
	s_cbranch_vccnz .LBB249_728
.LBB249_804:
	v_add_nc_u32_e32 v10, 0x80, v10
	s_mov_b32 s3, -1
.LBB249_805:
	s_and_not1_b32 s23, s38, exec_lo
	s_and_b32 s2, s2, exec_lo
	s_and_not1_b32 s41, s37, exec_lo
	s_and_b32 s22, s22, exec_lo
	s_or_b32 s23, s23, s2
	s_or_b32 s22, s41, s22
	s_or_not1_b32 s42, s3, exec_lo
.LBB249_806:
	s_or_b32 exec_lo, exec_lo, s40
	s_mov_b32 s2, 0
	s_mov_b32 s3, 0
	;; [unrolled: 1-line block ×3, first 2 shown]
                                        ; implicit-def: $vgpr0_vgpr1
                                        ; implicit-def: $vgpr2
                                        ; implicit-def: $vgpr6_vgpr7
	s_and_saveexec_b32 s40, s42
	s_cbranch_execz .LBB249_904
; %bb.807:
	v_cmp_gt_i32_e32 vcc_lo, s30, v10
	s_mov_b32 s42, s22
                                        ; implicit-def: $vgpr0_vgpr1
                                        ; implicit-def: $vgpr2
                                        ; implicit-def: $vgpr6_vgpr7
	s_and_saveexec_b32 s30, vcc_lo
	s_cbranch_execz .LBB249_903
; %bb.808:
	s_and_not1_b32 vcc_lo, exec_lo, s27
	s_cbranch_vccnz .LBB249_813
; %bb.809:
	v_mov_b32_e32 v2, 0
	v_mov_b32_e32 v0, 0
	s_and_not1_b32 vcc_lo, exec_lo, s33
	s_mov_b32 s33, 0
	s_cbranch_vccnz .LBB249_818
; %bb.810:
	v_mov_b32_e32 v2, 0
	s_add_i32 s41, s31, 1
	s_cmp_eq_u32 s25, 2
	s_mov_b32 s31, 0
	s_cbranch_scc1 .LBB249_814
; %bb.811:
	v_dual_mov_b32 v0, 0 :: v_dual_mov_b32 v1, v10
	v_mov_b32_e32 v2, 0
	s_and_b32 s31, s41, 28
	s_mov_b32 s42, 0
	s_mov_b64 s[2:3], s[16:17]
.LBB249_812:                            ; =>This Inner Loop Header: Depth=1
	s_clause 0x1
	s_load_b256 s[44:51], s[2:3], 0x4
	s_load_b128 s[60:63], s[2:3], 0x24
	s_load_b256 s[52:59], s[20:21], 0x0
	s_add_u32 s2, s2, 48
	s_addc_u32 s3, s3, 0
	s_add_i32 s42, s42, 4
	s_add_u32 s20, s20, 32
	s_addc_u32 s21, s21, 0
	s_cmp_eq_u32 s31, s42
	s_waitcnt vmcnt(0) lgkmcnt(0)
	v_mul_hi_u32 v3, s45, v1
	s_delay_alu instid0(VALU_DEP_1) | instskip(NEXT) | instid1(VALU_DEP_1)
	v_add_nc_u32_e32 v3, v1, v3
	v_lshrrev_b32_e32 v3, s46, v3
	s_delay_alu instid0(VALU_DEP_1) | instskip(SKIP_1) | instid1(VALU_DEP_2)
	v_mul_hi_u32 v4, s48, v3
	v_mul_lo_u32 v6, v3, s44
	v_add_nc_u32_e32 v4, v3, v4
	s_delay_alu instid0(VALU_DEP_2) | instskip(NEXT) | instid1(VALU_DEP_2)
	v_sub_nc_u32_e32 v1, v1, v6
	v_lshrrev_b32_e32 v4, s49, v4
	s_delay_alu instid0(VALU_DEP_2) | instskip(SKIP_1) | instid1(VALU_DEP_3)
	v_mul_lo_u32 v6, v1, s52
	v_mul_lo_u32 v11, v1, s53
	v_mul_hi_u32 v5, s51, v4
	s_delay_alu instid0(VALU_DEP_1) | instskip(NEXT) | instid1(VALU_DEP_1)
	v_add_nc_u32_e32 v5, v4, v5
	v_lshrrev_b32_e32 v5, s60, v5
	s_delay_alu instid0(VALU_DEP_1) | instskip(SKIP_1) | instid1(VALU_DEP_2)
	v_mul_hi_u32 v7, s62, v5
	v_mul_lo_u32 v12, v5, s50
	v_add_nc_u32_e32 v1, v5, v7
	v_mul_lo_u32 v7, v4, s47
	s_delay_alu instid0(VALU_DEP_3) | instskip(NEXT) | instid1(VALU_DEP_3)
	v_sub_nc_u32_e32 v4, v4, v12
	v_lshrrev_b32_e32 v1, s63, v1
	s_delay_alu instid0(VALU_DEP_2) | instskip(SKIP_2) | instid1(VALU_DEP_4)
	v_mul_lo_u32 v12, v4, s56
	v_mul_lo_u32 v4, v4, s57
	v_sub_nc_u32_e32 v3, v3, v7
	v_mul_lo_u32 v13, v1, s61
	s_delay_alu instid0(VALU_DEP_2) | instskip(SKIP_1) | instid1(VALU_DEP_3)
	v_mul_lo_u32 v7, v3, s54
	v_mul_lo_u32 v3, v3, s55
	v_sub_nc_u32_e32 v5, v5, v13
	s_delay_alu instid0(VALU_DEP_3) | instskip(NEXT) | instid1(VALU_DEP_2)
	v_add3_u32 v2, v6, v2, v7
	v_mul_lo_u32 v13, v5, s58
	v_mul_lo_u32 v5, v5, s59
	v_add3_u32 v0, v11, v0, v3
	s_delay_alu instid0(VALU_DEP_3) | instskip(NEXT) | instid1(VALU_DEP_2)
	v_add3_u32 v2, v12, v2, v13
	v_add3_u32 v0, v4, v0, v5
	s_cbranch_scc0 .LBB249_812
	s_branch .LBB249_815
.LBB249_813:
	s_mov_b32 s33, -1
                                        ; implicit-def: $vgpr2
                                        ; implicit-def: $vgpr0
	s_branch .LBB249_818
.LBB249_814:
	v_dual_mov_b32 v1, v10 :: v_dual_mov_b32 v0, 0
.LBB249_815:
	s_and_b32 s41, s41, 3
	s_delay_alu instid0(SALU_CYCLE_1)
	s_cmp_eq_u32 s41, 0
	s_cbranch_scc1 .LBB249_818
; %bb.816:
	s_lshl_b32 s2, s31, 3
	s_mul_i32 s20, s31, 12
	s_add_u32 s2, s2, s16
	s_addc_u32 s3, s17, 0
	s_add_u32 s2, s2, 0xc4
	s_addc_u32 s3, s3, 0
	;; [unrolled: 2-line block ×3, first 2 shown]
.LBB249_817:                            ; =>This Inner Loop Header: Depth=1
	s_clause 0x1
	s_load_b64 s[42:43], s[20:21], 0x4
	s_load_b32 s31, s[20:21], 0xc
	s_load_b64 s[44:45], s[2:3], 0x0
	s_add_u32 s20, s20, 12
	s_addc_u32 s21, s21, 0
	s_add_u32 s2, s2, 8
	s_addc_u32 s3, s3, 0
	s_add_i32 s41, s41, -1
	s_delay_alu instid0(SALU_CYCLE_1) | instskip(SKIP_2) | instid1(VALU_DEP_1)
	s_cmp_lg_u32 s41, 0
	s_waitcnt vmcnt(0) lgkmcnt(0)
	v_mul_hi_u32 v3, s43, v1
	v_add_nc_u32_e32 v3, v1, v3
	s_delay_alu instid0(VALU_DEP_1) | instskip(NEXT) | instid1(VALU_DEP_1)
	v_lshrrev_b32_e32 v6, s31, v3
	v_mul_lo_u32 v3, v6, s42
	s_delay_alu instid0(VALU_DEP_1) | instskip(NEXT) | instid1(VALU_DEP_1)
	v_sub_nc_u32_e32 v1, v1, v3
	v_mad_u64_u32 v[3:4], null, v1, s44, v[2:3]
	v_mad_u64_u32 v[4:5], null, v1, s45, v[0:1]
	s_delay_alu instid0(VALU_DEP_2) | instskip(NEXT) | instid1(VALU_DEP_2)
	v_dual_mov_b32 v1, v6 :: v_dual_mov_b32 v2, v3
	v_mov_b32_e32 v0, v4
	s_cbranch_scc1 .LBB249_817
.LBB249_818:
	s_and_not1_b32 vcc_lo, exec_lo, s33
	s_cbranch_vccnz .LBB249_821
; %bb.819:
	s_waitcnt lgkmcnt(0)
	v_mul_hi_u32 v0, s13, v10
	s_and_not1_b32 vcc_lo, exec_lo, s29
	s_delay_alu instid0(VALU_DEP_1) | instskip(NEXT) | instid1(VALU_DEP_1)
	v_add_nc_u32_e32 v0, v10, v0
	v_lshrrev_b32_e32 v1, s14, v0
	s_delay_alu instid0(VALU_DEP_1) | instskip(NEXT) | instid1(VALU_DEP_1)
	v_mul_lo_u32 v0, v1, s12
	v_sub_nc_u32_e32 v0, v10, v0
	s_delay_alu instid0(VALU_DEP_1)
	v_mul_lo_u32 v2, v0, s8
	v_mul_lo_u32 v0, v0, s9
	s_cbranch_vccnz .LBB249_821
; %bb.820:
	s_waitcnt vmcnt(0)
	v_mul_hi_u32 v3, s18, v1
	s_delay_alu instid0(VALU_DEP_1) | instskip(NEXT) | instid1(VALU_DEP_1)
	v_add_nc_u32_e32 v3, v1, v3
	v_lshrrev_b32_e32 v3, s19, v3
	s_delay_alu instid0(VALU_DEP_1) | instskip(NEXT) | instid1(VALU_DEP_1)
	v_mul_lo_u32 v3, v3, s15
	v_sub_nc_u32_e32 v5, v1, v3
	s_delay_alu instid0(VALU_DEP_1) | instskip(SKIP_1) | instid1(VALU_DEP_2)
	v_mad_u64_u32 v[3:4], null, v5, s10, v[2:3]
	v_mad_u64_u32 v[1:2], null, v5, s11, v[0:1]
	v_mov_b32_e32 v2, v3
	s_delay_alu instid0(VALU_DEP_2)
	v_mov_b32_e32 v0, v1
.LBB249_821:
	v_cmp_gt_i16_e32 vcc_lo, 11, v9
	s_waitcnt lgkmcnt(0)
	s_delay_alu instid0(VALU_DEP_2) | instskip(NEXT) | instid1(VALU_DEP_1)
	v_add_co_u32 v0, s2, s6, v0
	v_add_co_ci_u32_e64 v1, null, s7, 0, s2
	s_mov_b32 s2, 0
	s_cbranch_vccnz .LBB249_828
; %bb.822:
	v_cmp_lt_i16_e32 vcc_lo, 25, v9
	s_mov_b32 s7, 0
	s_cbranch_vccz .LBB249_829
; %bb.823:
	v_cmp_lt_i16_e32 vcc_lo, 28, v9
	s_cbranch_vccz .LBB249_830
; %bb.824:
	v_cmp_lt_i16_e32 vcc_lo, 43, v9
	s_cbranch_vccz .LBB249_831
; %bb.825:
	v_cmp_lt_i16_e32 vcc_lo, 45, v9
	s_cbranch_vccz .LBB249_834
; %bb.826:
	v_cmp_eq_u16_e32 vcc_lo, 46, v9
	s_mov_b32 s3, 0
	s_cbranch_vccz .LBB249_837
; %bb.827:
	global_load_b32 v3, v[0:1], off
	s_mov_b32 s6, 0
	s_mov_b32 s2, -1
	s_waitcnt vmcnt(0)
	v_lshlrev_b32_e32 v3, 16, v3
	s_delay_alu instid0(VALU_DEP_1)
	v_cvt_f64_f32_e32 v[6:7], v3
	s_branch .LBB249_839
.LBB249_828:
	s_mov_b32 s3, -1
	s_mov_b32 s7, 0
	s_mov_b32 s6, s22
                                        ; implicit-def: $vgpr6_vgpr7
	s_branch .LBB249_902
.LBB249_829:
	s_mov_b32 s3, -1
	s_mov_b32 s6, s22
                                        ; implicit-def: $vgpr6_vgpr7
	s_branch .LBB249_870
.LBB249_830:
	s_mov_b32 s3, -1
	s_mov_b32 s6, s22
                                        ; implicit-def: $vgpr6_vgpr7
	s_branch .LBB249_849
.LBB249_831:
	s_mov_b32 s3, -1
	s_mov_b32 s6, s22
                                        ; implicit-def: $vgpr6_vgpr7
	s_branch .LBB249_844
.LBB249_832:
	s_or_saveexec_b32 s41, s41
                                        ; implicit-def: $sgpr42
	s_delay_alu instid0(SALU_CYCLE_1)
	s_xor_b32 exec_lo, exec_lo, s41
	s_cbranch_execz .LBB249_755
.LBB249_833:
	v_add_f32_e64 v3, 0x46000000, |v2|
	s_and_not1_b32 s23, s23, exec_lo
	s_mov_b32 s42, 0
	s_delay_alu instid0(VALU_DEP_1) | instskip(NEXT) | instid1(VALU_DEP_1)
	v_and_b32_e32 v3, 0xff, v3
	v_cmp_ne_u32_e32 vcc_lo, 0, v3
	s_and_b32 s43, vcc_lo, exec_lo
	s_delay_alu instid0(SALU_CYCLE_1)
	s_or_b32 s23, s23, s43
	s_or_b32 exec_lo, exec_lo, s41
	v_mov_b32_e32 v7, s42
	s_and_saveexec_b32 s41, s23
	s_cbranch_execnz .LBB249_756
	s_branch .LBB249_757
.LBB249_834:
	s_mov_b32 s3, -1
	s_mov_b32 s6, s22
	s_branch .LBB249_838
.LBB249_835:
	s_or_saveexec_b32 s41, s41
                                        ; implicit-def: $sgpr42
	s_delay_alu instid0(SALU_CYCLE_1)
	s_xor_b32 exec_lo, exec_lo, s41
	s_cbranch_execz .LBB249_768
.LBB249_836:
	v_add_f32_e64 v3, 0x42800000, |v2|
	s_and_not1_b32 s23, s23, exec_lo
	s_mov_b32 s42, 0
	s_delay_alu instid0(VALU_DEP_1) | instskip(NEXT) | instid1(VALU_DEP_1)
	v_and_b32_e32 v3, 0xff, v3
	v_cmp_ne_u32_e32 vcc_lo, 0, v3
	s_and_b32 s43, vcc_lo, exec_lo
	s_delay_alu instid0(SALU_CYCLE_1)
	s_or_b32 s23, s23, s43
	s_or_b32 exec_lo, exec_lo, s41
	v_mov_b32_e32 v7, s42
	s_and_saveexec_b32 s41, s23
	s_cbranch_execnz .LBB249_769
	s_branch .LBB249_770
.LBB249_837:
	s_mov_b32 s6, -1
.LBB249_838:
                                        ; implicit-def: $vgpr6_vgpr7
.LBB249_839:
	s_and_b32 vcc_lo, exec_lo, s3
	s_cbranch_vccz .LBB249_843
; %bb.840:
	v_cmp_eq_u16_e32 vcc_lo, 44, v9
	s_cbranch_vccz .LBB249_842
; %bb.841:
	global_load_u8 v5, v[0:1], off
	s_mov_b32 s6, 0
	s_mov_b32 s2, -1
	s_waitcnt vmcnt(0)
	v_cmp_ne_u32_e32 vcc_lo, 0xff, v5
	v_lshlrev_b32_e32 v3, 23, v5
	s_delay_alu instid0(VALU_DEP_1) | instskip(NEXT) | instid1(VALU_DEP_1)
	v_cvt_f64_f32_e32 v[3:4], v3
	v_cndmask_b32_e32 v4, 0x7ff80000, v4, vcc_lo
	s_delay_alu instid0(VALU_DEP_2) | instskip(SKIP_1) | instid1(VALU_DEP_3)
	v_cndmask_b32_e32 v3, 0x20000000, v3, vcc_lo
	v_cmp_ne_u32_e32 vcc_lo, 0, v5
	v_cndmask_b32_e32 v7, 0x38000000, v4, vcc_lo
	s_delay_alu instid0(VALU_DEP_3)
	v_cndmask_b32_e32 v6, 0, v3, vcc_lo
	s_branch .LBB249_843
.LBB249_842:
	s_mov_b32 s6, -1
                                        ; implicit-def: $vgpr6_vgpr7
.LBB249_843:
	s_mov_b32 s3, 0
.LBB249_844:
	s_delay_alu instid0(SALU_CYCLE_1)
	s_and_b32 vcc_lo, exec_lo, s3
	s_cbranch_vccz .LBB249_848
; %bb.845:
	v_cmp_eq_u16_e32 vcc_lo, 29, v9
	s_cbranch_vccz .LBB249_847
; %bb.846:
	global_load_b64 v[3:4], v[0:1], off
	s_mov_b32 s6, 0
	s_mov_b32 s2, -1
	s_mov_b32 s3, 0
	s_waitcnt vmcnt(0)
	v_cvt_f64_u32_e32 v[4:5], v4
	v_cvt_f64_u32_e32 v[6:7], v3
	s_delay_alu instid0(VALU_DEP_2) | instskip(NEXT) | instid1(VALU_DEP_1)
	v_ldexp_f64 v[4:5], v[4:5], 32
	v_add_f64 v[6:7], v[4:5], v[6:7]
	s_branch .LBB249_849
.LBB249_847:
	s_mov_b32 s6, -1
                                        ; implicit-def: $vgpr6_vgpr7
.LBB249_848:
	s_mov_b32 s3, 0
.LBB249_849:
	s_delay_alu instid0(SALU_CYCLE_1)
	s_and_b32 vcc_lo, exec_lo, s3
	s_cbranch_vccz .LBB249_869
; %bb.850:
	v_cmp_gt_i16_e32 vcc_lo, 27, v9
	s_cbranch_vccnz .LBB249_853
; %bb.851:
	v_cmp_lt_i16_e32 vcc_lo, 27, v9
	s_cbranch_vccz .LBB249_854
; %bb.852:
	global_load_b32 v3, v[0:1], off
	s_mov_b32 s2, 0
	s_waitcnt vmcnt(0)
	v_cvt_f64_u32_e32 v[6:7], v3
	s_branch .LBB249_855
.LBB249_853:
	s_mov_b32 s2, -1
                                        ; implicit-def: $vgpr6_vgpr7
	s_branch .LBB249_858
.LBB249_854:
	s_mov_b32 s2, -1
                                        ; implicit-def: $vgpr6_vgpr7
.LBB249_855:
	s_delay_alu instid0(SALU_CYCLE_1)
	s_and_not1_b32 vcc_lo, exec_lo, s2
	s_cbranch_vccnz .LBB249_857
; %bb.856:
	global_load_u16 v3, v[0:1], off
	s_waitcnt vmcnt(0)
	v_cvt_f64_u32_e32 v[6:7], v3
.LBB249_857:
	s_mov_b32 s2, 0
.LBB249_858:
	s_delay_alu instid0(SALU_CYCLE_1)
	s_and_not1_b32 vcc_lo, exec_lo, s2
	s_cbranch_vccnz .LBB249_868
; %bb.859:
	global_load_u8 v3, v[0:1], off
	s_mov_b32 s8, 0
	s_mov_b32 s9, exec_lo
                                        ; implicit-def: $sgpr2_sgpr3
	s_waitcnt vmcnt(0)
	v_cmpx_lt_i16_e32 0x7f, v3
	s_xor_b32 s9, exec_lo, s9
	s_cbranch_execz .LBB249_863
; %bb.860:
	s_mov_b32 s10, -1
	s_mov_b32 s8, exec_lo
                                        ; implicit-def: $sgpr2_sgpr3
	v_cmpx_eq_u16_e32 0x80, v3
; %bb.861:
	s_mov_b32 s3, 0x7ff80000
	s_brev_b32 s2, 4
	s_xor_b32 s10, exec_lo, -1
; %bb.862:
	s_or_b32 exec_lo, exec_lo, s8
	s_delay_alu instid0(SALU_CYCLE_1)
	s_and_b32 s8, s10, exec_lo
.LBB249_863:
	s_or_saveexec_b32 s9, s9
	v_dual_mov_b32 v7, s3 :: v_dual_mov_b32 v6, s2
	s_xor_b32 exec_lo, exec_lo, s9
; %bb.864:
	v_cmp_ne_u16_e32 vcc_lo, 0, v3
	v_mov_b32_e32 v6, 0
	v_mov_b32_e32 v7, 0
	s_and_not1_b32 s2, s8, exec_lo
	s_and_b32 s3, vcc_lo, exec_lo
	s_delay_alu instid0(SALU_CYCLE_1)
	s_or_b32 s8, s2, s3
; %bb.865:
	s_or_b32 exec_lo, exec_lo, s9
	s_and_saveexec_b32 s2, s8
	s_cbranch_execz .LBB249_867
; %bb.866:
	v_and_b32_e32 v4, 0xffff, v3
	v_lshlrev_b32_e32 v3, 24, v3
	s_delay_alu instid0(VALU_DEP_2) | instskip(NEXT) | instid1(VALU_DEP_2)
	v_and_b32_e32 v5, 7, v4
	v_and_b32_e32 v3, 0x80000000, v3
	s_delay_alu instid0(VALU_DEP_2) | instskip(NEXT) | instid1(VALU_DEP_1)
	v_clz_i32_u32_e32 v6, v5
	v_min_u32_e32 v6, 32, v6
	s_delay_alu instid0(VALU_DEP_1) | instskip(SKIP_1) | instid1(VALU_DEP_2)
	v_subrev_nc_u32_e32 v7, 28, v6
	v_sub_nc_u32_e32 v6, 29, v6
	v_lshlrev_b32_e32 v7, v7, v4
	v_bfe_u32 v4, v4, 3, 4
	s_delay_alu instid0(VALU_DEP_2) | instskip(NEXT) | instid1(VALU_DEP_2)
	v_and_b32_e32 v7, 7, v7
	v_cmp_eq_u32_e32 vcc_lo, 0, v4
	s_delay_alu instid0(VALU_DEP_2) | instskip(NEXT) | instid1(VALU_DEP_1)
	v_dual_cndmask_b32 v4, v4, v6 :: v_dual_cndmask_b32 v5, v5, v7
	v_lshl_add_u32 v4, v4, 23, 0x3b800000
	s_delay_alu instid0(VALU_DEP_2) | instskip(NEXT) | instid1(VALU_DEP_1)
	v_lshlrev_b32_e32 v5, 20, v5
	v_or3_b32 v3, v3, v4, v5
	s_delay_alu instid0(VALU_DEP_1)
	v_cvt_f64_f32_e32 v[6:7], v3
.LBB249_867:
	s_or_b32 exec_lo, exec_lo, s2
.LBB249_868:
	s_mov_b32 s2, -1
.LBB249_869:
	s_mov_b32 s3, 0
.LBB249_870:
	s_delay_alu instid0(SALU_CYCLE_1)
	s_and_b32 vcc_lo, exec_lo, s3
	s_cbranch_vccz .LBB249_901
; %bb.871:
	v_cmp_lt_i16_e32 vcc_lo, 22, v9
	s_cbranch_vccz .LBB249_883
; %bb.872:
	v_cmp_gt_i16_e32 vcc_lo, 24, v9
	s_cbranch_vccnz .LBB249_884
; %bb.873:
	v_cmp_lt_i16_e32 vcc_lo, 24, v9
	s_cbranch_vccz .LBB249_885
; %bb.874:
	global_load_u8 v3, v[0:1], off
	s_mov_b32 s8, exec_lo
                                        ; implicit-def: $sgpr2_sgpr3
	s_waitcnt vmcnt(0)
	v_cmpx_lt_i16_e32 0x7f, v3
	s_xor_b32 s8, exec_lo, s8
	s_cbranch_execz .LBB249_878
; %bb.875:
	s_mov_b32 s9, -1
	s_mov_b32 s7, exec_lo
                                        ; implicit-def: $sgpr2_sgpr3
	v_cmpx_eq_u16_e32 0x80, v3
; %bb.876:
	s_mov_b32 s3, 0x7ff80000
	s_brev_b32 s2, 4
	s_xor_b32 s9, exec_lo, -1
; %bb.877:
	s_or_b32 exec_lo, exec_lo, s7
	s_delay_alu instid0(SALU_CYCLE_1)
	s_and_b32 s7, s9, exec_lo
.LBB249_878:
	s_or_saveexec_b32 s8, s8
	v_dual_mov_b32 v7, s3 :: v_dual_mov_b32 v6, s2
	s_xor_b32 exec_lo, exec_lo, s8
; %bb.879:
	v_cmp_ne_u16_e32 vcc_lo, 0, v3
	v_mov_b32_e32 v6, 0
	v_mov_b32_e32 v7, 0
	s_and_not1_b32 s2, s7, exec_lo
	s_and_b32 s3, vcc_lo, exec_lo
	s_delay_alu instid0(SALU_CYCLE_1)
	s_or_b32 s7, s2, s3
; %bb.880:
	s_or_b32 exec_lo, exec_lo, s8
	s_and_saveexec_b32 s2, s7
	s_cbranch_execz .LBB249_882
; %bb.881:
	v_and_b32_e32 v4, 0xffff, v3
	v_lshlrev_b32_e32 v3, 24, v3
	s_delay_alu instid0(VALU_DEP_2) | instskip(NEXT) | instid1(VALU_DEP_2)
	v_and_b32_e32 v5, 3, v4
	v_and_b32_e32 v3, 0x80000000, v3
	s_delay_alu instid0(VALU_DEP_2) | instskip(NEXT) | instid1(VALU_DEP_1)
	v_clz_i32_u32_e32 v6, v5
	v_min_u32_e32 v6, 32, v6
	s_delay_alu instid0(VALU_DEP_1) | instskip(SKIP_1) | instid1(VALU_DEP_2)
	v_subrev_nc_u32_e32 v7, 29, v6
	v_sub_nc_u32_e32 v6, 30, v6
	v_lshlrev_b32_e32 v7, v7, v4
	v_bfe_u32 v4, v4, 2, 5
	s_delay_alu instid0(VALU_DEP_2) | instskip(NEXT) | instid1(VALU_DEP_2)
	v_and_b32_e32 v7, 3, v7
	v_cmp_eq_u32_e32 vcc_lo, 0, v4
	s_delay_alu instid0(VALU_DEP_2) | instskip(NEXT) | instid1(VALU_DEP_1)
	v_dual_cndmask_b32 v4, v4, v6 :: v_dual_cndmask_b32 v5, v5, v7
	v_lshl_add_u32 v4, v4, 23, 0x37800000
	s_delay_alu instid0(VALU_DEP_2) | instskip(NEXT) | instid1(VALU_DEP_1)
	v_lshlrev_b32_e32 v5, 21, v5
	v_or3_b32 v3, v3, v4, v5
	s_delay_alu instid0(VALU_DEP_1)
	v_cvt_f64_f32_e32 v[6:7], v3
.LBB249_882:
	s_or_b32 exec_lo, exec_lo, s2
	s_mov_b32 s2, 0
	s_branch .LBB249_886
.LBB249_883:
	s_mov_b32 s3, -1
                                        ; implicit-def: $vgpr6_vgpr7
	s_branch .LBB249_892
.LBB249_884:
	s_mov_b32 s2, -1
                                        ; implicit-def: $vgpr6_vgpr7
	s_branch .LBB249_889
.LBB249_885:
	s_mov_b32 s2, -1
                                        ; implicit-def: $vgpr6_vgpr7
.LBB249_886:
	s_delay_alu instid0(SALU_CYCLE_1)
	s_and_b32 vcc_lo, exec_lo, s2
	s_cbranch_vccz .LBB249_888
; %bb.887:
	global_load_u8 v3, v[0:1], off
	s_waitcnt vmcnt(0)
	v_lshlrev_b32_e32 v3, 24, v3
	s_delay_alu instid0(VALU_DEP_1) | instskip(NEXT) | instid1(VALU_DEP_1)
	v_and_b32_e32 v4, 0x7f000000, v3
	v_clz_i32_u32_e32 v5, v4
	v_add_nc_u32_e32 v7, 0x1000000, v4
	v_cmp_ne_u32_e32 vcc_lo, 0, v4
	s_delay_alu instid0(VALU_DEP_3) | instskip(NEXT) | instid1(VALU_DEP_1)
	v_min_u32_e32 v5, 32, v5
	v_sub_nc_u32_e64 v5, v5, 4 clamp
	s_delay_alu instid0(VALU_DEP_1) | instskip(SKIP_1) | instid1(VALU_DEP_2)
	v_lshlrev_b32_e32 v6, v5, v4
	v_lshlrev_b32_e32 v5, 23, v5
	v_lshrrev_b32_e32 v6, 4, v6
	s_delay_alu instid0(VALU_DEP_1) | instskip(SKIP_1) | instid1(VALU_DEP_2)
	v_sub_nc_u32_e32 v5, v6, v5
	v_ashrrev_i32_e32 v6, 8, v7
	v_add_nc_u32_e32 v5, 0x3c000000, v5
	s_delay_alu instid0(VALU_DEP_1) | instskip(NEXT) | instid1(VALU_DEP_1)
	v_and_or_b32 v5, 0x7f800000, v6, v5
	v_cndmask_b32_e32 v4, 0, v5, vcc_lo
	s_delay_alu instid0(VALU_DEP_1) | instskip(NEXT) | instid1(VALU_DEP_1)
	v_and_or_b32 v3, 0x80000000, v3, v4
	v_cvt_f64_f32_e32 v[6:7], v3
.LBB249_888:
	s_mov_b32 s2, 0
.LBB249_889:
	s_delay_alu instid0(SALU_CYCLE_1)
	s_and_not1_b32 vcc_lo, exec_lo, s2
	s_cbranch_vccnz .LBB249_891
; %bb.890:
	global_load_u8 v3, v[0:1], off
	s_waitcnt vmcnt(0)
	v_lshlrev_b32_e32 v4, 25, v3
	v_lshlrev_b16 v3, 8, v3
	s_delay_alu instid0(VALU_DEP_2) | instskip(NEXT) | instid1(VALU_DEP_2)
	v_lshrrev_b32_e32 v5, 4, v4
	v_and_or_b32 v6, 0x7f00, v3, 0.5
	v_bfe_i32 v3, v3, 0, 16
	s_delay_alu instid0(VALU_DEP_3) | instskip(NEXT) | instid1(VALU_DEP_1)
	v_or_b32_e32 v5, 0x70000000, v5
	v_dual_add_f32 v6, -0.5, v6 :: v_dual_mul_f32 v5, 0x7800000, v5
	v_cmp_gt_u32_e32 vcc_lo, 0x8000000, v4
	s_delay_alu instid0(VALU_DEP_2) | instskip(NEXT) | instid1(VALU_DEP_1)
	v_cndmask_b32_e32 v4, v5, v6, vcc_lo
	v_and_or_b32 v3, 0x80000000, v3, v4
	s_delay_alu instid0(VALU_DEP_1)
	v_cvt_f64_f32_e32 v[6:7], v3
.LBB249_891:
	s_mov_b32 s3, 0
	s_mov_b32 s2, -1
.LBB249_892:
	s_and_not1_b32 vcc_lo, exec_lo, s3
	s_mov_b32 s7, 0
	s_cbranch_vccnz .LBB249_901
; %bb.893:
	v_cmp_lt_i16_e32 vcc_lo, 14, v9
	s_cbranch_vccz .LBB249_896
; %bb.894:
	v_cmp_eq_u16_e32 vcc_lo, 15, v9
	s_cbranch_vccz .LBB249_897
; %bb.895:
	global_load_u16 v3, v[0:1], off
	s_mov_b32 s6, 0
	s_mov_b32 s2, -1
	s_waitcnt vmcnt(0)
	v_lshlrev_b32_e32 v3, 16, v3
	s_delay_alu instid0(VALU_DEP_1)
	v_cvt_f64_f32_e32 v[6:7], v3
	s_branch .LBB249_898
.LBB249_896:
	s_mov_b32 s3, -1
                                        ; implicit-def: $vgpr6_vgpr7
	s_branch .LBB249_899
.LBB249_897:
	s_mov_b32 s6, -1
                                        ; implicit-def: $vgpr6_vgpr7
.LBB249_898:
	s_mov_b32 s3, 0
.LBB249_899:
	s_delay_alu instid0(SALU_CYCLE_1)
	s_and_b32 vcc_lo, exec_lo, s3
	s_cbranch_vccz .LBB249_901
; %bb.900:
	v_cmp_ne_u16_e32 vcc_lo, 11, v9
	s_and_not1_b32 s3, s6, exec_lo
	s_mov_b32 s7, -1
                                        ; implicit-def: $vgpr6_vgpr7
	s_and_b32 s6, vcc_lo, exec_lo
	s_delay_alu instid0(SALU_CYCLE_1)
	s_or_b32 s6, s3, s6
.LBB249_901:
	s_mov_b32 s3, 0
.LBB249_902:
	s_and_not1_b32 s8, s22, exec_lo
	s_and_b32 s6, s6, exec_lo
	s_and_b32 s41, s2, exec_lo
	;; [unrolled: 1-line block ×4, first 2 shown]
	s_or_b32 s42, s8, s6
.LBB249_903:
	s_or_b32 exec_lo, exec_lo, s30
	s_waitcnt lgkmcnt(0)
	s_and_not1_b32 s6, s22, exec_lo
	s_and_b32 s7, s42, exec_lo
	s_and_b32 s41, s41, exec_lo
	;; [unrolled: 1-line block ×4, first 2 shown]
	s_or_b32 s22, s6, s7
.LBB249_904:
	s_or_b32 exec_lo, exec_lo, s40
	s_waitcnt lgkmcnt(0)
	s_and_not1_b32 s6, s38, exec_lo
	s_and_b32 s7, s23, exec_lo
	s_and_b32 s40, s41, exec_lo
	s_or_b32 s38, s6, s7
	s_and_not1_b32 s6, s37, exec_lo
	s_and_b32 s7, s22, exec_lo
	s_and_b32 s23, s3, exec_lo
	;; [unrolled: 1-line block ×3, first 2 shown]
	s_or_b32 s37, s6, s7
.LBB249_905:
	s_or_b32 exec_lo, exec_lo, s39
	s_delay_alu instid0(SALU_CYCLE_1)
	s_and_not1_b32 s2, s34, exec_lo
	s_waitcnt lgkmcnt(0)
	s_and_b32 s6, s38, exec_lo
	s_and_b32 s7, s37, exec_lo
	s_or_b32 s34, s2, s6
	s_and_not1_b32 s6, s35, exec_lo
	s_and_b32 s2, s40, exec_lo
	s_and_b32 s22, s23, exec_lo
	;; [unrolled: 1-line block ×3, first 2 shown]
	s_or_b32 s35, s6, s7
.LBB249_906:
	s_or_b32 exec_lo, exec_lo, s36
	s_mov_b32 s3, 0
	s_waitcnt lgkmcnt(0)
	s_and_saveexec_b32 s6, s35
	s_cbranch_execnz .LBB249_918
; %bb.907:
	s_or_b32 exec_lo, exec_lo, s6
	s_and_saveexec_b32 s6, s37
	s_delay_alu instid0(SALU_CYCLE_1)
	s_xor_b32 s6, exec_lo, s6
	s_cbranch_execz .LBB249_909
.LBB249_908:
	global_load_u8 v3, v[0:1], off
	v_mov_b32_e32 v6, 0
	s_or_b32 s2, s2, exec_lo
	s_waitcnt vmcnt(0)
	v_cmp_ne_u16_e32 vcc_lo, 0, v3
	v_cndmask_b32_e64 v7, 0, 0x3ff00000, vcc_lo
.LBB249_909:
	s_or_b32 exec_lo, exec_lo, s6
	s_and_saveexec_b32 s6, s22
	s_cbranch_execz .LBB249_957
; %bb.910:
	v_cmp_gt_i16_e32 vcc_lo, 5, v9
	s_cbranch_vccnz .LBB249_915
; %bb.911:
	v_cmp_gt_i16_e32 vcc_lo, 8, v9
	s_cbranch_vccnz .LBB249_916
	;; [unrolled: 3-line block ×3, first 2 shown]
; %bb.913:
	v_cmp_lt_i16_e32 vcc_lo, 9, v9
	s_cbranch_vccz .LBB249_920
; %bb.914:
	global_load_b64 v[6:7], v[0:1], off
	s_mov_b32 s7, 0
	s_branch .LBB249_921
.LBB249_915:
                                        ; implicit-def: $vgpr6_vgpr7
	s_branch .LBB249_938
.LBB249_916:
                                        ; implicit-def: $vgpr6_vgpr7
	s_branch .LBB249_927
.LBB249_917:
	s_mov_b32 s7, -1
                                        ; implicit-def: $vgpr6_vgpr7
	s_branch .LBB249_924
.LBB249_918:
	s_cbranch_execnz .LBB249_1188
; %bb.919:
	s_mov_b32 s3, exec_lo
	s_and_not1_b32 s37, s37, exec_lo
                                        ; implicit-def: $vgpr6_vgpr7
	s_or_b32 exec_lo, exec_lo, s6
	s_and_saveexec_b32 s6, s37
	s_delay_alu instid0(SALU_CYCLE_1)
	s_xor_b32 s6, exec_lo, s6
	s_cbranch_execnz .LBB249_908
	s_branch .LBB249_909
.LBB249_920:
	s_mov_b32 s7, -1
                                        ; implicit-def: $vgpr6_vgpr7
.LBB249_921:
	s_delay_alu instid0(SALU_CYCLE_1)
	s_and_not1_b32 vcc_lo, exec_lo, s7
	s_cbranch_vccnz .LBB249_923
; %bb.922:
	global_load_b32 v3, v[0:1], off
	s_waitcnt vmcnt(0)
	v_cvt_f64_f32_e32 v[6:7], v3
.LBB249_923:
	s_mov_b32 s7, 0
.LBB249_924:
	s_delay_alu instid0(SALU_CYCLE_1)
	s_and_not1_b32 vcc_lo, exec_lo, s7
	s_cbranch_vccnz .LBB249_926
; %bb.925:
	global_load_b32 v3, v[0:1], off
	s_waitcnt vmcnt(0)
	v_cvt_f32_f16_e32 v3, v3
	s_delay_alu instid0(VALU_DEP_1)
	v_cvt_f64_f32_e32 v[6:7], v3
.LBB249_926:
	s_cbranch_execnz .LBB249_937
.LBB249_927:
	v_cmp_gt_i16_e32 vcc_lo, 6, v9
	s_cbranch_vccnz .LBB249_930
; %bb.928:
	v_cmp_lt_i16_e32 vcc_lo, 6, v9
	s_cbranch_vccz .LBB249_931
; %bb.929:
	global_load_b64 v[6:7], v[0:1], off
	s_mov_b32 s7, 0
	s_branch .LBB249_932
.LBB249_930:
	s_mov_b32 s7, -1
                                        ; implicit-def: $vgpr6_vgpr7
	s_branch .LBB249_935
.LBB249_931:
	s_mov_b32 s7, -1
                                        ; implicit-def: $vgpr6_vgpr7
.LBB249_932:
	s_delay_alu instid0(SALU_CYCLE_1)
	s_and_not1_b32 vcc_lo, exec_lo, s7
	s_cbranch_vccnz .LBB249_934
; %bb.933:
	global_load_b32 v3, v[0:1], off
	s_waitcnt vmcnt(0)
	v_cvt_f64_f32_e32 v[6:7], v3
.LBB249_934:
	s_mov_b32 s7, 0
.LBB249_935:
	s_delay_alu instid0(SALU_CYCLE_1)
	s_and_not1_b32 vcc_lo, exec_lo, s7
	s_cbranch_vccnz .LBB249_937
; %bb.936:
	global_load_u16 v3, v[0:1], off
	s_waitcnt vmcnt(0)
	v_cvt_f32_f16_e32 v3, v3
	s_delay_alu instid0(VALU_DEP_1)
	v_cvt_f64_f32_e32 v[6:7], v3
.LBB249_937:
	s_cbranch_execnz .LBB249_956
.LBB249_938:
	v_cmp_gt_i16_e32 vcc_lo, 2, v9
	s_cbranch_vccnz .LBB249_942
; %bb.939:
	v_cmp_gt_i16_e32 vcc_lo, 3, v9
	s_cbranch_vccnz .LBB249_943
; %bb.940:
	v_cmp_lt_i16_e32 vcc_lo, 3, v9
	s_cbranch_vccz .LBB249_944
; %bb.941:
	global_load_b64 v[3:4], v[0:1], off
	s_mov_b32 s7, 0
	s_waitcnt vmcnt(0)
	v_cvt_f64_i32_e32 v[4:5], v4
	v_cvt_f64_u32_e32 v[6:7], v3
	s_delay_alu instid0(VALU_DEP_2) | instskip(NEXT) | instid1(VALU_DEP_1)
	v_ldexp_f64 v[4:5], v[4:5], 32
	v_add_f64 v[6:7], v[4:5], v[6:7]
	s_branch .LBB249_945
.LBB249_942:
                                        ; implicit-def: $vgpr6_vgpr7
	s_branch .LBB249_951
.LBB249_943:
	s_mov_b32 s7, -1
                                        ; implicit-def: $vgpr6_vgpr7
	s_branch .LBB249_948
.LBB249_944:
	s_mov_b32 s7, -1
                                        ; implicit-def: $vgpr6_vgpr7
.LBB249_945:
	s_delay_alu instid0(SALU_CYCLE_1)
	s_and_not1_b32 vcc_lo, exec_lo, s7
	s_cbranch_vccnz .LBB249_947
; %bb.946:
	global_load_b32 v3, v[0:1], off
	s_waitcnt vmcnt(0)
	v_cvt_f64_i32_e32 v[6:7], v3
.LBB249_947:
	s_mov_b32 s7, 0
.LBB249_948:
	s_delay_alu instid0(SALU_CYCLE_1)
	s_and_not1_b32 vcc_lo, exec_lo, s7
	s_cbranch_vccnz .LBB249_950
; %bb.949:
	global_load_i16 v3, v[0:1], off
	s_waitcnt vmcnt(0)
	v_cvt_f64_i32_e32 v[6:7], v3
.LBB249_950:
	s_cbranch_execnz .LBB249_956
.LBB249_951:
	v_cmp_lt_i16_e32 vcc_lo, 0, v9
	s_mov_b32 s7, 0
	s_cbranch_vccz .LBB249_953
; %bb.952:
	global_load_i8 v3, v[0:1], off
	s_waitcnt vmcnt(0)
	v_cvt_f64_i32_e32 v[6:7], v3
	s_branch .LBB249_954
.LBB249_953:
	s_mov_b32 s7, -1
                                        ; implicit-def: $vgpr6_vgpr7
.LBB249_954:
	s_delay_alu instid0(SALU_CYCLE_1)
	s_and_not1_b32 vcc_lo, exec_lo, s7
	s_cbranch_vccnz .LBB249_956
; %bb.955:
	global_load_u8 v0, v[0:1], off
	s_waitcnt vmcnt(0)
	v_cvt_f64_u32_e32 v[6:7], v0
.LBB249_956:
	s_or_b32 s2, s2, exec_lo
.LBB249_957:
	s_or_b32 exec_lo, exec_lo, s6
	s_mov_b32 s8, 0
	s_mov_b32 s7, 0
                                        ; implicit-def: $vgpr9
                                        ; implicit-def: $vgpr4_vgpr5
                                        ; implicit-def: $vgpr0_vgpr1
	s_and_saveexec_b32 s6, s2
	s_cbranch_execz .LBB249_1034
; %bb.958:
	s_waitcnt vmcnt(0)
	s_delay_alu instid0(VALU_DEP_1) | instskip(SKIP_1) | instid1(VALU_DEP_1)
	v_cmp_gt_f64_e32 vcc_lo, 0x10000000, v[6:7]
	v_cndmask_b32_e64 v0, 0, 1, vcc_lo
	v_lshlrev_b32_e32 v0, 8, v0
	s_delay_alu instid0(VALU_DEP_1) | instskip(NEXT) | instid1(VALU_DEP_1)
	v_ldexp_f64 v[0:1], v[6:7], v0
	v_rsq_f64_e32 v[3:4], v[0:1]
	s_waitcnt_depctr 0xfff
	v_mul_f64 v[5:6], v[0:1], v[3:4]
	v_mul_f64 v[3:4], v[3:4], 0.5
	s_delay_alu instid0(VALU_DEP_1) | instskip(NEXT) | instid1(VALU_DEP_1)
	v_fma_f64 v[9:10], -v[3:4], v[5:6], 0.5
	v_fma_f64 v[5:6], v[5:6], v[9:10], v[5:6]
	v_fma_f64 v[3:4], v[3:4], v[9:10], v[3:4]
	s_delay_alu instid0(VALU_DEP_2) | instskip(NEXT) | instid1(VALU_DEP_1)
	v_fma_f64 v[9:10], -v[5:6], v[5:6], v[0:1]
	v_fma_f64 v[5:6], v[9:10], v[3:4], v[5:6]
	s_delay_alu instid0(VALU_DEP_1) | instskip(NEXT) | instid1(VALU_DEP_1)
	v_fma_f64 v[9:10], -v[5:6], v[5:6], v[0:1]
	v_fma_f64 v[3:4], v[9:10], v[3:4], v[5:6]
	v_cndmask_b32_e64 v5, 0, 0xffffff80, vcc_lo
	v_cmp_class_f64_e64 vcc_lo, v[0:1], 0x260
	v_and_b32_e32 v9, 0xff, v8
	s_delay_alu instid0(VALU_DEP_1) | instskip(NEXT) | instid1(VALU_DEP_4)
	v_cmp_gt_i16_e64 s2, 11, v9
	v_ldexp_f64 v[6:7], v[3:4], v5
	v_add_co_u32 v4, s4, s4, v2
	s_delay_alu instid0(VALU_DEP_1) | instskip(SKIP_1) | instid1(VALU_DEP_3)
	v_add_co_ci_u32_e64 v5, null, s5, 0, s4
	s_mov_b32 s4, -1
	v_dual_cndmask_b32 v1, v7, v1 :: v_dual_cndmask_b32 v0, v6, v0
	s_and_b32 vcc_lo, exec_lo, s2
	s_mov_b32 s2, s34
	s_cbranch_vccnz .LBB249_1033
; %bb.959:
	v_cmp_lt_i16_e32 vcc_lo, 25, v9
	s_mov_b32 s2, s34
	s_cbranch_vccz .LBB249_992
; %bb.960:
	v_cmp_lt_i16_e32 vcc_lo, 28, v9
	s_mov_b32 s2, s34
	s_cbranch_vccz .LBB249_976
	;; [unrolled: 4-line block ×4, first 2 shown]
; %bb.963:
	v_cmp_eq_u16_e32 vcc_lo, 46, v9
	s_mov_b32 s2, -1
	s_cbranch_vccz .LBB249_965
; %bb.964:
	v_cvt_f32_f64_e32 v2, v[0:1]
	s_mov_b32 s2, 0
	s_delay_alu instid0(VALU_DEP_1) | instskip(SKIP_1) | instid1(VALU_DEP_2)
	v_bfe_u32 v3, v2, 16, 1
	v_cmp_o_f32_e32 vcc_lo, v2, v2
	v_add3_u32 v3, v2, v3, 0x7fff
	s_delay_alu instid0(VALU_DEP_1) | instskip(NEXT) | instid1(VALU_DEP_1)
	v_lshrrev_b32_e32 v3, 16, v3
	v_cndmask_b32_e32 v2, 0x7fc0, v3, vcc_lo
	global_store_b32 v[4:5], v2, off
.LBB249_965:
	s_mov_b32 s4, 0
.LBB249_966:
	s_delay_alu instid0(SALU_CYCLE_1)
	s_and_b32 vcc_lo, exec_lo, s4
	s_cbranch_vccz .LBB249_971
; %bb.967:
	v_cmp_eq_u16_e32 vcc_lo, 44, v9
	s_mov_b32 s2, -1
	s_cbranch_vccz .LBB249_971
; %bb.968:
	v_cvt_f32_f64_e32 v2, v[0:1]
	v_mov_b32_e32 v3, 0xff
	s_mov_b32 s4, exec_lo
	s_delay_alu instid0(VALU_DEP_2) | instskip(NEXT) | instid1(VALU_DEP_1)
	v_bfe_u32 v6, v2, 23, 8
	v_cmpx_ne_u32_e32 0xff, v6
; %bb.969:
	v_and_b32_e32 v3, 0x400000, v2
	v_and_or_b32 v6, 0x3fffff, v2, v6
	v_lshrrev_b32_e32 v2, 23, v2
	s_delay_alu instid0(VALU_DEP_3) | instskip(NEXT) | instid1(VALU_DEP_3)
	v_cmp_ne_u32_e32 vcc_lo, 0, v3
	v_cmp_ne_u32_e64 s2, 0, v6
	s_delay_alu instid0(VALU_DEP_1) | instskip(NEXT) | instid1(SALU_CYCLE_1)
	s_and_b32 s2, vcc_lo, s2
	v_cndmask_b32_e64 v3, 0, 1, s2
	s_delay_alu instid0(VALU_DEP_1)
	v_add_nc_u32_e32 v3, v2, v3
; %bb.970:
	s_or_b32 exec_lo, exec_lo, s4
	s_mov_b32 s2, 0
	global_store_b8 v[4:5], v3, off
.LBB249_971:
	s_mov_b32 s4, 0
.LBB249_972:
	s_delay_alu instid0(SALU_CYCLE_1)
	s_and_b32 vcc_lo, exec_lo, s4
	s_cbranch_vccz .LBB249_975
; %bb.973:
	v_cmp_eq_u16_e32 vcc_lo, 29, v9
	s_mov_b32 s2, -1
	s_cbranch_vccz .LBB249_975
; %bb.974:
	v_trunc_f64_e32 v[2:3], v[0:1]
	s_mov_b32 s2, 0
	s_delay_alu instid0(VALU_DEP_1) | instskip(NEXT) | instid1(VALU_DEP_1)
	v_ldexp_f64 v[6:7], v[2:3], 0xffffffe0
	v_floor_f64_e32 v[6:7], v[6:7]
	s_delay_alu instid0(VALU_DEP_1) | instskip(SKIP_1) | instid1(VALU_DEP_2)
	v_fma_f64 v[2:3], 0xc1f00000, v[6:7], v[2:3]
	v_cvt_u32_f64_e32 v7, v[6:7]
	v_cvt_u32_f64_e32 v6, v[2:3]
	global_store_b64 v[4:5], v[6:7], off
.LBB249_975:
	s_mov_b32 s4, 0
.LBB249_976:
	s_delay_alu instid0(SALU_CYCLE_1)
	s_and_b32 vcc_lo, exec_lo, s4
	s_cbranch_vccz .LBB249_991
; %bb.977:
	v_cmp_gt_i16_e32 vcc_lo, 27, v9
	s_mov_b32 s4, -1
	s_cbranch_vccnz .LBB249_983
; %bb.978:
	v_cvt_u32_f64_e32 v2, v[0:1]
	v_cmp_lt_i16_e32 vcc_lo, 27, v9
	s_cbranch_vccz .LBB249_980
; %bb.979:
	s_mov_b32 s4, 0
	global_store_b32 v[4:5], v2, off
.LBB249_980:
	s_and_not1_b32 vcc_lo, exec_lo, s4
	s_cbranch_vccnz .LBB249_982
; %bb.981:
	global_store_b16 v[4:5], v2, off
.LBB249_982:
	s_mov_b32 s4, 0
.LBB249_983:
	s_delay_alu instid0(SALU_CYCLE_1)
	s_and_not1_b32 vcc_lo, exec_lo, s4
	s_cbranch_vccnz .LBB249_991
; %bb.984:
	v_cvt_f32_f64_e32 v2, v[0:1]
	v_mov_b32_e32 v6, 0x80
	s_mov_b32 s4, exec_lo
	s_delay_alu instid0(VALU_DEP_2) | instskip(NEXT) | instid1(VALU_DEP_1)
	v_and_b32_e32 v3, 0x7fffffff, v2
	v_cmpx_gt_u32_e32 0x43800000, v3
	s_cbranch_execz .LBB249_990
; %bb.985:
	v_cmp_lt_u32_e32 vcc_lo, 0x3bffffff, v3
	s_mov_b32 s5, 0
                                        ; implicit-def: $vgpr3
	s_and_saveexec_b32 s7, vcc_lo
	s_delay_alu instid0(SALU_CYCLE_1)
	s_xor_b32 s7, exec_lo, s7
	s_cbranch_execz .LBB249_1279
; %bb.986:
	v_bfe_u32 v3, v2, 20, 1
	s_mov_b32 s5, exec_lo
	s_delay_alu instid0(VALU_DEP_1) | instskip(NEXT) | instid1(VALU_DEP_1)
	v_add3_u32 v3, v2, v3, 0x487ffff
	v_lshrrev_b32_e32 v3, 20, v3
	s_or_saveexec_b32 s7, s7
                                        ; implicit-def: $sgpr8
	s_delay_alu instid0(SALU_CYCLE_1)
	s_xor_b32 exec_lo, exec_lo, s7
	s_cbranch_execnz .LBB249_1280
.LBB249_987:
	s_or_b32 exec_lo, exec_lo, s7
	v_mov_b32_e32 v6, s8
	s_and_saveexec_b32 s7, s5
.LBB249_988:
	v_lshrrev_b32_e32 v2, 24, v2
	s_delay_alu instid0(VALU_DEP_1)
	v_and_or_b32 v6, 0x80, v2, v3
.LBB249_989:
	s_or_b32 exec_lo, exec_lo, s7
.LBB249_990:
	s_delay_alu instid0(SALU_CYCLE_1)
	s_or_b32 exec_lo, exec_lo, s4
	global_store_b8 v[4:5], v6, off
.LBB249_991:
	s_mov_b32 s4, 0
.LBB249_992:
	s_delay_alu instid0(SALU_CYCLE_1)
	s_and_b32 vcc_lo, exec_lo, s4
	s_mov_b32 s4, 0
	s_cbranch_vccz .LBB249_1032
; %bb.993:
	v_cmp_lt_i16_e32 vcc_lo, 22, v9
	s_mov_b32 s5, -1
	s_cbranch_vccz .LBB249_1025
; %bb.994:
	v_cmp_gt_i16_e32 vcc_lo, 24, v9
	s_cbranch_vccnz .LBB249_1014
; %bb.995:
	v_cmp_lt_i16_e32 vcc_lo, 24, v9
	s_cbranch_vccz .LBB249_1003
; %bb.996:
	v_cvt_f32_f64_e32 v2, v[0:1]
	v_mov_b32_e32 v6, 0x80
	s_mov_b32 s5, exec_lo
	s_delay_alu instid0(VALU_DEP_2) | instskip(NEXT) | instid1(VALU_DEP_1)
	v_and_b32_e32 v3, 0x7fffffff, v2
	v_cmpx_gt_u32_e32 0x47800000, v3
	s_cbranch_execz .LBB249_1002
; %bb.997:
	v_cmp_lt_u32_e32 vcc_lo, 0x37ffffff, v3
	s_mov_b32 s7, 0
                                        ; implicit-def: $vgpr3
	s_and_saveexec_b32 s8, vcc_lo
	s_delay_alu instid0(SALU_CYCLE_1)
	s_xor_b32 s8, exec_lo, s8
	s_cbranch_execz .LBB249_1323
; %bb.998:
	v_bfe_u32 v3, v2, 21, 1
	s_mov_b32 s7, exec_lo
	s_delay_alu instid0(VALU_DEP_1) | instskip(NEXT) | instid1(VALU_DEP_1)
	v_add3_u32 v3, v2, v3, 0x88fffff
	v_lshrrev_b32_e32 v3, 21, v3
	s_or_saveexec_b32 s8, s8
                                        ; implicit-def: $sgpr9
	s_delay_alu instid0(SALU_CYCLE_1)
	s_xor_b32 exec_lo, exec_lo, s8
	s_cbranch_execnz .LBB249_1324
.LBB249_999:
	s_or_b32 exec_lo, exec_lo, s8
	v_mov_b32_e32 v6, s9
	s_and_saveexec_b32 s8, s7
.LBB249_1000:
	v_lshrrev_b32_e32 v2, 24, v2
	s_delay_alu instid0(VALU_DEP_1)
	v_and_or_b32 v6, 0x80, v2, v3
.LBB249_1001:
	s_or_b32 exec_lo, exec_lo, s8
.LBB249_1002:
	s_delay_alu instid0(SALU_CYCLE_1)
	s_or_b32 exec_lo, exec_lo, s5
	s_mov_b32 s5, 0
	global_store_b8 v[4:5], v6, off
.LBB249_1003:
	s_and_b32 vcc_lo, exec_lo, s5
	s_cbranch_vccz .LBB249_1013
; %bb.1004:
	v_cvt_f32_f64_e32 v2, v[0:1]
	s_mov_b32 s5, exec_lo
                                        ; implicit-def: $vgpr3
	s_delay_alu instid0(VALU_DEP_1) | instskip(NEXT) | instid1(VALU_DEP_1)
	v_and_b32_e32 v6, 0x7fffffff, v2
	v_cmpx_gt_u32_e32 0x43f00000, v6
	s_xor_b32 s5, exec_lo, s5
	s_cbranch_execz .LBB249_1010
; %bb.1005:
	s_mov_b32 s7, exec_lo
                                        ; implicit-def: $vgpr3
	v_cmpx_lt_u32_e32 0x3c7fffff, v6
	s_xor_b32 s7, exec_lo, s7
; %bb.1006:
	v_bfe_u32 v3, v2, 20, 1
	s_delay_alu instid0(VALU_DEP_1) | instskip(NEXT) | instid1(VALU_DEP_1)
	v_add3_u32 v3, v2, v3, 0x407ffff
	v_and_b32_e32 v6, 0xff00000, v3
	v_lshrrev_b32_e32 v3, 20, v3
	s_delay_alu instid0(VALU_DEP_2) | instskip(NEXT) | instid1(VALU_DEP_2)
	v_cmp_ne_u32_e32 vcc_lo, 0x7f00000, v6
	v_cndmask_b32_e32 v3, 0x7e, v3, vcc_lo
; %bb.1007:
	s_and_not1_saveexec_b32 s7, s7
; %bb.1008:
	v_add_f32_e64 v3, 0x46800000, |v2|
; %bb.1009:
	s_or_b32 exec_lo, exec_lo, s7
                                        ; implicit-def: $vgpr6
.LBB249_1010:
	s_and_not1_saveexec_b32 s5, s5
; %bb.1011:
	v_mov_b32_e32 v3, 0x7f
	v_cmp_lt_u32_e32 vcc_lo, 0x7f800000, v6
	s_delay_alu instid0(VALU_DEP_2)
	v_cndmask_b32_e32 v3, 0x7e, v3, vcc_lo
; %bb.1012:
	s_or_b32 exec_lo, exec_lo, s5
	v_lshrrev_b32_e32 v2, 24, v2
	s_delay_alu instid0(VALU_DEP_1)
	v_and_or_b32 v2, 0x80, v2, v3
	global_store_b8 v[4:5], v2, off
.LBB249_1013:
	s_mov_b32 s5, 0
.LBB249_1014:
	s_delay_alu instid0(SALU_CYCLE_1)
	s_and_not1_b32 vcc_lo, exec_lo, s5
	s_cbranch_vccnz .LBB249_1024
; %bb.1015:
	v_cvt_f32_f64_e32 v2, v[0:1]
	s_mov_b32 s5, exec_lo
                                        ; implicit-def: $vgpr3
	s_delay_alu instid0(VALU_DEP_1) | instskip(NEXT) | instid1(VALU_DEP_1)
	v_and_b32_e32 v6, 0x7fffffff, v2
	v_cmpx_gt_u32_e32 0x47800000, v6
	s_xor_b32 s5, exec_lo, s5
	s_cbranch_execz .LBB249_1021
; %bb.1016:
	s_mov_b32 s7, exec_lo
                                        ; implicit-def: $vgpr3
	v_cmpx_lt_u32_e32 0x387fffff, v6
	s_xor_b32 s7, exec_lo, s7
; %bb.1017:
	v_bfe_u32 v3, v2, 21, 1
	s_delay_alu instid0(VALU_DEP_1) | instskip(NEXT) | instid1(VALU_DEP_1)
	v_add3_u32 v3, v2, v3, 0x80fffff
	v_lshrrev_b32_e32 v3, 21, v3
; %bb.1018:
	s_and_not1_saveexec_b32 s7, s7
; %bb.1019:
	v_add_f32_e64 v3, 0x43000000, |v2|
; %bb.1020:
	s_or_b32 exec_lo, exec_lo, s7
                                        ; implicit-def: $vgpr6
.LBB249_1021:
	s_and_not1_saveexec_b32 s5, s5
; %bb.1022:
	v_mov_b32_e32 v3, 0x7f
	v_cmp_lt_u32_e32 vcc_lo, 0x7f800000, v6
	s_delay_alu instid0(VALU_DEP_2)
	v_cndmask_b32_e32 v3, 0x7c, v3, vcc_lo
; %bb.1023:
	s_or_b32 exec_lo, exec_lo, s5
	v_lshrrev_b32_e32 v2, 24, v2
	s_delay_alu instid0(VALU_DEP_1)
	v_and_or_b32 v2, 0x80, v2, v3
	global_store_b8 v[4:5], v2, off
.LBB249_1024:
	s_mov_b32 s5, 0
.LBB249_1025:
	s_delay_alu instid0(SALU_CYCLE_1)
	s_and_not1_b32 vcc_lo, exec_lo, s5
	s_mov_b32 s8, 0
	s_cbranch_vccnz .LBB249_1033
; %bb.1026:
	v_cmp_lt_i16_e32 vcc_lo, 14, v9
	s_mov_b32 s5, -1
	s_cbranch_vccz .LBB249_1030
; %bb.1027:
	v_cmp_eq_u16_e32 vcc_lo, 15, v9
	s_mov_b32 s2, -1
	s_cbranch_vccz .LBB249_1029
; %bb.1028:
	v_cvt_f32_f64_e32 v2, v[0:1]
	s_mov_b32 s2, 0
	s_delay_alu instid0(VALU_DEP_1) | instskip(SKIP_1) | instid1(VALU_DEP_2)
	v_bfe_u32 v3, v2, 16, 1
	v_cmp_o_f32_e32 vcc_lo, v2, v2
	v_add3_u32 v3, v2, v3, 0x7fff
	s_delay_alu instid0(VALU_DEP_1) | instskip(NEXT) | instid1(VALU_DEP_1)
	v_lshrrev_b32_e32 v3, 16, v3
	v_cndmask_b32_e32 v2, 0x7fc0, v3, vcc_lo
	global_store_b16 v[4:5], v2, off
.LBB249_1029:
	s_mov_b32 s5, 0
.LBB249_1030:
	s_delay_alu instid0(SALU_CYCLE_1)
	s_and_b32 vcc_lo, exec_lo, s5
	s_cbranch_vccz .LBB249_1033
; %bb.1031:
	v_cmp_ne_u16_e32 vcc_lo, 11, v9
	s_and_not1_b32 s2, s2, exec_lo
	s_mov_b32 s8, -1
	s_and_b32 s5, vcc_lo, exec_lo
	s_delay_alu instid0(SALU_CYCLE_1)
	s_or_b32 s2, s2, s5
	s_branch .LBB249_1033
.LBB249_1032:
	s_mov_b32 s8, 0
.LBB249_1033:
	s_and_b32 s7, s4, exec_lo
	s_and_not1_b32 s4, s34, exec_lo
	s_and_b32 s2, s2, exec_lo
	s_and_b32 s8, s8, exec_lo
	s_or_b32 s34, s4, s2
.LBB249_1034:
	s_or_b32 exec_lo, exec_lo, s6
	s_and_saveexec_b32 s2, s34
	s_cbranch_execnz .LBB249_1148
; %bb.1035:
	s_or_b32 exec_lo, exec_lo, s2
	s_and_saveexec_b32 s2, s8
	s_delay_alu instid0(SALU_CYCLE_1)
	s_xor_b32 s2, exec_lo, s2
	s_cbranch_execz .LBB249_1037
.LBB249_1036:
	v_cmp_neq_f64_e32 vcc_lo, 0, v[0:1]
	v_cndmask_b32_e64 v2, 0, 1, vcc_lo
	s_waitcnt vmcnt(0)
	global_store_b8 v[4:5], v2, off
.LBB249_1037:
	s_or_b32 exec_lo, exec_lo, s2
	s_and_saveexec_b32 s2, s7
	s_delay_alu instid0(SALU_CYCLE_1)
	s_xor_b32 s2, exec_lo, s2
	s_cbranch_execz .LBB249_1075
; %bb.1038:
	v_cmp_gt_i16_e32 vcc_lo, 5, v9
	s_mov_b32 s4, -1
	s_cbranch_vccnz .LBB249_1059
; %bb.1039:
	v_cmp_gt_i16_e32 vcc_lo, 8, v9
	s_cbranch_vccnz .LBB249_1049
; %bb.1040:
	v_cmp_gt_i16_e32 vcc_lo, 9, v9
	s_cbranch_vccnz .LBB249_1046
; %bb.1041:
	v_cmp_lt_i16_e32 vcc_lo, 9, v9
	s_cbranch_vccz .LBB249_1043
; %bb.1042:
	v_mov_b32_e32 v2, 0
	s_mov_b32 s4, 0
	s_waitcnt vmcnt(0)
	s_delay_alu instid0(VALU_DEP_1)
	v_mov_b32_e32 v3, v2
	global_store_b128 v[4:5], v[0:3], off
.LBB249_1043:
	s_and_not1_b32 vcc_lo, exec_lo, s4
	s_cbranch_vccnz .LBB249_1045
; %bb.1044:
	v_cvt_f32_f64_e32 v2, v[0:1]
	s_waitcnt vmcnt(0)
	v_mov_b32_e32 v3, 0
	global_store_b64 v[4:5], v[2:3], off
.LBB249_1045:
	s_mov_b32 s4, 0
.LBB249_1046:
	s_delay_alu instid0(SALU_CYCLE_1)
	s_and_not1_b32 vcc_lo, exec_lo, s4
	s_cbranch_vccnz .LBB249_1048
; %bb.1047:
	v_cvt_f32_f64_e32 v2, v[0:1]
	s_delay_alu instid0(VALU_DEP_1) | instskip(NEXT) | instid1(VALU_DEP_1)
	v_cvt_f16_f32_e32 v2, v2
	v_and_b32_e32 v2, 0xffff, v2
	s_waitcnt vmcnt(0)
	global_store_b32 v[4:5], v2, off
.LBB249_1048:
	s_mov_b32 s4, 0
.LBB249_1049:
	s_delay_alu instid0(SALU_CYCLE_1)
	s_and_not1_b32 vcc_lo, exec_lo, s4
	s_cbranch_vccnz .LBB249_1058
; %bb.1050:
	v_cmp_gt_i16_e32 vcc_lo, 6, v9
	s_mov_b32 s4, -1
	s_cbranch_vccnz .LBB249_1056
; %bb.1051:
	v_cmp_lt_i16_e32 vcc_lo, 6, v9
	s_cbranch_vccz .LBB249_1053
; %bb.1052:
	s_mov_b32 s4, 0
	s_waitcnt vmcnt(0)
	global_store_b64 v[4:5], v[0:1], off
.LBB249_1053:
	s_and_not1_b32 vcc_lo, exec_lo, s4
	s_cbranch_vccnz .LBB249_1055
; %bb.1054:
	v_cvt_f32_f64_e32 v2, v[0:1]
	s_waitcnt vmcnt(0)
	global_store_b32 v[4:5], v2, off
.LBB249_1055:
	s_mov_b32 s4, 0
.LBB249_1056:
	s_delay_alu instid0(SALU_CYCLE_1)
	s_and_not1_b32 vcc_lo, exec_lo, s4
	s_cbranch_vccnz .LBB249_1058
; %bb.1057:
	v_cvt_f32_f64_e32 v2, v[0:1]
	s_delay_alu instid0(VALU_DEP_1)
	v_cvt_f16_f32_e32 v2, v2
	s_waitcnt vmcnt(0)
	global_store_b16 v[4:5], v2, off
.LBB249_1058:
	s_mov_b32 s4, 0
.LBB249_1059:
	s_delay_alu instid0(SALU_CYCLE_1)
	s_and_not1_b32 vcc_lo, exec_lo, s4
	s_cbranch_vccnz .LBB249_1075
; %bb.1060:
	v_cmp_gt_i16_e32 vcc_lo, 2, v9
	s_mov_b32 s4, -1
	s_cbranch_vccnz .LBB249_1070
; %bb.1061:
	v_cmp_gt_i16_e32 vcc_lo, 3, v9
	s_cbranch_vccnz .LBB249_1067
; %bb.1062:
	v_cmp_lt_i16_e32 vcc_lo, 3, v9
	s_cbranch_vccz .LBB249_1064
; %bb.1063:
	s_waitcnt vmcnt(0)
	v_trunc_f64_e32 v[2:3], v[0:1]
	s_mov_b32 s4, 0
	s_delay_alu instid0(VALU_DEP_1) | instskip(NEXT) | instid1(VALU_DEP_1)
	v_ldexp_f64 v[6:7], v[2:3], 0xffffffe0
	v_floor_f64_e32 v[6:7], v[6:7]
	s_delay_alu instid0(VALU_DEP_1) | instskip(SKIP_1) | instid1(VALU_DEP_2)
	v_fma_f64 v[2:3], 0xc1f00000, v[6:7], v[2:3]
	v_cvt_i32_f64_e32 v7, v[6:7]
	v_cvt_u32_f64_e32 v6, v[2:3]
	global_store_b64 v[4:5], v[6:7], off
.LBB249_1064:
	s_and_not1_b32 vcc_lo, exec_lo, s4
	s_cbranch_vccnz .LBB249_1066
; %bb.1065:
	v_cvt_i32_f64_e32 v2, v[0:1]
	s_waitcnt vmcnt(0)
	global_store_b32 v[4:5], v2, off
.LBB249_1066:
	s_mov_b32 s4, 0
.LBB249_1067:
	s_delay_alu instid0(SALU_CYCLE_1)
	s_and_not1_b32 vcc_lo, exec_lo, s4
	s_cbranch_vccnz .LBB249_1069
; %bb.1068:
	v_cvt_i32_f64_e32 v2, v[0:1]
	s_waitcnt vmcnt(0)
	global_store_b16 v[4:5], v2, off
.LBB249_1069:
	s_mov_b32 s4, 0
.LBB249_1070:
	s_delay_alu instid0(SALU_CYCLE_1)
	s_and_not1_b32 vcc_lo, exec_lo, s4
	s_cbranch_vccnz .LBB249_1075
; %bb.1071:
	v_cmp_lt_i16_e32 vcc_lo, 0, v9
	s_mov_b32 s4, -1
	s_cbranch_vccz .LBB249_1073
; %bb.1072:
	v_cvt_i32_f64_e32 v2, v[0:1]
	s_mov_b32 s4, 0
	s_waitcnt vmcnt(0)
	global_store_b8 v[4:5], v2, off
.LBB249_1073:
	s_and_not1_b32 vcc_lo, exec_lo, s4
	s_cbranch_vccnz .LBB249_1075
; %bb.1074:
	v_trunc_f64_e32 v[0:1], v[0:1]
	s_waitcnt vmcnt(0)
	s_delay_alu instid0(VALU_DEP_1) | instskip(NEXT) | instid1(VALU_DEP_1)
	v_ldexp_f64 v[2:3], v[0:1], 0xffffffe0
	v_floor_f64_e32 v[2:3], v[2:3]
	s_delay_alu instid0(VALU_DEP_1) | instskip(NEXT) | instid1(VALU_DEP_1)
	v_fma_f64 v[0:1], 0xc1f00000, v[2:3], v[0:1]
	v_cvt_u32_f64_e32 v0, v[0:1]
	global_store_b8 v[4:5], v0, off
.LBB249_1075:
	s_or_b32 exec_lo, exec_lo, s2
	s_delay_alu instid0(SALU_CYCLE_1)
	s_and_b32 s8, s3, exec_lo
                                        ; implicit-def: $vgpr2
                                        ; implicit-def: $vgpr10
.LBB249_1076:
	s_or_saveexec_b32 s9, s28
	s_mov_b32 s3, 0
                                        ; implicit-def: $vgpr4_vgpr5
                                        ; implicit-def: $vgpr15
                                        ; implicit-def: $vgpr0_vgpr1
	s_xor_b32 exec_lo, exec_lo, s9
	s_cbranch_execz .LBB249_2092
; %bb.1077:
	s_waitcnt vmcnt(0)
	v_cndmask_b32_e64 v3, 0, 1, s27
	s_and_not1_b32 vcc_lo, exec_lo, s27
	s_cbranch_vccnz .LBB249_1083
; %bb.1078:
	v_dual_mov_b32 v0, 0 :: v_dual_mov_b32 v1, 0
	s_cmp_lg_u32 s24, 0
	s_mov_b32 s6, 0
	s_cbranch_scc0 .LBB249_1087
; %bb.1079:
	s_min_u32 s7, s25, 15
	v_mov_b32_e32 v0, 0
	s_add_i32 s7, s7, 1
	s_cmp_eq_u32 s25, 2
	s_mov_b32 s10, 0
	s_cbranch_scc1 .LBB249_1084
; %bb.1080:
	v_dual_mov_b32 v1, 0 :: v_dual_mov_b32 v0, 0
	v_mov_b32_e32 v4, v10
	s_add_u32 s2, s16, 0xc4
	s_addc_u32 s3, s17, 0
	s_and_b32 s10, s7, 28
	s_mov_b32 s11, 0
	s_mov_b64 s[4:5], s[16:17]
.LBB249_1081:                           ; =>This Inner Loop Header: Depth=1
	s_clause 0x1
	s_load_b256 s[36:43], s[4:5], 0x4
	s_load_b128 s[12:15], s[4:5], 0x24
	s_load_b256 s[44:51], s[2:3], 0x0
	s_add_u32 s4, s4, 48
	s_addc_u32 s5, s5, 0
	s_add_i32 s11, s11, 4
	s_add_u32 s2, s2, 32
	s_addc_u32 s3, s3, 0
	s_cmp_lg_u32 s10, s11
	s_waitcnt lgkmcnt(0)
	v_mul_hi_u32 v5, s37, v4
	s_delay_alu instid0(VALU_DEP_1) | instskip(NEXT) | instid1(VALU_DEP_1)
	v_add_nc_u32_e32 v5, v4, v5
	v_lshrrev_b32_e32 v5, s38, v5
	s_delay_alu instid0(VALU_DEP_1) | instskip(SKIP_1) | instid1(VALU_DEP_2)
	v_mul_hi_u32 v6, s40, v5
	v_mul_lo_u32 v8, v5, s36
	v_add_nc_u32_e32 v6, v5, v6
	s_delay_alu instid0(VALU_DEP_2) | instskip(NEXT) | instid1(VALU_DEP_2)
	v_sub_nc_u32_e32 v4, v4, v8
	v_lshrrev_b32_e32 v6, s41, v6
	s_delay_alu instid0(VALU_DEP_2) | instskip(SKIP_1) | instid1(VALU_DEP_3)
	v_mul_lo_u32 v8, v4, s44
	v_mul_lo_u32 v11, v4, s45
	v_mul_hi_u32 v7, s43, v6
	s_delay_alu instid0(VALU_DEP_1) | instskip(NEXT) | instid1(VALU_DEP_1)
	v_add_nc_u32_e32 v7, v6, v7
	v_lshrrev_b32_e32 v7, s12, v7
	s_delay_alu instid0(VALU_DEP_1) | instskip(SKIP_1) | instid1(VALU_DEP_2)
	v_mul_hi_u32 v9, s14, v7
	v_mul_lo_u32 v12, v7, s42
	v_add_nc_u32_e32 v4, v7, v9
	v_mul_lo_u32 v9, v6, s39
	s_delay_alu instid0(VALU_DEP_3) | instskip(NEXT) | instid1(VALU_DEP_3)
	v_sub_nc_u32_e32 v6, v6, v12
	v_lshrrev_b32_e32 v4, s15, v4
	s_delay_alu instid0(VALU_DEP_2) | instskip(SKIP_2) | instid1(VALU_DEP_4)
	v_mul_lo_u32 v12, v6, s48
	v_mul_lo_u32 v6, v6, s49
	v_sub_nc_u32_e32 v5, v5, v9
	v_mul_lo_u32 v13, v4, s13
	s_delay_alu instid0(VALU_DEP_2) | instskip(SKIP_1) | instid1(VALU_DEP_3)
	v_mul_lo_u32 v9, v5, s46
	v_mul_lo_u32 v5, v5, s47
	v_sub_nc_u32_e32 v7, v7, v13
	s_delay_alu instid0(VALU_DEP_3) | instskip(NEXT) | instid1(VALU_DEP_2)
	v_add3_u32 v0, v8, v0, v9
	v_mul_lo_u32 v13, v7, s50
	v_mul_lo_u32 v7, v7, s51
	v_add3_u32 v1, v11, v1, v5
	s_delay_alu instid0(VALU_DEP_3) | instskip(NEXT) | instid1(VALU_DEP_2)
	v_add3_u32 v0, v12, v0, v13
	v_add3_u32 v1, v6, v1, v7
	s_cbranch_scc1 .LBB249_1081
; %bb.1082:
	s_and_b32 s7, s7, 3
	s_delay_alu instid0(SALU_CYCLE_1)
	s_cmp_eq_u32 s7, 0
	s_cbranch_scc0 .LBB249_1085
	s_branch .LBB249_1087
.LBB249_1083:
	s_mov_b32 s6, -1
                                        ; implicit-def: $vgpr0
                                        ; implicit-def: $vgpr1
	s_branch .LBB249_1087
.LBB249_1084:
	v_dual_mov_b32 v4, v10 :: v_dual_mov_b32 v1, 0
	s_and_b32 s7, s7, 3
	s_delay_alu instid0(SALU_CYCLE_1)
	s_cmp_eq_u32 s7, 0
	s_cbranch_scc1 .LBB249_1087
.LBB249_1085:
	s_lshl_b32 s2, s10, 3
	s_mul_i32 s4, s10, 12
	s_add_u32 s2, s2, s16
	s_addc_u32 s3, 0, s17
	s_add_u32 s2, s2, 0xc4
	s_addc_u32 s3, s3, 0
	;; [unrolled: 2-line block ×3, first 2 shown]
	.p2align	6
.LBB249_1086:                           ; =>This Inner Loop Header: Depth=1
	s_clause 0x1
	s_load_b64 s[10:11], s[4:5], 0x4
	s_load_b32 s14, s[4:5], 0xc
	s_load_b64 s[12:13], s[2:3], 0x0
	s_add_u32 s4, s4, 12
	s_addc_u32 s5, s5, 0
	s_add_u32 s2, s2, 8
	s_addc_u32 s3, s3, 0
	s_add_i32 s7, s7, -1
	s_delay_alu instid0(SALU_CYCLE_1) | instskip(SKIP_2) | instid1(VALU_DEP_1)
	s_cmp_lg_u32 s7, 0
	s_waitcnt lgkmcnt(0)
	v_mul_hi_u32 v5, s11, v4
	v_add_nc_u32_e32 v5, v4, v5
	s_delay_alu instid0(VALU_DEP_1) | instskip(NEXT) | instid1(VALU_DEP_1)
	v_lshrrev_b32_e32 v8, s14, v5
	v_mul_lo_u32 v5, v8, s10
	s_delay_alu instid0(VALU_DEP_1) | instskip(NEXT) | instid1(VALU_DEP_1)
	v_sub_nc_u32_e32 v4, v4, v5
	v_mad_u64_u32 v[5:6], null, v4, s12, v[0:1]
	v_mad_u64_u32 v[6:7], null, v4, s13, v[1:2]
	v_mov_b32_e32 v4, v8
	s_delay_alu instid0(VALU_DEP_2)
	v_dual_mov_b32 v0, v5 :: v_dual_mov_b32 v1, v6
	s_cbranch_scc1 .LBB249_1086
.LBB249_1087:
	s_and_not1_b32 vcc_lo, exec_lo, s6
	s_cbranch_vccnz .LBB249_1090
; %bb.1088:
	s_clause 0x1
	s_load_b128 s[4:7], s[16:17], 0x4
	s_load_b64 s[2:3], s[16:17], 0xc4
	s_cmp_lt_u32 s24, 2
	s_waitcnt lgkmcnt(0)
	v_mul_hi_u32 v0, s5, v10
	s_delay_alu instid0(VALU_DEP_1) | instskip(NEXT) | instid1(VALU_DEP_1)
	v_add_nc_u32_e32 v0, v10, v0
	v_lshrrev_b32_e32 v4, s6, v0
	s_delay_alu instid0(VALU_DEP_1) | instskip(NEXT) | instid1(VALU_DEP_1)
	v_mul_lo_u32 v0, v4, s4
	v_sub_nc_u32_e32 v1, v10, v0
	s_delay_alu instid0(VALU_DEP_1)
	v_mul_lo_u32 v0, v1, s2
	v_mul_lo_u32 v1, v1, s3
	s_cbranch_scc1 .LBB249_1090
; %bb.1089:
	s_clause 0x1
	s_load_b128 s[4:7], s[16:17], 0x10
	s_load_b64 s[2:3], s[16:17], 0xcc
	s_waitcnt lgkmcnt(0)
	v_mul_hi_u32 v5, s5, v4
	s_delay_alu instid0(VALU_DEP_1) | instskip(NEXT) | instid1(VALU_DEP_1)
	v_add_nc_u32_e32 v5, v4, v5
	v_lshrrev_b32_e32 v5, s6, v5
	s_delay_alu instid0(VALU_DEP_1) | instskip(NEXT) | instid1(VALU_DEP_1)
	v_mul_lo_u32 v5, v5, s4
	v_sub_nc_u32_e32 v7, v4, v5
	s_delay_alu instid0(VALU_DEP_1) | instskip(SKIP_1) | instid1(VALU_DEP_1)
	v_mad_u64_u32 v[4:5], null, v7, s2, v[0:1]
	v_mad_u64_u32 v[5:6], null, v7, s3, v[1:2]
	v_dual_mov_b32 v0, v4 :: v_dual_mov_b32 v1, v5
.LBB249_1090:
	v_cmp_ne_u32_e32 vcc_lo, 1, v3
	v_add_nc_u32_e32 v4, 0x80, v10
	s_cbranch_vccnz .LBB249_1096
; %bb.1091:
	v_mov_b32_e32 v6, 0
	v_mov_b32_e32 v8, 0
	s_cmp_lg_u32 s24, 0
	s_mov_b32 s6, 0
	s_cbranch_scc0 .LBB249_1100
; %bb.1092:
	s_min_u32 s7, s25, 15
	v_mov_b32_e32 v6, 0
	s_add_i32 s7, s7, 1
	s_cmp_eq_u32 s25, 2
	s_mov_b32 s10, 0
	s_cbranch_scc1 .LBB249_1097
; %bb.1093:
	v_dual_mov_b32 v8, 0 :: v_dual_mov_b32 v5, v4
	v_mov_b32_e32 v6, 0
	s_add_u32 s2, s16, 0xc4
	s_addc_u32 s3, s17, 0
	s_and_b32 s10, s7, 28
	s_mov_b32 s11, 0
	s_mov_b64 s[4:5], s[16:17]
.LBB249_1094:                           ; =>This Inner Loop Header: Depth=1
	s_clause 0x1
	s_load_b256 s[36:43], s[4:5], 0x4
	s_load_b128 s[12:15], s[4:5], 0x24
	s_load_b256 s[44:51], s[2:3], 0x0
	s_add_u32 s4, s4, 48
	s_addc_u32 s5, s5, 0
	s_add_i32 s11, s11, 4
	s_add_u32 s2, s2, 32
	s_addc_u32 s3, s3, 0
	s_cmp_lg_u32 s10, s11
	s_waitcnt lgkmcnt(0)
	v_mul_hi_u32 v7, s37, v5
	s_delay_alu instid0(VALU_DEP_1) | instskip(NEXT) | instid1(VALU_DEP_1)
	v_add_nc_u32_e32 v7, v5, v7
	v_lshrrev_b32_e32 v7, s38, v7
	s_delay_alu instid0(VALU_DEP_1) | instskip(SKIP_1) | instid1(VALU_DEP_2)
	v_mul_hi_u32 v9, s40, v7
	v_mul_lo_u32 v12, v7, s36
	v_add_nc_u32_e32 v9, v7, v9
	s_delay_alu instid0(VALU_DEP_2) | instskip(NEXT) | instid1(VALU_DEP_2)
	v_sub_nc_u32_e32 v5, v5, v12
	v_lshrrev_b32_e32 v9, s41, v9
	s_delay_alu instid0(VALU_DEP_2) | instskip(SKIP_1) | instid1(VALU_DEP_3)
	v_mul_lo_u32 v12, v5, s44
	v_mul_lo_u32 v14, v5, s45
	v_mul_hi_u32 v11, s43, v9
	s_delay_alu instid0(VALU_DEP_1) | instskip(NEXT) | instid1(VALU_DEP_1)
	v_add_nc_u32_e32 v11, v9, v11
	v_lshrrev_b32_e32 v11, s12, v11
	s_delay_alu instid0(VALU_DEP_1) | instskip(SKIP_1) | instid1(VALU_DEP_2)
	v_mul_hi_u32 v13, s14, v11
	v_mul_lo_u32 v15, v11, s42
	v_add_nc_u32_e32 v5, v11, v13
	v_mul_lo_u32 v13, v9, s39
	s_delay_alu instid0(VALU_DEP_3) | instskip(NEXT) | instid1(VALU_DEP_3)
	v_sub_nc_u32_e32 v9, v9, v15
	v_lshrrev_b32_e32 v5, s15, v5
	s_delay_alu instid0(VALU_DEP_2) | instskip(SKIP_2) | instid1(VALU_DEP_4)
	v_mul_lo_u32 v15, v9, s48
	v_mul_lo_u32 v9, v9, s49
	v_sub_nc_u32_e32 v7, v7, v13
	v_mul_lo_u32 v16, v5, s13
	s_delay_alu instid0(VALU_DEP_2) | instskip(SKIP_1) | instid1(VALU_DEP_3)
	v_mul_lo_u32 v13, v7, s46
	v_mul_lo_u32 v7, v7, s47
	v_sub_nc_u32_e32 v11, v11, v16
	s_delay_alu instid0(VALU_DEP_3) | instskip(NEXT) | instid1(VALU_DEP_2)
	v_add3_u32 v6, v12, v6, v13
	v_mul_lo_u32 v16, v11, s50
	v_mul_lo_u32 v11, v11, s51
	v_add3_u32 v7, v14, v8, v7
	s_delay_alu instid0(VALU_DEP_3) | instskip(NEXT) | instid1(VALU_DEP_2)
	v_add3_u32 v6, v15, v6, v16
	v_add3_u32 v8, v9, v7, v11
	s_cbranch_scc1 .LBB249_1094
; %bb.1095:
	s_and_b32 s7, s7, 3
	s_delay_alu instid0(SALU_CYCLE_1)
	s_cmp_eq_u32 s7, 0
	s_cbranch_scc0 .LBB249_1098
	s_branch .LBB249_1100
.LBB249_1096:
	s_mov_b32 s6, -1
                                        ; implicit-def: $vgpr6
                                        ; implicit-def: $vgpr8
	s_branch .LBB249_1100
.LBB249_1097:
	v_dual_mov_b32 v5, v4 :: v_dual_mov_b32 v8, 0
	s_and_b32 s7, s7, 3
	s_delay_alu instid0(SALU_CYCLE_1)
	s_cmp_eq_u32 s7, 0
	s_cbranch_scc1 .LBB249_1100
.LBB249_1098:
	s_lshl_b32 s2, s10, 3
	s_mul_i32 s4, s10, 12
	s_add_u32 s2, s2, s16
	s_addc_u32 s3, 0, s17
	s_add_u32 s2, s2, 0xc4
	s_addc_u32 s3, s3, 0
	;; [unrolled: 2-line block ×3, first 2 shown]
	.p2align	6
.LBB249_1099:                           ; =>This Inner Loop Header: Depth=1
	s_clause 0x1
	s_load_b64 s[10:11], s[4:5], 0x4
	s_load_b32 s14, s[4:5], 0xc
	s_load_b64 s[12:13], s[2:3], 0x0
	s_add_u32 s4, s4, 12
	s_addc_u32 s5, s5, 0
	s_add_u32 s2, s2, 8
	s_addc_u32 s3, s3, 0
	s_add_i32 s7, s7, -1
	s_delay_alu instid0(SALU_CYCLE_1) | instskip(SKIP_2) | instid1(VALU_DEP_1)
	s_cmp_lg_u32 s7, 0
	s_waitcnt lgkmcnt(0)
	v_mul_hi_u32 v7, s11, v5
	v_add_nc_u32_e32 v7, v5, v7
	s_delay_alu instid0(VALU_DEP_1) | instskip(NEXT) | instid1(VALU_DEP_1)
	v_lshrrev_b32_e32 v7, s14, v7
	v_mul_lo_u32 v9, v7, s10
	s_delay_alu instid0(VALU_DEP_1) | instskip(NEXT) | instid1(VALU_DEP_1)
	v_sub_nc_u32_e32 v5, v5, v9
	v_mad_u64_u32 v[11:12], null, v5, s12, v[6:7]
	v_mad_u64_u32 v[12:13], null, v5, s13, v[8:9]
	v_mov_b32_e32 v5, v7
	s_delay_alu instid0(VALU_DEP_3) | instskip(NEXT) | instid1(VALU_DEP_3)
	v_mov_b32_e32 v6, v11
	v_mov_b32_e32 v8, v12
	s_cbranch_scc1 .LBB249_1099
.LBB249_1100:
	s_and_not1_b32 vcc_lo, exec_lo, s6
	s_cbranch_vccnz .LBB249_1103
; %bb.1101:
	s_clause 0x1
	s_load_b128 s[4:7], s[16:17], 0x4
	s_load_b64 s[2:3], s[16:17], 0xc4
	s_cmp_lt_u32 s24, 2
	s_waitcnt lgkmcnt(0)
	v_mul_hi_u32 v5, s5, v4
	s_delay_alu instid0(VALU_DEP_1) | instskip(NEXT) | instid1(VALU_DEP_1)
	v_add_nc_u32_e32 v5, v4, v5
	v_lshrrev_b32_e32 v5, s6, v5
	s_delay_alu instid0(VALU_DEP_1) | instskip(NEXT) | instid1(VALU_DEP_1)
	v_mul_lo_u32 v6, v5, s4
	v_sub_nc_u32_e32 v4, v4, v6
	s_delay_alu instid0(VALU_DEP_1)
	v_mul_lo_u32 v6, v4, s2
	v_mul_lo_u32 v8, v4, s3
	s_cbranch_scc1 .LBB249_1103
; %bb.1102:
	s_clause 0x1
	s_load_b128 s[4:7], s[16:17], 0x10
	s_load_b64 s[2:3], s[16:17], 0xcc
	s_waitcnt lgkmcnt(0)
	v_mul_hi_u32 v4, s5, v5
	s_delay_alu instid0(VALU_DEP_1) | instskip(NEXT) | instid1(VALU_DEP_1)
	v_add_nc_u32_e32 v4, v5, v4
	v_lshrrev_b32_e32 v4, s6, v4
	s_delay_alu instid0(VALU_DEP_1) | instskip(NEXT) | instid1(VALU_DEP_1)
	v_mul_lo_u32 v4, v4, s4
	v_sub_nc_u32_e32 v7, v5, v4
	s_delay_alu instid0(VALU_DEP_1) | instskip(SKIP_1) | instid1(VALU_DEP_2)
	v_mad_u64_u32 v[4:5], null, v7, s2, v[6:7]
	v_mad_u64_u32 v[5:6], null, v7, s3, v[8:9]
	v_mov_b32_e32 v6, v4
	s_delay_alu instid0(VALU_DEP_2)
	v_mov_b32_e32 v8, v5
.LBB249_1103:
	v_cmp_ne_u32_e32 vcc_lo, 1, v3
	v_add_nc_u32_e32 v4, 0x100, v10
	s_cbranch_vccnz .LBB249_1109
; %bb.1104:
	v_mov_b32_e32 v5, 0
	v_mov_b32_e32 v7, 0
	s_cmp_lg_u32 s24, 0
	s_mov_b32 s6, 0
	s_cbranch_scc0 .LBB249_1113
; %bb.1105:
	s_min_u32 s7, s25, 15
	v_mov_b32_e32 v5, 0
	s_add_i32 s7, s7, 1
	s_cmp_eq_u32 s25, 2
	s_mov_b32 s10, 0
	s_cbranch_scc1 .LBB249_1110
; %bb.1106:
	v_mov_b32_e32 v7, 0
	v_mov_b32_e32 v5, 0
	;; [unrolled: 1-line block ×3, first 2 shown]
	s_add_u32 s2, s16, 0xc4
	s_addc_u32 s3, s17, 0
	s_and_b32 s10, s7, 28
	s_mov_b32 s11, 0
	s_mov_b64 s[4:5], s[16:17]
.LBB249_1107:                           ; =>This Inner Loop Header: Depth=1
	s_clause 0x1
	s_load_b256 s[36:43], s[4:5], 0x4
	s_load_b128 s[12:15], s[4:5], 0x24
	s_load_b256 s[44:51], s[2:3], 0x0
	s_add_u32 s4, s4, 48
	s_addc_u32 s5, s5, 0
	s_add_i32 s11, s11, 4
	s_add_u32 s2, s2, 32
	s_addc_u32 s3, s3, 0
	s_cmp_lg_u32 s10, s11
	s_waitcnt lgkmcnt(0)
	v_mul_hi_u32 v10, s37, v9
	s_delay_alu instid0(VALU_DEP_1) | instskip(NEXT) | instid1(VALU_DEP_1)
	v_add_nc_u32_e32 v10, v9, v10
	v_lshrrev_b32_e32 v10, s38, v10
	s_delay_alu instid0(VALU_DEP_1) | instskip(SKIP_1) | instid1(VALU_DEP_2)
	v_mul_hi_u32 v11, s40, v10
	v_mul_lo_u32 v13, v10, s36
	v_add_nc_u32_e32 v11, v10, v11
	s_delay_alu instid0(VALU_DEP_2) | instskip(NEXT) | instid1(VALU_DEP_2)
	v_sub_nc_u32_e32 v9, v9, v13
	v_lshrrev_b32_e32 v11, s41, v11
	s_delay_alu instid0(VALU_DEP_2) | instskip(SKIP_1) | instid1(VALU_DEP_3)
	v_mul_lo_u32 v13, v9, s44
	v_mul_lo_u32 v15, v9, s45
	v_mul_hi_u32 v12, s43, v11
	s_delay_alu instid0(VALU_DEP_1) | instskip(NEXT) | instid1(VALU_DEP_1)
	v_add_nc_u32_e32 v12, v11, v12
	v_lshrrev_b32_e32 v12, s12, v12
	s_delay_alu instid0(VALU_DEP_1) | instskip(SKIP_1) | instid1(VALU_DEP_2)
	v_mul_hi_u32 v14, s14, v12
	v_mul_lo_u32 v16, v12, s42
	v_add_nc_u32_e32 v9, v12, v14
	v_mul_lo_u32 v14, v11, s39
	s_delay_alu instid0(VALU_DEP_3) | instskip(NEXT) | instid1(VALU_DEP_3)
	v_sub_nc_u32_e32 v11, v11, v16
	v_lshrrev_b32_e32 v9, s15, v9
	s_delay_alu instid0(VALU_DEP_2) | instskip(SKIP_2) | instid1(VALU_DEP_4)
	v_mul_lo_u32 v16, v11, s48
	v_mul_lo_u32 v11, v11, s49
	v_sub_nc_u32_e32 v10, v10, v14
	v_mul_lo_u32 v17, v9, s13
	s_delay_alu instid0(VALU_DEP_2) | instskip(SKIP_1) | instid1(VALU_DEP_3)
	v_mul_lo_u32 v14, v10, s46
	v_mul_lo_u32 v10, v10, s47
	v_sub_nc_u32_e32 v12, v12, v17
	s_delay_alu instid0(VALU_DEP_3) | instskip(NEXT) | instid1(VALU_DEP_2)
	v_add3_u32 v5, v13, v5, v14
	v_mul_lo_u32 v17, v12, s50
	v_mul_lo_u32 v12, v12, s51
	v_add3_u32 v7, v15, v7, v10
	s_delay_alu instid0(VALU_DEP_3) | instskip(NEXT) | instid1(VALU_DEP_2)
	v_add3_u32 v5, v16, v5, v17
	v_add3_u32 v7, v11, v7, v12
	s_cbranch_scc1 .LBB249_1107
; %bb.1108:
	s_and_b32 s7, s7, 3
	s_delay_alu instid0(SALU_CYCLE_1)
	s_cmp_eq_u32 s7, 0
	s_cbranch_scc0 .LBB249_1111
	s_branch .LBB249_1113
.LBB249_1109:
	s_mov_b32 s6, -1
                                        ; implicit-def: $vgpr5
                                        ; implicit-def: $vgpr7
	s_branch .LBB249_1113
.LBB249_1110:
	v_mov_b32_e32 v9, v4
	v_mov_b32_e32 v7, 0
	s_and_b32 s7, s7, 3
	s_delay_alu instid0(SALU_CYCLE_1)
	s_cmp_eq_u32 s7, 0
	s_cbranch_scc1 .LBB249_1113
.LBB249_1111:
	s_lshl_b32 s2, s10, 3
	s_mul_i32 s4, s10, 12
	s_add_u32 s2, s2, s16
	s_addc_u32 s3, 0, s17
	s_add_u32 s2, s2, 0xc4
	s_addc_u32 s3, s3, 0
	;; [unrolled: 2-line block ×3, first 2 shown]
	.p2align	6
.LBB249_1112:                           ; =>This Inner Loop Header: Depth=1
	s_clause 0x1
	s_load_b64 s[10:11], s[4:5], 0x4
	s_load_b32 s14, s[4:5], 0xc
	s_load_b64 s[12:13], s[2:3], 0x0
	s_add_u32 s4, s4, 12
	s_addc_u32 s5, s5, 0
	s_add_u32 s2, s2, 8
	s_addc_u32 s3, s3, 0
	s_add_i32 s7, s7, -1
	s_delay_alu instid0(SALU_CYCLE_1) | instskip(SKIP_2) | instid1(VALU_DEP_1)
	s_cmp_lg_u32 s7, 0
	s_waitcnt lgkmcnt(0)
	v_mul_hi_u32 v10, s11, v9
	v_add_nc_u32_e32 v10, v9, v10
	s_delay_alu instid0(VALU_DEP_1) | instskip(NEXT) | instid1(VALU_DEP_1)
	v_lshrrev_b32_e32 v13, s14, v10
	v_mul_lo_u32 v10, v13, s10
	s_delay_alu instid0(VALU_DEP_1) | instskip(NEXT) | instid1(VALU_DEP_1)
	v_sub_nc_u32_e32 v9, v9, v10
	v_mad_u64_u32 v[10:11], null, v9, s12, v[5:6]
	v_mad_u64_u32 v[11:12], null, v9, s13, v[7:8]
	v_mov_b32_e32 v9, v13
	s_delay_alu instid0(VALU_DEP_3) | instskip(NEXT) | instid1(VALU_DEP_3)
	v_mov_b32_e32 v5, v10
	v_mov_b32_e32 v7, v11
	s_cbranch_scc1 .LBB249_1112
.LBB249_1113:
	s_and_not1_b32 vcc_lo, exec_lo, s6
	s_cbranch_vccnz .LBB249_1116
; %bb.1114:
	s_clause 0x1
	s_load_b128 s[4:7], s[16:17], 0x4
	s_load_b64 s[2:3], s[16:17], 0xc4
	s_cmp_lt_u32 s24, 2
	s_waitcnt lgkmcnt(0)
	v_mul_hi_u32 v5, s5, v4
	s_delay_alu instid0(VALU_DEP_1) | instskip(NEXT) | instid1(VALU_DEP_1)
	v_add_nc_u32_e32 v5, v4, v5
	v_lshrrev_b32_e32 v9, s6, v5
	s_delay_alu instid0(VALU_DEP_1) | instskip(NEXT) | instid1(VALU_DEP_1)
	v_mul_lo_u32 v5, v9, s4
	v_sub_nc_u32_e32 v4, v4, v5
	s_delay_alu instid0(VALU_DEP_1)
	v_mul_lo_u32 v5, v4, s2
	v_mul_lo_u32 v7, v4, s3
	s_cbranch_scc1 .LBB249_1116
; %bb.1115:
	s_clause 0x1
	s_load_b128 s[4:7], s[16:17], 0x10
	s_load_b64 s[2:3], s[16:17], 0xcc
	s_waitcnt lgkmcnt(0)
	v_mul_hi_u32 v4, s5, v9
	s_delay_alu instid0(VALU_DEP_1) | instskip(NEXT) | instid1(VALU_DEP_1)
	v_add_nc_u32_e32 v4, v9, v4
	v_lshrrev_b32_e32 v4, s6, v4
	s_delay_alu instid0(VALU_DEP_1) | instskip(NEXT) | instid1(VALU_DEP_1)
	v_mul_lo_u32 v4, v4, s4
	v_sub_nc_u32_e32 v11, v9, v4
	s_delay_alu instid0(VALU_DEP_1) | instskip(SKIP_1) | instid1(VALU_DEP_2)
	v_mad_u64_u32 v[9:10], null, v11, s2, v[5:6]
	v_mad_u64_u32 v[4:5], null, v11, s3, v[7:8]
	v_mov_b32_e32 v5, v9
	s_delay_alu instid0(VALU_DEP_2)
	v_mov_b32_e32 v7, v4
.LBB249_1116:
	v_cmp_ne_u32_e32 vcc_lo, 1, v3
	s_cbranch_vccnz .LBB249_1122
; %bb.1117:
	v_dual_mov_b32 v4, 0 :: v_dual_mov_b32 v3, 0
	s_cmp_lg_u32 s24, 0
	s_mov_b32 s6, 0
	s_cbranch_scc0 .LBB249_1126
; %bb.1118:
	s_min_u32 s7, s25, 15
	v_mov_b32_e32 v4, 0
	s_add_i32 s7, s7, 1
	s_cmp_eq_u32 s25, 2
	s_mov_b32 s10, 0
	s_cbranch_scc1 .LBB249_1123
; %bb.1119:
	v_dual_mov_b32 v3, 0 :: v_dual_mov_b32 v4, 0
	v_mov_b32_e32 v9, v2
	s_add_u32 s2, s16, 0xc4
	s_addc_u32 s3, s17, 0
	s_and_b32 s10, s7, 28
	s_mov_b32 s11, 0
	s_mov_b64 s[4:5], s[16:17]
.LBB249_1120:                           ; =>This Inner Loop Header: Depth=1
	s_clause 0x1
	s_load_b256 s[36:43], s[4:5], 0x4
	s_load_b128 s[12:15], s[4:5], 0x24
	s_load_b256 s[44:51], s[2:3], 0x0
	s_add_u32 s4, s4, 48
	s_addc_u32 s5, s5, 0
	s_add_i32 s11, s11, 4
	s_add_u32 s2, s2, 32
	s_addc_u32 s3, s3, 0
	s_cmp_lg_u32 s10, s11
	s_waitcnt lgkmcnt(0)
	v_mul_hi_u32 v10, s37, v9
	s_delay_alu instid0(VALU_DEP_1) | instskip(NEXT) | instid1(VALU_DEP_1)
	v_add_nc_u32_e32 v10, v9, v10
	v_lshrrev_b32_e32 v10, s38, v10
	s_delay_alu instid0(VALU_DEP_1) | instskip(SKIP_1) | instid1(VALU_DEP_2)
	v_mul_hi_u32 v11, s40, v10
	v_mul_lo_u32 v13, v10, s36
	v_add_nc_u32_e32 v11, v10, v11
	s_delay_alu instid0(VALU_DEP_2) | instskip(NEXT) | instid1(VALU_DEP_2)
	v_sub_nc_u32_e32 v9, v9, v13
	v_lshrrev_b32_e32 v11, s41, v11
	s_delay_alu instid0(VALU_DEP_2) | instskip(SKIP_1) | instid1(VALU_DEP_3)
	v_mul_lo_u32 v13, v9, s44
	v_mul_lo_u32 v15, v9, s45
	v_mul_hi_u32 v12, s43, v11
	s_delay_alu instid0(VALU_DEP_1) | instskip(NEXT) | instid1(VALU_DEP_1)
	v_add_nc_u32_e32 v12, v11, v12
	v_lshrrev_b32_e32 v12, s12, v12
	s_delay_alu instid0(VALU_DEP_1) | instskip(SKIP_1) | instid1(VALU_DEP_2)
	v_mul_hi_u32 v14, s14, v12
	v_mul_lo_u32 v16, v12, s42
	v_add_nc_u32_e32 v9, v12, v14
	v_mul_lo_u32 v14, v11, s39
	s_delay_alu instid0(VALU_DEP_3) | instskip(NEXT) | instid1(VALU_DEP_3)
	v_sub_nc_u32_e32 v11, v11, v16
	v_lshrrev_b32_e32 v9, s15, v9
	s_delay_alu instid0(VALU_DEP_2) | instskip(SKIP_2) | instid1(VALU_DEP_4)
	v_mul_lo_u32 v16, v11, s48
	v_mul_lo_u32 v11, v11, s49
	v_sub_nc_u32_e32 v10, v10, v14
	v_mul_lo_u32 v17, v9, s13
	s_delay_alu instid0(VALU_DEP_2) | instskip(SKIP_1) | instid1(VALU_DEP_3)
	v_mul_lo_u32 v14, v10, s46
	v_mul_lo_u32 v10, v10, s47
	v_sub_nc_u32_e32 v12, v12, v17
	s_delay_alu instid0(VALU_DEP_3) | instskip(NEXT) | instid1(VALU_DEP_2)
	v_add3_u32 v4, v13, v4, v14
	v_mul_lo_u32 v17, v12, s50
	v_mul_lo_u32 v12, v12, s51
	v_add3_u32 v3, v15, v3, v10
	s_delay_alu instid0(VALU_DEP_3) | instskip(NEXT) | instid1(VALU_DEP_2)
	v_add3_u32 v4, v16, v4, v17
	v_add3_u32 v3, v11, v3, v12
	s_cbranch_scc1 .LBB249_1120
; %bb.1121:
	s_and_b32 s7, s7, 3
	s_delay_alu instid0(SALU_CYCLE_1)
	s_cmp_eq_u32 s7, 0
	s_cbranch_scc0 .LBB249_1124
	s_branch .LBB249_1126
.LBB249_1122:
	s_mov_b32 s6, -1
                                        ; implicit-def: $vgpr4
                                        ; implicit-def: $vgpr3
	s_branch .LBB249_1126
.LBB249_1123:
	v_mov_b32_e32 v9, v2
	v_mov_b32_e32 v3, 0
	s_and_b32 s7, s7, 3
	s_delay_alu instid0(SALU_CYCLE_1)
	s_cmp_eq_u32 s7, 0
	s_cbranch_scc1 .LBB249_1126
.LBB249_1124:
	s_lshl_b32 s2, s10, 3
	s_mul_i32 s4, s10, 12
	s_add_u32 s2, s2, s16
	s_addc_u32 s3, 0, s17
	s_add_u32 s2, s2, 0xc4
	s_addc_u32 s3, s3, 0
	s_add_u32 s4, s16, s4
	s_addc_u32 s5, 0, s17
	.p2align	6
.LBB249_1125:                           ; =>This Inner Loop Header: Depth=1
	s_clause 0x1
	s_load_b64 s[10:11], s[4:5], 0x4
	s_load_b32 s14, s[4:5], 0xc
	s_load_b64 s[12:13], s[2:3], 0x0
	s_add_u32 s4, s4, 12
	s_addc_u32 s5, s5, 0
	s_add_u32 s2, s2, 8
	s_addc_u32 s3, s3, 0
	s_add_i32 s7, s7, -1
	s_delay_alu instid0(SALU_CYCLE_1) | instskip(SKIP_2) | instid1(VALU_DEP_1)
	s_cmp_lg_u32 s7, 0
	s_waitcnt lgkmcnt(0)
	v_mul_hi_u32 v10, s11, v9
	v_add_nc_u32_e32 v10, v9, v10
	s_delay_alu instid0(VALU_DEP_1) | instskip(NEXT) | instid1(VALU_DEP_1)
	v_lshrrev_b32_e32 v13, s14, v10
	v_mul_lo_u32 v10, v13, s10
	s_delay_alu instid0(VALU_DEP_1) | instskip(NEXT) | instid1(VALU_DEP_1)
	v_sub_nc_u32_e32 v9, v9, v10
	v_mad_u64_u32 v[10:11], null, v9, s12, v[4:5]
	v_mad_u64_u32 v[11:12], null, v9, s13, v[3:4]
	s_delay_alu instid0(VALU_DEP_2) | instskip(NEXT) | instid1(VALU_DEP_2)
	v_dual_mov_b32 v9, v13 :: v_dual_mov_b32 v4, v10
	v_mov_b32_e32 v3, v11
	s_cbranch_scc1 .LBB249_1125
.LBB249_1126:
	s_and_not1_b32 vcc_lo, exec_lo, s6
	s_cbranch_vccnz .LBB249_1129
; %bb.1127:
	s_clause 0x1
	s_load_b128 s[4:7], s[16:17], 0x4
	s_load_b64 s[2:3], s[16:17], 0xc4
	s_cmp_lt_u32 s24, 2
	s_waitcnt lgkmcnt(0)
	v_mul_hi_u32 v3, s5, v2
	s_delay_alu instid0(VALU_DEP_1) | instskip(NEXT) | instid1(VALU_DEP_1)
	v_add_nc_u32_e32 v3, v2, v3
	v_lshrrev_b32_e32 v9, s6, v3
	s_delay_alu instid0(VALU_DEP_1) | instskip(NEXT) | instid1(VALU_DEP_1)
	v_mul_lo_u32 v3, v9, s4
	v_sub_nc_u32_e32 v2, v2, v3
	s_delay_alu instid0(VALU_DEP_1)
	v_mul_lo_u32 v4, v2, s2
	v_mul_lo_u32 v3, v2, s3
	s_cbranch_scc1 .LBB249_1129
; %bb.1128:
	s_clause 0x1
	s_load_b128 s[4:7], s[16:17], 0x10
	s_load_b64 s[2:3], s[16:17], 0xcc
	s_waitcnt lgkmcnt(0)
	v_mul_hi_u32 v2, s5, v9
	s_delay_alu instid0(VALU_DEP_1) | instskip(NEXT) | instid1(VALU_DEP_1)
	v_add_nc_u32_e32 v2, v9, v2
	v_lshrrev_b32_e32 v2, s6, v2
	s_delay_alu instid0(VALU_DEP_1) | instskip(NEXT) | instid1(VALU_DEP_1)
	v_mul_lo_u32 v2, v2, s4
	v_sub_nc_u32_e32 v2, v9, v2
	s_delay_alu instid0(VALU_DEP_1) | instskip(SKIP_1) | instid1(VALU_DEP_1)
	v_mad_u64_u32 v[9:10], null, v2, s2, v[4:5]
	v_mad_u64_u32 v[10:11], null, v2, s3, v[3:4]
	v_dual_mov_b32 v4, v9 :: v_dual_mov_b32 v3, v10
.LBB249_1129:
	s_clause 0x1
	s_load_b32 s3, s[0:1], 0x160
	s_load_b128 s[4:7], s[16:17], 0x148
	s_waitcnt lgkmcnt(0)
	s_lshr_b32 s0, s3, 16
	s_delay_alu instid0(SALU_CYCLE_1) | instskip(SKIP_1) | instid1(VALU_DEP_1)
	v_and_b32_e64 v15, 0xff, s0
	v_add_co_u32 v9, s0, s6, v1
	v_add_co_ci_u32_e64 v10, null, s7, 0, s0
	s_delay_alu instid0(VALU_DEP_3)
	v_cmp_gt_i16_e32 vcc_lo, 11, v15
	s_mov_b32 s0, 0
	s_cbranch_vccnz .LBB249_1136
; %bb.1130:
	v_cmp_lt_i16_e32 vcc_lo, 25, v15
	s_mov_b32 s10, 0
	s_cbranch_vccz .LBB249_1142
; %bb.1131:
	v_cmp_lt_i16_e32 vcc_lo, 28, v15
	s_cbranch_vccz .LBB249_1144
; %bb.1132:
	v_cmp_lt_i16_e32 vcc_lo, 43, v15
	;; [unrolled: 3-line block ×3, first 2 shown]
	s_cbranch_vccz .LBB249_1150
; %bb.1134:
	v_cmp_eq_u16_e32 vcc_lo, 46, v15
	s_mov_b32 s1, 0
	s_cbranch_vccz .LBB249_1192
; %bb.1135:
	global_load_b32 v1, v[9:10], off
	s_mov_b32 s2, 0
	s_mov_b32 s0, -1
	s_waitcnt vmcnt(0)
	v_lshlrev_b32_e32 v1, 16, v1
	s_delay_alu instid0(VALU_DEP_1)
	v_cvt_f64_f32_e32 v[1:2], v1
	s_branch .LBB249_1194
.LBB249_1136:
	s_mov_b32 s2, s8
                                        ; implicit-def: $vgpr1_vgpr2
	s_cbranch_execz .LBB249_1257
; %bb.1137:
	v_cmp_gt_i16_e32 vcc_lo, 5, v15
	s_cbranch_vccnz .LBB249_1143
; %bb.1138:
	v_cmp_gt_i16_e32 vcc_lo, 8, v15
	s_cbranch_vccnz .LBB249_1145
	;; [unrolled: 3-line block ×3, first 2 shown]
; %bb.1140:
	v_cmp_lt_i16_e32 vcc_lo, 9, v15
	s_cbranch_vccz .LBB249_1151
; %bb.1141:
	global_load_b64 v[1:2], v[9:10], off
	s_mov_b32 s0, 0
	s_branch .LBB249_1152
.LBB249_1142:
	s_mov_b32 s2, 0
                                        ; implicit-def: $vgpr1_vgpr2
	s_cbranch_execnz .LBB249_1224
	s_branch .LBB249_1253
.LBB249_1143:
                                        ; implicit-def: $vgpr1_vgpr2
	s_branch .LBB249_1169
.LBB249_1144:
	s_mov_b32 s1, -1
	s_mov_b32 s2, 0
                                        ; implicit-def: $vgpr1_vgpr2
	s_branch .LBB249_1203
.LBB249_1145:
                                        ; implicit-def: $vgpr1_vgpr2
	s_branch .LBB249_1158
.LBB249_1146:
	s_mov_b32 s2, 0
                                        ; implicit-def: $vgpr1_vgpr2
	s_cbranch_execnz .LBB249_1199
	s_branch .LBB249_1202
.LBB249_1147:
	s_mov_b32 s0, -1
                                        ; implicit-def: $vgpr1_vgpr2
	s_branch .LBB249_1155
.LBB249_1148:
	s_cbranch_execnz .LBB249_1190
; %bb.1149:
	s_or_b32 s3, s3, exec_lo
	s_and_not1_b32 s8, s8, exec_lo
	s_or_b32 exec_lo, exec_lo, s2
	s_and_saveexec_b32 s2, s8
	s_delay_alu instid0(SALU_CYCLE_1)
	s_xor_b32 s2, exec_lo, s2
	s_cbranch_execnz .LBB249_1036
	s_branch .LBB249_1037
.LBB249_1150:
	s_mov_b32 s1, -1
	s_mov_b32 s2, 0
	s_branch .LBB249_1193
.LBB249_1151:
	s_mov_b32 s0, -1
                                        ; implicit-def: $vgpr1_vgpr2
.LBB249_1152:
	s_delay_alu instid0(SALU_CYCLE_1)
	s_and_not1_b32 vcc_lo, exec_lo, s0
	s_cbranch_vccnz .LBB249_1154
; %bb.1153:
	global_load_b32 v1, v[9:10], off
	s_waitcnt vmcnt(0)
	v_cvt_f64_f32_e32 v[1:2], v1
.LBB249_1154:
	s_mov_b32 s0, 0
.LBB249_1155:
	s_delay_alu instid0(SALU_CYCLE_1)
	s_and_not1_b32 vcc_lo, exec_lo, s0
	s_cbranch_vccnz .LBB249_1157
; %bb.1156:
	global_load_b32 v1, v[9:10], off
	s_waitcnt vmcnt(0)
	v_cvt_f32_f16_e32 v1, v1
	s_delay_alu instid0(VALU_DEP_1)
	v_cvt_f64_f32_e32 v[1:2], v1
.LBB249_1157:
	s_cbranch_execnz .LBB249_1168
.LBB249_1158:
	v_cmp_gt_i16_e32 vcc_lo, 6, v15
	s_cbranch_vccnz .LBB249_1161
; %bb.1159:
	v_cmp_lt_i16_e32 vcc_lo, 6, v15
	s_cbranch_vccz .LBB249_1162
; %bb.1160:
	global_load_b64 v[1:2], v[9:10], off
	s_mov_b32 s0, 0
	s_branch .LBB249_1163
.LBB249_1161:
	s_mov_b32 s0, -1
                                        ; implicit-def: $vgpr1_vgpr2
	s_branch .LBB249_1166
.LBB249_1162:
	s_mov_b32 s0, -1
                                        ; implicit-def: $vgpr1_vgpr2
.LBB249_1163:
	s_delay_alu instid0(SALU_CYCLE_1)
	s_and_not1_b32 vcc_lo, exec_lo, s0
	s_cbranch_vccnz .LBB249_1165
; %bb.1164:
	global_load_b32 v1, v[9:10], off
	s_waitcnt vmcnt(0)
	v_cvt_f64_f32_e32 v[1:2], v1
.LBB249_1165:
	s_mov_b32 s0, 0
.LBB249_1166:
	s_delay_alu instid0(SALU_CYCLE_1)
	s_and_not1_b32 vcc_lo, exec_lo, s0
	s_cbranch_vccnz .LBB249_1168
; %bb.1167:
	global_load_u16 v1, v[9:10], off
	s_waitcnt vmcnt(0)
	v_cvt_f32_f16_e32 v1, v1
	s_delay_alu instid0(VALU_DEP_1)
	v_cvt_f64_f32_e32 v[1:2], v1
.LBB249_1168:
	s_cbranch_execnz .LBB249_1187
.LBB249_1169:
	v_cmp_gt_i16_e32 vcc_lo, 2, v15
	s_cbranch_vccnz .LBB249_1173
; %bb.1170:
	v_cmp_gt_i16_e32 vcc_lo, 3, v15
	s_cbranch_vccnz .LBB249_1174
; %bb.1171:
	v_cmp_lt_i16_e32 vcc_lo, 3, v15
	s_cbranch_vccz .LBB249_1175
; %bb.1172:
	global_load_b64 v[1:2], v[9:10], off
	s_mov_b32 s0, 0
	s_waitcnt vmcnt(0)
	v_cvt_f64_i32_e32 v[11:12], v2
	v_cvt_f64_u32_e32 v[1:2], v1
	s_delay_alu instid0(VALU_DEP_2) | instskip(NEXT) | instid1(VALU_DEP_1)
	v_ldexp_f64 v[11:12], v[11:12], 32
	v_add_f64 v[1:2], v[11:12], v[1:2]
	s_branch .LBB249_1176
.LBB249_1173:
                                        ; implicit-def: $vgpr1_vgpr2
	s_branch .LBB249_1182
.LBB249_1174:
	s_mov_b32 s0, -1
                                        ; implicit-def: $vgpr1_vgpr2
	s_branch .LBB249_1179
.LBB249_1175:
	s_mov_b32 s0, -1
                                        ; implicit-def: $vgpr1_vgpr2
.LBB249_1176:
	s_delay_alu instid0(SALU_CYCLE_1)
	s_and_not1_b32 vcc_lo, exec_lo, s0
	s_cbranch_vccnz .LBB249_1178
; %bb.1177:
	global_load_b32 v1, v[9:10], off
	s_waitcnt vmcnt(0)
	v_cvt_f64_i32_e32 v[1:2], v1
.LBB249_1178:
	s_mov_b32 s0, 0
.LBB249_1179:
	s_delay_alu instid0(SALU_CYCLE_1)
	s_and_not1_b32 vcc_lo, exec_lo, s0
	s_cbranch_vccnz .LBB249_1181
; %bb.1180:
	global_load_i16 v1, v[9:10], off
	s_waitcnt vmcnt(0)
	v_cvt_f64_i32_e32 v[1:2], v1
.LBB249_1181:
	s_cbranch_execnz .LBB249_1187
.LBB249_1182:
	v_cmp_lt_i16_e32 vcc_lo, 0, v15
	s_mov_b32 s0, 0
	s_cbranch_vccz .LBB249_1184
; %bb.1183:
	global_load_i8 v1, v[9:10], off
	s_waitcnt vmcnt(0)
	v_cvt_f64_i32_e32 v[1:2], v1
	s_branch .LBB249_1185
.LBB249_1184:
	s_mov_b32 s0, -1
                                        ; implicit-def: $vgpr1_vgpr2
.LBB249_1185:
	s_delay_alu instid0(SALU_CYCLE_1)
	s_and_not1_b32 vcc_lo, exec_lo, s0
	s_cbranch_vccnz .LBB249_1187
; %bb.1186:
	global_load_u8 v1, v[9:10], off
	s_waitcnt vmcnt(0)
	v_cvt_f64_u32_e32 v[1:2], v1
.LBB249_1187:
	s_branch .LBB249_1258
.LBB249_1188:
	s_trap 2
	s_sendmsg_rtn_b32 s0, sendmsg(MSG_RTN_GET_DOORBELL)
	s_mov_b32 ttmp2, m0
	s_waitcnt lgkmcnt(0)
	s_and_b32 s0, s0, 0x3ff
	s_delay_alu instid0(SALU_CYCLE_1) | instskip(NEXT) | instid1(SALU_CYCLE_1)
	s_bitset1_b32 s0, 10
	s_mov_b32 m0, s0
	s_sendmsg sendmsg(MSG_INTERRUPT)
	s_mov_b32 m0, ttmp2
.LBB249_1189:                           ; =>This Inner Loop Header: Depth=1
	s_sethalt 5
	s_branch .LBB249_1189
.LBB249_1190:
	s_trap 2
	s_sendmsg_rtn_b32 s0, sendmsg(MSG_RTN_GET_DOORBELL)
	s_mov_b32 ttmp2, m0
	s_waitcnt lgkmcnt(0)
	s_and_b32 s0, s0, 0x3ff
	s_delay_alu instid0(SALU_CYCLE_1) | instskip(NEXT) | instid1(SALU_CYCLE_1)
	s_bitset1_b32 s0, 10
	s_mov_b32 m0, s0
	s_sendmsg sendmsg(MSG_INTERRUPT)
	s_mov_b32 m0, ttmp2
.LBB249_1191:                           ; =>This Inner Loop Header: Depth=1
	s_sethalt 5
	s_branch .LBB249_1191
.LBB249_1192:
	s_mov_b32 s2, -1
.LBB249_1193:
                                        ; implicit-def: $vgpr1_vgpr2
.LBB249_1194:
	s_and_b32 vcc_lo, exec_lo, s1
	s_cbranch_vccz .LBB249_1197
; %bb.1195:
	v_cmp_eq_u16_e32 vcc_lo, 44, v15
	s_cbranch_vccz .LBB249_1198
; %bb.1196:
	global_load_u8 v11, v[9:10], off
	s_mov_b32 s2, 0
	s_mov_b32 s0, -1
	s_waitcnt vmcnt(0)
	v_cmp_ne_u32_e32 vcc_lo, 0xff, v11
	v_lshlrev_b32_e32 v1, 23, v11
	s_delay_alu instid0(VALU_DEP_1) | instskip(NEXT) | instid1(VALU_DEP_1)
	v_cvt_f64_f32_e32 v[1:2], v1
	v_cndmask_b32_e32 v2, 0x7ff80000, v2, vcc_lo
	s_delay_alu instid0(VALU_DEP_2) | instskip(SKIP_1) | instid1(VALU_DEP_3)
	v_cndmask_b32_e32 v1, 0x20000000, v1, vcc_lo
	v_cmp_ne_u32_e32 vcc_lo, 0, v11
	v_cndmask_b32_e32 v2, 0x38000000, v2, vcc_lo
	s_delay_alu instid0(VALU_DEP_3)
	v_cndmask_b32_e32 v1, 0, v1, vcc_lo
.LBB249_1197:
	s_branch .LBB249_1202
.LBB249_1198:
	s_mov_b32 s2, -1
                                        ; implicit-def: $vgpr1_vgpr2
	s_branch .LBB249_1202
.LBB249_1199:
	v_cmp_eq_u16_e32 vcc_lo, 29, v15
	s_cbranch_vccz .LBB249_1201
; %bb.1200:
	global_load_b64 v[1:2], v[9:10], off
	s_mov_b32 s2, 0
	s_mov_b32 s0, -1
	s_mov_b32 s1, 0
	s_waitcnt vmcnt(0)
	v_cvt_f64_u32_e32 v[11:12], v2
	v_cvt_f64_u32_e32 v[1:2], v1
	s_delay_alu instid0(VALU_DEP_2) | instskip(NEXT) | instid1(VALU_DEP_1)
	v_ldexp_f64 v[11:12], v[11:12], 32
	v_add_f64 v[1:2], v[11:12], v[1:2]
	s_branch .LBB249_1203
.LBB249_1201:
	s_mov_b32 s2, -1
                                        ; implicit-def: $vgpr1_vgpr2
.LBB249_1202:
	s_mov_b32 s1, 0
.LBB249_1203:
	s_delay_alu instid0(SALU_CYCLE_1)
	s_and_b32 vcc_lo, exec_lo, s1
	s_cbranch_vccz .LBB249_1223
; %bb.1204:
	v_cmp_gt_i16_e32 vcc_lo, 27, v15
	s_cbranch_vccnz .LBB249_1207
; %bb.1205:
	v_cmp_lt_i16_e32 vcc_lo, 27, v15
	s_cbranch_vccz .LBB249_1208
; %bb.1206:
	global_load_b32 v1, v[9:10], off
	s_mov_b32 s0, 0
	s_waitcnt vmcnt(0)
	v_cvt_f64_u32_e32 v[1:2], v1
	s_branch .LBB249_1209
.LBB249_1207:
	s_mov_b32 s0, -1
                                        ; implicit-def: $vgpr1_vgpr2
	s_branch .LBB249_1212
.LBB249_1208:
	s_mov_b32 s0, -1
                                        ; implicit-def: $vgpr1_vgpr2
.LBB249_1209:
	s_delay_alu instid0(SALU_CYCLE_1)
	s_and_not1_b32 vcc_lo, exec_lo, s0
	s_cbranch_vccnz .LBB249_1211
; %bb.1210:
	global_load_u16 v1, v[9:10], off
	s_waitcnt vmcnt(0)
	v_cvt_f64_u32_e32 v[1:2], v1
.LBB249_1211:
	s_mov_b32 s0, 0
.LBB249_1212:
	s_delay_alu instid0(SALU_CYCLE_1)
	s_and_not1_b32 vcc_lo, exec_lo, s0
	s_cbranch_vccnz .LBB249_1222
; %bb.1213:
	global_load_u8 v11, v[9:10], off
	s_mov_b32 s11, 0
	s_mov_b32 s12, exec_lo
                                        ; implicit-def: $sgpr0_sgpr1
	s_waitcnt vmcnt(0)
	v_cmpx_lt_i16_e32 0x7f, v11
	s_xor_b32 s12, exec_lo, s12
	s_cbranch_execz .LBB249_1217
; %bb.1214:
	s_mov_b32 s13, -1
	s_mov_b32 s11, exec_lo
                                        ; implicit-def: $sgpr0_sgpr1
	v_cmpx_eq_u16_e32 0x80, v11
; %bb.1215:
	s_mov_b32 s1, 0x7ff80000
	s_brev_b32 s0, 4
	s_xor_b32 s13, exec_lo, -1
; %bb.1216:
	s_or_b32 exec_lo, exec_lo, s11
	s_delay_alu instid0(SALU_CYCLE_1)
	s_and_b32 s11, s13, exec_lo
.LBB249_1217:
	s_or_saveexec_b32 s12, s12
	v_dual_mov_b32 v2, s1 :: v_dual_mov_b32 v1, s0
	s_xor_b32 exec_lo, exec_lo, s12
; %bb.1218:
	v_cmp_ne_u16_e32 vcc_lo, 0, v11
	v_mov_b32_e32 v1, 0
	v_mov_b32_e32 v2, 0
	s_and_not1_b32 s0, s11, exec_lo
	s_and_b32 s1, vcc_lo, exec_lo
	s_delay_alu instid0(SALU_CYCLE_1)
	s_or_b32 s11, s0, s1
; %bb.1219:
	s_or_b32 exec_lo, exec_lo, s12
	s_and_saveexec_b32 s0, s11
	s_cbranch_execz .LBB249_1221
; %bb.1220:
	v_and_b32_e32 v1, 0xffff, v11
	v_lshlrev_b32_e32 v11, 24, v11
	s_delay_alu instid0(VALU_DEP_2) | instskip(NEXT) | instid1(VALU_DEP_2)
	v_and_b32_e32 v2, 7, v1
	v_and_b32_e32 v11, 0x80000000, v11
	s_delay_alu instid0(VALU_DEP_2) | instskip(NEXT) | instid1(VALU_DEP_1)
	v_clz_i32_u32_e32 v12, v2
	v_min_u32_e32 v12, 32, v12
	s_delay_alu instid0(VALU_DEP_1) | instskip(SKIP_1) | instid1(VALU_DEP_2)
	v_subrev_nc_u32_e32 v13, 28, v12
	v_sub_nc_u32_e32 v12, 29, v12
	v_lshlrev_b32_e32 v13, v13, v1
	v_bfe_u32 v1, v1, 3, 4
	s_delay_alu instid0(VALU_DEP_2) | instskip(NEXT) | instid1(VALU_DEP_2)
	v_and_b32_e32 v13, 7, v13
	v_cmp_eq_u32_e32 vcc_lo, 0, v1
	s_delay_alu instid0(VALU_DEP_2) | instskip(NEXT) | instid1(VALU_DEP_1)
	v_dual_cndmask_b32 v1, v1, v12 :: v_dual_cndmask_b32 v2, v2, v13
	v_lshl_add_u32 v1, v1, 23, 0x3b800000
	s_delay_alu instid0(VALU_DEP_2) | instskip(NEXT) | instid1(VALU_DEP_1)
	v_lshlrev_b32_e32 v2, 20, v2
	v_or3_b32 v1, v11, v1, v2
	s_delay_alu instid0(VALU_DEP_1)
	v_cvt_f64_f32_e32 v[1:2], v1
.LBB249_1221:
	s_or_b32 exec_lo, exec_lo, s0
.LBB249_1222:
	s_mov_b32 s0, -1
.LBB249_1223:
	s_branch .LBB249_1253
.LBB249_1224:
	v_cmp_lt_i16_e32 vcc_lo, 22, v15
	s_cbranch_vccz .LBB249_1236
; %bb.1225:
	v_cmp_gt_i16_e32 vcc_lo, 24, v15
	s_cbranch_vccnz .LBB249_1237
; %bb.1226:
	v_cmp_lt_i16_e32 vcc_lo, 24, v15
	s_cbranch_vccz .LBB249_1238
; %bb.1227:
	global_load_u8 v11, v[9:10], off
	s_mov_b32 s11, exec_lo
                                        ; implicit-def: $sgpr0_sgpr1
	s_waitcnt vmcnt(0)
	v_cmpx_lt_i16_e32 0x7f, v11
	s_xor_b32 s11, exec_lo, s11
	s_cbranch_execz .LBB249_1231
; %bb.1228:
	s_mov_b32 s12, -1
	s_mov_b32 s10, exec_lo
                                        ; implicit-def: $sgpr0_sgpr1
	v_cmpx_eq_u16_e32 0x80, v11
; %bb.1229:
	s_mov_b32 s1, 0x7ff80000
	s_brev_b32 s0, 4
	s_xor_b32 s12, exec_lo, -1
; %bb.1230:
	s_or_b32 exec_lo, exec_lo, s10
	s_delay_alu instid0(SALU_CYCLE_1)
	s_and_b32 s10, s12, exec_lo
.LBB249_1231:
	s_or_saveexec_b32 s11, s11
	v_dual_mov_b32 v2, s1 :: v_dual_mov_b32 v1, s0
	s_xor_b32 exec_lo, exec_lo, s11
; %bb.1232:
	v_cmp_ne_u16_e32 vcc_lo, 0, v11
	v_mov_b32_e32 v1, 0
	v_mov_b32_e32 v2, 0
	s_and_not1_b32 s0, s10, exec_lo
	s_and_b32 s1, vcc_lo, exec_lo
	s_delay_alu instid0(SALU_CYCLE_1)
	s_or_b32 s10, s0, s1
; %bb.1233:
	s_or_b32 exec_lo, exec_lo, s11
	s_and_saveexec_b32 s0, s10
	s_cbranch_execz .LBB249_1235
; %bb.1234:
	v_and_b32_e32 v1, 0xffff, v11
	v_lshlrev_b32_e32 v11, 24, v11
	s_delay_alu instid0(VALU_DEP_2) | instskip(NEXT) | instid1(VALU_DEP_2)
	v_and_b32_e32 v2, 3, v1
	v_and_b32_e32 v11, 0x80000000, v11
	s_delay_alu instid0(VALU_DEP_2) | instskip(NEXT) | instid1(VALU_DEP_1)
	v_clz_i32_u32_e32 v12, v2
	v_min_u32_e32 v12, 32, v12
	s_delay_alu instid0(VALU_DEP_1) | instskip(SKIP_1) | instid1(VALU_DEP_2)
	v_subrev_nc_u32_e32 v13, 29, v12
	v_sub_nc_u32_e32 v12, 30, v12
	v_lshlrev_b32_e32 v13, v13, v1
	v_bfe_u32 v1, v1, 2, 5
	s_delay_alu instid0(VALU_DEP_2) | instskip(NEXT) | instid1(VALU_DEP_2)
	v_and_b32_e32 v13, 3, v13
	v_cmp_eq_u32_e32 vcc_lo, 0, v1
	s_delay_alu instid0(VALU_DEP_2) | instskip(NEXT) | instid1(VALU_DEP_1)
	v_dual_cndmask_b32 v1, v1, v12 :: v_dual_cndmask_b32 v2, v2, v13
	v_lshl_add_u32 v1, v1, 23, 0x37800000
	s_delay_alu instid0(VALU_DEP_2) | instskip(NEXT) | instid1(VALU_DEP_1)
	v_lshlrev_b32_e32 v2, 21, v2
	v_or3_b32 v1, v11, v1, v2
	s_delay_alu instid0(VALU_DEP_1)
	v_cvt_f64_f32_e32 v[1:2], v1
.LBB249_1235:
	s_or_b32 exec_lo, exec_lo, s0
	s_mov_b32 s0, 0
	s_branch .LBB249_1239
.LBB249_1236:
                                        ; implicit-def: $vgpr1_vgpr2
	s_mov_b32 s10, 0
	s_branch .LBB249_1245
.LBB249_1237:
	s_mov_b32 s0, -1
                                        ; implicit-def: $vgpr1_vgpr2
	s_branch .LBB249_1242
.LBB249_1238:
	s_mov_b32 s0, -1
                                        ; implicit-def: $vgpr1_vgpr2
.LBB249_1239:
	s_delay_alu instid0(SALU_CYCLE_1)
	s_and_b32 vcc_lo, exec_lo, s0
	s_cbranch_vccz .LBB249_1241
; %bb.1240:
	global_load_u8 v1, v[9:10], off
	s_waitcnt vmcnt(0)
	v_lshlrev_b32_e32 v1, 24, v1
	s_delay_alu instid0(VALU_DEP_1) | instskip(NEXT) | instid1(VALU_DEP_1)
	v_and_b32_e32 v2, 0x7f000000, v1
	v_clz_i32_u32_e32 v11, v2
	v_add_nc_u32_e32 v13, 0x1000000, v2
	v_cmp_ne_u32_e32 vcc_lo, 0, v2
	s_delay_alu instid0(VALU_DEP_3) | instskip(NEXT) | instid1(VALU_DEP_1)
	v_min_u32_e32 v11, 32, v11
	v_sub_nc_u32_e64 v11, v11, 4 clamp
	s_delay_alu instid0(VALU_DEP_1) | instskip(SKIP_1) | instid1(VALU_DEP_2)
	v_lshlrev_b32_e32 v12, v11, v2
	v_lshlrev_b32_e32 v11, 23, v11
	v_lshrrev_b32_e32 v12, 4, v12
	s_delay_alu instid0(VALU_DEP_1) | instskip(SKIP_1) | instid1(VALU_DEP_2)
	v_sub_nc_u32_e32 v11, v12, v11
	v_ashrrev_i32_e32 v12, 8, v13
	v_add_nc_u32_e32 v11, 0x3c000000, v11
	s_delay_alu instid0(VALU_DEP_1) | instskip(NEXT) | instid1(VALU_DEP_1)
	v_and_or_b32 v11, 0x7f800000, v12, v11
	v_cndmask_b32_e32 v2, 0, v11, vcc_lo
	s_delay_alu instid0(VALU_DEP_1) | instskip(NEXT) | instid1(VALU_DEP_1)
	v_and_or_b32 v1, 0x80000000, v1, v2
	v_cvt_f64_f32_e32 v[1:2], v1
.LBB249_1241:
	s_mov_b32 s0, 0
.LBB249_1242:
	s_delay_alu instid0(SALU_CYCLE_1)
	s_and_not1_b32 vcc_lo, exec_lo, s0
	s_cbranch_vccnz .LBB249_1244
; %bb.1243:
	global_load_u8 v1, v[9:10], off
	s_waitcnt vmcnt(0)
	v_lshlrev_b32_e32 v2, 25, v1
	v_lshlrev_b16 v1, 8, v1
	s_delay_alu instid0(VALU_DEP_2) | instskip(NEXT) | instid1(VALU_DEP_2)
	v_lshrrev_b32_e32 v11, 4, v2
	v_and_or_b32 v12, 0x7f00, v1, 0.5
	v_bfe_i32 v1, v1, 0, 16
	s_delay_alu instid0(VALU_DEP_3) | instskip(NEXT) | instid1(VALU_DEP_1)
	v_or_b32_e32 v11, 0x70000000, v11
	v_dual_add_f32 v12, -0.5, v12 :: v_dual_mul_f32 v11, 0x7800000, v11
	v_cmp_gt_u32_e32 vcc_lo, 0x8000000, v2
	s_delay_alu instid0(VALU_DEP_2) | instskip(NEXT) | instid1(VALU_DEP_1)
	v_cndmask_b32_e32 v2, v11, v12, vcc_lo
	v_and_or_b32 v1, 0x80000000, v1, v2
	s_delay_alu instid0(VALU_DEP_1)
	v_cvt_f64_f32_e32 v[1:2], v1
.LBB249_1244:
	s_mov_b32 s0, -1
	s_mov_b32 s10, 0
	s_cbranch_execnz .LBB249_1253
.LBB249_1245:
	v_cmp_lt_i16_e32 vcc_lo, 14, v15
	s_cbranch_vccz .LBB249_1248
; %bb.1246:
	v_cmp_eq_u16_e32 vcc_lo, 15, v15
	s_cbranch_vccz .LBB249_1249
; %bb.1247:
	global_load_u16 v1, v[9:10], off
	s_mov_b32 s2, 0
	s_mov_b32 s0, -1
	s_waitcnt vmcnt(0)
	v_lshlrev_b32_e32 v1, 16, v1
	s_delay_alu instid0(VALU_DEP_1)
	v_cvt_f64_f32_e32 v[1:2], v1
	s_branch .LBB249_1250
.LBB249_1248:
	s_mov_b32 s1, -1
                                        ; implicit-def: $vgpr1_vgpr2
	s_branch .LBB249_1251
.LBB249_1249:
	s_mov_b32 s2, -1
                                        ; implicit-def: $vgpr1_vgpr2
.LBB249_1250:
	s_mov_b32 s1, 0
.LBB249_1251:
	s_delay_alu instid0(SALU_CYCLE_1)
	s_and_b32 vcc_lo, exec_lo, s1
	s_cbranch_vccz .LBB249_1253
; %bb.1252:
	v_cmp_ne_u16_e64 s2, 11, v15
	s_mov_b32 s10, -1
                                        ; implicit-def: $vgpr1_vgpr2
.LBB249_1253:
	s_delay_alu instid0(VALU_DEP_1)
	s_and_b32 vcc_lo, exec_lo, s2
	s_mov_b32 s2, s8
	s_cbranch_vccnz .LBB249_1277
; %bb.1254:
	s_and_not1_b32 vcc_lo, exec_lo, s10
	s_cbranch_vccnz .LBB249_1256
.LBB249_1255:
	global_load_u8 v1, v[9:10], off
	s_mov_b32 s0, -1
	s_waitcnt vmcnt(0)
	v_cmp_ne_u16_e32 vcc_lo, 0, v1
	v_mov_b32_e32 v1, 0
	v_cndmask_b32_e64 v2, 0, 0x3ff00000, vcc_lo
.LBB249_1256:
.LBB249_1257:
	s_and_not1_b32 vcc_lo, exec_lo, s0
	s_cbranch_vccnz .LBB249_2090
.LBB249_1258:
	v_cmp_gt_i16_e32 vcc_lo, 11, v15
	v_add_co_u32 v8, s0, s6, v8
	s_delay_alu instid0(VALU_DEP_1)
	v_add_co_ci_u32_e64 v9, null, s7, 0, s0
	s_mov_b32 s0, 0
	s_cbranch_vccnz .LBB249_1265
; %bb.1259:
	v_cmp_lt_i16_e32 vcc_lo, 25, v15
	s_mov_b32 s11, 0
	s_cbranch_vccz .LBB249_1271
; %bb.1260:
	v_cmp_lt_i16_e32 vcc_lo, 28, v15
	s_cbranch_vccz .LBB249_1273
; %bb.1261:
	v_cmp_lt_i16_e32 vcc_lo, 43, v15
	;; [unrolled: 3-line block ×3, first 2 shown]
	s_cbranch_vccz .LBB249_1281
; %bb.1263:
	v_cmp_eq_u16_e32 vcc_lo, 46, v15
	s_mov_b32 s1, 0
	s_cbranch_vccz .LBB249_1325
; %bb.1264:
	global_load_b32 v10, v[8:9], off
	s_mov_b32 s10, 0
	s_mov_b32 s0, -1
	s_waitcnt vmcnt(0)
	v_lshlrev_b32_e32 v10, 16, v10
	s_delay_alu instid0(VALU_DEP_1)
	v_cvt_f64_f32_e32 v[11:12], v10
	s_branch .LBB249_1327
.LBB249_1265:
                                        ; implicit-def: $vgpr11_vgpr12
	s_cbranch_execz .LBB249_1392
; %bb.1266:
	v_cmp_gt_i16_e32 vcc_lo, 5, v15
	s_cbranch_vccnz .LBB249_1272
; %bb.1267:
	v_cmp_gt_i16_e32 vcc_lo, 8, v15
	s_cbranch_vccnz .LBB249_1274
	;; [unrolled: 3-line block ×3, first 2 shown]
; %bb.1269:
	v_cmp_lt_i16_e32 vcc_lo, 9, v15
	s_cbranch_vccz .LBB249_1282
; %bb.1270:
	global_load_b64 v[11:12], v[8:9], off
	s_mov_b32 s0, 0
	s_branch .LBB249_1283
.LBB249_1271:
	s_mov_b32 s10, 0
                                        ; implicit-def: $vgpr11_vgpr12
	s_cbranch_execnz .LBB249_1358
	s_branch .LBB249_1388
.LBB249_1272:
                                        ; implicit-def: $vgpr11_vgpr12
	s_branch .LBB249_1301
.LBB249_1273:
	s_mov_b32 s1, -1
	s_mov_b32 s10, 0
                                        ; implicit-def: $vgpr11_vgpr12
	s_branch .LBB249_1337
.LBB249_1274:
	s_mov_b32 s0, -1
                                        ; implicit-def: $vgpr11_vgpr12
	s_branch .LBB249_1289
.LBB249_1275:
	s_mov_b32 s1, -1
	s_mov_b32 s10, 0
                                        ; implicit-def: $vgpr11_vgpr12
	s_branch .LBB249_1332
.LBB249_1276:
	s_mov_b32 s0, -1
                                        ; implicit-def: $vgpr11_vgpr12
	s_branch .LBB249_1286
.LBB249_1277:
	s_cbranch_execnz .LBB249_1321
; %bb.1278:
	s_or_b32 s2, s8, exec_lo
                                        ; implicit-def: $vgpr1_vgpr2
	s_cbranch_execz .LBB249_1255
	s_branch .LBB249_1256
.LBB249_1279:
	s_or_saveexec_b32 s7, s7
                                        ; implicit-def: $sgpr8
	s_delay_alu instid0(SALU_CYCLE_1)
	s_xor_b32 exec_lo, exec_lo, s7
	s_cbranch_execz .LBB249_987
.LBB249_1280:
	v_add_f32_e64 v3, 0x46000000, |v2|
	s_and_not1_b32 s5, s5, exec_lo
	s_mov_b32 s8, 0
	s_delay_alu instid0(VALU_DEP_1) | instskip(NEXT) | instid1(VALU_DEP_1)
	v_and_b32_e32 v3, 0xff, v3
	v_cmp_ne_u32_e32 vcc_lo, 0, v3
	s_and_b32 s9, vcc_lo, exec_lo
	s_delay_alu instid0(SALU_CYCLE_1)
	s_or_b32 s5, s5, s9
	s_or_b32 exec_lo, exec_lo, s7
	v_mov_b32_e32 v6, s8
	s_and_saveexec_b32 s7, s5
	s_cbranch_execnz .LBB249_988
	s_branch .LBB249_989
.LBB249_1281:
	s_mov_b32 s1, -1
	s_mov_b32 s10, 0
	s_branch .LBB249_1326
.LBB249_1282:
	s_mov_b32 s0, -1
                                        ; implicit-def: $vgpr11_vgpr12
.LBB249_1283:
	s_delay_alu instid0(SALU_CYCLE_1)
	s_and_not1_b32 vcc_lo, exec_lo, s0
	s_cbranch_vccnz .LBB249_1285
; %bb.1284:
	global_load_b32 v10, v[8:9], off
	s_waitcnt vmcnt(0)
	v_cvt_f64_f32_e32 v[11:12], v10
.LBB249_1285:
	s_mov_b32 s0, 0
.LBB249_1286:
	s_delay_alu instid0(SALU_CYCLE_1)
	s_and_not1_b32 vcc_lo, exec_lo, s0
	s_cbranch_vccnz .LBB249_1288
; %bb.1287:
	global_load_b32 v10, v[8:9], off
	s_waitcnt vmcnt(0)
	v_cvt_f32_f16_e32 v10, v10
	s_delay_alu instid0(VALU_DEP_1)
	v_cvt_f64_f32_e32 v[11:12], v10
.LBB249_1288:
	s_mov_b32 s0, 0
.LBB249_1289:
	s_delay_alu instid0(SALU_CYCLE_1)
	s_and_not1_b32 vcc_lo, exec_lo, s0
	s_cbranch_vccnz .LBB249_1300
; %bb.1290:
	v_cmp_gt_i16_e32 vcc_lo, 6, v15
	s_cbranch_vccnz .LBB249_1293
; %bb.1291:
	v_cmp_lt_i16_e32 vcc_lo, 6, v15
	s_cbranch_vccz .LBB249_1294
; %bb.1292:
	global_load_b64 v[11:12], v[8:9], off
	s_mov_b32 s0, 0
	s_branch .LBB249_1295
.LBB249_1293:
	s_mov_b32 s0, -1
                                        ; implicit-def: $vgpr11_vgpr12
	s_branch .LBB249_1298
.LBB249_1294:
	s_mov_b32 s0, -1
                                        ; implicit-def: $vgpr11_vgpr12
.LBB249_1295:
	s_delay_alu instid0(SALU_CYCLE_1)
	s_and_not1_b32 vcc_lo, exec_lo, s0
	s_cbranch_vccnz .LBB249_1297
; %bb.1296:
	global_load_b32 v10, v[8:9], off
	s_waitcnt vmcnt(0)
	v_cvt_f64_f32_e32 v[11:12], v10
.LBB249_1297:
	s_mov_b32 s0, 0
.LBB249_1298:
	s_delay_alu instid0(SALU_CYCLE_1)
	s_and_not1_b32 vcc_lo, exec_lo, s0
	s_cbranch_vccnz .LBB249_1300
; %bb.1299:
	global_load_u16 v10, v[8:9], off
	s_waitcnt vmcnt(0)
	v_cvt_f32_f16_e32 v10, v10
	s_delay_alu instid0(VALU_DEP_1)
	v_cvt_f64_f32_e32 v[11:12], v10
.LBB249_1300:
	s_cbranch_execnz .LBB249_1320
.LBB249_1301:
	v_cmp_gt_i16_e32 vcc_lo, 2, v15
	s_cbranch_vccnz .LBB249_1305
; %bb.1302:
	v_cmp_gt_i16_e32 vcc_lo, 3, v15
	s_cbranch_vccnz .LBB249_1306
; %bb.1303:
	v_cmp_lt_i16_e32 vcc_lo, 3, v15
	s_cbranch_vccz .LBB249_1307
; %bb.1304:
	global_load_b64 v[10:11], v[8:9], off
	s_mov_b32 s0, 0
	s_waitcnt vmcnt(0)
	v_cvt_f64_i32_e32 v[11:12], v11
	v_cvt_f64_u32_e32 v[13:14], v10
	s_delay_alu instid0(VALU_DEP_2) | instskip(NEXT) | instid1(VALU_DEP_1)
	v_ldexp_f64 v[11:12], v[11:12], 32
	v_add_f64 v[11:12], v[11:12], v[13:14]
	s_branch .LBB249_1308
.LBB249_1305:
	s_mov_b32 s0, -1
                                        ; implicit-def: $vgpr11_vgpr12
	s_branch .LBB249_1314
.LBB249_1306:
	s_mov_b32 s0, -1
                                        ; implicit-def: $vgpr11_vgpr12
	s_branch .LBB249_1311
.LBB249_1307:
	s_mov_b32 s0, -1
                                        ; implicit-def: $vgpr11_vgpr12
.LBB249_1308:
	s_delay_alu instid0(SALU_CYCLE_1)
	s_and_not1_b32 vcc_lo, exec_lo, s0
	s_cbranch_vccnz .LBB249_1310
; %bb.1309:
	global_load_b32 v10, v[8:9], off
	s_waitcnt vmcnt(0)
	v_cvt_f64_i32_e32 v[11:12], v10
.LBB249_1310:
	s_mov_b32 s0, 0
.LBB249_1311:
	s_delay_alu instid0(SALU_CYCLE_1)
	s_and_not1_b32 vcc_lo, exec_lo, s0
	s_cbranch_vccnz .LBB249_1313
; %bb.1312:
	global_load_i16 v10, v[8:9], off
	s_waitcnt vmcnt(0)
	v_cvt_f64_i32_e32 v[11:12], v10
.LBB249_1313:
	s_mov_b32 s0, 0
.LBB249_1314:
	s_delay_alu instid0(SALU_CYCLE_1)
	s_and_not1_b32 vcc_lo, exec_lo, s0
	s_cbranch_vccnz .LBB249_1320
; %bb.1315:
	v_cmp_lt_i16_e32 vcc_lo, 0, v15
	s_mov_b32 s0, 0
	s_cbranch_vccz .LBB249_1317
; %bb.1316:
	global_load_i8 v10, v[8:9], off
	s_waitcnt vmcnt(0)
	v_cvt_f64_i32_e32 v[11:12], v10
	s_branch .LBB249_1318
.LBB249_1317:
	s_mov_b32 s0, -1
                                        ; implicit-def: $vgpr11_vgpr12
.LBB249_1318:
	s_delay_alu instid0(SALU_CYCLE_1)
	s_and_not1_b32 vcc_lo, exec_lo, s0
	s_cbranch_vccnz .LBB249_1320
; %bb.1319:
	global_load_u8 v8, v[8:9], off
	s_waitcnt vmcnt(0)
	v_cvt_f64_u32_e32 v[11:12], v8
.LBB249_1320:
	s_branch .LBB249_1393
.LBB249_1321:
	s_trap 2
	s_sendmsg_rtn_b32 s0, sendmsg(MSG_RTN_GET_DOORBELL)
	s_mov_b32 ttmp2, m0
	s_waitcnt lgkmcnt(0)
	s_and_b32 s0, s0, 0x3ff
	s_delay_alu instid0(SALU_CYCLE_1) | instskip(NEXT) | instid1(SALU_CYCLE_1)
	s_bitset1_b32 s0, 10
	s_mov_b32 m0, s0
	s_sendmsg sendmsg(MSG_INTERRUPT)
	s_mov_b32 m0, ttmp2
.LBB249_1322:                           ; =>This Inner Loop Header: Depth=1
	s_sethalt 5
	s_branch .LBB249_1322
.LBB249_1323:
	s_or_saveexec_b32 s8, s8
                                        ; implicit-def: $sgpr9
	s_delay_alu instid0(SALU_CYCLE_1)
	s_xor_b32 exec_lo, exec_lo, s8
	s_cbranch_execz .LBB249_999
.LBB249_1324:
	v_add_f32_e64 v3, 0x42800000, |v2|
	s_and_not1_b32 s7, s7, exec_lo
	s_mov_b32 s9, 0
	s_delay_alu instid0(VALU_DEP_1) | instskip(NEXT) | instid1(VALU_DEP_1)
	v_and_b32_e32 v3, 0xff, v3
	v_cmp_ne_u32_e32 vcc_lo, 0, v3
	s_and_b32 s10, vcc_lo, exec_lo
	s_delay_alu instid0(SALU_CYCLE_1)
	s_or_b32 s7, s7, s10
	s_or_b32 exec_lo, exec_lo, s8
	v_mov_b32_e32 v6, s9
	s_and_saveexec_b32 s8, s7
	s_cbranch_execnz .LBB249_1000
	s_branch .LBB249_1001
.LBB249_1325:
	s_mov_b32 s10, -1
.LBB249_1326:
                                        ; implicit-def: $vgpr11_vgpr12
.LBB249_1327:
	s_and_b32 vcc_lo, exec_lo, s1
	s_cbranch_vccz .LBB249_1331
; %bb.1328:
	v_cmp_eq_u16_e32 vcc_lo, 44, v15
	s_cbranch_vccz .LBB249_1330
; %bb.1329:
	global_load_u8 v12, v[8:9], off
	s_mov_b32 s10, 0
	s_mov_b32 s0, -1
	s_waitcnt vmcnt(0)
	v_cmp_ne_u32_e32 vcc_lo, 0xff, v12
	v_lshlrev_b32_e32 v10, 23, v12
	s_delay_alu instid0(VALU_DEP_1) | instskip(NEXT) | instid1(VALU_DEP_1)
	v_cvt_f64_f32_e32 v[10:11], v10
	v_cndmask_b32_e32 v11, 0x7ff80000, v11, vcc_lo
	s_delay_alu instid0(VALU_DEP_2) | instskip(SKIP_1) | instid1(VALU_DEP_3)
	v_cndmask_b32_e32 v10, 0x20000000, v10, vcc_lo
	v_cmp_ne_u32_e32 vcc_lo, 0, v12
	v_cndmask_b32_e32 v12, 0x38000000, v11, vcc_lo
	s_delay_alu instid0(VALU_DEP_3)
	v_cndmask_b32_e32 v11, 0, v10, vcc_lo
	s_branch .LBB249_1331
.LBB249_1330:
	s_mov_b32 s10, -1
                                        ; implicit-def: $vgpr11_vgpr12
.LBB249_1331:
	s_mov_b32 s1, 0
.LBB249_1332:
	s_delay_alu instid0(SALU_CYCLE_1)
	s_and_b32 vcc_lo, exec_lo, s1
	s_cbranch_vccz .LBB249_1336
; %bb.1333:
	v_cmp_eq_u16_e32 vcc_lo, 29, v15
	s_cbranch_vccz .LBB249_1335
; %bb.1334:
	global_load_b64 v[10:11], v[8:9], off
	s_mov_b32 s10, 0
	s_mov_b32 s0, -1
	s_mov_b32 s1, 0
	s_waitcnt vmcnt(0)
	v_cvt_f64_u32_e32 v[11:12], v11
	v_cvt_f64_u32_e32 v[13:14], v10
	s_delay_alu instid0(VALU_DEP_2) | instskip(NEXT) | instid1(VALU_DEP_1)
	v_ldexp_f64 v[11:12], v[11:12], 32
	v_add_f64 v[11:12], v[11:12], v[13:14]
	s_branch .LBB249_1337
.LBB249_1335:
	s_mov_b32 s10, -1
                                        ; implicit-def: $vgpr11_vgpr12
.LBB249_1336:
	s_mov_b32 s1, 0
.LBB249_1337:
	s_delay_alu instid0(SALU_CYCLE_1)
	s_and_b32 vcc_lo, exec_lo, s1
	s_cbranch_vccz .LBB249_1357
; %bb.1338:
	v_cmp_gt_i16_e32 vcc_lo, 27, v15
	s_cbranch_vccnz .LBB249_1341
; %bb.1339:
	v_cmp_lt_i16_e32 vcc_lo, 27, v15
	s_cbranch_vccz .LBB249_1342
; %bb.1340:
	global_load_b32 v10, v[8:9], off
	s_mov_b32 s0, 0
	s_waitcnt vmcnt(0)
	v_cvt_f64_u32_e32 v[11:12], v10
	s_branch .LBB249_1343
.LBB249_1341:
	s_mov_b32 s0, -1
                                        ; implicit-def: $vgpr11_vgpr12
	s_branch .LBB249_1346
.LBB249_1342:
	s_mov_b32 s0, -1
                                        ; implicit-def: $vgpr11_vgpr12
.LBB249_1343:
	s_delay_alu instid0(SALU_CYCLE_1)
	s_and_not1_b32 vcc_lo, exec_lo, s0
	s_cbranch_vccnz .LBB249_1345
; %bb.1344:
	global_load_u16 v10, v[8:9], off
	s_waitcnt vmcnt(0)
	v_cvt_f64_u32_e32 v[11:12], v10
.LBB249_1345:
	s_mov_b32 s0, 0
.LBB249_1346:
	s_delay_alu instid0(SALU_CYCLE_1)
	s_and_not1_b32 vcc_lo, exec_lo, s0
	s_cbranch_vccnz .LBB249_1356
; %bb.1347:
	global_load_u8 v10, v[8:9], off
	s_mov_b32 s12, 0
	s_mov_b32 s13, exec_lo
                                        ; implicit-def: $sgpr0_sgpr1
	s_waitcnt vmcnt(0)
	v_cmpx_lt_i16_e32 0x7f, v10
	s_xor_b32 s13, exec_lo, s13
	s_cbranch_execz .LBB249_1351
; %bb.1348:
	s_mov_b32 s14, -1
	s_mov_b32 s12, exec_lo
                                        ; implicit-def: $sgpr0_sgpr1
	v_cmpx_eq_u16_e32 0x80, v10
; %bb.1349:
	s_mov_b32 s1, 0x7ff80000
	s_brev_b32 s0, 4
	s_xor_b32 s14, exec_lo, -1
; %bb.1350:
	s_or_b32 exec_lo, exec_lo, s12
	s_delay_alu instid0(SALU_CYCLE_1)
	s_and_b32 s12, s14, exec_lo
.LBB249_1351:
	s_or_saveexec_b32 s13, s13
	v_dual_mov_b32 v12, s1 :: v_dual_mov_b32 v11, s0
	s_xor_b32 exec_lo, exec_lo, s13
; %bb.1352:
	v_cmp_ne_u16_e32 vcc_lo, 0, v10
	v_mov_b32_e32 v11, 0
	v_mov_b32_e32 v12, 0
	s_and_not1_b32 s0, s12, exec_lo
	s_and_b32 s1, vcc_lo, exec_lo
	s_delay_alu instid0(SALU_CYCLE_1)
	s_or_b32 s12, s0, s1
; %bb.1353:
	s_or_b32 exec_lo, exec_lo, s13
	s_and_saveexec_b32 s0, s12
	s_cbranch_execz .LBB249_1355
; %bb.1354:
	v_and_b32_e32 v11, 0xffff, v10
	v_lshlrev_b32_e32 v10, 24, v10
	s_delay_alu instid0(VALU_DEP_2) | instskip(NEXT) | instid1(VALU_DEP_2)
	v_and_b32_e32 v12, 7, v11
	v_and_b32_e32 v10, 0x80000000, v10
	s_delay_alu instid0(VALU_DEP_2) | instskip(NEXT) | instid1(VALU_DEP_1)
	v_clz_i32_u32_e32 v13, v12
	v_min_u32_e32 v13, 32, v13
	s_delay_alu instid0(VALU_DEP_1) | instskip(SKIP_1) | instid1(VALU_DEP_2)
	v_subrev_nc_u32_e32 v14, 28, v13
	v_sub_nc_u32_e32 v13, 29, v13
	v_lshlrev_b32_e32 v14, v14, v11
	v_bfe_u32 v11, v11, 3, 4
	s_delay_alu instid0(VALU_DEP_2) | instskip(NEXT) | instid1(VALU_DEP_2)
	v_and_b32_e32 v14, 7, v14
	v_cmp_eq_u32_e32 vcc_lo, 0, v11
	s_delay_alu instid0(VALU_DEP_2) | instskip(NEXT) | instid1(VALU_DEP_1)
	v_dual_cndmask_b32 v11, v11, v13 :: v_dual_cndmask_b32 v12, v12, v14
	v_lshl_add_u32 v11, v11, 23, 0x3b800000
	s_delay_alu instid0(VALU_DEP_2) | instskip(NEXT) | instid1(VALU_DEP_1)
	v_lshlrev_b32_e32 v12, 20, v12
	v_or3_b32 v10, v10, v11, v12
	s_delay_alu instid0(VALU_DEP_1)
	v_cvt_f64_f32_e32 v[11:12], v10
.LBB249_1355:
	s_or_b32 exec_lo, exec_lo, s0
.LBB249_1356:
	s_mov_b32 s0, -1
.LBB249_1357:
	s_branch .LBB249_1388
.LBB249_1358:
	v_cmp_lt_i16_e32 vcc_lo, 22, v15
	s_cbranch_vccz .LBB249_1370
; %bb.1359:
	v_cmp_gt_i16_e32 vcc_lo, 24, v15
	s_cbranch_vccnz .LBB249_1371
; %bb.1360:
	v_cmp_lt_i16_e32 vcc_lo, 24, v15
	s_cbranch_vccz .LBB249_1372
; %bb.1361:
	global_load_u8 v10, v[8:9], off
	s_mov_b32 s12, exec_lo
                                        ; implicit-def: $sgpr0_sgpr1
	s_waitcnt vmcnt(0)
	v_cmpx_lt_i16_e32 0x7f, v10
	s_xor_b32 s12, exec_lo, s12
	s_cbranch_execz .LBB249_1365
; %bb.1362:
	s_mov_b32 s13, -1
	s_mov_b32 s11, exec_lo
                                        ; implicit-def: $sgpr0_sgpr1
	v_cmpx_eq_u16_e32 0x80, v10
; %bb.1363:
	s_mov_b32 s1, 0x7ff80000
	s_brev_b32 s0, 4
	s_xor_b32 s13, exec_lo, -1
; %bb.1364:
	s_or_b32 exec_lo, exec_lo, s11
	s_delay_alu instid0(SALU_CYCLE_1)
	s_and_b32 s11, s13, exec_lo
.LBB249_1365:
	s_or_saveexec_b32 s12, s12
	v_dual_mov_b32 v12, s1 :: v_dual_mov_b32 v11, s0
	s_xor_b32 exec_lo, exec_lo, s12
; %bb.1366:
	v_cmp_ne_u16_e32 vcc_lo, 0, v10
	v_mov_b32_e32 v11, 0
	v_mov_b32_e32 v12, 0
	s_and_not1_b32 s0, s11, exec_lo
	s_and_b32 s1, vcc_lo, exec_lo
	s_delay_alu instid0(SALU_CYCLE_1)
	s_or_b32 s11, s0, s1
; %bb.1367:
	s_or_b32 exec_lo, exec_lo, s12
	s_and_saveexec_b32 s0, s11
	s_cbranch_execz .LBB249_1369
; %bb.1368:
	v_and_b32_e32 v11, 0xffff, v10
	v_lshlrev_b32_e32 v10, 24, v10
	s_delay_alu instid0(VALU_DEP_2) | instskip(NEXT) | instid1(VALU_DEP_2)
	v_and_b32_e32 v12, 3, v11
	v_and_b32_e32 v10, 0x80000000, v10
	s_delay_alu instid0(VALU_DEP_2) | instskip(NEXT) | instid1(VALU_DEP_1)
	v_clz_i32_u32_e32 v13, v12
	v_min_u32_e32 v13, 32, v13
	s_delay_alu instid0(VALU_DEP_1) | instskip(SKIP_1) | instid1(VALU_DEP_2)
	v_subrev_nc_u32_e32 v14, 29, v13
	v_sub_nc_u32_e32 v13, 30, v13
	v_lshlrev_b32_e32 v14, v14, v11
	v_bfe_u32 v11, v11, 2, 5
	s_delay_alu instid0(VALU_DEP_2) | instskip(NEXT) | instid1(VALU_DEP_2)
	v_and_b32_e32 v14, 3, v14
	v_cmp_eq_u32_e32 vcc_lo, 0, v11
	s_delay_alu instid0(VALU_DEP_2) | instskip(NEXT) | instid1(VALU_DEP_1)
	v_dual_cndmask_b32 v11, v11, v13 :: v_dual_cndmask_b32 v12, v12, v14
	v_lshl_add_u32 v11, v11, 23, 0x37800000
	s_delay_alu instid0(VALU_DEP_2) | instskip(NEXT) | instid1(VALU_DEP_1)
	v_lshlrev_b32_e32 v12, 21, v12
	v_or3_b32 v10, v10, v11, v12
	s_delay_alu instid0(VALU_DEP_1)
	v_cvt_f64_f32_e32 v[11:12], v10
.LBB249_1369:
	s_or_b32 exec_lo, exec_lo, s0
	s_mov_b32 s0, 0
	s_branch .LBB249_1373
.LBB249_1370:
	s_mov_b32 s1, -1
                                        ; implicit-def: $vgpr11_vgpr12
	s_branch .LBB249_1379
.LBB249_1371:
	s_mov_b32 s0, -1
                                        ; implicit-def: $vgpr11_vgpr12
	s_branch .LBB249_1376
.LBB249_1372:
	s_mov_b32 s0, -1
                                        ; implicit-def: $vgpr11_vgpr12
.LBB249_1373:
	s_delay_alu instid0(SALU_CYCLE_1)
	s_and_b32 vcc_lo, exec_lo, s0
	s_cbranch_vccz .LBB249_1375
; %bb.1374:
	global_load_u8 v10, v[8:9], off
	s_waitcnt vmcnt(0)
	v_lshlrev_b32_e32 v10, 24, v10
	s_delay_alu instid0(VALU_DEP_1) | instskip(NEXT) | instid1(VALU_DEP_1)
	v_and_b32_e32 v11, 0x7f000000, v10
	v_clz_i32_u32_e32 v12, v11
	v_add_nc_u32_e32 v14, 0x1000000, v11
	v_cmp_ne_u32_e32 vcc_lo, 0, v11
	s_delay_alu instid0(VALU_DEP_3) | instskip(NEXT) | instid1(VALU_DEP_1)
	v_min_u32_e32 v12, 32, v12
	v_sub_nc_u32_e64 v12, v12, 4 clamp
	s_delay_alu instid0(VALU_DEP_1) | instskip(SKIP_1) | instid1(VALU_DEP_2)
	v_lshlrev_b32_e32 v13, v12, v11
	v_lshlrev_b32_e32 v12, 23, v12
	v_lshrrev_b32_e32 v13, 4, v13
	s_delay_alu instid0(VALU_DEP_1) | instskip(SKIP_1) | instid1(VALU_DEP_2)
	v_sub_nc_u32_e32 v12, v13, v12
	v_ashrrev_i32_e32 v13, 8, v14
	v_add_nc_u32_e32 v12, 0x3c000000, v12
	s_delay_alu instid0(VALU_DEP_1) | instskip(NEXT) | instid1(VALU_DEP_1)
	v_and_or_b32 v12, 0x7f800000, v13, v12
	v_cndmask_b32_e32 v11, 0, v12, vcc_lo
	s_delay_alu instid0(VALU_DEP_1) | instskip(NEXT) | instid1(VALU_DEP_1)
	v_and_or_b32 v10, 0x80000000, v10, v11
	v_cvt_f64_f32_e32 v[11:12], v10
.LBB249_1375:
	s_mov_b32 s0, 0
.LBB249_1376:
	s_delay_alu instid0(SALU_CYCLE_1)
	s_and_not1_b32 vcc_lo, exec_lo, s0
	s_cbranch_vccnz .LBB249_1378
; %bb.1377:
	global_load_u8 v10, v[8:9], off
	s_waitcnt vmcnt(0)
	v_lshlrev_b32_e32 v11, 25, v10
	v_lshlrev_b16 v10, 8, v10
	s_delay_alu instid0(VALU_DEP_2) | instskip(NEXT) | instid1(VALU_DEP_2)
	v_lshrrev_b32_e32 v12, 4, v11
	v_and_or_b32 v13, 0x7f00, v10, 0.5
	v_bfe_i32 v10, v10, 0, 16
	s_delay_alu instid0(VALU_DEP_3) | instskip(NEXT) | instid1(VALU_DEP_1)
	v_or_b32_e32 v12, 0x70000000, v12
	v_dual_add_f32 v13, -0.5, v13 :: v_dual_mul_f32 v12, 0x7800000, v12
	v_cmp_gt_u32_e32 vcc_lo, 0x8000000, v11
	s_delay_alu instid0(VALU_DEP_2) | instskip(NEXT) | instid1(VALU_DEP_1)
	v_cndmask_b32_e32 v11, v12, v13, vcc_lo
	v_and_or_b32 v10, 0x80000000, v10, v11
	s_delay_alu instid0(VALU_DEP_1)
	v_cvt_f64_f32_e32 v[11:12], v10
.LBB249_1378:
	s_mov_b32 s1, 0
	s_mov_b32 s0, -1
.LBB249_1379:
	s_and_not1_b32 vcc_lo, exec_lo, s1
	s_mov_b32 s11, 0
	s_cbranch_vccnz .LBB249_1388
; %bb.1380:
	v_cmp_lt_i16_e32 vcc_lo, 14, v15
	s_cbranch_vccz .LBB249_1383
; %bb.1381:
	v_cmp_eq_u16_e32 vcc_lo, 15, v15
	s_cbranch_vccz .LBB249_1384
; %bb.1382:
	global_load_u16 v10, v[8:9], off
	s_mov_b32 s10, 0
	s_mov_b32 s0, -1
	s_waitcnt vmcnt(0)
	v_lshlrev_b32_e32 v10, 16, v10
	s_delay_alu instid0(VALU_DEP_1)
	v_cvt_f64_f32_e32 v[11:12], v10
	s_branch .LBB249_1385
.LBB249_1383:
	s_mov_b32 s1, -1
                                        ; implicit-def: $vgpr11_vgpr12
	s_branch .LBB249_1386
.LBB249_1384:
	s_mov_b32 s10, -1
                                        ; implicit-def: $vgpr11_vgpr12
.LBB249_1385:
	s_mov_b32 s1, 0
.LBB249_1386:
	s_delay_alu instid0(SALU_CYCLE_1)
	s_and_b32 vcc_lo, exec_lo, s1
	s_cbranch_vccz .LBB249_1388
; %bb.1387:
	v_cmp_ne_u16_e64 s10, 11, v15
	s_mov_b32 s11, -1
                                        ; implicit-def: $vgpr11_vgpr12
.LBB249_1388:
	s_delay_alu instid0(VALU_DEP_1)
	s_and_b32 vcc_lo, exec_lo, s10
	s_cbranch_vccnz .LBB249_1412
; %bb.1389:
	s_and_not1_b32 vcc_lo, exec_lo, s11
	s_cbranch_vccnz .LBB249_1391
.LBB249_1390:
	global_load_u8 v10, v[8:9], off
	v_mov_b32_e32 v11, 0
	s_mov_b32 s0, -1
	s_waitcnt vmcnt(0)
	v_cmp_ne_u16_e32 vcc_lo, 0, v10
	v_cndmask_b32_e64 v12, 0, 0x3ff00000, vcc_lo
.LBB249_1391:
.LBB249_1392:
	s_and_not1_b32 vcc_lo, exec_lo, s0
	s_cbranch_vccnz .LBB249_2090
.LBB249_1393:
	v_cmp_gt_i16_e32 vcc_lo, 11, v15
	v_add_co_u32 v7, s0, s6, v7
	s_delay_alu instid0(VALU_DEP_1)
	v_add_co_ci_u32_e64 v8, null, s7, 0, s0
	s_mov_b32 s0, 0
	s_cbranch_vccnz .LBB249_1400
; %bb.1394:
	v_cmp_lt_i16_e32 vcc_lo, 25, v15
	s_mov_b32 s11, 0
	s_cbranch_vccz .LBB249_1406
; %bb.1395:
	v_cmp_lt_i16_e32 vcc_lo, 28, v15
	s_cbranch_vccz .LBB249_1408
; %bb.1396:
	v_cmp_lt_i16_e32 vcc_lo, 43, v15
	;; [unrolled: 3-line block ×3, first 2 shown]
	s_cbranch_vccz .LBB249_1414
; %bb.1398:
	v_cmp_eq_u16_e32 vcc_lo, 46, v15
	s_mov_b32 s1, 0
	s_cbranch_vccz .LBB249_1457
; %bb.1399:
	global_load_b32 v9, v[7:8], off
	s_mov_b32 s10, 0
	s_mov_b32 s0, -1
	s_waitcnt vmcnt(0)
	v_lshlrev_b32_e32 v9, 16, v9
	s_delay_alu instid0(VALU_DEP_1)
	v_cvt_f64_f32_e32 v[9:10], v9
	s_branch .LBB249_1459
.LBB249_1400:
                                        ; implicit-def: $vgpr9_vgpr10
	s_cbranch_execz .LBB249_1525
; %bb.1401:
	v_cmp_gt_i16_e32 vcc_lo, 5, v15
	s_cbranch_vccnz .LBB249_1407
; %bb.1402:
	v_cmp_gt_i16_e32 vcc_lo, 8, v15
	s_cbranch_vccnz .LBB249_1409
	;; [unrolled: 3-line block ×3, first 2 shown]
; %bb.1404:
	v_cmp_lt_i16_e32 vcc_lo, 9, v15
	s_cbranch_vccz .LBB249_1415
; %bb.1405:
	global_load_b64 v[9:10], v[7:8], off
	s_mov_b32 s0, 0
	s_branch .LBB249_1416
.LBB249_1406:
	s_mov_b32 s1, -1
	s_mov_b32 s10, 0
                                        ; implicit-def: $vgpr9_vgpr10
	s_branch .LBB249_1490
.LBB249_1407:
	s_mov_b32 s0, -1
                                        ; implicit-def: $vgpr9_vgpr10
	s_branch .LBB249_1434
.LBB249_1408:
	s_mov_b32 s1, -1
	s_mov_b32 s10, 0
                                        ; implicit-def: $vgpr9_vgpr10
	s_branch .LBB249_1469
.LBB249_1409:
	s_mov_b32 s0, -1
                                        ; implicit-def: $vgpr9_vgpr10
	s_branch .LBB249_1422
.LBB249_1410:
	s_mov_b32 s1, -1
	s_mov_b32 s10, 0
                                        ; implicit-def: $vgpr9_vgpr10
	s_branch .LBB249_1464
.LBB249_1411:
	s_mov_b32 s0, -1
                                        ; implicit-def: $vgpr9_vgpr10
	s_branch .LBB249_1419
.LBB249_1412:
	s_cbranch_execnz .LBB249_1455
; %bb.1413:
	s_or_b32 s2, s2, exec_lo
                                        ; implicit-def: $vgpr11_vgpr12
	s_cbranch_execz .LBB249_1390
	s_branch .LBB249_1391
.LBB249_1414:
	s_mov_b32 s1, -1
	s_mov_b32 s10, 0
	s_branch .LBB249_1458
.LBB249_1415:
	s_mov_b32 s0, -1
                                        ; implicit-def: $vgpr9_vgpr10
.LBB249_1416:
	s_delay_alu instid0(SALU_CYCLE_1)
	s_and_not1_b32 vcc_lo, exec_lo, s0
	s_cbranch_vccnz .LBB249_1418
; %bb.1417:
	global_load_b32 v9, v[7:8], off
	s_waitcnt vmcnt(0)
	v_cvt_f64_f32_e32 v[9:10], v9
.LBB249_1418:
	s_mov_b32 s0, 0
.LBB249_1419:
	s_delay_alu instid0(SALU_CYCLE_1)
	s_and_not1_b32 vcc_lo, exec_lo, s0
	s_cbranch_vccnz .LBB249_1421
; %bb.1420:
	global_load_b32 v9, v[7:8], off
	s_waitcnt vmcnt(0)
	v_cvt_f32_f16_e32 v9, v9
	s_delay_alu instid0(VALU_DEP_1)
	v_cvt_f64_f32_e32 v[9:10], v9
.LBB249_1421:
	s_mov_b32 s0, 0
.LBB249_1422:
	s_delay_alu instid0(SALU_CYCLE_1)
	s_and_not1_b32 vcc_lo, exec_lo, s0
	s_cbranch_vccnz .LBB249_1433
; %bb.1423:
	v_cmp_gt_i16_e32 vcc_lo, 6, v15
	s_cbranch_vccnz .LBB249_1426
; %bb.1424:
	v_cmp_lt_i16_e32 vcc_lo, 6, v15
	s_cbranch_vccz .LBB249_1427
; %bb.1425:
	global_load_b64 v[9:10], v[7:8], off
	s_mov_b32 s0, 0
	s_branch .LBB249_1428
.LBB249_1426:
	s_mov_b32 s0, -1
                                        ; implicit-def: $vgpr9_vgpr10
	s_branch .LBB249_1431
.LBB249_1427:
	s_mov_b32 s0, -1
                                        ; implicit-def: $vgpr9_vgpr10
.LBB249_1428:
	s_delay_alu instid0(SALU_CYCLE_1)
	s_and_not1_b32 vcc_lo, exec_lo, s0
	s_cbranch_vccnz .LBB249_1430
; %bb.1429:
	global_load_b32 v9, v[7:8], off
	s_waitcnt vmcnt(0)
	v_cvt_f64_f32_e32 v[9:10], v9
.LBB249_1430:
	s_mov_b32 s0, 0
.LBB249_1431:
	s_delay_alu instid0(SALU_CYCLE_1)
	s_and_not1_b32 vcc_lo, exec_lo, s0
	s_cbranch_vccnz .LBB249_1433
; %bb.1432:
	global_load_u16 v9, v[7:8], off
	s_waitcnt vmcnt(0)
	v_cvt_f32_f16_e32 v9, v9
	s_delay_alu instid0(VALU_DEP_1)
	v_cvt_f64_f32_e32 v[9:10], v9
.LBB249_1433:
	s_mov_b32 s0, 0
.LBB249_1434:
	s_delay_alu instid0(SALU_CYCLE_1)
	s_and_not1_b32 vcc_lo, exec_lo, s0
	s_cbranch_vccnz .LBB249_1454
; %bb.1435:
	v_cmp_gt_i16_e32 vcc_lo, 2, v15
	s_cbranch_vccnz .LBB249_1439
; %bb.1436:
	v_cmp_gt_i16_e32 vcc_lo, 3, v15
	s_cbranch_vccnz .LBB249_1440
; %bb.1437:
	v_cmp_lt_i16_e32 vcc_lo, 3, v15
	s_cbranch_vccz .LBB249_1441
; %bb.1438:
	global_load_b64 v[9:10], v[7:8], off
	s_mov_b32 s0, 0
	s_waitcnt vmcnt(0)
	v_cvt_f64_i32_e32 v[13:14], v10
	v_cvt_f64_u32_e32 v[9:10], v9
	s_delay_alu instid0(VALU_DEP_2) | instskip(NEXT) | instid1(VALU_DEP_1)
	v_ldexp_f64 v[13:14], v[13:14], 32
	v_add_f64 v[9:10], v[13:14], v[9:10]
	s_branch .LBB249_1442
.LBB249_1439:
	s_mov_b32 s0, -1
                                        ; implicit-def: $vgpr9_vgpr10
	s_branch .LBB249_1448
.LBB249_1440:
	s_mov_b32 s0, -1
                                        ; implicit-def: $vgpr9_vgpr10
	s_branch .LBB249_1445
.LBB249_1441:
	s_mov_b32 s0, -1
                                        ; implicit-def: $vgpr9_vgpr10
.LBB249_1442:
	s_delay_alu instid0(SALU_CYCLE_1)
	s_and_not1_b32 vcc_lo, exec_lo, s0
	s_cbranch_vccnz .LBB249_1444
; %bb.1443:
	global_load_b32 v9, v[7:8], off
	s_waitcnt vmcnt(0)
	v_cvt_f64_i32_e32 v[9:10], v9
.LBB249_1444:
	s_mov_b32 s0, 0
.LBB249_1445:
	s_delay_alu instid0(SALU_CYCLE_1)
	s_and_not1_b32 vcc_lo, exec_lo, s0
	s_cbranch_vccnz .LBB249_1447
; %bb.1446:
	global_load_i16 v9, v[7:8], off
	s_waitcnt vmcnt(0)
	v_cvt_f64_i32_e32 v[9:10], v9
.LBB249_1447:
	s_mov_b32 s0, 0
.LBB249_1448:
	s_delay_alu instid0(SALU_CYCLE_1)
	s_and_not1_b32 vcc_lo, exec_lo, s0
	s_cbranch_vccnz .LBB249_1454
; %bb.1449:
	v_cmp_lt_i16_e32 vcc_lo, 0, v15
	s_mov_b32 s0, 0
	s_cbranch_vccz .LBB249_1451
; %bb.1450:
	global_load_i8 v9, v[7:8], off
	s_waitcnt vmcnt(0)
	v_cvt_f64_i32_e32 v[9:10], v9
	s_branch .LBB249_1452
.LBB249_1451:
	s_mov_b32 s0, -1
                                        ; implicit-def: $vgpr9_vgpr10
.LBB249_1452:
	s_delay_alu instid0(SALU_CYCLE_1)
	s_and_not1_b32 vcc_lo, exec_lo, s0
	s_cbranch_vccnz .LBB249_1454
; %bb.1453:
	global_load_u8 v7, v[7:8], off
	s_waitcnt vmcnt(0)
	v_cvt_f64_u32_e32 v[9:10], v7
.LBB249_1454:
	s_branch .LBB249_1526
.LBB249_1455:
	s_trap 2
	s_sendmsg_rtn_b32 s0, sendmsg(MSG_RTN_GET_DOORBELL)
	s_mov_b32 ttmp2, m0
	s_waitcnt lgkmcnt(0)
	s_and_b32 s0, s0, 0x3ff
	s_delay_alu instid0(SALU_CYCLE_1) | instskip(NEXT) | instid1(SALU_CYCLE_1)
	s_bitset1_b32 s0, 10
	s_mov_b32 m0, s0
	s_sendmsg sendmsg(MSG_INTERRUPT)
	s_mov_b32 m0, ttmp2
.LBB249_1456:                           ; =>This Inner Loop Header: Depth=1
	s_sethalt 5
	s_branch .LBB249_1456
.LBB249_1457:
	s_mov_b32 s10, -1
.LBB249_1458:
                                        ; implicit-def: $vgpr9_vgpr10
.LBB249_1459:
	s_and_b32 vcc_lo, exec_lo, s1
	s_cbranch_vccz .LBB249_1463
; %bb.1460:
	v_cmp_eq_u16_e32 vcc_lo, 44, v15
	s_cbranch_vccz .LBB249_1462
; %bb.1461:
	global_load_u8 v13, v[7:8], off
	s_mov_b32 s10, 0
	s_mov_b32 s0, -1
	s_waitcnt vmcnt(0)
	v_cmp_ne_u32_e32 vcc_lo, 0xff, v13
	v_lshlrev_b32_e32 v9, 23, v13
	s_delay_alu instid0(VALU_DEP_1) | instskip(NEXT) | instid1(VALU_DEP_1)
	v_cvt_f64_f32_e32 v[9:10], v9
	v_cndmask_b32_e32 v10, 0x7ff80000, v10, vcc_lo
	s_delay_alu instid0(VALU_DEP_2) | instskip(SKIP_1) | instid1(VALU_DEP_3)
	v_cndmask_b32_e32 v9, 0x20000000, v9, vcc_lo
	v_cmp_ne_u32_e32 vcc_lo, 0, v13
	v_cndmask_b32_e32 v10, 0x38000000, v10, vcc_lo
	s_delay_alu instid0(VALU_DEP_3)
	v_cndmask_b32_e32 v9, 0, v9, vcc_lo
	s_branch .LBB249_1463
.LBB249_1462:
	s_mov_b32 s10, -1
                                        ; implicit-def: $vgpr9_vgpr10
.LBB249_1463:
	s_mov_b32 s1, 0
.LBB249_1464:
	s_delay_alu instid0(SALU_CYCLE_1)
	s_and_b32 vcc_lo, exec_lo, s1
	s_cbranch_vccz .LBB249_1468
; %bb.1465:
	v_cmp_eq_u16_e32 vcc_lo, 29, v15
	s_cbranch_vccz .LBB249_1467
; %bb.1466:
	global_load_b64 v[9:10], v[7:8], off
	s_mov_b32 s10, 0
	s_mov_b32 s0, -1
	s_mov_b32 s1, 0
	s_waitcnt vmcnt(0)
	v_cvt_f64_u32_e32 v[13:14], v10
	v_cvt_f64_u32_e32 v[9:10], v9
	s_delay_alu instid0(VALU_DEP_2) | instskip(NEXT) | instid1(VALU_DEP_1)
	v_ldexp_f64 v[13:14], v[13:14], 32
	v_add_f64 v[9:10], v[13:14], v[9:10]
	s_branch .LBB249_1469
.LBB249_1467:
	s_mov_b32 s10, -1
                                        ; implicit-def: $vgpr9_vgpr10
.LBB249_1468:
	s_mov_b32 s1, 0
.LBB249_1469:
	s_delay_alu instid0(SALU_CYCLE_1)
	s_and_b32 vcc_lo, exec_lo, s1
	s_cbranch_vccz .LBB249_1489
; %bb.1470:
	v_cmp_gt_i16_e32 vcc_lo, 27, v15
	s_cbranch_vccnz .LBB249_1473
; %bb.1471:
	v_cmp_lt_i16_e32 vcc_lo, 27, v15
	s_cbranch_vccz .LBB249_1474
; %bb.1472:
	global_load_b32 v9, v[7:8], off
	s_mov_b32 s0, 0
	s_waitcnt vmcnt(0)
	v_cvt_f64_u32_e32 v[9:10], v9
	s_branch .LBB249_1475
.LBB249_1473:
	s_mov_b32 s0, -1
                                        ; implicit-def: $vgpr9_vgpr10
	s_branch .LBB249_1478
.LBB249_1474:
	s_mov_b32 s0, -1
                                        ; implicit-def: $vgpr9_vgpr10
.LBB249_1475:
	s_delay_alu instid0(SALU_CYCLE_1)
	s_and_not1_b32 vcc_lo, exec_lo, s0
	s_cbranch_vccnz .LBB249_1477
; %bb.1476:
	global_load_u16 v9, v[7:8], off
	s_waitcnt vmcnt(0)
	v_cvt_f64_u32_e32 v[9:10], v9
.LBB249_1477:
	s_mov_b32 s0, 0
.LBB249_1478:
	s_delay_alu instid0(SALU_CYCLE_1)
	s_and_not1_b32 vcc_lo, exec_lo, s0
	s_cbranch_vccnz .LBB249_1488
; %bb.1479:
	global_load_u8 v13, v[7:8], off
	s_mov_b32 s12, 0
	s_mov_b32 s13, exec_lo
                                        ; implicit-def: $sgpr0_sgpr1
	s_waitcnt vmcnt(0)
	v_cmpx_lt_i16_e32 0x7f, v13
	s_xor_b32 s13, exec_lo, s13
	s_cbranch_execz .LBB249_1483
; %bb.1480:
	s_mov_b32 s14, -1
	s_mov_b32 s12, exec_lo
                                        ; implicit-def: $sgpr0_sgpr1
	v_cmpx_eq_u16_e32 0x80, v13
; %bb.1481:
	s_mov_b32 s1, 0x7ff80000
	s_brev_b32 s0, 4
	s_xor_b32 s14, exec_lo, -1
; %bb.1482:
	s_or_b32 exec_lo, exec_lo, s12
	s_delay_alu instid0(SALU_CYCLE_1)
	s_and_b32 s12, s14, exec_lo
.LBB249_1483:
	s_or_saveexec_b32 s13, s13
	v_dual_mov_b32 v10, s1 :: v_dual_mov_b32 v9, s0
	s_xor_b32 exec_lo, exec_lo, s13
; %bb.1484:
	v_cmp_ne_u16_e32 vcc_lo, 0, v13
	v_mov_b32_e32 v9, 0
	v_mov_b32_e32 v10, 0
	s_and_not1_b32 s0, s12, exec_lo
	s_and_b32 s1, vcc_lo, exec_lo
	s_delay_alu instid0(SALU_CYCLE_1)
	s_or_b32 s12, s0, s1
; %bb.1485:
	s_or_b32 exec_lo, exec_lo, s13
	s_and_saveexec_b32 s0, s12
	s_cbranch_execz .LBB249_1487
; %bb.1486:
	v_and_b32_e32 v9, 0xffff, v13
	v_lshlrev_b32_e32 v13, 24, v13
	s_delay_alu instid0(VALU_DEP_2) | instskip(NEXT) | instid1(VALU_DEP_2)
	v_and_b32_e32 v10, 7, v9
	v_and_b32_e32 v13, 0x80000000, v13
	s_delay_alu instid0(VALU_DEP_2) | instskip(NEXT) | instid1(VALU_DEP_1)
	v_clz_i32_u32_e32 v14, v10
	v_min_u32_e32 v14, 32, v14
	s_delay_alu instid0(VALU_DEP_1) | instskip(SKIP_1) | instid1(VALU_DEP_2)
	v_subrev_nc_u32_e32 v16, 28, v14
	v_sub_nc_u32_e32 v14, 29, v14
	v_lshlrev_b32_e32 v16, v16, v9
	v_bfe_u32 v9, v9, 3, 4
	s_delay_alu instid0(VALU_DEP_2) | instskip(NEXT) | instid1(VALU_DEP_2)
	v_and_b32_e32 v16, 7, v16
	v_cmp_eq_u32_e32 vcc_lo, 0, v9
	s_delay_alu instid0(VALU_DEP_2) | instskip(NEXT) | instid1(VALU_DEP_1)
	v_dual_cndmask_b32 v9, v9, v14 :: v_dual_cndmask_b32 v10, v10, v16
	v_lshl_add_u32 v9, v9, 23, 0x3b800000
	s_delay_alu instid0(VALU_DEP_2) | instskip(NEXT) | instid1(VALU_DEP_1)
	v_lshlrev_b32_e32 v10, 20, v10
	v_or3_b32 v9, v13, v9, v10
	s_delay_alu instid0(VALU_DEP_1)
	v_cvt_f64_f32_e32 v[9:10], v9
.LBB249_1487:
	s_or_b32 exec_lo, exec_lo, s0
.LBB249_1488:
	s_mov_b32 s0, -1
.LBB249_1489:
	s_mov_b32 s1, 0
.LBB249_1490:
	s_delay_alu instid0(SALU_CYCLE_1)
	s_and_b32 vcc_lo, exec_lo, s1
	s_cbranch_vccz .LBB249_1521
; %bb.1491:
	v_cmp_lt_i16_e32 vcc_lo, 22, v15
	s_cbranch_vccz .LBB249_1503
; %bb.1492:
	v_cmp_gt_i16_e32 vcc_lo, 24, v15
	s_cbranch_vccnz .LBB249_1504
; %bb.1493:
	v_cmp_lt_i16_e32 vcc_lo, 24, v15
	s_cbranch_vccz .LBB249_1505
; %bb.1494:
	global_load_u8 v13, v[7:8], off
	s_mov_b32 s12, exec_lo
                                        ; implicit-def: $sgpr0_sgpr1
	s_waitcnt vmcnt(0)
	v_cmpx_lt_i16_e32 0x7f, v13
	s_xor_b32 s12, exec_lo, s12
	s_cbranch_execz .LBB249_1498
; %bb.1495:
	s_mov_b32 s13, -1
	s_mov_b32 s11, exec_lo
                                        ; implicit-def: $sgpr0_sgpr1
	v_cmpx_eq_u16_e32 0x80, v13
; %bb.1496:
	s_mov_b32 s1, 0x7ff80000
	s_brev_b32 s0, 4
	s_xor_b32 s13, exec_lo, -1
; %bb.1497:
	s_or_b32 exec_lo, exec_lo, s11
	s_delay_alu instid0(SALU_CYCLE_1)
	s_and_b32 s11, s13, exec_lo
.LBB249_1498:
	s_or_saveexec_b32 s12, s12
	v_dual_mov_b32 v10, s1 :: v_dual_mov_b32 v9, s0
	s_xor_b32 exec_lo, exec_lo, s12
; %bb.1499:
	v_cmp_ne_u16_e32 vcc_lo, 0, v13
	v_mov_b32_e32 v9, 0
	v_mov_b32_e32 v10, 0
	s_and_not1_b32 s0, s11, exec_lo
	s_and_b32 s1, vcc_lo, exec_lo
	s_delay_alu instid0(SALU_CYCLE_1)
	s_or_b32 s11, s0, s1
; %bb.1500:
	s_or_b32 exec_lo, exec_lo, s12
	s_and_saveexec_b32 s0, s11
	s_cbranch_execz .LBB249_1502
; %bb.1501:
	v_and_b32_e32 v9, 0xffff, v13
	v_lshlrev_b32_e32 v13, 24, v13
	s_delay_alu instid0(VALU_DEP_2) | instskip(NEXT) | instid1(VALU_DEP_2)
	v_and_b32_e32 v10, 3, v9
	v_and_b32_e32 v13, 0x80000000, v13
	s_delay_alu instid0(VALU_DEP_2) | instskip(NEXT) | instid1(VALU_DEP_1)
	v_clz_i32_u32_e32 v14, v10
	v_min_u32_e32 v14, 32, v14
	s_delay_alu instid0(VALU_DEP_1) | instskip(SKIP_1) | instid1(VALU_DEP_2)
	v_subrev_nc_u32_e32 v16, 29, v14
	v_sub_nc_u32_e32 v14, 30, v14
	v_lshlrev_b32_e32 v16, v16, v9
	v_bfe_u32 v9, v9, 2, 5
	s_delay_alu instid0(VALU_DEP_2) | instskip(NEXT) | instid1(VALU_DEP_2)
	v_and_b32_e32 v16, 3, v16
	v_cmp_eq_u32_e32 vcc_lo, 0, v9
	s_delay_alu instid0(VALU_DEP_2) | instskip(NEXT) | instid1(VALU_DEP_1)
	v_dual_cndmask_b32 v9, v9, v14 :: v_dual_cndmask_b32 v10, v10, v16
	v_lshl_add_u32 v9, v9, 23, 0x37800000
	s_delay_alu instid0(VALU_DEP_2) | instskip(NEXT) | instid1(VALU_DEP_1)
	v_lshlrev_b32_e32 v10, 21, v10
	v_or3_b32 v9, v13, v9, v10
	s_delay_alu instid0(VALU_DEP_1)
	v_cvt_f64_f32_e32 v[9:10], v9
.LBB249_1502:
	s_or_b32 exec_lo, exec_lo, s0
	s_mov_b32 s0, 0
	s_branch .LBB249_1506
.LBB249_1503:
	s_mov_b32 s1, -1
                                        ; implicit-def: $vgpr9_vgpr10
	s_branch .LBB249_1512
.LBB249_1504:
	s_mov_b32 s0, -1
                                        ; implicit-def: $vgpr9_vgpr10
	s_branch .LBB249_1509
.LBB249_1505:
	s_mov_b32 s0, -1
                                        ; implicit-def: $vgpr9_vgpr10
.LBB249_1506:
	s_delay_alu instid0(SALU_CYCLE_1)
	s_and_b32 vcc_lo, exec_lo, s0
	s_cbranch_vccz .LBB249_1508
; %bb.1507:
	global_load_u8 v9, v[7:8], off
	s_waitcnt vmcnt(0)
	v_lshlrev_b32_e32 v9, 24, v9
	s_delay_alu instid0(VALU_DEP_1) | instskip(NEXT) | instid1(VALU_DEP_1)
	v_and_b32_e32 v10, 0x7f000000, v9
	v_clz_i32_u32_e32 v13, v10
	v_add_nc_u32_e32 v16, 0x1000000, v10
	v_cmp_ne_u32_e32 vcc_lo, 0, v10
	s_delay_alu instid0(VALU_DEP_3) | instskip(NEXT) | instid1(VALU_DEP_1)
	v_min_u32_e32 v13, 32, v13
	v_sub_nc_u32_e64 v13, v13, 4 clamp
	s_delay_alu instid0(VALU_DEP_1) | instskip(SKIP_1) | instid1(VALU_DEP_2)
	v_lshlrev_b32_e32 v14, v13, v10
	v_lshlrev_b32_e32 v13, 23, v13
	v_lshrrev_b32_e32 v14, 4, v14
	s_delay_alu instid0(VALU_DEP_1) | instskip(SKIP_1) | instid1(VALU_DEP_2)
	v_sub_nc_u32_e32 v13, v14, v13
	v_ashrrev_i32_e32 v14, 8, v16
	v_add_nc_u32_e32 v13, 0x3c000000, v13
	s_delay_alu instid0(VALU_DEP_1) | instskip(NEXT) | instid1(VALU_DEP_1)
	v_and_or_b32 v13, 0x7f800000, v14, v13
	v_cndmask_b32_e32 v10, 0, v13, vcc_lo
	s_delay_alu instid0(VALU_DEP_1) | instskip(NEXT) | instid1(VALU_DEP_1)
	v_and_or_b32 v9, 0x80000000, v9, v10
	v_cvt_f64_f32_e32 v[9:10], v9
.LBB249_1508:
	s_mov_b32 s0, 0
.LBB249_1509:
	s_delay_alu instid0(SALU_CYCLE_1)
	s_and_not1_b32 vcc_lo, exec_lo, s0
	s_cbranch_vccnz .LBB249_1511
; %bb.1510:
	global_load_u8 v9, v[7:8], off
	s_waitcnt vmcnt(0)
	v_lshlrev_b32_e32 v10, 25, v9
	v_lshlrev_b16 v9, 8, v9
	s_delay_alu instid0(VALU_DEP_2) | instskip(NEXT) | instid1(VALU_DEP_2)
	v_lshrrev_b32_e32 v13, 4, v10
	v_and_or_b32 v14, 0x7f00, v9, 0.5
	v_cmp_gt_u32_e32 vcc_lo, 0x8000000, v10
	v_bfe_i32 v9, v9, 0, 16
	s_delay_alu instid0(VALU_DEP_4) | instskip(NEXT) | instid1(VALU_DEP_1)
	v_or_b32_e32 v13, 0x70000000, v13
	v_dual_add_f32 v14, -0.5, v14 :: v_dual_mul_f32 v13, 0x7800000, v13
	s_delay_alu instid0(VALU_DEP_1) | instskip(NEXT) | instid1(VALU_DEP_1)
	v_cndmask_b32_e32 v10, v13, v14, vcc_lo
	v_and_or_b32 v9, 0x80000000, v9, v10
	s_delay_alu instid0(VALU_DEP_1)
	v_cvt_f64_f32_e32 v[9:10], v9
.LBB249_1511:
	s_mov_b32 s1, 0
	s_mov_b32 s0, -1
.LBB249_1512:
	s_and_not1_b32 vcc_lo, exec_lo, s1
	s_mov_b32 s11, 0
	s_cbranch_vccnz .LBB249_1521
; %bb.1513:
	v_cmp_lt_i16_e32 vcc_lo, 14, v15
	s_cbranch_vccz .LBB249_1516
; %bb.1514:
	v_cmp_eq_u16_e32 vcc_lo, 15, v15
	s_cbranch_vccz .LBB249_1517
; %bb.1515:
	global_load_u16 v9, v[7:8], off
	s_mov_b32 s10, 0
	s_mov_b32 s0, -1
	s_waitcnt vmcnt(0)
	v_lshlrev_b32_e32 v9, 16, v9
	s_delay_alu instid0(VALU_DEP_1)
	v_cvt_f64_f32_e32 v[9:10], v9
	s_branch .LBB249_1518
.LBB249_1516:
	s_mov_b32 s1, -1
                                        ; implicit-def: $vgpr9_vgpr10
	s_branch .LBB249_1519
.LBB249_1517:
	s_mov_b32 s10, -1
                                        ; implicit-def: $vgpr9_vgpr10
.LBB249_1518:
	s_mov_b32 s1, 0
.LBB249_1519:
	s_delay_alu instid0(SALU_CYCLE_1)
	s_and_b32 vcc_lo, exec_lo, s1
	s_cbranch_vccz .LBB249_1521
; %bb.1520:
	v_cmp_ne_u16_e64 s10, 11, v15
	s_mov_b32 s11, -1
                                        ; implicit-def: $vgpr9_vgpr10
.LBB249_1521:
	s_delay_alu instid0(VALU_DEP_1)
	s_and_b32 vcc_lo, exec_lo, s10
	s_cbranch_vccnz .LBB249_1537
; %bb.1522:
	s_and_not1_b32 vcc_lo, exec_lo, s11
	s_cbranch_vccnz .LBB249_1524
.LBB249_1523:
	global_load_u8 v9, v[7:8], off
	s_mov_b32 s0, -1
	s_waitcnt vmcnt(0)
	v_cmp_ne_u16_e32 vcc_lo, 0, v9
	v_mov_b32_e32 v9, 0
	v_cndmask_b32_e64 v10, 0, 0x3ff00000, vcc_lo
.LBB249_1524:
.LBB249_1525:
	s_and_not1_b32 vcc_lo, exec_lo, s0
	s_cbranch_vccnz .LBB249_2090
.LBB249_1526:
	v_cmp_gt_i16_e32 vcc_lo, 11, v15
	v_add_co_u32 v13, s0, s6, v3
	s_delay_alu instid0(VALU_DEP_1)
	v_add_co_ci_u32_e64 v14, null, s7, 0, s0
	s_mov_b32 s0, 0
	s_cbranch_vccnz .LBB249_1533
; %bb.1527:
	v_cmp_lt_i16_e32 vcc_lo, 25, v15
	s_mov_b32 s7, 0
	s_cbranch_vccz .LBB249_1534
; %bb.1528:
	v_cmp_lt_i16_e32 vcc_lo, 28, v15
	s_cbranch_vccz .LBB249_1535
; %bb.1529:
	v_cmp_lt_i16_e32 vcc_lo, 43, v15
	;; [unrolled: 3-line block ×3, first 2 shown]
	s_cbranch_vccz .LBB249_1539
; %bb.1531:
	v_cmp_eq_u16_e32 vcc_lo, 46, v15
	s_mov_b32 s1, 0
	s_cbranch_vccz .LBB249_1542
; %bb.1532:
	global_load_b32 v3, v[13:14], off
	s_mov_b32 s6, 0
	s_mov_b32 s0, -1
	s_waitcnt vmcnt(0)
	v_lshlrev_b32_e32 v3, 16, v3
	s_delay_alu instid0(VALU_DEP_1)
	v_cvt_f64_f32_e32 v[7:8], v3
	s_branch .LBB249_1544
.LBB249_1533:
	s_mov_b32 s1, -1
                                        ; implicit-def: $vgpr7_vgpr8
	s_branch .LBB249_1610
.LBB249_1534:
	s_mov_b32 s1, -1
	s_mov_b32 s6, 0
                                        ; implicit-def: $vgpr7_vgpr8
	s_branch .LBB249_1575
.LBB249_1535:
	s_mov_b32 s1, -1
	s_mov_b32 s6, 0
                                        ; implicit-def: $vgpr7_vgpr8
	s_branch .LBB249_1554
.LBB249_1536:
	s_mov_b32 s1, -1
	s_mov_b32 s6, 0
                                        ; implicit-def: $vgpr7_vgpr8
	s_branch .LBB249_1549
.LBB249_1537:
	s_cbranch_execnz .LBB249_1540
; %bb.1538:
	s_or_b32 s2, s2, exec_lo
                                        ; implicit-def: $vgpr9_vgpr10
	s_cbranch_execz .LBB249_1523
	s_branch .LBB249_1524
.LBB249_1539:
	s_mov_b32 s1, -1
	s_mov_b32 s6, 0
	s_branch .LBB249_1543
.LBB249_1540:
	s_trap 2
	s_sendmsg_rtn_b32 s0, sendmsg(MSG_RTN_GET_DOORBELL)
	s_mov_b32 ttmp2, m0
	s_waitcnt lgkmcnt(0)
	s_and_b32 s0, s0, 0x3ff
	s_delay_alu instid0(SALU_CYCLE_1) | instskip(NEXT) | instid1(SALU_CYCLE_1)
	s_bitset1_b32 s0, 10
	s_mov_b32 m0, s0
	s_sendmsg sendmsg(MSG_INTERRUPT)
	s_mov_b32 m0, ttmp2
.LBB249_1541:                           ; =>This Inner Loop Header: Depth=1
	s_sethalt 5
	s_branch .LBB249_1541
.LBB249_1542:
	s_mov_b32 s6, -1
.LBB249_1543:
                                        ; implicit-def: $vgpr7_vgpr8
.LBB249_1544:
	s_and_b32 vcc_lo, exec_lo, s1
	s_cbranch_vccz .LBB249_1548
; %bb.1545:
	v_cmp_eq_u16_e32 vcc_lo, 44, v15
	s_cbranch_vccz .LBB249_1547
; %bb.1546:
	global_load_u8 v3, v[13:14], off
	s_mov_b32 s6, 0
	s_mov_b32 s0, -1
	s_waitcnt vmcnt(0)
	v_cmp_ne_u32_e32 vcc_lo, 0xff, v3
	v_lshlrev_b32_e32 v7, 23, v3
	s_delay_alu instid0(VALU_DEP_1) | instskip(NEXT) | instid1(VALU_DEP_1)
	v_cvt_f64_f32_e32 v[7:8], v7
	v_cndmask_b32_e32 v8, 0x7ff80000, v8, vcc_lo
	s_delay_alu instid0(VALU_DEP_2) | instskip(SKIP_1) | instid1(VALU_DEP_3)
	v_cndmask_b32_e32 v7, 0x20000000, v7, vcc_lo
	v_cmp_ne_u32_e32 vcc_lo, 0, v3
	v_cndmask_b32_e32 v8, 0x38000000, v8, vcc_lo
	s_delay_alu instid0(VALU_DEP_3)
	v_cndmask_b32_e32 v7, 0, v7, vcc_lo
	s_branch .LBB249_1548
.LBB249_1547:
	s_mov_b32 s6, -1
                                        ; implicit-def: $vgpr7_vgpr8
.LBB249_1548:
	s_mov_b32 s1, 0
.LBB249_1549:
	s_delay_alu instid0(SALU_CYCLE_1)
	s_and_b32 vcc_lo, exec_lo, s1
	s_cbranch_vccz .LBB249_1553
; %bb.1550:
	v_cmp_eq_u16_e32 vcc_lo, 29, v15
	s_cbranch_vccz .LBB249_1552
; %bb.1551:
	global_load_b64 v[7:8], v[13:14], off
	s_mov_b32 s6, 0
	s_mov_b32 s0, -1
	s_mov_b32 s1, 0
	s_waitcnt vmcnt(0)
	v_cvt_f64_u32_e32 v[16:17], v8
	v_cvt_f64_u32_e32 v[7:8], v7
	s_delay_alu instid0(VALU_DEP_2) | instskip(NEXT) | instid1(VALU_DEP_1)
	v_ldexp_f64 v[16:17], v[16:17], 32
	v_add_f64 v[7:8], v[16:17], v[7:8]
	s_branch .LBB249_1554
.LBB249_1552:
	s_mov_b32 s6, -1
                                        ; implicit-def: $vgpr7_vgpr8
.LBB249_1553:
	s_mov_b32 s1, 0
.LBB249_1554:
	s_delay_alu instid0(SALU_CYCLE_1)
	s_and_b32 vcc_lo, exec_lo, s1
	s_cbranch_vccz .LBB249_1574
; %bb.1555:
	v_cmp_gt_i16_e32 vcc_lo, 27, v15
	s_cbranch_vccnz .LBB249_1558
; %bb.1556:
	v_cmp_lt_i16_e32 vcc_lo, 27, v15
	s_cbranch_vccz .LBB249_1559
; %bb.1557:
	global_load_b32 v3, v[13:14], off
	s_mov_b32 s0, 0
	s_waitcnt vmcnt(0)
	v_cvt_f64_u32_e32 v[7:8], v3
	s_branch .LBB249_1560
.LBB249_1558:
	s_mov_b32 s0, -1
                                        ; implicit-def: $vgpr7_vgpr8
	s_branch .LBB249_1563
.LBB249_1559:
	s_mov_b32 s0, -1
                                        ; implicit-def: $vgpr7_vgpr8
.LBB249_1560:
	s_delay_alu instid0(SALU_CYCLE_1)
	s_and_not1_b32 vcc_lo, exec_lo, s0
	s_cbranch_vccnz .LBB249_1562
; %bb.1561:
	global_load_u16 v3, v[13:14], off
	s_waitcnt vmcnt(0)
	v_cvt_f64_u32_e32 v[7:8], v3
.LBB249_1562:
	s_mov_b32 s0, 0
.LBB249_1563:
	s_delay_alu instid0(SALU_CYCLE_1)
	s_and_not1_b32 vcc_lo, exec_lo, s0
	s_cbranch_vccnz .LBB249_1573
; %bb.1564:
	global_load_u8 v3, v[13:14], off
	s_mov_b32 s10, 0
	s_mov_b32 s11, exec_lo
                                        ; implicit-def: $sgpr0_sgpr1
	s_waitcnt vmcnt(0)
	v_cmpx_lt_i16_e32 0x7f, v3
	s_xor_b32 s11, exec_lo, s11
	s_cbranch_execz .LBB249_1568
; %bb.1565:
	s_mov_b32 s12, -1
	s_mov_b32 s10, exec_lo
                                        ; implicit-def: $sgpr0_sgpr1
	v_cmpx_eq_u16_e32 0x80, v3
; %bb.1566:
	s_mov_b32 s1, 0x7ff80000
	s_brev_b32 s0, 4
	s_xor_b32 s12, exec_lo, -1
; %bb.1567:
	s_or_b32 exec_lo, exec_lo, s10
	s_delay_alu instid0(SALU_CYCLE_1)
	s_and_b32 s10, s12, exec_lo
.LBB249_1568:
	s_or_saveexec_b32 s11, s11
	v_dual_mov_b32 v8, s1 :: v_dual_mov_b32 v7, s0
	s_xor_b32 exec_lo, exec_lo, s11
; %bb.1569:
	v_cmp_ne_u16_e32 vcc_lo, 0, v3
	v_mov_b32_e32 v7, 0
	v_mov_b32_e32 v8, 0
	s_and_not1_b32 s0, s10, exec_lo
	s_and_b32 s1, vcc_lo, exec_lo
	s_delay_alu instid0(SALU_CYCLE_1)
	s_or_b32 s10, s0, s1
; %bb.1570:
	s_or_b32 exec_lo, exec_lo, s11
	s_and_saveexec_b32 s0, s10
	s_cbranch_execz .LBB249_1572
; %bb.1571:
	v_and_b32_e32 v7, 0xffff, v3
	v_lshlrev_b32_e32 v3, 24, v3
	s_delay_alu instid0(VALU_DEP_2) | instskip(NEXT) | instid1(VALU_DEP_2)
	v_and_b32_e32 v8, 7, v7
	v_and_b32_e32 v3, 0x80000000, v3
	s_delay_alu instid0(VALU_DEP_2) | instskip(NEXT) | instid1(VALU_DEP_1)
	v_clz_i32_u32_e32 v16, v8
	v_min_u32_e32 v16, 32, v16
	s_delay_alu instid0(VALU_DEP_1) | instskip(SKIP_1) | instid1(VALU_DEP_2)
	v_subrev_nc_u32_e32 v17, 28, v16
	v_sub_nc_u32_e32 v16, 29, v16
	v_lshlrev_b32_e32 v17, v17, v7
	v_bfe_u32 v7, v7, 3, 4
	s_delay_alu instid0(VALU_DEP_2) | instskip(NEXT) | instid1(VALU_DEP_2)
	v_and_b32_e32 v17, 7, v17
	v_cmp_eq_u32_e32 vcc_lo, 0, v7
	s_delay_alu instid0(VALU_DEP_2) | instskip(NEXT) | instid1(VALU_DEP_1)
	v_dual_cndmask_b32 v7, v7, v16 :: v_dual_cndmask_b32 v8, v8, v17
	v_lshl_add_u32 v7, v7, 23, 0x3b800000
	s_delay_alu instid0(VALU_DEP_2) | instskip(NEXT) | instid1(VALU_DEP_1)
	v_lshlrev_b32_e32 v8, 20, v8
	v_or3_b32 v3, v3, v7, v8
	s_delay_alu instid0(VALU_DEP_1)
	v_cvt_f64_f32_e32 v[7:8], v3
.LBB249_1572:
	s_or_b32 exec_lo, exec_lo, s0
.LBB249_1573:
	s_mov_b32 s0, -1
.LBB249_1574:
	s_mov_b32 s1, 0
.LBB249_1575:
	s_delay_alu instid0(SALU_CYCLE_1)
	s_and_b32 vcc_lo, exec_lo, s1
	s_cbranch_vccz .LBB249_1606
; %bb.1576:
	v_cmp_lt_i16_e32 vcc_lo, 22, v15
	s_cbranch_vccz .LBB249_1588
; %bb.1577:
	v_cmp_gt_i16_e32 vcc_lo, 24, v15
	s_cbranch_vccnz .LBB249_1589
; %bb.1578:
	v_cmp_lt_i16_e32 vcc_lo, 24, v15
	s_cbranch_vccz .LBB249_1590
; %bb.1579:
	global_load_u8 v3, v[13:14], off
	s_mov_b32 s10, exec_lo
                                        ; implicit-def: $sgpr0_sgpr1
	s_waitcnt vmcnt(0)
	v_cmpx_lt_i16_e32 0x7f, v3
	s_xor_b32 s10, exec_lo, s10
	s_cbranch_execz .LBB249_1583
; %bb.1580:
	s_mov_b32 s11, -1
	s_mov_b32 s7, exec_lo
                                        ; implicit-def: $sgpr0_sgpr1
	v_cmpx_eq_u16_e32 0x80, v3
; %bb.1581:
	s_mov_b32 s1, 0x7ff80000
	s_brev_b32 s0, 4
	s_xor_b32 s11, exec_lo, -1
; %bb.1582:
	s_or_b32 exec_lo, exec_lo, s7
	s_delay_alu instid0(SALU_CYCLE_1)
	s_and_b32 s7, s11, exec_lo
.LBB249_1583:
	s_or_saveexec_b32 s10, s10
	v_dual_mov_b32 v8, s1 :: v_dual_mov_b32 v7, s0
	s_xor_b32 exec_lo, exec_lo, s10
; %bb.1584:
	v_cmp_ne_u16_e32 vcc_lo, 0, v3
	v_mov_b32_e32 v7, 0
	v_mov_b32_e32 v8, 0
	s_and_not1_b32 s0, s7, exec_lo
	s_and_b32 s1, vcc_lo, exec_lo
	s_delay_alu instid0(SALU_CYCLE_1)
	s_or_b32 s7, s0, s1
; %bb.1585:
	s_or_b32 exec_lo, exec_lo, s10
	s_and_saveexec_b32 s0, s7
	s_cbranch_execz .LBB249_1587
; %bb.1586:
	v_and_b32_e32 v7, 0xffff, v3
	v_lshlrev_b32_e32 v3, 24, v3
	s_delay_alu instid0(VALU_DEP_2) | instskip(NEXT) | instid1(VALU_DEP_2)
	v_and_b32_e32 v8, 3, v7
	v_and_b32_e32 v3, 0x80000000, v3
	s_delay_alu instid0(VALU_DEP_2) | instskip(NEXT) | instid1(VALU_DEP_1)
	v_clz_i32_u32_e32 v16, v8
	v_min_u32_e32 v16, 32, v16
	s_delay_alu instid0(VALU_DEP_1) | instskip(SKIP_1) | instid1(VALU_DEP_2)
	v_subrev_nc_u32_e32 v17, 29, v16
	v_sub_nc_u32_e32 v16, 30, v16
	v_lshlrev_b32_e32 v17, v17, v7
	v_bfe_u32 v7, v7, 2, 5
	s_delay_alu instid0(VALU_DEP_2) | instskip(NEXT) | instid1(VALU_DEP_2)
	v_and_b32_e32 v17, 3, v17
	v_cmp_eq_u32_e32 vcc_lo, 0, v7
	s_delay_alu instid0(VALU_DEP_2) | instskip(NEXT) | instid1(VALU_DEP_1)
	v_dual_cndmask_b32 v7, v7, v16 :: v_dual_cndmask_b32 v8, v8, v17
	v_lshl_add_u32 v7, v7, 23, 0x37800000
	s_delay_alu instid0(VALU_DEP_2) | instskip(NEXT) | instid1(VALU_DEP_1)
	v_lshlrev_b32_e32 v8, 21, v8
	v_or3_b32 v3, v3, v7, v8
	s_delay_alu instid0(VALU_DEP_1)
	v_cvt_f64_f32_e32 v[7:8], v3
.LBB249_1587:
	s_or_b32 exec_lo, exec_lo, s0
	s_mov_b32 s0, 0
	s_branch .LBB249_1591
.LBB249_1588:
	s_mov_b32 s1, -1
                                        ; implicit-def: $vgpr7_vgpr8
	s_branch .LBB249_1597
.LBB249_1589:
	s_mov_b32 s0, -1
                                        ; implicit-def: $vgpr7_vgpr8
	s_branch .LBB249_1594
.LBB249_1590:
	s_mov_b32 s0, -1
                                        ; implicit-def: $vgpr7_vgpr8
.LBB249_1591:
	s_delay_alu instid0(SALU_CYCLE_1)
	s_and_b32 vcc_lo, exec_lo, s0
	s_cbranch_vccz .LBB249_1593
; %bb.1592:
	global_load_u8 v3, v[13:14], off
	s_waitcnt vmcnt(0)
	v_lshlrev_b32_e32 v3, 24, v3
	s_delay_alu instid0(VALU_DEP_1) | instskip(NEXT) | instid1(VALU_DEP_1)
	v_and_b32_e32 v7, 0x7f000000, v3
	v_clz_i32_u32_e32 v8, v7
	v_cmp_ne_u32_e32 vcc_lo, 0, v7
	v_add_nc_u32_e32 v17, 0x1000000, v7
	s_delay_alu instid0(VALU_DEP_3) | instskip(NEXT) | instid1(VALU_DEP_1)
	v_min_u32_e32 v8, 32, v8
	v_sub_nc_u32_e64 v8, v8, 4 clamp
	s_delay_alu instid0(VALU_DEP_1) | instskip(SKIP_1) | instid1(VALU_DEP_2)
	v_lshlrev_b32_e32 v16, v8, v7
	v_lshlrev_b32_e32 v8, 23, v8
	v_lshrrev_b32_e32 v16, 4, v16
	s_delay_alu instid0(VALU_DEP_1) | instskip(SKIP_1) | instid1(VALU_DEP_2)
	v_sub_nc_u32_e32 v8, v16, v8
	v_ashrrev_i32_e32 v16, 8, v17
	v_add_nc_u32_e32 v8, 0x3c000000, v8
	s_delay_alu instid0(VALU_DEP_1) | instskip(NEXT) | instid1(VALU_DEP_1)
	v_and_or_b32 v8, 0x7f800000, v16, v8
	v_cndmask_b32_e32 v7, 0, v8, vcc_lo
	s_delay_alu instid0(VALU_DEP_1) | instskip(NEXT) | instid1(VALU_DEP_1)
	v_and_or_b32 v3, 0x80000000, v3, v7
	v_cvt_f64_f32_e32 v[7:8], v3
.LBB249_1593:
	s_mov_b32 s0, 0
.LBB249_1594:
	s_delay_alu instid0(SALU_CYCLE_1)
	s_and_not1_b32 vcc_lo, exec_lo, s0
	s_cbranch_vccnz .LBB249_1596
; %bb.1595:
	global_load_u8 v3, v[13:14], off
	s_waitcnt vmcnt(0)
	v_lshlrev_b32_e32 v7, 25, v3
	v_lshlrev_b16 v3, 8, v3
	s_delay_alu instid0(VALU_DEP_1) | instskip(SKIP_1) | instid1(VALU_DEP_2)
	v_and_or_b32 v16, 0x7f00, v3, 0.5
	v_bfe_i32 v3, v3, 0, 16
	v_add_f32_e32 v16, -0.5, v16
	v_lshrrev_b32_e32 v8, 4, v7
	v_cmp_gt_u32_e32 vcc_lo, 0x8000000, v7
	s_delay_alu instid0(VALU_DEP_2) | instskip(NEXT) | instid1(VALU_DEP_1)
	v_or_b32_e32 v8, 0x70000000, v8
	v_mul_f32_e32 v8, 0x7800000, v8
	s_delay_alu instid0(VALU_DEP_1) | instskip(NEXT) | instid1(VALU_DEP_1)
	v_cndmask_b32_e32 v7, v8, v16, vcc_lo
	v_and_or_b32 v3, 0x80000000, v3, v7
	s_delay_alu instid0(VALU_DEP_1)
	v_cvt_f64_f32_e32 v[7:8], v3
.LBB249_1596:
	s_mov_b32 s1, 0
	s_mov_b32 s0, -1
.LBB249_1597:
	s_and_not1_b32 vcc_lo, exec_lo, s1
	s_mov_b32 s7, 0
	s_cbranch_vccnz .LBB249_1606
; %bb.1598:
	v_cmp_lt_i16_e32 vcc_lo, 14, v15
	s_cbranch_vccz .LBB249_1601
; %bb.1599:
	v_cmp_eq_u16_e32 vcc_lo, 15, v15
	s_cbranch_vccz .LBB249_1602
; %bb.1600:
	global_load_u16 v3, v[13:14], off
	s_mov_b32 s6, 0
	s_mov_b32 s0, -1
	s_waitcnt vmcnt(0)
	v_lshlrev_b32_e32 v3, 16, v3
	s_delay_alu instid0(VALU_DEP_1)
	v_cvt_f64_f32_e32 v[7:8], v3
	s_branch .LBB249_1603
.LBB249_1601:
	s_mov_b32 s1, -1
                                        ; implicit-def: $vgpr7_vgpr8
	s_branch .LBB249_1604
.LBB249_1602:
	s_mov_b32 s6, -1
                                        ; implicit-def: $vgpr7_vgpr8
.LBB249_1603:
	s_mov_b32 s1, 0
.LBB249_1604:
	s_delay_alu instid0(SALU_CYCLE_1)
	s_and_b32 vcc_lo, exec_lo, s1
	s_cbranch_vccz .LBB249_1606
; %bb.1605:
	v_cmp_ne_u16_e64 s6, 11, v15
	s_mov_b32 s7, -1
                                        ; implicit-def: $vgpr7_vgpr8
.LBB249_1606:
	s_delay_alu instid0(VALU_DEP_1)
	s_and_b32 vcc_lo, exec_lo, s6
	s_cbranch_vccnz .LBB249_2135
; %bb.1607:
	s_and_not1_b32 vcc_lo, exec_lo, s7
	s_cbranch_vccnz .LBB249_1609
.LBB249_1608:
	global_load_u8 v3, v[13:14], off
	v_mov_b32_e32 v7, 0
	s_mov_b32 s0, -1
	s_waitcnt vmcnt(0)
	v_cmp_ne_u16_e32 vcc_lo, 0, v3
	v_cndmask_b32_e64 v8, 0, 0x3ff00000, vcc_lo
.LBB249_1609:
	s_mov_b32 s1, 0
.LBB249_1610:
	s_delay_alu instid0(SALU_CYCLE_1)
	s_and_b32 vcc_lo, exec_lo, s1
	s_cbranch_vccz .LBB249_1659
; %bb.1611:
	v_cmp_gt_i16_e32 vcc_lo, 5, v15
	s_cbranch_vccnz .LBB249_1616
; %bb.1612:
	v_cmp_gt_i16_e32 vcc_lo, 8, v15
	s_cbranch_vccnz .LBB249_1617
	;; [unrolled: 3-line block ×3, first 2 shown]
; %bb.1614:
	v_cmp_lt_i16_e32 vcc_lo, 9, v15
	s_cbranch_vccz .LBB249_1619
; %bb.1615:
	global_load_b64 v[7:8], v[13:14], off
	s_mov_b32 s0, 0
	s_branch .LBB249_1620
.LBB249_1616:
	s_mov_b32 s0, -1
                                        ; implicit-def: $vgpr7_vgpr8
	s_branch .LBB249_1638
.LBB249_1617:
	s_mov_b32 s0, -1
                                        ; implicit-def: $vgpr7_vgpr8
	s_branch .LBB249_1626
.LBB249_1618:
	s_mov_b32 s0, -1
                                        ; implicit-def: $vgpr7_vgpr8
	s_branch .LBB249_1623
.LBB249_1619:
	s_mov_b32 s0, -1
                                        ; implicit-def: $vgpr7_vgpr8
.LBB249_1620:
	s_delay_alu instid0(SALU_CYCLE_1)
	s_and_not1_b32 vcc_lo, exec_lo, s0
	s_cbranch_vccnz .LBB249_1622
; %bb.1621:
	global_load_b32 v3, v[13:14], off
	s_waitcnt vmcnt(0)
	v_cvt_f64_f32_e32 v[7:8], v3
.LBB249_1622:
	s_mov_b32 s0, 0
.LBB249_1623:
	s_delay_alu instid0(SALU_CYCLE_1)
	s_and_not1_b32 vcc_lo, exec_lo, s0
	s_cbranch_vccnz .LBB249_1625
; %bb.1624:
	global_load_b32 v3, v[13:14], off
	s_waitcnt vmcnt(0)
	v_cvt_f32_f16_e32 v3, v3
	s_delay_alu instid0(VALU_DEP_1)
	v_cvt_f64_f32_e32 v[7:8], v3
.LBB249_1625:
	s_mov_b32 s0, 0
.LBB249_1626:
	s_delay_alu instid0(SALU_CYCLE_1)
	s_and_not1_b32 vcc_lo, exec_lo, s0
	s_cbranch_vccnz .LBB249_1637
; %bb.1627:
	v_cmp_gt_i16_e32 vcc_lo, 6, v15
	s_cbranch_vccnz .LBB249_1630
; %bb.1628:
	v_cmp_lt_i16_e32 vcc_lo, 6, v15
	s_cbranch_vccz .LBB249_1631
; %bb.1629:
	global_load_b64 v[7:8], v[13:14], off
	s_mov_b32 s0, 0
	s_branch .LBB249_1632
.LBB249_1630:
	s_mov_b32 s0, -1
                                        ; implicit-def: $vgpr7_vgpr8
	s_branch .LBB249_1635
.LBB249_1631:
	s_mov_b32 s0, -1
                                        ; implicit-def: $vgpr7_vgpr8
.LBB249_1632:
	s_delay_alu instid0(SALU_CYCLE_1)
	s_and_not1_b32 vcc_lo, exec_lo, s0
	s_cbranch_vccnz .LBB249_1634
; %bb.1633:
	global_load_b32 v3, v[13:14], off
	s_waitcnt vmcnt(0)
	v_cvt_f64_f32_e32 v[7:8], v3
.LBB249_1634:
	s_mov_b32 s0, 0
.LBB249_1635:
	s_delay_alu instid0(SALU_CYCLE_1)
	s_and_not1_b32 vcc_lo, exec_lo, s0
	s_cbranch_vccnz .LBB249_1637
; %bb.1636:
	global_load_u16 v3, v[13:14], off
	s_waitcnt vmcnt(0)
	v_cvt_f32_f16_e32 v3, v3
	s_delay_alu instid0(VALU_DEP_1)
	v_cvt_f64_f32_e32 v[7:8], v3
.LBB249_1637:
	s_mov_b32 s0, 0
.LBB249_1638:
	s_delay_alu instid0(SALU_CYCLE_1)
	s_and_not1_b32 vcc_lo, exec_lo, s0
	s_cbranch_vccnz .LBB249_1658
; %bb.1639:
	v_cmp_gt_i16_e32 vcc_lo, 2, v15
	s_cbranch_vccnz .LBB249_1643
; %bb.1640:
	v_cmp_gt_i16_e32 vcc_lo, 3, v15
	s_cbranch_vccnz .LBB249_1644
; %bb.1641:
	v_cmp_lt_i16_e32 vcc_lo, 3, v15
	s_cbranch_vccz .LBB249_1645
; %bb.1642:
	global_load_b64 v[7:8], v[13:14], off
	s_mov_b32 s0, 0
	s_waitcnt vmcnt(0)
	v_cvt_f64_i32_e32 v[16:17], v8
	v_cvt_f64_u32_e32 v[7:8], v7
	s_delay_alu instid0(VALU_DEP_2) | instskip(NEXT) | instid1(VALU_DEP_1)
	v_ldexp_f64 v[16:17], v[16:17], 32
	v_add_f64 v[7:8], v[16:17], v[7:8]
	s_branch .LBB249_1646
.LBB249_1643:
	s_mov_b32 s0, -1
                                        ; implicit-def: $vgpr7_vgpr8
	s_branch .LBB249_1652
.LBB249_1644:
	s_mov_b32 s0, -1
                                        ; implicit-def: $vgpr7_vgpr8
	s_branch .LBB249_1649
.LBB249_1645:
	s_mov_b32 s0, -1
                                        ; implicit-def: $vgpr7_vgpr8
.LBB249_1646:
	s_delay_alu instid0(SALU_CYCLE_1)
	s_and_not1_b32 vcc_lo, exec_lo, s0
	s_cbranch_vccnz .LBB249_1648
; %bb.1647:
	global_load_b32 v3, v[13:14], off
	s_waitcnt vmcnt(0)
	v_cvt_f64_i32_e32 v[7:8], v3
.LBB249_1648:
	s_mov_b32 s0, 0
.LBB249_1649:
	s_delay_alu instid0(SALU_CYCLE_1)
	s_and_not1_b32 vcc_lo, exec_lo, s0
	s_cbranch_vccnz .LBB249_1651
; %bb.1650:
	global_load_i16 v3, v[13:14], off
	s_waitcnt vmcnt(0)
	v_cvt_f64_i32_e32 v[7:8], v3
.LBB249_1651:
	s_mov_b32 s0, 0
.LBB249_1652:
	s_delay_alu instid0(SALU_CYCLE_1)
	s_and_not1_b32 vcc_lo, exec_lo, s0
	s_cbranch_vccnz .LBB249_1658
; %bb.1653:
	v_cmp_lt_i16_e32 vcc_lo, 0, v15
	s_mov_b32 s0, 0
	s_cbranch_vccz .LBB249_1655
; %bb.1654:
	global_load_i8 v3, v[13:14], off
	s_waitcnt vmcnt(0)
	v_cvt_f64_i32_e32 v[7:8], v3
	s_branch .LBB249_1656
.LBB249_1655:
	s_mov_b32 s0, -1
                                        ; implicit-def: $vgpr7_vgpr8
.LBB249_1656:
	s_delay_alu instid0(SALU_CYCLE_1)
	s_and_not1_b32 vcc_lo, exec_lo, s0
	s_cbranch_vccnz .LBB249_1658
; %bb.1657:
	global_load_u8 v3, v[13:14], off
	s_waitcnt vmcnt(0)
	v_cvt_f64_u32_e32 v[7:8], v3
.LBB249_1658:
	s_mov_b32 s0, -1
.LBB249_1659:
	s_delay_alu instid0(SALU_CYCLE_1)
	s_and_not1_b32 vcc_lo, exec_lo, s0
	s_cbranch_vccnz .LBB249_2090
; %bb.1660:
	s_waitcnt vmcnt(0)
	v_cmp_gt_f64_e32 vcc_lo, 0x10000000, v[1:2]
	s_lshr_b32 s0, s3, 8
	s_mov_b32 s3, 0
	v_cndmask_b32_e64 v3, 0, 1, vcc_lo
	s_delay_alu instid0(VALU_DEP_1) | instskip(NEXT) | instid1(VALU_DEP_1)
	v_lshlrev_b32_e32 v3, 8, v3
	v_ldexp_f64 v[2:3], v[1:2], v3
	v_cndmask_b32_e64 v1, 0, 0xffffff80, vcc_lo
	s_delay_alu instid0(VALU_DEP_2) | instskip(SKIP_4) | instid1(VALU_DEP_1)
	v_rsq_f64_e32 v[13:14], v[2:3]
	v_cmp_class_f64_e64 vcc_lo, v[2:3], 0x260
	s_waitcnt_depctr 0xfff
	v_mul_f64 v[15:16], v[2:3], v[13:14]
	v_mul_f64 v[13:14], v[13:14], 0.5
	v_fma_f64 v[17:18], -v[13:14], v[15:16], 0.5
	s_delay_alu instid0(VALU_DEP_1) | instskip(SKIP_1) | instid1(VALU_DEP_2)
	v_fma_f64 v[15:16], v[15:16], v[17:18], v[15:16]
	v_fma_f64 v[13:14], v[13:14], v[17:18], v[13:14]
	v_fma_f64 v[17:18], -v[15:16], v[15:16], v[2:3]
	s_delay_alu instid0(VALU_DEP_1) | instskip(NEXT) | instid1(VALU_DEP_1)
	v_fma_f64 v[15:16], v[17:18], v[13:14], v[15:16]
	v_fma_f64 v[17:18], -v[15:16], v[15:16], v[2:3]
	s_delay_alu instid0(VALU_DEP_1) | instskip(SKIP_1) | instid1(VALU_DEP_1)
	v_fma_f64 v[13:14], v[17:18], v[13:14], v[15:16]
	v_and_b32_e64 v15, 0xff, s0
	v_cmp_gt_i16_e64 s0, 11, v15
	s_delay_alu instid0(VALU_DEP_3) | instskip(SKIP_1) | instid1(VALU_DEP_1)
	v_ldexp_f64 v[16:17], v[13:14], v1
	v_add_co_u32 v13, s1, s4, v0
	v_add_co_ci_u32_e64 v14, null, s5, 0, s1
	s_delay_alu instid0(VALU_DEP_3)
	v_dual_cndmask_b32 v0, v16, v2 :: v_dual_cndmask_b32 v1, v17, v3
	s_and_b32 vcc_lo, exec_lo, s0
	s_mov_b32 s0, -1
	s_cbranch_vccnz .LBB249_1738
; %bb.1661:
	v_cmp_lt_i16_e32 vcc_lo, 25, v15
	s_mov_b32 s6, -1
	s_mov_b32 s1, 0
	s_mov_b32 s0, 0
	s_cbranch_vccz .LBB249_1694
; %bb.1662:
	v_cmp_lt_i16_e32 vcc_lo, 28, v15
	s_cbranch_vccz .LBB249_1677
; %bb.1663:
	v_cmp_lt_i16_e32 vcc_lo, 43, v15
	;; [unrolled: 3-line block ×3, first 2 shown]
	s_cbranch_vccz .LBB249_1667
; %bb.1665:
	v_cmp_eq_u16_e32 vcc_lo, 46, v15
	s_mov_b32 s0, -1
	s_mov_b32 s6, 0
	s_cbranch_vccz .LBB249_1667
; %bb.1666:
	v_cvt_f32_f64_e32 v2, v[0:1]
	s_mov_b32 s0, 0
	s_mov_b32 s3, -1
	s_delay_alu instid0(VALU_DEP_1) | instskip(SKIP_1) | instid1(VALU_DEP_2)
	v_bfe_u32 v3, v2, 16, 1
	v_cmp_o_f32_e32 vcc_lo, v2, v2
	v_add3_u32 v3, v2, v3, 0x7fff
	s_delay_alu instid0(VALU_DEP_1) | instskip(NEXT) | instid1(VALU_DEP_1)
	v_lshrrev_b32_e32 v3, 16, v3
	v_cndmask_b32_e32 v2, 0x7fc0, v3, vcc_lo
	global_store_b32 v[13:14], v2, off
.LBB249_1667:
	s_and_b32 vcc_lo, exec_lo, s6
	s_cbranch_vccz .LBB249_1672
; %bb.1668:
	v_cmp_eq_u16_e32 vcc_lo, 44, v15
	s_mov_b32 s0, -1
	s_cbranch_vccz .LBB249_1672
; %bb.1669:
	v_cvt_f32_f64_e32 v2, v[0:1]
	v_mov_b32_e32 v3, 0xff
	s_mov_b32 s3, exec_lo
	s_delay_alu instid0(VALU_DEP_2) | instskip(NEXT) | instid1(VALU_DEP_1)
	v_bfe_u32 v16, v2, 23, 8
	v_cmpx_ne_u32_e32 0xff, v16
; %bb.1670:
	v_and_b32_e32 v3, 0x400000, v2
	v_and_or_b32 v16, 0x3fffff, v2, v16
	v_lshrrev_b32_e32 v2, 23, v2
	s_delay_alu instid0(VALU_DEP_3) | instskip(NEXT) | instid1(VALU_DEP_3)
	v_cmp_ne_u32_e32 vcc_lo, 0, v3
	v_cmp_ne_u32_e64 s0, 0, v16
	s_delay_alu instid0(VALU_DEP_1) | instskip(NEXT) | instid1(SALU_CYCLE_1)
	s_and_b32 s0, vcc_lo, s0
	v_cndmask_b32_e64 v3, 0, 1, s0
	s_delay_alu instid0(VALU_DEP_1)
	v_add_nc_u32_e32 v3, v2, v3
; %bb.1671:
	s_or_b32 exec_lo, exec_lo, s3
	s_mov_b32 s0, 0
	s_mov_b32 s3, -1
	global_store_b8 v[13:14], v3, off
.LBB249_1672:
	s_mov_b32 s6, 0
.LBB249_1673:
	s_delay_alu instid0(SALU_CYCLE_1)
	s_and_b32 vcc_lo, exec_lo, s6
	s_cbranch_vccz .LBB249_1676
; %bb.1674:
	v_cmp_eq_u16_e32 vcc_lo, 29, v15
	s_mov_b32 s0, -1
	s_cbranch_vccz .LBB249_1676
; %bb.1675:
	v_trunc_f64_e32 v[2:3], v[0:1]
	s_mov_b32 s0, 0
	s_mov_b32 s3, -1
	s_delay_alu instid0(VALU_DEP_1) | instskip(NEXT) | instid1(VALU_DEP_1)
	v_ldexp_f64 v[16:17], v[2:3], 0xffffffe0
	v_floor_f64_e32 v[16:17], v[16:17]
	s_delay_alu instid0(VALU_DEP_1) | instskip(SKIP_1) | instid1(VALU_DEP_2)
	v_fma_f64 v[2:3], 0xc1f00000, v[16:17], v[2:3]
	v_cvt_u32_f64_e32 v17, v[16:17]
	v_cvt_u32_f64_e32 v16, v[2:3]
	global_store_b64 v[13:14], v[16:17], off
.LBB249_1676:
	s_mov_b32 s6, 0
.LBB249_1677:
	s_delay_alu instid0(SALU_CYCLE_1)
	s_and_b32 vcc_lo, exec_lo, s6
	s_cbranch_vccz .LBB249_1693
; %bb.1678:
	v_cmp_gt_i16_e32 vcc_lo, 27, v15
	s_mov_b32 s3, -1
	s_cbranch_vccnz .LBB249_1684
; %bb.1679:
	v_cvt_u32_f64_e32 v2, v[0:1]
	v_cmp_lt_i16_e32 vcc_lo, 27, v15
	s_cbranch_vccz .LBB249_1681
; %bb.1680:
	s_mov_b32 s3, 0
	global_store_b32 v[13:14], v2, off
.LBB249_1681:
	s_and_not1_b32 vcc_lo, exec_lo, s3
	s_cbranch_vccnz .LBB249_1683
; %bb.1682:
	global_store_b16 v[13:14], v2, off
.LBB249_1683:
	s_mov_b32 s3, 0
.LBB249_1684:
	s_delay_alu instid0(SALU_CYCLE_1)
	s_and_not1_b32 vcc_lo, exec_lo, s3
	s_cbranch_vccnz .LBB249_1692
; %bb.1685:
	v_cvt_f32_f64_e32 v2, v[0:1]
	v_mov_b32_e32 v16, 0x80
	s_mov_b32 s3, exec_lo
	s_delay_alu instid0(VALU_DEP_2) | instskip(NEXT) | instid1(VALU_DEP_1)
	v_and_b32_e32 v3, 0x7fffffff, v2
	v_cmpx_gt_u32_e32 0x43800000, v3
	s_cbranch_execz .LBB249_1691
; %bb.1686:
	v_cmp_lt_u32_e32 vcc_lo, 0x3bffffff, v3
	s_mov_b32 s6, 0
                                        ; implicit-def: $vgpr3
	s_and_saveexec_b32 s7, vcc_lo
	s_delay_alu instid0(SALU_CYCLE_1)
	s_xor_b32 s7, exec_lo, s7
	s_cbranch_execz .LBB249_2137
; %bb.1687:
	v_bfe_u32 v3, v2, 20, 1
	s_mov_b32 s6, exec_lo
	s_delay_alu instid0(VALU_DEP_1) | instskip(NEXT) | instid1(VALU_DEP_1)
	v_add3_u32 v3, v2, v3, 0x487ffff
	v_lshrrev_b32_e32 v3, 20, v3
	s_or_saveexec_b32 s7, s7
                                        ; implicit-def: $sgpr10
	s_delay_alu instid0(SALU_CYCLE_1)
	s_xor_b32 exec_lo, exec_lo, s7
	s_cbranch_execnz .LBB249_2138
.LBB249_1688:
	s_or_b32 exec_lo, exec_lo, s7
	v_mov_b32_e32 v16, s10
	s_and_saveexec_b32 s7, s6
.LBB249_1689:
	v_lshrrev_b32_e32 v2, 24, v2
	s_delay_alu instid0(VALU_DEP_1)
	v_and_or_b32 v16, 0x80, v2, v3
.LBB249_1690:
	s_or_b32 exec_lo, exec_lo, s7
.LBB249_1691:
	s_delay_alu instid0(SALU_CYCLE_1)
	s_or_b32 exec_lo, exec_lo, s3
	global_store_b8 v[13:14], v16, off
.LBB249_1692:
	s_mov_b32 s3, -1
.LBB249_1693:
	s_mov_b32 s6, 0
.LBB249_1694:
	s_delay_alu instid0(SALU_CYCLE_1)
	s_and_b32 vcc_lo, exec_lo, s6
	s_cbranch_vccz .LBB249_1734
; %bb.1695:
	v_cmp_lt_i16_e32 vcc_lo, 22, v15
	s_mov_b32 s1, -1
	s_cbranch_vccz .LBB249_1727
; %bb.1696:
	v_cmp_gt_i16_e32 vcc_lo, 24, v15
	s_cbranch_vccnz .LBB249_1716
; %bb.1697:
	v_cmp_lt_i16_e32 vcc_lo, 24, v15
	s_cbranch_vccz .LBB249_1705
; %bb.1698:
	v_cvt_f32_f64_e32 v2, v[0:1]
	v_mov_b32_e32 v16, 0x80
	s_mov_b32 s1, exec_lo
	s_delay_alu instid0(VALU_DEP_2) | instskip(NEXT) | instid1(VALU_DEP_1)
	v_and_b32_e32 v3, 0x7fffffff, v2
	v_cmpx_gt_u32_e32 0x47800000, v3
	s_cbranch_execz .LBB249_1704
; %bb.1699:
	v_cmp_lt_u32_e32 vcc_lo, 0x37ffffff, v3
	s_mov_b32 s3, 0
                                        ; implicit-def: $vgpr3
	s_and_saveexec_b32 s6, vcc_lo
	s_delay_alu instid0(SALU_CYCLE_1)
	s_xor_b32 s6, exec_lo, s6
	s_cbranch_execz .LBB249_2143
; %bb.1700:
	v_bfe_u32 v3, v2, 21, 1
	s_mov_b32 s3, exec_lo
	s_delay_alu instid0(VALU_DEP_1) | instskip(NEXT) | instid1(VALU_DEP_1)
	v_add3_u32 v3, v2, v3, 0x88fffff
	v_lshrrev_b32_e32 v3, 21, v3
	s_or_saveexec_b32 s6, s6
                                        ; implicit-def: $sgpr7
	s_delay_alu instid0(SALU_CYCLE_1)
	s_xor_b32 exec_lo, exec_lo, s6
	s_cbranch_execnz .LBB249_2144
.LBB249_1701:
	s_or_b32 exec_lo, exec_lo, s6
	v_mov_b32_e32 v16, s7
	s_and_saveexec_b32 s6, s3
.LBB249_1702:
	v_lshrrev_b32_e32 v2, 24, v2
	s_delay_alu instid0(VALU_DEP_1)
	v_and_or_b32 v16, 0x80, v2, v3
.LBB249_1703:
	s_or_b32 exec_lo, exec_lo, s6
.LBB249_1704:
	s_delay_alu instid0(SALU_CYCLE_1)
	s_or_b32 exec_lo, exec_lo, s1
	s_mov_b32 s1, 0
	global_store_b8 v[13:14], v16, off
.LBB249_1705:
	s_and_b32 vcc_lo, exec_lo, s1
	s_cbranch_vccz .LBB249_1715
; %bb.1706:
	v_cvt_f32_f64_e32 v2, v[0:1]
	s_mov_b32 s1, exec_lo
                                        ; implicit-def: $vgpr3
	s_delay_alu instid0(VALU_DEP_1) | instskip(NEXT) | instid1(VALU_DEP_1)
	v_and_b32_e32 v16, 0x7fffffff, v2
	v_cmpx_gt_u32_e32 0x43f00000, v16
	s_xor_b32 s1, exec_lo, s1
	s_cbranch_execz .LBB249_1712
; %bb.1707:
	s_mov_b32 s3, exec_lo
                                        ; implicit-def: $vgpr3
	v_cmpx_lt_u32_e32 0x3c7fffff, v16
	s_xor_b32 s3, exec_lo, s3
; %bb.1708:
	v_bfe_u32 v3, v2, 20, 1
	s_delay_alu instid0(VALU_DEP_1) | instskip(NEXT) | instid1(VALU_DEP_1)
	v_add3_u32 v3, v2, v3, 0x407ffff
	v_and_b32_e32 v16, 0xff00000, v3
	v_lshrrev_b32_e32 v3, 20, v3
	s_delay_alu instid0(VALU_DEP_2) | instskip(NEXT) | instid1(VALU_DEP_2)
	v_cmp_ne_u32_e32 vcc_lo, 0x7f00000, v16
	v_cndmask_b32_e32 v3, 0x7e, v3, vcc_lo
; %bb.1709:
	s_and_not1_saveexec_b32 s3, s3
; %bb.1710:
	v_add_f32_e64 v3, 0x46800000, |v2|
; %bb.1711:
	s_or_b32 exec_lo, exec_lo, s3
                                        ; implicit-def: $vgpr16
.LBB249_1712:
	s_and_not1_saveexec_b32 s1, s1
; %bb.1713:
	v_mov_b32_e32 v3, 0x7f
	v_cmp_lt_u32_e32 vcc_lo, 0x7f800000, v16
	s_delay_alu instid0(VALU_DEP_2)
	v_cndmask_b32_e32 v3, 0x7e, v3, vcc_lo
; %bb.1714:
	s_or_b32 exec_lo, exec_lo, s1
	v_lshrrev_b32_e32 v2, 24, v2
	s_delay_alu instid0(VALU_DEP_1)
	v_and_or_b32 v2, 0x80, v2, v3
	global_store_b8 v[13:14], v2, off
.LBB249_1715:
	s_mov_b32 s1, 0
.LBB249_1716:
	s_delay_alu instid0(SALU_CYCLE_1)
	s_and_not1_b32 vcc_lo, exec_lo, s1
	s_cbranch_vccnz .LBB249_1726
; %bb.1717:
	v_cvt_f32_f64_e32 v2, v[0:1]
	s_mov_b32 s1, exec_lo
                                        ; implicit-def: $vgpr3
	s_delay_alu instid0(VALU_DEP_1) | instskip(NEXT) | instid1(VALU_DEP_1)
	v_and_b32_e32 v16, 0x7fffffff, v2
	v_cmpx_gt_u32_e32 0x47800000, v16
	s_xor_b32 s1, exec_lo, s1
	s_cbranch_execz .LBB249_1723
; %bb.1718:
	s_mov_b32 s3, exec_lo
                                        ; implicit-def: $vgpr3
	v_cmpx_lt_u32_e32 0x387fffff, v16
	s_xor_b32 s3, exec_lo, s3
; %bb.1719:
	v_bfe_u32 v3, v2, 21, 1
	s_delay_alu instid0(VALU_DEP_1) | instskip(NEXT) | instid1(VALU_DEP_1)
	v_add3_u32 v3, v2, v3, 0x80fffff
	v_lshrrev_b32_e32 v3, 21, v3
; %bb.1720:
	s_and_not1_saveexec_b32 s3, s3
; %bb.1721:
	v_add_f32_e64 v3, 0x43000000, |v2|
; %bb.1722:
	s_or_b32 exec_lo, exec_lo, s3
                                        ; implicit-def: $vgpr16
.LBB249_1723:
	s_and_not1_saveexec_b32 s1, s1
; %bb.1724:
	v_mov_b32_e32 v3, 0x7f
	v_cmp_lt_u32_e32 vcc_lo, 0x7f800000, v16
	s_delay_alu instid0(VALU_DEP_2)
	v_cndmask_b32_e32 v3, 0x7c, v3, vcc_lo
; %bb.1725:
	s_or_b32 exec_lo, exec_lo, s1
	v_lshrrev_b32_e32 v2, 24, v2
	s_delay_alu instid0(VALU_DEP_1)
	v_and_or_b32 v2, 0x80, v2, v3
	global_store_b8 v[13:14], v2, off
.LBB249_1726:
	s_mov_b32 s1, 0
	s_mov_b32 s3, -1
.LBB249_1727:
	s_and_not1_b32 vcc_lo, exec_lo, s1
	s_mov_b32 s1, 0
	s_cbranch_vccnz .LBB249_1734
; %bb.1728:
	v_cmp_lt_i16_e32 vcc_lo, 14, v15
	s_mov_b32 s1, -1
	s_cbranch_vccz .LBB249_1732
; %bb.1729:
	v_cmp_eq_u16_e32 vcc_lo, 15, v15
	s_mov_b32 s0, -1
	s_cbranch_vccz .LBB249_1731
; %bb.1730:
	v_cvt_f32_f64_e32 v2, v[0:1]
	s_mov_b32 s0, 0
	s_mov_b32 s3, -1
	s_delay_alu instid0(VALU_DEP_1) | instskip(SKIP_1) | instid1(VALU_DEP_2)
	v_bfe_u32 v3, v2, 16, 1
	v_cmp_o_f32_e32 vcc_lo, v2, v2
	v_add3_u32 v3, v2, v3, 0x7fff
	s_delay_alu instid0(VALU_DEP_1) | instskip(NEXT) | instid1(VALU_DEP_1)
	v_lshrrev_b32_e32 v3, 16, v3
	v_cndmask_b32_e32 v2, 0x7fc0, v3, vcc_lo
	global_store_b16 v[13:14], v2, off
.LBB249_1731:
	s_mov_b32 s1, 0
.LBB249_1732:
	s_delay_alu instid0(SALU_CYCLE_1)
	s_and_b32 vcc_lo, exec_lo, s1
	s_mov_b32 s1, 0
	s_cbranch_vccz .LBB249_1734
; %bb.1733:
	v_cmp_ne_u16_e64 s0, 11, v15
	s_mov_b32 s1, -1
.LBB249_1734:
	s_delay_alu instid0(VALU_DEP_1)
	s_and_b32 vcc_lo, exec_lo, s0
	s_cbranch_vccnz .LBB249_2141
; %bb.1735:
	s_and_not1_b32 vcc_lo, exec_lo, s1
	s_cbranch_vccnz .LBB249_1737
.LBB249_1736:
	v_cmp_neq_f64_e32 vcc_lo, 0, v[0:1]
	s_mov_b32 s3, -1
	v_cndmask_b32_e64 v2, 0, 1, vcc_lo
	global_store_b8 v[13:14], v2, off
.LBB249_1737:
	s_mov_b32 s0, 0
.LBB249_1738:
	s_delay_alu instid0(SALU_CYCLE_1)
	s_and_b32 vcc_lo, exec_lo, s0
	s_cbranch_vccz .LBB249_1777
; %bb.1739:
	v_cmp_gt_i16_e32 vcc_lo, 5, v15
	s_mov_b32 s0, -1
	s_cbranch_vccnz .LBB249_1760
; %bb.1740:
	v_cmp_gt_i16_e32 vcc_lo, 8, v15
	s_cbranch_vccnz .LBB249_1750
; %bb.1741:
	v_cmp_gt_i16_e32 vcc_lo, 9, v15
	s_cbranch_vccnz .LBB249_1747
; %bb.1742:
	v_cmp_lt_i16_e32 vcc_lo, 9, v15
	s_cbranch_vccz .LBB249_1744
; %bb.1743:
	v_mov_b32_e32 v2, 0
	s_mov_b32 s0, 0
	s_delay_alu instid0(VALU_DEP_1)
	v_mov_b32_e32 v3, v2
	global_store_b128 v[13:14], v[0:3], off
.LBB249_1744:
	s_and_not1_b32 vcc_lo, exec_lo, s0
	s_cbranch_vccnz .LBB249_1746
; %bb.1745:
	v_cvt_f32_f64_e32 v2, v[0:1]
	v_mov_b32_e32 v3, 0
	global_store_b64 v[13:14], v[2:3], off
.LBB249_1746:
	s_mov_b32 s0, 0
.LBB249_1747:
	s_delay_alu instid0(SALU_CYCLE_1)
	s_and_not1_b32 vcc_lo, exec_lo, s0
	s_cbranch_vccnz .LBB249_1749
; %bb.1748:
	v_cvt_f32_f64_e32 v2, v[0:1]
	s_delay_alu instid0(VALU_DEP_1) | instskip(NEXT) | instid1(VALU_DEP_1)
	v_cvt_f16_f32_e32 v2, v2
	v_and_b32_e32 v2, 0xffff, v2
	global_store_b32 v[13:14], v2, off
.LBB249_1749:
	s_mov_b32 s0, 0
.LBB249_1750:
	s_delay_alu instid0(SALU_CYCLE_1)
	s_and_not1_b32 vcc_lo, exec_lo, s0
	s_cbranch_vccnz .LBB249_1759
; %bb.1751:
	v_cmp_gt_i16_e32 vcc_lo, 6, v15
	s_mov_b32 s0, -1
	s_cbranch_vccnz .LBB249_1757
; %bb.1752:
	v_cmp_lt_i16_e32 vcc_lo, 6, v15
	s_cbranch_vccz .LBB249_1754
; %bb.1753:
	s_mov_b32 s0, 0
	global_store_b64 v[13:14], v[0:1], off
.LBB249_1754:
	s_and_not1_b32 vcc_lo, exec_lo, s0
	s_cbranch_vccnz .LBB249_1756
; %bb.1755:
	v_cvt_f32_f64_e32 v2, v[0:1]
	global_store_b32 v[13:14], v2, off
.LBB249_1756:
	s_mov_b32 s0, 0
.LBB249_1757:
	s_delay_alu instid0(SALU_CYCLE_1)
	s_and_not1_b32 vcc_lo, exec_lo, s0
	s_cbranch_vccnz .LBB249_1759
; %bb.1758:
	v_cvt_f32_f64_e32 v2, v[0:1]
	s_delay_alu instid0(VALU_DEP_1)
	v_cvt_f16_f32_e32 v2, v2
	global_store_b16 v[13:14], v2, off
.LBB249_1759:
	s_mov_b32 s0, 0
.LBB249_1760:
	s_delay_alu instid0(SALU_CYCLE_1)
	s_and_not1_b32 vcc_lo, exec_lo, s0
	s_cbranch_vccnz .LBB249_1776
; %bb.1761:
	v_cmp_gt_i16_e32 vcc_lo, 2, v15
	s_mov_b32 s0, -1
	s_cbranch_vccnz .LBB249_1771
; %bb.1762:
	v_cmp_gt_i16_e32 vcc_lo, 3, v15
	s_cbranch_vccnz .LBB249_1768
; %bb.1763:
	v_cmp_lt_i16_e32 vcc_lo, 3, v15
	s_cbranch_vccz .LBB249_1765
; %bb.1764:
	v_trunc_f64_e32 v[2:3], v[0:1]
	s_mov_b32 s0, 0
	s_delay_alu instid0(VALU_DEP_1) | instskip(NEXT) | instid1(VALU_DEP_1)
	v_ldexp_f64 v[16:17], v[2:3], 0xffffffe0
	v_floor_f64_e32 v[16:17], v[16:17]
	s_delay_alu instid0(VALU_DEP_1) | instskip(SKIP_1) | instid1(VALU_DEP_2)
	v_fma_f64 v[2:3], 0xc1f00000, v[16:17], v[2:3]
	v_cvt_i32_f64_e32 v17, v[16:17]
	v_cvt_u32_f64_e32 v16, v[2:3]
	global_store_b64 v[13:14], v[16:17], off
.LBB249_1765:
	s_and_not1_b32 vcc_lo, exec_lo, s0
	s_cbranch_vccnz .LBB249_1767
; %bb.1766:
	v_cvt_i32_f64_e32 v2, v[0:1]
	global_store_b32 v[13:14], v2, off
.LBB249_1767:
	s_mov_b32 s0, 0
.LBB249_1768:
	s_delay_alu instid0(SALU_CYCLE_1)
	s_and_not1_b32 vcc_lo, exec_lo, s0
	s_cbranch_vccnz .LBB249_1770
; %bb.1769:
	v_cvt_i32_f64_e32 v2, v[0:1]
	global_store_b16 v[13:14], v2, off
.LBB249_1770:
	s_mov_b32 s0, 0
.LBB249_1771:
	s_delay_alu instid0(SALU_CYCLE_1)
	s_and_not1_b32 vcc_lo, exec_lo, s0
	s_cbranch_vccnz .LBB249_1776
; %bb.1772:
	v_cmp_lt_i16_e32 vcc_lo, 0, v15
	s_mov_b32 s0, -1
	s_cbranch_vccz .LBB249_1774
; %bb.1773:
	v_cvt_i32_f64_e32 v2, v[0:1]
	s_mov_b32 s0, 0
	global_store_b8 v[13:14], v2, off
.LBB249_1774:
	s_and_not1_b32 vcc_lo, exec_lo, s0
	s_cbranch_vccnz .LBB249_1776
; %bb.1775:
	v_trunc_f64_e32 v[0:1], v[0:1]
	s_delay_alu instid0(VALU_DEP_1) | instskip(NEXT) | instid1(VALU_DEP_1)
	v_ldexp_f64 v[2:3], v[0:1], 0xffffffe0
	v_floor_f64_e32 v[2:3], v[2:3]
	s_delay_alu instid0(VALU_DEP_1) | instskip(NEXT) | instid1(VALU_DEP_1)
	v_fma_f64 v[0:1], 0xc1f00000, v[2:3], v[0:1]
	v_cvt_u32_f64_e32 v0, v[0:1]
	global_store_b8 v[13:14], v0, off
.LBB249_1776:
	s_mov_b32 s3, -1
.LBB249_1777:
	s_delay_alu instid0(SALU_CYCLE_1)
	s_and_not1_b32 vcc_lo, exec_lo, s3
	s_cbranch_vccnz .LBB249_2090
; %bb.1778:
	v_cmp_gt_f64_e32 vcc_lo, 0x10000000, v[11:12]
	v_cmp_gt_i16_e64 s0, 11, v15
	s_mov_b32 s3, 0
	v_cndmask_b32_e64 v0, 0, 1, vcc_lo
	s_delay_alu instid0(VALU_DEP_1) | instskip(NEXT) | instid1(VALU_DEP_1)
	v_lshlrev_b32_e32 v0, 8, v0
	v_ldexp_f64 v[0:1], v[11:12], v0
	s_delay_alu instid0(VALU_DEP_1) | instskip(SKIP_3) | instid1(VALU_DEP_1)
	v_rsq_f64_e32 v[2:3], v[0:1]
	s_waitcnt_depctr 0xfff
	v_mul_f64 v[11:12], v[0:1], v[2:3]
	v_mul_f64 v[2:3], v[2:3], 0.5
	v_fma_f64 v[13:14], -v[2:3], v[11:12], 0.5
	s_delay_alu instid0(VALU_DEP_1) | instskip(SKIP_1) | instid1(VALU_DEP_2)
	v_fma_f64 v[11:12], v[11:12], v[13:14], v[11:12]
	v_fma_f64 v[2:3], v[2:3], v[13:14], v[2:3]
	v_fma_f64 v[13:14], -v[11:12], v[11:12], v[0:1]
	s_delay_alu instid0(VALU_DEP_1) | instskip(NEXT) | instid1(VALU_DEP_1)
	v_fma_f64 v[11:12], v[13:14], v[2:3], v[11:12]
	v_fma_f64 v[13:14], -v[11:12], v[11:12], v[0:1]
	s_delay_alu instid0(VALU_DEP_1) | instskip(SKIP_2) | instid1(VALU_DEP_2)
	v_fma_f64 v[2:3], v[13:14], v[2:3], v[11:12]
	v_cndmask_b32_e64 v11, 0, 0xffffff80, vcc_lo
	v_cmp_class_f64_e64 vcc_lo, v[0:1], 0x260
	v_ldexp_f64 v[2:3], v[2:3], v11
	v_add_co_u32 v11, s1, s4, v6
	s_delay_alu instid0(VALU_DEP_1) | instskip(NEXT) | instid1(VALU_DEP_3)
	v_add_co_ci_u32_e64 v12, null, s5, 0, s1
	v_dual_cndmask_b32 v1, v3, v1 :: v_dual_cndmask_b32 v0, v2, v0
	s_and_b32 vcc_lo, exec_lo, s0
	s_mov_b32 s0, -1
	s_cbranch_vccnz .LBB249_1856
; %bb.1779:
	v_cmp_lt_i16_e32 vcc_lo, 25, v15
	s_mov_b32 s6, -1
	s_mov_b32 s1, 0
	s_mov_b32 s0, 0
	s_cbranch_vccz .LBB249_1812
; %bb.1780:
	v_cmp_lt_i16_e32 vcc_lo, 28, v15
	s_cbranch_vccz .LBB249_1795
; %bb.1781:
	v_cmp_lt_i16_e32 vcc_lo, 43, v15
	;; [unrolled: 3-line block ×3, first 2 shown]
	s_cbranch_vccz .LBB249_1785
; %bb.1783:
	v_cmp_eq_u16_e32 vcc_lo, 46, v15
	s_mov_b32 s0, -1
	s_mov_b32 s6, 0
	s_cbranch_vccz .LBB249_1785
; %bb.1784:
	v_cvt_f32_f64_e32 v2, v[0:1]
	s_mov_b32 s0, 0
	s_mov_b32 s3, -1
	s_delay_alu instid0(VALU_DEP_1) | instskip(SKIP_1) | instid1(VALU_DEP_2)
	v_bfe_u32 v3, v2, 16, 1
	v_cmp_o_f32_e32 vcc_lo, v2, v2
	v_add3_u32 v3, v2, v3, 0x7fff
	s_delay_alu instid0(VALU_DEP_1) | instskip(NEXT) | instid1(VALU_DEP_1)
	v_lshrrev_b32_e32 v3, 16, v3
	v_cndmask_b32_e32 v2, 0x7fc0, v3, vcc_lo
	global_store_b32 v[11:12], v2, off
.LBB249_1785:
	s_and_b32 vcc_lo, exec_lo, s6
	s_cbranch_vccz .LBB249_1790
; %bb.1786:
	v_cmp_eq_u16_e32 vcc_lo, 44, v15
	s_mov_b32 s0, -1
	s_cbranch_vccz .LBB249_1790
; %bb.1787:
	v_cvt_f32_f64_e32 v2, v[0:1]
	v_mov_b32_e32 v3, 0xff
	s_mov_b32 s3, exec_lo
	s_delay_alu instid0(VALU_DEP_2) | instskip(NEXT) | instid1(VALU_DEP_1)
	v_bfe_u32 v6, v2, 23, 8
	v_cmpx_ne_u32_e32 0xff, v6
; %bb.1788:
	v_and_b32_e32 v3, 0x400000, v2
	v_and_or_b32 v6, 0x3fffff, v2, v6
	v_lshrrev_b32_e32 v2, 23, v2
	s_delay_alu instid0(VALU_DEP_3) | instskip(NEXT) | instid1(VALU_DEP_3)
	v_cmp_ne_u32_e32 vcc_lo, 0, v3
	v_cmp_ne_u32_e64 s0, 0, v6
	s_delay_alu instid0(VALU_DEP_1) | instskip(NEXT) | instid1(SALU_CYCLE_1)
	s_and_b32 s0, vcc_lo, s0
	v_cndmask_b32_e64 v3, 0, 1, s0
	s_delay_alu instid0(VALU_DEP_1)
	v_add_nc_u32_e32 v3, v2, v3
; %bb.1789:
	s_or_b32 exec_lo, exec_lo, s3
	s_mov_b32 s0, 0
	s_mov_b32 s3, -1
	global_store_b8 v[11:12], v3, off
.LBB249_1790:
	s_mov_b32 s6, 0
.LBB249_1791:
	s_delay_alu instid0(SALU_CYCLE_1)
	s_and_b32 vcc_lo, exec_lo, s6
	s_cbranch_vccz .LBB249_1794
; %bb.1792:
	v_cmp_eq_u16_e32 vcc_lo, 29, v15
	s_mov_b32 s0, -1
	s_cbranch_vccz .LBB249_1794
; %bb.1793:
	v_trunc_f64_e32 v[2:3], v[0:1]
	s_mov_b32 s0, 0
	s_mov_b32 s3, -1
	s_delay_alu instid0(VALU_DEP_1) | instskip(NEXT) | instid1(VALU_DEP_1)
	v_ldexp_f64 v[13:14], v[2:3], 0xffffffe0
	v_floor_f64_e32 v[13:14], v[13:14]
	s_delay_alu instid0(VALU_DEP_1) | instskip(SKIP_1) | instid1(VALU_DEP_2)
	v_fma_f64 v[2:3], 0xc1f00000, v[13:14], v[2:3]
	v_cvt_u32_f64_e32 v14, v[13:14]
	v_cvt_u32_f64_e32 v13, v[2:3]
	global_store_b64 v[11:12], v[13:14], off
.LBB249_1794:
	s_mov_b32 s6, 0
.LBB249_1795:
	s_delay_alu instid0(SALU_CYCLE_1)
	s_and_b32 vcc_lo, exec_lo, s6
	s_cbranch_vccz .LBB249_1811
; %bb.1796:
	v_cmp_gt_i16_e32 vcc_lo, 27, v15
	s_mov_b32 s3, -1
	s_cbranch_vccnz .LBB249_1802
; %bb.1797:
	v_cvt_u32_f64_e32 v2, v[0:1]
	v_cmp_lt_i16_e32 vcc_lo, 27, v15
	s_cbranch_vccz .LBB249_1799
; %bb.1798:
	s_mov_b32 s3, 0
	global_store_b32 v[11:12], v2, off
.LBB249_1799:
	s_and_not1_b32 vcc_lo, exec_lo, s3
	s_cbranch_vccnz .LBB249_1801
; %bb.1800:
	global_store_b16 v[11:12], v2, off
.LBB249_1801:
	s_mov_b32 s3, 0
.LBB249_1802:
	s_delay_alu instid0(SALU_CYCLE_1)
	s_and_not1_b32 vcc_lo, exec_lo, s3
	s_cbranch_vccnz .LBB249_1810
; %bb.1803:
	v_cvt_f32_f64_e32 v2, v[0:1]
	v_mov_b32_e32 v6, 0x80
	s_mov_b32 s3, exec_lo
	s_delay_alu instid0(VALU_DEP_2) | instskip(NEXT) | instid1(VALU_DEP_1)
	v_and_b32_e32 v3, 0x7fffffff, v2
	v_cmpx_gt_u32_e32 0x43800000, v3
	s_cbranch_execz .LBB249_1809
; %bb.1804:
	v_cmp_lt_u32_e32 vcc_lo, 0x3bffffff, v3
	s_mov_b32 s6, 0
                                        ; implicit-def: $vgpr3
	s_and_saveexec_b32 s7, vcc_lo
	s_delay_alu instid0(SALU_CYCLE_1)
	s_xor_b32 s7, exec_lo, s7
	s_cbranch_execz .LBB249_2145
; %bb.1805:
	v_bfe_u32 v3, v2, 20, 1
	s_mov_b32 s6, exec_lo
	s_delay_alu instid0(VALU_DEP_1) | instskip(NEXT) | instid1(VALU_DEP_1)
	v_add3_u32 v3, v2, v3, 0x487ffff
	v_lshrrev_b32_e32 v3, 20, v3
	s_or_saveexec_b32 s7, s7
                                        ; implicit-def: $sgpr10
	s_delay_alu instid0(SALU_CYCLE_1)
	s_xor_b32 exec_lo, exec_lo, s7
	s_cbranch_execnz .LBB249_2146
.LBB249_1806:
	s_or_b32 exec_lo, exec_lo, s7
	v_mov_b32_e32 v6, s10
	s_and_saveexec_b32 s7, s6
.LBB249_1807:
	v_lshrrev_b32_e32 v2, 24, v2
	s_delay_alu instid0(VALU_DEP_1)
	v_and_or_b32 v6, 0x80, v2, v3
.LBB249_1808:
	s_or_b32 exec_lo, exec_lo, s7
.LBB249_1809:
	s_delay_alu instid0(SALU_CYCLE_1)
	s_or_b32 exec_lo, exec_lo, s3
	global_store_b8 v[11:12], v6, off
.LBB249_1810:
	s_mov_b32 s3, -1
.LBB249_1811:
	s_mov_b32 s6, 0
.LBB249_1812:
	s_delay_alu instid0(SALU_CYCLE_1)
	s_and_b32 vcc_lo, exec_lo, s6
	s_cbranch_vccz .LBB249_1852
; %bb.1813:
	v_cmp_lt_i16_e32 vcc_lo, 22, v15
	s_mov_b32 s1, -1
	s_cbranch_vccz .LBB249_1845
; %bb.1814:
	v_cmp_gt_i16_e32 vcc_lo, 24, v15
	s_cbranch_vccnz .LBB249_1834
; %bb.1815:
	v_cmp_lt_i16_e32 vcc_lo, 24, v15
	s_cbranch_vccz .LBB249_1823
; %bb.1816:
	v_cvt_f32_f64_e32 v2, v[0:1]
	v_mov_b32_e32 v6, 0x80
	s_mov_b32 s1, exec_lo
	s_delay_alu instid0(VALU_DEP_2) | instskip(NEXT) | instid1(VALU_DEP_1)
	v_and_b32_e32 v3, 0x7fffffff, v2
	v_cmpx_gt_u32_e32 0x47800000, v3
	s_cbranch_execz .LBB249_1822
; %bb.1817:
	v_cmp_lt_u32_e32 vcc_lo, 0x37ffffff, v3
	s_mov_b32 s3, 0
                                        ; implicit-def: $vgpr3
	s_and_saveexec_b32 s6, vcc_lo
	s_delay_alu instid0(SALU_CYCLE_1)
	s_xor_b32 s6, exec_lo, s6
	s_cbranch_execz .LBB249_2151
; %bb.1818:
	v_bfe_u32 v3, v2, 21, 1
	s_mov_b32 s3, exec_lo
	s_delay_alu instid0(VALU_DEP_1) | instskip(NEXT) | instid1(VALU_DEP_1)
	v_add3_u32 v3, v2, v3, 0x88fffff
	v_lshrrev_b32_e32 v3, 21, v3
	s_or_saveexec_b32 s6, s6
                                        ; implicit-def: $sgpr7
	s_delay_alu instid0(SALU_CYCLE_1)
	s_xor_b32 exec_lo, exec_lo, s6
	s_cbranch_execnz .LBB249_2152
.LBB249_1819:
	s_or_b32 exec_lo, exec_lo, s6
	v_mov_b32_e32 v6, s7
	s_and_saveexec_b32 s6, s3
.LBB249_1820:
	v_lshrrev_b32_e32 v2, 24, v2
	s_delay_alu instid0(VALU_DEP_1)
	v_and_or_b32 v6, 0x80, v2, v3
.LBB249_1821:
	s_or_b32 exec_lo, exec_lo, s6
.LBB249_1822:
	s_delay_alu instid0(SALU_CYCLE_1)
	s_or_b32 exec_lo, exec_lo, s1
	s_mov_b32 s1, 0
	global_store_b8 v[11:12], v6, off
.LBB249_1823:
	s_and_b32 vcc_lo, exec_lo, s1
	s_cbranch_vccz .LBB249_1833
; %bb.1824:
	v_cvt_f32_f64_e32 v2, v[0:1]
	s_mov_b32 s1, exec_lo
                                        ; implicit-def: $vgpr3
	s_delay_alu instid0(VALU_DEP_1) | instskip(NEXT) | instid1(VALU_DEP_1)
	v_and_b32_e32 v6, 0x7fffffff, v2
	v_cmpx_gt_u32_e32 0x43f00000, v6
	s_xor_b32 s1, exec_lo, s1
	s_cbranch_execz .LBB249_1830
; %bb.1825:
	s_mov_b32 s3, exec_lo
                                        ; implicit-def: $vgpr3
	v_cmpx_lt_u32_e32 0x3c7fffff, v6
	s_xor_b32 s3, exec_lo, s3
; %bb.1826:
	v_bfe_u32 v3, v2, 20, 1
	s_delay_alu instid0(VALU_DEP_1) | instskip(NEXT) | instid1(VALU_DEP_1)
	v_add3_u32 v3, v2, v3, 0x407ffff
	v_and_b32_e32 v6, 0xff00000, v3
	v_lshrrev_b32_e32 v3, 20, v3
	s_delay_alu instid0(VALU_DEP_2) | instskip(NEXT) | instid1(VALU_DEP_2)
	v_cmp_ne_u32_e32 vcc_lo, 0x7f00000, v6
	v_cndmask_b32_e32 v3, 0x7e, v3, vcc_lo
; %bb.1827:
	s_and_not1_saveexec_b32 s3, s3
; %bb.1828:
	v_add_f32_e64 v3, 0x46800000, |v2|
; %bb.1829:
	s_or_b32 exec_lo, exec_lo, s3
                                        ; implicit-def: $vgpr6
.LBB249_1830:
	s_and_not1_saveexec_b32 s1, s1
; %bb.1831:
	v_mov_b32_e32 v3, 0x7f
	v_cmp_lt_u32_e32 vcc_lo, 0x7f800000, v6
	s_delay_alu instid0(VALU_DEP_2)
	v_cndmask_b32_e32 v3, 0x7e, v3, vcc_lo
; %bb.1832:
	s_or_b32 exec_lo, exec_lo, s1
	v_lshrrev_b32_e32 v2, 24, v2
	s_delay_alu instid0(VALU_DEP_1)
	v_and_or_b32 v2, 0x80, v2, v3
	global_store_b8 v[11:12], v2, off
.LBB249_1833:
	s_mov_b32 s1, 0
.LBB249_1834:
	s_delay_alu instid0(SALU_CYCLE_1)
	s_and_not1_b32 vcc_lo, exec_lo, s1
	s_cbranch_vccnz .LBB249_1844
; %bb.1835:
	v_cvt_f32_f64_e32 v2, v[0:1]
	s_mov_b32 s1, exec_lo
                                        ; implicit-def: $vgpr3
	s_delay_alu instid0(VALU_DEP_1) | instskip(NEXT) | instid1(VALU_DEP_1)
	v_and_b32_e32 v6, 0x7fffffff, v2
	v_cmpx_gt_u32_e32 0x47800000, v6
	s_xor_b32 s1, exec_lo, s1
	s_cbranch_execz .LBB249_1841
; %bb.1836:
	s_mov_b32 s3, exec_lo
                                        ; implicit-def: $vgpr3
	v_cmpx_lt_u32_e32 0x387fffff, v6
	s_xor_b32 s3, exec_lo, s3
; %bb.1837:
	v_bfe_u32 v3, v2, 21, 1
	s_delay_alu instid0(VALU_DEP_1) | instskip(NEXT) | instid1(VALU_DEP_1)
	v_add3_u32 v3, v2, v3, 0x80fffff
	v_lshrrev_b32_e32 v3, 21, v3
; %bb.1838:
	s_and_not1_saveexec_b32 s3, s3
; %bb.1839:
	v_add_f32_e64 v3, 0x43000000, |v2|
; %bb.1840:
	s_or_b32 exec_lo, exec_lo, s3
                                        ; implicit-def: $vgpr6
.LBB249_1841:
	s_and_not1_saveexec_b32 s1, s1
; %bb.1842:
	v_mov_b32_e32 v3, 0x7f
	v_cmp_lt_u32_e32 vcc_lo, 0x7f800000, v6
	s_delay_alu instid0(VALU_DEP_2)
	v_cndmask_b32_e32 v3, 0x7c, v3, vcc_lo
; %bb.1843:
	s_or_b32 exec_lo, exec_lo, s1
	v_lshrrev_b32_e32 v2, 24, v2
	s_delay_alu instid0(VALU_DEP_1)
	v_and_or_b32 v2, 0x80, v2, v3
	global_store_b8 v[11:12], v2, off
.LBB249_1844:
	s_mov_b32 s1, 0
	s_mov_b32 s3, -1
.LBB249_1845:
	s_and_not1_b32 vcc_lo, exec_lo, s1
	s_mov_b32 s1, 0
	s_cbranch_vccnz .LBB249_1852
; %bb.1846:
	v_cmp_lt_i16_e32 vcc_lo, 14, v15
	s_mov_b32 s1, -1
	s_cbranch_vccz .LBB249_1850
; %bb.1847:
	v_cmp_eq_u16_e32 vcc_lo, 15, v15
	s_mov_b32 s0, -1
	s_cbranch_vccz .LBB249_1849
; %bb.1848:
	v_cvt_f32_f64_e32 v2, v[0:1]
	s_mov_b32 s0, 0
	s_mov_b32 s3, -1
	s_delay_alu instid0(VALU_DEP_1) | instskip(SKIP_1) | instid1(VALU_DEP_2)
	v_bfe_u32 v3, v2, 16, 1
	v_cmp_o_f32_e32 vcc_lo, v2, v2
	v_add3_u32 v3, v2, v3, 0x7fff
	s_delay_alu instid0(VALU_DEP_1) | instskip(NEXT) | instid1(VALU_DEP_1)
	v_lshrrev_b32_e32 v3, 16, v3
	v_cndmask_b32_e32 v2, 0x7fc0, v3, vcc_lo
	global_store_b16 v[11:12], v2, off
.LBB249_1849:
	s_mov_b32 s1, 0
.LBB249_1850:
	s_delay_alu instid0(SALU_CYCLE_1)
	s_and_b32 vcc_lo, exec_lo, s1
	s_mov_b32 s1, 0
	s_cbranch_vccz .LBB249_1852
; %bb.1851:
	v_cmp_ne_u16_e64 s0, 11, v15
	s_mov_b32 s1, -1
.LBB249_1852:
	s_delay_alu instid0(VALU_DEP_1)
	s_and_b32 vcc_lo, exec_lo, s0
	s_cbranch_vccnz .LBB249_2149
; %bb.1853:
	s_and_not1_b32 vcc_lo, exec_lo, s1
	s_cbranch_vccnz .LBB249_1855
.LBB249_1854:
	v_cmp_neq_f64_e32 vcc_lo, 0, v[0:1]
	s_mov_b32 s3, -1
	v_cndmask_b32_e64 v2, 0, 1, vcc_lo
	global_store_b8 v[11:12], v2, off
.LBB249_1855:
	s_mov_b32 s0, 0
.LBB249_1856:
	s_delay_alu instid0(SALU_CYCLE_1)
	s_and_b32 vcc_lo, exec_lo, s0
	s_cbranch_vccz .LBB249_1895
; %bb.1857:
	v_cmp_gt_i16_e32 vcc_lo, 5, v15
	s_mov_b32 s0, -1
	s_cbranch_vccnz .LBB249_1878
; %bb.1858:
	v_cmp_gt_i16_e32 vcc_lo, 8, v15
	s_cbranch_vccnz .LBB249_1868
; %bb.1859:
	v_cmp_gt_i16_e32 vcc_lo, 9, v15
	s_cbranch_vccnz .LBB249_1865
; %bb.1860:
	v_cmp_lt_i16_e32 vcc_lo, 9, v15
	s_cbranch_vccz .LBB249_1862
; %bb.1861:
	v_mov_b32_e32 v2, 0
	s_mov_b32 s0, 0
	s_delay_alu instid0(VALU_DEP_1)
	v_mov_b32_e32 v3, v2
	global_store_b128 v[11:12], v[0:3], off
.LBB249_1862:
	s_and_not1_b32 vcc_lo, exec_lo, s0
	s_cbranch_vccnz .LBB249_1864
; %bb.1863:
	v_cvt_f32_f64_e32 v2, v[0:1]
	v_mov_b32_e32 v3, 0
	global_store_b64 v[11:12], v[2:3], off
.LBB249_1864:
	s_mov_b32 s0, 0
.LBB249_1865:
	s_delay_alu instid0(SALU_CYCLE_1)
	s_and_not1_b32 vcc_lo, exec_lo, s0
	s_cbranch_vccnz .LBB249_1867
; %bb.1866:
	v_cvt_f32_f64_e32 v2, v[0:1]
	s_delay_alu instid0(VALU_DEP_1) | instskip(NEXT) | instid1(VALU_DEP_1)
	v_cvt_f16_f32_e32 v2, v2
	v_and_b32_e32 v2, 0xffff, v2
	global_store_b32 v[11:12], v2, off
.LBB249_1867:
	s_mov_b32 s0, 0
.LBB249_1868:
	s_delay_alu instid0(SALU_CYCLE_1)
	s_and_not1_b32 vcc_lo, exec_lo, s0
	s_cbranch_vccnz .LBB249_1877
; %bb.1869:
	v_cmp_gt_i16_e32 vcc_lo, 6, v15
	s_mov_b32 s0, -1
	s_cbranch_vccnz .LBB249_1875
; %bb.1870:
	v_cmp_lt_i16_e32 vcc_lo, 6, v15
	s_cbranch_vccz .LBB249_1872
; %bb.1871:
	s_mov_b32 s0, 0
	global_store_b64 v[11:12], v[0:1], off
.LBB249_1872:
	s_and_not1_b32 vcc_lo, exec_lo, s0
	s_cbranch_vccnz .LBB249_1874
; %bb.1873:
	v_cvt_f32_f64_e32 v2, v[0:1]
	global_store_b32 v[11:12], v2, off
.LBB249_1874:
	s_mov_b32 s0, 0
.LBB249_1875:
	s_delay_alu instid0(SALU_CYCLE_1)
	s_and_not1_b32 vcc_lo, exec_lo, s0
	s_cbranch_vccnz .LBB249_1877
; %bb.1876:
	v_cvt_f32_f64_e32 v2, v[0:1]
	s_delay_alu instid0(VALU_DEP_1)
	v_cvt_f16_f32_e32 v2, v2
	global_store_b16 v[11:12], v2, off
.LBB249_1877:
	s_mov_b32 s0, 0
.LBB249_1878:
	s_delay_alu instid0(SALU_CYCLE_1)
	s_and_not1_b32 vcc_lo, exec_lo, s0
	s_cbranch_vccnz .LBB249_1894
; %bb.1879:
	v_cmp_gt_i16_e32 vcc_lo, 2, v15
	s_mov_b32 s0, -1
	s_cbranch_vccnz .LBB249_1889
; %bb.1880:
	v_cmp_gt_i16_e32 vcc_lo, 3, v15
	s_cbranch_vccnz .LBB249_1886
; %bb.1881:
	v_cmp_lt_i16_e32 vcc_lo, 3, v15
	s_cbranch_vccz .LBB249_1883
; %bb.1882:
	v_trunc_f64_e32 v[2:3], v[0:1]
	s_mov_b32 s0, 0
	s_delay_alu instid0(VALU_DEP_1) | instskip(NEXT) | instid1(VALU_DEP_1)
	v_ldexp_f64 v[13:14], v[2:3], 0xffffffe0
	v_floor_f64_e32 v[13:14], v[13:14]
	s_delay_alu instid0(VALU_DEP_1) | instskip(SKIP_1) | instid1(VALU_DEP_2)
	v_fma_f64 v[2:3], 0xc1f00000, v[13:14], v[2:3]
	v_cvt_i32_f64_e32 v14, v[13:14]
	v_cvt_u32_f64_e32 v13, v[2:3]
	global_store_b64 v[11:12], v[13:14], off
.LBB249_1883:
	s_and_not1_b32 vcc_lo, exec_lo, s0
	s_cbranch_vccnz .LBB249_1885
; %bb.1884:
	v_cvt_i32_f64_e32 v2, v[0:1]
	global_store_b32 v[11:12], v2, off
.LBB249_1885:
	s_mov_b32 s0, 0
.LBB249_1886:
	s_delay_alu instid0(SALU_CYCLE_1)
	s_and_not1_b32 vcc_lo, exec_lo, s0
	s_cbranch_vccnz .LBB249_1888
; %bb.1887:
	v_cvt_i32_f64_e32 v2, v[0:1]
	global_store_b16 v[11:12], v2, off
.LBB249_1888:
	s_mov_b32 s0, 0
.LBB249_1889:
	s_delay_alu instid0(SALU_CYCLE_1)
	s_and_not1_b32 vcc_lo, exec_lo, s0
	s_cbranch_vccnz .LBB249_1894
; %bb.1890:
	v_cmp_lt_i16_e32 vcc_lo, 0, v15
	s_mov_b32 s0, -1
	s_cbranch_vccz .LBB249_1892
; %bb.1891:
	v_cvt_i32_f64_e32 v2, v[0:1]
	s_mov_b32 s0, 0
	global_store_b8 v[11:12], v2, off
.LBB249_1892:
	s_and_not1_b32 vcc_lo, exec_lo, s0
	s_cbranch_vccnz .LBB249_1894
; %bb.1893:
	v_trunc_f64_e32 v[0:1], v[0:1]
	s_delay_alu instid0(VALU_DEP_1) | instskip(NEXT) | instid1(VALU_DEP_1)
	v_ldexp_f64 v[2:3], v[0:1], 0xffffffe0
	v_floor_f64_e32 v[2:3], v[2:3]
	s_delay_alu instid0(VALU_DEP_1) | instskip(NEXT) | instid1(VALU_DEP_1)
	v_fma_f64 v[0:1], 0xc1f00000, v[2:3], v[0:1]
	v_cvt_u32_f64_e32 v0, v[0:1]
	global_store_b8 v[11:12], v0, off
.LBB249_1894:
	s_mov_b32 s3, -1
.LBB249_1895:
	s_delay_alu instid0(SALU_CYCLE_1)
	s_and_not1_b32 vcc_lo, exec_lo, s3
	s_cbranch_vccnz .LBB249_2090
; %bb.1896:
	v_cmp_gt_f64_e32 vcc_lo, 0x10000000, v[9:10]
	v_cmp_gt_i16_e64 s0, 11, v15
	v_add_co_u32 v5, s1, s4, v5
	s_mov_b32 s3, 0
	v_cndmask_b32_e64 v0, 0, 1, vcc_lo
	v_cndmask_b32_e64 v6, 0, 0xffffff80, vcc_lo
	s_delay_alu instid0(VALU_DEP_2) | instskip(NEXT) | instid1(VALU_DEP_1)
	v_lshlrev_b32_e32 v0, 8, v0
	v_ldexp_f64 v[0:1], v[9:10], v0
	s_delay_alu instid0(VALU_DEP_1) | instskip(SKIP_4) | instid1(VALU_DEP_1)
	v_rsq_f64_e32 v[2:3], v[0:1]
	v_cmp_class_f64_e64 vcc_lo, v[0:1], 0x260
	s_waitcnt_depctr 0xfff
	v_mul_f64 v[9:10], v[0:1], v[2:3]
	v_mul_f64 v[2:3], v[2:3], 0.5
	v_fma_f64 v[11:12], -v[2:3], v[9:10], 0.5
	s_delay_alu instid0(VALU_DEP_1) | instskip(SKIP_1) | instid1(VALU_DEP_2)
	v_fma_f64 v[9:10], v[9:10], v[11:12], v[9:10]
	v_fma_f64 v[2:3], v[2:3], v[11:12], v[2:3]
	v_fma_f64 v[11:12], -v[9:10], v[9:10], v[0:1]
	s_delay_alu instid0(VALU_DEP_1) | instskip(NEXT) | instid1(VALU_DEP_1)
	v_fma_f64 v[9:10], v[11:12], v[2:3], v[9:10]
	v_fma_f64 v[11:12], -v[9:10], v[9:10], v[0:1]
	s_delay_alu instid0(VALU_DEP_1) | instskip(NEXT) | instid1(VALU_DEP_1)
	v_fma_f64 v[2:3], v[11:12], v[2:3], v[9:10]
	v_ldexp_f64 v[2:3], v[2:3], v6
	v_add_co_ci_u32_e64 v6, null, s5, 0, s1
	s_delay_alu instid0(VALU_DEP_2)
	v_dual_cndmask_b32 v1, v3, v1 :: v_dual_cndmask_b32 v0, v2, v0
	s_and_b32 vcc_lo, exec_lo, s0
	s_mov_b32 s0, -1
	s_cbranch_vccnz .LBB249_1974
; %bb.1897:
	v_cmp_lt_i16_e32 vcc_lo, 25, v15
	s_mov_b32 s6, -1
	s_mov_b32 s1, 0
	s_mov_b32 s0, 0
	s_cbranch_vccz .LBB249_1930
; %bb.1898:
	v_cmp_lt_i16_e32 vcc_lo, 28, v15
	s_cbranch_vccz .LBB249_1913
; %bb.1899:
	v_cmp_lt_i16_e32 vcc_lo, 43, v15
	;; [unrolled: 3-line block ×3, first 2 shown]
	s_cbranch_vccz .LBB249_1903
; %bb.1901:
	v_cmp_eq_u16_e32 vcc_lo, 46, v15
	s_mov_b32 s0, -1
	s_mov_b32 s6, 0
	s_cbranch_vccz .LBB249_1903
; %bb.1902:
	v_cvt_f32_f64_e32 v2, v[0:1]
	s_mov_b32 s0, 0
	s_mov_b32 s3, -1
	s_delay_alu instid0(VALU_DEP_1) | instskip(SKIP_1) | instid1(VALU_DEP_2)
	v_bfe_u32 v3, v2, 16, 1
	v_cmp_o_f32_e32 vcc_lo, v2, v2
	v_add3_u32 v3, v2, v3, 0x7fff
	s_delay_alu instid0(VALU_DEP_1) | instskip(NEXT) | instid1(VALU_DEP_1)
	v_lshrrev_b32_e32 v3, 16, v3
	v_cndmask_b32_e32 v2, 0x7fc0, v3, vcc_lo
	global_store_b32 v[5:6], v2, off
.LBB249_1903:
	s_and_b32 vcc_lo, exec_lo, s6
	s_cbranch_vccz .LBB249_1908
; %bb.1904:
	v_cmp_eq_u16_e32 vcc_lo, 44, v15
	s_mov_b32 s0, -1
	s_cbranch_vccz .LBB249_1908
; %bb.1905:
	v_cvt_f32_f64_e32 v2, v[0:1]
	v_mov_b32_e32 v3, 0xff
	s_mov_b32 s3, exec_lo
	s_delay_alu instid0(VALU_DEP_2) | instskip(NEXT) | instid1(VALU_DEP_1)
	v_bfe_u32 v9, v2, 23, 8
	v_cmpx_ne_u32_e32 0xff, v9
; %bb.1906:
	v_and_b32_e32 v3, 0x400000, v2
	v_and_or_b32 v9, 0x3fffff, v2, v9
	v_lshrrev_b32_e32 v2, 23, v2
	s_delay_alu instid0(VALU_DEP_3) | instskip(NEXT) | instid1(VALU_DEP_3)
	v_cmp_ne_u32_e32 vcc_lo, 0, v3
	v_cmp_ne_u32_e64 s0, 0, v9
	s_delay_alu instid0(VALU_DEP_1) | instskip(NEXT) | instid1(SALU_CYCLE_1)
	s_and_b32 s0, vcc_lo, s0
	v_cndmask_b32_e64 v3, 0, 1, s0
	s_delay_alu instid0(VALU_DEP_1)
	v_add_nc_u32_e32 v3, v2, v3
; %bb.1907:
	s_or_b32 exec_lo, exec_lo, s3
	s_mov_b32 s0, 0
	s_mov_b32 s3, -1
	global_store_b8 v[5:6], v3, off
.LBB249_1908:
	s_mov_b32 s6, 0
.LBB249_1909:
	s_delay_alu instid0(SALU_CYCLE_1)
	s_and_b32 vcc_lo, exec_lo, s6
	s_cbranch_vccz .LBB249_1912
; %bb.1910:
	v_cmp_eq_u16_e32 vcc_lo, 29, v15
	s_mov_b32 s0, -1
	s_cbranch_vccz .LBB249_1912
; %bb.1911:
	v_trunc_f64_e32 v[2:3], v[0:1]
	s_mov_b32 s0, 0
	s_mov_b32 s3, -1
	s_delay_alu instid0(VALU_DEP_1) | instskip(NEXT) | instid1(VALU_DEP_1)
	v_ldexp_f64 v[9:10], v[2:3], 0xffffffe0
	v_floor_f64_e32 v[9:10], v[9:10]
	s_delay_alu instid0(VALU_DEP_1) | instskip(SKIP_1) | instid1(VALU_DEP_2)
	v_fma_f64 v[2:3], 0xc1f00000, v[9:10], v[2:3]
	v_cvt_u32_f64_e32 v10, v[9:10]
	v_cvt_u32_f64_e32 v9, v[2:3]
	global_store_b64 v[5:6], v[9:10], off
.LBB249_1912:
	s_mov_b32 s6, 0
.LBB249_1913:
	s_delay_alu instid0(SALU_CYCLE_1)
	s_and_b32 vcc_lo, exec_lo, s6
	s_cbranch_vccz .LBB249_1929
; %bb.1914:
	v_cmp_gt_i16_e32 vcc_lo, 27, v15
	s_mov_b32 s3, -1
	s_cbranch_vccnz .LBB249_1920
; %bb.1915:
	v_cvt_u32_f64_e32 v2, v[0:1]
	v_cmp_lt_i16_e32 vcc_lo, 27, v15
	s_cbranch_vccz .LBB249_1917
; %bb.1916:
	s_mov_b32 s3, 0
	global_store_b32 v[5:6], v2, off
.LBB249_1917:
	s_and_not1_b32 vcc_lo, exec_lo, s3
	s_cbranch_vccnz .LBB249_1919
; %bb.1918:
	global_store_b16 v[5:6], v2, off
.LBB249_1919:
	s_mov_b32 s3, 0
.LBB249_1920:
	s_delay_alu instid0(SALU_CYCLE_1)
	s_and_not1_b32 vcc_lo, exec_lo, s3
	s_cbranch_vccnz .LBB249_1928
; %bb.1921:
	v_cvt_f32_f64_e32 v2, v[0:1]
	v_mov_b32_e32 v9, 0x80
	s_mov_b32 s3, exec_lo
	s_delay_alu instid0(VALU_DEP_2) | instskip(NEXT) | instid1(VALU_DEP_1)
	v_and_b32_e32 v3, 0x7fffffff, v2
	v_cmpx_gt_u32_e32 0x43800000, v3
	s_cbranch_execz .LBB249_1927
; %bb.1922:
	v_cmp_lt_u32_e32 vcc_lo, 0x3bffffff, v3
	s_mov_b32 s6, 0
                                        ; implicit-def: $vgpr3
	s_and_saveexec_b32 s7, vcc_lo
	s_delay_alu instid0(SALU_CYCLE_1)
	s_xor_b32 s7, exec_lo, s7
	s_cbranch_execz .LBB249_2153
; %bb.1923:
	v_bfe_u32 v3, v2, 20, 1
	s_mov_b32 s6, exec_lo
	s_delay_alu instid0(VALU_DEP_1) | instskip(NEXT) | instid1(VALU_DEP_1)
	v_add3_u32 v3, v2, v3, 0x487ffff
	v_lshrrev_b32_e32 v3, 20, v3
	s_or_saveexec_b32 s7, s7
                                        ; implicit-def: $sgpr10
	s_delay_alu instid0(SALU_CYCLE_1)
	s_xor_b32 exec_lo, exec_lo, s7
	s_cbranch_execnz .LBB249_2154
.LBB249_1924:
	s_or_b32 exec_lo, exec_lo, s7
	v_mov_b32_e32 v9, s10
	s_and_saveexec_b32 s7, s6
.LBB249_1925:
	v_lshrrev_b32_e32 v2, 24, v2
	s_delay_alu instid0(VALU_DEP_1)
	v_and_or_b32 v9, 0x80, v2, v3
.LBB249_1926:
	s_or_b32 exec_lo, exec_lo, s7
.LBB249_1927:
	s_delay_alu instid0(SALU_CYCLE_1)
	s_or_b32 exec_lo, exec_lo, s3
	global_store_b8 v[5:6], v9, off
.LBB249_1928:
	s_mov_b32 s3, -1
.LBB249_1929:
	s_mov_b32 s6, 0
.LBB249_1930:
	s_delay_alu instid0(SALU_CYCLE_1)
	s_and_b32 vcc_lo, exec_lo, s6
	s_cbranch_vccz .LBB249_1970
; %bb.1931:
	v_cmp_lt_i16_e32 vcc_lo, 22, v15
	s_mov_b32 s1, -1
	s_cbranch_vccz .LBB249_1963
; %bb.1932:
	v_cmp_gt_i16_e32 vcc_lo, 24, v15
	s_cbranch_vccnz .LBB249_1952
; %bb.1933:
	v_cmp_lt_i16_e32 vcc_lo, 24, v15
	s_cbranch_vccz .LBB249_1941
; %bb.1934:
	v_cvt_f32_f64_e32 v2, v[0:1]
	v_mov_b32_e32 v9, 0x80
	s_mov_b32 s1, exec_lo
	s_delay_alu instid0(VALU_DEP_2) | instskip(NEXT) | instid1(VALU_DEP_1)
	v_and_b32_e32 v3, 0x7fffffff, v2
	v_cmpx_gt_u32_e32 0x47800000, v3
	s_cbranch_execz .LBB249_1940
; %bb.1935:
	v_cmp_lt_u32_e32 vcc_lo, 0x37ffffff, v3
	s_mov_b32 s3, 0
                                        ; implicit-def: $vgpr3
	s_and_saveexec_b32 s6, vcc_lo
	s_delay_alu instid0(SALU_CYCLE_1)
	s_xor_b32 s6, exec_lo, s6
	s_cbranch_execz .LBB249_2159
; %bb.1936:
	v_bfe_u32 v3, v2, 21, 1
	s_mov_b32 s3, exec_lo
	s_delay_alu instid0(VALU_DEP_1) | instskip(NEXT) | instid1(VALU_DEP_1)
	v_add3_u32 v3, v2, v3, 0x88fffff
	v_lshrrev_b32_e32 v3, 21, v3
	s_or_saveexec_b32 s6, s6
                                        ; implicit-def: $sgpr7
	s_delay_alu instid0(SALU_CYCLE_1)
	s_xor_b32 exec_lo, exec_lo, s6
	s_cbranch_execnz .LBB249_2160
.LBB249_1937:
	s_or_b32 exec_lo, exec_lo, s6
	v_mov_b32_e32 v9, s7
	s_and_saveexec_b32 s6, s3
.LBB249_1938:
	v_lshrrev_b32_e32 v2, 24, v2
	s_delay_alu instid0(VALU_DEP_1)
	v_and_or_b32 v9, 0x80, v2, v3
.LBB249_1939:
	s_or_b32 exec_lo, exec_lo, s6
.LBB249_1940:
	s_delay_alu instid0(SALU_CYCLE_1)
	s_or_b32 exec_lo, exec_lo, s1
	s_mov_b32 s1, 0
	global_store_b8 v[5:6], v9, off
.LBB249_1941:
	s_and_b32 vcc_lo, exec_lo, s1
	s_cbranch_vccz .LBB249_1951
; %bb.1942:
	v_cvt_f32_f64_e32 v2, v[0:1]
	s_mov_b32 s1, exec_lo
                                        ; implicit-def: $vgpr3
	s_delay_alu instid0(VALU_DEP_1) | instskip(NEXT) | instid1(VALU_DEP_1)
	v_and_b32_e32 v9, 0x7fffffff, v2
	v_cmpx_gt_u32_e32 0x43f00000, v9
	s_xor_b32 s1, exec_lo, s1
	s_cbranch_execz .LBB249_1948
; %bb.1943:
	s_mov_b32 s3, exec_lo
                                        ; implicit-def: $vgpr3
	v_cmpx_lt_u32_e32 0x3c7fffff, v9
	s_xor_b32 s3, exec_lo, s3
; %bb.1944:
	v_bfe_u32 v3, v2, 20, 1
	s_delay_alu instid0(VALU_DEP_1) | instskip(NEXT) | instid1(VALU_DEP_1)
	v_add3_u32 v3, v2, v3, 0x407ffff
	v_and_b32_e32 v9, 0xff00000, v3
	v_lshrrev_b32_e32 v3, 20, v3
	s_delay_alu instid0(VALU_DEP_2) | instskip(NEXT) | instid1(VALU_DEP_2)
	v_cmp_ne_u32_e32 vcc_lo, 0x7f00000, v9
	v_cndmask_b32_e32 v3, 0x7e, v3, vcc_lo
; %bb.1945:
	s_and_not1_saveexec_b32 s3, s3
; %bb.1946:
	v_add_f32_e64 v3, 0x46800000, |v2|
; %bb.1947:
	s_or_b32 exec_lo, exec_lo, s3
                                        ; implicit-def: $vgpr9
.LBB249_1948:
	s_and_not1_saveexec_b32 s1, s1
; %bb.1949:
	v_mov_b32_e32 v3, 0x7f
	v_cmp_lt_u32_e32 vcc_lo, 0x7f800000, v9
	s_delay_alu instid0(VALU_DEP_2)
	v_cndmask_b32_e32 v3, 0x7e, v3, vcc_lo
; %bb.1950:
	s_or_b32 exec_lo, exec_lo, s1
	v_lshrrev_b32_e32 v2, 24, v2
	s_delay_alu instid0(VALU_DEP_1)
	v_and_or_b32 v2, 0x80, v2, v3
	global_store_b8 v[5:6], v2, off
.LBB249_1951:
	s_mov_b32 s1, 0
.LBB249_1952:
	s_delay_alu instid0(SALU_CYCLE_1)
	s_and_not1_b32 vcc_lo, exec_lo, s1
	s_cbranch_vccnz .LBB249_1962
; %bb.1953:
	v_cvt_f32_f64_e32 v2, v[0:1]
	s_mov_b32 s1, exec_lo
                                        ; implicit-def: $vgpr3
	s_delay_alu instid0(VALU_DEP_1) | instskip(NEXT) | instid1(VALU_DEP_1)
	v_and_b32_e32 v9, 0x7fffffff, v2
	v_cmpx_gt_u32_e32 0x47800000, v9
	s_xor_b32 s1, exec_lo, s1
	s_cbranch_execz .LBB249_1959
; %bb.1954:
	s_mov_b32 s3, exec_lo
                                        ; implicit-def: $vgpr3
	v_cmpx_lt_u32_e32 0x387fffff, v9
	s_xor_b32 s3, exec_lo, s3
; %bb.1955:
	v_bfe_u32 v3, v2, 21, 1
	s_delay_alu instid0(VALU_DEP_1) | instskip(NEXT) | instid1(VALU_DEP_1)
	v_add3_u32 v3, v2, v3, 0x80fffff
	v_lshrrev_b32_e32 v3, 21, v3
; %bb.1956:
	s_and_not1_saveexec_b32 s3, s3
; %bb.1957:
	v_add_f32_e64 v3, 0x43000000, |v2|
; %bb.1958:
	s_or_b32 exec_lo, exec_lo, s3
                                        ; implicit-def: $vgpr9
.LBB249_1959:
	s_and_not1_saveexec_b32 s1, s1
; %bb.1960:
	v_mov_b32_e32 v3, 0x7f
	v_cmp_lt_u32_e32 vcc_lo, 0x7f800000, v9
	s_delay_alu instid0(VALU_DEP_2)
	v_cndmask_b32_e32 v3, 0x7c, v3, vcc_lo
; %bb.1961:
	s_or_b32 exec_lo, exec_lo, s1
	v_lshrrev_b32_e32 v2, 24, v2
	s_delay_alu instid0(VALU_DEP_1)
	v_and_or_b32 v2, 0x80, v2, v3
	global_store_b8 v[5:6], v2, off
.LBB249_1962:
	s_mov_b32 s1, 0
	s_mov_b32 s3, -1
.LBB249_1963:
	s_and_not1_b32 vcc_lo, exec_lo, s1
	s_mov_b32 s1, 0
	s_cbranch_vccnz .LBB249_1970
; %bb.1964:
	v_cmp_lt_i16_e32 vcc_lo, 14, v15
	s_mov_b32 s1, -1
	s_cbranch_vccz .LBB249_1968
; %bb.1965:
	v_cmp_eq_u16_e32 vcc_lo, 15, v15
	s_mov_b32 s0, -1
	s_cbranch_vccz .LBB249_1967
; %bb.1966:
	v_cvt_f32_f64_e32 v2, v[0:1]
	s_mov_b32 s0, 0
	s_mov_b32 s3, -1
	s_delay_alu instid0(VALU_DEP_1) | instskip(SKIP_1) | instid1(VALU_DEP_2)
	v_bfe_u32 v3, v2, 16, 1
	v_cmp_o_f32_e32 vcc_lo, v2, v2
	v_add3_u32 v3, v2, v3, 0x7fff
	s_delay_alu instid0(VALU_DEP_1) | instskip(NEXT) | instid1(VALU_DEP_1)
	v_lshrrev_b32_e32 v3, 16, v3
	v_cndmask_b32_e32 v2, 0x7fc0, v3, vcc_lo
	global_store_b16 v[5:6], v2, off
.LBB249_1967:
	s_mov_b32 s1, 0
.LBB249_1968:
	s_delay_alu instid0(SALU_CYCLE_1)
	s_and_b32 vcc_lo, exec_lo, s1
	s_mov_b32 s1, 0
	s_cbranch_vccz .LBB249_1970
; %bb.1969:
	v_cmp_ne_u16_e64 s0, 11, v15
	s_mov_b32 s1, -1
.LBB249_1970:
	s_delay_alu instid0(VALU_DEP_1)
	s_and_b32 vcc_lo, exec_lo, s0
	s_cbranch_vccnz .LBB249_2157
; %bb.1971:
	s_and_not1_b32 vcc_lo, exec_lo, s1
	s_cbranch_vccnz .LBB249_1973
.LBB249_1972:
	v_cmp_neq_f64_e32 vcc_lo, 0, v[0:1]
	s_mov_b32 s3, -1
	v_cndmask_b32_e64 v2, 0, 1, vcc_lo
	global_store_b8 v[5:6], v2, off
.LBB249_1973:
	s_mov_b32 s0, 0
.LBB249_1974:
	s_delay_alu instid0(SALU_CYCLE_1)
	s_and_b32 vcc_lo, exec_lo, s0
	s_cbranch_vccz .LBB249_2013
; %bb.1975:
	v_cmp_gt_i16_e32 vcc_lo, 5, v15
	s_mov_b32 s0, -1
	s_cbranch_vccnz .LBB249_1996
; %bb.1976:
	v_cmp_gt_i16_e32 vcc_lo, 8, v15
	s_cbranch_vccnz .LBB249_1986
; %bb.1977:
	v_cmp_gt_i16_e32 vcc_lo, 9, v15
	s_cbranch_vccnz .LBB249_1983
; %bb.1978:
	v_cmp_lt_i16_e32 vcc_lo, 9, v15
	s_cbranch_vccz .LBB249_1980
; %bb.1979:
	v_mov_b32_e32 v2, 0
	s_mov_b32 s0, 0
	s_delay_alu instid0(VALU_DEP_1)
	v_mov_b32_e32 v3, v2
	global_store_b128 v[5:6], v[0:3], off
.LBB249_1980:
	s_and_not1_b32 vcc_lo, exec_lo, s0
	s_cbranch_vccnz .LBB249_1982
; %bb.1981:
	v_cvt_f32_f64_e32 v2, v[0:1]
	v_mov_b32_e32 v3, 0
	global_store_b64 v[5:6], v[2:3], off
.LBB249_1982:
	s_mov_b32 s0, 0
.LBB249_1983:
	s_delay_alu instid0(SALU_CYCLE_1)
	s_and_not1_b32 vcc_lo, exec_lo, s0
	s_cbranch_vccnz .LBB249_1985
; %bb.1984:
	v_cvt_f32_f64_e32 v2, v[0:1]
	s_delay_alu instid0(VALU_DEP_1) | instskip(NEXT) | instid1(VALU_DEP_1)
	v_cvt_f16_f32_e32 v2, v2
	v_and_b32_e32 v2, 0xffff, v2
	global_store_b32 v[5:6], v2, off
.LBB249_1985:
	s_mov_b32 s0, 0
.LBB249_1986:
	s_delay_alu instid0(SALU_CYCLE_1)
	s_and_not1_b32 vcc_lo, exec_lo, s0
	s_cbranch_vccnz .LBB249_1995
; %bb.1987:
	v_cmp_gt_i16_e32 vcc_lo, 6, v15
	s_mov_b32 s0, -1
	s_cbranch_vccnz .LBB249_1993
; %bb.1988:
	v_cmp_lt_i16_e32 vcc_lo, 6, v15
	s_cbranch_vccz .LBB249_1990
; %bb.1989:
	s_mov_b32 s0, 0
	global_store_b64 v[5:6], v[0:1], off
.LBB249_1990:
	s_and_not1_b32 vcc_lo, exec_lo, s0
	s_cbranch_vccnz .LBB249_1992
; %bb.1991:
	v_cvt_f32_f64_e32 v2, v[0:1]
	global_store_b32 v[5:6], v2, off
.LBB249_1992:
	s_mov_b32 s0, 0
.LBB249_1993:
	s_delay_alu instid0(SALU_CYCLE_1)
	s_and_not1_b32 vcc_lo, exec_lo, s0
	s_cbranch_vccnz .LBB249_1995
; %bb.1994:
	v_cvt_f32_f64_e32 v2, v[0:1]
	s_delay_alu instid0(VALU_DEP_1)
	v_cvt_f16_f32_e32 v2, v2
	global_store_b16 v[5:6], v2, off
.LBB249_1995:
	s_mov_b32 s0, 0
.LBB249_1996:
	s_delay_alu instid0(SALU_CYCLE_1)
	s_and_not1_b32 vcc_lo, exec_lo, s0
	s_cbranch_vccnz .LBB249_2012
; %bb.1997:
	v_cmp_gt_i16_e32 vcc_lo, 2, v15
	s_mov_b32 s0, -1
	s_cbranch_vccnz .LBB249_2007
; %bb.1998:
	v_cmp_gt_i16_e32 vcc_lo, 3, v15
	s_cbranch_vccnz .LBB249_2004
; %bb.1999:
	v_cmp_lt_i16_e32 vcc_lo, 3, v15
	s_cbranch_vccz .LBB249_2001
; %bb.2000:
	v_trunc_f64_e32 v[2:3], v[0:1]
	s_mov_b32 s0, 0
	s_delay_alu instid0(VALU_DEP_1) | instskip(NEXT) | instid1(VALU_DEP_1)
	v_ldexp_f64 v[9:10], v[2:3], 0xffffffe0
	v_floor_f64_e32 v[9:10], v[9:10]
	s_delay_alu instid0(VALU_DEP_1) | instskip(SKIP_1) | instid1(VALU_DEP_2)
	v_fma_f64 v[2:3], 0xc1f00000, v[9:10], v[2:3]
	v_cvt_i32_f64_e32 v10, v[9:10]
	v_cvt_u32_f64_e32 v9, v[2:3]
	global_store_b64 v[5:6], v[9:10], off
.LBB249_2001:
	s_and_not1_b32 vcc_lo, exec_lo, s0
	s_cbranch_vccnz .LBB249_2003
; %bb.2002:
	v_cvt_i32_f64_e32 v2, v[0:1]
	global_store_b32 v[5:6], v2, off
.LBB249_2003:
	s_mov_b32 s0, 0
.LBB249_2004:
	s_delay_alu instid0(SALU_CYCLE_1)
	s_and_not1_b32 vcc_lo, exec_lo, s0
	s_cbranch_vccnz .LBB249_2006
; %bb.2005:
	v_cvt_i32_f64_e32 v2, v[0:1]
	global_store_b16 v[5:6], v2, off
.LBB249_2006:
	s_mov_b32 s0, 0
.LBB249_2007:
	s_delay_alu instid0(SALU_CYCLE_1)
	s_and_not1_b32 vcc_lo, exec_lo, s0
	s_cbranch_vccnz .LBB249_2012
; %bb.2008:
	v_cmp_lt_i16_e32 vcc_lo, 0, v15
	s_mov_b32 s0, -1
	s_cbranch_vccz .LBB249_2010
; %bb.2009:
	v_cvt_i32_f64_e32 v2, v[0:1]
	s_mov_b32 s0, 0
	global_store_b8 v[5:6], v2, off
.LBB249_2010:
	s_and_not1_b32 vcc_lo, exec_lo, s0
	s_cbranch_vccnz .LBB249_2012
; %bb.2011:
	v_trunc_f64_e32 v[0:1], v[0:1]
	s_delay_alu instid0(VALU_DEP_1) | instskip(NEXT) | instid1(VALU_DEP_1)
	v_ldexp_f64 v[2:3], v[0:1], 0xffffffe0
	v_floor_f64_e32 v[2:3], v[2:3]
	s_delay_alu instid0(VALU_DEP_1) | instskip(NEXT) | instid1(VALU_DEP_1)
	v_fma_f64 v[0:1], 0xc1f00000, v[2:3], v[0:1]
	v_cvt_u32_f64_e32 v0, v[0:1]
	global_store_b8 v[5:6], v0, off
.LBB249_2012:
	s_mov_b32 s3, -1
.LBB249_2013:
	s_delay_alu instid0(SALU_CYCLE_1)
	s_and_not1_b32 vcc_lo, exec_lo, s3
	s_cbranch_vccnz .LBB249_2090
; %bb.2014:
	v_cmp_gt_f64_e32 vcc_lo, 0x10000000, v[7:8]
	v_cmp_gt_i16_e64 s0, 11, v15
	v_add_co_u32 v4, s3, s4, v4
	s_mov_b32 s1, 0
	v_cndmask_b32_e64 v0, 0, 1, vcc_lo
	s_delay_alu instid0(VALU_DEP_1) | instskip(NEXT) | instid1(VALU_DEP_1)
	v_lshlrev_b32_e32 v0, 8, v0
	v_ldexp_f64 v[0:1], v[7:8], v0
	s_delay_alu instid0(VALU_DEP_1) | instskip(SKIP_3) | instid1(VALU_DEP_1)
	v_rsq_f64_e32 v[2:3], v[0:1]
	s_waitcnt_depctr 0xfff
	v_mul_f64 v[5:6], v[0:1], v[2:3]
	v_mul_f64 v[2:3], v[2:3], 0.5
	v_fma_f64 v[7:8], -v[2:3], v[5:6], 0.5
	s_delay_alu instid0(VALU_DEP_1) | instskip(SKIP_1) | instid1(VALU_DEP_2)
	v_fma_f64 v[5:6], v[5:6], v[7:8], v[5:6]
	v_fma_f64 v[2:3], v[2:3], v[7:8], v[2:3]
	v_fma_f64 v[7:8], -v[5:6], v[5:6], v[0:1]
	s_delay_alu instid0(VALU_DEP_1) | instskip(NEXT) | instid1(VALU_DEP_1)
	v_fma_f64 v[5:6], v[7:8], v[2:3], v[5:6]
	v_fma_f64 v[7:8], -v[5:6], v[5:6], v[0:1]
	s_delay_alu instid0(VALU_DEP_1) | instskip(SKIP_2) | instid1(VALU_DEP_2)
	v_fma_f64 v[2:3], v[7:8], v[2:3], v[5:6]
	v_cndmask_b32_e64 v5, 0, 0xffffff80, vcc_lo
	v_cmp_class_f64_e64 vcc_lo, v[0:1], 0x260
	v_ldexp_f64 v[2:3], v[2:3], v5
	v_add_co_ci_u32_e64 v5, null, s5, 0, s3
	s_delay_alu instid0(VALU_DEP_2)
	v_dual_cndmask_b32 v1, v3, v1 :: v_dual_cndmask_b32 v0, v2, v0
	s_and_b32 vcc_lo, exec_lo, s0
	s_mov_b32 s0, -1
	s_cbranch_vccnz .LBB249_2091
; %bb.2015:
	v_cmp_lt_i16_e32 vcc_lo, 25, v15
	s_mov_b32 s3, -1
	s_mov_b32 s0, 0
	s_cbranch_vccz .LBB249_2048
; %bb.2016:
	v_cmp_lt_i16_e32 vcc_lo, 28, v15
	s_cbranch_vccz .LBB249_2032
; %bb.2017:
	v_cmp_lt_i16_e32 vcc_lo, 43, v15
	;; [unrolled: 3-line block ×3, first 2 shown]
	s_cbranch_vccz .LBB249_2022
; %bb.2019:
	v_cmp_eq_u16_e32 vcc_lo, 46, v15
	s_mov_b32 s0, -1
	s_cbranch_vccz .LBB249_2021
; %bb.2020:
	v_cvt_f32_f64_e32 v2, v[0:1]
	s_mov_b32 s0, 0
	s_delay_alu instid0(VALU_DEP_1) | instskip(SKIP_1) | instid1(VALU_DEP_2)
	v_bfe_u32 v3, v2, 16, 1
	v_cmp_o_f32_e32 vcc_lo, v2, v2
	v_add3_u32 v3, v2, v3, 0x7fff
	s_delay_alu instid0(VALU_DEP_1) | instskip(NEXT) | instid1(VALU_DEP_1)
	v_lshrrev_b32_e32 v3, 16, v3
	v_cndmask_b32_e32 v2, 0x7fc0, v3, vcc_lo
	global_store_b32 v[4:5], v2, off
.LBB249_2021:
	s_mov_b32 s3, 0
.LBB249_2022:
	s_delay_alu instid0(SALU_CYCLE_1)
	s_and_b32 vcc_lo, exec_lo, s3
	s_cbranch_vccz .LBB249_2027
; %bb.2023:
	v_cmp_eq_u16_e32 vcc_lo, 44, v15
	s_mov_b32 s0, -1
	s_cbranch_vccz .LBB249_2027
; %bb.2024:
	v_cvt_f32_f64_e32 v2, v[0:1]
	v_mov_b32_e32 v3, 0xff
	s_mov_b32 s3, exec_lo
	s_delay_alu instid0(VALU_DEP_2) | instskip(NEXT) | instid1(VALU_DEP_1)
	v_bfe_u32 v6, v2, 23, 8
	v_cmpx_ne_u32_e32 0xff, v6
; %bb.2025:
	v_and_b32_e32 v3, 0x400000, v2
	v_and_or_b32 v6, 0x3fffff, v2, v6
	v_lshrrev_b32_e32 v2, 23, v2
	s_delay_alu instid0(VALU_DEP_3) | instskip(NEXT) | instid1(VALU_DEP_3)
	v_cmp_ne_u32_e32 vcc_lo, 0, v3
	v_cmp_ne_u32_e64 s0, 0, v6
	s_delay_alu instid0(VALU_DEP_1) | instskip(NEXT) | instid1(SALU_CYCLE_1)
	s_and_b32 s0, vcc_lo, s0
	v_cndmask_b32_e64 v3, 0, 1, s0
	s_delay_alu instid0(VALU_DEP_1)
	v_add_nc_u32_e32 v3, v2, v3
; %bb.2026:
	s_or_b32 exec_lo, exec_lo, s3
	s_mov_b32 s0, 0
	global_store_b8 v[4:5], v3, off
.LBB249_2027:
	s_mov_b32 s3, 0
.LBB249_2028:
	s_delay_alu instid0(SALU_CYCLE_1)
	s_and_b32 vcc_lo, exec_lo, s3
	s_cbranch_vccz .LBB249_2031
; %bb.2029:
	v_cmp_eq_u16_e32 vcc_lo, 29, v15
	s_mov_b32 s0, -1
	s_cbranch_vccz .LBB249_2031
; %bb.2030:
	v_trunc_f64_e32 v[2:3], v[0:1]
	s_mov_b32 s0, 0
	s_delay_alu instid0(VALU_DEP_1) | instskip(NEXT) | instid1(VALU_DEP_1)
	v_ldexp_f64 v[6:7], v[2:3], 0xffffffe0
	v_floor_f64_e32 v[6:7], v[6:7]
	s_delay_alu instid0(VALU_DEP_1) | instskip(SKIP_1) | instid1(VALU_DEP_2)
	v_fma_f64 v[2:3], 0xc1f00000, v[6:7], v[2:3]
	v_cvt_u32_f64_e32 v7, v[6:7]
	v_cvt_u32_f64_e32 v6, v[2:3]
	global_store_b64 v[4:5], v[6:7], off
.LBB249_2031:
	s_mov_b32 s3, 0
.LBB249_2032:
	s_delay_alu instid0(SALU_CYCLE_1)
	s_and_b32 vcc_lo, exec_lo, s3
	s_cbranch_vccz .LBB249_2047
; %bb.2033:
	v_cmp_gt_i16_e32 vcc_lo, 27, v15
	s_mov_b32 s3, -1
	s_cbranch_vccnz .LBB249_2039
; %bb.2034:
	v_cvt_u32_f64_e32 v2, v[0:1]
	v_cmp_lt_i16_e32 vcc_lo, 27, v15
	s_cbranch_vccz .LBB249_2036
; %bb.2035:
	s_mov_b32 s3, 0
	global_store_b32 v[4:5], v2, off
.LBB249_2036:
	s_and_not1_b32 vcc_lo, exec_lo, s3
	s_cbranch_vccnz .LBB249_2038
; %bb.2037:
	global_store_b16 v[4:5], v2, off
.LBB249_2038:
	s_mov_b32 s3, 0
.LBB249_2039:
	s_delay_alu instid0(SALU_CYCLE_1)
	s_and_not1_b32 vcc_lo, exec_lo, s3
	s_cbranch_vccnz .LBB249_2047
; %bb.2040:
	v_cvt_f32_f64_e32 v2, v[0:1]
	v_mov_b32_e32 v6, 0x80
	s_mov_b32 s3, exec_lo
	s_delay_alu instid0(VALU_DEP_2) | instskip(NEXT) | instid1(VALU_DEP_1)
	v_and_b32_e32 v3, 0x7fffffff, v2
	v_cmpx_gt_u32_e32 0x43800000, v3
	s_cbranch_execz .LBB249_2046
; %bb.2041:
	v_cmp_lt_u32_e32 vcc_lo, 0x3bffffff, v3
	s_mov_b32 s4, 0
                                        ; implicit-def: $vgpr3
	s_and_saveexec_b32 s5, vcc_lo
	s_delay_alu instid0(SALU_CYCLE_1)
	s_xor_b32 s5, exec_lo, s5
	s_cbranch_execz .LBB249_2161
; %bb.2042:
	v_bfe_u32 v3, v2, 20, 1
	s_mov_b32 s4, exec_lo
	s_delay_alu instid0(VALU_DEP_1) | instskip(NEXT) | instid1(VALU_DEP_1)
	v_add3_u32 v3, v2, v3, 0x487ffff
	v_lshrrev_b32_e32 v3, 20, v3
	s_or_saveexec_b32 s5, s5
                                        ; implicit-def: $sgpr6
	s_delay_alu instid0(SALU_CYCLE_1)
	s_xor_b32 exec_lo, exec_lo, s5
	s_cbranch_execnz .LBB249_2162
.LBB249_2043:
	s_or_b32 exec_lo, exec_lo, s5
	v_mov_b32_e32 v6, s6
	s_and_saveexec_b32 s5, s4
.LBB249_2044:
	v_lshrrev_b32_e32 v2, 24, v2
	s_delay_alu instid0(VALU_DEP_1)
	v_and_or_b32 v6, 0x80, v2, v3
.LBB249_2045:
	s_or_b32 exec_lo, exec_lo, s5
.LBB249_2046:
	s_delay_alu instid0(SALU_CYCLE_1)
	s_or_b32 exec_lo, exec_lo, s3
	global_store_b8 v[4:5], v6, off
.LBB249_2047:
	s_mov_b32 s3, 0
.LBB249_2048:
	s_delay_alu instid0(SALU_CYCLE_1)
	s_and_b32 vcc_lo, exec_lo, s3
	s_cbranch_vccz .LBB249_2088
; %bb.2049:
	v_cmp_lt_i16_e32 vcc_lo, 22, v15
	s_mov_b32 s1, -1
	s_cbranch_vccz .LBB249_2081
; %bb.2050:
	v_cmp_gt_i16_e32 vcc_lo, 24, v15
	s_cbranch_vccnz .LBB249_2070
; %bb.2051:
	v_cmp_lt_i16_e32 vcc_lo, 24, v15
	s_cbranch_vccz .LBB249_2059
; %bb.2052:
	v_cvt_f32_f64_e32 v2, v[0:1]
	v_mov_b32_e32 v6, 0x80
	s_mov_b32 s1, exec_lo
	s_delay_alu instid0(VALU_DEP_2) | instskip(NEXT) | instid1(VALU_DEP_1)
	v_and_b32_e32 v3, 0x7fffffff, v2
	v_cmpx_gt_u32_e32 0x47800000, v3
	s_cbranch_execz .LBB249_2058
; %bb.2053:
	v_cmp_lt_u32_e32 vcc_lo, 0x37ffffff, v3
	s_mov_b32 s3, 0
                                        ; implicit-def: $vgpr3
	s_and_saveexec_b32 s4, vcc_lo
	s_delay_alu instid0(SALU_CYCLE_1)
	s_xor_b32 s4, exec_lo, s4
	s_cbranch_execz .LBB249_2167
; %bb.2054:
	v_bfe_u32 v3, v2, 21, 1
	s_mov_b32 s3, exec_lo
	s_delay_alu instid0(VALU_DEP_1) | instskip(NEXT) | instid1(VALU_DEP_1)
	v_add3_u32 v3, v2, v3, 0x88fffff
	v_lshrrev_b32_e32 v3, 21, v3
	s_or_saveexec_b32 s4, s4
                                        ; implicit-def: $sgpr5
	s_delay_alu instid0(SALU_CYCLE_1)
	s_xor_b32 exec_lo, exec_lo, s4
	s_cbranch_execnz .LBB249_2168
.LBB249_2055:
	s_or_b32 exec_lo, exec_lo, s4
	v_mov_b32_e32 v6, s5
	s_and_saveexec_b32 s4, s3
.LBB249_2056:
	v_lshrrev_b32_e32 v2, 24, v2
	s_delay_alu instid0(VALU_DEP_1)
	v_and_or_b32 v6, 0x80, v2, v3
.LBB249_2057:
	s_or_b32 exec_lo, exec_lo, s4
.LBB249_2058:
	s_delay_alu instid0(SALU_CYCLE_1)
	s_or_b32 exec_lo, exec_lo, s1
	s_mov_b32 s1, 0
	global_store_b8 v[4:5], v6, off
.LBB249_2059:
	s_and_b32 vcc_lo, exec_lo, s1
	s_cbranch_vccz .LBB249_2069
; %bb.2060:
	v_cvt_f32_f64_e32 v2, v[0:1]
	s_mov_b32 s1, exec_lo
                                        ; implicit-def: $vgpr3
	s_delay_alu instid0(VALU_DEP_1) | instskip(NEXT) | instid1(VALU_DEP_1)
	v_and_b32_e32 v6, 0x7fffffff, v2
	v_cmpx_gt_u32_e32 0x43f00000, v6
	s_xor_b32 s1, exec_lo, s1
	s_cbranch_execz .LBB249_2066
; %bb.2061:
	s_mov_b32 s3, exec_lo
                                        ; implicit-def: $vgpr3
	v_cmpx_lt_u32_e32 0x3c7fffff, v6
	s_xor_b32 s3, exec_lo, s3
; %bb.2062:
	v_bfe_u32 v3, v2, 20, 1
	s_delay_alu instid0(VALU_DEP_1) | instskip(NEXT) | instid1(VALU_DEP_1)
	v_add3_u32 v3, v2, v3, 0x407ffff
	v_and_b32_e32 v6, 0xff00000, v3
	v_lshrrev_b32_e32 v3, 20, v3
	s_delay_alu instid0(VALU_DEP_2) | instskip(NEXT) | instid1(VALU_DEP_2)
	v_cmp_ne_u32_e32 vcc_lo, 0x7f00000, v6
	v_cndmask_b32_e32 v3, 0x7e, v3, vcc_lo
; %bb.2063:
	s_and_not1_saveexec_b32 s3, s3
; %bb.2064:
	v_add_f32_e64 v3, 0x46800000, |v2|
; %bb.2065:
	s_or_b32 exec_lo, exec_lo, s3
                                        ; implicit-def: $vgpr6
.LBB249_2066:
	s_and_not1_saveexec_b32 s1, s1
; %bb.2067:
	v_mov_b32_e32 v3, 0x7f
	v_cmp_lt_u32_e32 vcc_lo, 0x7f800000, v6
	s_delay_alu instid0(VALU_DEP_2)
	v_cndmask_b32_e32 v3, 0x7e, v3, vcc_lo
; %bb.2068:
	s_or_b32 exec_lo, exec_lo, s1
	v_lshrrev_b32_e32 v2, 24, v2
	s_delay_alu instid0(VALU_DEP_1)
	v_and_or_b32 v2, 0x80, v2, v3
	global_store_b8 v[4:5], v2, off
.LBB249_2069:
	s_mov_b32 s1, 0
.LBB249_2070:
	s_delay_alu instid0(SALU_CYCLE_1)
	s_and_not1_b32 vcc_lo, exec_lo, s1
	s_cbranch_vccnz .LBB249_2080
; %bb.2071:
	v_cvt_f32_f64_e32 v2, v[0:1]
	s_mov_b32 s1, exec_lo
                                        ; implicit-def: $vgpr3
	s_delay_alu instid0(VALU_DEP_1) | instskip(NEXT) | instid1(VALU_DEP_1)
	v_and_b32_e32 v6, 0x7fffffff, v2
	v_cmpx_gt_u32_e32 0x47800000, v6
	s_xor_b32 s1, exec_lo, s1
	s_cbranch_execz .LBB249_2077
; %bb.2072:
	s_mov_b32 s3, exec_lo
                                        ; implicit-def: $vgpr3
	v_cmpx_lt_u32_e32 0x387fffff, v6
	s_xor_b32 s3, exec_lo, s3
; %bb.2073:
	v_bfe_u32 v3, v2, 21, 1
	s_delay_alu instid0(VALU_DEP_1) | instskip(NEXT) | instid1(VALU_DEP_1)
	v_add3_u32 v3, v2, v3, 0x80fffff
	v_lshrrev_b32_e32 v3, 21, v3
; %bb.2074:
	s_and_not1_saveexec_b32 s3, s3
; %bb.2075:
	v_add_f32_e64 v3, 0x43000000, |v2|
; %bb.2076:
	s_or_b32 exec_lo, exec_lo, s3
                                        ; implicit-def: $vgpr6
.LBB249_2077:
	s_and_not1_saveexec_b32 s1, s1
; %bb.2078:
	v_mov_b32_e32 v3, 0x7f
	v_cmp_lt_u32_e32 vcc_lo, 0x7f800000, v6
	s_delay_alu instid0(VALU_DEP_2)
	v_cndmask_b32_e32 v3, 0x7c, v3, vcc_lo
; %bb.2079:
	s_or_b32 exec_lo, exec_lo, s1
	v_lshrrev_b32_e32 v2, 24, v2
	s_delay_alu instid0(VALU_DEP_1)
	v_and_or_b32 v2, 0x80, v2, v3
	global_store_b8 v[4:5], v2, off
.LBB249_2080:
	s_mov_b32 s1, 0
.LBB249_2081:
	s_delay_alu instid0(SALU_CYCLE_1)
	s_and_not1_b32 vcc_lo, exec_lo, s1
	s_mov_b32 s1, 0
	s_cbranch_vccnz .LBB249_2088
; %bb.2082:
	v_cmp_lt_i16_e32 vcc_lo, 14, v15
	s_mov_b32 s1, -1
	s_cbranch_vccz .LBB249_2086
; %bb.2083:
	v_cmp_eq_u16_e32 vcc_lo, 15, v15
	s_mov_b32 s0, -1
	s_cbranch_vccz .LBB249_2085
; %bb.2084:
	v_cvt_f32_f64_e32 v2, v[0:1]
	s_mov_b32 s0, 0
	s_delay_alu instid0(VALU_DEP_1) | instskip(SKIP_1) | instid1(VALU_DEP_2)
	v_bfe_u32 v3, v2, 16, 1
	v_cmp_o_f32_e32 vcc_lo, v2, v2
	v_add3_u32 v3, v2, v3, 0x7fff
	s_delay_alu instid0(VALU_DEP_1) | instskip(NEXT) | instid1(VALU_DEP_1)
	v_lshrrev_b32_e32 v3, 16, v3
	v_cndmask_b32_e32 v2, 0x7fc0, v3, vcc_lo
	global_store_b16 v[4:5], v2, off
.LBB249_2085:
	s_mov_b32 s1, 0
.LBB249_2086:
	s_delay_alu instid0(SALU_CYCLE_1)
	s_and_b32 vcc_lo, exec_lo, s1
	s_mov_b32 s1, 0
	s_cbranch_vccz .LBB249_2088
; %bb.2087:
	v_cmp_ne_u16_e64 s0, 11, v15
	s_mov_b32 s1, -1
.LBB249_2088:
	s_delay_alu instid0(VALU_DEP_1)
	s_and_b32 vcc_lo, exec_lo, s0
	s_cbranch_vccnz .LBB249_2165
.LBB249_2089:
	s_mov_b32 s0, 0
	s_branch .LBB249_2091
.LBB249_2090:
	s_mov_b32 s0, 0
	s_mov_b32 s1, 0
                                        ; implicit-def: $vgpr4_vgpr5
                                        ; implicit-def: $vgpr15
                                        ; implicit-def: $vgpr0_vgpr1
.LBB249_2091:
	s_and_b32 s3, s0, exec_lo
	s_and_not1_b32 s0, s8, exec_lo
	s_and_b32 s2, s2, exec_lo
	s_and_b32 s26, s1, exec_lo
	s_or_b32 s8, s0, s2
.LBB249_2092:
	s_or_b32 exec_lo, exec_lo, s9
	s_and_saveexec_b32 s0, s8
	s_cbranch_execz .LBB249_2095
; %bb.2093:
	; divergent unreachable
	s_or_b32 exec_lo, exec_lo, s0
	s_and_saveexec_b32 s0, s26
	s_delay_alu instid0(SALU_CYCLE_1)
	s_xor_b32 s0, exec_lo, s0
	s_cbranch_execnz .LBB249_2096
.LBB249_2094:
	s_or_b32 exec_lo, exec_lo, s0
	s_and_saveexec_b32 s0, s3
	s_cbranch_execnz .LBB249_2097
	s_branch .LBB249_2134
.LBB249_2095:
	s_or_b32 exec_lo, exec_lo, s0
	s_and_saveexec_b32 s0, s26
	s_delay_alu instid0(SALU_CYCLE_1)
	s_xor_b32 s0, exec_lo, s0
	s_cbranch_execz .LBB249_2094
.LBB249_2096:
	s_waitcnt vmcnt(0)
	s_delay_alu instid0(VALU_DEP_1)
	v_cmp_neq_f64_e32 vcc_lo, 0, v[0:1]
	v_cndmask_b32_e64 v2, 0, 1, vcc_lo
	global_store_b8 v[4:5], v2, off
	s_or_b32 exec_lo, exec_lo, s0
	s_and_saveexec_b32 s0, s3
	s_cbranch_execz .LBB249_2134
.LBB249_2097:
	v_cmp_gt_i16_e32 vcc_lo, 5, v15
	s_mov_b32 s0, -1
	s_cbranch_vccnz .LBB249_2118
; %bb.2098:
	v_cmp_gt_i16_e32 vcc_lo, 8, v15
	s_cbranch_vccnz .LBB249_2108
; %bb.2099:
	v_cmp_gt_i16_e32 vcc_lo, 9, v15
	s_cbranch_vccnz .LBB249_2105
; %bb.2100:
	v_cmp_lt_i16_e32 vcc_lo, 9, v15
	s_cbranch_vccz .LBB249_2102
; %bb.2101:
	s_waitcnt vmcnt(0)
	v_mov_b32_e32 v2, 0
	s_mov_b32 s0, 0
	s_delay_alu instid0(VALU_DEP_1)
	v_mov_b32_e32 v3, v2
	global_store_b128 v[4:5], v[0:3], off
.LBB249_2102:
	s_and_not1_b32 vcc_lo, exec_lo, s0
	s_cbranch_vccnz .LBB249_2104
; %bb.2103:
	s_waitcnt vmcnt(0)
	v_cvt_f32_f64_e32 v2, v[0:1]
	v_mov_b32_e32 v3, 0
	global_store_b64 v[4:5], v[2:3], off
.LBB249_2104:
	s_mov_b32 s0, 0
.LBB249_2105:
	s_delay_alu instid0(SALU_CYCLE_1)
	s_and_not1_b32 vcc_lo, exec_lo, s0
	s_cbranch_vccnz .LBB249_2107
; %bb.2106:
	s_waitcnt vmcnt(0)
	v_cvt_f32_f64_e32 v2, v[0:1]
	s_delay_alu instid0(VALU_DEP_1) | instskip(NEXT) | instid1(VALU_DEP_1)
	v_cvt_f16_f32_e32 v2, v2
	v_and_b32_e32 v2, 0xffff, v2
	global_store_b32 v[4:5], v2, off
.LBB249_2107:
	s_mov_b32 s0, 0
.LBB249_2108:
	s_delay_alu instid0(SALU_CYCLE_1)
	s_and_not1_b32 vcc_lo, exec_lo, s0
	s_cbranch_vccnz .LBB249_2117
; %bb.2109:
	v_cmp_gt_i16_e32 vcc_lo, 6, v15
	s_mov_b32 s0, -1
	s_cbranch_vccnz .LBB249_2115
; %bb.2110:
	v_cmp_lt_i16_e32 vcc_lo, 6, v15
	s_cbranch_vccz .LBB249_2112
; %bb.2111:
	s_mov_b32 s0, 0
	s_waitcnt vmcnt(0)
	global_store_b64 v[4:5], v[0:1], off
.LBB249_2112:
	s_and_not1_b32 vcc_lo, exec_lo, s0
	s_cbranch_vccnz .LBB249_2114
; %bb.2113:
	s_waitcnt vmcnt(0)
	v_cvt_f32_f64_e32 v2, v[0:1]
	global_store_b32 v[4:5], v2, off
.LBB249_2114:
	s_mov_b32 s0, 0
.LBB249_2115:
	s_delay_alu instid0(SALU_CYCLE_1)
	s_and_not1_b32 vcc_lo, exec_lo, s0
	s_cbranch_vccnz .LBB249_2117
; %bb.2116:
	s_waitcnt vmcnt(0)
	v_cvt_f32_f64_e32 v2, v[0:1]
	s_delay_alu instid0(VALU_DEP_1)
	v_cvt_f16_f32_e32 v2, v2
	global_store_b16 v[4:5], v2, off
.LBB249_2117:
	s_mov_b32 s0, 0
.LBB249_2118:
	s_delay_alu instid0(SALU_CYCLE_1)
	s_and_not1_b32 vcc_lo, exec_lo, s0
	s_cbranch_vccnz .LBB249_2134
; %bb.2119:
	v_cmp_gt_i16_e32 vcc_lo, 2, v15
	s_mov_b32 s0, -1
	s_cbranch_vccnz .LBB249_2129
; %bb.2120:
	v_cmp_gt_i16_e32 vcc_lo, 3, v15
	s_cbranch_vccnz .LBB249_2126
; %bb.2121:
	v_cmp_lt_i16_e32 vcc_lo, 3, v15
	s_cbranch_vccz .LBB249_2123
; %bb.2122:
	s_waitcnt vmcnt(0)
	v_trunc_f64_e32 v[2:3], v[0:1]
	s_mov_b32 s0, 0
	s_delay_alu instid0(VALU_DEP_1) | instskip(NEXT) | instid1(VALU_DEP_1)
	v_ldexp_f64 v[6:7], v[2:3], 0xffffffe0
	v_floor_f64_e32 v[6:7], v[6:7]
	s_delay_alu instid0(VALU_DEP_1) | instskip(SKIP_1) | instid1(VALU_DEP_2)
	v_fma_f64 v[2:3], 0xc1f00000, v[6:7], v[2:3]
	v_cvt_i32_f64_e32 v7, v[6:7]
	v_cvt_u32_f64_e32 v6, v[2:3]
	global_store_b64 v[4:5], v[6:7], off
.LBB249_2123:
	s_and_not1_b32 vcc_lo, exec_lo, s0
	s_cbranch_vccnz .LBB249_2125
; %bb.2124:
	s_waitcnt vmcnt(0)
	v_cvt_i32_f64_e32 v2, v[0:1]
	global_store_b32 v[4:5], v2, off
.LBB249_2125:
	s_mov_b32 s0, 0
.LBB249_2126:
	s_delay_alu instid0(SALU_CYCLE_1)
	s_and_not1_b32 vcc_lo, exec_lo, s0
	s_cbranch_vccnz .LBB249_2128
; %bb.2127:
	s_waitcnt vmcnt(0)
	v_cvt_i32_f64_e32 v2, v[0:1]
	global_store_b16 v[4:5], v2, off
.LBB249_2128:
	s_mov_b32 s0, 0
.LBB249_2129:
	s_delay_alu instid0(SALU_CYCLE_1)
	s_and_not1_b32 vcc_lo, exec_lo, s0
	s_cbranch_vccnz .LBB249_2134
; %bb.2130:
	v_cmp_lt_i16_e32 vcc_lo, 0, v15
	s_mov_b32 s0, -1
	s_cbranch_vccz .LBB249_2132
; %bb.2131:
	s_waitcnt vmcnt(0)
	v_cvt_i32_f64_e32 v2, v[0:1]
	s_mov_b32 s0, 0
	global_store_b8 v[4:5], v2, off
.LBB249_2132:
	s_and_not1_b32 vcc_lo, exec_lo, s0
	s_cbranch_vccnz .LBB249_2134
; %bb.2133:
	s_waitcnt vmcnt(0)
	v_trunc_f64_e32 v[0:1], v[0:1]
	s_delay_alu instid0(VALU_DEP_1) | instskip(NEXT) | instid1(VALU_DEP_1)
	v_ldexp_f64 v[2:3], v[0:1], 0xffffffe0
	v_floor_f64_e32 v[2:3], v[2:3]
	s_delay_alu instid0(VALU_DEP_1) | instskip(NEXT) | instid1(VALU_DEP_1)
	v_fma_f64 v[0:1], 0xc1f00000, v[2:3], v[0:1]
	v_cvt_u32_f64_e32 v0, v[0:1]
	global_store_b8 v[4:5], v0, off
	s_nop 0
	s_sendmsg sendmsg(MSG_DEALLOC_VGPRS)
	s_endpgm
.LBB249_2134:
	s_nop 0
	s_sendmsg sendmsg(MSG_DEALLOC_VGPRS)
	s_endpgm
.LBB249_2135:
	s_cbranch_execnz .LBB249_2139
; %bb.2136:
	s_or_b32 s2, s2, exec_lo
                                        ; implicit-def: $vgpr7_vgpr8
	s_cbranch_execz .LBB249_1608
	s_branch .LBB249_1609
.LBB249_2137:
	s_or_saveexec_b32 s7, s7
                                        ; implicit-def: $sgpr10
	s_delay_alu instid0(SALU_CYCLE_1)
	s_xor_b32 exec_lo, exec_lo, s7
	s_cbranch_execz .LBB249_1688
.LBB249_2138:
	v_add_f32_e64 v3, 0x46000000, |v2|
	s_and_not1_b32 s6, s6, exec_lo
	s_mov_b32 s10, 0
	s_delay_alu instid0(VALU_DEP_1) | instskip(NEXT) | instid1(VALU_DEP_1)
	v_and_b32_e32 v3, 0xff, v3
	v_cmp_ne_u32_e32 vcc_lo, 0, v3
	s_and_b32 s11, vcc_lo, exec_lo
	s_delay_alu instid0(SALU_CYCLE_1)
	s_or_b32 s6, s6, s11
	s_or_b32 exec_lo, exec_lo, s7
	v_mov_b32_e32 v16, s10
	s_and_saveexec_b32 s7, s6
	s_cbranch_execnz .LBB249_1689
	s_branch .LBB249_1690
.LBB249_2139:
	s_trap 2
	s_sendmsg_rtn_b32 s0, sendmsg(MSG_RTN_GET_DOORBELL)
	s_mov_b32 ttmp2, m0
	s_waitcnt lgkmcnt(0)
	s_and_b32 s0, s0, 0x3ff
	s_delay_alu instid0(SALU_CYCLE_1) | instskip(NEXT) | instid1(SALU_CYCLE_1)
	s_bitset1_b32 s0, 10
	s_mov_b32 m0, s0
	s_sendmsg sendmsg(MSG_INTERRUPT)
	s_mov_b32 m0, ttmp2
.LBB249_2140:                           ; =>This Inner Loop Header: Depth=1
	s_sethalt 5
	s_branch .LBB249_2140
.LBB249_2141:
	s_cbranch_execnz .LBB249_2147
; %bb.2142:
	s_or_b32 s2, s2, exec_lo
	s_cbranch_execz .LBB249_1736
	s_branch .LBB249_1737
.LBB249_2143:
	s_or_saveexec_b32 s6, s6
                                        ; implicit-def: $sgpr7
	s_delay_alu instid0(SALU_CYCLE_1)
	s_xor_b32 exec_lo, exec_lo, s6
	s_cbranch_execz .LBB249_1701
.LBB249_2144:
	v_add_f32_e64 v3, 0x42800000, |v2|
	s_and_not1_b32 s3, s3, exec_lo
	s_mov_b32 s7, 0
	s_delay_alu instid0(VALU_DEP_1) | instskip(NEXT) | instid1(VALU_DEP_1)
	v_and_b32_e32 v3, 0xff, v3
	v_cmp_ne_u32_e32 vcc_lo, 0, v3
	s_and_b32 s10, vcc_lo, exec_lo
	s_delay_alu instid0(SALU_CYCLE_1)
	s_or_b32 s3, s3, s10
	s_or_b32 exec_lo, exec_lo, s6
	v_mov_b32_e32 v16, s7
	s_and_saveexec_b32 s6, s3
	s_cbranch_execnz .LBB249_1702
	s_branch .LBB249_1703
.LBB249_2145:
	s_or_saveexec_b32 s7, s7
                                        ; implicit-def: $sgpr10
	s_delay_alu instid0(SALU_CYCLE_1)
	s_xor_b32 exec_lo, exec_lo, s7
	s_cbranch_execz .LBB249_1806
.LBB249_2146:
	v_add_f32_e64 v3, 0x46000000, |v2|
	s_and_not1_b32 s6, s6, exec_lo
	s_mov_b32 s10, 0
	s_delay_alu instid0(VALU_DEP_1) | instskip(NEXT) | instid1(VALU_DEP_1)
	v_and_b32_e32 v3, 0xff, v3
	v_cmp_ne_u32_e32 vcc_lo, 0, v3
	s_and_b32 s11, vcc_lo, exec_lo
	s_delay_alu instid0(SALU_CYCLE_1)
	s_or_b32 s6, s6, s11
	s_or_b32 exec_lo, exec_lo, s7
	v_mov_b32_e32 v6, s10
	s_and_saveexec_b32 s7, s6
	s_cbranch_execnz .LBB249_1807
	s_branch .LBB249_1808
.LBB249_2147:
	s_trap 2
	s_sendmsg_rtn_b32 s0, sendmsg(MSG_RTN_GET_DOORBELL)
	s_mov_b32 ttmp2, m0
	s_waitcnt lgkmcnt(0)
	s_and_b32 s0, s0, 0x3ff
	s_delay_alu instid0(SALU_CYCLE_1) | instskip(NEXT) | instid1(SALU_CYCLE_1)
	s_bitset1_b32 s0, 10
	s_mov_b32 m0, s0
	s_sendmsg sendmsg(MSG_INTERRUPT)
	s_mov_b32 m0, ttmp2
.LBB249_2148:                           ; =>This Inner Loop Header: Depth=1
	s_sethalt 5
	s_branch .LBB249_2148
.LBB249_2149:
	s_cbranch_execnz .LBB249_2155
; %bb.2150:
	s_or_b32 s2, s2, exec_lo
	s_cbranch_execz .LBB249_1854
	s_branch .LBB249_1855
.LBB249_2151:
	s_or_saveexec_b32 s6, s6
                                        ; implicit-def: $sgpr7
	s_delay_alu instid0(SALU_CYCLE_1)
	s_xor_b32 exec_lo, exec_lo, s6
	s_cbranch_execz .LBB249_1819
.LBB249_2152:
	v_add_f32_e64 v3, 0x42800000, |v2|
	s_and_not1_b32 s3, s3, exec_lo
	s_mov_b32 s7, 0
	s_delay_alu instid0(VALU_DEP_1) | instskip(NEXT) | instid1(VALU_DEP_1)
	v_and_b32_e32 v3, 0xff, v3
	v_cmp_ne_u32_e32 vcc_lo, 0, v3
	s_and_b32 s10, vcc_lo, exec_lo
	s_delay_alu instid0(SALU_CYCLE_1)
	s_or_b32 s3, s3, s10
	s_or_b32 exec_lo, exec_lo, s6
	v_mov_b32_e32 v6, s7
	s_and_saveexec_b32 s6, s3
	s_cbranch_execnz .LBB249_1820
	s_branch .LBB249_1821
.LBB249_2153:
	s_or_saveexec_b32 s7, s7
                                        ; implicit-def: $sgpr10
	s_delay_alu instid0(SALU_CYCLE_1)
	s_xor_b32 exec_lo, exec_lo, s7
	s_cbranch_execz .LBB249_1924
.LBB249_2154:
	v_add_f32_e64 v3, 0x46000000, |v2|
	s_and_not1_b32 s6, s6, exec_lo
	s_mov_b32 s10, 0
	s_delay_alu instid0(VALU_DEP_1) | instskip(NEXT) | instid1(VALU_DEP_1)
	v_and_b32_e32 v3, 0xff, v3
	v_cmp_ne_u32_e32 vcc_lo, 0, v3
	s_and_b32 s11, vcc_lo, exec_lo
	s_delay_alu instid0(SALU_CYCLE_1)
	s_or_b32 s6, s6, s11
	s_or_b32 exec_lo, exec_lo, s7
	v_mov_b32_e32 v9, s10
	s_and_saveexec_b32 s7, s6
	s_cbranch_execnz .LBB249_1925
	s_branch .LBB249_1926
.LBB249_2155:
	s_trap 2
	s_sendmsg_rtn_b32 s0, sendmsg(MSG_RTN_GET_DOORBELL)
	s_mov_b32 ttmp2, m0
	s_waitcnt lgkmcnt(0)
	s_and_b32 s0, s0, 0x3ff
	s_delay_alu instid0(SALU_CYCLE_1) | instskip(NEXT) | instid1(SALU_CYCLE_1)
	s_bitset1_b32 s0, 10
	s_mov_b32 m0, s0
	s_sendmsg sendmsg(MSG_INTERRUPT)
	s_mov_b32 m0, ttmp2
.LBB249_2156:                           ; =>This Inner Loop Header: Depth=1
	s_sethalt 5
	s_branch .LBB249_2156
.LBB249_2157:
	s_cbranch_execnz .LBB249_2163
; %bb.2158:
	s_or_b32 s2, s2, exec_lo
	s_cbranch_execz .LBB249_1972
	s_branch .LBB249_1973
.LBB249_2159:
	s_or_saveexec_b32 s6, s6
                                        ; implicit-def: $sgpr7
	s_delay_alu instid0(SALU_CYCLE_1)
	s_xor_b32 exec_lo, exec_lo, s6
	s_cbranch_execz .LBB249_1937
.LBB249_2160:
	v_add_f32_e64 v3, 0x42800000, |v2|
	s_and_not1_b32 s3, s3, exec_lo
	s_mov_b32 s7, 0
	s_delay_alu instid0(VALU_DEP_1) | instskip(NEXT) | instid1(VALU_DEP_1)
	v_and_b32_e32 v3, 0xff, v3
	v_cmp_ne_u32_e32 vcc_lo, 0, v3
	s_and_b32 s10, vcc_lo, exec_lo
	s_delay_alu instid0(SALU_CYCLE_1)
	s_or_b32 s3, s3, s10
	s_or_b32 exec_lo, exec_lo, s6
	v_mov_b32_e32 v9, s7
	s_and_saveexec_b32 s6, s3
	s_cbranch_execnz .LBB249_1938
	s_branch .LBB249_1939
.LBB249_2161:
	s_or_saveexec_b32 s5, s5
                                        ; implicit-def: $sgpr6
	s_delay_alu instid0(SALU_CYCLE_1)
	s_xor_b32 exec_lo, exec_lo, s5
	s_cbranch_execz .LBB249_2043
.LBB249_2162:
	v_add_f32_e64 v3, 0x46000000, |v2|
	s_and_not1_b32 s4, s4, exec_lo
	s_mov_b32 s6, 0
	s_delay_alu instid0(VALU_DEP_1) | instskip(NEXT) | instid1(VALU_DEP_1)
	v_and_b32_e32 v3, 0xff, v3
	v_cmp_ne_u32_e32 vcc_lo, 0, v3
	s_and_b32 s7, vcc_lo, exec_lo
	s_delay_alu instid0(SALU_CYCLE_1)
	s_or_b32 s4, s4, s7
	s_or_b32 exec_lo, exec_lo, s5
	v_mov_b32_e32 v6, s6
	s_and_saveexec_b32 s5, s4
	s_cbranch_execnz .LBB249_2044
	s_branch .LBB249_2045
.LBB249_2163:
	s_trap 2
	s_sendmsg_rtn_b32 s0, sendmsg(MSG_RTN_GET_DOORBELL)
	s_mov_b32 ttmp2, m0
	s_waitcnt lgkmcnt(0)
	s_and_b32 s0, s0, 0x3ff
	s_delay_alu instid0(SALU_CYCLE_1) | instskip(NEXT) | instid1(SALU_CYCLE_1)
	s_bitset1_b32 s0, 10
	s_mov_b32 m0, s0
	s_sendmsg sendmsg(MSG_INTERRUPT)
	s_mov_b32 m0, ttmp2
.LBB249_2164:                           ; =>This Inner Loop Header: Depth=1
	s_sethalt 5
	s_branch .LBB249_2164
.LBB249_2165:
	s_cbranch_execnz .LBB249_2169
; %bb.2166:
	s_mov_b32 s1, 0
	s_or_b32 s2, s2, exec_lo
	s_branch .LBB249_2089
.LBB249_2167:
	s_or_saveexec_b32 s4, s4
                                        ; implicit-def: $sgpr5
	s_delay_alu instid0(SALU_CYCLE_1)
	s_xor_b32 exec_lo, exec_lo, s4
	s_cbranch_execz .LBB249_2055
.LBB249_2168:
	v_add_f32_e64 v3, 0x42800000, |v2|
	s_and_not1_b32 s3, s3, exec_lo
	s_mov_b32 s5, 0
	s_delay_alu instid0(VALU_DEP_1) | instskip(NEXT) | instid1(VALU_DEP_1)
	v_and_b32_e32 v3, 0xff, v3
	v_cmp_ne_u32_e32 vcc_lo, 0, v3
	s_and_b32 s6, vcc_lo, exec_lo
	s_delay_alu instid0(SALU_CYCLE_1)
	s_or_b32 s3, s3, s6
	s_or_b32 exec_lo, exec_lo, s4
	v_mov_b32_e32 v6, s5
	s_and_saveexec_b32 s4, s3
	s_cbranch_execnz .LBB249_2056
	s_branch .LBB249_2057
.LBB249_2169:
	s_trap 2
	s_sendmsg_rtn_b32 s0, sendmsg(MSG_RTN_GET_DOORBELL)
	s_mov_b32 ttmp2, m0
	s_waitcnt lgkmcnt(0)
	s_and_b32 s0, s0, 0x3ff
	s_delay_alu instid0(SALU_CYCLE_1) | instskip(NEXT) | instid1(SALU_CYCLE_1)
	s_bitset1_b32 s0, 10
	s_mov_b32 m0, s0
	s_sendmsg sendmsg(MSG_INTERRUPT)
	s_mov_b32 m0, ttmp2
.LBB249_2170:                           ; =>This Inner Loop Header: Depth=1
	s_sethalt 5
	s_branch .LBB249_2170
	.section	.rodata,"a",@progbits
	.p2align	6, 0x0
	.amdhsa_kernel _ZN2at6native32elementwise_kernel_manual_unrollILi128ELi4EZNS0_15gpu_kernel_implIZZZNS0_16sqrt_kernel_cudaERNS_18TensorIteratorBaseEENKUlvE0_clEvENKUlvE_clEvEUldE_EEvS4_RKT_EUlibE0_EEviT1_
		.amdhsa_group_segment_fixed_size 0
		.amdhsa_private_segment_fixed_size 0
		.amdhsa_kernarg_size 360
		.amdhsa_user_sgpr_count 15
		.amdhsa_user_sgpr_dispatch_ptr 0
		.amdhsa_user_sgpr_queue_ptr 0
		.amdhsa_user_sgpr_kernarg_segment_ptr 1
		.amdhsa_user_sgpr_dispatch_id 0
		.amdhsa_user_sgpr_private_segment_size 0
		.amdhsa_wavefront_size32 1
		.amdhsa_uses_dynamic_stack 0
		.amdhsa_enable_private_segment 0
		.amdhsa_system_sgpr_workgroup_id_x 1
		.amdhsa_system_sgpr_workgroup_id_y 0
		.amdhsa_system_sgpr_workgroup_id_z 0
		.amdhsa_system_sgpr_workgroup_info 0
		.amdhsa_system_vgpr_workitem_id 0
		.amdhsa_next_free_vgpr 19
		.amdhsa_next_free_sgpr 68
		.amdhsa_reserve_vcc 1
		.amdhsa_float_round_mode_32 0
		.amdhsa_float_round_mode_16_64 0
		.amdhsa_float_denorm_mode_32 3
		.amdhsa_float_denorm_mode_16_64 3
		.amdhsa_dx10_clamp 1
		.amdhsa_ieee_mode 1
		.amdhsa_fp16_overflow 0
		.amdhsa_workgroup_processor_mode 1
		.amdhsa_memory_ordered 1
		.amdhsa_forward_progress 0
		.amdhsa_shared_vgpr_count 0
		.amdhsa_exception_fp_ieee_invalid_op 0
		.amdhsa_exception_fp_denorm_src 0
		.amdhsa_exception_fp_ieee_div_zero 0
		.amdhsa_exception_fp_ieee_overflow 0
		.amdhsa_exception_fp_ieee_underflow 0
		.amdhsa_exception_fp_ieee_inexact 0
		.amdhsa_exception_int_div_zero 0
	.end_amdhsa_kernel
	.section	.text._ZN2at6native32elementwise_kernel_manual_unrollILi128ELi4EZNS0_15gpu_kernel_implIZZZNS0_16sqrt_kernel_cudaERNS_18TensorIteratorBaseEENKUlvE0_clEvENKUlvE_clEvEUldE_EEvS4_RKT_EUlibE0_EEviT1_,"axG",@progbits,_ZN2at6native32elementwise_kernel_manual_unrollILi128ELi4EZNS0_15gpu_kernel_implIZZZNS0_16sqrt_kernel_cudaERNS_18TensorIteratorBaseEENKUlvE0_clEvENKUlvE_clEvEUldE_EEvS4_RKT_EUlibE0_EEviT1_,comdat
.Lfunc_end249:
	.size	_ZN2at6native32elementwise_kernel_manual_unrollILi128ELi4EZNS0_15gpu_kernel_implIZZZNS0_16sqrt_kernel_cudaERNS_18TensorIteratorBaseEENKUlvE0_clEvENKUlvE_clEvEUldE_EEvS4_RKT_EUlibE0_EEviT1_, .Lfunc_end249-_ZN2at6native32elementwise_kernel_manual_unrollILi128ELi4EZNS0_15gpu_kernel_implIZZZNS0_16sqrt_kernel_cudaERNS_18TensorIteratorBaseEENKUlvE0_clEvENKUlvE_clEvEUldE_EEvS4_RKT_EUlibE0_EEviT1_
                                        ; -- End function
	.section	.AMDGPU.csdata,"",@progbits
; Kernel info:
; codeLenInByte = 42524
; NumSgprs: 70
; NumVgprs: 19
; ScratchSize: 0
; MemoryBound: 1
; FloatMode: 240
; IeeeMode: 1
; LDSByteSize: 0 bytes/workgroup (compile time only)
; SGPRBlocks: 8
; VGPRBlocks: 2
; NumSGPRsForWavesPerEU: 70
; NumVGPRsForWavesPerEU: 19
; Occupancy: 16
; WaveLimiterHint : 1
; COMPUTE_PGM_RSRC2:SCRATCH_EN: 0
; COMPUTE_PGM_RSRC2:USER_SGPR: 15
; COMPUTE_PGM_RSRC2:TRAP_HANDLER: 0
; COMPUTE_PGM_RSRC2:TGID_X_EN: 1
; COMPUTE_PGM_RSRC2:TGID_Y_EN: 0
; COMPUTE_PGM_RSRC2:TGID_Z_EN: 0
; COMPUTE_PGM_RSRC2:TIDIG_COMP_CNT: 0
	.section	.text._ZN2at6native29vectorized_elementwise_kernelILi16EZZZNS0_16sqrt_kernel_cudaERNS_18TensorIteratorBaseEENKUlvE0_clEvENKUlvE0_clEvEUlfE_St5arrayIPcLm2EEEEviT0_T1_,"axG",@progbits,_ZN2at6native29vectorized_elementwise_kernelILi16EZZZNS0_16sqrt_kernel_cudaERNS_18TensorIteratorBaseEENKUlvE0_clEvENKUlvE0_clEvEUlfE_St5arrayIPcLm2EEEEviT0_T1_,comdat
	.globl	_ZN2at6native29vectorized_elementwise_kernelILi16EZZZNS0_16sqrt_kernel_cudaERNS_18TensorIteratorBaseEENKUlvE0_clEvENKUlvE0_clEvEUlfE_St5arrayIPcLm2EEEEviT0_T1_ ; -- Begin function _ZN2at6native29vectorized_elementwise_kernelILi16EZZZNS0_16sqrt_kernel_cudaERNS_18TensorIteratorBaseEENKUlvE0_clEvENKUlvE0_clEvEUlfE_St5arrayIPcLm2EEEEviT0_T1_
	.p2align	8
	.type	_ZN2at6native29vectorized_elementwise_kernelILi16EZZZNS0_16sqrt_kernel_cudaERNS_18TensorIteratorBaseEENKUlvE0_clEvENKUlvE0_clEvEUlfE_St5arrayIPcLm2EEEEviT0_T1_,@function
_ZN2at6native29vectorized_elementwise_kernelILi16EZZZNS0_16sqrt_kernel_cudaERNS_18TensorIteratorBaseEENKUlvE0_clEvENKUlvE0_clEvEUlfE_St5arrayIPcLm2EEEEviT0_T1_: ; @_ZN2at6native29vectorized_elementwise_kernelILi16EZZZNS0_16sqrt_kernel_cudaERNS_18TensorIteratorBaseEENKUlvE0_clEvENKUlvE0_clEvEUlfE_St5arrayIPcLm2EEEEviT0_T1_
; %bb.0:
	s_clause 0x1
	s_load_b32 s2, s[0:1], 0x0
	s_load_b128 s[8:11], s[0:1], 0x8
	s_lshl_b32 s6, s15, 10
	s_mov_b32 s0, -1
	s_waitcnt lgkmcnt(0)
	s_sub_i32 s12, s2, s6
	s_delay_alu instid0(SALU_CYCLE_1)
	s_cmpk_gt_i32 s12, 0x3ff
	s_cbranch_scc0 .LBB250_2
; %bb.1:
	s_ashr_i32 s7, s6, 31
	v_lshlrev_b32_e32 v5, 4, v0
	s_lshl_b64 s[4:5], s[6:7], 2
	s_delay_alu instid0(SALU_CYCLE_1)
	s_add_u32 s0, s10, s4
	s_addc_u32 s1, s11, s5
	global_load_b128 v[1:4], v5, s[0:1]
	s_waitcnt vmcnt(0)
	v_dual_mul_f32 v6, 0x4f800000, v1 :: v_dual_mul_f32 v7, 0x4f800000, v2
	v_mul_f32_e32 v8, 0x4f800000, v3
	v_cmp_gt_f32_e64 s0, 0xf800000, v2
	v_cmp_gt_f32_e32 vcc_lo, 0xf800000, v1
	v_cmp_gt_f32_e64 s1, 0xf800000, v3
	v_cmp_gt_f32_e64 s2, 0xf800000, v4
	s_delay_alu instid0(VALU_DEP_4) | instskip(NEXT) | instid1(VALU_DEP_3)
	v_cndmask_b32_e64 v2, v2, v7, s0
	v_cndmask_b32_e64 v3, v3, v8, s1
	s_delay_alu instid0(VALU_DEP_2) | instskip(SKIP_1) | instid1(VALU_DEP_2)
	v_sqrt_f32_e32 v7, v2
	v_cndmask_b32_e32 v1, v1, v6, vcc_lo
	v_sqrt_f32_e32 v8, v3
	s_waitcnt_depctr 0xfff
	v_add_nc_u32_e32 v12, -1, v7
	v_sqrt_f32_e32 v6, v1
	v_mul_f32_e32 v9, 0x4f800000, v4
	v_add_nc_u32_e32 v14, -1, v8
	v_add_nc_u32_e32 v13, 1, v7
	v_fma_f32 v20, -v12, v7, v2
	v_add_nc_u32_e32 v15, 1, v8
	s_delay_alu instid0(VALU_DEP_4) | instskip(NEXT) | instid1(VALU_DEP_4)
	v_fma_f32 v22, -v14, v8, v3
	v_fma_f32 v21, -v13, v7, v2
	s_delay_alu instid0(TRANS32_DEP_1) | instskip(SKIP_3) | instid1(VALU_DEP_4)
	v_add_nc_u32_e32 v10, -1, v6
	v_cndmask_b32_e64 v4, v4, v9, s2
	v_add_nc_u32_e32 v11, 1, v6
	v_fma_f32 v23, -v15, v8, v3
	v_fma_f32 v18, -v10, v6, v1
	s_delay_alu instid0(VALU_DEP_4) | instskip(NEXT) | instid1(VALU_DEP_3)
	v_sqrt_f32_e32 v9, v4
	v_fma_f32 v19, -v11, v6, v1
	s_delay_alu instid0(VALU_DEP_2) | instskip(NEXT) | instid1(VALU_DEP_1)
	v_cmp_ge_f32_e64 s3, 0, v18
	v_cndmask_b32_e64 v6, v6, v10, s3
	s_waitcnt_depctr 0xfff
	v_add_nc_u32_e32 v16, -1, v9
	v_cmp_ge_f32_e64 s3, 0, v20
	v_add_nc_u32_e32 v17, 1, v9
	s_delay_alu instid0(VALU_DEP_3) | instskip(NEXT) | instid1(VALU_DEP_3)
	v_fma_f32 v24, -v16, v9, v4
	v_cndmask_b32_e64 v7, v7, v12, s3
	v_cmp_ge_f32_e64 s3, 0, v22
	s_delay_alu instid0(VALU_DEP_4) | instskip(NEXT) | instid1(VALU_DEP_2)
	v_fma_f32 v25, -v17, v9, v4
	v_cndmask_b32_e64 v8, v8, v14, s3
	v_cmp_ge_f32_e64 s3, 0, v24
	s_delay_alu instid0(VALU_DEP_1) | instskip(SKIP_1) | instid1(VALU_DEP_1)
	v_cndmask_b32_e64 v9, v9, v16, s3
	v_cmp_lt_f32_e64 s3, 0, v19
	v_cndmask_b32_e64 v6, v6, v11, s3
	v_cmp_lt_f32_e64 s3, 0, v21
	s_delay_alu instid0(VALU_DEP_2) | instskip(NEXT) | instid1(VALU_DEP_2)
	v_mul_f32_e32 v10, 0x37800000, v6
	v_cndmask_b32_e64 v7, v7, v13, s3
	v_cmp_lt_f32_e64 s3, 0, v23
	s_delay_alu instid0(VALU_DEP_2) | instskip(NEXT) | instid1(VALU_DEP_2)
	v_dual_cndmask_b32 v6, v6, v10 :: v_dual_mul_f32 v11, 0x37800000, v7
	v_cndmask_b32_e64 v8, v8, v15, s3
	v_cmp_class_f32_e64 vcc_lo, v1, 0x260
	v_cmp_lt_f32_e64 s3, 0, v25
	s_delay_alu instid0(VALU_DEP_4) | instskip(NEXT) | instid1(VALU_DEP_4)
	v_cndmask_b32_e64 v7, v7, v11, s0
	v_dual_mul_f32 v12, 0x37800000, v8 :: v_dual_cndmask_b32 v1, v6, v1
	v_cmp_class_f32_e64 vcc_lo, v2, 0x260
	s_mov_b32 s0, 0
	s_delay_alu instid0(VALU_DEP_2) | instskip(SKIP_3) | instid1(VALU_DEP_4)
	v_cndmask_b32_e64 v8, v8, v12, s1
	v_cndmask_b32_e32 v2, v7, v2, vcc_lo
	v_cndmask_b32_e64 v9, v9, v17, s3
	v_cmp_class_f32_e64 vcc_lo, v3, 0x260
	v_cndmask_b32_e32 v3, v8, v3, vcc_lo
	v_cmp_class_f32_e64 vcc_lo, v4, 0x260
	s_delay_alu instid0(VALU_DEP_4) | instskip(NEXT) | instid1(VALU_DEP_1)
	v_mul_f32_e32 v13, 0x37800000, v9
	v_cndmask_b32_e64 v9, v9, v13, s2
	s_add_u32 s2, s8, s4
	s_addc_u32 s3, s9, s5
	s_delay_alu instid0(VALU_DEP_1)
	v_cndmask_b32_e32 v4, v9, v4, vcc_lo
	global_store_b128 v5, v[1:4], s[2:3]
.LBB250_2:
	s_and_not1_b32 vcc_lo, exec_lo, s0
	s_cbranch_vccnz .LBB250_16
; %bb.3:
	v_cmp_gt_i32_e32 vcc_lo, s12, v0
	v_dual_mov_b32 v4, 0 :: v_dual_mov_b32 v7, v0
	v_or_b32_e32 v1, s6, v0
	v_or_b32_e32 v3, 0x100, v0
	v_mov_b32_e32 v2, 0
	s_and_saveexec_b32 s1, vcc_lo
	s_cbranch_execz .LBB250_5
; %bb.4:
	v_mov_b32_e32 v2, 0
	v_or_b32_e32 v7, 0x100, v0
	s_delay_alu instid0(VALU_DEP_2) | instskip(NEXT) | instid1(VALU_DEP_1)
	v_lshlrev_b64 v[5:6], 2, v[1:2]
	v_add_co_u32 v5, s0, s10, v5
	s_delay_alu instid0(VALU_DEP_1)
	v_add_co_ci_u32_e64 v6, s0, s11, v6, s0
	global_load_b32 v2, v[5:6], off
.LBB250_5:
	s_or_b32 exec_lo, exec_lo, s1
	s_delay_alu instid0(SALU_CYCLE_1)
	s_mov_b32 s1, exec_lo
	v_cmpx_gt_i32_e64 s12, v7
	s_cbranch_execz .LBB250_7
; %bb.6:
	v_dual_mov_b32 v5, 0 :: v_dual_add_nc_u32 v4, s6, v7
	v_add_nc_u32_e32 v7, 0x100, v7
	s_delay_alu instid0(VALU_DEP_2) | instskip(NEXT) | instid1(VALU_DEP_1)
	v_lshlrev_b64 v[4:5], 2, v[4:5]
	v_add_co_u32 v4, s0, s10, v4
	s_delay_alu instid0(VALU_DEP_1)
	v_add_co_ci_u32_e64 v5, s0, s11, v5, s0
	global_load_b32 v4, v[4:5], off
.LBB250_7:
	s_or_b32 exec_lo, exec_lo, s1
	v_dual_mov_b32 v5, 0 :: v_dual_mov_b32 v6, 0
	s_mov_b32 s1, exec_lo
	v_cmpx_gt_i32_e64 s12, v7
	s_cbranch_execz .LBB250_9
; %bb.8:
	v_dual_mov_b32 v9, 0 :: v_dual_add_nc_u32 v8, s6, v7
	v_add_nc_u32_e32 v7, 0x100, v7
	s_delay_alu instid0(VALU_DEP_2) | instskip(NEXT) | instid1(VALU_DEP_1)
	v_lshlrev_b64 v[8:9], 2, v[8:9]
	v_add_co_u32 v8, s0, s10, v8
	s_delay_alu instid0(VALU_DEP_1)
	v_add_co_ci_u32_e64 v9, s0, s11, v9, s0
	global_load_b32 v6, v[8:9], off
.LBB250_9:
	s_or_b32 exec_lo, exec_lo, s1
	s_delay_alu instid0(SALU_CYCLE_1)
	s_mov_b32 s1, exec_lo
	v_cmpx_gt_i32_e64 s12, v7
	s_cbranch_execz .LBB250_11
; %bb.10:
	v_dual_mov_b32 v8, 0 :: v_dual_add_nc_u32 v7, s6, v7
	s_delay_alu instid0(VALU_DEP_1) | instskip(NEXT) | instid1(VALU_DEP_1)
	v_lshlrev_b64 v[7:8], 2, v[7:8]
	v_add_co_u32 v7, s0, s10, v7
	s_delay_alu instid0(VALU_DEP_1)
	v_add_co_ci_u32_e64 v8, s0, s11, v8, s0
	global_load_b32 v5, v[7:8], off
.LBB250_11:
	s_or_b32 exec_lo, exec_lo, s1
	s_waitcnt vmcnt(0)
	v_dual_mul_f32 v7, 0x4f800000, v2 :: v_dual_mul_f32 v8, 0x4f800000, v4
	v_cmp_gt_f32_e64 s0, 0xf800000, v2
	v_dual_mul_f32 v9, 0x4f800000, v6 :: v_dual_mul_f32 v10, 0x4f800000, v5
	v_cmp_gt_f32_e64 s1, 0xf800000, v4
	v_cmp_gt_f32_e64 s2, 0xf800000, v6
	s_delay_alu instid0(VALU_DEP_4) | instskip(SKIP_1) | instid1(VALU_DEP_4)
	v_cndmask_b32_e64 v2, v2, v7, s0
	v_cmp_gt_f32_e64 s3, 0xf800000, v5
	v_cndmask_b32_e64 v4, v4, v8, s1
	s_delay_alu instid0(VALU_DEP_4) | instskip(NEXT) | instid1(VALU_DEP_4)
	v_cndmask_b32_e64 v8, v6, v9, s2
	v_sqrt_f32_e32 v6, v2
	s_delay_alu instid0(VALU_DEP_3) | instskip(NEXT) | instid1(VALU_DEP_3)
	v_cndmask_b32_e64 v9, v5, v10, s3
	v_sqrt_f32_e32 v5, v4
	s_delay_alu instid0(VALU_DEP_2) | instskip(NEXT) | instid1(VALU_DEP_1)
	v_sqrt_f32_e32 v7, v8
	v_sqrt_f32_e32 v10, v9
	v_add_nc_u32_e32 v11, -1, v6
	v_add_nc_u32_e32 v12, 1, v6
	s_delay_alu instid0(TRANS32_DEP_3)
	v_add_nc_u32_e32 v13, -1, v5
	s_waitcnt_depctr 0xfff
	v_add_nc_u32_e32 v15, -1, v7
	v_fma_f32 v18, -v11, v6, v2
	v_fma_f32 v20, -v12, v6, v2
	v_add_nc_u32_e32 v17, -1, v10
	v_fma_f32 v21, -v13, v5, v4
	v_add_nc_u32_e32 v16, 1, v7
	v_cmp_ge_f32_e64 s4, 0, v18
	v_add_nc_u32_e32 v19, 1, v10
	v_fma_f32 v23, -v17, v10, v9
	s_delay_alu instid0(VALU_DEP_4) | instskip(NEXT) | instid1(VALU_DEP_4)
	v_fma_f32 v18, -v16, v7, v8
	v_cndmask_b32_e64 v6, v6, v11, s4
	v_cmp_lt_f32_e64 s4, 0, v20
	v_fma_f32 v11, -v15, v7, v8
	s_delay_alu instid0(VALU_DEP_2) | instskip(SKIP_2) | instid1(VALU_DEP_2)
	v_cndmask_b32_e64 v6, v6, v12, s4
	v_add_nc_u32_e32 v14, 1, v5
	v_cmp_ge_f32_e64 s4, 0, v21
	v_fma_f32 v22, -v14, v5, v4
	s_delay_alu instid0(VALU_DEP_2) | instskip(SKIP_2) | instid1(VALU_DEP_2)
	v_cndmask_b32_e64 v5, v5, v13, s4
	v_cmp_ge_f32_e64 s4, 0, v11
	v_mul_f32_e32 v11, 0x37800000, v6
	v_cndmask_b32_e64 v7, v7, v15, s4
	v_cmp_ge_f32_e64 s4, 0, v23
	s_delay_alu instid0(VALU_DEP_3) | instskip(SKIP_1) | instid1(VALU_DEP_3)
	v_cndmask_b32_e64 v6, v6, v11, s0
	v_cmp_class_f32_e64 s0, v2, 0x260
	v_cndmask_b32_e64 v12, v10, v17, s4
	v_cmp_lt_f32_e64 s4, 0, v22
	v_fma_f32 v10, -v19, v10, v9
	s_delay_alu instid0(VALU_DEP_2) | instskip(SKIP_1) | instid1(VALU_DEP_1)
	v_cndmask_b32_e64 v5, v5, v14, s4
	v_cmp_lt_f32_e64 s4, 0, v18
	v_cndmask_b32_e64 v13, v7, v16, s4
	s_delay_alu instid0(VALU_DEP_4) | instskip(NEXT) | instid1(VALU_DEP_4)
	v_cmp_lt_f32_e64 s4, 0, v10
	v_mul_f32_e32 v7, 0x37800000, v5
	s_delay_alu instid0(VALU_DEP_3) | instskip(NEXT) | instid1(VALU_DEP_3)
	v_mul_f32_e32 v11, 0x37800000, v13
	v_cndmask_b32_e64 v10, v12, v19, s4
	s_delay_alu instid0(VALU_DEP_3) | instskip(SKIP_4) | instid1(VALU_DEP_3)
	v_cndmask_b32_e64 v5, v5, v7, s1
	v_cndmask_b32_e64 v7, v6, v2, s0
	v_cmp_class_f32_e64 s0, v4, 0x260
	v_cndmask_b32_e64 v2, v13, v11, s2
	v_mul_f32_e32 v12, 0x37800000, v10
	v_cndmask_b32_e64 v6, v5, v4, s0
	v_cmp_class_f32_e64 s0, v8, 0x260
	s_delay_alu instid0(VALU_DEP_3) | instskip(NEXT) | instid1(VALU_DEP_2)
	v_cndmask_b32_e64 v10, v10, v12, s3
	v_cndmask_b32_e64 v5, v2, v8, s0
	v_cmp_class_f32_e64 s0, v9, 0x260
	s_delay_alu instid0(VALU_DEP_1)
	v_cndmask_b32_e64 v4, v10, v9, s0
	s_and_saveexec_b32 s0, vcc_lo
	s_cbranch_execnz .LBB250_17
; %bb.12:
	s_or_b32 exec_lo, exec_lo, s0
	s_delay_alu instid0(SALU_CYCLE_1)
	s_mov_b32 s0, exec_lo
	v_cmpx_gt_i32_e64 s12, v0
	s_cbranch_execnz .LBB250_18
.LBB250_13:
	s_or_b32 exec_lo, exec_lo, s0
	s_delay_alu instid0(SALU_CYCLE_1)
	s_mov_b32 s0, exec_lo
	v_cmpx_gt_i32_e64 s12, v0
	s_cbranch_execnz .LBB250_19
.LBB250_14:
	s_or_b32 exec_lo, exec_lo, s0
	s_delay_alu instid0(SALU_CYCLE_1)
	s_mov_b32 s0, exec_lo
	v_cmpx_gt_i32_e64 s12, v0
	s_cbranch_execz .LBB250_16
.LBB250_15:
	v_dual_mov_b32 v1, 0 :: v_dual_add_nc_u32 v0, s6, v0
	s_delay_alu instid0(VALU_DEP_1) | instskip(NEXT) | instid1(VALU_DEP_1)
	v_lshlrev_b64 v[0:1], 2, v[0:1]
	v_add_co_u32 v0, vcc_lo, s8, v0
	s_delay_alu instid0(VALU_DEP_2)
	v_add_co_ci_u32_e32 v1, vcc_lo, s9, v1, vcc_lo
	global_store_b32 v[0:1], v4, off
.LBB250_16:
	s_nop 0
	s_sendmsg sendmsg(MSG_DEALLOC_VGPRS)
	s_endpgm
.LBB250_17:
	v_mov_b32_e32 v2, 0
	s_delay_alu instid0(VALU_DEP_1) | instskip(NEXT) | instid1(VALU_DEP_1)
	v_lshlrev_b64 v[0:1], 2, v[1:2]
	v_add_co_u32 v8, vcc_lo, s8, v0
	s_delay_alu instid0(VALU_DEP_2) | instskip(SKIP_3) | instid1(SALU_CYCLE_1)
	v_add_co_ci_u32_e32 v9, vcc_lo, s9, v1, vcc_lo
	v_mov_b32_e32 v0, v3
	global_store_b32 v[8:9], v7, off
	s_or_b32 exec_lo, exec_lo, s0
	s_mov_b32 s0, exec_lo
	v_cmpx_gt_i32_e64 s12, v0
	s_cbranch_execz .LBB250_13
.LBB250_18:
	v_dual_mov_b32 v2, 0 :: v_dual_add_nc_u32 v1, s6, v0
	v_add_nc_u32_e32 v0, 0x100, v0
	s_delay_alu instid0(VALU_DEP_2) | instskip(NEXT) | instid1(VALU_DEP_1)
	v_lshlrev_b64 v[1:2], 2, v[1:2]
	v_add_co_u32 v1, vcc_lo, s8, v1
	s_delay_alu instid0(VALU_DEP_2) | instskip(SKIP_2) | instid1(SALU_CYCLE_1)
	v_add_co_ci_u32_e32 v2, vcc_lo, s9, v2, vcc_lo
	global_store_b32 v[1:2], v6, off
	s_or_b32 exec_lo, exec_lo, s0
	s_mov_b32 s0, exec_lo
	v_cmpx_gt_i32_e64 s12, v0
	s_cbranch_execz .LBB250_14
.LBB250_19:
	v_dual_mov_b32 v2, 0 :: v_dual_add_nc_u32 v1, s6, v0
	v_add_nc_u32_e32 v0, 0x100, v0
	s_delay_alu instid0(VALU_DEP_2) | instskip(NEXT) | instid1(VALU_DEP_1)
	v_lshlrev_b64 v[1:2], 2, v[1:2]
	v_add_co_u32 v1, vcc_lo, s8, v1
	s_delay_alu instid0(VALU_DEP_2) | instskip(SKIP_2) | instid1(SALU_CYCLE_1)
	v_add_co_ci_u32_e32 v2, vcc_lo, s9, v2, vcc_lo
	global_store_b32 v[1:2], v5, off
	s_or_b32 exec_lo, exec_lo, s0
	s_mov_b32 s0, exec_lo
	v_cmpx_gt_i32_e64 s12, v0
	s_cbranch_execnz .LBB250_15
	s_branch .LBB250_16
	.section	.rodata,"a",@progbits
	.p2align	6, 0x0
	.amdhsa_kernel _ZN2at6native29vectorized_elementwise_kernelILi16EZZZNS0_16sqrt_kernel_cudaERNS_18TensorIteratorBaseEENKUlvE0_clEvENKUlvE0_clEvEUlfE_St5arrayIPcLm2EEEEviT0_T1_
		.amdhsa_group_segment_fixed_size 0
		.amdhsa_private_segment_fixed_size 0
		.amdhsa_kernarg_size 24
		.amdhsa_user_sgpr_count 15
		.amdhsa_user_sgpr_dispatch_ptr 0
		.amdhsa_user_sgpr_queue_ptr 0
		.amdhsa_user_sgpr_kernarg_segment_ptr 1
		.amdhsa_user_sgpr_dispatch_id 0
		.amdhsa_user_sgpr_private_segment_size 0
		.amdhsa_wavefront_size32 1
		.amdhsa_uses_dynamic_stack 0
		.amdhsa_enable_private_segment 0
		.amdhsa_system_sgpr_workgroup_id_x 1
		.amdhsa_system_sgpr_workgroup_id_y 0
		.amdhsa_system_sgpr_workgroup_id_z 0
		.amdhsa_system_sgpr_workgroup_info 0
		.amdhsa_system_vgpr_workitem_id 0
		.amdhsa_next_free_vgpr 26
		.amdhsa_next_free_sgpr 16
		.amdhsa_reserve_vcc 1
		.amdhsa_float_round_mode_32 0
		.amdhsa_float_round_mode_16_64 0
		.amdhsa_float_denorm_mode_32 3
		.amdhsa_float_denorm_mode_16_64 3
		.amdhsa_dx10_clamp 1
		.amdhsa_ieee_mode 1
		.amdhsa_fp16_overflow 0
		.amdhsa_workgroup_processor_mode 1
		.amdhsa_memory_ordered 1
		.amdhsa_forward_progress 0
		.amdhsa_shared_vgpr_count 0
		.amdhsa_exception_fp_ieee_invalid_op 0
		.amdhsa_exception_fp_denorm_src 0
		.amdhsa_exception_fp_ieee_div_zero 0
		.amdhsa_exception_fp_ieee_overflow 0
		.amdhsa_exception_fp_ieee_underflow 0
		.amdhsa_exception_fp_ieee_inexact 0
		.amdhsa_exception_int_div_zero 0
	.end_amdhsa_kernel
	.section	.text._ZN2at6native29vectorized_elementwise_kernelILi16EZZZNS0_16sqrt_kernel_cudaERNS_18TensorIteratorBaseEENKUlvE0_clEvENKUlvE0_clEvEUlfE_St5arrayIPcLm2EEEEviT0_T1_,"axG",@progbits,_ZN2at6native29vectorized_elementwise_kernelILi16EZZZNS0_16sqrt_kernel_cudaERNS_18TensorIteratorBaseEENKUlvE0_clEvENKUlvE0_clEvEUlfE_St5arrayIPcLm2EEEEviT0_T1_,comdat
.Lfunc_end250:
	.size	_ZN2at6native29vectorized_elementwise_kernelILi16EZZZNS0_16sqrt_kernel_cudaERNS_18TensorIteratorBaseEENKUlvE0_clEvENKUlvE0_clEvEUlfE_St5arrayIPcLm2EEEEviT0_T1_, .Lfunc_end250-_ZN2at6native29vectorized_elementwise_kernelILi16EZZZNS0_16sqrt_kernel_cudaERNS_18TensorIteratorBaseEENKUlvE0_clEvENKUlvE0_clEvEUlfE_St5arrayIPcLm2EEEEviT0_T1_
                                        ; -- End function
	.section	.AMDGPU.csdata,"",@progbits
; Kernel info:
; codeLenInByte = 1876
; NumSgprs: 18
; NumVgprs: 26
; ScratchSize: 0
; MemoryBound: 0
; FloatMode: 240
; IeeeMode: 1
; LDSByteSize: 0 bytes/workgroup (compile time only)
; SGPRBlocks: 2
; VGPRBlocks: 3
; NumSGPRsForWavesPerEU: 18
; NumVGPRsForWavesPerEU: 26
; Occupancy: 16
; WaveLimiterHint : 0
; COMPUTE_PGM_RSRC2:SCRATCH_EN: 0
; COMPUTE_PGM_RSRC2:USER_SGPR: 15
; COMPUTE_PGM_RSRC2:TRAP_HANDLER: 0
; COMPUTE_PGM_RSRC2:TGID_X_EN: 1
; COMPUTE_PGM_RSRC2:TGID_Y_EN: 0
; COMPUTE_PGM_RSRC2:TGID_Z_EN: 0
; COMPUTE_PGM_RSRC2:TIDIG_COMP_CNT: 0
	.section	.text._ZN2at6native29vectorized_elementwise_kernelILi8EZZZNS0_16sqrt_kernel_cudaERNS_18TensorIteratorBaseEENKUlvE0_clEvENKUlvE0_clEvEUlfE_St5arrayIPcLm2EEEEviT0_T1_,"axG",@progbits,_ZN2at6native29vectorized_elementwise_kernelILi8EZZZNS0_16sqrt_kernel_cudaERNS_18TensorIteratorBaseEENKUlvE0_clEvENKUlvE0_clEvEUlfE_St5arrayIPcLm2EEEEviT0_T1_,comdat
	.globl	_ZN2at6native29vectorized_elementwise_kernelILi8EZZZNS0_16sqrt_kernel_cudaERNS_18TensorIteratorBaseEENKUlvE0_clEvENKUlvE0_clEvEUlfE_St5arrayIPcLm2EEEEviT0_T1_ ; -- Begin function _ZN2at6native29vectorized_elementwise_kernelILi8EZZZNS0_16sqrt_kernel_cudaERNS_18TensorIteratorBaseEENKUlvE0_clEvENKUlvE0_clEvEUlfE_St5arrayIPcLm2EEEEviT0_T1_
	.p2align	8
	.type	_ZN2at6native29vectorized_elementwise_kernelILi8EZZZNS0_16sqrt_kernel_cudaERNS_18TensorIteratorBaseEENKUlvE0_clEvENKUlvE0_clEvEUlfE_St5arrayIPcLm2EEEEviT0_T1_,@function
_ZN2at6native29vectorized_elementwise_kernelILi8EZZZNS0_16sqrt_kernel_cudaERNS_18TensorIteratorBaseEENKUlvE0_clEvENKUlvE0_clEvEUlfE_St5arrayIPcLm2EEEEviT0_T1_: ; @_ZN2at6native29vectorized_elementwise_kernelILi8EZZZNS0_16sqrt_kernel_cudaERNS_18TensorIteratorBaseEENKUlvE0_clEvENKUlvE0_clEvEUlfE_St5arrayIPcLm2EEEEviT0_T1_
; %bb.0:
	s_clause 0x1
	s_load_b32 s2, s[0:1], 0x0
	s_load_b128 s[8:11], s[0:1], 0x8
	s_lshl_b32 s6, s15, 10
	s_mov_b32 s0, -1
	s_waitcnt lgkmcnt(0)
	s_sub_i32 s12, s2, s6
	s_delay_alu instid0(SALU_CYCLE_1)
	s_cmpk_gt_i32 s12, 0x3ff
	s_cbranch_scc0 .LBB251_2
; %bb.1:
	s_ashr_i32 s7, s6, 31
	v_lshlrev_b32_e32 v5, 4, v0
	s_lshl_b64 s[4:5], s[6:7], 2
	s_delay_alu instid0(SALU_CYCLE_1)
	s_add_u32 s0, s10, s4
	s_addc_u32 s1, s11, s5
	global_load_b128 v[1:4], v5, s[0:1]
	s_waitcnt vmcnt(0)
	v_dual_mul_f32 v6, 0x4f800000, v1 :: v_dual_mul_f32 v7, 0x4f800000, v2
	v_mul_f32_e32 v8, 0x4f800000, v3
	v_cmp_gt_f32_e64 s0, 0xf800000, v2
	v_cmp_gt_f32_e32 vcc_lo, 0xf800000, v1
	v_cmp_gt_f32_e64 s1, 0xf800000, v3
	v_cmp_gt_f32_e64 s2, 0xf800000, v4
	s_delay_alu instid0(VALU_DEP_4) | instskip(NEXT) | instid1(VALU_DEP_3)
	v_cndmask_b32_e64 v2, v2, v7, s0
	v_cndmask_b32_e64 v3, v3, v8, s1
	s_delay_alu instid0(VALU_DEP_2) | instskip(SKIP_1) | instid1(VALU_DEP_2)
	v_sqrt_f32_e32 v7, v2
	v_cndmask_b32_e32 v1, v1, v6, vcc_lo
	v_sqrt_f32_e32 v8, v3
	s_waitcnt_depctr 0xfff
	v_add_nc_u32_e32 v12, -1, v7
	v_sqrt_f32_e32 v6, v1
	v_mul_f32_e32 v9, 0x4f800000, v4
	v_add_nc_u32_e32 v14, -1, v8
	v_add_nc_u32_e32 v13, 1, v7
	v_fma_f32 v20, -v12, v7, v2
	v_add_nc_u32_e32 v15, 1, v8
	s_delay_alu instid0(VALU_DEP_4) | instskip(NEXT) | instid1(VALU_DEP_4)
	v_fma_f32 v22, -v14, v8, v3
	v_fma_f32 v21, -v13, v7, v2
	s_delay_alu instid0(TRANS32_DEP_1) | instskip(SKIP_3) | instid1(VALU_DEP_4)
	v_add_nc_u32_e32 v10, -1, v6
	v_cndmask_b32_e64 v4, v4, v9, s2
	v_add_nc_u32_e32 v11, 1, v6
	v_fma_f32 v23, -v15, v8, v3
	v_fma_f32 v18, -v10, v6, v1
	s_delay_alu instid0(VALU_DEP_4) | instskip(NEXT) | instid1(VALU_DEP_3)
	v_sqrt_f32_e32 v9, v4
	v_fma_f32 v19, -v11, v6, v1
	s_delay_alu instid0(VALU_DEP_2) | instskip(NEXT) | instid1(VALU_DEP_1)
	v_cmp_ge_f32_e64 s3, 0, v18
	v_cndmask_b32_e64 v6, v6, v10, s3
	s_waitcnt_depctr 0xfff
	v_add_nc_u32_e32 v16, -1, v9
	v_cmp_ge_f32_e64 s3, 0, v20
	v_add_nc_u32_e32 v17, 1, v9
	s_delay_alu instid0(VALU_DEP_3) | instskip(NEXT) | instid1(VALU_DEP_3)
	v_fma_f32 v24, -v16, v9, v4
	v_cndmask_b32_e64 v7, v7, v12, s3
	v_cmp_ge_f32_e64 s3, 0, v22
	s_delay_alu instid0(VALU_DEP_4) | instskip(NEXT) | instid1(VALU_DEP_2)
	v_fma_f32 v25, -v17, v9, v4
	v_cndmask_b32_e64 v8, v8, v14, s3
	v_cmp_ge_f32_e64 s3, 0, v24
	s_delay_alu instid0(VALU_DEP_1) | instskip(SKIP_1) | instid1(VALU_DEP_1)
	v_cndmask_b32_e64 v9, v9, v16, s3
	v_cmp_lt_f32_e64 s3, 0, v19
	v_cndmask_b32_e64 v6, v6, v11, s3
	v_cmp_lt_f32_e64 s3, 0, v21
	s_delay_alu instid0(VALU_DEP_2) | instskip(NEXT) | instid1(VALU_DEP_2)
	v_mul_f32_e32 v10, 0x37800000, v6
	v_cndmask_b32_e64 v7, v7, v13, s3
	v_cmp_lt_f32_e64 s3, 0, v23
	s_delay_alu instid0(VALU_DEP_2) | instskip(NEXT) | instid1(VALU_DEP_2)
	v_dual_cndmask_b32 v6, v6, v10 :: v_dual_mul_f32 v11, 0x37800000, v7
	v_cndmask_b32_e64 v8, v8, v15, s3
	v_cmp_class_f32_e64 vcc_lo, v1, 0x260
	v_cmp_lt_f32_e64 s3, 0, v25
	s_delay_alu instid0(VALU_DEP_4) | instskip(NEXT) | instid1(VALU_DEP_4)
	v_cndmask_b32_e64 v7, v7, v11, s0
	v_dual_mul_f32 v12, 0x37800000, v8 :: v_dual_cndmask_b32 v1, v6, v1
	v_cmp_class_f32_e64 vcc_lo, v2, 0x260
	s_mov_b32 s0, 0
	s_delay_alu instid0(VALU_DEP_2) | instskip(SKIP_3) | instid1(VALU_DEP_4)
	v_cndmask_b32_e64 v8, v8, v12, s1
	v_cndmask_b32_e32 v2, v7, v2, vcc_lo
	v_cndmask_b32_e64 v9, v9, v17, s3
	v_cmp_class_f32_e64 vcc_lo, v3, 0x260
	v_cndmask_b32_e32 v3, v8, v3, vcc_lo
	v_cmp_class_f32_e64 vcc_lo, v4, 0x260
	s_delay_alu instid0(VALU_DEP_4) | instskip(NEXT) | instid1(VALU_DEP_1)
	v_mul_f32_e32 v13, 0x37800000, v9
	v_cndmask_b32_e64 v9, v9, v13, s2
	s_add_u32 s2, s8, s4
	s_addc_u32 s3, s9, s5
	s_delay_alu instid0(VALU_DEP_1)
	v_cndmask_b32_e32 v4, v9, v4, vcc_lo
	global_store_b128 v5, v[1:4], s[2:3]
.LBB251_2:
	s_and_not1_b32 vcc_lo, exec_lo, s0
	s_cbranch_vccnz .LBB251_16
; %bb.3:
	v_cmp_gt_i32_e32 vcc_lo, s12, v0
	v_dual_mov_b32 v4, 0 :: v_dual_mov_b32 v7, v0
	v_or_b32_e32 v1, s6, v0
	v_or_b32_e32 v3, 0x100, v0
	v_mov_b32_e32 v2, 0
	s_and_saveexec_b32 s1, vcc_lo
	s_cbranch_execz .LBB251_5
; %bb.4:
	v_mov_b32_e32 v2, 0
	v_or_b32_e32 v7, 0x100, v0
	s_delay_alu instid0(VALU_DEP_2) | instskip(NEXT) | instid1(VALU_DEP_1)
	v_lshlrev_b64 v[5:6], 2, v[1:2]
	v_add_co_u32 v5, s0, s10, v5
	s_delay_alu instid0(VALU_DEP_1)
	v_add_co_ci_u32_e64 v6, s0, s11, v6, s0
	global_load_b32 v2, v[5:6], off
.LBB251_5:
	s_or_b32 exec_lo, exec_lo, s1
	s_delay_alu instid0(SALU_CYCLE_1)
	s_mov_b32 s1, exec_lo
	v_cmpx_gt_i32_e64 s12, v7
	s_cbranch_execz .LBB251_7
; %bb.6:
	v_dual_mov_b32 v5, 0 :: v_dual_add_nc_u32 v4, s6, v7
	v_add_nc_u32_e32 v7, 0x100, v7
	s_delay_alu instid0(VALU_DEP_2) | instskip(NEXT) | instid1(VALU_DEP_1)
	v_lshlrev_b64 v[4:5], 2, v[4:5]
	v_add_co_u32 v4, s0, s10, v4
	s_delay_alu instid0(VALU_DEP_1)
	v_add_co_ci_u32_e64 v5, s0, s11, v5, s0
	global_load_b32 v4, v[4:5], off
.LBB251_7:
	s_or_b32 exec_lo, exec_lo, s1
	v_dual_mov_b32 v5, 0 :: v_dual_mov_b32 v6, 0
	s_mov_b32 s1, exec_lo
	v_cmpx_gt_i32_e64 s12, v7
	s_cbranch_execz .LBB251_9
; %bb.8:
	v_dual_mov_b32 v9, 0 :: v_dual_add_nc_u32 v8, s6, v7
	v_add_nc_u32_e32 v7, 0x100, v7
	s_delay_alu instid0(VALU_DEP_2) | instskip(NEXT) | instid1(VALU_DEP_1)
	v_lshlrev_b64 v[8:9], 2, v[8:9]
	v_add_co_u32 v8, s0, s10, v8
	s_delay_alu instid0(VALU_DEP_1)
	v_add_co_ci_u32_e64 v9, s0, s11, v9, s0
	global_load_b32 v6, v[8:9], off
.LBB251_9:
	s_or_b32 exec_lo, exec_lo, s1
	s_delay_alu instid0(SALU_CYCLE_1)
	s_mov_b32 s1, exec_lo
	v_cmpx_gt_i32_e64 s12, v7
	s_cbranch_execz .LBB251_11
; %bb.10:
	v_dual_mov_b32 v8, 0 :: v_dual_add_nc_u32 v7, s6, v7
	s_delay_alu instid0(VALU_DEP_1) | instskip(NEXT) | instid1(VALU_DEP_1)
	v_lshlrev_b64 v[7:8], 2, v[7:8]
	v_add_co_u32 v7, s0, s10, v7
	s_delay_alu instid0(VALU_DEP_1)
	v_add_co_ci_u32_e64 v8, s0, s11, v8, s0
	global_load_b32 v5, v[7:8], off
.LBB251_11:
	s_or_b32 exec_lo, exec_lo, s1
	s_waitcnt vmcnt(0)
	v_dual_mul_f32 v7, 0x4f800000, v2 :: v_dual_mul_f32 v8, 0x4f800000, v4
	v_cmp_gt_f32_e64 s0, 0xf800000, v2
	v_dual_mul_f32 v9, 0x4f800000, v6 :: v_dual_mul_f32 v10, 0x4f800000, v5
	v_cmp_gt_f32_e64 s1, 0xf800000, v4
	v_cmp_gt_f32_e64 s2, 0xf800000, v6
	s_delay_alu instid0(VALU_DEP_4) | instskip(SKIP_1) | instid1(VALU_DEP_4)
	v_cndmask_b32_e64 v2, v2, v7, s0
	v_cmp_gt_f32_e64 s3, 0xf800000, v5
	v_cndmask_b32_e64 v4, v4, v8, s1
	s_delay_alu instid0(VALU_DEP_4) | instskip(NEXT) | instid1(VALU_DEP_4)
	v_cndmask_b32_e64 v8, v6, v9, s2
	v_sqrt_f32_e32 v6, v2
	s_delay_alu instid0(VALU_DEP_3) | instskip(NEXT) | instid1(VALU_DEP_3)
	v_cndmask_b32_e64 v9, v5, v10, s3
	v_sqrt_f32_e32 v5, v4
	s_delay_alu instid0(VALU_DEP_2) | instskip(NEXT) | instid1(VALU_DEP_1)
	v_sqrt_f32_e32 v7, v8
	v_sqrt_f32_e32 v10, v9
	v_add_nc_u32_e32 v11, -1, v6
	v_add_nc_u32_e32 v12, 1, v6
	s_delay_alu instid0(TRANS32_DEP_3)
	v_add_nc_u32_e32 v13, -1, v5
	s_waitcnt_depctr 0xfff
	v_add_nc_u32_e32 v15, -1, v7
	v_fma_f32 v18, -v11, v6, v2
	v_fma_f32 v20, -v12, v6, v2
	v_add_nc_u32_e32 v17, -1, v10
	v_fma_f32 v21, -v13, v5, v4
	v_add_nc_u32_e32 v16, 1, v7
	v_cmp_ge_f32_e64 s4, 0, v18
	v_add_nc_u32_e32 v19, 1, v10
	v_fma_f32 v23, -v17, v10, v9
	s_delay_alu instid0(VALU_DEP_4) | instskip(NEXT) | instid1(VALU_DEP_4)
	v_fma_f32 v18, -v16, v7, v8
	v_cndmask_b32_e64 v6, v6, v11, s4
	v_cmp_lt_f32_e64 s4, 0, v20
	v_fma_f32 v11, -v15, v7, v8
	s_delay_alu instid0(VALU_DEP_2) | instskip(SKIP_2) | instid1(VALU_DEP_2)
	v_cndmask_b32_e64 v6, v6, v12, s4
	v_add_nc_u32_e32 v14, 1, v5
	v_cmp_ge_f32_e64 s4, 0, v21
	v_fma_f32 v22, -v14, v5, v4
	s_delay_alu instid0(VALU_DEP_2) | instskip(SKIP_2) | instid1(VALU_DEP_2)
	v_cndmask_b32_e64 v5, v5, v13, s4
	v_cmp_ge_f32_e64 s4, 0, v11
	v_mul_f32_e32 v11, 0x37800000, v6
	v_cndmask_b32_e64 v7, v7, v15, s4
	v_cmp_ge_f32_e64 s4, 0, v23
	s_delay_alu instid0(VALU_DEP_3) | instskip(SKIP_1) | instid1(VALU_DEP_3)
	v_cndmask_b32_e64 v6, v6, v11, s0
	v_cmp_class_f32_e64 s0, v2, 0x260
	v_cndmask_b32_e64 v12, v10, v17, s4
	v_cmp_lt_f32_e64 s4, 0, v22
	v_fma_f32 v10, -v19, v10, v9
	s_delay_alu instid0(VALU_DEP_2) | instskip(SKIP_1) | instid1(VALU_DEP_1)
	v_cndmask_b32_e64 v5, v5, v14, s4
	v_cmp_lt_f32_e64 s4, 0, v18
	v_cndmask_b32_e64 v13, v7, v16, s4
	s_delay_alu instid0(VALU_DEP_4) | instskip(NEXT) | instid1(VALU_DEP_4)
	v_cmp_lt_f32_e64 s4, 0, v10
	v_mul_f32_e32 v7, 0x37800000, v5
	s_delay_alu instid0(VALU_DEP_3) | instskip(NEXT) | instid1(VALU_DEP_3)
	v_mul_f32_e32 v11, 0x37800000, v13
	v_cndmask_b32_e64 v10, v12, v19, s4
	s_delay_alu instid0(VALU_DEP_3) | instskip(SKIP_4) | instid1(VALU_DEP_3)
	v_cndmask_b32_e64 v5, v5, v7, s1
	v_cndmask_b32_e64 v7, v6, v2, s0
	v_cmp_class_f32_e64 s0, v4, 0x260
	v_cndmask_b32_e64 v2, v13, v11, s2
	v_mul_f32_e32 v12, 0x37800000, v10
	v_cndmask_b32_e64 v6, v5, v4, s0
	v_cmp_class_f32_e64 s0, v8, 0x260
	s_delay_alu instid0(VALU_DEP_3) | instskip(NEXT) | instid1(VALU_DEP_2)
	v_cndmask_b32_e64 v10, v10, v12, s3
	v_cndmask_b32_e64 v5, v2, v8, s0
	v_cmp_class_f32_e64 s0, v9, 0x260
	s_delay_alu instid0(VALU_DEP_1)
	v_cndmask_b32_e64 v4, v10, v9, s0
	s_and_saveexec_b32 s0, vcc_lo
	s_cbranch_execnz .LBB251_17
; %bb.12:
	s_or_b32 exec_lo, exec_lo, s0
	s_delay_alu instid0(SALU_CYCLE_1)
	s_mov_b32 s0, exec_lo
	v_cmpx_gt_i32_e64 s12, v0
	s_cbranch_execnz .LBB251_18
.LBB251_13:
	s_or_b32 exec_lo, exec_lo, s0
	s_delay_alu instid0(SALU_CYCLE_1)
	s_mov_b32 s0, exec_lo
	v_cmpx_gt_i32_e64 s12, v0
	s_cbranch_execnz .LBB251_19
.LBB251_14:
	s_or_b32 exec_lo, exec_lo, s0
	s_delay_alu instid0(SALU_CYCLE_1)
	s_mov_b32 s0, exec_lo
	v_cmpx_gt_i32_e64 s12, v0
	s_cbranch_execz .LBB251_16
.LBB251_15:
	v_dual_mov_b32 v1, 0 :: v_dual_add_nc_u32 v0, s6, v0
	s_delay_alu instid0(VALU_DEP_1) | instskip(NEXT) | instid1(VALU_DEP_1)
	v_lshlrev_b64 v[0:1], 2, v[0:1]
	v_add_co_u32 v0, vcc_lo, s8, v0
	s_delay_alu instid0(VALU_DEP_2)
	v_add_co_ci_u32_e32 v1, vcc_lo, s9, v1, vcc_lo
	global_store_b32 v[0:1], v4, off
.LBB251_16:
	s_nop 0
	s_sendmsg sendmsg(MSG_DEALLOC_VGPRS)
	s_endpgm
.LBB251_17:
	v_mov_b32_e32 v2, 0
	s_delay_alu instid0(VALU_DEP_1) | instskip(NEXT) | instid1(VALU_DEP_1)
	v_lshlrev_b64 v[0:1], 2, v[1:2]
	v_add_co_u32 v8, vcc_lo, s8, v0
	s_delay_alu instid0(VALU_DEP_2) | instskip(SKIP_3) | instid1(SALU_CYCLE_1)
	v_add_co_ci_u32_e32 v9, vcc_lo, s9, v1, vcc_lo
	v_mov_b32_e32 v0, v3
	global_store_b32 v[8:9], v7, off
	s_or_b32 exec_lo, exec_lo, s0
	s_mov_b32 s0, exec_lo
	v_cmpx_gt_i32_e64 s12, v0
	s_cbranch_execz .LBB251_13
.LBB251_18:
	v_dual_mov_b32 v2, 0 :: v_dual_add_nc_u32 v1, s6, v0
	v_add_nc_u32_e32 v0, 0x100, v0
	s_delay_alu instid0(VALU_DEP_2) | instskip(NEXT) | instid1(VALU_DEP_1)
	v_lshlrev_b64 v[1:2], 2, v[1:2]
	v_add_co_u32 v1, vcc_lo, s8, v1
	s_delay_alu instid0(VALU_DEP_2) | instskip(SKIP_2) | instid1(SALU_CYCLE_1)
	v_add_co_ci_u32_e32 v2, vcc_lo, s9, v2, vcc_lo
	global_store_b32 v[1:2], v6, off
	s_or_b32 exec_lo, exec_lo, s0
	s_mov_b32 s0, exec_lo
	v_cmpx_gt_i32_e64 s12, v0
	s_cbranch_execz .LBB251_14
.LBB251_19:
	v_dual_mov_b32 v2, 0 :: v_dual_add_nc_u32 v1, s6, v0
	v_add_nc_u32_e32 v0, 0x100, v0
	s_delay_alu instid0(VALU_DEP_2) | instskip(NEXT) | instid1(VALU_DEP_1)
	v_lshlrev_b64 v[1:2], 2, v[1:2]
	v_add_co_u32 v1, vcc_lo, s8, v1
	s_delay_alu instid0(VALU_DEP_2) | instskip(SKIP_2) | instid1(SALU_CYCLE_1)
	v_add_co_ci_u32_e32 v2, vcc_lo, s9, v2, vcc_lo
	global_store_b32 v[1:2], v5, off
	s_or_b32 exec_lo, exec_lo, s0
	s_mov_b32 s0, exec_lo
	v_cmpx_gt_i32_e64 s12, v0
	s_cbranch_execnz .LBB251_15
	s_branch .LBB251_16
	.section	.rodata,"a",@progbits
	.p2align	6, 0x0
	.amdhsa_kernel _ZN2at6native29vectorized_elementwise_kernelILi8EZZZNS0_16sqrt_kernel_cudaERNS_18TensorIteratorBaseEENKUlvE0_clEvENKUlvE0_clEvEUlfE_St5arrayIPcLm2EEEEviT0_T1_
		.amdhsa_group_segment_fixed_size 0
		.amdhsa_private_segment_fixed_size 0
		.amdhsa_kernarg_size 24
		.amdhsa_user_sgpr_count 15
		.amdhsa_user_sgpr_dispatch_ptr 0
		.amdhsa_user_sgpr_queue_ptr 0
		.amdhsa_user_sgpr_kernarg_segment_ptr 1
		.amdhsa_user_sgpr_dispatch_id 0
		.amdhsa_user_sgpr_private_segment_size 0
		.amdhsa_wavefront_size32 1
		.amdhsa_uses_dynamic_stack 0
		.amdhsa_enable_private_segment 0
		.amdhsa_system_sgpr_workgroup_id_x 1
		.amdhsa_system_sgpr_workgroup_id_y 0
		.amdhsa_system_sgpr_workgroup_id_z 0
		.amdhsa_system_sgpr_workgroup_info 0
		.amdhsa_system_vgpr_workitem_id 0
		.amdhsa_next_free_vgpr 26
		.amdhsa_next_free_sgpr 16
		.amdhsa_reserve_vcc 1
		.amdhsa_float_round_mode_32 0
		.amdhsa_float_round_mode_16_64 0
		.amdhsa_float_denorm_mode_32 3
		.amdhsa_float_denorm_mode_16_64 3
		.amdhsa_dx10_clamp 1
		.amdhsa_ieee_mode 1
		.amdhsa_fp16_overflow 0
		.amdhsa_workgroup_processor_mode 1
		.amdhsa_memory_ordered 1
		.amdhsa_forward_progress 0
		.amdhsa_shared_vgpr_count 0
		.amdhsa_exception_fp_ieee_invalid_op 0
		.amdhsa_exception_fp_denorm_src 0
		.amdhsa_exception_fp_ieee_div_zero 0
		.amdhsa_exception_fp_ieee_overflow 0
		.amdhsa_exception_fp_ieee_underflow 0
		.amdhsa_exception_fp_ieee_inexact 0
		.amdhsa_exception_int_div_zero 0
	.end_amdhsa_kernel
	.section	.text._ZN2at6native29vectorized_elementwise_kernelILi8EZZZNS0_16sqrt_kernel_cudaERNS_18TensorIteratorBaseEENKUlvE0_clEvENKUlvE0_clEvEUlfE_St5arrayIPcLm2EEEEviT0_T1_,"axG",@progbits,_ZN2at6native29vectorized_elementwise_kernelILi8EZZZNS0_16sqrt_kernel_cudaERNS_18TensorIteratorBaseEENKUlvE0_clEvENKUlvE0_clEvEUlfE_St5arrayIPcLm2EEEEviT0_T1_,comdat
.Lfunc_end251:
	.size	_ZN2at6native29vectorized_elementwise_kernelILi8EZZZNS0_16sqrt_kernel_cudaERNS_18TensorIteratorBaseEENKUlvE0_clEvENKUlvE0_clEvEUlfE_St5arrayIPcLm2EEEEviT0_T1_, .Lfunc_end251-_ZN2at6native29vectorized_elementwise_kernelILi8EZZZNS0_16sqrt_kernel_cudaERNS_18TensorIteratorBaseEENKUlvE0_clEvENKUlvE0_clEvEUlfE_St5arrayIPcLm2EEEEviT0_T1_
                                        ; -- End function
	.section	.AMDGPU.csdata,"",@progbits
; Kernel info:
; codeLenInByte = 1876
; NumSgprs: 18
; NumVgprs: 26
; ScratchSize: 0
; MemoryBound: 0
; FloatMode: 240
; IeeeMode: 1
; LDSByteSize: 0 bytes/workgroup (compile time only)
; SGPRBlocks: 2
; VGPRBlocks: 3
; NumSGPRsForWavesPerEU: 18
; NumVGPRsForWavesPerEU: 26
; Occupancy: 16
; WaveLimiterHint : 0
; COMPUTE_PGM_RSRC2:SCRATCH_EN: 0
; COMPUTE_PGM_RSRC2:USER_SGPR: 15
; COMPUTE_PGM_RSRC2:TRAP_HANDLER: 0
; COMPUTE_PGM_RSRC2:TGID_X_EN: 1
; COMPUTE_PGM_RSRC2:TGID_Y_EN: 0
; COMPUTE_PGM_RSRC2:TGID_Z_EN: 0
; COMPUTE_PGM_RSRC2:TIDIG_COMP_CNT: 0
	.section	.text._ZN2at6native29vectorized_elementwise_kernelILi4EZZZNS0_16sqrt_kernel_cudaERNS_18TensorIteratorBaseEENKUlvE0_clEvENKUlvE0_clEvEUlfE_St5arrayIPcLm2EEEEviT0_T1_,"axG",@progbits,_ZN2at6native29vectorized_elementwise_kernelILi4EZZZNS0_16sqrt_kernel_cudaERNS_18TensorIteratorBaseEENKUlvE0_clEvENKUlvE0_clEvEUlfE_St5arrayIPcLm2EEEEviT0_T1_,comdat
	.globl	_ZN2at6native29vectorized_elementwise_kernelILi4EZZZNS0_16sqrt_kernel_cudaERNS_18TensorIteratorBaseEENKUlvE0_clEvENKUlvE0_clEvEUlfE_St5arrayIPcLm2EEEEviT0_T1_ ; -- Begin function _ZN2at6native29vectorized_elementwise_kernelILi4EZZZNS0_16sqrt_kernel_cudaERNS_18TensorIteratorBaseEENKUlvE0_clEvENKUlvE0_clEvEUlfE_St5arrayIPcLm2EEEEviT0_T1_
	.p2align	8
	.type	_ZN2at6native29vectorized_elementwise_kernelILi4EZZZNS0_16sqrt_kernel_cudaERNS_18TensorIteratorBaseEENKUlvE0_clEvENKUlvE0_clEvEUlfE_St5arrayIPcLm2EEEEviT0_T1_,@function
_ZN2at6native29vectorized_elementwise_kernelILi4EZZZNS0_16sqrt_kernel_cudaERNS_18TensorIteratorBaseEENKUlvE0_clEvENKUlvE0_clEvEUlfE_St5arrayIPcLm2EEEEviT0_T1_: ; @_ZN2at6native29vectorized_elementwise_kernelILi4EZZZNS0_16sqrt_kernel_cudaERNS_18TensorIteratorBaseEENKUlvE0_clEvENKUlvE0_clEvEUlfE_St5arrayIPcLm2EEEEviT0_T1_
; %bb.0:
	s_clause 0x1
	s_load_b32 s2, s[0:1], 0x0
	s_load_b128 s[8:11], s[0:1], 0x8
	s_lshl_b32 s6, s15, 10
	s_mov_b32 s0, -1
	s_waitcnt lgkmcnt(0)
	s_sub_i32 s12, s2, s6
	s_delay_alu instid0(SALU_CYCLE_1)
	s_cmpk_gt_i32 s12, 0x3ff
	s_cbranch_scc0 .LBB252_2
; %bb.1:
	s_ashr_i32 s7, s6, 31
	v_lshlrev_b32_e32 v5, 4, v0
	s_lshl_b64 s[4:5], s[6:7], 2
	s_delay_alu instid0(SALU_CYCLE_1)
	s_add_u32 s0, s10, s4
	s_addc_u32 s1, s11, s5
	global_load_b128 v[1:4], v5, s[0:1]
	s_waitcnt vmcnt(0)
	v_dual_mul_f32 v6, 0x4f800000, v1 :: v_dual_mul_f32 v7, 0x4f800000, v2
	v_mul_f32_e32 v8, 0x4f800000, v3
	v_cmp_gt_f32_e64 s0, 0xf800000, v2
	v_cmp_gt_f32_e32 vcc_lo, 0xf800000, v1
	v_cmp_gt_f32_e64 s1, 0xf800000, v3
	v_cmp_gt_f32_e64 s2, 0xf800000, v4
	s_delay_alu instid0(VALU_DEP_4) | instskip(NEXT) | instid1(VALU_DEP_3)
	v_cndmask_b32_e64 v2, v2, v7, s0
	v_cndmask_b32_e64 v3, v3, v8, s1
	s_delay_alu instid0(VALU_DEP_2) | instskip(SKIP_1) | instid1(VALU_DEP_2)
	v_sqrt_f32_e32 v7, v2
	v_cndmask_b32_e32 v1, v1, v6, vcc_lo
	v_sqrt_f32_e32 v8, v3
	s_waitcnt_depctr 0xfff
	v_add_nc_u32_e32 v12, -1, v7
	v_sqrt_f32_e32 v6, v1
	v_mul_f32_e32 v9, 0x4f800000, v4
	v_add_nc_u32_e32 v14, -1, v8
	v_add_nc_u32_e32 v13, 1, v7
	v_fma_f32 v20, -v12, v7, v2
	v_add_nc_u32_e32 v15, 1, v8
	s_delay_alu instid0(VALU_DEP_4) | instskip(NEXT) | instid1(VALU_DEP_4)
	v_fma_f32 v22, -v14, v8, v3
	v_fma_f32 v21, -v13, v7, v2
	s_delay_alu instid0(TRANS32_DEP_1) | instskip(SKIP_3) | instid1(VALU_DEP_4)
	v_add_nc_u32_e32 v10, -1, v6
	v_cndmask_b32_e64 v4, v4, v9, s2
	v_add_nc_u32_e32 v11, 1, v6
	v_fma_f32 v23, -v15, v8, v3
	v_fma_f32 v18, -v10, v6, v1
	s_delay_alu instid0(VALU_DEP_4) | instskip(NEXT) | instid1(VALU_DEP_3)
	v_sqrt_f32_e32 v9, v4
	v_fma_f32 v19, -v11, v6, v1
	s_delay_alu instid0(VALU_DEP_2) | instskip(NEXT) | instid1(VALU_DEP_1)
	v_cmp_ge_f32_e64 s3, 0, v18
	v_cndmask_b32_e64 v6, v6, v10, s3
	s_waitcnt_depctr 0xfff
	v_add_nc_u32_e32 v16, -1, v9
	v_cmp_ge_f32_e64 s3, 0, v20
	v_add_nc_u32_e32 v17, 1, v9
	s_delay_alu instid0(VALU_DEP_3) | instskip(NEXT) | instid1(VALU_DEP_3)
	v_fma_f32 v24, -v16, v9, v4
	v_cndmask_b32_e64 v7, v7, v12, s3
	v_cmp_ge_f32_e64 s3, 0, v22
	s_delay_alu instid0(VALU_DEP_4) | instskip(NEXT) | instid1(VALU_DEP_2)
	v_fma_f32 v25, -v17, v9, v4
	v_cndmask_b32_e64 v8, v8, v14, s3
	v_cmp_ge_f32_e64 s3, 0, v24
	s_delay_alu instid0(VALU_DEP_1) | instskip(SKIP_1) | instid1(VALU_DEP_1)
	v_cndmask_b32_e64 v9, v9, v16, s3
	v_cmp_lt_f32_e64 s3, 0, v19
	v_cndmask_b32_e64 v6, v6, v11, s3
	v_cmp_lt_f32_e64 s3, 0, v21
	s_delay_alu instid0(VALU_DEP_2) | instskip(NEXT) | instid1(VALU_DEP_2)
	v_mul_f32_e32 v10, 0x37800000, v6
	v_cndmask_b32_e64 v7, v7, v13, s3
	v_cmp_lt_f32_e64 s3, 0, v23
	s_delay_alu instid0(VALU_DEP_2) | instskip(NEXT) | instid1(VALU_DEP_2)
	v_dual_cndmask_b32 v6, v6, v10 :: v_dual_mul_f32 v11, 0x37800000, v7
	v_cndmask_b32_e64 v8, v8, v15, s3
	v_cmp_class_f32_e64 vcc_lo, v1, 0x260
	v_cmp_lt_f32_e64 s3, 0, v25
	s_delay_alu instid0(VALU_DEP_4) | instskip(NEXT) | instid1(VALU_DEP_4)
	v_cndmask_b32_e64 v7, v7, v11, s0
	v_dual_mul_f32 v12, 0x37800000, v8 :: v_dual_cndmask_b32 v1, v6, v1
	v_cmp_class_f32_e64 vcc_lo, v2, 0x260
	s_mov_b32 s0, 0
	s_delay_alu instid0(VALU_DEP_2) | instskip(SKIP_3) | instid1(VALU_DEP_4)
	v_cndmask_b32_e64 v8, v8, v12, s1
	v_cndmask_b32_e32 v2, v7, v2, vcc_lo
	v_cndmask_b32_e64 v9, v9, v17, s3
	v_cmp_class_f32_e64 vcc_lo, v3, 0x260
	v_cndmask_b32_e32 v3, v8, v3, vcc_lo
	v_cmp_class_f32_e64 vcc_lo, v4, 0x260
	s_delay_alu instid0(VALU_DEP_4) | instskip(NEXT) | instid1(VALU_DEP_1)
	v_mul_f32_e32 v13, 0x37800000, v9
	v_cndmask_b32_e64 v9, v9, v13, s2
	s_add_u32 s2, s8, s4
	s_addc_u32 s3, s9, s5
	s_delay_alu instid0(VALU_DEP_1)
	v_cndmask_b32_e32 v4, v9, v4, vcc_lo
	global_store_b128 v5, v[1:4], s[2:3]
.LBB252_2:
	s_and_not1_b32 vcc_lo, exec_lo, s0
	s_cbranch_vccnz .LBB252_16
; %bb.3:
	v_cmp_gt_i32_e32 vcc_lo, s12, v0
	v_dual_mov_b32 v4, 0 :: v_dual_mov_b32 v7, v0
	v_or_b32_e32 v1, s6, v0
	v_or_b32_e32 v3, 0x100, v0
	v_mov_b32_e32 v2, 0
	s_and_saveexec_b32 s1, vcc_lo
	s_cbranch_execz .LBB252_5
; %bb.4:
	v_mov_b32_e32 v2, 0
	v_or_b32_e32 v7, 0x100, v0
	s_delay_alu instid0(VALU_DEP_2) | instskip(NEXT) | instid1(VALU_DEP_1)
	v_lshlrev_b64 v[5:6], 2, v[1:2]
	v_add_co_u32 v5, s0, s10, v5
	s_delay_alu instid0(VALU_DEP_1)
	v_add_co_ci_u32_e64 v6, s0, s11, v6, s0
	global_load_b32 v2, v[5:6], off
.LBB252_5:
	s_or_b32 exec_lo, exec_lo, s1
	s_delay_alu instid0(SALU_CYCLE_1)
	s_mov_b32 s1, exec_lo
	v_cmpx_gt_i32_e64 s12, v7
	s_cbranch_execz .LBB252_7
; %bb.6:
	v_dual_mov_b32 v5, 0 :: v_dual_add_nc_u32 v4, s6, v7
	v_add_nc_u32_e32 v7, 0x100, v7
	s_delay_alu instid0(VALU_DEP_2) | instskip(NEXT) | instid1(VALU_DEP_1)
	v_lshlrev_b64 v[4:5], 2, v[4:5]
	v_add_co_u32 v4, s0, s10, v4
	s_delay_alu instid0(VALU_DEP_1)
	v_add_co_ci_u32_e64 v5, s0, s11, v5, s0
	global_load_b32 v4, v[4:5], off
.LBB252_7:
	s_or_b32 exec_lo, exec_lo, s1
	v_dual_mov_b32 v5, 0 :: v_dual_mov_b32 v6, 0
	s_mov_b32 s1, exec_lo
	v_cmpx_gt_i32_e64 s12, v7
	s_cbranch_execz .LBB252_9
; %bb.8:
	v_dual_mov_b32 v9, 0 :: v_dual_add_nc_u32 v8, s6, v7
	v_add_nc_u32_e32 v7, 0x100, v7
	s_delay_alu instid0(VALU_DEP_2) | instskip(NEXT) | instid1(VALU_DEP_1)
	v_lshlrev_b64 v[8:9], 2, v[8:9]
	v_add_co_u32 v8, s0, s10, v8
	s_delay_alu instid0(VALU_DEP_1)
	v_add_co_ci_u32_e64 v9, s0, s11, v9, s0
	global_load_b32 v6, v[8:9], off
.LBB252_9:
	s_or_b32 exec_lo, exec_lo, s1
	s_delay_alu instid0(SALU_CYCLE_1)
	s_mov_b32 s1, exec_lo
	v_cmpx_gt_i32_e64 s12, v7
	s_cbranch_execz .LBB252_11
; %bb.10:
	v_dual_mov_b32 v8, 0 :: v_dual_add_nc_u32 v7, s6, v7
	s_delay_alu instid0(VALU_DEP_1) | instskip(NEXT) | instid1(VALU_DEP_1)
	v_lshlrev_b64 v[7:8], 2, v[7:8]
	v_add_co_u32 v7, s0, s10, v7
	s_delay_alu instid0(VALU_DEP_1)
	v_add_co_ci_u32_e64 v8, s0, s11, v8, s0
	global_load_b32 v5, v[7:8], off
.LBB252_11:
	s_or_b32 exec_lo, exec_lo, s1
	s_waitcnt vmcnt(0)
	v_dual_mul_f32 v7, 0x4f800000, v2 :: v_dual_mul_f32 v8, 0x4f800000, v4
	v_cmp_gt_f32_e64 s0, 0xf800000, v2
	v_dual_mul_f32 v9, 0x4f800000, v6 :: v_dual_mul_f32 v10, 0x4f800000, v5
	v_cmp_gt_f32_e64 s1, 0xf800000, v4
	v_cmp_gt_f32_e64 s2, 0xf800000, v6
	s_delay_alu instid0(VALU_DEP_4) | instskip(SKIP_1) | instid1(VALU_DEP_4)
	v_cndmask_b32_e64 v2, v2, v7, s0
	v_cmp_gt_f32_e64 s3, 0xf800000, v5
	v_cndmask_b32_e64 v4, v4, v8, s1
	s_delay_alu instid0(VALU_DEP_4) | instskip(NEXT) | instid1(VALU_DEP_4)
	v_cndmask_b32_e64 v8, v6, v9, s2
	v_sqrt_f32_e32 v6, v2
	s_delay_alu instid0(VALU_DEP_3) | instskip(NEXT) | instid1(VALU_DEP_3)
	v_cndmask_b32_e64 v9, v5, v10, s3
	v_sqrt_f32_e32 v5, v4
	s_delay_alu instid0(VALU_DEP_2) | instskip(NEXT) | instid1(VALU_DEP_1)
	v_sqrt_f32_e32 v7, v8
	v_sqrt_f32_e32 v10, v9
	v_add_nc_u32_e32 v11, -1, v6
	v_add_nc_u32_e32 v12, 1, v6
	s_delay_alu instid0(TRANS32_DEP_3)
	v_add_nc_u32_e32 v13, -1, v5
	s_waitcnt_depctr 0xfff
	v_add_nc_u32_e32 v15, -1, v7
	v_fma_f32 v18, -v11, v6, v2
	v_fma_f32 v20, -v12, v6, v2
	v_add_nc_u32_e32 v17, -1, v10
	v_fma_f32 v21, -v13, v5, v4
	v_add_nc_u32_e32 v16, 1, v7
	v_cmp_ge_f32_e64 s4, 0, v18
	v_add_nc_u32_e32 v19, 1, v10
	v_fma_f32 v23, -v17, v10, v9
	s_delay_alu instid0(VALU_DEP_4) | instskip(NEXT) | instid1(VALU_DEP_4)
	v_fma_f32 v18, -v16, v7, v8
	v_cndmask_b32_e64 v6, v6, v11, s4
	v_cmp_lt_f32_e64 s4, 0, v20
	v_fma_f32 v11, -v15, v7, v8
	s_delay_alu instid0(VALU_DEP_2) | instskip(SKIP_2) | instid1(VALU_DEP_2)
	v_cndmask_b32_e64 v6, v6, v12, s4
	v_add_nc_u32_e32 v14, 1, v5
	v_cmp_ge_f32_e64 s4, 0, v21
	v_fma_f32 v22, -v14, v5, v4
	s_delay_alu instid0(VALU_DEP_2) | instskip(SKIP_2) | instid1(VALU_DEP_2)
	v_cndmask_b32_e64 v5, v5, v13, s4
	v_cmp_ge_f32_e64 s4, 0, v11
	v_mul_f32_e32 v11, 0x37800000, v6
	v_cndmask_b32_e64 v7, v7, v15, s4
	v_cmp_ge_f32_e64 s4, 0, v23
	s_delay_alu instid0(VALU_DEP_3) | instskip(SKIP_1) | instid1(VALU_DEP_3)
	v_cndmask_b32_e64 v6, v6, v11, s0
	v_cmp_class_f32_e64 s0, v2, 0x260
	v_cndmask_b32_e64 v12, v10, v17, s4
	v_cmp_lt_f32_e64 s4, 0, v22
	v_fma_f32 v10, -v19, v10, v9
	s_delay_alu instid0(VALU_DEP_2) | instskip(SKIP_1) | instid1(VALU_DEP_1)
	v_cndmask_b32_e64 v5, v5, v14, s4
	v_cmp_lt_f32_e64 s4, 0, v18
	v_cndmask_b32_e64 v13, v7, v16, s4
	s_delay_alu instid0(VALU_DEP_4) | instskip(NEXT) | instid1(VALU_DEP_4)
	v_cmp_lt_f32_e64 s4, 0, v10
	v_mul_f32_e32 v7, 0x37800000, v5
	s_delay_alu instid0(VALU_DEP_3) | instskip(NEXT) | instid1(VALU_DEP_3)
	v_mul_f32_e32 v11, 0x37800000, v13
	v_cndmask_b32_e64 v10, v12, v19, s4
	s_delay_alu instid0(VALU_DEP_3) | instskip(SKIP_4) | instid1(VALU_DEP_3)
	v_cndmask_b32_e64 v5, v5, v7, s1
	v_cndmask_b32_e64 v7, v6, v2, s0
	v_cmp_class_f32_e64 s0, v4, 0x260
	v_cndmask_b32_e64 v2, v13, v11, s2
	v_mul_f32_e32 v12, 0x37800000, v10
	v_cndmask_b32_e64 v6, v5, v4, s0
	v_cmp_class_f32_e64 s0, v8, 0x260
	s_delay_alu instid0(VALU_DEP_3) | instskip(NEXT) | instid1(VALU_DEP_2)
	v_cndmask_b32_e64 v10, v10, v12, s3
	v_cndmask_b32_e64 v5, v2, v8, s0
	v_cmp_class_f32_e64 s0, v9, 0x260
	s_delay_alu instid0(VALU_DEP_1)
	v_cndmask_b32_e64 v4, v10, v9, s0
	s_and_saveexec_b32 s0, vcc_lo
	s_cbranch_execnz .LBB252_17
; %bb.12:
	s_or_b32 exec_lo, exec_lo, s0
	s_delay_alu instid0(SALU_CYCLE_1)
	s_mov_b32 s0, exec_lo
	v_cmpx_gt_i32_e64 s12, v0
	s_cbranch_execnz .LBB252_18
.LBB252_13:
	s_or_b32 exec_lo, exec_lo, s0
	s_delay_alu instid0(SALU_CYCLE_1)
	s_mov_b32 s0, exec_lo
	v_cmpx_gt_i32_e64 s12, v0
	s_cbranch_execnz .LBB252_19
.LBB252_14:
	s_or_b32 exec_lo, exec_lo, s0
	s_delay_alu instid0(SALU_CYCLE_1)
	s_mov_b32 s0, exec_lo
	v_cmpx_gt_i32_e64 s12, v0
	s_cbranch_execz .LBB252_16
.LBB252_15:
	v_dual_mov_b32 v1, 0 :: v_dual_add_nc_u32 v0, s6, v0
	s_delay_alu instid0(VALU_DEP_1) | instskip(NEXT) | instid1(VALU_DEP_1)
	v_lshlrev_b64 v[0:1], 2, v[0:1]
	v_add_co_u32 v0, vcc_lo, s8, v0
	s_delay_alu instid0(VALU_DEP_2)
	v_add_co_ci_u32_e32 v1, vcc_lo, s9, v1, vcc_lo
	global_store_b32 v[0:1], v4, off
.LBB252_16:
	s_nop 0
	s_sendmsg sendmsg(MSG_DEALLOC_VGPRS)
	s_endpgm
.LBB252_17:
	v_mov_b32_e32 v2, 0
	s_delay_alu instid0(VALU_DEP_1) | instskip(NEXT) | instid1(VALU_DEP_1)
	v_lshlrev_b64 v[0:1], 2, v[1:2]
	v_add_co_u32 v8, vcc_lo, s8, v0
	s_delay_alu instid0(VALU_DEP_2) | instskip(SKIP_3) | instid1(SALU_CYCLE_1)
	v_add_co_ci_u32_e32 v9, vcc_lo, s9, v1, vcc_lo
	v_mov_b32_e32 v0, v3
	global_store_b32 v[8:9], v7, off
	s_or_b32 exec_lo, exec_lo, s0
	s_mov_b32 s0, exec_lo
	v_cmpx_gt_i32_e64 s12, v0
	s_cbranch_execz .LBB252_13
.LBB252_18:
	v_dual_mov_b32 v2, 0 :: v_dual_add_nc_u32 v1, s6, v0
	v_add_nc_u32_e32 v0, 0x100, v0
	s_delay_alu instid0(VALU_DEP_2) | instskip(NEXT) | instid1(VALU_DEP_1)
	v_lshlrev_b64 v[1:2], 2, v[1:2]
	v_add_co_u32 v1, vcc_lo, s8, v1
	s_delay_alu instid0(VALU_DEP_2) | instskip(SKIP_2) | instid1(SALU_CYCLE_1)
	v_add_co_ci_u32_e32 v2, vcc_lo, s9, v2, vcc_lo
	global_store_b32 v[1:2], v6, off
	s_or_b32 exec_lo, exec_lo, s0
	s_mov_b32 s0, exec_lo
	v_cmpx_gt_i32_e64 s12, v0
	s_cbranch_execz .LBB252_14
.LBB252_19:
	v_dual_mov_b32 v2, 0 :: v_dual_add_nc_u32 v1, s6, v0
	v_add_nc_u32_e32 v0, 0x100, v0
	s_delay_alu instid0(VALU_DEP_2) | instskip(NEXT) | instid1(VALU_DEP_1)
	v_lshlrev_b64 v[1:2], 2, v[1:2]
	v_add_co_u32 v1, vcc_lo, s8, v1
	s_delay_alu instid0(VALU_DEP_2) | instskip(SKIP_2) | instid1(SALU_CYCLE_1)
	v_add_co_ci_u32_e32 v2, vcc_lo, s9, v2, vcc_lo
	global_store_b32 v[1:2], v5, off
	s_or_b32 exec_lo, exec_lo, s0
	s_mov_b32 s0, exec_lo
	v_cmpx_gt_i32_e64 s12, v0
	s_cbranch_execnz .LBB252_15
	s_branch .LBB252_16
	.section	.rodata,"a",@progbits
	.p2align	6, 0x0
	.amdhsa_kernel _ZN2at6native29vectorized_elementwise_kernelILi4EZZZNS0_16sqrt_kernel_cudaERNS_18TensorIteratorBaseEENKUlvE0_clEvENKUlvE0_clEvEUlfE_St5arrayIPcLm2EEEEviT0_T1_
		.amdhsa_group_segment_fixed_size 0
		.amdhsa_private_segment_fixed_size 0
		.amdhsa_kernarg_size 24
		.amdhsa_user_sgpr_count 15
		.amdhsa_user_sgpr_dispatch_ptr 0
		.amdhsa_user_sgpr_queue_ptr 0
		.amdhsa_user_sgpr_kernarg_segment_ptr 1
		.amdhsa_user_sgpr_dispatch_id 0
		.amdhsa_user_sgpr_private_segment_size 0
		.amdhsa_wavefront_size32 1
		.amdhsa_uses_dynamic_stack 0
		.amdhsa_enable_private_segment 0
		.amdhsa_system_sgpr_workgroup_id_x 1
		.amdhsa_system_sgpr_workgroup_id_y 0
		.amdhsa_system_sgpr_workgroup_id_z 0
		.amdhsa_system_sgpr_workgroup_info 0
		.amdhsa_system_vgpr_workitem_id 0
		.amdhsa_next_free_vgpr 26
		.amdhsa_next_free_sgpr 16
		.amdhsa_reserve_vcc 1
		.amdhsa_float_round_mode_32 0
		.amdhsa_float_round_mode_16_64 0
		.amdhsa_float_denorm_mode_32 3
		.amdhsa_float_denorm_mode_16_64 3
		.amdhsa_dx10_clamp 1
		.amdhsa_ieee_mode 1
		.amdhsa_fp16_overflow 0
		.amdhsa_workgroup_processor_mode 1
		.amdhsa_memory_ordered 1
		.amdhsa_forward_progress 0
		.amdhsa_shared_vgpr_count 0
		.amdhsa_exception_fp_ieee_invalid_op 0
		.amdhsa_exception_fp_denorm_src 0
		.amdhsa_exception_fp_ieee_div_zero 0
		.amdhsa_exception_fp_ieee_overflow 0
		.amdhsa_exception_fp_ieee_underflow 0
		.amdhsa_exception_fp_ieee_inexact 0
		.amdhsa_exception_int_div_zero 0
	.end_amdhsa_kernel
	.section	.text._ZN2at6native29vectorized_elementwise_kernelILi4EZZZNS0_16sqrt_kernel_cudaERNS_18TensorIteratorBaseEENKUlvE0_clEvENKUlvE0_clEvEUlfE_St5arrayIPcLm2EEEEviT0_T1_,"axG",@progbits,_ZN2at6native29vectorized_elementwise_kernelILi4EZZZNS0_16sqrt_kernel_cudaERNS_18TensorIteratorBaseEENKUlvE0_clEvENKUlvE0_clEvEUlfE_St5arrayIPcLm2EEEEviT0_T1_,comdat
.Lfunc_end252:
	.size	_ZN2at6native29vectorized_elementwise_kernelILi4EZZZNS0_16sqrt_kernel_cudaERNS_18TensorIteratorBaseEENKUlvE0_clEvENKUlvE0_clEvEUlfE_St5arrayIPcLm2EEEEviT0_T1_, .Lfunc_end252-_ZN2at6native29vectorized_elementwise_kernelILi4EZZZNS0_16sqrt_kernel_cudaERNS_18TensorIteratorBaseEENKUlvE0_clEvENKUlvE0_clEvEUlfE_St5arrayIPcLm2EEEEviT0_T1_
                                        ; -- End function
	.section	.AMDGPU.csdata,"",@progbits
; Kernel info:
; codeLenInByte = 1876
; NumSgprs: 18
; NumVgprs: 26
; ScratchSize: 0
; MemoryBound: 0
; FloatMode: 240
; IeeeMode: 1
; LDSByteSize: 0 bytes/workgroup (compile time only)
; SGPRBlocks: 2
; VGPRBlocks: 3
; NumSGPRsForWavesPerEU: 18
; NumVGPRsForWavesPerEU: 26
; Occupancy: 16
; WaveLimiterHint : 0
; COMPUTE_PGM_RSRC2:SCRATCH_EN: 0
; COMPUTE_PGM_RSRC2:USER_SGPR: 15
; COMPUTE_PGM_RSRC2:TRAP_HANDLER: 0
; COMPUTE_PGM_RSRC2:TGID_X_EN: 1
; COMPUTE_PGM_RSRC2:TGID_Y_EN: 0
; COMPUTE_PGM_RSRC2:TGID_Z_EN: 0
; COMPUTE_PGM_RSRC2:TIDIG_COMP_CNT: 0
	.section	.text._ZN2at6native29vectorized_elementwise_kernelILi2EZZZNS0_16sqrt_kernel_cudaERNS_18TensorIteratorBaseEENKUlvE0_clEvENKUlvE0_clEvEUlfE_St5arrayIPcLm2EEEEviT0_T1_,"axG",@progbits,_ZN2at6native29vectorized_elementwise_kernelILi2EZZZNS0_16sqrt_kernel_cudaERNS_18TensorIteratorBaseEENKUlvE0_clEvENKUlvE0_clEvEUlfE_St5arrayIPcLm2EEEEviT0_T1_,comdat
	.globl	_ZN2at6native29vectorized_elementwise_kernelILi2EZZZNS0_16sqrt_kernel_cudaERNS_18TensorIteratorBaseEENKUlvE0_clEvENKUlvE0_clEvEUlfE_St5arrayIPcLm2EEEEviT0_T1_ ; -- Begin function _ZN2at6native29vectorized_elementwise_kernelILi2EZZZNS0_16sqrt_kernel_cudaERNS_18TensorIteratorBaseEENKUlvE0_clEvENKUlvE0_clEvEUlfE_St5arrayIPcLm2EEEEviT0_T1_
	.p2align	8
	.type	_ZN2at6native29vectorized_elementwise_kernelILi2EZZZNS0_16sqrt_kernel_cudaERNS_18TensorIteratorBaseEENKUlvE0_clEvENKUlvE0_clEvEUlfE_St5arrayIPcLm2EEEEviT0_T1_,@function
_ZN2at6native29vectorized_elementwise_kernelILi2EZZZNS0_16sqrt_kernel_cudaERNS_18TensorIteratorBaseEENKUlvE0_clEvENKUlvE0_clEvEUlfE_St5arrayIPcLm2EEEEviT0_T1_: ; @_ZN2at6native29vectorized_elementwise_kernelILi2EZZZNS0_16sqrt_kernel_cudaERNS_18TensorIteratorBaseEENKUlvE0_clEvENKUlvE0_clEvEUlfE_St5arrayIPcLm2EEEEviT0_T1_
; %bb.0:
	s_clause 0x1
	s_load_b32 s2, s[0:1], 0x0
	s_load_b128 s[8:11], s[0:1], 0x8
	s_lshl_b32 s6, s15, 10
	s_mov_b32 s0, -1
	s_waitcnt lgkmcnt(0)
	s_sub_i32 s12, s2, s6
	s_delay_alu instid0(SALU_CYCLE_1)
	s_cmpk_gt_i32 s12, 0x3ff
	s_cbranch_scc0 .LBB253_2
; %bb.1:
	s_ashr_i32 s7, s6, 31
	v_lshlrev_b32_e32 v5, 3, v0
	s_lshl_b64 s[4:5], s[6:7], 2
	s_delay_alu instid0(SALU_CYCLE_1)
	s_add_u32 s0, s10, s4
	s_addc_u32 s1, s11, s5
	s_clause 0x1
	global_load_b64 v[1:2], v5, s[0:1]
	global_load_b64 v[3:4], v5, s[0:1] offset:2048
	s_waitcnt vmcnt(1)
	v_dual_mul_f32 v6, 0x4f800000, v1 :: v_dual_mul_f32 v7, 0x4f800000, v2
	s_waitcnt vmcnt(0)
	v_mul_f32_e32 v8, 0x4f800000, v3
	v_cmp_gt_f32_e64 s0, 0xf800000, v2
	v_cmp_gt_f32_e32 vcc_lo, 0xf800000, v1
	v_cmp_gt_f32_e64 s1, 0xf800000, v3
	v_cmp_gt_f32_e64 s2, 0xf800000, v4
	s_delay_alu instid0(VALU_DEP_4) | instskip(NEXT) | instid1(VALU_DEP_3)
	v_cndmask_b32_e64 v2, v2, v7, s0
	v_cndmask_b32_e64 v3, v3, v8, s1
	s_delay_alu instid0(VALU_DEP_2) | instskip(SKIP_1) | instid1(VALU_DEP_2)
	v_sqrt_f32_e32 v7, v2
	v_cndmask_b32_e32 v1, v1, v6, vcc_lo
	v_sqrt_f32_e32 v8, v3
	s_waitcnt_depctr 0xfff
	v_add_nc_u32_e32 v12, -1, v7
	v_sqrt_f32_e32 v6, v1
	v_mul_f32_e32 v9, 0x4f800000, v4
	v_add_nc_u32_e32 v14, -1, v8
	v_add_nc_u32_e32 v13, 1, v7
	v_fma_f32 v20, -v12, v7, v2
	v_add_nc_u32_e32 v15, 1, v8
	s_delay_alu instid0(VALU_DEP_4) | instskip(NEXT) | instid1(VALU_DEP_4)
	v_fma_f32 v22, -v14, v8, v3
	v_fma_f32 v21, -v13, v7, v2
	s_delay_alu instid0(TRANS32_DEP_1) | instskip(SKIP_3) | instid1(VALU_DEP_4)
	v_add_nc_u32_e32 v10, -1, v6
	v_cndmask_b32_e64 v4, v4, v9, s2
	v_add_nc_u32_e32 v11, 1, v6
	v_fma_f32 v23, -v15, v8, v3
	v_fma_f32 v18, -v10, v6, v1
	s_delay_alu instid0(VALU_DEP_4) | instskip(NEXT) | instid1(VALU_DEP_3)
	v_sqrt_f32_e32 v9, v4
	v_fma_f32 v19, -v11, v6, v1
	s_delay_alu instid0(VALU_DEP_2) | instskip(NEXT) | instid1(VALU_DEP_1)
	v_cmp_ge_f32_e64 s3, 0, v18
	v_cndmask_b32_e64 v6, v6, v10, s3
	s_waitcnt_depctr 0xfff
	v_add_nc_u32_e32 v16, -1, v9
	v_cmp_ge_f32_e64 s3, 0, v20
	v_add_nc_u32_e32 v17, 1, v9
	s_delay_alu instid0(VALU_DEP_3) | instskip(NEXT) | instid1(VALU_DEP_3)
	v_fma_f32 v24, -v16, v9, v4
	v_cndmask_b32_e64 v7, v7, v12, s3
	v_cmp_ge_f32_e64 s3, 0, v22
	s_delay_alu instid0(VALU_DEP_4) | instskip(NEXT) | instid1(VALU_DEP_2)
	v_fma_f32 v25, -v17, v9, v4
	v_cndmask_b32_e64 v8, v8, v14, s3
	v_cmp_ge_f32_e64 s3, 0, v24
	s_delay_alu instid0(VALU_DEP_1) | instskip(SKIP_1) | instid1(VALU_DEP_1)
	v_cndmask_b32_e64 v9, v9, v16, s3
	v_cmp_lt_f32_e64 s3, 0, v19
	v_cndmask_b32_e64 v6, v6, v11, s3
	v_cmp_lt_f32_e64 s3, 0, v21
	s_delay_alu instid0(VALU_DEP_2) | instskip(NEXT) | instid1(VALU_DEP_2)
	v_mul_f32_e32 v10, 0x37800000, v6
	v_cndmask_b32_e64 v7, v7, v13, s3
	v_cmp_lt_f32_e64 s3, 0, v23
	s_delay_alu instid0(VALU_DEP_2) | instskip(NEXT) | instid1(VALU_DEP_2)
	v_dual_cndmask_b32 v6, v6, v10 :: v_dual_mul_f32 v11, 0x37800000, v7
	v_cndmask_b32_e64 v8, v8, v15, s3
	v_cmp_class_f32_e64 vcc_lo, v1, 0x260
	v_cmp_lt_f32_e64 s3, 0, v25
	s_delay_alu instid0(VALU_DEP_4) | instskip(NEXT) | instid1(VALU_DEP_4)
	v_cndmask_b32_e64 v7, v7, v11, s0
	v_dual_mul_f32 v12, 0x37800000, v8 :: v_dual_cndmask_b32 v1, v6, v1
	v_cmp_class_f32_e64 vcc_lo, v2, 0x260
	s_mov_b32 s0, 0
	s_delay_alu instid0(VALU_DEP_2) | instskip(SKIP_3) | instid1(VALU_DEP_4)
	v_cndmask_b32_e64 v8, v8, v12, s1
	v_cndmask_b32_e32 v2, v7, v2, vcc_lo
	v_cndmask_b32_e64 v9, v9, v17, s3
	v_cmp_class_f32_e64 vcc_lo, v3, 0x260
	v_cndmask_b32_e32 v3, v8, v3, vcc_lo
	v_cmp_class_f32_e64 vcc_lo, v4, 0x260
	s_delay_alu instid0(VALU_DEP_4) | instskip(NEXT) | instid1(VALU_DEP_1)
	v_mul_f32_e32 v13, 0x37800000, v9
	v_cndmask_b32_e64 v9, v9, v13, s2
	s_add_u32 s2, s8, s4
	s_addc_u32 s3, s9, s5
	s_delay_alu instid0(VALU_DEP_1)
	v_cndmask_b32_e32 v4, v9, v4, vcc_lo
	s_clause 0x1
	global_store_b64 v5, v[1:2], s[2:3]
	global_store_b64 v5, v[3:4], s[2:3] offset:2048
.LBB253_2:
	s_and_not1_b32 vcc_lo, exec_lo, s0
	s_cbranch_vccnz .LBB253_16
; %bb.3:
	v_cmp_gt_i32_e32 vcc_lo, s12, v0
	v_dual_mov_b32 v4, 0 :: v_dual_mov_b32 v7, v0
	v_or_b32_e32 v1, s6, v0
	v_or_b32_e32 v3, 0x100, v0
	v_mov_b32_e32 v2, 0
	s_and_saveexec_b32 s1, vcc_lo
	s_cbranch_execz .LBB253_5
; %bb.4:
	v_mov_b32_e32 v2, 0
	v_or_b32_e32 v7, 0x100, v0
	s_delay_alu instid0(VALU_DEP_2) | instskip(NEXT) | instid1(VALU_DEP_1)
	v_lshlrev_b64 v[5:6], 2, v[1:2]
	v_add_co_u32 v5, s0, s10, v5
	s_delay_alu instid0(VALU_DEP_1)
	v_add_co_ci_u32_e64 v6, s0, s11, v6, s0
	global_load_b32 v2, v[5:6], off
.LBB253_5:
	s_or_b32 exec_lo, exec_lo, s1
	s_delay_alu instid0(SALU_CYCLE_1)
	s_mov_b32 s1, exec_lo
	v_cmpx_gt_i32_e64 s12, v7
	s_cbranch_execz .LBB253_7
; %bb.6:
	v_dual_mov_b32 v5, 0 :: v_dual_add_nc_u32 v4, s6, v7
	v_add_nc_u32_e32 v7, 0x100, v7
	s_delay_alu instid0(VALU_DEP_2) | instskip(NEXT) | instid1(VALU_DEP_1)
	v_lshlrev_b64 v[4:5], 2, v[4:5]
	v_add_co_u32 v4, s0, s10, v4
	s_delay_alu instid0(VALU_DEP_1)
	v_add_co_ci_u32_e64 v5, s0, s11, v5, s0
	global_load_b32 v4, v[4:5], off
.LBB253_7:
	s_or_b32 exec_lo, exec_lo, s1
	v_dual_mov_b32 v5, 0 :: v_dual_mov_b32 v6, 0
	s_mov_b32 s1, exec_lo
	v_cmpx_gt_i32_e64 s12, v7
	s_cbranch_execz .LBB253_9
; %bb.8:
	v_dual_mov_b32 v9, 0 :: v_dual_add_nc_u32 v8, s6, v7
	v_add_nc_u32_e32 v7, 0x100, v7
	s_delay_alu instid0(VALU_DEP_2) | instskip(NEXT) | instid1(VALU_DEP_1)
	v_lshlrev_b64 v[8:9], 2, v[8:9]
	v_add_co_u32 v8, s0, s10, v8
	s_delay_alu instid0(VALU_DEP_1)
	v_add_co_ci_u32_e64 v9, s0, s11, v9, s0
	global_load_b32 v6, v[8:9], off
.LBB253_9:
	s_or_b32 exec_lo, exec_lo, s1
	s_delay_alu instid0(SALU_CYCLE_1)
	s_mov_b32 s1, exec_lo
	v_cmpx_gt_i32_e64 s12, v7
	s_cbranch_execz .LBB253_11
; %bb.10:
	v_dual_mov_b32 v8, 0 :: v_dual_add_nc_u32 v7, s6, v7
	s_delay_alu instid0(VALU_DEP_1) | instskip(NEXT) | instid1(VALU_DEP_1)
	v_lshlrev_b64 v[7:8], 2, v[7:8]
	v_add_co_u32 v7, s0, s10, v7
	s_delay_alu instid0(VALU_DEP_1)
	v_add_co_ci_u32_e64 v8, s0, s11, v8, s0
	global_load_b32 v5, v[7:8], off
.LBB253_11:
	s_or_b32 exec_lo, exec_lo, s1
	s_waitcnt vmcnt(0)
	v_dual_mul_f32 v7, 0x4f800000, v2 :: v_dual_mul_f32 v8, 0x4f800000, v4
	v_cmp_gt_f32_e64 s0, 0xf800000, v2
	v_dual_mul_f32 v9, 0x4f800000, v6 :: v_dual_mul_f32 v10, 0x4f800000, v5
	v_cmp_gt_f32_e64 s1, 0xf800000, v4
	v_cmp_gt_f32_e64 s2, 0xf800000, v6
	s_delay_alu instid0(VALU_DEP_4) | instskip(SKIP_1) | instid1(VALU_DEP_4)
	v_cndmask_b32_e64 v2, v2, v7, s0
	v_cmp_gt_f32_e64 s3, 0xf800000, v5
	v_cndmask_b32_e64 v4, v4, v8, s1
	s_delay_alu instid0(VALU_DEP_4) | instskip(NEXT) | instid1(VALU_DEP_4)
	v_cndmask_b32_e64 v8, v6, v9, s2
	v_sqrt_f32_e32 v6, v2
	s_delay_alu instid0(VALU_DEP_3) | instskip(NEXT) | instid1(VALU_DEP_3)
	v_cndmask_b32_e64 v9, v5, v10, s3
	v_sqrt_f32_e32 v5, v4
	s_delay_alu instid0(VALU_DEP_2) | instskip(NEXT) | instid1(VALU_DEP_1)
	v_sqrt_f32_e32 v7, v8
	v_sqrt_f32_e32 v10, v9
	v_add_nc_u32_e32 v11, -1, v6
	v_add_nc_u32_e32 v12, 1, v6
	s_delay_alu instid0(TRANS32_DEP_3)
	v_add_nc_u32_e32 v13, -1, v5
	s_waitcnt_depctr 0xfff
	v_add_nc_u32_e32 v15, -1, v7
	v_fma_f32 v18, -v11, v6, v2
	v_fma_f32 v20, -v12, v6, v2
	v_add_nc_u32_e32 v17, -1, v10
	v_fma_f32 v21, -v13, v5, v4
	v_add_nc_u32_e32 v16, 1, v7
	v_cmp_ge_f32_e64 s4, 0, v18
	v_add_nc_u32_e32 v19, 1, v10
	v_fma_f32 v23, -v17, v10, v9
	s_delay_alu instid0(VALU_DEP_4) | instskip(NEXT) | instid1(VALU_DEP_4)
	v_fma_f32 v18, -v16, v7, v8
	v_cndmask_b32_e64 v6, v6, v11, s4
	v_cmp_lt_f32_e64 s4, 0, v20
	v_fma_f32 v11, -v15, v7, v8
	s_delay_alu instid0(VALU_DEP_2) | instskip(SKIP_2) | instid1(VALU_DEP_2)
	v_cndmask_b32_e64 v6, v6, v12, s4
	v_add_nc_u32_e32 v14, 1, v5
	v_cmp_ge_f32_e64 s4, 0, v21
	v_fma_f32 v22, -v14, v5, v4
	s_delay_alu instid0(VALU_DEP_2) | instskip(SKIP_2) | instid1(VALU_DEP_2)
	v_cndmask_b32_e64 v5, v5, v13, s4
	v_cmp_ge_f32_e64 s4, 0, v11
	v_mul_f32_e32 v11, 0x37800000, v6
	v_cndmask_b32_e64 v7, v7, v15, s4
	v_cmp_ge_f32_e64 s4, 0, v23
	s_delay_alu instid0(VALU_DEP_3) | instskip(SKIP_1) | instid1(VALU_DEP_3)
	v_cndmask_b32_e64 v6, v6, v11, s0
	v_cmp_class_f32_e64 s0, v2, 0x260
	v_cndmask_b32_e64 v12, v10, v17, s4
	v_cmp_lt_f32_e64 s4, 0, v22
	v_fma_f32 v10, -v19, v10, v9
	s_delay_alu instid0(VALU_DEP_2) | instskip(SKIP_1) | instid1(VALU_DEP_1)
	v_cndmask_b32_e64 v5, v5, v14, s4
	v_cmp_lt_f32_e64 s4, 0, v18
	v_cndmask_b32_e64 v13, v7, v16, s4
	s_delay_alu instid0(VALU_DEP_4) | instskip(NEXT) | instid1(VALU_DEP_4)
	v_cmp_lt_f32_e64 s4, 0, v10
	v_mul_f32_e32 v7, 0x37800000, v5
	s_delay_alu instid0(VALU_DEP_3) | instskip(NEXT) | instid1(VALU_DEP_3)
	v_mul_f32_e32 v11, 0x37800000, v13
	v_cndmask_b32_e64 v10, v12, v19, s4
	s_delay_alu instid0(VALU_DEP_3) | instskip(SKIP_4) | instid1(VALU_DEP_3)
	v_cndmask_b32_e64 v5, v5, v7, s1
	v_cndmask_b32_e64 v7, v6, v2, s0
	v_cmp_class_f32_e64 s0, v4, 0x260
	v_cndmask_b32_e64 v2, v13, v11, s2
	v_mul_f32_e32 v12, 0x37800000, v10
	v_cndmask_b32_e64 v6, v5, v4, s0
	v_cmp_class_f32_e64 s0, v8, 0x260
	s_delay_alu instid0(VALU_DEP_3) | instskip(NEXT) | instid1(VALU_DEP_2)
	v_cndmask_b32_e64 v10, v10, v12, s3
	v_cndmask_b32_e64 v5, v2, v8, s0
	v_cmp_class_f32_e64 s0, v9, 0x260
	s_delay_alu instid0(VALU_DEP_1)
	v_cndmask_b32_e64 v4, v10, v9, s0
	s_and_saveexec_b32 s0, vcc_lo
	s_cbranch_execnz .LBB253_17
; %bb.12:
	s_or_b32 exec_lo, exec_lo, s0
	s_delay_alu instid0(SALU_CYCLE_1)
	s_mov_b32 s0, exec_lo
	v_cmpx_gt_i32_e64 s12, v0
	s_cbranch_execnz .LBB253_18
.LBB253_13:
	s_or_b32 exec_lo, exec_lo, s0
	s_delay_alu instid0(SALU_CYCLE_1)
	s_mov_b32 s0, exec_lo
	v_cmpx_gt_i32_e64 s12, v0
	s_cbranch_execnz .LBB253_19
.LBB253_14:
	s_or_b32 exec_lo, exec_lo, s0
	s_delay_alu instid0(SALU_CYCLE_1)
	s_mov_b32 s0, exec_lo
	v_cmpx_gt_i32_e64 s12, v0
	s_cbranch_execz .LBB253_16
.LBB253_15:
	v_dual_mov_b32 v1, 0 :: v_dual_add_nc_u32 v0, s6, v0
	s_delay_alu instid0(VALU_DEP_1) | instskip(NEXT) | instid1(VALU_DEP_1)
	v_lshlrev_b64 v[0:1], 2, v[0:1]
	v_add_co_u32 v0, vcc_lo, s8, v0
	s_delay_alu instid0(VALU_DEP_2)
	v_add_co_ci_u32_e32 v1, vcc_lo, s9, v1, vcc_lo
	global_store_b32 v[0:1], v4, off
.LBB253_16:
	s_nop 0
	s_sendmsg sendmsg(MSG_DEALLOC_VGPRS)
	s_endpgm
.LBB253_17:
	v_mov_b32_e32 v2, 0
	s_delay_alu instid0(VALU_DEP_1) | instskip(NEXT) | instid1(VALU_DEP_1)
	v_lshlrev_b64 v[0:1], 2, v[1:2]
	v_add_co_u32 v8, vcc_lo, s8, v0
	s_delay_alu instid0(VALU_DEP_2) | instskip(SKIP_3) | instid1(SALU_CYCLE_1)
	v_add_co_ci_u32_e32 v9, vcc_lo, s9, v1, vcc_lo
	v_mov_b32_e32 v0, v3
	global_store_b32 v[8:9], v7, off
	s_or_b32 exec_lo, exec_lo, s0
	s_mov_b32 s0, exec_lo
	v_cmpx_gt_i32_e64 s12, v0
	s_cbranch_execz .LBB253_13
.LBB253_18:
	v_dual_mov_b32 v2, 0 :: v_dual_add_nc_u32 v1, s6, v0
	v_add_nc_u32_e32 v0, 0x100, v0
	s_delay_alu instid0(VALU_DEP_2) | instskip(NEXT) | instid1(VALU_DEP_1)
	v_lshlrev_b64 v[1:2], 2, v[1:2]
	v_add_co_u32 v1, vcc_lo, s8, v1
	s_delay_alu instid0(VALU_DEP_2) | instskip(SKIP_2) | instid1(SALU_CYCLE_1)
	v_add_co_ci_u32_e32 v2, vcc_lo, s9, v2, vcc_lo
	global_store_b32 v[1:2], v6, off
	s_or_b32 exec_lo, exec_lo, s0
	s_mov_b32 s0, exec_lo
	v_cmpx_gt_i32_e64 s12, v0
	s_cbranch_execz .LBB253_14
.LBB253_19:
	v_dual_mov_b32 v2, 0 :: v_dual_add_nc_u32 v1, s6, v0
	v_add_nc_u32_e32 v0, 0x100, v0
	s_delay_alu instid0(VALU_DEP_2) | instskip(NEXT) | instid1(VALU_DEP_1)
	v_lshlrev_b64 v[1:2], 2, v[1:2]
	v_add_co_u32 v1, vcc_lo, s8, v1
	s_delay_alu instid0(VALU_DEP_2) | instskip(SKIP_2) | instid1(SALU_CYCLE_1)
	v_add_co_ci_u32_e32 v2, vcc_lo, s9, v2, vcc_lo
	global_store_b32 v[1:2], v5, off
	s_or_b32 exec_lo, exec_lo, s0
	s_mov_b32 s0, exec_lo
	v_cmpx_gt_i32_e64 s12, v0
	s_cbranch_execnz .LBB253_15
	s_branch .LBB253_16
	.section	.rodata,"a",@progbits
	.p2align	6, 0x0
	.amdhsa_kernel _ZN2at6native29vectorized_elementwise_kernelILi2EZZZNS0_16sqrt_kernel_cudaERNS_18TensorIteratorBaseEENKUlvE0_clEvENKUlvE0_clEvEUlfE_St5arrayIPcLm2EEEEviT0_T1_
		.amdhsa_group_segment_fixed_size 0
		.amdhsa_private_segment_fixed_size 0
		.amdhsa_kernarg_size 24
		.amdhsa_user_sgpr_count 15
		.amdhsa_user_sgpr_dispatch_ptr 0
		.amdhsa_user_sgpr_queue_ptr 0
		.amdhsa_user_sgpr_kernarg_segment_ptr 1
		.amdhsa_user_sgpr_dispatch_id 0
		.amdhsa_user_sgpr_private_segment_size 0
		.amdhsa_wavefront_size32 1
		.amdhsa_uses_dynamic_stack 0
		.amdhsa_enable_private_segment 0
		.amdhsa_system_sgpr_workgroup_id_x 1
		.amdhsa_system_sgpr_workgroup_id_y 0
		.amdhsa_system_sgpr_workgroup_id_z 0
		.amdhsa_system_sgpr_workgroup_info 0
		.amdhsa_system_vgpr_workitem_id 0
		.amdhsa_next_free_vgpr 26
		.amdhsa_next_free_sgpr 16
		.amdhsa_reserve_vcc 1
		.amdhsa_float_round_mode_32 0
		.amdhsa_float_round_mode_16_64 0
		.amdhsa_float_denorm_mode_32 3
		.amdhsa_float_denorm_mode_16_64 3
		.amdhsa_dx10_clamp 1
		.amdhsa_ieee_mode 1
		.amdhsa_fp16_overflow 0
		.amdhsa_workgroup_processor_mode 1
		.amdhsa_memory_ordered 1
		.amdhsa_forward_progress 0
		.amdhsa_shared_vgpr_count 0
		.amdhsa_exception_fp_ieee_invalid_op 0
		.amdhsa_exception_fp_denorm_src 0
		.amdhsa_exception_fp_ieee_div_zero 0
		.amdhsa_exception_fp_ieee_overflow 0
		.amdhsa_exception_fp_ieee_underflow 0
		.amdhsa_exception_fp_ieee_inexact 0
		.amdhsa_exception_int_div_zero 0
	.end_amdhsa_kernel
	.section	.text._ZN2at6native29vectorized_elementwise_kernelILi2EZZZNS0_16sqrt_kernel_cudaERNS_18TensorIteratorBaseEENKUlvE0_clEvENKUlvE0_clEvEUlfE_St5arrayIPcLm2EEEEviT0_T1_,"axG",@progbits,_ZN2at6native29vectorized_elementwise_kernelILi2EZZZNS0_16sqrt_kernel_cudaERNS_18TensorIteratorBaseEENKUlvE0_clEvENKUlvE0_clEvEUlfE_St5arrayIPcLm2EEEEviT0_T1_,comdat
.Lfunc_end253:
	.size	_ZN2at6native29vectorized_elementwise_kernelILi2EZZZNS0_16sqrt_kernel_cudaERNS_18TensorIteratorBaseEENKUlvE0_clEvENKUlvE0_clEvEUlfE_St5arrayIPcLm2EEEEviT0_T1_, .Lfunc_end253-_ZN2at6native29vectorized_elementwise_kernelILi2EZZZNS0_16sqrt_kernel_cudaERNS_18TensorIteratorBaseEENKUlvE0_clEvENKUlvE0_clEvEUlfE_St5arrayIPcLm2EEEEviT0_T1_
                                        ; -- End function
	.section	.AMDGPU.csdata,"",@progbits
; Kernel info:
; codeLenInByte = 1904
; NumSgprs: 18
; NumVgprs: 26
; ScratchSize: 0
; MemoryBound: 0
; FloatMode: 240
; IeeeMode: 1
; LDSByteSize: 0 bytes/workgroup (compile time only)
; SGPRBlocks: 2
; VGPRBlocks: 3
; NumSGPRsForWavesPerEU: 18
; NumVGPRsForWavesPerEU: 26
; Occupancy: 16
; WaveLimiterHint : 1
; COMPUTE_PGM_RSRC2:SCRATCH_EN: 0
; COMPUTE_PGM_RSRC2:USER_SGPR: 15
; COMPUTE_PGM_RSRC2:TRAP_HANDLER: 0
; COMPUTE_PGM_RSRC2:TGID_X_EN: 1
; COMPUTE_PGM_RSRC2:TGID_Y_EN: 0
; COMPUTE_PGM_RSRC2:TGID_Z_EN: 0
; COMPUTE_PGM_RSRC2:TIDIG_COMP_CNT: 0
	.section	.text._ZN2at6native27unrolled_elementwise_kernelIZZZNS0_16sqrt_kernel_cudaERNS_18TensorIteratorBaseEENKUlvE0_clEvENKUlvE0_clEvEUlfE_St5arrayIPcLm2EELi4E23TrivialOffsetCalculatorILi1EjESB_NS0_6memory15LoadWithoutCastENSC_16StoreWithoutCastEEEviT_T0_T2_T3_T4_T5_,"axG",@progbits,_ZN2at6native27unrolled_elementwise_kernelIZZZNS0_16sqrt_kernel_cudaERNS_18TensorIteratorBaseEENKUlvE0_clEvENKUlvE0_clEvEUlfE_St5arrayIPcLm2EELi4E23TrivialOffsetCalculatorILi1EjESB_NS0_6memory15LoadWithoutCastENSC_16StoreWithoutCastEEEviT_T0_T2_T3_T4_T5_,comdat
	.globl	_ZN2at6native27unrolled_elementwise_kernelIZZZNS0_16sqrt_kernel_cudaERNS_18TensorIteratorBaseEENKUlvE0_clEvENKUlvE0_clEvEUlfE_St5arrayIPcLm2EELi4E23TrivialOffsetCalculatorILi1EjESB_NS0_6memory15LoadWithoutCastENSC_16StoreWithoutCastEEEviT_T0_T2_T3_T4_T5_ ; -- Begin function _ZN2at6native27unrolled_elementwise_kernelIZZZNS0_16sqrt_kernel_cudaERNS_18TensorIteratorBaseEENKUlvE0_clEvENKUlvE0_clEvEUlfE_St5arrayIPcLm2EELi4E23TrivialOffsetCalculatorILi1EjESB_NS0_6memory15LoadWithoutCastENSC_16StoreWithoutCastEEEviT_T0_T2_T3_T4_T5_
	.p2align	8
	.type	_ZN2at6native27unrolled_elementwise_kernelIZZZNS0_16sqrt_kernel_cudaERNS_18TensorIteratorBaseEENKUlvE0_clEvENKUlvE0_clEvEUlfE_St5arrayIPcLm2EELi4E23TrivialOffsetCalculatorILi1EjESB_NS0_6memory15LoadWithoutCastENSC_16StoreWithoutCastEEEviT_T0_T2_T3_T4_T5_,@function
_ZN2at6native27unrolled_elementwise_kernelIZZZNS0_16sqrt_kernel_cudaERNS_18TensorIteratorBaseEENKUlvE0_clEvENKUlvE0_clEvEUlfE_St5arrayIPcLm2EELi4E23TrivialOffsetCalculatorILi1EjESB_NS0_6memory15LoadWithoutCastENSC_16StoreWithoutCastEEEviT_T0_T2_T3_T4_T5_: ; @_ZN2at6native27unrolled_elementwise_kernelIZZZNS0_16sqrt_kernel_cudaERNS_18TensorIteratorBaseEENKUlvE0_clEvENKUlvE0_clEvEUlfE_St5arrayIPcLm2EELi4E23TrivialOffsetCalculatorILi1EjESB_NS0_6memory15LoadWithoutCastENSC_16StoreWithoutCastEEEviT_T0_T2_T3_T4_T5_
; %bb.0:
	s_clause 0x1
	s_load_b32 s2, s[0:1], 0x0
	s_load_b128 s[8:11], s[0:1], 0x8
	s_lshl_b32 s5, s15, 10
	v_dual_mov_b32 v4, 0 :: v_dual_mov_b32 v7, v0
	v_mov_b32_e32 v2, 0
	v_or_b32_e32 v1, s5, v0
	v_or_b32_e32 v3, 0x100, v0
	s_waitcnt lgkmcnt(0)
	s_sub_i32 s6, s2, s5
	s_delay_alu instid0(SALU_CYCLE_1)
	v_cmp_gt_i32_e32 vcc_lo, s6, v0
	s_and_saveexec_b32 s1, vcc_lo
	s_cbranch_execz .LBB254_2
; %bb.1:
	v_mov_b32_e32 v2, 0
	v_or_b32_e32 v7, 0x100, v0
	s_delay_alu instid0(VALU_DEP_2) | instskip(NEXT) | instid1(VALU_DEP_1)
	v_lshlrev_b64 v[5:6], 2, v[1:2]
	v_add_co_u32 v5, s0, s10, v5
	s_delay_alu instid0(VALU_DEP_1)
	v_add_co_ci_u32_e64 v6, s0, s11, v6, s0
	global_load_b32 v2, v[5:6], off
.LBB254_2:
	s_or_b32 exec_lo, exec_lo, s1
	s_delay_alu instid0(SALU_CYCLE_1)
	s_mov_b32 s1, exec_lo
	v_cmpx_gt_i32_e64 s6, v7
	s_cbranch_execz .LBB254_4
; %bb.3:
	v_dual_mov_b32 v5, 0 :: v_dual_add_nc_u32 v4, s5, v7
	v_add_nc_u32_e32 v7, 0x100, v7
	s_delay_alu instid0(VALU_DEP_2) | instskip(NEXT) | instid1(VALU_DEP_1)
	v_lshlrev_b64 v[4:5], 2, v[4:5]
	v_add_co_u32 v4, s0, s10, v4
	s_delay_alu instid0(VALU_DEP_1)
	v_add_co_ci_u32_e64 v5, s0, s11, v5, s0
	global_load_b32 v4, v[4:5], off
.LBB254_4:
	s_or_b32 exec_lo, exec_lo, s1
	v_dual_mov_b32 v5, 0 :: v_dual_mov_b32 v6, 0
	s_mov_b32 s1, exec_lo
	v_cmpx_gt_i32_e64 s6, v7
	s_cbranch_execz .LBB254_6
; %bb.5:
	v_dual_mov_b32 v9, 0 :: v_dual_add_nc_u32 v8, s5, v7
	v_add_nc_u32_e32 v7, 0x100, v7
	s_delay_alu instid0(VALU_DEP_2) | instskip(NEXT) | instid1(VALU_DEP_1)
	v_lshlrev_b64 v[8:9], 2, v[8:9]
	v_add_co_u32 v8, s0, s10, v8
	s_delay_alu instid0(VALU_DEP_1)
	v_add_co_ci_u32_e64 v9, s0, s11, v9, s0
	global_load_b32 v6, v[8:9], off
.LBB254_6:
	s_or_b32 exec_lo, exec_lo, s1
	s_delay_alu instid0(SALU_CYCLE_1)
	s_mov_b32 s1, exec_lo
	v_cmpx_gt_i32_e64 s6, v7
	s_cbranch_execz .LBB254_8
; %bb.7:
	v_dual_mov_b32 v8, 0 :: v_dual_add_nc_u32 v7, s5, v7
	s_delay_alu instid0(VALU_DEP_1) | instskip(NEXT) | instid1(VALU_DEP_1)
	v_lshlrev_b64 v[7:8], 2, v[7:8]
	v_add_co_u32 v7, s0, s10, v7
	s_delay_alu instid0(VALU_DEP_1)
	v_add_co_ci_u32_e64 v8, s0, s11, v8, s0
	global_load_b32 v5, v[7:8], off
.LBB254_8:
	s_or_b32 exec_lo, exec_lo, s1
	s_waitcnt vmcnt(0)
	v_dual_mul_f32 v7, 0x4f800000, v2 :: v_dual_mul_f32 v8, 0x4f800000, v4
	v_cmp_gt_f32_e64 s0, 0xf800000, v2
	v_dual_mul_f32 v9, 0x4f800000, v6 :: v_dual_mul_f32 v10, 0x4f800000, v5
	v_cmp_gt_f32_e64 s1, 0xf800000, v4
	v_cmp_gt_f32_e64 s2, 0xf800000, v6
	s_delay_alu instid0(VALU_DEP_4) | instskip(SKIP_1) | instid1(VALU_DEP_4)
	v_cndmask_b32_e64 v2, v2, v7, s0
	v_cmp_gt_f32_e64 s3, 0xf800000, v5
	v_cndmask_b32_e64 v4, v4, v8, s1
	s_delay_alu instid0(VALU_DEP_4) | instskip(NEXT) | instid1(VALU_DEP_4)
	v_cndmask_b32_e64 v8, v6, v9, s2
	v_sqrt_f32_e32 v6, v2
	s_delay_alu instid0(VALU_DEP_3) | instskip(NEXT) | instid1(VALU_DEP_3)
	v_cndmask_b32_e64 v9, v5, v10, s3
	v_sqrt_f32_e32 v5, v4
	s_delay_alu instid0(VALU_DEP_2) | instskip(NEXT) | instid1(VALU_DEP_1)
	v_sqrt_f32_e32 v7, v8
	v_sqrt_f32_e32 v10, v9
	v_add_nc_u32_e32 v11, -1, v6
	v_add_nc_u32_e32 v12, 1, v6
	s_delay_alu instid0(TRANS32_DEP_3)
	v_add_nc_u32_e32 v13, -1, v5
	s_waitcnt_depctr 0xfff
	v_add_nc_u32_e32 v15, -1, v7
	v_fma_f32 v18, -v11, v6, v2
	v_fma_f32 v20, -v12, v6, v2
	v_add_nc_u32_e32 v17, -1, v10
	v_fma_f32 v21, -v13, v5, v4
	v_add_nc_u32_e32 v16, 1, v7
	v_cmp_ge_f32_e64 s4, 0, v18
	v_add_nc_u32_e32 v19, 1, v10
	v_fma_f32 v23, -v17, v10, v9
	s_delay_alu instid0(VALU_DEP_4) | instskip(NEXT) | instid1(VALU_DEP_4)
	v_fma_f32 v18, -v16, v7, v8
	v_cndmask_b32_e64 v6, v6, v11, s4
	v_cmp_lt_f32_e64 s4, 0, v20
	v_fma_f32 v11, -v15, v7, v8
	s_delay_alu instid0(VALU_DEP_2) | instskip(SKIP_2) | instid1(VALU_DEP_2)
	v_cndmask_b32_e64 v6, v6, v12, s4
	v_add_nc_u32_e32 v14, 1, v5
	v_cmp_ge_f32_e64 s4, 0, v21
	v_fma_f32 v22, -v14, v5, v4
	s_delay_alu instid0(VALU_DEP_2) | instskip(SKIP_2) | instid1(VALU_DEP_2)
	v_cndmask_b32_e64 v5, v5, v13, s4
	v_cmp_ge_f32_e64 s4, 0, v11
	v_mul_f32_e32 v11, 0x37800000, v6
	v_cndmask_b32_e64 v7, v7, v15, s4
	v_cmp_ge_f32_e64 s4, 0, v23
	s_delay_alu instid0(VALU_DEP_3) | instskip(SKIP_1) | instid1(VALU_DEP_3)
	v_cndmask_b32_e64 v6, v6, v11, s0
	v_cmp_class_f32_e64 s0, v2, 0x260
	v_cndmask_b32_e64 v12, v10, v17, s4
	v_cmp_lt_f32_e64 s4, 0, v22
	v_fma_f32 v10, -v19, v10, v9
	s_delay_alu instid0(VALU_DEP_2) | instskip(SKIP_1) | instid1(VALU_DEP_1)
	v_cndmask_b32_e64 v5, v5, v14, s4
	v_cmp_lt_f32_e64 s4, 0, v18
	v_cndmask_b32_e64 v13, v7, v16, s4
	s_delay_alu instid0(VALU_DEP_4) | instskip(NEXT) | instid1(VALU_DEP_4)
	v_cmp_lt_f32_e64 s4, 0, v10
	v_mul_f32_e32 v7, 0x37800000, v5
	s_delay_alu instid0(VALU_DEP_3) | instskip(NEXT) | instid1(VALU_DEP_3)
	v_mul_f32_e32 v11, 0x37800000, v13
	v_cndmask_b32_e64 v10, v12, v19, s4
	s_delay_alu instid0(VALU_DEP_3) | instskip(SKIP_4) | instid1(VALU_DEP_3)
	v_cndmask_b32_e64 v5, v5, v7, s1
	v_cndmask_b32_e64 v7, v6, v2, s0
	v_cmp_class_f32_e64 s0, v4, 0x260
	v_cndmask_b32_e64 v2, v13, v11, s2
	v_mul_f32_e32 v12, 0x37800000, v10
	v_cndmask_b32_e64 v6, v5, v4, s0
	v_cmp_class_f32_e64 s0, v8, 0x260
	s_delay_alu instid0(VALU_DEP_3) | instskip(NEXT) | instid1(VALU_DEP_2)
	v_cndmask_b32_e64 v10, v10, v12, s3
	v_cndmask_b32_e64 v5, v2, v8, s0
	v_cmp_class_f32_e64 s0, v9, 0x260
	s_delay_alu instid0(VALU_DEP_1)
	v_cndmask_b32_e64 v4, v10, v9, s0
	s_and_saveexec_b32 s0, vcc_lo
	s_cbranch_execnz .LBB254_13
; %bb.9:
	s_or_b32 exec_lo, exec_lo, s0
	s_delay_alu instid0(SALU_CYCLE_1)
	s_mov_b32 s0, exec_lo
	v_cmpx_gt_i32_e64 s6, v0
	s_cbranch_execnz .LBB254_14
.LBB254_10:
	s_or_b32 exec_lo, exec_lo, s0
	s_delay_alu instid0(SALU_CYCLE_1)
	s_mov_b32 s0, exec_lo
	v_cmpx_gt_i32_e64 s6, v0
	s_cbranch_execnz .LBB254_15
.LBB254_11:
	s_or_b32 exec_lo, exec_lo, s0
	s_delay_alu instid0(SALU_CYCLE_1)
	s_mov_b32 s0, exec_lo
	v_cmpx_gt_i32_e64 s6, v0
	s_cbranch_execnz .LBB254_16
.LBB254_12:
	s_nop 0
	s_sendmsg sendmsg(MSG_DEALLOC_VGPRS)
	s_endpgm
.LBB254_13:
	v_mov_b32_e32 v2, 0
	s_delay_alu instid0(VALU_DEP_1) | instskip(NEXT) | instid1(VALU_DEP_1)
	v_lshlrev_b64 v[0:1], 2, v[1:2]
	v_add_co_u32 v8, vcc_lo, s8, v0
	s_delay_alu instid0(VALU_DEP_2) | instskip(SKIP_3) | instid1(SALU_CYCLE_1)
	v_add_co_ci_u32_e32 v9, vcc_lo, s9, v1, vcc_lo
	v_mov_b32_e32 v0, v3
	global_store_b32 v[8:9], v7, off
	s_or_b32 exec_lo, exec_lo, s0
	s_mov_b32 s0, exec_lo
	v_cmpx_gt_i32_e64 s6, v0
	s_cbranch_execz .LBB254_10
.LBB254_14:
	v_dual_mov_b32 v2, 0 :: v_dual_add_nc_u32 v1, s5, v0
	v_add_nc_u32_e32 v0, 0x100, v0
	s_delay_alu instid0(VALU_DEP_2) | instskip(NEXT) | instid1(VALU_DEP_1)
	v_lshlrev_b64 v[1:2], 2, v[1:2]
	v_add_co_u32 v1, vcc_lo, s8, v1
	s_delay_alu instid0(VALU_DEP_2) | instskip(SKIP_2) | instid1(SALU_CYCLE_1)
	v_add_co_ci_u32_e32 v2, vcc_lo, s9, v2, vcc_lo
	global_store_b32 v[1:2], v6, off
	s_or_b32 exec_lo, exec_lo, s0
	s_mov_b32 s0, exec_lo
	v_cmpx_gt_i32_e64 s6, v0
	s_cbranch_execz .LBB254_11
.LBB254_15:
	v_dual_mov_b32 v2, 0 :: v_dual_add_nc_u32 v1, s5, v0
	v_add_nc_u32_e32 v0, 0x100, v0
	s_delay_alu instid0(VALU_DEP_2) | instskip(NEXT) | instid1(VALU_DEP_1)
	v_lshlrev_b64 v[1:2], 2, v[1:2]
	v_add_co_u32 v1, vcc_lo, s8, v1
	s_delay_alu instid0(VALU_DEP_2) | instskip(SKIP_2) | instid1(SALU_CYCLE_1)
	v_add_co_ci_u32_e32 v2, vcc_lo, s9, v2, vcc_lo
	global_store_b32 v[1:2], v5, off
	s_or_b32 exec_lo, exec_lo, s0
	s_mov_b32 s0, exec_lo
	v_cmpx_gt_i32_e64 s6, v0
	s_cbranch_execz .LBB254_12
.LBB254_16:
	v_dual_mov_b32 v1, 0 :: v_dual_add_nc_u32 v0, s5, v0
	s_delay_alu instid0(VALU_DEP_1) | instskip(NEXT) | instid1(VALU_DEP_1)
	v_lshlrev_b64 v[0:1], 2, v[0:1]
	v_add_co_u32 v0, vcc_lo, s8, v0
	s_delay_alu instid0(VALU_DEP_2)
	v_add_co_ci_u32_e32 v1, vcc_lo, s9, v1, vcc_lo
	global_store_b32 v[0:1], v4, off
	s_nop 0
	s_sendmsg sendmsg(MSG_DEALLOC_VGPRS)
	s_endpgm
	.section	.rodata,"a",@progbits
	.p2align	6, 0x0
	.amdhsa_kernel _ZN2at6native27unrolled_elementwise_kernelIZZZNS0_16sqrt_kernel_cudaERNS_18TensorIteratorBaseEENKUlvE0_clEvENKUlvE0_clEvEUlfE_St5arrayIPcLm2EELi4E23TrivialOffsetCalculatorILi1EjESB_NS0_6memory15LoadWithoutCastENSC_16StoreWithoutCastEEEviT_T0_T2_T3_T4_T5_
		.amdhsa_group_segment_fixed_size 0
		.amdhsa_private_segment_fixed_size 0
		.amdhsa_kernarg_size 28
		.amdhsa_user_sgpr_count 15
		.amdhsa_user_sgpr_dispatch_ptr 0
		.amdhsa_user_sgpr_queue_ptr 0
		.amdhsa_user_sgpr_kernarg_segment_ptr 1
		.amdhsa_user_sgpr_dispatch_id 0
		.amdhsa_user_sgpr_private_segment_size 0
		.amdhsa_wavefront_size32 1
		.amdhsa_uses_dynamic_stack 0
		.amdhsa_enable_private_segment 0
		.amdhsa_system_sgpr_workgroup_id_x 1
		.amdhsa_system_sgpr_workgroup_id_y 0
		.amdhsa_system_sgpr_workgroup_id_z 0
		.amdhsa_system_sgpr_workgroup_info 0
		.amdhsa_system_vgpr_workitem_id 0
		.amdhsa_next_free_vgpr 24
		.amdhsa_next_free_sgpr 16
		.amdhsa_reserve_vcc 1
		.amdhsa_float_round_mode_32 0
		.amdhsa_float_round_mode_16_64 0
		.amdhsa_float_denorm_mode_32 3
		.amdhsa_float_denorm_mode_16_64 3
		.amdhsa_dx10_clamp 1
		.amdhsa_ieee_mode 1
		.amdhsa_fp16_overflow 0
		.amdhsa_workgroup_processor_mode 1
		.amdhsa_memory_ordered 1
		.amdhsa_forward_progress 0
		.amdhsa_shared_vgpr_count 0
		.amdhsa_exception_fp_ieee_invalid_op 0
		.amdhsa_exception_fp_denorm_src 0
		.amdhsa_exception_fp_ieee_div_zero 0
		.amdhsa_exception_fp_ieee_overflow 0
		.amdhsa_exception_fp_ieee_underflow 0
		.amdhsa_exception_fp_ieee_inexact 0
		.amdhsa_exception_int_div_zero 0
	.end_amdhsa_kernel
	.section	.text._ZN2at6native27unrolled_elementwise_kernelIZZZNS0_16sqrt_kernel_cudaERNS_18TensorIteratorBaseEENKUlvE0_clEvENKUlvE0_clEvEUlfE_St5arrayIPcLm2EELi4E23TrivialOffsetCalculatorILi1EjESB_NS0_6memory15LoadWithoutCastENSC_16StoreWithoutCastEEEviT_T0_T2_T3_T4_T5_,"axG",@progbits,_ZN2at6native27unrolled_elementwise_kernelIZZZNS0_16sqrt_kernel_cudaERNS_18TensorIteratorBaseEENKUlvE0_clEvENKUlvE0_clEvEUlfE_St5arrayIPcLm2EELi4E23TrivialOffsetCalculatorILi1EjESB_NS0_6memory15LoadWithoutCastENSC_16StoreWithoutCastEEEviT_T0_T2_T3_T4_T5_,comdat
.Lfunc_end254:
	.size	_ZN2at6native27unrolled_elementwise_kernelIZZZNS0_16sqrt_kernel_cudaERNS_18TensorIteratorBaseEENKUlvE0_clEvENKUlvE0_clEvEUlfE_St5arrayIPcLm2EELi4E23TrivialOffsetCalculatorILi1EjESB_NS0_6memory15LoadWithoutCastENSC_16StoreWithoutCastEEEviT_T0_T2_T3_T4_T5_, .Lfunc_end254-_ZN2at6native27unrolled_elementwise_kernelIZZZNS0_16sqrt_kernel_cudaERNS_18TensorIteratorBaseEENKUlvE0_clEvENKUlvE0_clEvEUlfE_St5arrayIPcLm2EELi4E23TrivialOffsetCalculatorILi1EjESB_NS0_6memory15LoadWithoutCastENSC_16StoreWithoutCastEEEviT_T0_T2_T3_T4_T5_
                                        ; -- End function
	.section	.AMDGPU.csdata,"",@progbits
; Kernel info:
; codeLenInByte = 1276
; NumSgprs: 18
; NumVgprs: 24
; ScratchSize: 0
; MemoryBound: 0
; FloatMode: 240
; IeeeMode: 1
; LDSByteSize: 0 bytes/workgroup (compile time only)
; SGPRBlocks: 2
; VGPRBlocks: 2
; NumSGPRsForWavesPerEU: 18
; NumVGPRsForWavesPerEU: 24
; Occupancy: 16
; WaveLimiterHint : 0
; COMPUTE_PGM_RSRC2:SCRATCH_EN: 0
; COMPUTE_PGM_RSRC2:USER_SGPR: 15
; COMPUTE_PGM_RSRC2:TRAP_HANDLER: 0
; COMPUTE_PGM_RSRC2:TGID_X_EN: 1
; COMPUTE_PGM_RSRC2:TGID_Y_EN: 0
; COMPUTE_PGM_RSRC2:TGID_Z_EN: 0
; COMPUTE_PGM_RSRC2:TIDIG_COMP_CNT: 0
	.section	.text._ZN2at6native32elementwise_kernel_manual_unrollILi128ELi4EZNS0_22gpu_kernel_impl_nocastIZZZNS0_16sqrt_kernel_cudaERNS_18TensorIteratorBaseEENKUlvE0_clEvENKUlvE0_clEvEUlfE_EEvS4_RKT_EUlibE_EEviT1_,"axG",@progbits,_ZN2at6native32elementwise_kernel_manual_unrollILi128ELi4EZNS0_22gpu_kernel_impl_nocastIZZZNS0_16sqrt_kernel_cudaERNS_18TensorIteratorBaseEENKUlvE0_clEvENKUlvE0_clEvEUlfE_EEvS4_RKT_EUlibE_EEviT1_,comdat
	.globl	_ZN2at6native32elementwise_kernel_manual_unrollILi128ELi4EZNS0_22gpu_kernel_impl_nocastIZZZNS0_16sqrt_kernel_cudaERNS_18TensorIteratorBaseEENKUlvE0_clEvENKUlvE0_clEvEUlfE_EEvS4_RKT_EUlibE_EEviT1_ ; -- Begin function _ZN2at6native32elementwise_kernel_manual_unrollILi128ELi4EZNS0_22gpu_kernel_impl_nocastIZZZNS0_16sqrt_kernel_cudaERNS_18TensorIteratorBaseEENKUlvE0_clEvENKUlvE0_clEvEUlfE_EEvS4_RKT_EUlibE_EEviT1_
	.p2align	8
	.type	_ZN2at6native32elementwise_kernel_manual_unrollILi128ELi4EZNS0_22gpu_kernel_impl_nocastIZZZNS0_16sqrt_kernel_cudaERNS_18TensorIteratorBaseEENKUlvE0_clEvENKUlvE0_clEvEUlfE_EEvS4_RKT_EUlibE_EEviT1_,@function
_ZN2at6native32elementwise_kernel_manual_unrollILi128ELi4EZNS0_22gpu_kernel_impl_nocastIZZZNS0_16sqrt_kernel_cudaERNS_18TensorIteratorBaseEENKUlvE0_clEvENKUlvE0_clEvEUlfE_EEvS4_RKT_EUlibE_EEviT1_: ; @_ZN2at6native32elementwise_kernel_manual_unrollILi128ELi4EZNS0_22gpu_kernel_impl_nocastIZZZNS0_16sqrt_kernel_cudaERNS_18TensorIteratorBaseEENKUlvE0_clEvENKUlvE0_clEvEUlfE_EEvS4_RKT_EUlibE_EEviT1_
; %bb.0:
	s_clause 0x1
	s_load_b32 s22, s[0:1], 0x8
	s_load_b32 s27, s[0:1], 0x0
	v_lshl_or_b32 v4, s15, 9, v0
	s_or_b32 s0, s0, 8
	s_mov_b32 s2, exec_lo
	s_delay_alu instid0(VALU_DEP_1) | instskip(SKIP_2) | instid1(SALU_CYCLE_1)
	v_or_b32_e32 v8, 0x180, v4
	s_waitcnt lgkmcnt(0)
	s_add_i32 s23, s22, -1
	s_cmp_gt_u32 s23, 1
	s_cselect_b32 s24, -1, 0
	v_cmpx_le_i32_e64 s27, v8
	s_xor_b32 s25, exec_lo, s2
	s_cbranch_execz .LBB255_7
; %bb.1:
	s_clause 0x3
	s_load_b128 s[12:15], s[0:1], 0x4
	s_load_b64 s[16:17], s[0:1], 0x14
	s_load_b128 s[8:11], s[0:1], 0xc4
	s_load_b128 s[4:7], s[0:1], 0x148
	s_cmp_lg_u32 s22, 0
	s_mov_b32 s30, exec_lo
	s_cselect_b32 s29, -1, 0
	s_add_u32 s18, s0, 0xc4
	s_addc_u32 s19, s1, 0
	s_min_u32 s28, s23, 15
	s_cmp_gt_u32 s22, 1
	s_cselect_b32 s26, -1, 0
	v_cmpx_gt_i32_e64 s27, v4
	s_cbranch_execz .LBB255_14
; %bb.2:
	s_and_not1_b32 vcc_lo, exec_lo, s24
	s_cbranch_vccnz .LBB255_21
; %bb.3:
	v_dual_mov_b32 v0, 0 :: v_dual_mov_b32 v1, 0
	s_and_not1_b32 vcc_lo, exec_lo, s29
	s_mov_b32 s31, 0
	s_cbranch_vccnz .LBB255_73
; %bb.4:
	v_mov_b32_e32 v0, 0
	s_add_i32 s34, s28, 1
	s_cmp_eq_u32 s23, 2
	s_mov_b32 s33, 0
	s_cbranch_scc1 .LBB255_69
; %bb.5:
	v_dual_mov_b32 v1, 0 :: v_dual_mov_b32 v0, 0
	v_mov_b32_e32 v2, v4
	s_and_b32 s33, s34, 28
	s_mov_b32 s35, 0
	s_mov_b64 s[2:3], s[18:19]
	s_mov_b64 s[20:21], s[0:1]
.LBB255_6:                              ; =>This Inner Loop Header: Depth=1
	s_clause 0x1
	s_load_b256 s[36:43], s[20:21], 0x4
	s_load_b128 s[52:55], s[20:21], 0x24
	s_load_b256 s[44:51], s[2:3], 0x0
	s_add_u32 s20, s20, 48
	s_addc_u32 s21, s21, 0
	s_add_i32 s35, s35, 4
	s_add_u32 s2, s2, 32
	s_addc_u32 s3, s3, 0
	s_cmp_lg_u32 s33, s35
	s_waitcnt lgkmcnt(0)
	v_mul_hi_u32 v3, s37, v2
	s_delay_alu instid0(VALU_DEP_1) | instskip(NEXT) | instid1(VALU_DEP_1)
	v_add_nc_u32_e32 v3, v2, v3
	v_lshrrev_b32_e32 v3, s38, v3
	s_delay_alu instid0(VALU_DEP_1) | instskip(SKIP_1) | instid1(VALU_DEP_2)
	v_mul_hi_u32 v5, s40, v3
	v_mul_lo_u32 v7, v3, s36
	v_add_nc_u32_e32 v5, v3, v5
	s_delay_alu instid0(VALU_DEP_2) | instskip(NEXT) | instid1(VALU_DEP_2)
	v_sub_nc_u32_e32 v2, v2, v7
	v_lshrrev_b32_e32 v5, s41, v5
	s_delay_alu instid0(VALU_DEP_2) | instskip(SKIP_1) | instid1(VALU_DEP_3)
	v_mul_lo_u32 v7, v2, s44
	v_mul_lo_u32 v9, v2, s45
	v_mul_hi_u32 v6, s43, v5
	s_delay_alu instid0(VALU_DEP_1) | instskip(NEXT) | instid1(VALU_DEP_1)
	v_add_nc_u32_e32 v6, v5, v6
	v_lshrrev_b32_e32 v6, s52, v6
	s_delay_alu instid0(VALU_DEP_1) | instskip(SKIP_1) | instid1(VALU_DEP_2)
	v_mul_hi_u32 v8, s54, v6
	v_mul_lo_u32 v10, v6, s42
	v_add_nc_u32_e32 v2, v6, v8
	v_mul_lo_u32 v8, v5, s39
	s_delay_alu instid0(VALU_DEP_3) | instskip(NEXT) | instid1(VALU_DEP_3)
	v_sub_nc_u32_e32 v5, v5, v10
	v_lshrrev_b32_e32 v2, s55, v2
	s_delay_alu instid0(VALU_DEP_2) | instskip(SKIP_2) | instid1(VALU_DEP_4)
	v_mul_lo_u32 v10, v5, s48
	v_mul_lo_u32 v5, v5, s49
	v_sub_nc_u32_e32 v3, v3, v8
	v_mul_lo_u32 v11, v2, s53
	s_delay_alu instid0(VALU_DEP_2) | instskip(SKIP_1) | instid1(VALU_DEP_3)
	v_mul_lo_u32 v8, v3, s46
	v_mul_lo_u32 v3, v3, s47
	v_sub_nc_u32_e32 v6, v6, v11
	s_delay_alu instid0(VALU_DEP_3) | instskip(NEXT) | instid1(VALU_DEP_2)
	v_add3_u32 v0, v7, v0, v8
	v_mul_lo_u32 v11, v6, s50
	v_mul_lo_u32 v6, v6, s51
	v_add3_u32 v1, v9, v1, v3
	s_delay_alu instid0(VALU_DEP_3) | instskip(NEXT) | instid1(VALU_DEP_2)
	v_add3_u32 v0, v10, v0, v11
	v_add3_u32 v1, v5, v1, v6
	s_cbranch_scc1 .LBB255_6
	s_branch .LBB255_70
.LBB255_7:
	s_and_not1_saveexec_b32 s2, s25
	s_cbranch_execz .LBB255_94
.LBB255_8:
	v_cndmask_b32_e64 v6, 0, 1, s24
	s_and_not1_b32 vcc_lo, exec_lo, s24
	s_cbranch_vccnz .LBB255_20
; %bb.9:
	v_dual_mov_b32 v0, 0 :: v_dual_mov_b32 v1, 0
	s_cmp_lg_u32 s22, 0
	s_waitcnt lgkmcnt(0)
	s_mov_b32 s6, 0
	s_cbranch_scc0 .LBB255_26
; %bb.10:
	s_min_u32 s7, s23, 15
	v_mov_b32_e32 v0, 0
	s_add_i32 s7, s7, 1
	s_cmp_eq_u32 s23, 2
	s_mov_b32 s8, 0
	s_cbranch_scc1 .LBB255_23
; %bb.11:
	v_dual_mov_b32 v1, 0 :: v_dual_mov_b32 v0, 0
	v_mov_b32_e32 v2, v4
	s_add_u32 s2, s0, 0xc4
	s_addc_u32 s3, s1, 0
	s_and_b32 s8, s7, 28
	s_mov_b32 s9, 0
	s_mov_b64 s[4:5], s[0:1]
.LBB255_12:                             ; =>This Inner Loop Header: Depth=1
	s_clause 0x1
	s_load_b256 s[12:19], s[4:5], 0x4
	s_load_b128 s[36:39], s[4:5], 0x24
	s_load_b256 s[24:31], s[2:3], 0x0
	s_add_u32 s4, s4, 48
	s_addc_u32 s5, s5, 0
	s_add_i32 s9, s9, 4
	s_add_u32 s2, s2, 32
	s_addc_u32 s3, s3, 0
	s_cmp_lg_u32 s8, s9
	s_waitcnt lgkmcnt(0)
	v_mul_hi_u32 v3, s13, v2
	s_delay_alu instid0(VALU_DEP_1) | instskip(NEXT) | instid1(VALU_DEP_1)
	v_add_nc_u32_e32 v3, v2, v3
	v_lshrrev_b32_e32 v3, s14, v3
	s_delay_alu instid0(VALU_DEP_1) | instskip(SKIP_1) | instid1(VALU_DEP_2)
	v_mul_hi_u32 v5, s16, v3
	v_mul_lo_u32 v9, v3, s12
	v_add_nc_u32_e32 v5, v3, v5
	s_delay_alu instid0(VALU_DEP_2) | instskip(NEXT) | instid1(VALU_DEP_2)
	v_sub_nc_u32_e32 v2, v2, v9
	v_lshrrev_b32_e32 v5, s17, v5
	s_delay_alu instid0(VALU_DEP_2) | instskip(SKIP_1) | instid1(VALU_DEP_3)
	v_mul_lo_u32 v9, v2, s24
	v_mul_lo_u32 v11, v2, s25
	v_mul_hi_u32 v7, s19, v5
	s_delay_alu instid0(VALU_DEP_1) | instskip(NEXT) | instid1(VALU_DEP_1)
	v_add_nc_u32_e32 v7, v5, v7
	v_lshrrev_b32_e32 v7, s36, v7
	s_delay_alu instid0(VALU_DEP_1) | instskip(SKIP_1) | instid1(VALU_DEP_2)
	v_mul_hi_u32 v10, s38, v7
	v_mul_lo_u32 v12, v7, s18
	v_add_nc_u32_e32 v2, v7, v10
	v_mul_lo_u32 v10, v5, s15
	s_delay_alu instid0(VALU_DEP_3) | instskip(NEXT) | instid1(VALU_DEP_3)
	v_sub_nc_u32_e32 v5, v5, v12
	v_lshrrev_b32_e32 v2, s39, v2
	s_delay_alu instid0(VALU_DEP_2) | instskip(SKIP_2) | instid1(VALU_DEP_4)
	v_mul_lo_u32 v12, v5, s28
	v_mul_lo_u32 v5, v5, s29
	v_sub_nc_u32_e32 v3, v3, v10
	v_mul_lo_u32 v13, v2, s37
	s_delay_alu instid0(VALU_DEP_2) | instskip(SKIP_1) | instid1(VALU_DEP_3)
	v_mul_lo_u32 v10, v3, s26
	v_mul_lo_u32 v3, v3, s27
	v_sub_nc_u32_e32 v7, v7, v13
	s_delay_alu instid0(VALU_DEP_3) | instskip(NEXT) | instid1(VALU_DEP_2)
	v_add3_u32 v0, v9, v0, v10
	v_mul_lo_u32 v13, v7, s30
	v_mul_lo_u32 v7, v7, s31
	v_add3_u32 v1, v11, v1, v3
	s_delay_alu instid0(VALU_DEP_3) | instskip(NEXT) | instid1(VALU_DEP_2)
	v_add3_u32 v0, v12, v0, v13
	v_add3_u32 v1, v5, v1, v7
	s_cbranch_scc1 .LBB255_12
; %bb.13:
	s_and_b32 s7, s7, 3
	s_delay_alu instid0(SALU_CYCLE_1)
	s_cmp_eq_u32 s7, 0
	s_cbranch_scc0 .LBB255_24
	s_branch .LBB255_26
.LBB255_14:
	s_or_b32 exec_lo, exec_lo, s30
	s_delay_alu instid0(SALU_CYCLE_1)
	s_mov_b32 s30, exec_lo
	v_cmpx_gt_i32_e64 s27, v4
	s_cbranch_execz .LBB255_77
.LBB255_15:
	s_and_not1_b32 vcc_lo, exec_lo, s24
	s_cbranch_vccnz .LBB255_22
; %bb.16:
	v_dual_mov_b32 v0, 0 :: v_dual_mov_b32 v1, 0
	s_and_not1_b32 vcc_lo, exec_lo, s29
	s_mov_b32 s31, 0
	s_cbranch_vccnz .LBB255_88
; %bb.17:
	v_mov_b32_e32 v0, 0
	s_add_i32 s34, s28, 1
	s_cmp_eq_u32 s23, 2
	s_mov_b32 s33, 0
	s_cbranch_scc1 .LBB255_84
; %bb.18:
	v_dual_mov_b32 v1, 0 :: v_dual_mov_b32 v0, 0
	v_mov_b32_e32 v2, v4
	s_and_b32 s33, s34, 28
	s_mov_b32 s35, 0
	s_mov_b64 s[2:3], s[18:19]
	s_mov_b64 s[20:21], s[0:1]
.LBB255_19:                             ; =>This Inner Loop Header: Depth=1
	s_clause 0x1
	s_load_b256 s[36:43], s[20:21], 0x4
	s_load_b128 s[52:55], s[20:21], 0x24
	s_load_b256 s[44:51], s[2:3], 0x0
	s_add_u32 s20, s20, 48
	s_addc_u32 s21, s21, 0
	s_add_i32 s35, s35, 4
	s_add_u32 s2, s2, 32
	s_addc_u32 s3, s3, 0
	s_cmp_eq_u32 s33, s35
	s_waitcnt lgkmcnt(0)
	v_mul_hi_u32 v3, s37, v2
	s_delay_alu instid0(VALU_DEP_1) | instskip(NEXT) | instid1(VALU_DEP_1)
	v_add_nc_u32_e32 v3, v2, v3
	v_lshrrev_b32_e32 v3, s38, v3
	s_delay_alu instid0(VALU_DEP_1) | instskip(SKIP_1) | instid1(VALU_DEP_2)
	v_mul_hi_u32 v5, s40, v3
	v_mul_lo_u32 v7, v3, s36
	v_add_nc_u32_e32 v5, v3, v5
	s_delay_alu instid0(VALU_DEP_2) | instskip(NEXT) | instid1(VALU_DEP_2)
	v_sub_nc_u32_e32 v2, v2, v7
	v_lshrrev_b32_e32 v5, s41, v5
	s_delay_alu instid0(VALU_DEP_2) | instskip(SKIP_1) | instid1(VALU_DEP_3)
	v_mul_lo_u32 v7, v2, s44
	v_mul_lo_u32 v9, v2, s45
	v_mul_hi_u32 v6, s43, v5
	s_delay_alu instid0(VALU_DEP_1) | instskip(NEXT) | instid1(VALU_DEP_1)
	v_add_nc_u32_e32 v6, v5, v6
	v_lshrrev_b32_e32 v6, s52, v6
	s_delay_alu instid0(VALU_DEP_1) | instskip(SKIP_1) | instid1(VALU_DEP_2)
	v_mul_hi_u32 v8, s54, v6
	v_mul_lo_u32 v10, v6, s42
	v_add_nc_u32_e32 v2, v6, v8
	v_mul_lo_u32 v8, v5, s39
	s_delay_alu instid0(VALU_DEP_3) | instskip(NEXT) | instid1(VALU_DEP_3)
	v_sub_nc_u32_e32 v5, v5, v10
	v_lshrrev_b32_e32 v2, s55, v2
	s_delay_alu instid0(VALU_DEP_2) | instskip(SKIP_2) | instid1(VALU_DEP_4)
	v_mul_lo_u32 v10, v5, s48
	v_mul_lo_u32 v5, v5, s49
	v_sub_nc_u32_e32 v3, v3, v8
	v_mul_lo_u32 v11, v2, s53
	s_delay_alu instid0(VALU_DEP_2) | instskip(SKIP_1) | instid1(VALU_DEP_3)
	v_mul_lo_u32 v8, v3, s46
	v_mul_lo_u32 v3, v3, s47
	v_sub_nc_u32_e32 v6, v6, v11
	s_delay_alu instid0(VALU_DEP_3) | instskip(NEXT) | instid1(VALU_DEP_2)
	v_add3_u32 v0, v7, v0, v8
	v_mul_lo_u32 v11, v6, s50
	v_mul_lo_u32 v6, v6, s51
	v_add3_u32 v1, v9, v1, v3
	s_delay_alu instid0(VALU_DEP_3) | instskip(NEXT) | instid1(VALU_DEP_2)
	v_add3_u32 v0, v10, v0, v11
	v_add3_u32 v1, v5, v1, v6
	s_cbranch_scc0 .LBB255_19
	s_branch .LBB255_85
.LBB255_20:
	s_waitcnt lgkmcnt(0)
	s_mov_b32 s6, -1
                                        ; implicit-def: $vgpr0
                                        ; implicit-def: $vgpr1
	s_branch .LBB255_26
.LBB255_21:
	s_mov_b32 s31, -1
                                        ; implicit-def: $vgpr0
                                        ; implicit-def: $vgpr1
	s_branch .LBB255_73
.LBB255_22:
	s_mov_b32 s31, -1
                                        ; implicit-def: $vgpr0
                                        ; implicit-def: $vgpr1
	s_branch .LBB255_88
.LBB255_23:
	v_dual_mov_b32 v2, v4 :: v_dual_mov_b32 v1, 0
	s_and_b32 s7, s7, 3
	s_delay_alu instid0(SALU_CYCLE_1)
	s_cmp_eq_u32 s7, 0
	s_cbranch_scc1 .LBB255_26
.LBB255_24:
	s_lshl_b32 s2, s8, 3
	s_mul_i32 s4, s8, 12
	s_add_u32 s2, s2, s0
	s_addc_u32 s3, 0, s1
	s_add_u32 s2, s2, 0xc4
	s_addc_u32 s3, s3, 0
	;; [unrolled: 2-line block ×3, first 2 shown]
	.p2align	6
.LBB255_25:                             ; =>This Inner Loop Header: Depth=1
	s_clause 0x1
	s_load_b64 s[8:9], s[4:5], 0x4
	s_load_b32 s12, s[4:5], 0xc
	s_load_b64 s[10:11], s[2:3], 0x0
	s_add_u32 s4, s4, 12
	s_addc_u32 s5, s5, 0
	s_add_u32 s2, s2, 8
	s_addc_u32 s3, s3, 0
	s_add_i32 s7, s7, -1
	s_delay_alu instid0(SALU_CYCLE_1) | instskip(SKIP_2) | instid1(VALU_DEP_1)
	s_cmp_lg_u32 s7, 0
	s_waitcnt lgkmcnt(0)
	v_mul_hi_u32 v3, s9, v2
	v_add_nc_u32_e32 v3, v2, v3
	s_delay_alu instid0(VALU_DEP_1) | instskip(NEXT) | instid1(VALU_DEP_1)
	v_lshrrev_b32_e32 v3, s12, v3
	v_mul_lo_u32 v5, v3, s8
	s_delay_alu instid0(VALU_DEP_1) | instskip(NEXT) | instid1(VALU_DEP_1)
	v_sub_nc_u32_e32 v2, v2, v5
	v_mad_u64_u32 v[9:10], null, v2, s10, v[0:1]
	v_mad_u64_u32 v[10:11], null, v2, s11, v[1:2]
	v_mov_b32_e32 v2, v3
	s_delay_alu instid0(VALU_DEP_2)
	v_dual_mov_b32 v0, v9 :: v_dual_mov_b32 v1, v10
	s_cbranch_scc1 .LBB255_25
.LBB255_26:
	s_and_not1_b32 vcc_lo, exec_lo, s6
	s_cbranch_vccnz .LBB255_29
; %bb.27:
	s_clause 0x1
	s_load_b128 s[4:7], s[0:1], 0x4
	s_load_b64 s[2:3], s[0:1], 0xc4
	s_cmp_lt_u32 s22, 2
	s_waitcnt lgkmcnt(0)
	v_mul_hi_u32 v0, s5, v4
	s_delay_alu instid0(VALU_DEP_1) | instskip(NEXT) | instid1(VALU_DEP_1)
	v_add_nc_u32_e32 v0, v4, v0
	v_lshrrev_b32_e32 v2, s6, v0
	s_delay_alu instid0(VALU_DEP_1) | instskip(NEXT) | instid1(VALU_DEP_1)
	v_mul_lo_u32 v0, v2, s4
	v_sub_nc_u32_e32 v1, v4, v0
	s_delay_alu instid0(VALU_DEP_1)
	v_mul_lo_u32 v0, v1, s2
	v_mul_lo_u32 v1, v1, s3
	s_cbranch_scc1 .LBB255_29
; %bb.28:
	s_clause 0x1
	s_load_b128 s[4:7], s[0:1], 0x10
	s_load_b64 s[2:3], s[0:1], 0xcc
	s_waitcnt lgkmcnt(0)
	v_mul_hi_u32 v3, s5, v2
	s_delay_alu instid0(VALU_DEP_1) | instskip(NEXT) | instid1(VALU_DEP_1)
	v_add_nc_u32_e32 v3, v2, v3
	v_lshrrev_b32_e32 v3, s6, v3
	s_delay_alu instid0(VALU_DEP_1) | instskip(NEXT) | instid1(VALU_DEP_1)
	v_mul_lo_u32 v3, v3, s4
	v_sub_nc_u32_e32 v5, v2, v3
	s_delay_alu instid0(VALU_DEP_1) | instskip(NEXT) | instid1(VALU_DEP_1)
	v_mad_u64_u32 v[2:3], null, v5, s2, v[0:1]
	v_mad_u64_u32 v[9:10], null, v5, s3, v[1:2]
	s_delay_alu instid0(VALU_DEP_1)
	v_dual_mov_b32 v0, v2 :: v_dual_mov_b32 v1, v9
.LBB255_29:
	v_cmp_ne_u32_e32 vcc_lo, 1, v6
	v_add_nc_u32_e32 v5, 0x80, v4
	s_cbranch_vccnz .LBB255_35
; %bb.30:
	v_dual_mov_b32 v2, 0 :: v_dual_mov_b32 v3, 0
	s_cmp_lg_u32 s22, 0
	s_mov_b32 s6, 0
	s_cbranch_scc0 .LBB255_39
; %bb.31:
	s_min_u32 s7, s23, 15
	v_mov_b32_e32 v2, 0
	s_add_i32 s7, s7, 1
	s_cmp_eq_u32 s23, 2
	s_mov_b32 s8, 0
	s_cbranch_scc1 .LBB255_36
; %bb.32:
	v_dual_mov_b32 v3, 0 :: v_dual_mov_b32 v2, 0
	v_mov_b32_e32 v7, v5
	s_add_u32 s2, s0, 0xc4
	s_addc_u32 s3, s1, 0
	s_and_b32 s8, s7, 28
	s_mov_b32 s9, 0
	s_mov_b64 s[4:5], s[0:1]
.LBB255_33:                             ; =>This Inner Loop Header: Depth=1
	s_clause 0x1
	s_load_b256 s[12:19], s[4:5], 0x4
	s_load_b128 s[36:39], s[4:5], 0x24
	s_load_b256 s[24:31], s[2:3], 0x0
	s_add_u32 s4, s4, 48
	s_addc_u32 s5, s5, 0
	s_add_i32 s9, s9, 4
	s_add_u32 s2, s2, 32
	s_addc_u32 s3, s3, 0
	s_cmp_lg_u32 s8, s9
	s_waitcnt lgkmcnt(0)
	v_mul_hi_u32 v9, s13, v7
	s_delay_alu instid0(VALU_DEP_1) | instskip(NEXT) | instid1(VALU_DEP_1)
	v_add_nc_u32_e32 v9, v7, v9
	v_lshrrev_b32_e32 v9, s14, v9
	s_delay_alu instid0(VALU_DEP_1) | instskip(SKIP_1) | instid1(VALU_DEP_2)
	v_mul_hi_u32 v10, s16, v9
	v_mul_lo_u32 v12, v9, s12
	v_add_nc_u32_e32 v10, v9, v10
	s_delay_alu instid0(VALU_DEP_2) | instskip(NEXT) | instid1(VALU_DEP_2)
	v_sub_nc_u32_e32 v7, v7, v12
	v_lshrrev_b32_e32 v10, s17, v10
	s_delay_alu instid0(VALU_DEP_2) | instskip(SKIP_1) | instid1(VALU_DEP_3)
	v_mul_lo_u32 v12, v7, s24
	v_mul_lo_u32 v14, v7, s25
	v_mul_hi_u32 v11, s19, v10
	s_delay_alu instid0(VALU_DEP_1) | instskip(NEXT) | instid1(VALU_DEP_1)
	v_add_nc_u32_e32 v11, v10, v11
	v_lshrrev_b32_e32 v11, s36, v11
	s_delay_alu instid0(VALU_DEP_1) | instskip(SKIP_1) | instid1(VALU_DEP_2)
	v_mul_hi_u32 v13, s38, v11
	v_mul_lo_u32 v15, v11, s18
	v_add_nc_u32_e32 v7, v11, v13
	v_mul_lo_u32 v13, v10, s15
	s_delay_alu instid0(VALU_DEP_3) | instskip(NEXT) | instid1(VALU_DEP_3)
	v_sub_nc_u32_e32 v10, v10, v15
	v_lshrrev_b32_e32 v7, s39, v7
	s_delay_alu instid0(VALU_DEP_2) | instskip(SKIP_2) | instid1(VALU_DEP_4)
	v_mul_lo_u32 v15, v10, s28
	v_mul_lo_u32 v10, v10, s29
	v_sub_nc_u32_e32 v9, v9, v13
	v_mul_lo_u32 v16, v7, s37
	s_delay_alu instid0(VALU_DEP_2) | instskip(SKIP_1) | instid1(VALU_DEP_3)
	v_mul_lo_u32 v13, v9, s26
	v_mul_lo_u32 v9, v9, s27
	v_sub_nc_u32_e32 v11, v11, v16
	s_delay_alu instid0(VALU_DEP_3) | instskip(NEXT) | instid1(VALU_DEP_2)
	v_add3_u32 v2, v12, v2, v13
	v_mul_lo_u32 v16, v11, s30
	v_mul_lo_u32 v11, v11, s31
	v_add3_u32 v3, v14, v3, v9
	s_delay_alu instid0(VALU_DEP_3) | instskip(NEXT) | instid1(VALU_DEP_2)
	v_add3_u32 v2, v15, v2, v16
	v_add3_u32 v3, v10, v3, v11
	s_cbranch_scc1 .LBB255_33
; %bb.34:
	s_and_b32 s7, s7, 3
	s_delay_alu instid0(SALU_CYCLE_1)
	s_cmp_eq_u32 s7, 0
	s_cbranch_scc0 .LBB255_37
	s_branch .LBB255_39
.LBB255_35:
	s_mov_b32 s6, -1
                                        ; implicit-def: $vgpr2
                                        ; implicit-def: $vgpr3
	s_branch .LBB255_39
.LBB255_36:
	v_mov_b32_e32 v7, v5
	v_mov_b32_e32 v3, 0
	s_and_b32 s7, s7, 3
	s_delay_alu instid0(SALU_CYCLE_1)
	s_cmp_eq_u32 s7, 0
	s_cbranch_scc1 .LBB255_39
.LBB255_37:
	s_lshl_b32 s2, s8, 3
	s_mul_i32 s4, s8, 12
	s_add_u32 s2, s2, s0
	s_addc_u32 s3, 0, s1
	s_add_u32 s2, s2, 0xc4
	s_addc_u32 s3, s3, 0
	;; [unrolled: 2-line block ×3, first 2 shown]
	.p2align	6
.LBB255_38:                             ; =>This Inner Loop Header: Depth=1
	s_clause 0x1
	s_load_b64 s[8:9], s[4:5], 0x4
	s_load_b32 s12, s[4:5], 0xc
	s_load_b64 s[10:11], s[2:3], 0x0
	s_add_u32 s4, s4, 12
	s_addc_u32 s5, s5, 0
	s_add_u32 s2, s2, 8
	s_addc_u32 s3, s3, 0
	s_add_i32 s7, s7, -1
	s_delay_alu instid0(SALU_CYCLE_1) | instskip(SKIP_2) | instid1(VALU_DEP_1)
	s_cmp_lg_u32 s7, 0
	s_waitcnt lgkmcnt(0)
	v_mul_hi_u32 v9, s9, v7
	v_add_nc_u32_e32 v9, v7, v9
	s_delay_alu instid0(VALU_DEP_1) | instskip(NEXT) | instid1(VALU_DEP_1)
	v_lshrrev_b32_e32 v12, s12, v9
	v_mul_lo_u32 v9, v12, s8
	s_delay_alu instid0(VALU_DEP_1) | instskip(NEXT) | instid1(VALU_DEP_1)
	v_sub_nc_u32_e32 v7, v7, v9
	v_mad_u64_u32 v[9:10], null, v7, s10, v[2:3]
	v_mad_u64_u32 v[10:11], null, v7, s11, v[3:4]
	s_delay_alu instid0(VALU_DEP_2) | instskip(NEXT) | instid1(VALU_DEP_2)
	v_dual_mov_b32 v7, v12 :: v_dual_mov_b32 v2, v9
	v_mov_b32_e32 v3, v10
	s_cbranch_scc1 .LBB255_38
.LBB255_39:
	s_and_not1_b32 vcc_lo, exec_lo, s6
	s_cbranch_vccnz .LBB255_42
; %bb.40:
	s_clause 0x1
	s_load_b128 s[4:7], s[0:1], 0x4
	s_load_b64 s[2:3], s[0:1], 0xc4
	s_cmp_lt_u32 s22, 2
	s_waitcnt lgkmcnt(0)
	v_mul_hi_u32 v2, s5, v5
	s_delay_alu instid0(VALU_DEP_1) | instskip(NEXT) | instid1(VALU_DEP_1)
	v_add_nc_u32_e32 v2, v5, v2
	v_lshrrev_b32_e32 v7, s6, v2
	s_delay_alu instid0(VALU_DEP_1) | instskip(NEXT) | instid1(VALU_DEP_1)
	v_mul_lo_u32 v2, v7, s4
	v_sub_nc_u32_e32 v3, v5, v2
	s_delay_alu instid0(VALU_DEP_1)
	v_mul_lo_u32 v2, v3, s2
	v_mul_lo_u32 v3, v3, s3
	s_cbranch_scc1 .LBB255_42
; %bb.41:
	s_clause 0x1
	s_load_b128 s[4:7], s[0:1], 0x10
	s_load_b64 s[2:3], s[0:1], 0xcc
	s_waitcnt lgkmcnt(0)
	v_mul_hi_u32 v5, s5, v7
	s_delay_alu instid0(VALU_DEP_1) | instskip(NEXT) | instid1(VALU_DEP_1)
	v_add_nc_u32_e32 v5, v7, v5
	v_lshrrev_b32_e32 v5, s6, v5
	s_delay_alu instid0(VALU_DEP_1) | instskip(NEXT) | instid1(VALU_DEP_1)
	v_mul_lo_u32 v5, v5, s4
	v_sub_nc_u32_e32 v5, v7, v5
	s_delay_alu instid0(VALU_DEP_1) | instskip(SKIP_1) | instid1(VALU_DEP_1)
	v_mad_u64_u32 v[9:10], null, v5, s2, v[2:3]
	v_mad_u64_u32 v[10:11], null, v5, s3, v[3:4]
	v_dual_mov_b32 v2, v9 :: v_dual_mov_b32 v3, v10
.LBB255_42:
	v_cmp_ne_u32_e32 vcc_lo, 1, v6
	v_add_nc_u32_e32 v7, 0x100, v4
	s_cbranch_vccnz .LBB255_48
; %bb.43:
	v_dual_mov_b32 v4, 0 :: v_dual_mov_b32 v5, 0
	s_cmp_lg_u32 s22, 0
	s_mov_b32 s6, 0
	s_cbranch_scc0 .LBB255_52
; %bb.44:
	s_min_u32 s7, s23, 15
	v_mov_b32_e32 v4, 0
	s_add_i32 s7, s7, 1
	s_cmp_eq_u32 s23, 2
	s_mov_b32 s8, 0
	s_cbranch_scc1 .LBB255_49
; %bb.45:
	v_dual_mov_b32 v5, 0 :: v_dual_mov_b32 v4, 0
	v_mov_b32_e32 v9, v7
	s_add_u32 s2, s0, 0xc4
	s_addc_u32 s3, s1, 0
	s_and_b32 s8, s7, 28
	s_mov_b32 s9, 0
	s_mov_b64 s[4:5], s[0:1]
.LBB255_46:                             ; =>This Inner Loop Header: Depth=1
	s_clause 0x1
	s_load_b256 s[12:19], s[4:5], 0x4
	s_load_b128 s[36:39], s[4:5], 0x24
	s_load_b256 s[24:31], s[2:3], 0x0
	s_add_u32 s4, s4, 48
	s_addc_u32 s5, s5, 0
	s_add_i32 s9, s9, 4
	s_add_u32 s2, s2, 32
	s_addc_u32 s3, s3, 0
	s_cmp_lg_u32 s8, s9
	s_waitcnt lgkmcnt(0)
	v_mul_hi_u32 v10, s13, v9
	s_delay_alu instid0(VALU_DEP_1) | instskip(NEXT) | instid1(VALU_DEP_1)
	v_add_nc_u32_e32 v10, v9, v10
	v_lshrrev_b32_e32 v10, s14, v10
	s_delay_alu instid0(VALU_DEP_1) | instskip(SKIP_1) | instid1(VALU_DEP_2)
	v_mul_hi_u32 v11, s16, v10
	v_mul_lo_u32 v13, v10, s12
	v_add_nc_u32_e32 v11, v10, v11
	s_delay_alu instid0(VALU_DEP_2) | instskip(NEXT) | instid1(VALU_DEP_2)
	v_sub_nc_u32_e32 v9, v9, v13
	v_lshrrev_b32_e32 v11, s17, v11
	s_delay_alu instid0(VALU_DEP_2) | instskip(SKIP_1) | instid1(VALU_DEP_3)
	v_mul_lo_u32 v13, v9, s24
	v_mul_lo_u32 v15, v9, s25
	v_mul_hi_u32 v12, s19, v11
	s_delay_alu instid0(VALU_DEP_1) | instskip(NEXT) | instid1(VALU_DEP_1)
	v_add_nc_u32_e32 v12, v11, v12
	v_lshrrev_b32_e32 v12, s36, v12
	s_delay_alu instid0(VALU_DEP_1) | instskip(SKIP_1) | instid1(VALU_DEP_2)
	v_mul_hi_u32 v14, s38, v12
	v_mul_lo_u32 v16, v12, s18
	v_add_nc_u32_e32 v9, v12, v14
	v_mul_lo_u32 v14, v11, s15
	s_delay_alu instid0(VALU_DEP_3) | instskip(NEXT) | instid1(VALU_DEP_3)
	v_sub_nc_u32_e32 v11, v11, v16
	v_lshrrev_b32_e32 v9, s39, v9
	s_delay_alu instid0(VALU_DEP_2) | instskip(SKIP_2) | instid1(VALU_DEP_4)
	v_mul_lo_u32 v16, v11, s28
	v_mul_lo_u32 v11, v11, s29
	v_sub_nc_u32_e32 v10, v10, v14
	v_mul_lo_u32 v17, v9, s37
	s_delay_alu instid0(VALU_DEP_2) | instskip(SKIP_1) | instid1(VALU_DEP_3)
	v_mul_lo_u32 v14, v10, s26
	v_mul_lo_u32 v10, v10, s27
	v_sub_nc_u32_e32 v12, v12, v17
	s_delay_alu instid0(VALU_DEP_3) | instskip(NEXT) | instid1(VALU_DEP_2)
	v_add3_u32 v4, v13, v4, v14
	v_mul_lo_u32 v17, v12, s30
	v_mul_lo_u32 v12, v12, s31
	v_add3_u32 v5, v15, v5, v10
	s_delay_alu instid0(VALU_DEP_3) | instskip(NEXT) | instid1(VALU_DEP_2)
	v_add3_u32 v4, v16, v4, v17
	v_add3_u32 v5, v11, v5, v12
	s_cbranch_scc1 .LBB255_46
; %bb.47:
	s_and_b32 s7, s7, 3
	s_delay_alu instid0(SALU_CYCLE_1)
	s_cmp_eq_u32 s7, 0
	s_cbranch_scc0 .LBB255_50
	s_branch .LBB255_52
.LBB255_48:
	s_mov_b32 s6, -1
                                        ; implicit-def: $vgpr4
                                        ; implicit-def: $vgpr5
	s_branch .LBB255_52
.LBB255_49:
	v_mov_b32_e32 v9, v7
	v_mov_b32_e32 v5, 0
	s_and_b32 s7, s7, 3
	s_delay_alu instid0(SALU_CYCLE_1)
	s_cmp_eq_u32 s7, 0
	s_cbranch_scc1 .LBB255_52
.LBB255_50:
	s_lshl_b32 s2, s8, 3
	s_mul_i32 s4, s8, 12
	s_add_u32 s2, s2, s0
	s_addc_u32 s3, 0, s1
	s_add_u32 s2, s2, 0xc4
	s_addc_u32 s3, s3, 0
	;; [unrolled: 2-line block ×3, first 2 shown]
	.p2align	6
.LBB255_51:                             ; =>This Inner Loop Header: Depth=1
	s_clause 0x1
	s_load_b64 s[8:9], s[4:5], 0x4
	s_load_b32 s12, s[4:5], 0xc
	s_load_b64 s[10:11], s[2:3], 0x0
	s_add_u32 s4, s4, 12
	s_addc_u32 s5, s5, 0
	s_add_u32 s2, s2, 8
	s_addc_u32 s3, s3, 0
	s_add_i32 s7, s7, -1
	s_delay_alu instid0(SALU_CYCLE_1) | instskip(SKIP_2) | instid1(VALU_DEP_1)
	s_cmp_lg_u32 s7, 0
	s_waitcnt lgkmcnt(0)
	v_mul_hi_u32 v10, s9, v9
	v_add_nc_u32_e32 v10, v9, v10
	s_delay_alu instid0(VALU_DEP_1) | instskip(NEXT) | instid1(VALU_DEP_1)
	v_lshrrev_b32_e32 v13, s12, v10
	v_mul_lo_u32 v10, v13, s8
	s_delay_alu instid0(VALU_DEP_1) | instskip(NEXT) | instid1(VALU_DEP_1)
	v_sub_nc_u32_e32 v9, v9, v10
	v_mad_u64_u32 v[10:11], null, v9, s10, v[4:5]
	v_mad_u64_u32 v[11:12], null, v9, s11, v[5:6]
	s_delay_alu instid0(VALU_DEP_2) | instskip(NEXT) | instid1(VALU_DEP_2)
	v_dual_mov_b32 v9, v13 :: v_dual_mov_b32 v4, v10
	v_mov_b32_e32 v5, v11
	s_cbranch_scc1 .LBB255_51
.LBB255_52:
	s_and_not1_b32 vcc_lo, exec_lo, s6
	s_cbranch_vccnz .LBB255_55
; %bb.53:
	s_clause 0x1
	s_load_b128 s[4:7], s[0:1], 0x4
	s_load_b64 s[2:3], s[0:1], 0xc4
	s_cmp_lt_u32 s22, 2
	s_waitcnt lgkmcnt(0)
	v_mul_hi_u32 v4, s5, v7
	s_delay_alu instid0(VALU_DEP_1) | instskip(NEXT) | instid1(VALU_DEP_1)
	v_add_nc_u32_e32 v4, v7, v4
	v_lshrrev_b32_e32 v9, s6, v4
	s_delay_alu instid0(VALU_DEP_1) | instskip(NEXT) | instid1(VALU_DEP_1)
	v_mul_lo_u32 v4, v9, s4
	v_sub_nc_u32_e32 v5, v7, v4
	s_delay_alu instid0(VALU_DEP_1)
	v_mul_lo_u32 v4, v5, s2
	v_mul_lo_u32 v5, v5, s3
	s_cbranch_scc1 .LBB255_55
; %bb.54:
	s_clause 0x1
	s_load_b128 s[4:7], s[0:1], 0x10
	s_load_b64 s[2:3], s[0:1], 0xcc
	s_waitcnt lgkmcnt(0)
	v_mul_hi_u32 v7, s5, v9
	s_delay_alu instid0(VALU_DEP_1) | instskip(NEXT) | instid1(VALU_DEP_1)
	v_add_nc_u32_e32 v7, v9, v7
	v_lshrrev_b32_e32 v7, s6, v7
	s_delay_alu instid0(VALU_DEP_1) | instskip(NEXT) | instid1(VALU_DEP_1)
	v_mul_lo_u32 v7, v7, s4
	v_sub_nc_u32_e32 v7, v9, v7
	s_delay_alu instid0(VALU_DEP_1) | instskip(SKIP_1) | instid1(VALU_DEP_1)
	v_mad_u64_u32 v[9:10], null, v7, s2, v[4:5]
	v_mad_u64_u32 v[10:11], null, v7, s3, v[5:6]
	v_dual_mov_b32 v4, v9 :: v_dual_mov_b32 v5, v10
.LBB255_55:
	v_cmp_ne_u32_e32 vcc_lo, 1, v6
	s_cbranch_vccnz .LBB255_61
; %bb.56:
	v_dual_mov_b32 v6, 0 :: v_dual_mov_b32 v7, 0
	s_cmp_lg_u32 s22, 0
	s_mov_b32 s6, 0
	s_cbranch_scc0 .LBB255_65
; %bb.57:
	s_min_u32 s7, s23, 15
	v_mov_b32_e32 v6, 0
	s_add_i32 s7, s7, 1
	s_cmp_eq_u32 s23, 2
	s_mov_b32 s8, 0
	s_cbranch_scc1 .LBB255_62
; %bb.58:
	v_dual_mov_b32 v7, 0 :: v_dual_mov_b32 v6, 0
	v_mov_b32_e32 v9, v8
	s_add_u32 s2, s0, 0xc4
	s_addc_u32 s3, s1, 0
	s_and_b32 s8, s7, 28
	s_mov_b32 s9, 0
	s_mov_b64 s[4:5], s[0:1]
.LBB255_59:                             ; =>This Inner Loop Header: Depth=1
	s_clause 0x1
	s_load_b256 s[12:19], s[4:5], 0x4
	s_load_b128 s[36:39], s[4:5], 0x24
	s_load_b256 s[24:31], s[2:3], 0x0
	s_add_u32 s4, s4, 48
	s_addc_u32 s5, s5, 0
	s_add_i32 s9, s9, 4
	s_add_u32 s2, s2, 32
	s_addc_u32 s3, s3, 0
	s_cmp_lg_u32 s8, s9
	s_waitcnt lgkmcnt(0)
	v_mul_hi_u32 v10, s13, v9
	s_delay_alu instid0(VALU_DEP_1) | instskip(NEXT) | instid1(VALU_DEP_1)
	v_add_nc_u32_e32 v10, v9, v10
	v_lshrrev_b32_e32 v10, s14, v10
	s_delay_alu instid0(VALU_DEP_1) | instskip(SKIP_1) | instid1(VALU_DEP_2)
	v_mul_hi_u32 v11, s16, v10
	v_mul_lo_u32 v13, v10, s12
	v_add_nc_u32_e32 v11, v10, v11
	s_delay_alu instid0(VALU_DEP_2) | instskip(NEXT) | instid1(VALU_DEP_2)
	v_sub_nc_u32_e32 v9, v9, v13
	v_lshrrev_b32_e32 v11, s17, v11
	s_delay_alu instid0(VALU_DEP_2) | instskip(SKIP_1) | instid1(VALU_DEP_3)
	v_mul_lo_u32 v13, v9, s24
	v_mul_lo_u32 v15, v9, s25
	v_mul_hi_u32 v12, s19, v11
	s_delay_alu instid0(VALU_DEP_1) | instskip(NEXT) | instid1(VALU_DEP_1)
	v_add_nc_u32_e32 v12, v11, v12
	v_lshrrev_b32_e32 v12, s36, v12
	s_delay_alu instid0(VALU_DEP_1) | instskip(SKIP_1) | instid1(VALU_DEP_2)
	v_mul_hi_u32 v14, s38, v12
	v_mul_lo_u32 v16, v12, s18
	v_add_nc_u32_e32 v9, v12, v14
	v_mul_lo_u32 v14, v11, s15
	s_delay_alu instid0(VALU_DEP_3) | instskip(NEXT) | instid1(VALU_DEP_3)
	v_sub_nc_u32_e32 v11, v11, v16
	v_lshrrev_b32_e32 v9, s39, v9
	s_delay_alu instid0(VALU_DEP_2) | instskip(SKIP_2) | instid1(VALU_DEP_4)
	v_mul_lo_u32 v16, v11, s28
	v_mul_lo_u32 v11, v11, s29
	v_sub_nc_u32_e32 v10, v10, v14
	v_mul_lo_u32 v17, v9, s37
	s_delay_alu instid0(VALU_DEP_2) | instskip(SKIP_1) | instid1(VALU_DEP_3)
	v_mul_lo_u32 v14, v10, s26
	v_mul_lo_u32 v10, v10, s27
	v_sub_nc_u32_e32 v12, v12, v17
	s_delay_alu instid0(VALU_DEP_3) | instskip(NEXT) | instid1(VALU_DEP_2)
	v_add3_u32 v6, v13, v6, v14
	v_mul_lo_u32 v17, v12, s30
	v_mul_lo_u32 v12, v12, s31
	v_add3_u32 v7, v15, v7, v10
	s_delay_alu instid0(VALU_DEP_3) | instskip(NEXT) | instid1(VALU_DEP_2)
	v_add3_u32 v6, v16, v6, v17
	v_add3_u32 v7, v11, v7, v12
	s_cbranch_scc1 .LBB255_59
; %bb.60:
	s_and_b32 s7, s7, 3
	s_delay_alu instid0(SALU_CYCLE_1)
	s_cmp_eq_u32 s7, 0
	s_cbranch_scc0 .LBB255_63
	s_branch .LBB255_65
.LBB255_61:
	s_mov_b32 s6, -1
                                        ; implicit-def: $vgpr6
                                        ; implicit-def: $vgpr7
	s_branch .LBB255_65
.LBB255_62:
	v_mov_b32_e32 v9, v8
	v_mov_b32_e32 v7, 0
	s_and_b32 s7, s7, 3
	s_delay_alu instid0(SALU_CYCLE_1)
	s_cmp_eq_u32 s7, 0
	s_cbranch_scc1 .LBB255_65
.LBB255_63:
	s_lshl_b32 s2, s8, 3
	s_mul_i32 s4, s8, 12
	s_add_u32 s2, s2, s0
	s_addc_u32 s3, 0, s1
	s_add_u32 s2, s2, 0xc4
	s_addc_u32 s3, s3, 0
	;; [unrolled: 2-line block ×3, first 2 shown]
	.p2align	6
.LBB255_64:                             ; =>This Inner Loop Header: Depth=1
	s_clause 0x1
	s_load_b64 s[8:9], s[4:5], 0x4
	s_load_b32 s12, s[4:5], 0xc
	s_load_b64 s[10:11], s[2:3], 0x0
	s_add_u32 s4, s4, 12
	s_addc_u32 s5, s5, 0
	s_add_u32 s2, s2, 8
	s_addc_u32 s3, s3, 0
	s_add_i32 s7, s7, -1
	s_delay_alu instid0(SALU_CYCLE_1) | instskip(SKIP_2) | instid1(VALU_DEP_1)
	s_cmp_lg_u32 s7, 0
	s_waitcnt lgkmcnt(0)
	v_mul_hi_u32 v10, s9, v9
	v_add_nc_u32_e32 v10, v9, v10
	s_delay_alu instid0(VALU_DEP_1) | instskip(NEXT) | instid1(VALU_DEP_1)
	v_lshrrev_b32_e32 v13, s12, v10
	v_mul_lo_u32 v10, v13, s8
	s_delay_alu instid0(VALU_DEP_1) | instskip(NEXT) | instid1(VALU_DEP_1)
	v_sub_nc_u32_e32 v9, v9, v10
	v_mad_u64_u32 v[10:11], null, v9, s10, v[6:7]
	v_mad_u64_u32 v[11:12], null, v9, s11, v[7:8]
	s_delay_alu instid0(VALU_DEP_2) | instskip(NEXT) | instid1(VALU_DEP_2)
	v_dual_mov_b32 v9, v13 :: v_dual_mov_b32 v6, v10
	v_mov_b32_e32 v7, v11
	s_cbranch_scc1 .LBB255_64
.LBB255_65:
	s_and_not1_b32 vcc_lo, exec_lo, s6
	s_cbranch_vccnz .LBB255_68
; %bb.66:
	s_clause 0x1
	s_load_b128 s[4:7], s[0:1], 0x4
	s_load_b64 s[2:3], s[0:1], 0xc4
	s_cmp_lt_u32 s22, 2
	s_waitcnt lgkmcnt(0)
	v_mul_hi_u32 v6, s5, v8
	s_delay_alu instid0(VALU_DEP_1) | instskip(NEXT) | instid1(VALU_DEP_1)
	v_add_nc_u32_e32 v6, v8, v6
	v_lshrrev_b32_e32 v9, s6, v6
	s_delay_alu instid0(VALU_DEP_1) | instskip(NEXT) | instid1(VALU_DEP_1)
	v_mul_lo_u32 v6, v9, s4
	v_sub_nc_u32_e32 v7, v8, v6
	s_delay_alu instid0(VALU_DEP_1)
	v_mul_lo_u32 v6, v7, s2
	v_mul_lo_u32 v7, v7, s3
	s_cbranch_scc1 .LBB255_68
; %bb.67:
	s_clause 0x1
	s_load_b128 s[4:7], s[0:1], 0x10
	s_load_b64 s[2:3], s[0:1], 0xcc
	s_waitcnt lgkmcnt(0)
	v_mul_hi_u32 v8, s5, v9
	s_delay_alu instid0(VALU_DEP_1) | instskip(NEXT) | instid1(VALU_DEP_1)
	v_add_nc_u32_e32 v8, v9, v8
	v_lshrrev_b32_e32 v8, s6, v8
	s_delay_alu instid0(VALU_DEP_1) | instskip(NEXT) | instid1(VALU_DEP_1)
	v_mul_lo_u32 v8, v8, s4
	v_sub_nc_u32_e32 v11, v9, v8
	s_delay_alu instid0(VALU_DEP_1) | instskip(NEXT) | instid1(VALU_DEP_1)
	v_mad_u64_u32 v[8:9], null, v11, s2, v[6:7]
	v_mad_u64_u32 v[9:10], null, v11, s3, v[7:8]
	s_delay_alu instid0(VALU_DEP_1)
	v_dual_mov_b32 v6, v8 :: v_dual_mov_b32 v7, v9
.LBB255_68:
	s_load_b128 s[4:7], s[0:1], 0x148
	s_waitcnt lgkmcnt(0)
	s_clause 0x3
	global_load_b32 v1, v1, s[6:7]
	global_load_b32 v3, v3, s[6:7]
	;; [unrolled: 1-line block ×4, first 2 shown]
	s_waitcnt vmcnt(2)
	v_dual_mul_f32 v8, 0x4f800000, v1 :: v_dual_mul_f32 v9, 0x4f800000, v3
	v_cmp_gt_f32_e64 s0, 0xf800000, v3
	v_cmp_gt_f32_e32 vcc_lo, 0xf800000, v1
	s_waitcnt vmcnt(0)
	v_dual_mul_f32 v10, 0x4f800000, v5 :: v_dual_mul_f32 v11, 0x4f800000, v7
	v_cmp_gt_f32_e64 s1, 0xf800000, v5
	v_cndmask_b32_e64 v3, v3, v9, s0
	v_cmp_gt_f32_e64 s2, 0xf800000, v7
	s_delay_alu instid0(VALU_DEP_3) | instskip(NEXT) | instid1(VALU_DEP_3)
	v_cndmask_b32_e64 v5, v5, v10, s1
	v_sqrt_f32_e32 v9, v3
	v_cndmask_b32_e32 v1, v1, v8, vcc_lo
	s_delay_alu instid0(VALU_DEP_3) | instskip(NEXT) | instid1(VALU_DEP_3)
	v_cndmask_b32_e64 v7, v7, v11, s2
	v_sqrt_f32_e32 v10, v5
	s_delay_alu instid0(VALU_DEP_1) | instskip(NEXT) | instid1(TRANS32_DEP_3)
	v_sqrt_f32_e32 v11, v7
	v_add_nc_u32_e32 v14, -1, v9
	v_sqrt_f32_e32 v8, v1
	v_add_nc_u32_e32 v15, 1, v9
	s_delay_alu instid0(TRANS32_DEP_3) | instskip(NEXT) | instid1(VALU_DEP_3)
	v_add_nc_u32_e32 v16, -1, v10
	v_fma_f32 v22, -v14, v9, v3
	v_add_nc_u32_e32 v17, 1, v10
	s_delay_alu instid0(TRANS32_DEP_2) | instskip(SKIP_3) | instid1(TRANS32_DEP_1)
	v_add_nc_u32_e32 v18, -1, v11
	v_fma_f32 v23, -v15, v9, v3
	v_fma_f32 v24, -v16, v10, v5
	v_add_nc_u32_e32 v19, 1, v11
	v_add_nc_u32_e32 v12, -1, v8
	v_add_nc_u32_e32 v13, 1, v8
	v_fma_f32 v26, -v18, v11, v7
	v_fma_f32 v25, -v17, v10, v5
	v_fma_f32 v27, -v19, v11, v7
	v_fma_f32 v20, -v12, v8, v1
	v_fma_f32 v21, -v13, v8, v1
	s_delay_alu instid0(VALU_DEP_2) | instskip(NEXT) | instid1(VALU_DEP_1)
	v_cmp_ge_f32_e64 s3, 0, v20
	v_cndmask_b32_e64 v8, v8, v12, s3
	v_cmp_ge_f32_e64 s3, 0, v22
	s_delay_alu instid0(VALU_DEP_1) | instskip(SKIP_1) | instid1(VALU_DEP_1)
	v_cndmask_b32_e64 v9, v9, v14, s3
	v_cmp_ge_f32_e64 s3, 0, v24
	v_cndmask_b32_e64 v10, v10, v16, s3
	v_cmp_ge_f32_e64 s3, 0, v26
	s_delay_alu instid0(VALU_DEP_1) | instskip(SKIP_1) | instid1(VALU_DEP_1)
	v_cndmask_b32_e64 v11, v11, v18, s3
	v_cmp_lt_f32_e64 s3, 0, v21
	v_cndmask_b32_e64 v8, v8, v13, s3
	v_cmp_lt_f32_e64 s3, 0, v23
	s_delay_alu instid0(VALU_DEP_2) | instskip(NEXT) | instid1(VALU_DEP_2)
	v_mul_f32_e32 v12, 0x37800000, v8
	v_cndmask_b32_e64 v9, v9, v15, s3
	v_cmp_lt_f32_e64 s3, 0, v25
	s_delay_alu instid0(VALU_DEP_2) | instskip(NEXT) | instid1(VALU_DEP_2)
	v_dual_cndmask_b32 v8, v8, v12 :: v_dual_mul_f32 v13, 0x37800000, v9
	v_cndmask_b32_e64 v10, v10, v17, s3
	v_cmp_lt_f32_e64 s3, 0, v27
	v_cmp_class_f32_e64 vcc_lo, v1, 0x260
	s_delay_alu instid0(VALU_DEP_4) | instskip(NEXT) | instid1(VALU_DEP_4)
	v_cndmask_b32_e64 v9, v9, v13, s0
	v_mul_f32_e32 v14, 0x37800000, v10
	s_delay_alu instid0(VALU_DEP_4) | instskip(SKIP_2) | instid1(VALU_DEP_4)
	v_cndmask_b32_e64 v11, v11, v19, s3
	v_cndmask_b32_e32 v1, v8, v1, vcc_lo
	v_cmp_class_f32_e64 vcc_lo, v3, 0x260
	v_cndmask_b32_e64 v10, v10, v14, s1
	s_delay_alu instid0(VALU_DEP_4) | instskip(SKIP_2) | instid1(VALU_DEP_3)
	v_mul_f32_e32 v15, 0x37800000, v11
	v_cndmask_b32_e32 v3, v9, v3, vcc_lo
	v_cmp_class_f32_e64 vcc_lo, v5, 0x260
	v_cndmask_b32_e64 v11, v11, v15, s2
	v_cndmask_b32_e32 v5, v10, v5, vcc_lo
	v_cmp_class_f32_e64 vcc_lo, v7, 0x260
	s_delay_alu instid0(VALU_DEP_3)
	v_cndmask_b32_e32 v7, v11, v7, vcc_lo
	s_clause 0x3
	global_store_b32 v0, v1, s[4:5]
	global_store_b32 v2, v3, s[4:5]
	;; [unrolled: 1-line block ×4, first 2 shown]
	s_nop 0
	s_sendmsg sendmsg(MSG_DEALLOC_VGPRS)
	s_endpgm
.LBB255_69:
	v_dual_mov_b32 v2, v4 :: v_dual_mov_b32 v1, 0
.LBB255_70:
	s_and_b32 s34, s34, 3
	s_delay_alu instid0(SALU_CYCLE_1)
	s_cmp_eq_u32 s34, 0
	s_cbranch_scc1 .LBB255_73
; %bb.71:
	s_lshl_b32 s2, s33, 3
	s_mul_i32 s20, s33, 12
	s_add_u32 s2, s2, s0
	s_addc_u32 s3, s1, 0
	s_add_u32 s2, s2, 0xc4
	s_addc_u32 s3, s3, 0
	;; [unrolled: 2-line block ×3, first 2 shown]
	.p2align	6
.LBB255_72:                             ; =>This Inner Loop Header: Depth=1
	s_clause 0x1
	s_load_b64 s[36:37], s[20:21], 0x4
	s_load_b32 s33, s[20:21], 0xc
	s_load_b64 s[38:39], s[2:3], 0x0
	s_add_u32 s20, s20, 12
	s_addc_u32 s21, s21, 0
	s_add_u32 s2, s2, 8
	s_addc_u32 s3, s3, 0
	s_add_i32 s34, s34, -1
	s_delay_alu instid0(SALU_CYCLE_1) | instskip(SKIP_2) | instid1(VALU_DEP_1)
	s_cmp_lg_u32 s34, 0
	s_waitcnt lgkmcnt(0)
	v_mul_hi_u32 v3, s37, v2
	v_add_nc_u32_e32 v3, v2, v3
	s_delay_alu instid0(VALU_DEP_1) | instskip(NEXT) | instid1(VALU_DEP_1)
	v_lshrrev_b32_e32 v3, s33, v3
	v_mul_lo_u32 v5, v3, s36
	s_delay_alu instid0(VALU_DEP_1) | instskip(NEXT) | instid1(VALU_DEP_1)
	v_sub_nc_u32_e32 v2, v2, v5
	v_mad_u64_u32 v[5:6], null, v2, s38, v[0:1]
	v_mad_u64_u32 v[6:7], null, v2, s39, v[1:2]
	v_mov_b32_e32 v2, v3
	s_delay_alu instid0(VALU_DEP_2)
	v_dual_mov_b32 v0, v5 :: v_dual_mov_b32 v1, v6
	s_cbranch_scc1 .LBB255_72
.LBB255_73:
	s_and_not1_b32 vcc_lo, exec_lo, s31
	s_cbranch_vccnz .LBB255_76
; %bb.74:
	s_waitcnt lgkmcnt(0)
	v_mul_hi_u32 v0, s13, v4
	s_and_not1_b32 vcc_lo, exec_lo, s26
	s_delay_alu instid0(VALU_DEP_1) | instskip(NEXT) | instid1(VALU_DEP_1)
	v_add_nc_u32_e32 v0, v4, v0
	v_lshrrev_b32_e32 v2, s14, v0
	s_delay_alu instid0(VALU_DEP_1) | instskip(NEXT) | instid1(VALU_DEP_1)
	v_mul_lo_u32 v0, v2, s12
	v_sub_nc_u32_e32 v1, v4, v0
	s_delay_alu instid0(VALU_DEP_1)
	v_mul_lo_u32 v0, v1, s8
	v_mul_lo_u32 v1, v1, s9
	s_cbranch_vccnz .LBB255_76
; %bb.75:
	v_mul_hi_u32 v3, s16, v2
	s_delay_alu instid0(VALU_DEP_1) | instskip(NEXT) | instid1(VALU_DEP_1)
	v_add_nc_u32_e32 v3, v2, v3
	v_lshrrev_b32_e32 v3, s17, v3
	s_delay_alu instid0(VALU_DEP_1) | instskip(NEXT) | instid1(VALU_DEP_1)
	v_mul_lo_u32 v3, v3, s15
	v_sub_nc_u32_e32 v7, v2, v3
	s_delay_alu instid0(VALU_DEP_1) | instskip(NEXT) | instid1(VALU_DEP_1)
	v_mad_u64_u32 v[2:3], null, v7, s10, v[0:1]
	v_mad_u64_u32 v[5:6], null, v7, s11, v[1:2]
	s_delay_alu instid0(VALU_DEP_1)
	v_dual_mov_b32 v0, v2 :: v_dual_mov_b32 v1, v5
.LBB255_76:
	s_waitcnt lgkmcnt(0)
	global_load_b32 v1, v1, s[6:7]
	v_add_nc_u32_e32 v4, 0x80, v4
	s_waitcnt vmcnt(0)
	v_mul_f32_e32 v2, 0x4f800000, v1
	v_cmp_gt_f32_e32 vcc_lo, 0xf800000, v1
	s_delay_alu instid0(VALU_DEP_2) | instskip(NEXT) | instid1(VALU_DEP_1)
	v_cndmask_b32_e32 v1, v1, v2, vcc_lo
	v_sqrt_f32_e32 v2, v1
	s_waitcnt_depctr 0xfff
	v_add_nc_u32_e32 v3, -1, v2
	v_add_nc_u32_e32 v5, 1, v2
	s_delay_alu instid0(VALU_DEP_2) | instskip(NEXT) | instid1(VALU_DEP_2)
	v_fma_f32 v6, -v3, v2, v1
	v_fma_f32 v7, -v5, v2, v1
	s_delay_alu instid0(VALU_DEP_2) | instskip(NEXT) | instid1(VALU_DEP_1)
	v_cmp_ge_f32_e64 s2, 0, v6
	v_cndmask_b32_e64 v2, v2, v3, s2
	s_delay_alu instid0(VALU_DEP_3) | instskip(NEXT) | instid1(VALU_DEP_1)
	v_cmp_lt_f32_e64 s2, 0, v7
	v_cndmask_b32_e64 v2, v2, v5, s2
	s_delay_alu instid0(VALU_DEP_1) | instskip(NEXT) | instid1(VALU_DEP_1)
	v_mul_f32_e32 v3, 0x37800000, v2
	v_cndmask_b32_e32 v2, v2, v3, vcc_lo
	v_cmp_class_f32_e64 vcc_lo, v1, 0x260
	s_delay_alu instid0(VALU_DEP_2) | instskip(SKIP_2) | instid1(SALU_CYCLE_1)
	v_cndmask_b32_e32 v1, v2, v1, vcc_lo
	global_store_b32 v0, v1, s[4:5]
	s_or_b32 exec_lo, exec_lo, s30
	s_mov_b32 s30, exec_lo
	v_cmpx_gt_i32_e64 s27, v4
	s_cbranch_execnz .LBB255_15
.LBB255_77:
	s_or_b32 exec_lo, exec_lo, s30
	s_delay_alu instid0(SALU_CYCLE_1)
	s_mov_b32 s30, exec_lo
	v_cmpx_gt_i32_e64 s27, v4
	s_cbranch_execz .LBB255_92
.LBB255_78:
	s_and_not1_b32 vcc_lo, exec_lo, s24
	s_cbranch_vccnz .LBB255_83
; %bb.79:
	v_dual_mov_b32 v0, 0 :: v_dual_mov_b32 v1, 0
	s_and_not1_b32 vcc_lo, exec_lo, s29
	s_mov_b32 s31, 0
	s_cbranch_vccnz .LBB255_99
; %bb.80:
	v_mov_b32_e32 v0, 0
	s_add_i32 s34, s28, 1
	s_cmp_eq_u32 s23, 2
	s_mov_b32 s33, 0
	s_cbranch_scc1 .LBB255_95
; %bb.81:
	v_dual_mov_b32 v1, 0 :: v_dual_mov_b32 v0, 0
	v_mov_b32_e32 v2, v4
	s_and_b32 s33, s34, 28
	s_mov_b32 s35, 0
	s_mov_b64 s[2:3], s[18:19]
	s_mov_b64 s[20:21], s[0:1]
.LBB255_82:                             ; =>This Inner Loop Header: Depth=1
	s_clause 0x1
	s_load_b256 s[36:43], s[20:21], 0x4
	s_load_b128 s[52:55], s[20:21], 0x24
	s_load_b256 s[44:51], s[2:3], 0x0
	s_add_u32 s20, s20, 48
	s_addc_u32 s21, s21, 0
	s_add_i32 s35, s35, 4
	s_add_u32 s2, s2, 32
	s_addc_u32 s3, s3, 0
	s_cmp_eq_u32 s33, s35
	s_waitcnt lgkmcnt(0)
	v_mul_hi_u32 v3, s37, v2
	s_delay_alu instid0(VALU_DEP_1) | instskip(NEXT) | instid1(VALU_DEP_1)
	v_add_nc_u32_e32 v3, v2, v3
	v_lshrrev_b32_e32 v3, s38, v3
	s_delay_alu instid0(VALU_DEP_1) | instskip(SKIP_1) | instid1(VALU_DEP_2)
	v_mul_hi_u32 v5, s40, v3
	v_mul_lo_u32 v7, v3, s36
	v_add_nc_u32_e32 v5, v3, v5
	s_delay_alu instid0(VALU_DEP_2) | instskip(NEXT) | instid1(VALU_DEP_2)
	v_sub_nc_u32_e32 v2, v2, v7
	v_lshrrev_b32_e32 v5, s41, v5
	s_delay_alu instid0(VALU_DEP_2) | instskip(SKIP_1) | instid1(VALU_DEP_3)
	v_mul_lo_u32 v7, v2, s44
	v_mul_lo_u32 v9, v2, s45
	v_mul_hi_u32 v6, s43, v5
	s_delay_alu instid0(VALU_DEP_1) | instskip(NEXT) | instid1(VALU_DEP_1)
	v_add_nc_u32_e32 v6, v5, v6
	v_lshrrev_b32_e32 v6, s52, v6
	s_delay_alu instid0(VALU_DEP_1) | instskip(SKIP_1) | instid1(VALU_DEP_2)
	v_mul_hi_u32 v8, s54, v6
	v_mul_lo_u32 v10, v6, s42
	v_add_nc_u32_e32 v2, v6, v8
	v_mul_lo_u32 v8, v5, s39
	s_delay_alu instid0(VALU_DEP_3) | instskip(NEXT) | instid1(VALU_DEP_3)
	v_sub_nc_u32_e32 v5, v5, v10
	v_lshrrev_b32_e32 v2, s55, v2
	s_delay_alu instid0(VALU_DEP_2) | instskip(SKIP_2) | instid1(VALU_DEP_4)
	v_mul_lo_u32 v10, v5, s48
	v_mul_lo_u32 v5, v5, s49
	v_sub_nc_u32_e32 v3, v3, v8
	v_mul_lo_u32 v11, v2, s53
	s_delay_alu instid0(VALU_DEP_2) | instskip(SKIP_1) | instid1(VALU_DEP_3)
	v_mul_lo_u32 v8, v3, s46
	v_mul_lo_u32 v3, v3, s47
	v_sub_nc_u32_e32 v6, v6, v11
	s_delay_alu instid0(VALU_DEP_3) | instskip(NEXT) | instid1(VALU_DEP_2)
	v_add3_u32 v0, v7, v0, v8
	v_mul_lo_u32 v11, v6, s50
	v_mul_lo_u32 v6, v6, s51
	v_add3_u32 v1, v9, v1, v3
	s_delay_alu instid0(VALU_DEP_3) | instskip(NEXT) | instid1(VALU_DEP_2)
	v_add3_u32 v0, v10, v0, v11
	v_add3_u32 v1, v5, v1, v6
	s_cbranch_scc0 .LBB255_82
	s_branch .LBB255_96
.LBB255_83:
	s_mov_b32 s31, -1
                                        ; implicit-def: $vgpr0
                                        ; implicit-def: $vgpr1
	s_branch .LBB255_99
.LBB255_84:
	v_dual_mov_b32 v2, v4 :: v_dual_mov_b32 v1, 0
.LBB255_85:
	s_and_b32 s34, s34, 3
	s_delay_alu instid0(SALU_CYCLE_1)
	s_cmp_eq_u32 s34, 0
	s_cbranch_scc1 .LBB255_88
; %bb.86:
	s_lshl_b32 s2, s33, 3
	s_mul_i32 s20, s33, 12
	s_add_u32 s2, s2, s0
	s_addc_u32 s3, s1, 0
	s_add_u32 s2, s2, 0xc4
	s_addc_u32 s3, s3, 0
	s_add_u32 s20, s0, s20
	s_addc_u32 s21, s1, 0
	.p2align	6
.LBB255_87:                             ; =>This Inner Loop Header: Depth=1
	s_clause 0x1
	s_load_b64 s[36:37], s[20:21], 0x4
	s_load_b32 s33, s[20:21], 0xc
	s_load_b64 s[38:39], s[2:3], 0x0
	s_add_u32 s20, s20, 12
	s_addc_u32 s21, s21, 0
	s_add_u32 s2, s2, 8
	s_addc_u32 s3, s3, 0
	s_add_i32 s34, s34, -1
	s_delay_alu instid0(SALU_CYCLE_1) | instskip(SKIP_2) | instid1(VALU_DEP_1)
	s_cmp_lg_u32 s34, 0
	s_waitcnt lgkmcnt(0)
	v_mul_hi_u32 v3, s37, v2
	v_add_nc_u32_e32 v3, v2, v3
	s_delay_alu instid0(VALU_DEP_1) | instskip(NEXT) | instid1(VALU_DEP_1)
	v_lshrrev_b32_e32 v3, s33, v3
	v_mul_lo_u32 v5, v3, s36
	s_delay_alu instid0(VALU_DEP_1) | instskip(NEXT) | instid1(VALU_DEP_1)
	v_sub_nc_u32_e32 v2, v2, v5
	v_mad_u64_u32 v[5:6], null, v2, s38, v[0:1]
	v_mad_u64_u32 v[6:7], null, v2, s39, v[1:2]
	v_mov_b32_e32 v2, v3
	s_delay_alu instid0(VALU_DEP_2)
	v_dual_mov_b32 v0, v5 :: v_dual_mov_b32 v1, v6
	s_cbranch_scc1 .LBB255_87
.LBB255_88:
	s_and_not1_b32 vcc_lo, exec_lo, s31
	s_cbranch_vccnz .LBB255_91
; %bb.89:
	s_waitcnt lgkmcnt(0)
	v_mul_hi_u32 v0, s13, v4
	s_and_not1_b32 vcc_lo, exec_lo, s26
	s_delay_alu instid0(VALU_DEP_1) | instskip(NEXT) | instid1(VALU_DEP_1)
	v_add_nc_u32_e32 v0, v4, v0
	v_lshrrev_b32_e32 v2, s14, v0
	s_delay_alu instid0(VALU_DEP_1) | instskip(NEXT) | instid1(VALU_DEP_1)
	v_mul_lo_u32 v0, v2, s12
	v_sub_nc_u32_e32 v1, v4, v0
	s_delay_alu instid0(VALU_DEP_1)
	v_mul_lo_u32 v0, v1, s8
	v_mul_lo_u32 v1, v1, s9
	s_cbranch_vccnz .LBB255_91
; %bb.90:
	v_mul_hi_u32 v3, s16, v2
	s_delay_alu instid0(VALU_DEP_1) | instskip(NEXT) | instid1(VALU_DEP_1)
	v_add_nc_u32_e32 v3, v2, v3
	v_lshrrev_b32_e32 v3, s17, v3
	s_delay_alu instid0(VALU_DEP_1) | instskip(NEXT) | instid1(VALU_DEP_1)
	v_mul_lo_u32 v3, v3, s15
	v_sub_nc_u32_e32 v7, v2, v3
	s_delay_alu instid0(VALU_DEP_1) | instskip(NEXT) | instid1(VALU_DEP_1)
	v_mad_u64_u32 v[2:3], null, v7, s10, v[0:1]
	v_mad_u64_u32 v[5:6], null, v7, s11, v[1:2]
	s_delay_alu instid0(VALU_DEP_1)
	v_dual_mov_b32 v0, v2 :: v_dual_mov_b32 v1, v5
.LBB255_91:
	s_waitcnt lgkmcnt(0)
	global_load_b32 v1, v1, s[6:7]
	v_add_nc_u32_e32 v4, 0x80, v4
	s_waitcnt vmcnt(0)
	v_mul_f32_e32 v2, 0x4f800000, v1
	v_cmp_gt_f32_e32 vcc_lo, 0xf800000, v1
	s_delay_alu instid0(VALU_DEP_2) | instskip(NEXT) | instid1(VALU_DEP_1)
	v_cndmask_b32_e32 v1, v1, v2, vcc_lo
	v_sqrt_f32_e32 v2, v1
	s_waitcnt_depctr 0xfff
	v_add_nc_u32_e32 v3, -1, v2
	v_add_nc_u32_e32 v5, 1, v2
	s_delay_alu instid0(VALU_DEP_2) | instskip(NEXT) | instid1(VALU_DEP_2)
	v_fma_f32 v6, -v3, v2, v1
	v_fma_f32 v7, -v5, v2, v1
	s_delay_alu instid0(VALU_DEP_2) | instskip(NEXT) | instid1(VALU_DEP_1)
	v_cmp_ge_f32_e64 s2, 0, v6
	v_cndmask_b32_e64 v2, v2, v3, s2
	s_delay_alu instid0(VALU_DEP_3) | instskip(NEXT) | instid1(VALU_DEP_1)
	v_cmp_lt_f32_e64 s2, 0, v7
	v_cndmask_b32_e64 v2, v2, v5, s2
	s_delay_alu instid0(VALU_DEP_1) | instskip(NEXT) | instid1(VALU_DEP_1)
	v_mul_f32_e32 v3, 0x37800000, v2
	v_cndmask_b32_e32 v2, v2, v3, vcc_lo
	v_cmp_class_f32_e64 vcc_lo, v1, 0x260
	s_delay_alu instid0(VALU_DEP_2) | instskip(SKIP_2) | instid1(SALU_CYCLE_1)
	v_cndmask_b32_e32 v1, v2, v1, vcc_lo
	global_store_b32 v0, v1, s[4:5]
	s_or_b32 exec_lo, exec_lo, s30
	s_mov_b32 s30, exec_lo
	v_cmpx_gt_i32_e64 s27, v4
	s_cbranch_execnz .LBB255_78
.LBB255_92:
	s_or_b32 exec_lo, exec_lo, s30
	s_delay_alu instid0(SALU_CYCLE_1)
	s_mov_b32 s20, exec_lo
	v_cmpx_gt_i32_e64 s27, v4
	s_cbranch_execnz .LBB255_103
.LBB255_93:
	s_or_b32 exec_lo, exec_lo, s20
                                        ; implicit-def: $vgpr8
                                        ; implicit-def: $vgpr4
	s_and_not1_saveexec_b32 s2, s25
	s_cbranch_execnz .LBB255_8
.LBB255_94:
	s_nop 0
	s_sendmsg sendmsg(MSG_DEALLOC_VGPRS)
	s_endpgm
.LBB255_95:
	v_dual_mov_b32 v2, v4 :: v_dual_mov_b32 v1, 0
.LBB255_96:
	s_and_b32 s34, s34, 3
	s_delay_alu instid0(SALU_CYCLE_1)
	s_cmp_eq_u32 s34, 0
	s_cbranch_scc1 .LBB255_99
; %bb.97:
	s_lshl_b32 s2, s33, 3
	s_mul_i32 s20, s33, 12
	s_add_u32 s2, s2, s0
	s_addc_u32 s3, s1, 0
	s_add_u32 s2, s2, 0xc4
	s_addc_u32 s3, s3, 0
	;; [unrolled: 2-line block ×3, first 2 shown]
	.p2align	6
.LBB255_98:                             ; =>This Inner Loop Header: Depth=1
	s_clause 0x1
	s_load_b64 s[36:37], s[20:21], 0x4
	s_load_b32 s33, s[20:21], 0xc
	s_load_b64 s[38:39], s[2:3], 0x0
	s_add_u32 s20, s20, 12
	s_addc_u32 s21, s21, 0
	s_add_u32 s2, s2, 8
	s_addc_u32 s3, s3, 0
	s_add_i32 s34, s34, -1
	s_delay_alu instid0(SALU_CYCLE_1) | instskip(SKIP_2) | instid1(VALU_DEP_1)
	s_cmp_lg_u32 s34, 0
	s_waitcnt lgkmcnt(0)
	v_mul_hi_u32 v3, s37, v2
	v_add_nc_u32_e32 v3, v2, v3
	s_delay_alu instid0(VALU_DEP_1) | instskip(NEXT) | instid1(VALU_DEP_1)
	v_lshrrev_b32_e32 v3, s33, v3
	v_mul_lo_u32 v5, v3, s36
	s_delay_alu instid0(VALU_DEP_1) | instskip(NEXT) | instid1(VALU_DEP_1)
	v_sub_nc_u32_e32 v2, v2, v5
	v_mad_u64_u32 v[5:6], null, v2, s38, v[0:1]
	v_mad_u64_u32 v[6:7], null, v2, s39, v[1:2]
	v_mov_b32_e32 v2, v3
	s_delay_alu instid0(VALU_DEP_2)
	v_dual_mov_b32 v0, v5 :: v_dual_mov_b32 v1, v6
	s_cbranch_scc1 .LBB255_98
.LBB255_99:
	s_and_not1_b32 vcc_lo, exec_lo, s31
	s_cbranch_vccnz .LBB255_102
; %bb.100:
	s_waitcnt lgkmcnt(0)
	v_mul_hi_u32 v0, s13, v4
	s_and_not1_b32 vcc_lo, exec_lo, s26
	s_delay_alu instid0(VALU_DEP_1) | instskip(NEXT) | instid1(VALU_DEP_1)
	v_add_nc_u32_e32 v0, v4, v0
	v_lshrrev_b32_e32 v2, s14, v0
	s_delay_alu instid0(VALU_DEP_1) | instskip(NEXT) | instid1(VALU_DEP_1)
	v_mul_lo_u32 v0, v2, s12
	v_sub_nc_u32_e32 v1, v4, v0
	s_delay_alu instid0(VALU_DEP_1)
	v_mul_lo_u32 v0, v1, s8
	v_mul_lo_u32 v1, v1, s9
	s_cbranch_vccnz .LBB255_102
; %bb.101:
	v_mul_hi_u32 v3, s16, v2
	s_delay_alu instid0(VALU_DEP_1) | instskip(NEXT) | instid1(VALU_DEP_1)
	v_add_nc_u32_e32 v3, v2, v3
	v_lshrrev_b32_e32 v3, s17, v3
	s_delay_alu instid0(VALU_DEP_1) | instskip(NEXT) | instid1(VALU_DEP_1)
	v_mul_lo_u32 v3, v3, s15
	v_sub_nc_u32_e32 v7, v2, v3
	s_delay_alu instid0(VALU_DEP_1) | instskip(NEXT) | instid1(VALU_DEP_1)
	v_mad_u64_u32 v[2:3], null, v7, s10, v[0:1]
	v_mad_u64_u32 v[5:6], null, v7, s11, v[1:2]
	s_delay_alu instid0(VALU_DEP_1)
	v_dual_mov_b32 v0, v2 :: v_dual_mov_b32 v1, v5
.LBB255_102:
	s_waitcnt lgkmcnt(0)
	global_load_b32 v1, v1, s[6:7]
	v_add_nc_u32_e32 v4, 0x80, v4
	s_waitcnt vmcnt(0)
	v_mul_f32_e32 v2, 0x4f800000, v1
	v_cmp_gt_f32_e32 vcc_lo, 0xf800000, v1
	s_delay_alu instid0(VALU_DEP_2) | instskip(NEXT) | instid1(VALU_DEP_1)
	v_cndmask_b32_e32 v1, v1, v2, vcc_lo
	v_sqrt_f32_e32 v2, v1
	s_waitcnt_depctr 0xfff
	v_add_nc_u32_e32 v3, -1, v2
	v_add_nc_u32_e32 v5, 1, v2
	s_delay_alu instid0(VALU_DEP_2) | instskip(NEXT) | instid1(VALU_DEP_2)
	v_fma_f32 v6, -v3, v2, v1
	v_fma_f32 v7, -v5, v2, v1
	s_delay_alu instid0(VALU_DEP_2) | instskip(NEXT) | instid1(VALU_DEP_1)
	v_cmp_ge_f32_e64 s2, 0, v6
	v_cndmask_b32_e64 v2, v2, v3, s2
	s_delay_alu instid0(VALU_DEP_3) | instskip(NEXT) | instid1(VALU_DEP_1)
	v_cmp_lt_f32_e64 s2, 0, v7
	v_cndmask_b32_e64 v2, v2, v5, s2
	s_delay_alu instid0(VALU_DEP_1) | instskip(NEXT) | instid1(VALU_DEP_1)
	v_mul_f32_e32 v3, 0x37800000, v2
	v_cndmask_b32_e32 v2, v2, v3, vcc_lo
	v_cmp_class_f32_e64 vcc_lo, v1, 0x260
	s_delay_alu instid0(VALU_DEP_2) | instskip(SKIP_2) | instid1(SALU_CYCLE_1)
	v_cndmask_b32_e32 v1, v2, v1, vcc_lo
	global_store_b32 v0, v1, s[4:5]
	s_or_b32 exec_lo, exec_lo, s30
	s_mov_b32 s20, exec_lo
	v_cmpx_gt_i32_e64 s27, v4
	s_cbranch_execz .LBB255_93
.LBB255_103:
	s_and_not1_b32 vcc_lo, exec_lo, s24
	s_cbranch_vccnz .LBB255_108
; %bb.104:
	v_dual_mov_b32 v0, 0 :: v_dual_mov_b32 v1, 0
	s_and_not1_b32 vcc_lo, exec_lo, s29
	s_mov_b32 s21, 0
	s_cbranch_vccnz .LBB255_113
; %bb.105:
	v_mov_b32_e32 v0, 0
	s_add_i32 s28, s28, 1
	s_cmp_eq_u32 s23, 2
	s_mov_b32 s27, 0
	s_cbranch_scc1 .LBB255_109
; %bb.106:
	v_dual_mov_b32 v1, 0 :: v_dual_mov_b32 v0, 0
	v_mov_b32_e32 v2, v4
	s_and_b32 s27, s28, 28
	s_mov_b32 s29, 0
	s_mov_b64 s[2:3], s[0:1]
.LBB255_107:                            ; =>This Inner Loop Header: Depth=1
	s_clause 0x1
	s_load_b256 s[36:43], s[2:3], 0x4
	s_load_b128 s[52:55], s[2:3], 0x24
	s_load_b256 s[44:51], s[18:19], 0x0
	s_add_u32 s2, s2, 48
	s_addc_u32 s3, s3, 0
	s_add_i32 s29, s29, 4
	s_add_u32 s18, s18, 32
	s_addc_u32 s19, s19, 0
	s_cmp_eq_u32 s27, s29
	s_waitcnt lgkmcnt(0)
	v_mul_hi_u32 v3, s37, v2
	s_delay_alu instid0(VALU_DEP_1) | instskip(NEXT) | instid1(VALU_DEP_1)
	v_add_nc_u32_e32 v3, v2, v3
	v_lshrrev_b32_e32 v3, s38, v3
	s_delay_alu instid0(VALU_DEP_1) | instskip(SKIP_1) | instid1(VALU_DEP_2)
	v_mul_hi_u32 v5, s40, v3
	v_mul_lo_u32 v7, v3, s36
	v_add_nc_u32_e32 v5, v3, v5
	s_delay_alu instid0(VALU_DEP_2) | instskip(NEXT) | instid1(VALU_DEP_2)
	v_sub_nc_u32_e32 v2, v2, v7
	v_lshrrev_b32_e32 v5, s41, v5
	s_delay_alu instid0(VALU_DEP_2) | instskip(SKIP_1) | instid1(VALU_DEP_3)
	v_mul_lo_u32 v7, v2, s44
	v_mul_lo_u32 v9, v2, s45
	v_mul_hi_u32 v6, s43, v5
	s_delay_alu instid0(VALU_DEP_1) | instskip(NEXT) | instid1(VALU_DEP_1)
	v_add_nc_u32_e32 v6, v5, v6
	v_lshrrev_b32_e32 v6, s52, v6
	s_delay_alu instid0(VALU_DEP_1) | instskip(SKIP_1) | instid1(VALU_DEP_2)
	v_mul_hi_u32 v8, s54, v6
	v_mul_lo_u32 v10, v6, s42
	v_add_nc_u32_e32 v2, v6, v8
	v_mul_lo_u32 v8, v5, s39
	s_delay_alu instid0(VALU_DEP_3) | instskip(NEXT) | instid1(VALU_DEP_3)
	v_sub_nc_u32_e32 v5, v5, v10
	v_lshrrev_b32_e32 v2, s55, v2
	s_delay_alu instid0(VALU_DEP_2) | instskip(SKIP_2) | instid1(VALU_DEP_4)
	v_mul_lo_u32 v10, v5, s48
	v_mul_lo_u32 v5, v5, s49
	v_sub_nc_u32_e32 v3, v3, v8
	v_mul_lo_u32 v11, v2, s53
	s_delay_alu instid0(VALU_DEP_2) | instskip(SKIP_1) | instid1(VALU_DEP_3)
	v_mul_lo_u32 v8, v3, s46
	v_mul_lo_u32 v3, v3, s47
	v_sub_nc_u32_e32 v6, v6, v11
	s_delay_alu instid0(VALU_DEP_3) | instskip(NEXT) | instid1(VALU_DEP_2)
	v_add3_u32 v0, v7, v0, v8
	v_mul_lo_u32 v11, v6, s50
	v_mul_lo_u32 v6, v6, s51
	v_add3_u32 v1, v9, v1, v3
	s_delay_alu instid0(VALU_DEP_3) | instskip(NEXT) | instid1(VALU_DEP_2)
	v_add3_u32 v0, v10, v0, v11
	v_add3_u32 v1, v5, v1, v6
	s_cbranch_scc0 .LBB255_107
	s_branch .LBB255_110
.LBB255_108:
	s_mov_b32 s21, -1
                                        ; implicit-def: $vgpr0
                                        ; implicit-def: $vgpr1
	s_branch .LBB255_113
.LBB255_109:
	v_dual_mov_b32 v2, v4 :: v_dual_mov_b32 v1, 0
.LBB255_110:
	s_and_b32 s28, s28, 3
	s_delay_alu instid0(SALU_CYCLE_1)
	s_cmp_eq_u32 s28, 0
	s_cbranch_scc1 .LBB255_113
; %bb.111:
	s_lshl_b32 s2, s27, 3
	s_mul_i32 s18, s27, 12
	s_add_u32 s2, s2, s0
	s_addc_u32 s3, s1, 0
	s_add_u32 s2, s2, 0xc4
	s_addc_u32 s3, s3, 0
	s_add_u32 s18, s0, s18
	s_addc_u32 s19, s1, 0
	.p2align	6
.LBB255_112:                            ; =>This Inner Loop Header: Depth=1
	s_clause 0x1
	s_load_b64 s[30:31], s[18:19], 0x4
	s_load_b32 s27, s[18:19], 0xc
	s_load_b64 s[34:35], s[2:3], 0x0
	s_add_u32 s18, s18, 12
	s_addc_u32 s19, s19, 0
	s_add_u32 s2, s2, 8
	s_addc_u32 s3, s3, 0
	s_add_i32 s28, s28, -1
	s_delay_alu instid0(SALU_CYCLE_1) | instskip(SKIP_2) | instid1(VALU_DEP_1)
	s_cmp_lg_u32 s28, 0
	s_waitcnt lgkmcnt(0)
	v_mul_hi_u32 v3, s31, v2
	v_add_nc_u32_e32 v3, v2, v3
	s_delay_alu instid0(VALU_DEP_1) | instskip(NEXT) | instid1(VALU_DEP_1)
	v_lshrrev_b32_e32 v3, s27, v3
	v_mul_lo_u32 v5, v3, s30
	s_delay_alu instid0(VALU_DEP_1) | instskip(NEXT) | instid1(VALU_DEP_1)
	v_sub_nc_u32_e32 v2, v2, v5
	v_mad_u64_u32 v[5:6], null, v2, s34, v[0:1]
	v_mad_u64_u32 v[6:7], null, v2, s35, v[1:2]
	v_mov_b32_e32 v2, v3
	s_delay_alu instid0(VALU_DEP_2)
	v_dual_mov_b32 v0, v5 :: v_dual_mov_b32 v1, v6
	s_cbranch_scc1 .LBB255_112
.LBB255_113:
	s_and_not1_b32 vcc_lo, exec_lo, s21
	s_cbranch_vccnz .LBB255_116
; %bb.114:
	s_waitcnt lgkmcnt(0)
	v_mul_hi_u32 v0, s13, v4
	s_and_not1_b32 vcc_lo, exec_lo, s26
	s_delay_alu instid0(VALU_DEP_1) | instskip(NEXT) | instid1(VALU_DEP_1)
	v_add_nc_u32_e32 v0, v4, v0
	v_lshrrev_b32_e32 v2, s14, v0
	s_delay_alu instid0(VALU_DEP_1) | instskip(NEXT) | instid1(VALU_DEP_1)
	v_mul_lo_u32 v0, v2, s12
	v_sub_nc_u32_e32 v1, v4, v0
	s_delay_alu instid0(VALU_DEP_1)
	v_mul_lo_u32 v0, v1, s8
	v_mul_lo_u32 v1, v1, s9
	s_cbranch_vccnz .LBB255_116
; %bb.115:
	v_mul_hi_u32 v3, s16, v2
	s_delay_alu instid0(VALU_DEP_1) | instskip(NEXT) | instid1(VALU_DEP_1)
	v_add_nc_u32_e32 v3, v2, v3
	v_lshrrev_b32_e32 v3, s17, v3
	s_delay_alu instid0(VALU_DEP_1) | instskip(NEXT) | instid1(VALU_DEP_1)
	v_mul_lo_u32 v3, v3, s15
	v_sub_nc_u32_e32 v5, v2, v3
	s_delay_alu instid0(VALU_DEP_1) | instskip(NEXT) | instid1(VALU_DEP_1)
	v_mad_u64_u32 v[2:3], null, v5, s10, v[0:1]
	v_mad_u64_u32 v[3:4], null, v5, s11, v[1:2]
	s_delay_alu instid0(VALU_DEP_1)
	v_dual_mov_b32 v0, v2 :: v_dual_mov_b32 v1, v3
.LBB255_116:
	s_waitcnt lgkmcnt(0)
	global_load_b32 v1, v1, s[6:7]
	s_waitcnt vmcnt(0)
	v_mul_f32_e32 v2, 0x4f800000, v1
	v_cmp_gt_f32_e32 vcc_lo, 0xf800000, v1
	s_delay_alu instid0(VALU_DEP_2) | instskip(NEXT) | instid1(VALU_DEP_1)
	v_cndmask_b32_e32 v1, v1, v2, vcc_lo
	v_sqrt_f32_e32 v2, v1
	s_waitcnt_depctr 0xfff
	v_add_nc_u32_e32 v3, -1, v2
	v_add_nc_u32_e32 v4, 1, v2
	s_delay_alu instid0(VALU_DEP_2) | instskip(NEXT) | instid1(VALU_DEP_2)
	v_fma_f32 v5, -v3, v2, v1
	v_fma_f32 v6, -v4, v2, v1
	s_delay_alu instid0(VALU_DEP_2) | instskip(NEXT) | instid1(VALU_DEP_1)
	v_cmp_ge_f32_e64 s2, 0, v5
	v_cndmask_b32_e64 v2, v2, v3, s2
	s_delay_alu instid0(VALU_DEP_3) | instskip(NEXT) | instid1(VALU_DEP_1)
	v_cmp_lt_f32_e64 s2, 0, v6
	v_cndmask_b32_e64 v2, v2, v4, s2
	s_delay_alu instid0(VALU_DEP_1) | instskip(NEXT) | instid1(VALU_DEP_1)
	v_mul_f32_e32 v3, 0x37800000, v2
	v_cndmask_b32_e32 v2, v2, v3, vcc_lo
	v_cmp_class_f32_e64 vcc_lo, v1, 0x260
	s_delay_alu instid0(VALU_DEP_2)
	v_cndmask_b32_e32 v1, v2, v1, vcc_lo
	global_store_b32 v0, v1, s[4:5]
	s_or_b32 exec_lo, exec_lo, s20
                                        ; implicit-def: $vgpr8
                                        ; implicit-def: $vgpr4
	s_and_not1_saveexec_b32 s2, s25
	s_cbranch_execz .LBB255_94
	s_branch .LBB255_8
	.section	.rodata,"a",@progbits
	.p2align	6, 0x0
	.amdhsa_kernel _ZN2at6native32elementwise_kernel_manual_unrollILi128ELi4EZNS0_22gpu_kernel_impl_nocastIZZZNS0_16sqrt_kernel_cudaERNS_18TensorIteratorBaseEENKUlvE0_clEvENKUlvE0_clEvEUlfE_EEvS4_RKT_EUlibE_EEviT1_
		.amdhsa_group_segment_fixed_size 0
		.amdhsa_private_segment_fixed_size 0
		.amdhsa_kernarg_size 360
		.amdhsa_user_sgpr_count 15
		.amdhsa_user_sgpr_dispatch_ptr 0
		.amdhsa_user_sgpr_queue_ptr 0
		.amdhsa_user_sgpr_kernarg_segment_ptr 1
		.amdhsa_user_sgpr_dispatch_id 0
		.amdhsa_user_sgpr_private_segment_size 0
		.amdhsa_wavefront_size32 1
		.amdhsa_uses_dynamic_stack 0
		.amdhsa_enable_private_segment 0
		.amdhsa_system_sgpr_workgroup_id_x 1
		.amdhsa_system_sgpr_workgroup_id_y 0
		.amdhsa_system_sgpr_workgroup_id_z 0
		.amdhsa_system_sgpr_workgroup_info 0
		.amdhsa_system_vgpr_workitem_id 0
		.amdhsa_next_free_vgpr 28
		.amdhsa_next_free_sgpr 56
		.amdhsa_reserve_vcc 1
		.amdhsa_float_round_mode_32 0
		.amdhsa_float_round_mode_16_64 0
		.amdhsa_float_denorm_mode_32 3
		.amdhsa_float_denorm_mode_16_64 3
		.amdhsa_dx10_clamp 1
		.amdhsa_ieee_mode 1
		.amdhsa_fp16_overflow 0
		.amdhsa_workgroup_processor_mode 1
		.amdhsa_memory_ordered 1
		.amdhsa_forward_progress 0
		.amdhsa_shared_vgpr_count 0
		.amdhsa_exception_fp_ieee_invalid_op 0
		.amdhsa_exception_fp_denorm_src 0
		.amdhsa_exception_fp_ieee_div_zero 0
		.amdhsa_exception_fp_ieee_overflow 0
		.amdhsa_exception_fp_ieee_underflow 0
		.amdhsa_exception_fp_ieee_inexact 0
		.amdhsa_exception_int_div_zero 0
	.end_amdhsa_kernel
	.section	.text._ZN2at6native32elementwise_kernel_manual_unrollILi128ELi4EZNS0_22gpu_kernel_impl_nocastIZZZNS0_16sqrt_kernel_cudaERNS_18TensorIteratorBaseEENKUlvE0_clEvENKUlvE0_clEvEUlfE_EEvS4_RKT_EUlibE_EEviT1_,"axG",@progbits,_ZN2at6native32elementwise_kernel_manual_unrollILi128ELi4EZNS0_22gpu_kernel_impl_nocastIZZZNS0_16sqrt_kernel_cudaERNS_18TensorIteratorBaseEENKUlvE0_clEvENKUlvE0_clEvEUlfE_EEvS4_RKT_EUlibE_EEviT1_,comdat
.Lfunc_end255:
	.size	_ZN2at6native32elementwise_kernel_manual_unrollILi128ELi4EZNS0_22gpu_kernel_impl_nocastIZZZNS0_16sqrt_kernel_cudaERNS_18TensorIteratorBaseEENKUlvE0_clEvENKUlvE0_clEvEUlfE_EEvS4_RKT_EUlibE_EEviT1_, .Lfunc_end255-_ZN2at6native32elementwise_kernel_manual_unrollILi128ELi4EZNS0_22gpu_kernel_impl_nocastIZZZNS0_16sqrt_kernel_cudaERNS_18TensorIteratorBaseEENKUlvE0_clEvENKUlvE0_clEvEUlfE_EEvS4_RKT_EUlibE_EEviT1_
                                        ; -- End function
	.section	.AMDGPU.csdata,"",@progbits
; Kernel info:
; codeLenInByte = 7824
; NumSgprs: 58
; NumVgprs: 28
; ScratchSize: 0
; MemoryBound: 0
; FloatMode: 240
; IeeeMode: 1
; LDSByteSize: 0 bytes/workgroup (compile time only)
; SGPRBlocks: 7
; VGPRBlocks: 3
; NumSGPRsForWavesPerEU: 58
; NumVGPRsForWavesPerEU: 28
; Occupancy: 16
; WaveLimiterHint : 1
; COMPUTE_PGM_RSRC2:SCRATCH_EN: 0
; COMPUTE_PGM_RSRC2:USER_SGPR: 15
; COMPUTE_PGM_RSRC2:TRAP_HANDLER: 0
; COMPUTE_PGM_RSRC2:TGID_X_EN: 1
; COMPUTE_PGM_RSRC2:TGID_Y_EN: 0
; COMPUTE_PGM_RSRC2:TGID_Z_EN: 0
; COMPUTE_PGM_RSRC2:TIDIG_COMP_CNT: 0
	.section	.text._ZN2at6native32elementwise_kernel_manual_unrollILi128ELi4EZNS0_15gpu_kernel_implIZZZNS0_16sqrt_kernel_cudaERNS_18TensorIteratorBaseEENKUlvE0_clEvENKUlvE0_clEvEUlfE_EEvS4_RKT_EUlibE_EEviT1_,"axG",@progbits,_ZN2at6native32elementwise_kernel_manual_unrollILi128ELi4EZNS0_15gpu_kernel_implIZZZNS0_16sqrt_kernel_cudaERNS_18TensorIteratorBaseEENKUlvE0_clEvENKUlvE0_clEvEUlfE_EEvS4_RKT_EUlibE_EEviT1_,comdat
	.globl	_ZN2at6native32elementwise_kernel_manual_unrollILi128ELi4EZNS0_15gpu_kernel_implIZZZNS0_16sqrt_kernel_cudaERNS_18TensorIteratorBaseEENKUlvE0_clEvENKUlvE0_clEvEUlfE_EEvS4_RKT_EUlibE_EEviT1_ ; -- Begin function _ZN2at6native32elementwise_kernel_manual_unrollILi128ELi4EZNS0_15gpu_kernel_implIZZZNS0_16sqrt_kernel_cudaERNS_18TensorIteratorBaseEENKUlvE0_clEvENKUlvE0_clEvEUlfE_EEvS4_RKT_EUlibE_EEviT1_
	.p2align	8
	.type	_ZN2at6native32elementwise_kernel_manual_unrollILi128ELi4EZNS0_15gpu_kernel_implIZZZNS0_16sqrt_kernel_cudaERNS_18TensorIteratorBaseEENKUlvE0_clEvENKUlvE0_clEvEUlfE_EEvS4_RKT_EUlibE_EEviT1_,@function
_ZN2at6native32elementwise_kernel_manual_unrollILi128ELi4EZNS0_15gpu_kernel_implIZZZNS0_16sqrt_kernel_cudaERNS_18TensorIteratorBaseEENKUlvE0_clEvENKUlvE0_clEvEUlfE_EEvS4_RKT_EUlibE_EEviT1_: ; @_ZN2at6native32elementwise_kernel_manual_unrollILi128ELi4EZNS0_15gpu_kernel_implIZZZNS0_16sqrt_kernel_cudaERNS_18TensorIteratorBaseEENKUlvE0_clEvENKUlvE0_clEvEUlfE_EEvS4_RKT_EUlibE_EEviT1_
; %bb.0:
	v_mov_b32_e32 v1, 0
	s_clause 0x2
	s_load_b32 s10, s[0:1], 0x0
	s_load_b64 s[2:3], s[0:1], 0x18
	s_load_b128 s[4:7], s[0:1], 0x8
	v_lshl_or_b32 v5, s15, 9, v0
	s_mov_b32 s9, 0
	global_load_u16 v4, v1, s[0:1] offset:33
	s_mov_b32 s1, 0
	v_or_b32_e32 v0, 0x180, v5
	s_mov_b32 s0, exec_lo
	s_waitcnt vmcnt(0)
	v_lshrrev_b16 v6, 8, v4
	s_waitcnt lgkmcnt(0)
	v_cmpx_le_i32_e64 s10, v0
	s_xor_b32 s8, exec_lo, s0
	s_cbranch_execz .LBB256_1024
; %bb.1:
	s_mov_b32 s15, -1
	s_mov_b32 s13, 0
	s_mov_b32 s11, 0
	s_mov_b32 s12, exec_lo
	v_cmpx_gt_i32_e64 s10, v5
	s_cbranch_execz .LBB256_250
; %bb.2:
	v_mul_lo_u32 v0, v5, s3
	v_cmp_gt_i16_e32 vcc_lo, 11, v6
	s_delay_alu instid0(VALU_DEP_2) | instskip(SKIP_1) | instid1(VALU_DEP_1)
	v_ashrrev_i32_e32 v1, 31, v0
	v_add_co_u32 v0, s0, s6, v0
	v_add_co_ci_u32_e64 v1, s0, s7, v1, s0
	s_cbranch_vccnz .LBB256_9
; %bb.3:
	v_cmp_lt_i16_e32 vcc_lo, 25, v6
	s_cbranch_vccz .LBB256_128
; %bb.4:
	v_cmp_lt_i16_e32 vcc_lo, 28, v6
	s_cbranch_vccz .LBB256_129
	;; [unrolled: 3-line block ×4, first 2 shown]
; %bb.7:
	v_cmp_eq_u16_e32 vcc_lo, 46, v6
	s_cbranch_vccz .LBB256_132
; %bb.8:
	global_load_b32 v2, v[0:1], off
	s_mov_b32 s0, -1
	s_waitcnt vmcnt(0)
	v_lshlrev_b32_e32 v2, 16, v2
	s_branch .LBB256_134
.LBB256_9:
	s_mov_b32 s0, 0
                                        ; implicit-def: $vgpr2
	s_cbranch_execnz .LBB256_200
.LBB256_10:
	s_and_not1_b32 vcc_lo, exec_lo, s0
	s_cbranch_vccnz .LBB256_247
.LBB256_11:
	s_waitcnt vmcnt(0)
	s_delay_alu instid0(VALU_DEP_1) | instskip(SKIP_3) | instid1(VALU_DEP_2)
	v_mul_f32_e32 v0, 0x4f800000, v2
	v_cmp_gt_f32_e32 vcc_lo, 0xf800000, v2
	s_mov_b32 s14, -1
	s_mov_b32 s9, 0
	v_cndmask_b32_e32 v2, v2, v0, vcc_lo
	s_delay_alu instid0(VALU_DEP_1) | instskip(SKIP_3) | instid1(VALU_DEP_2)
	v_sqrt_f32_e32 v0, v2
	s_waitcnt_depctr 0xfff
	v_add_nc_u32_e32 v1, -1, v0
	v_add_nc_u32_e32 v3, 1, v0
	v_fma_f32 v7, -v1, v0, v2
	s_delay_alu instid0(VALU_DEP_2) | instskip(NEXT) | instid1(VALU_DEP_2)
	v_fma_f32 v8, -v3, v0, v2
	v_cmp_ge_f32_e64 s0, 0, v7
	v_and_b32_e32 v7, 0xff, v4
	s_delay_alu instid0(VALU_DEP_2) | instskip(NEXT) | instid1(VALU_DEP_4)
	v_cndmask_b32_e64 v0, v0, v1, s0
	v_cmp_lt_f32_e64 s0, 0, v8
	v_mul_lo_u32 v1, v5, s2
	s_delay_alu instid0(VALU_DEP_2) | instskip(SKIP_1) | instid1(VALU_DEP_3)
	v_cndmask_b32_e64 v0, v0, v3, s0
	v_cmp_gt_i16_e64 s0, 11, v7
	v_ashrrev_i32_e32 v8, 31, v1
	s_delay_alu instid0(VALU_DEP_3) | instskip(NEXT) | instid1(VALU_DEP_1)
	v_mul_f32_e32 v3, 0x37800000, v0
	v_cndmask_b32_e32 v3, v0, v3, vcc_lo
	v_add_co_u32 v0, vcc_lo, s4, v1
	s_delay_alu instid0(VALU_DEP_4) | instskip(SKIP_1) | instid1(VALU_DEP_4)
	v_add_co_ci_u32_e32 v1, vcc_lo, s5, v8, vcc_lo
	v_cmp_class_f32_e64 vcc_lo, v2, 0x260
	v_cndmask_b32_e32 v2, v3, v2, vcc_lo
	s_and_b32 vcc_lo, exec_lo, s0
	s_mov_b32 s0, 0
	s_cbranch_vccnz .LBB256_88
; %bb.12:
	v_cmp_lt_i16_e32 vcc_lo, 25, v7
	s_cbranch_vccz .LBB256_45
; %bb.13:
	v_cmp_lt_i16_e32 vcc_lo, 28, v7
	s_cbranch_vccz .LBB256_28
	;; [unrolled: 3-line block ×4, first 2 shown]
; %bb.16:
	v_cmp_eq_u16_e32 vcc_lo, 46, v7
	s_mov_b32 s14, 0
	s_mov_b32 s9, -1
	s_cbranch_vccz .LBB256_18
; %bb.17:
	v_bfe_u32 v3, v2, 16, 1
	v_cmp_o_f32_e32 vcc_lo, v2, v2
	s_mov_b32 s0, -1
	s_mov_b32 s9, 0
	s_delay_alu instid0(VALU_DEP_2) | instskip(NEXT) | instid1(VALU_DEP_1)
	v_add3_u32 v3, v2, v3, 0x7fff
	v_lshrrev_b32_e32 v3, 16, v3
	s_delay_alu instid0(VALU_DEP_1)
	v_cndmask_b32_e32 v3, 0x7fc0, v3, vcc_lo
	global_store_b32 v[0:1], v3, off
.LBB256_18:
	s_and_b32 vcc_lo, exec_lo, s14
	s_cbranch_vccz .LBB256_23
; %bb.19:
	v_cmp_eq_u16_e32 vcc_lo, 44, v7
	s_mov_b32 s9, -1
	s_cbranch_vccz .LBB256_23
; %bb.20:
	v_bfe_u32 v8, v2, 23, 8
	v_mov_b32_e32 v3, 0xff
	s_mov_b32 s9, exec_lo
	s_delay_alu instid0(VALU_DEP_2)
	v_cmpx_ne_u32_e32 0xff, v8
; %bb.21:
	v_and_b32_e32 v3, 0x400000, v2
	v_and_or_b32 v8, 0x3fffff, v2, v8
	s_delay_alu instid0(VALU_DEP_2) | instskip(NEXT) | instid1(VALU_DEP_2)
	v_cmp_ne_u32_e32 vcc_lo, 0, v3
	v_cmp_ne_u32_e64 s0, 0, v8
	v_lshrrev_b32_e32 v3, 23, v2
	s_delay_alu instid0(VALU_DEP_2) | instskip(NEXT) | instid1(SALU_CYCLE_1)
	s_and_b32 s0, vcc_lo, s0
	v_cndmask_b32_e64 v8, 0, 1, s0
	s_delay_alu instid0(VALU_DEP_1)
	v_add_nc_u32_e32 v3, v3, v8
; %bb.22:
	s_or_b32 exec_lo, exec_lo, s9
	s_mov_b32 s0, -1
	s_mov_b32 s9, 0
	global_store_b8 v[0:1], v3, off
.LBB256_23:
	s_mov_b32 s14, 0
.LBB256_24:
	s_delay_alu instid0(SALU_CYCLE_1)
	s_and_b32 vcc_lo, exec_lo, s14
	s_cbranch_vccz .LBB256_27
; %bb.25:
	v_cmp_eq_u16_e32 vcc_lo, 29, v7
	s_mov_b32 s9, -1
	s_cbranch_vccz .LBB256_27
; %bb.26:
	v_trunc_f32_e32 v3, v2
	s_mov_b32 s0, -1
	s_mov_b32 s9, 0
	s_delay_alu instid0(VALU_DEP_1) | instskip(NEXT) | instid1(VALU_DEP_1)
	v_mul_f32_e32 v8, 0x2f800000, v3
	v_floor_f32_e32 v8, v8
	s_delay_alu instid0(VALU_DEP_1) | instskip(SKIP_1) | instid1(VALU_DEP_2)
	v_fmamk_f32 v3, v8, 0xcf800000, v3
	v_cvt_u32_f32_e32 v9, v8
	v_cvt_u32_f32_e32 v8, v3
	global_store_b64 v[0:1], v[8:9], off
.LBB256_27:
	s_mov_b32 s14, 0
.LBB256_28:
	s_delay_alu instid0(SALU_CYCLE_1)
	s_and_b32 vcc_lo, exec_lo, s14
	s_cbranch_vccz .LBB256_44
; %bb.29:
	v_cmp_gt_i16_e32 vcc_lo, 27, v7
	s_mov_b32 s0, -1
	s_cbranch_vccnz .LBB256_35
; %bb.30:
	v_cmp_lt_i16_e32 vcc_lo, 27, v7
	s_cbranch_vccz .LBB256_32
; %bb.31:
	v_cvt_u32_f32_e32 v3, v2
	s_mov_b32 s0, 0
	global_store_b32 v[0:1], v3, off
.LBB256_32:
	s_and_not1_b32 vcc_lo, exec_lo, s0
	s_cbranch_vccnz .LBB256_34
; %bb.33:
	v_cvt_u32_f32_e32 v3, v2
	global_store_b16 v[0:1], v3, off
.LBB256_34:
	s_mov_b32 s0, 0
.LBB256_35:
	s_delay_alu instid0(SALU_CYCLE_1)
	s_and_not1_b32 vcc_lo, exec_lo, s0
	s_cbranch_vccnz .LBB256_43
; %bb.36:
	v_and_b32_e32 v3, 0x7fffffff, v2
	v_mov_b32_e32 v8, 0x80
	s_mov_b32 s0, exec_lo
	s_delay_alu instid0(VALU_DEP_2)
	v_cmpx_gt_u32_e32 0x43800000, v3
	s_cbranch_execz .LBB256_42
; %bb.37:
	v_cmp_lt_u32_e32 vcc_lo, 0x3bffffff, v3
	s_mov_b32 s14, 0
                                        ; implicit-def: $vgpr3
	s_and_saveexec_b32 s15, vcc_lo
	s_delay_alu instid0(SALU_CYCLE_1)
	s_xor_b32 s15, exec_lo, s15
	s_cbranch_execz .LBB256_137
; %bb.38:
	v_bfe_u32 v3, v2, 20, 1
	s_mov_b32 s14, exec_lo
	s_delay_alu instid0(VALU_DEP_1) | instskip(NEXT) | instid1(VALU_DEP_1)
	v_add3_u32 v3, v2, v3, 0x487ffff
	v_lshrrev_b32_e32 v3, 20, v3
	s_or_saveexec_b32 s15, s15
                                        ; implicit-def: $sgpr16
	s_delay_alu instid0(SALU_CYCLE_1)
	s_xor_b32 exec_lo, exec_lo, s15
	s_cbranch_execnz .LBB256_138
.LBB256_39:
	s_or_b32 exec_lo, exec_lo, s15
	v_mov_b32_e32 v8, s16
	s_and_saveexec_b32 s15, s14
.LBB256_40:
	v_lshrrev_b32_e32 v8, 24, v2
	s_delay_alu instid0(VALU_DEP_1)
	v_and_or_b32 v8, 0x80, v8, v3
.LBB256_41:
	s_or_b32 exec_lo, exec_lo, s15
.LBB256_42:
	s_delay_alu instid0(SALU_CYCLE_1)
	s_or_b32 exec_lo, exec_lo, s0
	global_store_b8 v[0:1], v8, off
.LBB256_43:
	s_mov_b32 s0, -1
.LBB256_44:
	s_mov_b32 s14, 0
.LBB256_45:
	s_delay_alu instid0(SALU_CYCLE_1)
	s_and_b32 vcc_lo, exec_lo, s14
	s_cbranch_vccz .LBB256_86
; %bb.46:
	v_cmp_lt_i16_e32 vcc_lo, 22, v7
	s_mov_b32 s14, -1
	s_cbranch_vccz .LBB256_78
; %bb.47:
	v_cmp_gt_i16_e32 vcc_lo, 24, v7
	s_mov_b32 s0, -1
	s_cbranch_vccnz .LBB256_67
; %bb.48:
	v_cmp_lt_i16_e32 vcc_lo, 24, v7
	s_cbranch_vccz .LBB256_56
; %bb.49:
	v_and_b32_e32 v3, 0x7fffffff, v2
	v_mov_b32_e32 v8, 0x80
	s_mov_b32 s0, exec_lo
	s_delay_alu instid0(VALU_DEP_2)
	v_cmpx_gt_u32_e32 0x47800000, v3
	s_cbranch_execz .LBB256_55
; %bb.50:
	v_cmp_lt_u32_e32 vcc_lo, 0x37ffffff, v3
	s_mov_b32 s14, 0
                                        ; implicit-def: $vgpr3
	s_and_saveexec_b32 s15, vcc_lo
	s_delay_alu instid0(SALU_CYCLE_1)
	s_xor_b32 s15, exec_lo, s15
	s_cbranch_execz .LBB256_315
; %bb.51:
	v_bfe_u32 v3, v2, 21, 1
	s_mov_b32 s14, exec_lo
	s_delay_alu instid0(VALU_DEP_1) | instskip(NEXT) | instid1(VALU_DEP_1)
	v_add3_u32 v3, v2, v3, 0x88fffff
	v_lshrrev_b32_e32 v3, 21, v3
	s_or_saveexec_b32 s15, s15
                                        ; implicit-def: $sgpr16
	s_delay_alu instid0(SALU_CYCLE_1)
	s_xor_b32 exec_lo, exec_lo, s15
	s_cbranch_execnz .LBB256_316
.LBB256_52:
	s_or_b32 exec_lo, exec_lo, s15
	v_mov_b32_e32 v8, s16
	s_and_saveexec_b32 s15, s14
.LBB256_53:
	v_lshrrev_b32_e32 v8, 24, v2
	s_delay_alu instid0(VALU_DEP_1)
	v_and_or_b32 v8, 0x80, v8, v3
.LBB256_54:
	s_or_b32 exec_lo, exec_lo, s15
.LBB256_55:
	s_delay_alu instid0(SALU_CYCLE_1)
	s_or_b32 exec_lo, exec_lo, s0
	s_mov_b32 s0, 0
	global_store_b8 v[0:1], v8, off
.LBB256_56:
	s_and_b32 vcc_lo, exec_lo, s0
	s_cbranch_vccz .LBB256_66
; %bb.57:
	v_and_b32_e32 v8, 0x7fffffff, v2
	s_mov_b32 s0, exec_lo
                                        ; implicit-def: $vgpr3
	s_delay_alu instid0(VALU_DEP_1)
	v_cmpx_gt_u32_e32 0x43f00000, v8
	s_xor_b32 s0, exec_lo, s0
	s_cbranch_execz .LBB256_63
; %bb.58:
	s_mov_b32 s14, exec_lo
                                        ; implicit-def: $vgpr3
	v_cmpx_lt_u32_e32 0x3c7fffff, v8
	s_xor_b32 s14, exec_lo, s14
; %bb.59:
	v_bfe_u32 v3, v2, 20, 1
	s_delay_alu instid0(VALU_DEP_1) | instskip(NEXT) | instid1(VALU_DEP_1)
	v_add3_u32 v3, v2, v3, 0x407ffff
	v_and_b32_e32 v8, 0xff00000, v3
	v_lshrrev_b32_e32 v3, 20, v3
	s_delay_alu instid0(VALU_DEP_2) | instskip(NEXT) | instid1(VALU_DEP_2)
	v_cmp_ne_u32_e32 vcc_lo, 0x7f00000, v8
	v_cndmask_b32_e32 v3, 0x7e, v3, vcc_lo
; %bb.60:
	s_and_not1_saveexec_b32 s14, s14
; %bb.61:
	v_add_f32_e64 v3, 0x46800000, |v2|
; %bb.62:
	s_or_b32 exec_lo, exec_lo, s14
                                        ; implicit-def: $vgpr8
.LBB256_63:
	s_and_not1_saveexec_b32 s0, s0
; %bb.64:
	v_mov_b32_e32 v3, 0x7f
	v_cmp_lt_u32_e32 vcc_lo, 0x7f800000, v8
	s_delay_alu instid0(VALU_DEP_2)
	v_cndmask_b32_e32 v3, 0x7e, v3, vcc_lo
; %bb.65:
	s_or_b32 exec_lo, exec_lo, s0
	v_lshrrev_b32_e32 v8, 24, v2
	s_delay_alu instid0(VALU_DEP_1)
	v_and_or_b32 v3, 0x80, v8, v3
	global_store_b8 v[0:1], v3, off
.LBB256_66:
	s_mov_b32 s0, 0
.LBB256_67:
	s_delay_alu instid0(SALU_CYCLE_1)
	s_and_not1_b32 vcc_lo, exec_lo, s0
	s_cbranch_vccnz .LBB256_77
; %bb.68:
	v_and_b32_e32 v8, 0x7fffffff, v2
	s_mov_b32 s0, exec_lo
                                        ; implicit-def: $vgpr3
	s_delay_alu instid0(VALU_DEP_1)
	v_cmpx_gt_u32_e32 0x47800000, v8
	s_xor_b32 s0, exec_lo, s0
	s_cbranch_execz .LBB256_74
; %bb.69:
	s_mov_b32 s14, exec_lo
                                        ; implicit-def: $vgpr3
	v_cmpx_lt_u32_e32 0x387fffff, v8
	s_xor_b32 s14, exec_lo, s14
; %bb.70:
	v_bfe_u32 v3, v2, 21, 1
	s_delay_alu instid0(VALU_DEP_1) | instskip(NEXT) | instid1(VALU_DEP_1)
	v_add3_u32 v3, v2, v3, 0x80fffff
	v_lshrrev_b32_e32 v3, 21, v3
; %bb.71:
	s_and_not1_saveexec_b32 s14, s14
; %bb.72:
	v_add_f32_e64 v3, 0x43000000, |v2|
; %bb.73:
	s_or_b32 exec_lo, exec_lo, s14
                                        ; implicit-def: $vgpr8
.LBB256_74:
	s_and_not1_saveexec_b32 s0, s0
; %bb.75:
	v_mov_b32_e32 v3, 0x7f
	v_cmp_lt_u32_e32 vcc_lo, 0x7f800000, v8
	s_delay_alu instid0(VALU_DEP_2)
	v_cndmask_b32_e32 v3, 0x7c, v3, vcc_lo
; %bb.76:
	s_or_b32 exec_lo, exec_lo, s0
	v_lshrrev_b32_e32 v8, 24, v2
	s_delay_alu instid0(VALU_DEP_1)
	v_and_or_b32 v3, 0x80, v8, v3
	global_store_b8 v[0:1], v3, off
.LBB256_77:
	s_mov_b32 s14, 0
	s_mov_b32 s0, -1
.LBB256_78:
	s_and_not1_b32 vcc_lo, exec_lo, s14
	s_cbranch_vccnz .LBB256_86
; %bb.79:
	v_cmp_lt_i16_e32 vcc_lo, 14, v7
	s_mov_b32 s14, -1
	s_cbranch_vccz .LBB256_83
; %bb.80:
	v_cmp_eq_u16_e32 vcc_lo, 15, v7
	s_mov_b32 s9, -1
	s_cbranch_vccz .LBB256_82
; %bb.81:
	v_bfe_u32 v3, v2, 16, 1
	v_cmp_o_f32_e32 vcc_lo, v2, v2
	s_mov_b32 s0, -1
	s_mov_b32 s9, 0
	s_delay_alu instid0(VALU_DEP_2) | instskip(NEXT) | instid1(VALU_DEP_1)
	v_add3_u32 v3, v2, v3, 0x7fff
	v_lshrrev_b32_e32 v3, 16, v3
	s_delay_alu instid0(VALU_DEP_1)
	v_cndmask_b32_e32 v3, 0x7fc0, v3, vcc_lo
	global_store_b16 v[0:1], v3, off
.LBB256_82:
	s_mov_b32 s14, 0
.LBB256_83:
	s_delay_alu instid0(SALU_CYCLE_1)
	s_and_b32 vcc_lo, exec_lo, s14
	s_cbranch_vccz .LBB256_86
; %bb.84:
	v_cmp_eq_u16_e32 vcc_lo, 11, v7
	s_mov_b32 s9, -1
	s_cbranch_vccz .LBB256_86
; %bb.85:
	v_cmp_neq_f32_e32 vcc_lo, 0, v2
	s_mov_b32 s9, 0
	s_mov_b32 s0, -1
	v_cndmask_b32_e64 v3, 0, 1, vcc_lo
	global_store_b8 v[0:1], v3, off
.LBB256_86:
.LBB256_87:
	s_and_not1_b32 vcc_lo, exec_lo, s0
	s_cbranch_vccnz .LBB256_248
	s_branch .LBB256_127
.LBB256_88:
	s_and_b32 vcc_lo, exec_lo, s14
	s_cbranch_vccz .LBB256_87
; %bb.89:
	v_cmp_gt_i16_e32 vcc_lo, 5, v7
	s_mov_b32 s0, -1
	s_cbranch_vccnz .LBB256_110
; %bb.90:
	v_cmp_gt_i16_e32 vcc_lo, 8, v7
	s_cbranch_vccnz .LBB256_100
; %bb.91:
	v_cmp_gt_i16_e32 vcc_lo, 9, v7
	s_cbranch_vccnz .LBB256_97
; %bb.92:
	v_cmp_lt_i16_e32 vcc_lo, 9, v7
	s_cbranch_vccz .LBB256_94
; %bb.93:
	v_cvt_f64_f32_e32 v[8:9], v2
	v_mov_b32_e32 v10, 0
	s_mov_b32 s0, 0
	s_delay_alu instid0(VALU_DEP_1)
	v_mov_b32_e32 v11, v10
	global_store_b128 v[0:1], v[8:11], off
.LBB256_94:
	s_and_not1_b32 vcc_lo, exec_lo, s0
	s_cbranch_vccnz .LBB256_96
; %bb.95:
	v_mov_b32_e32 v3, 0
	global_store_b64 v[0:1], v[2:3], off
.LBB256_96:
	s_mov_b32 s0, 0
.LBB256_97:
	s_delay_alu instid0(SALU_CYCLE_1)
	s_and_not1_b32 vcc_lo, exec_lo, s0
	s_cbranch_vccnz .LBB256_99
; %bb.98:
	v_cvt_f16_f32_e32 v3, v2
	s_delay_alu instid0(VALU_DEP_1)
	v_and_b32_e32 v3, 0xffff, v3
	global_store_b32 v[0:1], v3, off
.LBB256_99:
	s_mov_b32 s0, 0
.LBB256_100:
	s_delay_alu instid0(SALU_CYCLE_1)
	s_and_not1_b32 vcc_lo, exec_lo, s0
	s_cbranch_vccnz .LBB256_109
; %bb.101:
	v_cmp_gt_i16_e32 vcc_lo, 6, v7
	s_mov_b32 s0, -1
	s_cbranch_vccnz .LBB256_107
; %bb.102:
	v_cmp_lt_i16_e32 vcc_lo, 6, v7
	s_cbranch_vccz .LBB256_104
; %bb.103:
	v_cvt_f64_f32_e32 v[8:9], v2
	s_mov_b32 s0, 0
	global_store_b64 v[0:1], v[8:9], off
.LBB256_104:
	s_and_not1_b32 vcc_lo, exec_lo, s0
	s_cbranch_vccnz .LBB256_106
; %bb.105:
	global_store_b32 v[0:1], v2, off
.LBB256_106:
	s_mov_b32 s0, 0
.LBB256_107:
	s_delay_alu instid0(SALU_CYCLE_1)
	s_and_not1_b32 vcc_lo, exec_lo, s0
	s_cbranch_vccnz .LBB256_109
; %bb.108:
	v_cvt_f16_f32_e32 v3, v2
	global_store_b16 v[0:1], v3, off
.LBB256_109:
	s_mov_b32 s0, 0
.LBB256_110:
	s_delay_alu instid0(SALU_CYCLE_1)
	s_and_not1_b32 vcc_lo, exec_lo, s0
	s_cbranch_vccnz .LBB256_126
; %bb.111:
	v_cmp_gt_i16_e32 vcc_lo, 2, v7
	s_mov_b32 s0, -1
	s_cbranch_vccnz .LBB256_121
; %bb.112:
	v_cmp_gt_i16_e32 vcc_lo, 3, v7
	s_cbranch_vccnz .LBB256_118
; %bb.113:
	v_cmp_lt_i16_e32 vcc_lo, 3, v7
	s_cbranch_vccz .LBB256_115
; %bb.114:
	v_trunc_f32_e32 v3, v2
	s_mov_b32 s0, 0
	s_delay_alu instid0(VALU_DEP_1) | instskip(NEXT) | instid1(VALU_DEP_1)
	v_mul_f32_e64 v8, 0x2f800000, |v3|
	v_floor_f32_e32 v8, v8
	s_delay_alu instid0(VALU_DEP_1) | instskip(SKIP_2) | instid1(VALU_DEP_3)
	v_fma_f32 v9, 0xcf800000, v8, |v3|
	v_ashrrev_i32_e32 v3, 31, v3
	v_cvt_u32_f32_e32 v8, v8
	v_cvt_u32_f32_e32 v9, v9
	s_delay_alu instid0(VALU_DEP_2) | instskip(NEXT) | instid1(VALU_DEP_2)
	v_xor_b32_e32 v10, v8, v3
	v_xor_b32_e32 v9, v9, v3
	s_delay_alu instid0(VALU_DEP_1) | instskip(NEXT) | instid1(VALU_DEP_3)
	v_sub_co_u32 v8, vcc_lo, v9, v3
	v_sub_co_ci_u32_e32 v9, vcc_lo, v10, v3, vcc_lo
	global_store_b64 v[0:1], v[8:9], off
.LBB256_115:
	s_and_not1_b32 vcc_lo, exec_lo, s0
	s_cbranch_vccnz .LBB256_117
; %bb.116:
	v_cvt_i32_f32_e32 v3, v2
	global_store_b32 v[0:1], v3, off
.LBB256_117:
	s_mov_b32 s0, 0
.LBB256_118:
	s_delay_alu instid0(SALU_CYCLE_1)
	s_and_not1_b32 vcc_lo, exec_lo, s0
	s_cbranch_vccnz .LBB256_120
; %bb.119:
	v_cvt_i32_f32_e32 v3, v2
	global_store_b16 v[0:1], v3, off
.LBB256_120:
	s_mov_b32 s0, 0
.LBB256_121:
	s_delay_alu instid0(SALU_CYCLE_1)
	s_and_not1_b32 vcc_lo, exec_lo, s0
	s_cbranch_vccnz .LBB256_126
; %bb.122:
	v_cmp_lt_i16_e32 vcc_lo, 0, v7
	s_mov_b32 s0, -1
	s_cbranch_vccz .LBB256_124
; %bb.123:
	v_cvt_i32_f32_e32 v3, v2
	s_mov_b32 s0, 0
	global_store_b8 v[0:1], v3, off
.LBB256_124:
	s_and_not1_b32 vcc_lo, exec_lo, s0
	s_cbranch_vccnz .LBB256_126
; %bb.125:
	v_trunc_f32_e32 v2, v2
	s_delay_alu instid0(VALU_DEP_1) | instskip(NEXT) | instid1(VALU_DEP_1)
	v_mul_f32_e64 v3, 0x2f800000, |v2|
	v_floor_f32_e32 v3, v3
	s_delay_alu instid0(VALU_DEP_1) | instskip(SKIP_1) | instid1(VALU_DEP_2)
	v_fma_f32 v3, 0xcf800000, v3, |v2|
	v_ashrrev_i32_e32 v2, 31, v2
	v_cvt_u32_f32_e32 v3, v3
	s_delay_alu instid0(VALU_DEP_1) | instskip(NEXT) | instid1(VALU_DEP_1)
	v_xor_b32_e32 v3, v3, v2
	v_sub_nc_u32_e32 v2, v3, v2
	global_store_b8 v[0:1], v2, off
.LBB256_126:
.LBB256_127:
	v_add_nc_u32_e32 v5, 0x80, v5
	s_mov_b32 s0, -1
	s_branch .LBB256_249
.LBB256_128:
	s_mov_b32 s0, 0
                                        ; implicit-def: $vgpr2
	s_cbranch_execnz .LBB256_165
	s_branch .LBB256_199
.LBB256_129:
	s_mov_b32 s9, -1
	s_mov_b32 s0, 0
                                        ; implicit-def: $vgpr2
	s_branch .LBB256_146
.LBB256_130:
	s_mov_b32 s9, -1
	s_mov_b32 s0, 0
                                        ; implicit-def: $vgpr2
	s_branch .LBB256_141
.LBB256_131:
	s_mov_b32 s9, -1
	s_branch .LBB256_133
.LBB256_132:
	s_mov_b32 s11, -1
.LBB256_133:
	s_mov_b32 s0, 0
                                        ; implicit-def: $vgpr2
.LBB256_134:
	s_and_b32 vcc_lo, exec_lo, s9
	s_cbranch_vccz .LBB256_140
; %bb.135:
	v_cmp_eq_u16_e32 vcc_lo, 44, v6
	s_cbranch_vccz .LBB256_139
; %bb.136:
	global_load_u8 v2, v[0:1], off
	s_mov_b32 s11, 0
	s_mov_b32 s0, -1
	s_waitcnt vmcnt(0)
	v_lshlrev_b32_e32 v3, 23, v2
	v_cmp_ne_u32_e32 vcc_lo, 0xff, v2
	s_delay_alu instid0(VALU_DEP_2) | instskip(SKIP_1) | instid1(VALU_DEP_2)
	v_cndmask_b32_e32 v3, 0x7f800001, v3, vcc_lo
	v_cmp_ne_u32_e32 vcc_lo, 0, v2
	v_cndmask_b32_e32 v2, 0x400000, v3, vcc_lo
	s_branch .LBB256_140
.LBB256_137:
	s_or_saveexec_b32 s15, s15
                                        ; implicit-def: $sgpr16
	s_delay_alu instid0(SALU_CYCLE_1)
	s_xor_b32 exec_lo, exec_lo, s15
	s_cbranch_execz .LBB256_39
.LBB256_138:
	v_add_f32_e64 v3, 0x46000000, |v2|
	s_and_not1_b32 s14, s14, exec_lo
	s_mov_b32 s16, 0
	s_delay_alu instid0(VALU_DEP_1) | instskip(NEXT) | instid1(VALU_DEP_1)
	v_and_b32_e32 v3, 0xff, v3
	v_cmp_ne_u32_e32 vcc_lo, 0, v3
	s_and_b32 s17, vcc_lo, exec_lo
	s_delay_alu instid0(SALU_CYCLE_1)
	s_or_b32 s14, s14, s17
	s_or_b32 exec_lo, exec_lo, s15
	v_mov_b32_e32 v8, s16
	s_and_saveexec_b32 s15, s14
	s_cbranch_execnz .LBB256_40
	s_branch .LBB256_41
.LBB256_139:
	s_mov_b32 s11, -1
                                        ; implicit-def: $vgpr2
.LBB256_140:
	s_mov_b32 s9, 0
.LBB256_141:
	s_delay_alu instid0(SALU_CYCLE_1)
	s_and_b32 vcc_lo, exec_lo, s9
	s_cbranch_vccz .LBB256_145
; %bb.142:
	v_cmp_eq_u16_e32 vcc_lo, 29, v6
	s_cbranch_vccz .LBB256_144
; %bb.143:
	global_load_b64 v[2:3], v[0:1], off
	s_mov_b32 s0, -1
	s_mov_b32 s11, 0
	s_mov_b32 s9, 0
	s_waitcnt vmcnt(0)
	v_clz_i32_u32_e32 v7, v3
	s_delay_alu instid0(VALU_DEP_1) | instskip(NEXT) | instid1(VALU_DEP_1)
	v_min_u32_e32 v7, 32, v7
	v_lshlrev_b64 v[2:3], v7, v[2:3]
	s_delay_alu instid0(VALU_DEP_1) | instskip(NEXT) | instid1(VALU_DEP_1)
	v_min_u32_e32 v2, 1, v2
	v_or_b32_e32 v2, v3, v2
	v_sub_nc_u32_e32 v3, 32, v7
	s_delay_alu instid0(VALU_DEP_2) | instskip(NEXT) | instid1(VALU_DEP_1)
	v_cvt_f32_u32_e32 v2, v2
	v_ldexp_f32 v2, v2, v3
	s_branch .LBB256_146
.LBB256_144:
	s_mov_b32 s11, -1
                                        ; implicit-def: $vgpr2
.LBB256_145:
	s_mov_b32 s9, 0
.LBB256_146:
	s_delay_alu instid0(SALU_CYCLE_1)
	s_and_b32 vcc_lo, exec_lo, s9
	s_cbranch_vccz .LBB256_164
; %bb.147:
	v_cmp_gt_i16_e32 vcc_lo, 27, v6
	s_cbranch_vccnz .LBB256_150
; %bb.148:
	v_cmp_lt_i16_e32 vcc_lo, 27, v6
	s_cbranch_vccz .LBB256_151
; %bb.149:
	global_load_b32 v2, v[0:1], off
	s_mov_b32 s0, 0
	s_waitcnt vmcnt(0)
	v_cvt_f32_u32_e32 v2, v2
	s_branch .LBB256_152
.LBB256_150:
	s_mov_b32 s0, -1
                                        ; implicit-def: $vgpr2
	s_branch .LBB256_155
.LBB256_151:
	s_mov_b32 s0, -1
                                        ; implicit-def: $vgpr2
.LBB256_152:
	s_delay_alu instid0(SALU_CYCLE_1)
	s_and_not1_b32 vcc_lo, exec_lo, s0
	s_cbranch_vccnz .LBB256_154
; %bb.153:
	global_load_u16 v2, v[0:1], off
	s_waitcnt vmcnt(0)
	v_cvt_f32_u32_e32 v2, v2
.LBB256_154:
	s_mov_b32 s0, 0
.LBB256_155:
	s_delay_alu instid0(SALU_CYCLE_1)
	s_and_not1_b32 vcc_lo, exec_lo, s0
	s_cbranch_vccnz .LBB256_163
; %bb.156:
	global_load_u8 v3, v[0:1], off
	s_mov_b32 s0, 0
	s_mov_b32 s14, exec_lo
                                        ; implicit-def: $sgpr9
	s_waitcnt vmcnt(0)
	v_cmpx_lt_i16_e32 0x7f, v3
	s_xor_b32 s14, exec_lo, s14
	s_cbranch_execz .LBB256_176
; %bb.157:
	s_mov_b32 s0, -1
	s_mov_b32 s15, exec_lo
                                        ; implicit-def: $sgpr9
	v_cmpx_eq_u16_e32 0x80, v3
; %bb.158:
	s_mov_b32 s9, 0x7f800001
	s_xor_b32 s0, exec_lo, -1
; %bb.159:
	s_or_b32 exec_lo, exec_lo, s15
	s_delay_alu instid0(SALU_CYCLE_1)
	s_and_b32 s0, s0, exec_lo
	s_or_saveexec_b32 s14, s14
	v_mov_b32_e32 v2, s9
	s_xor_b32 exec_lo, exec_lo, s14
	s_cbranch_execnz .LBB256_177
.LBB256_160:
	s_or_b32 exec_lo, exec_lo, s14
	s_and_saveexec_b32 s9, s0
	s_cbranch_execz .LBB256_162
.LBB256_161:
	v_and_b32_e32 v2, 0xffff, v3
	v_lshlrev_b32_e32 v3, 24, v3
	s_delay_alu instid0(VALU_DEP_2) | instskip(NEXT) | instid1(VALU_DEP_2)
	v_and_b32_e32 v7, 7, v2
	v_and_b32_e32 v3, 0x80000000, v3
	s_delay_alu instid0(VALU_DEP_2) | instskip(NEXT) | instid1(VALU_DEP_1)
	v_clz_i32_u32_e32 v8, v7
	v_min_u32_e32 v8, 32, v8
	s_delay_alu instid0(VALU_DEP_1) | instskip(SKIP_1) | instid1(VALU_DEP_2)
	v_subrev_nc_u32_e32 v9, 28, v8
	v_sub_nc_u32_e32 v8, 29, v8
	v_lshlrev_b32_e32 v9, v9, v2
	v_bfe_u32 v2, v2, 3, 4
	s_delay_alu instid0(VALU_DEP_2) | instskip(NEXT) | instid1(VALU_DEP_2)
	v_and_b32_e32 v9, 7, v9
	v_cmp_eq_u32_e32 vcc_lo, 0, v2
	s_delay_alu instid0(VALU_DEP_2) | instskip(NEXT) | instid1(VALU_DEP_1)
	v_dual_cndmask_b32 v2, v2, v8 :: v_dual_cndmask_b32 v7, v7, v9
	v_lshl_add_u32 v2, v2, 23, 0x3b800000
	s_delay_alu instid0(VALU_DEP_2) | instskip(NEXT) | instid1(VALU_DEP_1)
	v_lshlrev_b32_e32 v7, 20, v7
	v_or3_b32 v2, v3, v2, v7
.LBB256_162:
	s_or_b32 exec_lo, exec_lo, s9
.LBB256_163:
	s_mov_b32 s0, -1
.LBB256_164:
	s_branch .LBB256_199
.LBB256_165:
	v_cmp_lt_i16_e32 vcc_lo, 22, v6
	s_cbranch_vccz .LBB256_175
; %bb.166:
	v_cmp_gt_i16_e32 vcc_lo, 24, v6
	s_cbranch_vccnz .LBB256_178
; %bb.167:
	v_cmp_lt_i16_e32 vcc_lo, 24, v6
	s_cbranch_vccz .LBB256_179
; %bb.168:
	global_load_u8 v3, v[0:1], off
	s_mov_b32 s0, 0
	s_mov_b32 s14, exec_lo
                                        ; implicit-def: $sgpr9
	s_waitcnt vmcnt(0)
	v_cmpx_lt_i16_e32 0x7f, v3
	s_xor_b32 s14, exec_lo, s14
	s_cbranch_execz .LBB256_191
; %bb.169:
	s_mov_b32 s0, -1
	s_mov_b32 s15, exec_lo
                                        ; implicit-def: $sgpr9
	v_cmpx_eq_u16_e32 0x80, v3
; %bb.170:
	s_mov_b32 s9, 0x7f800001
	s_xor_b32 s0, exec_lo, -1
; %bb.171:
	s_or_b32 exec_lo, exec_lo, s15
	s_delay_alu instid0(SALU_CYCLE_1)
	s_and_b32 s0, s0, exec_lo
	s_or_saveexec_b32 s14, s14
	v_mov_b32_e32 v2, s9
	s_xor_b32 exec_lo, exec_lo, s14
	s_cbranch_execnz .LBB256_192
.LBB256_172:
	s_or_b32 exec_lo, exec_lo, s14
	s_and_saveexec_b32 s9, s0
	s_cbranch_execz .LBB256_174
.LBB256_173:
	v_and_b32_e32 v2, 0xffff, v3
	v_lshlrev_b32_e32 v3, 24, v3
	s_delay_alu instid0(VALU_DEP_2) | instskip(NEXT) | instid1(VALU_DEP_2)
	v_and_b32_e32 v7, 3, v2
	v_and_b32_e32 v3, 0x80000000, v3
	s_delay_alu instid0(VALU_DEP_2) | instskip(NEXT) | instid1(VALU_DEP_1)
	v_clz_i32_u32_e32 v8, v7
	v_min_u32_e32 v8, 32, v8
	s_delay_alu instid0(VALU_DEP_1) | instskip(SKIP_1) | instid1(VALU_DEP_2)
	v_subrev_nc_u32_e32 v9, 29, v8
	v_sub_nc_u32_e32 v8, 30, v8
	v_lshlrev_b32_e32 v9, v9, v2
	v_bfe_u32 v2, v2, 2, 5
	s_delay_alu instid0(VALU_DEP_2) | instskip(NEXT) | instid1(VALU_DEP_2)
	v_and_b32_e32 v9, 3, v9
	v_cmp_eq_u32_e32 vcc_lo, 0, v2
	s_delay_alu instid0(VALU_DEP_2) | instskip(NEXT) | instid1(VALU_DEP_1)
	v_dual_cndmask_b32 v2, v2, v8 :: v_dual_cndmask_b32 v7, v7, v9
	v_lshl_add_u32 v2, v2, 23, 0x37800000
	s_delay_alu instid0(VALU_DEP_2) | instskip(NEXT) | instid1(VALU_DEP_1)
	v_lshlrev_b32_e32 v7, 21, v7
	v_or3_b32 v2, v3, v2, v7
.LBB256_174:
	s_or_b32 exec_lo, exec_lo, s9
	s_mov_b32 s0, 0
	s_branch .LBB256_180
.LBB256_175:
	s_mov_b32 s9, -1
                                        ; implicit-def: $vgpr2
	s_branch .LBB256_186
.LBB256_176:
	s_or_saveexec_b32 s14, s14
	v_mov_b32_e32 v2, s9
	s_xor_b32 exec_lo, exec_lo, s14
	s_cbranch_execz .LBB256_160
.LBB256_177:
	v_cmp_ne_u16_e32 vcc_lo, 0, v3
	v_mov_b32_e32 v2, 0
	s_and_not1_b32 s0, s0, exec_lo
	s_and_b32 s9, vcc_lo, exec_lo
	s_delay_alu instid0(SALU_CYCLE_1)
	s_or_b32 s0, s0, s9
	s_or_b32 exec_lo, exec_lo, s14
	s_and_saveexec_b32 s9, s0
	s_cbranch_execnz .LBB256_161
	s_branch .LBB256_162
.LBB256_178:
	s_mov_b32 s0, -1
                                        ; implicit-def: $vgpr2
	s_branch .LBB256_183
.LBB256_179:
	s_mov_b32 s0, -1
                                        ; implicit-def: $vgpr2
.LBB256_180:
	s_delay_alu instid0(SALU_CYCLE_1)
	s_and_b32 vcc_lo, exec_lo, s0
	s_cbranch_vccz .LBB256_182
; %bb.181:
	global_load_u8 v2, v[0:1], off
	s_waitcnt vmcnt(0)
	v_lshlrev_b32_e32 v2, 24, v2
	s_delay_alu instid0(VALU_DEP_1) | instskip(NEXT) | instid1(VALU_DEP_1)
	v_and_b32_e32 v3, 0x7f000000, v2
	v_clz_i32_u32_e32 v7, v3
	v_add_nc_u32_e32 v9, 0x1000000, v3
	v_cmp_ne_u32_e32 vcc_lo, 0, v3
	s_delay_alu instid0(VALU_DEP_3) | instskip(NEXT) | instid1(VALU_DEP_1)
	v_min_u32_e32 v7, 32, v7
	v_sub_nc_u32_e64 v7, v7, 4 clamp
	s_delay_alu instid0(VALU_DEP_1) | instskip(SKIP_1) | instid1(VALU_DEP_2)
	v_lshlrev_b32_e32 v8, v7, v3
	v_lshlrev_b32_e32 v7, 23, v7
	v_lshrrev_b32_e32 v8, 4, v8
	s_delay_alu instid0(VALU_DEP_1) | instskip(SKIP_1) | instid1(VALU_DEP_2)
	v_sub_nc_u32_e32 v7, v8, v7
	v_ashrrev_i32_e32 v8, 8, v9
	v_add_nc_u32_e32 v7, 0x3c000000, v7
	s_delay_alu instid0(VALU_DEP_1) | instskip(NEXT) | instid1(VALU_DEP_1)
	v_and_or_b32 v7, 0x7f800000, v8, v7
	v_cndmask_b32_e32 v3, 0, v7, vcc_lo
	s_delay_alu instid0(VALU_DEP_1)
	v_and_or_b32 v2, 0x80000000, v2, v3
.LBB256_182:
	s_mov_b32 s0, 0
.LBB256_183:
	s_delay_alu instid0(SALU_CYCLE_1)
	s_and_not1_b32 vcc_lo, exec_lo, s0
	s_cbranch_vccnz .LBB256_185
; %bb.184:
	global_load_u8 v2, v[0:1], off
	s_waitcnt vmcnt(0)
	v_lshlrev_b32_e32 v3, 25, v2
	v_lshlrev_b16 v2, 8, v2
	s_delay_alu instid0(VALU_DEP_1) | instskip(SKIP_1) | instid1(VALU_DEP_2)
	v_and_or_b32 v8, 0x7f00, v2, 0.5
	v_bfe_i32 v2, v2, 0, 16
	v_add_f32_e32 v8, -0.5, v8
	v_lshrrev_b32_e32 v7, 4, v3
	v_cmp_gt_u32_e32 vcc_lo, 0x8000000, v3
	s_delay_alu instid0(VALU_DEP_2) | instskip(NEXT) | instid1(VALU_DEP_1)
	v_or_b32_e32 v7, 0x70000000, v7
	v_mul_f32_e32 v7, 0x7800000, v7
	s_delay_alu instid0(VALU_DEP_1) | instskip(NEXT) | instid1(VALU_DEP_1)
	v_cndmask_b32_e32 v3, v7, v8, vcc_lo
	v_and_or_b32 v2, 0x80000000, v2, v3
.LBB256_185:
	s_mov_b32 s9, 0
	s_mov_b32 s0, -1
.LBB256_186:
	s_and_not1_b32 vcc_lo, exec_lo, s9
	s_cbranch_vccnz .LBB256_199
; %bb.187:
	v_cmp_lt_i16_e32 vcc_lo, 14, v6
	s_cbranch_vccz .LBB256_190
; %bb.188:
	v_cmp_eq_u16_e32 vcc_lo, 15, v6
	s_cbranch_vccz .LBB256_193
; %bb.189:
	global_load_u16 v2, v[0:1], off
	s_mov_b32 s0, -1
	s_mov_b32 s11, 0
	s_waitcnt vmcnt(0)
	v_lshlrev_b32_e32 v2, 16, v2
	s_branch .LBB256_194
.LBB256_190:
	s_mov_b32 s9, -1
                                        ; implicit-def: $vgpr2
	s_branch .LBB256_195
.LBB256_191:
	s_or_saveexec_b32 s14, s14
	v_mov_b32_e32 v2, s9
	s_xor_b32 exec_lo, exec_lo, s14
	s_cbranch_execz .LBB256_172
.LBB256_192:
	v_cmp_ne_u16_e32 vcc_lo, 0, v3
	v_mov_b32_e32 v2, 0
	s_and_not1_b32 s0, s0, exec_lo
	s_and_b32 s9, vcc_lo, exec_lo
	s_delay_alu instid0(SALU_CYCLE_1)
	s_or_b32 s0, s0, s9
	s_or_b32 exec_lo, exec_lo, s14
	s_and_saveexec_b32 s9, s0
	s_cbranch_execnz .LBB256_173
	s_branch .LBB256_174
.LBB256_193:
	s_mov_b32 s11, -1
                                        ; implicit-def: $vgpr2
.LBB256_194:
	s_mov_b32 s9, 0
.LBB256_195:
	s_delay_alu instid0(SALU_CYCLE_1)
	s_and_b32 vcc_lo, exec_lo, s9
	s_cbranch_vccz .LBB256_199
; %bb.196:
	v_cmp_eq_u16_e32 vcc_lo, 11, v6
	s_cbranch_vccz .LBB256_198
; %bb.197:
	global_load_u8 v2, v[0:1], off
	s_mov_b32 s11, 0
	s_mov_b32 s0, -1
	s_waitcnt vmcnt(0)
	v_cmp_ne_u16_e32 vcc_lo, 0, v2
	v_cndmask_b32_e64 v2, 0, 1.0, vcc_lo
	s_branch .LBB256_199
.LBB256_198:
	s_mov_b32 s11, -1
                                        ; implicit-def: $vgpr2
.LBB256_199:
	s_branch .LBB256_10
.LBB256_200:
	v_cmp_gt_i16_e32 vcc_lo, 5, v6
	s_cbranch_vccnz .LBB256_205
; %bb.201:
	v_cmp_gt_i16_e32 vcc_lo, 8, v6
	s_cbranch_vccnz .LBB256_206
; %bb.202:
	;; [unrolled: 3-line block ×3, first 2 shown]
	v_cmp_lt_i16_e32 vcc_lo, 9, v6
	s_cbranch_vccz .LBB256_208
; %bb.204:
	global_load_b64 v[2:3], v[0:1], off
	s_mov_b32 s0, 0
	s_waitcnt vmcnt(0)
	v_cvt_f32_f64_e32 v2, v[2:3]
	s_branch .LBB256_209
.LBB256_205:
                                        ; implicit-def: $vgpr2
	s_branch .LBB256_227
.LBB256_206:
	s_mov_b32 s0, -1
                                        ; implicit-def: $vgpr2
	s_branch .LBB256_215
.LBB256_207:
	s_mov_b32 s0, -1
                                        ; implicit-def: $vgpr2
	s_branch .LBB256_212
.LBB256_208:
	s_mov_b32 s0, -1
                                        ; implicit-def: $vgpr2
.LBB256_209:
	s_delay_alu instid0(SALU_CYCLE_1)
	s_and_not1_b32 vcc_lo, exec_lo, s0
	s_cbranch_vccnz .LBB256_211
; %bb.210:
	global_load_b32 v2, v[0:1], off
.LBB256_211:
	s_mov_b32 s0, 0
.LBB256_212:
	s_delay_alu instid0(SALU_CYCLE_1)
	s_and_not1_b32 vcc_lo, exec_lo, s0
	s_cbranch_vccnz .LBB256_214
; %bb.213:
	global_load_b32 v2, v[0:1], off
	s_waitcnt vmcnt(0)
	v_cvt_f32_f16_e32 v2, v2
.LBB256_214:
	s_mov_b32 s0, 0
.LBB256_215:
	s_delay_alu instid0(SALU_CYCLE_1)
	s_and_not1_b32 vcc_lo, exec_lo, s0
	s_cbranch_vccnz .LBB256_226
; %bb.216:
	v_cmp_gt_i16_e32 vcc_lo, 6, v6
	s_cbranch_vccnz .LBB256_219
; %bb.217:
	v_cmp_lt_i16_e32 vcc_lo, 6, v6
	s_cbranch_vccz .LBB256_220
; %bb.218:
	global_load_b64 v[2:3], v[0:1], off
	s_mov_b32 s0, 0
	s_waitcnt vmcnt(0)
	v_cvt_f32_f64_e32 v2, v[2:3]
	s_branch .LBB256_221
.LBB256_219:
	s_mov_b32 s0, -1
                                        ; implicit-def: $vgpr2
	s_branch .LBB256_224
.LBB256_220:
	s_mov_b32 s0, -1
                                        ; implicit-def: $vgpr2
.LBB256_221:
	s_delay_alu instid0(SALU_CYCLE_1)
	s_and_not1_b32 vcc_lo, exec_lo, s0
	s_cbranch_vccnz .LBB256_223
; %bb.222:
	global_load_b32 v2, v[0:1], off
.LBB256_223:
	s_mov_b32 s0, 0
.LBB256_224:
	s_delay_alu instid0(SALU_CYCLE_1)
	s_and_not1_b32 vcc_lo, exec_lo, s0
	s_cbranch_vccnz .LBB256_226
; %bb.225:
	global_load_u16 v2, v[0:1], off
	s_waitcnt vmcnt(0)
	v_cvt_f32_f16_e32 v2, v2
.LBB256_226:
	s_cbranch_execnz .LBB256_246
.LBB256_227:
	v_cmp_gt_i16_e32 vcc_lo, 2, v6
	s_cbranch_vccnz .LBB256_231
; %bb.228:
	v_cmp_gt_i16_e32 vcc_lo, 3, v6
	s_cbranch_vccnz .LBB256_232
; %bb.229:
	v_cmp_lt_i16_e32 vcc_lo, 3, v6
	s_cbranch_vccz .LBB256_233
; %bb.230:
	global_load_b64 v[2:3], v[0:1], off
	s_mov_b32 s0, 0
	s_waitcnt vmcnt(0)
	v_xor_b32_e32 v7, v2, v3
	v_cls_i32_e32 v8, v3
	s_delay_alu instid0(VALU_DEP_2) | instskip(NEXT) | instid1(VALU_DEP_2)
	v_ashrrev_i32_e32 v7, 31, v7
	v_add_nc_u32_e32 v8, -1, v8
	s_delay_alu instid0(VALU_DEP_2) | instskip(NEXT) | instid1(VALU_DEP_1)
	v_add_nc_u32_e32 v7, 32, v7
	v_min_u32_e32 v7, v8, v7
	s_delay_alu instid0(VALU_DEP_1) | instskip(NEXT) | instid1(VALU_DEP_1)
	v_lshlrev_b64 v[2:3], v7, v[2:3]
	v_min_u32_e32 v2, 1, v2
	s_delay_alu instid0(VALU_DEP_1) | instskip(SKIP_1) | instid1(VALU_DEP_2)
	v_or_b32_e32 v2, v3, v2
	v_sub_nc_u32_e32 v3, 32, v7
	v_cvt_f32_i32_e32 v2, v2
	s_delay_alu instid0(VALU_DEP_1)
	v_ldexp_f32 v2, v2, v3
	s_branch .LBB256_234
.LBB256_231:
	s_mov_b32 s0, -1
                                        ; implicit-def: $vgpr2
	s_branch .LBB256_240
.LBB256_232:
	s_mov_b32 s0, -1
                                        ; implicit-def: $vgpr2
	s_branch .LBB256_237
.LBB256_233:
	s_mov_b32 s0, -1
                                        ; implicit-def: $vgpr2
.LBB256_234:
	s_delay_alu instid0(SALU_CYCLE_1)
	s_and_not1_b32 vcc_lo, exec_lo, s0
	s_cbranch_vccnz .LBB256_236
; %bb.235:
	global_load_b32 v2, v[0:1], off
	s_waitcnt vmcnt(0)
	v_cvt_f32_i32_e32 v2, v2
.LBB256_236:
	s_mov_b32 s0, 0
.LBB256_237:
	s_delay_alu instid0(SALU_CYCLE_1)
	s_and_not1_b32 vcc_lo, exec_lo, s0
	s_cbranch_vccnz .LBB256_239
; %bb.238:
	global_load_i16 v2, v[0:1], off
	s_waitcnt vmcnt(0)
	v_cvt_f32_i32_e32 v2, v2
.LBB256_239:
	s_mov_b32 s0, 0
.LBB256_240:
	s_delay_alu instid0(SALU_CYCLE_1)
	s_and_not1_b32 vcc_lo, exec_lo, s0
	s_cbranch_vccnz .LBB256_246
; %bb.241:
	v_cmp_lt_i16_e32 vcc_lo, 0, v6
	s_mov_b32 s0, 0
	s_cbranch_vccz .LBB256_243
; %bb.242:
	global_load_i8 v2, v[0:1], off
	s_waitcnt vmcnt(0)
	v_cvt_f32_i32_e32 v2, v2
	s_branch .LBB256_244
.LBB256_243:
	s_mov_b32 s0, -1
                                        ; implicit-def: $vgpr2
.LBB256_244:
	s_delay_alu instid0(SALU_CYCLE_1)
	s_and_not1_b32 vcc_lo, exec_lo, s0
	s_cbranch_vccnz .LBB256_246
; %bb.245:
	global_load_u8 v0, v[0:1], off
	s_waitcnt vmcnt(0)
	v_cvt_f32_ubyte0_e32 v2, v0
.LBB256_246:
	s_branch .LBB256_11
.LBB256_247:
	s_mov_b32 s9, 0
.LBB256_248:
	s_mov_b32 s0, 0
                                        ; implicit-def: $vgpr5
.LBB256_249:
	s_and_b32 s9, s9, exec_lo
	s_and_b32 s11, s11, exec_lo
	s_or_not1_b32 s15, s0, exec_lo
.LBB256_250:
	s_or_b32 exec_lo, exec_lo, s12
	s_mov_b32 s14, 0
	s_mov_b32 s0, 0
                                        ; implicit-def: $vgpr0_vgpr1
                                        ; implicit-def: $vgpr3
	s_and_saveexec_b32 s12, s15
	s_cbranch_execz .LBB256_854
; %bb.251:
	s_mov_b32 s17, -1
	s_mov_b32 s13, s11
	s_mov_b32 s14, s9
	s_mov_b32 s15, exec_lo
	v_cmpx_gt_i32_e64 s10, v5
	s_cbranch_execz .LBB256_507
; %bb.252:
	v_mul_lo_u32 v0, v5, s3
	v_cmp_gt_i16_e32 vcc_lo, 11, v6
	s_delay_alu instid0(VALU_DEP_2) | instskip(SKIP_1) | instid1(VALU_DEP_1)
	v_ashrrev_i32_e32 v1, 31, v0
	v_add_co_u32 v0, s0, s6, v0
	v_add_co_ci_u32_e64 v1, s0, s7, v1, s0
	s_cbranch_vccnz .LBB256_259
; %bb.253:
	v_cmp_lt_i16_e32 vcc_lo, 25, v6
	s_cbranch_vccz .LBB256_308
; %bb.254:
	v_cmp_lt_i16_e32 vcc_lo, 28, v6
	s_cbranch_vccz .LBB256_309
	;; [unrolled: 3-line block ×4, first 2 shown]
; %bb.257:
	v_cmp_eq_u16_e32 vcc_lo, 46, v6
	s_mov_b32 s14, 0
	s_cbranch_vccz .LBB256_317
; %bb.258:
	global_load_b32 v2, v[0:1], off
	s_mov_b32 s0, -1
	s_mov_b32 s13, 0
	s_waitcnt vmcnt(0)
	v_lshlrev_b32_e32 v2, 16, v2
	s_branch .LBB256_319
.LBB256_259:
	s_mov_b32 s0, 0
	s_mov_b32 s13, s11
                                        ; implicit-def: $vgpr2
	s_cbranch_execnz .LBB256_456
.LBB256_260:
	s_and_not1_b32 vcc_lo, exec_lo, s0
	s_cbranch_vccnz .LBB256_504
.LBB256_261:
	s_waitcnt vmcnt(0)
	s_delay_alu instid0(VALU_DEP_1) | instskip(SKIP_3) | instid1(VALU_DEP_2)
	v_mul_f32_e32 v0, 0x4f800000, v2
	v_cmp_gt_f32_e32 vcc_lo, 0xf800000, v2
	s_mov_b32 s16, -1
	s_mov_b32 s14, 0
	v_cndmask_b32_e32 v2, v2, v0, vcc_lo
	s_delay_alu instid0(VALU_DEP_1) | instskip(SKIP_3) | instid1(VALU_DEP_2)
	v_sqrt_f32_e32 v0, v2
	s_waitcnt_depctr 0xfff
	v_add_nc_u32_e32 v1, -1, v0
	v_add_nc_u32_e32 v3, 1, v0
	v_fma_f32 v7, -v1, v0, v2
	s_delay_alu instid0(VALU_DEP_2) | instskip(NEXT) | instid1(VALU_DEP_2)
	v_fma_f32 v8, -v3, v0, v2
	v_cmp_ge_f32_e64 s0, 0, v7
	v_and_b32_e32 v7, 0xff, v4
	s_delay_alu instid0(VALU_DEP_2) | instskip(NEXT) | instid1(VALU_DEP_4)
	v_cndmask_b32_e64 v0, v0, v1, s0
	v_cmp_lt_f32_e64 s0, 0, v8
	v_mul_lo_u32 v1, v5, s2
	s_delay_alu instid0(VALU_DEP_2) | instskip(SKIP_1) | instid1(VALU_DEP_3)
	v_cndmask_b32_e64 v0, v0, v3, s0
	v_cmp_gt_i16_e64 s0, 11, v7
	v_ashrrev_i32_e32 v8, 31, v1
	s_delay_alu instid0(VALU_DEP_3) | instskip(NEXT) | instid1(VALU_DEP_1)
	v_mul_f32_e32 v3, 0x37800000, v0
	v_cndmask_b32_e32 v3, v0, v3, vcc_lo
	v_add_co_u32 v0, vcc_lo, s4, v1
	s_delay_alu instid0(VALU_DEP_4) | instskip(SKIP_1) | instid1(VALU_DEP_4)
	v_add_co_ci_u32_e32 v1, vcc_lo, s5, v8, vcc_lo
	v_cmp_class_f32_e64 vcc_lo, v2, 0x260
	v_cndmask_b32_e32 v2, v3, v2, vcc_lo
	s_and_b32 vcc_lo, exec_lo, s0
	s_mov_b32 s0, s9
	s_cbranch_vccnz .LBB256_268
; %bb.262:
	v_cmp_lt_i16_e32 vcc_lo, 25, v7
	s_cbranch_vccz .LBB256_310
; %bb.263:
	v_cmp_lt_i16_e32 vcc_lo, 28, v7
	s_cbranch_vccz .LBB256_312
	;; [unrolled: 3-line block ×4, first 2 shown]
; %bb.266:
	v_cmp_eq_u16_e32 vcc_lo, 46, v7
	s_mov_b32 s16, 0
	s_mov_b32 s0, -1
	s_cbranch_vccz .LBB256_323
; %bb.267:
	v_bfe_u32 v3, v2, 16, 1
	v_cmp_o_f32_e32 vcc_lo, v2, v2
	s_mov_b32 s14, -1
	s_mov_b32 s0, 0
	s_delay_alu instid0(VALU_DEP_2) | instskip(NEXT) | instid1(VALU_DEP_1)
	v_add3_u32 v3, v2, v3, 0x7fff
	v_lshrrev_b32_e32 v3, 16, v3
	s_delay_alu instid0(VALU_DEP_1)
	v_cndmask_b32_e32 v3, 0x7fc0, v3, vcc_lo
	global_store_b32 v[0:1], v3, off
	s_branch .LBB256_323
.LBB256_268:
	s_and_b32 vcc_lo, exec_lo, s16
	s_cbranch_vccz .LBB256_392
; %bb.269:
	v_cmp_gt_i16_e32 vcc_lo, 5, v7
	s_mov_b32 s14, -1
	s_cbranch_vccnz .LBB256_290
; %bb.270:
	v_cmp_gt_i16_e32 vcc_lo, 8, v7
	s_cbranch_vccnz .LBB256_280
; %bb.271:
	v_cmp_gt_i16_e32 vcc_lo, 9, v7
	s_cbranch_vccnz .LBB256_277
; %bb.272:
	v_cmp_lt_i16_e32 vcc_lo, 9, v7
	s_cbranch_vccz .LBB256_274
; %bb.273:
	v_cvt_f64_f32_e32 v[8:9], v2
	v_mov_b32_e32 v10, 0
	s_mov_b32 s14, 0
	s_delay_alu instid0(VALU_DEP_1)
	v_mov_b32_e32 v11, v10
	global_store_b128 v[0:1], v[8:11], off
.LBB256_274:
	s_and_not1_b32 vcc_lo, exec_lo, s14
	s_cbranch_vccnz .LBB256_276
; %bb.275:
	v_mov_b32_e32 v3, 0
	global_store_b64 v[0:1], v[2:3], off
.LBB256_276:
	s_mov_b32 s14, 0
.LBB256_277:
	s_delay_alu instid0(SALU_CYCLE_1)
	s_and_not1_b32 vcc_lo, exec_lo, s14
	s_cbranch_vccnz .LBB256_279
; %bb.278:
	v_cvt_f16_f32_e32 v3, v2
	s_delay_alu instid0(VALU_DEP_1)
	v_and_b32_e32 v3, 0xffff, v3
	global_store_b32 v[0:1], v3, off
.LBB256_279:
	s_mov_b32 s14, 0
.LBB256_280:
	s_delay_alu instid0(SALU_CYCLE_1)
	s_and_not1_b32 vcc_lo, exec_lo, s14
	s_cbranch_vccnz .LBB256_289
; %bb.281:
	v_cmp_gt_i16_e32 vcc_lo, 6, v7
	s_mov_b32 s14, -1
	s_cbranch_vccnz .LBB256_287
; %bb.282:
	v_cmp_lt_i16_e32 vcc_lo, 6, v7
	s_cbranch_vccz .LBB256_284
; %bb.283:
	v_cvt_f64_f32_e32 v[8:9], v2
	s_mov_b32 s14, 0
	global_store_b64 v[0:1], v[8:9], off
.LBB256_284:
	s_and_not1_b32 vcc_lo, exec_lo, s14
	s_cbranch_vccnz .LBB256_286
; %bb.285:
	global_store_b32 v[0:1], v2, off
.LBB256_286:
	s_mov_b32 s14, 0
.LBB256_287:
	s_delay_alu instid0(SALU_CYCLE_1)
	s_and_not1_b32 vcc_lo, exec_lo, s14
	s_cbranch_vccnz .LBB256_289
; %bb.288:
	v_cvt_f16_f32_e32 v3, v2
	global_store_b16 v[0:1], v3, off
.LBB256_289:
	s_mov_b32 s14, 0
.LBB256_290:
	s_delay_alu instid0(SALU_CYCLE_1)
	s_and_not1_b32 vcc_lo, exec_lo, s14
	s_cbranch_vccnz .LBB256_306
; %bb.291:
	v_cmp_gt_i16_e32 vcc_lo, 2, v7
	s_mov_b32 s14, -1
	s_cbranch_vccnz .LBB256_301
; %bb.292:
	v_cmp_gt_i16_e32 vcc_lo, 3, v7
	s_cbranch_vccnz .LBB256_298
; %bb.293:
	v_cmp_lt_i16_e32 vcc_lo, 3, v7
	s_cbranch_vccz .LBB256_295
; %bb.294:
	v_trunc_f32_e32 v3, v2
	s_mov_b32 s14, 0
	s_delay_alu instid0(VALU_DEP_1) | instskip(NEXT) | instid1(VALU_DEP_1)
	v_mul_f32_e64 v8, 0x2f800000, |v3|
	v_floor_f32_e32 v8, v8
	s_delay_alu instid0(VALU_DEP_1) | instskip(SKIP_2) | instid1(VALU_DEP_3)
	v_fma_f32 v9, 0xcf800000, v8, |v3|
	v_ashrrev_i32_e32 v3, 31, v3
	v_cvt_u32_f32_e32 v8, v8
	v_cvt_u32_f32_e32 v9, v9
	s_delay_alu instid0(VALU_DEP_2) | instskip(NEXT) | instid1(VALU_DEP_2)
	v_xor_b32_e32 v10, v8, v3
	v_xor_b32_e32 v9, v9, v3
	s_delay_alu instid0(VALU_DEP_1) | instskip(NEXT) | instid1(VALU_DEP_3)
	v_sub_co_u32 v8, vcc_lo, v9, v3
	v_sub_co_ci_u32_e32 v9, vcc_lo, v10, v3, vcc_lo
	global_store_b64 v[0:1], v[8:9], off
.LBB256_295:
	s_and_not1_b32 vcc_lo, exec_lo, s14
	s_cbranch_vccnz .LBB256_297
; %bb.296:
	v_cvt_i32_f32_e32 v3, v2
	global_store_b32 v[0:1], v3, off
.LBB256_297:
	s_mov_b32 s14, 0
.LBB256_298:
	s_delay_alu instid0(SALU_CYCLE_1)
	s_and_not1_b32 vcc_lo, exec_lo, s14
	s_cbranch_vccnz .LBB256_300
; %bb.299:
	v_cvt_i32_f32_e32 v3, v2
	global_store_b16 v[0:1], v3, off
.LBB256_300:
	s_mov_b32 s14, 0
.LBB256_301:
	s_delay_alu instid0(SALU_CYCLE_1)
	s_and_not1_b32 vcc_lo, exec_lo, s14
	s_cbranch_vccnz .LBB256_306
; %bb.302:
	v_cmp_lt_i16_e32 vcc_lo, 0, v7
	s_mov_b32 s14, -1
	s_cbranch_vccz .LBB256_304
; %bb.303:
	v_cvt_i32_f32_e32 v3, v2
	s_mov_b32 s14, 0
	global_store_b8 v[0:1], v3, off
.LBB256_304:
	s_and_not1_b32 vcc_lo, exec_lo, s14
	s_cbranch_vccnz .LBB256_306
; %bb.305:
	v_trunc_f32_e32 v2, v2
	s_delay_alu instid0(VALU_DEP_1) | instskip(NEXT) | instid1(VALU_DEP_1)
	v_mul_f32_e64 v3, 0x2f800000, |v2|
	v_floor_f32_e32 v3, v3
	s_delay_alu instid0(VALU_DEP_1) | instskip(SKIP_1) | instid1(VALU_DEP_2)
	v_fma_f32 v3, 0xcf800000, v3, |v2|
	v_ashrrev_i32_e32 v2, 31, v2
	v_cvt_u32_f32_e32 v3, v3
	s_delay_alu instid0(VALU_DEP_1) | instskip(NEXT) | instid1(VALU_DEP_1)
	v_xor_b32_e32 v3, v3, v2
	v_sub_nc_u32_e32 v2, v3, v2
	global_store_b8 v[0:1], v2, off
.LBB256_306:
	s_branch .LBB256_393
.LBB256_307:
	s_mov_b32 s16, 0
	s_branch .LBB256_505
.LBB256_308:
	s_mov_b32 s14, -1
	s_mov_b32 s0, 0
	s_mov_b32 s13, s11
                                        ; implicit-def: $vgpr2
	s_branch .LBB256_420
.LBB256_309:
	s_mov_b32 s14, -1
	s_mov_b32 s0, 0
	s_mov_b32 s13, s11
                                        ; implicit-def: $vgpr2
	s_branch .LBB256_401
.LBB256_310:
	s_mov_b32 s0, s9
	s_branch .LBB256_350
.LBB256_311:
	s_mov_b32 s14, -1
	s_mov_b32 s0, 0
	s_mov_b32 s13, s11
                                        ; implicit-def: $vgpr2
	s_branch .LBB256_396
.LBB256_312:
	s_mov_b32 s0, s9
	s_branch .LBB256_333
.LBB256_313:
	s_mov_b32 s14, -1
	s_mov_b32 s0, 0
	s_mov_b32 s13, s11
	s_branch .LBB256_318
.LBB256_314:
	s_mov_b32 s0, s9
	s_branch .LBB256_329
.LBB256_315:
	s_or_saveexec_b32 s15, s15
                                        ; implicit-def: $sgpr16
	s_delay_alu instid0(SALU_CYCLE_1)
	s_xor_b32 exec_lo, exec_lo, s15
	s_cbranch_execz .LBB256_52
.LBB256_316:
	v_add_f32_e64 v3, 0x42800000, |v2|
	s_and_not1_b32 s14, s14, exec_lo
	s_mov_b32 s16, 0
	s_delay_alu instid0(VALU_DEP_1) | instskip(NEXT) | instid1(VALU_DEP_1)
	v_and_b32_e32 v3, 0xff, v3
	v_cmp_ne_u32_e32 vcc_lo, 0, v3
	s_and_b32 s17, vcc_lo, exec_lo
	s_delay_alu instid0(SALU_CYCLE_1)
	s_or_b32 s14, s14, s17
	s_or_b32 exec_lo, exec_lo, s15
	v_mov_b32_e32 v8, s16
	s_and_saveexec_b32 s15, s14
	s_cbranch_execnz .LBB256_53
	s_branch .LBB256_54
.LBB256_317:
	s_mov_b32 s13, -1
	s_mov_b32 s0, 0
.LBB256_318:
                                        ; implicit-def: $vgpr2
.LBB256_319:
	s_and_b32 vcc_lo, exec_lo, s14
	s_cbranch_vccz .LBB256_395
; %bb.320:
	v_cmp_eq_u16_e32 vcc_lo, 44, v6
	s_cbranch_vccz .LBB256_394
; %bb.321:
	global_load_u8 v2, v[0:1], off
	s_mov_b32 s13, 0
	s_mov_b32 s0, -1
	s_waitcnt vmcnt(0)
	v_lshlrev_b32_e32 v3, 23, v2
	v_cmp_ne_u32_e32 vcc_lo, 0xff, v2
	s_delay_alu instid0(VALU_DEP_2) | instskip(SKIP_1) | instid1(VALU_DEP_2)
	v_cndmask_b32_e32 v3, 0x7f800001, v3, vcc_lo
	v_cmp_ne_u32_e32 vcc_lo, 0, v2
	v_cndmask_b32_e32 v2, 0x400000, v3, vcc_lo
	s_branch .LBB256_395
.LBB256_322:
	s_mov_b32 s0, s9
.LBB256_323:
	s_and_b32 vcc_lo, exec_lo, s16
	s_cbranch_vccz .LBB256_328
; %bb.324:
	v_cmp_eq_u16_e32 vcc_lo, 44, v7
	s_mov_b32 s0, -1
	s_cbranch_vccz .LBB256_328
; %bb.325:
	v_bfe_u32 v8, v2, 23, 8
	v_mov_b32_e32 v3, 0xff
	s_mov_b32 s14, exec_lo
	s_delay_alu instid0(VALU_DEP_2)
	v_cmpx_ne_u32_e32 0xff, v8
; %bb.326:
	v_and_b32_e32 v3, 0x400000, v2
	v_and_or_b32 v8, 0x3fffff, v2, v8
	s_delay_alu instid0(VALU_DEP_2) | instskip(NEXT) | instid1(VALU_DEP_2)
	v_cmp_ne_u32_e32 vcc_lo, 0, v3
	v_cmp_ne_u32_e64 s0, 0, v8
	v_lshrrev_b32_e32 v3, 23, v2
	s_delay_alu instid0(VALU_DEP_2) | instskip(NEXT) | instid1(SALU_CYCLE_1)
	s_and_b32 s0, vcc_lo, s0
	v_cndmask_b32_e64 v8, 0, 1, s0
	s_delay_alu instid0(VALU_DEP_1)
	v_add_nc_u32_e32 v3, v3, v8
; %bb.327:
	s_or_b32 exec_lo, exec_lo, s14
	s_mov_b32 s14, -1
	s_mov_b32 s0, 0
	global_store_b8 v[0:1], v3, off
.LBB256_328:
	s_mov_b32 s16, 0
.LBB256_329:
	s_delay_alu instid0(SALU_CYCLE_1)
	s_and_b32 vcc_lo, exec_lo, s16
	s_cbranch_vccz .LBB256_332
; %bb.330:
	v_cmp_eq_u16_e32 vcc_lo, 29, v7
	s_mov_b32 s0, -1
	s_cbranch_vccz .LBB256_332
; %bb.331:
	v_trunc_f32_e32 v3, v2
	s_mov_b32 s14, -1
	s_mov_b32 s0, 0
	s_mov_b32 s16, 0
	s_delay_alu instid0(VALU_DEP_1) | instskip(NEXT) | instid1(VALU_DEP_1)
	v_mul_f32_e32 v8, 0x2f800000, v3
	v_floor_f32_e32 v8, v8
	s_delay_alu instid0(VALU_DEP_1) | instskip(SKIP_1) | instid1(VALU_DEP_2)
	v_fmamk_f32 v3, v8, 0xcf800000, v3
	v_cvt_u32_f32_e32 v9, v8
	v_cvt_u32_f32_e32 v8, v3
	global_store_b64 v[0:1], v[8:9], off
	s_branch .LBB256_333
.LBB256_332:
	s_mov_b32 s16, 0
.LBB256_333:
	s_delay_alu instid0(SALU_CYCLE_1)
	s_and_b32 vcc_lo, exec_lo, s16
	s_cbranch_vccz .LBB256_349
; %bb.334:
	v_cmp_gt_i16_e32 vcc_lo, 27, v7
	s_mov_b32 s14, -1
	s_cbranch_vccnz .LBB256_340
; %bb.335:
	v_cmp_lt_i16_e32 vcc_lo, 27, v7
	s_cbranch_vccz .LBB256_337
; %bb.336:
	v_cvt_u32_f32_e32 v3, v2
	s_mov_b32 s14, 0
	global_store_b32 v[0:1], v3, off
.LBB256_337:
	s_and_not1_b32 vcc_lo, exec_lo, s14
	s_cbranch_vccnz .LBB256_339
; %bb.338:
	v_cvt_u32_f32_e32 v3, v2
	global_store_b16 v[0:1], v3, off
.LBB256_339:
	s_mov_b32 s14, 0
.LBB256_340:
	s_delay_alu instid0(SALU_CYCLE_1)
	s_and_not1_b32 vcc_lo, exec_lo, s14
	s_cbranch_vccnz .LBB256_348
; %bb.341:
	v_and_b32_e32 v3, 0x7fffffff, v2
	v_mov_b32_e32 v8, 0x80
	s_mov_b32 s14, exec_lo
	s_delay_alu instid0(VALU_DEP_2)
	v_cmpx_gt_u32_e32 0x43800000, v3
	s_cbranch_execz .LBB256_347
; %bb.342:
	v_cmp_lt_u32_e32 vcc_lo, 0x3bffffff, v3
	s_mov_b32 s16, 0
                                        ; implicit-def: $vgpr3
	s_and_saveexec_b32 s17, vcc_lo
	s_delay_alu instid0(SALU_CYCLE_1)
	s_xor_b32 s17, exec_lo, s17
	s_cbranch_execz .LBB256_520
; %bb.343:
	v_bfe_u32 v3, v2, 20, 1
	s_mov_b32 s16, exec_lo
	s_delay_alu instid0(VALU_DEP_1) | instskip(NEXT) | instid1(VALU_DEP_1)
	v_add3_u32 v3, v2, v3, 0x487ffff
	v_lshrrev_b32_e32 v3, 20, v3
	s_or_saveexec_b32 s17, s17
                                        ; implicit-def: $sgpr18
	s_delay_alu instid0(SALU_CYCLE_1)
	s_xor_b32 exec_lo, exec_lo, s17
	s_cbranch_execnz .LBB256_521
.LBB256_344:
	s_or_b32 exec_lo, exec_lo, s17
	v_mov_b32_e32 v8, s18
	s_and_saveexec_b32 s17, s16
.LBB256_345:
	v_lshrrev_b32_e32 v8, 24, v2
	s_delay_alu instid0(VALU_DEP_1)
	v_and_or_b32 v8, 0x80, v8, v3
.LBB256_346:
	s_or_b32 exec_lo, exec_lo, s17
.LBB256_347:
	s_delay_alu instid0(SALU_CYCLE_1)
	s_or_b32 exec_lo, exec_lo, s14
	global_store_b8 v[0:1], v8, off
.LBB256_348:
	s_mov_b32 s14, -1
.LBB256_349:
	s_mov_b32 s16, 0
.LBB256_350:
	s_delay_alu instid0(SALU_CYCLE_1)
	s_and_b32 vcc_lo, exec_lo, s16
	s_cbranch_vccz .LBB256_391
; %bb.351:
	v_cmp_lt_i16_e32 vcc_lo, 22, v7
	s_mov_b32 s16, -1
	s_cbranch_vccz .LBB256_383
; %bb.352:
	v_cmp_gt_i16_e32 vcc_lo, 24, v7
	s_mov_b32 s14, -1
	s_cbranch_vccnz .LBB256_372
; %bb.353:
	v_cmp_lt_i16_e32 vcc_lo, 24, v7
	s_cbranch_vccz .LBB256_361
; %bb.354:
	v_and_b32_e32 v3, 0x7fffffff, v2
	v_mov_b32_e32 v8, 0x80
	s_mov_b32 s14, exec_lo
	s_delay_alu instid0(VALU_DEP_2)
	v_cmpx_gt_u32_e32 0x47800000, v3
	s_cbranch_execz .LBB256_360
; %bb.355:
	v_cmp_lt_u32_e32 vcc_lo, 0x37ffffff, v3
	s_mov_b32 s16, 0
                                        ; implicit-def: $vgpr3
	s_and_saveexec_b32 s17, vcc_lo
	s_delay_alu instid0(SALU_CYCLE_1)
	s_xor_b32 s17, exec_lo, s17
	s_cbranch_execz .LBB256_523
; %bb.356:
	v_bfe_u32 v3, v2, 21, 1
	s_mov_b32 s16, exec_lo
	s_delay_alu instid0(VALU_DEP_1) | instskip(NEXT) | instid1(VALU_DEP_1)
	v_add3_u32 v3, v2, v3, 0x88fffff
	v_lshrrev_b32_e32 v3, 21, v3
	s_or_saveexec_b32 s17, s17
                                        ; implicit-def: $sgpr18
	s_delay_alu instid0(SALU_CYCLE_1)
	s_xor_b32 exec_lo, exec_lo, s17
	s_cbranch_execnz .LBB256_524
.LBB256_357:
	s_or_b32 exec_lo, exec_lo, s17
	v_mov_b32_e32 v8, s18
	s_and_saveexec_b32 s17, s16
.LBB256_358:
	v_lshrrev_b32_e32 v8, 24, v2
	s_delay_alu instid0(VALU_DEP_1)
	v_and_or_b32 v8, 0x80, v8, v3
.LBB256_359:
	s_or_b32 exec_lo, exec_lo, s17
.LBB256_360:
	s_delay_alu instid0(SALU_CYCLE_1)
	s_or_b32 exec_lo, exec_lo, s14
	s_mov_b32 s14, 0
	global_store_b8 v[0:1], v8, off
.LBB256_361:
	s_and_b32 vcc_lo, exec_lo, s14
	s_cbranch_vccz .LBB256_371
; %bb.362:
	v_and_b32_e32 v8, 0x7fffffff, v2
	s_mov_b32 s14, exec_lo
                                        ; implicit-def: $vgpr3
	s_delay_alu instid0(VALU_DEP_1)
	v_cmpx_gt_u32_e32 0x43f00000, v8
	s_xor_b32 s14, exec_lo, s14
	s_cbranch_execz .LBB256_368
; %bb.363:
	s_mov_b32 s16, exec_lo
                                        ; implicit-def: $vgpr3
	v_cmpx_lt_u32_e32 0x3c7fffff, v8
	s_xor_b32 s16, exec_lo, s16
; %bb.364:
	v_bfe_u32 v3, v2, 20, 1
	s_delay_alu instid0(VALU_DEP_1) | instskip(NEXT) | instid1(VALU_DEP_1)
	v_add3_u32 v3, v2, v3, 0x407ffff
	v_and_b32_e32 v8, 0xff00000, v3
	v_lshrrev_b32_e32 v3, 20, v3
	s_delay_alu instid0(VALU_DEP_2) | instskip(NEXT) | instid1(VALU_DEP_2)
	v_cmp_ne_u32_e32 vcc_lo, 0x7f00000, v8
	v_cndmask_b32_e32 v3, 0x7e, v3, vcc_lo
; %bb.365:
	s_and_not1_saveexec_b32 s16, s16
; %bb.366:
	v_add_f32_e64 v3, 0x46800000, |v2|
; %bb.367:
	s_or_b32 exec_lo, exec_lo, s16
                                        ; implicit-def: $vgpr8
.LBB256_368:
	s_and_not1_saveexec_b32 s14, s14
; %bb.369:
	v_mov_b32_e32 v3, 0x7f
	v_cmp_lt_u32_e32 vcc_lo, 0x7f800000, v8
	s_delay_alu instid0(VALU_DEP_2)
	v_cndmask_b32_e32 v3, 0x7e, v3, vcc_lo
; %bb.370:
	s_or_b32 exec_lo, exec_lo, s14
	v_lshrrev_b32_e32 v8, 24, v2
	s_delay_alu instid0(VALU_DEP_1)
	v_and_or_b32 v3, 0x80, v8, v3
	global_store_b8 v[0:1], v3, off
.LBB256_371:
	s_mov_b32 s14, 0
.LBB256_372:
	s_delay_alu instid0(SALU_CYCLE_1)
	s_and_not1_b32 vcc_lo, exec_lo, s14
	s_cbranch_vccnz .LBB256_382
; %bb.373:
	v_and_b32_e32 v8, 0x7fffffff, v2
	s_mov_b32 s14, exec_lo
                                        ; implicit-def: $vgpr3
	s_delay_alu instid0(VALU_DEP_1)
	v_cmpx_gt_u32_e32 0x47800000, v8
	s_xor_b32 s14, exec_lo, s14
	s_cbranch_execz .LBB256_379
; %bb.374:
	s_mov_b32 s16, exec_lo
                                        ; implicit-def: $vgpr3
	v_cmpx_lt_u32_e32 0x387fffff, v8
	s_xor_b32 s16, exec_lo, s16
; %bb.375:
	v_bfe_u32 v3, v2, 21, 1
	s_delay_alu instid0(VALU_DEP_1) | instskip(NEXT) | instid1(VALU_DEP_1)
	v_add3_u32 v3, v2, v3, 0x80fffff
	v_lshrrev_b32_e32 v3, 21, v3
; %bb.376:
	s_and_not1_saveexec_b32 s16, s16
; %bb.377:
	v_add_f32_e64 v3, 0x43000000, |v2|
; %bb.378:
	s_or_b32 exec_lo, exec_lo, s16
                                        ; implicit-def: $vgpr8
.LBB256_379:
	s_and_not1_saveexec_b32 s14, s14
; %bb.380:
	v_mov_b32_e32 v3, 0x7f
	v_cmp_lt_u32_e32 vcc_lo, 0x7f800000, v8
	s_delay_alu instid0(VALU_DEP_2)
	v_cndmask_b32_e32 v3, 0x7c, v3, vcc_lo
; %bb.381:
	s_or_b32 exec_lo, exec_lo, s14
	v_lshrrev_b32_e32 v8, 24, v2
	s_delay_alu instid0(VALU_DEP_1)
	v_and_or_b32 v3, 0x80, v8, v3
	global_store_b8 v[0:1], v3, off
.LBB256_382:
	s_mov_b32 s16, 0
	s_mov_b32 s14, -1
.LBB256_383:
	s_and_not1_b32 vcc_lo, exec_lo, s16
	s_cbranch_vccnz .LBB256_391
; %bb.384:
	v_cmp_lt_i16_e32 vcc_lo, 14, v7
	s_mov_b32 s16, -1
	s_cbranch_vccz .LBB256_388
; %bb.385:
	v_cmp_eq_u16_e32 vcc_lo, 15, v7
	s_mov_b32 s0, -1
	s_cbranch_vccz .LBB256_387
; %bb.386:
	v_bfe_u32 v3, v2, 16, 1
	v_cmp_o_f32_e32 vcc_lo, v2, v2
	s_mov_b32 s14, -1
	s_mov_b32 s0, 0
	s_delay_alu instid0(VALU_DEP_2) | instskip(NEXT) | instid1(VALU_DEP_1)
	v_add3_u32 v3, v2, v3, 0x7fff
	v_lshrrev_b32_e32 v3, 16, v3
	s_delay_alu instid0(VALU_DEP_1)
	v_cndmask_b32_e32 v3, 0x7fc0, v3, vcc_lo
	global_store_b16 v[0:1], v3, off
.LBB256_387:
	s_mov_b32 s16, 0
.LBB256_388:
	s_delay_alu instid0(SALU_CYCLE_1)
	s_and_b32 vcc_lo, exec_lo, s16
	s_cbranch_vccz .LBB256_391
; %bb.389:
	v_cmp_eq_u16_e32 vcc_lo, 11, v7
	s_mov_b32 s0, -1
	s_cbranch_vccz .LBB256_391
; %bb.390:
	v_cmp_neq_f32_e32 vcc_lo, 0, v2
	s_mov_b32 s0, 0
	s_mov_b32 s14, -1
	v_cndmask_b32_e64 v3, 0, 1, vcc_lo
	global_store_b8 v[0:1], v3, off
.LBB256_391:
.LBB256_392:
	s_and_not1_b32 vcc_lo, exec_lo, s14
	s_cbranch_vccnz .LBB256_307
.LBB256_393:
	v_add_nc_u32_e32 v5, 0x80, v5
	s_mov_b32 s16, -1
	s_branch .LBB256_506
.LBB256_394:
	s_mov_b32 s13, -1
                                        ; implicit-def: $vgpr2
.LBB256_395:
	s_mov_b32 s14, 0
.LBB256_396:
	s_delay_alu instid0(SALU_CYCLE_1)
	s_and_b32 vcc_lo, exec_lo, s14
	s_cbranch_vccz .LBB256_400
; %bb.397:
	v_cmp_eq_u16_e32 vcc_lo, 29, v6
	s_cbranch_vccz .LBB256_399
; %bb.398:
	global_load_b64 v[2:3], v[0:1], off
	s_mov_b32 s0, -1
	s_mov_b32 s13, 0
	s_mov_b32 s14, 0
	s_waitcnt vmcnt(0)
	v_clz_i32_u32_e32 v7, v3
	s_delay_alu instid0(VALU_DEP_1) | instskip(NEXT) | instid1(VALU_DEP_1)
	v_min_u32_e32 v7, 32, v7
	v_lshlrev_b64 v[2:3], v7, v[2:3]
	s_delay_alu instid0(VALU_DEP_1) | instskip(NEXT) | instid1(VALU_DEP_1)
	v_min_u32_e32 v2, 1, v2
	v_or_b32_e32 v2, v3, v2
	v_sub_nc_u32_e32 v3, 32, v7
	s_delay_alu instid0(VALU_DEP_2) | instskip(NEXT) | instid1(VALU_DEP_1)
	v_cvt_f32_u32_e32 v2, v2
	v_ldexp_f32 v2, v2, v3
	s_branch .LBB256_401
.LBB256_399:
	s_mov_b32 s13, -1
                                        ; implicit-def: $vgpr2
.LBB256_400:
	s_mov_b32 s14, 0
.LBB256_401:
	s_delay_alu instid0(SALU_CYCLE_1)
	s_and_b32 vcc_lo, exec_lo, s14
	s_cbranch_vccz .LBB256_419
; %bb.402:
	v_cmp_gt_i16_e32 vcc_lo, 27, v6
	s_cbranch_vccnz .LBB256_405
; %bb.403:
	v_cmp_lt_i16_e32 vcc_lo, 27, v6
	s_cbranch_vccz .LBB256_406
; %bb.404:
	global_load_b32 v2, v[0:1], off
	s_mov_b32 s0, 0
	s_waitcnt vmcnt(0)
	v_cvt_f32_u32_e32 v2, v2
	s_branch .LBB256_407
.LBB256_405:
	s_mov_b32 s0, -1
                                        ; implicit-def: $vgpr2
	s_branch .LBB256_410
.LBB256_406:
	s_mov_b32 s0, -1
                                        ; implicit-def: $vgpr2
.LBB256_407:
	s_delay_alu instid0(SALU_CYCLE_1)
	s_and_not1_b32 vcc_lo, exec_lo, s0
	s_cbranch_vccnz .LBB256_409
; %bb.408:
	global_load_u16 v2, v[0:1], off
	s_waitcnt vmcnt(0)
	v_cvt_f32_u32_e32 v2, v2
.LBB256_409:
	s_mov_b32 s0, 0
.LBB256_410:
	s_delay_alu instid0(SALU_CYCLE_1)
	s_and_not1_b32 vcc_lo, exec_lo, s0
	s_cbranch_vccnz .LBB256_418
; %bb.411:
	global_load_u8 v3, v[0:1], off
	s_mov_b32 s0, 0
	s_mov_b32 s16, exec_lo
                                        ; implicit-def: $sgpr14
	s_waitcnt vmcnt(0)
	v_cmpx_lt_i16_e32 0x7f, v3
	s_xor_b32 s16, exec_lo, s16
	s_cbranch_execz .LBB256_432
; %bb.412:
	s_mov_b32 s0, -1
	s_mov_b32 s17, exec_lo
                                        ; implicit-def: $sgpr14
	v_cmpx_eq_u16_e32 0x80, v3
; %bb.413:
	s_mov_b32 s14, 0x7f800001
	s_xor_b32 s0, exec_lo, -1
; %bb.414:
	s_or_b32 exec_lo, exec_lo, s17
	s_delay_alu instid0(SALU_CYCLE_1)
	s_and_b32 s0, s0, exec_lo
	s_or_saveexec_b32 s16, s16
	v_mov_b32_e32 v2, s14
	s_xor_b32 exec_lo, exec_lo, s16
	s_cbranch_execnz .LBB256_433
.LBB256_415:
	s_or_b32 exec_lo, exec_lo, s16
	s_and_saveexec_b32 s14, s0
	s_cbranch_execz .LBB256_417
.LBB256_416:
	v_and_b32_e32 v2, 0xffff, v3
	v_lshlrev_b32_e32 v3, 24, v3
	s_delay_alu instid0(VALU_DEP_2) | instskip(NEXT) | instid1(VALU_DEP_2)
	v_and_b32_e32 v7, 7, v2
	v_and_b32_e32 v3, 0x80000000, v3
	s_delay_alu instid0(VALU_DEP_2) | instskip(NEXT) | instid1(VALU_DEP_1)
	v_clz_i32_u32_e32 v8, v7
	v_min_u32_e32 v8, 32, v8
	s_delay_alu instid0(VALU_DEP_1) | instskip(SKIP_1) | instid1(VALU_DEP_2)
	v_subrev_nc_u32_e32 v9, 28, v8
	v_sub_nc_u32_e32 v8, 29, v8
	v_lshlrev_b32_e32 v9, v9, v2
	v_bfe_u32 v2, v2, 3, 4
	s_delay_alu instid0(VALU_DEP_2) | instskip(NEXT) | instid1(VALU_DEP_2)
	v_and_b32_e32 v9, 7, v9
	v_cmp_eq_u32_e32 vcc_lo, 0, v2
	s_delay_alu instid0(VALU_DEP_2) | instskip(NEXT) | instid1(VALU_DEP_1)
	v_dual_cndmask_b32 v2, v2, v8 :: v_dual_cndmask_b32 v7, v7, v9
	v_lshl_add_u32 v2, v2, 23, 0x3b800000
	s_delay_alu instid0(VALU_DEP_2) | instskip(NEXT) | instid1(VALU_DEP_1)
	v_lshlrev_b32_e32 v7, 20, v7
	v_or3_b32 v2, v3, v2, v7
.LBB256_417:
	s_or_b32 exec_lo, exec_lo, s14
.LBB256_418:
	s_mov_b32 s0, -1
.LBB256_419:
	s_mov_b32 s14, 0
.LBB256_420:
	s_delay_alu instid0(SALU_CYCLE_1)
	s_and_b32 vcc_lo, exec_lo, s14
	s_cbranch_vccz .LBB256_455
; %bb.421:
	v_cmp_lt_i16_e32 vcc_lo, 22, v6
	s_cbranch_vccz .LBB256_431
; %bb.422:
	v_cmp_gt_i16_e32 vcc_lo, 24, v6
	s_cbranch_vccnz .LBB256_434
; %bb.423:
	v_cmp_lt_i16_e32 vcc_lo, 24, v6
	s_cbranch_vccz .LBB256_435
; %bb.424:
	global_load_u8 v3, v[0:1], off
	s_mov_b32 s0, 0
	s_mov_b32 s16, exec_lo
                                        ; implicit-def: $sgpr14
	s_waitcnt vmcnt(0)
	v_cmpx_lt_i16_e32 0x7f, v3
	s_xor_b32 s16, exec_lo, s16
	s_cbranch_execz .LBB256_447
; %bb.425:
	s_mov_b32 s0, -1
	s_mov_b32 s17, exec_lo
                                        ; implicit-def: $sgpr14
	v_cmpx_eq_u16_e32 0x80, v3
; %bb.426:
	s_mov_b32 s14, 0x7f800001
	s_xor_b32 s0, exec_lo, -1
; %bb.427:
	s_or_b32 exec_lo, exec_lo, s17
	s_delay_alu instid0(SALU_CYCLE_1)
	s_and_b32 s0, s0, exec_lo
	s_or_saveexec_b32 s16, s16
	v_mov_b32_e32 v2, s14
	s_xor_b32 exec_lo, exec_lo, s16
	s_cbranch_execnz .LBB256_448
.LBB256_428:
	s_or_b32 exec_lo, exec_lo, s16
	s_and_saveexec_b32 s14, s0
	s_cbranch_execz .LBB256_430
.LBB256_429:
	v_and_b32_e32 v2, 0xffff, v3
	v_lshlrev_b32_e32 v3, 24, v3
	s_delay_alu instid0(VALU_DEP_2) | instskip(NEXT) | instid1(VALU_DEP_2)
	v_and_b32_e32 v7, 3, v2
	v_and_b32_e32 v3, 0x80000000, v3
	s_delay_alu instid0(VALU_DEP_2) | instskip(NEXT) | instid1(VALU_DEP_1)
	v_clz_i32_u32_e32 v8, v7
	v_min_u32_e32 v8, 32, v8
	s_delay_alu instid0(VALU_DEP_1) | instskip(SKIP_1) | instid1(VALU_DEP_2)
	v_subrev_nc_u32_e32 v9, 29, v8
	v_sub_nc_u32_e32 v8, 30, v8
	v_lshlrev_b32_e32 v9, v9, v2
	v_bfe_u32 v2, v2, 2, 5
	s_delay_alu instid0(VALU_DEP_2) | instskip(NEXT) | instid1(VALU_DEP_2)
	v_and_b32_e32 v9, 3, v9
	v_cmp_eq_u32_e32 vcc_lo, 0, v2
	s_delay_alu instid0(VALU_DEP_2) | instskip(NEXT) | instid1(VALU_DEP_1)
	v_dual_cndmask_b32 v2, v2, v8 :: v_dual_cndmask_b32 v7, v7, v9
	v_lshl_add_u32 v2, v2, 23, 0x37800000
	s_delay_alu instid0(VALU_DEP_2) | instskip(NEXT) | instid1(VALU_DEP_1)
	v_lshlrev_b32_e32 v7, 21, v7
	v_or3_b32 v2, v3, v2, v7
.LBB256_430:
	s_or_b32 exec_lo, exec_lo, s14
	s_mov_b32 s0, 0
	s_branch .LBB256_436
.LBB256_431:
	s_mov_b32 s14, -1
                                        ; implicit-def: $vgpr2
	s_branch .LBB256_442
.LBB256_432:
	s_or_saveexec_b32 s16, s16
	v_mov_b32_e32 v2, s14
	s_xor_b32 exec_lo, exec_lo, s16
	s_cbranch_execz .LBB256_415
.LBB256_433:
	v_cmp_ne_u16_e32 vcc_lo, 0, v3
	v_mov_b32_e32 v2, 0
	s_and_not1_b32 s0, s0, exec_lo
	s_and_b32 s14, vcc_lo, exec_lo
	s_delay_alu instid0(SALU_CYCLE_1)
	s_or_b32 s0, s0, s14
	s_or_b32 exec_lo, exec_lo, s16
	s_and_saveexec_b32 s14, s0
	s_cbranch_execnz .LBB256_416
	s_branch .LBB256_417
.LBB256_434:
	s_mov_b32 s0, -1
                                        ; implicit-def: $vgpr2
	s_branch .LBB256_439
.LBB256_435:
	s_mov_b32 s0, -1
                                        ; implicit-def: $vgpr2
.LBB256_436:
	s_delay_alu instid0(SALU_CYCLE_1)
	s_and_b32 vcc_lo, exec_lo, s0
	s_cbranch_vccz .LBB256_438
; %bb.437:
	global_load_u8 v2, v[0:1], off
	s_waitcnt vmcnt(0)
	v_lshlrev_b32_e32 v2, 24, v2
	s_delay_alu instid0(VALU_DEP_1) | instskip(NEXT) | instid1(VALU_DEP_1)
	v_and_b32_e32 v3, 0x7f000000, v2
	v_clz_i32_u32_e32 v7, v3
	v_add_nc_u32_e32 v9, 0x1000000, v3
	v_cmp_ne_u32_e32 vcc_lo, 0, v3
	s_delay_alu instid0(VALU_DEP_3) | instskip(NEXT) | instid1(VALU_DEP_1)
	v_min_u32_e32 v7, 32, v7
	v_sub_nc_u32_e64 v7, v7, 4 clamp
	s_delay_alu instid0(VALU_DEP_1) | instskip(SKIP_1) | instid1(VALU_DEP_2)
	v_lshlrev_b32_e32 v8, v7, v3
	v_lshlrev_b32_e32 v7, 23, v7
	v_lshrrev_b32_e32 v8, 4, v8
	s_delay_alu instid0(VALU_DEP_1) | instskip(SKIP_1) | instid1(VALU_DEP_2)
	v_sub_nc_u32_e32 v7, v8, v7
	v_ashrrev_i32_e32 v8, 8, v9
	v_add_nc_u32_e32 v7, 0x3c000000, v7
	s_delay_alu instid0(VALU_DEP_1) | instskip(NEXT) | instid1(VALU_DEP_1)
	v_and_or_b32 v7, 0x7f800000, v8, v7
	v_cndmask_b32_e32 v3, 0, v7, vcc_lo
	s_delay_alu instid0(VALU_DEP_1)
	v_and_or_b32 v2, 0x80000000, v2, v3
.LBB256_438:
	s_mov_b32 s0, 0
.LBB256_439:
	s_delay_alu instid0(SALU_CYCLE_1)
	s_and_not1_b32 vcc_lo, exec_lo, s0
	s_cbranch_vccnz .LBB256_441
; %bb.440:
	global_load_u8 v2, v[0:1], off
	s_waitcnt vmcnt(0)
	v_lshlrev_b32_e32 v3, 25, v2
	v_lshlrev_b16 v2, 8, v2
	s_delay_alu instid0(VALU_DEP_1) | instskip(SKIP_1) | instid1(VALU_DEP_2)
	v_and_or_b32 v8, 0x7f00, v2, 0.5
	v_bfe_i32 v2, v2, 0, 16
	v_add_f32_e32 v8, -0.5, v8
	v_lshrrev_b32_e32 v7, 4, v3
	v_cmp_gt_u32_e32 vcc_lo, 0x8000000, v3
	s_delay_alu instid0(VALU_DEP_2) | instskip(NEXT) | instid1(VALU_DEP_1)
	v_or_b32_e32 v7, 0x70000000, v7
	v_mul_f32_e32 v7, 0x7800000, v7
	s_delay_alu instid0(VALU_DEP_1) | instskip(NEXT) | instid1(VALU_DEP_1)
	v_cndmask_b32_e32 v3, v7, v8, vcc_lo
	v_and_or_b32 v2, 0x80000000, v2, v3
.LBB256_441:
	s_mov_b32 s14, 0
	s_mov_b32 s0, -1
.LBB256_442:
	s_and_not1_b32 vcc_lo, exec_lo, s14
	s_cbranch_vccnz .LBB256_455
; %bb.443:
	v_cmp_lt_i16_e32 vcc_lo, 14, v6
	s_cbranch_vccz .LBB256_446
; %bb.444:
	v_cmp_eq_u16_e32 vcc_lo, 15, v6
	s_cbranch_vccz .LBB256_449
; %bb.445:
	global_load_u16 v2, v[0:1], off
	s_mov_b32 s0, -1
	s_mov_b32 s13, 0
	s_waitcnt vmcnt(0)
	v_lshlrev_b32_e32 v2, 16, v2
	s_branch .LBB256_450
.LBB256_446:
	s_mov_b32 s14, -1
                                        ; implicit-def: $vgpr2
	s_branch .LBB256_451
.LBB256_447:
	s_or_saveexec_b32 s16, s16
	v_mov_b32_e32 v2, s14
	s_xor_b32 exec_lo, exec_lo, s16
	s_cbranch_execz .LBB256_428
.LBB256_448:
	v_cmp_ne_u16_e32 vcc_lo, 0, v3
	v_mov_b32_e32 v2, 0
	s_and_not1_b32 s0, s0, exec_lo
	s_and_b32 s14, vcc_lo, exec_lo
	s_delay_alu instid0(SALU_CYCLE_1)
	s_or_b32 s0, s0, s14
	s_or_b32 exec_lo, exec_lo, s16
	s_and_saveexec_b32 s14, s0
	s_cbranch_execnz .LBB256_429
	s_branch .LBB256_430
.LBB256_449:
	s_mov_b32 s13, -1
                                        ; implicit-def: $vgpr2
.LBB256_450:
	s_mov_b32 s14, 0
.LBB256_451:
	s_delay_alu instid0(SALU_CYCLE_1)
	s_and_b32 vcc_lo, exec_lo, s14
	s_cbranch_vccz .LBB256_455
; %bb.452:
	v_cmp_eq_u16_e32 vcc_lo, 11, v6
	s_cbranch_vccz .LBB256_454
; %bb.453:
	global_load_u8 v2, v[0:1], off
	s_mov_b32 s13, 0
	s_mov_b32 s0, -1
	s_waitcnt vmcnt(0)
	v_cmp_ne_u16_e32 vcc_lo, 0, v2
	v_cndmask_b32_e64 v2, 0, 1.0, vcc_lo
	s_branch .LBB256_455
.LBB256_454:
	s_mov_b32 s13, -1
                                        ; implicit-def: $vgpr2
.LBB256_455:
	s_branch .LBB256_260
.LBB256_456:
	v_cmp_gt_i16_e32 vcc_lo, 5, v6
	s_cbranch_vccnz .LBB256_461
; %bb.457:
	v_cmp_gt_i16_e32 vcc_lo, 8, v6
	s_cbranch_vccnz .LBB256_462
; %bb.458:
	v_cmp_gt_i16_e32 vcc_lo, 9, v6
	s_cbranch_vccnz .LBB256_463
; %bb.459:
	v_cmp_lt_i16_e32 vcc_lo, 9, v6
	s_cbranch_vccz .LBB256_464
; %bb.460:
	global_load_b64 v[2:3], v[0:1], off
	s_mov_b32 s0, 0
	s_waitcnt vmcnt(0)
	v_cvt_f32_f64_e32 v2, v[2:3]
	s_branch .LBB256_465
.LBB256_461:
	s_mov_b32 s0, -1
                                        ; implicit-def: $vgpr2
	s_branch .LBB256_483
.LBB256_462:
	s_mov_b32 s0, -1
                                        ; implicit-def: $vgpr2
	s_branch .LBB256_471
.LBB256_463:
	s_mov_b32 s0, -1
                                        ; implicit-def: $vgpr2
	s_branch .LBB256_468
.LBB256_464:
	s_mov_b32 s0, -1
                                        ; implicit-def: $vgpr2
.LBB256_465:
	s_delay_alu instid0(SALU_CYCLE_1)
	s_and_not1_b32 vcc_lo, exec_lo, s0
	s_cbranch_vccnz .LBB256_467
; %bb.466:
	global_load_b32 v2, v[0:1], off
.LBB256_467:
	s_mov_b32 s0, 0
.LBB256_468:
	s_delay_alu instid0(SALU_CYCLE_1)
	s_and_not1_b32 vcc_lo, exec_lo, s0
	s_cbranch_vccnz .LBB256_470
; %bb.469:
	global_load_b32 v2, v[0:1], off
	s_waitcnt vmcnt(0)
	v_cvt_f32_f16_e32 v2, v2
.LBB256_470:
	s_mov_b32 s0, 0
.LBB256_471:
	s_delay_alu instid0(SALU_CYCLE_1)
	s_and_not1_b32 vcc_lo, exec_lo, s0
	s_cbranch_vccnz .LBB256_482
; %bb.472:
	v_cmp_gt_i16_e32 vcc_lo, 6, v6
	s_cbranch_vccnz .LBB256_475
; %bb.473:
	v_cmp_lt_i16_e32 vcc_lo, 6, v6
	s_cbranch_vccz .LBB256_476
; %bb.474:
	global_load_b64 v[2:3], v[0:1], off
	s_mov_b32 s0, 0
	s_waitcnt vmcnt(0)
	v_cvt_f32_f64_e32 v2, v[2:3]
	s_branch .LBB256_477
.LBB256_475:
	s_mov_b32 s0, -1
                                        ; implicit-def: $vgpr2
	s_branch .LBB256_480
.LBB256_476:
	s_mov_b32 s0, -1
                                        ; implicit-def: $vgpr2
.LBB256_477:
	s_delay_alu instid0(SALU_CYCLE_1)
	s_and_not1_b32 vcc_lo, exec_lo, s0
	s_cbranch_vccnz .LBB256_479
; %bb.478:
	global_load_b32 v2, v[0:1], off
.LBB256_479:
	s_mov_b32 s0, 0
.LBB256_480:
	s_delay_alu instid0(SALU_CYCLE_1)
	s_and_not1_b32 vcc_lo, exec_lo, s0
	s_cbranch_vccnz .LBB256_482
; %bb.481:
	global_load_u16 v2, v[0:1], off
	s_waitcnt vmcnt(0)
	v_cvt_f32_f16_e32 v2, v2
.LBB256_482:
	s_mov_b32 s0, 0
.LBB256_483:
	s_delay_alu instid0(SALU_CYCLE_1)
	s_and_not1_b32 vcc_lo, exec_lo, s0
	s_cbranch_vccnz .LBB256_503
; %bb.484:
	v_cmp_gt_i16_e32 vcc_lo, 2, v6
	s_cbranch_vccnz .LBB256_488
; %bb.485:
	v_cmp_gt_i16_e32 vcc_lo, 3, v6
	s_cbranch_vccnz .LBB256_489
; %bb.486:
	v_cmp_lt_i16_e32 vcc_lo, 3, v6
	s_cbranch_vccz .LBB256_490
; %bb.487:
	global_load_b64 v[2:3], v[0:1], off
	s_mov_b32 s0, 0
	s_waitcnt vmcnt(0)
	v_xor_b32_e32 v7, v2, v3
	v_cls_i32_e32 v8, v3
	s_delay_alu instid0(VALU_DEP_2) | instskip(NEXT) | instid1(VALU_DEP_2)
	v_ashrrev_i32_e32 v7, 31, v7
	v_add_nc_u32_e32 v8, -1, v8
	s_delay_alu instid0(VALU_DEP_2) | instskip(NEXT) | instid1(VALU_DEP_1)
	v_add_nc_u32_e32 v7, 32, v7
	v_min_u32_e32 v7, v8, v7
	s_delay_alu instid0(VALU_DEP_1) | instskip(NEXT) | instid1(VALU_DEP_1)
	v_lshlrev_b64 v[2:3], v7, v[2:3]
	v_min_u32_e32 v2, 1, v2
	s_delay_alu instid0(VALU_DEP_1) | instskip(SKIP_1) | instid1(VALU_DEP_2)
	v_or_b32_e32 v2, v3, v2
	v_sub_nc_u32_e32 v3, 32, v7
	v_cvt_f32_i32_e32 v2, v2
	s_delay_alu instid0(VALU_DEP_1)
	v_ldexp_f32 v2, v2, v3
	s_branch .LBB256_491
.LBB256_488:
	s_mov_b32 s0, -1
                                        ; implicit-def: $vgpr2
	s_branch .LBB256_497
.LBB256_489:
	s_mov_b32 s0, -1
                                        ; implicit-def: $vgpr2
	s_branch .LBB256_494
.LBB256_490:
	s_mov_b32 s0, -1
                                        ; implicit-def: $vgpr2
.LBB256_491:
	s_delay_alu instid0(SALU_CYCLE_1)
	s_and_not1_b32 vcc_lo, exec_lo, s0
	s_cbranch_vccnz .LBB256_493
; %bb.492:
	global_load_b32 v2, v[0:1], off
	s_waitcnt vmcnt(0)
	v_cvt_f32_i32_e32 v2, v2
.LBB256_493:
	s_mov_b32 s0, 0
.LBB256_494:
	s_delay_alu instid0(SALU_CYCLE_1)
	s_and_not1_b32 vcc_lo, exec_lo, s0
	s_cbranch_vccnz .LBB256_496
; %bb.495:
	global_load_i16 v2, v[0:1], off
	s_waitcnt vmcnt(0)
	v_cvt_f32_i32_e32 v2, v2
.LBB256_496:
	s_mov_b32 s0, 0
.LBB256_497:
	s_delay_alu instid0(SALU_CYCLE_1)
	s_and_not1_b32 vcc_lo, exec_lo, s0
	s_cbranch_vccnz .LBB256_503
; %bb.498:
	v_cmp_lt_i16_e32 vcc_lo, 0, v6
	s_mov_b32 s0, 0
	s_cbranch_vccz .LBB256_500
; %bb.499:
	global_load_i8 v2, v[0:1], off
	s_waitcnt vmcnt(0)
	v_cvt_f32_i32_e32 v2, v2
	s_branch .LBB256_501
.LBB256_500:
	s_mov_b32 s0, -1
                                        ; implicit-def: $vgpr2
.LBB256_501:
	s_delay_alu instid0(SALU_CYCLE_1)
	s_and_not1_b32 vcc_lo, exec_lo, s0
	s_cbranch_vccnz .LBB256_503
; %bb.502:
	global_load_u8 v0, v[0:1], off
	s_waitcnt vmcnt(0)
	v_cvt_f32_ubyte0_e32 v2, v0
.LBB256_503:
	s_branch .LBB256_261
.LBB256_504:
	s_mov_b32 s16, 0
	s_mov_b32 s0, s9
.LBB256_505:
                                        ; implicit-def: $vgpr5
.LBB256_506:
	s_and_not1_b32 s14, s9, exec_lo
	s_and_b32 s0, s0, exec_lo
	s_and_not1_b32 s17, s11, exec_lo
	s_and_b32 s13, s13, exec_lo
	s_or_b32 s14, s14, s0
	s_or_b32 s13, s17, s13
	s_or_not1_b32 s17, s16, exec_lo
.LBB256_507:
	s_or_b32 exec_lo, exec_lo, s15
	s_mov_b32 s16, 0
	s_mov_b32 s18, 0
	;; [unrolled: 1-line block ×3, first 2 shown]
                                        ; implicit-def: $vgpr0_vgpr1
                                        ; implicit-def: $vgpr3
	s_and_saveexec_b32 s15, s17
	s_cbranch_execz .LBB256_853
; %bb.508:
	s_mov_b32 s0, -1
	s_mov_b32 s17, s13
	s_mov_b32 s18, s14
	s_mov_b32 s16, exec_lo
	v_cmpx_gt_i32_e64 s10, v5
	s_cbranch_execz .LBB256_767
; %bb.509:
	v_mul_lo_u32 v0, v5, s3
	v_cmp_gt_i16_e32 vcc_lo, 11, v6
	s_delay_alu instid0(VALU_DEP_2) | instskip(SKIP_1) | instid1(VALU_DEP_1)
	v_ashrrev_i32_e32 v1, 31, v0
	v_add_co_u32 v0, s0, s6, v0
	v_add_co_ci_u32_e64 v1, s0, s7, v1, s0
	s_cbranch_vccnz .LBB256_516
; %bb.510:
	v_cmp_lt_i16_e32 vcc_lo, 25, v6
	s_cbranch_vccz .LBB256_517
; %bb.511:
	v_cmp_lt_i16_e32 vcc_lo, 28, v6
	s_cbranch_vccz .LBB256_518
	;; [unrolled: 3-line block ×4, first 2 shown]
; %bb.514:
	v_cmp_eq_u16_e32 vcc_lo, 46, v6
	s_mov_b32 s18, 0
	s_cbranch_vccz .LBB256_525
; %bb.515:
	global_load_b32 v2, v[0:1], off
	s_mov_b32 s0, -1
	s_mov_b32 s17, 0
	s_waitcnt vmcnt(0)
	v_lshlrev_b32_e32 v2, 16, v2
	s_branch .LBB256_527
.LBB256_516:
	s_mov_b32 s18, -1
	s_mov_b32 s0, 0
	s_mov_b32 s17, s13
                                        ; implicit-def: $vgpr2
	s_branch .LBB256_592
.LBB256_517:
	s_mov_b32 s18, -1
	s_mov_b32 s0, 0
	s_mov_b32 s17, s13
                                        ; implicit-def: $vgpr2
	s_branch .LBB256_556
.LBB256_518:
	s_mov_b32 s18, -1
	s_mov_b32 s0, 0
	s_mov_b32 s17, s13
                                        ; implicit-def: $vgpr2
	s_branch .LBB256_537
.LBB256_519:
	s_mov_b32 s18, -1
	s_mov_b32 s0, 0
	s_mov_b32 s17, s13
                                        ; implicit-def: $vgpr2
	s_branch .LBB256_532
.LBB256_520:
	s_or_saveexec_b32 s17, s17
                                        ; implicit-def: $sgpr18
	s_delay_alu instid0(SALU_CYCLE_1)
	s_xor_b32 exec_lo, exec_lo, s17
	s_cbranch_execz .LBB256_344
.LBB256_521:
	v_add_f32_e64 v3, 0x46000000, |v2|
	s_and_not1_b32 s16, s16, exec_lo
	s_mov_b32 s18, 0
	s_delay_alu instid0(VALU_DEP_1) | instskip(NEXT) | instid1(VALU_DEP_1)
	v_and_b32_e32 v3, 0xff, v3
	v_cmp_ne_u32_e32 vcc_lo, 0, v3
	s_and_b32 s19, vcc_lo, exec_lo
	s_delay_alu instid0(SALU_CYCLE_1)
	s_or_b32 s16, s16, s19
	s_or_b32 exec_lo, exec_lo, s17
	v_mov_b32_e32 v8, s18
	s_and_saveexec_b32 s17, s16
	s_cbranch_execnz .LBB256_345
	s_branch .LBB256_346
.LBB256_522:
	s_mov_b32 s18, -1
	s_mov_b32 s0, 0
	s_mov_b32 s17, s13
	s_branch .LBB256_526
.LBB256_523:
	s_or_saveexec_b32 s17, s17
                                        ; implicit-def: $sgpr18
	s_delay_alu instid0(SALU_CYCLE_1)
	s_xor_b32 exec_lo, exec_lo, s17
	s_cbranch_execz .LBB256_357
.LBB256_524:
	v_add_f32_e64 v3, 0x42800000, |v2|
	s_and_not1_b32 s16, s16, exec_lo
	s_mov_b32 s18, 0
	s_delay_alu instid0(VALU_DEP_1) | instskip(NEXT) | instid1(VALU_DEP_1)
	v_and_b32_e32 v3, 0xff, v3
	v_cmp_ne_u32_e32 vcc_lo, 0, v3
	s_and_b32 s19, vcc_lo, exec_lo
	s_delay_alu instid0(SALU_CYCLE_1)
	s_or_b32 s16, s16, s19
	s_or_b32 exec_lo, exec_lo, s17
	v_mov_b32_e32 v8, s18
	s_and_saveexec_b32 s17, s16
	s_cbranch_execnz .LBB256_358
	s_branch .LBB256_359
.LBB256_525:
	s_mov_b32 s17, -1
	s_mov_b32 s0, 0
.LBB256_526:
                                        ; implicit-def: $vgpr2
.LBB256_527:
	s_and_b32 vcc_lo, exec_lo, s18
	s_cbranch_vccz .LBB256_531
; %bb.528:
	v_cmp_eq_u16_e32 vcc_lo, 44, v6
	s_cbranch_vccz .LBB256_530
; %bb.529:
	global_load_u8 v2, v[0:1], off
	s_mov_b32 s17, 0
	s_mov_b32 s0, -1
	s_waitcnt vmcnt(0)
	v_lshlrev_b32_e32 v3, 23, v2
	v_cmp_ne_u32_e32 vcc_lo, 0xff, v2
	s_delay_alu instid0(VALU_DEP_2) | instskip(SKIP_1) | instid1(VALU_DEP_2)
	v_cndmask_b32_e32 v3, 0x7f800001, v3, vcc_lo
	v_cmp_ne_u32_e32 vcc_lo, 0, v2
	v_cndmask_b32_e32 v2, 0x400000, v3, vcc_lo
	s_branch .LBB256_531
.LBB256_530:
	s_mov_b32 s17, -1
                                        ; implicit-def: $vgpr2
.LBB256_531:
	s_mov_b32 s18, 0
.LBB256_532:
	s_delay_alu instid0(SALU_CYCLE_1)
	s_and_b32 vcc_lo, exec_lo, s18
	s_cbranch_vccz .LBB256_536
; %bb.533:
	v_cmp_eq_u16_e32 vcc_lo, 29, v6
	s_cbranch_vccz .LBB256_535
; %bb.534:
	global_load_b64 v[2:3], v[0:1], off
	s_mov_b32 s0, -1
	s_mov_b32 s17, 0
	s_mov_b32 s18, 0
	s_waitcnt vmcnt(0)
	v_clz_i32_u32_e32 v7, v3
	s_delay_alu instid0(VALU_DEP_1) | instskip(NEXT) | instid1(VALU_DEP_1)
	v_min_u32_e32 v7, 32, v7
	v_lshlrev_b64 v[2:3], v7, v[2:3]
	s_delay_alu instid0(VALU_DEP_1) | instskip(NEXT) | instid1(VALU_DEP_1)
	v_min_u32_e32 v2, 1, v2
	v_or_b32_e32 v2, v3, v2
	v_sub_nc_u32_e32 v3, 32, v7
	s_delay_alu instid0(VALU_DEP_2) | instskip(NEXT) | instid1(VALU_DEP_1)
	v_cvt_f32_u32_e32 v2, v2
	v_ldexp_f32 v2, v2, v3
	s_branch .LBB256_537
.LBB256_535:
	s_mov_b32 s17, -1
                                        ; implicit-def: $vgpr2
.LBB256_536:
	s_mov_b32 s18, 0
.LBB256_537:
	s_delay_alu instid0(SALU_CYCLE_1)
	s_and_b32 vcc_lo, exec_lo, s18
	s_cbranch_vccz .LBB256_555
; %bb.538:
	v_cmp_gt_i16_e32 vcc_lo, 27, v6
	s_cbranch_vccnz .LBB256_541
; %bb.539:
	v_cmp_lt_i16_e32 vcc_lo, 27, v6
	s_cbranch_vccz .LBB256_542
; %bb.540:
	global_load_b32 v2, v[0:1], off
	s_mov_b32 s0, 0
	s_waitcnt vmcnt(0)
	v_cvt_f32_u32_e32 v2, v2
	s_branch .LBB256_543
.LBB256_541:
	s_mov_b32 s0, -1
                                        ; implicit-def: $vgpr2
	s_branch .LBB256_546
.LBB256_542:
	s_mov_b32 s0, -1
                                        ; implicit-def: $vgpr2
.LBB256_543:
	s_delay_alu instid0(SALU_CYCLE_1)
	s_and_not1_b32 vcc_lo, exec_lo, s0
	s_cbranch_vccnz .LBB256_545
; %bb.544:
	global_load_u16 v2, v[0:1], off
	s_waitcnt vmcnt(0)
	v_cvt_f32_u32_e32 v2, v2
.LBB256_545:
	s_mov_b32 s0, 0
.LBB256_546:
	s_delay_alu instid0(SALU_CYCLE_1)
	s_and_not1_b32 vcc_lo, exec_lo, s0
	s_cbranch_vccnz .LBB256_554
; %bb.547:
	global_load_u8 v3, v[0:1], off
	s_mov_b32 s0, 0
	s_mov_b32 s19, exec_lo
                                        ; implicit-def: $sgpr18
	s_waitcnt vmcnt(0)
	v_cmpx_lt_i16_e32 0x7f, v3
	s_xor_b32 s19, exec_lo, s19
	s_cbranch_execz .LBB256_568
; %bb.548:
	s_mov_b32 s0, -1
	s_mov_b32 s20, exec_lo
                                        ; implicit-def: $sgpr18
	v_cmpx_eq_u16_e32 0x80, v3
; %bb.549:
	s_mov_b32 s18, 0x7f800001
	s_xor_b32 s0, exec_lo, -1
; %bb.550:
	s_or_b32 exec_lo, exec_lo, s20
	s_delay_alu instid0(SALU_CYCLE_1)
	s_and_b32 s0, s0, exec_lo
	s_or_saveexec_b32 s19, s19
	v_mov_b32_e32 v2, s18
	s_xor_b32 exec_lo, exec_lo, s19
	s_cbranch_execnz .LBB256_569
.LBB256_551:
	s_or_b32 exec_lo, exec_lo, s19
	s_and_saveexec_b32 s18, s0
	s_cbranch_execz .LBB256_553
.LBB256_552:
	v_and_b32_e32 v2, 0xffff, v3
	v_lshlrev_b32_e32 v3, 24, v3
	s_delay_alu instid0(VALU_DEP_2) | instskip(NEXT) | instid1(VALU_DEP_2)
	v_and_b32_e32 v7, 7, v2
	v_and_b32_e32 v3, 0x80000000, v3
	s_delay_alu instid0(VALU_DEP_2) | instskip(NEXT) | instid1(VALU_DEP_1)
	v_clz_i32_u32_e32 v8, v7
	v_min_u32_e32 v8, 32, v8
	s_delay_alu instid0(VALU_DEP_1) | instskip(SKIP_1) | instid1(VALU_DEP_2)
	v_subrev_nc_u32_e32 v9, 28, v8
	v_sub_nc_u32_e32 v8, 29, v8
	v_lshlrev_b32_e32 v9, v9, v2
	v_bfe_u32 v2, v2, 3, 4
	s_delay_alu instid0(VALU_DEP_2) | instskip(NEXT) | instid1(VALU_DEP_2)
	v_and_b32_e32 v9, 7, v9
	v_cmp_eq_u32_e32 vcc_lo, 0, v2
	s_delay_alu instid0(VALU_DEP_2) | instskip(NEXT) | instid1(VALU_DEP_1)
	v_dual_cndmask_b32 v2, v2, v8 :: v_dual_cndmask_b32 v7, v7, v9
	v_lshl_add_u32 v2, v2, 23, 0x3b800000
	s_delay_alu instid0(VALU_DEP_2) | instskip(NEXT) | instid1(VALU_DEP_1)
	v_lshlrev_b32_e32 v7, 20, v7
	v_or3_b32 v2, v3, v2, v7
.LBB256_553:
	s_or_b32 exec_lo, exec_lo, s18
.LBB256_554:
	s_mov_b32 s0, -1
.LBB256_555:
	s_mov_b32 s18, 0
.LBB256_556:
	s_delay_alu instid0(SALU_CYCLE_1)
	s_and_b32 vcc_lo, exec_lo, s18
	s_cbranch_vccz .LBB256_591
; %bb.557:
	v_cmp_lt_i16_e32 vcc_lo, 22, v6
	s_cbranch_vccz .LBB256_567
; %bb.558:
	v_cmp_gt_i16_e32 vcc_lo, 24, v6
	s_cbranch_vccnz .LBB256_570
; %bb.559:
	v_cmp_lt_i16_e32 vcc_lo, 24, v6
	s_cbranch_vccz .LBB256_571
; %bb.560:
	global_load_u8 v3, v[0:1], off
	s_mov_b32 s0, 0
	s_mov_b32 s19, exec_lo
                                        ; implicit-def: $sgpr18
	s_waitcnt vmcnt(0)
	v_cmpx_lt_i16_e32 0x7f, v3
	s_xor_b32 s19, exec_lo, s19
	s_cbranch_execz .LBB256_583
; %bb.561:
	s_mov_b32 s0, -1
	s_mov_b32 s20, exec_lo
                                        ; implicit-def: $sgpr18
	v_cmpx_eq_u16_e32 0x80, v3
; %bb.562:
	s_mov_b32 s18, 0x7f800001
	s_xor_b32 s0, exec_lo, -1
; %bb.563:
	s_or_b32 exec_lo, exec_lo, s20
	s_delay_alu instid0(SALU_CYCLE_1)
	s_and_b32 s0, s0, exec_lo
	s_or_saveexec_b32 s19, s19
	v_mov_b32_e32 v2, s18
	s_xor_b32 exec_lo, exec_lo, s19
	s_cbranch_execnz .LBB256_584
.LBB256_564:
	s_or_b32 exec_lo, exec_lo, s19
	s_and_saveexec_b32 s18, s0
	s_cbranch_execz .LBB256_566
.LBB256_565:
	v_and_b32_e32 v2, 0xffff, v3
	v_lshlrev_b32_e32 v3, 24, v3
	s_delay_alu instid0(VALU_DEP_2) | instskip(NEXT) | instid1(VALU_DEP_2)
	v_and_b32_e32 v7, 3, v2
	v_and_b32_e32 v3, 0x80000000, v3
	s_delay_alu instid0(VALU_DEP_2) | instskip(NEXT) | instid1(VALU_DEP_1)
	v_clz_i32_u32_e32 v8, v7
	v_min_u32_e32 v8, 32, v8
	s_delay_alu instid0(VALU_DEP_1) | instskip(SKIP_1) | instid1(VALU_DEP_2)
	v_subrev_nc_u32_e32 v9, 29, v8
	v_sub_nc_u32_e32 v8, 30, v8
	v_lshlrev_b32_e32 v9, v9, v2
	v_bfe_u32 v2, v2, 2, 5
	s_delay_alu instid0(VALU_DEP_2) | instskip(NEXT) | instid1(VALU_DEP_2)
	v_and_b32_e32 v9, 3, v9
	v_cmp_eq_u32_e32 vcc_lo, 0, v2
	s_delay_alu instid0(VALU_DEP_2) | instskip(NEXT) | instid1(VALU_DEP_1)
	v_dual_cndmask_b32 v2, v2, v8 :: v_dual_cndmask_b32 v7, v7, v9
	v_lshl_add_u32 v2, v2, 23, 0x37800000
	s_delay_alu instid0(VALU_DEP_2) | instskip(NEXT) | instid1(VALU_DEP_1)
	v_lshlrev_b32_e32 v7, 21, v7
	v_or3_b32 v2, v3, v2, v7
.LBB256_566:
	s_or_b32 exec_lo, exec_lo, s18
	s_mov_b32 s0, 0
	s_branch .LBB256_572
.LBB256_567:
	s_mov_b32 s18, -1
                                        ; implicit-def: $vgpr2
	s_branch .LBB256_578
.LBB256_568:
	s_or_saveexec_b32 s19, s19
	v_mov_b32_e32 v2, s18
	s_xor_b32 exec_lo, exec_lo, s19
	s_cbranch_execz .LBB256_551
.LBB256_569:
	v_cmp_ne_u16_e32 vcc_lo, 0, v3
	v_mov_b32_e32 v2, 0
	s_and_not1_b32 s0, s0, exec_lo
	s_and_b32 s18, vcc_lo, exec_lo
	s_delay_alu instid0(SALU_CYCLE_1)
	s_or_b32 s0, s0, s18
	s_or_b32 exec_lo, exec_lo, s19
	s_and_saveexec_b32 s18, s0
	s_cbranch_execnz .LBB256_552
	s_branch .LBB256_553
.LBB256_570:
	s_mov_b32 s0, -1
                                        ; implicit-def: $vgpr2
	s_branch .LBB256_575
.LBB256_571:
	s_mov_b32 s0, -1
                                        ; implicit-def: $vgpr2
.LBB256_572:
	s_delay_alu instid0(SALU_CYCLE_1)
	s_and_b32 vcc_lo, exec_lo, s0
	s_cbranch_vccz .LBB256_574
; %bb.573:
	global_load_u8 v2, v[0:1], off
	s_waitcnt vmcnt(0)
	v_lshlrev_b32_e32 v2, 24, v2
	s_delay_alu instid0(VALU_DEP_1) | instskip(NEXT) | instid1(VALU_DEP_1)
	v_and_b32_e32 v3, 0x7f000000, v2
	v_clz_i32_u32_e32 v7, v3
	v_add_nc_u32_e32 v9, 0x1000000, v3
	v_cmp_ne_u32_e32 vcc_lo, 0, v3
	s_delay_alu instid0(VALU_DEP_3) | instskip(NEXT) | instid1(VALU_DEP_1)
	v_min_u32_e32 v7, 32, v7
	v_sub_nc_u32_e64 v7, v7, 4 clamp
	s_delay_alu instid0(VALU_DEP_1) | instskip(SKIP_1) | instid1(VALU_DEP_2)
	v_lshlrev_b32_e32 v8, v7, v3
	v_lshlrev_b32_e32 v7, 23, v7
	v_lshrrev_b32_e32 v8, 4, v8
	s_delay_alu instid0(VALU_DEP_1) | instskip(SKIP_1) | instid1(VALU_DEP_2)
	v_sub_nc_u32_e32 v7, v8, v7
	v_ashrrev_i32_e32 v8, 8, v9
	v_add_nc_u32_e32 v7, 0x3c000000, v7
	s_delay_alu instid0(VALU_DEP_1) | instskip(NEXT) | instid1(VALU_DEP_1)
	v_and_or_b32 v7, 0x7f800000, v8, v7
	v_cndmask_b32_e32 v3, 0, v7, vcc_lo
	s_delay_alu instid0(VALU_DEP_1)
	v_and_or_b32 v2, 0x80000000, v2, v3
.LBB256_574:
	s_mov_b32 s0, 0
.LBB256_575:
	s_delay_alu instid0(SALU_CYCLE_1)
	s_and_not1_b32 vcc_lo, exec_lo, s0
	s_cbranch_vccnz .LBB256_577
; %bb.576:
	global_load_u8 v2, v[0:1], off
	s_waitcnt vmcnt(0)
	v_lshlrev_b32_e32 v3, 25, v2
	v_lshlrev_b16 v2, 8, v2
	s_delay_alu instid0(VALU_DEP_1) | instskip(SKIP_1) | instid1(VALU_DEP_2)
	v_and_or_b32 v8, 0x7f00, v2, 0.5
	v_bfe_i32 v2, v2, 0, 16
	v_add_f32_e32 v8, -0.5, v8
	v_lshrrev_b32_e32 v7, 4, v3
	v_cmp_gt_u32_e32 vcc_lo, 0x8000000, v3
	s_delay_alu instid0(VALU_DEP_2) | instskip(NEXT) | instid1(VALU_DEP_1)
	v_or_b32_e32 v7, 0x70000000, v7
	v_mul_f32_e32 v7, 0x7800000, v7
	s_delay_alu instid0(VALU_DEP_1) | instskip(NEXT) | instid1(VALU_DEP_1)
	v_cndmask_b32_e32 v3, v7, v8, vcc_lo
	v_and_or_b32 v2, 0x80000000, v2, v3
.LBB256_577:
	s_mov_b32 s18, 0
	s_mov_b32 s0, -1
.LBB256_578:
	s_and_not1_b32 vcc_lo, exec_lo, s18
	s_cbranch_vccnz .LBB256_591
; %bb.579:
	v_cmp_lt_i16_e32 vcc_lo, 14, v6
	s_cbranch_vccz .LBB256_582
; %bb.580:
	v_cmp_eq_u16_e32 vcc_lo, 15, v6
	s_cbranch_vccz .LBB256_585
; %bb.581:
	global_load_u16 v2, v[0:1], off
	s_mov_b32 s0, -1
	s_mov_b32 s17, 0
	s_waitcnt vmcnt(0)
	v_lshlrev_b32_e32 v2, 16, v2
	s_branch .LBB256_586
.LBB256_582:
	s_mov_b32 s18, -1
                                        ; implicit-def: $vgpr2
	s_branch .LBB256_587
.LBB256_583:
	s_or_saveexec_b32 s19, s19
	v_mov_b32_e32 v2, s18
	s_xor_b32 exec_lo, exec_lo, s19
	s_cbranch_execz .LBB256_564
.LBB256_584:
	v_cmp_ne_u16_e32 vcc_lo, 0, v3
	v_mov_b32_e32 v2, 0
	s_and_not1_b32 s0, s0, exec_lo
	s_and_b32 s18, vcc_lo, exec_lo
	s_delay_alu instid0(SALU_CYCLE_1)
	s_or_b32 s0, s0, s18
	s_or_b32 exec_lo, exec_lo, s19
	s_and_saveexec_b32 s18, s0
	s_cbranch_execnz .LBB256_565
	s_branch .LBB256_566
.LBB256_585:
	s_mov_b32 s17, -1
                                        ; implicit-def: $vgpr2
.LBB256_586:
	s_mov_b32 s18, 0
.LBB256_587:
	s_delay_alu instid0(SALU_CYCLE_1)
	s_and_b32 vcc_lo, exec_lo, s18
	s_cbranch_vccz .LBB256_591
; %bb.588:
	v_cmp_eq_u16_e32 vcc_lo, 11, v6
	s_cbranch_vccz .LBB256_590
; %bb.589:
	global_load_u8 v2, v[0:1], off
	s_mov_b32 s17, 0
	s_mov_b32 s0, -1
	s_waitcnt vmcnt(0)
	v_cmp_ne_u16_e32 vcc_lo, 0, v2
	v_cndmask_b32_e64 v2, 0, 1.0, vcc_lo
	s_branch .LBB256_591
.LBB256_590:
	s_mov_b32 s17, -1
                                        ; implicit-def: $vgpr2
.LBB256_591:
	s_mov_b32 s18, 0
.LBB256_592:
	s_delay_alu instid0(SALU_CYCLE_1)
	s_and_b32 vcc_lo, exec_lo, s18
	s_cbranch_vccz .LBB256_641
; %bb.593:
	v_cmp_gt_i16_e32 vcc_lo, 5, v6
	s_cbranch_vccnz .LBB256_598
; %bb.594:
	v_cmp_gt_i16_e32 vcc_lo, 8, v6
	s_cbranch_vccnz .LBB256_599
	;; [unrolled: 3-line block ×3, first 2 shown]
; %bb.596:
	v_cmp_lt_i16_e32 vcc_lo, 9, v6
	s_cbranch_vccz .LBB256_601
; %bb.597:
	global_load_b64 v[2:3], v[0:1], off
	s_mov_b32 s0, 0
	s_waitcnt vmcnt(0)
	v_cvt_f32_f64_e32 v2, v[2:3]
	s_branch .LBB256_602
.LBB256_598:
	s_mov_b32 s0, -1
                                        ; implicit-def: $vgpr2
	s_branch .LBB256_620
.LBB256_599:
	s_mov_b32 s0, -1
                                        ; implicit-def: $vgpr2
	s_branch .LBB256_608
.LBB256_600:
	s_mov_b32 s0, -1
                                        ; implicit-def: $vgpr2
	s_branch .LBB256_605
.LBB256_601:
	s_mov_b32 s0, -1
                                        ; implicit-def: $vgpr2
.LBB256_602:
	s_delay_alu instid0(SALU_CYCLE_1)
	s_and_not1_b32 vcc_lo, exec_lo, s0
	s_cbranch_vccnz .LBB256_604
; %bb.603:
	global_load_b32 v2, v[0:1], off
.LBB256_604:
	s_mov_b32 s0, 0
.LBB256_605:
	s_delay_alu instid0(SALU_CYCLE_1)
	s_and_not1_b32 vcc_lo, exec_lo, s0
	s_cbranch_vccnz .LBB256_607
; %bb.606:
	global_load_b32 v2, v[0:1], off
	s_waitcnt vmcnt(0)
	v_cvt_f32_f16_e32 v2, v2
.LBB256_607:
	s_mov_b32 s0, 0
.LBB256_608:
	s_delay_alu instid0(SALU_CYCLE_1)
	s_and_not1_b32 vcc_lo, exec_lo, s0
	s_cbranch_vccnz .LBB256_619
; %bb.609:
	v_cmp_gt_i16_e32 vcc_lo, 6, v6
	s_cbranch_vccnz .LBB256_612
; %bb.610:
	v_cmp_lt_i16_e32 vcc_lo, 6, v6
	s_cbranch_vccz .LBB256_613
; %bb.611:
	global_load_b64 v[2:3], v[0:1], off
	s_mov_b32 s0, 0
	s_waitcnt vmcnt(0)
	v_cvt_f32_f64_e32 v2, v[2:3]
	s_branch .LBB256_614
.LBB256_612:
	s_mov_b32 s0, -1
                                        ; implicit-def: $vgpr2
	s_branch .LBB256_617
.LBB256_613:
	s_mov_b32 s0, -1
                                        ; implicit-def: $vgpr2
.LBB256_614:
	s_delay_alu instid0(SALU_CYCLE_1)
	s_and_not1_b32 vcc_lo, exec_lo, s0
	s_cbranch_vccnz .LBB256_616
; %bb.615:
	global_load_b32 v2, v[0:1], off
.LBB256_616:
	s_mov_b32 s0, 0
.LBB256_617:
	s_delay_alu instid0(SALU_CYCLE_1)
	s_and_not1_b32 vcc_lo, exec_lo, s0
	s_cbranch_vccnz .LBB256_619
; %bb.618:
	global_load_u16 v2, v[0:1], off
	s_waitcnt vmcnt(0)
	v_cvt_f32_f16_e32 v2, v2
.LBB256_619:
	s_mov_b32 s0, 0
.LBB256_620:
	s_delay_alu instid0(SALU_CYCLE_1)
	s_and_not1_b32 vcc_lo, exec_lo, s0
	s_cbranch_vccnz .LBB256_640
; %bb.621:
	v_cmp_gt_i16_e32 vcc_lo, 2, v6
	s_cbranch_vccnz .LBB256_625
; %bb.622:
	v_cmp_gt_i16_e32 vcc_lo, 3, v6
	s_cbranch_vccnz .LBB256_626
; %bb.623:
	v_cmp_lt_i16_e32 vcc_lo, 3, v6
	s_cbranch_vccz .LBB256_627
; %bb.624:
	global_load_b64 v[2:3], v[0:1], off
	s_mov_b32 s0, 0
	s_waitcnt vmcnt(0)
	v_xor_b32_e32 v7, v2, v3
	v_cls_i32_e32 v8, v3
	s_delay_alu instid0(VALU_DEP_2) | instskip(NEXT) | instid1(VALU_DEP_2)
	v_ashrrev_i32_e32 v7, 31, v7
	v_add_nc_u32_e32 v8, -1, v8
	s_delay_alu instid0(VALU_DEP_2) | instskip(NEXT) | instid1(VALU_DEP_1)
	v_add_nc_u32_e32 v7, 32, v7
	v_min_u32_e32 v7, v8, v7
	s_delay_alu instid0(VALU_DEP_1) | instskip(NEXT) | instid1(VALU_DEP_1)
	v_lshlrev_b64 v[2:3], v7, v[2:3]
	v_min_u32_e32 v2, 1, v2
	s_delay_alu instid0(VALU_DEP_1) | instskip(SKIP_1) | instid1(VALU_DEP_2)
	v_or_b32_e32 v2, v3, v2
	v_sub_nc_u32_e32 v3, 32, v7
	v_cvt_f32_i32_e32 v2, v2
	s_delay_alu instid0(VALU_DEP_1)
	v_ldexp_f32 v2, v2, v3
	s_branch .LBB256_628
.LBB256_625:
	s_mov_b32 s0, -1
                                        ; implicit-def: $vgpr2
	s_branch .LBB256_634
.LBB256_626:
	s_mov_b32 s0, -1
                                        ; implicit-def: $vgpr2
	s_branch .LBB256_631
.LBB256_627:
	s_mov_b32 s0, -1
                                        ; implicit-def: $vgpr2
.LBB256_628:
	s_delay_alu instid0(SALU_CYCLE_1)
	s_and_not1_b32 vcc_lo, exec_lo, s0
	s_cbranch_vccnz .LBB256_630
; %bb.629:
	global_load_b32 v2, v[0:1], off
	s_waitcnt vmcnt(0)
	v_cvt_f32_i32_e32 v2, v2
.LBB256_630:
	s_mov_b32 s0, 0
.LBB256_631:
	s_delay_alu instid0(SALU_CYCLE_1)
	s_and_not1_b32 vcc_lo, exec_lo, s0
	s_cbranch_vccnz .LBB256_633
; %bb.632:
	global_load_i16 v2, v[0:1], off
	s_waitcnt vmcnt(0)
	v_cvt_f32_i32_e32 v2, v2
.LBB256_633:
	s_mov_b32 s0, 0
.LBB256_634:
	s_delay_alu instid0(SALU_CYCLE_1)
	s_and_not1_b32 vcc_lo, exec_lo, s0
	s_cbranch_vccnz .LBB256_640
; %bb.635:
	v_cmp_lt_i16_e32 vcc_lo, 0, v6
	s_mov_b32 s0, 0
	s_cbranch_vccz .LBB256_637
; %bb.636:
	global_load_i8 v2, v[0:1], off
	s_waitcnt vmcnt(0)
	v_cvt_f32_i32_e32 v2, v2
	s_branch .LBB256_638
.LBB256_637:
	s_mov_b32 s0, -1
                                        ; implicit-def: $vgpr2
.LBB256_638:
	s_delay_alu instid0(SALU_CYCLE_1)
	s_and_not1_b32 vcc_lo, exec_lo, s0
	s_cbranch_vccnz .LBB256_640
; %bb.639:
	global_load_u8 v0, v[0:1], off
	s_waitcnt vmcnt(0)
	v_cvt_f32_ubyte0_e32 v2, v0
.LBB256_640:
	s_mov_b32 s0, -1
.LBB256_641:
	s_delay_alu instid0(SALU_CYCLE_1)
	s_and_not1_b32 vcc_lo, exec_lo, s0
	s_cbranch_vccnz .LBB256_649
; %bb.642:
	s_waitcnt vmcnt(0)
	s_delay_alu instid0(VALU_DEP_1) | instskip(SKIP_3) | instid1(VALU_DEP_2)
	v_mul_f32_e32 v0, 0x4f800000, v2
	v_cmp_gt_f32_e32 vcc_lo, 0xf800000, v2
	s_mov_b32 s19, -1
	s_mov_b32 s18, 0
	v_cndmask_b32_e32 v2, v2, v0, vcc_lo
	s_delay_alu instid0(VALU_DEP_1) | instskip(SKIP_3) | instid1(VALU_DEP_2)
	v_sqrt_f32_e32 v0, v2
	s_waitcnt_depctr 0xfff
	v_add_nc_u32_e32 v1, -1, v0
	v_add_nc_u32_e32 v3, 1, v0
	v_fma_f32 v7, -v1, v0, v2
	s_delay_alu instid0(VALU_DEP_2) | instskip(NEXT) | instid1(VALU_DEP_2)
	v_fma_f32 v8, -v3, v0, v2
	v_cmp_ge_f32_e64 s0, 0, v7
	v_and_b32_e32 v7, 0xff, v4
	s_delay_alu instid0(VALU_DEP_2) | instskip(NEXT) | instid1(VALU_DEP_4)
	v_cndmask_b32_e64 v0, v0, v1, s0
	v_cmp_lt_f32_e64 s0, 0, v8
	v_mul_lo_u32 v1, v5, s2
	s_delay_alu instid0(VALU_DEP_2) | instskip(SKIP_1) | instid1(VALU_DEP_3)
	v_cndmask_b32_e64 v0, v0, v3, s0
	v_cmp_gt_i16_e64 s0, 11, v7
	v_ashrrev_i32_e32 v8, 31, v1
	s_delay_alu instid0(VALU_DEP_3) | instskip(NEXT) | instid1(VALU_DEP_1)
	v_mul_f32_e32 v3, 0x37800000, v0
	v_cndmask_b32_e32 v3, v0, v3, vcc_lo
	v_add_co_u32 v0, vcc_lo, s4, v1
	s_delay_alu instid0(VALU_DEP_4) | instskip(SKIP_1) | instid1(VALU_DEP_4)
	v_add_co_ci_u32_e32 v1, vcc_lo, s5, v8, vcc_lo
	v_cmp_class_f32_e64 vcc_lo, v2, 0x260
	v_cndmask_b32_e32 v2, v3, v2, vcc_lo
	s_and_b32 vcc_lo, exec_lo, s0
	s_mov_b32 s0, s14
	s_cbranch_vccnz .LBB256_650
; %bb.643:
	v_cmp_lt_i16_e32 vcc_lo, 25, v7
	s_cbranch_vccz .LBB256_691
; %bb.644:
	v_cmp_lt_i16_e32 vcc_lo, 28, v7
	s_cbranch_vccz .LBB256_692
	;; [unrolled: 3-line block ×4, first 2 shown]
; %bb.647:
	v_cmp_eq_u16_e32 vcc_lo, 46, v7
	s_mov_b32 s19, 0
	s_mov_b32 s0, -1
	s_cbranch_vccz .LBB256_695
; %bb.648:
	v_bfe_u32 v3, v2, 16, 1
	v_cmp_o_f32_e32 vcc_lo, v2, v2
	s_mov_b32 s18, -1
	s_mov_b32 s0, 0
	s_delay_alu instid0(VALU_DEP_2) | instskip(NEXT) | instid1(VALU_DEP_1)
	v_add3_u32 v3, v2, v3, 0x7fff
	v_lshrrev_b32_e32 v3, 16, v3
	s_delay_alu instid0(VALU_DEP_1)
	v_cndmask_b32_e32 v3, 0x7fc0, v3, vcc_lo
	global_store_b32 v[0:1], v3, off
	s_branch .LBB256_695
.LBB256_649:
	s_mov_b32 s19, 0
	s_mov_b32 s0, s14
	s_branch .LBB256_690
.LBB256_650:
	s_and_b32 vcc_lo, exec_lo, s19
	s_cbranch_vccz .LBB256_764
; %bb.651:
	v_cmp_gt_i16_e32 vcc_lo, 5, v7
	s_mov_b32 s18, -1
	s_cbranch_vccnz .LBB256_672
; %bb.652:
	v_cmp_gt_i16_e32 vcc_lo, 8, v7
	s_cbranch_vccnz .LBB256_662
; %bb.653:
	v_cmp_gt_i16_e32 vcc_lo, 9, v7
	s_cbranch_vccnz .LBB256_659
; %bb.654:
	v_cmp_lt_i16_e32 vcc_lo, 9, v7
	s_cbranch_vccz .LBB256_656
; %bb.655:
	v_cvt_f64_f32_e32 v[8:9], v2
	v_mov_b32_e32 v10, 0
	s_mov_b32 s18, 0
	s_delay_alu instid0(VALU_DEP_1)
	v_mov_b32_e32 v11, v10
	global_store_b128 v[0:1], v[8:11], off
.LBB256_656:
	s_and_not1_b32 vcc_lo, exec_lo, s18
	s_cbranch_vccnz .LBB256_658
; %bb.657:
	v_mov_b32_e32 v3, 0
	global_store_b64 v[0:1], v[2:3], off
.LBB256_658:
	s_mov_b32 s18, 0
.LBB256_659:
	s_delay_alu instid0(SALU_CYCLE_1)
	s_and_not1_b32 vcc_lo, exec_lo, s18
	s_cbranch_vccnz .LBB256_661
; %bb.660:
	v_cvt_f16_f32_e32 v3, v2
	s_delay_alu instid0(VALU_DEP_1)
	v_and_b32_e32 v3, 0xffff, v3
	global_store_b32 v[0:1], v3, off
.LBB256_661:
	s_mov_b32 s18, 0
.LBB256_662:
	s_delay_alu instid0(SALU_CYCLE_1)
	s_and_not1_b32 vcc_lo, exec_lo, s18
	s_cbranch_vccnz .LBB256_671
; %bb.663:
	v_cmp_gt_i16_e32 vcc_lo, 6, v7
	s_mov_b32 s18, -1
	s_cbranch_vccnz .LBB256_669
; %bb.664:
	v_cmp_lt_i16_e32 vcc_lo, 6, v7
	s_cbranch_vccz .LBB256_666
; %bb.665:
	v_cvt_f64_f32_e32 v[8:9], v2
	s_mov_b32 s18, 0
	global_store_b64 v[0:1], v[8:9], off
.LBB256_666:
	s_and_not1_b32 vcc_lo, exec_lo, s18
	s_cbranch_vccnz .LBB256_668
; %bb.667:
	global_store_b32 v[0:1], v2, off
.LBB256_668:
	s_mov_b32 s18, 0
.LBB256_669:
	s_delay_alu instid0(SALU_CYCLE_1)
	s_and_not1_b32 vcc_lo, exec_lo, s18
	s_cbranch_vccnz .LBB256_671
; %bb.670:
	v_cvt_f16_f32_e32 v3, v2
	global_store_b16 v[0:1], v3, off
.LBB256_671:
	s_mov_b32 s18, 0
.LBB256_672:
	s_delay_alu instid0(SALU_CYCLE_1)
	s_and_not1_b32 vcc_lo, exec_lo, s18
	s_cbranch_vccnz .LBB256_688
; %bb.673:
	v_cmp_gt_i16_e32 vcc_lo, 2, v7
	s_mov_b32 s18, -1
	s_cbranch_vccnz .LBB256_683
; %bb.674:
	v_cmp_gt_i16_e32 vcc_lo, 3, v7
	s_cbranch_vccnz .LBB256_680
; %bb.675:
	v_cmp_lt_i16_e32 vcc_lo, 3, v7
	s_cbranch_vccz .LBB256_677
; %bb.676:
	v_trunc_f32_e32 v3, v2
	s_mov_b32 s18, 0
	s_delay_alu instid0(VALU_DEP_1) | instskip(NEXT) | instid1(VALU_DEP_1)
	v_mul_f32_e64 v8, 0x2f800000, |v3|
	v_floor_f32_e32 v8, v8
	s_delay_alu instid0(VALU_DEP_1) | instskip(SKIP_2) | instid1(VALU_DEP_3)
	v_fma_f32 v9, 0xcf800000, v8, |v3|
	v_ashrrev_i32_e32 v3, 31, v3
	v_cvt_u32_f32_e32 v8, v8
	v_cvt_u32_f32_e32 v9, v9
	s_delay_alu instid0(VALU_DEP_2) | instskip(NEXT) | instid1(VALU_DEP_2)
	v_xor_b32_e32 v10, v8, v3
	v_xor_b32_e32 v9, v9, v3
	s_delay_alu instid0(VALU_DEP_1) | instskip(NEXT) | instid1(VALU_DEP_3)
	v_sub_co_u32 v8, vcc_lo, v9, v3
	v_sub_co_ci_u32_e32 v9, vcc_lo, v10, v3, vcc_lo
	global_store_b64 v[0:1], v[8:9], off
.LBB256_677:
	s_and_not1_b32 vcc_lo, exec_lo, s18
	s_cbranch_vccnz .LBB256_679
; %bb.678:
	v_cvt_i32_f32_e32 v3, v2
	global_store_b32 v[0:1], v3, off
.LBB256_679:
	s_mov_b32 s18, 0
.LBB256_680:
	s_delay_alu instid0(SALU_CYCLE_1)
	s_and_not1_b32 vcc_lo, exec_lo, s18
	s_cbranch_vccnz .LBB256_682
; %bb.681:
	v_cvt_i32_f32_e32 v3, v2
	global_store_b16 v[0:1], v3, off
.LBB256_682:
	s_mov_b32 s18, 0
.LBB256_683:
	s_delay_alu instid0(SALU_CYCLE_1)
	s_and_not1_b32 vcc_lo, exec_lo, s18
	s_cbranch_vccnz .LBB256_688
; %bb.684:
	v_cmp_lt_i16_e32 vcc_lo, 0, v7
	s_mov_b32 s18, -1
	s_cbranch_vccz .LBB256_686
; %bb.685:
	v_cvt_i32_f32_e32 v3, v2
	s_mov_b32 s18, 0
	global_store_b8 v[0:1], v3, off
.LBB256_686:
	s_and_not1_b32 vcc_lo, exec_lo, s18
	s_cbranch_vccnz .LBB256_688
; %bb.687:
	v_trunc_f32_e32 v2, v2
	s_delay_alu instid0(VALU_DEP_1) | instskip(NEXT) | instid1(VALU_DEP_1)
	v_mul_f32_e64 v3, 0x2f800000, |v2|
	v_floor_f32_e32 v3, v3
	s_delay_alu instid0(VALU_DEP_1) | instskip(SKIP_1) | instid1(VALU_DEP_2)
	v_fma_f32 v3, 0xcf800000, v3, |v2|
	v_ashrrev_i32_e32 v2, 31, v2
	v_cvt_u32_f32_e32 v3, v3
	s_delay_alu instid0(VALU_DEP_1) | instskip(NEXT) | instid1(VALU_DEP_1)
	v_xor_b32_e32 v3, v3, v2
	v_sub_nc_u32_e32 v2, v3, v2
	global_store_b8 v[0:1], v2, off
.LBB256_688:
	s_branch .LBB256_765
.LBB256_689:
	s_mov_b32 s19, 0
.LBB256_690:
                                        ; implicit-def: $vgpr5
	s_branch .LBB256_766
.LBB256_691:
	s_mov_b32 s0, s14
	s_branch .LBB256_722
.LBB256_692:
	s_mov_b32 s0, s14
	s_branch .LBB256_705
.LBB256_693:
	s_mov_b32 s0, s14
	s_branch .LBB256_701
.LBB256_694:
	s_mov_b32 s0, s14
.LBB256_695:
	s_and_b32 vcc_lo, exec_lo, s19
	s_cbranch_vccz .LBB256_700
; %bb.696:
	v_cmp_eq_u16_e32 vcc_lo, 44, v7
	s_mov_b32 s0, -1
	s_cbranch_vccz .LBB256_700
; %bb.697:
	v_bfe_u32 v8, v2, 23, 8
	v_mov_b32_e32 v3, 0xff
	s_mov_b32 s18, exec_lo
	s_delay_alu instid0(VALU_DEP_2)
	v_cmpx_ne_u32_e32 0xff, v8
; %bb.698:
	v_and_b32_e32 v3, 0x400000, v2
	v_and_or_b32 v8, 0x3fffff, v2, v8
	s_delay_alu instid0(VALU_DEP_2) | instskip(NEXT) | instid1(VALU_DEP_2)
	v_cmp_ne_u32_e32 vcc_lo, 0, v3
	v_cmp_ne_u32_e64 s0, 0, v8
	v_lshrrev_b32_e32 v3, 23, v2
	s_delay_alu instid0(VALU_DEP_2) | instskip(NEXT) | instid1(SALU_CYCLE_1)
	s_and_b32 s0, vcc_lo, s0
	v_cndmask_b32_e64 v8, 0, 1, s0
	s_delay_alu instid0(VALU_DEP_1)
	v_add_nc_u32_e32 v3, v3, v8
; %bb.699:
	s_or_b32 exec_lo, exec_lo, s18
	s_mov_b32 s18, -1
	s_mov_b32 s0, 0
	global_store_b8 v[0:1], v3, off
.LBB256_700:
	s_mov_b32 s19, 0
.LBB256_701:
	s_delay_alu instid0(SALU_CYCLE_1)
	s_and_b32 vcc_lo, exec_lo, s19
	s_cbranch_vccz .LBB256_704
; %bb.702:
	v_cmp_eq_u16_e32 vcc_lo, 29, v7
	s_mov_b32 s0, -1
	s_cbranch_vccz .LBB256_704
; %bb.703:
	v_trunc_f32_e32 v3, v2
	s_mov_b32 s18, -1
	s_mov_b32 s0, 0
	s_mov_b32 s19, 0
	s_delay_alu instid0(VALU_DEP_1) | instskip(NEXT) | instid1(VALU_DEP_1)
	v_mul_f32_e32 v8, 0x2f800000, v3
	v_floor_f32_e32 v8, v8
	s_delay_alu instid0(VALU_DEP_1) | instskip(SKIP_1) | instid1(VALU_DEP_2)
	v_fmamk_f32 v3, v8, 0xcf800000, v3
	v_cvt_u32_f32_e32 v9, v8
	v_cvt_u32_f32_e32 v8, v3
	global_store_b64 v[0:1], v[8:9], off
	s_branch .LBB256_705
.LBB256_704:
	s_mov_b32 s19, 0
.LBB256_705:
	s_delay_alu instid0(SALU_CYCLE_1)
	s_and_b32 vcc_lo, exec_lo, s19
	s_cbranch_vccz .LBB256_721
; %bb.706:
	v_cmp_gt_i16_e32 vcc_lo, 27, v7
	s_mov_b32 s18, -1
	s_cbranch_vccnz .LBB256_712
; %bb.707:
	v_cmp_lt_i16_e32 vcc_lo, 27, v7
	s_cbranch_vccz .LBB256_709
; %bb.708:
	v_cvt_u32_f32_e32 v3, v2
	s_mov_b32 s18, 0
	global_store_b32 v[0:1], v3, off
.LBB256_709:
	s_and_not1_b32 vcc_lo, exec_lo, s18
	s_cbranch_vccnz .LBB256_711
; %bb.710:
	v_cvt_u32_f32_e32 v3, v2
	global_store_b16 v[0:1], v3, off
.LBB256_711:
	s_mov_b32 s18, 0
.LBB256_712:
	s_delay_alu instid0(SALU_CYCLE_1)
	s_and_not1_b32 vcc_lo, exec_lo, s18
	s_cbranch_vccnz .LBB256_720
; %bb.713:
	v_and_b32_e32 v3, 0x7fffffff, v2
	v_mov_b32_e32 v8, 0x80
	s_mov_b32 s18, exec_lo
	s_delay_alu instid0(VALU_DEP_2)
	v_cmpx_gt_u32_e32 0x43800000, v3
	s_cbranch_execz .LBB256_719
; %bb.714:
	v_cmp_lt_u32_e32 vcc_lo, 0x3bffffff, v3
	s_mov_b32 s19, 0
                                        ; implicit-def: $vgpr3
	s_and_saveexec_b32 s20, vcc_lo
	s_delay_alu instid0(SALU_CYCLE_1)
	s_xor_b32 s20, exec_lo, s20
	s_cbranch_execz .LBB256_780
; %bb.715:
	v_bfe_u32 v3, v2, 20, 1
	s_mov_b32 s19, exec_lo
	s_delay_alu instid0(VALU_DEP_1) | instskip(NEXT) | instid1(VALU_DEP_1)
	v_add3_u32 v3, v2, v3, 0x487ffff
	v_lshrrev_b32_e32 v3, 20, v3
	s_or_saveexec_b32 s20, s20
                                        ; implicit-def: $sgpr21
	s_delay_alu instid0(SALU_CYCLE_1)
	s_xor_b32 exec_lo, exec_lo, s20
	s_cbranch_execnz .LBB256_781
.LBB256_716:
	s_or_b32 exec_lo, exec_lo, s20
	v_mov_b32_e32 v8, s21
	s_and_saveexec_b32 s20, s19
.LBB256_717:
	v_lshrrev_b32_e32 v8, 24, v2
	s_delay_alu instid0(VALU_DEP_1)
	v_and_or_b32 v8, 0x80, v8, v3
.LBB256_718:
	s_or_b32 exec_lo, exec_lo, s20
.LBB256_719:
	s_delay_alu instid0(SALU_CYCLE_1)
	s_or_b32 exec_lo, exec_lo, s18
	global_store_b8 v[0:1], v8, off
.LBB256_720:
	s_mov_b32 s18, -1
.LBB256_721:
	s_mov_b32 s19, 0
.LBB256_722:
	s_delay_alu instid0(SALU_CYCLE_1)
	s_and_b32 vcc_lo, exec_lo, s19
	s_cbranch_vccz .LBB256_763
; %bb.723:
	v_cmp_lt_i16_e32 vcc_lo, 22, v7
	s_mov_b32 s19, -1
	s_cbranch_vccz .LBB256_755
; %bb.724:
	v_cmp_gt_i16_e32 vcc_lo, 24, v7
	s_mov_b32 s18, -1
	s_cbranch_vccnz .LBB256_744
; %bb.725:
	v_cmp_lt_i16_e32 vcc_lo, 24, v7
	s_cbranch_vccz .LBB256_733
; %bb.726:
	v_and_b32_e32 v3, 0x7fffffff, v2
	v_mov_b32_e32 v8, 0x80
	s_mov_b32 s18, exec_lo
	s_delay_alu instid0(VALU_DEP_2)
	v_cmpx_gt_u32_e32 0x47800000, v3
	s_cbranch_execz .LBB256_732
; %bb.727:
	v_cmp_lt_u32_e32 vcc_lo, 0x37ffffff, v3
	s_mov_b32 s19, 0
                                        ; implicit-def: $vgpr3
	s_and_saveexec_b32 s20, vcc_lo
	s_delay_alu instid0(SALU_CYCLE_1)
	s_xor_b32 s20, exec_lo, s20
	s_cbranch_execz .LBB256_783
; %bb.728:
	v_bfe_u32 v3, v2, 21, 1
	s_mov_b32 s19, exec_lo
	s_delay_alu instid0(VALU_DEP_1) | instskip(NEXT) | instid1(VALU_DEP_1)
	v_add3_u32 v3, v2, v3, 0x88fffff
	v_lshrrev_b32_e32 v3, 21, v3
	s_or_saveexec_b32 s20, s20
                                        ; implicit-def: $sgpr21
	s_delay_alu instid0(SALU_CYCLE_1)
	s_xor_b32 exec_lo, exec_lo, s20
	s_cbranch_execnz .LBB256_784
.LBB256_729:
	s_or_b32 exec_lo, exec_lo, s20
	v_mov_b32_e32 v8, s21
	s_and_saveexec_b32 s20, s19
.LBB256_730:
	v_lshrrev_b32_e32 v8, 24, v2
	s_delay_alu instid0(VALU_DEP_1)
	v_and_or_b32 v8, 0x80, v8, v3
.LBB256_731:
	s_or_b32 exec_lo, exec_lo, s20
.LBB256_732:
	s_delay_alu instid0(SALU_CYCLE_1)
	s_or_b32 exec_lo, exec_lo, s18
	s_mov_b32 s18, 0
	global_store_b8 v[0:1], v8, off
.LBB256_733:
	s_and_b32 vcc_lo, exec_lo, s18
	s_cbranch_vccz .LBB256_743
; %bb.734:
	v_and_b32_e32 v8, 0x7fffffff, v2
	s_mov_b32 s18, exec_lo
                                        ; implicit-def: $vgpr3
	s_delay_alu instid0(VALU_DEP_1)
	v_cmpx_gt_u32_e32 0x43f00000, v8
	s_xor_b32 s18, exec_lo, s18
	s_cbranch_execz .LBB256_740
; %bb.735:
	s_mov_b32 s19, exec_lo
                                        ; implicit-def: $vgpr3
	v_cmpx_lt_u32_e32 0x3c7fffff, v8
	s_xor_b32 s19, exec_lo, s19
; %bb.736:
	v_bfe_u32 v3, v2, 20, 1
	s_delay_alu instid0(VALU_DEP_1) | instskip(NEXT) | instid1(VALU_DEP_1)
	v_add3_u32 v3, v2, v3, 0x407ffff
	v_and_b32_e32 v8, 0xff00000, v3
	v_lshrrev_b32_e32 v3, 20, v3
	s_delay_alu instid0(VALU_DEP_2) | instskip(NEXT) | instid1(VALU_DEP_2)
	v_cmp_ne_u32_e32 vcc_lo, 0x7f00000, v8
	v_cndmask_b32_e32 v3, 0x7e, v3, vcc_lo
; %bb.737:
	s_and_not1_saveexec_b32 s19, s19
; %bb.738:
	v_add_f32_e64 v3, 0x46800000, |v2|
; %bb.739:
	s_or_b32 exec_lo, exec_lo, s19
                                        ; implicit-def: $vgpr8
.LBB256_740:
	s_and_not1_saveexec_b32 s18, s18
; %bb.741:
	v_mov_b32_e32 v3, 0x7f
	v_cmp_lt_u32_e32 vcc_lo, 0x7f800000, v8
	s_delay_alu instid0(VALU_DEP_2)
	v_cndmask_b32_e32 v3, 0x7e, v3, vcc_lo
; %bb.742:
	s_or_b32 exec_lo, exec_lo, s18
	v_lshrrev_b32_e32 v8, 24, v2
	s_delay_alu instid0(VALU_DEP_1)
	v_and_or_b32 v3, 0x80, v8, v3
	global_store_b8 v[0:1], v3, off
.LBB256_743:
	s_mov_b32 s18, 0
.LBB256_744:
	s_delay_alu instid0(SALU_CYCLE_1)
	s_and_not1_b32 vcc_lo, exec_lo, s18
	s_cbranch_vccnz .LBB256_754
; %bb.745:
	v_and_b32_e32 v8, 0x7fffffff, v2
	s_mov_b32 s18, exec_lo
                                        ; implicit-def: $vgpr3
	s_delay_alu instid0(VALU_DEP_1)
	v_cmpx_gt_u32_e32 0x47800000, v8
	s_xor_b32 s18, exec_lo, s18
	s_cbranch_execz .LBB256_751
; %bb.746:
	s_mov_b32 s19, exec_lo
                                        ; implicit-def: $vgpr3
	v_cmpx_lt_u32_e32 0x387fffff, v8
	s_xor_b32 s19, exec_lo, s19
; %bb.747:
	v_bfe_u32 v3, v2, 21, 1
	s_delay_alu instid0(VALU_DEP_1) | instskip(NEXT) | instid1(VALU_DEP_1)
	v_add3_u32 v3, v2, v3, 0x80fffff
	v_lshrrev_b32_e32 v3, 21, v3
; %bb.748:
	s_and_not1_saveexec_b32 s19, s19
; %bb.749:
	v_add_f32_e64 v3, 0x43000000, |v2|
; %bb.750:
	s_or_b32 exec_lo, exec_lo, s19
                                        ; implicit-def: $vgpr8
.LBB256_751:
	s_and_not1_saveexec_b32 s18, s18
; %bb.752:
	v_mov_b32_e32 v3, 0x7f
	v_cmp_lt_u32_e32 vcc_lo, 0x7f800000, v8
	s_delay_alu instid0(VALU_DEP_2)
	v_cndmask_b32_e32 v3, 0x7c, v3, vcc_lo
; %bb.753:
	s_or_b32 exec_lo, exec_lo, s18
	v_lshrrev_b32_e32 v8, 24, v2
	s_delay_alu instid0(VALU_DEP_1)
	v_and_or_b32 v3, 0x80, v8, v3
	global_store_b8 v[0:1], v3, off
.LBB256_754:
	s_mov_b32 s19, 0
	s_mov_b32 s18, -1
.LBB256_755:
	s_and_not1_b32 vcc_lo, exec_lo, s19
	s_cbranch_vccnz .LBB256_763
; %bb.756:
	v_cmp_lt_i16_e32 vcc_lo, 14, v7
	s_mov_b32 s19, -1
	s_cbranch_vccz .LBB256_760
; %bb.757:
	v_cmp_eq_u16_e32 vcc_lo, 15, v7
	s_mov_b32 s0, -1
	s_cbranch_vccz .LBB256_759
; %bb.758:
	v_bfe_u32 v3, v2, 16, 1
	v_cmp_o_f32_e32 vcc_lo, v2, v2
	s_mov_b32 s18, -1
	s_mov_b32 s0, 0
	s_delay_alu instid0(VALU_DEP_2) | instskip(NEXT) | instid1(VALU_DEP_1)
	v_add3_u32 v3, v2, v3, 0x7fff
	v_lshrrev_b32_e32 v3, 16, v3
	s_delay_alu instid0(VALU_DEP_1)
	v_cndmask_b32_e32 v3, 0x7fc0, v3, vcc_lo
	global_store_b16 v[0:1], v3, off
.LBB256_759:
	s_mov_b32 s19, 0
.LBB256_760:
	s_delay_alu instid0(SALU_CYCLE_1)
	s_and_b32 vcc_lo, exec_lo, s19
	s_cbranch_vccz .LBB256_763
; %bb.761:
	v_cmp_eq_u16_e32 vcc_lo, 11, v7
	s_mov_b32 s0, -1
	s_cbranch_vccz .LBB256_763
; %bb.762:
	v_cmp_neq_f32_e32 vcc_lo, 0, v2
	s_mov_b32 s0, 0
	s_mov_b32 s18, -1
	v_cndmask_b32_e64 v3, 0, 1, vcc_lo
	global_store_b8 v[0:1], v3, off
.LBB256_763:
.LBB256_764:
	s_and_not1_b32 vcc_lo, exec_lo, s18
	s_cbranch_vccnz .LBB256_689
.LBB256_765:
	v_add_nc_u32_e32 v5, 0x80, v5
	s_mov_b32 s19, -1
.LBB256_766:
	s_and_not1_b32 s18, s14, exec_lo
	s_and_b32 s0, s0, exec_lo
	s_and_not1_b32 s20, s13, exec_lo
	s_and_b32 s17, s17, exec_lo
	s_or_b32 s18, s18, s0
	s_or_b32 s17, s20, s17
	s_or_not1_b32 s0, s19, exec_lo
.LBB256_767:
	s_or_b32 exec_lo, exec_lo, s16
	s_mov_b32 s19, 0
	s_mov_b32 s20, 0
	;; [unrolled: 1-line block ×3, first 2 shown]
                                        ; implicit-def: $vgpr0_vgpr1
                                        ; implicit-def: $vgpr3
	s_and_saveexec_b32 s16, s0
	s_cbranch_execz .LBB256_852
; %bb.768:
	v_cmp_gt_i32_e32 vcc_lo, s10, v5
	s_mov_b32 s0, 0
	s_mov_b32 s19, s17
                                        ; implicit-def: $vgpr0_vgpr1
                                        ; implicit-def: $vgpr3
	s_and_saveexec_b32 s10, vcc_lo
	s_cbranch_execz .LBB256_851
; %bb.769:
	v_mul_lo_u32 v0, v5, s3
	v_cmp_gt_i16_e32 vcc_lo, 11, v6
	s_delay_alu instid0(VALU_DEP_2) | instskip(SKIP_1) | instid1(VALU_DEP_1)
	v_ashrrev_i32_e32 v1, 31, v0
	v_add_co_u32 v0, s0, s6, v0
	v_add_co_ci_u32_e64 v1, s0, s7, v1, s0
	s_cbranch_vccnz .LBB256_776
; %bb.770:
	v_cmp_lt_i16_e32 vcc_lo, 25, v6
	s_mov_b32 s19, 0
	s_cbranch_vccz .LBB256_777
; %bb.771:
	v_cmp_lt_i16_e32 vcc_lo, 28, v6
	s_cbranch_vccz .LBB256_778
; %bb.772:
	v_cmp_lt_i16_e32 vcc_lo, 43, v6
	s_cbranch_vccz .LBB256_779
; %bb.773:
	v_cmp_lt_i16_e32 vcc_lo, 45, v6
	s_cbranch_vccz .LBB256_782
; %bb.774:
	v_cmp_eq_u16_e32 vcc_lo, 46, v6
	s_cbranch_vccz .LBB256_785
; %bb.775:
	global_load_b32 v2, v[0:1], off
	s_mov_b32 s0, 0
	s_mov_b32 s20, -1
	s_waitcnt vmcnt(0)
	v_lshlrev_b32_e32 v3, 16, v2
	s_branch .LBB256_787
.LBB256_776:
	s_mov_b32 s22, -1
	s_mov_b32 s19, 0
	s_mov_b32 s0, s17
                                        ; implicit-def: $vgpr3
	s_branch .LBB256_850
.LBB256_777:
	s_mov_b32 s21, -1
	s_mov_b32 s0, s17
                                        ; implicit-def: $vgpr3
	s_branch .LBB256_816
.LBB256_778:
	s_mov_b32 s21, -1
	s_mov_b32 s0, s17
                                        ; implicit-def: $vgpr3
	s_branch .LBB256_797
.LBB256_779:
	s_mov_b32 s21, -1
	s_mov_b32 s0, s17
                                        ; implicit-def: $vgpr3
	s_branch .LBB256_792
.LBB256_780:
	s_or_saveexec_b32 s20, s20
                                        ; implicit-def: $sgpr21
	s_delay_alu instid0(SALU_CYCLE_1)
	s_xor_b32 exec_lo, exec_lo, s20
	s_cbranch_execz .LBB256_716
.LBB256_781:
	v_add_f32_e64 v3, 0x46000000, |v2|
	s_and_not1_b32 s19, s19, exec_lo
	s_mov_b32 s21, 0
	s_delay_alu instid0(VALU_DEP_1) | instskip(NEXT) | instid1(VALU_DEP_1)
	v_and_b32_e32 v3, 0xff, v3
	v_cmp_ne_u32_e32 vcc_lo, 0, v3
	s_and_b32 s22, vcc_lo, exec_lo
	s_delay_alu instid0(SALU_CYCLE_1)
	s_or_b32 s19, s19, s22
	s_or_b32 exec_lo, exec_lo, s20
	v_mov_b32_e32 v8, s21
	s_and_saveexec_b32 s20, s19
	s_cbranch_execnz .LBB256_717
	s_branch .LBB256_718
.LBB256_782:
	s_mov_b32 s21, -1
	s_mov_b32 s0, s17
	s_branch .LBB256_786
.LBB256_783:
	s_or_saveexec_b32 s20, s20
                                        ; implicit-def: $sgpr21
	s_delay_alu instid0(SALU_CYCLE_1)
	s_xor_b32 exec_lo, exec_lo, s20
	s_cbranch_execz .LBB256_729
.LBB256_784:
	v_add_f32_e64 v3, 0x42800000, |v2|
	s_and_not1_b32 s19, s19, exec_lo
	s_mov_b32 s21, 0
	s_delay_alu instid0(VALU_DEP_1) | instskip(NEXT) | instid1(VALU_DEP_1)
	v_and_b32_e32 v3, 0xff, v3
	v_cmp_ne_u32_e32 vcc_lo, 0, v3
	s_and_b32 s22, vcc_lo, exec_lo
	s_delay_alu instid0(SALU_CYCLE_1)
	s_or_b32 s19, s19, s22
	s_or_b32 exec_lo, exec_lo, s20
	v_mov_b32_e32 v8, s21
	s_and_saveexec_b32 s20, s19
	s_cbranch_execnz .LBB256_730
	s_branch .LBB256_731
.LBB256_785:
	s_mov_b32 s0, -1
.LBB256_786:
                                        ; implicit-def: $vgpr3
.LBB256_787:
	s_and_b32 vcc_lo, exec_lo, s21
	s_cbranch_vccz .LBB256_791
; %bb.788:
	v_cmp_eq_u16_e32 vcc_lo, 44, v6
	s_cbranch_vccz .LBB256_790
; %bb.789:
	global_load_u8 v2, v[0:1], off
	s_mov_b32 s0, 0
	s_mov_b32 s20, -1
	s_waitcnt vmcnt(0)
	v_lshlrev_b32_e32 v3, 23, v2
	v_cmp_ne_u32_e32 vcc_lo, 0xff, v2
	s_delay_alu instid0(VALU_DEP_2) | instskip(SKIP_1) | instid1(VALU_DEP_2)
	v_cndmask_b32_e32 v3, 0x7f800001, v3, vcc_lo
	v_cmp_ne_u32_e32 vcc_lo, 0, v2
	v_cndmask_b32_e32 v3, 0x400000, v3, vcc_lo
	s_branch .LBB256_791
.LBB256_790:
	s_mov_b32 s0, -1
                                        ; implicit-def: $vgpr3
.LBB256_791:
	s_mov_b32 s21, 0
.LBB256_792:
	s_delay_alu instid0(SALU_CYCLE_1)
	s_and_b32 vcc_lo, exec_lo, s21
	s_cbranch_vccz .LBB256_796
; %bb.793:
	v_cmp_eq_u16_e32 vcc_lo, 29, v6
	s_cbranch_vccz .LBB256_795
; %bb.794:
	global_load_b64 v[2:3], v[0:1], off
	s_mov_b32 s0, 0
	s_mov_b32 s20, -1
	s_mov_b32 s21, 0
	s_waitcnt vmcnt(0)
	v_clz_i32_u32_e32 v7, v3
	s_delay_alu instid0(VALU_DEP_1) | instskip(NEXT) | instid1(VALU_DEP_1)
	v_min_u32_e32 v7, 32, v7
	v_lshlrev_b64 v[2:3], v7, v[2:3]
	s_delay_alu instid0(VALU_DEP_1) | instskip(NEXT) | instid1(VALU_DEP_1)
	v_min_u32_e32 v2, 1, v2
	v_or_b32_e32 v2, v3, v2
	v_sub_nc_u32_e32 v3, 32, v7
	s_delay_alu instid0(VALU_DEP_2) | instskip(NEXT) | instid1(VALU_DEP_1)
	v_cvt_f32_u32_e32 v2, v2
	v_ldexp_f32 v3, v2, v3
	s_branch .LBB256_797
.LBB256_795:
	s_mov_b32 s0, -1
                                        ; implicit-def: $vgpr3
.LBB256_796:
	s_mov_b32 s21, 0
.LBB256_797:
	s_delay_alu instid0(SALU_CYCLE_1)
	s_and_b32 vcc_lo, exec_lo, s21
	s_cbranch_vccz .LBB256_815
; %bb.798:
	v_cmp_gt_i16_e32 vcc_lo, 27, v6
	s_cbranch_vccnz .LBB256_801
; %bb.799:
	v_cmp_lt_i16_e32 vcc_lo, 27, v6
	s_cbranch_vccz .LBB256_802
; %bb.800:
	global_load_b32 v2, v[0:1], off
	s_mov_b32 s20, 0
	s_waitcnt vmcnt(0)
	v_cvt_f32_u32_e32 v3, v2
	s_branch .LBB256_803
.LBB256_801:
	s_mov_b32 s20, -1
                                        ; implicit-def: $vgpr3
	s_branch .LBB256_806
.LBB256_802:
	s_mov_b32 s20, -1
                                        ; implicit-def: $vgpr3
.LBB256_803:
	s_delay_alu instid0(SALU_CYCLE_1)
	s_and_not1_b32 vcc_lo, exec_lo, s20
	s_cbranch_vccnz .LBB256_805
; %bb.804:
	global_load_u16 v2, v[0:1], off
	s_waitcnt vmcnt(0)
	v_cvt_f32_u32_e32 v3, v2
.LBB256_805:
	s_mov_b32 s20, 0
.LBB256_806:
	s_delay_alu instid0(SALU_CYCLE_1)
	s_and_not1_b32 vcc_lo, exec_lo, s20
	s_cbranch_vccnz .LBB256_814
; %bb.807:
	global_load_u8 v2, v[0:1], off
	s_mov_b32 s20, 0
	s_mov_b32 s22, exec_lo
                                        ; implicit-def: $sgpr21
	s_waitcnt vmcnt(0)
	v_cmpx_lt_i16_e32 0x7f, v2
	s_xor_b32 s22, exec_lo, s22
	s_cbranch_execz .LBB256_828
; %bb.808:
	s_mov_b32 s20, -1
	s_mov_b32 s23, exec_lo
                                        ; implicit-def: $sgpr21
	v_cmpx_eq_u16_e32 0x80, v2
; %bb.809:
	s_mov_b32 s21, 0x7f800001
	s_xor_b32 s20, exec_lo, -1
; %bb.810:
	s_or_b32 exec_lo, exec_lo, s23
	s_delay_alu instid0(SALU_CYCLE_1)
	s_and_b32 s20, s20, exec_lo
	s_or_saveexec_b32 s22, s22
	v_mov_b32_e32 v3, s21
	s_xor_b32 exec_lo, exec_lo, s22
	s_cbranch_execnz .LBB256_829
.LBB256_811:
	s_or_b32 exec_lo, exec_lo, s22
	s_and_saveexec_b32 s21, s20
	s_cbranch_execz .LBB256_813
.LBB256_812:
	v_and_b32_e32 v3, 0xffff, v2
	s_delay_alu instid0(VALU_DEP_1) | instskip(NEXT) | instid1(VALU_DEP_1)
	v_and_b32_e32 v7, 7, v3
	v_clz_i32_u32_e32 v8, v7
	s_delay_alu instid0(VALU_DEP_1) | instskip(NEXT) | instid1(VALU_DEP_1)
	v_min_u32_e32 v8, 32, v8
	v_subrev_nc_u32_e32 v9, 28, v8
	v_sub_nc_u32_e32 v8, 29, v8
	s_delay_alu instid0(VALU_DEP_2) | instskip(SKIP_1) | instid1(VALU_DEP_2)
	v_lshlrev_b32_e32 v9, v9, v3
	v_bfe_u32 v3, v3, 3, 4
	v_and_b32_e32 v9, 7, v9
	s_delay_alu instid0(VALU_DEP_2) | instskip(SKIP_1) | instid1(VALU_DEP_1)
	v_cmp_eq_u32_e32 vcc_lo, 0, v3
	v_dual_cndmask_b32 v3, v3, v8 :: v_dual_lshlrev_b32 v2, 24, v2
	v_dual_cndmask_b32 v7, v7, v9 :: v_dual_and_b32 v2, 0x80000000, v2
	s_delay_alu instid0(VALU_DEP_2) | instskip(NEXT) | instid1(VALU_DEP_2)
	v_lshl_add_u32 v3, v3, 23, 0x3b800000
	v_lshlrev_b32_e32 v7, 20, v7
	s_delay_alu instid0(VALU_DEP_1)
	v_or3_b32 v3, v2, v3, v7
.LBB256_813:
	s_or_b32 exec_lo, exec_lo, s21
.LBB256_814:
	s_mov_b32 s20, -1
.LBB256_815:
	s_mov_b32 s21, 0
.LBB256_816:
	s_delay_alu instid0(SALU_CYCLE_1)
	s_and_b32 vcc_lo, exec_lo, s21
	s_cbranch_vccz .LBB256_849
; %bb.817:
	v_cmp_lt_i16_e32 vcc_lo, 22, v6
	s_cbranch_vccz .LBB256_827
; %bb.818:
	v_cmp_gt_i16_e32 vcc_lo, 24, v6
	s_cbranch_vccnz .LBB256_830
; %bb.819:
	v_cmp_lt_i16_e32 vcc_lo, 24, v6
	s_cbranch_vccz .LBB256_831
; %bb.820:
	global_load_u8 v2, v[0:1], off
	s_mov_b32 s21, exec_lo
                                        ; implicit-def: $sgpr20
	s_waitcnt vmcnt(0)
	v_cmpx_lt_i16_e32 0x7f, v2
	s_xor_b32 s21, exec_lo, s21
	s_cbranch_execz .LBB256_843
; %bb.821:
	s_mov_b32 s19, -1
	s_mov_b32 s22, exec_lo
                                        ; implicit-def: $sgpr20
	v_cmpx_eq_u16_e32 0x80, v2
; %bb.822:
	s_mov_b32 s20, 0x7f800001
	s_xor_b32 s19, exec_lo, -1
; %bb.823:
	s_or_b32 exec_lo, exec_lo, s22
	s_delay_alu instid0(SALU_CYCLE_1)
	s_and_b32 s19, s19, exec_lo
	s_or_saveexec_b32 s21, s21
	v_mov_b32_e32 v3, s20
	s_xor_b32 exec_lo, exec_lo, s21
	s_cbranch_execnz .LBB256_844
.LBB256_824:
	s_or_b32 exec_lo, exec_lo, s21
	s_and_saveexec_b32 s20, s19
	s_cbranch_execz .LBB256_826
.LBB256_825:
	v_and_b32_e32 v3, 0xffff, v2
	s_delay_alu instid0(VALU_DEP_1) | instskip(NEXT) | instid1(VALU_DEP_1)
	v_and_b32_e32 v7, 3, v3
	v_clz_i32_u32_e32 v8, v7
	s_delay_alu instid0(VALU_DEP_1) | instskip(NEXT) | instid1(VALU_DEP_1)
	v_min_u32_e32 v8, 32, v8
	v_subrev_nc_u32_e32 v9, 29, v8
	v_sub_nc_u32_e32 v8, 30, v8
	s_delay_alu instid0(VALU_DEP_2) | instskip(SKIP_1) | instid1(VALU_DEP_2)
	v_lshlrev_b32_e32 v9, v9, v3
	v_bfe_u32 v3, v3, 2, 5
	v_and_b32_e32 v9, 3, v9
	s_delay_alu instid0(VALU_DEP_2) | instskip(SKIP_1) | instid1(VALU_DEP_1)
	v_cmp_eq_u32_e32 vcc_lo, 0, v3
	v_dual_cndmask_b32 v3, v3, v8 :: v_dual_lshlrev_b32 v2, 24, v2
	v_dual_cndmask_b32 v7, v7, v9 :: v_dual_and_b32 v2, 0x80000000, v2
	s_delay_alu instid0(VALU_DEP_2) | instskip(NEXT) | instid1(VALU_DEP_2)
	v_lshl_add_u32 v3, v3, 23, 0x37800000
	v_lshlrev_b32_e32 v7, 21, v7
	s_delay_alu instid0(VALU_DEP_1)
	v_or3_b32 v3, v2, v3, v7
.LBB256_826:
	s_or_b32 exec_lo, exec_lo, s20
	s_mov_b32 s19, 0
	s_branch .LBB256_832
.LBB256_827:
	s_mov_b32 s19, -1
                                        ; implicit-def: $vgpr3
	s_branch .LBB256_838
.LBB256_828:
	s_or_saveexec_b32 s22, s22
	v_mov_b32_e32 v3, s21
	s_xor_b32 exec_lo, exec_lo, s22
	s_cbranch_execz .LBB256_811
.LBB256_829:
	v_cmp_ne_u16_e32 vcc_lo, 0, v2
	v_mov_b32_e32 v3, 0
	s_and_not1_b32 s20, s20, exec_lo
	s_and_b32 s21, vcc_lo, exec_lo
	s_delay_alu instid0(SALU_CYCLE_1)
	s_or_b32 s20, s20, s21
	s_or_b32 exec_lo, exec_lo, s22
	s_and_saveexec_b32 s21, s20
	s_cbranch_execnz .LBB256_812
	s_branch .LBB256_813
.LBB256_830:
	s_mov_b32 s19, -1
                                        ; implicit-def: $vgpr3
	s_branch .LBB256_835
.LBB256_831:
	s_mov_b32 s19, -1
                                        ; implicit-def: $vgpr3
.LBB256_832:
	s_delay_alu instid0(SALU_CYCLE_1)
	s_and_b32 vcc_lo, exec_lo, s19
	s_cbranch_vccz .LBB256_834
; %bb.833:
	global_load_u8 v2, v[0:1], off
	s_waitcnt vmcnt(0)
	v_lshlrev_b32_e32 v2, 24, v2
	s_delay_alu instid0(VALU_DEP_1) | instskip(NEXT) | instid1(VALU_DEP_1)
	v_and_b32_e32 v3, 0x7f000000, v2
	v_clz_i32_u32_e32 v7, v3
	v_add_nc_u32_e32 v9, 0x1000000, v3
	v_cmp_ne_u32_e32 vcc_lo, 0, v3
	s_delay_alu instid0(VALU_DEP_3) | instskip(NEXT) | instid1(VALU_DEP_1)
	v_min_u32_e32 v7, 32, v7
	v_sub_nc_u32_e64 v7, v7, 4 clamp
	s_delay_alu instid0(VALU_DEP_1) | instskip(SKIP_1) | instid1(VALU_DEP_2)
	v_lshlrev_b32_e32 v8, v7, v3
	v_lshlrev_b32_e32 v7, 23, v7
	v_lshrrev_b32_e32 v8, 4, v8
	s_delay_alu instid0(VALU_DEP_1) | instskip(SKIP_1) | instid1(VALU_DEP_2)
	v_sub_nc_u32_e32 v7, v8, v7
	v_ashrrev_i32_e32 v8, 8, v9
	v_add_nc_u32_e32 v7, 0x3c000000, v7
	s_delay_alu instid0(VALU_DEP_1) | instskip(NEXT) | instid1(VALU_DEP_1)
	v_and_or_b32 v7, 0x7f800000, v8, v7
	v_cndmask_b32_e32 v3, 0, v7, vcc_lo
	s_delay_alu instid0(VALU_DEP_1)
	v_and_or_b32 v3, 0x80000000, v2, v3
.LBB256_834:
	s_mov_b32 s19, 0
.LBB256_835:
	s_delay_alu instid0(SALU_CYCLE_1)
	s_and_not1_b32 vcc_lo, exec_lo, s19
	s_cbranch_vccnz .LBB256_837
; %bb.836:
	global_load_u8 v2, v[0:1], off
	s_waitcnt vmcnt(0)
	v_lshlrev_b32_e32 v3, 25, v2
	v_lshlrev_b16 v2, 8, v2
	s_delay_alu instid0(VALU_DEP_1) | instskip(SKIP_1) | instid1(VALU_DEP_2)
	v_and_or_b32 v8, 0x7f00, v2, 0.5
	v_bfe_i32 v2, v2, 0, 16
	v_add_f32_e32 v8, -0.5, v8
	v_lshrrev_b32_e32 v7, 4, v3
	v_cmp_gt_u32_e32 vcc_lo, 0x8000000, v3
	s_delay_alu instid0(VALU_DEP_2) | instskip(NEXT) | instid1(VALU_DEP_1)
	v_or_b32_e32 v7, 0x70000000, v7
	v_mul_f32_e32 v7, 0x7800000, v7
	s_delay_alu instid0(VALU_DEP_1) | instskip(NEXT) | instid1(VALU_DEP_1)
	v_cndmask_b32_e32 v3, v7, v8, vcc_lo
	v_and_or_b32 v3, 0x80000000, v2, v3
.LBB256_837:
	s_mov_b32 s19, 0
	s_mov_b32 s20, -1
.LBB256_838:
	s_and_not1_b32 vcc_lo, exec_lo, s19
	s_mov_b32 s19, 0
	s_cbranch_vccnz .LBB256_849
; %bb.839:
	v_cmp_lt_i16_e32 vcc_lo, 14, v6
	s_cbranch_vccz .LBB256_842
; %bb.840:
	v_cmp_eq_u16_e32 vcc_lo, 15, v6
	s_cbranch_vccz .LBB256_845
; %bb.841:
	global_load_u16 v2, v[0:1], off
	s_mov_b32 s0, 0
	s_mov_b32 s20, -1
	s_waitcnt vmcnt(0)
	v_lshlrev_b32_e32 v3, 16, v2
	s_branch .LBB256_847
.LBB256_842:
	s_mov_b32 s19, -1
	s_branch .LBB256_846
.LBB256_843:
	s_or_saveexec_b32 s21, s21
	v_mov_b32_e32 v3, s20
	s_xor_b32 exec_lo, exec_lo, s21
	s_cbranch_execz .LBB256_824
.LBB256_844:
	v_cmp_ne_u16_e32 vcc_lo, 0, v2
	v_mov_b32_e32 v3, 0
	s_and_not1_b32 s19, s19, exec_lo
	s_and_b32 s20, vcc_lo, exec_lo
	s_delay_alu instid0(SALU_CYCLE_1)
	s_or_b32 s19, s19, s20
	s_or_b32 exec_lo, exec_lo, s21
	s_and_saveexec_b32 s20, s19
	s_cbranch_execnz .LBB256_825
	s_branch .LBB256_826
.LBB256_845:
	s_mov_b32 s0, -1
.LBB256_846:
                                        ; implicit-def: $vgpr3
.LBB256_847:
	s_and_b32 vcc_lo, exec_lo, s19
	s_mov_b32 s19, 0
	s_cbranch_vccz .LBB256_849
; %bb.848:
	v_cmp_ne_u16_e32 vcc_lo, 11, v6
	s_and_not1_b32 s0, s0, exec_lo
	s_mov_b32 s19, -1
                                        ; implicit-def: $vgpr3
	s_and_b32 s21, vcc_lo, exec_lo
	s_delay_alu instid0(SALU_CYCLE_1)
	s_or_b32 s0, s0, s21
.LBB256_849:
	s_mov_b32 s22, 0
.LBB256_850:
	s_and_b32 s21, s20, exec_lo
	s_and_b32 s20, s22, exec_lo
	s_and_not1_b32 s22, s17, exec_lo
	s_and_b32 s23, s0, exec_lo
	s_and_b32 s0, s19, exec_lo
	s_or_b32 s19, s22, s23
.LBB256_851:
	s_or_b32 exec_lo, exec_lo, s10
	s_delay_alu instid0(SALU_CYCLE_1)
	s_and_not1_b32 s10, s17, exec_lo
	s_and_b32 s17, s19, exec_lo
	s_and_b32 s21, s21, exec_lo
	;; [unrolled: 1-line block ×4, first 2 shown]
	s_or_b32 s17, s10, s17
.LBB256_852:
	s_or_b32 exec_lo, exec_lo, s16
	s_delay_alu instid0(SALU_CYCLE_1)
	s_and_not1_b32 s0, s14, exec_lo
	s_and_b32 s10, s18, exec_lo
	s_and_b32 s18, s20, exec_lo
	s_or_b32 s14, s0, s10
	s_and_not1_b32 s10, s13, exec_lo
	s_and_b32 s13, s17, exec_lo
	s_and_b32 s0, s21, exec_lo
	;; [unrolled: 1-line block ×3, first 2 shown]
	s_or_b32 s13, s10, s13
.LBB256_853:
	s_or_b32 exec_lo, exec_lo, s15
	s_delay_alu instid0(SALU_CYCLE_1)
	s_and_not1_b32 s9, s9, exec_lo
	s_and_b32 s10, s14, exec_lo
	s_and_b32 s0, s0, exec_lo
	s_or_b32 s9, s9, s10
	s_and_not1_b32 s10, s11, exec_lo
	s_and_b32 s11, s13, exec_lo
	s_and_b32 s14, s18, exec_lo
	;; [unrolled: 1-line block ×3, first 2 shown]
	s_or_b32 s11, s10, s11
.LBB256_854:
	s_or_b32 exec_lo, exec_lo, s12
	s_mov_b32 s10, 0
	s_and_saveexec_b32 s12, s11
	s_cbranch_execnz .LBB256_866
; %bb.855:
	s_or_b32 exec_lo, exec_lo, s12
	s_and_saveexec_b32 s11, s13
	s_delay_alu instid0(SALU_CYCLE_1)
	s_xor_b32 s11, exec_lo, s11
	s_cbranch_execz .LBB256_857
.LBB256_856:
	global_load_u8 v2, v[0:1], off
	s_or_b32 s0, s0, exec_lo
	s_waitcnt vmcnt(0)
	v_cmp_ne_u16_e32 vcc_lo, 0, v2
	v_cndmask_b32_e64 v3, 0, 1.0, vcc_lo
.LBB256_857:
	s_or_b32 exec_lo, exec_lo, s11
	s_and_saveexec_b32 s11, s14
	s_cbranch_execz .LBB256_905
; %bb.858:
	v_cmp_gt_i16_e32 vcc_lo, 5, v6
	s_cbranch_vccnz .LBB256_863
; %bb.859:
	v_cmp_gt_i16_e32 vcc_lo, 8, v6
	s_cbranch_vccnz .LBB256_864
	;; [unrolled: 3-line block ×3, first 2 shown]
; %bb.861:
	v_cmp_lt_i16_e32 vcc_lo, 9, v6
	s_cbranch_vccz .LBB256_868
; %bb.862:
	global_load_b64 v[2:3], v[0:1], off
	s_mov_b32 s12, 0
	s_waitcnt vmcnt(0)
	v_cvt_f32_f64_e32 v3, v[2:3]
	s_branch .LBB256_869
.LBB256_863:
                                        ; implicit-def: $vgpr3
	s_branch .LBB256_886
.LBB256_864:
                                        ; implicit-def: $vgpr3
	s_branch .LBB256_875
.LBB256_865:
	s_mov_b32 s12, -1
                                        ; implicit-def: $vgpr3
	s_branch .LBB256_872
.LBB256_866:
	s_cbranch_execnz .LBB256_1084
; %bb.867:
	s_mov_b32 s10, exec_lo
	s_and_not1_b32 s13, s13, exec_lo
                                        ; implicit-def: $vgpr3
	s_or_b32 exec_lo, exec_lo, s12
	s_and_saveexec_b32 s11, s13
	s_delay_alu instid0(SALU_CYCLE_1)
	s_xor_b32 s11, exec_lo, s11
	s_cbranch_execnz .LBB256_856
	s_branch .LBB256_857
.LBB256_868:
	s_mov_b32 s12, -1
                                        ; implicit-def: $vgpr3
.LBB256_869:
	s_delay_alu instid0(SALU_CYCLE_1)
	s_and_not1_b32 vcc_lo, exec_lo, s12
	s_cbranch_vccnz .LBB256_871
; %bb.870:
	global_load_b32 v3, v[0:1], off
.LBB256_871:
	s_mov_b32 s12, 0
.LBB256_872:
	s_delay_alu instid0(SALU_CYCLE_1)
	s_and_not1_b32 vcc_lo, exec_lo, s12
	s_cbranch_vccnz .LBB256_874
; %bb.873:
	global_load_b32 v2, v[0:1], off
	s_waitcnt vmcnt(0)
	v_cvt_f32_f16_e32 v3, v2
.LBB256_874:
	s_cbranch_execnz .LBB256_885
.LBB256_875:
	v_cmp_gt_i16_e32 vcc_lo, 6, v6
	s_cbranch_vccnz .LBB256_878
; %bb.876:
	v_cmp_lt_i16_e32 vcc_lo, 6, v6
	s_cbranch_vccz .LBB256_879
; %bb.877:
	global_load_b64 v[2:3], v[0:1], off
	s_mov_b32 s12, 0
	s_waitcnt vmcnt(0)
	v_cvt_f32_f64_e32 v3, v[2:3]
	s_branch .LBB256_880
.LBB256_878:
	s_mov_b32 s12, -1
                                        ; implicit-def: $vgpr3
	s_branch .LBB256_883
.LBB256_879:
	s_mov_b32 s12, -1
                                        ; implicit-def: $vgpr3
.LBB256_880:
	s_delay_alu instid0(SALU_CYCLE_1)
	s_and_not1_b32 vcc_lo, exec_lo, s12
	s_cbranch_vccnz .LBB256_882
; %bb.881:
	global_load_b32 v3, v[0:1], off
.LBB256_882:
	s_mov_b32 s12, 0
.LBB256_883:
	s_delay_alu instid0(SALU_CYCLE_1)
	s_and_not1_b32 vcc_lo, exec_lo, s12
	s_cbranch_vccnz .LBB256_885
; %bb.884:
	global_load_u16 v2, v[0:1], off
	s_waitcnt vmcnt(0)
	v_cvt_f32_f16_e32 v3, v2
.LBB256_885:
	s_cbranch_execnz .LBB256_904
.LBB256_886:
	v_cmp_gt_i16_e32 vcc_lo, 2, v6
	s_cbranch_vccnz .LBB256_890
; %bb.887:
	v_cmp_gt_i16_e32 vcc_lo, 3, v6
	s_cbranch_vccnz .LBB256_891
; %bb.888:
	v_cmp_lt_i16_e32 vcc_lo, 3, v6
	s_cbranch_vccz .LBB256_892
; %bb.889:
	global_load_b64 v[2:3], v[0:1], off
	s_mov_b32 s12, 0
	s_waitcnt vmcnt(0)
	v_xor_b32_e32 v7, v2, v3
	v_cls_i32_e32 v8, v3
	s_delay_alu instid0(VALU_DEP_2) | instskip(NEXT) | instid1(VALU_DEP_2)
	v_ashrrev_i32_e32 v7, 31, v7
	v_add_nc_u32_e32 v8, -1, v8
	s_delay_alu instid0(VALU_DEP_2) | instskip(NEXT) | instid1(VALU_DEP_1)
	v_add_nc_u32_e32 v7, 32, v7
	v_min_u32_e32 v7, v8, v7
	s_delay_alu instid0(VALU_DEP_1) | instskip(NEXT) | instid1(VALU_DEP_1)
	v_lshlrev_b64 v[2:3], v7, v[2:3]
	v_min_u32_e32 v2, 1, v2
	s_delay_alu instid0(VALU_DEP_1) | instskip(SKIP_1) | instid1(VALU_DEP_2)
	v_or_b32_e32 v2, v3, v2
	v_sub_nc_u32_e32 v3, 32, v7
	v_cvt_f32_i32_e32 v2, v2
	s_delay_alu instid0(VALU_DEP_1)
	v_ldexp_f32 v3, v2, v3
	s_branch .LBB256_893
.LBB256_890:
                                        ; implicit-def: $vgpr3
	s_branch .LBB256_899
.LBB256_891:
	s_mov_b32 s12, -1
                                        ; implicit-def: $vgpr3
	s_branch .LBB256_896
.LBB256_892:
	s_mov_b32 s12, -1
                                        ; implicit-def: $vgpr3
.LBB256_893:
	s_delay_alu instid0(SALU_CYCLE_1)
	s_and_not1_b32 vcc_lo, exec_lo, s12
	s_cbranch_vccnz .LBB256_895
; %bb.894:
	global_load_b32 v2, v[0:1], off
	s_waitcnt vmcnt(0)
	v_cvt_f32_i32_e32 v3, v2
.LBB256_895:
	s_mov_b32 s12, 0
.LBB256_896:
	s_delay_alu instid0(SALU_CYCLE_1)
	s_and_not1_b32 vcc_lo, exec_lo, s12
	s_cbranch_vccnz .LBB256_898
; %bb.897:
	global_load_i16 v2, v[0:1], off
	s_waitcnt vmcnt(0)
	v_cvt_f32_i32_e32 v3, v2
.LBB256_898:
	s_cbranch_execnz .LBB256_904
.LBB256_899:
	v_cmp_lt_i16_e32 vcc_lo, 0, v6
	s_mov_b32 s12, 0
	s_cbranch_vccz .LBB256_901
; %bb.900:
	global_load_i8 v2, v[0:1], off
	s_waitcnt vmcnt(0)
	v_cvt_f32_i32_e32 v3, v2
	s_branch .LBB256_902
.LBB256_901:
	s_mov_b32 s12, -1
                                        ; implicit-def: $vgpr3
.LBB256_902:
	s_delay_alu instid0(SALU_CYCLE_1)
	s_and_not1_b32 vcc_lo, exec_lo, s12
	s_cbranch_vccnz .LBB256_904
; %bb.903:
	global_load_u8 v0, v[0:1], off
	s_waitcnt vmcnt(0)
	v_cvt_f32_ubyte0_e32 v3, v0
.LBB256_904:
	s_or_b32 s0, s0, exec_lo
.LBB256_905:
	s_or_b32 exec_lo, exec_lo, s11
	s_mov_b32 s13, 0
	s_mov_b32 s12, 0
                                        ; implicit-def: $vgpr6
                                        ; implicit-def: $vgpr0_vgpr1
                                        ; implicit-def: $vgpr2
	s_and_saveexec_b32 s11, s0
	s_cbranch_execz .LBB256_982
; %bb.906:
	s_waitcnt vmcnt(0)
	s_delay_alu instid0(VALU_DEP_1) | instskip(SKIP_2) | instid1(VALU_DEP_2)
	v_mul_f32_e32 v0, 0x4f800000, v3
	v_cmp_gt_f32_e32 vcc_lo, 0xf800000, v3
	s_mov_b32 s12, -1
	v_cndmask_b32_e32 v2, v3, v0, vcc_lo
	s_delay_alu instid0(VALU_DEP_1) | instskip(SKIP_3) | instid1(VALU_DEP_2)
	v_sqrt_f32_e32 v0, v2
	s_waitcnt_depctr 0xfff
	v_add_nc_u32_e32 v1, -1, v0
	v_add_nc_u32_e32 v3, 1, v0
	v_fma_f32 v6, -v1, v0, v2
	s_delay_alu instid0(VALU_DEP_2) | instskip(NEXT) | instid1(VALU_DEP_2)
	v_fma_f32 v7, -v3, v0, v2
	v_cmp_ge_f32_e64 s0, 0, v6
	v_and_b32_e32 v6, 0xff, v4
	s_delay_alu instid0(VALU_DEP_2) | instskip(NEXT) | instid1(VALU_DEP_4)
	v_cndmask_b32_e64 v0, v0, v1, s0
	v_cmp_lt_f32_e64 s0, 0, v7
	v_mul_lo_u32 v1, v5, s2
	s_delay_alu instid0(VALU_DEP_2) | instskip(SKIP_1) | instid1(VALU_DEP_3)
	v_cndmask_b32_e64 v0, v0, v3, s0
	v_cmp_gt_i16_e64 s0, 11, v6
	v_ashrrev_i32_e32 v4, 31, v1
	s_delay_alu instid0(VALU_DEP_3) | instskip(NEXT) | instid1(VALU_DEP_1)
	v_mul_f32_e32 v3, 0x37800000, v0
	v_cndmask_b32_e32 v3, v0, v3, vcc_lo
	v_add_co_u32 v0, vcc_lo, s4, v1
	s_delay_alu instid0(VALU_DEP_4) | instskip(SKIP_1) | instid1(VALU_DEP_4)
	v_add_co_ci_u32_e32 v1, vcc_lo, s5, v4, vcc_lo
	v_cmp_class_f32_e64 vcc_lo, v2, 0x260
	v_cndmask_b32_e32 v2, v3, v2, vcc_lo
	s_and_b32 vcc_lo, exec_lo, s0
	s_mov_b32 s0, s9
	s_cbranch_vccnz .LBB256_981
; %bb.907:
	v_cmp_lt_i16_e32 vcc_lo, 25, v6
	s_mov_b32 s0, s9
	s_cbranch_vccz .LBB256_940
; %bb.908:
	v_cmp_lt_i16_e32 vcc_lo, 28, v6
	s_mov_b32 s0, s9
	s_cbranch_vccz .LBB256_924
	;; [unrolled: 4-line block ×4, first 2 shown]
; %bb.911:
	v_cmp_eq_u16_e32 vcc_lo, 46, v6
	s_mov_b32 s0, -1
	s_cbranch_vccz .LBB256_913
; %bb.912:
	v_bfe_u32 v3, v2, 16, 1
	v_cmp_o_f32_e32 vcc_lo, v2, v2
	s_mov_b32 s0, 0
	s_delay_alu instid0(VALU_DEP_2) | instskip(NEXT) | instid1(VALU_DEP_1)
	v_add3_u32 v3, v2, v3, 0x7fff
	v_lshrrev_b32_e32 v3, 16, v3
	s_delay_alu instid0(VALU_DEP_1)
	v_cndmask_b32_e32 v3, 0x7fc0, v3, vcc_lo
	global_store_b32 v[0:1], v3, off
.LBB256_913:
	s_mov_b32 s12, 0
.LBB256_914:
	s_delay_alu instid0(SALU_CYCLE_1)
	s_and_b32 vcc_lo, exec_lo, s12
	s_cbranch_vccz .LBB256_919
; %bb.915:
	v_cmp_eq_u16_e32 vcc_lo, 44, v6
	s_mov_b32 s0, -1
	s_cbranch_vccz .LBB256_919
; %bb.916:
	v_bfe_u32 v4, v2, 23, 8
	v_mov_b32_e32 v3, 0xff
	s_mov_b32 s12, exec_lo
	s_delay_alu instid0(VALU_DEP_2)
	v_cmpx_ne_u32_e32 0xff, v4
; %bb.917:
	v_and_b32_e32 v3, 0x400000, v2
	v_and_or_b32 v4, 0x3fffff, v2, v4
	s_delay_alu instid0(VALU_DEP_2) | instskip(NEXT) | instid1(VALU_DEP_2)
	v_cmp_ne_u32_e32 vcc_lo, 0, v3
	v_cmp_ne_u32_e64 s0, 0, v4
	v_lshrrev_b32_e32 v3, 23, v2
	s_delay_alu instid0(VALU_DEP_2) | instskip(NEXT) | instid1(SALU_CYCLE_1)
	s_and_b32 s0, vcc_lo, s0
	v_cndmask_b32_e64 v4, 0, 1, s0
	s_delay_alu instid0(VALU_DEP_1)
	v_add_nc_u32_e32 v3, v3, v4
; %bb.918:
	s_or_b32 exec_lo, exec_lo, s12
	s_mov_b32 s0, 0
	global_store_b8 v[0:1], v3, off
.LBB256_919:
	s_mov_b32 s12, 0
.LBB256_920:
	s_delay_alu instid0(SALU_CYCLE_1)
	s_and_b32 vcc_lo, exec_lo, s12
	s_cbranch_vccz .LBB256_923
; %bb.921:
	v_cmp_eq_u16_e32 vcc_lo, 29, v6
	s_mov_b32 s0, -1
	s_cbranch_vccz .LBB256_923
; %bb.922:
	v_trunc_f32_e32 v3, v2
	s_mov_b32 s0, 0
	s_delay_alu instid0(VALU_DEP_1) | instskip(NEXT) | instid1(VALU_DEP_1)
	v_mul_f32_e32 v4, 0x2f800000, v3
	v_floor_f32_e32 v4, v4
	s_delay_alu instid0(VALU_DEP_1) | instskip(SKIP_1) | instid1(VALU_DEP_2)
	v_fmamk_f32 v3, v4, 0xcf800000, v3
	v_cvt_u32_f32_e32 v4, v4
	v_cvt_u32_f32_e32 v3, v3
	global_store_b64 v[0:1], v[3:4], off
.LBB256_923:
	s_mov_b32 s12, 0
.LBB256_924:
	s_delay_alu instid0(SALU_CYCLE_1)
	s_and_b32 vcc_lo, exec_lo, s12
	s_cbranch_vccz .LBB256_939
; %bb.925:
	v_cmp_gt_i16_e32 vcc_lo, 27, v6
	s_mov_b32 s12, -1
	s_cbranch_vccnz .LBB256_931
; %bb.926:
	v_cmp_lt_i16_e32 vcc_lo, 27, v6
	v_cvt_u32_f32_e32 v3, v2
	s_cbranch_vccz .LBB256_928
; %bb.927:
	s_mov_b32 s12, 0
	global_store_b32 v[0:1], v3, off
.LBB256_928:
	s_and_not1_b32 vcc_lo, exec_lo, s12
	s_cbranch_vccnz .LBB256_930
; %bb.929:
	global_store_b16 v[0:1], v3, off
.LBB256_930:
	s_mov_b32 s12, 0
.LBB256_931:
	s_delay_alu instid0(SALU_CYCLE_1)
	s_and_not1_b32 vcc_lo, exec_lo, s12
	s_cbranch_vccnz .LBB256_939
; %bb.932:
	v_and_b32_e32 v3, 0x7fffffff, v2
	v_mov_b32_e32 v4, 0x80
	s_mov_b32 s12, exec_lo
	s_delay_alu instid0(VALU_DEP_2)
	v_cmpx_gt_u32_e32 0x43800000, v3
	s_cbranch_execz .LBB256_938
; %bb.933:
	v_cmp_lt_u32_e32 vcc_lo, 0x3bffffff, v3
                                        ; implicit-def: $vgpr3
	s_and_saveexec_b32 s14, vcc_lo
	s_delay_alu instid0(SALU_CYCLE_1)
	s_xor_b32 s14, exec_lo, s14
	s_cbranch_execz .LBB256_1175
; %bb.934:
	v_bfe_u32 v3, v2, 20, 1
	s_mov_b32 s13, exec_lo
	s_delay_alu instid0(VALU_DEP_1) | instskip(NEXT) | instid1(VALU_DEP_1)
	v_add3_u32 v3, v2, v3, 0x487ffff
	v_lshrrev_b32_e32 v3, 20, v3
	s_or_saveexec_b32 s14, s14
                                        ; implicit-def: $sgpr15
	s_delay_alu instid0(SALU_CYCLE_1)
	s_xor_b32 exec_lo, exec_lo, s14
	s_cbranch_execnz .LBB256_1176
.LBB256_935:
	s_or_b32 exec_lo, exec_lo, s14
	v_mov_b32_e32 v4, s15
	s_and_saveexec_b32 s14, s13
.LBB256_936:
	v_lshrrev_b32_e32 v4, 24, v2
	s_delay_alu instid0(VALU_DEP_1)
	v_and_or_b32 v4, 0x80, v4, v3
.LBB256_937:
	s_or_b32 exec_lo, exec_lo, s14
.LBB256_938:
	s_delay_alu instid0(SALU_CYCLE_1)
	s_or_b32 exec_lo, exec_lo, s12
	global_store_b8 v[0:1], v4, off
.LBB256_939:
	s_mov_b32 s12, 0
.LBB256_940:
	s_delay_alu instid0(SALU_CYCLE_1)
	s_and_b32 vcc_lo, exec_lo, s12
	s_mov_b32 s12, 0
	s_cbranch_vccz .LBB256_980
; %bb.941:
	v_cmp_lt_i16_e32 vcc_lo, 22, v6
	s_mov_b32 s13, -1
	s_cbranch_vccz .LBB256_973
; %bb.942:
	v_cmp_gt_i16_e32 vcc_lo, 24, v6
	s_cbranch_vccnz .LBB256_962
; %bb.943:
	v_cmp_lt_i16_e32 vcc_lo, 24, v6
	s_cbranch_vccz .LBB256_951
; %bb.944:
	v_and_b32_e32 v3, 0x7fffffff, v2
	v_mov_b32_e32 v4, 0x80
	s_mov_b32 s13, exec_lo
	s_delay_alu instid0(VALU_DEP_2)
	v_cmpx_gt_u32_e32 0x47800000, v3
	s_cbranch_execz .LBB256_950
; %bb.945:
	v_cmp_lt_u32_e32 vcc_lo, 0x37ffffff, v3
	s_mov_b32 s14, 0
                                        ; implicit-def: $vgpr3
	s_and_saveexec_b32 s15, vcc_lo
	s_delay_alu instid0(SALU_CYCLE_1)
	s_xor_b32 s15, exec_lo, s15
	s_cbranch_execz .LBB256_1219
; %bb.946:
	v_bfe_u32 v3, v2, 21, 1
	s_mov_b32 s14, exec_lo
	s_delay_alu instid0(VALU_DEP_1) | instskip(NEXT) | instid1(VALU_DEP_1)
	v_add3_u32 v3, v2, v3, 0x88fffff
	v_lshrrev_b32_e32 v3, 21, v3
	s_or_saveexec_b32 s15, s15
                                        ; implicit-def: $sgpr16
	s_delay_alu instid0(SALU_CYCLE_1)
	s_xor_b32 exec_lo, exec_lo, s15
	s_cbranch_execnz .LBB256_1220
.LBB256_947:
	s_or_b32 exec_lo, exec_lo, s15
	v_mov_b32_e32 v4, s16
	s_and_saveexec_b32 s15, s14
.LBB256_948:
	v_lshrrev_b32_e32 v4, 24, v2
	s_delay_alu instid0(VALU_DEP_1)
	v_and_or_b32 v4, 0x80, v4, v3
.LBB256_949:
	s_or_b32 exec_lo, exec_lo, s15
.LBB256_950:
	s_delay_alu instid0(SALU_CYCLE_1)
	s_or_b32 exec_lo, exec_lo, s13
	s_mov_b32 s13, 0
	global_store_b8 v[0:1], v4, off
.LBB256_951:
	s_and_b32 vcc_lo, exec_lo, s13
	s_cbranch_vccz .LBB256_961
; %bb.952:
	v_and_b32_e32 v4, 0x7fffffff, v2
	s_mov_b32 s13, exec_lo
                                        ; implicit-def: $vgpr3
	s_delay_alu instid0(VALU_DEP_1)
	v_cmpx_gt_u32_e32 0x43f00000, v4
	s_xor_b32 s13, exec_lo, s13
	s_cbranch_execz .LBB256_958
; %bb.953:
	s_mov_b32 s14, exec_lo
                                        ; implicit-def: $vgpr3
	v_cmpx_lt_u32_e32 0x3c7fffff, v4
	s_xor_b32 s14, exec_lo, s14
; %bb.954:
	v_bfe_u32 v3, v2, 20, 1
	s_delay_alu instid0(VALU_DEP_1) | instskip(NEXT) | instid1(VALU_DEP_1)
	v_add3_u32 v3, v2, v3, 0x407ffff
	v_and_b32_e32 v4, 0xff00000, v3
	v_lshrrev_b32_e32 v3, 20, v3
	s_delay_alu instid0(VALU_DEP_2) | instskip(NEXT) | instid1(VALU_DEP_2)
	v_cmp_ne_u32_e32 vcc_lo, 0x7f00000, v4
	v_cndmask_b32_e32 v3, 0x7e, v3, vcc_lo
; %bb.955:
	s_and_not1_saveexec_b32 s14, s14
; %bb.956:
	v_add_f32_e64 v3, 0x46800000, |v2|
; %bb.957:
	s_or_b32 exec_lo, exec_lo, s14
                                        ; implicit-def: $vgpr4
.LBB256_958:
	s_and_not1_saveexec_b32 s13, s13
; %bb.959:
	v_mov_b32_e32 v3, 0x7f
	v_cmp_lt_u32_e32 vcc_lo, 0x7f800000, v4
	s_delay_alu instid0(VALU_DEP_2)
	v_cndmask_b32_e32 v3, 0x7e, v3, vcc_lo
; %bb.960:
	s_or_b32 exec_lo, exec_lo, s13
	v_lshrrev_b32_e32 v4, 24, v2
	s_delay_alu instid0(VALU_DEP_1)
	v_and_or_b32 v3, 0x80, v4, v3
	global_store_b8 v[0:1], v3, off
.LBB256_961:
	s_mov_b32 s13, 0
.LBB256_962:
	s_delay_alu instid0(SALU_CYCLE_1)
	s_and_not1_b32 vcc_lo, exec_lo, s13
	s_cbranch_vccnz .LBB256_972
; %bb.963:
	v_and_b32_e32 v4, 0x7fffffff, v2
	s_mov_b32 s13, exec_lo
                                        ; implicit-def: $vgpr3
	s_delay_alu instid0(VALU_DEP_1)
	v_cmpx_gt_u32_e32 0x47800000, v4
	s_xor_b32 s13, exec_lo, s13
	s_cbranch_execz .LBB256_969
; %bb.964:
	s_mov_b32 s14, exec_lo
                                        ; implicit-def: $vgpr3
	v_cmpx_lt_u32_e32 0x387fffff, v4
	s_xor_b32 s14, exec_lo, s14
; %bb.965:
	v_bfe_u32 v3, v2, 21, 1
	s_delay_alu instid0(VALU_DEP_1) | instskip(NEXT) | instid1(VALU_DEP_1)
	v_add3_u32 v3, v2, v3, 0x80fffff
	v_lshrrev_b32_e32 v3, 21, v3
; %bb.966:
	s_and_not1_saveexec_b32 s14, s14
; %bb.967:
	v_add_f32_e64 v3, 0x43000000, |v2|
; %bb.968:
	s_or_b32 exec_lo, exec_lo, s14
                                        ; implicit-def: $vgpr4
.LBB256_969:
	s_and_not1_saveexec_b32 s13, s13
; %bb.970:
	v_mov_b32_e32 v3, 0x7f
	v_cmp_lt_u32_e32 vcc_lo, 0x7f800000, v4
	s_delay_alu instid0(VALU_DEP_2)
	v_cndmask_b32_e32 v3, 0x7c, v3, vcc_lo
; %bb.971:
	s_or_b32 exec_lo, exec_lo, s13
	v_lshrrev_b32_e32 v4, 24, v2
	s_delay_alu instid0(VALU_DEP_1)
	v_and_or_b32 v3, 0x80, v4, v3
	global_store_b8 v[0:1], v3, off
.LBB256_972:
	s_mov_b32 s13, 0
.LBB256_973:
	s_delay_alu instid0(SALU_CYCLE_1)
	s_and_not1_b32 vcc_lo, exec_lo, s13
	s_mov_b32 s13, 0
	s_cbranch_vccnz .LBB256_981
; %bb.974:
	v_cmp_lt_i16_e32 vcc_lo, 14, v6
	s_mov_b32 s13, -1
	s_cbranch_vccz .LBB256_978
; %bb.975:
	v_cmp_eq_u16_e32 vcc_lo, 15, v6
	s_mov_b32 s0, -1
	s_cbranch_vccz .LBB256_977
; %bb.976:
	v_bfe_u32 v3, v2, 16, 1
	v_cmp_o_f32_e32 vcc_lo, v2, v2
	s_mov_b32 s0, 0
	s_delay_alu instid0(VALU_DEP_2) | instskip(NEXT) | instid1(VALU_DEP_1)
	v_add3_u32 v3, v2, v3, 0x7fff
	v_lshrrev_b32_e32 v3, 16, v3
	s_delay_alu instid0(VALU_DEP_1)
	v_cndmask_b32_e32 v3, 0x7fc0, v3, vcc_lo
	global_store_b16 v[0:1], v3, off
.LBB256_977:
	s_mov_b32 s13, 0
.LBB256_978:
	s_delay_alu instid0(SALU_CYCLE_1)
	s_and_b32 vcc_lo, exec_lo, s13
	s_mov_b32 s13, 0
	s_cbranch_vccz .LBB256_981
; %bb.979:
	v_cmp_ne_u16_e32 vcc_lo, 11, v6
	s_and_not1_b32 s0, s0, exec_lo
	s_mov_b32 s13, -1
	s_and_b32 s14, vcc_lo, exec_lo
	s_delay_alu instid0(SALU_CYCLE_1)
	s_or_b32 s0, s0, s14
	s_branch .LBB256_981
.LBB256_980:
	s_mov_b32 s13, 0
.LBB256_981:
	s_and_not1_b32 s9, s9, exec_lo
	s_and_b32 s0, s0, exec_lo
	s_and_b32 s12, s12, exec_lo
	;; [unrolled: 1-line block ×3, first 2 shown]
	s_or_b32 s9, s9, s0
.LBB256_982:
	s_or_b32 exec_lo, exec_lo, s11
	s_and_saveexec_b32 s0, s9
	s_cbranch_execnz .LBB256_1044
; %bb.983:
	s_or_b32 exec_lo, exec_lo, s0
	s_and_saveexec_b32 s0, s13
	s_delay_alu instid0(SALU_CYCLE_1)
	s_xor_b32 s0, exec_lo, s0
	s_cbranch_execz .LBB256_985
.LBB256_984:
	s_waitcnt vmcnt(0)
	v_cmp_neq_f32_e32 vcc_lo, 0, v2
	v_cndmask_b32_e64 v3, 0, 1, vcc_lo
	global_store_b8 v[0:1], v3, off
.LBB256_985:
	s_or_b32 exec_lo, exec_lo, s0
	s_and_saveexec_b32 s0, s12
	s_delay_alu instid0(SALU_CYCLE_1)
	s_xor_b32 s0, exec_lo, s0
	s_cbranch_execz .LBB256_1023
; %bb.986:
	v_cmp_gt_i16_e32 vcc_lo, 5, v6
	s_mov_b32 s9, -1
	s_cbranch_vccnz .LBB256_1007
; %bb.987:
	v_cmp_gt_i16_e32 vcc_lo, 8, v6
	s_cbranch_vccnz .LBB256_997
; %bb.988:
	v_cmp_gt_i16_e32 vcc_lo, 9, v6
	s_cbranch_vccnz .LBB256_994
; %bb.989:
	v_cmp_lt_i16_e32 vcc_lo, 9, v6
	s_cbranch_vccz .LBB256_991
; %bb.990:
	s_waitcnt vmcnt(0)
	v_cvt_f64_f32_e32 v[7:8], v2
	v_mov_b32_e32 v9, 0
	s_mov_b32 s9, 0
	s_delay_alu instid0(VALU_DEP_1)
	v_mov_b32_e32 v10, v9
	global_store_b128 v[0:1], v[7:10], off
.LBB256_991:
	s_and_not1_b32 vcc_lo, exec_lo, s9
	s_cbranch_vccnz .LBB256_993
; %bb.992:
	s_waitcnt vmcnt(0)
	v_mov_b32_e32 v3, 0
	global_store_b64 v[0:1], v[2:3], off
.LBB256_993:
	s_mov_b32 s9, 0
.LBB256_994:
	s_delay_alu instid0(SALU_CYCLE_1)
	s_and_not1_b32 vcc_lo, exec_lo, s9
	s_cbranch_vccnz .LBB256_996
; %bb.995:
	s_waitcnt vmcnt(0)
	v_cvt_f16_f32_e32 v3, v2
	s_delay_alu instid0(VALU_DEP_1)
	v_and_b32_e32 v3, 0xffff, v3
	global_store_b32 v[0:1], v3, off
.LBB256_996:
	s_mov_b32 s9, 0
.LBB256_997:
	s_delay_alu instid0(SALU_CYCLE_1)
	s_and_not1_b32 vcc_lo, exec_lo, s9
	s_cbranch_vccnz .LBB256_1006
; %bb.998:
	v_cmp_gt_i16_e32 vcc_lo, 6, v6
	s_mov_b32 s9, -1
	s_cbranch_vccnz .LBB256_1004
; %bb.999:
	v_cmp_lt_i16_e32 vcc_lo, 6, v6
	s_cbranch_vccz .LBB256_1001
; %bb.1000:
	s_waitcnt vmcnt(0)
	v_cvt_f64_f32_e32 v[3:4], v2
	s_mov_b32 s9, 0
	global_store_b64 v[0:1], v[3:4], off
.LBB256_1001:
	s_and_not1_b32 vcc_lo, exec_lo, s9
	s_cbranch_vccnz .LBB256_1003
; %bb.1002:
	s_waitcnt vmcnt(0)
	global_store_b32 v[0:1], v2, off
.LBB256_1003:
	s_mov_b32 s9, 0
.LBB256_1004:
	s_delay_alu instid0(SALU_CYCLE_1)
	s_and_not1_b32 vcc_lo, exec_lo, s9
	s_cbranch_vccnz .LBB256_1006
; %bb.1005:
	s_waitcnt vmcnt(0)
	v_cvt_f16_f32_e32 v3, v2
	global_store_b16 v[0:1], v3, off
.LBB256_1006:
	s_mov_b32 s9, 0
.LBB256_1007:
	s_delay_alu instid0(SALU_CYCLE_1)
	s_and_not1_b32 vcc_lo, exec_lo, s9
	s_cbranch_vccnz .LBB256_1023
; %bb.1008:
	v_cmp_gt_i16_e32 vcc_lo, 2, v6
	s_mov_b32 s9, -1
	s_cbranch_vccnz .LBB256_1018
; %bb.1009:
	v_cmp_gt_i16_e32 vcc_lo, 3, v6
	s_cbranch_vccnz .LBB256_1015
; %bb.1010:
	v_cmp_lt_i16_e32 vcc_lo, 3, v6
	s_cbranch_vccz .LBB256_1012
; %bb.1011:
	s_waitcnt vmcnt(0)
	v_trunc_f32_e32 v3, v2
	s_mov_b32 s9, 0
	s_delay_alu instid0(VALU_DEP_1) | instskip(SKIP_1) | instid1(VALU_DEP_2)
	v_mul_f32_e64 v4, 0x2f800000, |v3|
	v_ashrrev_i32_e32 v7, 31, v3
	v_floor_f32_e32 v4, v4
	s_delay_alu instid0(VALU_DEP_1) | instskip(SKIP_1) | instid1(VALU_DEP_2)
	v_fma_f32 v5, 0xcf800000, v4, |v3|
	v_cvt_u32_f32_e32 v4, v4
	v_cvt_u32_f32_e32 v3, v5
	s_delay_alu instid0(VALU_DEP_2) | instskip(NEXT) | instid1(VALU_DEP_2)
	v_xor_b32_e32 v4, v4, v7
	v_xor_b32_e32 v3, v3, v7
	s_delay_alu instid0(VALU_DEP_1) | instskip(NEXT) | instid1(VALU_DEP_3)
	v_sub_co_u32 v3, vcc_lo, v3, v7
	v_sub_co_ci_u32_e32 v4, vcc_lo, v4, v7, vcc_lo
	global_store_b64 v[0:1], v[3:4], off
.LBB256_1012:
	s_and_not1_b32 vcc_lo, exec_lo, s9
	s_cbranch_vccnz .LBB256_1014
; %bb.1013:
	s_waitcnt vmcnt(0)
	v_cvt_i32_f32_e32 v3, v2
	global_store_b32 v[0:1], v3, off
.LBB256_1014:
	s_mov_b32 s9, 0
.LBB256_1015:
	s_delay_alu instid0(SALU_CYCLE_1)
	s_and_not1_b32 vcc_lo, exec_lo, s9
	s_cbranch_vccnz .LBB256_1017
; %bb.1016:
	s_waitcnt vmcnt(0)
	v_cvt_i32_f32_e32 v3, v2
	global_store_b16 v[0:1], v3, off
.LBB256_1017:
	s_mov_b32 s9, 0
.LBB256_1018:
	s_delay_alu instid0(SALU_CYCLE_1)
	s_and_not1_b32 vcc_lo, exec_lo, s9
	s_cbranch_vccnz .LBB256_1023
; %bb.1019:
	v_cmp_lt_i16_e32 vcc_lo, 0, v6
	s_mov_b32 s9, -1
	s_cbranch_vccz .LBB256_1021
; %bb.1020:
	s_waitcnt vmcnt(0)
	v_cvt_i32_f32_e32 v3, v2
	s_mov_b32 s9, 0
	global_store_b8 v[0:1], v3, off
.LBB256_1021:
	s_and_not1_b32 vcc_lo, exec_lo, s9
	s_cbranch_vccnz .LBB256_1023
; %bb.1022:
	s_waitcnt vmcnt(0)
	v_trunc_f32_e32 v2, v2
	s_delay_alu instid0(VALU_DEP_1) | instskip(NEXT) | instid1(VALU_DEP_1)
	v_mul_f32_e64 v3, 0x2f800000, |v2|
	v_floor_f32_e32 v3, v3
	s_delay_alu instid0(VALU_DEP_1) | instskip(SKIP_1) | instid1(VALU_DEP_2)
	v_fma_f32 v3, 0xcf800000, v3, |v2|
	v_ashrrev_i32_e32 v2, 31, v2
	v_cvt_u32_f32_e32 v3, v3
	s_delay_alu instid0(VALU_DEP_1) | instskip(NEXT) | instid1(VALU_DEP_1)
	v_xor_b32_e32 v3, v3, v2
	v_sub_nc_u32_e32 v2, v3, v2
	global_store_b8 v[0:1], v2, off
.LBB256_1023:
	s_or_b32 exec_lo, exec_lo, s0
	s_delay_alu instid0(SALU_CYCLE_1)
	s_and_b32 s9, s10, exec_lo
                                        ; implicit-def: $vgpr5
                                        ; implicit-def: $vgpr6
                                        ; implicit-def: $vgpr4
.LBB256_1024:
	s_or_saveexec_b32 s8, s8
	s_mov_b32 s0, 0
                                        ; implicit-def: $vgpr7
                                        ; implicit-def: $vgpr0_vgpr1
                                        ; implicit-def: $vgpr2
	s_xor_b32 exec_lo, exec_lo, s8
	s_cbranch_execz .LBB256_1988
; %bb.1025:
	s_waitcnt vmcnt(0)
	v_mul_lo_u32 v3, s3, v5
	v_cmp_gt_i16_e32 vcc_lo, 11, v6
	s_delay_alu instid0(VALU_DEP_2) | instskip(SKIP_1) | instid1(VALU_DEP_1)
	v_ashrrev_i32_e32 v1, 31, v3
	v_add_co_u32 v0, s0, s6, v3
	v_add_co_ci_u32_e64 v1, s0, s7, v1, s0
	s_cbranch_vccnz .LBB256_1032
; %bb.1026:
	v_cmp_lt_i16_e32 vcc_lo, 25, v6
	s_mov_b32 s10, 0
	s_cbranch_vccz .LBB256_1038
; %bb.1027:
	v_cmp_lt_i16_e32 vcc_lo, 28, v6
	s_cbranch_vccz .LBB256_1040
; %bb.1028:
	v_cmp_lt_i16_e32 vcc_lo, 43, v6
	s_cbranch_vccz .LBB256_1042
; %bb.1029:
	v_cmp_lt_i16_e32 vcc_lo, 45, v6
	s_cbranch_vccz .LBB256_1046
; %bb.1030:
	v_cmp_eq_u16_e32 vcc_lo, 46, v6
	s_cbranch_vccz .LBB256_1088
; %bb.1031:
	global_load_b32 v2, v[0:1], off
	s_mov_b32 s0, 0
	s_mov_b32 s11, -1
	s_waitcnt vmcnt(0)
	v_lshlrev_b32_e32 v2, 16, v2
	s_branch .LBB256_1090
.LBB256_1032:
	s_mov_b32 s11, 0
	s_mov_b32 s1, s9
                                        ; implicit-def: $vgpr2
	s_cbranch_execz .LBB256_1153
; %bb.1033:
	v_cmp_gt_i16_e32 vcc_lo, 5, v6
	s_cbranch_vccnz .LBB256_1039
; %bb.1034:
	v_cmp_gt_i16_e32 vcc_lo, 8, v6
	s_cbranch_vccnz .LBB256_1041
	;; [unrolled: 3-line block ×3, first 2 shown]
; %bb.1036:
	v_cmp_lt_i16_e32 vcc_lo, 9, v6
	s_cbranch_vccz .LBB256_1047
; %bb.1037:
	global_load_b64 v[7:8], v[0:1], off
	s_mov_b32 s0, 0
	s_waitcnt vmcnt(0)
	v_cvt_f32_f64_e32 v2, v[7:8]
	s_branch .LBB256_1048
.LBB256_1038:
	s_mov_b32 s11, 0
	s_mov_b32 s0, 0
                                        ; implicit-def: $vgpr2
	s_cbranch_execnz .LBB256_1118
	s_branch .LBB256_1149
.LBB256_1039:
                                        ; implicit-def: $vgpr2
	s_branch .LBB256_1065
.LBB256_1040:
	s_mov_b32 s1, -1
	s_mov_b32 s11, 0
	s_mov_b32 s0, 0
                                        ; implicit-def: $vgpr2
	s_branch .LBB256_1099
.LBB256_1041:
                                        ; implicit-def: $vgpr2
	s_branch .LBB256_1054
.LBB256_1042:
	s_mov_b32 s11, 0
	s_mov_b32 s0, 0
                                        ; implicit-def: $vgpr2
	s_cbranch_execnz .LBB256_1095
	s_branch .LBB256_1098
.LBB256_1043:
	s_mov_b32 s0, -1
                                        ; implicit-def: $vgpr2
	s_branch .LBB256_1051
.LBB256_1044:
	s_cbranch_execnz .LBB256_1086
; %bb.1045:
	s_or_b32 s10, s10, exec_lo
	s_and_not1_b32 s13, s13, exec_lo
	s_or_b32 exec_lo, exec_lo, s0
	s_and_saveexec_b32 s0, s13
	s_delay_alu instid0(SALU_CYCLE_1)
	s_xor_b32 s0, exec_lo, s0
	s_cbranch_execnz .LBB256_984
	s_branch .LBB256_985
.LBB256_1046:
	s_mov_b32 s1, -1
	s_mov_b32 s11, 0
	s_mov_b32 s0, 0
	s_branch .LBB256_1089
.LBB256_1047:
	s_mov_b32 s0, -1
                                        ; implicit-def: $vgpr2
.LBB256_1048:
	s_delay_alu instid0(SALU_CYCLE_1)
	s_and_not1_b32 vcc_lo, exec_lo, s0
	s_cbranch_vccnz .LBB256_1050
; %bb.1049:
	global_load_b32 v2, v[0:1], off
.LBB256_1050:
	s_mov_b32 s0, 0
.LBB256_1051:
	s_delay_alu instid0(SALU_CYCLE_1)
	s_and_not1_b32 vcc_lo, exec_lo, s0
	s_cbranch_vccnz .LBB256_1053
; %bb.1052:
	global_load_b32 v2, v[0:1], off
	s_waitcnt vmcnt(0)
	v_cvt_f32_f16_e32 v2, v2
.LBB256_1053:
	s_cbranch_execnz .LBB256_1064
.LBB256_1054:
	v_cmp_gt_i16_e32 vcc_lo, 6, v6
	s_cbranch_vccnz .LBB256_1057
; %bb.1055:
	v_cmp_lt_i16_e32 vcc_lo, 6, v6
	s_cbranch_vccz .LBB256_1058
; %bb.1056:
	global_load_b64 v[7:8], v[0:1], off
	s_mov_b32 s0, 0
	s_waitcnt vmcnt(0)
	v_cvt_f32_f64_e32 v2, v[7:8]
	s_branch .LBB256_1059
.LBB256_1057:
	s_mov_b32 s0, -1
                                        ; implicit-def: $vgpr2
	s_branch .LBB256_1062
.LBB256_1058:
	s_mov_b32 s0, -1
                                        ; implicit-def: $vgpr2
.LBB256_1059:
	s_delay_alu instid0(SALU_CYCLE_1)
	s_and_not1_b32 vcc_lo, exec_lo, s0
	s_cbranch_vccnz .LBB256_1061
; %bb.1060:
	global_load_b32 v2, v[0:1], off
.LBB256_1061:
	s_mov_b32 s0, 0
.LBB256_1062:
	s_delay_alu instid0(SALU_CYCLE_1)
	s_and_not1_b32 vcc_lo, exec_lo, s0
	s_cbranch_vccnz .LBB256_1064
; %bb.1063:
	global_load_u16 v2, v[0:1], off
	s_waitcnt vmcnt(0)
	v_cvt_f32_f16_e32 v2, v2
.LBB256_1064:
	s_cbranch_execnz .LBB256_1083
.LBB256_1065:
	v_cmp_gt_i16_e32 vcc_lo, 2, v6
	s_cbranch_vccnz .LBB256_1069
; %bb.1066:
	v_cmp_gt_i16_e32 vcc_lo, 3, v6
	s_cbranch_vccnz .LBB256_1070
; %bb.1067:
	v_cmp_lt_i16_e32 vcc_lo, 3, v6
	s_cbranch_vccz .LBB256_1071
; %bb.1068:
	global_load_b64 v[7:8], v[0:1], off
	s_mov_b32 s0, 0
	s_waitcnt vmcnt(0)
	v_xor_b32_e32 v2, v7, v8
	v_cls_i32_e32 v9, v8
	s_delay_alu instid0(VALU_DEP_2) | instskip(NEXT) | instid1(VALU_DEP_2)
	v_ashrrev_i32_e32 v2, 31, v2
	v_add_nc_u32_e32 v9, -1, v9
	s_delay_alu instid0(VALU_DEP_2) | instskip(NEXT) | instid1(VALU_DEP_1)
	v_add_nc_u32_e32 v2, 32, v2
	v_min_u32_e32 v2, v9, v2
	s_delay_alu instid0(VALU_DEP_1) | instskip(SKIP_1) | instid1(VALU_DEP_2)
	v_lshlrev_b64 v[7:8], v2, v[7:8]
	v_sub_nc_u32_e32 v2, 32, v2
	v_min_u32_e32 v7, 1, v7
	s_delay_alu instid0(VALU_DEP_1) | instskip(NEXT) | instid1(VALU_DEP_1)
	v_or_b32_e32 v7, v8, v7
	v_cvt_f32_i32_e32 v7, v7
	s_delay_alu instid0(VALU_DEP_1)
	v_ldexp_f32 v2, v7, v2
	s_branch .LBB256_1072
.LBB256_1069:
                                        ; implicit-def: $vgpr2
	s_branch .LBB256_1078
.LBB256_1070:
	s_mov_b32 s0, -1
                                        ; implicit-def: $vgpr2
	s_branch .LBB256_1075
.LBB256_1071:
	s_mov_b32 s0, -1
                                        ; implicit-def: $vgpr2
.LBB256_1072:
	s_delay_alu instid0(SALU_CYCLE_1)
	s_and_not1_b32 vcc_lo, exec_lo, s0
	s_cbranch_vccnz .LBB256_1074
; %bb.1073:
	global_load_b32 v2, v[0:1], off
	s_waitcnt vmcnt(0)
	v_cvt_f32_i32_e32 v2, v2
.LBB256_1074:
	s_mov_b32 s0, 0
.LBB256_1075:
	s_delay_alu instid0(SALU_CYCLE_1)
	s_and_not1_b32 vcc_lo, exec_lo, s0
	s_cbranch_vccnz .LBB256_1077
; %bb.1076:
	global_load_i16 v2, v[0:1], off
	s_waitcnt vmcnt(0)
	v_cvt_f32_i32_e32 v2, v2
.LBB256_1077:
	s_cbranch_execnz .LBB256_1083
.LBB256_1078:
	v_cmp_lt_i16_e32 vcc_lo, 0, v6
	s_mov_b32 s0, 0
	s_cbranch_vccz .LBB256_1080
; %bb.1079:
	global_load_i8 v2, v[0:1], off
	s_waitcnt vmcnt(0)
	v_cvt_f32_i32_e32 v2, v2
	s_branch .LBB256_1081
.LBB256_1080:
	s_mov_b32 s0, -1
                                        ; implicit-def: $vgpr2
.LBB256_1081:
	s_delay_alu instid0(SALU_CYCLE_1)
	s_and_not1_b32 vcc_lo, exec_lo, s0
	s_cbranch_vccnz .LBB256_1083
; %bb.1082:
	global_load_u8 v0, v[0:1], off
	s_waitcnt vmcnt(0)
	v_cvt_f32_ubyte0_e32 v2, v0
.LBB256_1083:
	s_branch .LBB256_1154
.LBB256_1084:
	s_trap 2
	s_sendmsg_rtn_b32 s0, sendmsg(MSG_RTN_GET_DOORBELL)
	s_mov_b32 ttmp2, m0
	s_waitcnt lgkmcnt(0)
	s_and_b32 s0, s0, 0x3ff
	s_delay_alu instid0(SALU_CYCLE_1) | instskip(NEXT) | instid1(SALU_CYCLE_1)
	s_bitset1_b32 s0, 10
	s_mov_b32 m0, s0
	s_sendmsg sendmsg(MSG_INTERRUPT)
	s_mov_b32 m0, ttmp2
.LBB256_1085:                           ; =>This Inner Loop Header: Depth=1
	s_sethalt 5
	s_branch .LBB256_1085
.LBB256_1086:
	s_trap 2
	s_sendmsg_rtn_b32 s0, sendmsg(MSG_RTN_GET_DOORBELL)
	s_mov_b32 ttmp2, m0
	s_waitcnt lgkmcnt(0)
	s_and_b32 s0, s0, 0x3ff
	s_delay_alu instid0(SALU_CYCLE_1) | instskip(NEXT) | instid1(SALU_CYCLE_1)
	s_bitset1_b32 s0, 10
	s_mov_b32 m0, s0
	s_sendmsg sendmsg(MSG_INTERRUPT)
	s_mov_b32 m0, ttmp2
.LBB256_1087:                           ; =>This Inner Loop Header: Depth=1
	s_sethalt 5
	s_branch .LBB256_1087
.LBB256_1088:
	s_mov_b32 s0, -1
	s_mov_b32 s11, 0
.LBB256_1089:
                                        ; implicit-def: $vgpr2
.LBB256_1090:
	s_and_b32 vcc_lo, exec_lo, s1
	s_cbranch_vccz .LBB256_1093
; %bb.1091:
	v_cmp_eq_u16_e32 vcc_lo, 44, v6
	s_cbranch_vccz .LBB256_1094
; %bb.1092:
	global_load_u8 v2, v[0:1], off
	s_mov_b32 s0, 0
	s_mov_b32 s11, -1
	s_waitcnt vmcnt(0)
	v_lshlrev_b32_e32 v7, 23, v2
	v_cmp_ne_u32_e32 vcc_lo, 0xff, v2
	s_delay_alu instid0(VALU_DEP_2) | instskip(SKIP_1) | instid1(VALU_DEP_2)
	v_cndmask_b32_e32 v7, 0x7f800001, v7, vcc_lo
	v_cmp_ne_u32_e32 vcc_lo, 0, v2
	v_cndmask_b32_e32 v2, 0x400000, v7, vcc_lo
.LBB256_1093:
	s_branch .LBB256_1098
.LBB256_1094:
	s_mov_b32 s0, -1
                                        ; implicit-def: $vgpr2
	s_branch .LBB256_1098
.LBB256_1095:
	v_cmp_eq_u16_e32 vcc_lo, 29, v6
	s_cbranch_vccz .LBB256_1097
; %bb.1096:
	global_load_b64 v[7:8], v[0:1], off
	s_mov_b32 s0, 0
	s_mov_b32 s11, -1
	s_mov_b32 s1, 0
	s_waitcnt vmcnt(0)
	v_clz_i32_u32_e32 v2, v8
	s_delay_alu instid0(VALU_DEP_1) | instskip(NEXT) | instid1(VALU_DEP_1)
	v_min_u32_e32 v2, 32, v2
	v_lshlrev_b64 v[7:8], v2, v[7:8]
	v_sub_nc_u32_e32 v2, 32, v2
	s_delay_alu instid0(VALU_DEP_2) | instskip(NEXT) | instid1(VALU_DEP_1)
	v_min_u32_e32 v7, 1, v7
	v_or_b32_e32 v7, v8, v7
	s_delay_alu instid0(VALU_DEP_1) | instskip(NEXT) | instid1(VALU_DEP_1)
	v_cvt_f32_u32_e32 v7, v7
	v_ldexp_f32 v2, v7, v2
	s_branch .LBB256_1099
.LBB256_1097:
	s_mov_b32 s0, -1
                                        ; implicit-def: $vgpr2
.LBB256_1098:
	s_mov_b32 s1, 0
.LBB256_1099:
	s_delay_alu instid0(SALU_CYCLE_1)
	s_and_b32 vcc_lo, exec_lo, s1
	s_cbranch_vccz .LBB256_1117
; %bb.1100:
	v_cmp_gt_i16_e32 vcc_lo, 27, v6
	s_cbranch_vccnz .LBB256_1103
; %bb.1101:
	v_cmp_lt_i16_e32 vcc_lo, 27, v6
	s_cbranch_vccz .LBB256_1104
; %bb.1102:
	global_load_b32 v2, v[0:1], off
	s_mov_b32 s1, 0
	s_waitcnt vmcnt(0)
	v_cvt_f32_u32_e32 v2, v2
	s_branch .LBB256_1105
.LBB256_1103:
	s_mov_b32 s1, -1
                                        ; implicit-def: $vgpr2
	s_branch .LBB256_1108
.LBB256_1104:
	s_mov_b32 s1, -1
                                        ; implicit-def: $vgpr2
.LBB256_1105:
	s_delay_alu instid0(SALU_CYCLE_1)
	s_and_not1_b32 vcc_lo, exec_lo, s1
	s_cbranch_vccnz .LBB256_1107
; %bb.1106:
	global_load_u16 v2, v[0:1], off
	s_waitcnt vmcnt(0)
	v_cvt_f32_u32_e32 v2, v2
.LBB256_1107:
	s_mov_b32 s1, 0
.LBB256_1108:
	s_delay_alu instid0(SALU_CYCLE_1)
	s_and_not1_b32 vcc_lo, exec_lo, s1
	s_cbranch_vccnz .LBB256_1116
; %bb.1109:
	global_load_u8 v7, v[0:1], off
	s_mov_b32 s1, 0
	s_mov_b32 s12, exec_lo
                                        ; implicit-def: $sgpr11
	s_waitcnt vmcnt(0)
	v_cmpx_lt_i16_e32 0x7f, v7
	s_xor_b32 s12, exec_lo, s12
	s_cbranch_execz .LBB256_1129
; %bb.1110:
	s_mov_b32 s1, -1
	s_mov_b32 s13, exec_lo
                                        ; implicit-def: $sgpr11
	v_cmpx_eq_u16_e32 0x80, v7
; %bb.1111:
	s_mov_b32 s11, 0x7f800001
	s_xor_b32 s1, exec_lo, -1
; %bb.1112:
	s_or_b32 exec_lo, exec_lo, s13
	s_delay_alu instid0(SALU_CYCLE_1)
	s_and_b32 s1, s1, exec_lo
	s_or_saveexec_b32 s12, s12
	v_mov_b32_e32 v2, s11
	s_xor_b32 exec_lo, exec_lo, s12
	s_cbranch_execnz .LBB256_1130
.LBB256_1113:
	s_or_b32 exec_lo, exec_lo, s12
	s_and_saveexec_b32 s11, s1
	s_cbranch_execz .LBB256_1115
.LBB256_1114:
	v_and_b32_e32 v2, 0xffff, v7
	s_delay_alu instid0(VALU_DEP_1) | instskip(NEXT) | instid1(VALU_DEP_1)
	v_and_b32_e32 v8, 7, v2
	v_clz_i32_u32_e32 v9, v8
	s_delay_alu instid0(VALU_DEP_1) | instskip(NEXT) | instid1(VALU_DEP_1)
	v_min_u32_e32 v9, 32, v9
	v_subrev_nc_u32_e32 v10, 28, v9
	v_sub_nc_u32_e32 v9, 29, v9
	s_delay_alu instid0(VALU_DEP_2) | instskip(SKIP_1) | instid1(VALU_DEP_2)
	v_lshlrev_b32_e32 v10, v10, v2
	v_bfe_u32 v2, v2, 3, 4
	v_and_b32_e32 v10, 7, v10
	s_delay_alu instid0(VALU_DEP_2) | instskip(SKIP_1) | instid1(VALU_DEP_1)
	v_cmp_eq_u32_e32 vcc_lo, 0, v2
	v_dual_cndmask_b32 v2, v2, v9 :: v_dual_lshlrev_b32 v7, 24, v7
	v_dual_cndmask_b32 v8, v8, v10 :: v_dual_and_b32 v7, 0x80000000, v7
	s_delay_alu instid0(VALU_DEP_2) | instskip(NEXT) | instid1(VALU_DEP_2)
	v_lshl_add_u32 v2, v2, 23, 0x3b800000
	v_lshlrev_b32_e32 v8, 20, v8
	s_delay_alu instid0(VALU_DEP_1)
	v_or3_b32 v2, v7, v2, v8
.LBB256_1115:
	s_or_b32 exec_lo, exec_lo, s11
.LBB256_1116:
	s_mov_b32 s11, -1
.LBB256_1117:
	s_branch .LBB256_1149
.LBB256_1118:
	v_cmp_lt_i16_e32 vcc_lo, 22, v6
	s_cbranch_vccz .LBB256_1128
; %bb.1119:
	v_cmp_gt_i16_e32 vcc_lo, 24, v6
	s_cbranch_vccnz .LBB256_1131
; %bb.1120:
	v_cmp_lt_i16_e32 vcc_lo, 24, v6
	s_cbranch_vccz .LBB256_1132
; %bb.1121:
	global_load_u8 v7, v[0:1], off
	s_mov_b32 s1, 0
	s_mov_b32 s11, exec_lo
                                        ; implicit-def: $sgpr10
	s_waitcnt vmcnt(0)
	v_cmpx_lt_i16_e32 0x7f, v7
	s_xor_b32 s11, exec_lo, s11
	s_cbranch_execz .LBB256_1143
; %bb.1122:
	s_mov_b32 s1, -1
	s_mov_b32 s12, exec_lo
                                        ; implicit-def: $sgpr10
	v_cmpx_eq_u16_e32 0x80, v7
; %bb.1123:
	s_mov_b32 s10, 0x7f800001
	s_xor_b32 s1, exec_lo, -1
; %bb.1124:
	s_or_b32 exec_lo, exec_lo, s12
	s_delay_alu instid0(SALU_CYCLE_1)
	s_and_b32 s1, s1, exec_lo
	s_or_saveexec_b32 s11, s11
	v_mov_b32_e32 v2, s10
	s_xor_b32 exec_lo, exec_lo, s11
	s_cbranch_execnz .LBB256_1144
.LBB256_1125:
	s_or_b32 exec_lo, exec_lo, s11
	s_and_saveexec_b32 s10, s1
	s_cbranch_execz .LBB256_1127
.LBB256_1126:
	v_and_b32_e32 v2, 0xffff, v7
	s_delay_alu instid0(VALU_DEP_1) | instskip(NEXT) | instid1(VALU_DEP_1)
	v_and_b32_e32 v8, 3, v2
	v_clz_i32_u32_e32 v9, v8
	s_delay_alu instid0(VALU_DEP_1) | instskip(NEXT) | instid1(VALU_DEP_1)
	v_min_u32_e32 v9, 32, v9
	v_subrev_nc_u32_e32 v10, 29, v9
	v_sub_nc_u32_e32 v9, 30, v9
	s_delay_alu instid0(VALU_DEP_2) | instskip(SKIP_1) | instid1(VALU_DEP_2)
	v_lshlrev_b32_e32 v10, v10, v2
	v_bfe_u32 v2, v2, 2, 5
	v_and_b32_e32 v10, 3, v10
	s_delay_alu instid0(VALU_DEP_2) | instskip(SKIP_1) | instid1(VALU_DEP_1)
	v_cmp_eq_u32_e32 vcc_lo, 0, v2
	v_dual_cndmask_b32 v2, v2, v9 :: v_dual_lshlrev_b32 v7, 24, v7
	v_dual_cndmask_b32 v8, v8, v10 :: v_dual_and_b32 v7, 0x80000000, v7
	s_delay_alu instid0(VALU_DEP_2) | instskip(NEXT) | instid1(VALU_DEP_2)
	v_lshl_add_u32 v2, v2, 23, 0x37800000
	v_lshlrev_b32_e32 v8, 21, v8
	s_delay_alu instid0(VALU_DEP_1)
	v_or3_b32 v2, v7, v2, v8
.LBB256_1127:
	s_or_b32 exec_lo, exec_lo, s10
	s_mov_b32 s1, 0
	s_branch .LBB256_1133
.LBB256_1128:
                                        ; implicit-def: $vgpr2
	s_mov_b32 s10, 0
	s_branch .LBB256_1139
.LBB256_1129:
	s_or_saveexec_b32 s12, s12
	v_mov_b32_e32 v2, s11
	s_xor_b32 exec_lo, exec_lo, s12
	s_cbranch_execz .LBB256_1113
.LBB256_1130:
	v_cmp_ne_u16_e32 vcc_lo, 0, v7
	v_mov_b32_e32 v2, 0
	s_and_not1_b32 s1, s1, exec_lo
	s_and_b32 s11, vcc_lo, exec_lo
	s_delay_alu instid0(SALU_CYCLE_1)
	s_or_b32 s1, s1, s11
	s_or_b32 exec_lo, exec_lo, s12
	s_and_saveexec_b32 s11, s1
	s_cbranch_execnz .LBB256_1114
	s_branch .LBB256_1115
.LBB256_1131:
	s_mov_b32 s1, -1
                                        ; implicit-def: $vgpr2
	s_branch .LBB256_1136
.LBB256_1132:
	s_mov_b32 s1, -1
                                        ; implicit-def: $vgpr2
.LBB256_1133:
	s_delay_alu instid0(SALU_CYCLE_1)
	s_and_b32 vcc_lo, exec_lo, s1
	s_cbranch_vccz .LBB256_1135
; %bb.1134:
	global_load_u8 v2, v[0:1], off
	s_waitcnt vmcnt(0)
	v_lshlrev_b32_e32 v2, 24, v2
	s_delay_alu instid0(VALU_DEP_1) | instskip(NEXT) | instid1(VALU_DEP_1)
	v_and_b32_e32 v7, 0x7f000000, v2
	v_clz_i32_u32_e32 v8, v7
	v_add_nc_u32_e32 v10, 0x1000000, v7
	v_cmp_ne_u32_e32 vcc_lo, 0, v7
	s_delay_alu instid0(VALU_DEP_3) | instskip(NEXT) | instid1(VALU_DEP_1)
	v_min_u32_e32 v8, 32, v8
	v_sub_nc_u32_e64 v8, v8, 4 clamp
	s_delay_alu instid0(VALU_DEP_1) | instskip(SKIP_1) | instid1(VALU_DEP_2)
	v_lshlrev_b32_e32 v9, v8, v7
	v_lshlrev_b32_e32 v8, 23, v8
	v_lshrrev_b32_e32 v9, 4, v9
	s_delay_alu instid0(VALU_DEP_1) | instskip(SKIP_1) | instid1(VALU_DEP_2)
	v_sub_nc_u32_e32 v8, v9, v8
	v_ashrrev_i32_e32 v9, 8, v10
	v_add_nc_u32_e32 v8, 0x3c000000, v8
	s_delay_alu instid0(VALU_DEP_1) | instskip(NEXT) | instid1(VALU_DEP_1)
	v_and_or_b32 v8, 0x7f800000, v9, v8
	v_cndmask_b32_e32 v7, 0, v8, vcc_lo
	s_delay_alu instid0(VALU_DEP_1)
	v_and_or_b32 v2, 0x80000000, v2, v7
.LBB256_1135:
	s_mov_b32 s1, 0
.LBB256_1136:
	s_delay_alu instid0(SALU_CYCLE_1)
	s_and_not1_b32 vcc_lo, exec_lo, s1
	s_cbranch_vccnz .LBB256_1138
; %bb.1137:
	global_load_u8 v2, v[0:1], off
	s_waitcnt vmcnt(0)
	v_lshlrev_b32_e32 v7, 25, v2
	v_lshlrev_b16 v2, 8, v2
	s_delay_alu instid0(VALU_DEP_2) | instskip(NEXT) | instid1(VALU_DEP_2)
	v_lshrrev_b32_e32 v8, 4, v7
	v_and_or_b32 v9, 0x7f00, v2, 0.5
	v_bfe_i32 v2, v2, 0, 16
	s_delay_alu instid0(VALU_DEP_3) | instskip(NEXT) | instid1(VALU_DEP_1)
	v_or_b32_e32 v8, 0x70000000, v8
	v_dual_add_f32 v9, -0.5, v9 :: v_dual_mul_f32 v8, 0x7800000, v8
	v_cmp_gt_u32_e32 vcc_lo, 0x8000000, v7
	s_delay_alu instid0(VALU_DEP_2) | instskip(NEXT) | instid1(VALU_DEP_1)
	v_cndmask_b32_e32 v7, v8, v9, vcc_lo
	v_and_or_b32 v2, 0x80000000, v2, v7
.LBB256_1138:
	s_mov_b32 s11, -1
	s_mov_b32 s10, 0
	s_cbranch_execnz .LBB256_1149
.LBB256_1139:
	v_cmp_lt_i16_e32 vcc_lo, 14, v6
	s_cbranch_vccz .LBB256_1142
; %bb.1140:
	v_cmp_eq_u16_e32 vcc_lo, 15, v6
	s_cbranch_vccz .LBB256_1145
; %bb.1141:
	global_load_u16 v2, v[0:1], off
	s_mov_b32 s0, 0
	s_mov_b32 s11, -1
	s_waitcnt vmcnt(0)
	v_lshlrev_b32_e32 v2, 16, v2
	s_branch .LBB256_1146
.LBB256_1142:
	s_mov_b32 s1, -1
                                        ; implicit-def: $vgpr2
	s_branch .LBB256_1147
.LBB256_1143:
	s_or_saveexec_b32 s11, s11
	v_mov_b32_e32 v2, s10
	s_xor_b32 exec_lo, exec_lo, s11
	s_cbranch_execz .LBB256_1125
.LBB256_1144:
	v_cmp_ne_u16_e32 vcc_lo, 0, v7
	v_mov_b32_e32 v2, 0
	s_and_not1_b32 s1, s1, exec_lo
	s_and_b32 s10, vcc_lo, exec_lo
	s_delay_alu instid0(SALU_CYCLE_1)
	s_or_b32 s1, s1, s10
	s_or_b32 exec_lo, exec_lo, s11
	s_and_saveexec_b32 s10, s1
	s_cbranch_execnz .LBB256_1126
	s_branch .LBB256_1127
.LBB256_1145:
	s_mov_b32 s0, -1
                                        ; implicit-def: $vgpr2
.LBB256_1146:
	s_mov_b32 s1, 0
.LBB256_1147:
	s_delay_alu instid0(SALU_CYCLE_1)
	s_and_b32 vcc_lo, exec_lo, s1
	s_cbranch_vccz .LBB256_1149
; %bb.1148:
	v_cmp_ne_u16_e64 s0, 11, v6
	s_mov_b32 s10, -1
                                        ; implicit-def: $vgpr2
.LBB256_1149:
	s_delay_alu instid0(VALU_DEP_1)
	s_and_b32 vcc_lo, exec_lo, s0
	s_mov_b32 s1, s9
	s_cbranch_vccnz .LBB256_1173
; %bb.1150:
	s_and_not1_b32 vcc_lo, exec_lo, s10
	s_cbranch_vccnz .LBB256_1152
.LBB256_1151:
	global_load_u8 v2, v[0:1], off
	s_mov_b32 s11, -1
	s_waitcnt vmcnt(0)
	v_cmp_ne_u16_e32 vcc_lo, 0, v2
	v_cndmask_b32_e64 v2, 0, 1.0, vcc_lo
.LBB256_1152:
.LBB256_1153:
	s_and_not1_b32 vcc_lo, exec_lo, s11
	s_cbranch_vccnz .LBB256_1986
.LBB256_1154:
	s_lshl_b32 s3, s3, 7
	v_cmp_gt_i16_e32 vcc_lo, 11, v6
	v_add_nc_u32_e32 v3, s3, v3
	s_delay_alu instid0(VALU_DEP_1) | instskip(SKIP_1) | instid1(VALU_DEP_1)
	v_ashrrev_i32_e32 v1, 31, v3
	v_add_co_u32 v0, s0, s6, v3
	v_add_co_ci_u32_e64 v1, s0, s7, v1, s0
	s_cbranch_vccnz .LBB256_1161
; %bb.1155:
	v_cmp_lt_i16_e32 vcc_lo, 25, v6
	s_mov_b32 s10, 0
	s_cbranch_vccz .LBB256_1167
; %bb.1156:
	v_cmp_lt_i16_e32 vcc_lo, 28, v6
	s_cbranch_vccz .LBB256_1169
; %bb.1157:
	v_cmp_lt_i16_e32 vcc_lo, 43, v6
	;; [unrolled: 3-line block ×3, first 2 shown]
	s_cbranch_vccz .LBB256_1177
; %bb.1159:
	v_cmp_eq_u16_e32 vcc_lo, 46, v6
	s_mov_b32 s12, 0
	s_cbranch_vccz .LBB256_1221
; %bb.1160:
	global_load_b32 v7, v[0:1], off
	s_mov_b32 s0, 0
	s_mov_b32 s11, -1
	s_waitcnt vmcnt(0)
	v_lshlrev_b32_e32 v10, 16, v7
	s_branch .LBB256_1223
.LBB256_1161:
	s_mov_b32 s11, 0
                                        ; implicit-def: $vgpr10
	s_cbranch_execz .LBB256_1288
; %bb.1162:
	v_cmp_gt_i16_e32 vcc_lo, 5, v6
	s_cbranch_vccnz .LBB256_1168
; %bb.1163:
	v_cmp_gt_i16_e32 vcc_lo, 8, v6
	s_cbranch_vccnz .LBB256_1170
	;; [unrolled: 3-line block ×3, first 2 shown]
; %bb.1165:
	v_cmp_lt_i16_e32 vcc_lo, 9, v6
	s_cbranch_vccz .LBB256_1178
; %bb.1166:
	global_load_b64 v[7:8], v[0:1], off
	s_mov_b32 s0, 0
	s_waitcnt vmcnt(0)
	v_cvt_f32_f64_e32 v10, v[7:8]
	s_branch .LBB256_1179
.LBB256_1167:
	s_mov_b32 s11, 0
	s_mov_b32 s0, 0
                                        ; implicit-def: $vgpr10
	s_cbranch_execnz .LBB256_1252
	s_branch .LBB256_1284
.LBB256_1168:
                                        ; implicit-def: $vgpr10
	s_branch .LBB256_1197
.LBB256_1169:
	s_mov_b32 s12, -1
	s_mov_b32 s11, 0
	s_mov_b32 s0, 0
                                        ; implicit-def: $vgpr10
	s_branch .LBB256_1233
.LBB256_1170:
	s_mov_b32 s0, -1
                                        ; implicit-def: $vgpr10
	s_branch .LBB256_1185
.LBB256_1171:
	s_mov_b32 s12, -1
	s_mov_b32 s11, 0
	s_mov_b32 s0, 0
                                        ; implicit-def: $vgpr10
	s_branch .LBB256_1228
.LBB256_1172:
	s_mov_b32 s0, -1
                                        ; implicit-def: $vgpr10
	s_branch .LBB256_1182
.LBB256_1173:
	s_cbranch_execnz .LBB256_1217
; %bb.1174:
	s_or_b32 s1, s9, exec_lo
                                        ; implicit-def: $vgpr2
	s_cbranch_execz .LBB256_1151
	s_branch .LBB256_1152
.LBB256_1175:
	s_or_saveexec_b32 s14, s14
                                        ; implicit-def: $sgpr15
	s_delay_alu instid0(SALU_CYCLE_1)
	s_xor_b32 exec_lo, exec_lo, s14
	s_cbranch_execz .LBB256_935
.LBB256_1176:
	v_add_f32_e64 v3, 0x46000000, |v2|
	s_and_not1_b32 s13, s13, exec_lo
	s_mov_b32 s15, 0
	s_delay_alu instid0(VALU_DEP_1) | instskip(NEXT) | instid1(VALU_DEP_1)
	v_and_b32_e32 v3, 0xff, v3
	v_cmp_ne_u32_e32 vcc_lo, 0, v3
	s_and_b32 s16, vcc_lo, exec_lo
	s_delay_alu instid0(SALU_CYCLE_1)
	s_or_b32 s13, s13, s16
	s_or_b32 exec_lo, exec_lo, s14
	v_mov_b32_e32 v4, s15
	s_and_saveexec_b32 s14, s13
	s_cbranch_execnz .LBB256_936
	s_branch .LBB256_937
.LBB256_1177:
	s_mov_b32 s12, -1
	s_mov_b32 s11, 0
	s_mov_b32 s0, 0
	s_branch .LBB256_1222
.LBB256_1178:
	s_mov_b32 s0, -1
                                        ; implicit-def: $vgpr10
.LBB256_1179:
	s_delay_alu instid0(SALU_CYCLE_1)
	s_and_not1_b32 vcc_lo, exec_lo, s0
	s_cbranch_vccnz .LBB256_1181
; %bb.1180:
	global_load_b32 v10, v[0:1], off
.LBB256_1181:
	s_mov_b32 s0, 0
.LBB256_1182:
	s_delay_alu instid0(SALU_CYCLE_1)
	s_and_not1_b32 vcc_lo, exec_lo, s0
	s_cbranch_vccnz .LBB256_1184
; %bb.1183:
	global_load_b32 v7, v[0:1], off
	s_waitcnt vmcnt(0)
	v_cvt_f32_f16_e32 v10, v7
.LBB256_1184:
	s_mov_b32 s0, 0
.LBB256_1185:
	s_delay_alu instid0(SALU_CYCLE_1)
	s_and_not1_b32 vcc_lo, exec_lo, s0
	s_cbranch_vccnz .LBB256_1196
; %bb.1186:
	v_cmp_gt_i16_e32 vcc_lo, 6, v6
	s_cbranch_vccnz .LBB256_1189
; %bb.1187:
	v_cmp_lt_i16_e32 vcc_lo, 6, v6
	s_cbranch_vccz .LBB256_1190
; %bb.1188:
	global_load_b64 v[7:8], v[0:1], off
	s_mov_b32 s0, 0
	s_waitcnt vmcnt(0)
	v_cvt_f32_f64_e32 v10, v[7:8]
	s_branch .LBB256_1191
.LBB256_1189:
	s_mov_b32 s0, -1
                                        ; implicit-def: $vgpr10
	s_branch .LBB256_1194
.LBB256_1190:
	s_mov_b32 s0, -1
                                        ; implicit-def: $vgpr10
.LBB256_1191:
	s_delay_alu instid0(SALU_CYCLE_1)
	s_and_not1_b32 vcc_lo, exec_lo, s0
	s_cbranch_vccnz .LBB256_1193
; %bb.1192:
	global_load_b32 v10, v[0:1], off
.LBB256_1193:
	s_mov_b32 s0, 0
.LBB256_1194:
	s_delay_alu instid0(SALU_CYCLE_1)
	s_and_not1_b32 vcc_lo, exec_lo, s0
	s_cbranch_vccnz .LBB256_1196
; %bb.1195:
	global_load_u16 v7, v[0:1], off
	s_waitcnt vmcnt(0)
	v_cvt_f32_f16_e32 v10, v7
.LBB256_1196:
	s_cbranch_execnz .LBB256_1216
.LBB256_1197:
	v_cmp_gt_i16_e32 vcc_lo, 2, v6
	s_cbranch_vccnz .LBB256_1201
; %bb.1198:
	v_cmp_gt_i16_e32 vcc_lo, 3, v6
	s_cbranch_vccnz .LBB256_1202
; %bb.1199:
	v_cmp_lt_i16_e32 vcc_lo, 3, v6
	s_cbranch_vccz .LBB256_1203
; %bb.1200:
	global_load_b64 v[7:8], v[0:1], off
	s_mov_b32 s0, 0
	s_waitcnt vmcnt(0)
	v_xor_b32_e32 v9, v7, v8
	v_cls_i32_e32 v10, v8
	s_delay_alu instid0(VALU_DEP_2) | instskip(NEXT) | instid1(VALU_DEP_2)
	v_ashrrev_i32_e32 v9, 31, v9
	v_add_nc_u32_e32 v10, -1, v10
	s_delay_alu instid0(VALU_DEP_2) | instskip(NEXT) | instid1(VALU_DEP_1)
	v_add_nc_u32_e32 v9, 32, v9
	v_min_u32_e32 v9, v10, v9
	s_delay_alu instid0(VALU_DEP_1) | instskip(NEXT) | instid1(VALU_DEP_1)
	v_lshlrev_b64 v[7:8], v9, v[7:8]
	v_min_u32_e32 v7, 1, v7
	s_delay_alu instid0(VALU_DEP_1) | instskip(SKIP_1) | instid1(VALU_DEP_2)
	v_or_b32_e32 v7, v8, v7
	v_sub_nc_u32_e32 v8, 32, v9
	v_cvt_f32_i32_e32 v7, v7
	s_delay_alu instid0(VALU_DEP_1)
	v_ldexp_f32 v10, v7, v8
	s_branch .LBB256_1204
.LBB256_1201:
	s_mov_b32 s0, -1
                                        ; implicit-def: $vgpr10
	s_branch .LBB256_1210
.LBB256_1202:
	s_mov_b32 s0, -1
                                        ; implicit-def: $vgpr10
	s_branch .LBB256_1207
.LBB256_1203:
	s_mov_b32 s0, -1
                                        ; implicit-def: $vgpr10
.LBB256_1204:
	s_delay_alu instid0(SALU_CYCLE_1)
	s_and_not1_b32 vcc_lo, exec_lo, s0
	s_cbranch_vccnz .LBB256_1206
; %bb.1205:
	global_load_b32 v7, v[0:1], off
	s_waitcnt vmcnt(0)
	v_cvt_f32_i32_e32 v10, v7
.LBB256_1206:
	s_mov_b32 s0, 0
.LBB256_1207:
	s_delay_alu instid0(SALU_CYCLE_1)
	s_and_not1_b32 vcc_lo, exec_lo, s0
	s_cbranch_vccnz .LBB256_1209
; %bb.1208:
	global_load_i16 v7, v[0:1], off
	s_waitcnt vmcnt(0)
	v_cvt_f32_i32_e32 v10, v7
.LBB256_1209:
	s_mov_b32 s0, 0
.LBB256_1210:
	s_delay_alu instid0(SALU_CYCLE_1)
	s_and_not1_b32 vcc_lo, exec_lo, s0
	s_cbranch_vccnz .LBB256_1216
; %bb.1211:
	v_cmp_lt_i16_e32 vcc_lo, 0, v6
	s_mov_b32 s0, 0
	s_cbranch_vccz .LBB256_1213
; %bb.1212:
	global_load_i8 v7, v[0:1], off
	s_waitcnt vmcnt(0)
	v_cvt_f32_i32_e32 v10, v7
	s_branch .LBB256_1214
.LBB256_1213:
	s_mov_b32 s0, -1
                                        ; implicit-def: $vgpr10
.LBB256_1214:
	s_delay_alu instid0(SALU_CYCLE_1)
	s_and_not1_b32 vcc_lo, exec_lo, s0
	s_cbranch_vccnz .LBB256_1216
; %bb.1215:
	global_load_u8 v0, v[0:1], off
	s_waitcnt vmcnt(0)
	v_cvt_f32_ubyte0_e32 v10, v0
.LBB256_1216:
	s_branch .LBB256_1289
.LBB256_1217:
	s_trap 2
	s_sendmsg_rtn_b32 s0, sendmsg(MSG_RTN_GET_DOORBELL)
	s_mov_b32 ttmp2, m0
	s_waitcnt lgkmcnt(0)
	s_and_b32 s0, s0, 0x3ff
	s_delay_alu instid0(SALU_CYCLE_1) | instskip(NEXT) | instid1(SALU_CYCLE_1)
	s_bitset1_b32 s0, 10
	s_mov_b32 m0, s0
	s_sendmsg sendmsg(MSG_INTERRUPT)
	s_mov_b32 m0, ttmp2
.LBB256_1218:                           ; =>This Inner Loop Header: Depth=1
	s_sethalt 5
	s_branch .LBB256_1218
.LBB256_1219:
	s_or_saveexec_b32 s15, s15
                                        ; implicit-def: $sgpr16
	s_delay_alu instid0(SALU_CYCLE_1)
	s_xor_b32 exec_lo, exec_lo, s15
	s_cbranch_execz .LBB256_947
.LBB256_1220:
	v_add_f32_e64 v3, 0x42800000, |v2|
	s_and_not1_b32 s14, s14, exec_lo
	s_mov_b32 s16, 0
	s_delay_alu instid0(VALU_DEP_1) | instskip(NEXT) | instid1(VALU_DEP_1)
	v_and_b32_e32 v3, 0xff, v3
	v_cmp_ne_u32_e32 vcc_lo, 0, v3
	s_and_b32 s17, vcc_lo, exec_lo
	s_delay_alu instid0(SALU_CYCLE_1)
	s_or_b32 s14, s14, s17
	s_or_b32 exec_lo, exec_lo, s15
	v_mov_b32_e32 v4, s16
	s_and_saveexec_b32 s15, s14
	s_cbranch_execnz .LBB256_948
	s_branch .LBB256_949
.LBB256_1221:
	s_mov_b32 s0, -1
	s_mov_b32 s11, 0
.LBB256_1222:
                                        ; implicit-def: $vgpr10
.LBB256_1223:
	s_and_b32 vcc_lo, exec_lo, s12
	s_cbranch_vccz .LBB256_1227
; %bb.1224:
	v_cmp_eq_u16_e32 vcc_lo, 44, v6
	s_cbranch_vccz .LBB256_1226
; %bb.1225:
	global_load_u8 v7, v[0:1], off
	s_mov_b32 s0, 0
	s_mov_b32 s11, -1
	s_waitcnt vmcnt(0)
	v_lshlrev_b32_e32 v8, 23, v7
	v_cmp_ne_u32_e32 vcc_lo, 0xff, v7
	s_delay_alu instid0(VALU_DEP_2) | instskip(SKIP_1) | instid1(VALU_DEP_2)
	v_cndmask_b32_e32 v8, 0x7f800001, v8, vcc_lo
	v_cmp_ne_u32_e32 vcc_lo, 0, v7
	v_cndmask_b32_e32 v10, 0x400000, v8, vcc_lo
	s_branch .LBB256_1227
.LBB256_1226:
	s_mov_b32 s0, -1
                                        ; implicit-def: $vgpr10
.LBB256_1227:
	s_mov_b32 s12, 0
.LBB256_1228:
	s_delay_alu instid0(SALU_CYCLE_1)
	s_and_b32 vcc_lo, exec_lo, s12
	s_cbranch_vccz .LBB256_1232
; %bb.1229:
	v_cmp_eq_u16_e32 vcc_lo, 29, v6
	s_cbranch_vccz .LBB256_1231
; %bb.1230:
	global_load_b64 v[7:8], v[0:1], off
	s_mov_b32 s0, 0
	s_mov_b32 s11, -1
	s_mov_b32 s12, 0
	s_waitcnt vmcnt(0)
	v_clz_i32_u32_e32 v9, v8
	s_delay_alu instid0(VALU_DEP_1) | instskip(NEXT) | instid1(VALU_DEP_1)
	v_min_u32_e32 v9, 32, v9
	v_lshlrev_b64 v[7:8], v9, v[7:8]
	s_delay_alu instid0(VALU_DEP_1) | instskip(NEXT) | instid1(VALU_DEP_1)
	v_min_u32_e32 v7, 1, v7
	v_or_b32_e32 v7, v8, v7
	v_sub_nc_u32_e32 v8, 32, v9
	s_delay_alu instid0(VALU_DEP_2) | instskip(NEXT) | instid1(VALU_DEP_1)
	v_cvt_f32_u32_e32 v7, v7
	v_ldexp_f32 v10, v7, v8
	s_branch .LBB256_1233
.LBB256_1231:
	s_mov_b32 s0, -1
                                        ; implicit-def: $vgpr10
.LBB256_1232:
	s_mov_b32 s12, 0
.LBB256_1233:
	s_delay_alu instid0(SALU_CYCLE_1)
	s_and_b32 vcc_lo, exec_lo, s12
	s_cbranch_vccz .LBB256_1251
; %bb.1234:
	v_cmp_gt_i16_e32 vcc_lo, 27, v6
	s_cbranch_vccnz .LBB256_1237
; %bb.1235:
	v_cmp_lt_i16_e32 vcc_lo, 27, v6
	s_cbranch_vccz .LBB256_1238
; %bb.1236:
	global_load_b32 v7, v[0:1], off
	s_mov_b32 s11, 0
	s_waitcnt vmcnt(0)
	v_cvt_f32_u32_e32 v10, v7
	s_branch .LBB256_1239
.LBB256_1237:
	s_mov_b32 s11, -1
                                        ; implicit-def: $vgpr10
	s_branch .LBB256_1242
.LBB256_1238:
	s_mov_b32 s11, -1
                                        ; implicit-def: $vgpr10
.LBB256_1239:
	s_delay_alu instid0(SALU_CYCLE_1)
	s_and_not1_b32 vcc_lo, exec_lo, s11
	s_cbranch_vccnz .LBB256_1241
; %bb.1240:
	global_load_u16 v7, v[0:1], off
	s_waitcnt vmcnt(0)
	v_cvt_f32_u32_e32 v10, v7
.LBB256_1241:
	s_mov_b32 s11, 0
.LBB256_1242:
	s_delay_alu instid0(SALU_CYCLE_1)
	s_and_not1_b32 vcc_lo, exec_lo, s11
	s_cbranch_vccnz .LBB256_1250
; %bb.1243:
	global_load_u8 v7, v[0:1], off
	s_mov_b32 s11, 0
	s_mov_b32 s13, exec_lo
                                        ; implicit-def: $sgpr12
	s_waitcnt vmcnt(0)
	v_cmpx_lt_i16_e32 0x7f, v7
	s_xor_b32 s13, exec_lo, s13
	s_cbranch_execz .LBB256_1263
; %bb.1244:
	s_mov_b32 s11, -1
	s_mov_b32 s14, exec_lo
                                        ; implicit-def: $sgpr12
	v_cmpx_eq_u16_e32 0x80, v7
; %bb.1245:
	s_mov_b32 s12, 0x7f800001
	s_xor_b32 s11, exec_lo, -1
; %bb.1246:
	s_or_b32 exec_lo, exec_lo, s14
	s_delay_alu instid0(SALU_CYCLE_1)
	s_and_b32 s11, s11, exec_lo
	s_or_saveexec_b32 s13, s13
	v_mov_b32_e32 v10, s12
	s_xor_b32 exec_lo, exec_lo, s13
	s_cbranch_execnz .LBB256_1264
.LBB256_1247:
	s_or_b32 exec_lo, exec_lo, s13
	s_and_saveexec_b32 s12, s11
	s_cbranch_execz .LBB256_1249
.LBB256_1248:
	v_and_b32_e32 v8, 0xffff, v7
	v_lshlrev_b32_e32 v7, 24, v7
	s_delay_alu instid0(VALU_DEP_2) | instskip(NEXT) | instid1(VALU_DEP_2)
	v_and_b32_e32 v9, 7, v8
	v_and_b32_e32 v7, 0x80000000, v7
	s_delay_alu instid0(VALU_DEP_2) | instskip(NEXT) | instid1(VALU_DEP_1)
	v_clz_i32_u32_e32 v10, v9
	v_min_u32_e32 v10, 32, v10
	s_delay_alu instid0(VALU_DEP_1) | instskip(SKIP_1) | instid1(VALU_DEP_2)
	v_subrev_nc_u32_e32 v11, 28, v10
	v_sub_nc_u32_e32 v10, 29, v10
	v_lshlrev_b32_e32 v11, v11, v8
	v_bfe_u32 v8, v8, 3, 4
	s_delay_alu instid0(VALU_DEP_2) | instskip(NEXT) | instid1(VALU_DEP_2)
	v_and_b32_e32 v11, 7, v11
	v_cmp_eq_u32_e32 vcc_lo, 0, v8
	s_delay_alu instid0(VALU_DEP_2) | instskip(NEXT) | instid1(VALU_DEP_1)
	v_dual_cndmask_b32 v8, v8, v10 :: v_dual_cndmask_b32 v9, v9, v11
	v_lshl_add_u32 v8, v8, 23, 0x3b800000
	s_delay_alu instid0(VALU_DEP_2) | instskip(NEXT) | instid1(VALU_DEP_1)
	v_lshlrev_b32_e32 v9, 20, v9
	v_or3_b32 v10, v7, v8, v9
.LBB256_1249:
	s_or_b32 exec_lo, exec_lo, s12
.LBB256_1250:
	s_mov_b32 s11, -1
.LBB256_1251:
	s_branch .LBB256_1284
.LBB256_1252:
	v_cmp_lt_i16_e32 vcc_lo, 22, v6
	s_cbranch_vccz .LBB256_1262
; %bb.1253:
	v_cmp_gt_i16_e32 vcc_lo, 24, v6
	s_cbranch_vccnz .LBB256_1265
; %bb.1254:
	v_cmp_lt_i16_e32 vcc_lo, 24, v6
	s_cbranch_vccz .LBB256_1266
; %bb.1255:
	global_load_u8 v7, v[0:1], off
	s_mov_b32 s12, exec_lo
                                        ; implicit-def: $sgpr11
	s_waitcnt vmcnt(0)
	v_cmpx_lt_i16_e32 0x7f, v7
	s_xor_b32 s12, exec_lo, s12
	s_cbranch_execz .LBB256_1278
; %bb.1256:
	s_mov_b32 s10, -1
	s_mov_b32 s13, exec_lo
                                        ; implicit-def: $sgpr11
	v_cmpx_eq_u16_e32 0x80, v7
; %bb.1257:
	s_mov_b32 s11, 0x7f800001
	s_xor_b32 s10, exec_lo, -1
; %bb.1258:
	s_or_b32 exec_lo, exec_lo, s13
	s_delay_alu instid0(SALU_CYCLE_1)
	s_and_b32 s10, s10, exec_lo
	s_or_saveexec_b32 s12, s12
	v_mov_b32_e32 v10, s11
	s_xor_b32 exec_lo, exec_lo, s12
	s_cbranch_execnz .LBB256_1279
.LBB256_1259:
	s_or_b32 exec_lo, exec_lo, s12
	s_and_saveexec_b32 s11, s10
	s_cbranch_execz .LBB256_1261
.LBB256_1260:
	v_and_b32_e32 v8, 0xffff, v7
	v_lshlrev_b32_e32 v7, 24, v7
	s_delay_alu instid0(VALU_DEP_2) | instskip(NEXT) | instid1(VALU_DEP_2)
	v_and_b32_e32 v9, 3, v8
	v_and_b32_e32 v7, 0x80000000, v7
	s_delay_alu instid0(VALU_DEP_2) | instskip(NEXT) | instid1(VALU_DEP_1)
	v_clz_i32_u32_e32 v10, v9
	v_min_u32_e32 v10, 32, v10
	s_delay_alu instid0(VALU_DEP_1) | instskip(SKIP_1) | instid1(VALU_DEP_2)
	v_subrev_nc_u32_e32 v11, 29, v10
	v_sub_nc_u32_e32 v10, 30, v10
	v_lshlrev_b32_e32 v11, v11, v8
	v_bfe_u32 v8, v8, 2, 5
	s_delay_alu instid0(VALU_DEP_2) | instskip(NEXT) | instid1(VALU_DEP_2)
	v_and_b32_e32 v11, 3, v11
	v_cmp_eq_u32_e32 vcc_lo, 0, v8
	s_delay_alu instid0(VALU_DEP_2) | instskip(NEXT) | instid1(VALU_DEP_1)
	v_dual_cndmask_b32 v8, v8, v10 :: v_dual_cndmask_b32 v9, v9, v11
	v_lshl_add_u32 v8, v8, 23, 0x37800000
	s_delay_alu instid0(VALU_DEP_2) | instskip(NEXT) | instid1(VALU_DEP_1)
	v_lshlrev_b32_e32 v9, 21, v9
	v_or3_b32 v10, v7, v8, v9
.LBB256_1261:
	s_or_b32 exec_lo, exec_lo, s11
	s_mov_b32 s10, 0
	s_branch .LBB256_1267
.LBB256_1262:
	s_mov_b32 s10, -1
                                        ; implicit-def: $vgpr10
	s_branch .LBB256_1273
.LBB256_1263:
	s_or_saveexec_b32 s13, s13
	v_mov_b32_e32 v10, s12
	s_xor_b32 exec_lo, exec_lo, s13
	s_cbranch_execz .LBB256_1247
.LBB256_1264:
	v_cmp_ne_u16_e32 vcc_lo, 0, v7
	v_mov_b32_e32 v10, 0
	s_and_not1_b32 s11, s11, exec_lo
	s_and_b32 s12, vcc_lo, exec_lo
	s_delay_alu instid0(SALU_CYCLE_1)
	s_or_b32 s11, s11, s12
	s_or_b32 exec_lo, exec_lo, s13
	s_and_saveexec_b32 s12, s11
	s_cbranch_execnz .LBB256_1248
	s_branch .LBB256_1249
.LBB256_1265:
	s_mov_b32 s10, -1
                                        ; implicit-def: $vgpr10
	s_branch .LBB256_1270
.LBB256_1266:
	s_mov_b32 s10, -1
                                        ; implicit-def: $vgpr10
.LBB256_1267:
	s_delay_alu instid0(SALU_CYCLE_1)
	s_and_b32 vcc_lo, exec_lo, s10
	s_cbranch_vccz .LBB256_1269
; %bb.1268:
	global_load_u8 v7, v[0:1], off
	s_waitcnt vmcnt(0)
	v_lshlrev_b32_e32 v7, 24, v7
	s_delay_alu instid0(VALU_DEP_1) | instskip(NEXT) | instid1(VALU_DEP_1)
	v_and_b32_e32 v8, 0x7f000000, v7
	v_clz_i32_u32_e32 v9, v8
	v_add_nc_u32_e32 v11, 0x1000000, v8
	v_cmp_ne_u32_e32 vcc_lo, 0, v8
	s_delay_alu instid0(VALU_DEP_3) | instskip(NEXT) | instid1(VALU_DEP_1)
	v_min_u32_e32 v9, 32, v9
	v_sub_nc_u32_e64 v9, v9, 4 clamp
	s_delay_alu instid0(VALU_DEP_1) | instskip(SKIP_1) | instid1(VALU_DEP_2)
	v_lshlrev_b32_e32 v10, v9, v8
	v_lshlrev_b32_e32 v9, 23, v9
	v_lshrrev_b32_e32 v10, 4, v10
	s_delay_alu instid0(VALU_DEP_1) | instskip(SKIP_1) | instid1(VALU_DEP_2)
	v_sub_nc_u32_e32 v9, v10, v9
	v_ashrrev_i32_e32 v10, 8, v11
	v_add_nc_u32_e32 v9, 0x3c000000, v9
	s_delay_alu instid0(VALU_DEP_1) | instskip(NEXT) | instid1(VALU_DEP_1)
	v_and_or_b32 v9, 0x7f800000, v10, v9
	v_cndmask_b32_e32 v8, 0, v9, vcc_lo
	s_delay_alu instid0(VALU_DEP_1)
	v_and_or_b32 v10, 0x80000000, v7, v8
.LBB256_1269:
	s_mov_b32 s10, 0
.LBB256_1270:
	s_delay_alu instid0(SALU_CYCLE_1)
	s_and_not1_b32 vcc_lo, exec_lo, s10
	s_cbranch_vccnz .LBB256_1272
; %bb.1271:
	global_load_u8 v7, v[0:1], off
	s_waitcnt vmcnt(0)
	v_lshlrev_b32_e32 v8, 25, v7
	v_lshlrev_b16 v7, 8, v7
	s_delay_alu instid0(VALU_DEP_2) | instskip(NEXT) | instid1(VALU_DEP_2)
	v_lshrrev_b32_e32 v9, 4, v8
	v_and_or_b32 v10, 0x7f00, v7, 0.5
	v_bfe_i32 v7, v7, 0, 16
	s_delay_alu instid0(VALU_DEP_3) | instskip(NEXT) | instid1(VALU_DEP_1)
	v_or_b32_e32 v9, 0x70000000, v9
	v_dual_add_f32 v10, -0.5, v10 :: v_dual_mul_f32 v9, 0x7800000, v9
	v_cmp_gt_u32_e32 vcc_lo, 0x8000000, v8
	s_delay_alu instid0(VALU_DEP_2) | instskip(NEXT) | instid1(VALU_DEP_1)
	v_cndmask_b32_e32 v8, v9, v10, vcc_lo
	v_and_or_b32 v10, 0x80000000, v7, v8
.LBB256_1272:
	s_mov_b32 s10, 0
	s_mov_b32 s11, -1
.LBB256_1273:
	s_and_not1_b32 vcc_lo, exec_lo, s10
	s_mov_b32 s10, 0
	s_cbranch_vccnz .LBB256_1284
; %bb.1274:
	v_cmp_lt_i16_e32 vcc_lo, 14, v6
	s_cbranch_vccz .LBB256_1277
; %bb.1275:
	v_cmp_eq_u16_e32 vcc_lo, 15, v6
	s_cbranch_vccz .LBB256_1280
; %bb.1276:
	global_load_u16 v7, v[0:1], off
	s_mov_b32 s0, 0
	s_mov_b32 s11, -1
	s_waitcnt vmcnt(0)
	v_lshlrev_b32_e32 v10, 16, v7
	s_branch .LBB256_1282
.LBB256_1277:
	s_mov_b32 s10, -1
	s_branch .LBB256_1281
.LBB256_1278:
	s_or_saveexec_b32 s12, s12
	v_mov_b32_e32 v10, s11
	s_xor_b32 exec_lo, exec_lo, s12
	s_cbranch_execz .LBB256_1259
.LBB256_1279:
	v_cmp_ne_u16_e32 vcc_lo, 0, v7
	v_mov_b32_e32 v10, 0
	s_and_not1_b32 s10, s10, exec_lo
	s_and_b32 s11, vcc_lo, exec_lo
	s_delay_alu instid0(SALU_CYCLE_1)
	s_or_b32 s10, s10, s11
	s_or_b32 exec_lo, exec_lo, s12
	s_and_saveexec_b32 s11, s10
	s_cbranch_execnz .LBB256_1260
	s_branch .LBB256_1261
.LBB256_1280:
	s_mov_b32 s0, -1
.LBB256_1281:
                                        ; implicit-def: $vgpr10
.LBB256_1282:
	s_and_b32 vcc_lo, exec_lo, s10
	s_mov_b32 s10, 0
	s_cbranch_vccz .LBB256_1284
; %bb.1283:
	v_cmp_ne_u16_e64 s0, 11, v6
	s_mov_b32 s10, -1
                                        ; implicit-def: $vgpr10
.LBB256_1284:
	s_delay_alu instid0(VALU_DEP_1)
	s_and_b32 vcc_lo, exec_lo, s0
	s_cbranch_vccnz .LBB256_1308
; %bb.1285:
	s_and_not1_b32 vcc_lo, exec_lo, s10
	s_cbranch_vccnz .LBB256_1287
.LBB256_1286:
	global_load_u8 v7, v[0:1], off
	s_mov_b32 s11, -1
	s_waitcnt vmcnt(0)
	v_cmp_ne_u16_e32 vcc_lo, 0, v7
	v_cndmask_b32_e64 v10, 0, 1.0, vcc_lo
.LBB256_1287:
.LBB256_1288:
	s_and_not1_b32 vcc_lo, exec_lo, s11
	s_cbranch_vccnz .LBB256_1986
.LBB256_1289:
	v_add_nc_u32_e32 v3, s3, v3
	v_cmp_gt_i16_e32 vcc_lo, 11, v6
	s_delay_alu instid0(VALU_DEP_2) | instskip(SKIP_1) | instid1(VALU_DEP_1)
	v_ashrrev_i32_e32 v1, 31, v3
	v_add_co_u32 v0, s0, s6, v3
	v_add_co_ci_u32_e64 v1, s0, s7, v1, s0
	s_cbranch_vccnz .LBB256_1296
; %bb.1290:
	v_cmp_lt_i16_e32 vcc_lo, 25, v6
	s_mov_b32 s10, 0
	s_cbranch_vccz .LBB256_1302
; %bb.1291:
	v_cmp_lt_i16_e32 vcc_lo, 28, v6
	s_cbranch_vccz .LBB256_1304
; %bb.1292:
	v_cmp_lt_i16_e32 vcc_lo, 43, v6
	;; [unrolled: 3-line block ×3, first 2 shown]
	s_cbranch_vccz .LBB256_1310
; %bb.1294:
	v_cmp_eq_u16_e32 vcc_lo, 46, v6
	s_mov_b32 s12, 0
	s_cbranch_vccz .LBB256_1353
; %bb.1295:
	global_load_b32 v7, v[0:1], off
	s_mov_b32 s0, 0
	s_mov_b32 s11, -1
	s_waitcnt vmcnt(0)
	v_lshlrev_b32_e32 v9, 16, v7
	s_branch .LBB256_1355
.LBB256_1296:
	s_mov_b32 s11, 0
                                        ; implicit-def: $vgpr9
	s_cbranch_execz .LBB256_1421
; %bb.1297:
	v_cmp_gt_i16_e32 vcc_lo, 5, v6
	s_cbranch_vccnz .LBB256_1303
; %bb.1298:
	v_cmp_gt_i16_e32 vcc_lo, 8, v6
	s_cbranch_vccnz .LBB256_1305
; %bb.1299:
	v_cmp_gt_i16_e32 vcc_lo, 9, v6
	s_cbranch_vccnz .LBB256_1307
; %bb.1300:
	v_cmp_lt_i16_e32 vcc_lo, 9, v6
	s_cbranch_vccz .LBB256_1311
; %bb.1301:
	global_load_b64 v[7:8], v[0:1], off
	s_mov_b32 s0, 0
	s_waitcnt vmcnt(0)
	v_cvt_f32_f64_e32 v9, v[7:8]
	s_branch .LBB256_1312
.LBB256_1302:
	s_mov_b32 s12, -1
	s_mov_b32 s11, 0
	s_mov_b32 s0, 0
                                        ; implicit-def: $vgpr9
	s_branch .LBB256_1384
.LBB256_1303:
	s_mov_b32 s0, -1
                                        ; implicit-def: $vgpr9
	s_branch .LBB256_1330
.LBB256_1304:
	s_mov_b32 s12, -1
	s_mov_b32 s11, 0
	s_mov_b32 s0, 0
                                        ; implicit-def: $vgpr9
	s_branch .LBB256_1365
.LBB256_1305:
	s_mov_b32 s0, -1
                                        ; implicit-def: $vgpr9
	s_branch .LBB256_1318
.LBB256_1306:
	s_mov_b32 s12, -1
	s_mov_b32 s11, 0
	s_mov_b32 s0, 0
                                        ; implicit-def: $vgpr9
	s_branch .LBB256_1360
.LBB256_1307:
	s_mov_b32 s0, -1
                                        ; implicit-def: $vgpr9
	s_branch .LBB256_1315
.LBB256_1308:
	s_cbranch_execnz .LBB256_1351
; %bb.1309:
	s_or_b32 s1, s1, exec_lo
                                        ; implicit-def: $vgpr10
	s_cbranch_execz .LBB256_1286
	s_branch .LBB256_1287
.LBB256_1310:
	s_mov_b32 s12, -1
	s_mov_b32 s11, 0
	s_mov_b32 s0, 0
	s_branch .LBB256_1354
.LBB256_1311:
	s_mov_b32 s0, -1
                                        ; implicit-def: $vgpr9
.LBB256_1312:
	s_delay_alu instid0(SALU_CYCLE_1)
	s_and_not1_b32 vcc_lo, exec_lo, s0
	s_cbranch_vccnz .LBB256_1314
; %bb.1313:
	global_load_b32 v9, v[0:1], off
.LBB256_1314:
	s_mov_b32 s0, 0
.LBB256_1315:
	s_delay_alu instid0(SALU_CYCLE_1)
	s_and_not1_b32 vcc_lo, exec_lo, s0
	s_cbranch_vccnz .LBB256_1317
; %bb.1316:
	global_load_b32 v7, v[0:1], off
	s_waitcnt vmcnt(0)
	v_cvt_f32_f16_e32 v9, v7
.LBB256_1317:
	s_mov_b32 s0, 0
.LBB256_1318:
	s_delay_alu instid0(SALU_CYCLE_1)
	s_and_not1_b32 vcc_lo, exec_lo, s0
	s_cbranch_vccnz .LBB256_1329
; %bb.1319:
	v_cmp_gt_i16_e32 vcc_lo, 6, v6
	s_cbranch_vccnz .LBB256_1322
; %bb.1320:
	v_cmp_lt_i16_e32 vcc_lo, 6, v6
	s_cbranch_vccz .LBB256_1323
; %bb.1321:
	global_load_b64 v[7:8], v[0:1], off
	s_mov_b32 s0, 0
	s_waitcnt vmcnt(0)
	v_cvt_f32_f64_e32 v9, v[7:8]
	s_branch .LBB256_1324
.LBB256_1322:
	s_mov_b32 s0, -1
                                        ; implicit-def: $vgpr9
	s_branch .LBB256_1327
.LBB256_1323:
	s_mov_b32 s0, -1
                                        ; implicit-def: $vgpr9
.LBB256_1324:
	s_delay_alu instid0(SALU_CYCLE_1)
	s_and_not1_b32 vcc_lo, exec_lo, s0
	s_cbranch_vccnz .LBB256_1326
; %bb.1325:
	global_load_b32 v9, v[0:1], off
.LBB256_1326:
	s_mov_b32 s0, 0
.LBB256_1327:
	s_delay_alu instid0(SALU_CYCLE_1)
	s_and_not1_b32 vcc_lo, exec_lo, s0
	s_cbranch_vccnz .LBB256_1329
; %bb.1328:
	global_load_u16 v7, v[0:1], off
	s_waitcnt vmcnt(0)
	v_cvt_f32_f16_e32 v9, v7
.LBB256_1329:
	s_mov_b32 s0, 0
.LBB256_1330:
	s_delay_alu instid0(SALU_CYCLE_1)
	s_and_not1_b32 vcc_lo, exec_lo, s0
	s_cbranch_vccnz .LBB256_1350
; %bb.1331:
	v_cmp_gt_i16_e32 vcc_lo, 2, v6
	s_cbranch_vccnz .LBB256_1335
; %bb.1332:
	v_cmp_gt_i16_e32 vcc_lo, 3, v6
	s_cbranch_vccnz .LBB256_1336
; %bb.1333:
	v_cmp_lt_i16_e32 vcc_lo, 3, v6
	s_cbranch_vccz .LBB256_1337
; %bb.1334:
	global_load_b64 v[7:8], v[0:1], off
	s_mov_b32 s0, 0
	s_waitcnt vmcnt(0)
	v_xor_b32_e32 v9, v7, v8
	v_cls_i32_e32 v11, v8
	s_delay_alu instid0(VALU_DEP_2) | instskip(NEXT) | instid1(VALU_DEP_2)
	v_ashrrev_i32_e32 v9, 31, v9
	v_add_nc_u32_e32 v11, -1, v11
	s_delay_alu instid0(VALU_DEP_2) | instskip(NEXT) | instid1(VALU_DEP_1)
	v_add_nc_u32_e32 v9, 32, v9
	v_min_u32_e32 v9, v11, v9
	s_delay_alu instid0(VALU_DEP_1) | instskip(NEXT) | instid1(VALU_DEP_1)
	v_lshlrev_b64 v[7:8], v9, v[7:8]
	v_min_u32_e32 v7, 1, v7
	s_delay_alu instid0(VALU_DEP_1) | instskip(SKIP_1) | instid1(VALU_DEP_2)
	v_or_b32_e32 v7, v8, v7
	v_sub_nc_u32_e32 v8, 32, v9
	v_cvt_f32_i32_e32 v7, v7
	s_delay_alu instid0(VALU_DEP_1)
	v_ldexp_f32 v9, v7, v8
	s_branch .LBB256_1338
.LBB256_1335:
	s_mov_b32 s0, -1
                                        ; implicit-def: $vgpr9
	s_branch .LBB256_1344
.LBB256_1336:
	s_mov_b32 s0, -1
                                        ; implicit-def: $vgpr9
	s_branch .LBB256_1341
.LBB256_1337:
	s_mov_b32 s0, -1
                                        ; implicit-def: $vgpr9
.LBB256_1338:
	s_delay_alu instid0(SALU_CYCLE_1)
	s_and_not1_b32 vcc_lo, exec_lo, s0
	s_cbranch_vccnz .LBB256_1340
; %bb.1339:
	global_load_b32 v7, v[0:1], off
	s_waitcnt vmcnt(0)
	v_cvt_f32_i32_e32 v9, v7
.LBB256_1340:
	s_mov_b32 s0, 0
.LBB256_1341:
	s_delay_alu instid0(SALU_CYCLE_1)
	s_and_not1_b32 vcc_lo, exec_lo, s0
	s_cbranch_vccnz .LBB256_1343
; %bb.1342:
	global_load_i16 v7, v[0:1], off
	s_waitcnt vmcnt(0)
	v_cvt_f32_i32_e32 v9, v7
.LBB256_1343:
	s_mov_b32 s0, 0
.LBB256_1344:
	s_delay_alu instid0(SALU_CYCLE_1)
	s_and_not1_b32 vcc_lo, exec_lo, s0
	s_cbranch_vccnz .LBB256_1350
; %bb.1345:
	v_cmp_lt_i16_e32 vcc_lo, 0, v6
	s_mov_b32 s0, 0
	s_cbranch_vccz .LBB256_1347
; %bb.1346:
	global_load_i8 v7, v[0:1], off
	s_waitcnt vmcnt(0)
	v_cvt_f32_i32_e32 v9, v7
	s_branch .LBB256_1348
.LBB256_1347:
	s_mov_b32 s0, -1
                                        ; implicit-def: $vgpr9
.LBB256_1348:
	s_delay_alu instid0(SALU_CYCLE_1)
	s_and_not1_b32 vcc_lo, exec_lo, s0
	s_cbranch_vccnz .LBB256_1350
; %bb.1349:
	global_load_u8 v0, v[0:1], off
	s_waitcnt vmcnt(0)
	v_cvt_f32_ubyte0_e32 v9, v0
.LBB256_1350:
	s_branch .LBB256_1422
.LBB256_1351:
	s_trap 2
	s_sendmsg_rtn_b32 s0, sendmsg(MSG_RTN_GET_DOORBELL)
	s_mov_b32 ttmp2, m0
	s_waitcnt lgkmcnt(0)
	s_and_b32 s0, s0, 0x3ff
	s_delay_alu instid0(SALU_CYCLE_1) | instskip(NEXT) | instid1(SALU_CYCLE_1)
	s_bitset1_b32 s0, 10
	s_mov_b32 m0, s0
	s_sendmsg sendmsg(MSG_INTERRUPT)
	s_mov_b32 m0, ttmp2
.LBB256_1352:                           ; =>This Inner Loop Header: Depth=1
	s_sethalt 5
	s_branch .LBB256_1352
.LBB256_1353:
	s_mov_b32 s0, -1
	s_mov_b32 s11, 0
.LBB256_1354:
                                        ; implicit-def: $vgpr9
.LBB256_1355:
	s_and_b32 vcc_lo, exec_lo, s12
	s_cbranch_vccz .LBB256_1359
; %bb.1356:
	v_cmp_eq_u16_e32 vcc_lo, 44, v6
	s_cbranch_vccz .LBB256_1358
; %bb.1357:
	global_load_u8 v7, v[0:1], off
	s_mov_b32 s0, 0
	s_mov_b32 s11, -1
	s_waitcnt vmcnt(0)
	v_lshlrev_b32_e32 v8, 23, v7
	v_cmp_ne_u32_e32 vcc_lo, 0xff, v7
	s_delay_alu instid0(VALU_DEP_2) | instskip(SKIP_1) | instid1(VALU_DEP_2)
	v_cndmask_b32_e32 v8, 0x7f800001, v8, vcc_lo
	v_cmp_ne_u32_e32 vcc_lo, 0, v7
	v_cndmask_b32_e32 v9, 0x400000, v8, vcc_lo
	s_branch .LBB256_1359
.LBB256_1358:
	s_mov_b32 s0, -1
                                        ; implicit-def: $vgpr9
.LBB256_1359:
	s_mov_b32 s12, 0
.LBB256_1360:
	s_delay_alu instid0(SALU_CYCLE_1)
	s_and_b32 vcc_lo, exec_lo, s12
	s_cbranch_vccz .LBB256_1364
; %bb.1361:
	v_cmp_eq_u16_e32 vcc_lo, 29, v6
	s_cbranch_vccz .LBB256_1363
; %bb.1362:
	global_load_b64 v[7:8], v[0:1], off
	s_mov_b32 s0, 0
	s_mov_b32 s11, -1
	s_mov_b32 s12, 0
	s_waitcnt vmcnt(0)
	v_clz_i32_u32_e32 v9, v8
	s_delay_alu instid0(VALU_DEP_1) | instskip(NEXT) | instid1(VALU_DEP_1)
	v_min_u32_e32 v9, 32, v9
	v_lshlrev_b64 v[7:8], v9, v[7:8]
	s_delay_alu instid0(VALU_DEP_1) | instskip(NEXT) | instid1(VALU_DEP_1)
	v_min_u32_e32 v7, 1, v7
	v_or_b32_e32 v7, v8, v7
	v_sub_nc_u32_e32 v8, 32, v9
	s_delay_alu instid0(VALU_DEP_2) | instskip(NEXT) | instid1(VALU_DEP_1)
	v_cvt_f32_u32_e32 v7, v7
	v_ldexp_f32 v9, v7, v8
	s_branch .LBB256_1365
.LBB256_1363:
	s_mov_b32 s0, -1
                                        ; implicit-def: $vgpr9
.LBB256_1364:
	s_mov_b32 s12, 0
.LBB256_1365:
	s_delay_alu instid0(SALU_CYCLE_1)
	s_and_b32 vcc_lo, exec_lo, s12
	s_cbranch_vccz .LBB256_1383
; %bb.1366:
	v_cmp_gt_i16_e32 vcc_lo, 27, v6
	s_cbranch_vccnz .LBB256_1369
; %bb.1367:
	v_cmp_lt_i16_e32 vcc_lo, 27, v6
	s_cbranch_vccz .LBB256_1370
; %bb.1368:
	global_load_b32 v7, v[0:1], off
	s_mov_b32 s11, 0
	s_waitcnt vmcnt(0)
	v_cvt_f32_u32_e32 v9, v7
	s_branch .LBB256_1371
.LBB256_1369:
	s_mov_b32 s11, -1
                                        ; implicit-def: $vgpr9
	s_branch .LBB256_1374
.LBB256_1370:
	s_mov_b32 s11, -1
                                        ; implicit-def: $vgpr9
.LBB256_1371:
	s_delay_alu instid0(SALU_CYCLE_1)
	s_and_not1_b32 vcc_lo, exec_lo, s11
	s_cbranch_vccnz .LBB256_1373
; %bb.1372:
	global_load_u16 v7, v[0:1], off
	s_waitcnt vmcnt(0)
	v_cvt_f32_u32_e32 v9, v7
.LBB256_1373:
	s_mov_b32 s11, 0
.LBB256_1374:
	s_delay_alu instid0(SALU_CYCLE_1)
	s_and_not1_b32 vcc_lo, exec_lo, s11
	s_cbranch_vccnz .LBB256_1382
; %bb.1375:
	global_load_u8 v7, v[0:1], off
	s_mov_b32 s11, 0
	s_mov_b32 s13, exec_lo
                                        ; implicit-def: $sgpr12
	s_waitcnt vmcnt(0)
	v_cmpx_lt_i16_e32 0x7f, v7
	s_xor_b32 s13, exec_lo, s13
	s_cbranch_execz .LBB256_1396
; %bb.1376:
	s_mov_b32 s11, -1
	s_mov_b32 s14, exec_lo
                                        ; implicit-def: $sgpr12
	v_cmpx_eq_u16_e32 0x80, v7
; %bb.1377:
	s_mov_b32 s12, 0x7f800001
	s_xor_b32 s11, exec_lo, -1
; %bb.1378:
	s_or_b32 exec_lo, exec_lo, s14
	s_delay_alu instid0(SALU_CYCLE_1)
	s_and_b32 s11, s11, exec_lo
	s_or_saveexec_b32 s13, s13
	v_mov_b32_e32 v9, s12
	s_xor_b32 exec_lo, exec_lo, s13
	s_cbranch_execnz .LBB256_1397
.LBB256_1379:
	s_or_b32 exec_lo, exec_lo, s13
	s_and_saveexec_b32 s12, s11
	s_cbranch_execz .LBB256_1381
.LBB256_1380:
	v_and_b32_e32 v8, 0xffff, v7
	v_lshlrev_b32_e32 v7, 24, v7
	s_delay_alu instid0(VALU_DEP_2) | instskip(NEXT) | instid1(VALU_DEP_2)
	v_and_b32_e32 v9, 7, v8
	v_and_b32_e32 v7, 0x80000000, v7
	s_delay_alu instid0(VALU_DEP_2) | instskip(NEXT) | instid1(VALU_DEP_1)
	v_clz_i32_u32_e32 v11, v9
	v_min_u32_e32 v11, 32, v11
	s_delay_alu instid0(VALU_DEP_1) | instskip(SKIP_1) | instid1(VALU_DEP_2)
	v_subrev_nc_u32_e32 v12, 28, v11
	v_sub_nc_u32_e32 v11, 29, v11
	v_lshlrev_b32_e32 v12, v12, v8
	v_bfe_u32 v8, v8, 3, 4
	s_delay_alu instid0(VALU_DEP_2) | instskip(NEXT) | instid1(VALU_DEP_2)
	v_and_b32_e32 v12, 7, v12
	v_cmp_eq_u32_e32 vcc_lo, 0, v8
	s_delay_alu instid0(VALU_DEP_2) | instskip(NEXT) | instid1(VALU_DEP_1)
	v_dual_cndmask_b32 v8, v8, v11 :: v_dual_cndmask_b32 v9, v9, v12
	v_lshl_add_u32 v8, v8, 23, 0x3b800000
	s_delay_alu instid0(VALU_DEP_2) | instskip(NEXT) | instid1(VALU_DEP_1)
	v_lshlrev_b32_e32 v9, 20, v9
	v_or3_b32 v9, v7, v8, v9
.LBB256_1381:
	s_or_b32 exec_lo, exec_lo, s12
.LBB256_1382:
	s_mov_b32 s11, -1
.LBB256_1383:
	s_mov_b32 s12, 0
.LBB256_1384:
	s_delay_alu instid0(SALU_CYCLE_1)
	s_and_b32 vcc_lo, exec_lo, s12
	s_cbranch_vccz .LBB256_1417
; %bb.1385:
	v_cmp_lt_i16_e32 vcc_lo, 22, v6
	s_cbranch_vccz .LBB256_1395
; %bb.1386:
	v_cmp_gt_i16_e32 vcc_lo, 24, v6
	s_cbranch_vccnz .LBB256_1398
; %bb.1387:
	v_cmp_lt_i16_e32 vcc_lo, 24, v6
	s_cbranch_vccz .LBB256_1399
; %bb.1388:
	global_load_u8 v7, v[0:1], off
	s_mov_b32 s12, exec_lo
                                        ; implicit-def: $sgpr11
	s_waitcnt vmcnt(0)
	v_cmpx_lt_i16_e32 0x7f, v7
	s_xor_b32 s12, exec_lo, s12
	s_cbranch_execz .LBB256_1411
; %bb.1389:
	s_mov_b32 s10, -1
	s_mov_b32 s13, exec_lo
                                        ; implicit-def: $sgpr11
	v_cmpx_eq_u16_e32 0x80, v7
; %bb.1390:
	s_mov_b32 s11, 0x7f800001
	s_xor_b32 s10, exec_lo, -1
; %bb.1391:
	s_or_b32 exec_lo, exec_lo, s13
	s_delay_alu instid0(SALU_CYCLE_1)
	s_and_b32 s10, s10, exec_lo
	s_or_saveexec_b32 s12, s12
	v_mov_b32_e32 v9, s11
	s_xor_b32 exec_lo, exec_lo, s12
	s_cbranch_execnz .LBB256_1412
.LBB256_1392:
	s_or_b32 exec_lo, exec_lo, s12
	s_and_saveexec_b32 s11, s10
	s_cbranch_execz .LBB256_1394
.LBB256_1393:
	v_and_b32_e32 v8, 0xffff, v7
	v_lshlrev_b32_e32 v7, 24, v7
	s_delay_alu instid0(VALU_DEP_2) | instskip(NEXT) | instid1(VALU_DEP_2)
	v_and_b32_e32 v9, 3, v8
	v_and_b32_e32 v7, 0x80000000, v7
	s_delay_alu instid0(VALU_DEP_2) | instskip(NEXT) | instid1(VALU_DEP_1)
	v_clz_i32_u32_e32 v11, v9
	v_min_u32_e32 v11, 32, v11
	s_delay_alu instid0(VALU_DEP_1) | instskip(SKIP_1) | instid1(VALU_DEP_2)
	v_subrev_nc_u32_e32 v12, 29, v11
	v_sub_nc_u32_e32 v11, 30, v11
	v_lshlrev_b32_e32 v12, v12, v8
	v_bfe_u32 v8, v8, 2, 5
	s_delay_alu instid0(VALU_DEP_2) | instskip(NEXT) | instid1(VALU_DEP_2)
	v_and_b32_e32 v12, 3, v12
	v_cmp_eq_u32_e32 vcc_lo, 0, v8
	s_delay_alu instid0(VALU_DEP_2) | instskip(NEXT) | instid1(VALU_DEP_1)
	v_dual_cndmask_b32 v8, v8, v11 :: v_dual_cndmask_b32 v9, v9, v12
	v_lshl_add_u32 v8, v8, 23, 0x37800000
	s_delay_alu instid0(VALU_DEP_2) | instskip(NEXT) | instid1(VALU_DEP_1)
	v_lshlrev_b32_e32 v9, 21, v9
	v_or3_b32 v9, v7, v8, v9
.LBB256_1394:
	s_or_b32 exec_lo, exec_lo, s11
	s_mov_b32 s10, 0
	s_branch .LBB256_1400
.LBB256_1395:
	s_mov_b32 s10, -1
                                        ; implicit-def: $vgpr9
	s_branch .LBB256_1406
.LBB256_1396:
	s_or_saveexec_b32 s13, s13
	v_mov_b32_e32 v9, s12
	s_xor_b32 exec_lo, exec_lo, s13
	s_cbranch_execz .LBB256_1379
.LBB256_1397:
	v_cmp_ne_u16_e32 vcc_lo, 0, v7
	v_mov_b32_e32 v9, 0
	s_and_not1_b32 s11, s11, exec_lo
	s_and_b32 s12, vcc_lo, exec_lo
	s_delay_alu instid0(SALU_CYCLE_1)
	s_or_b32 s11, s11, s12
	s_or_b32 exec_lo, exec_lo, s13
	s_and_saveexec_b32 s12, s11
	s_cbranch_execnz .LBB256_1380
	s_branch .LBB256_1381
.LBB256_1398:
	s_mov_b32 s10, -1
                                        ; implicit-def: $vgpr9
	s_branch .LBB256_1403
.LBB256_1399:
	s_mov_b32 s10, -1
                                        ; implicit-def: $vgpr9
.LBB256_1400:
	s_delay_alu instid0(SALU_CYCLE_1)
	s_and_b32 vcc_lo, exec_lo, s10
	s_cbranch_vccz .LBB256_1402
; %bb.1401:
	global_load_u8 v7, v[0:1], off
	s_waitcnt vmcnt(0)
	v_lshlrev_b32_e32 v7, 24, v7
	s_delay_alu instid0(VALU_DEP_1) | instskip(NEXT) | instid1(VALU_DEP_1)
	v_and_b32_e32 v8, 0x7f000000, v7
	v_clz_i32_u32_e32 v9, v8
	v_add_nc_u32_e32 v12, 0x1000000, v8
	v_cmp_ne_u32_e32 vcc_lo, 0, v8
	s_delay_alu instid0(VALU_DEP_3) | instskip(NEXT) | instid1(VALU_DEP_1)
	v_min_u32_e32 v9, 32, v9
	v_sub_nc_u32_e64 v9, v9, 4 clamp
	s_delay_alu instid0(VALU_DEP_1) | instskip(SKIP_1) | instid1(VALU_DEP_2)
	v_lshlrev_b32_e32 v11, v9, v8
	v_lshlrev_b32_e32 v9, 23, v9
	v_lshrrev_b32_e32 v11, 4, v11
	s_delay_alu instid0(VALU_DEP_1) | instskip(SKIP_1) | instid1(VALU_DEP_2)
	v_sub_nc_u32_e32 v9, v11, v9
	v_ashrrev_i32_e32 v11, 8, v12
	v_add_nc_u32_e32 v9, 0x3c000000, v9
	s_delay_alu instid0(VALU_DEP_1) | instskip(NEXT) | instid1(VALU_DEP_1)
	v_and_or_b32 v9, 0x7f800000, v11, v9
	v_cndmask_b32_e32 v8, 0, v9, vcc_lo
	s_delay_alu instid0(VALU_DEP_1)
	v_and_or_b32 v9, 0x80000000, v7, v8
.LBB256_1402:
	s_mov_b32 s10, 0
.LBB256_1403:
	s_delay_alu instid0(SALU_CYCLE_1)
	s_and_not1_b32 vcc_lo, exec_lo, s10
	s_cbranch_vccnz .LBB256_1405
; %bb.1404:
	global_load_u8 v7, v[0:1], off
	s_waitcnt vmcnt(0)
	v_lshlrev_b32_e32 v8, 25, v7
	v_lshlrev_b16 v7, 8, v7
	s_delay_alu instid0(VALU_DEP_2) | instskip(NEXT) | instid1(VALU_DEP_2)
	v_lshrrev_b32_e32 v9, 4, v8
	v_and_or_b32 v11, 0x7f00, v7, 0.5
	v_bfe_i32 v7, v7, 0, 16
	s_delay_alu instid0(VALU_DEP_3) | instskip(NEXT) | instid1(VALU_DEP_3)
	v_or_b32_e32 v9, 0x70000000, v9
	v_add_f32_e32 v11, -0.5, v11
	s_delay_alu instid0(VALU_DEP_2) | instskip(SKIP_1) | instid1(VALU_DEP_2)
	v_mul_f32_e32 v9, 0x7800000, v9
	v_cmp_gt_u32_e32 vcc_lo, 0x8000000, v8
	v_cndmask_b32_e32 v8, v9, v11, vcc_lo
	s_delay_alu instid0(VALU_DEP_1)
	v_and_or_b32 v9, 0x80000000, v7, v8
.LBB256_1405:
	s_mov_b32 s10, 0
	s_mov_b32 s11, -1
.LBB256_1406:
	s_and_not1_b32 vcc_lo, exec_lo, s10
	s_mov_b32 s10, 0
	s_cbranch_vccnz .LBB256_1417
; %bb.1407:
	v_cmp_lt_i16_e32 vcc_lo, 14, v6
	s_cbranch_vccz .LBB256_1410
; %bb.1408:
	v_cmp_eq_u16_e32 vcc_lo, 15, v6
	s_cbranch_vccz .LBB256_1413
; %bb.1409:
	global_load_u16 v7, v[0:1], off
	s_mov_b32 s0, 0
	s_mov_b32 s11, -1
	s_waitcnt vmcnt(0)
	v_lshlrev_b32_e32 v9, 16, v7
	s_branch .LBB256_1415
.LBB256_1410:
	s_mov_b32 s10, -1
	s_branch .LBB256_1414
.LBB256_1411:
	s_or_saveexec_b32 s12, s12
	v_mov_b32_e32 v9, s11
	s_xor_b32 exec_lo, exec_lo, s12
	s_cbranch_execz .LBB256_1392
.LBB256_1412:
	v_cmp_ne_u16_e32 vcc_lo, 0, v7
	v_mov_b32_e32 v9, 0
	s_and_not1_b32 s10, s10, exec_lo
	s_and_b32 s11, vcc_lo, exec_lo
	s_delay_alu instid0(SALU_CYCLE_1)
	s_or_b32 s10, s10, s11
	s_or_b32 exec_lo, exec_lo, s12
	s_and_saveexec_b32 s11, s10
	s_cbranch_execnz .LBB256_1393
	s_branch .LBB256_1394
.LBB256_1413:
	s_mov_b32 s0, -1
.LBB256_1414:
                                        ; implicit-def: $vgpr9
.LBB256_1415:
	s_and_b32 vcc_lo, exec_lo, s10
	s_mov_b32 s10, 0
	s_cbranch_vccz .LBB256_1417
; %bb.1416:
	v_cmp_ne_u16_e64 s0, 11, v6
	s_mov_b32 s10, -1
                                        ; implicit-def: $vgpr9
.LBB256_1417:
	s_delay_alu instid0(VALU_DEP_1)
	s_and_b32 vcc_lo, exec_lo, s0
	s_cbranch_vccnz .LBB256_1433
; %bb.1418:
	s_and_not1_b32 vcc_lo, exec_lo, s10
	s_cbranch_vccnz .LBB256_1420
.LBB256_1419:
	global_load_u8 v7, v[0:1], off
	s_mov_b32 s11, -1
	s_waitcnt vmcnt(0)
	v_cmp_ne_u16_e32 vcc_lo, 0, v7
	v_cndmask_b32_e64 v9, 0, 1.0, vcc_lo
.LBB256_1420:
.LBB256_1421:
	s_and_not1_b32 vcc_lo, exec_lo, s11
	s_cbranch_vccnz .LBB256_1986
.LBB256_1422:
	v_add_nc_u32_e32 v0, s3, v3
	v_cmp_gt_i16_e32 vcc_lo, 11, v6
	s_delay_alu instid0(VALU_DEP_2) | instskip(SKIP_1) | instid1(VALU_DEP_1)
	v_ashrrev_i32_e32 v1, 31, v0
	v_add_co_u32 v0, s0, s6, v0
	v_add_co_ci_u32_e64 v1, s0, s7, v1, s0
	s_cbranch_vccnz .LBB256_1429
; %bb.1423:
	v_cmp_lt_i16_e32 vcc_lo, 25, v6
	s_mov_b32 s3, 0
	s_cbranch_vccz .LBB256_1430
; %bb.1424:
	v_cmp_lt_i16_e32 vcc_lo, 28, v6
	s_cbranch_vccz .LBB256_1431
; %bb.1425:
	v_cmp_lt_i16_e32 vcc_lo, 43, v6
	;; [unrolled: 3-line block ×3, first 2 shown]
	s_cbranch_vccz .LBB256_1435
; %bb.1427:
	v_cmp_eq_u16_e32 vcc_lo, 46, v6
	s_mov_b32 s7, 0
	s_cbranch_vccz .LBB256_1438
; %bb.1428:
	global_load_b32 v3, v[0:1], off
	s_mov_b32 s0, 0
	s_mov_b32 s6, -1
	s_waitcnt vmcnt(0)
	v_lshlrev_b32_e32 v8, 16, v3
	s_branch .LBB256_1440
.LBB256_1429:
	s_mov_b32 s0, -1
	s_mov_b32 s6, 0
                                        ; implicit-def: $vgpr8
	s_branch .LBB256_1506
.LBB256_1430:
	s_mov_b32 s7, -1
	s_mov_b32 s6, 0
	s_mov_b32 s0, 0
                                        ; implicit-def: $vgpr8
	s_branch .LBB256_1469
.LBB256_1431:
	s_mov_b32 s7, -1
	s_mov_b32 s6, 0
	s_mov_b32 s0, 0
                                        ; implicit-def: $vgpr8
	s_branch .LBB256_1450
.LBB256_1432:
	s_mov_b32 s7, -1
	s_mov_b32 s6, 0
	s_mov_b32 s0, 0
                                        ; implicit-def: $vgpr8
	s_branch .LBB256_1445
.LBB256_1433:
	s_cbranch_execnz .LBB256_1436
; %bb.1434:
	s_or_b32 s1, s1, exec_lo
                                        ; implicit-def: $vgpr9
	s_cbranch_execz .LBB256_1419
	s_branch .LBB256_1420
.LBB256_1435:
	s_mov_b32 s7, -1
	s_mov_b32 s6, 0
	s_mov_b32 s0, 0
	s_branch .LBB256_1439
.LBB256_1436:
	s_trap 2
	s_sendmsg_rtn_b32 s0, sendmsg(MSG_RTN_GET_DOORBELL)
	s_mov_b32 ttmp2, m0
	s_waitcnt lgkmcnt(0)
	s_and_b32 s0, s0, 0x3ff
	s_delay_alu instid0(SALU_CYCLE_1) | instskip(NEXT) | instid1(SALU_CYCLE_1)
	s_bitset1_b32 s0, 10
	s_mov_b32 m0, s0
	s_sendmsg sendmsg(MSG_INTERRUPT)
	s_mov_b32 m0, ttmp2
.LBB256_1437:                           ; =>This Inner Loop Header: Depth=1
	s_sethalt 5
	s_branch .LBB256_1437
.LBB256_1438:
	s_mov_b32 s0, -1
	s_mov_b32 s6, 0
.LBB256_1439:
                                        ; implicit-def: $vgpr8
.LBB256_1440:
	s_and_b32 vcc_lo, exec_lo, s7
	s_cbranch_vccz .LBB256_1444
; %bb.1441:
	v_cmp_eq_u16_e32 vcc_lo, 44, v6
	s_cbranch_vccz .LBB256_1443
; %bb.1442:
	global_load_u8 v3, v[0:1], off
	s_mov_b32 s0, 0
	s_mov_b32 s6, -1
	s_waitcnt vmcnt(0)
	v_lshlrev_b32_e32 v7, 23, v3
	v_cmp_ne_u32_e32 vcc_lo, 0xff, v3
	s_delay_alu instid0(VALU_DEP_2) | instskip(SKIP_1) | instid1(VALU_DEP_2)
	v_cndmask_b32_e32 v7, 0x7f800001, v7, vcc_lo
	v_cmp_ne_u32_e32 vcc_lo, 0, v3
	v_cndmask_b32_e32 v8, 0x400000, v7, vcc_lo
	s_branch .LBB256_1444
.LBB256_1443:
	s_mov_b32 s0, -1
                                        ; implicit-def: $vgpr8
.LBB256_1444:
	s_mov_b32 s7, 0
.LBB256_1445:
	s_delay_alu instid0(SALU_CYCLE_1)
	s_and_b32 vcc_lo, exec_lo, s7
	s_cbranch_vccz .LBB256_1449
; %bb.1446:
	v_cmp_eq_u16_e32 vcc_lo, 29, v6
	s_cbranch_vccz .LBB256_1448
; %bb.1447:
	global_load_b64 v[7:8], v[0:1], off
	s_mov_b32 s0, 0
	s_mov_b32 s6, -1
	s_mov_b32 s7, 0
	s_waitcnt vmcnt(0)
	v_clz_i32_u32_e32 v3, v8
	s_delay_alu instid0(VALU_DEP_1) | instskip(NEXT) | instid1(VALU_DEP_1)
	v_min_u32_e32 v3, 32, v3
	v_lshlrev_b64 v[7:8], v3, v[7:8]
	v_sub_nc_u32_e32 v3, 32, v3
	s_delay_alu instid0(VALU_DEP_2) | instskip(NEXT) | instid1(VALU_DEP_1)
	v_min_u32_e32 v7, 1, v7
	v_or_b32_e32 v7, v8, v7
	s_delay_alu instid0(VALU_DEP_1) | instskip(NEXT) | instid1(VALU_DEP_1)
	v_cvt_f32_u32_e32 v7, v7
	v_ldexp_f32 v8, v7, v3
	s_branch .LBB256_1450
.LBB256_1448:
	s_mov_b32 s0, -1
                                        ; implicit-def: $vgpr8
.LBB256_1449:
	s_mov_b32 s7, 0
.LBB256_1450:
	s_delay_alu instid0(SALU_CYCLE_1)
	s_and_b32 vcc_lo, exec_lo, s7
	s_cbranch_vccz .LBB256_1468
; %bb.1451:
	v_cmp_gt_i16_e32 vcc_lo, 27, v6
	s_cbranch_vccnz .LBB256_1454
; %bb.1452:
	v_cmp_lt_i16_e32 vcc_lo, 27, v6
	s_cbranch_vccz .LBB256_1455
; %bb.1453:
	global_load_b32 v3, v[0:1], off
	s_mov_b32 s6, 0
	s_waitcnt vmcnt(0)
	v_cvt_f32_u32_e32 v8, v3
	s_branch .LBB256_1456
.LBB256_1454:
	s_mov_b32 s6, -1
                                        ; implicit-def: $vgpr8
	s_branch .LBB256_1459
.LBB256_1455:
	s_mov_b32 s6, -1
                                        ; implicit-def: $vgpr8
.LBB256_1456:
	s_delay_alu instid0(SALU_CYCLE_1)
	s_and_not1_b32 vcc_lo, exec_lo, s6
	s_cbranch_vccnz .LBB256_1458
; %bb.1457:
	global_load_u16 v3, v[0:1], off
	s_waitcnt vmcnt(0)
	v_cvt_f32_u32_e32 v8, v3
.LBB256_1458:
	s_mov_b32 s6, 0
.LBB256_1459:
	s_delay_alu instid0(SALU_CYCLE_1)
	s_and_not1_b32 vcc_lo, exec_lo, s6
	s_cbranch_vccnz .LBB256_1467
; %bb.1460:
	global_load_u8 v3, v[0:1], off
	s_mov_b32 s6, 0
	s_mov_b32 s10, exec_lo
                                        ; implicit-def: $sgpr7
	s_waitcnt vmcnt(0)
	v_cmpx_lt_i16_e32 0x7f, v3
	s_xor_b32 s10, exec_lo, s10
	s_cbranch_execz .LBB256_1481
; %bb.1461:
	s_mov_b32 s6, -1
	s_mov_b32 s11, exec_lo
                                        ; implicit-def: $sgpr7
	v_cmpx_eq_u16_e32 0x80, v3
; %bb.1462:
	s_mov_b32 s7, 0x7f800001
	s_xor_b32 s6, exec_lo, -1
; %bb.1463:
	s_or_b32 exec_lo, exec_lo, s11
	s_delay_alu instid0(SALU_CYCLE_1)
	s_and_b32 s6, s6, exec_lo
	s_or_saveexec_b32 s10, s10
	v_mov_b32_e32 v8, s7
	s_xor_b32 exec_lo, exec_lo, s10
	s_cbranch_execnz .LBB256_1482
.LBB256_1464:
	s_or_b32 exec_lo, exec_lo, s10
	s_and_saveexec_b32 s7, s6
	s_cbranch_execz .LBB256_1466
.LBB256_1465:
	v_and_b32_e32 v7, 0xffff, v3
	v_lshlrev_b32_e32 v3, 24, v3
	s_delay_alu instid0(VALU_DEP_2) | instskip(NEXT) | instid1(VALU_DEP_2)
	v_and_b32_e32 v8, 7, v7
	v_and_b32_e32 v3, 0x80000000, v3
	s_delay_alu instid0(VALU_DEP_2) | instskip(NEXT) | instid1(VALU_DEP_1)
	v_clz_i32_u32_e32 v11, v8
	v_min_u32_e32 v11, 32, v11
	s_delay_alu instid0(VALU_DEP_1) | instskip(SKIP_1) | instid1(VALU_DEP_2)
	v_subrev_nc_u32_e32 v12, 28, v11
	v_sub_nc_u32_e32 v11, 29, v11
	v_lshlrev_b32_e32 v12, v12, v7
	v_bfe_u32 v7, v7, 3, 4
	s_delay_alu instid0(VALU_DEP_1) | instskip(NEXT) | instid1(VALU_DEP_3)
	v_cmp_eq_u32_e32 vcc_lo, 0, v7
	v_dual_cndmask_b32 v7, v7, v11 :: v_dual_and_b32 v12, 7, v12
	s_delay_alu instid0(VALU_DEP_1) | instskip(NEXT) | instid1(VALU_DEP_2)
	v_cndmask_b32_e32 v8, v8, v12, vcc_lo
	v_lshl_add_u32 v7, v7, 23, 0x3b800000
	s_delay_alu instid0(VALU_DEP_2) | instskip(NEXT) | instid1(VALU_DEP_1)
	v_lshlrev_b32_e32 v8, 20, v8
	v_or3_b32 v8, v3, v7, v8
.LBB256_1466:
	s_or_b32 exec_lo, exec_lo, s7
.LBB256_1467:
	s_mov_b32 s6, -1
.LBB256_1468:
	s_mov_b32 s7, 0
.LBB256_1469:
	s_delay_alu instid0(SALU_CYCLE_1)
	s_and_b32 vcc_lo, exec_lo, s7
	s_cbranch_vccz .LBB256_1502
; %bb.1470:
	v_cmp_lt_i16_e32 vcc_lo, 22, v6
	s_cbranch_vccz .LBB256_1480
; %bb.1471:
	v_cmp_gt_i16_e32 vcc_lo, 24, v6
	s_cbranch_vccnz .LBB256_1483
; %bb.1472:
	v_cmp_lt_i16_e32 vcc_lo, 24, v6
	s_cbranch_vccz .LBB256_1484
; %bb.1473:
	global_load_u8 v3, v[0:1], off
	s_mov_b32 s7, exec_lo
                                        ; implicit-def: $sgpr6
	s_waitcnt vmcnt(0)
	v_cmpx_lt_i16_e32 0x7f, v3
	s_xor_b32 s7, exec_lo, s7
	s_cbranch_execz .LBB256_1496
; %bb.1474:
	s_mov_b32 s3, -1
	s_mov_b32 s10, exec_lo
                                        ; implicit-def: $sgpr6
	v_cmpx_eq_u16_e32 0x80, v3
; %bb.1475:
	s_mov_b32 s6, 0x7f800001
	s_xor_b32 s3, exec_lo, -1
; %bb.1476:
	s_or_b32 exec_lo, exec_lo, s10
	s_delay_alu instid0(SALU_CYCLE_1)
	s_and_b32 s3, s3, exec_lo
	s_or_saveexec_b32 s7, s7
	v_mov_b32_e32 v8, s6
	s_xor_b32 exec_lo, exec_lo, s7
	s_cbranch_execnz .LBB256_1497
.LBB256_1477:
	s_or_b32 exec_lo, exec_lo, s7
	s_and_saveexec_b32 s6, s3
	s_cbranch_execz .LBB256_1479
.LBB256_1478:
	v_and_b32_e32 v7, 0xffff, v3
	v_lshlrev_b32_e32 v3, 24, v3
	s_delay_alu instid0(VALU_DEP_2) | instskip(NEXT) | instid1(VALU_DEP_2)
	v_and_b32_e32 v8, 3, v7
	v_and_b32_e32 v3, 0x80000000, v3
	s_delay_alu instid0(VALU_DEP_2) | instskip(NEXT) | instid1(VALU_DEP_1)
	v_clz_i32_u32_e32 v11, v8
	v_min_u32_e32 v11, 32, v11
	s_delay_alu instid0(VALU_DEP_1) | instskip(SKIP_1) | instid1(VALU_DEP_2)
	v_subrev_nc_u32_e32 v12, 29, v11
	v_sub_nc_u32_e32 v11, 30, v11
	v_lshlrev_b32_e32 v12, v12, v7
	v_bfe_u32 v7, v7, 2, 5
	s_delay_alu instid0(VALU_DEP_1) | instskip(NEXT) | instid1(VALU_DEP_3)
	v_cmp_eq_u32_e32 vcc_lo, 0, v7
	v_dual_cndmask_b32 v7, v7, v11 :: v_dual_and_b32 v12, 3, v12
	s_delay_alu instid0(VALU_DEP_1) | instskip(NEXT) | instid1(VALU_DEP_2)
	v_cndmask_b32_e32 v8, v8, v12, vcc_lo
	v_lshl_add_u32 v7, v7, 23, 0x37800000
	s_delay_alu instid0(VALU_DEP_2) | instskip(NEXT) | instid1(VALU_DEP_1)
	v_lshlrev_b32_e32 v8, 21, v8
	v_or3_b32 v8, v3, v7, v8
.LBB256_1479:
	s_or_b32 exec_lo, exec_lo, s6
	s_mov_b32 s3, 0
	s_branch .LBB256_1485
.LBB256_1480:
	s_mov_b32 s3, -1
                                        ; implicit-def: $vgpr8
	s_branch .LBB256_1491
.LBB256_1481:
	s_or_saveexec_b32 s10, s10
	v_mov_b32_e32 v8, s7
	s_xor_b32 exec_lo, exec_lo, s10
	s_cbranch_execz .LBB256_1464
.LBB256_1482:
	v_cmp_ne_u16_e32 vcc_lo, 0, v3
	v_mov_b32_e32 v8, 0
	s_and_not1_b32 s6, s6, exec_lo
	s_and_b32 s7, vcc_lo, exec_lo
	s_delay_alu instid0(SALU_CYCLE_1)
	s_or_b32 s6, s6, s7
	s_or_b32 exec_lo, exec_lo, s10
	s_and_saveexec_b32 s7, s6
	s_cbranch_execnz .LBB256_1465
	s_branch .LBB256_1466
.LBB256_1483:
	s_mov_b32 s3, -1
                                        ; implicit-def: $vgpr8
	s_branch .LBB256_1488
.LBB256_1484:
	s_mov_b32 s3, -1
                                        ; implicit-def: $vgpr8
.LBB256_1485:
	s_delay_alu instid0(SALU_CYCLE_1)
	s_and_b32 vcc_lo, exec_lo, s3
	s_cbranch_vccz .LBB256_1487
; %bb.1486:
	global_load_u8 v3, v[0:1], off
	s_waitcnt vmcnt(0)
	v_lshlrev_b32_e32 v3, 24, v3
	s_delay_alu instid0(VALU_DEP_1) | instskip(NEXT) | instid1(VALU_DEP_1)
	v_and_b32_e32 v7, 0x7f000000, v3
	v_clz_i32_u32_e32 v8, v7
	v_cmp_ne_u32_e32 vcc_lo, 0, v7
	v_add_nc_u32_e32 v12, 0x1000000, v7
	s_delay_alu instid0(VALU_DEP_3) | instskip(NEXT) | instid1(VALU_DEP_1)
	v_min_u32_e32 v8, 32, v8
	v_sub_nc_u32_e64 v8, v8, 4 clamp
	s_delay_alu instid0(VALU_DEP_1) | instskip(SKIP_1) | instid1(VALU_DEP_2)
	v_lshlrev_b32_e32 v11, v8, v7
	v_lshlrev_b32_e32 v8, 23, v8
	v_lshrrev_b32_e32 v11, 4, v11
	s_delay_alu instid0(VALU_DEP_1) | instskip(SKIP_1) | instid1(VALU_DEP_2)
	v_sub_nc_u32_e32 v8, v11, v8
	v_ashrrev_i32_e32 v11, 8, v12
	v_add_nc_u32_e32 v8, 0x3c000000, v8
	s_delay_alu instid0(VALU_DEP_1) | instskip(NEXT) | instid1(VALU_DEP_1)
	v_and_or_b32 v8, 0x7f800000, v11, v8
	v_cndmask_b32_e32 v7, 0, v8, vcc_lo
	s_delay_alu instid0(VALU_DEP_1)
	v_and_or_b32 v8, 0x80000000, v3, v7
.LBB256_1487:
	s_mov_b32 s3, 0
.LBB256_1488:
	s_delay_alu instid0(SALU_CYCLE_1)
	s_and_not1_b32 vcc_lo, exec_lo, s3
	s_cbranch_vccnz .LBB256_1490
; %bb.1489:
	global_load_u8 v3, v[0:1], off
	s_waitcnt vmcnt(0)
	v_lshlrev_b32_e32 v7, 25, v3
	v_lshlrev_b16 v3, 8, v3
	s_delay_alu instid0(VALU_DEP_2) | instskip(NEXT) | instid1(VALU_DEP_2)
	v_lshrrev_b32_e32 v8, 4, v7
	v_and_or_b32 v11, 0x7f00, v3, 0.5
	v_bfe_i32 v3, v3, 0, 16
	s_delay_alu instid0(VALU_DEP_3) | instskip(NEXT) | instid1(VALU_DEP_1)
	v_or_b32_e32 v8, 0x70000000, v8
	v_dual_add_f32 v11, -0.5, v11 :: v_dual_mul_f32 v8, 0x7800000, v8
	v_cmp_gt_u32_e32 vcc_lo, 0x8000000, v7
	s_delay_alu instid0(VALU_DEP_2) | instskip(NEXT) | instid1(VALU_DEP_1)
	v_cndmask_b32_e32 v7, v8, v11, vcc_lo
	v_and_or_b32 v8, 0x80000000, v3, v7
.LBB256_1490:
	s_mov_b32 s3, 0
	s_mov_b32 s6, -1
.LBB256_1491:
	s_and_not1_b32 vcc_lo, exec_lo, s3
	s_mov_b32 s3, 0
	s_cbranch_vccnz .LBB256_1502
; %bb.1492:
	v_cmp_lt_i16_e32 vcc_lo, 14, v6
	s_cbranch_vccz .LBB256_1495
; %bb.1493:
	v_cmp_eq_u16_e32 vcc_lo, 15, v6
	s_cbranch_vccz .LBB256_1498
; %bb.1494:
	global_load_u16 v3, v[0:1], off
	s_mov_b32 s0, 0
	s_mov_b32 s6, -1
	s_waitcnt vmcnt(0)
	v_lshlrev_b32_e32 v8, 16, v3
	s_branch .LBB256_1500
.LBB256_1495:
	s_mov_b32 s3, -1
	s_branch .LBB256_1499
.LBB256_1496:
	s_or_saveexec_b32 s7, s7
	v_mov_b32_e32 v8, s6
	s_xor_b32 exec_lo, exec_lo, s7
	s_cbranch_execz .LBB256_1477
.LBB256_1497:
	v_cmp_ne_u16_e32 vcc_lo, 0, v3
	v_mov_b32_e32 v8, 0
	s_and_not1_b32 s3, s3, exec_lo
	s_and_b32 s6, vcc_lo, exec_lo
	s_delay_alu instid0(SALU_CYCLE_1)
	s_or_b32 s3, s3, s6
	s_or_b32 exec_lo, exec_lo, s7
	s_and_saveexec_b32 s6, s3
	s_cbranch_execnz .LBB256_1478
	s_branch .LBB256_1479
.LBB256_1498:
	s_mov_b32 s0, -1
.LBB256_1499:
                                        ; implicit-def: $vgpr8
.LBB256_1500:
	s_and_b32 vcc_lo, exec_lo, s3
	s_mov_b32 s3, 0
	s_cbranch_vccz .LBB256_1502
; %bb.1501:
	v_cmp_ne_u16_e64 s0, 11, v6
	s_mov_b32 s3, -1
                                        ; implicit-def: $vgpr8
.LBB256_1502:
	s_delay_alu instid0(VALU_DEP_1)
	s_and_b32 vcc_lo, exec_lo, s0
	s_cbranch_vccnz .LBB256_2031
; %bb.1503:
	s_and_not1_b32 vcc_lo, exec_lo, s3
	s_cbranch_vccnz .LBB256_1505
.LBB256_1504:
	global_load_u8 v3, v[0:1], off
	s_mov_b32 s6, -1
	s_waitcnt vmcnt(0)
	v_cmp_ne_u16_e32 vcc_lo, 0, v3
	v_cndmask_b32_e64 v8, 0, 1.0, vcc_lo
.LBB256_1505:
	s_mov_b32 s0, 0
.LBB256_1506:
	s_delay_alu instid0(SALU_CYCLE_1)
	s_and_b32 vcc_lo, exec_lo, s0
	s_cbranch_vccz .LBB256_1555
; %bb.1507:
	v_cmp_gt_i16_e32 vcc_lo, 5, v6
	s_cbranch_vccnz .LBB256_1512
; %bb.1508:
	v_cmp_gt_i16_e32 vcc_lo, 8, v6
	s_cbranch_vccnz .LBB256_1513
	;; [unrolled: 3-line block ×3, first 2 shown]
; %bb.1510:
	v_cmp_lt_i16_e32 vcc_lo, 9, v6
	s_cbranch_vccz .LBB256_1515
; %bb.1511:
	global_load_b64 v[7:8], v[0:1], off
	s_mov_b32 s0, 0
	s_waitcnt vmcnt(0)
	v_cvt_f32_f64_e32 v8, v[7:8]
	s_branch .LBB256_1516
.LBB256_1512:
	s_mov_b32 s0, -1
                                        ; implicit-def: $vgpr8
	s_branch .LBB256_1534
.LBB256_1513:
	s_mov_b32 s0, -1
                                        ; implicit-def: $vgpr8
	s_branch .LBB256_1522
.LBB256_1514:
	s_mov_b32 s0, -1
                                        ; implicit-def: $vgpr8
	s_branch .LBB256_1519
.LBB256_1515:
	s_mov_b32 s0, -1
                                        ; implicit-def: $vgpr8
.LBB256_1516:
	s_delay_alu instid0(SALU_CYCLE_1)
	s_and_not1_b32 vcc_lo, exec_lo, s0
	s_cbranch_vccnz .LBB256_1518
; %bb.1517:
	global_load_b32 v8, v[0:1], off
.LBB256_1518:
	s_mov_b32 s0, 0
.LBB256_1519:
	s_delay_alu instid0(SALU_CYCLE_1)
	s_and_not1_b32 vcc_lo, exec_lo, s0
	s_cbranch_vccnz .LBB256_1521
; %bb.1520:
	global_load_b32 v3, v[0:1], off
	s_waitcnt vmcnt(0)
	v_cvt_f32_f16_e32 v8, v3
.LBB256_1521:
	s_mov_b32 s0, 0
.LBB256_1522:
	s_delay_alu instid0(SALU_CYCLE_1)
	s_and_not1_b32 vcc_lo, exec_lo, s0
	s_cbranch_vccnz .LBB256_1533
; %bb.1523:
	v_cmp_gt_i16_e32 vcc_lo, 6, v6
	s_cbranch_vccnz .LBB256_1526
; %bb.1524:
	v_cmp_lt_i16_e32 vcc_lo, 6, v6
	s_cbranch_vccz .LBB256_1527
; %bb.1525:
	global_load_b64 v[7:8], v[0:1], off
	s_mov_b32 s0, 0
	s_waitcnt vmcnt(0)
	v_cvt_f32_f64_e32 v8, v[7:8]
	s_branch .LBB256_1528
.LBB256_1526:
	s_mov_b32 s0, -1
                                        ; implicit-def: $vgpr8
	s_branch .LBB256_1531
.LBB256_1527:
	s_mov_b32 s0, -1
                                        ; implicit-def: $vgpr8
.LBB256_1528:
	s_delay_alu instid0(SALU_CYCLE_1)
	s_and_not1_b32 vcc_lo, exec_lo, s0
	s_cbranch_vccnz .LBB256_1530
; %bb.1529:
	global_load_b32 v8, v[0:1], off
.LBB256_1530:
	s_mov_b32 s0, 0
.LBB256_1531:
	s_delay_alu instid0(SALU_CYCLE_1)
	s_and_not1_b32 vcc_lo, exec_lo, s0
	s_cbranch_vccnz .LBB256_1533
; %bb.1532:
	global_load_u16 v3, v[0:1], off
	s_waitcnt vmcnt(0)
	v_cvt_f32_f16_e32 v8, v3
.LBB256_1533:
	s_mov_b32 s0, 0
.LBB256_1534:
	s_delay_alu instid0(SALU_CYCLE_1)
	s_and_not1_b32 vcc_lo, exec_lo, s0
	s_cbranch_vccnz .LBB256_1554
; %bb.1535:
	v_cmp_gt_i16_e32 vcc_lo, 2, v6
	s_cbranch_vccnz .LBB256_1539
; %bb.1536:
	v_cmp_gt_i16_e32 vcc_lo, 3, v6
	s_cbranch_vccnz .LBB256_1540
; %bb.1537:
	v_cmp_lt_i16_e32 vcc_lo, 3, v6
	s_cbranch_vccz .LBB256_1541
; %bb.1538:
	global_load_b64 v[7:8], v[0:1], off
	s_mov_b32 s0, 0
	s_waitcnt vmcnt(0)
	v_xor_b32_e32 v3, v7, v8
	v_cls_i32_e32 v11, v8
	s_delay_alu instid0(VALU_DEP_2) | instskip(NEXT) | instid1(VALU_DEP_2)
	v_ashrrev_i32_e32 v3, 31, v3
	v_add_nc_u32_e32 v11, -1, v11
	s_delay_alu instid0(VALU_DEP_2) | instskip(NEXT) | instid1(VALU_DEP_1)
	v_add_nc_u32_e32 v3, 32, v3
	v_min_u32_e32 v3, v11, v3
	s_delay_alu instid0(VALU_DEP_1) | instskip(SKIP_1) | instid1(VALU_DEP_2)
	v_lshlrev_b64 v[7:8], v3, v[7:8]
	v_sub_nc_u32_e32 v3, 32, v3
	v_min_u32_e32 v7, 1, v7
	s_delay_alu instid0(VALU_DEP_1) | instskip(NEXT) | instid1(VALU_DEP_1)
	v_or_b32_e32 v7, v8, v7
	v_cvt_f32_i32_e32 v7, v7
	s_delay_alu instid0(VALU_DEP_1)
	v_ldexp_f32 v8, v7, v3
	s_branch .LBB256_1542
.LBB256_1539:
	s_mov_b32 s0, -1
                                        ; implicit-def: $vgpr8
	s_branch .LBB256_1548
.LBB256_1540:
	s_mov_b32 s0, -1
                                        ; implicit-def: $vgpr8
	s_branch .LBB256_1545
.LBB256_1541:
	s_mov_b32 s0, -1
                                        ; implicit-def: $vgpr8
.LBB256_1542:
	s_delay_alu instid0(SALU_CYCLE_1)
	s_and_not1_b32 vcc_lo, exec_lo, s0
	s_cbranch_vccnz .LBB256_1544
; %bb.1543:
	global_load_b32 v3, v[0:1], off
	s_waitcnt vmcnt(0)
	v_cvt_f32_i32_e32 v8, v3
.LBB256_1544:
	s_mov_b32 s0, 0
.LBB256_1545:
	s_delay_alu instid0(SALU_CYCLE_1)
	s_and_not1_b32 vcc_lo, exec_lo, s0
	s_cbranch_vccnz .LBB256_1547
; %bb.1546:
	global_load_i16 v3, v[0:1], off
	s_waitcnt vmcnt(0)
	v_cvt_f32_i32_e32 v8, v3
.LBB256_1547:
	s_mov_b32 s0, 0
.LBB256_1548:
	s_delay_alu instid0(SALU_CYCLE_1)
	s_and_not1_b32 vcc_lo, exec_lo, s0
	s_cbranch_vccnz .LBB256_1554
; %bb.1549:
	v_cmp_lt_i16_e32 vcc_lo, 0, v6
	s_mov_b32 s0, 0
	s_cbranch_vccz .LBB256_1551
; %bb.1550:
	global_load_i8 v3, v[0:1], off
	s_waitcnt vmcnt(0)
	v_cvt_f32_i32_e32 v8, v3
	s_branch .LBB256_1552
.LBB256_1551:
	s_mov_b32 s0, -1
                                        ; implicit-def: $vgpr8
.LBB256_1552:
	s_delay_alu instid0(SALU_CYCLE_1)
	s_and_not1_b32 vcc_lo, exec_lo, s0
	s_cbranch_vccnz .LBB256_1554
; %bb.1553:
	global_load_u8 v0, v[0:1], off
	s_waitcnt vmcnt(0)
	v_cvt_f32_ubyte0_e32 v8, v0
.LBB256_1554:
	s_mov_b32 s6, -1
.LBB256_1555:
	s_delay_alu instid0(SALU_CYCLE_1)
	s_and_not1_b32 vcc_lo, exec_lo, s6
	s_cbranch_vccnz .LBB256_1986
; %bb.1556:
	s_waitcnt vmcnt(0)
	v_mul_f32_e32 v0, 0x4f800000, v2
	v_cmp_gt_f32_e32 vcc_lo, 0xf800000, v2
	v_mul_lo_u32 v5, s2, v5
	s_mov_b32 s3, -1
	s_mov_b32 s6, 0
	v_cndmask_b32_e32 v2, v2, v0, vcc_lo
	s_delay_alu instid0(VALU_DEP_1) | instskip(SKIP_3) | instid1(VALU_DEP_2)
	v_sqrt_f32_e32 v0, v2
	s_waitcnt_depctr 0xfff
	v_add_nc_u32_e32 v1, -1, v0
	v_add_nc_u32_e32 v3, 1, v0
	v_fma_f32 v6, -v1, v0, v2
	s_delay_alu instid0(VALU_DEP_2) | instskip(NEXT) | instid1(VALU_DEP_2)
	v_fma_f32 v7, -v3, v0, v2
	v_cmp_ge_f32_e64 s0, 0, v6
	s_delay_alu instid0(VALU_DEP_1) | instskip(NEXT) | instid1(VALU_DEP_3)
	v_cndmask_b32_e64 v0, v0, v1, s0
	v_cmp_lt_f32_e64 s0, 0, v7
	v_and_b32_e32 v7, 0xff, v4
	s_delay_alu instid0(VALU_DEP_2) | instskip(SKIP_1) | instid1(VALU_DEP_3)
	v_cndmask_b32_e64 v0, v0, v3, s0
	v_ashrrev_i32_e32 v3, 31, v5
	v_cmp_gt_i16_e64 s0, 11, v7
	s_delay_alu instid0(VALU_DEP_3) | instskip(NEXT) | instid1(VALU_DEP_1)
	v_mul_f32_e32 v1, 0x37800000, v0
	v_cndmask_b32_e32 v4, v0, v1, vcc_lo
	v_add_co_u32 v0, vcc_lo, s4, v5
	v_add_co_ci_u32_e32 v1, vcc_lo, s5, v3, vcc_lo
	v_cmp_class_f32_e64 vcc_lo, v2, 0x260
	s_delay_alu instid0(VALU_DEP_4)
	v_cndmask_b32_e32 v2, v4, v2, vcc_lo
	s_and_b32 vcc_lo, exec_lo, s0
	s_cbranch_vccnz .LBB256_1634
; %bb.1557:
	v_cmp_lt_i16_e32 vcc_lo, 25, v7
	s_mov_b32 s7, -1
	s_mov_b32 s3, 0
	s_mov_b32 s0, 0
	s_cbranch_vccz .LBB256_1590
; %bb.1558:
	v_cmp_lt_i16_e32 vcc_lo, 28, v7
	s_cbranch_vccz .LBB256_1573
; %bb.1559:
	v_cmp_lt_i16_e32 vcc_lo, 43, v7
	;; [unrolled: 3-line block ×3, first 2 shown]
	s_cbranch_vccz .LBB256_1563
; %bb.1561:
	v_cmp_eq_u16_e32 vcc_lo, 46, v7
	s_mov_b32 s0, -1
	s_mov_b32 s7, 0
	s_cbranch_vccz .LBB256_1563
; %bb.1562:
	v_bfe_u32 v3, v2, 16, 1
	v_cmp_o_f32_e32 vcc_lo, v2, v2
	s_mov_b32 s0, 0
	s_mov_b32 s6, -1
	s_delay_alu instid0(VALU_DEP_2) | instskip(NEXT) | instid1(VALU_DEP_1)
	v_add3_u32 v3, v2, v3, 0x7fff
	v_lshrrev_b32_e32 v3, 16, v3
	s_delay_alu instid0(VALU_DEP_1)
	v_cndmask_b32_e32 v3, 0x7fc0, v3, vcc_lo
	global_store_b32 v[0:1], v3, off
.LBB256_1563:
	s_and_b32 vcc_lo, exec_lo, s7
	s_cbranch_vccz .LBB256_1568
; %bb.1564:
	v_cmp_eq_u16_e32 vcc_lo, 44, v7
	s_mov_b32 s0, -1
	s_cbranch_vccz .LBB256_1568
; %bb.1565:
	v_bfe_u32 v4, v2, 23, 8
	v_mov_b32_e32 v3, 0xff
	s_mov_b32 s6, exec_lo
	s_delay_alu instid0(VALU_DEP_2)
	v_cmpx_ne_u32_e32 0xff, v4
; %bb.1566:
	v_and_b32_e32 v3, 0x400000, v2
	v_and_or_b32 v4, 0x3fffff, v2, v4
	s_delay_alu instid0(VALU_DEP_2) | instskip(NEXT) | instid1(VALU_DEP_2)
	v_cmp_ne_u32_e32 vcc_lo, 0, v3
	v_cmp_ne_u32_e64 s0, 0, v4
	v_lshrrev_b32_e32 v3, 23, v2
	s_delay_alu instid0(VALU_DEP_2) | instskip(NEXT) | instid1(SALU_CYCLE_1)
	s_and_b32 s0, vcc_lo, s0
	v_cndmask_b32_e64 v4, 0, 1, s0
	s_delay_alu instid0(VALU_DEP_1)
	v_add_nc_u32_e32 v3, v3, v4
; %bb.1567:
	s_or_b32 exec_lo, exec_lo, s6
	s_mov_b32 s0, 0
	s_mov_b32 s6, -1
	global_store_b8 v[0:1], v3, off
.LBB256_1568:
	s_mov_b32 s7, 0
.LBB256_1569:
	s_delay_alu instid0(SALU_CYCLE_1)
	s_and_b32 vcc_lo, exec_lo, s7
	s_cbranch_vccz .LBB256_1572
; %bb.1570:
	v_cmp_eq_u16_e32 vcc_lo, 29, v7
	s_mov_b32 s0, -1
	s_cbranch_vccz .LBB256_1572
; %bb.1571:
	v_trunc_f32_e32 v3, v2
	s_mov_b32 s0, 0
	s_mov_b32 s6, -1
	s_delay_alu instid0(VALU_DEP_1) | instskip(NEXT) | instid1(VALU_DEP_1)
	v_mul_f32_e32 v4, 0x2f800000, v3
	v_floor_f32_e32 v4, v4
	s_delay_alu instid0(VALU_DEP_1) | instskip(SKIP_1) | instid1(VALU_DEP_2)
	v_fmamk_f32 v3, v4, 0xcf800000, v3
	v_cvt_u32_f32_e32 v4, v4
	v_cvt_u32_f32_e32 v3, v3
	global_store_b64 v[0:1], v[3:4], off
.LBB256_1572:
	s_mov_b32 s7, 0
.LBB256_1573:
	s_delay_alu instid0(SALU_CYCLE_1)
	s_and_b32 vcc_lo, exec_lo, s7
	s_cbranch_vccz .LBB256_1589
; %bb.1574:
	v_cmp_gt_i16_e32 vcc_lo, 27, v7
	s_mov_b32 s6, -1
	s_cbranch_vccnz .LBB256_1580
; %bb.1575:
	v_cmp_lt_i16_e32 vcc_lo, 27, v7
	v_cvt_u32_f32_e32 v3, v2
	s_cbranch_vccz .LBB256_1577
; %bb.1576:
	s_mov_b32 s6, 0
	global_store_b32 v[0:1], v3, off
.LBB256_1577:
	s_and_not1_b32 vcc_lo, exec_lo, s6
	s_cbranch_vccnz .LBB256_1579
; %bb.1578:
	global_store_b16 v[0:1], v3, off
.LBB256_1579:
	s_mov_b32 s6, 0
.LBB256_1580:
	s_delay_alu instid0(SALU_CYCLE_1)
	s_and_not1_b32 vcc_lo, exec_lo, s6
	s_cbranch_vccnz .LBB256_1588
; %bb.1581:
	v_and_b32_e32 v3, 0x7fffffff, v2
	v_mov_b32_e32 v4, 0x80
	s_mov_b32 s6, exec_lo
	s_delay_alu instid0(VALU_DEP_2)
	v_cmpx_gt_u32_e32 0x43800000, v3
	s_cbranch_execz .LBB256_1587
; %bb.1582:
	v_cmp_lt_u32_e32 vcc_lo, 0x3bffffff, v3
	s_mov_b32 s7, 0
                                        ; implicit-def: $vgpr3
	s_and_saveexec_b32 s10, vcc_lo
	s_delay_alu instid0(SALU_CYCLE_1)
	s_xor_b32 s10, exec_lo, s10
	s_cbranch_execz .LBB256_2033
; %bb.1583:
	v_bfe_u32 v3, v2, 20, 1
	s_mov_b32 s7, exec_lo
	s_delay_alu instid0(VALU_DEP_1) | instskip(NEXT) | instid1(VALU_DEP_1)
	v_add3_u32 v3, v2, v3, 0x487ffff
	v_lshrrev_b32_e32 v3, 20, v3
	s_or_saveexec_b32 s10, s10
                                        ; implicit-def: $sgpr11
	s_delay_alu instid0(SALU_CYCLE_1)
	s_xor_b32 exec_lo, exec_lo, s10
	s_cbranch_execnz .LBB256_2034
.LBB256_1584:
	s_or_b32 exec_lo, exec_lo, s10
	v_mov_b32_e32 v4, s11
	s_and_saveexec_b32 s10, s7
.LBB256_1585:
	v_lshrrev_b32_e32 v4, 24, v2
	s_delay_alu instid0(VALU_DEP_1)
	v_and_or_b32 v4, 0x80, v4, v3
.LBB256_1586:
	s_or_b32 exec_lo, exec_lo, s10
.LBB256_1587:
	s_delay_alu instid0(SALU_CYCLE_1)
	s_or_b32 exec_lo, exec_lo, s6
	global_store_b8 v[0:1], v4, off
.LBB256_1588:
	s_mov_b32 s6, -1
.LBB256_1589:
	s_mov_b32 s7, 0
.LBB256_1590:
	s_delay_alu instid0(SALU_CYCLE_1)
	s_and_b32 vcc_lo, exec_lo, s7
	s_cbranch_vccz .LBB256_1630
; %bb.1591:
	v_cmp_lt_i16_e32 vcc_lo, 22, v7
	s_mov_b32 s3, -1
	s_cbranch_vccz .LBB256_1623
; %bb.1592:
	v_cmp_gt_i16_e32 vcc_lo, 24, v7
	s_cbranch_vccnz .LBB256_1612
; %bb.1593:
	v_cmp_lt_i16_e32 vcc_lo, 24, v7
	s_cbranch_vccz .LBB256_1601
; %bb.1594:
	v_and_b32_e32 v3, 0x7fffffff, v2
	v_mov_b32_e32 v4, 0x80
	s_mov_b32 s3, exec_lo
	s_delay_alu instid0(VALU_DEP_2)
	v_cmpx_gt_u32_e32 0x47800000, v3
	s_cbranch_execz .LBB256_1600
; %bb.1595:
	v_cmp_lt_u32_e32 vcc_lo, 0x37ffffff, v3
	s_mov_b32 s6, 0
                                        ; implicit-def: $vgpr3
	s_and_saveexec_b32 s7, vcc_lo
	s_delay_alu instid0(SALU_CYCLE_1)
	s_xor_b32 s7, exec_lo, s7
	s_cbranch_execz .LBB256_2039
; %bb.1596:
	v_bfe_u32 v3, v2, 21, 1
	s_mov_b32 s6, exec_lo
	s_delay_alu instid0(VALU_DEP_1) | instskip(NEXT) | instid1(VALU_DEP_1)
	v_add3_u32 v3, v2, v3, 0x88fffff
	v_lshrrev_b32_e32 v3, 21, v3
	s_or_saveexec_b32 s7, s7
                                        ; implicit-def: $sgpr10
	s_delay_alu instid0(SALU_CYCLE_1)
	s_xor_b32 exec_lo, exec_lo, s7
	s_cbranch_execnz .LBB256_2040
.LBB256_1597:
	s_or_b32 exec_lo, exec_lo, s7
	v_mov_b32_e32 v4, s10
	s_and_saveexec_b32 s7, s6
.LBB256_1598:
	v_lshrrev_b32_e32 v4, 24, v2
	s_delay_alu instid0(VALU_DEP_1)
	v_and_or_b32 v4, 0x80, v4, v3
.LBB256_1599:
	s_or_b32 exec_lo, exec_lo, s7
.LBB256_1600:
	s_delay_alu instid0(SALU_CYCLE_1)
	s_or_b32 exec_lo, exec_lo, s3
	s_mov_b32 s3, 0
	global_store_b8 v[0:1], v4, off
.LBB256_1601:
	s_and_b32 vcc_lo, exec_lo, s3
	s_cbranch_vccz .LBB256_1611
; %bb.1602:
	v_and_b32_e32 v4, 0x7fffffff, v2
	s_mov_b32 s3, exec_lo
                                        ; implicit-def: $vgpr3
	s_delay_alu instid0(VALU_DEP_1)
	v_cmpx_gt_u32_e32 0x43f00000, v4
	s_xor_b32 s3, exec_lo, s3
	s_cbranch_execz .LBB256_1608
; %bb.1603:
	s_mov_b32 s6, exec_lo
                                        ; implicit-def: $vgpr3
	v_cmpx_lt_u32_e32 0x3c7fffff, v4
	s_xor_b32 s6, exec_lo, s6
; %bb.1604:
	v_bfe_u32 v3, v2, 20, 1
	s_delay_alu instid0(VALU_DEP_1) | instskip(NEXT) | instid1(VALU_DEP_1)
	v_add3_u32 v3, v2, v3, 0x407ffff
	v_and_b32_e32 v4, 0xff00000, v3
	v_lshrrev_b32_e32 v3, 20, v3
	s_delay_alu instid0(VALU_DEP_2) | instskip(NEXT) | instid1(VALU_DEP_2)
	v_cmp_ne_u32_e32 vcc_lo, 0x7f00000, v4
	v_cndmask_b32_e32 v3, 0x7e, v3, vcc_lo
; %bb.1605:
	s_and_not1_saveexec_b32 s6, s6
; %bb.1606:
	v_add_f32_e64 v3, 0x46800000, |v2|
; %bb.1607:
	s_or_b32 exec_lo, exec_lo, s6
                                        ; implicit-def: $vgpr4
.LBB256_1608:
	s_and_not1_saveexec_b32 s3, s3
; %bb.1609:
	v_mov_b32_e32 v3, 0x7f
	v_cmp_lt_u32_e32 vcc_lo, 0x7f800000, v4
	s_delay_alu instid0(VALU_DEP_2)
	v_cndmask_b32_e32 v3, 0x7e, v3, vcc_lo
; %bb.1610:
	s_or_b32 exec_lo, exec_lo, s3
	v_lshrrev_b32_e32 v4, 24, v2
	s_delay_alu instid0(VALU_DEP_1)
	v_and_or_b32 v3, 0x80, v4, v3
	global_store_b8 v[0:1], v3, off
.LBB256_1611:
	s_mov_b32 s3, 0
.LBB256_1612:
	s_delay_alu instid0(SALU_CYCLE_1)
	s_and_not1_b32 vcc_lo, exec_lo, s3
	s_cbranch_vccnz .LBB256_1622
; %bb.1613:
	v_and_b32_e32 v4, 0x7fffffff, v2
	s_mov_b32 s3, exec_lo
                                        ; implicit-def: $vgpr3
	s_delay_alu instid0(VALU_DEP_1)
	v_cmpx_gt_u32_e32 0x47800000, v4
	s_xor_b32 s3, exec_lo, s3
	s_cbranch_execz .LBB256_1619
; %bb.1614:
	s_mov_b32 s6, exec_lo
                                        ; implicit-def: $vgpr3
	v_cmpx_lt_u32_e32 0x387fffff, v4
	s_xor_b32 s6, exec_lo, s6
; %bb.1615:
	v_bfe_u32 v3, v2, 21, 1
	s_delay_alu instid0(VALU_DEP_1) | instskip(NEXT) | instid1(VALU_DEP_1)
	v_add3_u32 v3, v2, v3, 0x80fffff
	v_lshrrev_b32_e32 v3, 21, v3
; %bb.1616:
	s_and_not1_saveexec_b32 s6, s6
; %bb.1617:
	v_add_f32_e64 v3, 0x43000000, |v2|
; %bb.1618:
	s_or_b32 exec_lo, exec_lo, s6
                                        ; implicit-def: $vgpr4
.LBB256_1619:
	s_and_not1_saveexec_b32 s3, s3
; %bb.1620:
	v_mov_b32_e32 v3, 0x7f
	v_cmp_lt_u32_e32 vcc_lo, 0x7f800000, v4
	s_delay_alu instid0(VALU_DEP_2)
	v_cndmask_b32_e32 v3, 0x7c, v3, vcc_lo
; %bb.1621:
	s_or_b32 exec_lo, exec_lo, s3
	v_lshrrev_b32_e32 v4, 24, v2
	s_delay_alu instid0(VALU_DEP_1)
	v_and_or_b32 v3, 0x80, v4, v3
	global_store_b8 v[0:1], v3, off
.LBB256_1622:
	s_mov_b32 s3, 0
	s_mov_b32 s6, -1
.LBB256_1623:
	s_and_not1_b32 vcc_lo, exec_lo, s3
	s_mov_b32 s3, 0
	s_cbranch_vccnz .LBB256_1630
; %bb.1624:
	v_cmp_lt_i16_e32 vcc_lo, 14, v7
	s_mov_b32 s3, -1
	s_cbranch_vccz .LBB256_1628
; %bb.1625:
	v_cmp_eq_u16_e32 vcc_lo, 15, v7
	s_mov_b32 s0, -1
	s_cbranch_vccz .LBB256_1627
; %bb.1626:
	v_bfe_u32 v3, v2, 16, 1
	v_cmp_o_f32_e32 vcc_lo, v2, v2
	s_mov_b32 s0, 0
	s_mov_b32 s6, -1
	s_delay_alu instid0(VALU_DEP_2) | instskip(NEXT) | instid1(VALU_DEP_1)
	v_add3_u32 v3, v2, v3, 0x7fff
	v_lshrrev_b32_e32 v3, 16, v3
	s_delay_alu instid0(VALU_DEP_1)
	v_cndmask_b32_e32 v3, 0x7fc0, v3, vcc_lo
	global_store_b16 v[0:1], v3, off
.LBB256_1627:
	s_mov_b32 s3, 0
.LBB256_1628:
	s_delay_alu instid0(SALU_CYCLE_1)
	s_and_b32 vcc_lo, exec_lo, s3
	s_mov_b32 s3, 0
	s_cbranch_vccz .LBB256_1630
; %bb.1629:
	v_cmp_ne_u16_e64 s0, 11, v7
	s_mov_b32 s3, -1
.LBB256_1630:
	s_delay_alu instid0(VALU_DEP_1)
	s_and_b32 vcc_lo, exec_lo, s0
	s_cbranch_vccnz .LBB256_2037
; %bb.1631:
	s_and_not1_b32 vcc_lo, exec_lo, s3
	s_cbranch_vccnz .LBB256_1633
.LBB256_1632:
	v_cmp_neq_f32_e32 vcc_lo, 0, v2
	s_mov_b32 s6, -1
	v_cndmask_b32_e64 v3, 0, 1, vcc_lo
	global_store_b8 v[0:1], v3, off
.LBB256_1633:
	s_mov_b32 s3, 0
.LBB256_1634:
	s_delay_alu instid0(SALU_CYCLE_1)
	s_and_b32 vcc_lo, exec_lo, s3
	s_cbranch_vccz .LBB256_1673
; %bb.1635:
	v_cmp_gt_i16_e32 vcc_lo, 5, v7
	s_mov_b32 s0, -1
	s_cbranch_vccnz .LBB256_1656
; %bb.1636:
	v_cmp_gt_i16_e32 vcc_lo, 8, v7
	s_cbranch_vccnz .LBB256_1646
; %bb.1637:
	v_cmp_gt_i16_e32 vcc_lo, 9, v7
	s_cbranch_vccnz .LBB256_1643
; %bb.1638:
	v_cmp_lt_i16_e32 vcc_lo, 9, v7
	s_cbranch_vccz .LBB256_1640
; %bb.1639:
	v_cvt_f64_f32_e32 v[11:12], v2
	v_mov_b32_e32 v13, 0
	s_mov_b32 s0, 0
	s_delay_alu instid0(VALU_DEP_1)
	v_mov_b32_e32 v14, v13
	global_store_b128 v[0:1], v[11:14], off
.LBB256_1640:
	s_and_not1_b32 vcc_lo, exec_lo, s0
	s_cbranch_vccnz .LBB256_1642
; %bb.1641:
	v_mov_b32_e32 v3, 0
	global_store_b64 v[0:1], v[2:3], off
.LBB256_1642:
	s_mov_b32 s0, 0
.LBB256_1643:
	s_delay_alu instid0(SALU_CYCLE_1)
	s_and_not1_b32 vcc_lo, exec_lo, s0
	s_cbranch_vccnz .LBB256_1645
; %bb.1644:
	v_cvt_f16_f32_e32 v3, v2
	s_delay_alu instid0(VALU_DEP_1)
	v_and_b32_e32 v3, 0xffff, v3
	global_store_b32 v[0:1], v3, off
.LBB256_1645:
	s_mov_b32 s0, 0
.LBB256_1646:
	s_delay_alu instid0(SALU_CYCLE_1)
	s_and_not1_b32 vcc_lo, exec_lo, s0
	s_cbranch_vccnz .LBB256_1655
; %bb.1647:
	v_cmp_gt_i16_e32 vcc_lo, 6, v7
	s_mov_b32 s0, -1
	s_cbranch_vccnz .LBB256_1653
; %bb.1648:
	v_cmp_lt_i16_e32 vcc_lo, 6, v7
	s_cbranch_vccz .LBB256_1650
; %bb.1649:
	v_cvt_f64_f32_e32 v[3:4], v2
	s_mov_b32 s0, 0
	global_store_b64 v[0:1], v[3:4], off
.LBB256_1650:
	s_and_not1_b32 vcc_lo, exec_lo, s0
	s_cbranch_vccnz .LBB256_1652
; %bb.1651:
	global_store_b32 v[0:1], v2, off
.LBB256_1652:
	s_mov_b32 s0, 0
.LBB256_1653:
	s_delay_alu instid0(SALU_CYCLE_1)
	s_and_not1_b32 vcc_lo, exec_lo, s0
	s_cbranch_vccnz .LBB256_1655
; %bb.1654:
	v_cvt_f16_f32_e32 v3, v2
	global_store_b16 v[0:1], v3, off
.LBB256_1655:
	s_mov_b32 s0, 0
.LBB256_1656:
	s_delay_alu instid0(SALU_CYCLE_1)
	s_and_not1_b32 vcc_lo, exec_lo, s0
	s_cbranch_vccnz .LBB256_1672
; %bb.1657:
	v_cmp_gt_i16_e32 vcc_lo, 2, v7
	s_mov_b32 s0, -1
	s_cbranch_vccnz .LBB256_1667
; %bb.1658:
	v_cmp_gt_i16_e32 vcc_lo, 3, v7
	s_cbranch_vccnz .LBB256_1664
; %bb.1659:
	v_cmp_lt_i16_e32 vcc_lo, 3, v7
	s_cbranch_vccz .LBB256_1661
; %bb.1660:
	v_trunc_f32_e32 v3, v2
	s_mov_b32 s0, 0
	s_delay_alu instid0(VALU_DEP_1) | instskip(SKIP_1) | instid1(VALU_DEP_2)
	v_mul_f32_e64 v4, 0x2f800000, |v3|
	v_ashrrev_i32_e32 v11, 31, v3
	v_floor_f32_e32 v4, v4
	s_delay_alu instid0(VALU_DEP_1) | instskip(SKIP_1) | instid1(VALU_DEP_2)
	v_fma_f32 v6, 0xcf800000, v4, |v3|
	v_cvt_u32_f32_e32 v4, v4
	v_cvt_u32_f32_e32 v3, v6
	s_delay_alu instid0(VALU_DEP_2) | instskip(NEXT) | instid1(VALU_DEP_2)
	v_xor_b32_e32 v4, v4, v11
	v_xor_b32_e32 v3, v3, v11
	s_delay_alu instid0(VALU_DEP_1) | instskip(NEXT) | instid1(VALU_DEP_3)
	v_sub_co_u32 v3, vcc_lo, v3, v11
	v_sub_co_ci_u32_e32 v4, vcc_lo, v4, v11, vcc_lo
	global_store_b64 v[0:1], v[3:4], off
.LBB256_1661:
	s_and_not1_b32 vcc_lo, exec_lo, s0
	s_cbranch_vccnz .LBB256_1663
; %bb.1662:
	v_cvt_i32_f32_e32 v3, v2
	global_store_b32 v[0:1], v3, off
.LBB256_1663:
	s_mov_b32 s0, 0
.LBB256_1664:
	s_delay_alu instid0(SALU_CYCLE_1)
	s_and_not1_b32 vcc_lo, exec_lo, s0
	s_cbranch_vccnz .LBB256_1666
; %bb.1665:
	v_cvt_i32_f32_e32 v3, v2
	global_store_b16 v[0:1], v3, off
.LBB256_1666:
	s_mov_b32 s0, 0
.LBB256_1667:
	s_delay_alu instid0(SALU_CYCLE_1)
	s_and_not1_b32 vcc_lo, exec_lo, s0
	s_cbranch_vccnz .LBB256_1672
; %bb.1668:
	v_cmp_lt_i16_e32 vcc_lo, 0, v7
	s_mov_b32 s0, -1
	s_cbranch_vccz .LBB256_1670
; %bb.1669:
	v_cvt_i32_f32_e32 v3, v2
	s_mov_b32 s0, 0
	global_store_b8 v[0:1], v3, off
.LBB256_1670:
	s_and_not1_b32 vcc_lo, exec_lo, s0
	s_cbranch_vccnz .LBB256_1672
; %bb.1671:
	v_trunc_f32_e32 v2, v2
	s_delay_alu instid0(VALU_DEP_1) | instskip(NEXT) | instid1(VALU_DEP_1)
	v_mul_f32_e64 v3, 0x2f800000, |v2|
	v_floor_f32_e32 v3, v3
	s_delay_alu instid0(VALU_DEP_1) | instskip(SKIP_1) | instid1(VALU_DEP_2)
	v_fma_f32 v3, 0xcf800000, v3, |v2|
	v_ashrrev_i32_e32 v2, 31, v2
	v_cvt_u32_f32_e32 v3, v3
	s_delay_alu instid0(VALU_DEP_1) | instskip(NEXT) | instid1(VALU_DEP_1)
	v_xor_b32_e32 v3, v3, v2
	v_sub_nc_u32_e32 v2, v3, v2
	global_store_b8 v[0:1], v2, off
.LBB256_1672:
	s_mov_b32 s6, -1
.LBB256_1673:
	s_delay_alu instid0(SALU_CYCLE_1)
	s_and_not1_b32 vcc_lo, exec_lo, s6
	s_cbranch_vccnz .LBB256_1986
; %bb.1674:
	v_mul_f32_e32 v0, 0x4f800000, v10
	v_cmp_gt_f32_e32 vcc_lo, 0xf800000, v10
	s_lshl_b32 s2, s2, 7
	s_mov_b32 s3, -1
	s_mov_b32 s6, 0
	v_cndmask_b32_e32 v2, v10, v0, vcc_lo
	s_delay_alu instid0(VALU_DEP_1) | instskip(SKIP_3) | instid1(VALU_DEP_2)
	v_sqrt_f32_e32 v0, v2
	s_waitcnt_depctr 0xfff
	v_add_nc_u32_e32 v1, -1, v0
	v_add_nc_u32_e32 v3, 1, v0
	v_fma_f32 v4, -v1, v0, v2
	s_delay_alu instid0(VALU_DEP_2) | instskip(NEXT) | instid1(VALU_DEP_2)
	v_fma_f32 v6, -v3, v0, v2
	v_cmp_ge_f32_e64 s0, 0, v4
	s_delay_alu instid0(VALU_DEP_1) | instskip(NEXT) | instid1(VALU_DEP_3)
	v_cndmask_b32_e64 v0, v0, v1, s0
	v_cmp_lt_f32_e64 s0, 0, v6
	s_delay_alu instid0(VALU_DEP_1) | instskip(SKIP_2) | instid1(VALU_DEP_3)
	v_cndmask_b32_e64 v0, v0, v3, s0
	v_add_nc_u32_e32 v4, s2, v5
	v_cmp_gt_i16_e64 s0, 11, v7
	v_mul_f32_e32 v1, 0x37800000, v0
	s_delay_alu instid0(VALU_DEP_3) | instskip(NEXT) | instid1(VALU_DEP_2)
	v_ashrrev_i32_e32 v3, 31, v4
	v_cndmask_b32_e32 v5, v0, v1, vcc_lo
	v_add_co_u32 v0, vcc_lo, s4, v4
	s_delay_alu instid0(VALU_DEP_3) | instskip(SKIP_1) | instid1(VALU_DEP_4)
	v_add_co_ci_u32_e32 v1, vcc_lo, s5, v3, vcc_lo
	v_cmp_class_f32_e64 vcc_lo, v2, 0x260
	v_cndmask_b32_e32 v2, v5, v2, vcc_lo
	s_and_b32 vcc_lo, exec_lo, s0
	s_cbranch_vccnz .LBB256_1752
; %bb.1675:
	v_cmp_lt_i16_e32 vcc_lo, 25, v7
	s_mov_b32 s7, -1
	s_mov_b32 s3, 0
	s_mov_b32 s0, 0
	s_cbranch_vccz .LBB256_1708
; %bb.1676:
	v_cmp_lt_i16_e32 vcc_lo, 28, v7
	s_cbranch_vccz .LBB256_1691
; %bb.1677:
	v_cmp_lt_i16_e32 vcc_lo, 43, v7
	;; [unrolled: 3-line block ×3, first 2 shown]
	s_cbranch_vccz .LBB256_1681
; %bb.1679:
	v_cmp_eq_u16_e32 vcc_lo, 46, v7
	s_mov_b32 s0, -1
	s_mov_b32 s7, 0
	s_cbranch_vccz .LBB256_1681
; %bb.1680:
	v_bfe_u32 v3, v2, 16, 1
	v_cmp_o_f32_e32 vcc_lo, v2, v2
	s_mov_b32 s0, 0
	s_mov_b32 s6, -1
	s_delay_alu instid0(VALU_DEP_2) | instskip(NEXT) | instid1(VALU_DEP_1)
	v_add3_u32 v3, v2, v3, 0x7fff
	v_lshrrev_b32_e32 v3, 16, v3
	s_delay_alu instid0(VALU_DEP_1)
	v_cndmask_b32_e32 v3, 0x7fc0, v3, vcc_lo
	global_store_b32 v[0:1], v3, off
.LBB256_1681:
	s_and_b32 vcc_lo, exec_lo, s7
	s_cbranch_vccz .LBB256_1686
; %bb.1682:
	v_cmp_eq_u16_e32 vcc_lo, 44, v7
	s_mov_b32 s0, -1
	s_cbranch_vccz .LBB256_1686
; %bb.1683:
	v_bfe_u32 v5, v2, 23, 8
	v_mov_b32_e32 v3, 0xff
	s_mov_b32 s6, exec_lo
	s_delay_alu instid0(VALU_DEP_2)
	v_cmpx_ne_u32_e32 0xff, v5
; %bb.1684:
	v_and_b32_e32 v3, 0x400000, v2
	v_and_or_b32 v5, 0x3fffff, v2, v5
	s_delay_alu instid0(VALU_DEP_2) | instskip(NEXT) | instid1(VALU_DEP_2)
	v_cmp_ne_u32_e32 vcc_lo, 0, v3
	v_cmp_ne_u32_e64 s0, 0, v5
	v_lshrrev_b32_e32 v3, 23, v2
	s_delay_alu instid0(VALU_DEP_2) | instskip(NEXT) | instid1(SALU_CYCLE_1)
	s_and_b32 s0, vcc_lo, s0
	v_cndmask_b32_e64 v5, 0, 1, s0
	s_delay_alu instid0(VALU_DEP_1)
	v_add_nc_u32_e32 v3, v3, v5
; %bb.1685:
	s_or_b32 exec_lo, exec_lo, s6
	s_mov_b32 s0, 0
	s_mov_b32 s6, -1
	global_store_b8 v[0:1], v3, off
.LBB256_1686:
	s_mov_b32 s7, 0
.LBB256_1687:
	s_delay_alu instid0(SALU_CYCLE_1)
	s_and_b32 vcc_lo, exec_lo, s7
	s_cbranch_vccz .LBB256_1690
; %bb.1688:
	v_cmp_eq_u16_e32 vcc_lo, 29, v7
	s_mov_b32 s0, -1
	s_cbranch_vccz .LBB256_1690
; %bb.1689:
	v_trunc_f32_e32 v3, v2
	s_mov_b32 s0, 0
	s_mov_b32 s6, -1
	s_delay_alu instid0(VALU_DEP_1) | instskip(NEXT) | instid1(VALU_DEP_1)
	v_mul_f32_e32 v5, 0x2f800000, v3
	v_floor_f32_e32 v5, v5
	s_delay_alu instid0(VALU_DEP_1) | instskip(SKIP_1) | instid1(VALU_DEP_2)
	v_fmamk_f32 v3, v5, 0xcf800000, v3
	v_cvt_u32_f32_e32 v6, v5
	v_cvt_u32_f32_e32 v5, v3
	global_store_b64 v[0:1], v[5:6], off
.LBB256_1690:
	s_mov_b32 s7, 0
.LBB256_1691:
	s_delay_alu instid0(SALU_CYCLE_1)
	s_and_b32 vcc_lo, exec_lo, s7
	s_cbranch_vccz .LBB256_1707
; %bb.1692:
	v_cmp_gt_i16_e32 vcc_lo, 27, v7
	s_mov_b32 s6, -1
	s_cbranch_vccnz .LBB256_1698
; %bb.1693:
	v_cmp_lt_i16_e32 vcc_lo, 27, v7
	v_cvt_u32_f32_e32 v3, v2
	s_cbranch_vccz .LBB256_1695
; %bb.1694:
	s_mov_b32 s6, 0
	global_store_b32 v[0:1], v3, off
.LBB256_1695:
	s_and_not1_b32 vcc_lo, exec_lo, s6
	s_cbranch_vccnz .LBB256_1697
; %bb.1696:
	global_store_b16 v[0:1], v3, off
.LBB256_1697:
	s_mov_b32 s6, 0
.LBB256_1698:
	s_delay_alu instid0(SALU_CYCLE_1)
	s_and_not1_b32 vcc_lo, exec_lo, s6
	s_cbranch_vccnz .LBB256_1706
; %bb.1699:
	v_and_b32_e32 v3, 0x7fffffff, v2
	v_mov_b32_e32 v5, 0x80
	s_mov_b32 s6, exec_lo
	s_delay_alu instid0(VALU_DEP_2)
	v_cmpx_gt_u32_e32 0x43800000, v3
	s_cbranch_execz .LBB256_1705
; %bb.1700:
	v_cmp_lt_u32_e32 vcc_lo, 0x3bffffff, v3
	s_mov_b32 s7, 0
                                        ; implicit-def: $vgpr3
	s_and_saveexec_b32 s10, vcc_lo
	s_delay_alu instid0(SALU_CYCLE_1)
	s_xor_b32 s10, exec_lo, s10
	s_cbranch_execz .LBB256_2041
; %bb.1701:
	v_bfe_u32 v3, v2, 20, 1
	s_mov_b32 s7, exec_lo
	s_delay_alu instid0(VALU_DEP_1) | instskip(NEXT) | instid1(VALU_DEP_1)
	v_add3_u32 v3, v2, v3, 0x487ffff
	v_lshrrev_b32_e32 v3, 20, v3
	s_or_saveexec_b32 s10, s10
                                        ; implicit-def: $sgpr11
	s_delay_alu instid0(SALU_CYCLE_1)
	s_xor_b32 exec_lo, exec_lo, s10
	s_cbranch_execnz .LBB256_2042
.LBB256_1702:
	s_or_b32 exec_lo, exec_lo, s10
	v_mov_b32_e32 v5, s11
	s_and_saveexec_b32 s10, s7
.LBB256_1703:
	v_lshrrev_b32_e32 v5, 24, v2
	s_delay_alu instid0(VALU_DEP_1)
	v_and_or_b32 v5, 0x80, v5, v3
.LBB256_1704:
	s_or_b32 exec_lo, exec_lo, s10
.LBB256_1705:
	s_delay_alu instid0(SALU_CYCLE_1)
	s_or_b32 exec_lo, exec_lo, s6
	global_store_b8 v[0:1], v5, off
.LBB256_1706:
	s_mov_b32 s6, -1
.LBB256_1707:
	s_mov_b32 s7, 0
.LBB256_1708:
	s_delay_alu instid0(SALU_CYCLE_1)
	s_and_b32 vcc_lo, exec_lo, s7
	s_cbranch_vccz .LBB256_1748
; %bb.1709:
	v_cmp_lt_i16_e32 vcc_lo, 22, v7
	s_mov_b32 s3, -1
	s_cbranch_vccz .LBB256_1741
; %bb.1710:
	v_cmp_gt_i16_e32 vcc_lo, 24, v7
	s_cbranch_vccnz .LBB256_1730
; %bb.1711:
	v_cmp_lt_i16_e32 vcc_lo, 24, v7
	s_cbranch_vccz .LBB256_1719
; %bb.1712:
	v_and_b32_e32 v3, 0x7fffffff, v2
	v_mov_b32_e32 v5, 0x80
	s_mov_b32 s3, exec_lo
	s_delay_alu instid0(VALU_DEP_2)
	v_cmpx_gt_u32_e32 0x47800000, v3
	s_cbranch_execz .LBB256_1718
; %bb.1713:
	v_cmp_lt_u32_e32 vcc_lo, 0x37ffffff, v3
	s_mov_b32 s6, 0
                                        ; implicit-def: $vgpr3
	s_and_saveexec_b32 s7, vcc_lo
	s_delay_alu instid0(SALU_CYCLE_1)
	s_xor_b32 s7, exec_lo, s7
	s_cbranch_execz .LBB256_2047
; %bb.1714:
	v_bfe_u32 v3, v2, 21, 1
	s_mov_b32 s6, exec_lo
	s_delay_alu instid0(VALU_DEP_1) | instskip(NEXT) | instid1(VALU_DEP_1)
	v_add3_u32 v3, v2, v3, 0x88fffff
	v_lshrrev_b32_e32 v3, 21, v3
	s_or_saveexec_b32 s7, s7
                                        ; implicit-def: $sgpr10
	s_delay_alu instid0(SALU_CYCLE_1)
	s_xor_b32 exec_lo, exec_lo, s7
	s_cbranch_execnz .LBB256_2048
.LBB256_1715:
	s_or_b32 exec_lo, exec_lo, s7
	v_mov_b32_e32 v5, s10
	s_and_saveexec_b32 s7, s6
.LBB256_1716:
	v_lshrrev_b32_e32 v5, 24, v2
	s_delay_alu instid0(VALU_DEP_1)
	v_and_or_b32 v5, 0x80, v5, v3
.LBB256_1717:
	s_or_b32 exec_lo, exec_lo, s7
.LBB256_1718:
	s_delay_alu instid0(SALU_CYCLE_1)
	s_or_b32 exec_lo, exec_lo, s3
	s_mov_b32 s3, 0
	global_store_b8 v[0:1], v5, off
.LBB256_1719:
	s_and_b32 vcc_lo, exec_lo, s3
	s_cbranch_vccz .LBB256_1729
; %bb.1720:
	v_and_b32_e32 v5, 0x7fffffff, v2
	s_mov_b32 s3, exec_lo
                                        ; implicit-def: $vgpr3
	s_delay_alu instid0(VALU_DEP_1)
	v_cmpx_gt_u32_e32 0x43f00000, v5
	s_xor_b32 s3, exec_lo, s3
	s_cbranch_execz .LBB256_1726
; %bb.1721:
	s_mov_b32 s6, exec_lo
                                        ; implicit-def: $vgpr3
	v_cmpx_lt_u32_e32 0x3c7fffff, v5
	s_xor_b32 s6, exec_lo, s6
; %bb.1722:
	v_bfe_u32 v3, v2, 20, 1
	s_delay_alu instid0(VALU_DEP_1) | instskip(NEXT) | instid1(VALU_DEP_1)
	v_add3_u32 v3, v2, v3, 0x407ffff
	v_and_b32_e32 v5, 0xff00000, v3
	v_lshrrev_b32_e32 v3, 20, v3
	s_delay_alu instid0(VALU_DEP_2) | instskip(NEXT) | instid1(VALU_DEP_2)
	v_cmp_ne_u32_e32 vcc_lo, 0x7f00000, v5
	v_cndmask_b32_e32 v3, 0x7e, v3, vcc_lo
; %bb.1723:
	s_and_not1_saveexec_b32 s6, s6
; %bb.1724:
	v_add_f32_e64 v3, 0x46800000, |v2|
; %bb.1725:
	s_or_b32 exec_lo, exec_lo, s6
                                        ; implicit-def: $vgpr5
.LBB256_1726:
	s_and_not1_saveexec_b32 s3, s3
; %bb.1727:
	v_mov_b32_e32 v3, 0x7f
	v_cmp_lt_u32_e32 vcc_lo, 0x7f800000, v5
	s_delay_alu instid0(VALU_DEP_2)
	v_cndmask_b32_e32 v3, 0x7e, v3, vcc_lo
; %bb.1728:
	s_or_b32 exec_lo, exec_lo, s3
	v_lshrrev_b32_e32 v5, 24, v2
	s_delay_alu instid0(VALU_DEP_1)
	v_and_or_b32 v3, 0x80, v5, v3
	global_store_b8 v[0:1], v3, off
.LBB256_1729:
	s_mov_b32 s3, 0
.LBB256_1730:
	s_delay_alu instid0(SALU_CYCLE_1)
	s_and_not1_b32 vcc_lo, exec_lo, s3
	s_cbranch_vccnz .LBB256_1740
; %bb.1731:
	v_and_b32_e32 v5, 0x7fffffff, v2
	s_mov_b32 s3, exec_lo
                                        ; implicit-def: $vgpr3
	s_delay_alu instid0(VALU_DEP_1)
	v_cmpx_gt_u32_e32 0x47800000, v5
	s_xor_b32 s3, exec_lo, s3
	s_cbranch_execz .LBB256_1737
; %bb.1732:
	s_mov_b32 s6, exec_lo
                                        ; implicit-def: $vgpr3
	v_cmpx_lt_u32_e32 0x387fffff, v5
	s_xor_b32 s6, exec_lo, s6
; %bb.1733:
	v_bfe_u32 v3, v2, 21, 1
	s_delay_alu instid0(VALU_DEP_1) | instskip(NEXT) | instid1(VALU_DEP_1)
	v_add3_u32 v3, v2, v3, 0x80fffff
	v_lshrrev_b32_e32 v3, 21, v3
; %bb.1734:
	s_and_not1_saveexec_b32 s6, s6
; %bb.1735:
	v_add_f32_e64 v3, 0x43000000, |v2|
; %bb.1736:
	s_or_b32 exec_lo, exec_lo, s6
                                        ; implicit-def: $vgpr5
.LBB256_1737:
	s_and_not1_saveexec_b32 s3, s3
; %bb.1738:
	v_mov_b32_e32 v3, 0x7f
	v_cmp_lt_u32_e32 vcc_lo, 0x7f800000, v5
	s_delay_alu instid0(VALU_DEP_2)
	v_cndmask_b32_e32 v3, 0x7c, v3, vcc_lo
; %bb.1739:
	s_or_b32 exec_lo, exec_lo, s3
	v_lshrrev_b32_e32 v5, 24, v2
	s_delay_alu instid0(VALU_DEP_1)
	v_and_or_b32 v3, 0x80, v5, v3
	global_store_b8 v[0:1], v3, off
.LBB256_1740:
	s_mov_b32 s3, 0
	s_mov_b32 s6, -1
.LBB256_1741:
	s_and_not1_b32 vcc_lo, exec_lo, s3
	s_mov_b32 s3, 0
	s_cbranch_vccnz .LBB256_1748
; %bb.1742:
	v_cmp_lt_i16_e32 vcc_lo, 14, v7
	s_mov_b32 s3, -1
	s_cbranch_vccz .LBB256_1746
; %bb.1743:
	v_cmp_eq_u16_e32 vcc_lo, 15, v7
	s_mov_b32 s0, -1
	s_cbranch_vccz .LBB256_1745
; %bb.1744:
	v_bfe_u32 v3, v2, 16, 1
	v_cmp_o_f32_e32 vcc_lo, v2, v2
	s_mov_b32 s0, 0
	s_mov_b32 s6, -1
	s_delay_alu instid0(VALU_DEP_2) | instskip(NEXT) | instid1(VALU_DEP_1)
	v_add3_u32 v3, v2, v3, 0x7fff
	v_lshrrev_b32_e32 v3, 16, v3
	s_delay_alu instid0(VALU_DEP_1)
	v_cndmask_b32_e32 v3, 0x7fc0, v3, vcc_lo
	global_store_b16 v[0:1], v3, off
.LBB256_1745:
	s_mov_b32 s3, 0
.LBB256_1746:
	s_delay_alu instid0(SALU_CYCLE_1)
	s_and_b32 vcc_lo, exec_lo, s3
	s_mov_b32 s3, 0
	s_cbranch_vccz .LBB256_1748
; %bb.1747:
	v_cmp_ne_u16_e64 s0, 11, v7
	s_mov_b32 s3, -1
.LBB256_1748:
	s_delay_alu instid0(VALU_DEP_1)
	s_and_b32 vcc_lo, exec_lo, s0
	s_cbranch_vccnz .LBB256_2045
; %bb.1749:
	s_and_not1_b32 vcc_lo, exec_lo, s3
	s_cbranch_vccnz .LBB256_1751
.LBB256_1750:
	v_cmp_neq_f32_e32 vcc_lo, 0, v2
	s_mov_b32 s6, -1
	v_cndmask_b32_e64 v3, 0, 1, vcc_lo
	global_store_b8 v[0:1], v3, off
.LBB256_1751:
	s_mov_b32 s3, 0
.LBB256_1752:
	s_delay_alu instid0(SALU_CYCLE_1)
	s_and_b32 vcc_lo, exec_lo, s3
	s_cbranch_vccz .LBB256_1791
; %bb.1753:
	v_cmp_gt_i16_e32 vcc_lo, 5, v7
	s_mov_b32 s0, -1
	s_cbranch_vccnz .LBB256_1774
; %bb.1754:
	v_cmp_gt_i16_e32 vcc_lo, 8, v7
	s_cbranch_vccnz .LBB256_1764
; %bb.1755:
	v_cmp_gt_i16_e32 vcc_lo, 9, v7
	s_cbranch_vccnz .LBB256_1761
; %bb.1756:
	v_cmp_lt_i16_e32 vcc_lo, 9, v7
	s_cbranch_vccz .LBB256_1758
; %bb.1757:
	v_cvt_f64_f32_e32 v[10:11], v2
	v_mov_b32_e32 v12, 0
	s_mov_b32 s0, 0
	s_delay_alu instid0(VALU_DEP_1)
	v_mov_b32_e32 v13, v12
	global_store_b128 v[0:1], v[10:13], off
.LBB256_1758:
	s_and_not1_b32 vcc_lo, exec_lo, s0
	s_cbranch_vccnz .LBB256_1760
; %bb.1759:
	v_mov_b32_e32 v3, 0
	global_store_b64 v[0:1], v[2:3], off
.LBB256_1760:
	s_mov_b32 s0, 0
.LBB256_1761:
	s_delay_alu instid0(SALU_CYCLE_1)
	s_and_not1_b32 vcc_lo, exec_lo, s0
	s_cbranch_vccnz .LBB256_1763
; %bb.1762:
	v_cvt_f16_f32_e32 v3, v2
	s_delay_alu instid0(VALU_DEP_1)
	v_and_b32_e32 v3, 0xffff, v3
	global_store_b32 v[0:1], v3, off
.LBB256_1763:
	s_mov_b32 s0, 0
.LBB256_1764:
	s_delay_alu instid0(SALU_CYCLE_1)
	s_and_not1_b32 vcc_lo, exec_lo, s0
	s_cbranch_vccnz .LBB256_1773
; %bb.1765:
	v_cmp_gt_i16_e32 vcc_lo, 6, v7
	s_mov_b32 s0, -1
	s_cbranch_vccnz .LBB256_1771
; %bb.1766:
	v_cmp_lt_i16_e32 vcc_lo, 6, v7
	s_cbranch_vccz .LBB256_1768
; %bb.1767:
	v_cvt_f64_f32_e32 v[5:6], v2
	s_mov_b32 s0, 0
	global_store_b64 v[0:1], v[5:6], off
.LBB256_1768:
	s_and_not1_b32 vcc_lo, exec_lo, s0
	s_cbranch_vccnz .LBB256_1770
; %bb.1769:
	global_store_b32 v[0:1], v2, off
.LBB256_1770:
	s_mov_b32 s0, 0
.LBB256_1771:
	s_delay_alu instid0(SALU_CYCLE_1)
	s_and_not1_b32 vcc_lo, exec_lo, s0
	s_cbranch_vccnz .LBB256_1773
; %bb.1772:
	v_cvt_f16_f32_e32 v3, v2
	global_store_b16 v[0:1], v3, off
.LBB256_1773:
	s_mov_b32 s0, 0
.LBB256_1774:
	s_delay_alu instid0(SALU_CYCLE_1)
	s_and_not1_b32 vcc_lo, exec_lo, s0
	s_cbranch_vccnz .LBB256_1790
; %bb.1775:
	v_cmp_gt_i16_e32 vcc_lo, 2, v7
	s_mov_b32 s0, -1
	s_cbranch_vccnz .LBB256_1785
; %bb.1776:
	v_cmp_gt_i16_e32 vcc_lo, 3, v7
	s_cbranch_vccnz .LBB256_1782
; %bb.1777:
	v_cmp_lt_i16_e32 vcc_lo, 3, v7
	s_cbranch_vccz .LBB256_1779
; %bb.1778:
	v_trunc_f32_e32 v3, v2
	s_mov_b32 s0, 0
	s_delay_alu instid0(VALU_DEP_1) | instskip(NEXT) | instid1(VALU_DEP_1)
	v_mul_f32_e64 v5, 0x2f800000, |v3|
	v_floor_f32_e32 v5, v5
	s_delay_alu instid0(VALU_DEP_1) | instskip(SKIP_2) | instid1(VALU_DEP_3)
	v_fma_f32 v6, 0xcf800000, v5, |v3|
	v_ashrrev_i32_e32 v3, 31, v3
	v_cvt_u32_f32_e32 v5, v5
	v_cvt_u32_f32_e32 v6, v6
	s_delay_alu instid0(VALU_DEP_2) | instskip(NEXT) | instid1(VALU_DEP_2)
	v_xor_b32_e32 v10, v5, v3
	v_xor_b32_e32 v6, v6, v3
	s_delay_alu instid0(VALU_DEP_1) | instskip(NEXT) | instid1(VALU_DEP_3)
	v_sub_co_u32 v5, vcc_lo, v6, v3
	v_sub_co_ci_u32_e32 v6, vcc_lo, v10, v3, vcc_lo
	global_store_b64 v[0:1], v[5:6], off
.LBB256_1779:
	s_and_not1_b32 vcc_lo, exec_lo, s0
	s_cbranch_vccnz .LBB256_1781
; %bb.1780:
	v_cvt_i32_f32_e32 v3, v2
	global_store_b32 v[0:1], v3, off
.LBB256_1781:
	s_mov_b32 s0, 0
.LBB256_1782:
	s_delay_alu instid0(SALU_CYCLE_1)
	s_and_not1_b32 vcc_lo, exec_lo, s0
	s_cbranch_vccnz .LBB256_1784
; %bb.1783:
	v_cvt_i32_f32_e32 v3, v2
	global_store_b16 v[0:1], v3, off
.LBB256_1784:
	s_mov_b32 s0, 0
.LBB256_1785:
	s_delay_alu instid0(SALU_CYCLE_1)
	s_and_not1_b32 vcc_lo, exec_lo, s0
	s_cbranch_vccnz .LBB256_1790
; %bb.1786:
	v_cmp_lt_i16_e32 vcc_lo, 0, v7
	s_mov_b32 s0, -1
	s_cbranch_vccz .LBB256_1788
; %bb.1787:
	v_cvt_i32_f32_e32 v3, v2
	s_mov_b32 s0, 0
	global_store_b8 v[0:1], v3, off
.LBB256_1788:
	s_and_not1_b32 vcc_lo, exec_lo, s0
	s_cbranch_vccnz .LBB256_1790
; %bb.1789:
	v_trunc_f32_e32 v2, v2
	s_delay_alu instid0(VALU_DEP_1) | instskip(NEXT) | instid1(VALU_DEP_1)
	v_mul_f32_e64 v3, 0x2f800000, |v2|
	v_floor_f32_e32 v3, v3
	s_delay_alu instid0(VALU_DEP_1) | instskip(SKIP_1) | instid1(VALU_DEP_2)
	v_fma_f32 v3, 0xcf800000, v3, |v2|
	v_ashrrev_i32_e32 v2, 31, v2
	v_cvt_u32_f32_e32 v3, v3
	s_delay_alu instid0(VALU_DEP_1) | instskip(NEXT) | instid1(VALU_DEP_1)
	v_xor_b32_e32 v3, v3, v2
	v_sub_nc_u32_e32 v2, v3, v2
	global_store_b8 v[0:1], v2, off
.LBB256_1790:
	s_mov_b32 s6, -1
.LBB256_1791:
	s_delay_alu instid0(SALU_CYCLE_1)
	s_and_not1_b32 vcc_lo, exec_lo, s6
	s_cbranch_vccnz .LBB256_1986
; %bb.1792:
	v_mul_f32_e32 v0, 0x4f800000, v9
	v_cmp_gt_f32_e32 vcc_lo, 0xf800000, v9
	v_add_nc_u32_e32 v4, s2, v4
	s_mov_b32 s3, -1
	s_mov_b32 s6, 0
	v_cndmask_b32_e32 v2, v9, v0, vcc_lo
	s_delay_alu instid0(VALU_DEP_1) | instskip(SKIP_3) | instid1(VALU_DEP_2)
	v_sqrt_f32_e32 v0, v2
	s_waitcnt_depctr 0xfff
	v_add_nc_u32_e32 v1, -1, v0
	v_add_nc_u32_e32 v3, 1, v0
	v_fma_f32 v5, -v1, v0, v2
	s_delay_alu instid0(VALU_DEP_2) | instskip(NEXT) | instid1(VALU_DEP_2)
	v_fma_f32 v6, -v3, v0, v2
	v_cmp_ge_f32_e64 s0, 0, v5
	s_delay_alu instid0(VALU_DEP_1) | instskip(NEXT) | instid1(VALU_DEP_3)
	v_cndmask_b32_e64 v0, v0, v1, s0
	v_cmp_lt_f32_e64 s0, 0, v6
	s_delay_alu instid0(VALU_DEP_1) | instskip(SKIP_2) | instid1(VALU_DEP_3)
	v_cndmask_b32_e64 v0, v0, v3, s0
	v_ashrrev_i32_e32 v3, 31, v4
	v_cmp_gt_i16_e64 s0, 11, v7
	v_mul_f32_e32 v1, 0x37800000, v0
	s_delay_alu instid0(VALU_DEP_1) | instskip(SKIP_3) | instid1(VALU_DEP_4)
	v_cndmask_b32_e32 v5, v0, v1, vcc_lo
	v_add_co_u32 v0, vcc_lo, s4, v4
	v_add_co_ci_u32_e32 v1, vcc_lo, s5, v3, vcc_lo
	v_cmp_class_f32_e64 vcc_lo, v2, 0x260
	v_cndmask_b32_e32 v2, v5, v2, vcc_lo
	s_and_b32 vcc_lo, exec_lo, s0
	s_cbranch_vccnz .LBB256_1870
; %bb.1793:
	v_cmp_lt_i16_e32 vcc_lo, 25, v7
	s_mov_b32 s7, -1
	s_mov_b32 s3, 0
	s_mov_b32 s0, 0
	s_cbranch_vccz .LBB256_1826
; %bb.1794:
	v_cmp_lt_i16_e32 vcc_lo, 28, v7
	s_cbranch_vccz .LBB256_1809
; %bb.1795:
	v_cmp_lt_i16_e32 vcc_lo, 43, v7
	;; [unrolled: 3-line block ×3, first 2 shown]
	s_cbranch_vccz .LBB256_1799
; %bb.1797:
	v_cmp_eq_u16_e32 vcc_lo, 46, v7
	s_mov_b32 s0, -1
	s_mov_b32 s7, 0
	s_cbranch_vccz .LBB256_1799
; %bb.1798:
	v_bfe_u32 v3, v2, 16, 1
	v_cmp_o_f32_e32 vcc_lo, v2, v2
	s_mov_b32 s0, 0
	s_mov_b32 s6, -1
	s_delay_alu instid0(VALU_DEP_2) | instskip(NEXT) | instid1(VALU_DEP_1)
	v_add3_u32 v3, v2, v3, 0x7fff
	v_lshrrev_b32_e32 v3, 16, v3
	s_delay_alu instid0(VALU_DEP_1)
	v_cndmask_b32_e32 v3, 0x7fc0, v3, vcc_lo
	global_store_b32 v[0:1], v3, off
.LBB256_1799:
	s_and_b32 vcc_lo, exec_lo, s7
	s_cbranch_vccz .LBB256_1804
; %bb.1800:
	v_cmp_eq_u16_e32 vcc_lo, 44, v7
	s_mov_b32 s0, -1
	s_cbranch_vccz .LBB256_1804
; %bb.1801:
	v_bfe_u32 v5, v2, 23, 8
	v_mov_b32_e32 v3, 0xff
	s_mov_b32 s6, exec_lo
	s_delay_alu instid0(VALU_DEP_2)
	v_cmpx_ne_u32_e32 0xff, v5
; %bb.1802:
	v_and_b32_e32 v3, 0x400000, v2
	v_and_or_b32 v5, 0x3fffff, v2, v5
	s_delay_alu instid0(VALU_DEP_2) | instskip(NEXT) | instid1(VALU_DEP_2)
	v_cmp_ne_u32_e32 vcc_lo, 0, v3
	v_cmp_ne_u32_e64 s0, 0, v5
	v_lshrrev_b32_e32 v3, 23, v2
	s_delay_alu instid0(VALU_DEP_2) | instskip(NEXT) | instid1(SALU_CYCLE_1)
	s_and_b32 s0, vcc_lo, s0
	v_cndmask_b32_e64 v5, 0, 1, s0
	s_delay_alu instid0(VALU_DEP_1)
	v_add_nc_u32_e32 v3, v3, v5
; %bb.1803:
	s_or_b32 exec_lo, exec_lo, s6
	s_mov_b32 s0, 0
	s_mov_b32 s6, -1
	global_store_b8 v[0:1], v3, off
.LBB256_1804:
	s_mov_b32 s7, 0
.LBB256_1805:
	s_delay_alu instid0(SALU_CYCLE_1)
	s_and_b32 vcc_lo, exec_lo, s7
	s_cbranch_vccz .LBB256_1808
; %bb.1806:
	v_cmp_eq_u16_e32 vcc_lo, 29, v7
	s_mov_b32 s0, -1
	s_cbranch_vccz .LBB256_1808
; %bb.1807:
	v_trunc_f32_e32 v3, v2
	s_mov_b32 s0, 0
	s_mov_b32 s6, -1
	s_delay_alu instid0(VALU_DEP_1) | instskip(NEXT) | instid1(VALU_DEP_1)
	v_mul_f32_e32 v5, 0x2f800000, v3
	v_floor_f32_e32 v5, v5
	s_delay_alu instid0(VALU_DEP_1) | instskip(SKIP_1) | instid1(VALU_DEP_2)
	v_fmamk_f32 v3, v5, 0xcf800000, v3
	v_cvt_u32_f32_e32 v6, v5
	v_cvt_u32_f32_e32 v5, v3
	global_store_b64 v[0:1], v[5:6], off
.LBB256_1808:
	s_mov_b32 s7, 0
.LBB256_1809:
	s_delay_alu instid0(SALU_CYCLE_1)
	s_and_b32 vcc_lo, exec_lo, s7
	s_cbranch_vccz .LBB256_1825
; %bb.1810:
	v_cmp_gt_i16_e32 vcc_lo, 27, v7
	s_mov_b32 s6, -1
	s_cbranch_vccnz .LBB256_1816
; %bb.1811:
	v_cmp_lt_i16_e32 vcc_lo, 27, v7
	v_cvt_u32_f32_e32 v3, v2
	s_cbranch_vccz .LBB256_1813
; %bb.1812:
	s_mov_b32 s6, 0
	global_store_b32 v[0:1], v3, off
.LBB256_1813:
	s_and_not1_b32 vcc_lo, exec_lo, s6
	s_cbranch_vccnz .LBB256_1815
; %bb.1814:
	global_store_b16 v[0:1], v3, off
.LBB256_1815:
	s_mov_b32 s6, 0
.LBB256_1816:
	s_delay_alu instid0(SALU_CYCLE_1)
	s_and_not1_b32 vcc_lo, exec_lo, s6
	s_cbranch_vccnz .LBB256_1824
; %bb.1817:
	v_and_b32_e32 v3, 0x7fffffff, v2
	v_mov_b32_e32 v5, 0x80
	s_mov_b32 s6, exec_lo
	s_delay_alu instid0(VALU_DEP_2)
	v_cmpx_gt_u32_e32 0x43800000, v3
	s_cbranch_execz .LBB256_1823
; %bb.1818:
	v_cmp_lt_u32_e32 vcc_lo, 0x3bffffff, v3
	s_mov_b32 s7, 0
                                        ; implicit-def: $vgpr3
	s_and_saveexec_b32 s10, vcc_lo
	s_delay_alu instid0(SALU_CYCLE_1)
	s_xor_b32 s10, exec_lo, s10
	s_cbranch_execz .LBB256_2049
; %bb.1819:
	v_bfe_u32 v3, v2, 20, 1
	s_mov_b32 s7, exec_lo
	s_delay_alu instid0(VALU_DEP_1) | instskip(NEXT) | instid1(VALU_DEP_1)
	v_add3_u32 v3, v2, v3, 0x487ffff
	v_lshrrev_b32_e32 v3, 20, v3
	s_or_saveexec_b32 s10, s10
                                        ; implicit-def: $sgpr11
	s_delay_alu instid0(SALU_CYCLE_1)
	s_xor_b32 exec_lo, exec_lo, s10
	s_cbranch_execnz .LBB256_2050
.LBB256_1820:
	s_or_b32 exec_lo, exec_lo, s10
	v_mov_b32_e32 v5, s11
	s_and_saveexec_b32 s10, s7
.LBB256_1821:
	v_lshrrev_b32_e32 v5, 24, v2
	s_delay_alu instid0(VALU_DEP_1)
	v_and_or_b32 v5, 0x80, v5, v3
.LBB256_1822:
	s_or_b32 exec_lo, exec_lo, s10
.LBB256_1823:
	s_delay_alu instid0(SALU_CYCLE_1)
	s_or_b32 exec_lo, exec_lo, s6
	global_store_b8 v[0:1], v5, off
.LBB256_1824:
	s_mov_b32 s6, -1
.LBB256_1825:
	s_mov_b32 s7, 0
.LBB256_1826:
	s_delay_alu instid0(SALU_CYCLE_1)
	s_and_b32 vcc_lo, exec_lo, s7
	s_cbranch_vccz .LBB256_1866
; %bb.1827:
	v_cmp_lt_i16_e32 vcc_lo, 22, v7
	s_mov_b32 s3, -1
	s_cbranch_vccz .LBB256_1859
; %bb.1828:
	v_cmp_gt_i16_e32 vcc_lo, 24, v7
	s_cbranch_vccnz .LBB256_1848
; %bb.1829:
	v_cmp_lt_i16_e32 vcc_lo, 24, v7
	s_cbranch_vccz .LBB256_1837
; %bb.1830:
	v_and_b32_e32 v3, 0x7fffffff, v2
	v_mov_b32_e32 v5, 0x80
	s_mov_b32 s3, exec_lo
	s_delay_alu instid0(VALU_DEP_2)
	v_cmpx_gt_u32_e32 0x47800000, v3
	s_cbranch_execz .LBB256_1836
; %bb.1831:
	v_cmp_lt_u32_e32 vcc_lo, 0x37ffffff, v3
	s_mov_b32 s6, 0
                                        ; implicit-def: $vgpr3
	s_and_saveexec_b32 s7, vcc_lo
	s_delay_alu instid0(SALU_CYCLE_1)
	s_xor_b32 s7, exec_lo, s7
	s_cbranch_execz .LBB256_2055
; %bb.1832:
	v_bfe_u32 v3, v2, 21, 1
	s_mov_b32 s6, exec_lo
	s_delay_alu instid0(VALU_DEP_1) | instskip(NEXT) | instid1(VALU_DEP_1)
	v_add3_u32 v3, v2, v3, 0x88fffff
	v_lshrrev_b32_e32 v3, 21, v3
	s_or_saveexec_b32 s7, s7
                                        ; implicit-def: $sgpr10
	s_delay_alu instid0(SALU_CYCLE_1)
	s_xor_b32 exec_lo, exec_lo, s7
	s_cbranch_execnz .LBB256_2056
.LBB256_1833:
	s_or_b32 exec_lo, exec_lo, s7
	v_mov_b32_e32 v5, s10
	s_and_saveexec_b32 s7, s6
.LBB256_1834:
	v_lshrrev_b32_e32 v5, 24, v2
	s_delay_alu instid0(VALU_DEP_1)
	v_and_or_b32 v5, 0x80, v5, v3
.LBB256_1835:
	s_or_b32 exec_lo, exec_lo, s7
.LBB256_1836:
	s_delay_alu instid0(SALU_CYCLE_1)
	s_or_b32 exec_lo, exec_lo, s3
	s_mov_b32 s3, 0
	global_store_b8 v[0:1], v5, off
.LBB256_1837:
	s_and_b32 vcc_lo, exec_lo, s3
	s_cbranch_vccz .LBB256_1847
; %bb.1838:
	v_and_b32_e32 v5, 0x7fffffff, v2
	s_mov_b32 s3, exec_lo
                                        ; implicit-def: $vgpr3
	s_delay_alu instid0(VALU_DEP_1)
	v_cmpx_gt_u32_e32 0x43f00000, v5
	s_xor_b32 s3, exec_lo, s3
	s_cbranch_execz .LBB256_1844
; %bb.1839:
	s_mov_b32 s6, exec_lo
                                        ; implicit-def: $vgpr3
	v_cmpx_lt_u32_e32 0x3c7fffff, v5
	s_xor_b32 s6, exec_lo, s6
; %bb.1840:
	v_bfe_u32 v3, v2, 20, 1
	s_delay_alu instid0(VALU_DEP_1) | instskip(NEXT) | instid1(VALU_DEP_1)
	v_add3_u32 v3, v2, v3, 0x407ffff
	v_and_b32_e32 v5, 0xff00000, v3
	v_lshrrev_b32_e32 v3, 20, v3
	s_delay_alu instid0(VALU_DEP_2) | instskip(NEXT) | instid1(VALU_DEP_2)
	v_cmp_ne_u32_e32 vcc_lo, 0x7f00000, v5
	v_cndmask_b32_e32 v3, 0x7e, v3, vcc_lo
; %bb.1841:
	s_and_not1_saveexec_b32 s6, s6
; %bb.1842:
	v_add_f32_e64 v3, 0x46800000, |v2|
; %bb.1843:
	s_or_b32 exec_lo, exec_lo, s6
                                        ; implicit-def: $vgpr5
.LBB256_1844:
	s_and_not1_saveexec_b32 s3, s3
; %bb.1845:
	v_mov_b32_e32 v3, 0x7f
	v_cmp_lt_u32_e32 vcc_lo, 0x7f800000, v5
	s_delay_alu instid0(VALU_DEP_2)
	v_cndmask_b32_e32 v3, 0x7e, v3, vcc_lo
; %bb.1846:
	s_or_b32 exec_lo, exec_lo, s3
	v_lshrrev_b32_e32 v5, 24, v2
	s_delay_alu instid0(VALU_DEP_1)
	v_and_or_b32 v3, 0x80, v5, v3
	global_store_b8 v[0:1], v3, off
.LBB256_1847:
	s_mov_b32 s3, 0
.LBB256_1848:
	s_delay_alu instid0(SALU_CYCLE_1)
	s_and_not1_b32 vcc_lo, exec_lo, s3
	s_cbranch_vccnz .LBB256_1858
; %bb.1849:
	v_and_b32_e32 v5, 0x7fffffff, v2
	s_mov_b32 s3, exec_lo
                                        ; implicit-def: $vgpr3
	s_delay_alu instid0(VALU_DEP_1)
	v_cmpx_gt_u32_e32 0x47800000, v5
	s_xor_b32 s3, exec_lo, s3
	s_cbranch_execz .LBB256_1855
; %bb.1850:
	s_mov_b32 s6, exec_lo
                                        ; implicit-def: $vgpr3
	v_cmpx_lt_u32_e32 0x387fffff, v5
	s_xor_b32 s6, exec_lo, s6
; %bb.1851:
	v_bfe_u32 v3, v2, 21, 1
	s_delay_alu instid0(VALU_DEP_1) | instskip(NEXT) | instid1(VALU_DEP_1)
	v_add3_u32 v3, v2, v3, 0x80fffff
	v_lshrrev_b32_e32 v3, 21, v3
; %bb.1852:
	s_and_not1_saveexec_b32 s6, s6
; %bb.1853:
	v_add_f32_e64 v3, 0x43000000, |v2|
; %bb.1854:
	s_or_b32 exec_lo, exec_lo, s6
                                        ; implicit-def: $vgpr5
.LBB256_1855:
	s_and_not1_saveexec_b32 s3, s3
; %bb.1856:
	v_mov_b32_e32 v3, 0x7f
	v_cmp_lt_u32_e32 vcc_lo, 0x7f800000, v5
	s_delay_alu instid0(VALU_DEP_2)
	v_cndmask_b32_e32 v3, 0x7c, v3, vcc_lo
; %bb.1857:
	s_or_b32 exec_lo, exec_lo, s3
	v_lshrrev_b32_e32 v5, 24, v2
	s_delay_alu instid0(VALU_DEP_1)
	v_and_or_b32 v3, 0x80, v5, v3
	global_store_b8 v[0:1], v3, off
.LBB256_1858:
	s_mov_b32 s3, 0
	s_mov_b32 s6, -1
.LBB256_1859:
	s_and_not1_b32 vcc_lo, exec_lo, s3
	s_mov_b32 s3, 0
	s_cbranch_vccnz .LBB256_1866
; %bb.1860:
	v_cmp_lt_i16_e32 vcc_lo, 14, v7
	s_mov_b32 s3, -1
	s_cbranch_vccz .LBB256_1864
; %bb.1861:
	v_cmp_eq_u16_e32 vcc_lo, 15, v7
	s_mov_b32 s0, -1
	s_cbranch_vccz .LBB256_1863
; %bb.1862:
	v_bfe_u32 v3, v2, 16, 1
	v_cmp_o_f32_e32 vcc_lo, v2, v2
	s_mov_b32 s0, 0
	s_mov_b32 s6, -1
	s_delay_alu instid0(VALU_DEP_2) | instskip(NEXT) | instid1(VALU_DEP_1)
	v_add3_u32 v3, v2, v3, 0x7fff
	v_lshrrev_b32_e32 v3, 16, v3
	s_delay_alu instid0(VALU_DEP_1)
	v_cndmask_b32_e32 v3, 0x7fc0, v3, vcc_lo
	global_store_b16 v[0:1], v3, off
.LBB256_1863:
	s_mov_b32 s3, 0
.LBB256_1864:
	s_delay_alu instid0(SALU_CYCLE_1)
	s_and_b32 vcc_lo, exec_lo, s3
	s_mov_b32 s3, 0
	s_cbranch_vccz .LBB256_1866
; %bb.1865:
	v_cmp_ne_u16_e64 s0, 11, v7
	s_mov_b32 s3, -1
.LBB256_1866:
	s_delay_alu instid0(VALU_DEP_1)
	s_and_b32 vcc_lo, exec_lo, s0
	s_cbranch_vccnz .LBB256_2053
; %bb.1867:
	s_and_not1_b32 vcc_lo, exec_lo, s3
	s_cbranch_vccnz .LBB256_1869
.LBB256_1868:
	v_cmp_neq_f32_e32 vcc_lo, 0, v2
	s_mov_b32 s6, -1
	v_cndmask_b32_e64 v3, 0, 1, vcc_lo
	global_store_b8 v[0:1], v3, off
.LBB256_1869:
	s_mov_b32 s3, 0
.LBB256_1870:
	s_delay_alu instid0(SALU_CYCLE_1)
	s_and_b32 vcc_lo, exec_lo, s3
	s_cbranch_vccz .LBB256_1909
; %bb.1871:
	v_cmp_gt_i16_e32 vcc_lo, 5, v7
	s_mov_b32 s0, -1
	s_cbranch_vccnz .LBB256_1892
; %bb.1872:
	v_cmp_gt_i16_e32 vcc_lo, 8, v7
	s_cbranch_vccnz .LBB256_1882
; %bb.1873:
	v_cmp_gt_i16_e32 vcc_lo, 9, v7
	s_cbranch_vccnz .LBB256_1879
; %bb.1874:
	v_cmp_lt_i16_e32 vcc_lo, 9, v7
	s_cbranch_vccz .LBB256_1876
; %bb.1875:
	v_cvt_f64_f32_e32 v[9:10], v2
	v_mov_b32_e32 v11, 0
	s_mov_b32 s0, 0
	s_delay_alu instid0(VALU_DEP_1)
	v_mov_b32_e32 v12, v11
	global_store_b128 v[0:1], v[9:12], off
.LBB256_1876:
	s_and_not1_b32 vcc_lo, exec_lo, s0
	s_cbranch_vccnz .LBB256_1878
; %bb.1877:
	v_mov_b32_e32 v3, 0
	global_store_b64 v[0:1], v[2:3], off
.LBB256_1878:
	s_mov_b32 s0, 0
.LBB256_1879:
	s_delay_alu instid0(SALU_CYCLE_1)
	s_and_not1_b32 vcc_lo, exec_lo, s0
	s_cbranch_vccnz .LBB256_1881
; %bb.1880:
	v_cvt_f16_f32_e32 v3, v2
	s_delay_alu instid0(VALU_DEP_1)
	v_and_b32_e32 v3, 0xffff, v3
	global_store_b32 v[0:1], v3, off
.LBB256_1881:
	s_mov_b32 s0, 0
.LBB256_1882:
	s_delay_alu instid0(SALU_CYCLE_1)
	s_and_not1_b32 vcc_lo, exec_lo, s0
	s_cbranch_vccnz .LBB256_1891
; %bb.1883:
	v_cmp_gt_i16_e32 vcc_lo, 6, v7
	s_mov_b32 s0, -1
	s_cbranch_vccnz .LBB256_1889
; %bb.1884:
	v_cmp_lt_i16_e32 vcc_lo, 6, v7
	s_cbranch_vccz .LBB256_1886
; %bb.1885:
	v_cvt_f64_f32_e32 v[5:6], v2
	s_mov_b32 s0, 0
	global_store_b64 v[0:1], v[5:6], off
.LBB256_1886:
	s_and_not1_b32 vcc_lo, exec_lo, s0
	s_cbranch_vccnz .LBB256_1888
; %bb.1887:
	global_store_b32 v[0:1], v2, off
.LBB256_1888:
	s_mov_b32 s0, 0
.LBB256_1889:
	s_delay_alu instid0(SALU_CYCLE_1)
	s_and_not1_b32 vcc_lo, exec_lo, s0
	s_cbranch_vccnz .LBB256_1891
; %bb.1890:
	v_cvt_f16_f32_e32 v3, v2
	global_store_b16 v[0:1], v3, off
.LBB256_1891:
	s_mov_b32 s0, 0
.LBB256_1892:
	s_delay_alu instid0(SALU_CYCLE_1)
	s_and_not1_b32 vcc_lo, exec_lo, s0
	s_cbranch_vccnz .LBB256_1908
; %bb.1893:
	v_cmp_gt_i16_e32 vcc_lo, 2, v7
	s_mov_b32 s0, -1
	s_cbranch_vccnz .LBB256_1903
; %bb.1894:
	v_cmp_gt_i16_e32 vcc_lo, 3, v7
	s_cbranch_vccnz .LBB256_1900
; %bb.1895:
	v_cmp_lt_i16_e32 vcc_lo, 3, v7
	s_cbranch_vccz .LBB256_1897
; %bb.1896:
	v_trunc_f32_e32 v3, v2
	s_mov_b32 s0, 0
	s_delay_alu instid0(VALU_DEP_1) | instskip(NEXT) | instid1(VALU_DEP_1)
	v_mul_f32_e64 v5, 0x2f800000, |v3|
	v_floor_f32_e32 v5, v5
	s_delay_alu instid0(VALU_DEP_1) | instskip(SKIP_2) | instid1(VALU_DEP_3)
	v_fma_f32 v6, 0xcf800000, v5, |v3|
	v_ashrrev_i32_e32 v3, 31, v3
	v_cvt_u32_f32_e32 v5, v5
	v_cvt_u32_f32_e32 v6, v6
	s_delay_alu instid0(VALU_DEP_2) | instskip(NEXT) | instid1(VALU_DEP_2)
	v_xor_b32_e32 v9, v5, v3
	v_xor_b32_e32 v6, v6, v3
	s_delay_alu instid0(VALU_DEP_1) | instskip(NEXT) | instid1(VALU_DEP_3)
	v_sub_co_u32 v5, vcc_lo, v6, v3
	v_sub_co_ci_u32_e32 v6, vcc_lo, v9, v3, vcc_lo
	global_store_b64 v[0:1], v[5:6], off
.LBB256_1897:
	s_and_not1_b32 vcc_lo, exec_lo, s0
	s_cbranch_vccnz .LBB256_1899
; %bb.1898:
	v_cvt_i32_f32_e32 v3, v2
	global_store_b32 v[0:1], v3, off
.LBB256_1899:
	s_mov_b32 s0, 0
.LBB256_1900:
	s_delay_alu instid0(SALU_CYCLE_1)
	s_and_not1_b32 vcc_lo, exec_lo, s0
	s_cbranch_vccnz .LBB256_1902
; %bb.1901:
	v_cvt_i32_f32_e32 v3, v2
	global_store_b16 v[0:1], v3, off
.LBB256_1902:
	s_mov_b32 s0, 0
.LBB256_1903:
	s_delay_alu instid0(SALU_CYCLE_1)
	s_and_not1_b32 vcc_lo, exec_lo, s0
	s_cbranch_vccnz .LBB256_1908
; %bb.1904:
	v_cmp_lt_i16_e32 vcc_lo, 0, v7
	s_mov_b32 s0, -1
	s_cbranch_vccz .LBB256_1906
; %bb.1905:
	v_cvt_i32_f32_e32 v3, v2
	s_mov_b32 s0, 0
	global_store_b8 v[0:1], v3, off
.LBB256_1906:
	s_and_not1_b32 vcc_lo, exec_lo, s0
	s_cbranch_vccnz .LBB256_1908
; %bb.1907:
	v_trunc_f32_e32 v2, v2
	s_delay_alu instid0(VALU_DEP_1) | instskip(NEXT) | instid1(VALU_DEP_1)
	v_mul_f32_e64 v3, 0x2f800000, |v2|
	v_floor_f32_e32 v3, v3
	s_delay_alu instid0(VALU_DEP_1) | instskip(SKIP_1) | instid1(VALU_DEP_2)
	v_fma_f32 v3, 0xcf800000, v3, |v2|
	v_ashrrev_i32_e32 v2, 31, v2
	v_cvt_u32_f32_e32 v3, v3
	s_delay_alu instid0(VALU_DEP_1) | instskip(NEXT) | instid1(VALU_DEP_1)
	v_xor_b32_e32 v3, v3, v2
	v_sub_nc_u32_e32 v2, v3, v2
	global_store_b8 v[0:1], v2, off
.LBB256_1908:
	s_mov_b32 s6, -1
.LBB256_1909:
	s_delay_alu instid0(SALU_CYCLE_1)
	s_and_not1_b32 vcc_lo, exec_lo, s6
	s_cbranch_vccnz .LBB256_1986
; %bb.1910:
	v_mul_f32_e32 v0, 0x4f800000, v8
	v_cmp_gt_f32_e32 vcc_lo, 0xf800000, v8
	s_mov_b32 s3, -1
	s_delay_alu instid0(VALU_DEP_2) | instskip(NEXT) | instid1(VALU_DEP_1)
	v_cndmask_b32_e32 v2, v8, v0, vcc_lo
	v_sqrt_f32_e32 v0, v2
	s_waitcnt_depctr 0xfff
	v_add_nc_u32_e32 v1, -1, v0
	v_add_nc_u32_e32 v3, 1, v0
	s_delay_alu instid0(VALU_DEP_2) | instskip(NEXT) | instid1(VALU_DEP_2)
	v_fma_f32 v5, -v1, v0, v2
	v_fma_f32 v6, -v3, v0, v2
	s_delay_alu instid0(VALU_DEP_2) | instskip(NEXT) | instid1(VALU_DEP_1)
	v_cmp_ge_f32_e64 s0, 0, v5
	v_cndmask_b32_e64 v0, v0, v1, s0
	s_delay_alu instid0(VALU_DEP_3) | instskip(SKIP_2) | instid1(VALU_DEP_2)
	v_cmp_lt_f32_e64 s0, 0, v6
	v_add_nc_u32_e32 v1, s2, v4
	s_mov_b32 s2, 0
	v_cndmask_b32_e64 v0, v0, v3, s0
	s_delay_alu instid0(VALU_DEP_2) | instskip(SKIP_1) | instid1(VALU_DEP_3)
	v_ashrrev_i32_e32 v4, 31, v1
	v_cmp_gt_i16_e64 s0, 11, v7
	v_mul_f32_e32 v3, 0x37800000, v0
	s_delay_alu instid0(VALU_DEP_1) | instskip(SKIP_3) | instid1(VALU_DEP_4)
	v_cndmask_b32_e32 v3, v0, v3, vcc_lo
	v_add_co_u32 v0, vcc_lo, s4, v1
	v_add_co_ci_u32_e32 v1, vcc_lo, s5, v4, vcc_lo
	v_cmp_class_f32_e64 vcc_lo, v2, 0x260
	v_cndmask_b32_e32 v2, v3, v2, vcc_lo
	s_and_b32 vcc_lo, exec_lo, s0
	s_cbranch_vccnz .LBB256_1987
; %bb.1911:
	v_cmp_lt_i16_e32 vcc_lo, 25, v7
	s_mov_b32 s0, 0
	s_cbranch_vccz .LBB256_1944
; %bb.1912:
	v_cmp_lt_i16_e32 vcc_lo, 28, v7
	s_cbranch_vccz .LBB256_1928
; %bb.1913:
	v_cmp_lt_i16_e32 vcc_lo, 43, v7
	;; [unrolled: 3-line block ×3, first 2 shown]
	s_cbranch_vccz .LBB256_1918
; %bb.1915:
	v_cmp_eq_u16_e32 vcc_lo, 46, v7
	s_mov_b32 s0, -1
	s_cbranch_vccz .LBB256_1917
; %bb.1916:
	v_bfe_u32 v3, v2, 16, 1
	v_cmp_o_f32_e32 vcc_lo, v2, v2
	s_mov_b32 s0, 0
	s_delay_alu instid0(VALU_DEP_2) | instskip(NEXT) | instid1(VALU_DEP_1)
	v_add3_u32 v3, v2, v3, 0x7fff
	v_lshrrev_b32_e32 v3, 16, v3
	s_delay_alu instid0(VALU_DEP_1)
	v_cndmask_b32_e32 v3, 0x7fc0, v3, vcc_lo
	global_store_b32 v[0:1], v3, off
.LBB256_1917:
	s_mov_b32 s3, 0
.LBB256_1918:
	s_delay_alu instid0(SALU_CYCLE_1)
	s_and_b32 vcc_lo, exec_lo, s3
	s_cbranch_vccz .LBB256_1923
; %bb.1919:
	v_cmp_eq_u16_e32 vcc_lo, 44, v7
	s_mov_b32 s0, -1
	s_cbranch_vccz .LBB256_1923
; %bb.1920:
	v_bfe_u32 v4, v2, 23, 8
	v_mov_b32_e32 v3, 0xff
	s_mov_b32 s3, exec_lo
	s_delay_alu instid0(VALU_DEP_2)
	v_cmpx_ne_u32_e32 0xff, v4
; %bb.1921:
	v_and_b32_e32 v3, 0x400000, v2
	v_and_or_b32 v4, 0x3fffff, v2, v4
	s_delay_alu instid0(VALU_DEP_2) | instskip(NEXT) | instid1(VALU_DEP_2)
	v_cmp_ne_u32_e32 vcc_lo, 0, v3
	v_cmp_ne_u32_e64 s0, 0, v4
	v_lshrrev_b32_e32 v3, 23, v2
	s_delay_alu instid0(VALU_DEP_2) | instskip(NEXT) | instid1(SALU_CYCLE_1)
	s_and_b32 s0, vcc_lo, s0
	v_cndmask_b32_e64 v4, 0, 1, s0
	s_delay_alu instid0(VALU_DEP_1)
	v_add_nc_u32_e32 v3, v3, v4
; %bb.1922:
	s_or_b32 exec_lo, exec_lo, s3
	s_mov_b32 s0, 0
	global_store_b8 v[0:1], v3, off
.LBB256_1923:
	s_mov_b32 s3, 0
.LBB256_1924:
	s_delay_alu instid0(SALU_CYCLE_1)
	s_and_b32 vcc_lo, exec_lo, s3
	s_cbranch_vccz .LBB256_1927
; %bb.1925:
	v_cmp_eq_u16_e32 vcc_lo, 29, v7
	s_mov_b32 s0, -1
	s_cbranch_vccz .LBB256_1927
; %bb.1926:
	v_trunc_f32_e32 v3, v2
	s_mov_b32 s0, 0
	s_delay_alu instid0(VALU_DEP_1) | instskip(NEXT) | instid1(VALU_DEP_1)
	v_mul_f32_e32 v4, 0x2f800000, v3
	v_floor_f32_e32 v4, v4
	s_delay_alu instid0(VALU_DEP_1) | instskip(SKIP_1) | instid1(VALU_DEP_2)
	v_fmamk_f32 v3, v4, 0xcf800000, v3
	v_cvt_u32_f32_e32 v4, v4
	v_cvt_u32_f32_e32 v3, v3
	global_store_b64 v[0:1], v[3:4], off
.LBB256_1927:
	s_mov_b32 s3, 0
.LBB256_1928:
	s_delay_alu instid0(SALU_CYCLE_1)
	s_and_b32 vcc_lo, exec_lo, s3
	s_cbranch_vccz .LBB256_1943
; %bb.1929:
	v_cmp_gt_i16_e32 vcc_lo, 27, v7
	s_mov_b32 s3, -1
	s_cbranch_vccnz .LBB256_1935
; %bb.1930:
	v_cmp_lt_i16_e32 vcc_lo, 27, v7
	v_cvt_u32_f32_e32 v3, v2
	s_cbranch_vccz .LBB256_1932
; %bb.1931:
	s_mov_b32 s3, 0
	global_store_b32 v[0:1], v3, off
.LBB256_1932:
	s_and_not1_b32 vcc_lo, exec_lo, s3
	s_cbranch_vccnz .LBB256_1934
; %bb.1933:
	global_store_b16 v[0:1], v3, off
.LBB256_1934:
	s_mov_b32 s3, 0
.LBB256_1935:
	s_delay_alu instid0(SALU_CYCLE_1)
	s_and_not1_b32 vcc_lo, exec_lo, s3
	s_cbranch_vccnz .LBB256_1943
; %bb.1936:
	v_and_b32_e32 v3, 0x7fffffff, v2
	v_mov_b32_e32 v4, 0x80
	s_mov_b32 s3, exec_lo
	s_delay_alu instid0(VALU_DEP_2)
	v_cmpx_gt_u32_e32 0x43800000, v3
	s_cbranch_execz .LBB256_1942
; %bb.1937:
	v_cmp_lt_u32_e32 vcc_lo, 0x3bffffff, v3
	s_mov_b32 s4, 0
                                        ; implicit-def: $vgpr3
	s_and_saveexec_b32 s5, vcc_lo
	s_delay_alu instid0(SALU_CYCLE_1)
	s_xor_b32 s5, exec_lo, s5
	s_cbranch_execz .LBB256_2057
; %bb.1938:
	v_bfe_u32 v3, v2, 20, 1
	s_mov_b32 s4, exec_lo
	s_delay_alu instid0(VALU_DEP_1) | instskip(NEXT) | instid1(VALU_DEP_1)
	v_add3_u32 v3, v2, v3, 0x487ffff
	v_lshrrev_b32_e32 v3, 20, v3
	s_or_saveexec_b32 s5, s5
                                        ; implicit-def: $sgpr6
	s_delay_alu instid0(SALU_CYCLE_1)
	s_xor_b32 exec_lo, exec_lo, s5
	s_cbranch_execnz .LBB256_2058
.LBB256_1939:
	s_or_b32 exec_lo, exec_lo, s5
	v_mov_b32_e32 v4, s6
	s_and_saveexec_b32 s5, s4
.LBB256_1940:
	v_lshrrev_b32_e32 v4, 24, v2
	s_delay_alu instid0(VALU_DEP_1)
	v_and_or_b32 v4, 0x80, v4, v3
.LBB256_1941:
	s_or_b32 exec_lo, exec_lo, s5
.LBB256_1942:
	s_delay_alu instid0(SALU_CYCLE_1)
	s_or_b32 exec_lo, exec_lo, s3
	global_store_b8 v[0:1], v4, off
.LBB256_1943:
	s_mov_b32 s3, 0
.LBB256_1944:
	s_delay_alu instid0(SALU_CYCLE_1)
	s_and_b32 vcc_lo, exec_lo, s3
	s_cbranch_vccz .LBB256_1984
; %bb.1945:
	v_cmp_lt_i16_e32 vcc_lo, 22, v7
	s_mov_b32 s2, -1
	s_cbranch_vccz .LBB256_1977
; %bb.1946:
	v_cmp_gt_i16_e32 vcc_lo, 24, v7
	s_cbranch_vccnz .LBB256_1966
; %bb.1947:
	v_cmp_lt_i16_e32 vcc_lo, 24, v7
	s_cbranch_vccz .LBB256_1955
; %bb.1948:
	v_and_b32_e32 v3, 0x7fffffff, v2
	v_mov_b32_e32 v4, 0x80
	s_mov_b32 s2, exec_lo
	s_delay_alu instid0(VALU_DEP_2)
	v_cmpx_gt_u32_e32 0x47800000, v3
	s_cbranch_execz .LBB256_1954
; %bb.1949:
	v_cmp_lt_u32_e32 vcc_lo, 0x37ffffff, v3
	s_mov_b32 s3, 0
                                        ; implicit-def: $vgpr3
	s_and_saveexec_b32 s4, vcc_lo
	s_delay_alu instid0(SALU_CYCLE_1)
	s_xor_b32 s4, exec_lo, s4
	s_cbranch_execz .LBB256_2063
; %bb.1950:
	v_bfe_u32 v3, v2, 21, 1
	s_mov_b32 s3, exec_lo
	s_delay_alu instid0(VALU_DEP_1) | instskip(NEXT) | instid1(VALU_DEP_1)
	v_add3_u32 v3, v2, v3, 0x88fffff
	v_lshrrev_b32_e32 v3, 21, v3
	s_or_saveexec_b32 s4, s4
                                        ; implicit-def: $sgpr5
	s_delay_alu instid0(SALU_CYCLE_1)
	s_xor_b32 exec_lo, exec_lo, s4
	s_cbranch_execnz .LBB256_2064
.LBB256_1951:
	s_or_b32 exec_lo, exec_lo, s4
	v_mov_b32_e32 v4, s5
	s_and_saveexec_b32 s4, s3
.LBB256_1952:
	v_lshrrev_b32_e32 v4, 24, v2
	s_delay_alu instid0(VALU_DEP_1)
	v_and_or_b32 v4, 0x80, v4, v3
.LBB256_1953:
	s_or_b32 exec_lo, exec_lo, s4
.LBB256_1954:
	s_delay_alu instid0(SALU_CYCLE_1)
	s_or_b32 exec_lo, exec_lo, s2
	s_mov_b32 s2, 0
	global_store_b8 v[0:1], v4, off
.LBB256_1955:
	s_and_b32 vcc_lo, exec_lo, s2
	s_cbranch_vccz .LBB256_1965
; %bb.1956:
	v_and_b32_e32 v4, 0x7fffffff, v2
	s_mov_b32 s2, exec_lo
                                        ; implicit-def: $vgpr3
	s_delay_alu instid0(VALU_DEP_1)
	v_cmpx_gt_u32_e32 0x43f00000, v4
	s_xor_b32 s2, exec_lo, s2
	s_cbranch_execz .LBB256_1962
; %bb.1957:
	s_mov_b32 s3, exec_lo
                                        ; implicit-def: $vgpr3
	v_cmpx_lt_u32_e32 0x3c7fffff, v4
	s_xor_b32 s3, exec_lo, s3
; %bb.1958:
	v_bfe_u32 v3, v2, 20, 1
	s_delay_alu instid0(VALU_DEP_1) | instskip(NEXT) | instid1(VALU_DEP_1)
	v_add3_u32 v3, v2, v3, 0x407ffff
	v_and_b32_e32 v4, 0xff00000, v3
	v_lshrrev_b32_e32 v3, 20, v3
	s_delay_alu instid0(VALU_DEP_2) | instskip(NEXT) | instid1(VALU_DEP_2)
	v_cmp_ne_u32_e32 vcc_lo, 0x7f00000, v4
	v_cndmask_b32_e32 v3, 0x7e, v3, vcc_lo
; %bb.1959:
	s_and_not1_saveexec_b32 s3, s3
; %bb.1960:
	v_add_f32_e64 v3, 0x46800000, |v2|
; %bb.1961:
	s_or_b32 exec_lo, exec_lo, s3
                                        ; implicit-def: $vgpr4
.LBB256_1962:
	s_and_not1_saveexec_b32 s2, s2
; %bb.1963:
	v_mov_b32_e32 v3, 0x7f
	v_cmp_lt_u32_e32 vcc_lo, 0x7f800000, v4
	s_delay_alu instid0(VALU_DEP_2)
	v_cndmask_b32_e32 v3, 0x7e, v3, vcc_lo
; %bb.1964:
	s_or_b32 exec_lo, exec_lo, s2
	v_lshrrev_b32_e32 v4, 24, v2
	s_delay_alu instid0(VALU_DEP_1)
	v_and_or_b32 v3, 0x80, v4, v3
	global_store_b8 v[0:1], v3, off
.LBB256_1965:
	s_mov_b32 s2, 0
.LBB256_1966:
	s_delay_alu instid0(SALU_CYCLE_1)
	s_and_not1_b32 vcc_lo, exec_lo, s2
	s_cbranch_vccnz .LBB256_1976
; %bb.1967:
	v_and_b32_e32 v4, 0x7fffffff, v2
	s_mov_b32 s2, exec_lo
                                        ; implicit-def: $vgpr3
	s_delay_alu instid0(VALU_DEP_1)
	v_cmpx_gt_u32_e32 0x47800000, v4
	s_xor_b32 s2, exec_lo, s2
	s_cbranch_execz .LBB256_1973
; %bb.1968:
	s_mov_b32 s3, exec_lo
                                        ; implicit-def: $vgpr3
	v_cmpx_lt_u32_e32 0x387fffff, v4
	s_xor_b32 s3, exec_lo, s3
; %bb.1969:
	v_bfe_u32 v3, v2, 21, 1
	s_delay_alu instid0(VALU_DEP_1) | instskip(NEXT) | instid1(VALU_DEP_1)
	v_add3_u32 v3, v2, v3, 0x80fffff
	v_lshrrev_b32_e32 v3, 21, v3
; %bb.1970:
	s_and_not1_saveexec_b32 s3, s3
; %bb.1971:
	v_add_f32_e64 v3, 0x43000000, |v2|
; %bb.1972:
	s_or_b32 exec_lo, exec_lo, s3
                                        ; implicit-def: $vgpr4
.LBB256_1973:
	s_and_not1_saveexec_b32 s2, s2
; %bb.1974:
	v_mov_b32_e32 v3, 0x7f
	v_cmp_lt_u32_e32 vcc_lo, 0x7f800000, v4
	s_delay_alu instid0(VALU_DEP_2)
	v_cndmask_b32_e32 v3, 0x7c, v3, vcc_lo
; %bb.1975:
	s_or_b32 exec_lo, exec_lo, s2
	v_lshrrev_b32_e32 v4, 24, v2
	s_delay_alu instid0(VALU_DEP_1)
	v_and_or_b32 v3, 0x80, v4, v3
	global_store_b8 v[0:1], v3, off
.LBB256_1976:
	s_mov_b32 s2, 0
.LBB256_1977:
	s_delay_alu instid0(SALU_CYCLE_1)
	s_and_not1_b32 vcc_lo, exec_lo, s2
	s_mov_b32 s2, 0
	s_cbranch_vccnz .LBB256_1984
; %bb.1978:
	v_cmp_lt_i16_e32 vcc_lo, 14, v7
	s_mov_b32 s2, -1
	s_cbranch_vccz .LBB256_1982
; %bb.1979:
	v_cmp_eq_u16_e32 vcc_lo, 15, v7
	s_mov_b32 s0, -1
	s_cbranch_vccz .LBB256_1981
; %bb.1980:
	v_bfe_u32 v3, v2, 16, 1
	v_cmp_o_f32_e32 vcc_lo, v2, v2
	s_mov_b32 s0, 0
	s_delay_alu instid0(VALU_DEP_2) | instskip(NEXT) | instid1(VALU_DEP_1)
	v_add3_u32 v3, v2, v3, 0x7fff
	v_lshrrev_b32_e32 v3, 16, v3
	s_delay_alu instid0(VALU_DEP_1)
	v_cndmask_b32_e32 v3, 0x7fc0, v3, vcc_lo
	global_store_b16 v[0:1], v3, off
.LBB256_1981:
	s_mov_b32 s2, 0
.LBB256_1982:
	s_delay_alu instid0(SALU_CYCLE_1)
	s_and_b32 vcc_lo, exec_lo, s2
	s_mov_b32 s2, 0
	s_cbranch_vccz .LBB256_1984
; %bb.1983:
	v_cmp_ne_u16_e64 s0, 11, v7
	s_mov_b32 s2, -1
.LBB256_1984:
	s_delay_alu instid0(VALU_DEP_1)
	s_and_b32 vcc_lo, exec_lo, s0
	s_cbranch_vccnz .LBB256_2061
.LBB256_1985:
	s_mov_b32 s3, 0
	s_branch .LBB256_1987
.LBB256_1986:
	s_mov_b32 s3, 0
	s_mov_b32 s2, 0
                                        ; implicit-def: $vgpr7
                                        ; implicit-def: $vgpr0_vgpr1
                                        ; implicit-def: $vgpr2
.LBB256_1987:
	s_and_b32 s0, s3, exec_lo
	s_and_not1_b32 s3, s9, exec_lo
	s_and_b32 s4, s1, exec_lo
	s_and_b32 s1, s2, exec_lo
	s_or_b32 s9, s3, s4
.LBB256_1988:
	s_or_b32 exec_lo, exec_lo, s8
	s_and_saveexec_b32 s2, s9
	s_cbranch_execz .LBB256_1991
; %bb.1989:
	; divergent unreachable
	s_or_b32 exec_lo, exec_lo, s2
	s_and_saveexec_b32 s2, s1
	s_delay_alu instid0(SALU_CYCLE_1)
	s_xor_b32 s1, exec_lo, s2
	s_cbranch_execnz .LBB256_1992
.LBB256_1990:
	s_or_b32 exec_lo, exec_lo, s1
	s_and_saveexec_b32 s1, s0
	s_cbranch_execnz .LBB256_1993
	s_branch .LBB256_2030
.LBB256_1991:
	s_or_b32 exec_lo, exec_lo, s2
	s_and_saveexec_b32 s2, s1
	s_delay_alu instid0(SALU_CYCLE_1)
	s_xor_b32 s1, exec_lo, s2
	s_cbranch_execz .LBB256_1990
.LBB256_1992:
	s_waitcnt vmcnt(0)
	v_cmp_neq_f32_e32 vcc_lo, 0, v2
	v_cndmask_b32_e64 v3, 0, 1, vcc_lo
	global_store_b8 v[0:1], v3, off
	s_or_b32 exec_lo, exec_lo, s1
	s_and_saveexec_b32 s1, s0
	s_cbranch_execz .LBB256_2030
.LBB256_1993:
	v_cmp_gt_i16_e32 vcc_lo, 5, v7
	s_mov_b32 s0, -1
	s_cbranch_vccnz .LBB256_2014
; %bb.1994:
	v_cmp_gt_i16_e32 vcc_lo, 8, v7
	s_cbranch_vccnz .LBB256_2004
; %bb.1995:
	v_cmp_gt_i16_e32 vcc_lo, 9, v7
	s_cbranch_vccnz .LBB256_2001
; %bb.1996:
	v_cmp_lt_i16_e32 vcc_lo, 9, v7
	s_cbranch_vccz .LBB256_1998
; %bb.1997:
	s_waitcnt vmcnt(0)
	v_cvt_f64_f32_e32 v[3:4], v2
	v_mov_b32_e32 v5, 0
	s_mov_b32 s0, 0
	s_delay_alu instid0(VALU_DEP_1)
	v_mov_b32_e32 v6, v5
	global_store_b128 v[0:1], v[3:6], off
.LBB256_1998:
	s_and_not1_b32 vcc_lo, exec_lo, s0
	s_cbranch_vccnz .LBB256_2000
; %bb.1999:
	s_waitcnt vmcnt(0)
	v_mov_b32_e32 v3, 0
	global_store_b64 v[0:1], v[2:3], off
.LBB256_2000:
	s_mov_b32 s0, 0
.LBB256_2001:
	s_delay_alu instid0(SALU_CYCLE_1)
	s_and_not1_b32 vcc_lo, exec_lo, s0
	s_cbranch_vccnz .LBB256_2003
; %bb.2002:
	s_waitcnt vmcnt(0)
	v_cvt_f16_f32_e32 v3, v2
	s_delay_alu instid0(VALU_DEP_1)
	v_and_b32_e32 v3, 0xffff, v3
	global_store_b32 v[0:1], v3, off
.LBB256_2003:
	s_mov_b32 s0, 0
.LBB256_2004:
	s_delay_alu instid0(SALU_CYCLE_1)
	s_and_not1_b32 vcc_lo, exec_lo, s0
	s_cbranch_vccnz .LBB256_2013
; %bb.2005:
	v_cmp_gt_i16_e32 vcc_lo, 6, v7
	s_mov_b32 s0, -1
	s_cbranch_vccnz .LBB256_2011
; %bb.2006:
	v_cmp_lt_i16_e32 vcc_lo, 6, v7
	s_cbranch_vccz .LBB256_2008
; %bb.2007:
	s_waitcnt vmcnt(0)
	v_cvt_f64_f32_e32 v[3:4], v2
	s_mov_b32 s0, 0
	global_store_b64 v[0:1], v[3:4], off
.LBB256_2008:
	s_and_not1_b32 vcc_lo, exec_lo, s0
	s_cbranch_vccnz .LBB256_2010
; %bb.2009:
	s_waitcnt vmcnt(0)
	global_store_b32 v[0:1], v2, off
.LBB256_2010:
	s_mov_b32 s0, 0
.LBB256_2011:
	s_delay_alu instid0(SALU_CYCLE_1)
	s_and_not1_b32 vcc_lo, exec_lo, s0
	s_cbranch_vccnz .LBB256_2013
; %bb.2012:
	s_waitcnt vmcnt(0)
	v_cvt_f16_f32_e32 v3, v2
	global_store_b16 v[0:1], v3, off
.LBB256_2013:
	s_mov_b32 s0, 0
.LBB256_2014:
	s_delay_alu instid0(SALU_CYCLE_1)
	s_and_not1_b32 vcc_lo, exec_lo, s0
	s_cbranch_vccnz .LBB256_2030
; %bb.2015:
	v_cmp_gt_i16_e32 vcc_lo, 2, v7
	s_mov_b32 s0, -1
	s_cbranch_vccnz .LBB256_2025
; %bb.2016:
	v_cmp_gt_i16_e32 vcc_lo, 3, v7
	s_cbranch_vccnz .LBB256_2022
; %bb.2017:
	v_cmp_lt_i16_e32 vcc_lo, 3, v7
	s_cbranch_vccz .LBB256_2019
; %bb.2018:
	s_waitcnt vmcnt(0)
	v_trunc_f32_e32 v3, v2
	s_mov_b32 s0, 0
	s_delay_alu instid0(VALU_DEP_1) | instskip(SKIP_1) | instid1(VALU_DEP_2)
	v_mul_f32_e64 v4, 0x2f800000, |v3|
	v_ashrrev_i32_e32 v6, 31, v3
	v_floor_f32_e32 v4, v4
	s_delay_alu instid0(VALU_DEP_1) | instskip(SKIP_1) | instid1(VALU_DEP_2)
	v_fma_f32 v5, 0xcf800000, v4, |v3|
	v_cvt_u32_f32_e32 v4, v4
	v_cvt_u32_f32_e32 v3, v5
	s_delay_alu instid0(VALU_DEP_2) | instskip(NEXT) | instid1(VALU_DEP_2)
	v_xor_b32_e32 v4, v4, v6
	v_xor_b32_e32 v3, v3, v6
	s_delay_alu instid0(VALU_DEP_1) | instskip(NEXT) | instid1(VALU_DEP_3)
	v_sub_co_u32 v3, vcc_lo, v3, v6
	v_sub_co_ci_u32_e32 v4, vcc_lo, v4, v6, vcc_lo
	global_store_b64 v[0:1], v[3:4], off
.LBB256_2019:
	s_and_not1_b32 vcc_lo, exec_lo, s0
	s_cbranch_vccnz .LBB256_2021
; %bb.2020:
	s_waitcnt vmcnt(0)
	v_cvt_i32_f32_e32 v3, v2
	global_store_b32 v[0:1], v3, off
.LBB256_2021:
	s_mov_b32 s0, 0
.LBB256_2022:
	s_delay_alu instid0(SALU_CYCLE_1)
	s_and_not1_b32 vcc_lo, exec_lo, s0
	s_cbranch_vccnz .LBB256_2024
; %bb.2023:
	s_waitcnt vmcnt(0)
	v_cvt_i32_f32_e32 v3, v2
	global_store_b16 v[0:1], v3, off
.LBB256_2024:
	s_mov_b32 s0, 0
.LBB256_2025:
	s_delay_alu instid0(SALU_CYCLE_1)
	s_and_not1_b32 vcc_lo, exec_lo, s0
	s_cbranch_vccnz .LBB256_2030
; %bb.2026:
	v_cmp_lt_i16_e32 vcc_lo, 0, v7
	s_mov_b32 s0, -1
	s_cbranch_vccz .LBB256_2028
; %bb.2027:
	s_waitcnt vmcnt(0)
	v_cvt_i32_f32_e32 v3, v2
	s_mov_b32 s0, 0
	global_store_b8 v[0:1], v3, off
.LBB256_2028:
	s_and_not1_b32 vcc_lo, exec_lo, s0
	s_cbranch_vccnz .LBB256_2030
; %bb.2029:
	s_waitcnt vmcnt(0)
	v_trunc_f32_e32 v2, v2
	s_delay_alu instid0(VALU_DEP_1) | instskip(NEXT) | instid1(VALU_DEP_1)
	v_mul_f32_e64 v3, 0x2f800000, |v2|
	v_floor_f32_e32 v3, v3
	s_delay_alu instid0(VALU_DEP_1) | instskip(SKIP_1) | instid1(VALU_DEP_2)
	v_fma_f32 v3, 0xcf800000, v3, |v2|
	v_ashrrev_i32_e32 v2, 31, v2
	v_cvt_u32_f32_e32 v3, v3
	s_delay_alu instid0(VALU_DEP_1) | instskip(NEXT) | instid1(VALU_DEP_1)
	v_xor_b32_e32 v3, v3, v2
	v_sub_nc_u32_e32 v2, v3, v2
	global_store_b8 v[0:1], v2, off
	s_nop 0
	s_sendmsg sendmsg(MSG_DEALLOC_VGPRS)
	s_endpgm
.LBB256_2030:
	s_nop 0
	s_sendmsg sendmsg(MSG_DEALLOC_VGPRS)
	s_endpgm
.LBB256_2031:
	s_cbranch_execnz .LBB256_2035
; %bb.2032:
	s_or_b32 s1, s1, exec_lo
                                        ; implicit-def: $vgpr8
	s_cbranch_execz .LBB256_1504
	s_branch .LBB256_1505
.LBB256_2033:
	s_or_saveexec_b32 s10, s10
                                        ; implicit-def: $sgpr11
	s_delay_alu instid0(SALU_CYCLE_1)
	s_xor_b32 exec_lo, exec_lo, s10
	s_cbranch_execz .LBB256_1584
.LBB256_2034:
	v_add_f32_e64 v3, 0x46000000, |v2|
	s_and_not1_b32 s7, s7, exec_lo
	s_mov_b32 s11, 0
	s_delay_alu instid0(VALU_DEP_1) | instskip(NEXT) | instid1(VALU_DEP_1)
	v_and_b32_e32 v3, 0xff, v3
	v_cmp_ne_u32_e32 vcc_lo, 0, v3
	s_and_b32 s12, vcc_lo, exec_lo
	s_delay_alu instid0(SALU_CYCLE_1)
	s_or_b32 s7, s7, s12
	s_or_b32 exec_lo, exec_lo, s10
	v_mov_b32_e32 v4, s11
	s_and_saveexec_b32 s10, s7
	s_cbranch_execnz .LBB256_1585
	s_branch .LBB256_1586
.LBB256_2035:
	s_trap 2
	s_sendmsg_rtn_b32 s0, sendmsg(MSG_RTN_GET_DOORBELL)
	s_mov_b32 ttmp2, m0
	s_waitcnt lgkmcnt(0)
	s_and_b32 s0, s0, 0x3ff
	s_delay_alu instid0(SALU_CYCLE_1) | instskip(NEXT) | instid1(SALU_CYCLE_1)
	s_bitset1_b32 s0, 10
	s_mov_b32 m0, s0
	s_sendmsg sendmsg(MSG_INTERRUPT)
	s_mov_b32 m0, ttmp2
.LBB256_2036:                           ; =>This Inner Loop Header: Depth=1
	s_sethalt 5
	s_branch .LBB256_2036
.LBB256_2037:
	s_cbranch_execnz .LBB256_2043
; %bb.2038:
	s_or_b32 s1, s1, exec_lo
	s_cbranch_execz .LBB256_1632
	s_branch .LBB256_1633
.LBB256_2039:
	s_or_saveexec_b32 s7, s7
                                        ; implicit-def: $sgpr10
	s_delay_alu instid0(SALU_CYCLE_1)
	s_xor_b32 exec_lo, exec_lo, s7
	s_cbranch_execz .LBB256_1597
.LBB256_2040:
	v_add_f32_e64 v3, 0x42800000, |v2|
	s_and_not1_b32 s6, s6, exec_lo
	s_mov_b32 s10, 0
	s_delay_alu instid0(VALU_DEP_1) | instskip(NEXT) | instid1(VALU_DEP_1)
	v_and_b32_e32 v3, 0xff, v3
	v_cmp_ne_u32_e32 vcc_lo, 0, v3
	s_and_b32 s11, vcc_lo, exec_lo
	s_delay_alu instid0(SALU_CYCLE_1)
	s_or_b32 s6, s6, s11
	s_or_b32 exec_lo, exec_lo, s7
	v_mov_b32_e32 v4, s10
	s_and_saveexec_b32 s7, s6
	s_cbranch_execnz .LBB256_1598
	s_branch .LBB256_1599
.LBB256_2041:
	s_or_saveexec_b32 s10, s10
                                        ; implicit-def: $sgpr11
	s_delay_alu instid0(SALU_CYCLE_1)
	s_xor_b32 exec_lo, exec_lo, s10
	s_cbranch_execz .LBB256_1702
.LBB256_2042:
	v_add_f32_e64 v3, 0x46000000, |v2|
	s_and_not1_b32 s7, s7, exec_lo
	s_mov_b32 s11, 0
	s_delay_alu instid0(VALU_DEP_1) | instskip(NEXT) | instid1(VALU_DEP_1)
	v_and_b32_e32 v3, 0xff, v3
	v_cmp_ne_u32_e32 vcc_lo, 0, v3
	s_and_b32 s12, vcc_lo, exec_lo
	s_delay_alu instid0(SALU_CYCLE_1)
	s_or_b32 s7, s7, s12
	s_or_b32 exec_lo, exec_lo, s10
	v_mov_b32_e32 v5, s11
	s_and_saveexec_b32 s10, s7
	s_cbranch_execnz .LBB256_1703
	s_branch .LBB256_1704
.LBB256_2043:
	s_trap 2
	s_sendmsg_rtn_b32 s0, sendmsg(MSG_RTN_GET_DOORBELL)
	s_mov_b32 ttmp2, m0
	s_waitcnt lgkmcnt(0)
	s_and_b32 s0, s0, 0x3ff
	s_delay_alu instid0(SALU_CYCLE_1) | instskip(NEXT) | instid1(SALU_CYCLE_1)
	s_bitset1_b32 s0, 10
	s_mov_b32 m0, s0
	s_sendmsg sendmsg(MSG_INTERRUPT)
	s_mov_b32 m0, ttmp2
.LBB256_2044:                           ; =>This Inner Loop Header: Depth=1
	s_sethalt 5
	s_branch .LBB256_2044
.LBB256_2045:
	s_cbranch_execnz .LBB256_2051
; %bb.2046:
	s_or_b32 s1, s1, exec_lo
	s_cbranch_execz .LBB256_1750
	s_branch .LBB256_1751
.LBB256_2047:
	s_or_saveexec_b32 s7, s7
                                        ; implicit-def: $sgpr10
	s_delay_alu instid0(SALU_CYCLE_1)
	s_xor_b32 exec_lo, exec_lo, s7
	s_cbranch_execz .LBB256_1715
.LBB256_2048:
	v_add_f32_e64 v3, 0x42800000, |v2|
	s_and_not1_b32 s6, s6, exec_lo
	s_mov_b32 s10, 0
	s_delay_alu instid0(VALU_DEP_1) | instskip(NEXT) | instid1(VALU_DEP_1)
	v_and_b32_e32 v3, 0xff, v3
	v_cmp_ne_u32_e32 vcc_lo, 0, v3
	s_and_b32 s11, vcc_lo, exec_lo
	s_delay_alu instid0(SALU_CYCLE_1)
	s_or_b32 s6, s6, s11
	s_or_b32 exec_lo, exec_lo, s7
	v_mov_b32_e32 v5, s10
	s_and_saveexec_b32 s7, s6
	s_cbranch_execnz .LBB256_1716
	s_branch .LBB256_1717
.LBB256_2049:
	s_or_saveexec_b32 s10, s10
                                        ; implicit-def: $sgpr11
	s_delay_alu instid0(SALU_CYCLE_1)
	s_xor_b32 exec_lo, exec_lo, s10
	s_cbranch_execz .LBB256_1820
.LBB256_2050:
	v_add_f32_e64 v3, 0x46000000, |v2|
	s_and_not1_b32 s7, s7, exec_lo
	s_mov_b32 s11, 0
	s_delay_alu instid0(VALU_DEP_1) | instskip(NEXT) | instid1(VALU_DEP_1)
	v_and_b32_e32 v3, 0xff, v3
	v_cmp_ne_u32_e32 vcc_lo, 0, v3
	s_and_b32 s12, vcc_lo, exec_lo
	s_delay_alu instid0(SALU_CYCLE_1)
	s_or_b32 s7, s7, s12
	s_or_b32 exec_lo, exec_lo, s10
	v_mov_b32_e32 v5, s11
	s_and_saveexec_b32 s10, s7
	s_cbranch_execnz .LBB256_1821
	s_branch .LBB256_1822
.LBB256_2051:
	s_trap 2
	s_sendmsg_rtn_b32 s0, sendmsg(MSG_RTN_GET_DOORBELL)
	s_mov_b32 ttmp2, m0
	s_waitcnt lgkmcnt(0)
	s_and_b32 s0, s0, 0x3ff
	s_delay_alu instid0(SALU_CYCLE_1) | instskip(NEXT) | instid1(SALU_CYCLE_1)
	s_bitset1_b32 s0, 10
	s_mov_b32 m0, s0
	s_sendmsg sendmsg(MSG_INTERRUPT)
	s_mov_b32 m0, ttmp2
.LBB256_2052:                           ; =>This Inner Loop Header: Depth=1
	s_sethalt 5
	s_branch .LBB256_2052
.LBB256_2053:
	s_cbranch_execnz .LBB256_2059
; %bb.2054:
	s_or_b32 s1, s1, exec_lo
	s_cbranch_execz .LBB256_1868
	s_branch .LBB256_1869
.LBB256_2055:
	s_or_saveexec_b32 s7, s7
                                        ; implicit-def: $sgpr10
	s_delay_alu instid0(SALU_CYCLE_1)
	s_xor_b32 exec_lo, exec_lo, s7
	s_cbranch_execz .LBB256_1833
.LBB256_2056:
	v_add_f32_e64 v3, 0x42800000, |v2|
	s_and_not1_b32 s6, s6, exec_lo
	s_mov_b32 s10, 0
	s_delay_alu instid0(VALU_DEP_1) | instskip(NEXT) | instid1(VALU_DEP_1)
	v_and_b32_e32 v3, 0xff, v3
	v_cmp_ne_u32_e32 vcc_lo, 0, v3
	s_and_b32 s11, vcc_lo, exec_lo
	s_delay_alu instid0(SALU_CYCLE_1)
	s_or_b32 s6, s6, s11
	s_or_b32 exec_lo, exec_lo, s7
	v_mov_b32_e32 v5, s10
	s_and_saveexec_b32 s7, s6
	s_cbranch_execnz .LBB256_1834
	s_branch .LBB256_1835
.LBB256_2057:
	s_or_saveexec_b32 s5, s5
                                        ; implicit-def: $sgpr6
	s_delay_alu instid0(SALU_CYCLE_1)
	s_xor_b32 exec_lo, exec_lo, s5
	s_cbranch_execz .LBB256_1939
.LBB256_2058:
	v_add_f32_e64 v3, 0x46000000, |v2|
	s_and_not1_b32 s4, s4, exec_lo
	s_mov_b32 s6, 0
	s_delay_alu instid0(VALU_DEP_1) | instskip(NEXT) | instid1(VALU_DEP_1)
	v_and_b32_e32 v3, 0xff, v3
	v_cmp_ne_u32_e32 vcc_lo, 0, v3
	s_and_b32 s7, vcc_lo, exec_lo
	s_delay_alu instid0(SALU_CYCLE_1)
	s_or_b32 s4, s4, s7
	s_or_b32 exec_lo, exec_lo, s5
	v_mov_b32_e32 v4, s6
	s_and_saveexec_b32 s5, s4
	s_cbranch_execnz .LBB256_1940
	s_branch .LBB256_1941
.LBB256_2059:
	s_trap 2
	s_sendmsg_rtn_b32 s0, sendmsg(MSG_RTN_GET_DOORBELL)
	s_mov_b32 ttmp2, m0
	s_waitcnt lgkmcnt(0)
	s_and_b32 s0, s0, 0x3ff
	s_delay_alu instid0(SALU_CYCLE_1) | instskip(NEXT) | instid1(SALU_CYCLE_1)
	s_bitset1_b32 s0, 10
	s_mov_b32 m0, s0
	s_sendmsg sendmsg(MSG_INTERRUPT)
	s_mov_b32 m0, ttmp2
.LBB256_2060:                           ; =>This Inner Loop Header: Depth=1
	s_sethalt 5
	s_branch .LBB256_2060
.LBB256_2061:
	s_cbranch_execnz .LBB256_2065
; %bb.2062:
	s_mov_b32 s2, 0
	s_or_b32 s1, s1, exec_lo
	s_branch .LBB256_1985
.LBB256_2063:
	s_or_saveexec_b32 s4, s4
                                        ; implicit-def: $sgpr5
	s_delay_alu instid0(SALU_CYCLE_1)
	s_xor_b32 exec_lo, exec_lo, s4
	s_cbranch_execz .LBB256_1951
.LBB256_2064:
	v_add_f32_e64 v3, 0x42800000, |v2|
	s_and_not1_b32 s3, s3, exec_lo
	s_mov_b32 s5, 0
	s_delay_alu instid0(VALU_DEP_1) | instskip(NEXT) | instid1(VALU_DEP_1)
	v_and_b32_e32 v3, 0xff, v3
	v_cmp_ne_u32_e32 vcc_lo, 0, v3
	s_and_b32 s6, vcc_lo, exec_lo
	s_delay_alu instid0(SALU_CYCLE_1)
	s_or_b32 s3, s3, s6
	s_or_b32 exec_lo, exec_lo, s4
	v_mov_b32_e32 v4, s5
	s_and_saveexec_b32 s4, s3
	s_cbranch_execnz .LBB256_1952
	s_branch .LBB256_1953
.LBB256_2065:
	s_trap 2
	s_sendmsg_rtn_b32 s0, sendmsg(MSG_RTN_GET_DOORBELL)
	s_mov_b32 ttmp2, m0
	s_waitcnt lgkmcnt(0)
	s_and_b32 s0, s0, 0x3ff
	s_delay_alu instid0(SALU_CYCLE_1) | instskip(NEXT) | instid1(SALU_CYCLE_1)
	s_bitset1_b32 s0, 10
	s_mov_b32 m0, s0
	s_sendmsg sendmsg(MSG_INTERRUPT)
	s_mov_b32 m0, ttmp2
.LBB256_2066:                           ; =>This Inner Loop Header: Depth=1
	s_sethalt 5
	s_branch .LBB256_2066
	.section	.rodata,"a",@progbits
	.p2align	6, 0x0
	.amdhsa_kernel _ZN2at6native32elementwise_kernel_manual_unrollILi128ELi4EZNS0_15gpu_kernel_implIZZZNS0_16sqrt_kernel_cudaERNS_18TensorIteratorBaseEENKUlvE0_clEvENKUlvE0_clEvEUlfE_EEvS4_RKT_EUlibE_EEviT1_
		.amdhsa_group_segment_fixed_size 0
		.amdhsa_private_segment_fixed_size 0
		.amdhsa_kernarg_size 40
		.amdhsa_user_sgpr_count 15
		.amdhsa_user_sgpr_dispatch_ptr 0
		.amdhsa_user_sgpr_queue_ptr 0
		.amdhsa_user_sgpr_kernarg_segment_ptr 1
		.amdhsa_user_sgpr_dispatch_id 0
		.amdhsa_user_sgpr_private_segment_size 0
		.amdhsa_wavefront_size32 1
		.amdhsa_uses_dynamic_stack 0
		.amdhsa_enable_private_segment 0
		.amdhsa_system_sgpr_workgroup_id_x 1
		.amdhsa_system_sgpr_workgroup_id_y 0
		.amdhsa_system_sgpr_workgroup_id_z 0
		.amdhsa_system_sgpr_workgroup_info 0
		.amdhsa_system_vgpr_workitem_id 0
		.amdhsa_next_free_vgpr 15
		.amdhsa_next_free_sgpr 24
		.amdhsa_reserve_vcc 1
		.amdhsa_float_round_mode_32 0
		.amdhsa_float_round_mode_16_64 0
		.amdhsa_float_denorm_mode_32 3
		.amdhsa_float_denorm_mode_16_64 3
		.amdhsa_dx10_clamp 1
		.amdhsa_ieee_mode 1
		.amdhsa_fp16_overflow 0
		.amdhsa_workgroup_processor_mode 1
		.amdhsa_memory_ordered 1
		.amdhsa_forward_progress 0
		.amdhsa_shared_vgpr_count 0
		.amdhsa_exception_fp_ieee_invalid_op 0
		.amdhsa_exception_fp_denorm_src 0
		.amdhsa_exception_fp_ieee_div_zero 0
		.amdhsa_exception_fp_ieee_overflow 0
		.amdhsa_exception_fp_ieee_underflow 0
		.amdhsa_exception_fp_ieee_inexact 0
		.amdhsa_exception_int_div_zero 0
	.end_amdhsa_kernel
	.section	.text._ZN2at6native32elementwise_kernel_manual_unrollILi128ELi4EZNS0_15gpu_kernel_implIZZZNS0_16sqrt_kernel_cudaERNS_18TensorIteratorBaseEENKUlvE0_clEvENKUlvE0_clEvEUlfE_EEvS4_RKT_EUlibE_EEviT1_,"axG",@progbits,_ZN2at6native32elementwise_kernel_manual_unrollILi128ELi4EZNS0_15gpu_kernel_implIZZZNS0_16sqrt_kernel_cudaERNS_18TensorIteratorBaseEENKUlvE0_clEvENKUlvE0_clEvEUlfE_EEvS4_RKT_EUlibE_EEviT1_,comdat
.Lfunc_end256:
	.size	_ZN2at6native32elementwise_kernel_manual_unrollILi128ELi4EZNS0_15gpu_kernel_implIZZZNS0_16sqrt_kernel_cudaERNS_18TensorIteratorBaseEENKUlvE0_clEvENKUlvE0_clEvEUlfE_EEvS4_RKT_EUlibE_EEviT1_, .Lfunc_end256-_ZN2at6native32elementwise_kernel_manual_unrollILi128ELi4EZNS0_15gpu_kernel_implIZZZNS0_16sqrt_kernel_cudaERNS_18TensorIteratorBaseEENKUlvE0_clEvENKUlvE0_clEvEUlfE_EEvS4_RKT_EUlibE_EEviT1_
                                        ; -- End function
	.section	.AMDGPU.csdata,"",@progbits
; Kernel info:
; codeLenInByte = 36328
; NumSgprs: 26
; NumVgprs: 15
; ScratchSize: 0
; MemoryBound: 1
; FloatMode: 240
; IeeeMode: 1
; LDSByteSize: 0 bytes/workgroup (compile time only)
; SGPRBlocks: 3
; VGPRBlocks: 1
; NumSGPRsForWavesPerEU: 26
; NumVGPRsForWavesPerEU: 15
; Occupancy: 16
; WaveLimiterHint : 0
; COMPUTE_PGM_RSRC2:SCRATCH_EN: 0
; COMPUTE_PGM_RSRC2:USER_SGPR: 15
; COMPUTE_PGM_RSRC2:TRAP_HANDLER: 0
; COMPUTE_PGM_RSRC2:TGID_X_EN: 1
; COMPUTE_PGM_RSRC2:TGID_Y_EN: 0
; COMPUTE_PGM_RSRC2:TGID_Z_EN: 0
; COMPUTE_PGM_RSRC2:TIDIG_COMP_CNT: 0
	.section	.text._ZN2at6native32elementwise_kernel_manual_unrollILi128ELi4EZNS0_15gpu_kernel_implIZZZNS0_16sqrt_kernel_cudaERNS_18TensorIteratorBaseEENKUlvE0_clEvENKUlvE0_clEvEUlfE_EEvS4_RKT_EUlibE0_EEviT1_,"axG",@progbits,_ZN2at6native32elementwise_kernel_manual_unrollILi128ELi4EZNS0_15gpu_kernel_implIZZZNS0_16sqrt_kernel_cudaERNS_18TensorIteratorBaseEENKUlvE0_clEvENKUlvE0_clEvEUlfE_EEvS4_RKT_EUlibE0_EEviT1_,comdat
	.globl	_ZN2at6native32elementwise_kernel_manual_unrollILi128ELi4EZNS0_15gpu_kernel_implIZZZNS0_16sqrt_kernel_cudaERNS_18TensorIteratorBaseEENKUlvE0_clEvENKUlvE0_clEvEUlfE_EEvS4_RKT_EUlibE0_EEviT1_ ; -- Begin function _ZN2at6native32elementwise_kernel_manual_unrollILi128ELi4EZNS0_15gpu_kernel_implIZZZNS0_16sqrt_kernel_cudaERNS_18TensorIteratorBaseEENKUlvE0_clEvENKUlvE0_clEvEUlfE_EEvS4_RKT_EUlibE0_EEviT1_
	.p2align	8
	.type	_ZN2at6native32elementwise_kernel_manual_unrollILi128ELi4EZNS0_15gpu_kernel_implIZZZNS0_16sqrt_kernel_cudaERNS_18TensorIteratorBaseEENKUlvE0_clEvENKUlvE0_clEvEUlfE_EEvS4_RKT_EUlibE0_EEviT1_,@function
_ZN2at6native32elementwise_kernel_manual_unrollILi128ELi4EZNS0_15gpu_kernel_implIZZZNS0_16sqrt_kernel_cudaERNS_18TensorIteratorBaseEENKUlvE0_clEvENKUlvE0_clEvEUlfE_EEvS4_RKT_EUlibE0_EEviT1_: ; @_ZN2at6native32elementwise_kernel_manual_unrollILi128ELi4EZNS0_15gpu_kernel_implIZZZNS0_16sqrt_kernel_cudaERNS_18TensorIteratorBaseEENKUlvE0_clEvENKUlvE0_clEvEUlfE_EEvS4_RKT_EUlibE0_EEviT1_
; %bb.0:
	s_clause 0x1
	s_load_b32 s24, s[0:1], 0x8
	s_load_b32 s30, s[0:1], 0x0
	v_lshl_or_b32 v8, s15, 9, v0
	s_or_b32 s16, s0, 8
	s_mov_b32 s3, -1
	s_mov_b32 s26, 0
	s_mov_b32 s17, s1
	v_or_b32_e32 v9, 0x180, v8
	s_mov_b32 s8, 0
	s_mov_b32 s2, exec_lo
	s_waitcnt lgkmcnt(0)
	s_add_i32 s25, s24, -1
	s_delay_alu instid0(SALU_CYCLE_1)
	s_cmp_gt_u32 s25, 1
	s_cselect_b32 s27, -1, 0
	v_cmpx_le_i32_e64 s30, v9
	s_xor_b32 s28, exec_lo, s2
	s_cbranch_execz .LBB257_1076
; %bb.1:
	v_mov_b32_e32 v0, 0
	s_clause 0x3
	s_load_b128 s[12:15], s[16:17], 0x4
	s_load_b64 s[18:19], s[16:17], 0x14
	s_load_b128 s[8:11], s[16:17], 0xc4
	s_load_b128 s[4:7], s[16:17], 0x148
	s_cmp_lg_u32 s24, 0
	s_mov_b32 s37, 0
	s_cselect_b32 s33, -1, 0
	global_load_u16 v4, v0, s[16:17] offset:345
	s_add_u32 s20, s16, 0xc4
	s_addc_u32 s21, s17, 0
	s_min_u32 s31, s25, 15
	s_cmp_gt_u32 s24, 1
	s_mov_b32 s35, 0
	s_cselect_b32 s29, -1, 0
	s_mov_b32 s34, 0
	s_mov_b32 s36, exec_lo
	s_waitcnt vmcnt(0)
	v_lshrrev_b16 v5, 8, v4
	v_cmpx_gt_i32_e64 s30, v8
	s_cbranch_execz .LBB257_263
; %bb.2:
	s_and_not1_b32 vcc_lo, exec_lo, s27
	s_cbranch_vccnz .LBB257_7
; %bb.3:
	v_dual_mov_b32 v0, 0 :: v_dual_mov_b32 v1, 0
	s_and_not1_b32 vcc_lo, exec_lo, s33
	s_cbranch_vccnz .LBB257_12
; %bb.4:
	v_mov_b32_e32 v0, 0
	s_add_i32 s38, s31, 1
	s_cmp_eq_u32 s25, 2
	s_cbranch_scc1 .LBB257_8
; %bb.5:
	v_dual_mov_b32 v1, 0 :: v_dual_mov_b32 v0, 0
	v_mov_b32_e32 v2, v8
	s_and_b32 s35, s38, 28
	s_mov_b32 s39, 0
	s_mov_b64 s[2:3], s[20:21]
	s_mov_b64 s[22:23], s[16:17]
.LBB257_6:                              ; =>This Inner Loop Header: Depth=1
	s_clause 0x1
	s_load_b256 s[40:47], s[22:23], 0x4
	s_load_b128 s[56:59], s[22:23], 0x24
	s_load_b256 s[48:55], s[2:3], 0x0
	s_add_u32 s22, s22, 48
	s_addc_u32 s23, s23, 0
	s_add_i32 s39, s39, 4
	s_add_u32 s2, s2, 32
	s_addc_u32 s3, s3, 0
	s_cmp_lg_u32 s35, s39
	s_waitcnt lgkmcnt(0)
	v_mul_hi_u32 v3, s41, v2
	s_delay_alu instid0(VALU_DEP_1) | instskip(NEXT) | instid1(VALU_DEP_1)
	v_add_nc_u32_e32 v3, v2, v3
	v_lshrrev_b32_e32 v3, s42, v3
	s_delay_alu instid0(VALU_DEP_1) | instskip(SKIP_1) | instid1(VALU_DEP_2)
	v_mul_hi_u32 v6, s44, v3
	v_mul_lo_u32 v9, v3, s40
	v_add_nc_u32_e32 v6, v3, v6
	s_delay_alu instid0(VALU_DEP_2) | instskip(NEXT) | instid1(VALU_DEP_2)
	v_sub_nc_u32_e32 v2, v2, v9
	v_lshrrev_b32_e32 v6, s45, v6
	s_delay_alu instid0(VALU_DEP_2) | instskip(SKIP_1) | instid1(VALU_DEP_3)
	v_mul_lo_u32 v9, v2, s48
	v_mul_lo_u32 v11, v2, s49
	v_mul_hi_u32 v7, s47, v6
	s_delay_alu instid0(VALU_DEP_1) | instskip(NEXT) | instid1(VALU_DEP_1)
	v_add_nc_u32_e32 v7, v6, v7
	v_lshrrev_b32_e32 v7, s56, v7
	s_delay_alu instid0(VALU_DEP_1) | instskip(SKIP_1) | instid1(VALU_DEP_2)
	v_mul_hi_u32 v10, s58, v7
	v_mul_lo_u32 v12, v7, s46
	v_add_nc_u32_e32 v2, v7, v10
	v_mul_lo_u32 v10, v6, s43
	s_delay_alu instid0(VALU_DEP_3) | instskip(NEXT) | instid1(VALU_DEP_3)
	v_sub_nc_u32_e32 v6, v6, v12
	v_lshrrev_b32_e32 v2, s59, v2
	s_delay_alu instid0(VALU_DEP_2) | instskip(SKIP_2) | instid1(VALU_DEP_4)
	v_mul_lo_u32 v12, v6, s52
	v_mul_lo_u32 v6, v6, s53
	v_sub_nc_u32_e32 v3, v3, v10
	v_mul_lo_u32 v13, v2, s57
	s_delay_alu instid0(VALU_DEP_2) | instskip(SKIP_1) | instid1(VALU_DEP_3)
	v_mul_lo_u32 v10, v3, s50
	v_mul_lo_u32 v3, v3, s51
	v_sub_nc_u32_e32 v7, v7, v13
	s_delay_alu instid0(VALU_DEP_3) | instskip(NEXT) | instid1(VALU_DEP_2)
	v_add3_u32 v0, v9, v0, v10
	v_mul_lo_u32 v13, v7, s54
	v_mul_lo_u32 v7, v7, s55
	v_add3_u32 v1, v11, v1, v3
	s_delay_alu instid0(VALU_DEP_3) | instskip(NEXT) | instid1(VALU_DEP_2)
	v_add3_u32 v0, v12, v0, v13
	v_add3_u32 v1, v6, v1, v7
	s_cbranch_scc1 .LBB257_6
	s_branch .LBB257_9
.LBB257_7:
	s_mov_b32 s34, -1
                                        ; implicit-def: $vgpr0
                                        ; implicit-def: $vgpr1
	s_branch .LBB257_12
.LBB257_8:
	v_dual_mov_b32 v2, v8 :: v_dual_mov_b32 v1, 0
.LBB257_9:
	s_and_b32 s38, s38, 3
	s_delay_alu instid0(SALU_CYCLE_1)
	s_cmp_eq_u32 s38, 0
	s_cbranch_scc1 .LBB257_12
; %bb.10:
	s_lshl_b32 s2, s35, 3
	s_mul_i32 s22, s35, 12
	s_add_u32 s2, s2, s16
	s_addc_u32 s3, s17, 0
	s_add_u32 s2, s2, 0xc4
	s_addc_u32 s3, s3, 0
	;; [unrolled: 2-line block ×3, first 2 shown]
	.p2align	6
.LBB257_11:                             ; =>This Inner Loop Header: Depth=1
	s_clause 0x1
	s_load_b64 s[40:41], s[22:23], 0x4
	s_load_b32 s35, s[22:23], 0xc
	s_load_b64 s[42:43], s[2:3], 0x0
	s_add_u32 s22, s22, 12
	s_addc_u32 s23, s23, 0
	s_add_u32 s2, s2, 8
	s_addc_u32 s3, s3, 0
	s_add_i32 s38, s38, -1
	s_delay_alu instid0(SALU_CYCLE_1) | instskip(SKIP_2) | instid1(VALU_DEP_1)
	s_cmp_lg_u32 s38, 0
	s_waitcnt lgkmcnt(0)
	v_mul_hi_u32 v3, s41, v2
	v_add_nc_u32_e32 v3, v2, v3
	s_delay_alu instid0(VALU_DEP_1) | instskip(NEXT) | instid1(VALU_DEP_1)
	v_lshrrev_b32_e32 v3, s35, v3
	v_mul_lo_u32 v6, v3, s40
	s_delay_alu instid0(VALU_DEP_1) | instskip(NEXT) | instid1(VALU_DEP_1)
	v_sub_nc_u32_e32 v2, v2, v6
	v_mad_u64_u32 v[6:7], null, v2, s42, v[0:1]
	v_mad_u64_u32 v[9:10], null, v2, s43, v[1:2]
	v_mov_b32_e32 v2, v3
	s_delay_alu instid0(VALU_DEP_2)
	v_dual_mov_b32 v0, v6 :: v_dual_mov_b32 v1, v9
	s_cbranch_scc1 .LBB257_11
.LBB257_12:
	s_and_not1_b32 vcc_lo, exec_lo, s34
	s_cbranch_vccnz .LBB257_15
; %bb.13:
	s_waitcnt lgkmcnt(0)
	v_mul_hi_u32 v0, s13, v8
	s_and_not1_b32 vcc_lo, exec_lo, s29
	s_delay_alu instid0(VALU_DEP_1) | instskip(NEXT) | instid1(VALU_DEP_1)
	v_add_nc_u32_e32 v0, v8, v0
	v_lshrrev_b32_e32 v2, s14, v0
	s_delay_alu instid0(VALU_DEP_1) | instskip(NEXT) | instid1(VALU_DEP_1)
	v_mul_lo_u32 v0, v2, s12
	v_sub_nc_u32_e32 v1, v8, v0
	s_delay_alu instid0(VALU_DEP_1)
	v_mul_lo_u32 v0, v1, s8
	v_mul_lo_u32 v1, v1, s9
	s_cbranch_vccnz .LBB257_15
; %bb.14:
	v_mul_hi_u32 v3, s18, v2
	s_delay_alu instid0(VALU_DEP_1) | instskip(NEXT) | instid1(VALU_DEP_1)
	v_add_nc_u32_e32 v3, v2, v3
	v_lshrrev_b32_e32 v3, s19, v3
	s_delay_alu instid0(VALU_DEP_1) | instskip(NEXT) | instid1(VALU_DEP_1)
	v_mul_lo_u32 v3, v3, s15
	v_sub_nc_u32_e32 v9, v2, v3
	s_delay_alu instid0(VALU_DEP_1) | instskip(NEXT) | instid1(VALU_DEP_1)
	v_mad_u64_u32 v[2:3], null, v9, s10, v[0:1]
	v_mad_u64_u32 v[6:7], null, v9, s11, v[1:2]
	v_mov_b32_e32 v0, v2
	s_delay_alu instid0(VALU_DEP_2)
	v_mov_b32_e32 v1, v6
.LBB257_15:
	v_cmp_gt_i16_e32 vcc_lo, 11, v5
	s_waitcnt lgkmcnt(0)
	s_delay_alu instid0(VALU_DEP_2) | instskip(NEXT) | instid1(VALU_DEP_1)
	v_add_co_u32 v1, s2, s6, v1
	v_add_co_ci_u32_e64 v2, null, s7, 0, s2
	s_mov_b32 s3, 0
	s_cbranch_vccnz .LBB257_22
; %bb.16:
	v_cmp_lt_i16_e32 vcc_lo, 25, v5
	s_cbranch_vccz .LBB257_141
; %bb.17:
	v_cmp_lt_i16_e32 vcc_lo, 28, v5
	s_cbranch_vccz .LBB257_142
	;; [unrolled: 3-line block ×4, first 2 shown]
; %bb.20:
	v_cmp_eq_u16_e32 vcc_lo, 46, v5
	s_mov_b32 s22, 0
	s_cbranch_vccz .LBB257_145
; %bb.21:
	global_load_b32 v3, v[1:2], off
	s_mov_b32 s2, -1
	s_waitcnt vmcnt(0)
	v_lshlrev_b32_e32 v3, 16, v3
	s_branch .LBB257_147
.LBB257_22:
	s_mov_b32 s2, 0
                                        ; implicit-def: $vgpr3
	s_cbranch_execnz .LBB257_213
.LBB257_23:
	s_and_not1_b32 vcc_lo, exec_lo, s2
	s_cbranch_vccnz .LBB257_260
.LBB257_24:
	s_waitcnt vmcnt(0)
	s_delay_alu instid0(VALU_DEP_1)
	v_mul_f32_e32 v1, 0x4f800000, v3
	v_cmp_gt_f32_e32 vcc_lo, 0xf800000, v3
	v_add_co_u32 v0, s34, s4, v0
	s_mov_b32 s23, -1
	s_mov_b32 s22, 0
	v_cndmask_b32_e32 v2, v3, v1, vcc_lo
	s_delay_alu instid0(VALU_DEP_1) | instskip(SKIP_3) | instid1(VALU_DEP_2)
	v_sqrt_f32_e32 v1, v2
	s_waitcnt_depctr 0xfff
	v_add_nc_u32_e32 v3, -1, v1
	v_add_nc_u32_e32 v6, 1, v1
	v_fma_f32 v7, -v3, v1, v2
	s_delay_alu instid0(VALU_DEP_2) | instskip(NEXT) | instid1(VALU_DEP_2)
	v_fma_f32 v9, -v6, v1, v2
	v_cmp_ge_f32_e64 s2, 0, v7
	s_delay_alu instid0(VALU_DEP_1) | instskip(NEXT) | instid1(VALU_DEP_3)
	v_cndmask_b32_e64 v1, v1, v3, s2
	v_cmp_lt_f32_e64 s2, 0, v9
	s_delay_alu instid0(VALU_DEP_1) | instskip(SKIP_1) | instid1(VALU_DEP_2)
	v_cndmask_b32_e64 v1, v1, v6, s2
	v_and_b32_e32 v6, 0xff, v4
	v_mul_f32_e32 v3, 0x37800000, v1
	s_delay_alu instid0(VALU_DEP_2) | instskip(NEXT) | instid1(VALU_DEP_2)
	v_cmp_gt_i16_e64 s2, 11, v6
	v_cndmask_b32_e32 v3, v1, v3, vcc_lo
	v_cmp_class_f32_e64 vcc_lo, v2, 0x260
	v_add_co_ci_u32_e64 v1, null, s5, 0, s34
	s_delay_alu instid0(VALU_DEP_3)
	v_cndmask_b32_e32 v2, v3, v2, vcc_lo
	s_and_b32 vcc_lo, exec_lo, s2
	s_mov_b32 s2, 0
	s_cbranch_vccnz .LBB257_101
; %bb.25:
	v_cmp_lt_i16_e32 vcc_lo, 25, v6
	s_cbranch_vccz .LBB257_58
; %bb.26:
	v_cmp_lt_i16_e32 vcc_lo, 28, v6
	s_cbranch_vccz .LBB257_41
	;; [unrolled: 3-line block ×4, first 2 shown]
; %bb.29:
	v_cmp_eq_u16_e32 vcc_lo, 46, v6
	s_mov_b32 s23, 0
	s_mov_b32 s22, -1
	s_cbranch_vccz .LBB257_31
; %bb.30:
	v_bfe_u32 v3, v2, 16, 1
	v_cmp_o_f32_e32 vcc_lo, v2, v2
	s_mov_b32 s2, -1
	s_mov_b32 s22, 0
	s_delay_alu instid0(VALU_DEP_2) | instskip(NEXT) | instid1(VALU_DEP_1)
	v_add3_u32 v3, v2, v3, 0x7fff
	v_lshrrev_b32_e32 v3, 16, v3
	s_delay_alu instid0(VALU_DEP_1)
	v_cndmask_b32_e32 v3, 0x7fc0, v3, vcc_lo
	global_store_b32 v[0:1], v3, off
.LBB257_31:
	s_and_b32 vcc_lo, exec_lo, s23
	s_cbranch_vccz .LBB257_36
; %bb.32:
	v_cmp_eq_u16_e32 vcc_lo, 44, v6
	s_mov_b32 s22, -1
	s_cbranch_vccz .LBB257_36
; %bb.33:
	v_bfe_u32 v7, v2, 23, 8
	v_mov_b32_e32 v3, 0xff
	s_mov_b32 s22, exec_lo
	s_delay_alu instid0(VALU_DEP_2)
	v_cmpx_ne_u32_e32 0xff, v7
; %bb.34:
	v_and_b32_e32 v3, 0x400000, v2
	v_and_or_b32 v7, 0x3fffff, v2, v7
	s_delay_alu instid0(VALU_DEP_2) | instskip(NEXT) | instid1(VALU_DEP_2)
	v_cmp_ne_u32_e32 vcc_lo, 0, v3
	v_cmp_ne_u32_e64 s2, 0, v7
	v_lshrrev_b32_e32 v3, 23, v2
	s_delay_alu instid0(VALU_DEP_2) | instskip(NEXT) | instid1(SALU_CYCLE_1)
	s_and_b32 s2, vcc_lo, s2
	v_cndmask_b32_e64 v7, 0, 1, s2
	s_delay_alu instid0(VALU_DEP_1)
	v_add_nc_u32_e32 v3, v3, v7
; %bb.35:
	s_or_b32 exec_lo, exec_lo, s22
	s_mov_b32 s2, -1
	s_mov_b32 s22, 0
	global_store_b8 v[0:1], v3, off
.LBB257_36:
	s_mov_b32 s23, 0
.LBB257_37:
	s_delay_alu instid0(SALU_CYCLE_1)
	s_and_b32 vcc_lo, exec_lo, s23
	s_cbranch_vccz .LBB257_40
; %bb.38:
	v_cmp_eq_u16_e32 vcc_lo, 29, v6
	s_mov_b32 s22, -1
	s_cbranch_vccz .LBB257_40
; %bb.39:
	v_trunc_f32_e32 v3, v2
	s_mov_b32 s2, -1
	s_mov_b32 s22, 0
	s_delay_alu instid0(VALU_DEP_1) | instskip(NEXT) | instid1(VALU_DEP_1)
	v_mul_f32_e32 v7, 0x2f800000, v3
	v_floor_f32_e32 v7, v7
	s_delay_alu instid0(VALU_DEP_1) | instskip(SKIP_1) | instid1(VALU_DEP_2)
	v_fmamk_f32 v3, v7, 0xcf800000, v3
	v_cvt_u32_f32_e32 v10, v7
	v_cvt_u32_f32_e32 v9, v3
	global_store_b64 v[0:1], v[9:10], off
.LBB257_40:
	s_mov_b32 s23, 0
.LBB257_41:
	s_delay_alu instid0(SALU_CYCLE_1)
	s_and_b32 vcc_lo, exec_lo, s23
	s_cbranch_vccz .LBB257_57
; %bb.42:
	v_cmp_gt_i16_e32 vcc_lo, 27, v6
	s_mov_b32 s2, -1
	s_cbranch_vccnz .LBB257_48
; %bb.43:
	v_cmp_lt_i16_e32 vcc_lo, 27, v6
	s_cbranch_vccz .LBB257_45
; %bb.44:
	v_cvt_u32_f32_e32 v3, v2
	s_mov_b32 s2, 0
	global_store_b32 v[0:1], v3, off
.LBB257_45:
	s_and_not1_b32 vcc_lo, exec_lo, s2
	s_cbranch_vccnz .LBB257_47
; %bb.46:
	v_cvt_u32_f32_e32 v3, v2
	global_store_b16 v[0:1], v3, off
.LBB257_47:
	s_mov_b32 s2, 0
.LBB257_48:
	s_delay_alu instid0(SALU_CYCLE_1)
	s_and_not1_b32 vcc_lo, exec_lo, s2
	s_cbranch_vccnz .LBB257_56
; %bb.49:
	v_and_b32_e32 v3, 0x7fffffff, v2
	v_mov_b32_e32 v7, 0x80
	s_mov_b32 s2, exec_lo
	s_delay_alu instid0(VALU_DEP_2)
	v_cmpx_gt_u32_e32 0x43800000, v3
	s_cbranch_execz .LBB257_55
; %bb.50:
	v_cmp_lt_u32_e32 vcc_lo, 0x3bffffff, v3
	s_mov_b32 s23, 0
                                        ; implicit-def: $vgpr3
	s_and_saveexec_b32 s34, vcc_lo
	s_delay_alu instid0(SALU_CYCLE_1)
	s_xor_b32 s34, exec_lo, s34
	s_cbranch_execz .LBB257_150
; %bb.51:
	v_bfe_u32 v3, v2, 20, 1
	s_mov_b32 s23, exec_lo
	s_delay_alu instid0(VALU_DEP_1) | instskip(NEXT) | instid1(VALU_DEP_1)
	v_add3_u32 v3, v2, v3, 0x487ffff
	v_lshrrev_b32_e32 v3, 20, v3
	s_or_saveexec_b32 s34, s34
                                        ; implicit-def: $sgpr35
	s_delay_alu instid0(SALU_CYCLE_1)
	s_xor_b32 exec_lo, exec_lo, s34
	s_cbranch_execnz .LBB257_151
.LBB257_52:
	s_or_b32 exec_lo, exec_lo, s34
	v_mov_b32_e32 v7, s35
	s_and_saveexec_b32 s34, s23
.LBB257_53:
	v_lshrrev_b32_e32 v7, 24, v2
	s_delay_alu instid0(VALU_DEP_1)
	v_and_or_b32 v7, 0x80, v7, v3
.LBB257_54:
	s_or_b32 exec_lo, exec_lo, s34
.LBB257_55:
	s_delay_alu instid0(SALU_CYCLE_1)
	s_or_b32 exec_lo, exec_lo, s2
	global_store_b8 v[0:1], v7, off
.LBB257_56:
	s_mov_b32 s2, -1
.LBB257_57:
	s_mov_b32 s23, 0
.LBB257_58:
	s_delay_alu instid0(SALU_CYCLE_1)
	s_and_b32 vcc_lo, exec_lo, s23
	s_cbranch_vccz .LBB257_99
; %bb.59:
	v_cmp_lt_i16_e32 vcc_lo, 22, v6
	s_mov_b32 s23, -1
	s_cbranch_vccz .LBB257_91
; %bb.60:
	v_cmp_gt_i16_e32 vcc_lo, 24, v6
	s_mov_b32 s2, -1
	s_cbranch_vccnz .LBB257_80
; %bb.61:
	v_cmp_lt_i16_e32 vcc_lo, 24, v6
	s_cbranch_vccz .LBB257_69
; %bb.62:
	v_and_b32_e32 v3, 0x7fffffff, v2
	v_mov_b32_e32 v7, 0x80
	s_mov_b32 s2, exec_lo
	s_delay_alu instid0(VALU_DEP_2)
	v_cmpx_gt_u32_e32 0x47800000, v3
	s_cbranch_execz .LBB257_68
; %bb.63:
	v_cmp_lt_u32_e32 vcc_lo, 0x37ffffff, v3
	s_mov_b32 s23, 0
                                        ; implicit-def: $vgpr3
	s_and_saveexec_b32 s34, vcc_lo
	s_delay_alu instid0(SALU_CYCLE_1)
	s_xor_b32 s34, exec_lo, s34
	s_cbranch_execz .LBB257_341
; %bb.64:
	v_bfe_u32 v3, v2, 21, 1
	s_mov_b32 s23, exec_lo
	s_delay_alu instid0(VALU_DEP_1) | instskip(NEXT) | instid1(VALU_DEP_1)
	v_add3_u32 v3, v2, v3, 0x88fffff
	v_lshrrev_b32_e32 v3, 21, v3
	s_or_saveexec_b32 s34, s34
                                        ; implicit-def: $sgpr35
	s_delay_alu instid0(SALU_CYCLE_1)
	s_xor_b32 exec_lo, exec_lo, s34
	s_cbranch_execnz .LBB257_342
.LBB257_65:
	s_or_b32 exec_lo, exec_lo, s34
	v_mov_b32_e32 v7, s35
	s_and_saveexec_b32 s34, s23
.LBB257_66:
	v_lshrrev_b32_e32 v7, 24, v2
	s_delay_alu instid0(VALU_DEP_1)
	v_and_or_b32 v7, 0x80, v7, v3
.LBB257_67:
	s_or_b32 exec_lo, exec_lo, s34
.LBB257_68:
	s_delay_alu instid0(SALU_CYCLE_1)
	s_or_b32 exec_lo, exec_lo, s2
	s_mov_b32 s2, 0
	global_store_b8 v[0:1], v7, off
.LBB257_69:
	s_and_b32 vcc_lo, exec_lo, s2
	s_cbranch_vccz .LBB257_79
; %bb.70:
	v_and_b32_e32 v7, 0x7fffffff, v2
	s_mov_b32 s2, exec_lo
                                        ; implicit-def: $vgpr3
	s_delay_alu instid0(VALU_DEP_1)
	v_cmpx_gt_u32_e32 0x43f00000, v7
	s_xor_b32 s2, exec_lo, s2
	s_cbranch_execz .LBB257_76
; %bb.71:
	s_mov_b32 s23, exec_lo
                                        ; implicit-def: $vgpr3
	v_cmpx_lt_u32_e32 0x3c7fffff, v7
	s_xor_b32 s23, exec_lo, s23
; %bb.72:
	v_bfe_u32 v3, v2, 20, 1
	s_delay_alu instid0(VALU_DEP_1) | instskip(NEXT) | instid1(VALU_DEP_1)
	v_add3_u32 v3, v2, v3, 0x407ffff
	v_and_b32_e32 v7, 0xff00000, v3
	v_lshrrev_b32_e32 v3, 20, v3
	s_delay_alu instid0(VALU_DEP_2) | instskip(NEXT) | instid1(VALU_DEP_2)
	v_cmp_ne_u32_e32 vcc_lo, 0x7f00000, v7
	v_cndmask_b32_e32 v3, 0x7e, v3, vcc_lo
; %bb.73:
	s_and_not1_saveexec_b32 s23, s23
; %bb.74:
	v_add_f32_e64 v3, 0x46800000, |v2|
; %bb.75:
	s_or_b32 exec_lo, exec_lo, s23
                                        ; implicit-def: $vgpr7
.LBB257_76:
	s_and_not1_saveexec_b32 s2, s2
; %bb.77:
	v_mov_b32_e32 v3, 0x7f
	v_cmp_lt_u32_e32 vcc_lo, 0x7f800000, v7
	s_delay_alu instid0(VALU_DEP_2)
	v_cndmask_b32_e32 v3, 0x7e, v3, vcc_lo
; %bb.78:
	s_or_b32 exec_lo, exec_lo, s2
	v_lshrrev_b32_e32 v7, 24, v2
	s_delay_alu instid0(VALU_DEP_1)
	v_and_or_b32 v3, 0x80, v7, v3
	global_store_b8 v[0:1], v3, off
.LBB257_79:
	s_mov_b32 s2, 0
.LBB257_80:
	s_delay_alu instid0(SALU_CYCLE_1)
	s_and_not1_b32 vcc_lo, exec_lo, s2
	s_cbranch_vccnz .LBB257_90
; %bb.81:
	v_and_b32_e32 v7, 0x7fffffff, v2
	s_mov_b32 s2, exec_lo
                                        ; implicit-def: $vgpr3
	s_delay_alu instid0(VALU_DEP_1)
	v_cmpx_gt_u32_e32 0x47800000, v7
	s_xor_b32 s2, exec_lo, s2
	s_cbranch_execz .LBB257_87
; %bb.82:
	s_mov_b32 s23, exec_lo
                                        ; implicit-def: $vgpr3
	v_cmpx_lt_u32_e32 0x387fffff, v7
	s_xor_b32 s23, exec_lo, s23
; %bb.83:
	v_bfe_u32 v3, v2, 21, 1
	s_delay_alu instid0(VALU_DEP_1) | instskip(NEXT) | instid1(VALU_DEP_1)
	v_add3_u32 v3, v2, v3, 0x80fffff
	v_lshrrev_b32_e32 v3, 21, v3
; %bb.84:
	s_and_not1_saveexec_b32 s23, s23
; %bb.85:
	v_add_f32_e64 v3, 0x43000000, |v2|
; %bb.86:
	s_or_b32 exec_lo, exec_lo, s23
                                        ; implicit-def: $vgpr7
.LBB257_87:
	s_and_not1_saveexec_b32 s2, s2
; %bb.88:
	v_mov_b32_e32 v3, 0x7f
	v_cmp_lt_u32_e32 vcc_lo, 0x7f800000, v7
	s_delay_alu instid0(VALU_DEP_2)
	v_cndmask_b32_e32 v3, 0x7c, v3, vcc_lo
; %bb.89:
	s_or_b32 exec_lo, exec_lo, s2
	v_lshrrev_b32_e32 v7, 24, v2
	s_delay_alu instid0(VALU_DEP_1)
	v_and_or_b32 v3, 0x80, v7, v3
	global_store_b8 v[0:1], v3, off
.LBB257_90:
	s_mov_b32 s23, 0
	s_mov_b32 s2, -1
.LBB257_91:
	s_and_not1_b32 vcc_lo, exec_lo, s23
	s_cbranch_vccnz .LBB257_99
; %bb.92:
	v_cmp_lt_i16_e32 vcc_lo, 14, v6
	s_mov_b32 s23, -1
	s_cbranch_vccz .LBB257_96
; %bb.93:
	v_cmp_eq_u16_e32 vcc_lo, 15, v6
	s_mov_b32 s22, -1
	s_cbranch_vccz .LBB257_95
; %bb.94:
	v_bfe_u32 v3, v2, 16, 1
	v_cmp_o_f32_e32 vcc_lo, v2, v2
	s_mov_b32 s2, -1
	s_mov_b32 s22, 0
	s_delay_alu instid0(VALU_DEP_2) | instskip(NEXT) | instid1(VALU_DEP_1)
	v_add3_u32 v3, v2, v3, 0x7fff
	v_lshrrev_b32_e32 v3, 16, v3
	s_delay_alu instid0(VALU_DEP_1)
	v_cndmask_b32_e32 v3, 0x7fc0, v3, vcc_lo
	global_store_b16 v[0:1], v3, off
.LBB257_95:
	s_mov_b32 s23, 0
.LBB257_96:
	s_delay_alu instid0(SALU_CYCLE_1)
	s_and_b32 vcc_lo, exec_lo, s23
	s_cbranch_vccz .LBB257_99
; %bb.97:
	v_cmp_eq_u16_e32 vcc_lo, 11, v6
	s_mov_b32 s22, -1
	s_cbranch_vccz .LBB257_99
; %bb.98:
	v_cmp_neq_f32_e32 vcc_lo, 0, v2
	s_mov_b32 s22, 0
	s_mov_b32 s2, -1
	v_cndmask_b32_e64 v3, 0, 1, vcc_lo
	global_store_b8 v[0:1], v3, off
.LBB257_99:
.LBB257_100:
	s_and_not1_b32 vcc_lo, exec_lo, s2
	s_cbranch_vccz .LBB257_140
	s_branch .LBB257_261
.LBB257_101:
	s_and_b32 vcc_lo, exec_lo, s23
	s_cbranch_vccz .LBB257_100
; %bb.102:
	v_cmp_gt_i16_e32 vcc_lo, 5, v6
	s_mov_b32 s2, -1
	s_cbranch_vccnz .LBB257_123
; %bb.103:
	v_cmp_gt_i16_e32 vcc_lo, 8, v6
	s_cbranch_vccnz .LBB257_113
; %bb.104:
	v_cmp_gt_i16_e32 vcc_lo, 9, v6
	s_cbranch_vccnz .LBB257_110
; %bb.105:
	v_cmp_lt_i16_e32 vcc_lo, 9, v6
	s_cbranch_vccz .LBB257_107
; %bb.106:
	v_cvt_f64_f32_e32 v[9:10], v2
	v_mov_b32_e32 v11, 0
	s_mov_b32 s2, 0
	s_delay_alu instid0(VALU_DEP_1)
	v_mov_b32_e32 v12, v11
	global_store_b128 v[0:1], v[9:12], off
.LBB257_107:
	s_and_not1_b32 vcc_lo, exec_lo, s2
	s_cbranch_vccnz .LBB257_109
; %bb.108:
	v_mov_b32_e32 v3, 0
	global_store_b64 v[0:1], v[2:3], off
.LBB257_109:
	s_mov_b32 s2, 0
.LBB257_110:
	s_delay_alu instid0(SALU_CYCLE_1)
	s_and_not1_b32 vcc_lo, exec_lo, s2
	s_cbranch_vccnz .LBB257_112
; %bb.111:
	v_cvt_f16_f32_e32 v3, v2
	s_delay_alu instid0(VALU_DEP_1)
	v_and_b32_e32 v3, 0xffff, v3
	global_store_b32 v[0:1], v3, off
.LBB257_112:
	s_mov_b32 s2, 0
.LBB257_113:
	s_delay_alu instid0(SALU_CYCLE_1)
	s_and_not1_b32 vcc_lo, exec_lo, s2
	s_cbranch_vccnz .LBB257_122
; %bb.114:
	v_cmp_gt_i16_e32 vcc_lo, 6, v6
	s_mov_b32 s2, -1
	s_cbranch_vccnz .LBB257_120
; %bb.115:
	v_cmp_lt_i16_e32 vcc_lo, 6, v6
	s_cbranch_vccz .LBB257_117
; %bb.116:
	v_cvt_f64_f32_e32 v[9:10], v2
	s_mov_b32 s2, 0
	global_store_b64 v[0:1], v[9:10], off
.LBB257_117:
	s_and_not1_b32 vcc_lo, exec_lo, s2
	s_cbranch_vccnz .LBB257_119
; %bb.118:
	global_store_b32 v[0:1], v2, off
.LBB257_119:
	s_mov_b32 s2, 0
.LBB257_120:
	s_delay_alu instid0(SALU_CYCLE_1)
	s_and_not1_b32 vcc_lo, exec_lo, s2
	s_cbranch_vccnz .LBB257_122
; %bb.121:
	v_cvt_f16_f32_e32 v3, v2
	global_store_b16 v[0:1], v3, off
.LBB257_122:
	s_mov_b32 s2, 0
.LBB257_123:
	s_delay_alu instid0(SALU_CYCLE_1)
	s_and_not1_b32 vcc_lo, exec_lo, s2
	s_cbranch_vccnz .LBB257_139
; %bb.124:
	v_cmp_gt_i16_e32 vcc_lo, 2, v6
	s_mov_b32 s2, -1
	s_cbranch_vccnz .LBB257_134
; %bb.125:
	v_cmp_gt_i16_e32 vcc_lo, 3, v6
	s_cbranch_vccnz .LBB257_131
; %bb.126:
	v_cmp_lt_i16_e32 vcc_lo, 3, v6
	s_cbranch_vccz .LBB257_128
; %bb.127:
	v_trunc_f32_e32 v3, v2
	s_mov_b32 s2, 0
	s_delay_alu instid0(VALU_DEP_1) | instskip(NEXT) | instid1(VALU_DEP_1)
	v_mul_f32_e64 v7, 0x2f800000, |v3|
	v_floor_f32_e32 v7, v7
	s_delay_alu instid0(VALU_DEP_1) | instskip(SKIP_2) | instid1(VALU_DEP_3)
	v_fma_f32 v9, 0xcf800000, v7, |v3|
	v_ashrrev_i32_e32 v3, 31, v3
	v_cvt_u32_f32_e32 v7, v7
	v_cvt_u32_f32_e32 v9, v9
	s_delay_alu instid0(VALU_DEP_2) | instskip(NEXT) | instid1(VALU_DEP_2)
	v_xor_b32_e32 v7, v7, v3
	v_xor_b32_e32 v9, v9, v3
	s_delay_alu instid0(VALU_DEP_1) | instskip(NEXT) | instid1(VALU_DEP_3)
	v_sub_co_u32 v9, vcc_lo, v9, v3
	v_sub_co_ci_u32_e32 v10, vcc_lo, v7, v3, vcc_lo
	global_store_b64 v[0:1], v[9:10], off
.LBB257_128:
	s_and_not1_b32 vcc_lo, exec_lo, s2
	s_cbranch_vccnz .LBB257_130
; %bb.129:
	v_cvt_i32_f32_e32 v3, v2
	global_store_b32 v[0:1], v3, off
.LBB257_130:
	s_mov_b32 s2, 0
.LBB257_131:
	s_delay_alu instid0(SALU_CYCLE_1)
	s_and_not1_b32 vcc_lo, exec_lo, s2
	s_cbranch_vccnz .LBB257_133
; %bb.132:
	v_cvt_i32_f32_e32 v3, v2
	global_store_b16 v[0:1], v3, off
.LBB257_133:
	s_mov_b32 s2, 0
.LBB257_134:
	s_delay_alu instid0(SALU_CYCLE_1)
	s_and_not1_b32 vcc_lo, exec_lo, s2
	s_cbranch_vccnz .LBB257_139
; %bb.135:
	v_cmp_lt_i16_e32 vcc_lo, 0, v6
	s_mov_b32 s2, -1
	s_cbranch_vccz .LBB257_137
; %bb.136:
	v_cvt_i32_f32_e32 v3, v2
	s_mov_b32 s2, 0
	global_store_b8 v[0:1], v3, off
.LBB257_137:
	s_and_not1_b32 vcc_lo, exec_lo, s2
	s_cbranch_vccnz .LBB257_139
; %bb.138:
	v_trunc_f32_e32 v2, v2
	s_delay_alu instid0(VALU_DEP_1) | instskip(NEXT) | instid1(VALU_DEP_1)
	v_mul_f32_e64 v3, 0x2f800000, |v2|
	v_floor_f32_e32 v3, v3
	s_delay_alu instid0(VALU_DEP_1) | instskip(SKIP_1) | instid1(VALU_DEP_2)
	v_fma_f32 v3, 0xcf800000, v3, |v2|
	v_ashrrev_i32_e32 v2, 31, v2
	v_cvt_u32_f32_e32 v3, v3
	s_delay_alu instid0(VALU_DEP_1) | instskip(NEXT) | instid1(VALU_DEP_1)
	v_xor_b32_e32 v3, v3, v2
	v_sub_nc_u32_e32 v2, v3, v2
	global_store_b8 v[0:1], v2, off
.LBB257_139:
.LBB257_140:
	v_add_nc_u32_e32 v8, 0x80, v8
	s_mov_b32 s2, -1
	s_branch .LBB257_262
.LBB257_141:
	s_mov_b32 s2, 0
                                        ; implicit-def: $vgpr3
	s_cbranch_execnz .LBB257_178
	s_branch .LBB257_212
.LBB257_142:
	s_mov_b32 s22, -1
	s_mov_b32 s2, 0
                                        ; implicit-def: $vgpr3
	s_branch .LBB257_159
.LBB257_143:
	s_mov_b32 s22, -1
	s_mov_b32 s2, 0
                                        ; implicit-def: $vgpr3
	s_branch .LBB257_154
.LBB257_144:
	s_mov_b32 s22, -1
	s_branch .LBB257_146
.LBB257_145:
	s_mov_b32 s3, -1
.LBB257_146:
	s_mov_b32 s2, 0
                                        ; implicit-def: $vgpr3
.LBB257_147:
	s_and_b32 vcc_lo, exec_lo, s22
	s_cbranch_vccz .LBB257_153
; %bb.148:
	v_cmp_eq_u16_e32 vcc_lo, 44, v5
	s_cbranch_vccz .LBB257_152
; %bb.149:
	global_load_u8 v3, v[1:2], off
	s_mov_b32 s3, 0
	s_mov_b32 s2, -1
	s_waitcnt vmcnt(0)
	v_lshlrev_b32_e32 v6, 23, v3
	v_cmp_ne_u32_e32 vcc_lo, 0xff, v3
	s_delay_alu instid0(VALU_DEP_2) | instskip(SKIP_1) | instid1(VALU_DEP_2)
	v_cndmask_b32_e32 v6, 0x7f800001, v6, vcc_lo
	v_cmp_ne_u32_e32 vcc_lo, 0, v3
	v_cndmask_b32_e32 v3, 0x400000, v6, vcc_lo
	s_branch .LBB257_153
.LBB257_150:
	s_or_saveexec_b32 s34, s34
                                        ; implicit-def: $sgpr35
	s_delay_alu instid0(SALU_CYCLE_1)
	s_xor_b32 exec_lo, exec_lo, s34
	s_cbranch_execz .LBB257_52
.LBB257_151:
	v_add_f32_e64 v3, 0x46000000, |v2|
	s_and_not1_b32 s23, s23, exec_lo
	s_mov_b32 s35, 0
	s_delay_alu instid0(VALU_DEP_1) | instskip(NEXT) | instid1(VALU_DEP_1)
	v_and_b32_e32 v3, 0xff, v3
	v_cmp_ne_u32_e32 vcc_lo, 0, v3
	s_and_b32 s38, vcc_lo, exec_lo
	s_delay_alu instid0(SALU_CYCLE_1)
	s_or_b32 s23, s23, s38
	s_or_b32 exec_lo, exec_lo, s34
	v_mov_b32_e32 v7, s35
	s_and_saveexec_b32 s34, s23
	s_cbranch_execnz .LBB257_53
	s_branch .LBB257_54
.LBB257_152:
	s_mov_b32 s3, -1
                                        ; implicit-def: $vgpr3
.LBB257_153:
	s_mov_b32 s22, 0
.LBB257_154:
	s_delay_alu instid0(SALU_CYCLE_1)
	s_and_b32 vcc_lo, exec_lo, s22
	s_cbranch_vccz .LBB257_158
; %bb.155:
	v_cmp_eq_u16_e32 vcc_lo, 29, v5
	s_cbranch_vccz .LBB257_157
; %bb.156:
	global_load_b64 v[6:7], v[1:2], off
	s_mov_b32 s2, -1
	s_mov_b32 s3, 0
	s_mov_b32 s22, 0
	s_waitcnt vmcnt(0)
	v_clz_i32_u32_e32 v3, v7
	s_delay_alu instid0(VALU_DEP_1) | instskip(NEXT) | instid1(VALU_DEP_1)
	v_min_u32_e32 v3, 32, v3
	v_lshlrev_b64 v[6:7], v3, v[6:7]
	v_sub_nc_u32_e32 v3, 32, v3
	s_delay_alu instid0(VALU_DEP_2) | instskip(NEXT) | instid1(VALU_DEP_1)
	v_min_u32_e32 v6, 1, v6
	v_or_b32_e32 v6, v7, v6
	s_delay_alu instid0(VALU_DEP_1) | instskip(NEXT) | instid1(VALU_DEP_1)
	v_cvt_f32_u32_e32 v6, v6
	v_ldexp_f32 v3, v6, v3
	s_branch .LBB257_159
.LBB257_157:
	s_mov_b32 s3, -1
                                        ; implicit-def: $vgpr3
.LBB257_158:
	s_mov_b32 s22, 0
.LBB257_159:
	s_delay_alu instid0(SALU_CYCLE_1)
	s_and_b32 vcc_lo, exec_lo, s22
	s_cbranch_vccz .LBB257_177
; %bb.160:
	v_cmp_gt_i16_e32 vcc_lo, 27, v5
	s_cbranch_vccnz .LBB257_163
; %bb.161:
	v_cmp_lt_i16_e32 vcc_lo, 27, v5
	s_cbranch_vccz .LBB257_164
; %bb.162:
	global_load_b32 v3, v[1:2], off
	s_mov_b32 s2, 0
	s_waitcnt vmcnt(0)
	v_cvt_f32_u32_e32 v3, v3
	s_branch .LBB257_165
.LBB257_163:
	s_mov_b32 s2, -1
                                        ; implicit-def: $vgpr3
	s_branch .LBB257_168
.LBB257_164:
	s_mov_b32 s2, -1
                                        ; implicit-def: $vgpr3
.LBB257_165:
	s_delay_alu instid0(SALU_CYCLE_1)
	s_and_not1_b32 vcc_lo, exec_lo, s2
	s_cbranch_vccnz .LBB257_167
; %bb.166:
	global_load_u16 v3, v[1:2], off
	s_waitcnt vmcnt(0)
	v_cvt_f32_u32_e32 v3, v3
.LBB257_167:
	s_mov_b32 s2, 0
.LBB257_168:
	s_delay_alu instid0(SALU_CYCLE_1)
	s_and_not1_b32 vcc_lo, exec_lo, s2
	s_cbranch_vccnz .LBB257_176
; %bb.169:
	global_load_u8 v6, v[1:2], off
	s_mov_b32 s2, 0
	s_mov_b32 s23, exec_lo
                                        ; implicit-def: $sgpr22
	s_waitcnt vmcnt(0)
	v_cmpx_lt_i16_e32 0x7f, v6
	s_xor_b32 s23, exec_lo, s23
	s_cbranch_execz .LBB257_189
; %bb.170:
	s_mov_b32 s2, -1
	s_mov_b32 s34, exec_lo
                                        ; implicit-def: $sgpr22
	v_cmpx_eq_u16_e32 0x80, v6
; %bb.171:
	s_mov_b32 s22, 0x7f800001
	s_xor_b32 s2, exec_lo, -1
; %bb.172:
	s_or_b32 exec_lo, exec_lo, s34
	s_delay_alu instid0(SALU_CYCLE_1)
	s_and_b32 s2, s2, exec_lo
	s_or_saveexec_b32 s23, s23
	v_mov_b32_e32 v3, s22
	s_xor_b32 exec_lo, exec_lo, s23
	s_cbranch_execnz .LBB257_190
.LBB257_173:
	s_or_b32 exec_lo, exec_lo, s23
	s_and_saveexec_b32 s22, s2
	s_cbranch_execz .LBB257_175
.LBB257_174:
	v_and_b32_e32 v3, 0xffff, v6
	v_lshlrev_b32_e32 v6, 24, v6
	s_delay_alu instid0(VALU_DEP_2) | instskip(NEXT) | instid1(VALU_DEP_2)
	v_and_b32_e32 v7, 7, v3
	v_and_b32_e32 v6, 0x80000000, v6
	s_delay_alu instid0(VALU_DEP_2) | instskip(NEXT) | instid1(VALU_DEP_1)
	v_clz_i32_u32_e32 v9, v7
	v_min_u32_e32 v9, 32, v9
	s_delay_alu instid0(VALU_DEP_1) | instskip(SKIP_1) | instid1(VALU_DEP_2)
	v_subrev_nc_u32_e32 v10, 28, v9
	v_sub_nc_u32_e32 v9, 29, v9
	v_lshlrev_b32_e32 v10, v10, v3
	v_bfe_u32 v3, v3, 3, 4
	s_delay_alu instid0(VALU_DEP_1) | instskip(NEXT) | instid1(VALU_DEP_3)
	v_cmp_eq_u32_e32 vcc_lo, 0, v3
	v_dual_cndmask_b32 v3, v3, v9 :: v_dual_and_b32 v10, 7, v10
	s_delay_alu instid0(VALU_DEP_1) | instskip(NEXT) | instid1(VALU_DEP_2)
	v_lshl_add_u32 v3, v3, 23, 0x3b800000
	v_cndmask_b32_e32 v7, v7, v10, vcc_lo
	s_delay_alu instid0(VALU_DEP_1) | instskip(NEXT) | instid1(VALU_DEP_1)
	v_lshlrev_b32_e32 v7, 20, v7
	v_or3_b32 v3, v6, v3, v7
.LBB257_175:
	s_or_b32 exec_lo, exec_lo, s22
.LBB257_176:
	s_mov_b32 s2, -1
.LBB257_177:
	s_branch .LBB257_212
.LBB257_178:
	v_cmp_lt_i16_e32 vcc_lo, 22, v5
	s_cbranch_vccz .LBB257_188
; %bb.179:
	v_cmp_gt_i16_e32 vcc_lo, 24, v5
	s_cbranch_vccnz .LBB257_191
; %bb.180:
	v_cmp_lt_i16_e32 vcc_lo, 24, v5
	s_cbranch_vccz .LBB257_192
; %bb.181:
	global_load_u8 v6, v[1:2], off
	s_mov_b32 s2, 0
	s_mov_b32 s23, exec_lo
                                        ; implicit-def: $sgpr22
	s_waitcnt vmcnt(0)
	v_cmpx_lt_i16_e32 0x7f, v6
	s_xor_b32 s23, exec_lo, s23
	s_cbranch_execz .LBB257_204
; %bb.182:
	s_mov_b32 s2, -1
	s_mov_b32 s34, exec_lo
                                        ; implicit-def: $sgpr22
	v_cmpx_eq_u16_e32 0x80, v6
; %bb.183:
	s_mov_b32 s22, 0x7f800001
	s_xor_b32 s2, exec_lo, -1
; %bb.184:
	s_or_b32 exec_lo, exec_lo, s34
	s_delay_alu instid0(SALU_CYCLE_1)
	s_and_b32 s2, s2, exec_lo
	s_or_saveexec_b32 s23, s23
	v_mov_b32_e32 v3, s22
	s_xor_b32 exec_lo, exec_lo, s23
	s_cbranch_execnz .LBB257_205
.LBB257_185:
	s_or_b32 exec_lo, exec_lo, s23
	s_and_saveexec_b32 s22, s2
	s_cbranch_execz .LBB257_187
.LBB257_186:
	v_and_b32_e32 v3, 0xffff, v6
	v_lshlrev_b32_e32 v6, 24, v6
	s_delay_alu instid0(VALU_DEP_2) | instskip(NEXT) | instid1(VALU_DEP_2)
	v_and_b32_e32 v7, 3, v3
	v_and_b32_e32 v6, 0x80000000, v6
	s_delay_alu instid0(VALU_DEP_2) | instskip(NEXT) | instid1(VALU_DEP_1)
	v_clz_i32_u32_e32 v9, v7
	v_min_u32_e32 v9, 32, v9
	s_delay_alu instid0(VALU_DEP_1) | instskip(SKIP_1) | instid1(VALU_DEP_2)
	v_subrev_nc_u32_e32 v10, 29, v9
	v_sub_nc_u32_e32 v9, 30, v9
	v_lshlrev_b32_e32 v10, v10, v3
	v_bfe_u32 v3, v3, 2, 5
	s_delay_alu instid0(VALU_DEP_1) | instskip(NEXT) | instid1(VALU_DEP_3)
	v_cmp_eq_u32_e32 vcc_lo, 0, v3
	v_dual_cndmask_b32 v3, v3, v9 :: v_dual_and_b32 v10, 3, v10
	s_delay_alu instid0(VALU_DEP_1) | instskip(NEXT) | instid1(VALU_DEP_2)
	v_lshl_add_u32 v3, v3, 23, 0x37800000
	v_cndmask_b32_e32 v7, v7, v10, vcc_lo
	s_delay_alu instid0(VALU_DEP_1) | instskip(NEXT) | instid1(VALU_DEP_1)
	v_lshlrev_b32_e32 v7, 21, v7
	v_or3_b32 v3, v6, v3, v7
.LBB257_187:
	s_or_b32 exec_lo, exec_lo, s22
	s_mov_b32 s2, 0
	s_branch .LBB257_193
.LBB257_188:
	s_mov_b32 s22, -1
                                        ; implicit-def: $vgpr3
	s_branch .LBB257_199
.LBB257_189:
	s_or_saveexec_b32 s23, s23
	v_mov_b32_e32 v3, s22
	s_xor_b32 exec_lo, exec_lo, s23
	s_cbranch_execz .LBB257_173
.LBB257_190:
	v_cmp_ne_u16_e32 vcc_lo, 0, v6
	v_mov_b32_e32 v3, 0
	s_and_not1_b32 s2, s2, exec_lo
	s_and_b32 s22, vcc_lo, exec_lo
	s_delay_alu instid0(SALU_CYCLE_1)
	s_or_b32 s2, s2, s22
	s_or_b32 exec_lo, exec_lo, s23
	s_and_saveexec_b32 s22, s2
	s_cbranch_execnz .LBB257_174
	s_branch .LBB257_175
.LBB257_191:
	s_mov_b32 s2, -1
                                        ; implicit-def: $vgpr3
	s_branch .LBB257_196
.LBB257_192:
	s_mov_b32 s2, -1
                                        ; implicit-def: $vgpr3
.LBB257_193:
	s_delay_alu instid0(SALU_CYCLE_1)
	s_and_b32 vcc_lo, exec_lo, s2
	s_cbranch_vccz .LBB257_195
; %bb.194:
	global_load_u8 v3, v[1:2], off
	s_waitcnt vmcnt(0)
	v_lshlrev_b32_e32 v3, 24, v3
	s_delay_alu instid0(VALU_DEP_1) | instskip(NEXT) | instid1(VALU_DEP_1)
	v_and_b32_e32 v6, 0x7f000000, v3
	v_clz_i32_u32_e32 v7, v6
	v_cmp_ne_u32_e32 vcc_lo, 0, v6
	v_add_nc_u32_e32 v10, 0x1000000, v6
	s_delay_alu instid0(VALU_DEP_3) | instskip(NEXT) | instid1(VALU_DEP_1)
	v_min_u32_e32 v7, 32, v7
	v_sub_nc_u32_e64 v7, v7, 4 clamp
	s_delay_alu instid0(VALU_DEP_1) | instskip(SKIP_1) | instid1(VALU_DEP_2)
	v_lshlrev_b32_e32 v9, v7, v6
	v_lshlrev_b32_e32 v7, 23, v7
	v_lshrrev_b32_e32 v9, 4, v9
	s_delay_alu instid0(VALU_DEP_1) | instskip(SKIP_1) | instid1(VALU_DEP_2)
	v_sub_nc_u32_e32 v7, v9, v7
	v_ashrrev_i32_e32 v9, 8, v10
	v_add_nc_u32_e32 v7, 0x3c000000, v7
	s_delay_alu instid0(VALU_DEP_1) | instskip(NEXT) | instid1(VALU_DEP_1)
	v_and_or_b32 v7, 0x7f800000, v9, v7
	v_cndmask_b32_e32 v6, 0, v7, vcc_lo
	s_delay_alu instid0(VALU_DEP_1)
	v_and_or_b32 v3, 0x80000000, v3, v6
.LBB257_195:
	s_mov_b32 s2, 0
.LBB257_196:
	s_delay_alu instid0(SALU_CYCLE_1)
	s_and_not1_b32 vcc_lo, exec_lo, s2
	s_cbranch_vccnz .LBB257_198
; %bb.197:
	global_load_u8 v3, v[1:2], off
	s_waitcnt vmcnt(0)
	v_lshlrev_b32_e32 v6, 25, v3
	v_lshlrev_b16 v3, 8, v3
	s_delay_alu instid0(VALU_DEP_1) | instskip(SKIP_1) | instid1(VALU_DEP_2)
	v_and_or_b32 v9, 0x7f00, v3, 0.5
	v_bfe_i32 v3, v3, 0, 16
	v_add_f32_e32 v9, -0.5, v9
	v_lshrrev_b32_e32 v7, 4, v6
	v_cmp_gt_u32_e32 vcc_lo, 0x8000000, v6
	s_delay_alu instid0(VALU_DEP_2) | instskip(NEXT) | instid1(VALU_DEP_1)
	v_or_b32_e32 v7, 0x70000000, v7
	v_mul_f32_e32 v7, 0x7800000, v7
	s_delay_alu instid0(VALU_DEP_1) | instskip(NEXT) | instid1(VALU_DEP_1)
	v_cndmask_b32_e32 v6, v7, v9, vcc_lo
	v_and_or_b32 v3, 0x80000000, v3, v6
.LBB257_198:
	s_mov_b32 s22, 0
	s_mov_b32 s2, -1
.LBB257_199:
	s_and_not1_b32 vcc_lo, exec_lo, s22
	s_cbranch_vccnz .LBB257_212
; %bb.200:
	v_cmp_lt_i16_e32 vcc_lo, 14, v5
	s_cbranch_vccz .LBB257_203
; %bb.201:
	v_cmp_eq_u16_e32 vcc_lo, 15, v5
	s_cbranch_vccz .LBB257_206
; %bb.202:
	global_load_u16 v3, v[1:2], off
	s_mov_b32 s2, -1
	s_mov_b32 s3, 0
	s_waitcnt vmcnt(0)
	v_lshlrev_b32_e32 v3, 16, v3
	s_branch .LBB257_207
.LBB257_203:
	s_mov_b32 s22, -1
                                        ; implicit-def: $vgpr3
	s_branch .LBB257_208
.LBB257_204:
	s_or_saveexec_b32 s23, s23
	v_mov_b32_e32 v3, s22
	s_xor_b32 exec_lo, exec_lo, s23
	s_cbranch_execz .LBB257_185
.LBB257_205:
	v_cmp_ne_u16_e32 vcc_lo, 0, v6
	v_mov_b32_e32 v3, 0
	s_and_not1_b32 s2, s2, exec_lo
	s_and_b32 s22, vcc_lo, exec_lo
	s_delay_alu instid0(SALU_CYCLE_1)
	s_or_b32 s2, s2, s22
	s_or_b32 exec_lo, exec_lo, s23
	s_and_saveexec_b32 s22, s2
	s_cbranch_execnz .LBB257_186
	s_branch .LBB257_187
.LBB257_206:
	s_mov_b32 s3, -1
                                        ; implicit-def: $vgpr3
.LBB257_207:
	s_mov_b32 s22, 0
.LBB257_208:
	s_delay_alu instid0(SALU_CYCLE_1)
	s_and_b32 vcc_lo, exec_lo, s22
	s_cbranch_vccz .LBB257_212
; %bb.209:
	v_cmp_eq_u16_e32 vcc_lo, 11, v5
	s_cbranch_vccz .LBB257_211
; %bb.210:
	global_load_u8 v3, v[1:2], off
	s_mov_b32 s3, 0
	s_mov_b32 s2, -1
	s_waitcnt vmcnt(0)
	v_cmp_ne_u16_e32 vcc_lo, 0, v3
	v_cndmask_b32_e64 v3, 0, 1.0, vcc_lo
	s_branch .LBB257_212
.LBB257_211:
	s_mov_b32 s3, -1
                                        ; implicit-def: $vgpr3
.LBB257_212:
	s_branch .LBB257_23
.LBB257_213:
	v_cmp_gt_i16_e32 vcc_lo, 5, v5
	s_cbranch_vccnz .LBB257_218
; %bb.214:
	v_cmp_gt_i16_e32 vcc_lo, 8, v5
	s_cbranch_vccnz .LBB257_219
; %bb.215:
	v_cmp_gt_i16_e32 vcc_lo, 9, v5
	s_cbranch_vccnz .LBB257_220
; %bb.216:
	v_cmp_lt_i16_e32 vcc_lo, 9, v5
	s_cbranch_vccz .LBB257_221
; %bb.217:
	global_load_b64 v[6:7], v[1:2], off
	s_mov_b32 s2, 0
	s_waitcnt vmcnt(0)
	v_cvt_f32_f64_e32 v3, v[6:7]
	s_branch .LBB257_222
.LBB257_218:
                                        ; implicit-def: $vgpr3
	s_branch .LBB257_240
.LBB257_219:
	s_mov_b32 s2, -1
                                        ; implicit-def: $vgpr3
	s_branch .LBB257_228
.LBB257_220:
	s_mov_b32 s2, -1
                                        ; implicit-def: $vgpr3
	s_branch .LBB257_225
.LBB257_221:
	s_mov_b32 s2, -1
                                        ; implicit-def: $vgpr3
.LBB257_222:
	s_delay_alu instid0(SALU_CYCLE_1)
	s_and_not1_b32 vcc_lo, exec_lo, s2
	s_cbranch_vccnz .LBB257_224
; %bb.223:
	global_load_b32 v3, v[1:2], off
.LBB257_224:
	s_mov_b32 s2, 0
.LBB257_225:
	s_delay_alu instid0(SALU_CYCLE_1)
	s_and_not1_b32 vcc_lo, exec_lo, s2
	s_cbranch_vccnz .LBB257_227
; %bb.226:
	global_load_b32 v3, v[1:2], off
	s_waitcnt vmcnt(0)
	v_cvt_f32_f16_e32 v3, v3
.LBB257_227:
	s_mov_b32 s2, 0
.LBB257_228:
	s_delay_alu instid0(SALU_CYCLE_1)
	s_and_not1_b32 vcc_lo, exec_lo, s2
	s_cbranch_vccnz .LBB257_239
; %bb.229:
	v_cmp_gt_i16_e32 vcc_lo, 6, v5
	s_cbranch_vccnz .LBB257_232
; %bb.230:
	v_cmp_lt_i16_e32 vcc_lo, 6, v5
	s_cbranch_vccz .LBB257_233
; %bb.231:
	global_load_b64 v[6:7], v[1:2], off
	s_mov_b32 s2, 0
	s_waitcnt vmcnt(0)
	v_cvt_f32_f64_e32 v3, v[6:7]
	s_branch .LBB257_234
.LBB257_232:
	s_mov_b32 s2, -1
                                        ; implicit-def: $vgpr3
	s_branch .LBB257_237
.LBB257_233:
	s_mov_b32 s2, -1
                                        ; implicit-def: $vgpr3
.LBB257_234:
	s_delay_alu instid0(SALU_CYCLE_1)
	s_and_not1_b32 vcc_lo, exec_lo, s2
	s_cbranch_vccnz .LBB257_236
; %bb.235:
	global_load_b32 v3, v[1:2], off
.LBB257_236:
	s_mov_b32 s2, 0
.LBB257_237:
	s_delay_alu instid0(SALU_CYCLE_1)
	s_and_not1_b32 vcc_lo, exec_lo, s2
	s_cbranch_vccnz .LBB257_239
; %bb.238:
	global_load_u16 v3, v[1:2], off
	s_waitcnt vmcnt(0)
	v_cvt_f32_f16_e32 v3, v3
.LBB257_239:
	s_cbranch_execnz .LBB257_259
.LBB257_240:
	v_cmp_gt_i16_e32 vcc_lo, 2, v5
	s_cbranch_vccnz .LBB257_244
; %bb.241:
	v_cmp_gt_i16_e32 vcc_lo, 3, v5
	s_cbranch_vccnz .LBB257_245
; %bb.242:
	v_cmp_lt_i16_e32 vcc_lo, 3, v5
	s_cbranch_vccz .LBB257_246
; %bb.243:
	global_load_b64 v[6:7], v[1:2], off
	s_mov_b32 s2, 0
	s_waitcnt vmcnt(0)
	v_xor_b32_e32 v3, v6, v7
	v_cls_i32_e32 v9, v7
	s_delay_alu instid0(VALU_DEP_2) | instskip(NEXT) | instid1(VALU_DEP_2)
	v_ashrrev_i32_e32 v3, 31, v3
	v_add_nc_u32_e32 v9, -1, v9
	s_delay_alu instid0(VALU_DEP_2) | instskip(NEXT) | instid1(VALU_DEP_1)
	v_add_nc_u32_e32 v3, 32, v3
	v_min_u32_e32 v3, v9, v3
	s_delay_alu instid0(VALU_DEP_1) | instskip(SKIP_1) | instid1(VALU_DEP_2)
	v_lshlrev_b64 v[6:7], v3, v[6:7]
	v_sub_nc_u32_e32 v3, 32, v3
	v_min_u32_e32 v6, 1, v6
	s_delay_alu instid0(VALU_DEP_1) | instskip(NEXT) | instid1(VALU_DEP_1)
	v_or_b32_e32 v6, v7, v6
	v_cvt_f32_i32_e32 v6, v6
	s_delay_alu instid0(VALU_DEP_1)
	v_ldexp_f32 v3, v6, v3
	s_branch .LBB257_247
.LBB257_244:
	s_mov_b32 s2, -1
                                        ; implicit-def: $vgpr3
	s_branch .LBB257_253
.LBB257_245:
	s_mov_b32 s2, -1
                                        ; implicit-def: $vgpr3
	s_branch .LBB257_250
.LBB257_246:
	s_mov_b32 s2, -1
                                        ; implicit-def: $vgpr3
.LBB257_247:
	s_delay_alu instid0(SALU_CYCLE_1)
	s_and_not1_b32 vcc_lo, exec_lo, s2
	s_cbranch_vccnz .LBB257_249
; %bb.248:
	global_load_b32 v3, v[1:2], off
	s_waitcnt vmcnt(0)
	v_cvt_f32_i32_e32 v3, v3
.LBB257_249:
	s_mov_b32 s2, 0
.LBB257_250:
	s_delay_alu instid0(SALU_CYCLE_1)
	s_and_not1_b32 vcc_lo, exec_lo, s2
	s_cbranch_vccnz .LBB257_252
; %bb.251:
	global_load_i16 v3, v[1:2], off
	s_waitcnt vmcnt(0)
	v_cvt_f32_i32_e32 v3, v3
.LBB257_252:
	s_mov_b32 s2, 0
.LBB257_253:
	s_delay_alu instid0(SALU_CYCLE_1)
	s_and_not1_b32 vcc_lo, exec_lo, s2
	s_cbranch_vccnz .LBB257_259
; %bb.254:
	v_cmp_lt_i16_e32 vcc_lo, 0, v5
	s_mov_b32 s2, 0
	s_cbranch_vccz .LBB257_256
; %bb.255:
	global_load_i8 v3, v[1:2], off
	s_waitcnt vmcnt(0)
	v_cvt_f32_i32_e32 v3, v3
	s_branch .LBB257_257
.LBB257_256:
	s_mov_b32 s2, -1
                                        ; implicit-def: $vgpr3
.LBB257_257:
	s_delay_alu instid0(SALU_CYCLE_1)
	s_and_not1_b32 vcc_lo, exec_lo, s2
	s_cbranch_vccnz .LBB257_259
; %bb.258:
	global_load_u8 v1, v[1:2], off
	s_waitcnt vmcnt(0)
	v_cvt_f32_ubyte0_e32 v3, v1
.LBB257_259:
	s_branch .LBB257_24
.LBB257_260:
	s_mov_b32 s22, 0
.LBB257_261:
	s_mov_b32 s2, 0
                                        ; implicit-def: $vgpr8
.LBB257_262:
	s_and_b32 s34, s22, exec_lo
	s_and_b32 s35, s3, exec_lo
	s_or_not1_b32 s3, s2, exec_lo
.LBB257_263:
	s_or_b32 exec_lo, exec_lo, s36
	s_mov_b32 s22, 0
	s_mov_b32 s2, 0
                                        ; implicit-def: $vgpr1_vgpr2
                                        ; implicit-def: $vgpr0
                                        ; implicit-def: $vgpr6
	s_and_saveexec_b32 s36, s3
	s_cbranch_execz .LBB257_906
; %bb.264:
	s_mov_b32 s2, -1
	s_mov_b32 s37, s35
	s_mov_b32 s38, s34
	s_mov_b32 s39, exec_lo
	v_cmpx_gt_i32_e64 s30, v8
	s_cbranch_execz .LBB257_533
; %bb.265:
	s_and_not1_b32 vcc_lo, exec_lo, s27
	s_cbranch_vccnz .LBB257_270
; %bb.266:
	v_dual_mov_b32 v0, 0 :: v_dual_mov_b32 v1, 0
	s_and_not1_b32 vcc_lo, exec_lo, s33
	s_mov_b32 s37, 0
	s_cbranch_vccnz .LBB257_275
; %bb.267:
	v_mov_b32_e32 v0, 0
	s_add_i32 s40, s31, 1
	s_cmp_eq_u32 s25, 2
	s_mov_b32 s38, 0
	s_cbranch_scc1 .LBB257_271
; %bb.268:
	v_dual_mov_b32 v1, 0 :: v_dual_mov_b32 v0, 0
	v_mov_b32_e32 v2, v8
	s_and_b32 s38, s40, 28
	s_mov_b32 s41, 0
	s_mov_b64 s[2:3], s[20:21]
	s_mov_b64 s[22:23], s[16:17]
.LBB257_269:                            ; =>This Inner Loop Header: Depth=1
	s_clause 0x1
	s_load_b256 s[44:51], s[22:23], 0x4
	s_load_b128 s[60:63], s[22:23], 0x24
	s_load_b256 s[52:59], s[2:3], 0x0
	s_add_u32 s22, s22, 48
	s_addc_u32 s23, s23, 0
	s_add_i32 s41, s41, 4
	s_add_u32 s2, s2, 32
	s_addc_u32 s3, s3, 0
	s_cmp_eq_u32 s38, s41
	s_waitcnt vmcnt(0) lgkmcnt(0)
	v_mul_hi_u32 v3, s45, v2
	s_delay_alu instid0(VALU_DEP_1) | instskip(NEXT) | instid1(VALU_DEP_1)
	v_add_nc_u32_e32 v3, v2, v3
	v_lshrrev_b32_e32 v3, s46, v3
	s_delay_alu instid0(VALU_DEP_1) | instskip(SKIP_1) | instid1(VALU_DEP_2)
	v_mul_hi_u32 v6, s48, v3
	v_mul_lo_u32 v9, v3, s44
	v_add_nc_u32_e32 v6, v3, v6
	s_delay_alu instid0(VALU_DEP_2) | instskip(NEXT) | instid1(VALU_DEP_2)
	v_sub_nc_u32_e32 v2, v2, v9
	v_lshrrev_b32_e32 v6, s49, v6
	s_delay_alu instid0(VALU_DEP_2) | instskip(SKIP_1) | instid1(VALU_DEP_3)
	v_mul_lo_u32 v9, v2, s52
	v_mul_lo_u32 v11, v2, s53
	v_mul_hi_u32 v7, s51, v6
	s_delay_alu instid0(VALU_DEP_1) | instskip(NEXT) | instid1(VALU_DEP_1)
	v_add_nc_u32_e32 v7, v6, v7
	v_lshrrev_b32_e32 v7, s60, v7
	s_delay_alu instid0(VALU_DEP_1) | instskip(SKIP_1) | instid1(VALU_DEP_2)
	v_mul_hi_u32 v10, s62, v7
	v_mul_lo_u32 v12, v7, s50
	v_add_nc_u32_e32 v2, v7, v10
	v_mul_lo_u32 v10, v6, s47
	s_delay_alu instid0(VALU_DEP_3) | instskip(NEXT) | instid1(VALU_DEP_3)
	v_sub_nc_u32_e32 v6, v6, v12
	v_lshrrev_b32_e32 v2, s63, v2
	s_delay_alu instid0(VALU_DEP_2) | instskip(SKIP_2) | instid1(VALU_DEP_4)
	v_mul_lo_u32 v12, v6, s56
	v_mul_lo_u32 v6, v6, s57
	v_sub_nc_u32_e32 v3, v3, v10
	v_mul_lo_u32 v13, v2, s61
	s_delay_alu instid0(VALU_DEP_2) | instskip(SKIP_1) | instid1(VALU_DEP_3)
	v_mul_lo_u32 v10, v3, s54
	v_mul_lo_u32 v3, v3, s55
	v_sub_nc_u32_e32 v7, v7, v13
	s_delay_alu instid0(VALU_DEP_3) | instskip(NEXT) | instid1(VALU_DEP_2)
	v_add3_u32 v0, v9, v0, v10
	v_mul_lo_u32 v13, v7, s58
	v_mul_lo_u32 v7, v7, s59
	v_add3_u32 v1, v11, v1, v3
	s_delay_alu instid0(VALU_DEP_3) | instskip(NEXT) | instid1(VALU_DEP_2)
	v_add3_u32 v0, v12, v0, v13
	v_add3_u32 v1, v6, v1, v7
	s_cbranch_scc0 .LBB257_269
	s_branch .LBB257_272
.LBB257_270:
	s_mov_b32 s37, -1
                                        ; implicit-def: $vgpr0
                                        ; implicit-def: $vgpr1
	s_branch .LBB257_275
.LBB257_271:
	v_dual_mov_b32 v2, v8 :: v_dual_mov_b32 v1, 0
.LBB257_272:
	s_and_b32 s40, s40, 3
	s_delay_alu instid0(SALU_CYCLE_1)
	s_cmp_eq_u32 s40, 0
	s_cbranch_scc1 .LBB257_275
; %bb.273:
	s_lshl_b32 s2, s38, 3
	s_mul_i32 s22, s38, 12
	s_add_u32 s2, s2, s16
	s_addc_u32 s3, s17, 0
	s_add_u32 s2, s2, 0xc4
	s_addc_u32 s3, s3, 0
	;; [unrolled: 2-line block ×3, first 2 shown]
	.p2align	6
.LBB257_274:                            ; =>This Inner Loop Header: Depth=1
	s_clause 0x1
	s_load_b64 s[42:43], s[22:23], 0x4
	s_load_b32 s38, s[22:23], 0xc
	s_load_b64 s[44:45], s[2:3], 0x0
	s_add_u32 s22, s22, 12
	s_addc_u32 s23, s23, 0
	s_add_u32 s2, s2, 8
	s_addc_u32 s3, s3, 0
	s_add_i32 s40, s40, -1
	s_delay_alu instid0(SALU_CYCLE_1) | instskip(SKIP_2) | instid1(VALU_DEP_1)
	s_cmp_lg_u32 s40, 0
	s_waitcnt vmcnt(0) lgkmcnt(0)
	v_mul_hi_u32 v3, s43, v2
	v_add_nc_u32_e32 v3, v2, v3
	s_delay_alu instid0(VALU_DEP_1) | instskip(NEXT) | instid1(VALU_DEP_1)
	v_lshrrev_b32_e32 v3, s38, v3
	v_mul_lo_u32 v6, v3, s42
	s_delay_alu instid0(VALU_DEP_1) | instskip(NEXT) | instid1(VALU_DEP_1)
	v_sub_nc_u32_e32 v2, v2, v6
	v_mad_u64_u32 v[6:7], null, v2, s44, v[0:1]
	v_mad_u64_u32 v[9:10], null, v2, s45, v[1:2]
	v_mov_b32_e32 v2, v3
	s_delay_alu instid0(VALU_DEP_2)
	v_dual_mov_b32 v0, v6 :: v_dual_mov_b32 v1, v9
	s_cbranch_scc1 .LBB257_274
.LBB257_275:
	s_and_not1_b32 vcc_lo, exec_lo, s37
	s_cbranch_vccnz .LBB257_278
; %bb.276:
	s_waitcnt lgkmcnt(0)
	v_mul_hi_u32 v0, s13, v8
	s_and_not1_b32 vcc_lo, exec_lo, s29
	s_delay_alu instid0(VALU_DEP_1) | instskip(NEXT) | instid1(VALU_DEP_1)
	v_add_nc_u32_e32 v0, v8, v0
	v_lshrrev_b32_e32 v2, s14, v0
	s_delay_alu instid0(VALU_DEP_1) | instskip(NEXT) | instid1(VALU_DEP_1)
	v_mul_lo_u32 v0, v2, s12
	v_sub_nc_u32_e32 v1, v8, v0
	s_delay_alu instid0(VALU_DEP_1)
	v_mul_lo_u32 v0, v1, s8
	v_mul_lo_u32 v1, v1, s9
	s_cbranch_vccnz .LBB257_278
; %bb.277:
	s_waitcnt vmcnt(0)
	v_mul_hi_u32 v3, s18, v2
	s_delay_alu instid0(VALU_DEP_1) | instskip(NEXT) | instid1(VALU_DEP_1)
	v_add_nc_u32_e32 v3, v2, v3
	v_lshrrev_b32_e32 v3, s19, v3
	s_delay_alu instid0(VALU_DEP_1) | instskip(NEXT) | instid1(VALU_DEP_1)
	v_mul_lo_u32 v3, v3, s15
	v_sub_nc_u32_e32 v9, v2, v3
	s_delay_alu instid0(VALU_DEP_1) | instskip(NEXT) | instid1(VALU_DEP_1)
	v_mad_u64_u32 v[2:3], null, v9, s10, v[0:1]
	v_mad_u64_u32 v[6:7], null, v9, s11, v[1:2]
	v_mov_b32_e32 v0, v2
	s_delay_alu instid0(VALU_DEP_2)
	v_mov_b32_e32 v1, v6
.LBB257_278:
	v_cmp_gt_i16_e32 vcc_lo, 11, v5
	s_waitcnt lgkmcnt(0)
	s_delay_alu instid0(VALU_DEP_2) | instskip(NEXT) | instid1(VALU_DEP_1)
	v_add_co_u32 v1, s2, s6, v1
	v_add_co_ci_u32_e64 v2, null, s7, 0, s2
	s_mov_b32 s2, 0
	s_cbranch_vccnz .LBB257_285
; %bb.279:
	v_cmp_lt_i16_e32 vcc_lo, 25, v5
	s_cbranch_vccz .LBB257_334
; %bb.280:
	v_cmp_lt_i16_e32 vcc_lo, 28, v5
	s_cbranch_vccz .LBB257_335
	;; [unrolled: 3-line block ×4, first 2 shown]
; %bb.283:
	v_cmp_eq_u16_e32 vcc_lo, 46, v5
	s_mov_b32 s22, 0
	s_cbranch_vccz .LBB257_343
; %bb.284:
	global_load_b32 v3, v[1:2], off
	s_mov_b32 s2, -1
	s_mov_b32 s3, 0
	s_waitcnt vmcnt(0)
	v_lshlrev_b32_e32 v3, 16, v3
	s_branch .LBB257_345
.LBB257_285:
	s_mov_b32 s3, s35
                                        ; implicit-def: $vgpr3
	s_cbranch_execnz .LBB257_482
.LBB257_286:
	s_and_not1_b32 vcc_lo, exec_lo, s2
	s_cbranch_vccnz .LBB257_530
.LBB257_287:
	s_waitcnt vmcnt(0)
	s_delay_alu instid0(VALU_DEP_1)
	v_mul_f32_e32 v1, 0x4f800000, v3
	v_cmp_gt_f32_e32 vcc_lo, 0xf800000, v3
	v_add_co_u32 v0, s37, s4, v0
	s_mov_b32 s23, -1
	s_mov_b32 s22, 0
	v_cndmask_b32_e32 v2, v3, v1, vcc_lo
	s_delay_alu instid0(VALU_DEP_1) | instskip(SKIP_3) | instid1(VALU_DEP_2)
	v_sqrt_f32_e32 v1, v2
	s_waitcnt_depctr 0xfff
	v_add_nc_u32_e32 v3, -1, v1
	v_add_nc_u32_e32 v6, 1, v1
	v_fma_f32 v7, -v3, v1, v2
	s_delay_alu instid0(VALU_DEP_2) | instskip(NEXT) | instid1(VALU_DEP_2)
	v_fma_f32 v9, -v6, v1, v2
	v_cmp_ge_f32_e64 s2, 0, v7
	s_delay_alu instid0(VALU_DEP_1) | instskip(NEXT) | instid1(VALU_DEP_3)
	v_cndmask_b32_e64 v1, v1, v3, s2
	v_cmp_lt_f32_e64 s2, 0, v9
	s_delay_alu instid0(VALU_DEP_1) | instskip(SKIP_1) | instid1(VALU_DEP_2)
	v_cndmask_b32_e64 v1, v1, v6, s2
	v_and_b32_e32 v6, 0xff, v4
	v_mul_f32_e32 v3, 0x37800000, v1
	s_delay_alu instid0(VALU_DEP_2) | instskip(NEXT) | instid1(VALU_DEP_2)
	v_cmp_gt_i16_e64 s2, 11, v6
	v_cndmask_b32_e32 v3, v1, v3, vcc_lo
	v_cmp_class_f32_e64 vcc_lo, v2, 0x260
	v_add_co_ci_u32_e64 v1, null, s5, 0, s37
	s_delay_alu instid0(VALU_DEP_3)
	v_cndmask_b32_e32 v2, v3, v2, vcc_lo
	s_and_b32 vcc_lo, exec_lo, s2
	s_mov_b32 s2, s34
	s_cbranch_vccnz .LBB257_294
; %bb.288:
	v_cmp_lt_i16_e32 vcc_lo, 25, v6
	s_cbranch_vccz .LBB257_336
; %bb.289:
	v_cmp_lt_i16_e32 vcc_lo, 28, v6
	s_cbranch_vccz .LBB257_338
	;; [unrolled: 3-line block ×4, first 2 shown]
; %bb.292:
	v_cmp_eq_u16_e32 vcc_lo, 46, v6
	s_mov_b32 s23, 0
	s_mov_b32 s2, -1
	s_cbranch_vccz .LBB257_349
; %bb.293:
	v_bfe_u32 v3, v2, 16, 1
	v_cmp_o_f32_e32 vcc_lo, v2, v2
	s_mov_b32 s22, -1
	s_mov_b32 s2, 0
	s_delay_alu instid0(VALU_DEP_2) | instskip(NEXT) | instid1(VALU_DEP_1)
	v_add3_u32 v3, v2, v3, 0x7fff
	v_lshrrev_b32_e32 v3, 16, v3
	s_delay_alu instid0(VALU_DEP_1)
	v_cndmask_b32_e32 v3, 0x7fc0, v3, vcc_lo
	global_store_b32 v[0:1], v3, off
	s_branch .LBB257_349
.LBB257_294:
	s_and_b32 vcc_lo, exec_lo, s23
	s_cbranch_vccz .LBB257_418
; %bb.295:
	v_cmp_gt_i16_e32 vcc_lo, 5, v6
	s_mov_b32 s22, -1
	s_cbranch_vccnz .LBB257_316
; %bb.296:
	v_cmp_gt_i16_e32 vcc_lo, 8, v6
	s_cbranch_vccnz .LBB257_306
; %bb.297:
	v_cmp_gt_i16_e32 vcc_lo, 9, v6
	s_cbranch_vccnz .LBB257_303
; %bb.298:
	v_cmp_lt_i16_e32 vcc_lo, 9, v6
	s_cbranch_vccz .LBB257_300
; %bb.299:
	v_cvt_f64_f32_e32 v[9:10], v2
	v_mov_b32_e32 v11, 0
	s_mov_b32 s22, 0
	s_delay_alu instid0(VALU_DEP_1)
	v_mov_b32_e32 v12, v11
	global_store_b128 v[0:1], v[9:12], off
.LBB257_300:
	s_and_not1_b32 vcc_lo, exec_lo, s22
	s_cbranch_vccnz .LBB257_302
; %bb.301:
	v_mov_b32_e32 v3, 0
	global_store_b64 v[0:1], v[2:3], off
.LBB257_302:
	s_mov_b32 s22, 0
.LBB257_303:
	s_delay_alu instid0(SALU_CYCLE_1)
	s_and_not1_b32 vcc_lo, exec_lo, s22
	s_cbranch_vccnz .LBB257_305
; %bb.304:
	v_cvt_f16_f32_e32 v3, v2
	s_delay_alu instid0(VALU_DEP_1)
	v_and_b32_e32 v3, 0xffff, v3
	global_store_b32 v[0:1], v3, off
.LBB257_305:
	s_mov_b32 s22, 0
.LBB257_306:
	s_delay_alu instid0(SALU_CYCLE_1)
	s_and_not1_b32 vcc_lo, exec_lo, s22
	s_cbranch_vccnz .LBB257_315
; %bb.307:
	v_cmp_gt_i16_e32 vcc_lo, 6, v6
	s_mov_b32 s22, -1
	s_cbranch_vccnz .LBB257_313
; %bb.308:
	v_cmp_lt_i16_e32 vcc_lo, 6, v6
	s_cbranch_vccz .LBB257_310
; %bb.309:
	v_cvt_f64_f32_e32 v[9:10], v2
	s_mov_b32 s22, 0
	global_store_b64 v[0:1], v[9:10], off
.LBB257_310:
	s_and_not1_b32 vcc_lo, exec_lo, s22
	s_cbranch_vccnz .LBB257_312
; %bb.311:
	global_store_b32 v[0:1], v2, off
.LBB257_312:
	s_mov_b32 s22, 0
.LBB257_313:
	s_delay_alu instid0(SALU_CYCLE_1)
	s_and_not1_b32 vcc_lo, exec_lo, s22
	s_cbranch_vccnz .LBB257_315
; %bb.314:
	v_cvt_f16_f32_e32 v3, v2
	global_store_b16 v[0:1], v3, off
.LBB257_315:
	s_mov_b32 s22, 0
.LBB257_316:
	s_delay_alu instid0(SALU_CYCLE_1)
	s_and_not1_b32 vcc_lo, exec_lo, s22
	s_cbranch_vccnz .LBB257_332
; %bb.317:
	v_cmp_gt_i16_e32 vcc_lo, 2, v6
	s_mov_b32 s22, -1
	s_cbranch_vccnz .LBB257_327
; %bb.318:
	v_cmp_gt_i16_e32 vcc_lo, 3, v6
	s_cbranch_vccnz .LBB257_324
; %bb.319:
	v_cmp_lt_i16_e32 vcc_lo, 3, v6
	s_cbranch_vccz .LBB257_321
; %bb.320:
	v_trunc_f32_e32 v3, v2
	s_mov_b32 s22, 0
	s_delay_alu instid0(VALU_DEP_1) | instskip(NEXT) | instid1(VALU_DEP_1)
	v_mul_f32_e64 v7, 0x2f800000, |v3|
	v_floor_f32_e32 v7, v7
	s_delay_alu instid0(VALU_DEP_1) | instskip(SKIP_2) | instid1(VALU_DEP_3)
	v_fma_f32 v9, 0xcf800000, v7, |v3|
	v_ashrrev_i32_e32 v3, 31, v3
	v_cvt_u32_f32_e32 v7, v7
	v_cvt_u32_f32_e32 v9, v9
	s_delay_alu instid0(VALU_DEP_2) | instskip(NEXT) | instid1(VALU_DEP_2)
	v_xor_b32_e32 v7, v7, v3
	v_xor_b32_e32 v9, v9, v3
	s_delay_alu instid0(VALU_DEP_1) | instskip(NEXT) | instid1(VALU_DEP_3)
	v_sub_co_u32 v9, vcc_lo, v9, v3
	v_sub_co_ci_u32_e32 v10, vcc_lo, v7, v3, vcc_lo
	global_store_b64 v[0:1], v[9:10], off
.LBB257_321:
	s_and_not1_b32 vcc_lo, exec_lo, s22
	s_cbranch_vccnz .LBB257_323
; %bb.322:
	v_cvt_i32_f32_e32 v3, v2
	global_store_b32 v[0:1], v3, off
.LBB257_323:
	s_mov_b32 s22, 0
.LBB257_324:
	s_delay_alu instid0(SALU_CYCLE_1)
	s_and_not1_b32 vcc_lo, exec_lo, s22
	s_cbranch_vccnz .LBB257_326
; %bb.325:
	v_cvt_i32_f32_e32 v3, v2
	global_store_b16 v[0:1], v3, off
.LBB257_326:
	s_mov_b32 s22, 0
.LBB257_327:
	s_delay_alu instid0(SALU_CYCLE_1)
	s_and_not1_b32 vcc_lo, exec_lo, s22
	s_cbranch_vccnz .LBB257_332
; %bb.328:
	v_cmp_lt_i16_e32 vcc_lo, 0, v6
	s_mov_b32 s22, -1
	s_cbranch_vccz .LBB257_330
; %bb.329:
	v_cvt_i32_f32_e32 v3, v2
	s_mov_b32 s22, 0
	global_store_b8 v[0:1], v3, off
.LBB257_330:
	s_and_not1_b32 vcc_lo, exec_lo, s22
	s_cbranch_vccnz .LBB257_332
; %bb.331:
	v_trunc_f32_e32 v2, v2
	s_delay_alu instid0(VALU_DEP_1) | instskip(NEXT) | instid1(VALU_DEP_1)
	v_mul_f32_e64 v3, 0x2f800000, |v2|
	v_floor_f32_e32 v3, v3
	s_delay_alu instid0(VALU_DEP_1) | instskip(SKIP_1) | instid1(VALU_DEP_2)
	v_fma_f32 v3, 0xcf800000, v3, |v2|
	v_ashrrev_i32_e32 v2, 31, v2
	v_cvt_u32_f32_e32 v3, v3
	s_delay_alu instid0(VALU_DEP_1) | instskip(NEXT) | instid1(VALU_DEP_1)
	v_xor_b32_e32 v3, v3, v2
	v_sub_nc_u32_e32 v2, v3, v2
	global_store_b8 v[0:1], v2, off
.LBB257_332:
	s_branch .LBB257_419
.LBB257_333:
	s_mov_b32 s22, 0
	s_branch .LBB257_531
.LBB257_334:
	s_mov_b32 s22, -1
	s_mov_b32 s3, s35
                                        ; implicit-def: $vgpr3
	s_branch .LBB257_446
.LBB257_335:
	s_mov_b32 s22, -1
	s_mov_b32 s3, s35
                                        ; implicit-def: $vgpr3
	s_branch .LBB257_427
.LBB257_336:
	s_mov_b32 s2, s34
	s_branch .LBB257_376
.LBB257_337:
	s_mov_b32 s22, -1
	s_mov_b32 s3, s35
                                        ; implicit-def: $vgpr3
	s_branch .LBB257_422
.LBB257_338:
	s_mov_b32 s2, s34
	s_branch .LBB257_359
.LBB257_339:
	s_mov_b32 s22, -1
	s_mov_b32 s3, s35
	s_branch .LBB257_344
.LBB257_340:
	s_mov_b32 s2, s34
	s_branch .LBB257_355
.LBB257_341:
	s_or_saveexec_b32 s34, s34
                                        ; implicit-def: $sgpr35
	s_delay_alu instid0(SALU_CYCLE_1)
	s_xor_b32 exec_lo, exec_lo, s34
	s_cbranch_execz .LBB257_65
.LBB257_342:
	v_add_f32_e64 v3, 0x42800000, |v2|
	s_and_not1_b32 s23, s23, exec_lo
	s_mov_b32 s35, 0
	s_delay_alu instid0(VALU_DEP_1) | instskip(NEXT) | instid1(VALU_DEP_1)
	v_and_b32_e32 v3, 0xff, v3
	v_cmp_ne_u32_e32 vcc_lo, 0, v3
	s_and_b32 s38, vcc_lo, exec_lo
	s_delay_alu instid0(SALU_CYCLE_1)
	s_or_b32 s23, s23, s38
	s_or_b32 exec_lo, exec_lo, s34
	v_mov_b32_e32 v7, s35
	s_and_saveexec_b32 s34, s23
	s_cbranch_execnz .LBB257_66
	s_branch .LBB257_67
.LBB257_343:
	s_mov_b32 s3, -1
.LBB257_344:
                                        ; implicit-def: $vgpr3
.LBB257_345:
	s_and_b32 vcc_lo, exec_lo, s22
	s_cbranch_vccz .LBB257_421
; %bb.346:
	v_cmp_eq_u16_e32 vcc_lo, 44, v5
	s_cbranch_vccz .LBB257_420
; %bb.347:
	global_load_u8 v3, v[1:2], off
	s_mov_b32 s3, 0
	s_mov_b32 s2, -1
	s_waitcnt vmcnt(0)
	v_lshlrev_b32_e32 v6, 23, v3
	v_cmp_ne_u32_e32 vcc_lo, 0xff, v3
	s_delay_alu instid0(VALU_DEP_2) | instskip(SKIP_1) | instid1(VALU_DEP_2)
	v_cndmask_b32_e32 v6, 0x7f800001, v6, vcc_lo
	v_cmp_ne_u32_e32 vcc_lo, 0, v3
	v_cndmask_b32_e32 v3, 0x400000, v6, vcc_lo
	s_branch .LBB257_421
.LBB257_348:
	s_mov_b32 s2, s34
.LBB257_349:
	s_and_b32 vcc_lo, exec_lo, s23
	s_cbranch_vccz .LBB257_354
; %bb.350:
	v_cmp_eq_u16_e32 vcc_lo, 44, v6
	s_mov_b32 s2, -1
	s_cbranch_vccz .LBB257_354
; %bb.351:
	v_bfe_u32 v7, v2, 23, 8
	v_mov_b32_e32 v3, 0xff
	s_mov_b32 s22, exec_lo
	s_delay_alu instid0(VALU_DEP_2)
	v_cmpx_ne_u32_e32 0xff, v7
; %bb.352:
	v_and_b32_e32 v3, 0x400000, v2
	v_and_or_b32 v7, 0x3fffff, v2, v7
	s_delay_alu instid0(VALU_DEP_2) | instskip(NEXT) | instid1(VALU_DEP_2)
	v_cmp_ne_u32_e32 vcc_lo, 0, v3
	v_cmp_ne_u32_e64 s2, 0, v7
	v_lshrrev_b32_e32 v3, 23, v2
	s_delay_alu instid0(VALU_DEP_2) | instskip(NEXT) | instid1(SALU_CYCLE_1)
	s_and_b32 s2, vcc_lo, s2
	v_cndmask_b32_e64 v7, 0, 1, s2
	s_delay_alu instid0(VALU_DEP_1)
	v_add_nc_u32_e32 v3, v3, v7
; %bb.353:
	s_or_b32 exec_lo, exec_lo, s22
	s_mov_b32 s22, -1
	s_mov_b32 s2, 0
	global_store_b8 v[0:1], v3, off
.LBB257_354:
	s_mov_b32 s23, 0
.LBB257_355:
	s_delay_alu instid0(SALU_CYCLE_1)
	s_and_b32 vcc_lo, exec_lo, s23
	s_cbranch_vccz .LBB257_358
; %bb.356:
	v_cmp_eq_u16_e32 vcc_lo, 29, v6
	s_mov_b32 s2, -1
	s_cbranch_vccz .LBB257_358
; %bb.357:
	v_trunc_f32_e32 v3, v2
	s_mov_b32 s22, -1
	s_mov_b32 s2, 0
	s_mov_b32 s23, 0
	s_delay_alu instid0(VALU_DEP_1) | instskip(NEXT) | instid1(VALU_DEP_1)
	v_mul_f32_e32 v7, 0x2f800000, v3
	v_floor_f32_e32 v7, v7
	s_delay_alu instid0(VALU_DEP_1) | instskip(SKIP_1) | instid1(VALU_DEP_2)
	v_fmamk_f32 v3, v7, 0xcf800000, v3
	v_cvt_u32_f32_e32 v10, v7
	v_cvt_u32_f32_e32 v9, v3
	global_store_b64 v[0:1], v[9:10], off
	s_branch .LBB257_359
.LBB257_358:
	s_mov_b32 s23, 0
.LBB257_359:
	s_delay_alu instid0(SALU_CYCLE_1)
	s_and_b32 vcc_lo, exec_lo, s23
	s_cbranch_vccz .LBB257_375
; %bb.360:
	v_cmp_gt_i16_e32 vcc_lo, 27, v6
	s_mov_b32 s22, -1
	s_cbranch_vccnz .LBB257_366
; %bb.361:
	v_cmp_lt_i16_e32 vcc_lo, 27, v6
	s_cbranch_vccz .LBB257_363
; %bb.362:
	v_cvt_u32_f32_e32 v3, v2
	s_mov_b32 s22, 0
	global_store_b32 v[0:1], v3, off
.LBB257_363:
	s_and_not1_b32 vcc_lo, exec_lo, s22
	s_cbranch_vccnz .LBB257_365
; %bb.364:
	v_cvt_u32_f32_e32 v3, v2
	global_store_b16 v[0:1], v3, off
.LBB257_365:
	s_mov_b32 s22, 0
.LBB257_366:
	s_delay_alu instid0(SALU_CYCLE_1)
	s_and_not1_b32 vcc_lo, exec_lo, s22
	s_cbranch_vccnz .LBB257_374
; %bb.367:
	v_and_b32_e32 v3, 0x7fffffff, v2
	v_mov_b32_e32 v7, 0x80
	s_mov_b32 s22, exec_lo
	s_delay_alu instid0(VALU_DEP_2)
	v_cmpx_gt_u32_e32 0x43800000, v3
	s_cbranch_execz .LBB257_373
; %bb.368:
	v_cmp_lt_u32_e32 vcc_lo, 0x3bffffff, v3
	s_mov_b32 s23, 0
                                        ; implicit-def: $vgpr3
	s_and_saveexec_b32 s37, vcc_lo
	s_delay_alu instid0(SALU_CYCLE_1)
	s_xor_b32 s37, exec_lo, s37
	s_cbranch_execz .LBB257_559
; %bb.369:
	v_bfe_u32 v3, v2, 20, 1
	s_mov_b32 s23, exec_lo
	s_delay_alu instid0(VALU_DEP_1) | instskip(NEXT) | instid1(VALU_DEP_1)
	v_add3_u32 v3, v2, v3, 0x487ffff
	v_lshrrev_b32_e32 v3, 20, v3
	s_or_saveexec_b32 s37, s37
                                        ; implicit-def: $sgpr38
	s_delay_alu instid0(SALU_CYCLE_1)
	s_xor_b32 exec_lo, exec_lo, s37
	s_cbranch_execnz .LBB257_560
.LBB257_370:
	s_or_b32 exec_lo, exec_lo, s37
	v_mov_b32_e32 v7, s38
	s_and_saveexec_b32 s37, s23
.LBB257_371:
	v_lshrrev_b32_e32 v7, 24, v2
	s_delay_alu instid0(VALU_DEP_1)
	v_and_or_b32 v7, 0x80, v7, v3
.LBB257_372:
	s_or_b32 exec_lo, exec_lo, s37
.LBB257_373:
	s_delay_alu instid0(SALU_CYCLE_1)
	s_or_b32 exec_lo, exec_lo, s22
	global_store_b8 v[0:1], v7, off
.LBB257_374:
	s_mov_b32 s22, -1
.LBB257_375:
	s_mov_b32 s23, 0
.LBB257_376:
	s_delay_alu instid0(SALU_CYCLE_1)
	s_and_b32 vcc_lo, exec_lo, s23
	s_cbranch_vccz .LBB257_417
; %bb.377:
	v_cmp_lt_i16_e32 vcc_lo, 22, v6
	s_mov_b32 s23, -1
	s_cbranch_vccz .LBB257_409
; %bb.378:
	v_cmp_gt_i16_e32 vcc_lo, 24, v6
	s_mov_b32 s22, -1
	s_cbranch_vccnz .LBB257_398
; %bb.379:
	v_cmp_lt_i16_e32 vcc_lo, 24, v6
	s_cbranch_vccz .LBB257_387
; %bb.380:
	v_and_b32_e32 v3, 0x7fffffff, v2
	v_mov_b32_e32 v7, 0x80
	s_mov_b32 s22, exec_lo
	s_delay_alu instid0(VALU_DEP_2)
	v_cmpx_gt_u32_e32 0x47800000, v3
	s_cbranch_execz .LBB257_386
; %bb.381:
	v_cmp_lt_u32_e32 vcc_lo, 0x37ffffff, v3
	s_mov_b32 s23, 0
                                        ; implicit-def: $vgpr3
	s_and_saveexec_b32 s37, vcc_lo
	s_delay_alu instid0(SALU_CYCLE_1)
	s_xor_b32 s37, exec_lo, s37
	s_cbranch_execz .LBB257_562
; %bb.382:
	v_bfe_u32 v3, v2, 21, 1
	s_mov_b32 s23, exec_lo
	s_delay_alu instid0(VALU_DEP_1) | instskip(NEXT) | instid1(VALU_DEP_1)
	v_add3_u32 v3, v2, v3, 0x88fffff
	v_lshrrev_b32_e32 v3, 21, v3
	s_or_saveexec_b32 s37, s37
                                        ; implicit-def: $sgpr38
	s_delay_alu instid0(SALU_CYCLE_1)
	s_xor_b32 exec_lo, exec_lo, s37
	s_cbranch_execnz .LBB257_563
.LBB257_383:
	s_or_b32 exec_lo, exec_lo, s37
	v_mov_b32_e32 v7, s38
	s_and_saveexec_b32 s37, s23
.LBB257_384:
	v_lshrrev_b32_e32 v7, 24, v2
	s_delay_alu instid0(VALU_DEP_1)
	v_and_or_b32 v7, 0x80, v7, v3
.LBB257_385:
	s_or_b32 exec_lo, exec_lo, s37
.LBB257_386:
	s_delay_alu instid0(SALU_CYCLE_1)
	s_or_b32 exec_lo, exec_lo, s22
	s_mov_b32 s22, 0
	global_store_b8 v[0:1], v7, off
.LBB257_387:
	s_and_b32 vcc_lo, exec_lo, s22
	s_cbranch_vccz .LBB257_397
; %bb.388:
	v_and_b32_e32 v7, 0x7fffffff, v2
	s_mov_b32 s22, exec_lo
                                        ; implicit-def: $vgpr3
	s_delay_alu instid0(VALU_DEP_1)
	v_cmpx_gt_u32_e32 0x43f00000, v7
	s_xor_b32 s22, exec_lo, s22
	s_cbranch_execz .LBB257_394
; %bb.389:
	s_mov_b32 s23, exec_lo
                                        ; implicit-def: $vgpr3
	v_cmpx_lt_u32_e32 0x3c7fffff, v7
	s_xor_b32 s23, exec_lo, s23
; %bb.390:
	v_bfe_u32 v3, v2, 20, 1
	s_delay_alu instid0(VALU_DEP_1) | instskip(NEXT) | instid1(VALU_DEP_1)
	v_add3_u32 v3, v2, v3, 0x407ffff
	v_and_b32_e32 v7, 0xff00000, v3
	v_lshrrev_b32_e32 v3, 20, v3
	s_delay_alu instid0(VALU_DEP_2) | instskip(NEXT) | instid1(VALU_DEP_2)
	v_cmp_ne_u32_e32 vcc_lo, 0x7f00000, v7
	v_cndmask_b32_e32 v3, 0x7e, v3, vcc_lo
; %bb.391:
	s_and_not1_saveexec_b32 s23, s23
; %bb.392:
	v_add_f32_e64 v3, 0x46800000, |v2|
; %bb.393:
	s_or_b32 exec_lo, exec_lo, s23
                                        ; implicit-def: $vgpr7
.LBB257_394:
	s_and_not1_saveexec_b32 s22, s22
; %bb.395:
	v_mov_b32_e32 v3, 0x7f
	v_cmp_lt_u32_e32 vcc_lo, 0x7f800000, v7
	s_delay_alu instid0(VALU_DEP_2)
	v_cndmask_b32_e32 v3, 0x7e, v3, vcc_lo
; %bb.396:
	s_or_b32 exec_lo, exec_lo, s22
	v_lshrrev_b32_e32 v7, 24, v2
	s_delay_alu instid0(VALU_DEP_1)
	v_and_or_b32 v3, 0x80, v7, v3
	global_store_b8 v[0:1], v3, off
.LBB257_397:
	s_mov_b32 s22, 0
.LBB257_398:
	s_delay_alu instid0(SALU_CYCLE_1)
	s_and_not1_b32 vcc_lo, exec_lo, s22
	s_cbranch_vccnz .LBB257_408
; %bb.399:
	v_and_b32_e32 v7, 0x7fffffff, v2
	s_mov_b32 s22, exec_lo
                                        ; implicit-def: $vgpr3
	s_delay_alu instid0(VALU_DEP_1)
	v_cmpx_gt_u32_e32 0x47800000, v7
	s_xor_b32 s22, exec_lo, s22
	s_cbranch_execz .LBB257_405
; %bb.400:
	s_mov_b32 s23, exec_lo
                                        ; implicit-def: $vgpr3
	v_cmpx_lt_u32_e32 0x387fffff, v7
	s_xor_b32 s23, exec_lo, s23
; %bb.401:
	v_bfe_u32 v3, v2, 21, 1
	s_delay_alu instid0(VALU_DEP_1) | instskip(NEXT) | instid1(VALU_DEP_1)
	v_add3_u32 v3, v2, v3, 0x80fffff
	v_lshrrev_b32_e32 v3, 21, v3
; %bb.402:
	s_and_not1_saveexec_b32 s23, s23
; %bb.403:
	v_add_f32_e64 v3, 0x43000000, |v2|
; %bb.404:
	s_or_b32 exec_lo, exec_lo, s23
                                        ; implicit-def: $vgpr7
.LBB257_405:
	s_and_not1_saveexec_b32 s22, s22
; %bb.406:
	v_mov_b32_e32 v3, 0x7f
	v_cmp_lt_u32_e32 vcc_lo, 0x7f800000, v7
	s_delay_alu instid0(VALU_DEP_2)
	v_cndmask_b32_e32 v3, 0x7c, v3, vcc_lo
; %bb.407:
	s_or_b32 exec_lo, exec_lo, s22
	v_lshrrev_b32_e32 v7, 24, v2
	s_delay_alu instid0(VALU_DEP_1)
	v_and_or_b32 v3, 0x80, v7, v3
	global_store_b8 v[0:1], v3, off
.LBB257_408:
	s_mov_b32 s23, 0
	s_mov_b32 s22, -1
.LBB257_409:
	s_and_not1_b32 vcc_lo, exec_lo, s23
	s_cbranch_vccnz .LBB257_417
; %bb.410:
	v_cmp_lt_i16_e32 vcc_lo, 14, v6
	s_mov_b32 s23, -1
	s_cbranch_vccz .LBB257_414
; %bb.411:
	v_cmp_eq_u16_e32 vcc_lo, 15, v6
	s_mov_b32 s2, -1
	s_cbranch_vccz .LBB257_413
; %bb.412:
	v_bfe_u32 v3, v2, 16, 1
	v_cmp_o_f32_e32 vcc_lo, v2, v2
	s_mov_b32 s22, -1
	s_mov_b32 s2, 0
	s_delay_alu instid0(VALU_DEP_2) | instskip(NEXT) | instid1(VALU_DEP_1)
	v_add3_u32 v3, v2, v3, 0x7fff
	v_lshrrev_b32_e32 v3, 16, v3
	s_delay_alu instid0(VALU_DEP_1)
	v_cndmask_b32_e32 v3, 0x7fc0, v3, vcc_lo
	global_store_b16 v[0:1], v3, off
.LBB257_413:
	s_mov_b32 s23, 0
.LBB257_414:
	s_delay_alu instid0(SALU_CYCLE_1)
	s_and_b32 vcc_lo, exec_lo, s23
	s_cbranch_vccz .LBB257_417
; %bb.415:
	v_cmp_eq_u16_e32 vcc_lo, 11, v6
	s_mov_b32 s2, -1
	s_cbranch_vccz .LBB257_417
; %bb.416:
	v_cmp_neq_f32_e32 vcc_lo, 0, v2
	s_mov_b32 s2, 0
	s_mov_b32 s22, -1
	v_cndmask_b32_e64 v3, 0, 1, vcc_lo
	global_store_b8 v[0:1], v3, off
.LBB257_417:
.LBB257_418:
	s_and_not1_b32 vcc_lo, exec_lo, s22
	s_cbranch_vccnz .LBB257_333
.LBB257_419:
	v_add_nc_u32_e32 v8, 0x80, v8
	s_mov_b32 s22, -1
	s_branch .LBB257_532
.LBB257_420:
	s_mov_b32 s3, -1
                                        ; implicit-def: $vgpr3
.LBB257_421:
	s_mov_b32 s22, 0
.LBB257_422:
	s_delay_alu instid0(SALU_CYCLE_1)
	s_and_b32 vcc_lo, exec_lo, s22
	s_cbranch_vccz .LBB257_426
; %bb.423:
	v_cmp_eq_u16_e32 vcc_lo, 29, v5
	s_cbranch_vccz .LBB257_425
; %bb.424:
	global_load_b64 v[6:7], v[1:2], off
	s_mov_b32 s2, -1
	s_mov_b32 s3, 0
	s_mov_b32 s22, 0
	s_waitcnt vmcnt(0)
	v_clz_i32_u32_e32 v3, v7
	s_delay_alu instid0(VALU_DEP_1) | instskip(NEXT) | instid1(VALU_DEP_1)
	v_min_u32_e32 v3, 32, v3
	v_lshlrev_b64 v[6:7], v3, v[6:7]
	v_sub_nc_u32_e32 v3, 32, v3
	s_delay_alu instid0(VALU_DEP_2) | instskip(NEXT) | instid1(VALU_DEP_1)
	v_min_u32_e32 v6, 1, v6
	v_or_b32_e32 v6, v7, v6
	s_delay_alu instid0(VALU_DEP_1) | instskip(NEXT) | instid1(VALU_DEP_1)
	v_cvt_f32_u32_e32 v6, v6
	v_ldexp_f32 v3, v6, v3
	s_branch .LBB257_427
.LBB257_425:
	s_mov_b32 s3, -1
                                        ; implicit-def: $vgpr3
.LBB257_426:
	s_mov_b32 s22, 0
.LBB257_427:
	s_delay_alu instid0(SALU_CYCLE_1)
	s_and_b32 vcc_lo, exec_lo, s22
	s_cbranch_vccz .LBB257_445
; %bb.428:
	v_cmp_gt_i16_e32 vcc_lo, 27, v5
	s_cbranch_vccnz .LBB257_431
; %bb.429:
	v_cmp_lt_i16_e32 vcc_lo, 27, v5
	s_cbranch_vccz .LBB257_432
; %bb.430:
	global_load_b32 v3, v[1:2], off
	s_mov_b32 s2, 0
	s_waitcnt vmcnt(0)
	v_cvt_f32_u32_e32 v3, v3
	s_branch .LBB257_433
.LBB257_431:
	s_mov_b32 s2, -1
                                        ; implicit-def: $vgpr3
	s_branch .LBB257_436
.LBB257_432:
	s_mov_b32 s2, -1
                                        ; implicit-def: $vgpr3
.LBB257_433:
	s_delay_alu instid0(SALU_CYCLE_1)
	s_and_not1_b32 vcc_lo, exec_lo, s2
	s_cbranch_vccnz .LBB257_435
; %bb.434:
	global_load_u16 v3, v[1:2], off
	s_waitcnt vmcnt(0)
	v_cvt_f32_u32_e32 v3, v3
.LBB257_435:
	s_mov_b32 s2, 0
.LBB257_436:
	s_delay_alu instid0(SALU_CYCLE_1)
	s_and_not1_b32 vcc_lo, exec_lo, s2
	s_cbranch_vccnz .LBB257_444
; %bb.437:
	global_load_u8 v6, v[1:2], off
	s_mov_b32 s2, 0
	s_mov_b32 s23, exec_lo
                                        ; implicit-def: $sgpr22
	s_waitcnt vmcnt(0)
	v_cmpx_lt_i16_e32 0x7f, v6
	s_xor_b32 s23, exec_lo, s23
	s_cbranch_execz .LBB257_458
; %bb.438:
	s_mov_b32 s2, -1
	s_mov_b32 s37, exec_lo
                                        ; implicit-def: $sgpr22
	v_cmpx_eq_u16_e32 0x80, v6
; %bb.439:
	s_mov_b32 s22, 0x7f800001
	s_xor_b32 s2, exec_lo, -1
; %bb.440:
	s_or_b32 exec_lo, exec_lo, s37
	s_delay_alu instid0(SALU_CYCLE_1)
	s_and_b32 s2, s2, exec_lo
	s_or_saveexec_b32 s23, s23
	v_mov_b32_e32 v3, s22
	s_xor_b32 exec_lo, exec_lo, s23
	s_cbranch_execnz .LBB257_459
.LBB257_441:
	s_or_b32 exec_lo, exec_lo, s23
	s_and_saveexec_b32 s22, s2
	s_cbranch_execz .LBB257_443
.LBB257_442:
	v_and_b32_e32 v3, 0xffff, v6
	v_lshlrev_b32_e32 v6, 24, v6
	s_delay_alu instid0(VALU_DEP_2) | instskip(NEXT) | instid1(VALU_DEP_2)
	v_and_b32_e32 v7, 7, v3
	v_and_b32_e32 v6, 0x80000000, v6
	s_delay_alu instid0(VALU_DEP_2) | instskip(NEXT) | instid1(VALU_DEP_1)
	v_clz_i32_u32_e32 v9, v7
	v_min_u32_e32 v9, 32, v9
	s_delay_alu instid0(VALU_DEP_1) | instskip(SKIP_1) | instid1(VALU_DEP_2)
	v_subrev_nc_u32_e32 v10, 28, v9
	v_sub_nc_u32_e32 v9, 29, v9
	v_lshlrev_b32_e32 v10, v10, v3
	v_bfe_u32 v3, v3, 3, 4
	s_delay_alu instid0(VALU_DEP_1) | instskip(NEXT) | instid1(VALU_DEP_3)
	v_cmp_eq_u32_e32 vcc_lo, 0, v3
	v_dual_cndmask_b32 v3, v3, v9 :: v_dual_and_b32 v10, 7, v10
	s_delay_alu instid0(VALU_DEP_1) | instskip(NEXT) | instid1(VALU_DEP_2)
	v_lshl_add_u32 v3, v3, 23, 0x3b800000
	v_cndmask_b32_e32 v7, v7, v10, vcc_lo
	s_delay_alu instid0(VALU_DEP_1) | instskip(NEXT) | instid1(VALU_DEP_1)
	v_lshlrev_b32_e32 v7, 20, v7
	v_or3_b32 v3, v6, v3, v7
.LBB257_443:
	s_or_b32 exec_lo, exec_lo, s22
.LBB257_444:
	s_mov_b32 s2, -1
.LBB257_445:
	s_mov_b32 s22, 0
.LBB257_446:
	s_delay_alu instid0(SALU_CYCLE_1)
	s_and_b32 vcc_lo, exec_lo, s22
	s_cbranch_vccz .LBB257_481
; %bb.447:
	v_cmp_lt_i16_e32 vcc_lo, 22, v5
	s_cbranch_vccz .LBB257_457
; %bb.448:
	v_cmp_gt_i16_e32 vcc_lo, 24, v5
	s_cbranch_vccnz .LBB257_460
; %bb.449:
	v_cmp_lt_i16_e32 vcc_lo, 24, v5
	s_cbranch_vccz .LBB257_461
; %bb.450:
	global_load_u8 v6, v[1:2], off
	s_mov_b32 s2, 0
	s_mov_b32 s23, exec_lo
                                        ; implicit-def: $sgpr22
	s_waitcnt vmcnt(0)
	v_cmpx_lt_i16_e32 0x7f, v6
	s_xor_b32 s23, exec_lo, s23
	s_cbranch_execz .LBB257_473
; %bb.451:
	s_mov_b32 s2, -1
	s_mov_b32 s37, exec_lo
                                        ; implicit-def: $sgpr22
	v_cmpx_eq_u16_e32 0x80, v6
; %bb.452:
	s_mov_b32 s22, 0x7f800001
	s_xor_b32 s2, exec_lo, -1
; %bb.453:
	s_or_b32 exec_lo, exec_lo, s37
	s_delay_alu instid0(SALU_CYCLE_1)
	s_and_b32 s2, s2, exec_lo
	s_or_saveexec_b32 s23, s23
	v_mov_b32_e32 v3, s22
	s_xor_b32 exec_lo, exec_lo, s23
	s_cbranch_execnz .LBB257_474
.LBB257_454:
	s_or_b32 exec_lo, exec_lo, s23
	s_and_saveexec_b32 s22, s2
	s_cbranch_execz .LBB257_456
.LBB257_455:
	v_and_b32_e32 v3, 0xffff, v6
	v_lshlrev_b32_e32 v6, 24, v6
	s_delay_alu instid0(VALU_DEP_2) | instskip(NEXT) | instid1(VALU_DEP_2)
	v_and_b32_e32 v7, 3, v3
	v_and_b32_e32 v6, 0x80000000, v6
	s_delay_alu instid0(VALU_DEP_2) | instskip(NEXT) | instid1(VALU_DEP_1)
	v_clz_i32_u32_e32 v9, v7
	v_min_u32_e32 v9, 32, v9
	s_delay_alu instid0(VALU_DEP_1) | instskip(SKIP_1) | instid1(VALU_DEP_2)
	v_subrev_nc_u32_e32 v10, 29, v9
	v_sub_nc_u32_e32 v9, 30, v9
	v_lshlrev_b32_e32 v10, v10, v3
	v_bfe_u32 v3, v3, 2, 5
	s_delay_alu instid0(VALU_DEP_1) | instskip(NEXT) | instid1(VALU_DEP_3)
	v_cmp_eq_u32_e32 vcc_lo, 0, v3
	v_dual_cndmask_b32 v3, v3, v9 :: v_dual_and_b32 v10, 3, v10
	s_delay_alu instid0(VALU_DEP_1) | instskip(NEXT) | instid1(VALU_DEP_2)
	v_lshl_add_u32 v3, v3, 23, 0x37800000
	v_cndmask_b32_e32 v7, v7, v10, vcc_lo
	s_delay_alu instid0(VALU_DEP_1) | instskip(NEXT) | instid1(VALU_DEP_1)
	v_lshlrev_b32_e32 v7, 21, v7
	v_or3_b32 v3, v6, v3, v7
.LBB257_456:
	s_or_b32 exec_lo, exec_lo, s22
	s_mov_b32 s2, 0
	s_branch .LBB257_462
.LBB257_457:
	s_mov_b32 s22, -1
                                        ; implicit-def: $vgpr3
	s_branch .LBB257_468
.LBB257_458:
	s_or_saveexec_b32 s23, s23
	v_mov_b32_e32 v3, s22
	s_xor_b32 exec_lo, exec_lo, s23
	s_cbranch_execz .LBB257_441
.LBB257_459:
	v_cmp_ne_u16_e32 vcc_lo, 0, v6
	v_mov_b32_e32 v3, 0
	s_and_not1_b32 s2, s2, exec_lo
	s_and_b32 s22, vcc_lo, exec_lo
	s_delay_alu instid0(SALU_CYCLE_1)
	s_or_b32 s2, s2, s22
	s_or_b32 exec_lo, exec_lo, s23
	s_and_saveexec_b32 s22, s2
	s_cbranch_execnz .LBB257_442
	s_branch .LBB257_443
.LBB257_460:
	s_mov_b32 s2, -1
                                        ; implicit-def: $vgpr3
	s_branch .LBB257_465
.LBB257_461:
	s_mov_b32 s2, -1
                                        ; implicit-def: $vgpr3
.LBB257_462:
	s_delay_alu instid0(SALU_CYCLE_1)
	s_and_b32 vcc_lo, exec_lo, s2
	s_cbranch_vccz .LBB257_464
; %bb.463:
	global_load_u8 v3, v[1:2], off
	s_waitcnt vmcnt(0)
	v_lshlrev_b32_e32 v3, 24, v3
	s_delay_alu instid0(VALU_DEP_1) | instskip(NEXT) | instid1(VALU_DEP_1)
	v_and_b32_e32 v6, 0x7f000000, v3
	v_clz_i32_u32_e32 v7, v6
	v_cmp_ne_u32_e32 vcc_lo, 0, v6
	v_add_nc_u32_e32 v10, 0x1000000, v6
	s_delay_alu instid0(VALU_DEP_3) | instskip(NEXT) | instid1(VALU_DEP_1)
	v_min_u32_e32 v7, 32, v7
	v_sub_nc_u32_e64 v7, v7, 4 clamp
	s_delay_alu instid0(VALU_DEP_1) | instskip(SKIP_1) | instid1(VALU_DEP_2)
	v_lshlrev_b32_e32 v9, v7, v6
	v_lshlrev_b32_e32 v7, 23, v7
	v_lshrrev_b32_e32 v9, 4, v9
	s_delay_alu instid0(VALU_DEP_1) | instskip(SKIP_1) | instid1(VALU_DEP_2)
	v_sub_nc_u32_e32 v7, v9, v7
	v_ashrrev_i32_e32 v9, 8, v10
	v_add_nc_u32_e32 v7, 0x3c000000, v7
	s_delay_alu instid0(VALU_DEP_1) | instskip(NEXT) | instid1(VALU_DEP_1)
	v_and_or_b32 v7, 0x7f800000, v9, v7
	v_cndmask_b32_e32 v6, 0, v7, vcc_lo
	s_delay_alu instid0(VALU_DEP_1)
	v_and_or_b32 v3, 0x80000000, v3, v6
.LBB257_464:
	s_mov_b32 s2, 0
.LBB257_465:
	s_delay_alu instid0(SALU_CYCLE_1)
	s_and_not1_b32 vcc_lo, exec_lo, s2
	s_cbranch_vccnz .LBB257_467
; %bb.466:
	global_load_u8 v3, v[1:2], off
	s_waitcnt vmcnt(0)
	v_lshlrev_b32_e32 v6, 25, v3
	v_lshlrev_b16 v3, 8, v3
	s_delay_alu instid0(VALU_DEP_1) | instskip(SKIP_1) | instid1(VALU_DEP_2)
	v_and_or_b32 v9, 0x7f00, v3, 0.5
	v_bfe_i32 v3, v3, 0, 16
	v_add_f32_e32 v9, -0.5, v9
	v_lshrrev_b32_e32 v7, 4, v6
	v_cmp_gt_u32_e32 vcc_lo, 0x8000000, v6
	s_delay_alu instid0(VALU_DEP_2) | instskip(NEXT) | instid1(VALU_DEP_1)
	v_or_b32_e32 v7, 0x70000000, v7
	v_mul_f32_e32 v7, 0x7800000, v7
	s_delay_alu instid0(VALU_DEP_1) | instskip(NEXT) | instid1(VALU_DEP_1)
	v_cndmask_b32_e32 v6, v7, v9, vcc_lo
	v_and_or_b32 v3, 0x80000000, v3, v6
.LBB257_467:
	s_mov_b32 s22, 0
	s_mov_b32 s2, -1
.LBB257_468:
	s_and_not1_b32 vcc_lo, exec_lo, s22
	s_cbranch_vccnz .LBB257_481
; %bb.469:
	v_cmp_lt_i16_e32 vcc_lo, 14, v5
	s_cbranch_vccz .LBB257_472
; %bb.470:
	v_cmp_eq_u16_e32 vcc_lo, 15, v5
	s_cbranch_vccz .LBB257_475
; %bb.471:
	global_load_u16 v3, v[1:2], off
	s_mov_b32 s2, -1
	s_mov_b32 s3, 0
	s_waitcnt vmcnt(0)
	v_lshlrev_b32_e32 v3, 16, v3
	s_branch .LBB257_476
.LBB257_472:
	s_mov_b32 s22, -1
                                        ; implicit-def: $vgpr3
	s_branch .LBB257_477
.LBB257_473:
	s_or_saveexec_b32 s23, s23
	v_mov_b32_e32 v3, s22
	s_xor_b32 exec_lo, exec_lo, s23
	s_cbranch_execz .LBB257_454
.LBB257_474:
	v_cmp_ne_u16_e32 vcc_lo, 0, v6
	v_mov_b32_e32 v3, 0
	s_and_not1_b32 s2, s2, exec_lo
	s_and_b32 s22, vcc_lo, exec_lo
	s_delay_alu instid0(SALU_CYCLE_1)
	s_or_b32 s2, s2, s22
	s_or_b32 exec_lo, exec_lo, s23
	s_and_saveexec_b32 s22, s2
	s_cbranch_execnz .LBB257_455
	s_branch .LBB257_456
.LBB257_475:
	s_mov_b32 s3, -1
                                        ; implicit-def: $vgpr3
.LBB257_476:
	s_mov_b32 s22, 0
.LBB257_477:
	s_delay_alu instid0(SALU_CYCLE_1)
	s_and_b32 vcc_lo, exec_lo, s22
	s_cbranch_vccz .LBB257_481
; %bb.478:
	v_cmp_eq_u16_e32 vcc_lo, 11, v5
	s_cbranch_vccz .LBB257_480
; %bb.479:
	global_load_u8 v3, v[1:2], off
	s_mov_b32 s3, 0
	s_mov_b32 s2, -1
	s_waitcnt vmcnt(0)
	v_cmp_ne_u16_e32 vcc_lo, 0, v3
	v_cndmask_b32_e64 v3, 0, 1.0, vcc_lo
	s_branch .LBB257_481
.LBB257_480:
	s_mov_b32 s3, -1
                                        ; implicit-def: $vgpr3
.LBB257_481:
	s_branch .LBB257_286
.LBB257_482:
	v_cmp_gt_i16_e32 vcc_lo, 5, v5
	s_cbranch_vccnz .LBB257_487
; %bb.483:
	v_cmp_gt_i16_e32 vcc_lo, 8, v5
	s_cbranch_vccnz .LBB257_488
; %bb.484:
	;; [unrolled: 3-line block ×3, first 2 shown]
	v_cmp_lt_i16_e32 vcc_lo, 9, v5
	s_cbranch_vccz .LBB257_490
; %bb.486:
	global_load_b64 v[6:7], v[1:2], off
	s_mov_b32 s2, 0
	s_waitcnt vmcnt(0)
	v_cvt_f32_f64_e32 v3, v[6:7]
	s_branch .LBB257_491
.LBB257_487:
	s_mov_b32 s2, -1
                                        ; implicit-def: $vgpr3
	s_branch .LBB257_509
.LBB257_488:
	s_mov_b32 s2, -1
                                        ; implicit-def: $vgpr3
	s_branch .LBB257_497
.LBB257_489:
	s_mov_b32 s2, -1
                                        ; implicit-def: $vgpr3
	s_branch .LBB257_494
.LBB257_490:
	s_mov_b32 s2, -1
                                        ; implicit-def: $vgpr3
.LBB257_491:
	s_delay_alu instid0(SALU_CYCLE_1)
	s_and_not1_b32 vcc_lo, exec_lo, s2
	s_cbranch_vccnz .LBB257_493
; %bb.492:
	global_load_b32 v3, v[1:2], off
.LBB257_493:
	s_mov_b32 s2, 0
.LBB257_494:
	s_delay_alu instid0(SALU_CYCLE_1)
	s_and_not1_b32 vcc_lo, exec_lo, s2
	s_cbranch_vccnz .LBB257_496
; %bb.495:
	global_load_b32 v3, v[1:2], off
	s_waitcnt vmcnt(0)
	v_cvt_f32_f16_e32 v3, v3
.LBB257_496:
	s_mov_b32 s2, 0
.LBB257_497:
	s_delay_alu instid0(SALU_CYCLE_1)
	s_and_not1_b32 vcc_lo, exec_lo, s2
	s_cbranch_vccnz .LBB257_508
; %bb.498:
	v_cmp_gt_i16_e32 vcc_lo, 6, v5
	s_cbranch_vccnz .LBB257_501
; %bb.499:
	v_cmp_lt_i16_e32 vcc_lo, 6, v5
	s_cbranch_vccz .LBB257_502
; %bb.500:
	global_load_b64 v[6:7], v[1:2], off
	s_mov_b32 s2, 0
	s_waitcnt vmcnt(0)
	v_cvt_f32_f64_e32 v3, v[6:7]
	s_branch .LBB257_503
.LBB257_501:
	s_mov_b32 s2, -1
                                        ; implicit-def: $vgpr3
	s_branch .LBB257_506
.LBB257_502:
	s_mov_b32 s2, -1
                                        ; implicit-def: $vgpr3
.LBB257_503:
	s_delay_alu instid0(SALU_CYCLE_1)
	s_and_not1_b32 vcc_lo, exec_lo, s2
	s_cbranch_vccnz .LBB257_505
; %bb.504:
	global_load_b32 v3, v[1:2], off
.LBB257_505:
	s_mov_b32 s2, 0
.LBB257_506:
	s_delay_alu instid0(SALU_CYCLE_1)
	s_and_not1_b32 vcc_lo, exec_lo, s2
	s_cbranch_vccnz .LBB257_508
; %bb.507:
	global_load_u16 v3, v[1:2], off
	s_waitcnt vmcnt(0)
	v_cvt_f32_f16_e32 v3, v3
.LBB257_508:
	s_mov_b32 s2, 0
.LBB257_509:
	s_delay_alu instid0(SALU_CYCLE_1)
	s_and_not1_b32 vcc_lo, exec_lo, s2
	s_cbranch_vccnz .LBB257_529
; %bb.510:
	v_cmp_gt_i16_e32 vcc_lo, 2, v5
	s_cbranch_vccnz .LBB257_514
; %bb.511:
	v_cmp_gt_i16_e32 vcc_lo, 3, v5
	s_cbranch_vccnz .LBB257_515
; %bb.512:
	v_cmp_lt_i16_e32 vcc_lo, 3, v5
	s_cbranch_vccz .LBB257_516
; %bb.513:
	global_load_b64 v[6:7], v[1:2], off
	s_mov_b32 s2, 0
	s_waitcnt vmcnt(0)
	v_xor_b32_e32 v3, v6, v7
	v_cls_i32_e32 v9, v7
	s_delay_alu instid0(VALU_DEP_2) | instskip(NEXT) | instid1(VALU_DEP_2)
	v_ashrrev_i32_e32 v3, 31, v3
	v_add_nc_u32_e32 v9, -1, v9
	s_delay_alu instid0(VALU_DEP_2) | instskip(NEXT) | instid1(VALU_DEP_1)
	v_add_nc_u32_e32 v3, 32, v3
	v_min_u32_e32 v3, v9, v3
	s_delay_alu instid0(VALU_DEP_1) | instskip(SKIP_1) | instid1(VALU_DEP_2)
	v_lshlrev_b64 v[6:7], v3, v[6:7]
	v_sub_nc_u32_e32 v3, 32, v3
	v_min_u32_e32 v6, 1, v6
	s_delay_alu instid0(VALU_DEP_1) | instskip(NEXT) | instid1(VALU_DEP_1)
	v_or_b32_e32 v6, v7, v6
	v_cvt_f32_i32_e32 v6, v6
	s_delay_alu instid0(VALU_DEP_1)
	v_ldexp_f32 v3, v6, v3
	s_branch .LBB257_517
.LBB257_514:
	s_mov_b32 s2, -1
                                        ; implicit-def: $vgpr3
	s_branch .LBB257_523
.LBB257_515:
	s_mov_b32 s2, -1
                                        ; implicit-def: $vgpr3
	s_branch .LBB257_520
.LBB257_516:
	s_mov_b32 s2, -1
                                        ; implicit-def: $vgpr3
.LBB257_517:
	s_delay_alu instid0(SALU_CYCLE_1)
	s_and_not1_b32 vcc_lo, exec_lo, s2
	s_cbranch_vccnz .LBB257_519
; %bb.518:
	global_load_b32 v3, v[1:2], off
	s_waitcnt vmcnt(0)
	v_cvt_f32_i32_e32 v3, v3
.LBB257_519:
	s_mov_b32 s2, 0
.LBB257_520:
	s_delay_alu instid0(SALU_CYCLE_1)
	s_and_not1_b32 vcc_lo, exec_lo, s2
	s_cbranch_vccnz .LBB257_522
; %bb.521:
	global_load_i16 v3, v[1:2], off
	s_waitcnt vmcnt(0)
	v_cvt_f32_i32_e32 v3, v3
.LBB257_522:
	s_mov_b32 s2, 0
.LBB257_523:
	s_delay_alu instid0(SALU_CYCLE_1)
	s_and_not1_b32 vcc_lo, exec_lo, s2
	s_cbranch_vccnz .LBB257_529
; %bb.524:
	v_cmp_lt_i16_e32 vcc_lo, 0, v5
	s_mov_b32 s2, 0
	s_cbranch_vccz .LBB257_526
; %bb.525:
	global_load_i8 v3, v[1:2], off
	s_waitcnt vmcnt(0)
	v_cvt_f32_i32_e32 v3, v3
	s_branch .LBB257_527
.LBB257_526:
	s_mov_b32 s2, -1
                                        ; implicit-def: $vgpr3
.LBB257_527:
	s_delay_alu instid0(SALU_CYCLE_1)
	s_and_not1_b32 vcc_lo, exec_lo, s2
	s_cbranch_vccnz .LBB257_529
; %bb.528:
	global_load_u8 v1, v[1:2], off
	s_waitcnt vmcnt(0)
	v_cvt_f32_ubyte0_e32 v3, v1
.LBB257_529:
	s_branch .LBB257_287
.LBB257_530:
	s_mov_b32 s22, 0
	s_mov_b32 s2, s34
.LBB257_531:
                                        ; implicit-def: $vgpr8
.LBB257_532:
	s_and_not1_b32 s23, s34, exec_lo
	s_and_b32 s2, s2, exec_lo
	s_and_not1_b32 s37, s35, exec_lo
	s_and_b32 s3, s3, exec_lo
	s_or_b32 s38, s23, s2
	s_or_b32 s37, s37, s3
	s_or_not1_b32 s2, s22, exec_lo
.LBB257_533:
	s_or_b32 exec_lo, exec_lo, s39
	s_mov_b32 s3, 0
	s_mov_b32 s23, 0
	;; [unrolled: 1-line block ×3, first 2 shown]
                                        ; implicit-def: $vgpr1_vgpr2
                                        ; implicit-def: $vgpr0
                                        ; implicit-def: $vgpr6
	s_and_saveexec_b32 s39, s2
	s_cbranch_execz .LBB257_905
; %bb.534:
	s_mov_b32 s42, -1
	s_mov_b32 s22, s37
	s_mov_b32 s23, s38
	s_mov_b32 s40, exec_lo
	v_cmpx_gt_i32_e64 s30, v8
	s_cbranch_execz .LBB257_806
; %bb.535:
	s_and_not1_b32 vcc_lo, exec_lo, s27
	s_cbranch_vccnz .LBB257_540
; %bb.536:
	v_dual_mov_b32 v0, 0 :: v_dual_mov_b32 v1, 0
	s_and_not1_b32 vcc_lo, exec_lo, s33
	s_mov_b32 s41, 0
	s_cbranch_vccnz .LBB257_545
; %bb.537:
	v_mov_b32_e32 v0, 0
	s_add_i32 s43, s31, 1
	s_cmp_eq_u32 s25, 2
	s_mov_b32 s42, 0
	s_cbranch_scc1 .LBB257_541
; %bb.538:
	v_dual_mov_b32 v1, 0 :: v_dual_mov_b32 v0, 0
	v_mov_b32_e32 v2, v8
	s_and_b32 s42, s43, 28
	s_mov_b32 s44, 0
	s_mov_b64 s[2:3], s[20:21]
	s_mov_b64 s[22:23], s[16:17]
.LBB257_539:                            ; =>This Inner Loop Header: Depth=1
	s_clause 0x1
	s_load_b256 s[48:55], s[22:23], 0x4
	s_load_b128 s[64:67], s[22:23], 0x24
	s_load_b256 s[56:63], s[2:3], 0x0
	s_add_u32 s22, s22, 48
	s_addc_u32 s23, s23, 0
	s_add_i32 s44, s44, 4
	s_add_u32 s2, s2, 32
	s_addc_u32 s3, s3, 0
	s_cmp_eq_u32 s42, s44
	s_waitcnt vmcnt(0) lgkmcnt(0)
	v_mul_hi_u32 v3, s49, v2
	s_delay_alu instid0(VALU_DEP_1) | instskip(NEXT) | instid1(VALU_DEP_1)
	v_add_nc_u32_e32 v3, v2, v3
	v_lshrrev_b32_e32 v3, s50, v3
	s_delay_alu instid0(VALU_DEP_1) | instskip(SKIP_1) | instid1(VALU_DEP_2)
	v_mul_hi_u32 v6, s52, v3
	v_mul_lo_u32 v9, v3, s48
	v_add_nc_u32_e32 v6, v3, v6
	s_delay_alu instid0(VALU_DEP_2) | instskip(NEXT) | instid1(VALU_DEP_2)
	v_sub_nc_u32_e32 v2, v2, v9
	v_lshrrev_b32_e32 v6, s53, v6
	s_delay_alu instid0(VALU_DEP_2) | instskip(SKIP_1) | instid1(VALU_DEP_3)
	v_mul_lo_u32 v9, v2, s56
	v_mul_lo_u32 v11, v2, s57
	v_mul_hi_u32 v7, s55, v6
	s_delay_alu instid0(VALU_DEP_1) | instskip(NEXT) | instid1(VALU_DEP_1)
	v_add_nc_u32_e32 v7, v6, v7
	v_lshrrev_b32_e32 v7, s64, v7
	s_delay_alu instid0(VALU_DEP_1) | instskip(SKIP_1) | instid1(VALU_DEP_2)
	v_mul_hi_u32 v10, s66, v7
	v_mul_lo_u32 v12, v7, s54
	v_add_nc_u32_e32 v2, v7, v10
	v_mul_lo_u32 v10, v6, s51
	s_delay_alu instid0(VALU_DEP_3) | instskip(NEXT) | instid1(VALU_DEP_3)
	v_sub_nc_u32_e32 v6, v6, v12
	v_lshrrev_b32_e32 v2, s67, v2
	s_delay_alu instid0(VALU_DEP_2) | instskip(SKIP_2) | instid1(VALU_DEP_4)
	v_mul_lo_u32 v12, v6, s60
	v_mul_lo_u32 v6, v6, s61
	v_sub_nc_u32_e32 v3, v3, v10
	v_mul_lo_u32 v13, v2, s65
	s_delay_alu instid0(VALU_DEP_2) | instskip(SKIP_1) | instid1(VALU_DEP_3)
	v_mul_lo_u32 v10, v3, s58
	v_mul_lo_u32 v3, v3, s59
	v_sub_nc_u32_e32 v7, v7, v13
	s_delay_alu instid0(VALU_DEP_3) | instskip(NEXT) | instid1(VALU_DEP_2)
	v_add3_u32 v0, v9, v0, v10
	v_mul_lo_u32 v13, v7, s62
	v_mul_lo_u32 v7, v7, s63
	v_add3_u32 v1, v11, v1, v3
	s_delay_alu instid0(VALU_DEP_3) | instskip(NEXT) | instid1(VALU_DEP_2)
	v_add3_u32 v0, v12, v0, v13
	v_add3_u32 v1, v6, v1, v7
	s_cbranch_scc0 .LBB257_539
	s_branch .LBB257_542
.LBB257_540:
	s_mov_b32 s41, -1
                                        ; implicit-def: $vgpr0
                                        ; implicit-def: $vgpr1
	s_branch .LBB257_545
.LBB257_541:
	v_dual_mov_b32 v2, v8 :: v_dual_mov_b32 v1, 0
.LBB257_542:
	s_and_b32 s43, s43, 3
	s_delay_alu instid0(SALU_CYCLE_1)
	s_cmp_eq_u32 s43, 0
	s_cbranch_scc1 .LBB257_545
; %bb.543:
	s_lshl_b32 s2, s42, 3
	s_mul_i32 s22, s42, 12
	s_add_u32 s2, s2, s16
	s_addc_u32 s3, s17, 0
	s_add_u32 s2, s2, 0xc4
	s_addc_u32 s3, s3, 0
	;; [unrolled: 2-line block ×3, first 2 shown]
	.p2align	6
.LBB257_544:                            ; =>This Inner Loop Header: Depth=1
	s_clause 0x1
	s_load_b64 s[44:45], s[22:23], 0x4
	s_load_b32 s42, s[22:23], 0xc
	s_load_b64 s[46:47], s[2:3], 0x0
	s_add_u32 s22, s22, 12
	s_addc_u32 s23, s23, 0
	s_add_u32 s2, s2, 8
	s_addc_u32 s3, s3, 0
	s_add_i32 s43, s43, -1
	s_delay_alu instid0(SALU_CYCLE_1) | instskip(SKIP_2) | instid1(VALU_DEP_1)
	s_cmp_lg_u32 s43, 0
	s_waitcnt vmcnt(0) lgkmcnt(0)
	v_mul_hi_u32 v3, s45, v2
	v_add_nc_u32_e32 v3, v2, v3
	s_delay_alu instid0(VALU_DEP_1) | instskip(NEXT) | instid1(VALU_DEP_1)
	v_lshrrev_b32_e32 v3, s42, v3
	v_mul_lo_u32 v6, v3, s44
	s_delay_alu instid0(VALU_DEP_1) | instskip(NEXT) | instid1(VALU_DEP_1)
	v_sub_nc_u32_e32 v2, v2, v6
	v_mad_u64_u32 v[6:7], null, v2, s46, v[0:1]
	v_mad_u64_u32 v[9:10], null, v2, s47, v[1:2]
	v_mov_b32_e32 v2, v3
	s_delay_alu instid0(VALU_DEP_2)
	v_dual_mov_b32 v0, v6 :: v_dual_mov_b32 v1, v9
	s_cbranch_scc1 .LBB257_544
.LBB257_545:
	s_and_not1_b32 vcc_lo, exec_lo, s41
	s_cbranch_vccnz .LBB257_548
; %bb.546:
	s_waitcnt lgkmcnt(0)
	v_mul_hi_u32 v0, s13, v8
	s_and_not1_b32 vcc_lo, exec_lo, s29
	s_delay_alu instid0(VALU_DEP_1) | instskip(NEXT) | instid1(VALU_DEP_1)
	v_add_nc_u32_e32 v0, v8, v0
	v_lshrrev_b32_e32 v2, s14, v0
	s_delay_alu instid0(VALU_DEP_1) | instskip(NEXT) | instid1(VALU_DEP_1)
	v_mul_lo_u32 v0, v2, s12
	v_sub_nc_u32_e32 v1, v8, v0
	s_delay_alu instid0(VALU_DEP_1)
	v_mul_lo_u32 v0, v1, s8
	v_mul_lo_u32 v1, v1, s9
	s_cbranch_vccnz .LBB257_548
; %bb.547:
	s_waitcnt vmcnt(0)
	v_mul_hi_u32 v3, s18, v2
	s_delay_alu instid0(VALU_DEP_1) | instskip(NEXT) | instid1(VALU_DEP_1)
	v_add_nc_u32_e32 v3, v2, v3
	v_lshrrev_b32_e32 v3, s19, v3
	s_delay_alu instid0(VALU_DEP_1) | instskip(NEXT) | instid1(VALU_DEP_1)
	v_mul_lo_u32 v3, v3, s15
	v_sub_nc_u32_e32 v9, v2, v3
	s_delay_alu instid0(VALU_DEP_1) | instskip(NEXT) | instid1(VALU_DEP_1)
	v_mad_u64_u32 v[2:3], null, v9, s10, v[0:1]
	v_mad_u64_u32 v[6:7], null, v9, s11, v[1:2]
	v_mov_b32_e32 v0, v2
	s_delay_alu instid0(VALU_DEP_2)
	v_mov_b32_e32 v1, v6
.LBB257_548:
	v_cmp_gt_i16_e32 vcc_lo, 11, v5
	s_waitcnt lgkmcnt(0)
	s_delay_alu instid0(VALU_DEP_2) | instskip(NEXT) | instid1(VALU_DEP_1)
	v_add_co_u32 v1, s2, s6, v1
	v_add_co_ci_u32_e64 v2, null, s7, 0, s2
	s_mov_b32 s2, 0
	s_cbranch_vccnz .LBB257_555
; %bb.549:
	v_cmp_lt_i16_e32 vcc_lo, 25, v5
	s_cbranch_vccz .LBB257_556
; %bb.550:
	v_cmp_lt_i16_e32 vcc_lo, 28, v5
	s_cbranch_vccz .LBB257_557
	;; [unrolled: 3-line block ×4, first 2 shown]
; %bb.553:
	v_cmp_eq_u16_e32 vcc_lo, 46, v5
	s_mov_b32 s22, 0
	s_cbranch_vccz .LBB257_564
; %bb.554:
	global_load_b32 v3, v[1:2], off
	s_mov_b32 s2, -1
	s_mov_b32 s3, 0
	s_waitcnt vmcnt(0)
	v_lshlrev_b32_e32 v3, 16, v3
	s_branch .LBB257_566
.LBB257_555:
	s_mov_b32 s22, -1
	s_mov_b32 s3, s37
                                        ; implicit-def: $vgpr3
	s_branch .LBB257_631
.LBB257_556:
	s_mov_b32 s22, -1
	s_mov_b32 s3, s37
                                        ; implicit-def: $vgpr3
	s_branch .LBB257_595
.LBB257_557:
	s_mov_b32 s22, -1
	s_mov_b32 s3, s37
                                        ; implicit-def: $vgpr3
	s_branch .LBB257_576
.LBB257_558:
	s_mov_b32 s22, -1
	s_mov_b32 s3, s37
                                        ; implicit-def: $vgpr3
	s_branch .LBB257_571
.LBB257_559:
	s_or_saveexec_b32 s37, s37
                                        ; implicit-def: $sgpr38
	s_delay_alu instid0(SALU_CYCLE_1)
	s_xor_b32 exec_lo, exec_lo, s37
	s_cbranch_execz .LBB257_370
.LBB257_560:
	v_add_f32_e64 v3, 0x46000000, |v2|
	s_and_not1_b32 s23, s23, exec_lo
	s_mov_b32 s38, 0
	s_delay_alu instid0(VALU_DEP_1) | instskip(NEXT) | instid1(VALU_DEP_1)
	v_and_b32_e32 v3, 0xff, v3
	v_cmp_ne_u32_e32 vcc_lo, 0, v3
	s_and_b32 s40, vcc_lo, exec_lo
	s_delay_alu instid0(SALU_CYCLE_1)
	s_or_b32 s23, s23, s40
	s_or_b32 exec_lo, exec_lo, s37
	v_mov_b32_e32 v7, s38
	s_and_saveexec_b32 s37, s23
	s_cbranch_execnz .LBB257_371
	s_branch .LBB257_372
.LBB257_561:
	s_mov_b32 s22, -1
	s_mov_b32 s3, s37
	s_branch .LBB257_565
.LBB257_562:
	s_or_saveexec_b32 s37, s37
                                        ; implicit-def: $sgpr38
	s_delay_alu instid0(SALU_CYCLE_1)
	s_xor_b32 exec_lo, exec_lo, s37
	s_cbranch_execz .LBB257_383
.LBB257_563:
	v_add_f32_e64 v3, 0x42800000, |v2|
	s_and_not1_b32 s23, s23, exec_lo
	s_mov_b32 s38, 0
	s_delay_alu instid0(VALU_DEP_1) | instskip(NEXT) | instid1(VALU_DEP_1)
	v_and_b32_e32 v3, 0xff, v3
	v_cmp_ne_u32_e32 vcc_lo, 0, v3
	s_and_b32 s40, vcc_lo, exec_lo
	s_delay_alu instid0(SALU_CYCLE_1)
	s_or_b32 s23, s23, s40
	s_or_b32 exec_lo, exec_lo, s37
	v_mov_b32_e32 v7, s38
	s_and_saveexec_b32 s37, s23
	s_cbranch_execnz .LBB257_384
	s_branch .LBB257_385
.LBB257_564:
	s_mov_b32 s3, -1
.LBB257_565:
                                        ; implicit-def: $vgpr3
.LBB257_566:
	s_and_b32 vcc_lo, exec_lo, s22
	s_cbranch_vccz .LBB257_570
; %bb.567:
	v_cmp_eq_u16_e32 vcc_lo, 44, v5
	s_cbranch_vccz .LBB257_569
; %bb.568:
	global_load_u8 v3, v[1:2], off
	s_mov_b32 s3, 0
	s_mov_b32 s2, -1
	s_waitcnt vmcnt(0)
	v_lshlrev_b32_e32 v6, 23, v3
	v_cmp_ne_u32_e32 vcc_lo, 0xff, v3
	s_delay_alu instid0(VALU_DEP_2) | instskip(SKIP_1) | instid1(VALU_DEP_2)
	v_cndmask_b32_e32 v6, 0x7f800001, v6, vcc_lo
	v_cmp_ne_u32_e32 vcc_lo, 0, v3
	v_cndmask_b32_e32 v3, 0x400000, v6, vcc_lo
	s_branch .LBB257_570
.LBB257_569:
	s_mov_b32 s3, -1
                                        ; implicit-def: $vgpr3
.LBB257_570:
	s_mov_b32 s22, 0
.LBB257_571:
	s_delay_alu instid0(SALU_CYCLE_1)
	s_and_b32 vcc_lo, exec_lo, s22
	s_cbranch_vccz .LBB257_575
; %bb.572:
	v_cmp_eq_u16_e32 vcc_lo, 29, v5
	s_cbranch_vccz .LBB257_574
; %bb.573:
	global_load_b64 v[6:7], v[1:2], off
	s_mov_b32 s2, -1
	s_mov_b32 s3, 0
	s_mov_b32 s22, 0
	s_waitcnt vmcnt(0)
	v_clz_i32_u32_e32 v3, v7
	s_delay_alu instid0(VALU_DEP_1) | instskip(NEXT) | instid1(VALU_DEP_1)
	v_min_u32_e32 v3, 32, v3
	v_lshlrev_b64 v[6:7], v3, v[6:7]
	v_sub_nc_u32_e32 v3, 32, v3
	s_delay_alu instid0(VALU_DEP_2) | instskip(NEXT) | instid1(VALU_DEP_1)
	v_min_u32_e32 v6, 1, v6
	v_or_b32_e32 v6, v7, v6
	s_delay_alu instid0(VALU_DEP_1) | instskip(NEXT) | instid1(VALU_DEP_1)
	v_cvt_f32_u32_e32 v6, v6
	v_ldexp_f32 v3, v6, v3
	s_branch .LBB257_576
.LBB257_574:
	s_mov_b32 s3, -1
                                        ; implicit-def: $vgpr3
.LBB257_575:
	s_mov_b32 s22, 0
.LBB257_576:
	s_delay_alu instid0(SALU_CYCLE_1)
	s_and_b32 vcc_lo, exec_lo, s22
	s_cbranch_vccz .LBB257_594
; %bb.577:
	v_cmp_gt_i16_e32 vcc_lo, 27, v5
	s_cbranch_vccnz .LBB257_580
; %bb.578:
	v_cmp_lt_i16_e32 vcc_lo, 27, v5
	s_cbranch_vccz .LBB257_581
; %bb.579:
	global_load_b32 v3, v[1:2], off
	s_mov_b32 s2, 0
	s_waitcnt vmcnt(0)
	v_cvt_f32_u32_e32 v3, v3
	s_branch .LBB257_582
.LBB257_580:
	s_mov_b32 s2, -1
                                        ; implicit-def: $vgpr3
	s_branch .LBB257_585
.LBB257_581:
	s_mov_b32 s2, -1
                                        ; implicit-def: $vgpr3
.LBB257_582:
	s_delay_alu instid0(SALU_CYCLE_1)
	s_and_not1_b32 vcc_lo, exec_lo, s2
	s_cbranch_vccnz .LBB257_584
; %bb.583:
	global_load_u16 v3, v[1:2], off
	s_waitcnt vmcnt(0)
	v_cvt_f32_u32_e32 v3, v3
.LBB257_584:
	s_mov_b32 s2, 0
.LBB257_585:
	s_delay_alu instid0(SALU_CYCLE_1)
	s_and_not1_b32 vcc_lo, exec_lo, s2
	s_cbranch_vccnz .LBB257_593
; %bb.586:
	global_load_u8 v6, v[1:2], off
	s_mov_b32 s2, 0
	s_mov_b32 s23, exec_lo
                                        ; implicit-def: $sgpr22
	s_waitcnt vmcnt(0)
	v_cmpx_lt_i16_e32 0x7f, v6
	s_xor_b32 s23, exec_lo, s23
	s_cbranch_execz .LBB257_607
; %bb.587:
	s_mov_b32 s2, -1
	s_mov_b32 s41, exec_lo
                                        ; implicit-def: $sgpr22
	v_cmpx_eq_u16_e32 0x80, v6
; %bb.588:
	s_mov_b32 s22, 0x7f800001
	s_xor_b32 s2, exec_lo, -1
; %bb.589:
	s_or_b32 exec_lo, exec_lo, s41
	s_delay_alu instid0(SALU_CYCLE_1)
	s_and_b32 s2, s2, exec_lo
	s_or_saveexec_b32 s23, s23
	v_mov_b32_e32 v3, s22
	s_xor_b32 exec_lo, exec_lo, s23
	s_cbranch_execnz .LBB257_608
.LBB257_590:
	s_or_b32 exec_lo, exec_lo, s23
	s_and_saveexec_b32 s22, s2
	s_cbranch_execz .LBB257_592
.LBB257_591:
	v_and_b32_e32 v3, 0xffff, v6
	v_lshlrev_b32_e32 v6, 24, v6
	s_delay_alu instid0(VALU_DEP_2) | instskip(NEXT) | instid1(VALU_DEP_2)
	v_and_b32_e32 v7, 7, v3
	v_and_b32_e32 v6, 0x80000000, v6
	s_delay_alu instid0(VALU_DEP_2) | instskip(NEXT) | instid1(VALU_DEP_1)
	v_clz_i32_u32_e32 v9, v7
	v_min_u32_e32 v9, 32, v9
	s_delay_alu instid0(VALU_DEP_1) | instskip(SKIP_1) | instid1(VALU_DEP_2)
	v_subrev_nc_u32_e32 v10, 28, v9
	v_sub_nc_u32_e32 v9, 29, v9
	v_lshlrev_b32_e32 v10, v10, v3
	v_bfe_u32 v3, v3, 3, 4
	s_delay_alu instid0(VALU_DEP_1) | instskip(NEXT) | instid1(VALU_DEP_3)
	v_cmp_eq_u32_e32 vcc_lo, 0, v3
	v_dual_cndmask_b32 v3, v3, v9 :: v_dual_and_b32 v10, 7, v10
	s_delay_alu instid0(VALU_DEP_1) | instskip(NEXT) | instid1(VALU_DEP_2)
	v_lshl_add_u32 v3, v3, 23, 0x3b800000
	v_cndmask_b32_e32 v7, v7, v10, vcc_lo
	s_delay_alu instid0(VALU_DEP_1) | instskip(NEXT) | instid1(VALU_DEP_1)
	v_lshlrev_b32_e32 v7, 20, v7
	v_or3_b32 v3, v6, v3, v7
.LBB257_592:
	s_or_b32 exec_lo, exec_lo, s22
.LBB257_593:
	s_mov_b32 s2, -1
.LBB257_594:
	s_mov_b32 s22, 0
.LBB257_595:
	s_delay_alu instid0(SALU_CYCLE_1)
	s_and_b32 vcc_lo, exec_lo, s22
	s_cbranch_vccz .LBB257_630
; %bb.596:
	v_cmp_lt_i16_e32 vcc_lo, 22, v5
	s_cbranch_vccz .LBB257_606
; %bb.597:
	v_cmp_gt_i16_e32 vcc_lo, 24, v5
	s_cbranch_vccnz .LBB257_609
; %bb.598:
	v_cmp_lt_i16_e32 vcc_lo, 24, v5
	s_cbranch_vccz .LBB257_610
; %bb.599:
	global_load_u8 v6, v[1:2], off
	s_mov_b32 s2, 0
	s_mov_b32 s23, exec_lo
                                        ; implicit-def: $sgpr22
	s_waitcnt vmcnt(0)
	v_cmpx_lt_i16_e32 0x7f, v6
	s_xor_b32 s23, exec_lo, s23
	s_cbranch_execz .LBB257_622
; %bb.600:
	s_mov_b32 s2, -1
	s_mov_b32 s41, exec_lo
                                        ; implicit-def: $sgpr22
	v_cmpx_eq_u16_e32 0x80, v6
; %bb.601:
	s_mov_b32 s22, 0x7f800001
	s_xor_b32 s2, exec_lo, -1
; %bb.602:
	s_or_b32 exec_lo, exec_lo, s41
	s_delay_alu instid0(SALU_CYCLE_1)
	s_and_b32 s2, s2, exec_lo
	s_or_saveexec_b32 s23, s23
	v_mov_b32_e32 v3, s22
	s_xor_b32 exec_lo, exec_lo, s23
	s_cbranch_execnz .LBB257_623
.LBB257_603:
	s_or_b32 exec_lo, exec_lo, s23
	s_and_saveexec_b32 s22, s2
	s_cbranch_execz .LBB257_605
.LBB257_604:
	v_and_b32_e32 v3, 0xffff, v6
	v_lshlrev_b32_e32 v6, 24, v6
	s_delay_alu instid0(VALU_DEP_2) | instskip(NEXT) | instid1(VALU_DEP_2)
	v_and_b32_e32 v7, 3, v3
	v_and_b32_e32 v6, 0x80000000, v6
	s_delay_alu instid0(VALU_DEP_2) | instskip(NEXT) | instid1(VALU_DEP_1)
	v_clz_i32_u32_e32 v9, v7
	v_min_u32_e32 v9, 32, v9
	s_delay_alu instid0(VALU_DEP_1) | instskip(SKIP_1) | instid1(VALU_DEP_2)
	v_subrev_nc_u32_e32 v10, 29, v9
	v_sub_nc_u32_e32 v9, 30, v9
	v_lshlrev_b32_e32 v10, v10, v3
	v_bfe_u32 v3, v3, 2, 5
	s_delay_alu instid0(VALU_DEP_1) | instskip(NEXT) | instid1(VALU_DEP_3)
	v_cmp_eq_u32_e32 vcc_lo, 0, v3
	v_dual_cndmask_b32 v3, v3, v9 :: v_dual_and_b32 v10, 3, v10
	s_delay_alu instid0(VALU_DEP_1) | instskip(NEXT) | instid1(VALU_DEP_2)
	v_lshl_add_u32 v3, v3, 23, 0x37800000
	v_cndmask_b32_e32 v7, v7, v10, vcc_lo
	s_delay_alu instid0(VALU_DEP_1) | instskip(NEXT) | instid1(VALU_DEP_1)
	v_lshlrev_b32_e32 v7, 21, v7
	v_or3_b32 v3, v6, v3, v7
.LBB257_605:
	s_or_b32 exec_lo, exec_lo, s22
	s_mov_b32 s2, 0
	s_branch .LBB257_611
.LBB257_606:
	s_mov_b32 s22, -1
                                        ; implicit-def: $vgpr3
	s_branch .LBB257_617
.LBB257_607:
	s_or_saveexec_b32 s23, s23
	v_mov_b32_e32 v3, s22
	s_xor_b32 exec_lo, exec_lo, s23
	s_cbranch_execz .LBB257_590
.LBB257_608:
	v_cmp_ne_u16_e32 vcc_lo, 0, v6
	v_mov_b32_e32 v3, 0
	s_and_not1_b32 s2, s2, exec_lo
	s_and_b32 s22, vcc_lo, exec_lo
	s_delay_alu instid0(SALU_CYCLE_1)
	s_or_b32 s2, s2, s22
	s_or_b32 exec_lo, exec_lo, s23
	s_and_saveexec_b32 s22, s2
	s_cbranch_execnz .LBB257_591
	s_branch .LBB257_592
.LBB257_609:
	s_mov_b32 s2, -1
                                        ; implicit-def: $vgpr3
	s_branch .LBB257_614
.LBB257_610:
	s_mov_b32 s2, -1
                                        ; implicit-def: $vgpr3
.LBB257_611:
	s_delay_alu instid0(SALU_CYCLE_1)
	s_and_b32 vcc_lo, exec_lo, s2
	s_cbranch_vccz .LBB257_613
; %bb.612:
	global_load_u8 v3, v[1:2], off
	s_waitcnt vmcnt(0)
	v_lshlrev_b32_e32 v3, 24, v3
	s_delay_alu instid0(VALU_DEP_1) | instskip(NEXT) | instid1(VALU_DEP_1)
	v_and_b32_e32 v6, 0x7f000000, v3
	v_clz_i32_u32_e32 v7, v6
	v_cmp_ne_u32_e32 vcc_lo, 0, v6
	v_add_nc_u32_e32 v10, 0x1000000, v6
	s_delay_alu instid0(VALU_DEP_3) | instskip(NEXT) | instid1(VALU_DEP_1)
	v_min_u32_e32 v7, 32, v7
	v_sub_nc_u32_e64 v7, v7, 4 clamp
	s_delay_alu instid0(VALU_DEP_1) | instskip(SKIP_1) | instid1(VALU_DEP_2)
	v_lshlrev_b32_e32 v9, v7, v6
	v_lshlrev_b32_e32 v7, 23, v7
	v_lshrrev_b32_e32 v9, 4, v9
	s_delay_alu instid0(VALU_DEP_1) | instskip(SKIP_1) | instid1(VALU_DEP_2)
	v_sub_nc_u32_e32 v7, v9, v7
	v_ashrrev_i32_e32 v9, 8, v10
	v_add_nc_u32_e32 v7, 0x3c000000, v7
	s_delay_alu instid0(VALU_DEP_1) | instskip(NEXT) | instid1(VALU_DEP_1)
	v_and_or_b32 v7, 0x7f800000, v9, v7
	v_cndmask_b32_e32 v6, 0, v7, vcc_lo
	s_delay_alu instid0(VALU_DEP_1)
	v_and_or_b32 v3, 0x80000000, v3, v6
.LBB257_613:
	s_mov_b32 s2, 0
.LBB257_614:
	s_delay_alu instid0(SALU_CYCLE_1)
	s_and_not1_b32 vcc_lo, exec_lo, s2
	s_cbranch_vccnz .LBB257_616
; %bb.615:
	global_load_u8 v3, v[1:2], off
	s_waitcnt vmcnt(0)
	v_lshlrev_b32_e32 v6, 25, v3
	v_lshlrev_b16 v3, 8, v3
	s_delay_alu instid0(VALU_DEP_1) | instskip(SKIP_1) | instid1(VALU_DEP_2)
	v_and_or_b32 v9, 0x7f00, v3, 0.5
	v_bfe_i32 v3, v3, 0, 16
	v_add_f32_e32 v9, -0.5, v9
	v_lshrrev_b32_e32 v7, 4, v6
	v_cmp_gt_u32_e32 vcc_lo, 0x8000000, v6
	s_delay_alu instid0(VALU_DEP_2) | instskip(NEXT) | instid1(VALU_DEP_1)
	v_or_b32_e32 v7, 0x70000000, v7
	v_mul_f32_e32 v7, 0x7800000, v7
	s_delay_alu instid0(VALU_DEP_1) | instskip(NEXT) | instid1(VALU_DEP_1)
	v_cndmask_b32_e32 v6, v7, v9, vcc_lo
	v_and_or_b32 v3, 0x80000000, v3, v6
.LBB257_616:
	s_mov_b32 s22, 0
	s_mov_b32 s2, -1
.LBB257_617:
	s_and_not1_b32 vcc_lo, exec_lo, s22
	s_cbranch_vccnz .LBB257_630
; %bb.618:
	v_cmp_lt_i16_e32 vcc_lo, 14, v5
	s_cbranch_vccz .LBB257_621
; %bb.619:
	v_cmp_eq_u16_e32 vcc_lo, 15, v5
	s_cbranch_vccz .LBB257_624
; %bb.620:
	global_load_u16 v3, v[1:2], off
	s_mov_b32 s2, -1
	s_mov_b32 s3, 0
	s_waitcnt vmcnt(0)
	v_lshlrev_b32_e32 v3, 16, v3
	s_branch .LBB257_625
.LBB257_621:
	s_mov_b32 s22, -1
                                        ; implicit-def: $vgpr3
	s_branch .LBB257_626
.LBB257_622:
	s_or_saveexec_b32 s23, s23
	v_mov_b32_e32 v3, s22
	s_xor_b32 exec_lo, exec_lo, s23
	s_cbranch_execz .LBB257_603
.LBB257_623:
	v_cmp_ne_u16_e32 vcc_lo, 0, v6
	v_mov_b32_e32 v3, 0
	s_and_not1_b32 s2, s2, exec_lo
	s_and_b32 s22, vcc_lo, exec_lo
	s_delay_alu instid0(SALU_CYCLE_1)
	s_or_b32 s2, s2, s22
	s_or_b32 exec_lo, exec_lo, s23
	s_and_saveexec_b32 s22, s2
	s_cbranch_execnz .LBB257_604
	s_branch .LBB257_605
.LBB257_624:
	s_mov_b32 s3, -1
                                        ; implicit-def: $vgpr3
.LBB257_625:
	s_mov_b32 s22, 0
.LBB257_626:
	s_delay_alu instid0(SALU_CYCLE_1)
	s_and_b32 vcc_lo, exec_lo, s22
	s_cbranch_vccz .LBB257_630
; %bb.627:
	v_cmp_eq_u16_e32 vcc_lo, 11, v5
	s_cbranch_vccz .LBB257_629
; %bb.628:
	global_load_u8 v3, v[1:2], off
	s_mov_b32 s3, 0
	s_mov_b32 s2, -1
	s_waitcnt vmcnt(0)
	v_cmp_ne_u16_e32 vcc_lo, 0, v3
	v_cndmask_b32_e64 v3, 0, 1.0, vcc_lo
	s_branch .LBB257_630
.LBB257_629:
	s_mov_b32 s3, -1
                                        ; implicit-def: $vgpr3
.LBB257_630:
	s_mov_b32 s22, 0
.LBB257_631:
	s_delay_alu instid0(SALU_CYCLE_1)
	s_and_b32 vcc_lo, exec_lo, s22
	s_cbranch_vccz .LBB257_680
; %bb.632:
	v_cmp_gt_i16_e32 vcc_lo, 5, v5
	s_cbranch_vccnz .LBB257_637
; %bb.633:
	v_cmp_gt_i16_e32 vcc_lo, 8, v5
	s_cbranch_vccnz .LBB257_638
	;; [unrolled: 3-line block ×3, first 2 shown]
; %bb.635:
	v_cmp_lt_i16_e32 vcc_lo, 9, v5
	s_cbranch_vccz .LBB257_640
; %bb.636:
	global_load_b64 v[6:7], v[1:2], off
	s_mov_b32 s2, 0
	s_waitcnt vmcnt(0)
	v_cvt_f32_f64_e32 v3, v[6:7]
	s_branch .LBB257_641
.LBB257_637:
	s_mov_b32 s2, -1
                                        ; implicit-def: $vgpr3
	s_branch .LBB257_659
.LBB257_638:
	s_mov_b32 s2, -1
                                        ; implicit-def: $vgpr3
	s_branch .LBB257_647
.LBB257_639:
	s_mov_b32 s2, -1
                                        ; implicit-def: $vgpr3
	s_branch .LBB257_644
.LBB257_640:
	s_mov_b32 s2, -1
                                        ; implicit-def: $vgpr3
.LBB257_641:
	s_delay_alu instid0(SALU_CYCLE_1)
	s_and_not1_b32 vcc_lo, exec_lo, s2
	s_cbranch_vccnz .LBB257_643
; %bb.642:
	global_load_b32 v3, v[1:2], off
.LBB257_643:
	s_mov_b32 s2, 0
.LBB257_644:
	s_delay_alu instid0(SALU_CYCLE_1)
	s_and_not1_b32 vcc_lo, exec_lo, s2
	s_cbranch_vccnz .LBB257_646
; %bb.645:
	global_load_b32 v3, v[1:2], off
	s_waitcnt vmcnt(0)
	v_cvt_f32_f16_e32 v3, v3
.LBB257_646:
	s_mov_b32 s2, 0
.LBB257_647:
	s_delay_alu instid0(SALU_CYCLE_1)
	s_and_not1_b32 vcc_lo, exec_lo, s2
	s_cbranch_vccnz .LBB257_658
; %bb.648:
	v_cmp_gt_i16_e32 vcc_lo, 6, v5
	s_cbranch_vccnz .LBB257_651
; %bb.649:
	v_cmp_lt_i16_e32 vcc_lo, 6, v5
	s_cbranch_vccz .LBB257_652
; %bb.650:
	global_load_b64 v[6:7], v[1:2], off
	s_mov_b32 s2, 0
	s_waitcnt vmcnt(0)
	v_cvt_f32_f64_e32 v3, v[6:7]
	s_branch .LBB257_653
.LBB257_651:
	s_mov_b32 s2, -1
                                        ; implicit-def: $vgpr3
	s_branch .LBB257_656
.LBB257_652:
	s_mov_b32 s2, -1
                                        ; implicit-def: $vgpr3
.LBB257_653:
	s_delay_alu instid0(SALU_CYCLE_1)
	s_and_not1_b32 vcc_lo, exec_lo, s2
	s_cbranch_vccnz .LBB257_655
; %bb.654:
	global_load_b32 v3, v[1:2], off
.LBB257_655:
	s_mov_b32 s2, 0
.LBB257_656:
	s_delay_alu instid0(SALU_CYCLE_1)
	s_and_not1_b32 vcc_lo, exec_lo, s2
	s_cbranch_vccnz .LBB257_658
; %bb.657:
	global_load_u16 v3, v[1:2], off
	s_waitcnt vmcnt(0)
	v_cvt_f32_f16_e32 v3, v3
.LBB257_658:
	s_mov_b32 s2, 0
.LBB257_659:
	s_delay_alu instid0(SALU_CYCLE_1)
	s_and_not1_b32 vcc_lo, exec_lo, s2
	s_cbranch_vccnz .LBB257_679
; %bb.660:
	v_cmp_gt_i16_e32 vcc_lo, 2, v5
	s_cbranch_vccnz .LBB257_664
; %bb.661:
	v_cmp_gt_i16_e32 vcc_lo, 3, v5
	s_cbranch_vccnz .LBB257_665
; %bb.662:
	v_cmp_lt_i16_e32 vcc_lo, 3, v5
	s_cbranch_vccz .LBB257_666
; %bb.663:
	global_load_b64 v[6:7], v[1:2], off
	s_mov_b32 s2, 0
	s_waitcnt vmcnt(0)
	v_xor_b32_e32 v3, v6, v7
	v_cls_i32_e32 v9, v7
	s_delay_alu instid0(VALU_DEP_2) | instskip(NEXT) | instid1(VALU_DEP_2)
	v_ashrrev_i32_e32 v3, 31, v3
	v_add_nc_u32_e32 v9, -1, v9
	s_delay_alu instid0(VALU_DEP_2) | instskip(NEXT) | instid1(VALU_DEP_1)
	v_add_nc_u32_e32 v3, 32, v3
	v_min_u32_e32 v3, v9, v3
	s_delay_alu instid0(VALU_DEP_1) | instskip(SKIP_1) | instid1(VALU_DEP_2)
	v_lshlrev_b64 v[6:7], v3, v[6:7]
	v_sub_nc_u32_e32 v3, 32, v3
	v_min_u32_e32 v6, 1, v6
	s_delay_alu instid0(VALU_DEP_1) | instskip(NEXT) | instid1(VALU_DEP_1)
	v_or_b32_e32 v6, v7, v6
	v_cvt_f32_i32_e32 v6, v6
	s_delay_alu instid0(VALU_DEP_1)
	v_ldexp_f32 v3, v6, v3
	s_branch .LBB257_667
.LBB257_664:
	s_mov_b32 s2, -1
                                        ; implicit-def: $vgpr3
	s_branch .LBB257_673
.LBB257_665:
	s_mov_b32 s2, -1
                                        ; implicit-def: $vgpr3
	s_branch .LBB257_670
.LBB257_666:
	s_mov_b32 s2, -1
                                        ; implicit-def: $vgpr3
.LBB257_667:
	s_delay_alu instid0(SALU_CYCLE_1)
	s_and_not1_b32 vcc_lo, exec_lo, s2
	s_cbranch_vccnz .LBB257_669
; %bb.668:
	global_load_b32 v3, v[1:2], off
	s_waitcnt vmcnt(0)
	v_cvt_f32_i32_e32 v3, v3
.LBB257_669:
	s_mov_b32 s2, 0
.LBB257_670:
	s_delay_alu instid0(SALU_CYCLE_1)
	s_and_not1_b32 vcc_lo, exec_lo, s2
	s_cbranch_vccnz .LBB257_672
; %bb.671:
	global_load_i16 v3, v[1:2], off
	s_waitcnt vmcnt(0)
	v_cvt_f32_i32_e32 v3, v3
.LBB257_672:
	s_mov_b32 s2, 0
.LBB257_673:
	s_delay_alu instid0(SALU_CYCLE_1)
	s_and_not1_b32 vcc_lo, exec_lo, s2
	s_cbranch_vccnz .LBB257_679
; %bb.674:
	v_cmp_lt_i16_e32 vcc_lo, 0, v5
	s_mov_b32 s2, 0
	s_cbranch_vccz .LBB257_676
; %bb.675:
	global_load_i8 v3, v[1:2], off
	s_waitcnt vmcnt(0)
	v_cvt_f32_i32_e32 v3, v3
	s_branch .LBB257_677
.LBB257_676:
	s_mov_b32 s2, -1
                                        ; implicit-def: $vgpr3
.LBB257_677:
	s_delay_alu instid0(SALU_CYCLE_1)
	s_and_not1_b32 vcc_lo, exec_lo, s2
	s_cbranch_vccnz .LBB257_679
; %bb.678:
	global_load_u8 v1, v[1:2], off
	s_waitcnt vmcnt(0)
	v_cvt_f32_ubyte0_e32 v3, v1
.LBB257_679:
	s_mov_b32 s2, -1
.LBB257_680:
	s_delay_alu instid0(SALU_CYCLE_1)
	s_and_not1_b32 vcc_lo, exec_lo, s2
	s_cbranch_vccnz .LBB257_688
; %bb.681:
	s_waitcnt vmcnt(0)
	s_delay_alu instid0(VALU_DEP_1)
	v_mul_f32_e32 v1, 0x4f800000, v3
	v_cmp_gt_f32_e32 vcc_lo, 0xf800000, v3
	v_add_co_u32 v0, s41, s4, v0
	s_mov_b32 s23, -1
	s_mov_b32 s22, 0
	v_cndmask_b32_e32 v2, v3, v1, vcc_lo
	s_delay_alu instid0(VALU_DEP_1) | instskip(SKIP_3) | instid1(VALU_DEP_2)
	v_sqrt_f32_e32 v1, v2
	s_waitcnt_depctr 0xfff
	v_add_nc_u32_e32 v3, -1, v1
	v_add_nc_u32_e32 v6, 1, v1
	v_fma_f32 v7, -v3, v1, v2
	s_delay_alu instid0(VALU_DEP_2) | instskip(NEXT) | instid1(VALU_DEP_2)
	v_fma_f32 v9, -v6, v1, v2
	v_cmp_ge_f32_e64 s2, 0, v7
	s_delay_alu instid0(VALU_DEP_1) | instskip(NEXT) | instid1(VALU_DEP_3)
	v_cndmask_b32_e64 v1, v1, v3, s2
	v_cmp_lt_f32_e64 s2, 0, v9
	s_delay_alu instid0(VALU_DEP_1) | instskip(SKIP_1) | instid1(VALU_DEP_2)
	v_cndmask_b32_e64 v1, v1, v6, s2
	v_and_b32_e32 v6, 0xff, v4
	v_mul_f32_e32 v3, 0x37800000, v1
	s_delay_alu instid0(VALU_DEP_2) | instskip(NEXT) | instid1(VALU_DEP_2)
	v_cmp_gt_i16_e64 s2, 11, v6
	v_cndmask_b32_e32 v3, v1, v3, vcc_lo
	v_cmp_class_f32_e64 vcc_lo, v2, 0x260
	v_add_co_ci_u32_e64 v1, null, s5, 0, s41
	s_delay_alu instid0(VALU_DEP_3)
	v_cndmask_b32_e32 v2, v3, v2, vcc_lo
	s_and_b32 vcc_lo, exec_lo, s2
	s_mov_b32 s2, s38
	s_cbranch_vccnz .LBB257_689
; %bb.682:
	v_cmp_lt_i16_e32 vcc_lo, 25, v6
	s_cbranch_vccz .LBB257_730
; %bb.683:
	v_cmp_lt_i16_e32 vcc_lo, 28, v6
	s_cbranch_vccz .LBB257_731
	;; [unrolled: 3-line block ×4, first 2 shown]
; %bb.686:
	v_cmp_eq_u16_e32 vcc_lo, 46, v6
	s_mov_b32 s23, 0
	s_mov_b32 s2, -1
	s_cbranch_vccz .LBB257_734
; %bb.687:
	v_bfe_u32 v3, v2, 16, 1
	v_cmp_o_f32_e32 vcc_lo, v2, v2
	s_mov_b32 s22, -1
	s_mov_b32 s2, 0
	s_delay_alu instid0(VALU_DEP_2) | instskip(NEXT) | instid1(VALU_DEP_1)
	v_add3_u32 v3, v2, v3, 0x7fff
	v_lshrrev_b32_e32 v3, 16, v3
	s_delay_alu instid0(VALU_DEP_1)
	v_cndmask_b32_e32 v3, 0x7fc0, v3, vcc_lo
	global_store_b32 v[0:1], v3, off
	s_branch .LBB257_734
.LBB257_688:
	s_mov_b32 s41, 0
	s_mov_b32 s2, s38
	s_branch .LBB257_729
.LBB257_689:
	s_and_b32 vcc_lo, exec_lo, s23
	s_cbranch_vccz .LBB257_803
; %bb.690:
	v_cmp_gt_i16_e32 vcc_lo, 5, v6
	s_mov_b32 s22, -1
	s_cbranch_vccnz .LBB257_711
; %bb.691:
	v_cmp_gt_i16_e32 vcc_lo, 8, v6
	s_cbranch_vccnz .LBB257_701
; %bb.692:
	v_cmp_gt_i16_e32 vcc_lo, 9, v6
	s_cbranch_vccnz .LBB257_698
; %bb.693:
	v_cmp_lt_i16_e32 vcc_lo, 9, v6
	s_cbranch_vccz .LBB257_695
; %bb.694:
	v_cvt_f64_f32_e32 v[9:10], v2
	v_mov_b32_e32 v11, 0
	s_mov_b32 s22, 0
	s_delay_alu instid0(VALU_DEP_1)
	v_mov_b32_e32 v12, v11
	global_store_b128 v[0:1], v[9:12], off
.LBB257_695:
	s_and_not1_b32 vcc_lo, exec_lo, s22
	s_cbranch_vccnz .LBB257_697
; %bb.696:
	v_mov_b32_e32 v3, 0
	global_store_b64 v[0:1], v[2:3], off
.LBB257_697:
	s_mov_b32 s22, 0
.LBB257_698:
	s_delay_alu instid0(SALU_CYCLE_1)
	s_and_not1_b32 vcc_lo, exec_lo, s22
	s_cbranch_vccnz .LBB257_700
; %bb.699:
	v_cvt_f16_f32_e32 v3, v2
	s_delay_alu instid0(VALU_DEP_1)
	v_and_b32_e32 v3, 0xffff, v3
	global_store_b32 v[0:1], v3, off
.LBB257_700:
	s_mov_b32 s22, 0
.LBB257_701:
	s_delay_alu instid0(SALU_CYCLE_1)
	s_and_not1_b32 vcc_lo, exec_lo, s22
	s_cbranch_vccnz .LBB257_710
; %bb.702:
	v_cmp_gt_i16_e32 vcc_lo, 6, v6
	s_mov_b32 s22, -1
	s_cbranch_vccnz .LBB257_708
; %bb.703:
	v_cmp_lt_i16_e32 vcc_lo, 6, v6
	s_cbranch_vccz .LBB257_705
; %bb.704:
	v_cvt_f64_f32_e32 v[9:10], v2
	s_mov_b32 s22, 0
	global_store_b64 v[0:1], v[9:10], off
.LBB257_705:
	s_and_not1_b32 vcc_lo, exec_lo, s22
	s_cbranch_vccnz .LBB257_707
; %bb.706:
	global_store_b32 v[0:1], v2, off
.LBB257_707:
	s_mov_b32 s22, 0
.LBB257_708:
	s_delay_alu instid0(SALU_CYCLE_1)
	s_and_not1_b32 vcc_lo, exec_lo, s22
	s_cbranch_vccnz .LBB257_710
; %bb.709:
	v_cvt_f16_f32_e32 v3, v2
	global_store_b16 v[0:1], v3, off
.LBB257_710:
	s_mov_b32 s22, 0
.LBB257_711:
	s_delay_alu instid0(SALU_CYCLE_1)
	s_and_not1_b32 vcc_lo, exec_lo, s22
	s_cbranch_vccnz .LBB257_727
; %bb.712:
	v_cmp_gt_i16_e32 vcc_lo, 2, v6
	s_mov_b32 s22, -1
	s_cbranch_vccnz .LBB257_722
; %bb.713:
	v_cmp_gt_i16_e32 vcc_lo, 3, v6
	s_cbranch_vccnz .LBB257_719
; %bb.714:
	v_cmp_lt_i16_e32 vcc_lo, 3, v6
	s_cbranch_vccz .LBB257_716
; %bb.715:
	v_trunc_f32_e32 v3, v2
	s_mov_b32 s22, 0
	s_delay_alu instid0(VALU_DEP_1) | instskip(NEXT) | instid1(VALU_DEP_1)
	v_mul_f32_e64 v7, 0x2f800000, |v3|
	v_floor_f32_e32 v7, v7
	s_delay_alu instid0(VALU_DEP_1) | instskip(SKIP_2) | instid1(VALU_DEP_3)
	v_fma_f32 v9, 0xcf800000, v7, |v3|
	v_ashrrev_i32_e32 v3, 31, v3
	v_cvt_u32_f32_e32 v7, v7
	v_cvt_u32_f32_e32 v9, v9
	s_delay_alu instid0(VALU_DEP_2) | instskip(NEXT) | instid1(VALU_DEP_2)
	v_xor_b32_e32 v7, v7, v3
	v_xor_b32_e32 v9, v9, v3
	s_delay_alu instid0(VALU_DEP_1) | instskip(NEXT) | instid1(VALU_DEP_3)
	v_sub_co_u32 v9, vcc_lo, v9, v3
	v_sub_co_ci_u32_e32 v10, vcc_lo, v7, v3, vcc_lo
	global_store_b64 v[0:1], v[9:10], off
.LBB257_716:
	s_and_not1_b32 vcc_lo, exec_lo, s22
	s_cbranch_vccnz .LBB257_718
; %bb.717:
	v_cvt_i32_f32_e32 v3, v2
	global_store_b32 v[0:1], v3, off
.LBB257_718:
	s_mov_b32 s22, 0
.LBB257_719:
	s_delay_alu instid0(SALU_CYCLE_1)
	s_and_not1_b32 vcc_lo, exec_lo, s22
	s_cbranch_vccnz .LBB257_721
; %bb.720:
	v_cvt_i32_f32_e32 v3, v2
	global_store_b16 v[0:1], v3, off
.LBB257_721:
	s_mov_b32 s22, 0
.LBB257_722:
	s_delay_alu instid0(SALU_CYCLE_1)
	s_and_not1_b32 vcc_lo, exec_lo, s22
	s_cbranch_vccnz .LBB257_727
; %bb.723:
	v_cmp_lt_i16_e32 vcc_lo, 0, v6
	s_mov_b32 s22, -1
	s_cbranch_vccz .LBB257_725
; %bb.724:
	v_cvt_i32_f32_e32 v3, v2
	s_mov_b32 s22, 0
	global_store_b8 v[0:1], v3, off
.LBB257_725:
	s_and_not1_b32 vcc_lo, exec_lo, s22
	s_cbranch_vccnz .LBB257_727
; %bb.726:
	v_trunc_f32_e32 v2, v2
	s_delay_alu instid0(VALU_DEP_1) | instskip(NEXT) | instid1(VALU_DEP_1)
	v_mul_f32_e64 v3, 0x2f800000, |v2|
	v_floor_f32_e32 v3, v3
	s_delay_alu instid0(VALU_DEP_1) | instskip(SKIP_1) | instid1(VALU_DEP_2)
	v_fma_f32 v3, 0xcf800000, v3, |v2|
	v_ashrrev_i32_e32 v2, 31, v2
	v_cvt_u32_f32_e32 v3, v3
	s_delay_alu instid0(VALU_DEP_1) | instskip(NEXT) | instid1(VALU_DEP_1)
	v_xor_b32_e32 v3, v3, v2
	v_sub_nc_u32_e32 v2, v3, v2
	global_store_b8 v[0:1], v2, off
.LBB257_727:
	s_branch .LBB257_804
.LBB257_728:
	s_mov_b32 s41, 0
.LBB257_729:
                                        ; implicit-def: $vgpr8
	s_branch .LBB257_805
.LBB257_730:
	s_mov_b32 s2, s38
	s_branch .LBB257_761
.LBB257_731:
	s_mov_b32 s2, s38
	s_branch .LBB257_744
.LBB257_732:
	s_mov_b32 s2, s38
	s_branch .LBB257_740
.LBB257_733:
	s_mov_b32 s2, s38
.LBB257_734:
	s_and_b32 vcc_lo, exec_lo, s23
	s_cbranch_vccz .LBB257_739
; %bb.735:
	v_cmp_eq_u16_e32 vcc_lo, 44, v6
	s_mov_b32 s2, -1
	s_cbranch_vccz .LBB257_739
; %bb.736:
	v_bfe_u32 v7, v2, 23, 8
	v_mov_b32_e32 v3, 0xff
	s_mov_b32 s22, exec_lo
	s_delay_alu instid0(VALU_DEP_2)
	v_cmpx_ne_u32_e32 0xff, v7
; %bb.737:
	v_and_b32_e32 v3, 0x400000, v2
	v_and_or_b32 v7, 0x3fffff, v2, v7
	s_delay_alu instid0(VALU_DEP_2) | instskip(NEXT) | instid1(VALU_DEP_2)
	v_cmp_ne_u32_e32 vcc_lo, 0, v3
	v_cmp_ne_u32_e64 s2, 0, v7
	v_lshrrev_b32_e32 v3, 23, v2
	s_delay_alu instid0(VALU_DEP_2) | instskip(NEXT) | instid1(SALU_CYCLE_1)
	s_and_b32 s2, vcc_lo, s2
	v_cndmask_b32_e64 v7, 0, 1, s2
	s_delay_alu instid0(VALU_DEP_1)
	v_add_nc_u32_e32 v3, v3, v7
; %bb.738:
	s_or_b32 exec_lo, exec_lo, s22
	s_mov_b32 s22, -1
	s_mov_b32 s2, 0
	global_store_b8 v[0:1], v3, off
.LBB257_739:
	s_mov_b32 s23, 0
.LBB257_740:
	s_delay_alu instid0(SALU_CYCLE_1)
	s_and_b32 vcc_lo, exec_lo, s23
	s_cbranch_vccz .LBB257_743
; %bb.741:
	v_cmp_eq_u16_e32 vcc_lo, 29, v6
	s_mov_b32 s2, -1
	s_cbranch_vccz .LBB257_743
; %bb.742:
	v_trunc_f32_e32 v3, v2
	s_mov_b32 s22, -1
	s_mov_b32 s2, 0
	s_mov_b32 s23, 0
	s_delay_alu instid0(VALU_DEP_1) | instskip(NEXT) | instid1(VALU_DEP_1)
	v_mul_f32_e32 v7, 0x2f800000, v3
	v_floor_f32_e32 v7, v7
	s_delay_alu instid0(VALU_DEP_1) | instskip(SKIP_1) | instid1(VALU_DEP_2)
	v_fmamk_f32 v3, v7, 0xcf800000, v3
	v_cvt_u32_f32_e32 v10, v7
	v_cvt_u32_f32_e32 v9, v3
	global_store_b64 v[0:1], v[9:10], off
	s_branch .LBB257_744
.LBB257_743:
	s_mov_b32 s23, 0
.LBB257_744:
	s_delay_alu instid0(SALU_CYCLE_1)
	s_and_b32 vcc_lo, exec_lo, s23
	s_cbranch_vccz .LBB257_760
; %bb.745:
	v_cmp_gt_i16_e32 vcc_lo, 27, v6
	s_mov_b32 s22, -1
	s_cbranch_vccnz .LBB257_751
; %bb.746:
	v_cmp_lt_i16_e32 vcc_lo, 27, v6
	s_cbranch_vccz .LBB257_748
; %bb.747:
	v_cvt_u32_f32_e32 v3, v2
	s_mov_b32 s22, 0
	global_store_b32 v[0:1], v3, off
.LBB257_748:
	s_and_not1_b32 vcc_lo, exec_lo, s22
	s_cbranch_vccnz .LBB257_750
; %bb.749:
	v_cvt_u32_f32_e32 v3, v2
	global_store_b16 v[0:1], v3, off
.LBB257_750:
	s_mov_b32 s22, 0
.LBB257_751:
	s_delay_alu instid0(SALU_CYCLE_1)
	s_and_not1_b32 vcc_lo, exec_lo, s22
	s_cbranch_vccnz .LBB257_759
; %bb.752:
	v_and_b32_e32 v3, 0x7fffffff, v2
	v_mov_b32_e32 v7, 0x80
	s_mov_b32 s22, exec_lo
	s_delay_alu instid0(VALU_DEP_2)
	v_cmpx_gt_u32_e32 0x43800000, v3
	s_cbranch_execz .LBB257_758
; %bb.753:
	v_cmp_lt_u32_e32 vcc_lo, 0x3bffffff, v3
	s_mov_b32 s23, 0
                                        ; implicit-def: $vgpr3
	s_and_saveexec_b32 s41, vcc_lo
	s_delay_alu instid0(SALU_CYCLE_1)
	s_xor_b32 s41, exec_lo, s41
	s_cbranch_execz .LBB257_832
; %bb.754:
	v_bfe_u32 v3, v2, 20, 1
	s_mov_b32 s23, exec_lo
	s_delay_alu instid0(VALU_DEP_1) | instskip(NEXT) | instid1(VALU_DEP_1)
	v_add3_u32 v3, v2, v3, 0x487ffff
	v_lshrrev_b32_e32 v3, 20, v3
	s_or_saveexec_b32 s41, s41
                                        ; implicit-def: $sgpr42
	s_delay_alu instid0(SALU_CYCLE_1)
	s_xor_b32 exec_lo, exec_lo, s41
	s_cbranch_execnz .LBB257_833
.LBB257_755:
	s_or_b32 exec_lo, exec_lo, s41
	v_mov_b32_e32 v7, s42
	s_and_saveexec_b32 s41, s23
.LBB257_756:
	v_lshrrev_b32_e32 v7, 24, v2
	s_delay_alu instid0(VALU_DEP_1)
	v_and_or_b32 v7, 0x80, v7, v3
.LBB257_757:
	s_or_b32 exec_lo, exec_lo, s41
.LBB257_758:
	s_delay_alu instid0(SALU_CYCLE_1)
	s_or_b32 exec_lo, exec_lo, s22
	global_store_b8 v[0:1], v7, off
.LBB257_759:
	s_mov_b32 s22, -1
.LBB257_760:
	s_mov_b32 s23, 0
.LBB257_761:
	s_delay_alu instid0(SALU_CYCLE_1)
	s_and_b32 vcc_lo, exec_lo, s23
	s_cbranch_vccz .LBB257_802
; %bb.762:
	v_cmp_lt_i16_e32 vcc_lo, 22, v6
	s_mov_b32 s23, -1
	s_cbranch_vccz .LBB257_794
; %bb.763:
	v_cmp_gt_i16_e32 vcc_lo, 24, v6
	s_mov_b32 s22, -1
	s_cbranch_vccnz .LBB257_783
; %bb.764:
	v_cmp_lt_i16_e32 vcc_lo, 24, v6
	s_cbranch_vccz .LBB257_772
; %bb.765:
	v_and_b32_e32 v3, 0x7fffffff, v2
	v_mov_b32_e32 v7, 0x80
	s_mov_b32 s22, exec_lo
	s_delay_alu instid0(VALU_DEP_2)
	v_cmpx_gt_u32_e32 0x47800000, v3
	s_cbranch_execz .LBB257_771
; %bb.766:
	v_cmp_lt_u32_e32 vcc_lo, 0x37ffffff, v3
	s_mov_b32 s23, 0
                                        ; implicit-def: $vgpr3
	s_and_saveexec_b32 s41, vcc_lo
	s_delay_alu instid0(SALU_CYCLE_1)
	s_xor_b32 s41, exec_lo, s41
	s_cbranch_execz .LBB257_835
; %bb.767:
	v_bfe_u32 v3, v2, 21, 1
	s_mov_b32 s23, exec_lo
	s_delay_alu instid0(VALU_DEP_1) | instskip(NEXT) | instid1(VALU_DEP_1)
	v_add3_u32 v3, v2, v3, 0x88fffff
	v_lshrrev_b32_e32 v3, 21, v3
	s_or_saveexec_b32 s41, s41
                                        ; implicit-def: $sgpr42
	s_delay_alu instid0(SALU_CYCLE_1)
	s_xor_b32 exec_lo, exec_lo, s41
	s_cbranch_execnz .LBB257_836
.LBB257_768:
	s_or_b32 exec_lo, exec_lo, s41
	v_mov_b32_e32 v7, s42
	s_and_saveexec_b32 s41, s23
.LBB257_769:
	v_lshrrev_b32_e32 v7, 24, v2
	s_delay_alu instid0(VALU_DEP_1)
	v_and_or_b32 v7, 0x80, v7, v3
.LBB257_770:
	s_or_b32 exec_lo, exec_lo, s41
.LBB257_771:
	s_delay_alu instid0(SALU_CYCLE_1)
	s_or_b32 exec_lo, exec_lo, s22
	s_mov_b32 s22, 0
	global_store_b8 v[0:1], v7, off
.LBB257_772:
	s_and_b32 vcc_lo, exec_lo, s22
	s_cbranch_vccz .LBB257_782
; %bb.773:
	v_and_b32_e32 v7, 0x7fffffff, v2
	s_mov_b32 s22, exec_lo
                                        ; implicit-def: $vgpr3
	s_delay_alu instid0(VALU_DEP_1)
	v_cmpx_gt_u32_e32 0x43f00000, v7
	s_xor_b32 s22, exec_lo, s22
	s_cbranch_execz .LBB257_779
; %bb.774:
	s_mov_b32 s23, exec_lo
                                        ; implicit-def: $vgpr3
	v_cmpx_lt_u32_e32 0x3c7fffff, v7
	s_xor_b32 s23, exec_lo, s23
; %bb.775:
	v_bfe_u32 v3, v2, 20, 1
	s_delay_alu instid0(VALU_DEP_1) | instskip(NEXT) | instid1(VALU_DEP_1)
	v_add3_u32 v3, v2, v3, 0x407ffff
	v_and_b32_e32 v7, 0xff00000, v3
	v_lshrrev_b32_e32 v3, 20, v3
	s_delay_alu instid0(VALU_DEP_2) | instskip(NEXT) | instid1(VALU_DEP_2)
	v_cmp_ne_u32_e32 vcc_lo, 0x7f00000, v7
	v_cndmask_b32_e32 v3, 0x7e, v3, vcc_lo
; %bb.776:
	s_and_not1_saveexec_b32 s23, s23
; %bb.777:
	v_add_f32_e64 v3, 0x46800000, |v2|
; %bb.778:
	s_or_b32 exec_lo, exec_lo, s23
                                        ; implicit-def: $vgpr7
.LBB257_779:
	s_and_not1_saveexec_b32 s22, s22
; %bb.780:
	v_mov_b32_e32 v3, 0x7f
	v_cmp_lt_u32_e32 vcc_lo, 0x7f800000, v7
	s_delay_alu instid0(VALU_DEP_2)
	v_cndmask_b32_e32 v3, 0x7e, v3, vcc_lo
; %bb.781:
	s_or_b32 exec_lo, exec_lo, s22
	v_lshrrev_b32_e32 v7, 24, v2
	s_delay_alu instid0(VALU_DEP_1)
	v_and_or_b32 v3, 0x80, v7, v3
	global_store_b8 v[0:1], v3, off
.LBB257_782:
	s_mov_b32 s22, 0
.LBB257_783:
	s_delay_alu instid0(SALU_CYCLE_1)
	s_and_not1_b32 vcc_lo, exec_lo, s22
	s_cbranch_vccnz .LBB257_793
; %bb.784:
	v_and_b32_e32 v7, 0x7fffffff, v2
	s_mov_b32 s22, exec_lo
                                        ; implicit-def: $vgpr3
	s_delay_alu instid0(VALU_DEP_1)
	v_cmpx_gt_u32_e32 0x47800000, v7
	s_xor_b32 s22, exec_lo, s22
	s_cbranch_execz .LBB257_790
; %bb.785:
	s_mov_b32 s23, exec_lo
                                        ; implicit-def: $vgpr3
	v_cmpx_lt_u32_e32 0x387fffff, v7
	s_xor_b32 s23, exec_lo, s23
; %bb.786:
	v_bfe_u32 v3, v2, 21, 1
	s_delay_alu instid0(VALU_DEP_1) | instskip(NEXT) | instid1(VALU_DEP_1)
	v_add3_u32 v3, v2, v3, 0x80fffff
	v_lshrrev_b32_e32 v3, 21, v3
; %bb.787:
	s_and_not1_saveexec_b32 s23, s23
; %bb.788:
	v_add_f32_e64 v3, 0x43000000, |v2|
; %bb.789:
	s_or_b32 exec_lo, exec_lo, s23
                                        ; implicit-def: $vgpr7
.LBB257_790:
	s_and_not1_saveexec_b32 s22, s22
; %bb.791:
	v_mov_b32_e32 v3, 0x7f
	v_cmp_lt_u32_e32 vcc_lo, 0x7f800000, v7
	s_delay_alu instid0(VALU_DEP_2)
	v_cndmask_b32_e32 v3, 0x7c, v3, vcc_lo
; %bb.792:
	s_or_b32 exec_lo, exec_lo, s22
	v_lshrrev_b32_e32 v7, 24, v2
	s_delay_alu instid0(VALU_DEP_1)
	v_and_or_b32 v3, 0x80, v7, v3
	global_store_b8 v[0:1], v3, off
.LBB257_793:
	s_mov_b32 s23, 0
	s_mov_b32 s22, -1
.LBB257_794:
	s_and_not1_b32 vcc_lo, exec_lo, s23
	s_cbranch_vccnz .LBB257_802
; %bb.795:
	v_cmp_lt_i16_e32 vcc_lo, 14, v6
	s_mov_b32 s23, -1
	s_cbranch_vccz .LBB257_799
; %bb.796:
	v_cmp_eq_u16_e32 vcc_lo, 15, v6
	s_mov_b32 s2, -1
	s_cbranch_vccz .LBB257_798
; %bb.797:
	v_bfe_u32 v3, v2, 16, 1
	v_cmp_o_f32_e32 vcc_lo, v2, v2
	s_mov_b32 s22, -1
	s_mov_b32 s2, 0
	s_delay_alu instid0(VALU_DEP_2) | instskip(NEXT) | instid1(VALU_DEP_1)
	v_add3_u32 v3, v2, v3, 0x7fff
	v_lshrrev_b32_e32 v3, 16, v3
	s_delay_alu instid0(VALU_DEP_1)
	v_cndmask_b32_e32 v3, 0x7fc0, v3, vcc_lo
	global_store_b16 v[0:1], v3, off
.LBB257_798:
	s_mov_b32 s23, 0
.LBB257_799:
	s_delay_alu instid0(SALU_CYCLE_1)
	s_and_b32 vcc_lo, exec_lo, s23
	s_cbranch_vccz .LBB257_802
; %bb.800:
	v_cmp_eq_u16_e32 vcc_lo, 11, v6
	s_mov_b32 s2, -1
	s_cbranch_vccz .LBB257_802
; %bb.801:
	v_cmp_neq_f32_e32 vcc_lo, 0, v2
	s_mov_b32 s2, 0
	s_mov_b32 s22, -1
	v_cndmask_b32_e64 v3, 0, 1, vcc_lo
	global_store_b8 v[0:1], v3, off
.LBB257_802:
.LBB257_803:
	s_and_not1_b32 vcc_lo, exec_lo, s22
	s_cbranch_vccnz .LBB257_728
.LBB257_804:
	v_add_nc_u32_e32 v8, 0x80, v8
	s_mov_b32 s41, -1
.LBB257_805:
	s_and_not1_b32 s22, s38, exec_lo
	s_and_b32 s2, s2, exec_lo
	s_and_not1_b32 s42, s37, exec_lo
	s_and_b32 s3, s3, exec_lo
	s_or_b32 s23, s22, s2
	s_or_b32 s22, s42, s3
	s_or_not1_b32 s42, s41, exec_lo
.LBB257_806:
	s_or_b32 exec_lo, exec_lo, s40
	s_mov_b32 s2, 0
	s_mov_b32 s3, 0
	;; [unrolled: 1-line block ×3, first 2 shown]
                                        ; implicit-def: $vgpr1_vgpr2
                                        ; implicit-def: $vgpr0
                                        ; implicit-def: $vgpr6
	s_and_saveexec_b32 s40, s42
	s_cbranch_execz .LBB257_904
; %bb.807:
	v_cmp_gt_i32_e32 vcc_lo, s30, v8
	s_mov_b32 s43, s22
	s_mov_b32 s42, 0
                                        ; implicit-def: $vgpr1_vgpr2
                                        ; implicit-def: $vgpr0
                                        ; implicit-def: $vgpr6
	s_and_saveexec_b32 s30, vcc_lo
	s_cbranch_execz .LBB257_903
; %bb.808:
	s_and_not1_b32 vcc_lo, exec_lo, s27
	s_cbranch_vccnz .LBB257_813
; %bb.809:
	v_dual_mov_b32 v0, 0 :: v_dual_mov_b32 v1, 0
	s_and_not1_b32 vcc_lo, exec_lo, s33
	s_mov_b32 s33, 0
	s_cbranch_vccnz .LBB257_818
; %bb.810:
	v_mov_b32_e32 v0, 0
	s_add_i32 s41, s31, 1
	s_cmp_eq_u32 s25, 2
	s_mov_b32 s31, 0
	s_cbranch_scc1 .LBB257_814
; %bb.811:
	v_dual_mov_b32 v1, 0 :: v_dual_mov_b32 v0, 0
	v_mov_b32_e32 v2, v8
	s_and_b32 s31, s41, 28
	s_mov_b64 s[2:3], s[16:17]
.LBB257_812:                            ; =>This Inner Loop Header: Depth=1
	s_clause 0x1
	s_load_b256 s[44:51], s[2:3], 0x4
	s_load_b128 s[60:63], s[2:3], 0x24
	s_load_b256 s[52:59], s[20:21], 0x0
	s_add_u32 s2, s2, 48
	s_addc_u32 s3, s3, 0
	s_add_i32 s42, s42, 4
	s_add_u32 s20, s20, 32
	s_addc_u32 s21, s21, 0
	s_cmp_eq_u32 s31, s42
	s_waitcnt vmcnt(0) lgkmcnt(0)
	v_mul_hi_u32 v3, s45, v2
	s_delay_alu instid0(VALU_DEP_1) | instskip(NEXT) | instid1(VALU_DEP_1)
	v_add_nc_u32_e32 v3, v2, v3
	v_lshrrev_b32_e32 v3, s46, v3
	s_delay_alu instid0(VALU_DEP_1) | instskip(SKIP_1) | instid1(VALU_DEP_2)
	v_mul_hi_u32 v6, s48, v3
	v_mul_lo_u32 v9, v3, s44
	v_add_nc_u32_e32 v6, v3, v6
	s_delay_alu instid0(VALU_DEP_2) | instskip(NEXT) | instid1(VALU_DEP_2)
	v_sub_nc_u32_e32 v2, v2, v9
	v_lshrrev_b32_e32 v6, s49, v6
	s_delay_alu instid0(VALU_DEP_2) | instskip(SKIP_1) | instid1(VALU_DEP_3)
	v_mul_lo_u32 v9, v2, s52
	v_mul_lo_u32 v11, v2, s53
	v_mul_hi_u32 v7, s51, v6
	s_delay_alu instid0(VALU_DEP_1) | instskip(NEXT) | instid1(VALU_DEP_1)
	v_add_nc_u32_e32 v7, v6, v7
	v_lshrrev_b32_e32 v7, s60, v7
	s_delay_alu instid0(VALU_DEP_1) | instskip(SKIP_1) | instid1(VALU_DEP_2)
	v_mul_hi_u32 v10, s62, v7
	v_mul_lo_u32 v12, v7, s50
	v_add_nc_u32_e32 v2, v7, v10
	v_mul_lo_u32 v10, v6, s47
	s_delay_alu instid0(VALU_DEP_3) | instskip(NEXT) | instid1(VALU_DEP_3)
	v_sub_nc_u32_e32 v6, v6, v12
	v_lshrrev_b32_e32 v2, s63, v2
	s_delay_alu instid0(VALU_DEP_2) | instskip(SKIP_2) | instid1(VALU_DEP_4)
	v_mul_lo_u32 v12, v6, s56
	v_mul_lo_u32 v6, v6, s57
	v_sub_nc_u32_e32 v3, v3, v10
	v_mul_lo_u32 v13, v2, s61
	s_delay_alu instid0(VALU_DEP_2) | instskip(SKIP_1) | instid1(VALU_DEP_3)
	v_mul_lo_u32 v10, v3, s54
	v_mul_lo_u32 v3, v3, s55
	v_sub_nc_u32_e32 v7, v7, v13
	s_delay_alu instid0(VALU_DEP_3) | instskip(NEXT) | instid1(VALU_DEP_2)
	v_add3_u32 v0, v9, v0, v10
	v_mul_lo_u32 v13, v7, s58
	v_mul_lo_u32 v7, v7, s59
	v_add3_u32 v1, v11, v1, v3
	s_delay_alu instid0(VALU_DEP_3) | instskip(NEXT) | instid1(VALU_DEP_2)
	v_add3_u32 v0, v12, v0, v13
	v_add3_u32 v1, v6, v1, v7
	s_cbranch_scc0 .LBB257_812
	s_branch .LBB257_815
.LBB257_813:
	s_mov_b32 s33, -1
                                        ; implicit-def: $vgpr0
                                        ; implicit-def: $vgpr1
	s_branch .LBB257_818
.LBB257_814:
	v_dual_mov_b32 v2, v8 :: v_dual_mov_b32 v1, 0
.LBB257_815:
	s_and_b32 s41, s41, 3
	s_delay_alu instid0(SALU_CYCLE_1)
	s_cmp_eq_u32 s41, 0
	s_cbranch_scc1 .LBB257_818
; %bb.816:
	s_lshl_b32 s2, s31, 3
	s_mul_i32 s20, s31, 12
	s_add_u32 s2, s2, s16
	s_addc_u32 s3, s17, 0
	s_add_u32 s2, s2, 0xc4
	s_addc_u32 s3, s3, 0
	;; [unrolled: 2-line block ×3, first 2 shown]
.LBB257_817:                            ; =>This Inner Loop Header: Depth=1
	s_clause 0x1
	s_load_b64 s[42:43], s[20:21], 0x4
	s_load_b32 s31, s[20:21], 0xc
	s_load_b64 s[44:45], s[2:3], 0x0
	s_add_u32 s20, s20, 12
	s_addc_u32 s21, s21, 0
	s_add_u32 s2, s2, 8
	s_addc_u32 s3, s3, 0
	s_add_i32 s41, s41, -1
	s_delay_alu instid0(SALU_CYCLE_1) | instskip(SKIP_2) | instid1(VALU_DEP_1)
	s_cmp_lg_u32 s41, 0
	s_waitcnt vmcnt(0) lgkmcnt(0)
	v_mul_hi_u32 v3, s43, v2
	v_add_nc_u32_e32 v3, v2, v3
	s_delay_alu instid0(VALU_DEP_1) | instskip(NEXT) | instid1(VALU_DEP_1)
	v_lshrrev_b32_e32 v3, s31, v3
	v_mul_lo_u32 v6, v3, s42
	s_delay_alu instid0(VALU_DEP_1) | instskip(NEXT) | instid1(VALU_DEP_1)
	v_sub_nc_u32_e32 v2, v2, v6
	v_mad_u64_u32 v[6:7], null, v2, s44, v[0:1]
	v_mad_u64_u32 v[9:10], null, v2, s45, v[1:2]
	v_mov_b32_e32 v2, v3
	s_delay_alu instid0(VALU_DEP_2)
	v_dual_mov_b32 v0, v6 :: v_dual_mov_b32 v1, v9
	s_cbranch_scc1 .LBB257_817
.LBB257_818:
	s_and_not1_b32 vcc_lo, exec_lo, s33
	s_cbranch_vccnz .LBB257_821
; %bb.819:
	s_waitcnt lgkmcnt(0)
	v_mul_hi_u32 v0, s13, v8
	s_and_not1_b32 vcc_lo, exec_lo, s29
	s_delay_alu instid0(VALU_DEP_1) | instskip(NEXT) | instid1(VALU_DEP_1)
	v_add_nc_u32_e32 v0, v8, v0
	v_lshrrev_b32_e32 v2, s14, v0
	s_delay_alu instid0(VALU_DEP_1) | instskip(NEXT) | instid1(VALU_DEP_1)
	v_mul_lo_u32 v0, v2, s12
	v_sub_nc_u32_e32 v1, v8, v0
	s_delay_alu instid0(VALU_DEP_1)
	v_mul_lo_u32 v0, v1, s8
	v_mul_lo_u32 v1, v1, s9
	s_cbranch_vccnz .LBB257_821
; %bb.820:
	s_waitcnt vmcnt(0)
	v_mul_hi_u32 v3, s18, v2
	s_delay_alu instid0(VALU_DEP_1) | instskip(NEXT) | instid1(VALU_DEP_1)
	v_add_nc_u32_e32 v3, v2, v3
	v_lshrrev_b32_e32 v3, s19, v3
	s_delay_alu instid0(VALU_DEP_1) | instskip(NEXT) | instid1(VALU_DEP_1)
	v_mul_lo_u32 v3, v3, s15
	v_sub_nc_u32_e32 v8, v2, v3
	s_delay_alu instid0(VALU_DEP_1) | instskip(NEXT) | instid1(VALU_DEP_1)
	v_mad_u64_u32 v[2:3], null, v8, s10, v[0:1]
	v_mad_u64_u32 v[6:7], null, v8, s11, v[1:2]
	v_mov_b32_e32 v0, v2
	s_delay_alu instid0(VALU_DEP_2)
	v_mov_b32_e32 v1, v6
.LBB257_821:
	v_cmp_gt_i16_e32 vcc_lo, 11, v5
	s_waitcnt lgkmcnt(0)
	s_delay_alu instid0(VALU_DEP_2) | instskip(NEXT) | instid1(VALU_DEP_1)
	v_add_co_u32 v1, s2, s6, v1
	v_add_co_ci_u32_e64 v2, null, s7, 0, s2
	s_mov_b32 s6, 0
	s_cbranch_vccnz .LBB257_828
; %bb.822:
	v_cmp_lt_i16_e32 vcc_lo, 25, v5
	s_mov_b32 s3, 0
	s_cbranch_vccz .LBB257_829
; %bb.823:
	v_cmp_lt_i16_e32 vcc_lo, 28, v5
	s_cbranch_vccz .LBB257_830
; %bb.824:
	v_cmp_lt_i16_e32 vcc_lo, 43, v5
	s_cbranch_vccz .LBB257_831
; %bb.825:
	v_cmp_lt_i16_e32 vcc_lo, 45, v5
	s_cbranch_vccz .LBB257_834
; %bb.826:
	v_cmp_eq_u16_e32 vcc_lo, 46, v5
	s_mov_b32 s7, 0
	s_cbranch_vccz .LBB257_837
; %bb.827:
	global_load_b32 v3, v[1:2], off
	s_mov_b32 s2, 0
	s_mov_b32 s6, -1
	s_waitcnt vmcnt(0)
	v_lshlrev_b32_e32 v6, 16, v3
	s_branch .LBB257_839
.LBB257_828:
	s_mov_b32 s7, -1
	s_mov_b32 s3, 0
	s_mov_b32 s2, s22
                                        ; implicit-def: $vgpr6
	s_branch .LBB257_902
.LBB257_829:
	s_mov_b32 s7, -1
	s_mov_b32 s2, s22
                                        ; implicit-def: $vgpr6
	s_branch .LBB257_868
.LBB257_830:
	s_mov_b32 s7, -1
	s_mov_b32 s2, s22
                                        ; implicit-def: $vgpr6
	s_branch .LBB257_849
.LBB257_831:
	s_mov_b32 s7, -1
	s_mov_b32 s2, s22
                                        ; implicit-def: $vgpr6
	s_branch .LBB257_844
.LBB257_832:
	s_or_saveexec_b32 s41, s41
                                        ; implicit-def: $sgpr42
	s_delay_alu instid0(SALU_CYCLE_1)
	s_xor_b32 exec_lo, exec_lo, s41
	s_cbranch_execz .LBB257_755
.LBB257_833:
	v_add_f32_e64 v3, 0x46000000, |v2|
	s_and_not1_b32 s23, s23, exec_lo
	s_mov_b32 s42, 0
	s_delay_alu instid0(VALU_DEP_1) | instskip(NEXT) | instid1(VALU_DEP_1)
	v_and_b32_e32 v3, 0xff, v3
	v_cmp_ne_u32_e32 vcc_lo, 0, v3
	s_and_b32 s43, vcc_lo, exec_lo
	s_delay_alu instid0(SALU_CYCLE_1)
	s_or_b32 s23, s23, s43
	s_or_b32 exec_lo, exec_lo, s41
	v_mov_b32_e32 v7, s42
	s_and_saveexec_b32 s41, s23
	s_cbranch_execnz .LBB257_756
	s_branch .LBB257_757
.LBB257_834:
	s_mov_b32 s7, -1
	s_mov_b32 s2, s22
	s_branch .LBB257_838
.LBB257_835:
	s_or_saveexec_b32 s41, s41
                                        ; implicit-def: $sgpr42
	s_delay_alu instid0(SALU_CYCLE_1)
	s_xor_b32 exec_lo, exec_lo, s41
	s_cbranch_execz .LBB257_768
.LBB257_836:
	v_add_f32_e64 v3, 0x42800000, |v2|
	s_and_not1_b32 s23, s23, exec_lo
	s_mov_b32 s42, 0
	s_delay_alu instid0(VALU_DEP_1) | instskip(NEXT) | instid1(VALU_DEP_1)
	v_and_b32_e32 v3, 0xff, v3
	v_cmp_ne_u32_e32 vcc_lo, 0, v3
	s_and_b32 s43, vcc_lo, exec_lo
	s_delay_alu instid0(SALU_CYCLE_1)
	s_or_b32 s23, s23, s43
	s_or_b32 exec_lo, exec_lo, s41
	v_mov_b32_e32 v7, s42
	s_and_saveexec_b32 s41, s23
	s_cbranch_execnz .LBB257_769
	s_branch .LBB257_770
.LBB257_837:
	s_mov_b32 s2, -1
.LBB257_838:
                                        ; implicit-def: $vgpr6
.LBB257_839:
	s_and_b32 vcc_lo, exec_lo, s7
	s_cbranch_vccz .LBB257_843
; %bb.840:
	v_cmp_eq_u16_e32 vcc_lo, 44, v5
	s_cbranch_vccz .LBB257_842
; %bb.841:
	global_load_u8 v3, v[1:2], off
	s_mov_b32 s2, 0
	s_mov_b32 s6, -1
	s_waitcnt vmcnt(0)
	v_lshlrev_b32_e32 v6, 23, v3
	v_cmp_ne_u32_e32 vcc_lo, 0xff, v3
	s_delay_alu instid0(VALU_DEP_2) | instskip(SKIP_1) | instid1(VALU_DEP_2)
	v_cndmask_b32_e32 v6, 0x7f800001, v6, vcc_lo
	v_cmp_ne_u32_e32 vcc_lo, 0, v3
	v_cndmask_b32_e32 v6, 0x400000, v6, vcc_lo
	s_branch .LBB257_843
.LBB257_842:
	s_mov_b32 s2, -1
                                        ; implicit-def: $vgpr6
.LBB257_843:
	s_mov_b32 s7, 0
.LBB257_844:
	s_delay_alu instid0(SALU_CYCLE_1)
	s_and_b32 vcc_lo, exec_lo, s7
	s_cbranch_vccz .LBB257_848
; %bb.845:
	v_cmp_eq_u16_e32 vcc_lo, 29, v5
	s_cbranch_vccz .LBB257_847
; %bb.846:
	global_load_b64 v[6:7], v[1:2], off
	s_mov_b32 s2, 0
	s_mov_b32 s6, -1
	s_mov_b32 s7, 0
	s_waitcnt vmcnt(0)
	v_clz_i32_u32_e32 v3, v7
	s_delay_alu instid0(VALU_DEP_1) | instskip(NEXT) | instid1(VALU_DEP_1)
	v_min_u32_e32 v3, 32, v3
	v_lshlrev_b64 v[6:7], v3, v[6:7]
	v_sub_nc_u32_e32 v3, 32, v3
	s_delay_alu instid0(VALU_DEP_2) | instskip(NEXT) | instid1(VALU_DEP_1)
	v_min_u32_e32 v6, 1, v6
	v_or_b32_e32 v6, v7, v6
	s_delay_alu instid0(VALU_DEP_1) | instskip(NEXT) | instid1(VALU_DEP_1)
	v_cvt_f32_u32_e32 v6, v6
	v_ldexp_f32 v6, v6, v3
	s_branch .LBB257_849
.LBB257_847:
	s_mov_b32 s2, -1
                                        ; implicit-def: $vgpr6
.LBB257_848:
	s_mov_b32 s7, 0
.LBB257_849:
	s_delay_alu instid0(SALU_CYCLE_1)
	s_and_b32 vcc_lo, exec_lo, s7
	s_cbranch_vccz .LBB257_867
; %bb.850:
	v_cmp_gt_i16_e32 vcc_lo, 27, v5
	s_cbranch_vccnz .LBB257_853
; %bb.851:
	v_cmp_lt_i16_e32 vcc_lo, 27, v5
	s_cbranch_vccz .LBB257_854
; %bb.852:
	global_load_b32 v3, v[1:2], off
	s_mov_b32 s6, 0
	s_waitcnt vmcnt(0)
	v_cvt_f32_u32_e32 v6, v3
	s_branch .LBB257_855
.LBB257_853:
	s_mov_b32 s6, -1
                                        ; implicit-def: $vgpr6
	s_branch .LBB257_858
.LBB257_854:
	s_mov_b32 s6, -1
                                        ; implicit-def: $vgpr6
.LBB257_855:
	s_delay_alu instid0(SALU_CYCLE_1)
	s_and_not1_b32 vcc_lo, exec_lo, s6
	s_cbranch_vccnz .LBB257_857
; %bb.856:
	global_load_u16 v3, v[1:2], off
	s_waitcnt vmcnt(0)
	v_cvt_f32_u32_e32 v6, v3
.LBB257_857:
	s_mov_b32 s6, 0
.LBB257_858:
	s_delay_alu instid0(SALU_CYCLE_1)
	s_and_not1_b32 vcc_lo, exec_lo, s6
	s_cbranch_vccnz .LBB257_866
; %bb.859:
	global_load_u8 v3, v[1:2], off
	s_mov_b32 s6, 0
	s_mov_b32 s8, exec_lo
                                        ; implicit-def: $sgpr7
	s_waitcnt vmcnt(0)
	v_cmpx_lt_i16_e32 0x7f, v3
	s_xor_b32 s8, exec_lo, s8
	s_cbranch_execz .LBB257_880
; %bb.860:
	s_mov_b32 s6, -1
	s_mov_b32 s9, exec_lo
                                        ; implicit-def: $sgpr7
	v_cmpx_eq_u16_e32 0x80, v3
; %bb.861:
	s_mov_b32 s7, 0x7f800001
	s_xor_b32 s6, exec_lo, -1
; %bb.862:
	s_or_b32 exec_lo, exec_lo, s9
	s_delay_alu instid0(SALU_CYCLE_1)
	s_and_b32 s6, s6, exec_lo
	s_or_saveexec_b32 s8, s8
	v_mov_b32_e32 v6, s7
	s_xor_b32 exec_lo, exec_lo, s8
	s_cbranch_execnz .LBB257_881
.LBB257_863:
	s_or_b32 exec_lo, exec_lo, s8
	s_and_saveexec_b32 s7, s6
	s_cbranch_execz .LBB257_865
.LBB257_864:
	v_and_b32_e32 v6, 0xffff, v3
	v_lshlrev_b32_e32 v3, 24, v3
	s_delay_alu instid0(VALU_DEP_2) | instskip(NEXT) | instid1(VALU_DEP_2)
	v_and_b32_e32 v7, 7, v6
	v_and_b32_e32 v3, 0x80000000, v3
	s_delay_alu instid0(VALU_DEP_2) | instskip(NEXT) | instid1(VALU_DEP_1)
	v_clz_i32_u32_e32 v8, v7
	v_min_u32_e32 v8, 32, v8
	s_delay_alu instid0(VALU_DEP_1) | instskip(SKIP_1) | instid1(VALU_DEP_2)
	v_subrev_nc_u32_e32 v9, 28, v8
	v_sub_nc_u32_e32 v8, 29, v8
	v_lshlrev_b32_e32 v9, v9, v6
	v_bfe_u32 v6, v6, 3, 4
	s_delay_alu instid0(VALU_DEP_2) | instskip(NEXT) | instid1(VALU_DEP_2)
	v_and_b32_e32 v9, 7, v9
	v_cmp_eq_u32_e32 vcc_lo, 0, v6
	s_delay_alu instid0(VALU_DEP_2) | instskip(NEXT) | instid1(VALU_DEP_1)
	v_dual_cndmask_b32 v6, v6, v8 :: v_dual_cndmask_b32 v7, v7, v9
	v_lshl_add_u32 v6, v6, 23, 0x3b800000
	s_delay_alu instid0(VALU_DEP_2) | instskip(NEXT) | instid1(VALU_DEP_1)
	v_lshlrev_b32_e32 v7, 20, v7
	v_or3_b32 v6, v3, v6, v7
.LBB257_865:
	s_or_b32 exec_lo, exec_lo, s7
.LBB257_866:
	s_mov_b32 s6, -1
.LBB257_867:
	s_mov_b32 s7, 0
.LBB257_868:
	s_delay_alu instid0(SALU_CYCLE_1)
	s_and_b32 vcc_lo, exec_lo, s7
	s_cbranch_vccz .LBB257_901
; %bb.869:
	v_cmp_lt_i16_e32 vcc_lo, 22, v5
	s_cbranch_vccz .LBB257_879
; %bb.870:
	v_cmp_gt_i16_e32 vcc_lo, 24, v5
	s_cbranch_vccnz .LBB257_882
; %bb.871:
	v_cmp_lt_i16_e32 vcc_lo, 24, v5
	s_cbranch_vccz .LBB257_883
; %bb.872:
	global_load_u8 v3, v[1:2], off
	s_mov_b32 s7, exec_lo
                                        ; implicit-def: $sgpr6
	s_waitcnt vmcnt(0)
	v_cmpx_lt_i16_e32 0x7f, v3
	s_xor_b32 s7, exec_lo, s7
	s_cbranch_execz .LBB257_895
; %bb.873:
	s_mov_b32 s3, -1
	s_mov_b32 s8, exec_lo
                                        ; implicit-def: $sgpr6
	v_cmpx_eq_u16_e32 0x80, v3
; %bb.874:
	s_mov_b32 s6, 0x7f800001
	s_xor_b32 s3, exec_lo, -1
; %bb.875:
	s_or_b32 exec_lo, exec_lo, s8
	s_delay_alu instid0(SALU_CYCLE_1)
	s_and_b32 s3, s3, exec_lo
	s_or_saveexec_b32 s7, s7
	v_mov_b32_e32 v6, s6
	s_xor_b32 exec_lo, exec_lo, s7
	s_cbranch_execnz .LBB257_896
.LBB257_876:
	s_or_b32 exec_lo, exec_lo, s7
	s_and_saveexec_b32 s6, s3
	s_cbranch_execz .LBB257_878
.LBB257_877:
	v_and_b32_e32 v6, 0xffff, v3
	v_lshlrev_b32_e32 v3, 24, v3
	s_delay_alu instid0(VALU_DEP_2) | instskip(NEXT) | instid1(VALU_DEP_2)
	v_and_b32_e32 v7, 3, v6
	v_and_b32_e32 v3, 0x80000000, v3
	s_delay_alu instid0(VALU_DEP_2) | instskip(NEXT) | instid1(VALU_DEP_1)
	v_clz_i32_u32_e32 v8, v7
	v_min_u32_e32 v8, 32, v8
	s_delay_alu instid0(VALU_DEP_1) | instskip(SKIP_1) | instid1(VALU_DEP_2)
	v_subrev_nc_u32_e32 v9, 29, v8
	v_sub_nc_u32_e32 v8, 30, v8
	v_lshlrev_b32_e32 v9, v9, v6
	v_bfe_u32 v6, v6, 2, 5
	s_delay_alu instid0(VALU_DEP_2) | instskip(NEXT) | instid1(VALU_DEP_2)
	v_and_b32_e32 v9, 3, v9
	v_cmp_eq_u32_e32 vcc_lo, 0, v6
	s_delay_alu instid0(VALU_DEP_2) | instskip(NEXT) | instid1(VALU_DEP_1)
	v_dual_cndmask_b32 v6, v6, v8 :: v_dual_cndmask_b32 v7, v7, v9
	v_lshl_add_u32 v6, v6, 23, 0x37800000
	s_delay_alu instid0(VALU_DEP_2) | instskip(NEXT) | instid1(VALU_DEP_1)
	v_lshlrev_b32_e32 v7, 21, v7
	v_or3_b32 v6, v3, v6, v7
.LBB257_878:
	s_or_b32 exec_lo, exec_lo, s6
	s_mov_b32 s3, 0
	s_branch .LBB257_884
.LBB257_879:
	s_mov_b32 s3, -1
                                        ; implicit-def: $vgpr6
	s_branch .LBB257_890
.LBB257_880:
	s_or_saveexec_b32 s8, s8
	v_mov_b32_e32 v6, s7
	s_xor_b32 exec_lo, exec_lo, s8
	s_cbranch_execz .LBB257_863
.LBB257_881:
	v_cmp_ne_u16_e32 vcc_lo, 0, v3
	v_mov_b32_e32 v6, 0
	s_and_not1_b32 s6, s6, exec_lo
	s_and_b32 s7, vcc_lo, exec_lo
	s_delay_alu instid0(SALU_CYCLE_1)
	s_or_b32 s6, s6, s7
	s_or_b32 exec_lo, exec_lo, s8
	s_and_saveexec_b32 s7, s6
	s_cbranch_execnz .LBB257_864
	s_branch .LBB257_865
.LBB257_882:
	s_mov_b32 s3, -1
                                        ; implicit-def: $vgpr6
	s_branch .LBB257_887
.LBB257_883:
	s_mov_b32 s3, -1
                                        ; implicit-def: $vgpr6
.LBB257_884:
	s_delay_alu instid0(SALU_CYCLE_1)
	s_and_b32 vcc_lo, exec_lo, s3
	s_cbranch_vccz .LBB257_886
; %bb.885:
	global_load_u8 v3, v[1:2], off
	s_waitcnt vmcnt(0)
	v_lshlrev_b32_e32 v3, 24, v3
	s_delay_alu instid0(VALU_DEP_1) | instskip(NEXT) | instid1(VALU_DEP_1)
	v_and_b32_e32 v6, 0x7f000000, v3
	v_clz_i32_u32_e32 v7, v6
	v_cmp_ne_u32_e32 vcc_lo, 0, v6
	v_add_nc_u32_e32 v9, 0x1000000, v6
	s_delay_alu instid0(VALU_DEP_3) | instskip(NEXT) | instid1(VALU_DEP_1)
	v_min_u32_e32 v7, 32, v7
	v_sub_nc_u32_e64 v7, v7, 4 clamp
	s_delay_alu instid0(VALU_DEP_1) | instskip(SKIP_1) | instid1(VALU_DEP_2)
	v_lshlrev_b32_e32 v8, v7, v6
	v_lshlrev_b32_e32 v7, 23, v7
	v_lshrrev_b32_e32 v8, 4, v8
	s_delay_alu instid0(VALU_DEP_1) | instskip(SKIP_1) | instid1(VALU_DEP_2)
	v_sub_nc_u32_e32 v7, v8, v7
	v_ashrrev_i32_e32 v8, 8, v9
	v_add_nc_u32_e32 v7, 0x3c000000, v7
	s_delay_alu instid0(VALU_DEP_1) | instskip(NEXT) | instid1(VALU_DEP_1)
	v_and_or_b32 v7, 0x7f800000, v8, v7
	v_cndmask_b32_e32 v6, 0, v7, vcc_lo
	s_delay_alu instid0(VALU_DEP_1)
	v_and_or_b32 v6, 0x80000000, v3, v6
.LBB257_886:
	s_mov_b32 s3, 0
.LBB257_887:
	s_delay_alu instid0(SALU_CYCLE_1)
	s_and_not1_b32 vcc_lo, exec_lo, s3
	s_cbranch_vccnz .LBB257_889
; %bb.888:
	global_load_u8 v3, v[1:2], off
	s_waitcnt vmcnt(0)
	v_lshlrev_b32_e32 v6, 25, v3
	v_lshlrev_b16 v3, 8, v3
	s_delay_alu instid0(VALU_DEP_2) | instskip(NEXT) | instid1(VALU_DEP_2)
	v_lshrrev_b32_e32 v7, 4, v6
	v_and_or_b32 v8, 0x7f00, v3, 0.5
	v_cmp_gt_u32_e32 vcc_lo, 0x8000000, v6
	v_bfe_i32 v3, v3, 0, 16
	s_delay_alu instid0(VALU_DEP_4) | instskip(NEXT) | instid1(VALU_DEP_1)
	v_or_b32_e32 v7, 0x70000000, v7
	v_dual_add_f32 v8, -0.5, v8 :: v_dual_mul_f32 v7, 0x7800000, v7
	s_delay_alu instid0(VALU_DEP_1) | instskip(NEXT) | instid1(VALU_DEP_1)
	v_cndmask_b32_e32 v6, v7, v8, vcc_lo
	v_and_or_b32 v6, 0x80000000, v3, v6
.LBB257_889:
	s_mov_b32 s3, 0
	s_mov_b32 s6, -1
.LBB257_890:
	s_and_not1_b32 vcc_lo, exec_lo, s3
	s_mov_b32 s3, 0
	s_cbranch_vccnz .LBB257_901
; %bb.891:
	v_cmp_lt_i16_e32 vcc_lo, 14, v5
	s_cbranch_vccz .LBB257_894
; %bb.892:
	v_cmp_eq_u16_e32 vcc_lo, 15, v5
	s_cbranch_vccz .LBB257_897
; %bb.893:
	global_load_u16 v3, v[1:2], off
	s_mov_b32 s2, 0
	s_mov_b32 s6, -1
	s_waitcnt vmcnt(0)
	v_lshlrev_b32_e32 v6, 16, v3
	s_branch .LBB257_899
.LBB257_894:
	s_mov_b32 s3, -1
	s_branch .LBB257_898
.LBB257_895:
	s_or_saveexec_b32 s7, s7
	v_mov_b32_e32 v6, s6
	s_xor_b32 exec_lo, exec_lo, s7
	s_cbranch_execz .LBB257_876
.LBB257_896:
	v_cmp_ne_u16_e32 vcc_lo, 0, v3
	v_mov_b32_e32 v6, 0
	s_and_not1_b32 s3, s3, exec_lo
	s_and_b32 s6, vcc_lo, exec_lo
	s_delay_alu instid0(SALU_CYCLE_1)
	s_or_b32 s3, s3, s6
	s_or_b32 exec_lo, exec_lo, s7
	s_and_saveexec_b32 s6, s3
	s_cbranch_execnz .LBB257_877
	s_branch .LBB257_878
.LBB257_897:
	s_mov_b32 s2, -1
.LBB257_898:
                                        ; implicit-def: $vgpr6
.LBB257_899:
	s_and_b32 vcc_lo, exec_lo, s3
	s_mov_b32 s3, 0
	s_cbranch_vccz .LBB257_901
; %bb.900:
	v_cmp_ne_u16_e32 vcc_lo, 11, v5
	s_and_not1_b32 s2, s2, exec_lo
	s_mov_b32 s3, -1
                                        ; implicit-def: $vgpr6
	s_and_b32 s7, vcc_lo, exec_lo
	s_delay_alu instid0(SALU_CYCLE_1)
	s_or_b32 s2, s2, s7
.LBB257_901:
	s_mov_b32 s7, 0
.LBB257_902:
	s_and_b32 s41, s6, exec_lo
	s_and_b32 s42, s7, exec_lo
	s_and_not1_b32 s6, s22, exec_lo
	s_and_b32 s7, s2, exec_lo
	s_and_b32 s2, s3, exec_lo
	s_or_b32 s43, s6, s7
.LBB257_903:
	s_or_b32 exec_lo, exec_lo, s30
	s_waitcnt lgkmcnt(0)
	s_and_not1_b32 s6, s22, exec_lo
	s_and_b32 s7, s43, exec_lo
	s_and_b32 s41, s41, exec_lo
	;; [unrolled: 1-line block ×4, first 2 shown]
	s_or_b32 s22, s6, s7
.LBB257_904:
	s_or_b32 exec_lo, exec_lo, s40
	s_waitcnt lgkmcnt(0)
	s_and_not1_b32 s6, s38, exec_lo
	s_and_b32 s7, s23, exec_lo
	s_and_b32 s40, s41, exec_lo
	s_or_b32 s38, s6, s7
	s_and_not1_b32 s6, s37, exec_lo
	s_and_b32 s7, s22, exec_lo
	s_and_b32 s23, s3, exec_lo
	;; [unrolled: 1-line block ×3, first 2 shown]
	s_or_b32 s37, s6, s7
.LBB257_905:
	s_or_b32 exec_lo, exec_lo, s39
	s_delay_alu instid0(SALU_CYCLE_1)
	s_and_not1_b32 s2, s34, exec_lo
	s_waitcnt lgkmcnt(0)
	s_and_b32 s6, s38, exec_lo
	s_and_b32 s7, s37, exec_lo
	s_or_b32 s34, s2, s6
	s_and_not1_b32 s6, s35, exec_lo
	s_and_b32 s2, s40, exec_lo
	s_and_b32 s22, s23, exec_lo
	;; [unrolled: 1-line block ×3, first 2 shown]
	s_or_b32 s35, s6, s7
.LBB257_906:
	s_or_b32 exec_lo, exec_lo, s36
	s_mov_b32 s3, 0
	s_waitcnt lgkmcnt(0)
	s_and_saveexec_b32 s6, s35
	s_cbranch_execnz .LBB257_918
; %bb.907:
	s_or_b32 exec_lo, exec_lo, s6
	s_and_saveexec_b32 s6, s37
	s_delay_alu instid0(SALU_CYCLE_1)
	s_xor_b32 s6, exec_lo, s6
	s_cbranch_execz .LBB257_909
.LBB257_908:
	global_load_u8 v3, v[1:2], off
	s_or_b32 s2, s2, exec_lo
	s_waitcnt vmcnt(0)
	v_cmp_ne_u16_e32 vcc_lo, 0, v3
	v_cndmask_b32_e64 v6, 0, 1.0, vcc_lo
.LBB257_909:
	s_or_b32 exec_lo, exec_lo, s6
	s_and_saveexec_b32 s6, s22
	s_cbranch_execz .LBB257_957
; %bb.910:
	v_cmp_gt_i16_e32 vcc_lo, 5, v5
	s_cbranch_vccnz .LBB257_915
; %bb.911:
	v_cmp_gt_i16_e32 vcc_lo, 8, v5
	s_cbranch_vccnz .LBB257_916
	;; [unrolled: 3-line block ×3, first 2 shown]
; %bb.913:
	v_cmp_lt_i16_e32 vcc_lo, 9, v5
	s_cbranch_vccz .LBB257_920
; %bb.914:
	global_load_b64 v[6:7], v[1:2], off
	s_mov_b32 s7, 0
	s_waitcnt vmcnt(0)
	v_cvt_f32_f64_e32 v6, v[6:7]
	s_branch .LBB257_921
.LBB257_915:
                                        ; implicit-def: $vgpr6
	s_branch .LBB257_938
.LBB257_916:
                                        ; implicit-def: $vgpr6
	s_branch .LBB257_927
.LBB257_917:
	s_mov_b32 s7, -1
                                        ; implicit-def: $vgpr6
	s_branch .LBB257_924
.LBB257_918:
	s_cbranch_execnz .LBB257_1188
; %bb.919:
	s_mov_b32 s3, exec_lo
	s_and_not1_b32 s37, s37, exec_lo
                                        ; implicit-def: $vgpr6
	s_or_b32 exec_lo, exec_lo, s6
	s_and_saveexec_b32 s6, s37
	s_delay_alu instid0(SALU_CYCLE_1)
	s_xor_b32 s6, exec_lo, s6
	s_cbranch_execnz .LBB257_908
	s_branch .LBB257_909
.LBB257_920:
	s_mov_b32 s7, -1
                                        ; implicit-def: $vgpr6
.LBB257_921:
	s_delay_alu instid0(SALU_CYCLE_1)
	s_and_not1_b32 vcc_lo, exec_lo, s7
	s_cbranch_vccnz .LBB257_923
; %bb.922:
	global_load_b32 v6, v[1:2], off
.LBB257_923:
	s_mov_b32 s7, 0
.LBB257_924:
	s_delay_alu instid0(SALU_CYCLE_1)
	s_and_not1_b32 vcc_lo, exec_lo, s7
	s_cbranch_vccnz .LBB257_926
; %bb.925:
	global_load_b32 v3, v[1:2], off
	s_waitcnt vmcnt(0)
	v_cvt_f32_f16_e32 v6, v3
.LBB257_926:
	s_cbranch_execnz .LBB257_937
.LBB257_927:
	v_cmp_gt_i16_e32 vcc_lo, 6, v5
	s_cbranch_vccnz .LBB257_930
; %bb.928:
	v_cmp_lt_i16_e32 vcc_lo, 6, v5
	s_cbranch_vccz .LBB257_931
; %bb.929:
	global_load_b64 v[6:7], v[1:2], off
	s_mov_b32 s7, 0
	s_waitcnt vmcnt(0)
	v_cvt_f32_f64_e32 v6, v[6:7]
	s_branch .LBB257_932
.LBB257_930:
	s_mov_b32 s7, -1
                                        ; implicit-def: $vgpr6
	s_branch .LBB257_935
.LBB257_931:
	s_mov_b32 s7, -1
                                        ; implicit-def: $vgpr6
.LBB257_932:
	s_delay_alu instid0(SALU_CYCLE_1)
	s_and_not1_b32 vcc_lo, exec_lo, s7
	s_cbranch_vccnz .LBB257_934
; %bb.933:
	global_load_b32 v6, v[1:2], off
.LBB257_934:
	s_mov_b32 s7, 0
.LBB257_935:
	s_delay_alu instid0(SALU_CYCLE_1)
	s_and_not1_b32 vcc_lo, exec_lo, s7
	s_cbranch_vccnz .LBB257_937
; %bb.936:
	global_load_u16 v3, v[1:2], off
	s_waitcnt vmcnt(0)
	v_cvt_f32_f16_e32 v6, v3
.LBB257_937:
	s_cbranch_execnz .LBB257_956
.LBB257_938:
	v_cmp_gt_i16_e32 vcc_lo, 2, v5
	s_cbranch_vccnz .LBB257_942
; %bb.939:
	v_cmp_gt_i16_e32 vcc_lo, 3, v5
	s_cbranch_vccnz .LBB257_943
; %bb.940:
	v_cmp_lt_i16_e32 vcc_lo, 3, v5
	s_cbranch_vccz .LBB257_944
; %bb.941:
	global_load_b64 v[6:7], v[1:2], off
	s_mov_b32 s7, 0
	s_waitcnt vmcnt(0)
	v_xor_b32_e32 v3, v6, v7
	v_cls_i32_e32 v8, v7
	s_delay_alu instid0(VALU_DEP_2) | instskip(NEXT) | instid1(VALU_DEP_2)
	v_ashrrev_i32_e32 v3, 31, v3
	v_add_nc_u32_e32 v8, -1, v8
	s_delay_alu instid0(VALU_DEP_2) | instskip(NEXT) | instid1(VALU_DEP_1)
	v_add_nc_u32_e32 v3, 32, v3
	v_min_u32_e32 v3, v8, v3
	s_delay_alu instid0(VALU_DEP_1) | instskip(SKIP_1) | instid1(VALU_DEP_2)
	v_lshlrev_b64 v[6:7], v3, v[6:7]
	v_sub_nc_u32_e32 v3, 32, v3
	v_min_u32_e32 v6, 1, v6
	s_delay_alu instid0(VALU_DEP_1) | instskip(NEXT) | instid1(VALU_DEP_1)
	v_or_b32_e32 v6, v7, v6
	v_cvt_f32_i32_e32 v6, v6
	s_delay_alu instid0(VALU_DEP_1)
	v_ldexp_f32 v6, v6, v3
	s_branch .LBB257_945
.LBB257_942:
                                        ; implicit-def: $vgpr6
	s_branch .LBB257_951
.LBB257_943:
	s_mov_b32 s7, -1
                                        ; implicit-def: $vgpr6
	s_branch .LBB257_948
.LBB257_944:
	s_mov_b32 s7, -1
                                        ; implicit-def: $vgpr6
.LBB257_945:
	s_delay_alu instid0(SALU_CYCLE_1)
	s_and_not1_b32 vcc_lo, exec_lo, s7
	s_cbranch_vccnz .LBB257_947
; %bb.946:
	global_load_b32 v3, v[1:2], off
	s_waitcnt vmcnt(0)
	v_cvt_f32_i32_e32 v6, v3
.LBB257_947:
	s_mov_b32 s7, 0
.LBB257_948:
	s_delay_alu instid0(SALU_CYCLE_1)
	s_and_not1_b32 vcc_lo, exec_lo, s7
	s_cbranch_vccnz .LBB257_950
; %bb.949:
	global_load_i16 v3, v[1:2], off
	s_waitcnt vmcnt(0)
	v_cvt_f32_i32_e32 v6, v3
.LBB257_950:
	s_cbranch_execnz .LBB257_956
.LBB257_951:
	v_cmp_lt_i16_e32 vcc_lo, 0, v5
	s_mov_b32 s7, 0
	s_cbranch_vccz .LBB257_953
; %bb.952:
	global_load_i8 v3, v[1:2], off
	s_waitcnt vmcnt(0)
	v_cvt_f32_i32_e32 v6, v3
	s_branch .LBB257_954
.LBB257_953:
	s_mov_b32 s7, -1
                                        ; implicit-def: $vgpr6
.LBB257_954:
	s_delay_alu instid0(SALU_CYCLE_1)
	s_and_not1_b32 vcc_lo, exec_lo, s7
	s_cbranch_vccnz .LBB257_956
; %bb.955:
	global_load_u8 v1, v[1:2], off
	s_waitcnt vmcnt(0)
	v_cvt_f32_ubyte0_e32 v6, v1
.LBB257_956:
	s_or_b32 s2, s2, exec_lo
.LBB257_957:
	s_or_b32 exec_lo, exec_lo, s6
	s_mov_b32 s8, 0
	s_mov_b32 s7, 0
                                        ; implicit-def: $vgpr5
                                        ; implicit-def: $vgpr1_vgpr2
                                        ; implicit-def: $vgpr3
	s_and_saveexec_b32 s6, s2
	s_cbranch_execz .LBB257_1034
; %bb.958:
	s_waitcnt vmcnt(0)
	s_delay_alu instid0(VALU_DEP_1) | instskip(SKIP_2) | instid1(VALU_DEP_2)
	v_mul_f32_e32 v1, 0x4f800000, v6
	v_cmp_gt_f32_e32 vcc_lo, 0xf800000, v6
	s_mov_b32 s7, -1
	v_cndmask_b32_e32 v3, v6, v1, vcc_lo
	s_delay_alu instid0(VALU_DEP_1) | instskip(SKIP_3) | instid1(VALU_DEP_2)
	v_sqrt_f32_e32 v1, v3
	s_waitcnt_depctr 0xfff
	v_add_nc_u32_e32 v2, -1, v1
	v_add_nc_u32_e32 v5, 1, v1
	v_fma_f32 v6, -v2, v1, v3
	s_delay_alu instid0(VALU_DEP_2) | instskip(NEXT) | instid1(VALU_DEP_2)
	v_fma_f32 v7, -v5, v1, v3
	v_cmp_ge_f32_e64 s2, 0, v6
	s_delay_alu instid0(VALU_DEP_1) | instskip(NEXT) | instid1(VALU_DEP_3)
	v_cndmask_b32_e64 v1, v1, v2, s2
	v_cmp_lt_f32_e64 s2, 0, v7
	s_delay_alu instid0(VALU_DEP_1) | instskip(SKIP_1) | instid1(VALU_DEP_2)
	v_cndmask_b32_e64 v1, v1, v5, s2
	v_and_b32_e32 v5, 0xff, v4
	v_mul_f32_e32 v2, 0x37800000, v1
	s_delay_alu instid0(VALU_DEP_2) | instskip(NEXT) | instid1(VALU_DEP_2)
	v_cmp_gt_i16_e64 s2, 11, v5
	v_cndmask_b32_e32 v4, v1, v2, vcc_lo
	v_cmp_class_f32_e64 vcc_lo, v3, 0x260
	v_add_co_u32 v1, s4, s4, v0
	s_delay_alu instid0(VALU_DEP_1) | instskip(NEXT) | instid1(VALU_DEP_4)
	v_add_co_ci_u32_e64 v2, null, s5, 0, s4
	v_cndmask_b32_e32 v3, v4, v3, vcc_lo
	s_and_b32 vcc_lo, exec_lo, s2
	s_mov_b32 s2, s34
	s_cbranch_vccnz .LBB257_1033
; %bb.959:
	v_cmp_lt_i16_e32 vcc_lo, 25, v5
	s_mov_b32 s4, -1
	s_mov_b32 s2, s34
	s_cbranch_vccz .LBB257_992
; %bb.960:
	v_cmp_lt_i16_e32 vcc_lo, 28, v5
	s_mov_b32 s2, s34
	s_cbranch_vccz .LBB257_976
; %bb.961:
	v_cmp_lt_i16_e32 vcc_lo, 43, v5
	s_mov_b32 s2, s34
	s_cbranch_vccz .LBB257_972
; %bb.962:
	v_cmp_lt_i16_e32 vcc_lo, 45, v5
	s_mov_b32 s2, s34
	s_cbranch_vccz .LBB257_966
; %bb.963:
	v_cmp_eq_u16_e32 vcc_lo, 46, v5
	s_mov_b32 s2, -1
	s_cbranch_vccz .LBB257_965
; %bb.964:
	v_bfe_u32 v0, v3, 16, 1
	v_cmp_o_f32_e32 vcc_lo, v3, v3
	s_mov_b32 s2, 0
	s_delay_alu instid0(VALU_DEP_2) | instskip(NEXT) | instid1(VALU_DEP_1)
	v_add3_u32 v0, v3, v0, 0x7fff
	v_lshrrev_b32_e32 v0, 16, v0
	s_delay_alu instid0(VALU_DEP_1)
	v_cndmask_b32_e32 v0, 0x7fc0, v0, vcc_lo
	global_store_b32 v[1:2], v0, off
.LBB257_965:
	s_mov_b32 s4, 0
.LBB257_966:
	s_delay_alu instid0(SALU_CYCLE_1)
	s_and_b32 vcc_lo, exec_lo, s4
	s_cbranch_vccz .LBB257_971
; %bb.967:
	v_cmp_eq_u16_e32 vcc_lo, 44, v5
	s_mov_b32 s2, -1
	s_cbranch_vccz .LBB257_971
; %bb.968:
	v_bfe_u32 v4, v3, 23, 8
	v_mov_b32_e32 v0, 0xff
	s_mov_b32 s4, exec_lo
	s_delay_alu instid0(VALU_DEP_2)
	v_cmpx_ne_u32_e32 0xff, v4
; %bb.969:
	v_and_b32_e32 v0, 0x400000, v3
	v_and_or_b32 v4, 0x3fffff, v3, v4
	s_delay_alu instid0(VALU_DEP_2) | instskip(NEXT) | instid1(VALU_DEP_2)
	v_cmp_ne_u32_e32 vcc_lo, 0, v0
	v_cmp_ne_u32_e64 s2, 0, v4
	v_lshrrev_b32_e32 v0, 23, v3
	s_delay_alu instid0(VALU_DEP_2) | instskip(NEXT) | instid1(SALU_CYCLE_1)
	s_and_b32 s2, vcc_lo, s2
	v_cndmask_b32_e64 v4, 0, 1, s2
	s_delay_alu instid0(VALU_DEP_1)
	v_add_nc_u32_e32 v0, v0, v4
; %bb.970:
	s_or_b32 exec_lo, exec_lo, s4
	s_mov_b32 s2, 0
	global_store_b8 v[1:2], v0, off
.LBB257_971:
	s_mov_b32 s4, 0
.LBB257_972:
	s_delay_alu instid0(SALU_CYCLE_1)
	s_and_b32 vcc_lo, exec_lo, s4
	s_cbranch_vccz .LBB257_975
; %bb.973:
	v_cmp_eq_u16_e32 vcc_lo, 29, v5
	s_mov_b32 s2, -1
	s_cbranch_vccz .LBB257_975
; %bb.974:
	v_trunc_f32_e32 v0, v3
	s_mov_b32 s2, 0
	s_delay_alu instid0(VALU_DEP_1) | instskip(NEXT) | instid1(VALU_DEP_1)
	v_mul_f32_e32 v4, 0x2f800000, v0
	v_floor_f32_e32 v4, v4
	s_delay_alu instid0(VALU_DEP_1) | instskip(SKIP_1) | instid1(VALU_DEP_2)
	v_fmamk_f32 v0, v4, 0xcf800000, v0
	v_cvt_u32_f32_e32 v7, v4
	v_cvt_u32_f32_e32 v6, v0
	global_store_b64 v[1:2], v[6:7], off
.LBB257_975:
	s_mov_b32 s4, 0
.LBB257_976:
	s_delay_alu instid0(SALU_CYCLE_1)
	s_and_b32 vcc_lo, exec_lo, s4
	s_cbranch_vccz .LBB257_991
; %bb.977:
	v_cmp_gt_i16_e32 vcc_lo, 27, v5
	s_mov_b32 s4, -1
	s_cbranch_vccnz .LBB257_983
; %bb.978:
	v_cmp_lt_i16_e32 vcc_lo, 27, v5
	v_cvt_u32_f32_e32 v0, v3
	s_cbranch_vccz .LBB257_980
; %bb.979:
	s_mov_b32 s4, 0
	global_store_b32 v[1:2], v0, off
.LBB257_980:
	s_and_not1_b32 vcc_lo, exec_lo, s4
	s_cbranch_vccnz .LBB257_982
; %bb.981:
	global_store_b16 v[1:2], v0, off
.LBB257_982:
	s_mov_b32 s4, 0
.LBB257_983:
	s_delay_alu instid0(SALU_CYCLE_1)
	s_and_not1_b32 vcc_lo, exec_lo, s4
	s_cbranch_vccnz .LBB257_991
; %bb.984:
	v_and_b32_e32 v0, 0x7fffffff, v3
	v_mov_b32_e32 v4, 0x80
	s_mov_b32 s4, exec_lo
	s_delay_alu instid0(VALU_DEP_2)
	v_cmpx_gt_u32_e32 0x43800000, v0
	s_cbranch_execz .LBB257_990
; %bb.985:
	v_cmp_lt_u32_e32 vcc_lo, 0x3bffffff, v0
	s_mov_b32 s5, 0
                                        ; implicit-def: $vgpr0
	s_and_saveexec_b32 s7, vcc_lo
	s_delay_alu instid0(SALU_CYCLE_1)
	s_xor_b32 s7, exec_lo, s7
	s_cbranch_execz .LBB257_1279
; %bb.986:
	v_bfe_u32 v0, v3, 20, 1
	s_mov_b32 s5, exec_lo
	s_delay_alu instid0(VALU_DEP_1) | instskip(NEXT) | instid1(VALU_DEP_1)
	v_add3_u32 v0, v3, v0, 0x487ffff
	v_lshrrev_b32_e32 v0, 20, v0
	s_or_saveexec_b32 s7, s7
                                        ; implicit-def: $sgpr8
	s_delay_alu instid0(SALU_CYCLE_1)
	s_xor_b32 exec_lo, exec_lo, s7
	s_cbranch_execnz .LBB257_1280
.LBB257_987:
	s_or_b32 exec_lo, exec_lo, s7
	v_mov_b32_e32 v4, s8
	s_and_saveexec_b32 s7, s5
.LBB257_988:
	v_lshrrev_b32_e32 v4, 24, v3
	s_delay_alu instid0(VALU_DEP_1)
	v_and_or_b32 v4, 0x80, v4, v0
.LBB257_989:
	s_or_b32 exec_lo, exec_lo, s7
.LBB257_990:
	s_delay_alu instid0(SALU_CYCLE_1)
	s_or_b32 exec_lo, exec_lo, s4
	global_store_b8 v[1:2], v4, off
.LBB257_991:
	s_mov_b32 s4, 0
.LBB257_992:
	s_delay_alu instid0(SALU_CYCLE_1)
	s_and_b32 vcc_lo, exec_lo, s4
	s_mov_b32 s7, 0
	s_cbranch_vccz .LBB257_1032
; %bb.993:
	v_cmp_lt_i16_e32 vcc_lo, 22, v5
	s_mov_b32 s4, -1
	s_cbranch_vccz .LBB257_1025
; %bb.994:
	v_cmp_gt_i16_e32 vcc_lo, 24, v5
	s_cbranch_vccnz .LBB257_1014
; %bb.995:
	v_cmp_lt_i16_e32 vcc_lo, 24, v5
	s_cbranch_vccz .LBB257_1003
; %bb.996:
	v_and_b32_e32 v0, 0x7fffffff, v3
	v_mov_b32_e32 v4, 0x80
	s_mov_b32 s4, exec_lo
	s_delay_alu instid0(VALU_DEP_2)
	v_cmpx_gt_u32_e32 0x47800000, v0
	s_cbranch_execz .LBB257_1002
; %bb.997:
	v_cmp_lt_u32_e32 vcc_lo, 0x37ffffff, v0
	s_mov_b32 s5, 0
                                        ; implicit-def: $vgpr0
	s_and_saveexec_b32 s8, vcc_lo
	s_delay_alu instid0(SALU_CYCLE_1)
	s_xor_b32 s8, exec_lo, s8
	s_cbranch_execz .LBB257_1323
; %bb.998:
	v_bfe_u32 v0, v3, 21, 1
	s_mov_b32 s5, exec_lo
	s_delay_alu instid0(VALU_DEP_1) | instskip(NEXT) | instid1(VALU_DEP_1)
	v_add3_u32 v0, v3, v0, 0x88fffff
	v_lshrrev_b32_e32 v0, 21, v0
	s_or_saveexec_b32 s8, s8
                                        ; implicit-def: $sgpr9
	s_delay_alu instid0(SALU_CYCLE_1)
	s_xor_b32 exec_lo, exec_lo, s8
	s_cbranch_execnz .LBB257_1324
.LBB257_999:
	s_or_b32 exec_lo, exec_lo, s8
	v_mov_b32_e32 v4, s9
	s_and_saveexec_b32 s8, s5
.LBB257_1000:
	v_lshrrev_b32_e32 v4, 24, v3
	s_delay_alu instid0(VALU_DEP_1)
	v_and_or_b32 v4, 0x80, v4, v0
.LBB257_1001:
	s_or_b32 exec_lo, exec_lo, s8
.LBB257_1002:
	s_delay_alu instid0(SALU_CYCLE_1)
	s_or_b32 exec_lo, exec_lo, s4
	s_mov_b32 s4, 0
	global_store_b8 v[1:2], v4, off
.LBB257_1003:
	s_and_b32 vcc_lo, exec_lo, s4
	s_cbranch_vccz .LBB257_1013
; %bb.1004:
	v_and_b32_e32 v4, 0x7fffffff, v3
	s_mov_b32 s4, exec_lo
                                        ; implicit-def: $vgpr0
	s_delay_alu instid0(VALU_DEP_1)
	v_cmpx_gt_u32_e32 0x43f00000, v4
	s_xor_b32 s4, exec_lo, s4
	s_cbranch_execz .LBB257_1010
; %bb.1005:
	s_mov_b32 s5, exec_lo
                                        ; implicit-def: $vgpr0
	v_cmpx_lt_u32_e32 0x3c7fffff, v4
	s_xor_b32 s5, exec_lo, s5
; %bb.1006:
	v_bfe_u32 v0, v3, 20, 1
	s_delay_alu instid0(VALU_DEP_1) | instskip(NEXT) | instid1(VALU_DEP_1)
	v_add3_u32 v0, v3, v0, 0x407ffff
	v_and_b32_e32 v4, 0xff00000, v0
	v_lshrrev_b32_e32 v0, 20, v0
	s_delay_alu instid0(VALU_DEP_2) | instskip(NEXT) | instid1(VALU_DEP_2)
	v_cmp_ne_u32_e32 vcc_lo, 0x7f00000, v4
	v_cndmask_b32_e32 v0, 0x7e, v0, vcc_lo
; %bb.1007:
	s_and_not1_saveexec_b32 s5, s5
; %bb.1008:
	v_add_f32_e64 v0, 0x46800000, |v3|
; %bb.1009:
	s_or_b32 exec_lo, exec_lo, s5
                                        ; implicit-def: $vgpr4
.LBB257_1010:
	s_and_not1_saveexec_b32 s4, s4
; %bb.1011:
	v_mov_b32_e32 v0, 0x7f
	v_cmp_lt_u32_e32 vcc_lo, 0x7f800000, v4
	s_delay_alu instid0(VALU_DEP_2)
	v_cndmask_b32_e32 v0, 0x7e, v0, vcc_lo
; %bb.1012:
	s_or_b32 exec_lo, exec_lo, s4
	v_lshrrev_b32_e32 v4, 24, v3
	s_delay_alu instid0(VALU_DEP_1)
	v_and_or_b32 v0, 0x80, v4, v0
	global_store_b8 v[1:2], v0, off
.LBB257_1013:
	s_mov_b32 s4, 0
.LBB257_1014:
	s_delay_alu instid0(SALU_CYCLE_1)
	s_and_not1_b32 vcc_lo, exec_lo, s4
	s_cbranch_vccnz .LBB257_1024
; %bb.1015:
	v_and_b32_e32 v4, 0x7fffffff, v3
	s_mov_b32 s4, exec_lo
                                        ; implicit-def: $vgpr0
	s_delay_alu instid0(VALU_DEP_1)
	v_cmpx_gt_u32_e32 0x47800000, v4
	s_xor_b32 s4, exec_lo, s4
	s_cbranch_execz .LBB257_1021
; %bb.1016:
	s_mov_b32 s5, exec_lo
                                        ; implicit-def: $vgpr0
	v_cmpx_lt_u32_e32 0x387fffff, v4
	s_xor_b32 s5, exec_lo, s5
; %bb.1017:
	v_bfe_u32 v0, v3, 21, 1
	s_delay_alu instid0(VALU_DEP_1) | instskip(NEXT) | instid1(VALU_DEP_1)
	v_add3_u32 v0, v3, v0, 0x80fffff
	v_lshrrev_b32_e32 v0, 21, v0
; %bb.1018:
	s_and_not1_saveexec_b32 s5, s5
; %bb.1019:
	v_add_f32_e64 v0, 0x43000000, |v3|
; %bb.1020:
	s_or_b32 exec_lo, exec_lo, s5
                                        ; implicit-def: $vgpr4
.LBB257_1021:
	s_and_not1_saveexec_b32 s4, s4
; %bb.1022:
	v_mov_b32_e32 v0, 0x7f
	v_cmp_lt_u32_e32 vcc_lo, 0x7f800000, v4
	s_delay_alu instid0(VALU_DEP_2)
	v_cndmask_b32_e32 v0, 0x7c, v0, vcc_lo
; %bb.1023:
	s_or_b32 exec_lo, exec_lo, s4
	v_lshrrev_b32_e32 v4, 24, v3
	s_delay_alu instid0(VALU_DEP_1)
	v_and_or_b32 v0, 0x80, v4, v0
	global_store_b8 v[1:2], v0, off
.LBB257_1024:
	s_mov_b32 s4, 0
.LBB257_1025:
	s_delay_alu instid0(SALU_CYCLE_1)
	s_and_not1_b32 vcc_lo, exec_lo, s4
	s_mov_b32 s8, 0
	s_cbranch_vccnz .LBB257_1033
; %bb.1026:
	v_cmp_lt_i16_e32 vcc_lo, 14, v5
	s_mov_b32 s4, -1
	s_cbranch_vccz .LBB257_1030
; %bb.1027:
	v_cmp_eq_u16_e32 vcc_lo, 15, v5
	s_mov_b32 s2, -1
	s_cbranch_vccz .LBB257_1029
; %bb.1028:
	v_bfe_u32 v0, v3, 16, 1
	v_cmp_o_f32_e32 vcc_lo, v3, v3
	s_mov_b32 s2, 0
	s_delay_alu instid0(VALU_DEP_2) | instskip(NEXT) | instid1(VALU_DEP_1)
	v_add3_u32 v0, v3, v0, 0x7fff
	v_lshrrev_b32_e32 v0, 16, v0
	s_delay_alu instid0(VALU_DEP_1)
	v_cndmask_b32_e32 v0, 0x7fc0, v0, vcc_lo
	global_store_b16 v[1:2], v0, off
.LBB257_1029:
	s_mov_b32 s4, 0
.LBB257_1030:
	s_delay_alu instid0(SALU_CYCLE_1)
	s_and_b32 vcc_lo, exec_lo, s4
	s_cbranch_vccz .LBB257_1033
; %bb.1031:
	v_cmp_ne_u16_e32 vcc_lo, 11, v5
	s_and_not1_b32 s2, s2, exec_lo
	s_mov_b32 s8, -1
	s_and_b32 s4, vcc_lo, exec_lo
	s_delay_alu instid0(SALU_CYCLE_1)
	s_or_b32 s2, s2, s4
	s_branch .LBB257_1033
.LBB257_1032:
	s_mov_b32 s8, 0
.LBB257_1033:
	s_and_not1_b32 s4, s34, exec_lo
	s_and_b32 s2, s2, exec_lo
	s_and_b32 s7, s7, exec_lo
	;; [unrolled: 1-line block ×3, first 2 shown]
	s_or_b32 s34, s4, s2
.LBB257_1034:
	s_or_b32 exec_lo, exec_lo, s6
	s_and_saveexec_b32 s2, s34
	s_cbranch_execnz .LBB257_1148
; %bb.1035:
	s_or_b32 exec_lo, exec_lo, s2
	s_and_saveexec_b32 s2, s8
	s_delay_alu instid0(SALU_CYCLE_1)
	s_xor_b32 s2, exec_lo, s2
	s_cbranch_execz .LBB257_1037
.LBB257_1036:
	s_waitcnt vmcnt(0)
	v_cmp_neq_f32_e32 vcc_lo, 0, v3
	v_cndmask_b32_e64 v0, 0, 1, vcc_lo
	global_store_b8 v[1:2], v0, off
.LBB257_1037:
	s_or_b32 exec_lo, exec_lo, s2
	s_and_saveexec_b32 s2, s7
	s_delay_alu instid0(SALU_CYCLE_1)
	s_xor_b32 s2, exec_lo, s2
	s_cbranch_execz .LBB257_1075
; %bb.1038:
	v_cmp_gt_i16_e32 vcc_lo, 5, v5
	s_mov_b32 s4, -1
	s_cbranch_vccnz .LBB257_1059
; %bb.1039:
	v_cmp_gt_i16_e32 vcc_lo, 8, v5
	s_cbranch_vccnz .LBB257_1049
; %bb.1040:
	v_cmp_gt_i16_e32 vcc_lo, 9, v5
	s_cbranch_vccnz .LBB257_1046
; %bb.1041:
	v_cmp_lt_i16_e32 vcc_lo, 9, v5
	s_cbranch_vccz .LBB257_1043
; %bb.1042:
	s_waitcnt vmcnt(0)
	v_cvt_f64_f32_e32 v[6:7], v3
	v_mov_b32_e32 v8, 0
	s_mov_b32 s4, 0
	s_delay_alu instid0(VALU_DEP_1)
	v_mov_b32_e32 v9, v8
	global_store_b128 v[1:2], v[6:9], off
.LBB257_1043:
	s_and_not1_b32 vcc_lo, exec_lo, s4
	s_cbranch_vccnz .LBB257_1045
; %bb.1044:
	v_mov_b32_e32 v4, 0
	s_waitcnt vmcnt(0)
	global_store_b64 v[1:2], v[3:4], off
.LBB257_1045:
	s_mov_b32 s4, 0
.LBB257_1046:
	s_delay_alu instid0(SALU_CYCLE_1)
	s_and_not1_b32 vcc_lo, exec_lo, s4
	s_cbranch_vccnz .LBB257_1048
; %bb.1047:
	s_waitcnt vmcnt(0)
	v_cvt_f16_f32_e32 v0, v3
	s_delay_alu instid0(VALU_DEP_1)
	v_and_b32_e32 v0, 0xffff, v0
	global_store_b32 v[1:2], v0, off
.LBB257_1048:
	s_mov_b32 s4, 0
.LBB257_1049:
	s_delay_alu instid0(SALU_CYCLE_1)
	s_and_not1_b32 vcc_lo, exec_lo, s4
	s_cbranch_vccnz .LBB257_1058
; %bb.1050:
	v_cmp_gt_i16_e32 vcc_lo, 6, v5
	s_mov_b32 s4, -1
	s_cbranch_vccnz .LBB257_1056
; %bb.1051:
	v_cmp_lt_i16_e32 vcc_lo, 6, v5
	s_cbranch_vccz .LBB257_1053
; %bb.1052:
	s_waitcnt vmcnt(0)
	v_cvt_f64_f32_e32 v[6:7], v3
	s_mov_b32 s4, 0
	global_store_b64 v[1:2], v[6:7], off
.LBB257_1053:
	s_and_not1_b32 vcc_lo, exec_lo, s4
	s_cbranch_vccnz .LBB257_1055
; %bb.1054:
	s_waitcnt vmcnt(0)
	global_store_b32 v[1:2], v3, off
.LBB257_1055:
	s_mov_b32 s4, 0
.LBB257_1056:
	s_delay_alu instid0(SALU_CYCLE_1)
	s_and_not1_b32 vcc_lo, exec_lo, s4
	s_cbranch_vccnz .LBB257_1058
; %bb.1057:
	s_waitcnt vmcnt(0)
	v_cvt_f16_f32_e32 v0, v3
	global_store_b16 v[1:2], v0, off
.LBB257_1058:
	s_mov_b32 s4, 0
.LBB257_1059:
	s_delay_alu instid0(SALU_CYCLE_1)
	s_and_not1_b32 vcc_lo, exec_lo, s4
	s_cbranch_vccnz .LBB257_1075
; %bb.1060:
	v_cmp_gt_i16_e32 vcc_lo, 2, v5
	s_mov_b32 s4, -1
	s_cbranch_vccnz .LBB257_1070
; %bb.1061:
	v_cmp_gt_i16_e32 vcc_lo, 3, v5
	s_cbranch_vccnz .LBB257_1067
; %bb.1062:
	v_cmp_lt_i16_e32 vcc_lo, 3, v5
	s_cbranch_vccz .LBB257_1064
; %bb.1063:
	s_waitcnt vmcnt(0)
	v_trunc_f32_e32 v0, v3
	s_mov_b32 s4, 0
	s_delay_alu instid0(VALU_DEP_1) | instskip(NEXT) | instid1(VALU_DEP_1)
	v_mul_f32_e64 v4, 0x2f800000, |v0|
	v_floor_f32_e32 v4, v4
	s_delay_alu instid0(VALU_DEP_1) | instskip(SKIP_2) | instid1(VALU_DEP_3)
	v_fma_f32 v6, 0xcf800000, v4, |v0|
	v_ashrrev_i32_e32 v0, 31, v0
	v_cvt_u32_f32_e32 v4, v4
	v_cvt_u32_f32_e32 v6, v6
	s_delay_alu instid0(VALU_DEP_2) | instskip(NEXT) | instid1(VALU_DEP_2)
	v_xor_b32_e32 v4, v4, v0
	v_xor_b32_e32 v6, v6, v0
	s_delay_alu instid0(VALU_DEP_1) | instskip(NEXT) | instid1(VALU_DEP_3)
	v_sub_co_u32 v6, vcc_lo, v6, v0
	v_sub_co_ci_u32_e32 v7, vcc_lo, v4, v0, vcc_lo
	global_store_b64 v[1:2], v[6:7], off
.LBB257_1064:
	s_and_not1_b32 vcc_lo, exec_lo, s4
	s_cbranch_vccnz .LBB257_1066
; %bb.1065:
	s_waitcnt vmcnt(0)
	v_cvt_i32_f32_e32 v0, v3
	global_store_b32 v[1:2], v0, off
.LBB257_1066:
	s_mov_b32 s4, 0
.LBB257_1067:
	s_delay_alu instid0(SALU_CYCLE_1)
	s_and_not1_b32 vcc_lo, exec_lo, s4
	s_cbranch_vccnz .LBB257_1069
; %bb.1068:
	s_waitcnt vmcnt(0)
	v_cvt_i32_f32_e32 v0, v3
	global_store_b16 v[1:2], v0, off
.LBB257_1069:
	s_mov_b32 s4, 0
.LBB257_1070:
	s_delay_alu instid0(SALU_CYCLE_1)
	s_and_not1_b32 vcc_lo, exec_lo, s4
	s_cbranch_vccnz .LBB257_1075
; %bb.1071:
	v_cmp_lt_i16_e32 vcc_lo, 0, v5
	s_mov_b32 s4, -1
	s_cbranch_vccz .LBB257_1073
; %bb.1072:
	s_waitcnt vmcnt(0)
	v_cvt_i32_f32_e32 v0, v3
	s_mov_b32 s4, 0
	global_store_b8 v[1:2], v0, off
.LBB257_1073:
	s_and_not1_b32 vcc_lo, exec_lo, s4
	s_cbranch_vccnz .LBB257_1075
; %bb.1074:
	s_waitcnt vmcnt(0)
	v_trunc_f32_e32 v0, v3
	s_delay_alu instid0(VALU_DEP_1) | instskip(NEXT) | instid1(VALU_DEP_1)
	v_mul_f32_e64 v3, 0x2f800000, |v0|
	v_floor_f32_e32 v3, v3
	s_delay_alu instid0(VALU_DEP_1) | instskip(SKIP_1) | instid1(VALU_DEP_2)
	v_fma_f32 v3, 0xcf800000, v3, |v0|
	v_ashrrev_i32_e32 v0, 31, v0
	v_cvt_u32_f32_e32 v3, v3
	s_delay_alu instid0(VALU_DEP_1) | instskip(NEXT) | instid1(VALU_DEP_1)
	v_xor_b32_e32 v3, v3, v0
	v_sub_nc_u32_e32 v0, v3, v0
	global_store_b8 v[1:2], v0, off
.LBB257_1075:
	s_or_b32 exec_lo, exec_lo, s2
	s_delay_alu instid0(SALU_CYCLE_1)
	s_and_b32 s8, s3, exec_lo
                                        ; implicit-def: $vgpr9
                                        ; implicit-def: $vgpr8
.LBB257_1076:
	s_or_saveexec_b32 s9, s28
	s_mov_b32 s3, 0
                                        ; implicit-def: $vgpr0_vgpr1
                                        ; implicit-def: $vgpr7
                                        ; implicit-def: $vgpr2
	s_xor_b32 exec_lo, exec_lo, s9
	s_cbranch_execz .LBB257_2092
; %bb.1077:
	v_cndmask_b32_e64 v0, 0, 1, s27
	s_and_not1_b32 vcc_lo, exec_lo, s27
	s_cbranch_vccnz .LBB257_1083
; %bb.1078:
	s_waitcnt vmcnt(0)
	v_mov_b32_e32 v3, 0
	v_mov_b32_e32 v7, 0
	s_cmp_lg_u32 s24, 0
	s_mov_b32 s6, 0
	s_cbranch_scc0 .LBB257_1087
; %bb.1079:
	s_min_u32 s7, s25, 15
	v_mov_b32_e32 v3, 0
	s_add_i32 s7, s7, 1
	s_cmp_eq_u32 s25, 2
	s_mov_b32 s10, 0
	s_cbranch_scc1 .LBB257_1084
; %bb.1080:
	v_mov_b32_e32 v7, 0
	v_mov_b32_e32 v3, 0
	;; [unrolled: 1-line block ×3, first 2 shown]
	s_add_u32 s2, s16, 0xc4
	s_addc_u32 s3, s17, 0
	s_and_b32 s10, s7, 28
	s_mov_b32 s11, 0
	s_mov_b64 s[4:5], s[16:17]
.LBB257_1081:                           ; =>This Inner Loop Header: Depth=1
	s_clause 0x1
	s_load_b256 s[36:43], s[4:5], 0x4
	s_load_b128 s[12:15], s[4:5], 0x24
	s_load_b256 s[44:51], s[2:3], 0x0
	s_add_u32 s4, s4, 48
	s_addc_u32 s5, s5, 0
	s_add_i32 s11, s11, 4
	s_add_u32 s2, s2, 32
	s_addc_u32 s3, s3, 0
	s_cmp_lg_u32 s10, s11
	s_waitcnt lgkmcnt(0)
	v_mul_hi_u32 v2, s37, v1
	s_delay_alu instid0(VALU_DEP_1) | instskip(NEXT) | instid1(VALU_DEP_1)
	v_add_nc_u32_e32 v2, v1, v2
	v_lshrrev_b32_e32 v2, s38, v2
	s_delay_alu instid0(VALU_DEP_1) | instskip(SKIP_1) | instid1(VALU_DEP_2)
	v_mul_hi_u32 v4, s40, v2
	v_mul_lo_u32 v6, v2, s36
	v_add_nc_u32_e32 v4, v2, v4
	s_delay_alu instid0(VALU_DEP_2) | instskip(NEXT) | instid1(VALU_DEP_2)
	v_sub_nc_u32_e32 v1, v1, v6
	v_lshrrev_b32_e32 v4, s41, v4
	s_delay_alu instid0(VALU_DEP_2) | instskip(SKIP_1) | instid1(VALU_DEP_3)
	v_mul_lo_u32 v6, v1, s44
	v_mul_lo_u32 v11, v1, s45
	v_mul_hi_u32 v5, s43, v4
	s_delay_alu instid0(VALU_DEP_1) | instskip(NEXT) | instid1(VALU_DEP_1)
	v_add_nc_u32_e32 v5, v4, v5
	v_lshrrev_b32_e32 v5, s12, v5
	s_delay_alu instid0(VALU_DEP_1) | instskip(SKIP_1) | instid1(VALU_DEP_2)
	v_mul_hi_u32 v10, s14, v5
	v_mul_lo_u32 v12, v5, s42
	v_add_nc_u32_e32 v1, v5, v10
	v_mul_lo_u32 v10, v4, s39
	s_delay_alu instid0(VALU_DEP_3) | instskip(NEXT) | instid1(VALU_DEP_3)
	v_sub_nc_u32_e32 v4, v4, v12
	v_lshrrev_b32_e32 v1, s15, v1
	s_delay_alu instid0(VALU_DEP_2) | instskip(SKIP_2) | instid1(VALU_DEP_4)
	v_mul_lo_u32 v12, v4, s48
	v_mul_lo_u32 v4, v4, s49
	v_sub_nc_u32_e32 v2, v2, v10
	v_mul_lo_u32 v13, v1, s13
	s_delay_alu instid0(VALU_DEP_2) | instskip(SKIP_1) | instid1(VALU_DEP_3)
	v_mul_lo_u32 v10, v2, s46
	v_mul_lo_u32 v2, v2, s47
	v_sub_nc_u32_e32 v5, v5, v13
	s_delay_alu instid0(VALU_DEP_3) | instskip(NEXT) | instid1(VALU_DEP_2)
	v_add3_u32 v3, v6, v3, v10
	v_mul_lo_u32 v13, v5, s50
	v_mul_lo_u32 v5, v5, s51
	v_add3_u32 v2, v11, v7, v2
	s_delay_alu instid0(VALU_DEP_3) | instskip(NEXT) | instid1(VALU_DEP_2)
	v_add3_u32 v3, v12, v3, v13
	v_add3_u32 v7, v4, v2, v5
	s_cbranch_scc1 .LBB257_1081
; %bb.1082:
	s_and_b32 s7, s7, 3
	s_delay_alu instid0(SALU_CYCLE_1)
	s_cmp_eq_u32 s7, 0
	s_cbranch_scc0 .LBB257_1085
	s_branch .LBB257_1087
.LBB257_1083:
	s_mov_b32 s6, -1
                                        ; implicit-def: $vgpr3
                                        ; implicit-def: $vgpr7
	s_branch .LBB257_1087
.LBB257_1084:
	v_mov_b32_e32 v1, v8
	v_mov_b32_e32 v7, 0
	s_and_b32 s7, s7, 3
	s_delay_alu instid0(SALU_CYCLE_1)
	s_cmp_eq_u32 s7, 0
	s_cbranch_scc1 .LBB257_1087
.LBB257_1085:
	s_lshl_b32 s2, s10, 3
	s_mul_i32 s4, s10, 12
	s_add_u32 s2, s2, s16
	s_addc_u32 s3, 0, s17
	s_add_u32 s2, s2, 0xc4
	s_addc_u32 s3, s3, 0
	;; [unrolled: 2-line block ×3, first 2 shown]
	.p2align	6
.LBB257_1086:                           ; =>This Inner Loop Header: Depth=1
	s_clause 0x1
	s_load_b64 s[10:11], s[4:5], 0x4
	s_load_b32 s14, s[4:5], 0xc
	s_load_b64 s[12:13], s[2:3], 0x0
	s_add_u32 s4, s4, 12
	s_addc_u32 s5, s5, 0
	s_add_u32 s2, s2, 8
	s_addc_u32 s3, s3, 0
	s_add_i32 s7, s7, -1
	s_delay_alu instid0(SALU_CYCLE_1) | instskip(SKIP_2) | instid1(VALU_DEP_1)
	s_cmp_lg_u32 s7, 0
	s_waitcnt lgkmcnt(0)
	v_mul_hi_u32 v2, s11, v1
	v_add_nc_u32_e32 v2, v1, v2
	s_delay_alu instid0(VALU_DEP_1) | instskip(NEXT) | instid1(VALU_DEP_1)
	v_lshrrev_b32_e32 v6, s14, v2
	v_mul_lo_u32 v2, v6, s10
	s_delay_alu instid0(VALU_DEP_1) | instskip(NEXT) | instid1(VALU_DEP_1)
	v_sub_nc_u32_e32 v1, v1, v2
	v_mad_u64_u32 v[4:5], null, v1, s12, v[3:4]
	v_mad_u64_u32 v[2:3], null, v1, s13, v[7:8]
	v_mov_b32_e32 v1, v6
	s_delay_alu instid0(VALU_DEP_3) | instskip(NEXT) | instid1(VALU_DEP_3)
	v_mov_b32_e32 v3, v4
	v_mov_b32_e32 v7, v2
	s_cbranch_scc1 .LBB257_1086
.LBB257_1087:
	s_and_not1_b32 vcc_lo, exec_lo, s6
	s_cbranch_vccnz .LBB257_1090
; %bb.1088:
	s_clause 0x1
	s_load_b128 s[4:7], s[16:17], 0x4
	s_load_b64 s[2:3], s[16:17], 0xc4
	s_cmp_lt_u32 s24, 2
	s_waitcnt lgkmcnt(0)
	v_mul_hi_u32 v1, s5, v8
	s_delay_alu instid0(VALU_DEP_1) | instskip(NEXT) | instid1(VALU_DEP_1)
	v_add_nc_u32_e32 v1, v8, v1
	v_lshrrev_b32_e32 v1, s6, v1
	s_delay_alu instid0(VALU_DEP_1) | instskip(NEXT) | instid1(VALU_DEP_1)
	v_mul_lo_u32 v2, v1, s4
	v_sub_nc_u32_e32 v2, v8, v2
	s_waitcnt vmcnt(0)
	s_delay_alu instid0(VALU_DEP_1)
	v_mul_lo_u32 v3, v2, s2
	v_mul_lo_u32 v7, v2, s3
	s_cbranch_scc1 .LBB257_1090
; %bb.1089:
	s_clause 0x1
	s_load_b128 s[4:7], s[16:17], 0x10
	s_load_b64 s[2:3], s[16:17], 0xcc
	s_waitcnt lgkmcnt(0)
	v_mul_hi_u32 v2, s5, v1
	s_delay_alu instid0(VALU_DEP_1) | instskip(NEXT) | instid1(VALU_DEP_1)
	v_add_nc_u32_e32 v2, v1, v2
	v_lshrrev_b32_e32 v2, s6, v2
	s_delay_alu instid0(VALU_DEP_1) | instskip(NEXT) | instid1(VALU_DEP_1)
	v_mul_lo_u32 v2, v2, s4
	v_sub_nc_u32_e32 v4, v1, v2
	s_delay_alu instid0(VALU_DEP_1) | instskip(SKIP_1) | instid1(VALU_DEP_2)
	v_mad_u64_u32 v[1:2], null, v4, s2, v[3:4]
	v_mad_u64_u32 v[2:3], null, v4, s3, v[7:8]
	v_mov_b32_e32 v3, v1
	s_delay_alu instid0(VALU_DEP_2)
	v_mov_b32_e32 v7, v2
.LBB257_1090:
	v_cmp_ne_u32_e32 vcc_lo, 1, v0
	v_add_nc_u32_e32 v1, 0x80, v8
	s_cbranch_vccnz .LBB257_1096
; %bb.1091:
	v_mov_b32_e32 v2, 0
	s_waitcnt vmcnt(0)
	v_mov_b32_e32 v6, 0
	s_cmp_lg_u32 s24, 0
	s_mov_b32 s6, 0
	s_cbranch_scc0 .LBB257_1100
; %bb.1092:
	s_min_u32 s7, s25, 15
	v_mov_b32_e32 v2, 0
	s_add_i32 s7, s7, 1
	s_cmp_eq_u32 s25, 2
	s_mov_b32 s10, 0
	s_cbranch_scc1 .LBB257_1097
; %bb.1093:
	v_mov_b32_e32 v6, 0
	v_mov_b32_e32 v2, 0
	;; [unrolled: 1-line block ×3, first 2 shown]
	s_add_u32 s2, s16, 0xc4
	s_addc_u32 s3, s17, 0
	s_and_b32 s10, s7, 28
	s_mov_b32 s11, 0
	s_mov_b64 s[4:5], s[16:17]
.LBB257_1094:                           ; =>This Inner Loop Header: Depth=1
	s_clause 0x1
	s_load_b256 s[36:43], s[4:5], 0x4
	s_load_b128 s[12:15], s[4:5], 0x24
	s_load_b256 s[44:51], s[2:3], 0x0
	s_add_u32 s4, s4, 48
	s_addc_u32 s5, s5, 0
	s_add_i32 s11, s11, 4
	s_add_u32 s2, s2, 32
	s_addc_u32 s3, s3, 0
	s_cmp_lg_u32 s10, s11
	s_waitcnt lgkmcnt(0)
	v_mul_hi_u32 v5, s37, v4
	s_delay_alu instid0(VALU_DEP_1) | instskip(NEXT) | instid1(VALU_DEP_1)
	v_add_nc_u32_e32 v5, v4, v5
	v_lshrrev_b32_e32 v5, s38, v5
	s_delay_alu instid0(VALU_DEP_1) | instskip(SKIP_1) | instid1(VALU_DEP_2)
	v_mul_hi_u32 v10, s40, v5
	v_mul_lo_u32 v12, v5, s36
	v_add_nc_u32_e32 v10, v5, v10
	s_delay_alu instid0(VALU_DEP_2) | instskip(NEXT) | instid1(VALU_DEP_2)
	v_sub_nc_u32_e32 v4, v4, v12
	v_lshrrev_b32_e32 v10, s41, v10
	s_delay_alu instid0(VALU_DEP_2) | instskip(SKIP_1) | instid1(VALU_DEP_3)
	v_mul_lo_u32 v12, v4, s44
	v_mul_lo_u32 v14, v4, s45
	v_mul_hi_u32 v11, s43, v10
	s_delay_alu instid0(VALU_DEP_1) | instskip(NEXT) | instid1(VALU_DEP_1)
	v_add_nc_u32_e32 v11, v10, v11
	v_lshrrev_b32_e32 v11, s12, v11
	s_delay_alu instid0(VALU_DEP_1) | instskip(SKIP_1) | instid1(VALU_DEP_2)
	v_mul_hi_u32 v13, s14, v11
	v_mul_lo_u32 v15, v11, s42
	v_add_nc_u32_e32 v4, v11, v13
	v_mul_lo_u32 v13, v10, s39
	s_delay_alu instid0(VALU_DEP_3) | instskip(NEXT) | instid1(VALU_DEP_3)
	v_sub_nc_u32_e32 v10, v10, v15
	v_lshrrev_b32_e32 v4, s15, v4
	s_delay_alu instid0(VALU_DEP_2) | instskip(SKIP_2) | instid1(VALU_DEP_4)
	v_mul_lo_u32 v15, v10, s48
	v_mul_lo_u32 v10, v10, s49
	v_sub_nc_u32_e32 v5, v5, v13
	v_mul_lo_u32 v16, v4, s13
	s_delay_alu instid0(VALU_DEP_2) | instskip(SKIP_1) | instid1(VALU_DEP_3)
	v_mul_lo_u32 v13, v5, s46
	v_mul_lo_u32 v5, v5, s47
	v_sub_nc_u32_e32 v11, v11, v16
	s_delay_alu instid0(VALU_DEP_3) | instskip(NEXT) | instid1(VALU_DEP_2)
	v_add3_u32 v2, v12, v2, v13
	v_mul_lo_u32 v16, v11, s50
	v_mul_lo_u32 v11, v11, s51
	v_add3_u32 v5, v14, v6, v5
	s_delay_alu instid0(VALU_DEP_3) | instskip(NEXT) | instid1(VALU_DEP_2)
	v_add3_u32 v2, v15, v2, v16
	v_add3_u32 v6, v10, v5, v11
	s_cbranch_scc1 .LBB257_1094
; %bb.1095:
	s_and_b32 s7, s7, 3
	s_delay_alu instid0(SALU_CYCLE_1)
	s_cmp_eq_u32 s7, 0
	s_cbranch_scc0 .LBB257_1098
	s_branch .LBB257_1100
.LBB257_1096:
	s_mov_b32 s6, -1
                                        ; implicit-def: $vgpr2
                                        ; implicit-def: $vgpr6
	s_branch .LBB257_1100
.LBB257_1097:
	v_mov_b32_e32 v4, v1
	v_mov_b32_e32 v6, 0
	s_and_b32 s7, s7, 3
	s_delay_alu instid0(SALU_CYCLE_1)
	s_cmp_eq_u32 s7, 0
	s_cbranch_scc1 .LBB257_1100
.LBB257_1098:
	s_lshl_b32 s2, s10, 3
	s_mul_i32 s4, s10, 12
	s_add_u32 s2, s2, s16
	s_addc_u32 s3, 0, s17
	s_add_u32 s2, s2, 0xc4
	s_addc_u32 s3, s3, 0
	;; [unrolled: 2-line block ×3, first 2 shown]
	.p2align	6
.LBB257_1099:                           ; =>This Inner Loop Header: Depth=1
	s_clause 0x1
	s_load_b64 s[10:11], s[4:5], 0x4
	s_load_b32 s14, s[4:5], 0xc
	s_load_b64 s[12:13], s[2:3], 0x0
	s_add_u32 s4, s4, 12
	s_addc_u32 s5, s5, 0
	s_add_u32 s2, s2, 8
	s_addc_u32 s3, s3, 0
	s_add_i32 s7, s7, -1
	s_delay_alu instid0(SALU_CYCLE_1) | instskip(SKIP_2) | instid1(VALU_DEP_1)
	s_cmp_lg_u32 s7, 0
	s_waitcnt lgkmcnt(0)
	v_mul_hi_u32 v5, s11, v4
	v_add_nc_u32_e32 v5, v4, v5
	s_delay_alu instid0(VALU_DEP_1) | instskip(NEXT) | instid1(VALU_DEP_1)
	v_lshrrev_b32_e32 v5, s14, v5
	v_mul_lo_u32 v10, v5, s10
	s_delay_alu instid0(VALU_DEP_1) | instskip(NEXT) | instid1(VALU_DEP_1)
	v_sub_nc_u32_e32 v4, v4, v10
	v_mad_u64_u32 v[10:11], null, v4, s12, v[2:3]
	v_mad_u64_u32 v[11:12], null, v4, s13, v[6:7]
	v_mov_b32_e32 v4, v5
	s_delay_alu instid0(VALU_DEP_3) | instskip(NEXT) | instid1(VALU_DEP_3)
	v_mov_b32_e32 v2, v10
	v_mov_b32_e32 v6, v11
	s_cbranch_scc1 .LBB257_1099
.LBB257_1100:
	s_and_not1_b32 vcc_lo, exec_lo, s6
	s_cbranch_vccnz .LBB257_1103
; %bb.1101:
	s_clause 0x1
	s_load_b128 s[4:7], s[16:17], 0x4
	s_load_b64 s[2:3], s[16:17], 0xc4
	s_cmp_lt_u32 s24, 2
	s_waitcnt lgkmcnt(0)
	v_mul_hi_u32 v2, s5, v1
	s_delay_alu instid0(VALU_DEP_1) | instskip(NEXT) | instid1(VALU_DEP_1)
	v_add_nc_u32_e32 v2, v1, v2
	v_lshrrev_b32_e32 v4, s6, v2
	s_delay_alu instid0(VALU_DEP_1) | instskip(NEXT) | instid1(VALU_DEP_1)
	v_mul_lo_u32 v2, v4, s4
	v_sub_nc_u32_e32 v1, v1, v2
	s_delay_alu instid0(VALU_DEP_1)
	v_mul_lo_u32 v2, v1, s2
	s_waitcnt vmcnt(0)
	v_mul_lo_u32 v6, v1, s3
	s_cbranch_scc1 .LBB257_1103
; %bb.1102:
	s_clause 0x1
	s_load_b128 s[4:7], s[16:17], 0x10
	s_load_b64 s[2:3], s[16:17], 0xcc
	s_waitcnt lgkmcnt(0)
	v_mul_hi_u32 v1, s5, v4
	s_delay_alu instid0(VALU_DEP_1) | instskip(NEXT) | instid1(VALU_DEP_1)
	v_add_nc_u32_e32 v1, v4, v1
	v_lshrrev_b32_e32 v1, s6, v1
	s_delay_alu instid0(VALU_DEP_1) | instskip(NEXT) | instid1(VALU_DEP_1)
	v_mul_lo_u32 v1, v1, s4
	v_sub_nc_u32_e32 v10, v4, v1
	s_delay_alu instid0(VALU_DEP_1) | instskip(SKIP_1) | instid1(VALU_DEP_2)
	v_mad_u64_u32 v[4:5], null, v10, s2, v[2:3]
	v_mad_u64_u32 v[1:2], null, v10, s3, v[6:7]
	v_mov_b32_e32 v2, v4
	s_delay_alu instid0(VALU_DEP_2)
	v_mov_b32_e32 v6, v1
.LBB257_1103:
	v_cmp_ne_u32_e32 vcc_lo, 1, v0
	v_add_nc_u32_e32 v4, 0x100, v8
	s_cbranch_vccnz .LBB257_1109
; %bb.1104:
	v_mov_b32_e32 v1, 0
	v_mov_b32_e32 v5, 0
	s_cmp_lg_u32 s24, 0
	s_mov_b32 s6, 0
	s_cbranch_scc0 .LBB257_1113
; %bb.1105:
	s_min_u32 s7, s25, 15
	v_mov_b32_e32 v1, 0
	s_add_i32 s7, s7, 1
	s_cmp_eq_u32 s25, 2
	s_mov_b32 s10, 0
	s_cbranch_scc1 .LBB257_1110
; %bb.1106:
	v_dual_mov_b32 v5, 0 :: v_dual_mov_b32 v8, v4
	v_mov_b32_e32 v1, 0
	s_add_u32 s2, s16, 0xc4
	s_addc_u32 s3, s17, 0
	s_and_b32 s10, s7, 28
	s_mov_b32 s11, 0
	s_mov_b64 s[4:5], s[16:17]
.LBB257_1107:                           ; =>This Inner Loop Header: Depth=1
	s_clause 0x1
	s_load_b256 s[36:43], s[4:5], 0x4
	s_load_b128 s[12:15], s[4:5], 0x24
	s_load_b256 s[44:51], s[2:3], 0x0
	s_add_u32 s4, s4, 48
	s_addc_u32 s5, s5, 0
	s_add_i32 s11, s11, 4
	s_add_u32 s2, s2, 32
	s_addc_u32 s3, s3, 0
	s_cmp_lg_u32 s10, s11
	s_waitcnt lgkmcnt(0)
	v_mul_hi_u32 v10, s37, v8
	s_delay_alu instid0(VALU_DEP_1) | instskip(NEXT) | instid1(VALU_DEP_1)
	v_add_nc_u32_e32 v10, v8, v10
	v_lshrrev_b32_e32 v10, s38, v10
	s_delay_alu instid0(VALU_DEP_1) | instskip(SKIP_1) | instid1(VALU_DEP_2)
	v_mul_hi_u32 v11, s40, v10
	v_mul_lo_u32 v13, v10, s36
	v_add_nc_u32_e32 v11, v10, v11
	s_delay_alu instid0(VALU_DEP_2) | instskip(NEXT) | instid1(VALU_DEP_2)
	v_sub_nc_u32_e32 v8, v8, v13
	v_lshrrev_b32_e32 v11, s41, v11
	s_delay_alu instid0(VALU_DEP_2) | instskip(SKIP_1) | instid1(VALU_DEP_3)
	v_mul_lo_u32 v13, v8, s44
	v_mul_lo_u32 v15, v8, s45
	v_mul_hi_u32 v12, s43, v11
	s_delay_alu instid0(VALU_DEP_1) | instskip(NEXT) | instid1(VALU_DEP_1)
	v_add_nc_u32_e32 v12, v11, v12
	v_lshrrev_b32_e32 v12, s12, v12
	s_delay_alu instid0(VALU_DEP_1) | instskip(SKIP_1) | instid1(VALU_DEP_2)
	v_mul_hi_u32 v14, s14, v12
	v_mul_lo_u32 v16, v12, s42
	v_add_nc_u32_e32 v8, v12, v14
	v_mul_lo_u32 v14, v11, s39
	s_delay_alu instid0(VALU_DEP_3) | instskip(NEXT) | instid1(VALU_DEP_3)
	v_sub_nc_u32_e32 v11, v11, v16
	v_lshrrev_b32_e32 v8, s15, v8
	s_delay_alu instid0(VALU_DEP_2) | instskip(SKIP_2) | instid1(VALU_DEP_4)
	v_mul_lo_u32 v16, v11, s48
	v_mul_lo_u32 v11, v11, s49
	v_sub_nc_u32_e32 v10, v10, v14
	v_mul_lo_u32 v17, v8, s13
	s_delay_alu instid0(VALU_DEP_2) | instskip(SKIP_1) | instid1(VALU_DEP_3)
	v_mul_lo_u32 v14, v10, s46
	v_mul_lo_u32 v10, v10, s47
	v_sub_nc_u32_e32 v12, v12, v17
	s_delay_alu instid0(VALU_DEP_3) | instskip(NEXT) | instid1(VALU_DEP_2)
	v_add3_u32 v1, v13, v1, v14
	v_mul_lo_u32 v17, v12, s50
	v_mul_lo_u32 v12, v12, s51
	v_add3_u32 v5, v15, v5, v10
	s_delay_alu instid0(VALU_DEP_3) | instskip(NEXT) | instid1(VALU_DEP_2)
	v_add3_u32 v1, v16, v1, v17
	v_add3_u32 v5, v11, v5, v12
	s_cbranch_scc1 .LBB257_1107
; %bb.1108:
	s_and_b32 s7, s7, 3
	s_delay_alu instid0(SALU_CYCLE_1)
	s_cmp_eq_u32 s7, 0
	s_cbranch_scc0 .LBB257_1111
	s_branch .LBB257_1113
.LBB257_1109:
	s_mov_b32 s6, -1
                                        ; implicit-def: $vgpr1
                                        ; implicit-def: $vgpr5
	s_branch .LBB257_1113
.LBB257_1110:
	v_dual_mov_b32 v8, v4 :: v_dual_mov_b32 v5, 0
	s_and_b32 s7, s7, 3
	s_delay_alu instid0(SALU_CYCLE_1)
	s_cmp_eq_u32 s7, 0
	s_cbranch_scc1 .LBB257_1113
.LBB257_1111:
	s_lshl_b32 s2, s10, 3
	s_mul_i32 s4, s10, 12
	s_add_u32 s2, s2, s16
	s_addc_u32 s3, 0, s17
	s_add_u32 s2, s2, 0xc4
	s_addc_u32 s3, s3, 0
	;; [unrolled: 2-line block ×3, first 2 shown]
	.p2align	6
.LBB257_1112:                           ; =>This Inner Loop Header: Depth=1
	s_clause 0x1
	s_load_b64 s[10:11], s[4:5], 0x4
	s_load_b32 s14, s[4:5], 0xc
	s_load_b64 s[12:13], s[2:3], 0x0
	s_add_u32 s4, s4, 12
	s_addc_u32 s5, s5, 0
	s_add_u32 s2, s2, 8
	s_addc_u32 s3, s3, 0
	s_add_i32 s7, s7, -1
	s_delay_alu instid0(SALU_CYCLE_1) | instskip(SKIP_2) | instid1(VALU_DEP_1)
	s_cmp_lg_u32 s7, 0
	s_waitcnt lgkmcnt(0)
	v_mul_hi_u32 v10, s11, v8
	v_add_nc_u32_e32 v10, v8, v10
	s_delay_alu instid0(VALU_DEP_1) | instskip(NEXT) | instid1(VALU_DEP_1)
	v_lshrrev_b32_e32 v13, s14, v10
	v_mul_lo_u32 v10, v13, s10
	s_delay_alu instid0(VALU_DEP_1) | instskip(NEXT) | instid1(VALU_DEP_1)
	v_sub_nc_u32_e32 v8, v8, v10
	v_mad_u64_u32 v[10:11], null, v8, s12, v[1:2]
	s_waitcnt vmcnt(0)
	v_mad_u64_u32 v[11:12], null, v8, s13, v[5:6]
	s_delay_alu instid0(VALU_DEP_2) | instskip(NEXT) | instid1(VALU_DEP_2)
	v_dual_mov_b32 v8, v13 :: v_dual_mov_b32 v1, v10
	v_mov_b32_e32 v5, v11
	s_cbranch_scc1 .LBB257_1112
.LBB257_1113:
	s_and_not1_b32 vcc_lo, exec_lo, s6
	s_cbranch_vccnz .LBB257_1116
; %bb.1114:
	s_clause 0x1
	s_load_b128 s[4:7], s[16:17], 0x4
	s_load_b64 s[2:3], s[16:17], 0xc4
	s_cmp_lt_u32 s24, 2
	s_waitcnt lgkmcnt(0)
	v_mul_hi_u32 v1, s5, v4
	s_delay_alu instid0(VALU_DEP_1) | instskip(NEXT) | instid1(VALU_DEP_1)
	v_add_nc_u32_e32 v1, v4, v1
	v_lshrrev_b32_e32 v8, s6, v1
	s_delay_alu instid0(VALU_DEP_1) | instskip(NEXT) | instid1(VALU_DEP_1)
	v_mul_lo_u32 v1, v8, s4
	v_sub_nc_u32_e32 v4, v4, v1
	s_delay_alu instid0(VALU_DEP_1)
	v_mul_lo_u32 v1, v4, s2
	v_mul_lo_u32 v5, v4, s3
	s_cbranch_scc1 .LBB257_1116
; %bb.1115:
	s_clause 0x1
	s_load_b128 s[4:7], s[16:17], 0x10
	s_load_b64 s[2:3], s[16:17], 0xcc
	s_waitcnt lgkmcnt(0)
	v_mul_hi_u32 v4, s5, v8
	s_delay_alu instid0(VALU_DEP_1) | instskip(NEXT) | instid1(VALU_DEP_1)
	v_add_nc_u32_e32 v4, v8, v4
	v_lshrrev_b32_e32 v4, s6, v4
	s_delay_alu instid0(VALU_DEP_1) | instskip(NEXT) | instid1(VALU_DEP_1)
	v_mul_lo_u32 v4, v4, s4
	v_sub_nc_u32_e32 v4, v8, v4
	s_delay_alu instid0(VALU_DEP_1) | instskip(SKIP_2) | instid1(VALU_DEP_2)
	v_mad_u64_u32 v[10:11], null, v4, s2, v[1:2]
	s_waitcnt vmcnt(0)
	v_mad_u64_u32 v[11:12], null, v4, s3, v[5:6]
	v_mov_b32_e32 v1, v10
	s_delay_alu instid0(VALU_DEP_2)
	v_mov_b32_e32 v5, v11
.LBB257_1116:
	v_cmp_ne_u32_e32 vcc_lo, 1, v0
	s_cbranch_vccnz .LBB257_1122
; %bb.1117:
	v_mov_b32_e32 v0, 0
	v_mov_b32_e32 v4, 0
	s_cmp_lg_u32 s24, 0
	s_mov_b32 s6, 0
	s_cbranch_scc0 .LBB257_1126
; %bb.1118:
	s_min_u32 s7, s25, 15
	v_mov_b32_e32 v0, 0
	s_add_i32 s7, s7, 1
	s_cmp_eq_u32 s25, 2
	s_mov_b32 s10, 0
	s_cbranch_scc1 .LBB257_1123
; %bb.1119:
	v_mov_b32_e32 v4, 0
	v_mov_b32_e32 v0, 0
	;; [unrolled: 1-line block ×3, first 2 shown]
	s_add_u32 s2, s16, 0xc4
	s_addc_u32 s3, s17, 0
	s_and_b32 s10, s7, 28
	s_mov_b32 s11, 0
	s_mov_b64 s[4:5], s[16:17]
.LBB257_1120:                           ; =>This Inner Loop Header: Depth=1
	s_clause 0x1
	s_load_b256 s[36:43], s[4:5], 0x4
	s_load_b128 s[12:15], s[4:5], 0x24
	s_load_b256 s[44:51], s[2:3], 0x0
	s_add_u32 s4, s4, 48
	s_addc_u32 s5, s5, 0
	s_add_i32 s11, s11, 4
	s_add_u32 s2, s2, 32
	s_addc_u32 s3, s3, 0
	s_cmp_lg_u32 s10, s11
	s_waitcnt lgkmcnt(0)
	v_mul_hi_u32 v10, s37, v8
	s_delay_alu instid0(VALU_DEP_1) | instskip(NEXT) | instid1(VALU_DEP_1)
	v_add_nc_u32_e32 v10, v8, v10
	v_lshrrev_b32_e32 v10, s38, v10
	s_delay_alu instid0(VALU_DEP_1) | instskip(SKIP_1) | instid1(VALU_DEP_2)
	v_mul_hi_u32 v11, s40, v10
	v_mul_lo_u32 v13, v10, s36
	v_add_nc_u32_e32 v11, v10, v11
	s_delay_alu instid0(VALU_DEP_2) | instskip(NEXT) | instid1(VALU_DEP_2)
	v_sub_nc_u32_e32 v8, v8, v13
	v_lshrrev_b32_e32 v11, s41, v11
	s_delay_alu instid0(VALU_DEP_2) | instskip(SKIP_1) | instid1(VALU_DEP_3)
	v_mul_lo_u32 v13, v8, s44
	v_mul_lo_u32 v15, v8, s45
	v_mul_hi_u32 v12, s43, v11
	s_delay_alu instid0(VALU_DEP_1) | instskip(NEXT) | instid1(VALU_DEP_1)
	v_add_nc_u32_e32 v12, v11, v12
	v_lshrrev_b32_e32 v12, s12, v12
	s_delay_alu instid0(VALU_DEP_1) | instskip(SKIP_1) | instid1(VALU_DEP_2)
	v_mul_hi_u32 v14, s14, v12
	v_mul_lo_u32 v16, v12, s42
	v_add_nc_u32_e32 v8, v12, v14
	v_mul_lo_u32 v14, v11, s39
	s_delay_alu instid0(VALU_DEP_3) | instskip(NEXT) | instid1(VALU_DEP_3)
	v_sub_nc_u32_e32 v11, v11, v16
	v_lshrrev_b32_e32 v8, s15, v8
	s_delay_alu instid0(VALU_DEP_2) | instskip(SKIP_2) | instid1(VALU_DEP_4)
	v_mul_lo_u32 v16, v11, s48
	v_mul_lo_u32 v11, v11, s49
	v_sub_nc_u32_e32 v10, v10, v14
	v_mul_lo_u32 v17, v8, s13
	s_delay_alu instid0(VALU_DEP_2) | instskip(SKIP_1) | instid1(VALU_DEP_3)
	v_mul_lo_u32 v14, v10, s46
	v_mul_lo_u32 v10, v10, s47
	v_sub_nc_u32_e32 v12, v12, v17
	s_delay_alu instid0(VALU_DEP_3) | instskip(NEXT) | instid1(VALU_DEP_2)
	v_add3_u32 v0, v13, v0, v14
	v_mul_lo_u32 v17, v12, s50
	v_mul_lo_u32 v12, v12, s51
	v_add3_u32 v4, v15, v4, v10
	s_delay_alu instid0(VALU_DEP_3) | instskip(NEXT) | instid1(VALU_DEP_2)
	v_add3_u32 v0, v16, v0, v17
	v_add3_u32 v4, v11, v4, v12
	s_cbranch_scc1 .LBB257_1120
; %bb.1121:
	s_and_b32 s7, s7, 3
	s_delay_alu instid0(SALU_CYCLE_1)
	s_cmp_eq_u32 s7, 0
	s_cbranch_scc0 .LBB257_1124
	s_branch .LBB257_1126
.LBB257_1122:
	s_mov_b32 s6, -1
                                        ; implicit-def: $vgpr0
                                        ; implicit-def: $vgpr4
	s_branch .LBB257_1126
.LBB257_1123:
	v_mov_b32_e32 v8, v9
	v_mov_b32_e32 v4, 0
	s_and_b32 s7, s7, 3
	s_delay_alu instid0(SALU_CYCLE_1)
	s_cmp_eq_u32 s7, 0
	s_cbranch_scc1 .LBB257_1126
.LBB257_1124:
	s_lshl_b32 s2, s10, 3
	s_mul_i32 s4, s10, 12
	s_add_u32 s2, s2, s16
	s_addc_u32 s3, 0, s17
	s_add_u32 s2, s2, 0xc4
	s_addc_u32 s3, s3, 0
	;; [unrolled: 2-line block ×3, first 2 shown]
	.p2align	6
.LBB257_1125:                           ; =>This Inner Loop Header: Depth=1
	s_clause 0x1
	s_load_b64 s[10:11], s[4:5], 0x4
	s_load_b32 s14, s[4:5], 0xc
	s_load_b64 s[12:13], s[2:3], 0x0
	s_add_u32 s4, s4, 12
	s_addc_u32 s5, s5, 0
	s_add_u32 s2, s2, 8
	s_addc_u32 s3, s3, 0
	s_add_i32 s7, s7, -1
	s_delay_alu instid0(SALU_CYCLE_1) | instskip(SKIP_2) | instid1(VALU_DEP_1)
	s_cmp_lg_u32 s7, 0
	s_waitcnt lgkmcnt(0)
	v_mul_hi_u32 v10, s11, v8
	v_add_nc_u32_e32 v10, v8, v10
	s_delay_alu instid0(VALU_DEP_1) | instskip(NEXT) | instid1(VALU_DEP_1)
	v_lshrrev_b32_e32 v13, s14, v10
	v_mul_lo_u32 v10, v13, s10
	s_delay_alu instid0(VALU_DEP_1) | instskip(NEXT) | instid1(VALU_DEP_1)
	v_sub_nc_u32_e32 v8, v8, v10
	v_mad_u64_u32 v[10:11], null, v8, s12, v[0:1]
	v_mad_u64_u32 v[11:12], null, v8, s13, v[4:5]
	v_mov_b32_e32 v8, v13
	s_delay_alu instid0(VALU_DEP_3) | instskip(NEXT) | instid1(VALU_DEP_3)
	v_mov_b32_e32 v0, v10
	v_mov_b32_e32 v4, v11
	s_cbranch_scc1 .LBB257_1125
.LBB257_1126:
	s_and_not1_b32 vcc_lo, exec_lo, s6
	s_cbranch_vccnz .LBB257_1129
; %bb.1127:
	s_clause 0x1
	s_load_b128 s[4:7], s[16:17], 0x4
	s_load_b64 s[2:3], s[16:17], 0xc4
	s_cmp_lt_u32 s24, 2
	s_waitcnt lgkmcnt(0)
	v_mul_hi_u32 v0, s5, v9
	s_delay_alu instid0(VALU_DEP_1) | instskip(NEXT) | instid1(VALU_DEP_1)
	v_add_nc_u32_e32 v0, v9, v0
	v_lshrrev_b32_e32 v8, s6, v0
	s_delay_alu instid0(VALU_DEP_1) | instskip(NEXT) | instid1(VALU_DEP_1)
	v_mul_lo_u32 v0, v8, s4
	v_sub_nc_u32_e32 v4, v9, v0
	s_delay_alu instid0(VALU_DEP_1)
	v_mul_lo_u32 v0, v4, s2
	v_mul_lo_u32 v4, v4, s3
	s_cbranch_scc1 .LBB257_1129
; %bb.1128:
	s_clause 0x1
	s_load_b128 s[4:7], s[16:17], 0x10
	s_load_b64 s[2:3], s[16:17], 0xcc
	s_waitcnt lgkmcnt(0)
	v_mul_hi_u32 v9, s5, v8
	s_delay_alu instid0(VALU_DEP_1) | instskip(NEXT) | instid1(VALU_DEP_1)
	v_add_nc_u32_e32 v9, v8, v9
	v_lshrrev_b32_e32 v9, s6, v9
	s_delay_alu instid0(VALU_DEP_1) | instskip(NEXT) | instid1(VALU_DEP_1)
	v_mul_lo_u32 v9, v9, s4
	v_sub_nc_u32_e32 v11, v8, v9
	s_delay_alu instid0(VALU_DEP_1) | instskip(SKIP_1) | instid1(VALU_DEP_2)
	v_mad_u64_u32 v[8:9], null, v11, s2, v[0:1]
	v_mad_u64_u32 v[9:10], null, v11, s3, v[4:5]
	v_mov_b32_e32 v0, v8
	s_delay_alu instid0(VALU_DEP_2)
	v_mov_b32_e32 v4, v9
.LBB257_1129:
	s_clause 0x1
	s_load_b32 s2, s[0:1], 0x160
	s_load_b128 s[4:7], s[16:17], 0x148
	s_mov_b32 s10, 0
	s_waitcnt lgkmcnt(0)
	s_lshr_b32 s0, s2, 16
	s_delay_alu instid0(SALU_CYCLE_1) | instskip(SKIP_1) | instid1(VALU_DEP_1)
	v_and_b32_e64 v9, 0xff, s0
	v_add_co_u32 v7, s0, s6, v7
	v_add_co_ci_u32_e64 v8, null, s7, 0, s0
	s_delay_alu instid0(VALU_DEP_3)
	v_cmp_gt_i16_e32 vcc_lo, 11, v9
	s_cbranch_vccnz .LBB257_1136
; %bb.1130:
	v_cmp_lt_i16_e32 vcc_lo, 25, v9
	s_mov_b32 s3, 0
	s_cbranch_vccz .LBB257_1142
; %bb.1131:
	v_cmp_lt_i16_e32 vcc_lo, 28, v9
	s_cbranch_vccz .LBB257_1144
; %bb.1132:
	v_cmp_lt_i16_e32 vcc_lo, 43, v9
	;; [unrolled: 3-line block ×3, first 2 shown]
	s_cbranch_vccz .LBB257_1150
; %bb.1134:
	v_cmp_eq_u16_e32 vcc_lo, 46, v9
	s_mov_b32 s1, 0
	s_cbranch_vccz .LBB257_1192
; %bb.1135:
	global_load_b32 v10, v[7:8], off
	s_mov_b32 s0, 0
	s_mov_b32 s10, -1
	s_waitcnt vmcnt(0)
	v_lshlrev_b32_e32 v12, 16, v10
	s_branch .LBB257_1194
.LBB257_1136:
	s_mov_b32 s1, s8
                                        ; implicit-def: $vgpr12
	s_cbranch_execz .LBB257_1257
; %bb.1137:
	v_cmp_gt_i16_e32 vcc_lo, 5, v9
	s_cbranch_vccnz .LBB257_1143
; %bb.1138:
	v_cmp_gt_i16_e32 vcc_lo, 8, v9
	s_cbranch_vccnz .LBB257_1145
	;; [unrolled: 3-line block ×3, first 2 shown]
; %bb.1140:
	v_cmp_lt_i16_e32 vcc_lo, 9, v9
	s_cbranch_vccz .LBB257_1151
; %bb.1141:
	global_load_b64 v[10:11], v[7:8], off
	s_mov_b32 s0, 0
	s_waitcnt vmcnt(0)
	v_cvt_f32_f64_e32 v12, v[10:11]
	s_branch .LBB257_1152
.LBB257_1142:
	s_mov_b32 s0, 0
                                        ; implicit-def: $vgpr12
	s_cbranch_execnz .LBB257_1222
	s_branch .LBB257_1253
.LBB257_1143:
                                        ; implicit-def: $vgpr12
	s_branch .LBB257_1169
.LBB257_1144:
	s_mov_b32 s1, -1
	s_mov_b32 s0, 0
                                        ; implicit-def: $vgpr12
	s_branch .LBB257_1203
.LBB257_1145:
                                        ; implicit-def: $vgpr12
	s_branch .LBB257_1158
.LBB257_1146:
	s_mov_b32 s0, 0
                                        ; implicit-def: $vgpr12
	s_cbranch_execnz .LBB257_1199
	s_branch .LBB257_1202
.LBB257_1147:
	s_mov_b32 s0, -1
                                        ; implicit-def: $vgpr12
	s_branch .LBB257_1155
.LBB257_1148:
	s_cbranch_execnz .LBB257_1190
; %bb.1149:
	s_or_b32 s3, s3, exec_lo
	s_and_not1_b32 s8, s8, exec_lo
	s_or_b32 exec_lo, exec_lo, s2
	s_and_saveexec_b32 s2, s8
	s_delay_alu instid0(SALU_CYCLE_1)
	s_xor_b32 s2, exec_lo, s2
	s_cbranch_execnz .LBB257_1036
	s_branch .LBB257_1037
.LBB257_1150:
	s_mov_b32 s1, -1
	s_mov_b32 s0, 0
	s_branch .LBB257_1193
.LBB257_1151:
	s_mov_b32 s0, -1
                                        ; implicit-def: $vgpr12
.LBB257_1152:
	s_delay_alu instid0(SALU_CYCLE_1)
	s_and_not1_b32 vcc_lo, exec_lo, s0
	s_cbranch_vccnz .LBB257_1154
; %bb.1153:
	global_load_b32 v12, v[7:8], off
.LBB257_1154:
	s_mov_b32 s0, 0
.LBB257_1155:
	s_delay_alu instid0(SALU_CYCLE_1)
	s_and_not1_b32 vcc_lo, exec_lo, s0
	s_cbranch_vccnz .LBB257_1157
; %bb.1156:
	global_load_b32 v10, v[7:8], off
	s_waitcnt vmcnt(0)
	v_cvt_f32_f16_e32 v12, v10
.LBB257_1157:
	s_cbranch_execnz .LBB257_1168
.LBB257_1158:
	v_cmp_gt_i16_e32 vcc_lo, 6, v9
	s_cbranch_vccnz .LBB257_1161
; %bb.1159:
	v_cmp_lt_i16_e32 vcc_lo, 6, v9
	s_cbranch_vccz .LBB257_1162
; %bb.1160:
	global_load_b64 v[10:11], v[7:8], off
	s_mov_b32 s0, 0
	s_waitcnt vmcnt(0)
	v_cvt_f32_f64_e32 v12, v[10:11]
	s_branch .LBB257_1163
.LBB257_1161:
	s_mov_b32 s0, -1
                                        ; implicit-def: $vgpr12
	s_branch .LBB257_1166
.LBB257_1162:
	s_mov_b32 s0, -1
                                        ; implicit-def: $vgpr12
.LBB257_1163:
	s_delay_alu instid0(SALU_CYCLE_1)
	s_and_not1_b32 vcc_lo, exec_lo, s0
	s_cbranch_vccnz .LBB257_1165
; %bb.1164:
	global_load_b32 v12, v[7:8], off
.LBB257_1165:
	s_mov_b32 s0, 0
.LBB257_1166:
	s_delay_alu instid0(SALU_CYCLE_1)
	s_and_not1_b32 vcc_lo, exec_lo, s0
	s_cbranch_vccnz .LBB257_1168
; %bb.1167:
	global_load_u16 v10, v[7:8], off
	s_waitcnt vmcnt(0)
	v_cvt_f32_f16_e32 v12, v10
.LBB257_1168:
	s_cbranch_execnz .LBB257_1187
.LBB257_1169:
	v_cmp_gt_i16_e32 vcc_lo, 2, v9
	s_cbranch_vccnz .LBB257_1173
; %bb.1170:
	v_cmp_gt_i16_e32 vcc_lo, 3, v9
	s_cbranch_vccnz .LBB257_1174
; %bb.1171:
	v_cmp_lt_i16_e32 vcc_lo, 3, v9
	s_cbranch_vccz .LBB257_1175
; %bb.1172:
	global_load_b64 v[10:11], v[7:8], off
	s_mov_b32 s0, 0
	s_waitcnt vmcnt(0)
	v_xor_b32_e32 v12, v10, v11
	v_cls_i32_e32 v13, v11
	s_delay_alu instid0(VALU_DEP_2) | instskip(NEXT) | instid1(VALU_DEP_2)
	v_ashrrev_i32_e32 v12, 31, v12
	v_add_nc_u32_e32 v13, -1, v13
	s_delay_alu instid0(VALU_DEP_2) | instskip(NEXT) | instid1(VALU_DEP_1)
	v_add_nc_u32_e32 v12, 32, v12
	v_min_u32_e32 v12, v13, v12
	s_delay_alu instid0(VALU_DEP_1) | instskip(NEXT) | instid1(VALU_DEP_1)
	v_lshlrev_b64 v[10:11], v12, v[10:11]
	v_min_u32_e32 v10, 1, v10
	s_delay_alu instid0(VALU_DEP_1) | instskip(SKIP_1) | instid1(VALU_DEP_2)
	v_or_b32_e32 v10, v11, v10
	v_sub_nc_u32_e32 v11, 32, v12
	v_cvt_f32_i32_e32 v10, v10
	s_delay_alu instid0(VALU_DEP_1)
	v_ldexp_f32 v12, v10, v11
	s_branch .LBB257_1176
.LBB257_1173:
                                        ; implicit-def: $vgpr12
	s_branch .LBB257_1182
.LBB257_1174:
	s_mov_b32 s0, -1
                                        ; implicit-def: $vgpr12
	s_branch .LBB257_1179
.LBB257_1175:
	s_mov_b32 s0, -1
                                        ; implicit-def: $vgpr12
.LBB257_1176:
	s_delay_alu instid0(SALU_CYCLE_1)
	s_and_not1_b32 vcc_lo, exec_lo, s0
	s_cbranch_vccnz .LBB257_1178
; %bb.1177:
	global_load_b32 v10, v[7:8], off
	s_waitcnt vmcnt(0)
	v_cvt_f32_i32_e32 v12, v10
.LBB257_1178:
	s_mov_b32 s0, 0
.LBB257_1179:
	s_delay_alu instid0(SALU_CYCLE_1)
	s_and_not1_b32 vcc_lo, exec_lo, s0
	s_cbranch_vccnz .LBB257_1181
; %bb.1180:
	global_load_i16 v10, v[7:8], off
	s_waitcnt vmcnt(0)
	v_cvt_f32_i32_e32 v12, v10
.LBB257_1181:
	s_cbranch_execnz .LBB257_1187
.LBB257_1182:
	v_cmp_lt_i16_e32 vcc_lo, 0, v9
	s_mov_b32 s0, 0
	s_cbranch_vccz .LBB257_1184
; %bb.1183:
	global_load_i8 v10, v[7:8], off
	s_waitcnt vmcnt(0)
	v_cvt_f32_i32_e32 v12, v10
	s_branch .LBB257_1185
.LBB257_1184:
	s_mov_b32 s0, -1
                                        ; implicit-def: $vgpr12
.LBB257_1185:
	s_delay_alu instid0(SALU_CYCLE_1)
	s_and_not1_b32 vcc_lo, exec_lo, s0
	s_cbranch_vccnz .LBB257_1187
; %bb.1186:
	global_load_u8 v7, v[7:8], off
	s_waitcnt vmcnt(0)
	v_cvt_f32_ubyte0_e32 v12, v7
.LBB257_1187:
	s_branch .LBB257_1258
.LBB257_1188:
	s_trap 2
	s_sendmsg_rtn_b32 s0, sendmsg(MSG_RTN_GET_DOORBELL)
	s_mov_b32 ttmp2, m0
	s_waitcnt lgkmcnt(0)
	s_and_b32 s0, s0, 0x3ff
	s_delay_alu instid0(SALU_CYCLE_1) | instskip(NEXT) | instid1(SALU_CYCLE_1)
	s_bitset1_b32 s0, 10
	s_mov_b32 m0, s0
	s_sendmsg sendmsg(MSG_INTERRUPT)
	s_mov_b32 m0, ttmp2
.LBB257_1189:                           ; =>This Inner Loop Header: Depth=1
	s_sethalt 5
	s_branch .LBB257_1189
.LBB257_1190:
	s_trap 2
	s_sendmsg_rtn_b32 s0, sendmsg(MSG_RTN_GET_DOORBELL)
	s_mov_b32 ttmp2, m0
	s_waitcnt lgkmcnt(0)
	s_and_b32 s0, s0, 0x3ff
	s_delay_alu instid0(SALU_CYCLE_1) | instskip(NEXT) | instid1(SALU_CYCLE_1)
	s_bitset1_b32 s0, 10
	s_mov_b32 m0, s0
	s_sendmsg sendmsg(MSG_INTERRUPT)
	s_mov_b32 m0, ttmp2
.LBB257_1191:                           ; =>This Inner Loop Header: Depth=1
	s_sethalt 5
	s_branch .LBB257_1191
.LBB257_1192:
	s_mov_b32 s0, -1
.LBB257_1193:
                                        ; implicit-def: $vgpr12
.LBB257_1194:
	s_and_b32 vcc_lo, exec_lo, s1
	s_cbranch_vccz .LBB257_1197
; %bb.1195:
	v_cmp_eq_u16_e32 vcc_lo, 44, v9
	s_cbranch_vccz .LBB257_1198
; %bb.1196:
	global_load_u8 v10, v[7:8], off
	s_mov_b32 s0, 0
	s_mov_b32 s10, -1
	s_waitcnt vmcnt(0)
	v_lshlrev_b32_e32 v11, 23, v10
	v_cmp_ne_u32_e32 vcc_lo, 0xff, v10
	s_delay_alu instid0(VALU_DEP_2) | instskip(SKIP_1) | instid1(VALU_DEP_2)
	v_cndmask_b32_e32 v11, 0x7f800001, v11, vcc_lo
	v_cmp_ne_u32_e32 vcc_lo, 0, v10
	v_cndmask_b32_e32 v12, 0x400000, v11, vcc_lo
.LBB257_1197:
	s_branch .LBB257_1202
.LBB257_1198:
	s_mov_b32 s0, -1
                                        ; implicit-def: $vgpr12
	s_branch .LBB257_1202
.LBB257_1199:
	v_cmp_eq_u16_e32 vcc_lo, 29, v9
	s_cbranch_vccz .LBB257_1201
; %bb.1200:
	global_load_b64 v[10:11], v[7:8], off
	s_mov_b32 s0, 0
	s_mov_b32 s10, -1
	s_mov_b32 s1, 0
	s_waitcnt vmcnt(0)
	v_clz_i32_u32_e32 v12, v11
	s_delay_alu instid0(VALU_DEP_1) | instskip(NEXT) | instid1(VALU_DEP_1)
	v_min_u32_e32 v12, 32, v12
	v_lshlrev_b64 v[10:11], v12, v[10:11]
	s_delay_alu instid0(VALU_DEP_1) | instskip(NEXT) | instid1(VALU_DEP_1)
	v_min_u32_e32 v10, 1, v10
	v_or_b32_e32 v10, v11, v10
	v_sub_nc_u32_e32 v11, 32, v12
	s_delay_alu instid0(VALU_DEP_2) | instskip(NEXT) | instid1(VALU_DEP_1)
	v_cvt_f32_u32_e32 v10, v10
	v_ldexp_f32 v12, v10, v11
	s_branch .LBB257_1203
.LBB257_1201:
	s_mov_b32 s0, -1
                                        ; implicit-def: $vgpr12
.LBB257_1202:
	s_mov_b32 s1, 0
.LBB257_1203:
	s_delay_alu instid0(SALU_CYCLE_1)
	s_and_b32 vcc_lo, exec_lo, s1
	s_cbranch_vccz .LBB257_1221
; %bb.1204:
	v_cmp_gt_i16_e32 vcc_lo, 27, v9
	s_cbranch_vccnz .LBB257_1207
; %bb.1205:
	v_cmp_lt_i16_e32 vcc_lo, 27, v9
	s_cbranch_vccz .LBB257_1208
; %bb.1206:
	global_load_b32 v10, v[7:8], off
	s_mov_b32 s1, 0
	s_waitcnt vmcnt(0)
	v_cvt_f32_u32_e32 v12, v10
	s_branch .LBB257_1209
.LBB257_1207:
	s_mov_b32 s1, -1
                                        ; implicit-def: $vgpr12
	s_branch .LBB257_1212
.LBB257_1208:
	s_mov_b32 s1, -1
                                        ; implicit-def: $vgpr12
.LBB257_1209:
	s_delay_alu instid0(SALU_CYCLE_1)
	s_and_not1_b32 vcc_lo, exec_lo, s1
	s_cbranch_vccnz .LBB257_1211
; %bb.1210:
	global_load_u16 v10, v[7:8], off
	s_waitcnt vmcnt(0)
	v_cvt_f32_u32_e32 v12, v10
.LBB257_1211:
	s_mov_b32 s1, 0
.LBB257_1212:
	s_delay_alu instid0(SALU_CYCLE_1)
	s_and_not1_b32 vcc_lo, exec_lo, s1
	s_cbranch_vccnz .LBB257_1220
; %bb.1213:
	global_load_u8 v10, v[7:8], off
	s_mov_b32 s1, 0
	s_mov_b32 s11, exec_lo
                                        ; implicit-def: $sgpr10
	s_waitcnt vmcnt(0)
	v_cmpx_lt_i16_e32 0x7f, v10
	s_xor_b32 s11, exec_lo, s11
	s_cbranch_execz .LBB257_1233
; %bb.1214:
	s_mov_b32 s1, -1
	s_mov_b32 s12, exec_lo
                                        ; implicit-def: $sgpr10
	v_cmpx_eq_u16_e32 0x80, v10
; %bb.1215:
	s_mov_b32 s10, 0x7f800001
	s_xor_b32 s1, exec_lo, -1
; %bb.1216:
	s_or_b32 exec_lo, exec_lo, s12
	s_delay_alu instid0(SALU_CYCLE_1)
	s_and_b32 s1, s1, exec_lo
	s_or_saveexec_b32 s11, s11
	v_mov_b32_e32 v12, s10
	s_xor_b32 exec_lo, exec_lo, s11
	s_cbranch_execnz .LBB257_1234
.LBB257_1217:
	s_or_b32 exec_lo, exec_lo, s11
	s_and_saveexec_b32 s10, s1
	s_cbranch_execz .LBB257_1219
.LBB257_1218:
	v_and_b32_e32 v11, 0xffff, v10
	v_lshlrev_b32_e32 v10, 24, v10
	s_delay_alu instid0(VALU_DEP_2) | instskip(NEXT) | instid1(VALU_DEP_2)
	v_and_b32_e32 v12, 7, v11
	v_and_b32_e32 v10, 0x80000000, v10
	s_delay_alu instid0(VALU_DEP_2) | instskip(NEXT) | instid1(VALU_DEP_1)
	v_clz_i32_u32_e32 v13, v12
	v_min_u32_e32 v13, 32, v13
	s_delay_alu instid0(VALU_DEP_1) | instskip(SKIP_1) | instid1(VALU_DEP_2)
	v_subrev_nc_u32_e32 v14, 28, v13
	v_sub_nc_u32_e32 v13, 29, v13
	v_lshlrev_b32_e32 v14, v14, v11
	v_bfe_u32 v11, v11, 3, 4
	s_delay_alu instid0(VALU_DEP_2) | instskip(NEXT) | instid1(VALU_DEP_2)
	v_and_b32_e32 v14, 7, v14
	v_cmp_eq_u32_e32 vcc_lo, 0, v11
	s_delay_alu instid0(VALU_DEP_2) | instskip(NEXT) | instid1(VALU_DEP_1)
	v_dual_cndmask_b32 v11, v11, v13 :: v_dual_cndmask_b32 v12, v12, v14
	v_lshl_add_u32 v11, v11, 23, 0x3b800000
	s_delay_alu instid0(VALU_DEP_2) | instskip(NEXT) | instid1(VALU_DEP_1)
	v_lshlrev_b32_e32 v12, 20, v12
	v_or3_b32 v12, v10, v11, v12
.LBB257_1219:
	s_or_b32 exec_lo, exec_lo, s10
.LBB257_1220:
	s_mov_b32 s10, -1
.LBB257_1221:
	s_branch .LBB257_1253
.LBB257_1222:
	v_cmp_lt_i16_e32 vcc_lo, 22, v9
	s_cbranch_vccz .LBB257_1232
; %bb.1223:
	v_cmp_gt_i16_e32 vcc_lo, 24, v9
	s_cbranch_vccnz .LBB257_1235
; %bb.1224:
	v_cmp_lt_i16_e32 vcc_lo, 24, v9
	s_cbranch_vccz .LBB257_1236
; %bb.1225:
	global_load_u8 v10, v[7:8], off
	s_mov_b32 s1, 0
	s_mov_b32 s10, exec_lo
                                        ; implicit-def: $sgpr3
	s_waitcnt vmcnt(0)
	v_cmpx_lt_i16_e32 0x7f, v10
	s_xor_b32 s10, exec_lo, s10
	s_cbranch_execz .LBB257_1247
; %bb.1226:
	s_mov_b32 s1, -1
	s_mov_b32 s11, exec_lo
                                        ; implicit-def: $sgpr3
	v_cmpx_eq_u16_e32 0x80, v10
; %bb.1227:
	s_mov_b32 s3, 0x7f800001
	s_xor_b32 s1, exec_lo, -1
; %bb.1228:
	s_or_b32 exec_lo, exec_lo, s11
	s_delay_alu instid0(SALU_CYCLE_1)
	s_and_b32 s1, s1, exec_lo
	s_or_saveexec_b32 s10, s10
	v_mov_b32_e32 v12, s3
	s_xor_b32 exec_lo, exec_lo, s10
	s_cbranch_execnz .LBB257_1248
.LBB257_1229:
	s_or_b32 exec_lo, exec_lo, s10
	s_and_saveexec_b32 s3, s1
	s_cbranch_execz .LBB257_1231
.LBB257_1230:
	v_and_b32_e32 v11, 0xffff, v10
	v_lshlrev_b32_e32 v10, 24, v10
	s_delay_alu instid0(VALU_DEP_2) | instskip(NEXT) | instid1(VALU_DEP_2)
	v_and_b32_e32 v12, 3, v11
	v_and_b32_e32 v10, 0x80000000, v10
	s_delay_alu instid0(VALU_DEP_2) | instskip(NEXT) | instid1(VALU_DEP_1)
	v_clz_i32_u32_e32 v13, v12
	v_min_u32_e32 v13, 32, v13
	s_delay_alu instid0(VALU_DEP_1) | instskip(SKIP_1) | instid1(VALU_DEP_2)
	v_subrev_nc_u32_e32 v14, 29, v13
	v_sub_nc_u32_e32 v13, 30, v13
	v_lshlrev_b32_e32 v14, v14, v11
	v_bfe_u32 v11, v11, 2, 5
	s_delay_alu instid0(VALU_DEP_2) | instskip(NEXT) | instid1(VALU_DEP_2)
	v_and_b32_e32 v14, 3, v14
	v_cmp_eq_u32_e32 vcc_lo, 0, v11
	s_delay_alu instid0(VALU_DEP_2) | instskip(NEXT) | instid1(VALU_DEP_1)
	v_dual_cndmask_b32 v11, v11, v13 :: v_dual_cndmask_b32 v12, v12, v14
	v_lshl_add_u32 v11, v11, 23, 0x37800000
	s_delay_alu instid0(VALU_DEP_2) | instskip(NEXT) | instid1(VALU_DEP_1)
	v_lshlrev_b32_e32 v12, 21, v12
	v_or3_b32 v12, v10, v11, v12
.LBB257_1231:
	s_or_b32 exec_lo, exec_lo, s3
	s_mov_b32 s1, 0
	s_branch .LBB257_1237
.LBB257_1232:
                                        ; implicit-def: $vgpr12
	s_mov_b32 s3, 0
	s_branch .LBB257_1243
.LBB257_1233:
	s_or_saveexec_b32 s11, s11
	v_mov_b32_e32 v12, s10
	s_xor_b32 exec_lo, exec_lo, s11
	s_cbranch_execz .LBB257_1217
.LBB257_1234:
	v_cmp_ne_u16_e32 vcc_lo, 0, v10
	v_mov_b32_e32 v12, 0
	s_and_not1_b32 s1, s1, exec_lo
	s_and_b32 s10, vcc_lo, exec_lo
	s_delay_alu instid0(SALU_CYCLE_1)
	s_or_b32 s1, s1, s10
	s_or_b32 exec_lo, exec_lo, s11
	s_and_saveexec_b32 s10, s1
	s_cbranch_execnz .LBB257_1218
	s_branch .LBB257_1219
.LBB257_1235:
	s_mov_b32 s1, -1
                                        ; implicit-def: $vgpr12
	s_branch .LBB257_1240
.LBB257_1236:
	s_mov_b32 s1, -1
                                        ; implicit-def: $vgpr12
.LBB257_1237:
	s_delay_alu instid0(SALU_CYCLE_1)
	s_and_b32 vcc_lo, exec_lo, s1
	s_cbranch_vccz .LBB257_1239
; %bb.1238:
	global_load_u8 v10, v[7:8], off
	s_waitcnt vmcnt(0)
	v_lshlrev_b32_e32 v10, 24, v10
	s_delay_alu instid0(VALU_DEP_1) | instskip(NEXT) | instid1(VALU_DEP_1)
	v_and_b32_e32 v11, 0x7f000000, v10
	v_clz_i32_u32_e32 v12, v11
	v_add_nc_u32_e32 v14, 0x1000000, v11
	v_cmp_ne_u32_e32 vcc_lo, 0, v11
	s_delay_alu instid0(VALU_DEP_3) | instskip(NEXT) | instid1(VALU_DEP_1)
	v_min_u32_e32 v12, 32, v12
	v_sub_nc_u32_e64 v12, v12, 4 clamp
	s_delay_alu instid0(VALU_DEP_1) | instskip(SKIP_1) | instid1(VALU_DEP_2)
	v_lshlrev_b32_e32 v13, v12, v11
	v_lshlrev_b32_e32 v12, 23, v12
	v_lshrrev_b32_e32 v13, 4, v13
	s_delay_alu instid0(VALU_DEP_1) | instskip(SKIP_1) | instid1(VALU_DEP_2)
	v_sub_nc_u32_e32 v12, v13, v12
	v_ashrrev_i32_e32 v13, 8, v14
	v_add_nc_u32_e32 v12, 0x3c000000, v12
	s_delay_alu instid0(VALU_DEP_1) | instskip(NEXT) | instid1(VALU_DEP_1)
	v_and_or_b32 v12, 0x7f800000, v13, v12
	v_cndmask_b32_e32 v11, 0, v12, vcc_lo
	s_delay_alu instid0(VALU_DEP_1)
	v_and_or_b32 v12, 0x80000000, v10, v11
.LBB257_1239:
	s_mov_b32 s1, 0
.LBB257_1240:
	s_delay_alu instid0(SALU_CYCLE_1)
	s_and_not1_b32 vcc_lo, exec_lo, s1
	s_cbranch_vccnz .LBB257_1242
; %bb.1241:
	global_load_u8 v10, v[7:8], off
	s_waitcnt vmcnt(0)
	v_lshlrev_b32_e32 v11, 25, v10
	v_lshlrev_b16 v10, 8, v10
	s_delay_alu instid0(VALU_DEP_2) | instskip(NEXT) | instid1(VALU_DEP_2)
	v_lshrrev_b32_e32 v12, 4, v11
	v_and_or_b32 v13, 0x7f00, v10, 0.5
	v_bfe_i32 v10, v10, 0, 16
	s_delay_alu instid0(VALU_DEP_3) | instskip(NEXT) | instid1(VALU_DEP_1)
	v_or_b32_e32 v12, 0x70000000, v12
	v_dual_add_f32 v13, -0.5, v13 :: v_dual_mul_f32 v12, 0x7800000, v12
	v_cmp_gt_u32_e32 vcc_lo, 0x8000000, v11
	s_delay_alu instid0(VALU_DEP_2) | instskip(NEXT) | instid1(VALU_DEP_1)
	v_cndmask_b32_e32 v11, v12, v13, vcc_lo
	v_and_or_b32 v12, 0x80000000, v10, v11
.LBB257_1242:
	s_mov_b32 s10, -1
	s_mov_b32 s3, 0
	s_cbranch_execnz .LBB257_1253
.LBB257_1243:
	v_cmp_lt_i16_e32 vcc_lo, 14, v9
	s_cbranch_vccz .LBB257_1246
; %bb.1244:
	v_cmp_eq_u16_e32 vcc_lo, 15, v9
	s_cbranch_vccz .LBB257_1249
; %bb.1245:
	global_load_u16 v10, v[7:8], off
	s_mov_b32 s0, 0
	s_mov_b32 s10, -1
	s_waitcnt vmcnt(0)
	v_lshlrev_b32_e32 v12, 16, v10
	s_branch .LBB257_1250
.LBB257_1246:
	s_mov_b32 s1, -1
                                        ; implicit-def: $vgpr12
	s_branch .LBB257_1251
.LBB257_1247:
	s_or_saveexec_b32 s10, s10
	v_mov_b32_e32 v12, s3
	s_xor_b32 exec_lo, exec_lo, s10
	s_cbranch_execz .LBB257_1229
.LBB257_1248:
	v_cmp_ne_u16_e32 vcc_lo, 0, v10
	v_mov_b32_e32 v12, 0
	s_and_not1_b32 s1, s1, exec_lo
	s_and_b32 s3, vcc_lo, exec_lo
	s_delay_alu instid0(SALU_CYCLE_1)
	s_or_b32 s1, s1, s3
	s_or_b32 exec_lo, exec_lo, s10
	s_and_saveexec_b32 s3, s1
	s_cbranch_execnz .LBB257_1230
	s_branch .LBB257_1231
.LBB257_1249:
	s_mov_b32 s0, -1
                                        ; implicit-def: $vgpr12
.LBB257_1250:
	s_mov_b32 s1, 0
.LBB257_1251:
	s_delay_alu instid0(SALU_CYCLE_1)
	s_and_b32 vcc_lo, exec_lo, s1
	s_cbranch_vccz .LBB257_1253
; %bb.1252:
	v_cmp_ne_u16_e64 s0, 11, v9
	s_mov_b32 s3, -1
                                        ; implicit-def: $vgpr12
.LBB257_1253:
	s_delay_alu instid0(VALU_DEP_1)
	s_and_b32 vcc_lo, exec_lo, s0
	s_mov_b32 s1, s8
	s_cbranch_vccnz .LBB257_1277
; %bb.1254:
	s_and_not1_b32 vcc_lo, exec_lo, s3
	s_cbranch_vccnz .LBB257_1256
.LBB257_1255:
	global_load_u8 v10, v[7:8], off
	s_mov_b32 s10, -1
	s_waitcnt vmcnt(0)
	v_cmp_ne_u16_e32 vcc_lo, 0, v10
	v_cndmask_b32_e64 v12, 0, 1.0, vcc_lo
.LBB257_1256:
.LBB257_1257:
	s_and_not1_b32 vcc_lo, exec_lo, s10
	s_cbranch_vccnz .LBB257_2090
.LBB257_1258:
	v_cmp_gt_i16_e32 vcc_lo, 11, v9
	s_waitcnt vmcnt(0)
	v_add_co_u32 v6, s0, s6, v6
	s_delay_alu instid0(VALU_DEP_1)
	v_add_co_ci_u32_e64 v7, null, s7, 0, s0
	s_mov_b32 s10, 0
	s_cbranch_vccnz .LBB257_1265
; %bb.1259:
	v_cmp_lt_i16_e32 vcc_lo, 25, v9
	s_mov_b32 s3, 0
	s_cbranch_vccz .LBB257_1271
; %bb.1260:
	v_cmp_lt_i16_e32 vcc_lo, 28, v9
	s_cbranch_vccz .LBB257_1273
; %bb.1261:
	v_cmp_lt_i16_e32 vcc_lo, 43, v9
	;; [unrolled: 3-line block ×3, first 2 shown]
	s_cbranch_vccz .LBB257_1281
; %bb.1263:
	v_cmp_eq_u16_e32 vcc_lo, 46, v9
	s_mov_b32 s11, 0
	s_cbranch_vccz .LBB257_1325
; %bb.1264:
	global_load_b32 v8, v[6:7], off
	s_mov_b32 s0, 0
	s_mov_b32 s10, -1
	s_waitcnt vmcnt(0)
	v_lshlrev_b32_e32 v11, 16, v8
	s_branch .LBB257_1327
.LBB257_1265:
                                        ; implicit-def: $vgpr11
	s_cbranch_execz .LBB257_1392
; %bb.1266:
	v_cmp_gt_i16_e32 vcc_lo, 5, v9
	s_cbranch_vccnz .LBB257_1272
; %bb.1267:
	v_cmp_gt_i16_e32 vcc_lo, 8, v9
	s_cbranch_vccnz .LBB257_1274
	;; [unrolled: 3-line block ×3, first 2 shown]
; %bb.1269:
	v_cmp_lt_i16_e32 vcc_lo, 9, v9
	s_cbranch_vccz .LBB257_1282
; %bb.1270:
	global_load_b64 v[10:11], v[6:7], off
	s_mov_b32 s0, 0
	s_waitcnt vmcnt(0)
	v_cvt_f32_f64_e32 v11, v[10:11]
	s_branch .LBB257_1283
.LBB257_1271:
	s_mov_b32 s0, 0
                                        ; implicit-def: $vgpr11
	s_cbranch_execnz .LBB257_1356
	s_branch .LBB257_1388
.LBB257_1272:
                                        ; implicit-def: $vgpr11
	s_branch .LBB257_1301
.LBB257_1273:
	s_mov_b32 s11, -1
	s_mov_b32 s0, 0
                                        ; implicit-def: $vgpr11
	s_branch .LBB257_1337
.LBB257_1274:
	s_mov_b32 s0, -1
                                        ; implicit-def: $vgpr11
	s_branch .LBB257_1289
.LBB257_1275:
	s_mov_b32 s11, -1
	s_mov_b32 s0, 0
                                        ; implicit-def: $vgpr11
	s_branch .LBB257_1332
.LBB257_1276:
	s_mov_b32 s0, -1
                                        ; implicit-def: $vgpr11
	s_branch .LBB257_1286
.LBB257_1277:
	s_cbranch_execnz .LBB257_1321
; %bb.1278:
	s_or_b32 s1, s8, exec_lo
                                        ; implicit-def: $vgpr12
	s_cbranch_execz .LBB257_1255
	s_branch .LBB257_1256
.LBB257_1279:
	s_or_saveexec_b32 s7, s7
                                        ; implicit-def: $sgpr8
	s_delay_alu instid0(SALU_CYCLE_1)
	s_xor_b32 exec_lo, exec_lo, s7
	s_cbranch_execz .LBB257_987
.LBB257_1280:
	v_add_f32_e64 v0, 0x46000000, |v3|
	s_and_not1_b32 s5, s5, exec_lo
	s_mov_b32 s8, 0
	s_delay_alu instid0(VALU_DEP_1) | instskip(NEXT) | instid1(VALU_DEP_1)
	v_and_b32_e32 v0, 0xff, v0
	v_cmp_ne_u32_e32 vcc_lo, 0, v0
	s_and_b32 s9, vcc_lo, exec_lo
	s_delay_alu instid0(SALU_CYCLE_1)
	s_or_b32 s5, s5, s9
	s_or_b32 exec_lo, exec_lo, s7
	v_mov_b32_e32 v4, s8
	s_and_saveexec_b32 s7, s5
	s_cbranch_execnz .LBB257_988
	s_branch .LBB257_989
.LBB257_1281:
	s_mov_b32 s11, -1
	s_mov_b32 s0, 0
	s_branch .LBB257_1326
.LBB257_1282:
	s_mov_b32 s0, -1
                                        ; implicit-def: $vgpr11
.LBB257_1283:
	s_delay_alu instid0(SALU_CYCLE_1)
	s_and_not1_b32 vcc_lo, exec_lo, s0
	s_cbranch_vccnz .LBB257_1285
; %bb.1284:
	global_load_b32 v11, v[6:7], off
.LBB257_1285:
	s_mov_b32 s0, 0
.LBB257_1286:
	s_delay_alu instid0(SALU_CYCLE_1)
	s_and_not1_b32 vcc_lo, exec_lo, s0
	s_cbranch_vccnz .LBB257_1288
; %bb.1287:
	global_load_b32 v8, v[6:7], off
	s_waitcnt vmcnt(0)
	v_cvt_f32_f16_e32 v11, v8
.LBB257_1288:
	s_mov_b32 s0, 0
.LBB257_1289:
	s_delay_alu instid0(SALU_CYCLE_1)
	s_and_not1_b32 vcc_lo, exec_lo, s0
	s_cbranch_vccnz .LBB257_1300
; %bb.1290:
	v_cmp_gt_i16_e32 vcc_lo, 6, v9
	s_cbranch_vccnz .LBB257_1293
; %bb.1291:
	v_cmp_lt_i16_e32 vcc_lo, 6, v9
	s_cbranch_vccz .LBB257_1294
; %bb.1292:
	global_load_b64 v[10:11], v[6:7], off
	s_mov_b32 s0, 0
	s_waitcnt vmcnt(0)
	v_cvt_f32_f64_e32 v11, v[10:11]
	s_branch .LBB257_1295
.LBB257_1293:
	s_mov_b32 s0, -1
                                        ; implicit-def: $vgpr11
	s_branch .LBB257_1298
.LBB257_1294:
	s_mov_b32 s0, -1
                                        ; implicit-def: $vgpr11
.LBB257_1295:
	s_delay_alu instid0(SALU_CYCLE_1)
	s_and_not1_b32 vcc_lo, exec_lo, s0
	s_cbranch_vccnz .LBB257_1297
; %bb.1296:
	global_load_b32 v11, v[6:7], off
.LBB257_1297:
	s_mov_b32 s0, 0
.LBB257_1298:
	s_delay_alu instid0(SALU_CYCLE_1)
	s_and_not1_b32 vcc_lo, exec_lo, s0
	s_cbranch_vccnz .LBB257_1300
; %bb.1299:
	global_load_u16 v8, v[6:7], off
	s_waitcnt vmcnt(0)
	v_cvt_f32_f16_e32 v11, v8
.LBB257_1300:
	s_cbranch_execnz .LBB257_1320
.LBB257_1301:
	v_cmp_gt_i16_e32 vcc_lo, 2, v9
	s_cbranch_vccnz .LBB257_1305
; %bb.1302:
	v_cmp_gt_i16_e32 vcc_lo, 3, v9
	s_cbranch_vccnz .LBB257_1306
; %bb.1303:
	v_cmp_lt_i16_e32 vcc_lo, 3, v9
	s_cbranch_vccz .LBB257_1307
; %bb.1304:
	global_load_b64 v[10:11], v[6:7], off
	s_mov_b32 s0, 0
	s_waitcnt vmcnt(0)
	v_xor_b32_e32 v8, v10, v11
	v_cls_i32_e32 v13, v11
	s_delay_alu instid0(VALU_DEP_2) | instskip(NEXT) | instid1(VALU_DEP_2)
	v_ashrrev_i32_e32 v8, 31, v8
	v_add_nc_u32_e32 v13, -1, v13
	s_delay_alu instid0(VALU_DEP_2) | instskip(NEXT) | instid1(VALU_DEP_1)
	v_add_nc_u32_e32 v8, 32, v8
	v_min_u32_e32 v8, v13, v8
	s_delay_alu instid0(VALU_DEP_1) | instskip(SKIP_1) | instid1(VALU_DEP_2)
	v_lshlrev_b64 v[10:11], v8, v[10:11]
	v_sub_nc_u32_e32 v8, 32, v8
	v_min_u32_e32 v10, 1, v10
	s_delay_alu instid0(VALU_DEP_1) | instskip(NEXT) | instid1(VALU_DEP_1)
	v_or_b32_e32 v10, v11, v10
	v_cvt_f32_i32_e32 v10, v10
	s_delay_alu instid0(VALU_DEP_1)
	v_ldexp_f32 v11, v10, v8
	s_branch .LBB257_1308
.LBB257_1305:
	s_mov_b32 s0, -1
                                        ; implicit-def: $vgpr11
	s_branch .LBB257_1314
.LBB257_1306:
	s_mov_b32 s0, -1
                                        ; implicit-def: $vgpr11
	s_branch .LBB257_1311
.LBB257_1307:
	s_mov_b32 s0, -1
                                        ; implicit-def: $vgpr11
.LBB257_1308:
	s_delay_alu instid0(SALU_CYCLE_1)
	s_and_not1_b32 vcc_lo, exec_lo, s0
	s_cbranch_vccnz .LBB257_1310
; %bb.1309:
	global_load_b32 v8, v[6:7], off
	s_waitcnt vmcnt(0)
	v_cvt_f32_i32_e32 v11, v8
.LBB257_1310:
	s_mov_b32 s0, 0
.LBB257_1311:
	s_delay_alu instid0(SALU_CYCLE_1)
	s_and_not1_b32 vcc_lo, exec_lo, s0
	s_cbranch_vccnz .LBB257_1313
; %bb.1312:
	global_load_i16 v8, v[6:7], off
	s_waitcnt vmcnt(0)
	v_cvt_f32_i32_e32 v11, v8
.LBB257_1313:
	s_mov_b32 s0, 0
.LBB257_1314:
	s_delay_alu instid0(SALU_CYCLE_1)
	s_and_not1_b32 vcc_lo, exec_lo, s0
	s_cbranch_vccnz .LBB257_1320
; %bb.1315:
	v_cmp_lt_i16_e32 vcc_lo, 0, v9
	s_mov_b32 s0, 0
	s_cbranch_vccz .LBB257_1317
; %bb.1316:
	global_load_i8 v8, v[6:7], off
	s_waitcnt vmcnt(0)
	v_cvt_f32_i32_e32 v11, v8
	s_branch .LBB257_1318
.LBB257_1317:
	s_mov_b32 s0, -1
                                        ; implicit-def: $vgpr11
.LBB257_1318:
	s_delay_alu instid0(SALU_CYCLE_1)
	s_and_not1_b32 vcc_lo, exec_lo, s0
	s_cbranch_vccnz .LBB257_1320
; %bb.1319:
	global_load_u8 v6, v[6:7], off
	s_waitcnt vmcnt(0)
	v_cvt_f32_ubyte0_e32 v11, v6
.LBB257_1320:
	s_branch .LBB257_1393
.LBB257_1321:
	s_trap 2
	s_sendmsg_rtn_b32 s0, sendmsg(MSG_RTN_GET_DOORBELL)
	s_mov_b32 ttmp2, m0
	s_waitcnt lgkmcnt(0)
	s_and_b32 s0, s0, 0x3ff
	s_delay_alu instid0(SALU_CYCLE_1) | instskip(NEXT) | instid1(SALU_CYCLE_1)
	s_bitset1_b32 s0, 10
	s_mov_b32 m0, s0
	s_sendmsg sendmsg(MSG_INTERRUPT)
	s_mov_b32 m0, ttmp2
.LBB257_1322:                           ; =>This Inner Loop Header: Depth=1
	s_sethalt 5
	s_branch .LBB257_1322
.LBB257_1323:
	s_or_saveexec_b32 s8, s8
                                        ; implicit-def: $sgpr9
	s_delay_alu instid0(SALU_CYCLE_1)
	s_xor_b32 exec_lo, exec_lo, s8
	s_cbranch_execz .LBB257_999
.LBB257_1324:
	v_add_f32_e64 v0, 0x42800000, |v3|
	s_and_not1_b32 s5, s5, exec_lo
	s_mov_b32 s9, 0
	s_delay_alu instid0(VALU_DEP_1) | instskip(NEXT) | instid1(VALU_DEP_1)
	v_and_b32_e32 v0, 0xff, v0
	v_cmp_ne_u32_e32 vcc_lo, 0, v0
	s_and_b32 s10, vcc_lo, exec_lo
	s_delay_alu instid0(SALU_CYCLE_1)
	s_or_b32 s5, s5, s10
	s_or_b32 exec_lo, exec_lo, s8
	v_mov_b32_e32 v4, s9
	s_and_saveexec_b32 s8, s5
	s_cbranch_execnz .LBB257_1000
	s_branch .LBB257_1001
.LBB257_1325:
	s_mov_b32 s0, -1
.LBB257_1326:
                                        ; implicit-def: $vgpr11
.LBB257_1327:
	s_and_b32 vcc_lo, exec_lo, s11
	s_cbranch_vccz .LBB257_1331
; %bb.1328:
	v_cmp_eq_u16_e32 vcc_lo, 44, v9
	s_cbranch_vccz .LBB257_1330
; %bb.1329:
	global_load_u8 v8, v[6:7], off
	s_mov_b32 s0, 0
	s_mov_b32 s10, -1
	s_waitcnt vmcnt(0)
	v_lshlrev_b32_e32 v10, 23, v8
	v_cmp_ne_u32_e32 vcc_lo, 0xff, v8
	s_delay_alu instid0(VALU_DEP_2) | instskip(SKIP_1) | instid1(VALU_DEP_2)
	v_cndmask_b32_e32 v10, 0x7f800001, v10, vcc_lo
	v_cmp_ne_u32_e32 vcc_lo, 0, v8
	v_cndmask_b32_e32 v11, 0x400000, v10, vcc_lo
	s_branch .LBB257_1331
.LBB257_1330:
	s_mov_b32 s0, -1
                                        ; implicit-def: $vgpr11
.LBB257_1331:
	s_mov_b32 s11, 0
.LBB257_1332:
	s_delay_alu instid0(SALU_CYCLE_1)
	s_and_b32 vcc_lo, exec_lo, s11
	s_cbranch_vccz .LBB257_1336
; %bb.1333:
	v_cmp_eq_u16_e32 vcc_lo, 29, v9
	s_cbranch_vccz .LBB257_1335
; %bb.1334:
	global_load_b64 v[10:11], v[6:7], off
	s_mov_b32 s0, 0
	s_mov_b32 s10, -1
	s_mov_b32 s11, 0
	s_waitcnt vmcnt(0)
	v_clz_i32_u32_e32 v8, v11
	s_delay_alu instid0(VALU_DEP_1) | instskip(NEXT) | instid1(VALU_DEP_1)
	v_min_u32_e32 v8, 32, v8
	v_lshlrev_b64 v[10:11], v8, v[10:11]
	v_sub_nc_u32_e32 v8, 32, v8
	s_delay_alu instid0(VALU_DEP_2) | instskip(NEXT) | instid1(VALU_DEP_1)
	v_min_u32_e32 v10, 1, v10
	v_or_b32_e32 v10, v11, v10
	s_delay_alu instid0(VALU_DEP_1) | instskip(NEXT) | instid1(VALU_DEP_1)
	v_cvt_f32_u32_e32 v10, v10
	v_ldexp_f32 v11, v10, v8
	s_branch .LBB257_1337
.LBB257_1335:
	s_mov_b32 s0, -1
                                        ; implicit-def: $vgpr11
.LBB257_1336:
	s_mov_b32 s11, 0
.LBB257_1337:
	s_delay_alu instid0(SALU_CYCLE_1)
	s_and_b32 vcc_lo, exec_lo, s11
	s_cbranch_vccz .LBB257_1355
; %bb.1338:
	v_cmp_gt_i16_e32 vcc_lo, 27, v9
	s_cbranch_vccnz .LBB257_1341
; %bb.1339:
	v_cmp_lt_i16_e32 vcc_lo, 27, v9
	s_cbranch_vccz .LBB257_1342
; %bb.1340:
	global_load_b32 v8, v[6:7], off
	s_mov_b32 s10, 0
	s_waitcnt vmcnt(0)
	v_cvt_f32_u32_e32 v11, v8
	s_branch .LBB257_1343
.LBB257_1341:
	s_mov_b32 s10, -1
                                        ; implicit-def: $vgpr11
	s_branch .LBB257_1346
.LBB257_1342:
	s_mov_b32 s10, -1
                                        ; implicit-def: $vgpr11
.LBB257_1343:
	s_delay_alu instid0(SALU_CYCLE_1)
	s_and_not1_b32 vcc_lo, exec_lo, s10
	s_cbranch_vccnz .LBB257_1345
; %bb.1344:
	global_load_u16 v8, v[6:7], off
	s_waitcnt vmcnt(0)
	v_cvt_f32_u32_e32 v11, v8
.LBB257_1345:
	s_mov_b32 s10, 0
.LBB257_1346:
	s_delay_alu instid0(SALU_CYCLE_1)
	s_and_not1_b32 vcc_lo, exec_lo, s10
	s_cbranch_vccnz .LBB257_1354
; %bb.1347:
	global_load_u8 v8, v[6:7], off
	s_mov_b32 s10, 0
	s_mov_b32 s12, exec_lo
                                        ; implicit-def: $sgpr11
	s_waitcnt vmcnt(0)
	v_cmpx_lt_i16_e32 0x7f, v8
	s_xor_b32 s12, exec_lo, s12
	s_cbranch_execz .LBB257_1367
; %bb.1348:
	s_mov_b32 s10, -1
	s_mov_b32 s13, exec_lo
                                        ; implicit-def: $sgpr11
	v_cmpx_eq_u16_e32 0x80, v8
; %bb.1349:
	s_mov_b32 s11, 0x7f800001
	s_xor_b32 s10, exec_lo, -1
; %bb.1350:
	s_or_b32 exec_lo, exec_lo, s13
	s_delay_alu instid0(SALU_CYCLE_1)
	s_and_b32 s10, s10, exec_lo
	s_or_saveexec_b32 s12, s12
	v_mov_b32_e32 v11, s11
	s_xor_b32 exec_lo, exec_lo, s12
	s_cbranch_execnz .LBB257_1368
.LBB257_1351:
	s_or_b32 exec_lo, exec_lo, s12
	s_and_saveexec_b32 s11, s10
	s_cbranch_execz .LBB257_1353
.LBB257_1352:
	v_and_b32_e32 v10, 0xffff, v8
	v_lshlrev_b32_e32 v8, 24, v8
	s_delay_alu instid0(VALU_DEP_2) | instskip(NEXT) | instid1(VALU_DEP_2)
	v_and_b32_e32 v11, 7, v10
	v_and_b32_e32 v8, 0x80000000, v8
	s_delay_alu instid0(VALU_DEP_2) | instskip(NEXT) | instid1(VALU_DEP_1)
	v_clz_i32_u32_e32 v13, v11
	v_min_u32_e32 v13, 32, v13
	s_delay_alu instid0(VALU_DEP_1) | instskip(SKIP_1) | instid1(VALU_DEP_2)
	v_subrev_nc_u32_e32 v14, 28, v13
	v_sub_nc_u32_e32 v13, 29, v13
	v_lshlrev_b32_e32 v14, v14, v10
	v_bfe_u32 v10, v10, 3, 4
	s_delay_alu instid0(VALU_DEP_2) | instskip(NEXT) | instid1(VALU_DEP_2)
	v_and_b32_e32 v14, 7, v14
	v_cmp_eq_u32_e32 vcc_lo, 0, v10
	s_delay_alu instid0(VALU_DEP_2) | instskip(NEXT) | instid1(VALU_DEP_1)
	v_dual_cndmask_b32 v10, v10, v13 :: v_dual_cndmask_b32 v11, v11, v14
	v_lshl_add_u32 v10, v10, 23, 0x3b800000
	s_delay_alu instid0(VALU_DEP_2) | instskip(NEXT) | instid1(VALU_DEP_1)
	v_lshlrev_b32_e32 v11, 20, v11
	v_or3_b32 v11, v8, v10, v11
.LBB257_1353:
	s_or_b32 exec_lo, exec_lo, s11
.LBB257_1354:
	s_mov_b32 s10, -1
.LBB257_1355:
	s_branch .LBB257_1388
.LBB257_1356:
	v_cmp_lt_i16_e32 vcc_lo, 22, v9
	s_cbranch_vccz .LBB257_1366
; %bb.1357:
	v_cmp_gt_i16_e32 vcc_lo, 24, v9
	s_cbranch_vccnz .LBB257_1369
; %bb.1358:
	v_cmp_lt_i16_e32 vcc_lo, 24, v9
	s_cbranch_vccz .LBB257_1370
; %bb.1359:
	global_load_u8 v8, v[6:7], off
	s_mov_b32 s11, exec_lo
                                        ; implicit-def: $sgpr10
	s_waitcnt vmcnt(0)
	v_cmpx_lt_i16_e32 0x7f, v8
	s_xor_b32 s11, exec_lo, s11
	s_cbranch_execz .LBB257_1382
; %bb.1360:
	s_mov_b32 s3, -1
	s_mov_b32 s12, exec_lo
                                        ; implicit-def: $sgpr10
	v_cmpx_eq_u16_e32 0x80, v8
; %bb.1361:
	s_mov_b32 s10, 0x7f800001
	s_xor_b32 s3, exec_lo, -1
; %bb.1362:
	s_or_b32 exec_lo, exec_lo, s12
	s_delay_alu instid0(SALU_CYCLE_1)
	s_and_b32 s3, s3, exec_lo
	s_or_saveexec_b32 s11, s11
	v_mov_b32_e32 v11, s10
	s_xor_b32 exec_lo, exec_lo, s11
	s_cbranch_execnz .LBB257_1383
.LBB257_1363:
	s_or_b32 exec_lo, exec_lo, s11
	s_and_saveexec_b32 s10, s3
	s_cbranch_execz .LBB257_1365
.LBB257_1364:
	v_and_b32_e32 v10, 0xffff, v8
	v_lshlrev_b32_e32 v8, 24, v8
	s_delay_alu instid0(VALU_DEP_2) | instskip(NEXT) | instid1(VALU_DEP_2)
	v_and_b32_e32 v11, 3, v10
	v_and_b32_e32 v8, 0x80000000, v8
	s_delay_alu instid0(VALU_DEP_2) | instskip(NEXT) | instid1(VALU_DEP_1)
	v_clz_i32_u32_e32 v13, v11
	v_min_u32_e32 v13, 32, v13
	s_delay_alu instid0(VALU_DEP_1) | instskip(SKIP_1) | instid1(VALU_DEP_2)
	v_subrev_nc_u32_e32 v14, 29, v13
	v_sub_nc_u32_e32 v13, 30, v13
	v_lshlrev_b32_e32 v14, v14, v10
	v_bfe_u32 v10, v10, 2, 5
	s_delay_alu instid0(VALU_DEP_2) | instskip(NEXT) | instid1(VALU_DEP_2)
	v_and_b32_e32 v14, 3, v14
	v_cmp_eq_u32_e32 vcc_lo, 0, v10
	s_delay_alu instid0(VALU_DEP_2) | instskip(NEXT) | instid1(VALU_DEP_1)
	v_dual_cndmask_b32 v10, v10, v13 :: v_dual_cndmask_b32 v11, v11, v14
	v_lshl_add_u32 v10, v10, 23, 0x37800000
	s_delay_alu instid0(VALU_DEP_2) | instskip(NEXT) | instid1(VALU_DEP_1)
	v_lshlrev_b32_e32 v11, 21, v11
	v_or3_b32 v11, v8, v10, v11
.LBB257_1365:
	s_or_b32 exec_lo, exec_lo, s10
	s_mov_b32 s3, 0
	s_branch .LBB257_1371
.LBB257_1366:
	s_mov_b32 s3, -1
                                        ; implicit-def: $vgpr11
	s_branch .LBB257_1377
.LBB257_1367:
	s_or_saveexec_b32 s12, s12
	v_mov_b32_e32 v11, s11
	s_xor_b32 exec_lo, exec_lo, s12
	s_cbranch_execz .LBB257_1351
.LBB257_1368:
	v_cmp_ne_u16_e32 vcc_lo, 0, v8
	v_mov_b32_e32 v11, 0
	s_and_not1_b32 s10, s10, exec_lo
	s_and_b32 s11, vcc_lo, exec_lo
	s_delay_alu instid0(SALU_CYCLE_1)
	s_or_b32 s10, s10, s11
	s_or_b32 exec_lo, exec_lo, s12
	s_and_saveexec_b32 s11, s10
	s_cbranch_execnz .LBB257_1352
	s_branch .LBB257_1353
.LBB257_1369:
	s_mov_b32 s3, -1
                                        ; implicit-def: $vgpr11
	s_branch .LBB257_1374
.LBB257_1370:
	s_mov_b32 s3, -1
                                        ; implicit-def: $vgpr11
.LBB257_1371:
	s_delay_alu instid0(SALU_CYCLE_1)
	s_and_b32 vcc_lo, exec_lo, s3
	s_cbranch_vccz .LBB257_1373
; %bb.1372:
	global_load_u8 v8, v[6:7], off
	s_waitcnt vmcnt(0)
	v_lshlrev_b32_e32 v8, 24, v8
	s_delay_alu instid0(VALU_DEP_1) | instskip(NEXT) | instid1(VALU_DEP_1)
	v_and_b32_e32 v10, 0x7f000000, v8
	v_clz_i32_u32_e32 v11, v10
	v_cmp_ne_u32_e32 vcc_lo, 0, v10
	v_add_nc_u32_e32 v14, 0x1000000, v10
	s_delay_alu instid0(VALU_DEP_3) | instskip(NEXT) | instid1(VALU_DEP_1)
	v_min_u32_e32 v11, 32, v11
	v_sub_nc_u32_e64 v11, v11, 4 clamp
	s_delay_alu instid0(VALU_DEP_1) | instskip(SKIP_1) | instid1(VALU_DEP_2)
	v_lshlrev_b32_e32 v13, v11, v10
	v_lshlrev_b32_e32 v11, 23, v11
	v_lshrrev_b32_e32 v13, 4, v13
	s_delay_alu instid0(VALU_DEP_1) | instskip(SKIP_1) | instid1(VALU_DEP_2)
	v_sub_nc_u32_e32 v11, v13, v11
	v_ashrrev_i32_e32 v13, 8, v14
	v_add_nc_u32_e32 v11, 0x3c000000, v11
	s_delay_alu instid0(VALU_DEP_1) | instskip(NEXT) | instid1(VALU_DEP_1)
	v_and_or_b32 v11, 0x7f800000, v13, v11
	v_cndmask_b32_e32 v10, 0, v11, vcc_lo
	s_delay_alu instid0(VALU_DEP_1)
	v_and_or_b32 v11, 0x80000000, v8, v10
.LBB257_1373:
	s_mov_b32 s3, 0
.LBB257_1374:
	s_delay_alu instid0(SALU_CYCLE_1)
	s_and_not1_b32 vcc_lo, exec_lo, s3
	s_cbranch_vccnz .LBB257_1376
; %bb.1375:
	global_load_u8 v8, v[6:7], off
	s_waitcnt vmcnt(0)
	v_lshlrev_b32_e32 v10, 25, v8
	v_lshlrev_b16 v8, 8, v8
	s_delay_alu instid0(VALU_DEP_1) | instskip(SKIP_1) | instid1(VALU_DEP_2)
	v_and_or_b32 v13, 0x7f00, v8, 0.5
	v_bfe_i32 v8, v8, 0, 16
	v_add_f32_e32 v13, -0.5, v13
	v_lshrrev_b32_e32 v11, 4, v10
	v_cmp_gt_u32_e32 vcc_lo, 0x8000000, v10
	s_delay_alu instid0(VALU_DEP_2) | instskip(NEXT) | instid1(VALU_DEP_1)
	v_or_b32_e32 v11, 0x70000000, v11
	v_mul_f32_e32 v11, 0x7800000, v11
	s_delay_alu instid0(VALU_DEP_1) | instskip(NEXT) | instid1(VALU_DEP_1)
	v_cndmask_b32_e32 v10, v11, v13, vcc_lo
	v_and_or_b32 v11, 0x80000000, v8, v10
.LBB257_1376:
	s_mov_b32 s3, 0
	s_mov_b32 s10, -1
.LBB257_1377:
	s_and_not1_b32 vcc_lo, exec_lo, s3
	s_mov_b32 s3, 0
	s_cbranch_vccnz .LBB257_1388
; %bb.1378:
	v_cmp_lt_i16_e32 vcc_lo, 14, v9
	s_cbranch_vccz .LBB257_1381
; %bb.1379:
	v_cmp_eq_u16_e32 vcc_lo, 15, v9
	s_cbranch_vccz .LBB257_1384
; %bb.1380:
	global_load_u16 v8, v[6:7], off
	s_mov_b32 s0, 0
	s_mov_b32 s10, -1
	s_waitcnt vmcnt(0)
	v_lshlrev_b32_e32 v11, 16, v8
	s_branch .LBB257_1386
.LBB257_1381:
	s_mov_b32 s3, -1
	s_branch .LBB257_1385
.LBB257_1382:
	s_or_saveexec_b32 s11, s11
	v_mov_b32_e32 v11, s10
	s_xor_b32 exec_lo, exec_lo, s11
	s_cbranch_execz .LBB257_1363
.LBB257_1383:
	v_cmp_ne_u16_e32 vcc_lo, 0, v8
	v_mov_b32_e32 v11, 0
	s_and_not1_b32 s3, s3, exec_lo
	s_and_b32 s10, vcc_lo, exec_lo
	s_delay_alu instid0(SALU_CYCLE_1)
	s_or_b32 s3, s3, s10
	s_or_b32 exec_lo, exec_lo, s11
	s_and_saveexec_b32 s10, s3
	s_cbranch_execnz .LBB257_1364
	s_branch .LBB257_1365
.LBB257_1384:
	s_mov_b32 s0, -1
.LBB257_1385:
                                        ; implicit-def: $vgpr11
.LBB257_1386:
	s_and_b32 vcc_lo, exec_lo, s3
	s_mov_b32 s3, 0
	s_cbranch_vccz .LBB257_1388
; %bb.1387:
	v_cmp_ne_u16_e64 s0, 11, v9
	s_mov_b32 s3, -1
                                        ; implicit-def: $vgpr11
.LBB257_1388:
	s_delay_alu instid0(VALU_DEP_1)
	s_and_b32 vcc_lo, exec_lo, s0
	s_cbranch_vccnz .LBB257_1412
; %bb.1389:
	s_and_not1_b32 vcc_lo, exec_lo, s3
	s_cbranch_vccnz .LBB257_1391
.LBB257_1390:
	global_load_u8 v8, v[6:7], off
	s_mov_b32 s10, -1
	s_waitcnt vmcnt(0)
	v_cmp_ne_u16_e32 vcc_lo, 0, v8
	v_cndmask_b32_e64 v11, 0, 1.0, vcc_lo
.LBB257_1391:
.LBB257_1392:
	s_and_not1_b32 vcc_lo, exec_lo, s10
	s_cbranch_vccnz .LBB257_2090
.LBB257_1393:
	v_cmp_gt_i16_e32 vcc_lo, 11, v9
	v_add_co_u32 v5, s0, s6, v5
	s_delay_alu instid0(VALU_DEP_1)
	v_add_co_ci_u32_e64 v6, null, s7, 0, s0
	s_mov_b32 s10, 0
	s_cbranch_vccnz .LBB257_1400
; %bb.1394:
	v_cmp_lt_i16_e32 vcc_lo, 25, v9
	s_mov_b32 s3, 0
	s_cbranch_vccz .LBB257_1406
; %bb.1395:
	v_cmp_lt_i16_e32 vcc_lo, 28, v9
	s_cbranch_vccz .LBB257_1408
; %bb.1396:
	v_cmp_lt_i16_e32 vcc_lo, 43, v9
	;; [unrolled: 3-line block ×3, first 2 shown]
	s_cbranch_vccz .LBB257_1414
; %bb.1398:
	v_cmp_eq_u16_e32 vcc_lo, 46, v9
	s_mov_b32 s11, 0
	s_cbranch_vccz .LBB257_1457
; %bb.1399:
	global_load_b32 v7, v[5:6], off
	s_mov_b32 s0, 0
	s_mov_b32 s10, -1
	s_waitcnt vmcnt(0)
	v_lshlrev_b32_e32 v10, 16, v7
	s_branch .LBB257_1459
.LBB257_1400:
                                        ; implicit-def: $vgpr10
	s_cbranch_execz .LBB257_1525
; %bb.1401:
	v_cmp_gt_i16_e32 vcc_lo, 5, v9
	s_cbranch_vccnz .LBB257_1407
; %bb.1402:
	v_cmp_gt_i16_e32 vcc_lo, 8, v9
	s_cbranch_vccnz .LBB257_1409
	;; [unrolled: 3-line block ×3, first 2 shown]
; %bb.1404:
	v_cmp_lt_i16_e32 vcc_lo, 9, v9
	s_cbranch_vccz .LBB257_1415
; %bb.1405:
	global_load_b64 v[7:8], v[5:6], off
	s_mov_b32 s0, 0
	s_waitcnt vmcnt(0)
	v_cvt_f32_f64_e32 v10, v[7:8]
	s_branch .LBB257_1416
.LBB257_1406:
	s_mov_b32 s11, -1
	s_mov_b32 s0, 0
                                        ; implicit-def: $vgpr10
	s_branch .LBB257_1488
.LBB257_1407:
	s_mov_b32 s0, -1
                                        ; implicit-def: $vgpr10
	s_branch .LBB257_1434
.LBB257_1408:
	s_mov_b32 s11, -1
	s_mov_b32 s0, 0
                                        ; implicit-def: $vgpr10
	s_branch .LBB257_1469
.LBB257_1409:
	s_mov_b32 s0, -1
                                        ; implicit-def: $vgpr10
	s_branch .LBB257_1422
.LBB257_1410:
	s_mov_b32 s11, -1
	s_mov_b32 s0, 0
                                        ; implicit-def: $vgpr10
	s_branch .LBB257_1464
.LBB257_1411:
	s_mov_b32 s0, -1
                                        ; implicit-def: $vgpr10
	s_branch .LBB257_1419
.LBB257_1412:
	s_cbranch_execnz .LBB257_1455
; %bb.1413:
	s_or_b32 s1, s1, exec_lo
                                        ; implicit-def: $vgpr11
	s_cbranch_execz .LBB257_1390
	s_branch .LBB257_1391
.LBB257_1414:
	s_mov_b32 s11, -1
	s_mov_b32 s0, 0
	s_branch .LBB257_1458
.LBB257_1415:
	s_mov_b32 s0, -1
                                        ; implicit-def: $vgpr10
.LBB257_1416:
	s_delay_alu instid0(SALU_CYCLE_1)
	s_and_not1_b32 vcc_lo, exec_lo, s0
	s_cbranch_vccnz .LBB257_1418
; %bb.1417:
	global_load_b32 v10, v[5:6], off
.LBB257_1418:
	s_mov_b32 s0, 0
.LBB257_1419:
	s_delay_alu instid0(SALU_CYCLE_1)
	s_and_not1_b32 vcc_lo, exec_lo, s0
	s_cbranch_vccnz .LBB257_1421
; %bb.1420:
	global_load_b32 v7, v[5:6], off
	s_waitcnt vmcnt(0)
	v_cvt_f32_f16_e32 v10, v7
.LBB257_1421:
	s_mov_b32 s0, 0
.LBB257_1422:
	s_delay_alu instid0(SALU_CYCLE_1)
	s_and_not1_b32 vcc_lo, exec_lo, s0
	s_cbranch_vccnz .LBB257_1433
; %bb.1423:
	v_cmp_gt_i16_e32 vcc_lo, 6, v9
	s_cbranch_vccnz .LBB257_1426
; %bb.1424:
	v_cmp_lt_i16_e32 vcc_lo, 6, v9
	s_cbranch_vccz .LBB257_1427
; %bb.1425:
	global_load_b64 v[7:8], v[5:6], off
	s_mov_b32 s0, 0
	s_waitcnt vmcnt(0)
	v_cvt_f32_f64_e32 v10, v[7:8]
	s_branch .LBB257_1428
.LBB257_1426:
	s_mov_b32 s0, -1
                                        ; implicit-def: $vgpr10
	s_branch .LBB257_1431
.LBB257_1427:
	s_mov_b32 s0, -1
                                        ; implicit-def: $vgpr10
.LBB257_1428:
	s_delay_alu instid0(SALU_CYCLE_1)
	s_and_not1_b32 vcc_lo, exec_lo, s0
	s_cbranch_vccnz .LBB257_1430
; %bb.1429:
	global_load_b32 v10, v[5:6], off
.LBB257_1430:
	s_mov_b32 s0, 0
.LBB257_1431:
	s_delay_alu instid0(SALU_CYCLE_1)
	s_and_not1_b32 vcc_lo, exec_lo, s0
	s_cbranch_vccnz .LBB257_1433
; %bb.1432:
	global_load_u16 v7, v[5:6], off
	s_waitcnt vmcnt(0)
	v_cvt_f32_f16_e32 v10, v7
.LBB257_1433:
	s_mov_b32 s0, 0
.LBB257_1434:
	s_delay_alu instid0(SALU_CYCLE_1)
	s_and_not1_b32 vcc_lo, exec_lo, s0
	s_cbranch_vccnz .LBB257_1454
; %bb.1435:
	v_cmp_gt_i16_e32 vcc_lo, 2, v9
	s_cbranch_vccnz .LBB257_1439
; %bb.1436:
	v_cmp_gt_i16_e32 vcc_lo, 3, v9
	s_cbranch_vccnz .LBB257_1440
; %bb.1437:
	v_cmp_lt_i16_e32 vcc_lo, 3, v9
	s_cbranch_vccz .LBB257_1441
; %bb.1438:
	global_load_b64 v[7:8], v[5:6], off
	s_mov_b32 s0, 0
	s_waitcnt vmcnt(0)
	v_xor_b32_e32 v10, v7, v8
	v_cls_i32_e32 v13, v8
	s_delay_alu instid0(VALU_DEP_2) | instskip(NEXT) | instid1(VALU_DEP_2)
	v_ashrrev_i32_e32 v10, 31, v10
	v_add_nc_u32_e32 v13, -1, v13
	s_delay_alu instid0(VALU_DEP_2) | instskip(NEXT) | instid1(VALU_DEP_1)
	v_add_nc_u32_e32 v10, 32, v10
	v_min_u32_e32 v10, v13, v10
	s_delay_alu instid0(VALU_DEP_1) | instskip(NEXT) | instid1(VALU_DEP_1)
	v_lshlrev_b64 v[7:8], v10, v[7:8]
	v_min_u32_e32 v7, 1, v7
	s_delay_alu instid0(VALU_DEP_1) | instskip(SKIP_1) | instid1(VALU_DEP_2)
	v_or_b32_e32 v7, v8, v7
	v_sub_nc_u32_e32 v8, 32, v10
	v_cvt_f32_i32_e32 v7, v7
	s_delay_alu instid0(VALU_DEP_1)
	v_ldexp_f32 v10, v7, v8
	s_branch .LBB257_1442
.LBB257_1439:
	s_mov_b32 s0, -1
                                        ; implicit-def: $vgpr10
	s_branch .LBB257_1448
.LBB257_1440:
	s_mov_b32 s0, -1
                                        ; implicit-def: $vgpr10
	s_branch .LBB257_1445
.LBB257_1441:
	s_mov_b32 s0, -1
                                        ; implicit-def: $vgpr10
.LBB257_1442:
	s_delay_alu instid0(SALU_CYCLE_1)
	s_and_not1_b32 vcc_lo, exec_lo, s0
	s_cbranch_vccnz .LBB257_1444
; %bb.1443:
	global_load_b32 v7, v[5:6], off
	s_waitcnt vmcnt(0)
	v_cvt_f32_i32_e32 v10, v7
.LBB257_1444:
	s_mov_b32 s0, 0
.LBB257_1445:
	s_delay_alu instid0(SALU_CYCLE_1)
	s_and_not1_b32 vcc_lo, exec_lo, s0
	s_cbranch_vccnz .LBB257_1447
; %bb.1446:
	global_load_i16 v7, v[5:6], off
	s_waitcnt vmcnt(0)
	v_cvt_f32_i32_e32 v10, v7
.LBB257_1447:
	s_mov_b32 s0, 0
.LBB257_1448:
	s_delay_alu instid0(SALU_CYCLE_1)
	s_and_not1_b32 vcc_lo, exec_lo, s0
	s_cbranch_vccnz .LBB257_1454
; %bb.1449:
	v_cmp_lt_i16_e32 vcc_lo, 0, v9
	s_mov_b32 s0, 0
	s_cbranch_vccz .LBB257_1451
; %bb.1450:
	global_load_i8 v7, v[5:6], off
	s_waitcnt vmcnt(0)
	v_cvt_f32_i32_e32 v10, v7
	s_branch .LBB257_1452
.LBB257_1451:
	s_mov_b32 s0, -1
                                        ; implicit-def: $vgpr10
.LBB257_1452:
	s_delay_alu instid0(SALU_CYCLE_1)
	s_and_not1_b32 vcc_lo, exec_lo, s0
	s_cbranch_vccnz .LBB257_1454
; %bb.1453:
	global_load_u8 v5, v[5:6], off
	s_waitcnt vmcnt(0)
	v_cvt_f32_ubyte0_e32 v10, v5
.LBB257_1454:
	s_branch .LBB257_1526
.LBB257_1455:
	s_trap 2
	s_sendmsg_rtn_b32 s0, sendmsg(MSG_RTN_GET_DOORBELL)
	s_mov_b32 ttmp2, m0
	s_waitcnt lgkmcnt(0)
	s_and_b32 s0, s0, 0x3ff
	s_delay_alu instid0(SALU_CYCLE_1) | instskip(NEXT) | instid1(SALU_CYCLE_1)
	s_bitset1_b32 s0, 10
	s_mov_b32 m0, s0
	s_sendmsg sendmsg(MSG_INTERRUPT)
	s_mov_b32 m0, ttmp2
.LBB257_1456:                           ; =>This Inner Loop Header: Depth=1
	s_sethalt 5
	s_branch .LBB257_1456
.LBB257_1457:
	s_mov_b32 s0, -1
.LBB257_1458:
                                        ; implicit-def: $vgpr10
.LBB257_1459:
	s_and_b32 vcc_lo, exec_lo, s11
	s_cbranch_vccz .LBB257_1463
; %bb.1460:
	v_cmp_eq_u16_e32 vcc_lo, 44, v9
	s_cbranch_vccz .LBB257_1462
; %bb.1461:
	global_load_u8 v7, v[5:6], off
	s_mov_b32 s0, 0
	s_mov_b32 s10, -1
	s_waitcnt vmcnt(0)
	v_lshlrev_b32_e32 v8, 23, v7
	v_cmp_ne_u32_e32 vcc_lo, 0xff, v7
	s_delay_alu instid0(VALU_DEP_2) | instskip(SKIP_1) | instid1(VALU_DEP_2)
	v_cndmask_b32_e32 v8, 0x7f800001, v8, vcc_lo
	v_cmp_ne_u32_e32 vcc_lo, 0, v7
	v_cndmask_b32_e32 v10, 0x400000, v8, vcc_lo
	s_branch .LBB257_1463
.LBB257_1462:
	s_mov_b32 s0, -1
                                        ; implicit-def: $vgpr10
.LBB257_1463:
	s_mov_b32 s11, 0
.LBB257_1464:
	s_delay_alu instid0(SALU_CYCLE_1)
	s_and_b32 vcc_lo, exec_lo, s11
	s_cbranch_vccz .LBB257_1468
; %bb.1465:
	v_cmp_eq_u16_e32 vcc_lo, 29, v9
	s_cbranch_vccz .LBB257_1467
; %bb.1466:
	global_load_b64 v[7:8], v[5:6], off
	s_mov_b32 s0, 0
	s_mov_b32 s10, -1
	s_mov_b32 s11, 0
	s_waitcnt vmcnt(0)
	v_clz_i32_u32_e32 v10, v8
	s_delay_alu instid0(VALU_DEP_1) | instskip(NEXT) | instid1(VALU_DEP_1)
	v_min_u32_e32 v10, 32, v10
	v_lshlrev_b64 v[7:8], v10, v[7:8]
	s_delay_alu instid0(VALU_DEP_1) | instskip(NEXT) | instid1(VALU_DEP_1)
	v_min_u32_e32 v7, 1, v7
	v_or_b32_e32 v7, v8, v7
	v_sub_nc_u32_e32 v8, 32, v10
	s_delay_alu instid0(VALU_DEP_2) | instskip(NEXT) | instid1(VALU_DEP_1)
	v_cvt_f32_u32_e32 v7, v7
	v_ldexp_f32 v10, v7, v8
	s_branch .LBB257_1469
.LBB257_1467:
	s_mov_b32 s0, -1
                                        ; implicit-def: $vgpr10
.LBB257_1468:
	s_mov_b32 s11, 0
.LBB257_1469:
	s_delay_alu instid0(SALU_CYCLE_1)
	s_and_b32 vcc_lo, exec_lo, s11
	s_cbranch_vccz .LBB257_1487
; %bb.1470:
	v_cmp_gt_i16_e32 vcc_lo, 27, v9
	s_cbranch_vccnz .LBB257_1473
; %bb.1471:
	v_cmp_lt_i16_e32 vcc_lo, 27, v9
	s_cbranch_vccz .LBB257_1474
; %bb.1472:
	global_load_b32 v7, v[5:6], off
	s_mov_b32 s10, 0
	s_waitcnt vmcnt(0)
	v_cvt_f32_u32_e32 v10, v7
	s_branch .LBB257_1475
.LBB257_1473:
	s_mov_b32 s10, -1
                                        ; implicit-def: $vgpr10
	s_branch .LBB257_1478
.LBB257_1474:
	s_mov_b32 s10, -1
                                        ; implicit-def: $vgpr10
.LBB257_1475:
	s_delay_alu instid0(SALU_CYCLE_1)
	s_and_not1_b32 vcc_lo, exec_lo, s10
	s_cbranch_vccnz .LBB257_1477
; %bb.1476:
	global_load_u16 v7, v[5:6], off
	s_waitcnt vmcnt(0)
	v_cvt_f32_u32_e32 v10, v7
.LBB257_1477:
	s_mov_b32 s10, 0
.LBB257_1478:
	s_delay_alu instid0(SALU_CYCLE_1)
	s_and_not1_b32 vcc_lo, exec_lo, s10
	s_cbranch_vccnz .LBB257_1486
; %bb.1479:
	global_load_u8 v7, v[5:6], off
	s_mov_b32 s10, 0
	s_mov_b32 s12, exec_lo
                                        ; implicit-def: $sgpr11
	s_waitcnt vmcnt(0)
	v_cmpx_lt_i16_e32 0x7f, v7
	s_xor_b32 s12, exec_lo, s12
	s_cbranch_execz .LBB257_1500
; %bb.1480:
	s_mov_b32 s10, -1
	s_mov_b32 s13, exec_lo
                                        ; implicit-def: $sgpr11
	v_cmpx_eq_u16_e32 0x80, v7
; %bb.1481:
	s_mov_b32 s11, 0x7f800001
	s_xor_b32 s10, exec_lo, -1
; %bb.1482:
	s_or_b32 exec_lo, exec_lo, s13
	s_delay_alu instid0(SALU_CYCLE_1)
	s_and_b32 s10, s10, exec_lo
	s_or_saveexec_b32 s12, s12
	v_mov_b32_e32 v10, s11
	s_xor_b32 exec_lo, exec_lo, s12
	s_cbranch_execnz .LBB257_1501
.LBB257_1483:
	s_or_b32 exec_lo, exec_lo, s12
	s_and_saveexec_b32 s11, s10
	s_cbranch_execz .LBB257_1485
.LBB257_1484:
	v_and_b32_e32 v8, 0xffff, v7
	s_delay_alu instid0(VALU_DEP_1) | instskip(NEXT) | instid1(VALU_DEP_1)
	v_and_b32_e32 v10, 7, v8
	v_clz_i32_u32_e32 v13, v10
	s_delay_alu instid0(VALU_DEP_1) | instskip(NEXT) | instid1(VALU_DEP_1)
	v_min_u32_e32 v13, 32, v13
	v_subrev_nc_u32_e32 v14, 28, v13
	v_sub_nc_u32_e32 v13, 29, v13
	s_delay_alu instid0(VALU_DEP_2) | instskip(SKIP_1) | instid1(VALU_DEP_2)
	v_lshlrev_b32_e32 v14, v14, v8
	v_bfe_u32 v8, v8, 3, 4
	v_and_b32_e32 v14, 7, v14
	s_delay_alu instid0(VALU_DEP_2) | instskip(SKIP_1) | instid1(VALU_DEP_1)
	v_cmp_eq_u32_e32 vcc_lo, 0, v8
	v_dual_cndmask_b32 v8, v8, v13 :: v_dual_lshlrev_b32 v7, 24, v7
	v_dual_cndmask_b32 v10, v10, v14 :: v_dual_and_b32 v7, 0x80000000, v7
	s_delay_alu instid0(VALU_DEP_2) | instskip(NEXT) | instid1(VALU_DEP_2)
	v_lshl_add_u32 v8, v8, 23, 0x3b800000
	v_lshlrev_b32_e32 v10, 20, v10
	s_delay_alu instid0(VALU_DEP_1)
	v_or3_b32 v10, v7, v8, v10
.LBB257_1485:
	s_or_b32 exec_lo, exec_lo, s11
.LBB257_1486:
	s_mov_b32 s10, -1
.LBB257_1487:
	s_mov_b32 s11, 0
.LBB257_1488:
	s_delay_alu instid0(SALU_CYCLE_1)
	s_and_b32 vcc_lo, exec_lo, s11
	s_cbranch_vccz .LBB257_1521
; %bb.1489:
	v_cmp_lt_i16_e32 vcc_lo, 22, v9
	s_cbranch_vccz .LBB257_1499
; %bb.1490:
	v_cmp_gt_i16_e32 vcc_lo, 24, v9
	s_cbranch_vccnz .LBB257_1502
; %bb.1491:
	v_cmp_lt_i16_e32 vcc_lo, 24, v9
	s_cbranch_vccz .LBB257_1503
; %bb.1492:
	global_load_u8 v7, v[5:6], off
	s_mov_b32 s11, exec_lo
                                        ; implicit-def: $sgpr10
	s_waitcnt vmcnt(0)
	v_cmpx_lt_i16_e32 0x7f, v7
	s_xor_b32 s11, exec_lo, s11
	s_cbranch_execz .LBB257_1515
; %bb.1493:
	s_mov_b32 s3, -1
	s_mov_b32 s12, exec_lo
                                        ; implicit-def: $sgpr10
	v_cmpx_eq_u16_e32 0x80, v7
; %bb.1494:
	s_mov_b32 s10, 0x7f800001
	s_xor_b32 s3, exec_lo, -1
; %bb.1495:
	s_or_b32 exec_lo, exec_lo, s12
	s_delay_alu instid0(SALU_CYCLE_1)
	s_and_b32 s3, s3, exec_lo
	s_or_saveexec_b32 s11, s11
	v_mov_b32_e32 v10, s10
	s_xor_b32 exec_lo, exec_lo, s11
	s_cbranch_execnz .LBB257_1516
.LBB257_1496:
	s_or_b32 exec_lo, exec_lo, s11
	s_and_saveexec_b32 s10, s3
	s_cbranch_execz .LBB257_1498
.LBB257_1497:
	v_and_b32_e32 v8, 0xffff, v7
	s_delay_alu instid0(VALU_DEP_1) | instskip(NEXT) | instid1(VALU_DEP_1)
	v_and_b32_e32 v10, 3, v8
	v_clz_i32_u32_e32 v13, v10
	s_delay_alu instid0(VALU_DEP_1) | instskip(NEXT) | instid1(VALU_DEP_1)
	v_min_u32_e32 v13, 32, v13
	v_subrev_nc_u32_e32 v14, 29, v13
	v_sub_nc_u32_e32 v13, 30, v13
	s_delay_alu instid0(VALU_DEP_2) | instskip(SKIP_1) | instid1(VALU_DEP_2)
	v_lshlrev_b32_e32 v14, v14, v8
	v_bfe_u32 v8, v8, 2, 5
	v_and_b32_e32 v14, 3, v14
	s_delay_alu instid0(VALU_DEP_2) | instskip(SKIP_1) | instid1(VALU_DEP_1)
	v_cmp_eq_u32_e32 vcc_lo, 0, v8
	v_dual_cndmask_b32 v8, v8, v13 :: v_dual_lshlrev_b32 v7, 24, v7
	v_dual_cndmask_b32 v10, v10, v14 :: v_dual_and_b32 v7, 0x80000000, v7
	s_delay_alu instid0(VALU_DEP_2) | instskip(NEXT) | instid1(VALU_DEP_2)
	v_lshl_add_u32 v8, v8, 23, 0x37800000
	v_lshlrev_b32_e32 v10, 21, v10
	s_delay_alu instid0(VALU_DEP_1)
	v_or3_b32 v10, v7, v8, v10
.LBB257_1498:
	s_or_b32 exec_lo, exec_lo, s10
	s_mov_b32 s3, 0
	s_branch .LBB257_1504
.LBB257_1499:
	s_mov_b32 s3, -1
                                        ; implicit-def: $vgpr10
	s_branch .LBB257_1510
.LBB257_1500:
	s_or_saveexec_b32 s12, s12
	v_mov_b32_e32 v10, s11
	s_xor_b32 exec_lo, exec_lo, s12
	s_cbranch_execz .LBB257_1483
.LBB257_1501:
	v_cmp_ne_u16_e32 vcc_lo, 0, v7
	v_mov_b32_e32 v10, 0
	s_and_not1_b32 s10, s10, exec_lo
	s_and_b32 s11, vcc_lo, exec_lo
	s_delay_alu instid0(SALU_CYCLE_1)
	s_or_b32 s10, s10, s11
	s_or_b32 exec_lo, exec_lo, s12
	s_and_saveexec_b32 s11, s10
	s_cbranch_execnz .LBB257_1484
	s_branch .LBB257_1485
.LBB257_1502:
	s_mov_b32 s3, -1
                                        ; implicit-def: $vgpr10
	s_branch .LBB257_1507
.LBB257_1503:
	s_mov_b32 s3, -1
                                        ; implicit-def: $vgpr10
.LBB257_1504:
	s_delay_alu instid0(SALU_CYCLE_1)
	s_and_b32 vcc_lo, exec_lo, s3
	s_cbranch_vccz .LBB257_1506
; %bb.1505:
	global_load_u8 v7, v[5:6], off
	s_waitcnt vmcnt(0)
	v_lshlrev_b32_e32 v7, 24, v7
	s_delay_alu instid0(VALU_DEP_1) | instskip(NEXT) | instid1(VALU_DEP_1)
	v_and_b32_e32 v8, 0x7f000000, v7
	v_clz_i32_u32_e32 v10, v8
	v_add_nc_u32_e32 v14, 0x1000000, v8
	v_cmp_ne_u32_e32 vcc_lo, 0, v8
	s_delay_alu instid0(VALU_DEP_3) | instskip(NEXT) | instid1(VALU_DEP_1)
	v_min_u32_e32 v10, 32, v10
	v_sub_nc_u32_e64 v10, v10, 4 clamp
	s_delay_alu instid0(VALU_DEP_1) | instskip(SKIP_1) | instid1(VALU_DEP_2)
	v_lshlrev_b32_e32 v13, v10, v8
	v_lshlrev_b32_e32 v10, 23, v10
	v_lshrrev_b32_e32 v13, 4, v13
	s_delay_alu instid0(VALU_DEP_1) | instskip(SKIP_1) | instid1(VALU_DEP_2)
	v_sub_nc_u32_e32 v10, v13, v10
	v_ashrrev_i32_e32 v13, 8, v14
	v_add_nc_u32_e32 v10, 0x3c000000, v10
	s_delay_alu instid0(VALU_DEP_1) | instskip(NEXT) | instid1(VALU_DEP_1)
	v_and_or_b32 v10, 0x7f800000, v13, v10
	v_cndmask_b32_e32 v8, 0, v10, vcc_lo
	s_delay_alu instid0(VALU_DEP_1)
	v_and_or_b32 v10, 0x80000000, v7, v8
.LBB257_1506:
	s_mov_b32 s3, 0
.LBB257_1507:
	s_delay_alu instid0(SALU_CYCLE_1)
	s_and_not1_b32 vcc_lo, exec_lo, s3
	s_cbranch_vccnz .LBB257_1509
; %bb.1508:
	global_load_u8 v7, v[5:6], off
	s_waitcnt vmcnt(0)
	v_lshlrev_b32_e32 v8, 25, v7
	v_lshlrev_b16 v7, 8, v7
	s_delay_alu instid0(VALU_DEP_1) | instskip(SKIP_1) | instid1(VALU_DEP_2)
	v_and_or_b32 v13, 0x7f00, v7, 0.5
	v_bfe_i32 v7, v7, 0, 16
	v_add_f32_e32 v13, -0.5, v13
	v_lshrrev_b32_e32 v10, 4, v8
	v_cmp_gt_u32_e32 vcc_lo, 0x8000000, v8
	s_delay_alu instid0(VALU_DEP_2) | instskip(NEXT) | instid1(VALU_DEP_1)
	v_or_b32_e32 v10, 0x70000000, v10
	v_mul_f32_e32 v10, 0x7800000, v10
	s_delay_alu instid0(VALU_DEP_1) | instskip(NEXT) | instid1(VALU_DEP_1)
	v_cndmask_b32_e32 v8, v10, v13, vcc_lo
	v_and_or_b32 v10, 0x80000000, v7, v8
.LBB257_1509:
	s_mov_b32 s3, 0
	s_mov_b32 s10, -1
.LBB257_1510:
	s_and_not1_b32 vcc_lo, exec_lo, s3
	s_mov_b32 s3, 0
	s_cbranch_vccnz .LBB257_1521
; %bb.1511:
	v_cmp_lt_i16_e32 vcc_lo, 14, v9
	s_cbranch_vccz .LBB257_1514
; %bb.1512:
	v_cmp_eq_u16_e32 vcc_lo, 15, v9
	s_cbranch_vccz .LBB257_1517
; %bb.1513:
	global_load_u16 v7, v[5:6], off
	s_mov_b32 s0, 0
	s_mov_b32 s10, -1
	s_waitcnt vmcnt(0)
	v_lshlrev_b32_e32 v10, 16, v7
	s_branch .LBB257_1519
.LBB257_1514:
	s_mov_b32 s3, -1
	s_branch .LBB257_1518
.LBB257_1515:
	s_or_saveexec_b32 s11, s11
	v_mov_b32_e32 v10, s10
	s_xor_b32 exec_lo, exec_lo, s11
	s_cbranch_execz .LBB257_1496
.LBB257_1516:
	v_cmp_ne_u16_e32 vcc_lo, 0, v7
	v_mov_b32_e32 v10, 0
	s_and_not1_b32 s3, s3, exec_lo
	s_and_b32 s10, vcc_lo, exec_lo
	s_delay_alu instid0(SALU_CYCLE_1)
	s_or_b32 s3, s3, s10
	s_or_b32 exec_lo, exec_lo, s11
	s_and_saveexec_b32 s10, s3
	s_cbranch_execnz .LBB257_1497
	s_branch .LBB257_1498
.LBB257_1517:
	s_mov_b32 s0, -1
.LBB257_1518:
                                        ; implicit-def: $vgpr10
.LBB257_1519:
	s_and_b32 vcc_lo, exec_lo, s3
	s_mov_b32 s3, 0
	s_cbranch_vccz .LBB257_1521
; %bb.1520:
	v_cmp_ne_u16_e64 s0, 11, v9
	s_mov_b32 s3, -1
                                        ; implicit-def: $vgpr10
.LBB257_1521:
	s_delay_alu instid0(VALU_DEP_1)
	s_and_b32 vcc_lo, exec_lo, s0
	s_cbranch_vccnz .LBB257_1537
; %bb.1522:
	s_and_not1_b32 vcc_lo, exec_lo, s3
	s_cbranch_vccnz .LBB257_1524
.LBB257_1523:
	global_load_u8 v7, v[5:6], off
	s_mov_b32 s10, -1
	s_waitcnt vmcnt(0)
	v_cmp_ne_u16_e32 vcc_lo, 0, v7
	v_cndmask_b32_e64 v10, 0, 1.0, vcc_lo
.LBB257_1524:
.LBB257_1525:
	s_and_not1_b32 vcc_lo, exec_lo, s10
	s_cbranch_vccnz .LBB257_2090
.LBB257_1526:
	v_cmp_gt_i16_e32 vcc_lo, 11, v9
	v_add_co_u32 v4, s0, s6, v4
	s_delay_alu instid0(VALU_DEP_1)
	v_add_co_ci_u32_e64 v5, null, s7, 0, s0
	s_mov_b32 s6, 0
	s_cbranch_vccnz .LBB257_1533
; %bb.1527:
	v_cmp_lt_i16_e32 vcc_lo, 25, v9
	s_mov_b32 s3, 0
	s_cbranch_vccz .LBB257_1534
; %bb.1528:
	v_cmp_lt_i16_e32 vcc_lo, 28, v9
	s_cbranch_vccz .LBB257_1535
; %bb.1529:
	v_cmp_lt_i16_e32 vcc_lo, 43, v9
	;; [unrolled: 3-line block ×3, first 2 shown]
	s_cbranch_vccz .LBB257_1539
; %bb.1531:
	v_cmp_eq_u16_e32 vcc_lo, 46, v9
	s_mov_b32 s7, 0
	s_cbranch_vccz .LBB257_1542
; %bb.1532:
	global_load_b32 v6, v[4:5], off
	s_mov_b32 s0, 0
	s_mov_b32 s6, -1
	s_waitcnt vmcnt(0)
	v_lshlrev_b32_e32 v8, 16, v6
	s_branch .LBB257_1544
.LBB257_1533:
	s_mov_b32 s0, -1
                                        ; implicit-def: $vgpr8
	s_branch .LBB257_1610
.LBB257_1534:
	s_mov_b32 s7, -1
	s_mov_b32 s0, 0
                                        ; implicit-def: $vgpr8
	s_branch .LBB257_1573
.LBB257_1535:
	s_mov_b32 s7, -1
	s_mov_b32 s0, 0
                                        ; implicit-def: $vgpr8
	s_branch .LBB257_1554
.LBB257_1536:
	s_mov_b32 s7, -1
	s_mov_b32 s0, 0
                                        ; implicit-def: $vgpr8
	s_branch .LBB257_1549
.LBB257_1537:
	s_cbranch_execnz .LBB257_1540
; %bb.1538:
	s_or_b32 s1, s1, exec_lo
                                        ; implicit-def: $vgpr10
	s_cbranch_execz .LBB257_1523
	s_branch .LBB257_1524
.LBB257_1539:
	s_mov_b32 s7, -1
	s_mov_b32 s0, 0
	s_branch .LBB257_1543
.LBB257_1540:
	s_trap 2
	s_sendmsg_rtn_b32 s0, sendmsg(MSG_RTN_GET_DOORBELL)
	s_mov_b32 ttmp2, m0
	s_waitcnt lgkmcnt(0)
	s_and_b32 s0, s0, 0x3ff
	s_delay_alu instid0(SALU_CYCLE_1) | instskip(NEXT) | instid1(SALU_CYCLE_1)
	s_bitset1_b32 s0, 10
	s_mov_b32 m0, s0
	s_sendmsg sendmsg(MSG_INTERRUPT)
	s_mov_b32 m0, ttmp2
.LBB257_1541:                           ; =>This Inner Loop Header: Depth=1
	s_sethalt 5
	s_branch .LBB257_1541
.LBB257_1542:
	s_mov_b32 s0, -1
.LBB257_1543:
                                        ; implicit-def: $vgpr8
.LBB257_1544:
	s_and_b32 vcc_lo, exec_lo, s7
	s_cbranch_vccz .LBB257_1548
; %bb.1545:
	v_cmp_eq_u16_e32 vcc_lo, 44, v9
	s_cbranch_vccz .LBB257_1547
; %bb.1546:
	global_load_u8 v6, v[4:5], off
	s_mov_b32 s0, 0
	s_mov_b32 s6, -1
	s_waitcnt vmcnt(0)
	v_lshlrev_b32_e32 v7, 23, v6
	v_cmp_ne_u32_e32 vcc_lo, 0xff, v6
	s_delay_alu instid0(VALU_DEP_2) | instskip(SKIP_1) | instid1(VALU_DEP_2)
	v_cndmask_b32_e32 v7, 0x7f800001, v7, vcc_lo
	v_cmp_ne_u32_e32 vcc_lo, 0, v6
	v_cndmask_b32_e32 v8, 0x400000, v7, vcc_lo
	s_branch .LBB257_1548
.LBB257_1547:
	s_mov_b32 s0, -1
                                        ; implicit-def: $vgpr8
.LBB257_1548:
	s_mov_b32 s7, 0
.LBB257_1549:
	s_delay_alu instid0(SALU_CYCLE_1)
	s_and_b32 vcc_lo, exec_lo, s7
	s_cbranch_vccz .LBB257_1553
; %bb.1550:
	v_cmp_eq_u16_e32 vcc_lo, 29, v9
	s_cbranch_vccz .LBB257_1552
; %bb.1551:
	global_load_b64 v[6:7], v[4:5], off
	s_mov_b32 s0, 0
	s_mov_b32 s6, -1
	s_mov_b32 s7, 0
	s_waitcnt vmcnt(0)
	v_clz_i32_u32_e32 v8, v7
	s_delay_alu instid0(VALU_DEP_1) | instskip(NEXT) | instid1(VALU_DEP_1)
	v_min_u32_e32 v8, 32, v8
	v_lshlrev_b64 v[6:7], v8, v[6:7]
	s_delay_alu instid0(VALU_DEP_1) | instskip(NEXT) | instid1(VALU_DEP_1)
	v_min_u32_e32 v6, 1, v6
	v_or_b32_e32 v6, v7, v6
	v_sub_nc_u32_e32 v7, 32, v8
	s_delay_alu instid0(VALU_DEP_2) | instskip(NEXT) | instid1(VALU_DEP_1)
	v_cvt_f32_u32_e32 v6, v6
	v_ldexp_f32 v8, v6, v7
	s_branch .LBB257_1554
.LBB257_1552:
	s_mov_b32 s0, -1
                                        ; implicit-def: $vgpr8
.LBB257_1553:
	s_mov_b32 s7, 0
.LBB257_1554:
	s_delay_alu instid0(SALU_CYCLE_1)
	s_and_b32 vcc_lo, exec_lo, s7
	s_cbranch_vccz .LBB257_1572
; %bb.1555:
	v_cmp_gt_i16_e32 vcc_lo, 27, v9
	s_cbranch_vccnz .LBB257_1558
; %bb.1556:
	v_cmp_lt_i16_e32 vcc_lo, 27, v9
	s_cbranch_vccz .LBB257_1559
; %bb.1557:
	global_load_b32 v6, v[4:5], off
	s_mov_b32 s6, 0
	s_waitcnt vmcnt(0)
	v_cvt_f32_u32_e32 v8, v6
	s_branch .LBB257_1560
.LBB257_1558:
	s_mov_b32 s6, -1
                                        ; implicit-def: $vgpr8
	s_branch .LBB257_1563
.LBB257_1559:
	s_mov_b32 s6, -1
                                        ; implicit-def: $vgpr8
.LBB257_1560:
	s_delay_alu instid0(SALU_CYCLE_1)
	s_and_not1_b32 vcc_lo, exec_lo, s6
	s_cbranch_vccnz .LBB257_1562
; %bb.1561:
	global_load_u16 v6, v[4:5], off
	s_waitcnt vmcnt(0)
	v_cvt_f32_u32_e32 v8, v6
.LBB257_1562:
	s_mov_b32 s6, 0
.LBB257_1563:
	s_delay_alu instid0(SALU_CYCLE_1)
	s_and_not1_b32 vcc_lo, exec_lo, s6
	s_cbranch_vccnz .LBB257_1571
; %bb.1564:
	global_load_u8 v6, v[4:5], off
	s_mov_b32 s6, 0
	s_mov_b32 s10, exec_lo
                                        ; implicit-def: $sgpr7
	s_waitcnt vmcnt(0)
	v_cmpx_lt_i16_e32 0x7f, v6
	s_xor_b32 s10, exec_lo, s10
	s_cbranch_execz .LBB257_1585
; %bb.1565:
	s_mov_b32 s6, -1
	s_mov_b32 s11, exec_lo
                                        ; implicit-def: $sgpr7
	v_cmpx_eq_u16_e32 0x80, v6
; %bb.1566:
	s_mov_b32 s7, 0x7f800001
	s_xor_b32 s6, exec_lo, -1
; %bb.1567:
	s_or_b32 exec_lo, exec_lo, s11
	s_delay_alu instid0(SALU_CYCLE_1)
	s_and_b32 s6, s6, exec_lo
	s_or_saveexec_b32 s10, s10
	v_mov_b32_e32 v8, s7
	s_xor_b32 exec_lo, exec_lo, s10
	s_cbranch_execnz .LBB257_1586
.LBB257_1568:
	s_or_b32 exec_lo, exec_lo, s10
	s_and_saveexec_b32 s7, s6
	s_cbranch_execz .LBB257_1570
.LBB257_1569:
	v_and_b32_e32 v7, 0xffff, v6
	v_lshlrev_b32_e32 v6, 24, v6
	s_delay_alu instid0(VALU_DEP_2) | instskip(NEXT) | instid1(VALU_DEP_2)
	v_and_b32_e32 v8, 7, v7
	v_and_b32_e32 v6, 0x80000000, v6
	s_delay_alu instid0(VALU_DEP_2) | instskip(NEXT) | instid1(VALU_DEP_1)
	v_clz_i32_u32_e32 v13, v8
	v_min_u32_e32 v13, 32, v13
	s_delay_alu instid0(VALU_DEP_1) | instskip(SKIP_1) | instid1(VALU_DEP_2)
	v_subrev_nc_u32_e32 v14, 28, v13
	v_sub_nc_u32_e32 v13, 29, v13
	v_lshlrev_b32_e32 v14, v14, v7
	v_bfe_u32 v7, v7, 3, 4
	s_delay_alu instid0(VALU_DEP_2) | instskip(NEXT) | instid1(VALU_DEP_2)
	v_and_b32_e32 v14, 7, v14
	v_cmp_eq_u32_e32 vcc_lo, 0, v7
	s_delay_alu instid0(VALU_DEP_2) | instskip(NEXT) | instid1(VALU_DEP_1)
	v_dual_cndmask_b32 v7, v7, v13 :: v_dual_cndmask_b32 v8, v8, v14
	v_lshl_add_u32 v7, v7, 23, 0x3b800000
	s_delay_alu instid0(VALU_DEP_2) | instskip(NEXT) | instid1(VALU_DEP_1)
	v_lshlrev_b32_e32 v8, 20, v8
	v_or3_b32 v8, v6, v7, v8
.LBB257_1570:
	s_or_b32 exec_lo, exec_lo, s7
.LBB257_1571:
	s_mov_b32 s6, -1
.LBB257_1572:
	s_mov_b32 s7, 0
.LBB257_1573:
	s_delay_alu instid0(SALU_CYCLE_1)
	s_and_b32 vcc_lo, exec_lo, s7
	s_cbranch_vccz .LBB257_1606
; %bb.1574:
	v_cmp_lt_i16_e32 vcc_lo, 22, v9
	s_cbranch_vccz .LBB257_1584
; %bb.1575:
	v_cmp_gt_i16_e32 vcc_lo, 24, v9
	s_cbranch_vccnz .LBB257_1587
; %bb.1576:
	v_cmp_lt_i16_e32 vcc_lo, 24, v9
	s_cbranch_vccz .LBB257_1588
; %bb.1577:
	global_load_u8 v6, v[4:5], off
	s_mov_b32 s7, exec_lo
                                        ; implicit-def: $sgpr6
	s_waitcnt vmcnt(0)
	v_cmpx_lt_i16_e32 0x7f, v6
	s_xor_b32 s7, exec_lo, s7
	s_cbranch_execz .LBB257_1600
; %bb.1578:
	s_mov_b32 s3, -1
	s_mov_b32 s10, exec_lo
                                        ; implicit-def: $sgpr6
	v_cmpx_eq_u16_e32 0x80, v6
; %bb.1579:
	s_mov_b32 s6, 0x7f800001
	s_xor_b32 s3, exec_lo, -1
; %bb.1580:
	s_or_b32 exec_lo, exec_lo, s10
	s_delay_alu instid0(SALU_CYCLE_1)
	s_and_b32 s3, s3, exec_lo
	s_or_saveexec_b32 s7, s7
	v_mov_b32_e32 v8, s6
	s_xor_b32 exec_lo, exec_lo, s7
	s_cbranch_execnz .LBB257_1601
.LBB257_1581:
	s_or_b32 exec_lo, exec_lo, s7
	s_and_saveexec_b32 s6, s3
	s_cbranch_execz .LBB257_1583
.LBB257_1582:
	v_and_b32_e32 v7, 0xffff, v6
	v_lshlrev_b32_e32 v6, 24, v6
	s_delay_alu instid0(VALU_DEP_2) | instskip(NEXT) | instid1(VALU_DEP_2)
	v_and_b32_e32 v8, 3, v7
	v_and_b32_e32 v6, 0x80000000, v6
	s_delay_alu instid0(VALU_DEP_2) | instskip(NEXT) | instid1(VALU_DEP_1)
	v_clz_i32_u32_e32 v13, v8
	v_min_u32_e32 v13, 32, v13
	s_delay_alu instid0(VALU_DEP_1) | instskip(SKIP_1) | instid1(VALU_DEP_2)
	v_subrev_nc_u32_e32 v14, 29, v13
	v_sub_nc_u32_e32 v13, 30, v13
	v_lshlrev_b32_e32 v14, v14, v7
	v_bfe_u32 v7, v7, 2, 5
	s_delay_alu instid0(VALU_DEP_2) | instskip(NEXT) | instid1(VALU_DEP_2)
	v_and_b32_e32 v14, 3, v14
	v_cmp_eq_u32_e32 vcc_lo, 0, v7
	s_delay_alu instid0(VALU_DEP_2) | instskip(NEXT) | instid1(VALU_DEP_1)
	v_dual_cndmask_b32 v7, v7, v13 :: v_dual_cndmask_b32 v8, v8, v14
	v_lshl_add_u32 v7, v7, 23, 0x37800000
	s_delay_alu instid0(VALU_DEP_2) | instskip(NEXT) | instid1(VALU_DEP_1)
	v_lshlrev_b32_e32 v8, 21, v8
	v_or3_b32 v8, v6, v7, v8
.LBB257_1583:
	s_or_b32 exec_lo, exec_lo, s6
	s_mov_b32 s3, 0
	s_branch .LBB257_1589
.LBB257_1584:
	s_mov_b32 s3, -1
                                        ; implicit-def: $vgpr8
	s_branch .LBB257_1595
.LBB257_1585:
	s_or_saveexec_b32 s10, s10
	v_mov_b32_e32 v8, s7
	s_xor_b32 exec_lo, exec_lo, s10
	s_cbranch_execz .LBB257_1568
.LBB257_1586:
	v_cmp_ne_u16_e32 vcc_lo, 0, v6
	v_mov_b32_e32 v8, 0
	s_and_not1_b32 s6, s6, exec_lo
	s_and_b32 s7, vcc_lo, exec_lo
	s_delay_alu instid0(SALU_CYCLE_1)
	s_or_b32 s6, s6, s7
	s_or_b32 exec_lo, exec_lo, s10
	s_and_saveexec_b32 s7, s6
	s_cbranch_execnz .LBB257_1569
	s_branch .LBB257_1570
.LBB257_1587:
	s_mov_b32 s3, -1
                                        ; implicit-def: $vgpr8
	s_branch .LBB257_1592
.LBB257_1588:
	s_mov_b32 s3, -1
                                        ; implicit-def: $vgpr8
.LBB257_1589:
	s_delay_alu instid0(SALU_CYCLE_1)
	s_and_b32 vcc_lo, exec_lo, s3
	s_cbranch_vccz .LBB257_1591
; %bb.1590:
	global_load_u8 v6, v[4:5], off
	s_waitcnt vmcnt(0)
	v_lshlrev_b32_e32 v6, 24, v6
	s_delay_alu instid0(VALU_DEP_1) | instskip(NEXT) | instid1(VALU_DEP_1)
	v_and_b32_e32 v7, 0x7f000000, v6
	v_clz_i32_u32_e32 v8, v7
	v_add_nc_u32_e32 v14, 0x1000000, v7
	v_cmp_ne_u32_e32 vcc_lo, 0, v7
	s_delay_alu instid0(VALU_DEP_3) | instskip(NEXT) | instid1(VALU_DEP_1)
	v_min_u32_e32 v8, 32, v8
	v_sub_nc_u32_e64 v8, v8, 4 clamp
	s_delay_alu instid0(VALU_DEP_1) | instskip(SKIP_1) | instid1(VALU_DEP_2)
	v_lshlrev_b32_e32 v13, v8, v7
	v_lshlrev_b32_e32 v8, 23, v8
	v_lshrrev_b32_e32 v13, 4, v13
	s_delay_alu instid0(VALU_DEP_1) | instskip(SKIP_1) | instid1(VALU_DEP_2)
	v_sub_nc_u32_e32 v8, v13, v8
	v_ashrrev_i32_e32 v13, 8, v14
	v_add_nc_u32_e32 v8, 0x3c000000, v8
	s_delay_alu instid0(VALU_DEP_1) | instskip(NEXT) | instid1(VALU_DEP_1)
	v_and_or_b32 v8, 0x7f800000, v13, v8
	v_cndmask_b32_e32 v7, 0, v8, vcc_lo
	s_delay_alu instid0(VALU_DEP_1)
	v_and_or_b32 v8, 0x80000000, v6, v7
.LBB257_1591:
	s_mov_b32 s3, 0
.LBB257_1592:
	s_delay_alu instid0(SALU_CYCLE_1)
	s_and_not1_b32 vcc_lo, exec_lo, s3
	s_cbranch_vccnz .LBB257_1594
; %bb.1593:
	global_load_u8 v6, v[4:5], off
	s_waitcnt vmcnt(0)
	v_lshlrev_b32_e32 v7, 25, v6
	v_lshlrev_b16 v6, 8, v6
	s_delay_alu instid0(VALU_DEP_2) | instskip(NEXT) | instid1(VALU_DEP_2)
	v_lshrrev_b32_e32 v8, 4, v7
	v_and_or_b32 v13, 0x7f00, v6, 0.5
	v_bfe_i32 v6, v6, 0, 16
	s_delay_alu instid0(VALU_DEP_3) | instskip(NEXT) | instid1(VALU_DEP_1)
	v_or_b32_e32 v8, 0x70000000, v8
	v_dual_add_f32 v13, -0.5, v13 :: v_dual_mul_f32 v8, 0x7800000, v8
	v_cmp_gt_u32_e32 vcc_lo, 0x8000000, v7
	s_delay_alu instid0(VALU_DEP_2) | instskip(NEXT) | instid1(VALU_DEP_1)
	v_cndmask_b32_e32 v7, v8, v13, vcc_lo
	v_and_or_b32 v8, 0x80000000, v6, v7
.LBB257_1594:
	s_mov_b32 s3, 0
	s_mov_b32 s6, -1
.LBB257_1595:
	s_and_not1_b32 vcc_lo, exec_lo, s3
	s_mov_b32 s3, 0
	s_cbranch_vccnz .LBB257_1606
; %bb.1596:
	v_cmp_lt_i16_e32 vcc_lo, 14, v9
	s_cbranch_vccz .LBB257_1599
; %bb.1597:
	v_cmp_eq_u16_e32 vcc_lo, 15, v9
	s_cbranch_vccz .LBB257_1602
; %bb.1598:
	global_load_u16 v6, v[4:5], off
	s_mov_b32 s0, 0
	s_mov_b32 s6, -1
	s_waitcnt vmcnt(0)
	v_lshlrev_b32_e32 v8, 16, v6
	s_branch .LBB257_1604
.LBB257_1599:
	s_mov_b32 s3, -1
	s_branch .LBB257_1603
.LBB257_1600:
	s_or_saveexec_b32 s7, s7
	v_mov_b32_e32 v8, s6
	s_xor_b32 exec_lo, exec_lo, s7
	s_cbranch_execz .LBB257_1581
.LBB257_1601:
	v_cmp_ne_u16_e32 vcc_lo, 0, v6
	v_mov_b32_e32 v8, 0
	s_and_not1_b32 s3, s3, exec_lo
	s_and_b32 s6, vcc_lo, exec_lo
	s_delay_alu instid0(SALU_CYCLE_1)
	s_or_b32 s3, s3, s6
	s_or_b32 exec_lo, exec_lo, s7
	s_and_saveexec_b32 s6, s3
	s_cbranch_execnz .LBB257_1582
	s_branch .LBB257_1583
.LBB257_1602:
	s_mov_b32 s0, -1
.LBB257_1603:
                                        ; implicit-def: $vgpr8
.LBB257_1604:
	s_and_b32 vcc_lo, exec_lo, s3
	s_mov_b32 s3, 0
	s_cbranch_vccz .LBB257_1606
; %bb.1605:
	v_cmp_ne_u16_e64 s0, 11, v9
	s_mov_b32 s3, -1
                                        ; implicit-def: $vgpr8
.LBB257_1606:
	s_delay_alu instid0(VALU_DEP_1)
	s_and_b32 vcc_lo, exec_lo, s0
	s_cbranch_vccnz .LBB257_2135
; %bb.1607:
	s_and_not1_b32 vcc_lo, exec_lo, s3
	s_cbranch_vccnz .LBB257_1609
.LBB257_1608:
	global_load_u8 v6, v[4:5], off
	s_mov_b32 s6, -1
	s_waitcnt vmcnt(0)
	v_cmp_ne_u16_e32 vcc_lo, 0, v6
	v_cndmask_b32_e64 v8, 0, 1.0, vcc_lo
.LBB257_1609:
	s_mov_b32 s0, 0
.LBB257_1610:
	s_delay_alu instid0(SALU_CYCLE_1)
	s_and_b32 vcc_lo, exec_lo, s0
	s_cbranch_vccz .LBB257_1659
; %bb.1611:
	v_cmp_gt_i16_e32 vcc_lo, 5, v9
	s_cbranch_vccnz .LBB257_1616
; %bb.1612:
	v_cmp_gt_i16_e32 vcc_lo, 8, v9
	s_cbranch_vccnz .LBB257_1617
	;; [unrolled: 3-line block ×3, first 2 shown]
; %bb.1614:
	v_cmp_lt_i16_e32 vcc_lo, 9, v9
	s_cbranch_vccz .LBB257_1619
; %bb.1615:
	global_load_b64 v[6:7], v[4:5], off
	s_mov_b32 s0, 0
	s_waitcnt vmcnt(0)
	v_cvt_f32_f64_e32 v8, v[6:7]
	s_branch .LBB257_1620
.LBB257_1616:
	s_mov_b32 s0, -1
                                        ; implicit-def: $vgpr8
	s_branch .LBB257_1638
.LBB257_1617:
	s_mov_b32 s0, -1
                                        ; implicit-def: $vgpr8
	s_branch .LBB257_1626
.LBB257_1618:
	s_mov_b32 s0, -1
                                        ; implicit-def: $vgpr8
	s_branch .LBB257_1623
.LBB257_1619:
	s_mov_b32 s0, -1
                                        ; implicit-def: $vgpr8
.LBB257_1620:
	s_delay_alu instid0(SALU_CYCLE_1)
	s_and_not1_b32 vcc_lo, exec_lo, s0
	s_cbranch_vccnz .LBB257_1622
; %bb.1621:
	global_load_b32 v8, v[4:5], off
.LBB257_1622:
	s_mov_b32 s0, 0
.LBB257_1623:
	s_delay_alu instid0(SALU_CYCLE_1)
	s_and_not1_b32 vcc_lo, exec_lo, s0
	s_cbranch_vccnz .LBB257_1625
; %bb.1624:
	global_load_b32 v6, v[4:5], off
	s_waitcnt vmcnt(0)
	v_cvt_f32_f16_e32 v8, v6
.LBB257_1625:
	s_mov_b32 s0, 0
.LBB257_1626:
	s_delay_alu instid0(SALU_CYCLE_1)
	s_and_not1_b32 vcc_lo, exec_lo, s0
	s_cbranch_vccnz .LBB257_1637
; %bb.1627:
	v_cmp_gt_i16_e32 vcc_lo, 6, v9
	s_cbranch_vccnz .LBB257_1630
; %bb.1628:
	v_cmp_lt_i16_e32 vcc_lo, 6, v9
	s_cbranch_vccz .LBB257_1631
; %bb.1629:
	global_load_b64 v[6:7], v[4:5], off
	s_mov_b32 s0, 0
	s_waitcnt vmcnt(0)
	v_cvt_f32_f64_e32 v8, v[6:7]
	s_branch .LBB257_1632
.LBB257_1630:
	s_mov_b32 s0, -1
                                        ; implicit-def: $vgpr8
	s_branch .LBB257_1635
.LBB257_1631:
	s_mov_b32 s0, -1
                                        ; implicit-def: $vgpr8
.LBB257_1632:
	s_delay_alu instid0(SALU_CYCLE_1)
	s_and_not1_b32 vcc_lo, exec_lo, s0
	s_cbranch_vccnz .LBB257_1634
; %bb.1633:
	global_load_b32 v8, v[4:5], off
.LBB257_1634:
	s_mov_b32 s0, 0
.LBB257_1635:
	s_delay_alu instid0(SALU_CYCLE_1)
	s_and_not1_b32 vcc_lo, exec_lo, s0
	s_cbranch_vccnz .LBB257_1637
; %bb.1636:
	global_load_u16 v6, v[4:5], off
	s_waitcnt vmcnt(0)
	v_cvt_f32_f16_e32 v8, v6
.LBB257_1637:
	s_mov_b32 s0, 0
.LBB257_1638:
	s_delay_alu instid0(SALU_CYCLE_1)
	s_and_not1_b32 vcc_lo, exec_lo, s0
	s_cbranch_vccnz .LBB257_1658
; %bb.1639:
	v_cmp_gt_i16_e32 vcc_lo, 2, v9
	s_cbranch_vccnz .LBB257_1643
; %bb.1640:
	v_cmp_gt_i16_e32 vcc_lo, 3, v9
	s_cbranch_vccnz .LBB257_1644
; %bb.1641:
	v_cmp_lt_i16_e32 vcc_lo, 3, v9
	s_cbranch_vccz .LBB257_1645
; %bb.1642:
	global_load_b64 v[6:7], v[4:5], off
	s_mov_b32 s0, 0
	s_waitcnt vmcnt(0)
	v_xor_b32_e32 v8, v6, v7
	v_cls_i32_e32 v13, v7
	s_delay_alu instid0(VALU_DEP_2) | instskip(NEXT) | instid1(VALU_DEP_2)
	v_ashrrev_i32_e32 v8, 31, v8
	v_add_nc_u32_e32 v13, -1, v13
	s_delay_alu instid0(VALU_DEP_2) | instskip(NEXT) | instid1(VALU_DEP_1)
	v_add_nc_u32_e32 v8, 32, v8
	v_min_u32_e32 v8, v13, v8
	s_delay_alu instid0(VALU_DEP_1) | instskip(NEXT) | instid1(VALU_DEP_1)
	v_lshlrev_b64 v[6:7], v8, v[6:7]
	v_min_u32_e32 v6, 1, v6
	s_delay_alu instid0(VALU_DEP_1) | instskip(SKIP_1) | instid1(VALU_DEP_2)
	v_or_b32_e32 v6, v7, v6
	v_sub_nc_u32_e32 v7, 32, v8
	v_cvt_f32_i32_e32 v6, v6
	s_delay_alu instid0(VALU_DEP_1)
	v_ldexp_f32 v8, v6, v7
	s_branch .LBB257_1646
.LBB257_1643:
	s_mov_b32 s0, -1
                                        ; implicit-def: $vgpr8
	s_branch .LBB257_1652
.LBB257_1644:
	s_mov_b32 s0, -1
                                        ; implicit-def: $vgpr8
	s_branch .LBB257_1649
.LBB257_1645:
	s_mov_b32 s0, -1
                                        ; implicit-def: $vgpr8
.LBB257_1646:
	s_delay_alu instid0(SALU_CYCLE_1)
	s_and_not1_b32 vcc_lo, exec_lo, s0
	s_cbranch_vccnz .LBB257_1648
; %bb.1647:
	global_load_b32 v6, v[4:5], off
	s_waitcnt vmcnt(0)
	v_cvt_f32_i32_e32 v8, v6
.LBB257_1648:
	s_mov_b32 s0, 0
.LBB257_1649:
	s_delay_alu instid0(SALU_CYCLE_1)
	s_and_not1_b32 vcc_lo, exec_lo, s0
	s_cbranch_vccnz .LBB257_1651
; %bb.1650:
	global_load_i16 v6, v[4:5], off
	s_waitcnt vmcnt(0)
	v_cvt_f32_i32_e32 v8, v6
.LBB257_1651:
	s_mov_b32 s0, 0
.LBB257_1652:
	s_delay_alu instid0(SALU_CYCLE_1)
	s_and_not1_b32 vcc_lo, exec_lo, s0
	s_cbranch_vccnz .LBB257_1658
; %bb.1653:
	v_cmp_lt_i16_e32 vcc_lo, 0, v9
	s_mov_b32 s0, 0
	s_cbranch_vccz .LBB257_1655
; %bb.1654:
	global_load_i8 v6, v[4:5], off
	s_waitcnt vmcnt(0)
	v_cvt_f32_i32_e32 v8, v6
	s_branch .LBB257_1656
.LBB257_1655:
	s_mov_b32 s0, -1
                                        ; implicit-def: $vgpr8
.LBB257_1656:
	s_delay_alu instid0(SALU_CYCLE_1)
	s_and_not1_b32 vcc_lo, exec_lo, s0
	s_cbranch_vccnz .LBB257_1658
; %bb.1657:
	global_load_u8 v4, v[4:5], off
	s_waitcnt vmcnt(0)
	v_cvt_f32_ubyte0_e32 v8, v4
.LBB257_1658:
	s_mov_b32 s6, -1
.LBB257_1659:
	s_delay_alu instid0(SALU_CYCLE_1)
	s_and_not1_b32 vcc_lo, exec_lo, s6
	s_cbranch_vccnz .LBB257_2090
; %bb.1660:
	v_mul_f32_e32 v4, 0x4f800000, v12
	v_cmp_gt_f32_e32 vcc_lo, 0xf800000, v12
	v_add_co_u32 v3, s3, s4, v3
	s_delay_alu instid0(VALU_DEP_3) | instskip(NEXT) | instid1(VALU_DEP_1)
	v_cndmask_b32_e32 v5, v12, v4, vcc_lo
	v_sqrt_f32_e32 v4, v5
	s_waitcnt_depctr 0xfff
	v_add_nc_u32_e32 v6, -1, v4
	v_add_nc_u32_e32 v7, 1, v4
	s_delay_alu instid0(VALU_DEP_2) | instskip(NEXT) | instid1(VALU_DEP_2)
	v_fma_f32 v9, -v6, v4, v5
	v_fma_f32 v12, -v7, v4, v5
	s_delay_alu instid0(VALU_DEP_2) | instskip(NEXT) | instid1(VALU_DEP_1)
	v_cmp_ge_f32_e64 s0, 0, v9
	v_cndmask_b32_e64 v4, v4, v6, s0
	s_delay_alu instid0(VALU_DEP_3) | instskip(NEXT) | instid1(VALU_DEP_1)
	v_cmp_lt_f32_e64 s0, 0, v12
	v_cndmask_b32_e64 v4, v4, v7, s0
	s_lshr_b32 s0, s2, 8
	s_mov_b32 s2, -1
	v_and_b32_e64 v7, 0xff, s0
	s_delay_alu instid0(VALU_DEP_2) | instskip(NEXT) | instid1(VALU_DEP_2)
	v_mul_f32_e32 v6, 0x37800000, v4
	v_cmp_gt_i16_e64 s0, 11, v7
	s_delay_alu instid0(VALU_DEP_2) | instskip(SKIP_3) | instid1(VALU_DEP_3)
	v_cndmask_b32_e32 v6, v4, v6, vcc_lo
	v_cmp_class_f32_e64 vcc_lo, v5, 0x260
	v_add_co_ci_u32_e64 v4, null, s5, 0, s3
	s_mov_b32 s3, 0
	v_cndmask_b32_e32 v5, v6, v5, vcc_lo
	s_and_b32 vcc_lo, exec_lo, s0
	s_cbranch_vccnz .LBB257_1738
; %bb.1661:
	v_cmp_lt_i16_e32 vcc_lo, 25, v7
	s_mov_b32 s6, -1
	s_mov_b32 s2, 0
	s_mov_b32 s0, 0
	s_cbranch_vccz .LBB257_1694
; %bb.1662:
	v_cmp_lt_i16_e32 vcc_lo, 28, v7
	s_cbranch_vccz .LBB257_1677
; %bb.1663:
	v_cmp_lt_i16_e32 vcc_lo, 43, v7
	;; [unrolled: 3-line block ×3, first 2 shown]
	s_cbranch_vccz .LBB257_1667
; %bb.1665:
	v_cmp_eq_u16_e32 vcc_lo, 46, v7
	s_mov_b32 s0, -1
	s_mov_b32 s6, 0
	s_cbranch_vccz .LBB257_1667
; %bb.1666:
	v_bfe_u32 v6, v5, 16, 1
	v_cmp_o_f32_e32 vcc_lo, v5, v5
	s_mov_b32 s0, 0
	s_mov_b32 s3, -1
	s_delay_alu instid0(VALU_DEP_2) | instskip(NEXT) | instid1(VALU_DEP_1)
	v_add3_u32 v6, v5, v6, 0x7fff
	v_lshrrev_b32_e32 v6, 16, v6
	s_delay_alu instid0(VALU_DEP_1)
	v_cndmask_b32_e32 v6, 0x7fc0, v6, vcc_lo
	global_store_b32 v[3:4], v6, off
.LBB257_1667:
	s_and_b32 vcc_lo, exec_lo, s6
	s_cbranch_vccz .LBB257_1672
; %bb.1668:
	v_cmp_eq_u16_e32 vcc_lo, 44, v7
	s_mov_b32 s0, -1
	s_cbranch_vccz .LBB257_1672
; %bb.1669:
	v_bfe_u32 v9, v5, 23, 8
	v_mov_b32_e32 v6, 0xff
	s_mov_b32 s3, exec_lo
	s_delay_alu instid0(VALU_DEP_2)
	v_cmpx_ne_u32_e32 0xff, v9
; %bb.1670:
	v_and_b32_e32 v6, 0x400000, v5
	v_and_or_b32 v9, 0x3fffff, v5, v9
	s_delay_alu instid0(VALU_DEP_2) | instskip(NEXT) | instid1(VALU_DEP_2)
	v_cmp_ne_u32_e32 vcc_lo, 0, v6
	v_cmp_ne_u32_e64 s0, 0, v9
	v_lshrrev_b32_e32 v6, 23, v5
	s_delay_alu instid0(VALU_DEP_2) | instskip(NEXT) | instid1(SALU_CYCLE_1)
	s_and_b32 s0, vcc_lo, s0
	v_cndmask_b32_e64 v9, 0, 1, s0
	s_delay_alu instid0(VALU_DEP_1)
	v_add_nc_u32_e32 v6, v6, v9
; %bb.1671:
	s_or_b32 exec_lo, exec_lo, s3
	s_mov_b32 s0, 0
	s_mov_b32 s3, -1
	global_store_b8 v[3:4], v6, off
.LBB257_1672:
	s_mov_b32 s6, 0
.LBB257_1673:
	s_delay_alu instid0(SALU_CYCLE_1)
	s_and_b32 vcc_lo, exec_lo, s6
	s_cbranch_vccz .LBB257_1676
; %bb.1674:
	v_cmp_eq_u16_e32 vcc_lo, 29, v7
	s_mov_b32 s0, -1
	s_cbranch_vccz .LBB257_1676
; %bb.1675:
	v_trunc_f32_e32 v6, v5
	s_mov_b32 s0, 0
	s_mov_b32 s3, -1
	s_delay_alu instid0(VALU_DEP_1) | instskip(NEXT) | instid1(VALU_DEP_1)
	v_mul_f32_e32 v9, 0x2f800000, v6
	v_floor_f32_e32 v9, v9
	s_delay_alu instid0(VALU_DEP_1) | instskip(SKIP_1) | instid1(VALU_DEP_2)
	v_fmamk_f32 v6, v9, 0xcf800000, v6
	v_cvt_u32_f32_e32 v13, v9
	v_cvt_u32_f32_e32 v12, v6
	global_store_b64 v[3:4], v[12:13], off
.LBB257_1676:
	s_mov_b32 s6, 0
.LBB257_1677:
	s_delay_alu instid0(SALU_CYCLE_1)
	s_and_b32 vcc_lo, exec_lo, s6
	s_cbranch_vccz .LBB257_1693
; %bb.1678:
	v_cmp_gt_i16_e32 vcc_lo, 27, v7
	s_mov_b32 s3, -1
	s_cbranch_vccnz .LBB257_1684
; %bb.1679:
	v_cmp_lt_i16_e32 vcc_lo, 27, v7
	v_cvt_u32_f32_e32 v6, v5
	s_cbranch_vccz .LBB257_1681
; %bb.1680:
	s_mov_b32 s3, 0
	global_store_b32 v[3:4], v6, off
.LBB257_1681:
	s_and_not1_b32 vcc_lo, exec_lo, s3
	s_cbranch_vccnz .LBB257_1683
; %bb.1682:
	global_store_b16 v[3:4], v6, off
.LBB257_1683:
	s_mov_b32 s3, 0
.LBB257_1684:
	s_delay_alu instid0(SALU_CYCLE_1)
	s_and_not1_b32 vcc_lo, exec_lo, s3
	s_cbranch_vccnz .LBB257_1692
; %bb.1685:
	v_and_b32_e32 v6, 0x7fffffff, v5
	v_mov_b32_e32 v9, 0x80
	s_mov_b32 s3, exec_lo
	s_delay_alu instid0(VALU_DEP_2)
	v_cmpx_gt_u32_e32 0x43800000, v6
	s_cbranch_execz .LBB257_1691
; %bb.1686:
	v_cmp_lt_u32_e32 vcc_lo, 0x3bffffff, v6
	s_mov_b32 s6, 0
                                        ; implicit-def: $vgpr6
	s_and_saveexec_b32 s7, vcc_lo
	s_delay_alu instid0(SALU_CYCLE_1)
	s_xor_b32 s7, exec_lo, s7
	s_cbranch_execz .LBB257_2137
; %bb.1687:
	v_bfe_u32 v6, v5, 20, 1
	s_mov_b32 s6, exec_lo
	s_delay_alu instid0(VALU_DEP_1) | instskip(NEXT) | instid1(VALU_DEP_1)
	v_add3_u32 v6, v5, v6, 0x487ffff
	v_lshrrev_b32_e32 v6, 20, v6
	s_or_saveexec_b32 s7, s7
                                        ; implicit-def: $sgpr10
	s_delay_alu instid0(SALU_CYCLE_1)
	s_xor_b32 exec_lo, exec_lo, s7
	s_cbranch_execnz .LBB257_2138
.LBB257_1688:
	s_or_b32 exec_lo, exec_lo, s7
	v_mov_b32_e32 v9, s10
	s_and_saveexec_b32 s7, s6
.LBB257_1689:
	v_lshrrev_b32_e32 v9, 24, v5
	s_delay_alu instid0(VALU_DEP_1)
	v_and_or_b32 v9, 0x80, v9, v6
.LBB257_1690:
	s_or_b32 exec_lo, exec_lo, s7
.LBB257_1691:
	s_delay_alu instid0(SALU_CYCLE_1)
	s_or_b32 exec_lo, exec_lo, s3
	global_store_b8 v[3:4], v9, off
.LBB257_1692:
	s_mov_b32 s3, -1
.LBB257_1693:
	s_mov_b32 s6, 0
.LBB257_1694:
	s_delay_alu instid0(SALU_CYCLE_1)
	s_and_b32 vcc_lo, exec_lo, s6
	s_cbranch_vccz .LBB257_1734
; %bb.1695:
	v_cmp_lt_i16_e32 vcc_lo, 22, v7
	s_mov_b32 s2, -1
	s_cbranch_vccz .LBB257_1727
; %bb.1696:
	v_cmp_gt_i16_e32 vcc_lo, 24, v7
	s_cbranch_vccnz .LBB257_1716
; %bb.1697:
	v_cmp_lt_i16_e32 vcc_lo, 24, v7
	s_cbranch_vccz .LBB257_1705
; %bb.1698:
	v_and_b32_e32 v6, 0x7fffffff, v5
	v_mov_b32_e32 v9, 0x80
	s_mov_b32 s2, exec_lo
	s_delay_alu instid0(VALU_DEP_2)
	v_cmpx_gt_u32_e32 0x47800000, v6
	s_cbranch_execz .LBB257_1704
; %bb.1699:
	v_cmp_lt_u32_e32 vcc_lo, 0x37ffffff, v6
	s_mov_b32 s3, 0
                                        ; implicit-def: $vgpr6
	s_and_saveexec_b32 s6, vcc_lo
	s_delay_alu instid0(SALU_CYCLE_1)
	s_xor_b32 s6, exec_lo, s6
	s_cbranch_execz .LBB257_2143
; %bb.1700:
	v_bfe_u32 v6, v5, 21, 1
	s_mov_b32 s3, exec_lo
	s_delay_alu instid0(VALU_DEP_1) | instskip(NEXT) | instid1(VALU_DEP_1)
	v_add3_u32 v6, v5, v6, 0x88fffff
	v_lshrrev_b32_e32 v6, 21, v6
	s_or_saveexec_b32 s6, s6
                                        ; implicit-def: $sgpr7
	s_delay_alu instid0(SALU_CYCLE_1)
	s_xor_b32 exec_lo, exec_lo, s6
	s_cbranch_execnz .LBB257_2144
.LBB257_1701:
	s_or_b32 exec_lo, exec_lo, s6
	v_mov_b32_e32 v9, s7
	s_and_saveexec_b32 s6, s3
.LBB257_1702:
	v_lshrrev_b32_e32 v9, 24, v5
	s_delay_alu instid0(VALU_DEP_1)
	v_and_or_b32 v9, 0x80, v9, v6
.LBB257_1703:
	s_or_b32 exec_lo, exec_lo, s6
.LBB257_1704:
	s_delay_alu instid0(SALU_CYCLE_1)
	s_or_b32 exec_lo, exec_lo, s2
	s_mov_b32 s2, 0
	global_store_b8 v[3:4], v9, off
.LBB257_1705:
	s_and_b32 vcc_lo, exec_lo, s2
	s_cbranch_vccz .LBB257_1715
; %bb.1706:
	v_and_b32_e32 v9, 0x7fffffff, v5
	s_mov_b32 s2, exec_lo
                                        ; implicit-def: $vgpr6
	s_delay_alu instid0(VALU_DEP_1)
	v_cmpx_gt_u32_e32 0x43f00000, v9
	s_xor_b32 s2, exec_lo, s2
	s_cbranch_execz .LBB257_1712
; %bb.1707:
	s_mov_b32 s3, exec_lo
                                        ; implicit-def: $vgpr6
	v_cmpx_lt_u32_e32 0x3c7fffff, v9
	s_xor_b32 s3, exec_lo, s3
; %bb.1708:
	v_bfe_u32 v6, v5, 20, 1
	s_delay_alu instid0(VALU_DEP_1) | instskip(NEXT) | instid1(VALU_DEP_1)
	v_add3_u32 v6, v5, v6, 0x407ffff
	v_and_b32_e32 v9, 0xff00000, v6
	v_lshrrev_b32_e32 v6, 20, v6
	s_delay_alu instid0(VALU_DEP_2) | instskip(NEXT) | instid1(VALU_DEP_2)
	v_cmp_ne_u32_e32 vcc_lo, 0x7f00000, v9
	v_cndmask_b32_e32 v6, 0x7e, v6, vcc_lo
; %bb.1709:
	s_and_not1_saveexec_b32 s3, s3
; %bb.1710:
	v_add_f32_e64 v6, 0x46800000, |v5|
; %bb.1711:
	s_or_b32 exec_lo, exec_lo, s3
                                        ; implicit-def: $vgpr9
.LBB257_1712:
	s_and_not1_saveexec_b32 s2, s2
; %bb.1713:
	v_mov_b32_e32 v6, 0x7f
	v_cmp_lt_u32_e32 vcc_lo, 0x7f800000, v9
	s_delay_alu instid0(VALU_DEP_2)
	v_cndmask_b32_e32 v6, 0x7e, v6, vcc_lo
; %bb.1714:
	s_or_b32 exec_lo, exec_lo, s2
	v_lshrrev_b32_e32 v9, 24, v5
	s_delay_alu instid0(VALU_DEP_1)
	v_and_or_b32 v6, 0x80, v9, v6
	global_store_b8 v[3:4], v6, off
.LBB257_1715:
	s_mov_b32 s2, 0
.LBB257_1716:
	s_delay_alu instid0(SALU_CYCLE_1)
	s_and_not1_b32 vcc_lo, exec_lo, s2
	s_cbranch_vccnz .LBB257_1726
; %bb.1717:
	v_and_b32_e32 v9, 0x7fffffff, v5
	s_mov_b32 s2, exec_lo
                                        ; implicit-def: $vgpr6
	s_delay_alu instid0(VALU_DEP_1)
	v_cmpx_gt_u32_e32 0x47800000, v9
	s_xor_b32 s2, exec_lo, s2
	s_cbranch_execz .LBB257_1723
; %bb.1718:
	s_mov_b32 s3, exec_lo
                                        ; implicit-def: $vgpr6
	v_cmpx_lt_u32_e32 0x387fffff, v9
	s_xor_b32 s3, exec_lo, s3
; %bb.1719:
	v_bfe_u32 v6, v5, 21, 1
	s_delay_alu instid0(VALU_DEP_1) | instskip(NEXT) | instid1(VALU_DEP_1)
	v_add3_u32 v6, v5, v6, 0x80fffff
	v_lshrrev_b32_e32 v6, 21, v6
; %bb.1720:
	s_and_not1_saveexec_b32 s3, s3
; %bb.1721:
	v_add_f32_e64 v6, 0x43000000, |v5|
; %bb.1722:
	s_or_b32 exec_lo, exec_lo, s3
                                        ; implicit-def: $vgpr9
.LBB257_1723:
	s_and_not1_saveexec_b32 s2, s2
; %bb.1724:
	v_mov_b32_e32 v6, 0x7f
	v_cmp_lt_u32_e32 vcc_lo, 0x7f800000, v9
	s_delay_alu instid0(VALU_DEP_2)
	v_cndmask_b32_e32 v6, 0x7c, v6, vcc_lo
; %bb.1725:
	s_or_b32 exec_lo, exec_lo, s2
	v_lshrrev_b32_e32 v9, 24, v5
	s_delay_alu instid0(VALU_DEP_1)
	v_and_or_b32 v6, 0x80, v9, v6
	global_store_b8 v[3:4], v6, off
.LBB257_1726:
	s_mov_b32 s2, 0
	s_mov_b32 s3, -1
.LBB257_1727:
	s_and_not1_b32 vcc_lo, exec_lo, s2
	s_mov_b32 s2, 0
	s_cbranch_vccnz .LBB257_1734
; %bb.1728:
	v_cmp_lt_i16_e32 vcc_lo, 14, v7
	s_mov_b32 s2, -1
	s_cbranch_vccz .LBB257_1732
; %bb.1729:
	v_cmp_eq_u16_e32 vcc_lo, 15, v7
	s_mov_b32 s0, -1
	s_cbranch_vccz .LBB257_1731
; %bb.1730:
	v_bfe_u32 v6, v5, 16, 1
	v_cmp_o_f32_e32 vcc_lo, v5, v5
	s_mov_b32 s0, 0
	s_mov_b32 s3, -1
	s_delay_alu instid0(VALU_DEP_2) | instskip(NEXT) | instid1(VALU_DEP_1)
	v_add3_u32 v6, v5, v6, 0x7fff
	v_lshrrev_b32_e32 v6, 16, v6
	s_delay_alu instid0(VALU_DEP_1)
	v_cndmask_b32_e32 v6, 0x7fc0, v6, vcc_lo
	global_store_b16 v[3:4], v6, off
.LBB257_1731:
	s_mov_b32 s2, 0
.LBB257_1732:
	s_delay_alu instid0(SALU_CYCLE_1)
	s_and_b32 vcc_lo, exec_lo, s2
	s_mov_b32 s2, 0
	s_cbranch_vccz .LBB257_1734
; %bb.1733:
	v_cmp_ne_u16_e64 s0, 11, v7
	s_mov_b32 s2, -1
.LBB257_1734:
	s_delay_alu instid0(VALU_DEP_1)
	s_and_b32 vcc_lo, exec_lo, s0
	s_cbranch_vccnz .LBB257_2141
; %bb.1735:
	s_and_not1_b32 vcc_lo, exec_lo, s2
	s_cbranch_vccnz .LBB257_1737
.LBB257_1736:
	v_cmp_neq_f32_e32 vcc_lo, 0, v5
	s_mov_b32 s3, -1
	v_cndmask_b32_e64 v6, 0, 1, vcc_lo
	global_store_b8 v[3:4], v6, off
.LBB257_1737:
	s_mov_b32 s2, 0
.LBB257_1738:
	s_delay_alu instid0(SALU_CYCLE_1)
	s_and_b32 vcc_lo, exec_lo, s2
	s_cbranch_vccz .LBB257_1777
; %bb.1739:
	v_cmp_gt_i16_e32 vcc_lo, 5, v7
	s_mov_b32 s0, -1
	s_cbranch_vccnz .LBB257_1760
; %bb.1740:
	v_cmp_gt_i16_e32 vcc_lo, 8, v7
	s_cbranch_vccnz .LBB257_1750
; %bb.1741:
	v_cmp_gt_i16_e32 vcc_lo, 9, v7
	s_cbranch_vccnz .LBB257_1747
; %bb.1742:
	v_cmp_lt_i16_e32 vcc_lo, 9, v7
	s_cbranch_vccz .LBB257_1744
; %bb.1743:
	v_cvt_f64_f32_e32 v[12:13], v5
	v_mov_b32_e32 v14, 0
	s_mov_b32 s0, 0
	s_delay_alu instid0(VALU_DEP_1)
	v_mov_b32_e32 v15, v14
	global_store_b128 v[3:4], v[12:15], off
.LBB257_1744:
	s_and_not1_b32 vcc_lo, exec_lo, s0
	s_cbranch_vccnz .LBB257_1746
; %bb.1745:
	v_mov_b32_e32 v6, 0
	global_store_b64 v[3:4], v[5:6], off
.LBB257_1746:
	s_mov_b32 s0, 0
.LBB257_1747:
	s_delay_alu instid0(SALU_CYCLE_1)
	s_and_not1_b32 vcc_lo, exec_lo, s0
	s_cbranch_vccnz .LBB257_1749
; %bb.1748:
	v_cvt_f16_f32_e32 v6, v5
	s_delay_alu instid0(VALU_DEP_1)
	v_and_b32_e32 v6, 0xffff, v6
	global_store_b32 v[3:4], v6, off
.LBB257_1749:
	s_mov_b32 s0, 0
.LBB257_1750:
	s_delay_alu instid0(SALU_CYCLE_1)
	s_and_not1_b32 vcc_lo, exec_lo, s0
	s_cbranch_vccnz .LBB257_1759
; %bb.1751:
	v_cmp_gt_i16_e32 vcc_lo, 6, v7
	s_mov_b32 s0, -1
	s_cbranch_vccnz .LBB257_1757
; %bb.1752:
	v_cmp_lt_i16_e32 vcc_lo, 6, v7
	s_cbranch_vccz .LBB257_1754
; %bb.1753:
	v_cvt_f64_f32_e32 v[12:13], v5
	s_mov_b32 s0, 0
	global_store_b64 v[3:4], v[12:13], off
.LBB257_1754:
	s_and_not1_b32 vcc_lo, exec_lo, s0
	s_cbranch_vccnz .LBB257_1756
; %bb.1755:
	global_store_b32 v[3:4], v5, off
.LBB257_1756:
	s_mov_b32 s0, 0
.LBB257_1757:
	s_delay_alu instid0(SALU_CYCLE_1)
	s_and_not1_b32 vcc_lo, exec_lo, s0
	s_cbranch_vccnz .LBB257_1759
; %bb.1758:
	v_cvt_f16_f32_e32 v6, v5
	global_store_b16 v[3:4], v6, off
.LBB257_1759:
	s_mov_b32 s0, 0
.LBB257_1760:
	s_delay_alu instid0(SALU_CYCLE_1)
	s_and_not1_b32 vcc_lo, exec_lo, s0
	s_cbranch_vccnz .LBB257_1776
; %bb.1761:
	v_cmp_gt_i16_e32 vcc_lo, 2, v7
	s_mov_b32 s0, -1
	s_cbranch_vccnz .LBB257_1771
; %bb.1762:
	v_cmp_gt_i16_e32 vcc_lo, 3, v7
	s_cbranch_vccnz .LBB257_1768
; %bb.1763:
	v_cmp_lt_i16_e32 vcc_lo, 3, v7
	s_cbranch_vccz .LBB257_1765
; %bb.1764:
	v_trunc_f32_e32 v6, v5
	s_mov_b32 s0, 0
	s_delay_alu instid0(VALU_DEP_1) | instskip(NEXT) | instid1(VALU_DEP_1)
	v_mul_f32_e64 v9, 0x2f800000, |v6|
	v_floor_f32_e32 v9, v9
	s_delay_alu instid0(VALU_DEP_1) | instskip(SKIP_2) | instid1(VALU_DEP_3)
	v_fma_f32 v12, 0xcf800000, v9, |v6|
	v_ashrrev_i32_e32 v6, 31, v6
	v_cvt_u32_f32_e32 v9, v9
	v_cvt_u32_f32_e32 v12, v12
	s_delay_alu instid0(VALU_DEP_2) | instskip(NEXT) | instid1(VALU_DEP_2)
	v_xor_b32_e32 v9, v9, v6
	v_xor_b32_e32 v12, v12, v6
	s_delay_alu instid0(VALU_DEP_1) | instskip(NEXT) | instid1(VALU_DEP_3)
	v_sub_co_u32 v12, vcc_lo, v12, v6
	v_sub_co_ci_u32_e32 v13, vcc_lo, v9, v6, vcc_lo
	global_store_b64 v[3:4], v[12:13], off
.LBB257_1765:
	s_and_not1_b32 vcc_lo, exec_lo, s0
	s_cbranch_vccnz .LBB257_1767
; %bb.1766:
	v_cvt_i32_f32_e32 v6, v5
	global_store_b32 v[3:4], v6, off
.LBB257_1767:
	s_mov_b32 s0, 0
.LBB257_1768:
	s_delay_alu instid0(SALU_CYCLE_1)
	s_and_not1_b32 vcc_lo, exec_lo, s0
	s_cbranch_vccnz .LBB257_1770
; %bb.1769:
	v_cvt_i32_f32_e32 v6, v5
	global_store_b16 v[3:4], v6, off
.LBB257_1770:
	s_mov_b32 s0, 0
.LBB257_1771:
	s_delay_alu instid0(SALU_CYCLE_1)
	s_and_not1_b32 vcc_lo, exec_lo, s0
	s_cbranch_vccnz .LBB257_1776
; %bb.1772:
	v_cmp_lt_i16_e32 vcc_lo, 0, v7
	s_mov_b32 s0, -1
	s_cbranch_vccz .LBB257_1774
; %bb.1773:
	v_cvt_i32_f32_e32 v6, v5
	s_mov_b32 s0, 0
	global_store_b8 v[3:4], v6, off
.LBB257_1774:
	s_and_not1_b32 vcc_lo, exec_lo, s0
	s_cbranch_vccnz .LBB257_1776
; %bb.1775:
	v_trunc_f32_e32 v5, v5
	s_delay_alu instid0(VALU_DEP_1) | instskip(NEXT) | instid1(VALU_DEP_1)
	v_mul_f32_e64 v6, 0x2f800000, |v5|
	v_floor_f32_e32 v6, v6
	s_delay_alu instid0(VALU_DEP_1) | instskip(SKIP_1) | instid1(VALU_DEP_2)
	v_fma_f32 v6, 0xcf800000, v6, |v5|
	v_ashrrev_i32_e32 v5, 31, v5
	v_cvt_u32_f32_e32 v6, v6
	s_delay_alu instid0(VALU_DEP_1) | instskip(NEXT) | instid1(VALU_DEP_1)
	v_xor_b32_e32 v6, v6, v5
	v_sub_nc_u32_e32 v5, v6, v5
	global_store_b8 v[3:4], v5, off
.LBB257_1776:
	s_mov_b32 s3, -1
.LBB257_1777:
	s_delay_alu instid0(SALU_CYCLE_1)
	s_and_not1_b32 vcc_lo, exec_lo, s3
	s_cbranch_vccnz .LBB257_2090
; %bb.1778:
	s_waitcnt vmcnt(0)
	v_mul_f32_e32 v3, 0x4f800000, v11
	v_cmp_gt_f32_e32 vcc_lo, 0xf800000, v11
	v_add_co_u32 v2, s3, s4, v2
	s_mov_b32 s2, -1
	s_delay_alu instid0(VALU_DEP_3) | instskip(NEXT) | instid1(VALU_DEP_1)
	v_cndmask_b32_e32 v4, v11, v3, vcc_lo
	v_sqrt_f32_e32 v3, v4
	s_waitcnt_depctr 0xfff
	v_add_nc_u32_e32 v5, -1, v3
	v_add_nc_u32_e32 v6, 1, v3
	s_delay_alu instid0(VALU_DEP_2) | instskip(NEXT) | instid1(VALU_DEP_2)
	v_fma_f32 v9, -v5, v3, v4
	v_fma_f32 v11, -v6, v3, v4
	s_delay_alu instid0(VALU_DEP_2) | instskip(NEXT) | instid1(VALU_DEP_1)
	v_cmp_ge_f32_e64 s0, 0, v9
	v_cndmask_b32_e64 v3, v3, v5, s0
	s_delay_alu instid0(VALU_DEP_3) | instskip(NEXT) | instid1(VALU_DEP_1)
	v_cmp_lt_f32_e64 s0, 0, v11
	v_cndmask_b32_e64 v3, v3, v6, s0
	v_cmp_gt_i16_e64 s0, 11, v7
	s_delay_alu instid0(VALU_DEP_2) | instskip(NEXT) | instid1(VALU_DEP_1)
	v_mul_f32_e32 v5, 0x37800000, v3
	v_cndmask_b32_e32 v5, v3, v5, vcc_lo
	v_cmp_class_f32_e64 vcc_lo, v4, 0x260
	v_add_co_ci_u32_e64 v3, null, s5, 0, s3
	s_mov_b32 s3, 0
	s_delay_alu instid0(VALU_DEP_3)
	v_cndmask_b32_e32 v4, v5, v4, vcc_lo
	s_and_b32 vcc_lo, exec_lo, s0
	s_cbranch_vccnz .LBB257_1856
; %bb.1779:
	v_cmp_lt_i16_e32 vcc_lo, 25, v7
	s_mov_b32 s6, -1
	s_mov_b32 s2, 0
	s_mov_b32 s0, 0
	s_cbranch_vccz .LBB257_1812
; %bb.1780:
	v_cmp_lt_i16_e32 vcc_lo, 28, v7
	s_cbranch_vccz .LBB257_1795
; %bb.1781:
	v_cmp_lt_i16_e32 vcc_lo, 43, v7
	;; [unrolled: 3-line block ×3, first 2 shown]
	s_cbranch_vccz .LBB257_1785
; %bb.1783:
	v_cmp_eq_u16_e32 vcc_lo, 46, v7
	s_mov_b32 s0, -1
	s_mov_b32 s6, 0
	s_cbranch_vccz .LBB257_1785
; %bb.1784:
	v_bfe_u32 v5, v4, 16, 1
	v_cmp_o_f32_e32 vcc_lo, v4, v4
	s_mov_b32 s0, 0
	s_mov_b32 s3, -1
	s_delay_alu instid0(VALU_DEP_2) | instskip(NEXT) | instid1(VALU_DEP_1)
	v_add3_u32 v5, v4, v5, 0x7fff
	v_lshrrev_b32_e32 v5, 16, v5
	s_delay_alu instid0(VALU_DEP_1)
	v_cndmask_b32_e32 v5, 0x7fc0, v5, vcc_lo
	global_store_b32 v[2:3], v5, off
.LBB257_1785:
	s_and_b32 vcc_lo, exec_lo, s6
	s_cbranch_vccz .LBB257_1790
; %bb.1786:
	v_cmp_eq_u16_e32 vcc_lo, 44, v7
	s_mov_b32 s0, -1
	s_cbranch_vccz .LBB257_1790
; %bb.1787:
	v_bfe_u32 v6, v4, 23, 8
	v_mov_b32_e32 v5, 0xff
	s_mov_b32 s3, exec_lo
	s_delay_alu instid0(VALU_DEP_2)
	v_cmpx_ne_u32_e32 0xff, v6
; %bb.1788:
	v_and_b32_e32 v5, 0x400000, v4
	v_and_or_b32 v6, 0x3fffff, v4, v6
	s_delay_alu instid0(VALU_DEP_2) | instskip(NEXT) | instid1(VALU_DEP_2)
	v_cmp_ne_u32_e32 vcc_lo, 0, v5
	v_cmp_ne_u32_e64 s0, 0, v6
	v_lshrrev_b32_e32 v5, 23, v4
	s_delay_alu instid0(VALU_DEP_2) | instskip(NEXT) | instid1(SALU_CYCLE_1)
	s_and_b32 s0, vcc_lo, s0
	v_cndmask_b32_e64 v6, 0, 1, s0
	s_delay_alu instid0(VALU_DEP_1)
	v_add_nc_u32_e32 v5, v5, v6
; %bb.1789:
	s_or_b32 exec_lo, exec_lo, s3
	s_mov_b32 s0, 0
	s_mov_b32 s3, -1
	global_store_b8 v[2:3], v5, off
.LBB257_1790:
	s_mov_b32 s6, 0
.LBB257_1791:
	s_delay_alu instid0(SALU_CYCLE_1)
	s_and_b32 vcc_lo, exec_lo, s6
	s_cbranch_vccz .LBB257_1794
; %bb.1792:
	v_cmp_eq_u16_e32 vcc_lo, 29, v7
	s_mov_b32 s0, -1
	s_cbranch_vccz .LBB257_1794
; %bb.1793:
	v_trunc_f32_e32 v5, v4
	s_mov_b32 s0, 0
	s_mov_b32 s3, -1
	s_delay_alu instid0(VALU_DEP_1) | instskip(NEXT) | instid1(VALU_DEP_1)
	v_mul_f32_e32 v6, 0x2f800000, v5
	v_floor_f32_e32 v6, v6
	s_delay_alu instid0(VALU_DEP_1) | instskip(SKIP_1) | instid1(VALU_DEP_2)
	v_fmamk_f32 v5, v6, 0xcf800000, v5
	v_cvt_u32_f32_e32 v6, v6
	v_cvt_u32_f32_e32 v5, v5
	global_store_b64 v[2:3], v[5:6], off
.LBB257_1794:
	s_mov_b32 s6, 0
.LBB257_1795:
	s_delay_alu instid0(SALU_CYCLE_1)
	s_and_b32 vcc_lo, exec_lo, s6
	s_cbranch_vccz .LBB257_1811
; %bb.1796:
	v_cmp_gt_i16_e32 vcc_lo, 27, v7
	s_mov_b32 s3, -1
	s_cbranch_vccnz .LBB257_1802
; %bb.1797:
	v_cmp_lt_i16_e32 vcc_lo, 27, v7
	v_cvt_u32_f32_e32 v5, v4
	s_cbranch_vccz .LBB257_1799
; %bb.1798:
	s_mov_b32 s3, 0
	global_store_b32 v[2:3], v5, off
.LBB257_1799:
	s_and_not1_b32 vcc_lo, exec_lo, s3
	s_cbranch_vccnz .LBB257_1801
; %bb.1800:
	global_store_b16 v[2:3], v5, off
.LBB257_1801:
	s_mov_b32 s3, 0
.LBB257_1802:
	s_delay_alu instid0(SALU_CYCLE_1)
	s_and_not1_b32 vcc_lo, exec_lo, s3
	s_cbranch_vccnz .LBB257_1810
; %bb.1803:
	v_and_b32_e32 v5, 0x7fffffff, v4
	v_mov_b32_e32 v6, 0x80
	s_mov_b32 s3, exec_lo
	s_delay_alu instid0(VALU_DEP_2)
	v_cmpx_gt_u32_e32 0x43800000, v5
	s_cbranch_execz .LBB257_1809
; %bb.1804:
	v_cmp_lt_u32_e32 vcc_lo, 0x3bffffff, v5
	s_mov_b32 s6, 0
                                        ; implicit-def: $vgpr5
	s_and_saveexec_b32 s7, vcc_lo
	s_delay_alu instid0(SALU_CYCLE_1)
	s_xor_b32 s7, exec_lo, s7
	s_cbranch_execz .LBB257_2145
; %bb.1805:
	v_bfe_u32 v5, v4, 20, 1
	s_mov_b32 s6, exec_lo
	s_delay_alu instid0(VALU_DEP_1) | instskip(NEXT) | instid1(VALU_DEP_1)
	v_add3_u32 v5, v4, v5, 0x487ffff
	v_lshrrev_b32_e32 v5, 20, v5
	s_or_saveexec_b32 s7, s7
                                        ; implicit-def: $sgpr10
	s_delay_alu instid0(SALU_CYCLE_1)
	s_xor_b32 exec_lo, exec_lo, s7
	s_cbranch_execnz .LBB257_2146
.LBB257_1806:
	s_or_b32 exec_lo, exec_lo, s7
	v_mov_b32_e32 v6, s10
	s_and_saveexec_b32 s7, s6
.LBB257_1807:
	v_lshrrev_b32_e32 v6, 24, v4
	s_delay_alu instid0(VALU_DEP_1)
	v_and_or_b32 v6, 0x80, v6, v5
.LBB257_1808:
	s_or_b32 exec_lo, exec_lo, s7
.LBB257_1809:
	s_delay_alu instid0(SALU_CYCLE_1)
	s_or_b32 exec_lo, exec_lo, s3
	global_store_b8 v[2:3], v6, off
.LBB257_1810:
	s_mov_b32 s3, -1
.LBB257_1811:
	s_mov_b32 s6, 0
.LBB257_1812:
	s_delay_alu instid0(SALU_CYCLE_1)
	s_and_b32 vcc_lo, exec_lo, s6
	s_cbranch_vccz .LBB257_1852
; %bb.1813:
	v_cmp_lt_i16_e32 vcc_lo, 22, v7
	s_mov_b32 s2, -1
	s_cbranch_vccz .LBB257_1845
; %bb.1814:
	v_cmp_gt_i16_e32 vcc_lo, 24, v7
	s_cbranch_vccnz .LBB257_1834
; %bb.1815:
	v_cmp_lt_i16_e32 vcc_lo, 24, v7
	s_cbranch_vccz .LBB257_1823
; %bb.1816:
	v_and_b32_e32 v5, 0x7fffffff, v4
	v_mov_b32_e32 v6, 0x80
	s_mov_b32 s2, exec_lo
	s_delay_alu instid0(VALU_DEP_2)
	v_cmpx_gt_u32_e32 0x47800000, v5
	s_cbranch_execz .LBB257_1822
; %bb.1817:
	v_cmp_lt_u32_e32 vcc_lo, 0x37ffffff, v5
	s_mov_b32 s3, 0
                                        ; implicit-def: $vgpr5
	s_and_saveexec_b32 s6, vcc_lo
	s_delay_alu instid0(SALU_CYCLE_1)
	s_xor_b32 s6, exec_lo, s6
	s_cbranch_execz .LBB257_2151
; %bb.1818:
	v_bfe_u32 v5, v4, 21, 1
	s_mov_b32 s3, exec_lo
	s_delay_alu instid0(VALU_DEP_1) | instskip(NEXT) | instid1(VALU_DEP_1)
	v_add3_u32 v5, v4, v5, 0x88fffff
	v_lshrrev_b32_e32 v5, 21, v5
	s_or_saveexec_b32 s6, s6
                                        ; implicit-def: $sgpr7
	s_delay_alu instid0(SALU_CYCLE_1)
	s_xor_b32 exec_lo, exec_lo, s6
	s_cbranch_execnz .LBB257_2152
.LBB257_1819:
	s_or_b32 exec_lo, exec_lo, s6
	v_mov_b32_e32 v6, s7
	s_and_saveexec_b32 s6, s3
.LBB257_1820:
	v_lshrrev_b32_e32 v6, 24, v4
	s_delay_alu instid0(VALU_DEP_1)
	v_and_or_b32 v6, 0x80, v6, v5
.LBB257_1821:
	s_or_b32 exec_lo, exec_lo, s6
.LBB257_1822:
	s_delay_alu instid0(SALU_CYCLE_1)
	s_or_b32 exec_lo, exec_lo, s2
	s_mov_b32 s2, 0
	global_store_b8 v[2:3], v6, off
.LBB257_1823:
	s_and_b32 vcc_lo, exec_lo, s2
	s_cbranch_vccz .LBB257_1833
; %bb.1824:
	v_and_b32_e32 v6, 0x7fffffff, v4
	s_mov_b32 s2, exec_lo
                                        ; implicit-def: $vgpr5
	s_delay_alu instid0(VALU_DEP_1)
	v_cmpx_gt_u32_e32 0x43f00000, v6
	s_xor_b32 s2, exec_lo, s2
	s_cbranch_execz .LBB257_1830
; %bb.1825:
	s_mov_b32 s3, exec_lo
                                        ; implicit-def: $vgpr5
	v_cmpx_lt_u32_e32 0x3c7fffff, v6
	s_xor_b32 s3, exec_lo, s3
; %bb.1826:
	v_bfe_u32 v5, v4, 20, 1
	s_delay_alu instid0(VALU_DEP_1) | instskip(NEXT) | instid1(VALU_DEP_1)
	v_add3_u32 v5, v4, v5, 0x407ffff
	v_and_b32_e32 v6, 0xff00000, v5
	v_lshrrev_b32_e32 v5, 20, v5
	s_delay_alu instid0(VALU_DEP_2) | instskip(NEXT) | instid1(VALU_DEP_2)
	v_cmp_ne_u32_e32 vcc_lo, 0x7f00000, v6
	v_cndmask_b32_e32 v5, 0x7e, v5, vcc_lo
; %bb.1827:
	s_and_not1_saveexec_b32 s3, s3
; %bb.1828:
	v_add_f32_e64 v5, 0x46800000, |v4|
; %bb.1829:
	s_or_b32 exec_lo, exec_lo, s3
                                        ; implicit-def: $vgpr6
.LBB257_1830:
	s_and_not1_saveexec_b32 s2, s2
; %bb.1831:
	v_mov_b32_e32 v5, 0x7f
	v_cmp_lt_u32_e32 vcc_lo, 0x7f800000, v6
	s_delay_alu instid0(VALU_DEP_2)
	v_cndmask_b32_e32 v5, 0x7e, v5, vcc_lo
; %bb.1832:
	s_or_b32 exec_lo, exec_lo, s2
	v_lshrrev_b32_e32 v6, 24, v4
	s_delay_alu instid0(VALU_DEP_1)
	v_and_or_b32 v5, 0x80, v6, v5
	global_store_b8 v[2:3], v5, off
.LBB257_1833:
	s_mov_b32 s2, 0
.LBB257_1834:
	s_delay_alu instid0(SALU_CYCLE_1)
	s_and_not1_b32 vcc_lo, exec_lo, s2
	s_cbranch_vccnz .LBB257_1844
; %bb.1835:
	v_and_b32_e32 v6, 0x7fffffff, v4
	s_mov_b32 s2, exec_lo
                                        ; implicit-def: $vgpr5
	s_delay_alu instid0(VALU_DEP_1)
	v_cmpx_gt_u32_e32 0x47800000, v6
	s_xor_b32 s2, exec_lo, s2
	s_cbranch_execz .LBB257_1841
; %bb.1836:
	s_mov_b32 s3, exec_lo
                                        ; implicit-def: $vgpr5
	v_cmpx_lt_u32_e32 0x387fffff, v6
	s_xor_b32 s3, exec_lo, s3
; %bb.1837:
	v_bfe_u32 v5, v4, 21, 1
	s_delay_alu instid0(VALU_DEP_1) | instskip(NEXT) | instid1(VALU_DEP_1)
	v_add3_u32 v5, v4, v5, 0x80fffff
	v_lshrrev_b32_e32 v5, 21, v5
; %bb.1838:
	s_and_not1_saveexec_b32 s3, s3
; %bb.1839:
	v_add_f32_e64 v5, 0x43000000, |v4|
; %bb.1840:
	s_or_b32 exec_lo, exec_lo, s3
                                        ; implicit-def: $vgpr6
.LBB257_1841:
	s_and_not1_saveexec_b32 s2, s2
; %bb.1842:
	v_mov_b32_e32 v5, 0x7f
	v_cmp_lt_u32_e32 vcc_lo, 0x7f800000, v6
	s_delay_alu instid0(VALU_DEP_2)
	v_cndmask_b32_e32 v5, 0x7c, v5, vcc_lo
; %bb.1843:
	s_or_b32 exec_lo, exec_lo, s2
	v_lshrrev_b32_e32 v6, 24, v4
	s_delay_alu instid0(VALU_DEP_1)
	v_and_or_b32 v5, 0x80, v6, v5
	global_store_b8 v[2:3], v5, off
.LBB257_1844:
	s_mov_b32 s2, 0
	s_mov_b32 s3, -1
.LBB257_1845:
	s_and_not1_b32 vcc_lo, exec_lo, s2
	s_mov_b32 s2, 0
	s_cbranch_vccnz .LBB257_1852
; %bb.1846:
	v_cmp_lt_i16_e32 vcc_lo, 14, v7
	s_mov_b32 s2, -1
	s_cbranch_vccz .LBB257_1850
; %bb.1847:
	v_cmp_eq_u16_e32 vcc_lo, 15, v7
	s_mov_b32 s0, -1
	s_cbranch_vccz .LBB257_1849
; %bb.1848:
	v_bfe_u32 v5, v4, 16, 1
	v_cmp_o_f32_e32 vcc_lo, v4, v4
	s_mov_b32 s0, 0
	s_mov_b32 s3, -1
	s_delay_alu instid0(VALU_DEP_2) | instskip(NEXT) | instid1(VALU_DEP_1)
	v_add3_u32 v5, v4, v5, 0x7fff
	v_lshrrev_b32_e32 v5, 16, v5
	s_delay_alu instid0(VALU_DEP_1)
	v_cndmask_b32_e32 v5, 0x7fc0, v5, vcc_lo
	global_store_b16 v[2:3], v5, off
.LBB257_1849:
	s_mov_b32 s2, 0
.LBB257_1850:
	s_delay_alu instid0(SALU_CYCLE_1)
	s_and_b32 vcc_lo, exec_lo, s2
	s_mov_b32 s2, 0
	s_cbranch_vccz .LBB257_1852
; %bb.1851:
	v_cmp_ne_u16_e64 s0, 11, v7
	s_mov_b32 s2, -1
.LBB257_1852:
	s_delay_alu instid0(VALU_DEP_1)
	s_and_b32 vcc_lo, exec_lo, s0
	s_cbranch_vccnz .LBB257_2149
; %bb.1853:
	s_and_not1_b32 vcc_lo, exec_lo, s2
	s_cbranch_vccnz .LBB257_1855
.LBB257_1854:
	v_cmp_neq_f32_e32 vcc_lo, 0, v4
	s_mov_b32 s3, -1
	v_cndmask_b32_e64 v5, 0, 1, vcc_lo
	global_store_b8 v[2:3], v5, off
.LBB257_1855:
	s_mov_b32 s2, 0
.LBB257_1856:
	s_delay_alu instid0(SALU_CYCLE_1)
	s_and_b32 vcc_lo, exec_lo, s2
	s_cbranch_vccz .LBB257_1895
; %bb.1857:
	v_cmp_gt_i16_e32 vcc_lo, 5, v7
	s_mov_b32 s0, -1
	s_cbranch_vccnz .LBB257_1878
; %bb.1858:
	v_cmp_gt_i16_e32 vcc_lo, 8, v7
	s_cbranch_vccnz .LBB257_1868
; %bb.1859:
	v_cmp_gt_i16_e32 vcc_lo, 9, v7
	s_cbranch_vccnz .LBB257_1865
; %bb.1860:
	v_cmp_lt_i16_e32 vcc_lo, 9, v7
	s_cbranch_vccz .LBB257_1862
; %bb.1861:
	v_cvt_f64_f32_e32 v[11:12], v4
	v_mov_b32_e32 v13, 0
	s_mov_b32 s0, 0
	s_delay_alu instid0(VALU_DEP_1)
	v_mov_b32_e32 v14, v13
	global_store_b128 v[2:3], v[11:14], off
.LBB257_1862:
	s_and_not1_b32 vcc_lo, exec_lo, s0
	s_cbranch_vccnz .LBB257_1864
; %bb.1863:
	v_mov_b32_e32 v5, 0
	global_store_b64 v[2:3], v[4:5], off
.LBB257_1864:
	s_mov_b32 s0, 0
.LBB257_1865:
	s_delay_alu instid0(SALU_CYCLE_1)
	s_and_not1_b32 vcc_lo, exec_lo, s0
	s_cbranch_vccnz .LBB257_1867
; %bb.1866:
	v_cvt_f16_f32_e32 v5, v4
	s_delay_alu instid0(VALU_DEP_1)
	v_and_b32_e32 v5, 0xffff, v5
	global_store_b32 v[2:3], v5, off
.LBB257_1867:
	s_mov_b32 s0, 0
.LBB257_1868:
	s_delay_alu instid0(SALU_CYCLE_1)
	s_and_not1_b32 vcc_lo, exec_lo, s0
	s_cbranch_vccnz .LBB257_1877
; %bb.1869:
	v_cmp_gt_i16_e32 vcc_lo, 6, v7
	s_mov_b32 s0, -1
	s_cbranch_vccnz .LBB257_1875
; %bb.1870:
	v_cmp_lt_i16_e32 vcc_lo, 6, v7
	s_cbranch_vccz .LBB257_1872
; %bb.1871:
	v_cvt_f64_f32_e32 v[5:6], v4
	s_mov_b32 s0, 0
	global_store_b64 v[2:3], v[5:6], off
.LBB257_1872:
	s_and_not1_b32 vcc_lo, exec_lo, s0
	s_cbranch_vccnz .LBB257_1874
; %bb.1873:
	global_store_b32 v[2:3], v4, off
.LBB257_1874:
	s_mov_b32 s0, 0
.LBB257_1875:
	s_delay_alu instid0(SALU_CYCLE_1)
	s_and_not1_b32 vcc_lo, exec_lo, s0
	s_cbranch_vccnz .LBB257_1877
; %bb.1876:
	v_cvt_f16_f32_e32 v5, v4
	global_store_b16 v[2:3], v5, off
.LBB257_1877:
	s_mov_b32 s0, 0
.LBB257_1878:
	s_delay_alu instid0(SALU_CYCLE_1)
	s_and_not1_b32 vcc_lo, exec_lo, s0
	s_cbranch_vccnz .LBB257_1894
; %bb.1879:
	v_cmp_gt_i16_e32 vcc_lo, 2, v7
	s_mov_b32 s0, -1
	s_cbranch_vccnz .LBB257_1889
; %bb.1880:
	v_cmp_gt_i16_e32 vcc_lo, 3, v7
	s_cbranch_vccnz .LBB257_1886
; %bb.1881:
	v_cmp_lt_i16_e32 vcc_lo, 3, v7
	s_cbranch_vccz .LBB257_1883
; %bb.1882:
	v_trunc_f32_e32 v5, v4
	s_mov_b32 s0, 0
	s_delay_alu instid0(VALU_DEP_1) | instskip(SKIP_1) | instid1(VALU_DEP_2)
	v_mul_f32_e64 v6, 0x2f800000, |v5|
	v_ashrrev_i32_e32 v11, 31, v5
	v_floor_f32_e32 v6, v6
	s_delay_alu instid0(VALU_DEP_1) | instskip(SKIP_1) | instid1(VALU_DEP_2)
	v_fma_f32 v9, 0xcf800000, v6, |v5|
	v_cvt_u32_f32_e32 v6, v6
	v_cvt_u32_f32_e32 v5, v9
	s_delay_alu instid0(VALU_DEP_2) | instskip(NEXT) | instid1(VALU_DEP_2)
	v_xor_b32_e32 v6, v6, v11
	v_xor_b32_e32 v5, v5, v11
	s_delay_alu instid0(VALU_DEP_1) | instskip(NEXT) | instid1(VALU_DEP_3)
	v_sub_co_u32 v5, vcc_lo, v5, v11
	v_sub_co_ci_u32_e32 v6, vcc_lo, v6, v11, vcc_lo
	global_store_b64 v[2:3], v[5:6], off
.LBB257_1883:
	s_and_not1_b32 vcc_lo, exec_lo, s0
	s_cbranch_vccnz .LBB257_1885
; %bb.1884:
	v_cvt_i32_f32_e32 v5, v4
	global_store_b32 v[2:3], v5, off
.LBB257_1885:
	s_mov_b32 s0, 0
.LBB257_1886:
	s_delay_alu instid0(SALU_CYCLE_1)
	s_and_not1_b32 vcc_lo, exec_lo, s0
	s_cbranch_vccnz .LBB257_1888
; %bb.1887:
	v_cvt_i32_f32_e32 v5, v4
	global_store_b16 v[2:3], v5, off
.LBB257_1888:
	s_mov_b32 s0, 0
.LBB257_1889:
	s_delay_alu instid0(SALU_CYCLE_1)
	s_and_not1_b32 vcc_lo, exec_lo, s0
	s_cbranch_vccnz .LBB257_1894
; %bb.1890:
	v_cmp_lt_i16_e32 vcc_lo, 0, v7
	s_mov_b32 s0, -1
	s_cbranch_vccz .LBB257_1892
; %bb.1891:
	v_cvt_i32_f32_e32 v5, v4
	s_mov_b32 s0, 0
	global_store_b8 v[2:3], v5, off
.LBB257_1892:
	s_and_not1_b32 vcc_lo, exec_lo, s0
	s_cbranch_vccnz .LBB257_1894
; %bb.1893:
	v_trunc_f32_e32 v4, v4
	s_delay_alu instid0(VALU_DEP_1) | instskip(NEXT) | instid1(VALU_DEP_1)
	v_mul_f32_e64 v5, 0x2f800000, |v4|
	v_floor_f32_e32 v5, v5
	s_delay_alu instid0(VALU_DEP_1) | instskip(SKIP_1) | instid1(VALU_DEP_2)
	v_fma_f32 v5, 0xcf800000, v5, |v4|
	v_ashrrev_i32_e32 v4, 31, v4
	v_cvt_u32_f32_e32 v5, v5
	s_delay_alu instid0(VALU_DEP_1) | instskip(NEXT) | instid1(VALU_DEP_1)
	v_xor_b32_e32 v5, v5, v4
	v_sub_nc_u32_e32 v4, v5, v4
	global_store_b8 v[2:3], v4, off
.LBB257_1894:
	s_mov_b32 s3, -1
.LBB257_1895:
	s_delay_alu instid0(SALU_CYCLE_1)
	s_and_not1_b32 vcc_lo, exec_lo, s3
	s_cbranch_vccnz .LBB257_2090
; %bb.1896:
	v_mul_f32_e32 v2, 0x4f800000, v10
	v_cmp_gt_f32_e32 vcc_lo, 0xf800000, v10
	v_add_co_u32 v1, s3, s4, v1
	s_mov_b32 s2, -1
	s_delay_alu instid0(VALU_DEP_3) | instskip(NEXT) | instid1(VALU_DEP_1)
	v_cndmask_b32_e32 v3, v10, v2, vcc_lo
	v_sqrt_f32_e32 v2, v3
	s_waitcnt_depctr 0xfff
	v_add_nc_u32_e32 v4, -1, v2
	v_add_nc_u32_e32 v5, 1, v2
	s_delay_alu instid0(VALU_DEP_2) | instskip(NEXT) | instid1(VALU_DEP_2)
	v_fma_f32 v6, -v4, v2, v3
	v_fma_f32 v9, -v5, v2, v3
	s_delay_alu instid0(VALU_DEP_2) | instskip(NEXT) | instid1(VALU_DEP_1)
	v_cmp_ge_f32_e64 s0, 0, v6
	v_cndmask_b32_e64 v2, v2, v4, s0
	s_delay_alu instid0(VALU_DEP_3) | instskip(NEXT) | instid1(VALU_DEP_1)
	v_cmp_lt_f32_e64 s0, 0, v9
	v_cndmask_b32_e64 v2, v2, v5, s0
	v_cmp_gt_i16_e64 s0, 11, v7
	s_delay_alu instid0(VALU_DEP_2) | instskip(NEXT) | instid1(VALU_DEP_1)
	v_mul_f32_e32 v4, 0x37800000, v2
	v_cndmask_b32_e32 v4, v2, v4, vcc_lo
	v_cmp_class_f32_e64 vcc_lo, v3, 0x260
	v_add_co_ci_u32_e64 v2, null, s5, 0, s3
	s_mov_b32 s3, 0
	s_delay_alu instid0(VALU_DEP_3)
	v_cndmask_b32_e32 v3, v4, v3, vcc_lo
	s_and_b32 vcc_lo, exec_lo, s0
	s_cbranch_vccnz .LBB257_1974
; %bb.1897:
	v_cmp_lt_i16_e32 vcc_lo, 25, v7
	s_mov_b32 s6, -1
	s_mov_b32 s2, 0
	s_mov_b32 s0, 0
	s_cbranch_vccz .LBB257_1930
; %bb.1898:
	v_cmp_lt_i16_e32 vcc_lo, 28, v7
	s_cbranch_vccz .LBB257_1913
; %bb.1899:
	v_cmp_lt_i16_e32 vcc_lo, 43, v7
	;; [unrolled: 3-line block ×3, first 2 shown]
	s_cbranch_vccz .LBB257_1903
; %bb.1901:
	v_cmp_eq_u16_e32 vcc_lo, 46, v7
	s_mov_b32 s0, -1
	s_mov_b32 s6, 0
	s_cbranch_vccz .LBB257_1903
; %bb.1902:
	v_bfe_u32 v4, v3, 16, 1
	v_cmp_o_f32_e32 vcc_lo, v3, v3
	s_mov_b32 s0, 0
	s_mov_b32 s3, -1
	s_delay_alu instid0(VALU_DEP_2) | instskip(NEXT) | instid1(VALU_DEP_1)
	v_add3_u32 v4, v3, v4, 0x7fff
	v_lshrrev_b32_e32 v4, 16, v4
	s_delay_alu instid0(VALU_DEP_1)
	v_cndmask_b32_e32 v4, 0x7fc0, v4, vcc_lo
	global_store_b32 v[1:2], v4, off
.LBB257_1903:
	s_and_b32 vcc_lo, exec_lo, s6
	s_cbranch_vccz .LBB257_1908
; %bb.1904:
	v_cmp_eq_u16_e32 vcc_lo, 44, v7
	s_mov_b32 s0, -1
	s_cbranch_vccz .LBB257_1908
; %bb.1905:
	v_bfe_u32 v5, v3, 23, 8
	v_mov_b32_e32 v4, 0xff
	s_mov_b32 s3, exec_lo
	s_delay_alu instid0(VALU_DEP_2)
	v_cmpx_ne_u32_e32 0xff, v5
; %bb.1906:
	v_and_b32_e32 v4, 0x400000, v3
	v_and_or_b32 v5, 0x3fffff, v3, v5
	s_delay_alu instid0(VALU_DEP_2) | instskip(NEXT) | instid1(VALU_DEP_2)
	v_cmp_ne_u32_e32 vcc_lo, 0, v4
	v_cmp_ne_u32_e64 s0, 0, v5
	v_lshrrev_b32_e32 v4, 23, v3
	s_delay_alu instid0(VALU_DEP_2) | instskip(NEXT) | instid1(SALU_CYCLE_1)
	s_and_b32 s0, vcc_lo, s0
	v_cndmask_b32_e64 v5, 0, 1, s0
	s_delay_alu instid0(VALU_DEP_1)
	v_add_nc_u32_e32 v4, v4, v5
; %bb.1907:
	s_or_b32 exec_lo, exec_lo, s3
	s_mov_b32 s0, 0
	s_mov_b32 s3, -1
	global_store_b8 v[1:2], v4, off
.LBB257_1908:
	s_mov_b32 s6, 0
.LBB257_1909:
	s_delay_alu instid0(SALU_CYCLE_1)
	s_and_b32 vcc_lo, exec_lo, s6
	s_cbranch_vccz .LBB257_1912
; %bb.1910:
	v_cmp_eq_u16_e32 vcc_lo, 29, v7
	s_mov_b32 s0, -1
	s_cbranch_vccz .LBB257_1912
; %bb.1911:
	v_trunc_f32_e32 v4, v3
	s_mov_b32 s0, 0
	s_mov_b32 s3, -1
	s_delay_alu instid0(VALU_DEP_1) | instskip(NEXT) | instid1(VALU_DEP_1)
	v_mul_f32_e32 v5, 0x2f800000, v4
	v_floor_f32_e32 v5, v5
	s_delay_alu instid0(VALU_DEP_1) | instskip(SKIP_1) | instid1(VALU_DEP_2)
	v_fmamk_f32 v4, v5, 0xcf800000, v4
	v_cvt_u32_f32_e32 v5, v5
	v_cvt_u32_f32_e32 v4, v4
	global_store_b64 v[1:2], v[4:5], off
.LBB257_1912:
	s_mov_b32 s6, 0
.LBB257_1913:
	s_delay_alu instid0(SALU_CYCLE_1)
	s_and_b32 vcc_lo, exec_lo, s6
	s_cbranch_vccz .LBB257_1929
; %bb.1914:
	v_cmp_gt_i16_e32 vcc_lo, 27, v7
	s_mov_b32 s3, -1
	s_cbranch_vccnz .LBB257_1920
; %bb.1915:
	v_cmp_lt_i16_e32 vcc_lo, 27, v7
	v_cvt_u32_f32_e32 v4, v3
	s_cbranch_vccz .LBB257_1917
; %bb.1916:
	s_mov_b32 s3, 0
	global_store_b32 v[1:2], v4, off
.LBB257_1917:
	s_and_not1_b32 vcc_lo, exec_lo, s3
	s_cbranch_vccnz .LBB257_1919
; %bb.1918:
	global_store_b16 v[1:2], v4, off
.LBB257_1919:
	s_mov_b32 s3, 0
.LBB257_1920:
	s_delay_alu instid0(SALU_CYCLE_1)
	s_and_not1_b32 vcc_lo, exec_lo, s3
	s_cbranch_vccnz .LBB257_1928
; %bb.1921:
	v_and_b32_e32 v4, 0x7fffffff, v3
	v_mov_b32_e32 v5, 0x80
	s_mov_b32 s3, exec_lo
	s_delay_alu instid0(VALU_DEP_2)
	v_cmpx_gt_u32_e32 0x43800000, v4
	s_cbranch_execz .LBB257_1927
; %bb.1922:
	v_cmp_lt_u32_e32 vcc_lo, 0x3bffffff, v4
	s_mov_b32 s6, 0
                                        ; implicit-def: $vgpr4
	s_and_saveexec_b32 s7, vcc_lo
	s_delay_alu instid0(SALU_CYCLE_1)
	s_xor_b32 s7, exec_lo, s7
	s_cbranch_execz .LBB257_2153
; %bb.1923:
	v_bfe_u32 v4, v3, 20, 1
	s_mov_b32 s6, exec_lo
	s_delay_alu instid0(VALU_DEP_1) | instskip(NEXT) | instid1(VALU_DEP_1)
	v_add3_u32 v4, v3, v4, 0x487ffff
	v_lshrrev_b32_e32 v4, 20, v4
	s_or_saveexec_b32 s7, s7
                                        ; implicit-def: $sgpr10
	s_delay_alu instid0(SALU_CYCLE_1)
	s_xor_b32 exec_lo, exec_lo, s7
	s_cbranch_execnz .LBB257_2154
.LBB257_1924:
	s_or_b32 exec_lo, exec_lo, s7
	v_mov_b32_e32 v5, s10
	s_and_saveexec_b32 s7, s6
.LBB257_1925:
	v_lshrrev_b32_e32 v5, 24, v3
	s_delay_alu instid0(VALU_DEP_1)
	v_and_or_b32 v5, 0x80, v5, v4
.LBB257_1926:
	s_or_b32 exec_lo, exec_lo, s7
.LBB257_1927:
	s_delay_alu instid0(SALU_CYCLE_1)
	s_or_b32 exec_lo, exec_lo, s3
	global_store_b8 v[1:2], v5, off
.LBB257_1928:
	s_mov_b32 s3, -1
.LBB257_1929:
	s_mov_b32 s6, 0
.LBB257_1930:
	s_delay_alu instid0(SALU_CYCLE_1)
	s_and_b32 vcc_lo, exec_lo, s6
	s_cbranch_vccz .LBB257_1970
; %bb.1931:
	v_cmp_lt_i16_e32 vcc_lo, 22, v7
	s_mov_b32 s2, -1
	s_cbranch_vccz .LBB257_1963
; %bb.1932:
	v_cmp_gt_i16_e32 vcc_lo, 24, v7
	s_cbranch_vccnz .LBB257_1952
; %bb.1933:
	v_cmp_lt_i16_e32 vcc_lo, 24, v7
	s_cbranch_vccz .LBB257_1941
; %bb.1934:
	v_and_b32_e32 v4, 0x7fffffff, v3
	v_mov_b32_e32 v5, 0x80
	s_mov_b32 s2, exec_lo
	s_delay_alu instid0(VALU_DEP_2)
	v_cmpx_gt_u32_e32 0x47800000, v4
	s_cbranch_execz .LBB257_1940
; %bb.1935:
	v_cmp_lt_u32_e32 vcc_lo, 0x37ffffff, v4
	s_mov_b32 s3, 0
                                        ; implicit-def: $vgpr4
	s_and_saveexec_b32 s6, vcc_lo
	s_delay_alu instid0(SALU_CYCLE_1)
	s_xor_b32 s6, exec_lo, s6
	s_cbranch_execz .LBB257_2159
; %bb.1936:
	v_bfe_u32 v4, v3, 21, 1
	s_mov_b32 s3, exec_lo
	s_delay_alu instid0(VALU_DEP_1) | instskip(NEXT) | instid1(VALU_DEP_1)
	v_add3_u32 v4, v3, v4, 0x88fffff
	v_lshrrev_b32_e32 v4, 21, v4
	s_or_saveexec_b32 s6, s6
                                        ; implicit-def: $sgpr7
	s_delay_alu instid0(SALU_CYCLE_1)
	s_xor_b32 exec_lo, exec_lo, s6
	s_cbranch_execnz .LBB257_2160
.LBB257_1937:
	s_or_b32 exec_lo, exec_lo, s6
	v_mov_b32_e32 v5, s7
	s_and_saveexec_b32 s6, s3
.LBB257_1938:
	v_lshrrev_b32_e32 v5, 24, v3
	s_delay_alu instid0(VALU_DEP_1)
	v_and_or_b32 v5, 0x80, v5, v4
.LBB257_1939:
	s_or_b32 exec_lo, exec_lo, s6
.LBB257_1940:
	s_delay_alu instid0(SALU_CYCLE_1)
	s_or_b32 exec_lo, exec_lo, s2
	s_mov_b32 s2, 0
	global_store_b8 v[1:2], v5, off
.LBB257_1941:
	s_and_b32 vcc_lo, exec_lo, s2
	s_cbranch_vccz .LBB257_1951
; %bb.1942:
	v_and_b32_e32 v5, 0x7fffffff, v3
	s_mov_b32 s2, exec_lo
                                        ; implicit-def: $vgpr4
	s_delay_alu instid0(VALU_DEP_1)
	v_cmpx_gt_u32_e32 0x43f00000, v5
	s_xor_b32 s2, exec_lo, s2
	s_cbranch_execz .LBB257_1948
; %bb.1943:
	s_mov_b32 s3, exec_lo
                                        ; implicit-def: $vgpr4
	v_cmpx_lt_u32_e32 0x3c7fffff, v5
	s_xor_b32 s3, exec_lo, s3
; %bb.1944:
	v_bfe_u32 v4, v3, 20, 1
	s_delay_alu instid0(VALU_DEP_1) | instskip(NEXT) | instid1(VALU_DEP_1)
	v_add3_u32 v4, v3, v4, 0x407ffff
	v_and_b32_e32 v5, 0xff00000, v4
	v_lshrrev_b32_e32 v4, 20, v4
	s_delay_alu instid0(VALU_DEP_2) | instskip(NEXT) | instid1(VALU_DEP_2)
	v_cmp_ne_u32_e32 vcc_lo, 0x7f00000, v5
	v_cndmask_b32_e32 v4, 0x7e, v4, vcc_lo
; %bb.1945:
	s_and_not1_saveexec_b32 s3, s3
; %bb.1946:
	v_add_f32_e64 v4, 0x46800000, |v3|
; %bb.1947:
	s_or_b32 exec_lo, exec_lo, s3
                                        ; implicit-def: $vgpr5
.LBB257_1948:
	s_and_not1_saveexec_b32 s2, s2
; %bb.1949:
	v_mov_b32_e32 v4, 0x7f
	v_cmp_lt_u32_e32 vcc_lo, 0x7f800000, v5
	s_delay_alu instid0(VALU_DEP_2)
	v_cndmask_b32_e32 v4, 0x7e, v4, vcc_lo
; %bb.1950:
	s_or_b32 exec_lo, exec_lo, s2
	v_lshrrev_b32_e32 v5, 24, v3
	s_delay_alu instid0(VALU_DEP_1)
	v_and_or_b32 v4, 0x80, v5, v4
	global_store_b8 v[1:2], v4, off
.LBB257_1951:
	s_mov_b32 s2, 0
.LBB257_1952:
	s_delay_alu instid0(SALU_CYCLE_1)
	s_and_not1_b32 vcc_lo, exec_lo, s2
	s_cbranch_vccnz .LBB257_1962
; %bb.1953:
	v_and_b32_e32 v5, 0x7fffffff, v3
	s_mov_b32 s2, exec_lo
                                        ; implicit-def: $vgpr4
	s_delay_alu instid0(VALU_DEP_1)
	v_cmpx_gt_u32_e32 0x47800000, v5
	s_xor_b32 s2, exec_lo, s2
	s_cbranch_execz .LBB257_1959
; %bb.1954:
	s_mov_b32 s3, exec_lo
                                        ; implicit-def: $vgpr4
	v_cmpx_lt_u32_e32 0x387fffff, v5
	s_xor_b32 s3, exec_lo, s3
; %bb.1955:
	v_bfe_u32 v4, v3, 21, 1
	s_delay_alu instid0(VALU_DEP_1) | instskip(NEXT) | instid1(VALU_DEP_1)
	v_add3_u32 v4, v3, v4, 0x80fffff
	v_lshrrev_b32_e32 v4, 21, v4
; %bb.1956:
	s_and_not1_saveexec_b32 s3, s3
; %bb.1957:
	v_add_f32_e64 v4, 0x43000000, |v3|
; %bb.1958:
	s_or_b32 exec_lo, exec_lo, s3
                                        ; implicit-def: $vgpr5
.LBB257_1959:
	s_and_not1_saveexec_b32 s2, s2
; %bb.1960:
	v_mov_b32_e32 v4, 0x7f
	v_cmp_lt_u32_e32 vcc_lo, 0x7f800000, v5
	s_delay_alu instid0(VALU_DEP_2)
	v_cndmask_b32_e32 v4, 0x7c, v4, vcc_lo
; %bb.1961:
	s_or_b32 exec_lo, exec_lo, s2
	v_lshrrev_b32_e32 v5, 24, v3
	s_delay_alu instid0(VALU_DEP_1)
	v_and_or_b32 v4, 0x80, v5, v4
	global_store_b8 v[1:2], v4, off
.LBB257_1962:
	s_mov_b32 s2, 0
	s_mov_b32 s3, -1
.LBB257_1963:
	s_and_not1_b32 vcc_lo, exec_lo, s2
	s_mov_b32 s2, 0
	s_cbranch_vccnz .LBB257_1970
; %bb.1964:
	v_cmp_lt_i16_e32 vcc_lo, 14, v7
	s_mov_b32 s2, -1
	s_cbranch_vccz .LBB257_1968
; %bb.1965:
	v_cmp_eq_u16_e32 vcc_lo, 15, v7
	s_mov_b32 s0, -1
	s_cbranch_vccz .LBB257_1967
; %bb.1966:
	v_bfe_u32 v4, v3, 16, 1
	v_cmp_o_f32_e32 vcc_lo, v3, v3
	s_mov_b32 s0, 0
	s_mov_b32 s3, -1
	s_delay_alu instid0(VALU_DEP_2) | instskip(NEXT) | instid1(VALU_DEP_1)
	v_add3_u32 v4, v3, v4, 0x7fff
	v_lshrrev_b32_e32 v4, 16, v4
	s_delay_alu instid0(VALU_DEP_1)
	v_cndmask_b32_e32 v4, 0x7fc0, v4, vcc_lo
	global_store_b16 v[1:2], v4, off
.LBB257_1967:
	s_mov_b32 s2, 0
.LBB257_1968:
	s_delay_alu instid0(SALU_CYCLE_1)
	s_and_b32 vcc_lo, exec_lo, s2
	s_mov_b32 s2, 0
	s_cbranch_vccz .LBB257_1970
; %bb.1969:
	v_cmp_ne_u16_e64 s0, 11, v7
	s_mov_b32 s2, -1
.LBB257_1970:
	s_delay_alu instid0(VALU_DEP_1)
	s_and_b32 vcc_lo, exec_lo, s0
	s_cbranch_vccnz .LBB257_2157
; %bb.1971:
	s_and_not1_b32 vcc_lo, exec_lo, s2
	s_cbranch_vccnz .LBB257_1973
.LBB257_1972:
	v_cmp_neq_f32_e32 vcc_lo, 0, v3
	s_mov_b32 s3, -1
	v_cndmask_b32_e64 v4, 0, 1, vcc_lo
	global_store_b8 v[1:2], v4, off
.LBB257_1973:
	s_mov_b32 s2, 0
.LBB257_1974:
	s_delay_alu instid0(SALU_CYCLE_1)
	s_and_b32 vcc_lo, exec_lo, s2
	s_cbranch_vccz .LBB257_2013
; %bb.1975:
	v_cmp_gt_i16_e32 vcc_lo, 5, v7
	s_mov_b32 s0, -1
	s_cbranch_vccnz .LBB257_1996
; %bb.1976:
	v_cmp_gt_i16_e32 vcc_lo, 8, v7
	s_cbranch_vccnz .LBB257_1986
; %bb.1977:
	v_cmp_gt_i16_e32 vcc_lo, 9, v7
	s_cbranch_vccnz .LBB257_1983
; %bb.1978:
	v_cmp_lt_i16_e32 vcc_lo, 9, v7
	s_cbranch_vccz .LBB257_1980
; %bb.1979:
	v_cvt_f64_f32_e32 v[9:10], v3
	v_mov_b32_e32 v11, 0
	s_mov_b32 s0, 0
	s_delay_alu instid0(VALU_DEP_1)
	v_mov_b32_e32 v12, v11
	global_store_b128 v[1:2], v[9:12], off
.LBB257_1980:
	s_and_not1_b32 vcc_lo, exec_lo, s0
	s_cbranch_vccnz .LBB257_1982
; %bb.1981:
	v_mov_b32_e32 v4, 0
	global_store_b64 v[1:2], v[3:4], off
.LBB257_1982:
	s_mov_b32 s0, 0
.LBB257_1983:
	s_delay_alu instid0(SALU_CYCLE_1)
	s_and_not1_b32 vcc_lo, exec_lo, s0
	s_cbranch_vccnz .LBB257_1985
; %bb.1984:
	v_cvt_f16_f32_e32 v4, v3
	s_delay_alu instid0(VALU_DEP_1)
	v_and_b32_e32 v4, 0xffff, v4
	global_store_b32 v[1:2], v4, off
.LBB257_1985:
	s_mov_b32 s0, 0
.LBB257_1986:
	s_delay_alu instid0(SALU_CYCLE_1)
	s_and_not1_b32 vcc_lo, exec_lo, s0
	s_cbranch_vccnz .LBB257_1995
; %bb.1987:
	v_cmp_gt_i16_e32 vcc_lo, 6, v7
	s_mov_b32 s0, -1
	s_cbranch_vccnz .LBB257_1993
; %bb.1988:
	v_cmp_lt_i16_e32 vcc_lo, 6, v7
	s_cbranch_vccz .LBB257_1990
; %bb.1989:
	v_cvt_f64_f32_e32 v[4:5], v3
	s_mov_b32 s0, 0
	global_store_b64 v[1:2], v[4:5], off
.LBB257_1990:
	s_and_not1_b32 vcc_lo, exec_lo, s0
	s_cbranch_vccnz .LBB257_1992
; %bb.1991:
	global_store_b32 v[1:2], v3, off
.LBB257_1992:
	s_mov_b32 s0, 0
.LBB257_1993:
	s_delay_alu instid0(SALU_CYCLE_1)
	s_and_not1_b32 vcc_lo, exec_lo, s0
	s_cbranch_vccnz .LBB257_1995
; %bb.1994:
	v_cvt_f16_f32_e32 v4, v3
	global_store_b16 v[1:2], v4, off
.LBB257_1995:
	s_mov_b32 s0, 0
.LBB257_1996:
	s_delay_alu instid0(SALU_CYCLE_1)
	s_and_not1_b32 vcc_lo, exec_lo, s0
	s_cbranch_vccnz .LBB257_2012
; %bb.1997:
	v_cmp_gt_i16_e32 vcc_lo, 2, v7
	s_mov_b32 s0, -1
	s_cbranch_vccnz .LBB257_2007
; %bb.1998:
	v_cmp_gt_i16_e32 vcc_lo, 3, v7
	s_cbranch_vccnz .LBB257_2004
; %bb.1999:
	v_cmp_lt_i16_e32 vcc_lo, 3, v7
	s_cbranch_vccz .LBB257_2001
; %bb.2000:
	v_trunc_f32_e32 v4, v3
	s_mov_b32 s0, 0
	s_delay_alu instid0(VALU_DEP_1) | instskip(SKIP_1) | instid1(VALU_DEP_2)
	v_mul_f32_e64 v5, 0x2f800000, |v4|
	v_ashrrev_i32_e32 v9, 31, v4
	v_floor_f32_e32 v5, v5
	s_delay_alu instid0(VALU_DEP_1) | instskip(SKIP_1) | instid1(VALU_DEP_2)
	v_fma_f32 v6, 0xcf800000, v5, |v4|
	v_cvt_u32_f32_e32 v5, v5
	v_cvt_u32_f32_e32 v4, v6
	s_delay_alu instid0(VALU_DEP_2) | instskip(NEXT) | instid1(VALU_DEP_2)
	v_xor_b32_e32 v5, v5, v9
	v_xor_b32_e32 v4, v4, v9
	s_delay_alu instid0(VALU_DEP_1) | instskip(NEXT) | instid1(VALU_DEP_3)
	v_sub_co_u32 v4, vcc_lo, v4, v9
	v_sub_co_ci_u32_e32 v5, vcc_lo, v5, v9, vcc_lo
	global_store_b64 v[1:2], v[4:5], off
.LBB257_2001:
	s_and_not1_b32 vcc_lo, exec_lo, s0
	s_cbranch_vccnz .LBB257_2003
; %bb.2002:
	v_cvt_i32_f32_e32 v4, v3
	global_store_b32 v[1:2], v4, off
.LBB257_2003:
	s_mov_b32 s0, 0
.LBB257_2004:
	s_delay_alu instid0(SALU_CYCLE_1)
	s_and_not1_b32 vcc_lo, exec_lo, s0
	s_cbranch_vccnz .LBB257_2006
; %bb.2005:
	v_cvt_i32_f32_e32 v4, v3
	global_store_b16 v[1:2], v4, off
.LBB257_2006:
	s_mov_b32 s0, 0
.LBB257_2007:
	s_delay_alu instid0(SALU_CYCLE_1)
	s_and_not1_b32 vcc_lo, exec_lo, s0
	s_cbranch_vccnz .LBB257_2012
; %bb.2008:
	v_cmp_lt_i16_e32 vcc_lo, 0, v7
	s_mov_b32 s0, -1
	s_cbranch_vccz .LBB257_2010
; %bb.2009:
	v_cvt_i32_f32_e32 v4, v3
	s_mov_b32 s0, 0
	global_store_b8 v[1:2], v4, off
.LBB257_2010:
	s_and_not1_b32 vcc_lo, exec_lo, s0
	s_cbranch_vccnz .LBB257_2012
; %bb.2011:
	v_trunc_f32_e32 v3, v3
	s_delay_alu instid0(VALU_DEP_1) | instskip(NEXT) | instid1(VALU_DEP_1)
	v_mul_f32_e64 v4, 0x2f800000, |v3|
	v_floor_f32_e32 v4, v4
	s_delay_alu instid0(VALU_DEP_1) | instskip(SKIP_1) | instid1(VALU_DEP_2)
	v_fma_f32 v4, 0xcf800000, v4, |v3|
	v_ashrrev_i32_e32 v3, 31, v3
	v_cvt_u32_f32_e32 v4, v4
	s_delay_alu instid0(VALU_DEP_1) | instskip(NEXT) | instid1(VALU_DEP_1)
	v_xor_b32_e32 v4, v4, v3
	v_sub_nc_u32_e32 v3, v4, v3
	global_store_b8 v[1:2], v3, off
.LBB257_2012:
	s_mov_b32 s3, -1
.LBB257_2013:
	s_delay_alu instid0(SALU_CYCLE_1)
	s_and_not1_b32 vcc_lo, exec_lo, s3
	s_cbranch_vccnz .LBB257_2090
; %bb.2014:
	v_mul_f32_e32 v1, 0x4f800000, v8
	v_cmp_gt_f32_e32 vcc_lo, 0xf800000, v8
	v_add_co_u32 v0, s2, s4, v0
	s_mov_b32 s3, -1
	s_delay_alu instid0(VALU_DEP_3) | instskip(NEXT) | instid1(VALU_DEP_1)
	v_cndmask_b32_e32 v2, v8, v1, vcc_lo
	v_sqrt_f32_e32 v1, v2
	s_waitcnt_depctr 0xfff
	v_add_nc_u32_e32 v3, -1, v1
	v_add_nc_u32_e32 v4, 1, v1
	s_delay_alu instid0(VALU_DEP_2) | instskip(NEXT) | instid1(VALU_DEP_2)
	v_fma_f32 v5, -v3, v1, v2
	v_fma_f32 v6, -v4, v1, v2
	s_delay_alu instid0(VALU_DEP_2) | instskip(NEXT) | instid1(VALU_DEP_1)
	v_cmp_ge_f32_e64 s0, 0, v5
	v_cndmask_b32_e64 v1, v1, v3, s0
	s_delay_alu instid0(VALU_DEP_3) | instskip(NEXT) | instid1(VALU_DEP_1)
	v_cmp_lt_f32_e64 s0, 0, v6
	v_cndmask_b32_e64 v1, v1, v4, s0
	v_cmp_gt_i16_e64 s0, 11, v7
	s_delay_alu instid0(VALU_DEP_2) | instskip(NEXT) | instid1(VALU_DEP_1)
	v_mul_f32_e32 v3, 0x37800000, v1
	v_cndmask_b32_e32 v3, v1, v3, vcc_lo
	v_cmp_class_f32_e64 vcc_lo, v2, 0x260
	v_add_co_ci_u32_e64 v1, null, s5, 0, s2
	s_mov_b32 s2, 0
	s_delay_alu instid0(VALU_DEP_3)
	v_cndmask_b32_e32 v2, v3, v2, vcc_lo
	s_and_b32 vcc_lo, exec_lo, s0
	s_cbranch_vccnz .LBB257_2091
; %bb.2015:
	v_cmp_lt_i16_e32 vcc_lo, 25, v7
	s_mov_b32 s0, 0
	s_cbranch_vccz .LBB257_2048
; %bb.2016:
	v_cmp_lt_i16_e32 vcc_lo, 28, v7
	s_cbranch_vccz .LBB257_2032
; %bb.2017:
	v_cmp_lt_i16_e32 vcc_lo, 43, v7
	s_cbranch_vccz .LBB257_2028
; %bb.2018:
	v_cmp_lt_i16_e32 vcc_lo, 45, v7
	s_cbranch_vccz .LBB257_2022
; %bb.2019:
	v_cmp_eq_u16_e32 vcc_lo, 46, v7
	s_mov_b32 s0, -1
	s_cbranch_vccz .LBB257_2021
; %bb.2020:
	v_bfe_u32 v3, v2, 16, 1
	v_cmp_o_f32_e32 vcc_lo, v2, v2
	s_mov_b32 s0, 0
	s_delay_alu instid0(VALU_DEP_2) | instskip(NEXT) | instid1(VALU_DEP_1)
	v_add3_u32 v3, v2, v3, 0x7fff
	v_lshrrev_b32_e32 v3, 16, v3
	s_delay_alu instid0(VALU_DEP_1)
	v_cndmask_b32_e32 v3, 0x7fc0, v3, vcc_lo
	global_store_b32 v[0:1], v3, off
.LBB257_2021:
	s_mov_b32 s3, 0
.LBB257_2022:
	s_delay_alu instid0(SALU_CYCLE_1)
	s_and_b32 vcc_lo, exec_lo, s3
	s_cbranch_vccz .LBB257_2027
; %bb.2023:
	v_cmp_eq_u16_e32 vcc_lo, 44, v7
	s_mov_b32 s0, -1
	s_cbranch_vccz .LBB257_2027
; %bb.2024:
	v_bfe_u32 v4, v2, 23, 8
	v_mov_b32_e32 v3, 0xff
	s_mov_b32 s3, exec_lo
	s_delay_alu instid0(VALU_DEP_2)
	v_cmpx_ne_u32_e32 0xff, v4
; %bb.2025:
	v_and_b32_e32 v3, 0x400000, v2
	v_and_or_b32 v4, 0x3fffff, v2, v4
	s_delay_alu instid0(VALU_DEP_2) | instskip(NEXT) | instid1(VALU_DEP_2)
	v_cmp_ne_u32_e32 vcc_lo, 0, v3
	v_cmp_ne_u32_e64 s0, 0, v4
	v_lshrrev_b32_e32 v3, 23, v2
	s_delay_alu instid0(VALU_DEP_2) | instskip(NEXT) | instid1(SALU_CYCLE_1)
	s_and_b32 s0, vcc_lo, s0
	v_cndmask_b32_e64 v4, 0, 1, s0
	s_delay_alu instid0(VALU_DEP_1)
	v_add_nc_u32_e32 v3, v3, v4
; %bb.2026:
	s_or_b32 exec_lo, exec_lo, s3
	s_mov_b32 s0, 0
	global_store_b8 v[0:1], v3, off
.LBB257_2027:
	s_mov_b32 s3, 0
.LBB257_2028:
	s_delay_alu instid0(SALU_CYCLE_1)
	s_and_b32 vcc_lo, exec_lo, s3
	s_cbranch_vccz .LBB257_2031
; %bb.2029:
	v_cmp_eq_u16_e32 vcc_lo, 29, v7
	s_mov_b32 s0, -1
	s_cbranch_vccz .LBB257_2031
; %bb.2030:
	v_trunc_f32_e32 v3, v2
	s_mov_b32 s0, 0
	s_delay_alu instid0(VALU_DEP_1) | instskip(NEXT) | instid1(VALU_DEP_1)
	v_mul_f32_e32 v4, 0x2f800000, v3
	v_floor_f32_e32 v4, v4
	s_delay_alu instid0(VALU_DEP_1) | instskip(SKIP_1) | instid1(VALU_DEP_2)
	v_fmamk_f32 v3, v4, 0xcf800000, v3
	v_cvt_u32_f32_e32 v4, v4
	v_cvt_u32_f32_e32 v3, v3
	global_store_b64 v[0:1], v[3:4], off
.LBB257_2031:
	s_mov_b32 s3, 0
.LBB257_2032:
	s_delay_alu instid0(SALU_CYCLE_1)
	s_and_b32 vcc_lo, exec_lo, s3
	s_cbranch_vccz .LBB257_2047
; %bb.2033:
	v_cmp_gt_i16_e32 vcc_lo, 27, v7
	s_mov_b32 s3, -1
	s_cbranch_vccnz .LBB257_2039
; %bb.2034:
	v_cmp_lt_i16_e32 vcc_lo, 27, v7
	v_cvt_u32_f32_e32 v3, v2
	s_cbranch_vccz .LBB257_2036
; %bb.2035:
	s_mov_b32 s3, 0
	global_store_b32 v[0:1], v3, off
.LBB257_2036:
	s_and_not1_b32 vcc_lo, exec_lo, s3
	s_cbranch_vccnz .LBB257_2038
; %bb.2037:
	global_store_b16 v[0:1], v3, off
.LBB257_2038:
	s_mov_b32 s3, 0
.LBB257_2039:
	s_delay_alu instid0(SALU_CYCLE_1)
	s_and_not1_b32 vcc_lo, exec_lo, s3
	s_cbranch_vccnz .LBB257_2047
; %bb.2040:
	v_and_b32_e32 v3, 0x7fffffff, v2
	v_mov_b32_e32 v4, 0x80
	s_mov_b32 s3, exec_lo
	s_delay_alu instid0(VALU_DEP_2)
	v_cmpx_gt_u32_e32 0x43800000, v3
	s_cbranch_execz .LBB257_2046
; %bb.2041:
	v_cmp_lt_u32_e32 vcc_lo, 0x3bffffff, v3
	s_mov_b32 s4, 0
                                        ; implicit-def: $vgpr3
	s_and_saveexec_b32 s5, vcc_lo
	s_delay_alu instid0(SALU_CYCLE_1)
	s_xor_b32 s5, exec_lo, s5
	s_cbranch_execz .LBB257_2161
; %bb.2042:
	v_bfe_u32 v3, v2, 20, 1
	s_mov_b32 s4, exec_lo
	s_delay_alu instid0(VALU_DEP_1) | instskip(NEXT) | instid1(VALU_DEP_1)
	v_add3_u32 v3, v2, v3, 0x487ffff
	v_lshrrev_b32_e32 v3, 20, v3
	s_or_saveexec_b32 s5, s5
                                        ; implicit-def: $sgpr6
	s_delay_alu instid0(SALU_CYCLE_1)
	s_xor_b32 exec_lo, exec_lo, s5
	s_cbranch_execnz .LBB257_2162
.LBB257_2043:
	s_or_b32 exec_lo, exec_lo, s5
	v_mov_b32_e32 v4, s6
	s_and_saveexec_b32 s5, s4
.LBB257_2044:
	v_lshrrev_b32_e32 v4, 24, v2
	s_delay_alu instid0(VALU_DEP_1)
	v_and_or_b32 v4, 0x80, v4, v3
.LBB257_2045:
	s_or_b32 exec_lo, exec_lo, s5
.LBB257_2046:
	s_delay_alu instid0(SALU_CYCLE_1)
	s_or_b32 exec_lo, exec_lo, s3
	global_store_b8 v[0:1], v4, off
.LBB257_2047:
	s_mov_b32 s3, 0
.LBB257_2048:
	s_delay_alu instid0(SALU_CYCLE_1)
	s_and_b32 vcc_lo, exec_lo, s3
	s_cbranch_vccz .LBB257_2088
; %bb.2049:
	v_cmp_lt_i16_e32 vcc_lo, 22, v7
	s_mov_b32 s2, -1
	s_cbranch_vccz .LBB257_2081
; %bb.2050:
	v_cmp_gt_i16_e32 vcc_lo, 24, v7
	s_cbranch_vccnz .LBB257_2070
; %bb.2051:
	v_cmp_lt_i16_e32 vcc_lo, 24, v7
	s_cbranch_vccz .LBB257_2059
; %bb.2052:
	v_and_b32_e32 v3, 0x7fffffff, v2
	v_mov_b32_e32 v4, 0x80
	s_mov_b32 s2, exec_lo
	s_delay_alu instid0(VALU_DEP_2)
	v_cmpx_gt_u32_e32 0x47800000, v3
	s_cbranch_execz .LBB257_2058
; %bb.2053:
	v_cmp_lt_u32_e32 vcc_lo, 0x37ffffff, v3
	s_mov_b32 s3, 0
                                        ; implicit-def: $vgpr3
	s_and_saveexec_b32 s4, vcc_lo
	s_delay_alu instid0(SALU_CYCLE_1)
	s_xor_b32 s4, exec_lo, s4
	s_cbranch_execz .LBB257_2167
; %bb.2054:
	v_bfe_u32 v3, v2, 21, 1
	s_mov_b32 s3, exec_lo
	s_delay_alu instid0(VALU_DEP_1) | instskip(NEXT) | instid1(VALU_DEP_1)
	v_add3_u32 v3, v2, v3, 0x88fffff
	v_lshrrev_b32_e32 v3, 21, v3
	s_or_saveexec_b32 s4, s4
                                        ; implicit-def: $sgpr5
	s_delay_alu instid0(SALU_CYCLE_1)
	s_xor_b32 exec_lo, exec_lo, s4
	s_cbranch_execnz .LBB257_2168
.LBB257_2055:
	s_or_b32 exec_lo, exec_lo, s4
	v_mov_b32_e32 v4, s5
	s_and_saveexec_b32 s4, s3
.LBB257_2056:
	v_lshrrev_b32_e32 v4, 24, v2
	s_delay_alu instid0(VALU_DEP_1)
	v_and_or_b32 v4, 0x80, v4, v3
.LBB257_2057:
	s_or_b32 exec_lo, exec_lo, s4
.LBB257_2058:
	s_delay_alu instid0(SALU_CYCLE_1)
	s_or_b32 exec_lo, exec_lo, s2
	s_mov_b32 s2, 0
	global_store_b8 v[0:1], v4, off
.LBB257_2059:
	s_and_b32 vcc_lo, exec_lo, s2
	s_cbranch_vccz .LBB257_2069
; %bb.2060:
	v_and_b32_e32 v4, 0x7fffffff, v2
	s_mov_b32 s2, exec_lo
                                        ; implicit-def: $vgpr3
	s_delay_alu instid0(VALU_DEP_1)
	v_cmpx_gt_u32_e32 0x43f00000, v4
	s_xor_b32 s2, exec_lo, s2
	s_cbranch_execz .LBB257_2066
; %bb.2061:
	s_mov_b32 s3, exec_lo
                                        ; implicit-def: $vgpr3
	v_cmpx_lt_u32_e32 0x3c7fffff, v4
	s_xor_b32 s3, exec_lo, s3
; %bb.2062:
	v_bfe_u32 v3, v2, 20, 1
	s_delay_alu instid0(VALU_DEP_1) | instskip(NEXT) | instid1(VALU_DEP_1)
	v_add3_u32 v3, v2, v3, 0x407ffff
	v_and_b32_e32 v4, 0xff00000, v3
	v_lshrrev_b32_e32 v3, 20, v3
	s_delay_alu instid0(VALU_DEP_2) | instskip(NEXT) | instid1(VALU_DEP_2)
	v_cmp_ne_u32_e32 vcc_lo, 0x7f00000, v4
	v_cndmask_b32_e32 v3, 0x7e, v3, vcc_lo
; %bb.2063:
	s_and_not1_saveexec_b32 s3, s3
; %bb.2064:
	v_add_f32_e64 v3, 0x46800000, |v2|
; %bb.2065:
	s_or_b32 exec_lo, exec_lo, s3
                                        ; implicit-def: $vgpr4
.LBB257_2066:
	s_and_not1_saveexec_b32 s2, s2
; %bb.2067:
	v_mov_b32_e32 v3, 0x7f
	v_cmp_lt_u32_e32 vcc_lo, 0x7f800000, v4
	s_delay_alu instid0(VALU_DEP_2)
	v_cndmask_b32_e32 v3, 0x7e, v3, vcc_lo
; %bb.2068:
	s_or_b32 exec_lo, exec_lo, s2
	v_lshrrev_b32_e32 v4, 24, v2
	s_delay_alu instid0(VALU_DEP_1)
	v_and_or_b32 v3, 0x80, v4, v3
	global_store_b8 v[0:1], v3, off
.LBB257_2069:
	s_mov_b32 s2, 0
.LBB257_2070:
	s_delay_alu instid0(SALU_CYCLE_1)
	s_and_not1_b32 vcc_lo, exec_lo, s2
	s_cbranch_vccnz .LBB257_2080
; %bb.2071:
	v_and_b32_e32 v4, 0x7fffffff, v2
	s_mov_b32 s2, exec_lo
                                        ; implicit-def: $vgpr3
	s_delay_alu instid0(VALU_DEP_1)
	v_cmpx_gt_u32_e32 0x47800000, v4
	s_xor_b32 s2, exec_lo, s2
	s_cbranch_execz .LBB257_2077
; %bb.2072:
	s_mov_b32 s3, exec_lo
                                        ; implicit-def: $vgpr3
	v_cmpx_lt_u32_e32 0x387fffff, v4
	s_xor_b32 s3, exec_lo, s3
; %bb.2073:
	v_bfe_u32 v3, v2, 21, 1
	s_delay_alu instid0(VALU_DEP_1) | instskip(NEXT) | instid1(VALU_DEP_1)
	v_add3_u32 v3, v2, v3, 0x80fffff
	v_lshrrev_b32_e32 v3, 21, v3
; %bb.2074:
	s_and_not1_saveexec_b32 s3, s3
; %bb.2075:
	v_add_f32_e64 v3, 0x43000000, |v2|
; %bb.2076:
	s_or_b32 exec_lo, exec_lo, s3
                                        ; implicit-def: $vgpr4
.LBB257_2077:
	s_and_not1_saveexec_b32 s2, s2
; %bb.2078:
	v_mov_b32_e32 v3, 0x7f
	v_cmp_lt_u32_e32 vcc_lo, 0x7f800000, v4
	s_delay_alu instid0(VALU_DEP_2)
	v_cndmask_b32_e32 v3, 0x7c, v3, vcc_lo
; %bb.2079:
	s_or_b32 exec_lo, exec_lo, s2
	v_lshrrev_b32_e32 v4, 24, v2
	s_delay_alu instid0(VALU_DEP_1)
	v_and_or_b32 v3, 0x80, v4, v3
	global_store_b8 v[0:1], v3, off
.LBB257_2080:
	s_mov_b32 s2, 0
.LBB257_2081:
	s_delay_alu instid0(SALU_CYCLE_1)
	s_and_not1_b32 vcc_lo, exec_lo, s2
	s_mov_b32 s2, 0
	s_cbranch_vccnz .LBB257_2088
; %bb.2082:
	v_cmp_lt_i16_e32 vcc_lo, 14, v7
	s_mov_b32 s2, -1
	s_cbranch_vccz .LBB257_2086
; %bb.2083:
	v_cmp_eq_u16_e32 vcc_lo, 15, v7
	s_mov_b32 s0, -1
	s_cbranch_vccz .LBB257_2085
; %bb.2084:
	v_bfe_u32 v3, v2, 16, 1
	v_cmp_o_f32_e32 vcc_lo, v2, v2
	s_mov_b32 s0, 0
	s_delay_alu instid0(VALU_DEP_2) | instskip(NEXT) | instid1(VALU_DEP_1)
	v_add3_u32 v3, v2, v3, 0x7fff
	v_lshrrev_b32_e32 v3, 16, v3
	s_delay_alu instid0(VALU_DEP_1)
	v_cndmask_b32_e32 v3, 0x7fc0, v3, vcc_lo
	global_store_b16 v[0:1], v3, off
.LBB257_2085:
	s_mov_b32 s2, 0
.LBB257_2086:
	s_delay_alu instid0(SALU_CYCLE_1)
	s_and_b32 vcc_lo, exec_lo, s2
	s_mov_b32 s2, 0
	s_cbranch_vccz .LBB257_2088
; %bb.2087:
	v_cmp_ne_u16_e64 s0, 11, v7
	s_mov_b32 s2, -1
.LBB257_2088:
	s_delay_alu instid0(VALU_DEP_1)
	s_and_b32 vcc_lo, exec_lo, s0
	s_cbranch_vccnz .LBB257_2165
.LBB257_2089:
	s_mov_b32 s3, 0
	s_branch .LBB257_2091
.LBB257_2090:
	s_mov_b32 s3, 0
	s_mov_b32 s2, 0
                                        ; implicit-def: $vgpr0_vgpr1
                                        ; implicit-def: $vgpr7
                                        ; implicit-def: $vgpr2
.LBB257_2091:
	s_and_not1_b32 s0, s8, exec_lo
	s_and_b32 s1, s1, exec_lo
	s_and_b32 s3, s3, exec_lo
	;; [unrolled: 1-line block ×3, first 2 shown]
	s_or_b32 s8, s0, s1
.LBB257_2092:
	s_or_b32 exec_lo, exec_lo, s9
	s_and_saveexec_b32 s0, s8
	s_cbranch_execz .LBB257_2095
; %bb.2093:
	; divergent unreachable
	s_or_b32 exec_lo, exec_lo, s0
	s_and_saveexec_b32 s0, s26
	s_delay_alu instid0(SALU_CYCLE_1)
	s_xor_b32 s0, exec_lo, s0
	s_cbranch_execnz .LBB257_2096
.LBB257_2094:
	s_or_b32 exec_lo, exec_lo, s0
	s_and_saveexec_b32 s0, s3
	s_cbranch_execnz .LBB257_2097
	s_branch .LBB257_2134
.LBB257_2095:
	s_or_b32 exec_lo, exec_lo, s0
	s_and_saveexec_b32 s0, s26
	s_delay_alu instid0(SALU_CYCLE_1)
	s_xor_b32 s0, exec_lo, s0
	s_cbranch_execz .LBB257_2094
.LBB257_2096:
	v_cmp_neq_f32_e32 vcc_lo, 0, v2
	s_waitcnt vmcnt(0)
	v_cndmask_b32_e64 v3, 0, 1, vcc_lo
	global_store_b8 v[0:1], v3, off
	s_or_b32 exec_lo, exec_lo, s0
	s_and_saveexec_b32 s0, s3
	s_cbranch_execz .LBB257_2134
.LBB257_2097:
	v_cmp_gt_i16_e32 vcc_lo, 5, v7
	s_mov_b32 s0, -1
	s_cbranch_vccnz .LBB257_2118
; %bb.2098:
	v_cmp_gt_i16_e32 vcc_lo, 8, v7
	s_cbranch_vccnz .LBB257_2108
; %bb.2099:
	v_cmp_gt_i16_e32 vcc_lo, 9, v7
	s_cbranch_vccnz .LBB257_2105
; %bb.2100:
	v_cmp_lt_i16_e32 vcc_lo, 9, v7
	s_cbranch_vccz .LBB257_2102
; %bb.2101:
	s_waitcnt vmcnt(0)
	v_cvt_f64_f32_e32 v[3:4], v2
	v_mov_b32_e32 v5, 0
	s_mov_b32 s0, 0
	s_delay_alu instid0(VALU_DEP_1)
	v_mov_b32_e32 v6, v5
	global_store_b128 v[0:1], v[3:6], off
.LBB257_2102:
	s_and_not1_b32 vcc_lo, exec_lo, s0
	s_cbranch_vccnz .LBB257_2104
; %bb.2103:
	s_waitcnt vmcnt(0)
	v_mov_b32_e32 v3, 0
	global_store_b64 v[0:1], v[2:3], off
.LBB257_2104:
	s_mov_b32 s0, 0
.LBB257_2105:
	s_delay_alu instid0(SALU_CYCLE_1)
	s_and_not1_b32 vcc_lo, exec_lo, s0
	s_cbranch_vccnz .LBB257_2107
; %bb.2106:
	s_waitcnt vmcnt(0)
	v_cvt_f16_f32_e32 v3, v2
	s_delay_alu instid0(VALU_DEP_1)
	v_and_b32_e32 v3, 0xffff, v3
	global_store_b32 v[0:1], v3, off
.LBB257_2107:
	s_mov_b32 s0, 0
.LBB257_2108:
	s_delay_alu instid0(SALU_CYCLE_1)
	s_and_not1_b32 vcc_lo, exec_lo, s0
	s_cbranch_vccnz .LBB257_2117
; %bb.2109:
	v_cmp_gt_i16_e32 vcc_lo, 6, v7
	s_mov_b32 s0, -1
	s_cbranch_vccnz .LBB257_2115
; %bb.2110:
	v_cmp_lt_i16_e32 vcc_lo, 6, v7
	s_cbranch_vccz .LBB257_2112
; %bb.2111:
	s_waitcnt vmcnt(0)
	v_cvt_f64_f32_e32 v[3:4], v2
	s_mov_b32 s0, 0
	global_store_b64 v[0:1], v[3:4], off
.LBB257_2112:
	s_and_not1_b32 vcc_lo, exec_lo, s0
	s_cbranch_vccnz .LBB257_2114
; %bb.2113:
	global_store_b32 v[0:1], v2, off
.LBB257_2114:
	s_mov_b32 s0, 0
.LBB257_2115:
	s_delay_alu instid0(SALU_CYCLE_1)
	s_and_not1_b32 vcc_lo, exec_lo, s0
	s_cbranch_vccnz .LBB257_2117
; %bb.2116:
	s_waitcnt vmcnt(0)
	v_cvt_f16_f32_e32 v3, v2
	global_store_b16 v[0:1], v3, off
.LBB257_2117:
	s_mov_b32 s0, 0
.LBB257_2118:
	s_delay_alu instid0(SALU_CYCLE_1)
	s_and_not1_b32 vcc_lo, exec_lo, s0
	s_cbranch_vccnz .LBB257_2134
; %bb.2119:
	v_cmp_gt_i16_e32 vcc_lo, 2, v7
	s_mov_b32 s0, -1
	s_cbranch_vccnz .LBB257_2129
; %bb.2120:
	v_cmp_gt_i16_e32 vcc_lo, 3, v7
	s_cbranch_vccnz .LBB257_2126
; %bb.2121:
	v_cmp_lt_i16_e32 vcc_lo, 3, v7
	s_cbranch_vccz .LBB257_2123
; %bb.2122:
	s_waitcnt vmcnt(0)
	v_trunc_f32_e32 v3, v2
	s_mov_b32 s0, 0
	s_delay_alu instid0(VALU_DEP_1) | instskip(SKIP_1) | instid1(VALU_DEP_2)
	v_mul_f32_e64 v4, 0x2f800000, |v3|
	v_ashrrev_i32_e32 v6, 31, v3
	v_floor_f32_e32 v4, v4
	s_delay_alu instid0(VALU_DEP_1) | instskip(SKIP_1) | instid1(VALU_DEP_2)
	v_fma_f32 v5, 0xcf800000, v4, |v3|
	v_cvt_u32_f32_e32 v4, v4
	v_cvt_u32_f32_e32 v3, v5
	s_delay_alu instid0(VALU_DEP_2) | instskip(NEXT) | instid1(VALU_DEP_2)
	v_xor_b32_e32 v4, v4, v6
	v_xor_b32_e32 v3, v3, v6
	s_delay_alu instid0(VALU_DEP_1) | instskip(NEXT) | instid1(VALU_DEP_3)
	v_sub_co_u32 v3, vcc_lo, v3, v6
	v_sub_co_ci_u32_e32 v4, vcc_lo, v4, v6, vcc_lo
	global_store_b64 v[0:1], v[3:4], off
.LBB257_2123:
	s_and_not1_b32 vcc_lo, exec_lo, s0
	s_cbranch_vccnz .LBB257_2125
; %bb.2124:
	s_waitcnt vmcnt(0)
	v_cvt_i32_f32_e32 v3, v2
	global_store_b32 v[0:1], v3, off
.LBB257_2125:
	s_mov_b32 s0, 0
.LBB257_2126:
	s_delay_alu instid0(SALU_CYCLE_1)
	s_and_not1_b32 vcc_lo, exec_lo, s0
	s_cbranch_vccnz .LBB257_2128
; %bb.2127:
	s_waitcnt vmcnt(0)
	v_cvt_i32_f32_e32 v3, v2
	global_store_b16 v[0:1], v3, off
.LBB257_2128:
	s_mov_b32 s0, 0
.LBB257_2129:
	s_delay_alu instid0(SALU_CYCLE_1)
	s_and_not1_b32 vcc_lo, exec_lo, s0
	s_cbranch_vccnz .LBB257_2134
; %bb.2130:
	v_cmp_lt_i16_e32 vcc_lo, 0, v7
	s_mov_b32 s0, -1
	s_cbranch_vccz .LBB257_2132
; %bb.2131:
	s_waitcnt vmcnt(0)
	v_cvt_i32_f32_e32 v3, v2
	s_mov_b32 s0, 0
	global_store_b8 v[0:1], v3, off
.LBB257_2132:
	s_and_not1_b32 vcc_lo, exec_lo, s0
	s_cbranch_vccnz .LBB257_2134
; %bb.2133:
	v_trunc_f32_e32 v2, v2
	s_waitcnt vmcnt(0)
	s_delay_alu instid0(VALU_DEP_1) | instskip(NEXT) | instid1(VALU_DEP_1)
	v_mul_f32_e64 v3, 0x2f800000, |v2|
	v_floor_f32_e32 v3, v3
	s_delay_alu instid0(VALU_DEP_1) | instskip(SKIP_1) | instid1(VALU_DEP_2)
	v_fma_f32 v3, 0xcf800000, v3, |v2|
	v_ashrrev_i32_e32 v2, 31, v2
	v_cvt_u32_f32_e32 v3, v3
	s_delay_alu instid0(VALU_DEP_1) | instskip(NEXT) | instid1(VALU_DEP_1)
	v_xor_b32_e32 v3, v3, v2
	v_sub_nc_u32_e32 v2, v3, v2
	global_store_b8 v[0:1], v2, off
	s_nop 0
	s_sendmsg sendmsg(MSG_DEALLOC_VGPRS)
	s_endpgm
.LBB257_2134:
	s_nop 0
	s_sendmsg sendmsg(MSG_DEALLOC_VGPRS)
	s_endpgm
.LBB257_2135:
	s_cbranch_execnz .LBB257_2139
; %bb.2136:
	s_or_b32 s1, s1, exec_lo
                                        ; implicit-def: $vgpr8
	s_cbranch_execz .LBB257_1608
	s_branch .LBB257_1609
.LBB257_2137:
	s_or_saveexec_b32 s7, s7
                                        ; implicit-def: $sgpr10
	s_delay_alu instid0(SALU_CYCLE_1)
	s_xor_b32 exec_lo, exec_lo, s7
	s_cbranch_execz .LBB257_1688
.LBB257_2138:
	v_add_f32_e64 v6, 0x46000000, |v5|
	s_and_not1_b32 s6, s6, exec_lo
	s_mov_b32 s10, 0
	s_delay_alu instid0(VALU_DEP_1) | instskip(NEXT) | instid1(VALU_DEP_1)
	v_and_b32_e32 v6, 0xff, v6
	v_cmp_ne_u32_e32 vcc_lo, 0, v6
	s_and_b32 s11, vcc_lo, exec_lo
	s_delay_alu instid0(SALU_CYCLE_1)
	s_or_b32 s6, s6, s11
	s_or_b32 exec_lo, exec_lo, s7
	v_mov_b32_e32 v9, s10
	s_and_saveexec_b32 s7, s6
	s_cbranch_execnz .LBB257_1689
	s_branch .LBB257_1690
.LBB257_2139:
	s_trap 2
	s_sendmsg_rtn_b32 s0, sendmsg(MSG_RTN_GET_DOORBELL)
	s_mov_b32 ttmp2, m0
	s_waitcnt lgkmcnt(0)
	s_and_b32 s0, s0, 0x3ff
	s_delay_alu instid0(SALU_CYCLE_1) | instskip(NEXT) | instid1(SALU_CYCLE_1)
	s_bitset1_b32 s0, 10
	s_mov_b32 m0, s0
	s_sendmsg sendmsg(MSG_INTERRUPT)
	s_mov_b32 m0, ttmp2
.LBB257_2140:                           ; =>This Inner Loop Header: Depth=1
	s_sethalt 5
	s_branch .LBB257_2140
.LBB257_2141:
	s_cbranch_execnz .LBB257_2147
; %bb.2142:
	s_or_b32 s1, s1, exec_lo
	s_cbranch_execz .LBB257_1736
	s_branch .LBB257_1737
.LBB257_2143:
	s_or_saveexec_b32 s6, s6
                                        ; implicit-def: $sgpr7
	s_delay_alu instid0(SALU_CYCLE_1)
	s_xor_b32 exec_lo, exec_lo, s6
	s_cbranch_execz .LBB257_1701
.LBB257_2144:
	v_add_f32_e64 v6, 0x42800000, |v5|
	s_and_not1_b32 s3, s3, exec_lo
	s_mov_b32 s7, 0
	s_delay_alu instid0(VALU_DEP_1) | instskip(NEXT) | instid1(VALU_DEP_1)
	v_and_b32_e32 v6, 0xff, v6
	v_cmp_ne_u32_e32 vcc_lo, 0, v6
	s_and_b32 s10, vcc_lo, exec_lo
	s_delay_alu instid0(SALU_CYCLE_1)
	s_or_b32 s3, s3, s10
	s_or_b32 exec_lo, exec_lo, s6
	v_mov_b32_e32 v9, s7
	s_and_saveexec_b32 s6, s3
	s_cbranch_execnz .LBB257_1702
	s_branch .LBB257_1703
.LBB257_2145:
	s_or_saveexec_b32 s7, s7
                                        ; implicit-def: $sgpr10
	s_delay_alu instid0(SALU_CYCLE_1)
	s_xor_b32 exec_lo, exec_lo, s7
	s_cbranch_execz .LBB257_1806
.LBB257_2146:
	v_add_f32_e64 v5, 0x46000000, |v4|
	s_and_not1_b32 s6, s6, exec_lo
	s_mov_b32 s10, 0
	s_delay_alu instid0(VALU_DEP_1) | instskip(NEXT) | instid1(VALU_DEP_1)
	v_and_b32_e32 v5, 0xff, v5
	v_cmp_ne_u32_e32 vcc_lo, 0, v5
	s_and_b32 s11, vcc_lo, exec_lo
	s_delay_alu instid0(SALU_CYCLE_1)
	s_or_b32 s6, s6, s11
	s_or_b32 exec_lo, exec_lo, s7
	v_mov_b32_e32 v6, s10
	s_and_saveexec_b32 s7, s6
	s_cbranch_execnz .LBB257_1807
	s_branch .LBB257_1808
.LBB257_2147:
	s_trap 2
	s_sendmsg_rtn_b32 s0, sendmsg(MSG_RTN_GET_DOORBELL)
	s_mov_b32 ttmp2, m0
	s_waitcnt lgkmcnt(0)
	s_and_b32 s0, s0, 0x3ff
	s_delay_alu instid0(SALU_CYCLE_1) | instskip(NEXT) | instid1(SALU_CYCLE_1)
	s_bitset1_b32 s0, 10
	s_mov_b32 m0, s0
	s_sendmsg sendmsg(MSG_INTERRUPT)
	s_mov_b32 m0, ttmp2
.LBB257_2148:                           ; =>This Inner Loop Header: Depth=1
	s_sethalt 5
	s_branch .LBB257_2148
.LBB257_2149:
	s_cbranch_execnz .LBB257_2155
; %bb.2150:
	s_or_b32 s1, s1, exec_lo
	s_cbranch_execz .LBB257_1854
	s_branch .LBB257_1855
.LBB257_2151:
	s_or_saveexec_b32 s6, s6
                                        ; implicit-def: $sgpr7
	s_delay_alu instid0(SALU_CYCLE_1)
	s_xor_b32 exec_lo, exec_lo, s6
	s_cbranch_execz .LBB257_1819
.LBB257_2152:
	v_add_f32_e64 v5, 0x42800000, |v4|
	s_and_not1_b32 s3, s3, exec_lo
	s_mov_b32 s7, 0
	s_delay_alu instid0(VALU_DEP_1) | instskip(NEXT) | instid1(VALU_DEP_1)
	v_and_b32_e32 v5, 0xff, v5
	v_cmp_ne_u32_e32 vcc_lo, 0, v5
	s_and_b32 s10, vcc_lo, exec_lo
	s_delay_alu instid0(SALU_CYCLE_1)
	s_or_b32 s3, s3, s10
	s_or_b32 exec_lo, exec_lo, s6
	v_mov_b32_e32 v6, s7
	s_and_saveexec_b32 s6, s3
	s_cbranch_execnz .LBB257_1820
	s_branch .LBB257_1821
.LBB257_2153:
	s_or_saveexec_b32 s7, s7
                                        ; implicit-def: $sgpr10
	s_delay_alu instid0(SALU_CYCLE_1)
	s_xor_b32 exec_lo, exec_lo, s7
	s_cbranch_execz .LBB257_1924
.LBB257_2154:
	v_add_f32_e64 v4, 0x46000000, |v3|
	s_and_not1_b32 s6, s6, exec_lo
	s_mov_b32 s10, 0
	s_delay_alu instid0(VALU_DEP_1) | instskip(NEXT) | instid1(VALU_DEP_1)
	v_and_b32_e32 v4, 0xff, v4
	v_cmp_ne_u32_e32 vcc_lo, 0, v4
	s_and_b32 s11, vcc_lo, exec_lo
	s_delay_alu instid0(SALU_CYCLE_1)
	s_or_b32 s6, s6, s11
	s_or_b32 exec_lo, exec_lo, s7
	v_mov_b32_e32 v5, s10
	s_and_saveexec_b32 s7, s6
	s_cbranch_execnz .LBB257_1925
	s_branch .LBB257_1926
.LBB257_2155:
	s_trap 2
	s_sendmsg_rtn_b32 s0, sendmsg(MSG_RTN_GET_DOORBELL)
	s_mov_b32 ttmp2, m0
	s_waitcnt lgkmcnt(0)
	s_and_b32 s0, s0, 0x3ff
	s_delay_alu instid0(SALU_CYCLE_1) | instskip(NEXT) | instid1(SALU_CYCLE_1)
	s_bitset1_b32 s0, 10
	s_mov_b32 m0, s0
	s_sendmsg sendmsg(MSG_INTERRUPT)
	s_mov_b32 m0, ttmp2
.LBB257_2156:                           ; =>This Inner Loop Header: Depth=1
	s_sethalt 5
	s_branch .LBB257_2156
.LBB257_2157:
	s_cbranch_execnz .LBB257_2163
; %bb.2158:
	s_or_b32 s1, s1, exec_lo
	s_cbranch_execz .LBB257_1972
	s_branch .LBB257_1973
.LBB257_2159:
	s_or_saveexec_b32 s6, s6
                                        ; implicit-def: $sgpr7
	s_delay_alu instid0(SALU_CYCLE_1)
	s_xor_b32 exec_lo, exec_lo, s6
	s_cbranch_execz .LBB257_1937
.LBB257_2160:
	v_add_f32_e64 v4, 0x42800000, |v3|
	s_and_not1_b32 s3, s3, exec_lo
	s_mov_b32 s7, 0
	s_delay_alu instid0(VALU_DEP_1) | instskip(NEXT) | instid1(VALU_DEP_1)
	v_and_b32_e32 v4, 0xff, v4
	v_cmp_ne_u32_e32 vcc_lo, 0, v4
	s_and_b32 s10, vcc_lo, exec_lo
	s_delay_alu instid0(SALU_CYCLE_1)
	s_or_b32 s3, s3, s10
	s_or_b32 exec_lo, exec_lo, s6
	v_mov_b32_e32 v5, s7
	s_and_saveexec_b32 s6, s3
	s_cbranch_execnz .LBB257_1938
	s_branch .LBB257_1939
.LBB257_2161:
	s_or_saveexec_b32 s5, s5
                                        ; implicit-def: $sgpr6
	s_delay_alu instid0(SALU_CYCLE_1)
	s_xor_b32 exec_lo, exec_lo, s5
	s_cbranch_execz .LBB257_2043
.LBB257_2162:
	v_add_f32_e64 v3, 0x46000000, |v2|
	s_and_not1_b32 s4, s4, exec_lo
	s_mov_b32 s6, 0
	s_delay_alu instid0(VALU_DEP_1) | instskip(NEXT) | instid1(VALU_DEP_1)
	v_and_b32_e32 v3, 0xff, v3
	v_cmp_ne_u32_e32 vcc_lo, 0, v3
	s_and_b32 s7, vcc_lo, exec_lo
	s_delay_alu instid0(SALU_CYCLE_1)
	s_or_b32 s4, s4, s7
	s_or_b32 exec_lo, exec_lo, s5
	v_mov_b32_e32 v4, s6
	s_and_saveexec_b32 s5, s4
	s_cbranch_execnz .LBB257_2044
	s_branch .LBB257_2045
.LBB257_2163:
	s_trap 2
	s_sendmsg_rtn_b32 s0, sendmsg(MSG_RTN_GET_DOORBELL)
	s_mov_b32 ttmp2, m0
	s_waitcnt lgkmcnt(0)
	s_and_b32 s0, s0, 0x3ff
	s_delay_alu instid0(SALU_CYCLE_1) | instskip(NEXT) | instid1(SALU_CYCLE_1)
	s_bitset1_b32 s0, 10
	s_mov_b32 m0, s0
	s_sendmsg sendmsg(MSG_INTERRUPT)
	s_mov_b32 m0, ttmp2
.LBB257_2164:                           ; =>This Inner Loop Header: Depth=1
	s_sethalt 5
	s_branch .LBB257_2164
.LBB257_2165:
	s_cbranch_execnz .LBB257_2169
; %bb.2166:
	s_mov_b32 s2, 0
	s_or_b32 s1, s1, exec_lo
	s_branch .LBB257_2089
.LBB257_2167:
	s_or_saveexec_b32 s4, s4
                                        ; implicit-def: $sgpr5
	s_delay_alu instid0(SALU_CYCLE_1)
	s_xor_b32 exec_lo, exec_lo, s4
	s_cbranch_execz .LBB257_2055
.LBB257_2168:
	v_add_f32_e64 v3, 0x42800000, |v2|
	s_and_not1_b32 s3, s3, exec_lo
	s_mov_b32 s5, 0
	s_delay_alu instid0(VALU_DEP_1) | instskip(NEXT) | instid1(VALU_DEP_1)
	v_and_b32_e32 v3, 0xff, v3
	v_cmp_ne_u32_e32 vcc_lo, 0, v3
	s_and_b32 s6, vcc_lo, exec_lo
	s_delay_alu instid0(SALU_CYCLE_1)
	s_or_b32 s3, s3, s6
	s_or_b32 exec_lo, exec_lo, s4
	v_mov_b32_e32 v4, s5
	s_and_saveexec_b32 s4, s3
	s_cbranch_execnz .LBB257_2056
	s_branch .LBB257_2057
.LBB257_2169:
	s_trap 2
	s_sendmsg_rtn_b32 s0, sendmsg(MSG_RTN_GET_DOORBELL)
	s_mov_b32 ttmp2, m0
	s_waitcnt lgkmcnt(0)
	s_and_b32 s0, s0, 0x3ff
	s_delay_alu instid0(SALU_CYCLE_1) | instskip(NEXT) | instid1(SALU_CYCLE_1)
	s_bitset1_b32 s0, 10
	s_mov_b32 m0, s0
	s_sendmsg sendmsg(MSG_INTERRUPT)
	s_mov_b32 m0, ttmp2
.LBB257_2170:                           ; =>This Inner Loop Header: Depth=1
	s_sethalt 5
	s_branch .LBB257_2170
	.section	.rodata,"a",@progbits
	.p2align	6, 0x0
	.amdhsa_kernel _ZN2at6native32elementwise_kernel_manual_unrollILi128ELi4EZNS0_15gpu_kernel_implIZZZNS0_16sqrt_kernel_cudaERNS_18TensorIteratorBaseEENKUlvE0_clEvENKUlvE0_clEvEUlfE_EEvS4_RKT_EUlibE0_EEviT1_
		.amdhsa_group_segment_fixed_size 0
		.amdhsa_private_segment_fixed_size 0
		.amdhsa_kernarg_size 360
		.amdhsa_user_sgpr_count 15
		.amdhsa_user_sgpr_dispatch_ptr 0
		.amdhsa_user_sgpr_queue_ptr 0
		.amdhsa_user_sgpr_kernarg_segment_ptr 1
		.amdhsa_user_sgpr_dispatch_id 0
		.amdhsa_user_sgpr_private_segment_size 0
		.amdhsa_wavefront_size32 1
		.amdhsa_uses_dynamic_stack 0
		.amdhsa_enable_private_segment 0
		.amdhsa_system_sgpr_workgroup_id_x 1
		.amdhsa_system_sgpr_workgroup_id_y 0
		.amdhsa_system_sgpr_workgroup_id_z 0
		.amdhsa_system_sgpr_workgroup_info 0
		.amdhsa_system_vgpr_workitem_id 0
		.amdhsa_next_free_vgpr 18
		.amdhsa_next_free_sgpr 68
		.amdhsa_reserve_vcc 1
		.amdhsa_float_round_mode_32 0
		.amdhsa_float_round_mode_16_64 0
		.amdhsa_float_denorm_mode_32 3
		.amdhsa_float_denorm_mode_16_64 3
		.amdhsa_dx10_clamp 1
		.amdhsa_ieee_mode 1
		.amdhsa_fp16_overflow 0
		.amdhsa_workgroup_processor_mode 1
		.amdhsa_memory_ordered 1
		.amdhsa_forward_progress 0
		.amdhsa_shared_vgpr_count 0
		.amdhsa_exception_fp_ieee_invalid_op 0
		.amdhsa_exception_fp_denorm_src 0
		.amdhsa_exception_fp_ieee_div_zero 0
		.amdhsa_exception_fp_ieee_overflow 0
		.amdhsa_exception_fp_ieee_underflow 0
		.amdhsa_exception_fp_ieee_inexact 0
		.amdhsa_exception_int_div_zero 0
	.end_amdhsa_kernel
	.section	.text._ZN2at6native32elementwise_kernel_manual_unrollILi128ELi4EZNS0_15gpu_kernel_implIZZZNS0_16sqrt_kernel_cudaERNS_18TensorIteratorBaseEENKUlvE0_clEvENKUlvE0_clEvEUlfE_EEvS4_RKT_EUlibE0_EEviT1_,"axG",@progbits,_ZN2at6native32elementwise_kernel_manual_unrollILi128ELi4EZNS0_15gpu_kernel_implIZZZNS0_16sqrt_kernel_cudaERNS_18TensorIteratorBaseEENKUlvE0_clEvENKUlvE0_clEvEUlfE_EEvS4_RKT_EUlibE0_EEviT1_,comdat
.Lfunc_end257:
	.size	_ZN2at6native32elementwise_kernel_manual_unrollILi128ELi4EZNS0_15gpu_kernel_implIZZZNS0_16sqrt_kernel_cudaERNS_18TensorIteratorBaseEENKUlvE0_clEvENKUlvE0_clEvEUlfE_EEvS4_RKT_EUlibE0_EEviT1_, .Lfunc_end257-_ZN2at6native32elementwise_kernel_manual_unrollILi128ELi4EZNS0_15gpu_kernel_implIZZZNS0_16sqrt_kernel_cudaERNS_18TensorIteratorBaseEENKUlvE0_clEvENKUlvE0_clEvEUlfE_EEvS4_RKT_EUlibE0_EEviT1_
                                        ; -- End function
	.section	.AMDGPU.csdata,"",@progbits
; Kernel info:
; codeLenInByte = 42468
; NumSgprs: 70
; NumVgprs: 18
; ScratchSize: 0
; MemoryBound: 1
; FloatMode: 240
; IeeeMode: 1
; LDSByteSize: 0 bytes/workgroup (compile time only)
; SGPRBlocks: 8
; VGPRBlocks: 2
; NumSGPRsForWavesPerEU: 70
; NumVGPRsForWavesPerEU: 18
; Occupancy: 16
; WaveLimiterHint : 1
; COMPUTE_PGM_RSRC2:SCRATCH_EN: 0
; COMPUTE_PGM_RSRC2:USER_SGPR: 15
; COMPUTE_PGM_RSRC2:TRAP_HANDLER: 0
; COMPUTE_PGM_RSRC2:TGID_X_EN: 1
; COMPUTE_PGM_RSRC2:TGID_Y_EN: 0
; COMPUTE_PGM_RSRC2:TGID_Z_EN: 0
; COMPUTE_PGM_RSRC2:TIDIG_COMP_CNT: 0
	.section	.text._ZN2at6native29vectorized_elementwise_kernelILi16EZZZNS0_16sqrt_kernel_cudaERNS_18TensorIteratorBaseEENKUlvE0_clEvENKUlvE1_clEvEUlN3c104HalfEE_St5arrayIPcLm2EEEEviT0_T1_,"axG",@progbits,_ZN2at6native29vectorized_elementwise_kernelILi16EZZZNS0_16sqrt_kernel_cudaERNS_18TensorIteratorBaseEENKUlvE0_clEvENKUlvE1_clEvEUlN3c104HalfEE_St5arrayIPcLm2EEEEviT0_T1_,comdat
	.globl	_ZN2at6native29vectorized_elementwise_kernelILi16EZZZNS0_16sqrt_kernel_cudaERNS_18TensorIteratorBaseEENKUlvE0_clEvENKUlvE1_clEvEUlN3c104HalfEE_St5arrayIPcLm2EEEEviT0_T1_ ; -- Begin function _ZN2at6native29vectorized_elementwise_kernelILi16EZZZNS0_16sqrt_kernel_cudaERNS_18TensorIteratorBaseEENKUlvE0_clEvENKUlvE1_clEvEUlN3c104HalfEE_St5arrayIPcLm2EEEEviT0_T1_
	.p2align	8
	.type	_ZN2at6native29vectorized_elementwise_kernelILi16EZZZNS0_16sqrt_kernel_cudaERNS_18TensorIteratorBaseEENKUlvE0_clEvENKUlvE1_clEvEUlN3c104HalfEE_St5arrayIPcLm2EEEEviT0_T1_,@function
_ZN2at6native29vectorized_elementwise_kernelILi16EZZZNS0_16sqrt_kernel_cudaERNS_18TensorIteratorBaseEENKUlvE0_clEvENKUlvE1_clEvEUlN3c104HalfEE_St5arrayIPcLm2EEEEviT0_T1_: ; @_ZN2at6native29vectorized_elementwise_kernelILi16EZZZNS0_16sqrt_kernel_cudaERNS_18TensorIteratorBaseEENKUlvE0_clEvENKUlvE1_clEvEUlN3c104HalfEE_St5arrayIPcLm2EEEEviT0_T1_
; %bb.0:
	s_clause 0x1
	s_load_b32 s2, s[0:1], 0x0
	s_load_b128 s[8:11], s[0:1], 0x8
	s_lshl_b32 s12, s15, 11
	s_mov_b32 s0, -1
	s_waitcnt lgkmcnt(0)
	s_sub_i32 s7, s2, s12
	s_delay_alu instid0(SALU_CYCLE_1)
	s_cmpk_gt_i32 s7, 0x7ff
	s_cbranch_scc0 .LBB258_2
; %bb.1:
	s_ashr_i32 s13, s12, 31
	v_lshlrev_b32_e32 v5, 4, v0
	s_lshl_b64 s[14:15], s[12:13], 1
	s_delay_alu instid0(SALU_CYCLE_1)
	s_add_u32 s0, s10, s14
	s_addc_u32 s1, s11, s15
	global_load_b128 v[1:4], v5, s[0:1]
	s_waitcnt vmcnt(0)
	v_lshrrev_b32_e32 v6, 16, v1
	v_cvt_f32_f16_e32 v1, v1
	v_lshrrev_b32_e32 v7, 16, v2
	v_lshrrev_b32_e32 v8, 16, v3
	v_cvt_f32_f16_e32 v2, v2
	v_cvt_f32_f16_e32 v3, v3
	v_mul_f32_e32 v10, 0x4f800000, v1
	v_cmp_gt_f32_e32 vcc_lo, 0xf800000, v1
	v_lshrrev_b32_e32 v9, 16, v4
	v_cvt_f32_f16_e32 v4, v4
	v_dual_mul_f32 v11, 0x4f800000, v2 :: v_dual_mul_f32 v12, 0x4f800000, v3
	v_cvt_f32_f16_e32 v8, v8
	v_cndmask_b32_e32 v1, v1, v10, vcc_lo
	v_cmp_gt_f32_e64 s1, 0xf800000, v3
	v_cvt_f32_f16_e32 v6, v6
	v_cvt_f32_f16_e32 v7, v7
	v_mul_f32_e32 v13, 0x4f800000, v4
	v_cmp_gt_f32_e64 s0, 0xf800000, v2
	v_cndmask_b32_e64 v3, v3, v12, s1
	v_mul_f32_e32 v10, 0x4f800000, v6
	v_mul_f32_e32 v12, 0x4f800000, v8
	v_cmp_gt_f32_e64 s2, 0xf800000, v4
	v_rsq_f32_e32 v14, v1
	v_cvt_f32_f16_e32 v9, v9
	v_cndmask_b32_e64 v2, v2, v11, s0
	v_mul_f32_e32 v11, 0x4f800000, v7
	v_cndmask_b32_e64 v4, v4, v13, s2
	v_cmp_gt_f32_e64 s3, 0xf800000, v6
	v_cmp_gt_f32_e64 s4, 0xf800000, v7
	v_cmp_gt_f32_e64 s5, 0xf800000, v8
	v_mul_f32_e32 v13, 0x4f800000, v9
	v_cmp_gt_f32_e64 s6, 0xf800000, v9
	v_cndmask_b32_e64 v6, v6, v10, s3
	v_rsq_f32_e32 v10, v2
	v_cndmask_b32_e64 v8, v8, v12, s5
	v_rsq_f32_e32 v12, v4
	v_mul_f32_e32 v18, v1, v14
	v_mul_f32_e32 v14, 0.5, v14
	v_cndmask_b32_e64 v7, v7, v11, s4
	v_rsq_f32_e32 v11, v3
	v_cndmask_b32_e64 v9, v9, v13, s6
	v_rsq_f32_e32 v13, v6
	v_rsq_f32_e32 v16, v8
	;; [unrolled: 1-line block ×3, first 2 shown]
	v_fma_f32 v22, -v14, v18, 0.5
	v_rsq_f32_e32 v17, v9
	v_mul_f32_e32 v19, v2, v10
	v_dual_mul_f32 v10, 0.5, v10 :: v_dual_mul_f32 v21, v4, v12
	s_delay_alu instid0(VALU_DEP_3)
	v_fmac_f32_e32 v18, v18, v22
	v_mul_f32_e32 v20, v3, v11
	v_dual_mul_f32 v11, 0.5, v11 :: v_dual_mul_f32 v12, 0.5, v12
	v_mul_f32_e32 v23, v6, v13
	v_mul_f32_e32 v13, 0.5, v13
	v_fma_f32 v24, -v10, v19, 0.5
	v_dual_mul_f32 v25, v7, v15 :: v_dual_fmac_f32 v14, v14, v22
	v_mul_f32_e32 v15, 0.5, v15
	v_fma_f32 v26, -v11, v20, 0.5
	s_delay_alu instid0(VALU_DEP_4)
	v_fmac_f32_e32 v10, v10, v24
	v_fma_f32 v30, -v18, v18, v1
	v_mul_f32_e32 v27, v8, v16
	v_mul_f32_e32 v16, 0.5, v16
	v_fma_f32 v28, -v12, v21, 0.5
	v_dual_mul_f32 v29, v9, v17 :: v_dual_fmac_f32 v20, v20, v26
	v_fmac_f32_e32 v11, v11, v26
	v_fmac_f32_e32 v18, v30, v14
	v_fma_f32 v26, -v16, v27, 0.5
	v_fmac_f32_e32 v19, v19, v24
	v_fma_f32 v24, -v15, v25, 0.5
	v_dual_mul_f32 v17, 0.5, v17 :: v_dual_fmac_f32 v12, v12, v28
	s_delay_alu instid0(VALU_DEP_4) | instskip(NEXT) | instid1(VALU_DEP_3)
	v_fmac_f32_e32 v27, v27, v26
	v_dual_fmac_f32 v16, v16, v26 :: v_dual_fmac_f32 v25, v25, v24
	v_fmac_f32_e32 v15, v15, v24
	v_fma_f32 v24, -v20, v20, v3
	v_fmac_f32_e32 v21, v21, v28
	v_fma_f32 v22, -v13, v23, 0.5
	v_fma_f32 v28, -v17, v29, 0.5
	s_delay_alu instid0(VALU_DEP_4) | instskip(NEXT) | instid1(VALU_DEP_4)
	v_fmac_f32_e32 v20, v24, v11
	v_fma_f32 v26, -v21, v21, v4
	v_fma_f32 v11, -v27, v27, v8
	v_fmac_f32_e32 v13, v13, v22
	v_fmac_f32_e32 v29, v29, v28
	;; [unrolled: 1-line block ×6, first 2 shown]
	v_fma_f32 v22, -v19, v19, v2
	v_fma_f32 v12, -v29, v29, v9
	s_delay_alu instid0(VALU_DEP_4) | instskip(NEXT) | instid1(VALU_DEP_4)
	v_dual_mul_f32 v11, 0x37800000, v21 :: v_dual_mul_f32 v16, 0x37800000, v27
	v_fma_f32 v14, -v23, v23, v6
	s_delay_alu instid0(VALU_DEP_3) | instskip(NEXT) | instid1(VALU_DEP_3)
	v_fmac_f32_e32 v29, v12, v17
	v_cndmask_b32_e64 v11, v21, v11, s2
	v_fmac_f32_e32 v19, v22, v10
	v_mul_f32_e32 v22, 0x37800000, v18
	v_fma_f32 v10, -v25, v25, v7
	v_fmac_f32_e32 v23, v14, v13
	v_mul_f32_e32 v17, 0x37800000, v29
	s_delay_alu instid0(VALU_DEP_4) | instskip(SKIP_2) | instid1(VALU_DEP_3)
	v_dual_mul_f32 v13, 0x37800000, v19 :: v_dual_cndmask_b32 v12, v18, v22
	v_cmp_class_f32_e64 vcc_lo, v1, 0x260
	v_dual_fmac_f32 v25, v10, v15 :: v_dual_mul_f32 v10, 0x37800000, v20
	v_cndmask_b32_e64 v13, v19, v13, s0
	s_delay_alu instid0(VALU_DEP_4) | instskip(SKIP_1) | instid1(VALU_DEP_4)
	v_dual_mul_f32 v14, 0x37800000, v23 :: v_dual_cndmask_b32 v1, v12, v1
	v_cmp_class_f32_e64 vcc_lo, v2, 0x260
	v_cndmask_b32_e64 v10, v20, v10, s1
	v_mul_f32_e32 v15, 0x37800000, v25
	s_delay_alu instid0(VALU_DEP_4)
	v_cndmask_b32_e64 v12, v23, v14, s3
	v_cvt_f16_f32_e32 v1, v1
	v_cndmask_b32_e32 v2, v13, v2, vcc_lo
	v_cmp_class_f32_e64 vcc_lo, v3, 0x260
	v_cndmask_b32_e64 v13, v25, v15, s4
	s_add_u32 s2, s8, s14
	s_addc_u32 s3, s9, s15
	v_cvt_f16_f32_e32 v2, v2
	v_cndmask_b32_e32 v3, v10, v3, vcc_lo
	v_cmp_class_f32_e64 vcc_lo, v4, 0x260
	v_cndmask_b32_e64 v10, v27, v16, s5
	s_mov_b32 s0, 0
	s_delay_alu instid0(VALU_DEP_3) | instskip(SKIP_3) | instid1(VALU_DEP_3)
	v_cvt_f16_f32_e32 v3, v3
	v_cndmask_b32_e32 v4, v11, v4, vcc_lo
	v_cmp_class_f32_e64 vcc_lo, v6, 0x260
	v_cndmask_b32_e64 v11, v29, v17, s6
	v_cvt_f16_f32_e32 v4, v4
	v_cndmask_b32_e32 v6, v12, v6, vcc_lo
	v_cmp_class_f32_e64 vcc_lo, v8, 0x260
	s_delay_alu instid0(VALU_DEP_2) | instskip(SKIP_2) | instid1(VALU_DEP_3)
	v_cvt_f16_f32_e32 v6, v6
	v_cndmask_b32_e32 v8, v10, v8, vcc_lo
	v_cmp_class_f32_e64 vcc_lo, v9, 0x260
	v_pack_b32_f16 v1, v1, v6
	s_delay_alu instid0(VALU_DEP_3) | instskip(SKIP_2) | instid1(VALU_DEP_3)
	v_cvt_f16_f32_e32 v8, v8
	v_cndmask_b32_e32 v9, v11, v9, vcc_lo
	v_cmp_class_f32_e64 vcc_lo, v7, 0x260
	v_pack_b32_f16 v3, v3, v8
	s_delay_alu instid0(VALU_DEP_3) | instskip(SKIP_1) | instid1(VALU_DEP_2)
	v_cvt_f16_f32_e32 v9, v9
	v_cndmask_b32_e32 v7, v13, v7, vcc_lo
	v_pack_b32_f16 v4, v4, v9
	s_delay_alu instid0(VALU_DEP_2) | instskip(NEXT) | instid1(VALU_DEP_1)
	v_cvt_f16_f32_e32 v7, v7
	v_pack_b32_f16 v2, v2, v7
	global_store_b128 v5, v[1:4], s[2:3]
.LBB258_2:
	s_and_not1_b32 vcc_lo, exec_lo, s0
	s_cbranch_vccnz .LBB258_26
; %bb.3:
	v_cmp_gt_i32_e32 vcc_lo, s7, v0
	v_dual_mov_b32 v8, 0 :: v_dual_mov_b32 v11, v0
	v_or_b32_e32 v1, s12, v0
	v_or_b32_e32 v9, 0x100, v0
	v_mov_b32_e32 v2, 0
	s_and_saveexec_b32 s1, vcc_lo
	s_cbranch_execz .LBB258_5
; %bb.4:
	v_mov_b32_e32 v2, 0
	v_or_b32_e32 v11, 0x100, v0
	s_delay_alu instid0(VALU_DEP_2) | instskip(NEXT) | instid1(VALU_DEP_1)
	v_lshlrev_b64 v[2:3], 1, v[1:2]
	v_add_co_u32 v2, s0, s10, v2
	s_delay_alu instid0(VALU_DEP_1)
	v_add_co_ci_u32_e64 v3, s0, s11, v3, s0
	global_load_u16 v2, v[2:3], off
	s_waitcnt vmcnt(0)
	v_cvt_f32_f16_e32 v2, v2
.LBB258_5:
	s_or_b32 exec_lo, exec_lo, s1
	s_delay_alu instid0(SALU_CYCLE_1)
	s_mov_b32 s1, exec_lo
	v_cmpx_gt_i32_e64 s7, v11
	s_cbranch_execz .LBB258_7
; %bb.6:
	v_dual_mov_b32 v4, 0 :: v_dual_add_nc_u32 v3, s12, v11
	v_add_nc_u32_e32 v11, 0x100, v11
	s_delay_alu instid0(VALU_DEP_2) | instskip(NEXT) | instid1(VALU_DEP_1)
	v_lshlrev_b64 v[3:4], 1, v[3:4]
	v_add_co_u32 v3, s0, s10, v3
	s_delay_alu instid0(VALU_DEP_1)
	v_add_co_ci_u32_e64 v4, s0, s11, v4, s0
	global_load_u16 v3, v[3:4], off
	s_waitcnt vmcnt(0)
	v_cvt_f32_f16_e32 v8, v3
.LBB258_7:
	s_or_b32 exec_lo, exec_lo, s1
	v_mov_b32_e32 v6, 0
	v_mov_b32_e32 v10, 0
	s_mov_b32 s1, exec_lo
	v_cmpx_gt_i32_e64 s7, v11
	s_cbranch_execz .LBB258_9
; %bb.8:
	v_dual_mov_b32 v4, 0 :: v_dual_add_nc_u32 v3, s12, v11
	v_add_nc_u32_e32 v11, 0x100, v11
	s_delay_alu instid0(VALU_DEP_2) | instskip(NEXT) | instid1(VALU_DEP_1)
	v_lshlrev_b64 v[3:4], 1, v[3:4]
	v_add_co_u32 v3, s0, s10, v3
	s_delay_alu instid0(VALU_DEP_1)
	v_add_co_ci_u32_e64 v4, s0, s11, v4, s0
	global_load_u16 v3, v[3:4], off
	s_waitcnt vmcnt(0)
	v_cvt_f32_f16_e32 v10, v3
.LBB258_9:
	s_or_b32 exec_lo, exec_lo, s1
	s_delay_alu instid0(SALU_CYCLE_1)
	s_mov_b32 s1, exec_lo
	v_cmpx_gt_i32_e64 s7, v11
	s_cbranch_execz .LBB258_11
; %bb.10:
	v_dual_mov_b32 v4, 0 :: v_dual_add_nc_u32 v3, s12, v11
	v_add_nc_u32_e32 v11, 0x100, v11
	s_delay_alu instid0(VALU_DEP_2) | instskip(NEXT) | instid1(VALU_DEP_1)
	v_lshlrev_b64 v[3:4], 1, v[3:4]
	v_add_co_u32 v3, s0, s10, v3
	s_delay_alu instid0(VALU_DEP_1)
	v_add_co_ci_u32_e64 v4, s0, s11, v4, s0
	global_load_u16 v3, v[3:4], off
	s_waitcnt vmcnt(0)
	v_cvt_f32_f16_e32 v6, v3
.LBB258_11:
	s_or_b32 exec_lo, exec_lo, s1
	v_dual_mov_b32 v4, 0 :: v_dual_mov_b32 v7, 0
	s_mov_b32 s1, exec_lo
	v_cmpx_gt_i32_e64 s7, v11
	s_cbranch_execz .LBB258_13
; %bb.12:
	v_dual_mov_b32 v13, 0 :: v_dual_add_nc_u32 v12, s12, v11
	v_add_nc_u32_e32 v11, 0x100, v11
	s_delay_alu instid0(VALU_DEP_2) | instskip(NEXT) | instid1(VALU_DEP_1)
	v_lshlrev_b64 v[12:13], 1, v[12:13]
	v_add_co_u32 v12, s0, s10, v12
	s_delay_alu instid0(VALU_DEP_1)
	v_add_co_ci_u32_e64 v13, s0, s11, v13, s0
	global_load_u16 v3, v[12:13], off
	s_waitcnt vmcnt(0)
	v_cvt_f32_f16_e32 v7, v3
.LBB258_13:
	s_or_b32 exec_lo, exec_lo, s1
	s_delay_alu instid0(SALU_CYCLE_1)
	s_mov_b32 s1, exec_lo
	v_cmpx_gt_i32_e64 s7, v11
	s_cbranch_execz .LBB258_15
; %bb.14:
	v_dual_mov_b32 v4, 0 :: v_dual_add_nc_u32 v3, s12, v11
	v_add_nc_u32_e32 v11, 0x100, v11
	s_delay_alu instid0(VALU_DEP_2) | instskip(NEXT) | instid1(VALU_DEP_1)
	v_lshlrev_b64 v[3:4], 1, v[3:4]
	v_add_co_u32 v3, s0, s10, v3
	s_delay_alu instid0(VALU_DEP_1)
	v_add_co_ci_u32_e64 v4, s0, s11, v4, s0
	global_load_u16 v3, v[3:4], off
	s_waitcnt vmcnt(0)
	v_cvt_f32_f16_e32 v4, v3
.LBB258_15:
	s_or_b32 exec_lo, exec_lo, s1
	v_mov_b32_e32 v3, 0
	v_mov_b32_e32 v5, 0
	s_mov_b32 s1, exec_lo
	v_cmpx_gt_i32_e64 s7, v11
	s_cbranch_execnz .LBB258_27
; %bb.16:
	s_or_b32 exec_lo, exec_lo, s1
	s_delay_alu instid0(SALU_CYCLE_1)
	s_mov_b32 s1, exec_lo
	v_cmpx_gt_i32_e64 s7, v11
	s_cbranch_execnz .LBB258_28
.LBB258_17:
	s_or_b32 exec_lo, exec_lo, s1
	s_and_saveexec_b32 s1, vcc_lo
	s_cbranch_execnz .LBB258_29
.LBB258_18:
	s_or_b32 exec_lo, exec_lo, s1
	s_delay_alu instid0(SALU_CYCLE_1)
	s_mov_b32 s1, exec_lo
	v_cmpx_gt_i32_e64 s7, v0
	s_cbranch_execnz .LBB258_30
.LBB258_19:
	s_or_b32 exec_lo, exec_lo, s1
	s_delay_alu instid0(SALU_CYCLE_1)
	s_mov_b32 s1, exec_lo
	v_cmpx_gt_i32_e64 s7, v0
	s_cbranch_execnz .LBB258_31
.LBB258_20:
	s_or_b32 exec_lo, exec_lo, s1
	s_delay_alu instid0(SALU_CYCLE_1)
	s_mov_b32 s1, exec_lo
	v_cmpx_gt_i32_e64 s7, v0
	s_cbranch_execnz .LBB258_32
.LBB258_21:
	s_or_b32 exec_lo, exec_lo, s1
	s_delay_alu instid0(SALU_CYCLE_1)
	s_mov_b32 s1, exec_lo
	v_cmpx_gt_i32_e64 s7, v0
	s_cbranch_execnz .LBB258_33
.LBB258_22:
	s_or_b32 exec_lo, exec_lo, s1
	s_delay_alu instid0(SALU_CYCLE_1)
	s_mov_b32 s1, exec_lo
	v_cmpx_gt_i32_e64 s7, v0
	s_cbranch_execnz .LBB258_34
.LBB258_23:
	s_or_b32 exec_lo, exec_lo, s1
	s_delay_alu instid0(SALU_CYCLE_1)
	s_mov_b32 s1, exec_lo
	v_cmpx_gt_i32_e64 s7, v0
	s_cbranch_execnz .LBB258_35
.LBB258_24:
	s_or_b32 exec_lo, exec_lo, s1
	s_delay_alu instid0(SALU_CYCLE_1)
	s_mov_b32 s0, exec_lo
	v_cmpx_gt_i32_e64 s7, v0
	s_cbranch_execz .LBB258_26
.LBB258_25:
	v_dual_mul_f32 v1, 0x4f800000, v3 :: v_dual_add_nc_u32 v0, s12, v0
	v_cmp_gt_f32_e32 vcc_lo, 0xf800000, v3
	s_delay_alu instid0(VALU_DEP_2) | instskip(NEXT) | instid1(VALU_DEP_1)
	v_cndmask_b32_e32 v2, v3, v1, vcc_lo
	v_sqrt_f32_e32 v1, v2
	s_waitcnt_depctr 0xfff
	v_add_nc_u32_e32 v3, -1, v1
	v_add_nc_u32_e32 v4, 1, v1
	s_delay_alu instid0(VALU_DEP_2) | instskip(NEXT) | instid1(VALU_DEP_2)
	v_fma_f32 v5, -v3, v1, v2
	v_fma_f32 v6, -v4, v1, v2
	s_delay_alu instid0(VALU_DEP_2) | instskip(NEXT) | instid1(VALU_DEP_1)
	v_cmp_ge_f32_e64 s0, 0, v5
	v_cndmask_b32_e64 v1, v1, v3, s0
	s_delay_alu instid0(VALU_DEP_3) | instskip(NEXT) | instid1(VALU_DEP_1)
	v_cmp_lt_f32_e64 s0, 0, v6
	v_cndmask_b32_e64 v1, v1, v4, s0
	s_delay_alu instid0(VALU_DEP_1) | instskip(NEXT) | instid1(VALU_DEP_1)
	v_mul_f32_e32 v3, 0x37800000, v1
	v_cndmask_b32_e32 v3, v1, v3, vcc_lo
	v_mov_b32_e32 v1, 0
	v_cmp_class_f32_e64 vcc_lo, v2, 0x260
	s_delay_alu instid0(VALU_DEP_2) | instskip(NEXT) | instid1(VALU_DEP_4)
	v_lshlrev_b64 v[0:1], 1, v[0:1]
	v_cndmask_b32_e32 v2, v3, v2, vcc_lo
	s_delay_alu instid0(VALU_DEP_2) | instskip(NEXT) | instid1(VALU_DEP_2)
	v_add_co_u32 v0, vcc_lo, s8, v0
	v_cvt_f16_f32_e32 v2, v2
	s_delay_alu instid0(VALU_DEP_4)
	v_add_co_ci_u32_e32 v1, vcc_lo, s9, v1, vcc_lo
	global_store_b16 v[0:1], v2, off
.LBB258_26:
	s_nop 0
	s_sendmsg sendmsg(MSG_DEALLOC_VGPRS)
	s_endpgm
.LBB258_27:
	v_dual_mov_b32 v13, 0 :: v_dual_add_nc_u32 v12, s12, v11
	v_add_nc_u32_e32 v11, 0x100, v11
	s_delay_alu instid0(VALU_DEP_2) | instskip(NEXT) | instid1(VALU_DEP_1)
	v_lshlrev_b64 v[12:13], 1, v[12:13]
	v_add_co_u32 v12, s0, s10, v12
	s_delay_alu instid0(VALU_DEP_1) | instskip(SKIP_4) | instid1(SALU_CYCLE_1)
	v_add_co_ci_u32_e64 v13, s0, s11, v13, s0
	global_load_u16 v5, v[12:13], off
	s_waitcnt vmcnt(0)
	v_cvt_f32_f16_e32 v5, v5
	s_or_b32 exec_lo, exec_lo, s1
	s_mov_b32 s1, exec_lo
	v_cmpx_gt_i32_e64 s7, v11
	s_cbranch_execz .LBB258_17
.LBB258_28:
	v_dual_mov_b32 v12, 0 :: v_dual_add_nc_u32 v11, s12, v11
	s_delay_alu instid0(VALU_DEP_1) | instskip(NEXT) | instid1(VALU_DEP_1)
	v_lshlrev_b64 v[11:12], 1, v[11:12]
	v_add_co_u32 v11, s0, s10, v11
	s_delay_alu instid0(VALU_DEP_1)
	v_add_co_ci_u32_e64 v12, s0, s11, v12, s0
	global_load_u16 v3, v[11:12], off
	s_waitcnt vmcnt(0)
	v_cvt_f32_f16_e32 v3, v3
	s_or_b32 exec_lo, exec_lo, s1
	s_and_saveexec_b32 s1, vcc_lo
	s_cbranch_execz .LBB258_18
.LBB258_29:
	v_cmp_gt_f32_e32 vcc_lo, 0xf800000, v2
	v_mul_f32_e32 v0, 0x4f800000, v2
	s_delay_alu instid0(VALU_DEP_1) | instskip(NEXT) | instid1(VALU_DEP_1)
	v_cndmask_b32_e32 v0, v2, v0, vcc_lo
	v_sqrt_f32_e32 v2, v0
	s_waitcnt_depctr 0xfff
	v_add_nc_u32_e32 v11, -1, v2
	v_add_nc_u32_e32 v12, 1, v2
	s_delay_alu instid0(VALU_DEP_2) | instskip(NEXT) | instid1(VALU_DEP_2)
	v_fma_f32 v13, -v11, v2, v0
	v_fma_f32 v14, -v12, v2, v0
	s_delay_alu instid0(VALU_DEP_2) | instskip(NEXT) | instid1(VALU_DEP_1)
	v_cmp_ge_f32_e64 s0, 0, v13
	v_cndmask_b32_e64 v2, v2, v11, s0
	s_delay_alu instid0(VALU_DEP_3) | instskip(NEXT) | instid1(VALU_DEP_1)
	v_cmp_lt_f32_e64 s0, 0, v14
	v_cndmask_b32_e64 v2, v2, v12, s0
	s_delay_alu instid0(VALU_DEP_1) | instskip(NEXT) | instid1(VALU_DEP_1)
	v_mul_f32_e32 v11, 0x37800000, v2
	v_dual_cndmask_b32 v11, v2, v11 :: v_dual_mov_b32 v2, 0
	v_cmp_class_f32_e64 vcc_lo, v0, 0x260
	s_delay_alu instid0(VALU_DEP_2) | instskip(NEXT) | instid1(VALU_DEP_3)
	v_cndmask_b32_e32 v11, v11, v0, vcc_lo
	v_lshlrev_b64 v[0:1], 1, v[1:2]
	s_delay_alu instid0(VALU_DEP_2) | instskip(NEXT) | instid1(VALU_DEP_2)
	v_cvt_f16_f32_e32 v2, v11
	v_add_co_u32 v11, vcc_lo, s8, v0
	s_delay_alu instid0(VALU_DEP_3) | instskip(SKIP_3) | instid1(SALU_CYCLE_1)
	v_add_co_ci_u32_e32 v12, vcc_lo, s9, v1, vcc_lo
	v_mov_b32_e32 v0, v9
	global_store_b16 v[11:12], v2, off
	s_or_b32 exec_lo, exec_lo, s1
	s_mov_b32 s1, exec_lo
	v_cmpx_gt_i32_e64 s7, v0
	s_cbranch_execz .LBB258_19
.LBB258_30:
	v_mul_f32_e32 v1, 0x4f800000, v8
	v_cmp_gt_f32_e32 vcc_lo, 0xf800000, v8
	s_delay_alu instid0(VALU_DEP_2) | instskip(NEXT) | instid1(VALU_DEP_1)
	v_cndmask_b32_e32 v8, v8, v1, vcc_lo
	v_sqrt_f32_e32 v1, v8
	s_waitcnt_depctr 0xfff
	v_add_nc_u32_e32 v2, -1, v1
	v_add_nc_u32_e32 v9, 1, v1
	s_delay_alu instid0(VALU_DEP_2) | instskip(NEXT) | instid1(VALU_DEP_2)
	v_fma_f32 v11, -v2, v1, v8
	v_fma_f32 v12, -v9, v1, v8
	s_delay_alu instid0(VALU_DEP_2) | instskip(NEXT) | instid1(VALU_DEP_1)
	v_cmp_ge_f32_e64 s0, 0, v11
	v_cndmask_b32_e64 v1, v1, v2, s0
	s_delay_alu instid0(VALU_DEP_3) | instskip(NEXT) | instid1(VALU_DEP_1)
	v_cmp_lt_f32_e64 s0, 0, v12
	v_cndmask_b32_e64 v2, v1, v9, s0
	v_add_nc_u32_e32 v1, s12, v0
	v_add_nc_u32_e32 v0, 0x100, v0
	s_delay_alu instid0(VALU_DEP_3) | instskip(NEXT) | instid1(VALU_DEP_1)
	v_mul_f32_e32 v9, 0x37800000, v2
	v_dual_cndmask_b32 v9, v2, v9 :: v_dual_mov_b32 v2, 0
	v_cmp_class_f32_e64 vcc_lo, v8, 0x260
	s_delay_alu instid0(VALU_DEP_2) | instskip(NEXT) | instid1(VALU_DEP_3)
	v_lshlrev_b64 v[1:2], 1, v[1:2]
	v_cndmask_b32_e32 v8, v9, v8, vcc_lo
	s_delay_alu instid0(VALU_DEP_1) | instskip(NEXT) | instid1(VALU_DEP_3)
	v_cvt_f16_f32_e32 v8, v8
	v_add_co_u32 v1, vcc_lo, s8, v1
	s_delay_alu instid0(VALU_DEP_4) | instskip(SKIP_2) | instid1(SALU_CYCLE_1)
	v_add_co_ci_u32_e32 v2, vcc_lo, s9, v2, vcc_lo
	global_store_b16 v[1:2], v8, off
	s_or_b32 exec_lo, exec_lo, s1
	s_mov_b32 s1, exec_lo
	v_cmpx_gt_i32_e64 s7, v0
	s_cbranch_execz .LBB258_20
.LBB258_31:
	v_mul_f32_e32 v1, 0x4f800000, v10
	v_cmp_gt_f32_e32 vcc_lo, 0xf800000, v10
	s_delay_alu instid0(VALU_DEP_2) | instskip(NEXT) | instid1(VALU_DEP_1)
	v_cndmask_b32_e32 v8, v10, v1, vcc_lo
	v_sqrt_f32_e32 v1, v8
	s_waitcnt_depctr 0xfff
	v_add_nc_u32_e32 v2, -1, v1
	v_add_nc_u32_e32 v9, 1, v1
	s_delay_alu instid0(VALU_DEP_2) | instskip(NEXT) | instid1(VALU_DEP_2)
	v_fma_f32 v10, -v2, v1, v8
	v_fma_f32 v11, -v9, v1, v8
	s_delay_alu instid0(VALU_DEP_2) | instskip(NEXT) | instid1(VALU_DEP_1)
	v_cmp_ge_f32_e64 s0, 0, v10
	v_cndmask_b32_e64 v1, v1, v2, s0
	s_delay_alu instid0(VALU_DEP_3) | instskip(NEXT) | instid1(VALU_DEP_1)
	v_cmp_lt_f32_e64 s0, 0, v11
	v_cndmask_b32_e64 v2, v1, v9, s0
	v_add_nc_u32_e32 v1, s12, v0
	v_add_nc_u32_e32 v0, 0x100, v0
	s_delay_alu instid0(VALU_DEP_3) | instskip(NEXT) | instid1(VALU_DEP_1)
	v_mul_f32_e32 v9, 0x37800000, v2
	v_dual_cndmask_b32 v9, v2, v9 :: v_dual_mov_b32 v2, 0
	v_cmp_class_f32_e64 vcc_lo, v8, 0x260
	s_delay_alu instid0(VALU_DEP_2) | instskip(NEXT) | instid1(VALU_DEP_3)
	v_lshlrev_b64 v[1:2], 1, v[1:2]
	v_cndmask_b32_e32 v8, v9, v8, vcc_lo
	s_delay_alu instid0(VALU_DEP_1) | instskip(NEXT) | instid1(VALU_DEP_3)
	v_cvt_f16_f32_e32 v8, v8
	v_add_co_u32 v1, vcc_lo, s8, v1
	s_delay_alu instid0(VALU_DEP_4) | instskip(SKIP_2) | instid1(SALU_CYCLE_1)
	v_add_co_ci_u32_e32 v2, vcc_lo, s9, v2, vcc_lo
	global_store_b16 v[1:2], v8, off
	s_or_b32 exec_lo, exec_lo, s1
	s_mov_b32 s1, exec_lo
	v_cmpx_gt_i32_e64 s7, v0
	s_cbranch_execz .LBB258_21
.LBB258_32:
	v_cmp_gt_f32_e32 vcc_lo, 0xf800000, v6
	v_mul_f32_e32 v1, 0x4f800000, v6
	s_delay_alu instid0(VALU_DEP_1) | instskip(NEXT) | instid1(VALU_DEP_1)
	v_cndmask_b32_e32 v6, v6, v1, vcc_lo
	v_sqrt_f32_e32 v1, v6
	s_waitcnt_depctr 0xfff
	v_add_nc_u32_e32 v2, -1, v1
	v_add_nc_u32_e32 v8, 1, v1
	s_delay_alu instid0(VALU_DEP_2) | instskip(NEXT) | instid1(VALU_DEP_2)
	v_fma_f32 v9, -v2, v1, v6
	v_fma_f32 v10, -v8, v1, v6
	s_delay_alu instid0(VALU_DEP_2) | instskip(NEXT) | instid1(VALU_DEP_1)
	v_cmp_ge_f32_e64 s0, 0, v9
	v_cndmask_b32_e64 v1, v1, v2, s0
	s_delay_alu instid0(VALU_DEP_3) | instskip(NEXT) | instid1(VALU_DEP_1)
	v_cmp_lt_f32_e64 s0, 0, v10
	v_cndmask_b32_e64 v2, v1, v8, s0
	v_add_nc_u32_e32 v1, s12, v0
	v_add_nc_u32_e32 v0, 0x100, v0
	s_delay_alu instid0(VALU_DEP_3) | instskip(NEXT) | instid1(VALU_DEP_1)
	v_mul_f32_e32 v8, 0x37800000, v2
	v_cndmask_b32_e32 v8, v2, v8, vcc_lo
	v_mov_b32_e32 v2, 0
	v_cmp_class_f32_e64 vcc_lo, v6, 0x260
	s_delay_alu instid0(VALU_DEP_2) | instskip(NEXT) | instid1(VALU_DEP_4)
	v_lshlrev_b64 v[1:2], 1, v[1:2]
	v_cndmask_b32_e32 v6, v8, v6, vcc_lo
	s_delay_alu instid0(VALU_DEP_1) | instskip(NEXT) | instid1(VALU_DEP_3)
	v_cvt_f16_f32_e32 v6, v6
	v_add_co_u32 v1, vcc_lo, s8, v1
	s_delay_alu instid0(VALU_DEP_4) | instskip(SKIP_2) | instid1(SALU_CYCLE_1)
	v_add_co_ci_u32_e32 v2, vcc_lo, s9, v2, vcc_lo
	global_store_b16 v[1:2], v6, off
	s_or_b32 exec_lo, exec_lo, s1
	s_mov_b32 s1, exec_lo
	v_cmpx_gt_i32_e64 s7, v0
	s_cbranch_execz .LBB258_22
.LBB258_33:
	v_mul_f32_e32 v1, 0x4f800000, v7
	v_cmp_gt_f32_e32 vcc_lo, 0xf800000, v7
	s_delay_alu instid0(VALU_DEP_2) | instskip(NEXT) | instid1(VALU_DEP_1)
	v_cndmask_b32_e32 v6, v7, v1, vcc_lo
	v_sqrt_f32_e32 v1, v6
	s_waitcnt_depctr 0xfff
	v_add_nc_u32_e32 v2, -1, v1
	v_add_nc_u32_e32 v7, 1, v1
	s_delay_alu instid0(VALU_DEP_2) | instskip(NEXT) | instid1(VALU_DEP_2)
	v_fma_f32 v8, -v2, v1, v6
	v_fma_f32 v9, -v7, v1, v6
	s_delay_alu instid0(VALU_DEP_2) | instskip(NEXT) | instid1(VALU_DEP_1)
	v_cmp_ge_f32_e64 s0, 0, v8
	v_cndmask_b32_e64 v1, v1, v2, s0
	s_delay_alu instid0(VALU_DEP_3) | instskip(NEXT) | instid1(VALU_DEP_1)
	v_cmp_lt_f32_e64 s0, 0, v9
	v_cndmask_b32_e64 v2, v1, v7, s0
	s_delay_alu instid0(VALU_DEP_1) | instskip(NEXT) | instid1(VALU_DEP_1)
	v_mul_f32_e32 v7, 0x37800000, v2
	v_dual_cndmask_b32 v7, v2, v7 :: v_dual_mov_b32 v2, 0
	v_cmp_class_f32_e64 vcc_lo, v6, 0x260
	v_add_nc_u32_e32 v1, s12, v0
	v_add_nc_u32_e32 v0, 0x100, v0
	s_delay_alu instid0(VALU_DEP_4) | instskip(NEXT) | instid1(VALU_DEP_3)
	v_cndmask_b32_e32 v6, v7, v6, vcc_lo
	v_lshlrev_b64 v[1:2], 1, v[1:2]
	s_delay_alu instid0(VALU_DEP_2) | instskip(NEXT) | instid1(VALU_DEP_2)
	v_cvt_f16_f32_e32 v6, v6
	v_add_co_u32 v1, vcc_lo, s8, v1
	s_delay_alu instid0(VALU_DEP_3) | instskip(SKIP_2) | instid1(SALU_CYCLE_1)
	v_add_co_ci_u32_e32 v2, vcc_lo, s9, v2, vcc_lo
	global_store_b16 v[1:2], v6, off
	s_or_b32 exec_lo, exec_lo, s1
	s_mov_b32 s1, exec_lo
	v_cmpx_gt_i32_e64 s7, v0
	s_cbranch_execz .LBB258_23
.LBB258_34:
	v_cmp_gt_f32_e32 vcc_lo, 0xf800000, v4
	v_mul_f32_e32 v1, 0x4f800000, v4
	s_delay_alu instid0(VALU_DEP_1) | instskip(NEXT) | instid1(VALU_DEP_1)
	v_cndmask_b32_e32 v4, v4, v1, vcc_lo
	v_sqrt_f32_e32 v1, v4
	s_waitcnt_depctr 0xfff
	v_add_nc_u32_e32 v2, -1, v1
	v_add_nc_u32_e32 v6, 1, v1
	s_delay_alu instid0(VALU_DEP_2) | instskip(NEXT) | instid1(VALU_DEP_2)
	v_fma_f32 v7, -v2, v1, v4
	v_fma_f32 v8, -v6, v1, v4
	s_delay_alu instid0(VALU_DEP_2) | instskip(NEXT) | instid1(VALU_DEP_1)
	v_cmp_ge_f32_e64 s0, 0, v7
	v_cndmask_b32_e64 v1, v1, v2, s0
	s_delay_alu instid0(VALU_DEP_3) | instskip(NEXT) | instid1(VALU_DEP_1)
	v_cmp_lt_f32_e64 s0, 0, v8
	v_cndmask_b32_e64 v2, v1, v6, s0
	v_add_nc_u32_e32 v1, s12, v0
	v_add_nc_u32_e32 v0, 0x100, v0
	s_delay_alu instid0(VALU_DEP_3) | instskip(NEXT) | instid1(VALU_DEP_1)
	v_mul_f32_e32 v6, 0x37800000, v2
	v_cndmask_b32_e32 v6, v2, v6, vcc_lo
	v_mov_b32_e32 v2, 0
	v_cmp_class_f32_e64 vcc_lo, v4, 0x260
	s_delay_alu instid0(VALU_DEP_2) | instskip(NEXT) | instid1(VALU_DEP_4)
	v_lshlrev_b64 v[1:2], 1, v[1:2]
	v_cndmask_b32_e32 v4, v6, v4, vcc_lo
	s_delay_alu instid0(VALU_DEP_1) | instskip(NEXT) | instid1(VALU_DEP_3)
	v_cvt_f16_f32_e32 v4, v4
	v_add_co_u32 v1, vcc_lo, s8, v1
	s_delay_alu instid0(VALU_DEP_4) | instskip(SKIP_2) | instid1(SALU_CYCLE_1)
	v_add_co_ci_u32_e32 v2, vcc_lo, s9, v2, vcc_lo
	global_store_b16 v[1:2], v4, off
	s_or_b32 exec_lo, exec_lo, s1
	s_mov_b32 s1, exec_lo
	v_cmpx_gt_i32_e64 s7, v0
	s_cbranch_execz .LBB258_24
.LBB258_35:
	v_mul_f32_e32 v1, 0x4f800000, v5
	v_cmp_gt_f32_e32 vcc_lo, 0xf800000, v5
	s_delay_alu instid0(VALU_DEP_2) | instskip(NEXT) | instid1(VALU_DEP_1)
	v_cndmask_b32_e32 v4, v5, v1, vcc_lo
	v_sqrt_f32_e32 v1, v4
	s_waitcnt_depctr 0xfff
	v_add_nc_u32_e32 v2, -1, v1
	v_add_nc_u32_e32 v5, 1, v1
	s_delay_alu instid0(VALU_DEP_2) | instskip(NEXT) | instid1(VALU_DEP_2)
	v_fma_f32 v6, -v2, v1, v4
	v_fma_f32 v7, -v5, v1, v4
	s_delay_alu instid0(VALU_DEP_2) | instskip(NEXT) | instid1(VALU_DEP_1)
	v_cmp_ge_f32_e64 s0, 0, v6
	v_cndmask_b32_e64 v1, v1, v2, s0
	s_delay_alu instid0(VALU_DEP_3) | instskip(NEXT) | instid1(VALU_DEP_1)
	v_cmp_lt_f32_e64 s0, 0, v7
	v_cndmask_b32_e64 v2, v1, v5, s0
	v_add_nc_u32_e32 v1, s12, v0
	v_add_nc_u32_e32 v0, 0x100, v0
	s_delay_alu instid0(VALU_DEP_3) | instskip(NEXT) | instid1(VALU_DEP_1)
	v_mul_f32_e32 v5, 0x37800000, v2
	v_dual_cndmask_b32 v5, v2, v5 :: v_dual_mov_b32 v2, 0
	v_cmp_class_f32_e64 vcc_lo, v4, 0x260
	s_delay_alu instid0(VALU_DEP_2) | instskip(NEXT) | instid1(VALU_DEP_3)
	v_lshlrev_b64 v[1:2], 1, v[1:2]
	v_cndmask_b32_e32 v4, v5, v4, vcc_lo
	s_delay_alu instid0(VALU_DEP_1) | instskip(NEXT) | instid1(VALU_DEP_3)
	v_cvt_f16_f32_e32 v4, v4
	v_add_co_u32 v1, vcc_lo, s8, v1
	s_delay_alu instid0(VALU_DEP_4) | instskip(SKIP_2) | instid1(SALU_CYCLE_1)
	v_add_co_ci_u32_e32 v2, vcc_lo, s9, v2, vcc_lo
	global_store_b16 v[1:2], v4, off
	s_or_b32 exec_lo, exec_lo, s1
	s_mov_b32 s0, exec_lo
	v_cmpx_gt_i32_e64 s7, v0
	s_cbranch_execnz .LBB258_25
	s_branch .LBB258_26
	.section	.rodata,"a",@progbits
	.p2align	6, 0x0
	.amdhsa_kernel _ZN2at6native29vectorized_elementwise_kernelILi16EZZZNS0_16sqrt_kernel_cudaERNS_18TensorIteratorBaseEENKUlvE0_clEvENKUlvE1_clEvEUlN3c104HalfEE_St5arrayIPcLm2EEEEviT0_T1_
		.amdhsa_group_segment_fixed_size 0
		.amdhsa_private_segment_fixed_size 0
		.amdhsa_kernarg_size 24
		.amdhsa_user_sgpr_count 15
		.amdhsa_user_sgpr_dispatch_ptr 0
		.amdhsa_user_sgpr_queue_ptr 0
		.amdhsa_user_sgpr_kernarg_segment_ptr 1
		.amdhsa_user_sgpr_dispatch_id 0
		.amdhsa_user_sgpr_private_segment_size 0
		.amdhsa_wavefront_size32 1
		.amdhsa_uses_dynamic_stack 0
		.amdhsa_enable_private_segment 0
		.amdhsa_system_sgpr_workgroup_id_x 1
		.amdhsa_system_sgpr_workgroup_id_y 0
		.amdhsa_system_sgpr_workgroup_id_z 0
		.amdhsa_system_sgpr_workgroup_info 0
		.amdhsa_system_vgpr_workitem_id 0
		.amdhsa_next_free_vgpr 31
		.amdhsa_next_free_sgpr 16
		.amdhsa_reserve_vcc 1
		.amdhsa_float_round_mode_32 0
		.amdhsa_float_round_mode_16_64 0
		.amdhsa_float_denorm_mode_32 3
		.amdhsa_float_denorm_mode_16_64 3
		.amdhsa_dx10_clamp 1
		.amdhsa_ieee_mode 1
		.amdhsa_fp16_overflow 0
		.amdhsa_workgroup_processor_mode 1
		.amdhsa_memory_ordered 1
		.amdhsa_forward_progress 0
		.amdhsa_shared_vgpr_count 0
		.amdhsa_exception_fp_ieee_invalid_op 0
		.amdhsa_exception_fp_denorm_src 0
		.amdhsa_exception_fp_ieee_div_zero 0
		.amdhsa_exception_fp_ieee_overflow 0
		.amdhsa_exception_fp_ieee_underflow 0
		.amdhsa_exception_fp_ieee_inexact 0
		.amdhsa_exception_int_div_zero 0
	.end_amdhsa_kernel
	.section	.text._ZN2at6native29vectorized_elementwise_kernelILi16EZZZNS0_16sqrt_kernel_cudaERNS_18TensorIteratorBaseEENKUlvE0_clEvENKUlvE1_clEvEUlN3c104HalfEE_St5arrayIPcLm2EEEEviT0_T1_,"axG",@progbits,_ZN2at6native29vectorized_elementwise_kernelILi16EZZZNS0_16sqrt_kernel_cudaERNS_18TensorIteratorBaseEENKUlvE0_clEvENKUlvE1_clEvEUlN3c104HalfEE_St5arrayIPcLm2EEEEviT0_T1_,comdat
.Lfunc_end258:
	.size	_ZN2at6native29vectorized_elementwise_kernelILi16EZZZNS0_16sqrt_kernel_cudaERNS_18TensorIteratorBaseEENKUlvE0_clEvENKUlvE1_clEvEUlN3c104HalfEE_St5arrayIPcLm2EEEEviT0_T1_, .Lfunc_end258-_ZN2at6native29vectorized_elementwise_kernelILi16EZZZNS0_16sqrt_kernel_cudaERNS_18TensorIteratorBaseEENKUlvE0_clEvENKUlvE1_clEvEUlN3c104HalfEE_St5arrayIPcLm2EEEEviT0_T1_
                                        ; -- End function
	.section	.AMDGPU.csdata,"",@progbits
; Kernel info:
; codeLenInByte = 3664
; NumSgprs: 18
; NumVgprs: 31
; ScratchSize: 0
; MemoryBound: 0
; FloatMode: 240
; IeeeMode: 1
; LDSByteSize: 0 bytes/workgroup (compile time only)
; SGPRBlocks: 2
; VGPRBlocks: 3
; NumSGPRsForWavesPerEU: 18
; NumVGPRsForWavesPerEU: 31
; Occupancy: 16
; WaveLimiterHint : 0
; COMPUTE_PGM_RSRC2:SCRATCH_EN: 0
; COMPUTE_PGM_RSRC2:USER_SGPR: 15
; COMPUTE_PGM_RSRC2:TRAP_HANDLER: 0
; COMPUTE_PGM_RSRC2:TGID_X_EN: 1
; COMPUTE_PGM_RSRC2:TGID_Y_EN: 0
; COMPUTE_PGM_RSRC2:TGID_Z_EN: 0
; COMPUTE_PGM_RSRC2:TIDIG_COMP_CNT: 0
	.section	.text._ZN2at6native29vectorized_elementwise_kernelILi8EZZZNS0_16sqrt_kernel_cudaERNS_18TensorIteratorBaseEENKUlvE0_clEvENKUlvE1_clEvEUlN3c104HalfEE_St5arrayIPcLm2EEEEviT0_T1_,"axG",@progbits,_ZN2at6native29vectorized_elementwise_kernelILi8EZZZNS0_16sqrt_kernel_cudaERNS_18TensorIteratorBaseEENKUlvE0_clEvENKUlvE1_clEvEUlN3c104HalfEE_St5arrayIPcLm2EEEEviT0_T1_,comdat
	.globl	_ZN2at6native29vectorized_elementwise_kernelILi8EZZZNS0_16sqrt_kernel_cudaERNS_18TensorIteratorBaseEENKUlvE0_clEvENKUlvE1_clEvEUlN3c104HalfEE_St5arrayIPcLm2EEEEviT0_T1_ ; -- Begin function _ZN2at6native29vectorized_elementwise_kernelILi8EZZZNS0_16sqrt_kernel_cudaERNS_18TensorIteratorBaseEENKUlvE0_clEvENKUlvE1_clEvEUlN3c104HalfEE_St5arrayIPcLm2EEEEviT0_T1_
	.p2align	8
	.type	_ZN2at6native29vectorized_elementwise_kernelILi8EZZZNS0_16sqrt_kernel_cudaERNS_18TensorIteratorBaseEENKUlvE0_clEvENKUlvE1_clEvEUlN3c104HalfEE_St5arrayIPcLm2EEEEviT0_T1_,@function
_ZN2at6native29vectorized_elementwise_kernelILi8EZZZNS0_16sqrt_kernel_cudaERNS_18TensorIteratorBaseEENKUlvE0_clEvENKUlvE1_clEvEUlN3c104HalfEE_St5arrayIPcLm2EEEEviT0_T1_: ; @_ZN2at6native29vectorized_elementwise_kernelILi8EZZZNS0_16sqrt_kernel_cudaERNS_18TensorIteratorBaseEENKUlvE0_clEvENKUlvE1_clEvEUlN3c104HalfEE_St5arrayIPcLm2EEEEviT0_T1_
; %bb.0:
	s_clause 0x1
	s_load_b32 s2, s[0:1], 0x0
	s_load_b128 s[8:11], s[0:1], 0x8
	s_lshl_b32 s12, s15, 11
	s_mov_b32 s0, -1
	s_waitcnt lgkmcnt(0)
	s_sub_i32 s7, s2, s12
	s_delay_alu instid0(SALU_CYCLE_1)
	s_cmpk_gt_i32 s7, 0x7ff
	s_cbranch_scc0 .LBB259_2
; %bb.1:
	s_ashr_i32 s13, s12, 31
	v_lshlrev_b32_e32 v5, 4, v0
	s_lshl_b64 s[14:15], s[12:13], 1
	s_delay_alu instid0(SALU_CYCLE_1)
	s_add_u32 s0, s10, s14
	s_addc_u32 s1, s11, s15
	global_load_b128 v[1:4], v5, s[0:1]
	s_waitcnt vmcnt(0)
	v_lshrrev_b32_e32 v6, 16, v1
	v_cvt_f32_f16_e32 v1, v1
	v_lshrrev_b32_e32 v7, 16, v2
	v_lshrrev_b32_e32 v8, 16, v3
	v_cvt_f32_f16_e32 v2, v2
	v_cvt_f32_f16_e32 v3, v3
	v_mul_f32_e32 v10, 0x4f800000, v1
	v_cmp_gt_f32_e32 vcc_lo, 0xf800000, v1
	v_lshrrev_b32_e32 v9, 16, v4
	v_cvt_f32_f16_e32 v4, v4
	v_dual_mul_f32 v11, 0x4f800000, v2 :: v_dual_mul_f32 v12, 0x4f800000, v3
	v_cvt_f32_f16_e32 v8, v8
	v_cndmask_b32_e32 v1, v1, v10, vcc_lo
	v_cmp_gt_f32_e64 s1, 0xf800000, v3
	v_cvt_f32_f16_e32 v6, v6
	v_cvt_f32_f16_e32 v7, v7
	v_mul_f32_e32 v13, 0x4f800000, v4
	v_cmp_gt_f32_e64 s0, 0xf800000, v2
	v_cndmask_b32_e64 v3, v3, v12, s1
	v_mul_f32_e32 v10, 0x4f800000, v6
	v_mul_f32_e32 v12, 0x4f800000, v8
	v_cmp_gt_f32_e64 s2, 0xf800000, v4
	v_rsq_f32_e32 v14, v1
	v_cvt_f32_f16_e32 v9, v9
	v_cndmask_b32_e64 v2, v2, v11, s0
	v_mul_f32_e32 v11, 0x4f800000, v7
	v_cndmask_b32_e64 v4, v4, v13, s2
	v_cmp_gt_f32_e64 s3, 0xf800000, v6
	v_cmp_gt_f32_e64 s4, 0xf800000, v7
	;; [unrolled: 1-line block ×3, first 2 shown]
	v_mul_f32_e32 v13, 0x4f800000, v9
	v_cmp_gt_f32_e64 s6, 0xf800000, v9
	v_cndmask_b32_e64 v6, v6, v10, s3
	v_rsq_f32_e32 v10, v2
	v_cndmask_b32_e64 v8, v8, v12, s5
	v_rsq_f32_e32 v12, v4
	v_mul_f32_e32 v18, v1, v14
	v_mul_f32_e32 v14, 0.5, v14
	v_cndmask_b32_e64 v7, v7, v11, s4
	v_rsq_f32_e32 v11, v3
	v_cndmask_b32_e64 v9, v9, v13, s6
	v_rsq_f32_e32 v13, v6
	v_rsq_f32_e32 v16, v8
	;; [unrolled: 1-line block ×3, first 2 shown]
	v_fma_f32 v22, -v14, v18, 0.5
	v_rsq_f32_e32 v17, v9
	v_mul_f32_e32 v19, v2, v10
	v_dual_mul_f32 v10, 0.5, v10 :: v_dual_mul_f32 v21, v4, v12
	s_delay_alu instid0(VALU_DEP_3)
	v_fmac_f32_e32 v18, v18, v22
	v_mul_f32_e32 v20, v3, v11
	v_dual_mul_f32 v11, 0.5, v11 :: v_dual_mul_f32 v12, 0.5, v12
	v_mul_f32_e32 v23, v6, v13
	v_mul_f32_e32 v13, 0.5, v13
	v_fma_f32 v24, -v10, v19, 0.5
	v_dual_mul_f32 v25, v7, v15 :: v_dual_fmac_f32 v14, v14, v22
	v_mul_f32_e32 v15, 0.5, v15
	v_fma_f32 v26, -v11, v20, 0.5
	s_delay_alu instid0(VALU_DEP_4)
	v_fmac_f32_e32 v10, v10, v24
	v_fma_f32 v30, -v18, v18, v1
	v_mul_f32_e32 v27, v8, v16
	v_mul_f32_e32 v16, 0.5, v16
	v_fma_f32 v28, -v12, v21, 0.5
	v_dual_mul_f32 v29, v9, v17 :: v_dual_fmac_f32 v20, v20, v26
	v_fmac_f32_e32 v11, v11, v26
	v_fmac_f32_e32 v18, v30, v14
	v_fma_f32 v26, -v16, v27, 0.5
	v_fmac_f32_e32 v19, v19, v24
	v_fma_f32 v24, -v15, v25, 0.5
	v_dual_mul_f32 v17, 0.5, v17 :: v_dual_fmac_f32 v12, v12, v28
	s_delay_alu instid0(VALU_DEP_4) | instskip(NEXT) | instid1(VALU_DEP_3)
	v_fmac_f32_e32 v27, v27, v26
	v_dual_fmac_f32 v16, v16, v26 :: v_dual_fmac_f32 v25, v25, v24
	v_fmac_f32_e32 v15, v15, v24
	v_fma_f32 v24, -v20, v20, v3
	v_fmac_f32_e32 v21, v21, v28
	v_fma_f32 v22, -v13, v23, 0.5
	v_fma_f32 v28, -v17, v29, 0.5
	s_delay_alu instid0(VALU_DEP_4) | instskip(NEXT) | instid1(VALU_DEP_4)
	v_fmac_f32_e32 v20, v24, v11
	v_fma_f32 v26, -v21, v21, v4
	v_fma_f32 v11, -v27, v27, v8
	v_fmac_f32_e32 v13, v13, v22
	v_fmac_f32_e32 v29, v29, v28
	;; [unrolled: 1-line block ×6, first 2 shown]
	v_fma_f32 v22, -v19, v19, v2
	v_fma_f32 v12, -v29, v29, v9
	s_delay_alu instid0(VALU_DEP_4) | instskip(NEXT) | instid1(VALU_DEP_4)
	v_dual_mul_f32 v11, 0x37800000, v21 :: v_dual_mul_f32 v16, 0x37800000, v27
	v_fma_f32 v14, -v23, v23, v6
	s_delay_alu instid0(VALU_DEP_3) | instskip(NEXT) | instid1(VALU_DEP_3)
	v_fmac_f32_e32 v29, v12, v17
	v_cndmask_b32_e64 v11, v21, v11, s2
	v_fmac_f32_e32 v19, v22, v10
	v_mul_f32_e32 v22, 0x37800000, v18
	v_fma_f32 v10, -v25, v25, v7
	v_fmac_f32_e32 v23, v14, v13
	v_mul_f32_e32 v17, 0x37800000, v29
	s_delay_alu instid0(VALU_DEP_4) | instskip(SKIP_2) | instid1(VALU_DEP_3)
	v_dual_mul_f32 v13, 0x37800000, v19 :: v_dual_cndmask_b32 v12, v18, v22
	v_cmp_class_f32_e64 vcc_lo, v1, 0x260
	v_dual_fmac_f32 v25, v10, v15 :: v_dual_mul_f32 v10, 0x37800000, v20
	v_cndmask_b32_e64 v13, v19, v13, s0
	s_delay_alu instid0(VALU_DEP_4) | instskip(SKIP_1) | instid1(VALU_DEP_4)
	v_dual_mul_f32 v14, 0x37800000, v23 :: v_dual_cndmask_b32 v1, v12, v1
	v_cmp_class_f32_e64 vcc_lo, v2, 0x260
	v_cndmask_b32_e64 v10, v20, v10, s1
	v_mul_f32_e32 v15, 0x37800000, v25
	s_delay_alu instid0(VALU_DEP_4)
	v_cndmask_b32_e64 v12, v23, v14, s3
	v_cvt_f16_f32_e32 v1, v1
	v_cndmask_b32_e32 v2, v13, v2, vcc_lo
	v_cmp_class_f32_e64 vcc_lo, v3, 0x260
	v_cndmask_b32_e64 v13, v25, v15, s4
	s_add_u32 s2, s8, s14
	s_addc_u32 s3, s9, s15
	v_cvt_f16_f32_e32 v2, v2
	v_cndmask_b32_e32 v3, v10, v3, vcc_lo
	v_cmp_class_f32_e64 vcc_lo, v4, 0x260
	v_cndmask_b32_e64 v10, v27, v16, s5
	s_mov_b32 s0, 0
	s_delay_alu instid0(VALU_DEP_3) | instskip(SKIP_3) | instid1(VALU_DEP_3)
	v_cvt_f16_f32_e32 v3, v3
	v_cndmask_b32_e32 v4, v11, v4, vcc_lo
	v_cmp_class_f32_e64 vcc_lo, v6, 0x260
	v_cndmask_b32_e64 v11, v29, v17, s6
	v_cvt_f16_f32_e32 v4, v4
	v_cndmask_b32_e32 v6, v12, v6, vcc_lo
	v_cmp_class_f32_e64 vcc_lo, v8, 0x260
	s_delay_alu instid0(VALU_DEP_2) | instskip(SKIP_2) | instid1(VALU_DEP_3)
	v_cvt_f16_f32_e32 v6, v6
	v_cndmask_b32_e32 v8, v10, v8, vcc_lo
	v_cmp_class_f32_e64 vcc_lo, v9, 0x260
	v_pack_b32_f16 v1, v1, v6
	s_delay_alu instid0(VALU_DEP_3) | instskip(SKIP_2) | instid1(VALU_DEP_3)
	v_cvt_f16_f32_e32 v8, v8
	v_cndmask_b32_e32 v9, v11, v9, vcc_lo
	v_cmp_class_f32_e64 vcc_lo, v7, 0x260
	v_pack_b32_f16 v3, v3, v8
	s_delay_alu instid0(VALU_DEP_3) | instskip(SKIP_1) | instid1(VALU_DEP_2)
	v_cvt_f16_f32_e32 v9, v9
	v_cndmask_b32_e32 v7, v13, v7, vcc_lo
	v_pack_b32_f16 v4, v4, v9
	s_delay_alu instid0(VALU_DEP_2) | instskip(NEXT) | instid1(VALU_DEP_1)
	v_cvt_f16_f32_e32 v7, v7
	v_pack_b32_f16 v2, v2, v7
	global_store_b128 v5, v[1:4], s[2:3]
.LBB259_2:
	s_and_not1_b32 vcc_lo, exec_lo, s0
	s_cbranch_vccnz .LBB259_26
; %bb.3:
	v_cmp_gt_i32_e32 vcc_lo, s7, v0
	v_dual_mov_b32 v8, 0 :: v_dual_mov_b32 v11, v0
	v_or_b32_e32 v1, s12, v0
	v_or_b32_e32 v9, 0x100, v0
	v_mov_b32_e32 v2, 0
	s_and_saveexec_b32 s1, vcc_lo
	s_cbranch_execz .LBB259_5
; %bb.4:
	v_mov_b32_e32 v2, 0
	v_or_b32_e32 v11, 0x100, v0
	s_delay_alu instid0(VALU_DEP_2) | instskip(NEXT) | instid1(VALU_DEP_1)
	v_lshlrev_b64 v[2:3], 1, v[1:2]
	v_add_co_u32 v2, s0, s10, v2
	s_delay_alu instid0(VALU_DEP_1)
	v_add_co_ci_u32_e64 v3, s0, s11, v3, s0
	global_load_u16 v2, v[2:3], off
	s_waitcnt vmcnt(0)
	v_cvt_f32_f16_e32 v2, v2
.LBB259_5:
	s_or_b32 exec_lo, exec_lo, s1
	s_delay_alu instid0(SALU_CYCLE_1)
	s_mov_b32 s1, exec_lo
	v_cmpx_gt_i32_e64 s7, v11
	s_cbranch_execz .LBB259_7
; %bb.6:
	v_dual_mov_b32 v4, 0 :: v_dual_add_nc_u32 v3, s12, v11
	v_add_nc_u32_e32 v11, 0x100, v11
	s_delay_alu instid0(VALU_DEP_2) | instskip(NEXT) | instid1(VALU_DEP_1)
	v_lshlrev_b64 v[3:4], 1, v[3:4]
	v_add_co_u32 v3, s0, s10, v3
	s_delay_alu instid0(VALU_DEP_1)
	v_add_co_ci_u32_e64 v4, s0, s11, v4, s0
	global_load_u16 v3, v[3:4], off
	s_waitcnt vmcnt(0)
	v_cvt_f32_f16_e32 v8, v3
.LBB259_7:
	s_or_b32 exec_lo, exec_lo, s1
	v_mov_b32_e32 v6, 0
	v_mov_b32_e32 v10, 0
	s_mov_b32 s1, exec_lo
	v_cmpx_gt_i32_e64 s7, v11
	s_cbranch_execz .LBB259_9
; %bb.8:
	v_dual_mov_b32 v4, 0 :: v_dual_add_nc_u32 v3, s12, v11
	v_add_nc_u32_e32 v11, 0x100, v11
	s_delay_alu instid0(VALU_DEP_2) | instskip(NEXT) | instid1(VALU_DEP_1)
	v_lshlrev_b64 v[3:4], 1, v[3:4]
	v_add_co_u32 v3, s0, s10, v3
	s_delay_alu instid0(VALU_DEP_1)
	v_add_co_ci_u32_e64 v4, s0, s11, v4, s0
	global_load_u16 v3, v[3:4], off
	s_waitcnt vmcnt(0)
	v_cvt_f32_f16_e32 v10, v3
.LBB259_9:
	s_or_b32 exec_lo, exec_lo, s1
	s_delay_alu instid0(SALU_CYCLE_1)
	s_mov_b32 s1, exec_lo
	v_cmpx_gt_i32_e64 s7, v11
	s_cbranch_execz .LBB259_11
; %bb.10:
	v_dual_mov_b32 v4, 0 :: v_dual_add_nc_u32 v3, s12, v11
	v_add_nc_u32_e32 v11, 0x100, v11
	s_delay_alu instid0(VALU_DEP_2) | instskip(NEXT) | instid1(VALU_DEP_1)
	v_lshlrev_b64 v[3:4], 1, v[3:4]
	v_add_co_u32 v3, s0, s10, v3
	s_delay_alu instid0(VALU_DEP_1)
	v_add_co_ci_u32_e64 v4, s0, s11, v4, s0
	global_load_u16 v3, v[3:4], off
	s_waitcnt vmcnt(0)
	v_cvt_f32_f16_e32 v6, v3
.LBB259_11:
	s_or_b32 exec_lo, exec_lo, s1
	v_dual_mov_b32 v4, 0 :: v_dual_mov_b32 v7, 0
	s_mov_b32 s1, exec_lo
	v_cmpx_gt_i32_e64 s7, v11
	s_cbranch_execz .LBB259_13
; %bb.12:
	v_dual_mov_b32 v13, 0 :: v_dual_add_nc_u32 v12, s12, v11
	v_add_nc_u32_e32 v11, 0x100, v11
	s_delay_alu instid0(VALU_DEP_2) | instskip(NEXT) | instid1(VALU_DEP_1)
	v_lshlrev_b64 v[12:13], 1, v[12:13]
	v_add_co_u32 v12, s0, s10, v12
	s_delay_alu instid0(VALU_DEP_1)
	v_add_co_ci_u32_e64 v13, s0, s11, v13, s0
	global_load_u16 v3, v[12:13], off
	s_waitcnt vmcnt(0)
	v_cvt_f32_f16_e32 v7, v3
.LBB259_13:
	s_or_b32 exec_lo, exec_lo, s1
	s_delay_alu instid0(SALU_CYCLE_1)
	s_mov_b32 s1, exec_lo
	v_cmpx_gt_i32_e64 s7, v11
	s_cbranch_execz .LBB259_15
; %bb.14:
	v_dual_mov_b32 v4, 0 :: v_dual_add_nc_u32 v3, s12, v11
	v_add_nc_u32_e32 v11, 0x100, v11
	s_delay_alu instid0(VALU_DEP_2) | instskip(NEXT) | instid1(VALU_DEP_1)
	v_lshlrev_b64 v[3:4], 1, v[3:4]
	v_add_co_u32 v3, s0, s10, v3
	s_delay_alu instid0(VALU_DEP_1)
	v_add_co_ci_u32_e64 v4, s0, s11, v4, s0
	global_load_u16 v3, v[3:4], off
	s_waitcnt vmcnt(0)
	v_cvt_f32_f16_e32 v4, v3
.LBB259_15:
	s_or_b32 exec_lo, exec_lo, s1
	v_mov_b32_e32 v3, 0
	v_mov_b32_e32 v5, 0
	s_mov_b32 s1, exec_lo
	v_cmpx_gt_i32_e64 s7, v11
	s_cbranch_execnz .LBB259_27
; %bb.16:
	s_or_b32 exec_lo, exec_lo, s1
	s_delay_alu instid0(SALU_CYCLE_1)
	s_mov_b32 s1, exec_lo
	v_cmpx_gt_i32_e64 s7, v11
	s_cbranch_execnz .LBB259_28
.LBB259_17:
	s_or_b32 exec_lo, exec_lo, s1
	s_and_saveexec_b32 s1, vcc_lo
	s_cbranch_execnz .LBB259_29
.LBB259_18:
	s_or_b32 exec_lo, exec_lo, s1
	s_delay_alu instid0(SALU_CYCLE_1)
	s_mov_b32 s1, exec_lo
	v_cmpx_gt_i32_e64 s7, v0
	s_cbranch_execnz .LBB259_30
.LBB259_19:
	s_or_b32 exec_lo, exec_lo, s1
	s_delay_alu instid0(SALU_CYCLE_1)
	s_mov_b32 s1, exec_lo
	v_cmpx_gt_i32_e64 s7, v0
	s_cbranch_execnz .LBB259_31
.LBB259_20:
	s_or_b32 exec_lo, exec_lo, s1
	s_delay_alu instid0(SALU_CYCLE_1)
	s_mov_b32 s1, exec_lo
	v_cmpx_gt_i32_e64 s7, v0
	s_cbranch_execnz .LBB259_32
.LBB259_21:
	s_or_b32 exec_lo, exec_lo, s1
	s_delay_alu instid0(SALU_CYCLE_1)
	s_mov_b32 s1, exec_lo
	v_cmpx_gt_i32_e64 s7, v0
	s_cbranch_execnz .LBB259_33
.LBB259_22:
	s_or_b32 exec_lo, exec_lo, s1
	s_delay_alu instid0(SALU_CYCLE_1)
	s_mov_b32 s1, exec_lo
	v_cmpx_gt_i32_e64 s7, v0
	s_cbranch_execnz .LBB259_34
.LBB259_23:
	s_or_b32 exec_lo, exec_lo, s1
	s_delay_alu instid0(SALU_CYCLE_1)
	s_mov_b32 s1, exec_lo
	v_cmpx_gt_i32_e64 s7, v0
	s_cbranch_execnz .LBB259_35
.LBB259_24:
	s_or_b32 exec_lo, exec_lo, s1
	s_delay_alu instid0(SALU_CYCLE_1)
	s_mov_b32 s0, exec_lo
	v_cmpx_gt_i32_e64 s7, v0
	s_cbranch_execz .LBB259_26
.LBB259_25:
	v_dual_mul_f32 v1, 0x4f800000, v3 :: v_dual_add_nc_u32 v0, s12, v0
	v_cmp_gt_f32_e32 vcc_lo, 0xf800000, v3
	s_delay_alu instid0(VALU_DEP_2) | instskip(NEXT) | instid1(VALU_DEP_1)
	v_cndmask_b32_e32 v2, v3, v1, vcc_lo
	v_sqrt_f32_e32 v1, v2
	s_waitcnt_depctr 0xfff
	v_add_nc_u32_e32 v3, -1, v1
	v_add_nc_u32_e32 v4, 1, v1
	s_delay_alu instid0(VALU_DEP_2) | instskip(NEXT) | instid1(VALU_DEP_2)
	v_fma_f32 v5, -v3, v1, v2
	v_fma_f32 v6, -v4, v1, v2
	s_delay_alu instid0(VALU_DEP_2) | instskip(NEXT) | instid1(VALU_DEP_1)
	v_cmp_ge_f32_e64 s0, 0, v5
	v_cndmask_b32_e64 v1, v1, v3, s0
	s_delay_alu instid0(VALU_DEP_3) | instskip(NEXT) | instid1(VALU_DEP_1)
	v_cmp_lt_f32_e64 s0, 0, v6
	v_cndmask_b32_e64 v1, v1, v4, s0
	s_delay_alu instid0(VALU_DEP_1) | instskip(NEXT) | instid1(VALU_DEP_1)
	v_mul_f32_e32 v3, 0x37800000, v1
	v_cndmask_b32_e32 v3, v1, v3, vcc_lo
	v_mov_b32_e32 v1, 0
	v_cmp_class_f32_e64 vcc_lo, v2, 0x260
	s_delay_alu instid0(VALU_DEP_2) | instskip(NEXT) | instid1(VALU_DEP_4)
	v_lshlrev_b64 v[0:1], 1, v[0:1]
	v_cndmask_b32_e32 v2, v3, v2, vcc_lo
	s_delay_alu instid0(VALU_DEP_2) | instskip(NEXT) | instid1(VALU_DEP_2)
	v_add_co_u32 v0, vcc_lo, s8, v0
	v_cvt_f16_f32_e32 v2, v2
	s_delay_alu instid0(VALU_DEP_4)
	v_add_co_ci_u32_e32 v1, vcc_lo, s9, v1, vcc_lo
	global_store_b16 v[0:1], v2, off
.LBB259_26:
	s_nop 0
	s_sendmsg sendmsg(MSG_DEALLOC_VGPRS)
	s_endpgm
.LBB259_27:
	v_dual_mov_b32 v13, 0 :: v_dual_add_nc_u32 v12, s12, v11
	v_add_nc_u32_e32 v11, 0x100, v11
	s_delay_alu instid0(VALU_DEP_2) | instskip(NEXT) | instid1(VALU_DEP_1)
	v_lshlrev_b64 v[12:13], 1, v[12:13]
	v_add_co_u32 v12, s0, s10, v12
	s_delay_alu instid0(VALU_DEP_1) | instskip(SKIP_4) | instid1(SALU_CYCLE_1)
	v_add_co_ci_u32_e64 v13, s0, s11, v13, s0
	global_load_u16 v5, v[12:13], off
	s_waitcnt vmcnt(0)
	v_cvt_f32_f16_e32 v5, v5
	s_or_b32 exec_lo, exec_lo, s1
	s_mov_b32 s1, exec_lo
	v_cmpx_gt_i32_e64 s7, v11
	s_cbranch_execz .LBB259_17
.LBB259_28:
	v_dual_mov_b32 v12, 0 :: v_dual_add_nc_u32 v11, s12, v11
	s_delay_alu instid0(VALU_DEP_1) | instskip(NEXT) | instid1(VALU_DEP_1)
	v_lshlrev_b64 v[11:12], 1, v[11:12]
	v_add_co_u32 v11, s0, s10, v11
	s_delay_alu instid0(VALU_DEP_1)
	v_add_co_ci_u32_e64 v12, s0, s11, v12, s0
	global_load_u16 v3, v[11:12], off
	s_waitcnt vmcnt(0)
	v_cvt_f32_f16_e32 v3, v3
	s_or_b32 exec_lo, exec_lo, s1
	s_and_saveexec_b32 s1, vcc_lo
	s_cbranch_execz .LBB259_18
.LBB259_29:
	v_cmp_gt_f32_e32 vcc_lo, 0xf800000, v2
	v_mul_f32_e32 v0, 0x4f800000, v2
	s_delay_alu instid0(VALU_DEP_1) | instskip(NEXT) | instid1(VALU_DEP_1)
	v_cndmask_b32_e32 v0, v2, v0, vcc_lo
	v_sqrt_f32_e32 v2, v0
	s_waitcnt_depctr 0xfff
	v_add_nc_u32_e32 v11, -1, v2
	v_add_nc_u32_e32 v12, 1, v2
	s_delay_alu instid0(VALU_DEP_2) | instskip(NEXT) | instid1(VALU_DEP_2)
	v_fma_f32 v13, -v11, v2, v0
	v_fma_f32 v14, -v12, v2, v0
	s_delay_alu instid0(VALU_DEP_2) | instskip(NEXT) | instid1(VALU_DEP_1)
	v_cmp_ge_f32_e64 s0, 0, v13
	v_cndmask_b32_e64 v2, v2, v11, s0
	s_delay_alu instid0(VALU_DEP_3) | instskip(NEXT) | instid1(VALU_DEP_1)
	v_cmp_lt_f32_e64 s0, 0, v14
	v_cndmask_b32_e64 v2, v2, v12, s0
	s_delay_alu instid0(VALU_DEP_1) | instskip(NEXT) | instid1(VALU_DEP_1)
	v_mul_f32_e32 v11, 0x37800000, v2
	v_dual_cndmask_b32 v11, v2, v11 :: v_dual_mov_b32 v2, 0
	v_cmp_class_f32_e64 vcc_lo, v0, 0x260
	s_delay_alu instid0(VALU_DEP_2) | instskip(NEXT) | instid1(VALU_DEP_3)
	v_cndmask_b32_e32 v11, v11, v0, vcc_lo
	v_lshlrev_b64 v[0:1], 1, v[1:2]
	s_delay_alu instid0(VALU_DEP_2) | instskip(NEXT) | instid1(VALU_DEP_2)
	v_cvt_f16_f32_e32 v2, v11
	v_add_co_u32 v11, vcc_lo, s8, v0
	s_delay_alu instid0(VALU_DEP_3) | instskip(SKIP_3) | instid1(SALU_CYCLE_1)
	v_add_co_ci_u32_e32 v12, vcc_lo, s9, v1, vcc_lo
	v_mov_b32_e32 v0, v9
	global_store_b16 v[11:12], v2, off
	s_or_b32 exec_lo, exec_lo, s1
	s_mov_b32 s1, exec_lo
	v_cmpx_gt_i32_e64 s7, v0
	s_cbranch_execz .LBB259_19
.LBB259_30:
	v_mul_f32_e32 v1, 0x4f800000, v8
	v_cmp_gt_f32_e32 vcc_lo, 0xf800000, v8
	s_delay_alu instid0(VALU_DEP_2) | instskip(NEXT) | instid1(VALU_DEP_1)
	v_cndmask_b32_e32 v8, v8, v1, vcc_lo
	v_sqrt_f32_e32 v1, v8
	s_waitcnt_depctr 0xfff
	v_add_nc_u32_e32 v2, -1, v1
	v_add_nc_u32_e32 v9, 1, v1
	s_delay_alu instid0(VALU_DEP_2) | instskip(NEXT) | instid1(VALU_DEP_2)
	v_fma_f32 v11, -v2, v1, v8
	v_fma_f32 v12, -v9, v1, v8
	s_delay_alu instid0(VALU_DEP_2) | instskip(NEXT) | instid1(VALU_DEP_1)
	v_cmp_ge_f32_e64 s0, 0, v11
	v_cndmask_b32_e64 v1, v1, v2, s0
	s_delay_alu instid0(VALU_DEP_3) | instskip(NEXT) | instid1(VALU_DEP_1)
	v_cmp_lt_f32_e64 s0, 0, v12
	v_cndmask_b32_e64 v2, v1, v9, s0
	v_add_nc_u32_e32 v1, s12, v0
	v_add_nc_u32_e32 v0, 0x100, v0
	s_delay_alu instid0(VALU_DEP_3) | instskip(NEXT) | instid1(VALU_DEP_1)
	v_mul_f32_e32 v9, 0x37800000, v2
	v_dual_cndmask_b32 v9, v2, v9 :: v_dual_mov_b32 v2, 0
	v_cmp_class_f32_e64 vcc_lo, v8, 0x260
	s_delay_alu instid0(VALU_DEP_2) | instskip(NEXT) | instid1(VALU_DEP_3)
	v_lshlrev_b64 v[1:2], 1, v[1:2]
	v_cndmask_b32_e32 v8, v9, v8, vcc_lo
	s_delay_alu instid0(VALU_DEP_1) | instskip(NEXT) | instid1(VALU_DEP_3)
	v_cvt_f16_f32_e32 v8, v8
	v_add_co_u32 v1, vcc_lo, s8, v1
	s_delay_alu instid0(VALU_DEP_4) | instskip(SKIP_2) | instid1(SALU_CYCLE_1)
	v_add_co_ci_u32_e32 v2, vcc_lo, s9, v2, vcc_lo
	global_store_b16 v[1:2], v8, off
	s_or_b32 exec_lo, exec_lo, s1
	s_mov_b32 s1, exec_lo
	v_cmpx_gt_i32_e64 s7, v0
	s_cbranch_execz .LBB259_20
.LBB259_31:
	v_mul_f32_e32 v1, 0x4f800000, v10
	v_cmp_gt_f32_e32 vcc_lo, 0xf800000, v10
	s_delay_alu instid0(VALU_DEP_2) | instskip(NEXT) | instid1(VALU_DEP_1)
	v_cndmask_b32_e32 v8, v10, v1, vcc_lo
	v_sqrt_f32_e32 v1, v8
	s_waitcnt_depctr 0xfff
	v_add_nc_u32_e32 v2, -1, v1
	v_add_nc_u32_e32 v9, 1, v1
	s_delay_alu instid0(VALU_DEP_2) | instskip(NEXT) | instid1(VALU_DEP_2)
	v_fma_f32 v10, -v2, v1, v8
	v_fma_f32 v11, -v9, v1, v8
	s_delay_alu instid0(VALU_DEP_2) | instskip(NEXT) | instid1(VALU_DEP_1)
	v_cmp_ge_f32_e64 s0, 0, v10
	v_cndmask_b32_e64 v1, v1, v2, s0
	s_delay_alu instid0(VALU_DEP_3) | instskip(NEXT) | instid1(VALU_DEP_1)
	v_cmp_lt_f32_e64 s0, 0, v11
	v_cndmask_b32_e64 v2, v1, v9, s0
	v_add_nc_u32_e32 v1, s12, v0
	v_add_nc_u32_e32 v0, 0x100, v0
	s_delay_alu instid0(VALU_DEP_3) | instskip(NEXT) | instid1(VALU_DEP_1)
	v_mul_f32_e32 v9, 0x37800000, v2
	v_dual_cndmask_b32 v9, v2, v9 :: v_dual_mov_b32 v2, 0
	v_cmp_class_f32_e64 vcc_lo, v8, 0x260
	s_delay_alu instid0(VALU_DEP_2) | instskip(NEXT) | instid1(VALU_DEP_3)
	v_lshlrev_b64 v[1:2], 1, v[1:2]
	v_cndmask_b32_e32 v8, v9, v8, vcc_lo
	s_delay_alu instid0(VALU_DEP_1) | instskip(NEXT) | instid1(VALU_DEP_3)
	v_cvt_f16_f32_e32 v8, v8
	v_add_co_u32 v1, vcc_lo, s8, v1
	s_delay_alu instid0(VALU_DEP_4) | instskip(SKIP_2) | instid1(SALU_CYCLE_1)
	v_add_co_ci_u32_e32 v2, vcc_lo, s9, v2, vcc_lo
	global_store_b16 v[1:2], v8, off
	s_or_b32 exec_lo, exec_lo, s1
	s_mov_b32 s1, exec_lo
	v_cmpx_gt_i32_e64 s7, v0
	s_cbranch_execz .LBB259_21
.LBB259_32:
	v_cmp_gt_f32_e32 vcc_lo, 0xf800000, v6
	v_mul_f32_e32 v1, 0x4f800000, v6
	s_delay_alu instid0(VALU_DEP_1) | instskip(NEXT) | instid1(VALU_DEP_1)
	v_cndmask_b32_e32 v6, v6, v1, vcc_lo
	v_sqrt_f32_e32 v1, v6
	s_waitcnt_depctr 0xfff
	v_add_nc_u32_e32 v2, -1, v1
	v_add_nc_u32_e32 v8, 1, v1
	s_delay_alu instid0(VALU_DEP_2) | instskip(NEXT) | instid1(VALU_DEP_2)
	v_fma_f32 v9, -v2, v1, v6
	v_fma_f32 v10, -v8, v1, v6
	s_delay_alu instid0(VALU_DEP_2) | instskip(NEXT) | instid1(VALU_DEP_1)
	v_cmp_ge_f32_e64 s0, 0, v9
	v_cndmask_b32_e64 v1, v1, v2, s0
	s_delay_alu instid0(VALU_DEP_3) | instskip(NEXT) | instid1(VALU_DEP_1)
	v_cmp_lt_f32_e64 s0, 0, v10
	v_cndmask_b32_e64 v2, v1, v8, s0
	v_add_nc_u32_e32 v1, s12, v0
	v_add_nc_u32_e32 v0, 0x100, v0
	s_delay_alu instid0(VALU_DEP_3) | instskip(NEXT) | instid1(VALU_DEP_1)
	v_mul_f32_e32 v8, 0x37800000, v2
	v_cndmask_b32_e32 v8, v2, v8, vcc_lo
	v_mov_b32_e32 v2, 0
	v_cmp_class_f32_e64 vcc_lo, v6, 0x260
	s_delay_alu instid0(VALU_DEP_2) | instskip(NEXT) | instid1(VALU_DEP_4)
	v_lshlrev_b64 v[1:2], 1, v[1:2]
	v_cndmask_b32_e32 v6, v8, v6, vcc_lo
	s_delay_alu instid0(VALU_DEP_1) | instskip(NEXT) | instid1(VALU_DEP_3)
	v_cvt_f16_f32_e32 v6, v6
	v_add_co_u32 v1, vcc_lo, s8, v1
	s_delay_alu instid0(VALU_DEP_4) | instskip(SKIP_2) | instid1(SALU_CYCLE_1)
	v_add_co_ci_u32_e32 v2, vcc_lo, s9, v2, vcc_lo
	global_store_b16 v[1:2], v6, off
	s_or_b32 exec_lo, exec_lo, s1
	s_mov_b32 s1, exec_lo
	v_cmpx_gt_i32_e64 s7, v0
	s_cbranch_execz .LBB259_22
.LBB259_33:
	v_mul_f32_e32 v1, 0x4f800000, v7
	v_cmp_gt_f32_e32 vcc_lo, 0xf800000, v7
	s_delay_alu instid0(VALU_DEP_2) | instskip(NEXT) | instid1(VALU_DEP_1)
	v_cndmask_b32_e32 v6, v7, v1, vcc_lo
	v_sqrt_f32_e32 v1, v6
	s_waitcnt_depctr 0xfff
	v_add_nc_u32_e32 v2, -1, v1
	v_add_nc_u32_e32 v7, 1, v1
	s_delay_alu instid0(VALU_DEP_2) | instskip(NEXT) | instid1(VALU_DEP_2)
	v_fma_f32 v8, -v2, v1, v6
	v_fma_f32 v9, -v7, v1, v6
	s_delay_alu instid0(VALU_DEP_2) | instskip(NEXT) | instid1(VALU_DEP_1)
	v_cmp_ge_f32_e64 s0, 0, v8
	v_cndmask_b32_e64 v1, v1, v2, s0
	s_delay_alu instid0(VALU_DEP_3) | instskip(NEXT) | instid1(VALU_DEP_1)
	v_cmp_lt_f32_e64 s0, 0, v9
	v_cndmask_b32_e64 v2, v1, v7, s0
	s_delay_alu instid0(VALU_DEP_1) | instskip(NEXT) | instid1(VALU_DEP_1)
	v_mul_f32_e32 v7, 0x37800000, v2
	v_dual_cndmask_b32 v7, v2, v7 :: v_dual_mov_b32 v2, 0
	v_cmp_class_f32_e64 vcc_lo, v6, 0x260
	v_add_nc_u32_e32 v1, s12, v0
	v_add_nc_u32_e32 v0, 0x100, v0
	s_delay_alu instid0(VALU_DEP_4) | instskip(NEXT) | instid1(VALU_DEP_3)
	v_cndmask_b32_e32 v6, v7, v6, vcc_lo
	v_lshlrev_b64 v[1:2], 1, v[1:2]
	s_delay_alu instid0(VALU_DEP_2) | instskip(NEXT) | instid1(VALU_DEP_2)
	v_cvt_f16_f32_e32 v6, v6
	v_add_co_u32 v1, vcc_lo, s8, v1
	s_delay_alu instid0(VALU_DEP_3) | instskip(SKIP_2) | instid1(SALU_CYCLE_1)
	v_add_co_ci_u32_e32 v2, vcc_lo, s9, v2, vcc_lo
	global_store_b16 v[1:2], v6, off
	s_or_b32 exec_lo, exec_lo, s1
	s_mov_b32 s1, exec_lo
	v_cmpx_gt_i32_e64 s7, v0
	s_cbranch_execz .LBB259_23
.LBB259_34:
	v_cmp_gt_f32_e32 vcc_lo, 0xf800000, v4
	v_mul_f32_e32 v1, 0x4f800000, v4
	s_delay_alu instid0(VALU_DEP_1) | instskip(NEXT) | instid1(VALU_DEP_1)
	v_cndmask_b32_e32 v4, v4, v1, vcc_lo
	v_sqrt_f32_e32 v1, v4
	s_waitcnt_depctr 0xfff
	v_add_nc_u32_e32 v2, -1, v1
	v_add_nc_u32_e32 v6, 1, v1
	s_delay_alu instid0(VALU_DEP_2) | instskip(NEXT) | instid1(VALU_DEP_2)
	v_fma_f32 v7, -v2, v1, v4
	v_fma_f32 v8, -v6, v1, v4
	s_delay_alu instid0(VALU_DEP_2) | instskip(NEXT) | instid1(VALU_DEP_1)
	v_cmp_ge_f32_e64 s0, 0, v7
	v_cndmask_b32_e64 v1, v1, v2, s0
	s_delay_alu instid0(VALU_DEP_3) | instskip(NEXT) | instid1(VALU_DEP_1)
	v_cmp_lt_f32_e64 s0, 0, v8
	v_cndmask_b32_e64 v2, v1, v6, s0
	v_add_nc_u32_e32 v1, s12, v0
	v_add_nc_u32_e32 v0, 0x100, v0
	s_delay_alu instid0(VALU_DEP_3) | instskip(NEXT) | instid1(VALU_DEP_1)
	v_mul_f32_e32 v6, 0x37800000, v2
	v_cndmask_b32_e32 v6, v2, v6, vcc_lo
	v_mov_b32_e32 v2, 0
	v_cmp_class_f32_e64 vcc_lo, v4, 0x260
	s_delay_alu instid0(VALU_DEP_2) | instskip(NEXT) | instid1(VALU_DEP_4)
	v_lshlrev_b64 v[1:2], 1, v[1:2]
	v_cndmask_b32_e32 v4, v6, v4, vcc_lo
	s_delay_alu instid0(VALU_DEP_1) | instskip(NEXT) | instid1(VALU_DEP_3)
	v_cvt_f16_f32_e32 v4, v4
	v_add_co_u32 v1, vcc_lo, s8, v1
	s_delay_alu instid0(VALU_DEP_4) | instskip(SKIP_2) | instid1(SALU_CYCLE_1)
	v_add_co_ci_u32_e32 v2, vcc_lo, s9, v2, vcc_lo
	global_store_b16 v[1:2], v4, off
	s_or_b32 exec_lo, exec_lo, s1
	s_mov_b32 s1, exec_lo
	v_cmpx_gt_i32_e64 s7, v0
	s_cbranch_execz .LBB259_24
.LBB259_35:
	v_mul_f32_e32 v1, 0x4f800000, v5
	v_cmp_gt_f32_e32 vcc_lo, 0xf800000, v5
	s_delay_alu instid0(VALU_DEP_2) | instskip(NEXT) | instid1(VALU_DEP_1)
	v_cndmask_b32_e32 v4, v5, v1, vcc_lo
	v_sqrt_f32_e32 v1, v4
	s_waitcnt_depctr 0xfff
	v_add_nc_u32_e32 v2, -1, v1
	v_add_nc_u32_e32 v5, 1, v1
	s_delay_alu instid0(VALU_DEP_2) | instskip(NEXT) | instid1(VALU_DEP_2)
	v_fma_f32 v6, -v2, v1, v4
	v_fma_f32 v7, -v5, v1, v4
	s_delay_alu instid0(VALU_DEP_2) | instskip(NEXT) | instid1(VALU_DEP_1)
	v_cmp_ge_f32_e64 s0, 0, v6
	v_cndmask_b32_e64 v1, v1, v2, s0
	s_delay_alu instid0(VALU_DEP_3) | instskip(NEXT) | instid1(VALU_DEP_1)
	v_cmp_lt_f32_e64 s0, 0, v7
	v_cndmask_b32_e64 v2, v1, v5, s0
	v_add_nc_u32_e32 v1, s12, v0
	v_add_nc_u32_e32 v0, 0x100, v0
	s_delay_alu instid0(VALU_DEP_3) | instskip(NEXT) | instid1(VALU_DEP_1)
	v_mul_f32_e32 v5, 0x37800000, v2
	v_dual_cndmask_b32 v5, v2, v5 :: v_dual_mov_b32 v2, 0
	v_cmp_class_f32_e64 vcc_lo, v4, 0x260
	s_delay_alu instid0(VALU_DEP_2) | instskip(NEXT) | instid1(VALU_DEP_3)
	v_lshlrev_b64 v[1:2], 1, v[1:2]
	v_cndmask_b32_e32 v4, v5, v4, vcc_lo
	s_delay_alu instid0(VALU_DEP_1) | instskip(NEXT) | instid1(VALU_DEP_3)
	v_cvt_f16_f32_e32 v4, v4
	v_add_co_u32 v1, vcc_lo, s8, v1
	s_delay_alu instid0(VALU_DEP_4) | instskip(SKIP_2) | instid1(SALU_CYCLE_1)
	v_add_co_ci_u32_e32 v2, vcc_lo, s9, v2, vcc_lo
	global_store_b16 v[1:2], v4, off
	s_or_b32 exec_lo, exec_lo, s1
	s_mov_b32 s0, exec_lo
	v_cmpx_gt_i32_e64 s7, v0
	s_cbranch_execnz .LBB259_25
	s_branch .LBB259_26
	.section	.rodata,"a",@progbits
	.p2align	6, 0x0
	.amdhsa_kernel _ZN2at6native29vectorized_elementwise_kernelILi8EZZZNS0_16sqrt_kernel_cudaERNS_18TensorIteratorBaseEENKUlvE0_clEvENKUlvE1_clEvEUlN3c104HalfEE_St5arrayIPcLm2EEEEviT0_T1_
		.amdhsa_group_segment_fixed_size 0
		.amdhsa_private_segment_fixed_size 0
		.amdhsa_kernarg_size 24
		.amdhsa_user_sgpr_count 15
		.amdhsa_user_sgpr_dispatch_ptr 0
		.amdhsa_user_sgpr_queue_ptr 0
		.amdhsa_user_sgpr_kernarg_segment_ptr 1
		.amdhsa_user_sgpr_dispatch_id 0
		.amdhsa_user_sgpr_private_segment_size 0
		.amdhsa_wavefront_size32 1
		.amdhsa_uses_dynamic_stack 0
		.amdhsa_enable_private_segment 0
		.amdhsa_system_sgpr_workgroup_id_x 1
		.amdhsa_system_sgpr_workgroup_id_y 0
		.amdhsa_system_sgpr_workgroup_id_z 0
		.amdhsa_system_sgpr_workgroup_info 0
		.amdhsa_system_vgpr_workitem_id 0
		.amdhsa_next_free_vgpr 31
		.amdhsa_next_free_sgpr 16
		.amdhsa_reserve_vcc 1
		.amdhsa_float_round_mode_32 0
		.amdhsa_float_round_mode_16_64 0
		.amdhsa_float_denorm_mode_32 3
		.amdhsa_float_denorm_mode_16_64 3
		.amdhsa_dx10_clamp 1
		.amdhsa_ieee_mode 1
		.amdhsa_fp16_overflow 0
		.amdhsa_workgroup_processor_mode 1
		.amdhsa_memory_ordered 1
		.amdhsa_forward_progress 0
		.amdhsa_shared_vgpr_count 0
		.amdhsa_exception_fp_ieee_invalid_op 0
		.amdhsa_exception_fp_denorm_src 0
		.amdhsa_exception_fp_ieee_div_zero 0
		.amdhsa_exception_fp_ieee_overflow 0
		.amdhsa_exception_fp_ieee_underflow 0
		.amdhsa_exception_fp_ieee_inexact 0
		.amdhsa_exception_int_div_zero 0
	.end_amdhsa_kernel
	.section	.text._ZN2at6native29vectorized_elementwise_kernelILi8EZZZNS0_16sqrt_kernel_cudaERNS_18TensorIteratorBaseEENKUlvE0_clEvENKUlvE1_clEvEUlN3c104HalfEE_St5arrayIPcLm2EEEEviT0_T1_,"axG",@progbits,_ZN2at6native29vectorized_elementwise_kernelILi8EZZZNS0_16sqrt_kernel_cudaERNS_18TensorIteratorBaseEENKUlvE0_clEvENKUlvE1_clEvEUlN3c104HalfEE_St5arrayIPcLm2EEEEviT0_T1_,comdat
.Lfunc_end259:
	.size	_ZN2at6native29vectorized_elementwise_kernelILi8EZZZNS0_16sqrt_kernel_cudaERNS_18TensorIteratorBaseEENKUlvE0_clEvENKUlvE1_clEvEUlN3c104HalfEE_St5arrayIPcLm2EEEEviT0_T1_, .Lfunc_end259-_ZN2at6native29vectorized_elementwise_kernelILi8EZZZNS0_16sqrt_kernel_cudaERNS_18TensorIteratorBaseEENKUlvE0_clEvENKUlvE1_clEvEUlN3c104HalfEE_St5arrayIPcLm2EEEEviT0_T1_
                                        ; -- End function
	.section	.AMDGPU.csdata,"",@progbits
; Kernel info:
; codeLenInByte = 3664
; NumSgprs: 18
; NumVgprs: 31
; ScratchSize: 0
; MemoryBound: 0
; FloatMode: 240
; IeeeMode: 1
; LDSByteSize: 0 bytes/workgroup (compile time only)
; SGPRBlocks: 2
; VGPRBlocks: 3
; NumSGPRsForWavesPerEU: 18
; NumVGPRsForWavesPerEU: 31
; Occupancy: 16
; WaveLimiterHint : 0
; COMPUTE_PGM_RSRC2:SCRATCH_EN: 0
; COMPUTE_PGM_RSRC2:USER_SGPR: 15
; COMPUTE_PGM_RSRC2:TRAP_HANDLER: 0
; COMPUTE_PGM_RSRC2:TGID_X_EN: 1
; COMPUTE_PGM_RSRC2:TGID_Y_EN: 0
; COMPUTE_PGM_RSRC2:TGID_Z_EN: 0
; COMPUTE_PGM_RSRC2:TIDIG_COMP_CNT: 0
	.section	.text._ZN2at6native29vectorized_elementwise_kernelILi4EZZZNS0_16sqrt_kernel_cudaERNS_18TensorIteratorBaseEENKUlvE0_clEvENKUlvE1_clEvEUlN3c104HalfEE_St5arrayIPcLm2EEEEviT0_T1_,"axG",@progbits,_ZN2at6native29vectorized_elementwise_kernelILi4EZZZNS0_16sqrt_kernel_cudaERNS_18TensorIteratorBaseEENKUlvE0_clEvENKUlvE1_clEvEUlN3c104HalfEE_St5arrayIPcLm2EEEEviT0_T1_,comdat
	.globl	_ZN2at6native29vectorized_elementwise_kernelILi4EZZZNS0_16sqrt_kernel_cudaERNS_18TensorIteratorBaseEENKUlvE0_clEvENKUlvE1_clEvEUlN3c104HalfEE_St5arrayIPcLm2EEEEviT0_T1_ ; -- Begin function _ZN2at6native29vectorized_elementwise_kernelILi4EZZZNS0_16sqrt_kernel_cudaERNS_18TensorIteratorBaseEENKUlvE0_clEvENKUlvE1_clEvEUlN3c104HalfEE_St5arrayIPcLm2EEEEviT0_T1_
	.p2align	8
	.type	_ZN2at6native29vectorized_elementwise_kernelILi4EZZZNS0_16sqrt_kernel_cudaERNS_18TensorIteratorBaseEENKUlvE0_clEvENKUlvE1_clEvEUlN3c104HalfEE_St5arrayIPcLm2EEEEviT0_T1_,@function
_ZN2at6native29vectorized_elementwise_kernelILi4EZZZNS0_16sqrt_kernel_cudaERNS_18TensorIteratorBaseEENKUlvE0_clEvENKUlvE1_clEvEUlN3c104HalfEE_St5arrayIPcLm2EEEEviT0_T1_: ; @_ZN2at6native29vectorized_elementwise_kernelILi4EZZZNS0_16sqrt_kernel_cudaERNS_18TensorIteratorBaseEENKUlvE0_clEvENKUlvE1_clEvEUlN3c104HalfEE_St5arrayIPcLm2EEEEviT0_T1_
; %bb.0:
	s_clause 0x1
	s_load_b32 s2, s[0:1], 0x0
	s_load_b128 s[8:11], s[0:1], 0x8
	s_lshl_b32 s12, s15, 11
	s_mov_b32 s0, -1
	s_waitcnt lgkmcnt(0)
	s_sub_i32 s7, s2, s12
	s_delay_alu instid0(SALU_CYCLE_1)
	s_cmpk_gt_i32 s7, 0x7ff
	s_cbranch_scc0 .LBB260_2
; %bb.1:
	s_ashr_i32 s13, s12, 31
	v_lshlrev_b32_e32 v5, 3, v0
	s_lshl_b64 s[14:15], s[12:13], 1
	s_delay_alu instid0(SALU_CYCLE_1)
	s_add_u32 s0, s10, s14
	s_addc_u32 s1, s11, s15
	s_clause 0x1
	global_load_b64 v[1:2], v5, s[0:1]
	global_load_b64 v[3:4], v5, s[0:1] offset:2048
	s_waitcnt vmcnt(1)
	v_lshrrev_b32_e32 v6, 16, v1
	v_cvt_f32_f16_e32 v1, v1
	v_lshrrev_b32_e32 v7, 16, v2
	s_waitcnt vmcnt(0)
	v_lshrrev_b32_e32 v8, 16, v3
	v_cvt_f32_f16_e32 v2, v2
	v_cvt_f32_f16_e32 v3, v3
	v_mul_f32_e32 v10, 0x4f800000, v1
	v_cmp_gt_f32_e32 vcc_lo, 0xf800000, v1
	v_lshrrev_b32_e32 v9, 16, v4
	v_cvt_f32_f16_e32 v4, v4
	v_dual_mul_f32 v11, 0x4f800000, v2 :: v_dual_mul_f32 v12, 0x4f800000, v3
	v_cvt_f32_f16_e32 v8, v8
	v_cndmask_b32_e32 v1, v1, v10, vcc_lo
	v_cmp_gt_f32_e64 s1, 0xf800000, v3
	v_cvt_f32_f16_e32 v6, v6
	v_cvt_f32_f16_e32 v7, v7
	v_mul_f32_e32 v13, 0x4f800000, v4
	v_cmp_gt_f32_e64 s0, 0xf800000, v2
	v_cndmask_b32_e64 v3, v3, v12, s1
	v_mul_f32_e32 v10, 0x4f800000, v6
	v_mul_f32_e32 v12, 0x4f800000, v8
	v_cmp_gt_f32_e64 s2, 0xf800000, v4
	v_rsq_f32_e32 v14, v1
	v_cvt_f32_f16_e32 v9, v9
	v_cndmask_b32_e64 v2, v2, v11, s0
	v_mul_f32_e32 v11, 0x4f800000, v7
	v_cndmask_b32_e64 v4, v4, v13, s2
	v_cmp_gt_f32_e64 s3, 0xf800000, v6
	v_cmp_gt_f32_e64 s4, 0xf800000, v7
	;; [unrolled: 1-line block ×3, first 2 shown]
	v_mul_f32_e32 v13, 0x4f800000, v9
	v_cmp_gt_f32_e64 s6, 0xf800000, v9
	v_cndmask_b32_e64 v6, v6, v10, s3
	v_rsq_f32_e32 v10, v2
	v_cndmask_b32_e64 v8, v8, v12, s5
	v_rsq_f32_e32 v12, v4
	v_mul_f32_e32 v18, v1, v14
	v_mul_f32_e32 v14, 0.5, v14
	v_cndmask_b32_e64 v7, v7, v11, s4
	v_rsq_f32_e32 v11, v3
	v_cndmask_b32_e64 v9, v9, v13, s6
	v_rsq_f32_e32 v13, v6
	v_rsq_f32_e32 v16, v8
	;; [unrolled: 1-line block ×3, first 2 shown]
	v_fma_f32 v22, -v14, v18, 0.5
	v_rsq_f32_e32 v17, v9
	v_mul_f32_e32 v19, v2, v10
	v_dual_mul_f32 v10, 0.5, v10 :: v_dual_mul_f32 v21, v4, v12
	s_delay_alu instid0(VALU_DEP_3)
	v_fmac_f32_e32 v18, v18, v22
	v_mul_f32_e32 v20, v3, v11
	v_dual_mul_f32 v11, 0.5, v11 :: v_dual_mul_f32 v12, 0.5, v12
	v_mul_f32_e32 v23, v6, v13
	v_mul_f32_e32 v13, 0.5, v13
	v_fma_f32 v24, -v10, v19, 0.5
	v_dual_mul_f32 v25, v7, v15 :: v_dual_fmac_f32 v14, v14, v22
	v_mul_f32_e32 v15, 0.5, v15
	v_fma_f32 v26, -v11, v20, 0.5
	s_delay_alu instid0(VALU_DEP_4)
	v_fmac_f32_e32 v10, v10, v24
	v_fma_f32 v30, -v18, v18, v1
	v_mul_f32_e32 v27, v8, v16
	v_mul_f32_e32 v16, 0.5, v16
	v_fma_f32 v28, -v12, v21, 0.5
	v_dual_mul_f32 v29, v9, v17 :: v_dual_fmac_f32 v20, v20, v26
	v_fmac_f32_e32 v11, v11, v26
	v_fmac_f32_e32 v18, v30, v14
	v_fma_f32 v26, -v16, v27, 0.5
	v_fmac_f32_e32 v19, v19, v24
	v_fma_f32 v24, -v15, v25, 0.5
	v_dual_mul_f32 v17, 0.5, v17 :: v_dual_fmac_f32 v12, v12, v28
	s_delay_alu instid0(VALU_DEP_4) | instskip(NEXT) | instid1(VALU_DEP_3)
	v_fmac_f32_e32 v27, v27, v26
	v_dual_fmac_f32 v16, v16, v26 :: v_dual_fmac_f32 v25, v25, v24
	v_fmac_f32_e32 v15, v15, v24
	v_fma_f32 v24, -v20, v20, v3
	v_fmac_f32_e32 v21, v21, v28
	v_fma_f32 v22, -v13, v23, 0.5
	v_fma_f32 v28, -v17, v29, 0.5
	s_delay_alu instid0(VALU_DEP_4) | instskip(NEXT) | instid1(VALU_DEP_4)
	v_fmac_f32_e32 v20, v24, v11
	v_fma_f32 v26, -v21, v21, v4
	v_fma_f32 v11, -v27, v27, v8
	v_fmac_f32_e32 v13, v13, v22
	v_fmac_f32_e32 v29, v29, v28
	v_fmac_f32_e32 v17, v17, v28
	v_fmac_f32_e32 v21, v26, v12
	v_fmac_f32_e32 v27, v11, v16
	v_fmac_f32_e32 v23, v23, v22
	v_fma_f32 v22, -v19, v19, v2
	v_fma_f32 v12, -v29, v29, v9
	s_delay_alu instid0(VALU_DEP_4) | instskip(NEXT) | instid1(VALU_DEP_4)
	v_dual_mul_f32 v11, 0x37800000, v21 :: v_dual_mul_f32 v16, 0x37800000, v27
	v_fma_f32 v14, -v23, v23, v6
	s_delay_alu instid0(VALU_DEP_3) | instskip(NEXT) | instid1(VALU_DEP_3)
	v_fmac_f32_e32 v29, v12, v17
	v_cndmask_b32_e64 v11, v21, v11, s2
	v_fmac_f32_e32 v19, v22, v10
	v_mul_f32_e32 v22, 0x37800000, v18
	v_fma_f32 v10, -v25, v25, v7
	v_fmac_f32_e32 v23, v14, v13
	v_mul_f32_e32 v17, 0x37800000, v29
	s_delay_alu instid0(VALU_DEP_4) | instskip(SKIP_2) | instid1(VALU_DEP_3)
	v_dual_mul_f32 v13, 0x37800000, v19 :: v_dual_cndmask_b32 v12, v18, v22
	v_cmp_class_f32_e64 vcc_lo, v1, 0x260
	v_dual_fmac_f32 v25, v10, v15 :: v_dual_mul_f32 v10, 0x37800000, v20
	v_cndmask_b32_e64 v13, v19, v13, s0
	s_delay_alu instid0(VALU_DEP_4) | instskip(SKIP_1) | instid1(VALU_DEP_4)
	v_dual_mul_f32 v14, 0x37800000, v23 :: v_dual_cndmask_b32 v1, v12, v1
	v_cmp_class_f32_e64 vcc_lo, v2, 0x260
	v_cndmask_b32_e64 v10, v20, v10, s1
	s_add_u32 s2, s8, s14
	s_delay_alu instid0(VALU_DEP_3)
	v_cndmask_b32_e64 v12, v23, v14, s3
	v_cvt_f16_f32_e32 v1, v1
	v_cndmask_b32_e32 v2, v13, v2, vcc_lo
	v_cmp_class_f32_e64 vcc_lo, v3, 0x260
	s_addc_u32 s3, s9, s15
	s_mov_b32 s0, 0
	v_and_b32_e32 v1, 0xffff, v1
	v_cvt_f16_f32_e32 v2, v2
	v_cndmask_b32_e32 v3, v10, v3, vcc_lo
	v_cmp_class_f32_e64 vcc_lo, v4, 0x260
	v_cndmask_b32_e64 v10, v27, v16, s5
	s_delay_alu instid0(VALU_DEP_4) | instskip(NEXT) | instid1(VALU_DEP_4)
	v_and_b32_e32 v2, 0xffff, v2
	v_cvt_f16_f32_e32 v3, v3
	v_cndmask_b32_e32 v4, v11, v4, vcc_lo
	v_cmp_class_f32_e64 vcc_lo, v6, 0x260
	v_cndmask_b32_e64 v11, v29, v17, s6
	s_delay_alu instid0(VALU_DEP_4) | instskip(NEXT) | instid1(VALU_DEP_4)
	v_and_b32_e32 v3, 0xffff, v3
	v_cvt_f16_f32_e32 v4, v4
	v_cndmask_b32_e32 v6, v12, v6, vcc_lo
	v_cmp_class_f32_e64 vcc_lo, v7, 0x260
	s_delay_alu instid0(VALU_DEP_3) | instskip(SKIP_1) | instid1(VALU_DEP_4)
	v_and_b32_e32 v4, 0xffff, v4
	v_mul_f32_e32 v15, 0x37800000, v25
	v_cvt_f16_f32_e32 v6, v6
	s_delay_alu instid0(VALU_DEP_2) | instskip(NEXT) | instid1(VALU_DEP_1)
	v_cndmask_b32_e64 v13, v25, v15, s4
	v_dual_cndmask_b32 v7, v13, v7 :: v_dual_lshlrev_b32 v6, 16, v6
	v_cmp_class_f32_e64 vcc_lo, v8, 0x260
	s_delay_alu instid0(VALU_DEP_2) | instskip(NEXT) | instid1(VALU_DEP_3)
	v_or_b32_e32 v1, v6, v1
	v_cvt_f16_f32_e32 v7, v7
	v_cndmask_b32_e32 v8, v10, v8, vcc_lo
	v_cmp_class_f32_e64 vcc_lo, v9, 0x260
	s_delay_alu instid0(VALU_DEP_4) | instskip(NEXT) | instid1(VALU_DEP_4)
	v_or3_b32 v1, v1, 0, 0
	v_lshlrev_b32_e32 v7, 16, v7
	s_delay_alu instid0(VALU_DEP_4) | instskip(SKIP_1) | instid1(VALU_DEP_3)
	v_cvt_f16_f32_e32 v8, v8
	v_cndmask_b32_e32 v9, v11, v9, vcc_lo
	v_or3_b32 v2, 0, v2, v7
	s_delay_alu instid0(VALU_DEP_3) | instskip(NEXT) | instid1(VALU_DEP_3)
	v_lshlrev_b32_e32 v8, 16, v8
	v_cvt_f16_f32_e32 v9, v9
	s_delay_alu instid0(VALU_DEP_2) | instskip(NEXT) | instid1(VALU_DEP_2)
	v_or_b32_e32 v3, v8, v3
	v_lshlrev_b32_e32 v9, 16, v9
	s_delay_alu instid0(VALU_DEP_2) | instskip(NEXT) | instid1(VALU_DEP_2)
	v_or3_b32 v3, v3, 0, 0
	v_or3_b32 v4, 0, v4, v9
	s_clause 0x1
	global_store_b64 v5, v[1:2], s[2:3]
	global_store_b64 v5, v[3:4], s[2:3] offset:2048
.LBB260_2:
	s_and_not1_b32 vcc_lo, exec_lo, s0
	s_cbranch_vccnz .LBB260_26
; %bb.3:
	v_cmp_gt_i32_e32 vcc_lo, s7, v0
	v_dual_mov_b32 v8, 0 :: v_dual_mov_b32 v11, v0
	v_or_b32_e32 v1, s12, v0
	v_or_b32_e32 v9, 0x100, v0
	v_mov_b32_e32 v2, 0
	s_and_saveexec_b32 s1, vcc_lo
	s_cbranch_execz .LBB260_5
; %bb.4:
	v_mov_b32_e32 v2, 0
	v_or_b32_e32 v11, 0x100, v0
	s_delay_alu instid0(VALU_DEP_2) | instskip(NEXT) | instid1(VALU_DEP_1)
	v_lshlrev_b64 v[2:3], 1, v[1:2]
	v_add_co_u32 v2, s0, s10, v2
	s_delay_alu instid0(VALU_DEP_1)
	v_add_co_ci_u32_e64 v3, s0, s11, v3, s0
	global_load_u16 v2, v[2:3], off
	s_waitcnt vmcnt(0)
	v_cvt_f32_f16_e32 v2, v2
.LBB260_5:
	s_or_b32 exec_lo, exec_lo, s1
	s_delay_alu instid0(SALU_CYCLE_1)
	s_mov_b32 s1, exec_lo
	v_cmpx_gt_i32_e64 s7, v11
	s_cbranch_execz .LBB260_7
; %bb.6:
	v_dual_mov_b32 v4, 0 :: v_dual_add_nc_u32 v3, s12, v11
	v_add_nc_u32_e32 v11, 0x100, v11
	s_delay_alu instid0(VALU_DEP_2) | instskip(NEXT) | instid1(VALU_DEP_1)
	v_lshlrev_b64 v[3:4], 1, v[3:4]
	v_add_co_u32 v3, s0, s10, v3
	s_delay_alu instid0(VALU_DEP_1)
	v_add_co_ci_u32_e64 v4, s0, s11, v4, s0
	global_load_u16 v3, v[3:4], off
	s_waitcnt vmcnt(0)
	v_cvt_f32_f16_e32 v8, v3
.LBB260_7:
	s_or_b32 exec_lo, exec_lo, s1
	v_mov_b32_e32 v6, 0
	v_mov_b32_e32 v10, 0
	s_mov_b32 s1, exec_lo
	v_cmpx_gt_i32_e64 s7, v11
	s_cbranch_execz .LBB260_9
; %bb.8:
	v_dual_mov_b32 v4, 0 :: v_dual_add_nc_u32 v3, s12, v11
	v_add_nc_u32_e32 v11, 0x100, v11
	s_delay_alu instid0(VALU_DEP_2) | instskip(NEXT) | instid1(VALU_DEP_1)
	v_lshlrev_b64 v[3:4], 1, v[3:4]
	v_add_co_u32 v3, s0, s10, v3
	s_delay_alu instid0(VALU_DEP_1)
	v_add_co_ci_u32_e64 v4, s0, s11, v4, s0
	global_load_u16 v3, v[3:4], off
	s_waitcnt vmcnt(0)
	v_cvt_f32_f16_e32 v10, v3
.LBB260_9:
	s_or_b32 exec_lo, exec_lo, s1
	s_delay_alu instid0(SALU_CYCLE_1)
	s_mov_b32 s1, exec_lo
	v_cmpx_gt_i32_e64 s7, v11
	s_cbranch_execz .LBB260_11
; %bb.10:
	v_dual_mov_b32 v4, 0 :: v_dual_add_nc_u32 v3, s12, v11
	v_add_nc_u32_e32 v11, 0x100, v11
	s_delay_alu instid0(VALU_DEP_2) | instskip(NEXT) | instid1(VALU_DEP_1)
	v_lshlrev_b64 v[3:4], 1, v[3:4]
	v_add_co_u32 v3, s0, s10, v3
	s_delay_alu instid0(VALU_DEP_1)
	v_add_co_ci_u32_e64 v4, s0, s11, v4, s0
	global_load_u16 v3, v[3:4], off
	s_waitcnt vmcnt(0)
	v_cvt_f32_f16_e32 v6, v3
.LBB260_11:
	s_or_b32 exec_lo, exec_lo, s1
	v_dual_mov_b32 v4, 0 :: v_dual_mov_b32 v7, 0
	s_mov_b32 s1, exec_lo
	v_cmpx_gt_i32_e64 s7, v11
	s_cbranch_execz .LBB260_13
; %bb.12:
	v_dual_mov_b32 v13, 0 :: v_dual_add_nc_u32 v12, s12, v11
	v_add_nc_u32_e32 v11, 0x100, v11
	s_delay_alu instid0(VALU_DEP_2) | instskip(NEXT) | instid1(VALU_DEP_1)
	v_lshlrev_b64 v[12:13], 1, v[12:13]
	v_add_co_u32 v12, s0, s10, v12
	s_delay_alu instid0(VALU_DEP_1)
	v_add_co_ci_u32_e64 v13, s0, s11, v13, s0
	global_load_u16 v3, v[12:13], off
	s_waitcnt vmcnt(0)
	v_cvt_f32_f16_e32 v7, v3
.LBB260_13:
	s_or_b32 exec_lo, exec_lo, s1
	s_delay_alu instid0(SALU_CYCLE_1)
	s_mov_b32 s1, exec_lo
	v_cmpx_gt_i32_e64 s7, v11
	s_cbranch_execz .LBB260_15
; %bb.14:
	v_dual_mov_b32 v4, 0 :: v_dual_add_nc_u32 v3, s12, v11
	v_add_nc_u32_e32 v11, 0x100, v11
	s_delay_alu instid0(VALU_DEP_2) | instskip(NEXT) | instid1(VALU_DEP_1)
	v_lshlrev_b64 v[3:4], 1, v[3:4]
	v_add_co_u32 v3, s0, s10, v3
	s_delay_alu instid0(VALU_DEP_1)
	v_add_co_ci_u32_e64 v4, s0, s11, v4, s0
	global_load_u16 v3, v[3:4], off
	s_waitcnt vmcnt(0)
	v_cvt_f32_f16_e32 v4, v3
.LBB260_15:
	s_or_b32 exec_lo, exec_lo, s1
	v_mov_b32_e32 v3, 0
	v_mov_b32_e32 v5, 0
	s_mov_b32 s1, exec_lo
	v_cmpx_gt_i32_e64 s7, v11
	s_cbranch_execnz .LBB260_27
; %bb.16:
	s_or_b32 exec_lo, exec_lo, s1
	s_delay_alu instid0(SALU_CYCLE_1)
	s_mov_b32 s1, exec_lo
	v_cmpx_gt_i32_e64 s7, v11
	s_cbranch_execnz .LBB260_28
.LBB260_17:
	s_or_b32 exec_lo, exec_lo, s1
	s_and_saveexec_b32 s1, vcc_lo
	s_cbranch_execnz .LBB260_29
.LBB260_18:
	s_or_b32 exec_lo, exec_lo, s1
	s_delay_alu instid0(SALU_CYCLE_1)
	s_mov_b32 s1, exec_lo
	v_cmpx_gt_i32_e64 s7, v0
	s_cbranch_execnz .LBB260_30
.LBB260_19:
	s_or_b32 exec_lo, exec_lo, s1
	s_delay_alu instid0(SALU_CYCLE_1)
	s_mov_b32 s1, exec_lo
	v_cmpx_gt_i32_e64 s7, v0
	s_cbranch_execnz .LBB260_31
.LBB260_20:
	s_or_b32 exec_lo, exec_lo, s1
	s_delay_alu instid0(SALU_CYCLE_1)
	s_mov_b32 s1, exec_lo
	v_cmpx_gt_i32_e64 s7, v0
	s_cbranch_execnz .LBB260_32
.LBB260_21:
	s_or_b32 exec_lo, exec_lo, s1
	s_delay_alu instid0(SALU_CYCLE_1)
	s_mov_b32 s1, exec_lo
	v_cmpx_gt_i32_e64 s7, v0
	s_cbranch_execnz .LBB260_33
.LBB260_22:
	s_or_b32 exec_lo, exec_lo, s1
	s_delay_alu instid0(SALU_CYCLE_1)
	s_mov_b32 s1, exec_lo
	v_cmpx_gt_i32_e64 s7, v0
	s_cbranch_execnz .LBB260_34
.LBB260_23:
	s_or_b32 exec_lo, exec_lo, s1
	s_delay_alu instid0(SALU_CYCLE_1)
	s_mov_b32 s1, exec_lo
	v_cmpx_gt_i32_e64 s7, v0
	s_cbranch_execnz .LBB260_35
.LBB260_24:
	s_or_b32 exec_lo, exec_lo, s1
	s_delay_alu instid0(SALU_CYCLE_1)
	s_mov_b32 s0, exec_lo
	v_cmpx_gt_i32_e64 s7, v0
	s_cbranch_execz .LBB260_26
.LBB260_25:
	v_dual_mul_f32 v1, 0x4f800000, v3 :: v_dual_add_nc_u32 v0, s12, v0
	v_cmp_gt_f32_e32 vcc_lo, 0xf800000, v3
	s_delay_alu instid0(VALU_DEP_2) | instskip(NEXT) | instid1(VALU_DEP_1)
	v_cndmask_b32_e32 v2, v3, v1, vcc_lo
	v_sqrt_f32_e32 v1, v2
	s_waitcnt_depctr 0xfff
	v_add_nc_u32_e32 v3, -1, v1
	v_add_nc_u32_e32 v4, 1, v1
	s_delay_alu instid0(VALU_DEP_2) | instskip(NEXT) | instid1(VALU_DEP_2)
	v_fma_f32 v5, -v3, v1, v2
	v_fma_f32 v6, -v4, v1, v2
	s_delay_alu instid0(VALU_DEP_2) | instskip(NEXT) | instid1(VALU_DEP_1)
	v_cmp_ge_f32_e64 s0, 0, v5
	v_cndmask_b32_e64 v1, v1, v3, s0
	s_delay_alu instid0(VALU_DEP_3) | instskip(NEXT) | instid1(VALU_DEP_1)
	v_cmp_lt_f32_e64 s0, 0, v6
	v_cndmask_b32_e64 v1, v1, v4, s0
	s_delay_alu instid0(VALU_DEP_1) | instskip(NEXT) | instid1(VALU_DEP_1)
	v_mul_f32_e32 v3, 0x37800000, v1
	v_cndmask_b32_e32 v3, v1, v3, vcc_lo
	v_mov_b32_e32 v1, 0
	v_cmp_class_f32_e64 vcc_lo, v2, 0x260
	s_delay_alu instid0(VALU_DEP_2) | instskip(NEXT) | instid1(VALU_DEP_4)
	v_lshlrev_b64 v[0:1], 1, v[0:1]
	v_cndmask_b32_e32 v2, v3, v2, vcc_lo
	s_delay_alu instid0(VALU_DEP_2) | instskip(NEXT) | instid1(VALU_DEP_2)
	v_add_co_u32 v0, vcc_lo, s8, v0
	v_cvt_f16_f32_e32 v2, v2
	s_delay_alu instid0(VALU_DEP_4)
	v_add_co_ci_u32_e32 v1, vcc_lo, s9, v1, vcc_lo
	global_store_b16 v[0:1], v2, off
.LBB260_26:
	s_nop 0
	s_sendmsg sendmsg(MSG_DEALLOC_VGPRS)
	s_endpgm
.LBB260_27:
	v_dual_mov_b32 v13, 0 :: v_dual_add_nc_u32 v12, s12, v11
	v_add_nc_u32_e32 v11, 0x100, v11
	s_delay_alu instid0(VALU_DEP_2) | instskip(NEXT) | instid1(VALU_DEP_1)
	v_lshlrev_b64 v[12:13], 1, v[12:13]
	v_add_co_u32 v12, s0, s10, v12
	s_delay_alu instid0(VALU_DEP_1) | instskip(SKIP_4) | instid1(SALU_CYCLE_1)
	v_add_co_ci_u32_e64 v13, s0, s11, v13, s0
	global_load_u16 v5, v[12:13], off
	s_waitcnt vmcnt(0)
	v_cvt_f32_f16_e32 v5, v5
	s_or_b32 exec_lo, exec_lo, s1
	s_mov_b32 s1, exec_lo
	v_cmpx_gt_i32_e64 s7, v11
	s_cbranch_execz .LBB260_17
.LBB260_28:
	v_dual_mov_b32 v12, 0 :: v_dual_add_nc_u32 v11, s12, v11
	s_delay_alu instid0(VALU_DEP_1) | instskip(NEXT) | instid1(VALU_DEP_1)
	v_lshlrev_b64 v[11:12], 1, v[11:12]
	v_add_co_u32 v11, s0, s10, v11
	s_delay_alu instid0(VALU_DEP_1)
	v_add_co_ci_u32_e64 v12, s0, s11, v12, s0
	global_load_u16 v3, v[11:12], off
	s_waitcnt vmcnt(0)
	v_cvt_f32_f16_e32 v3, v3
	s_or_b32 exec_lo, exec_lo, s1
	s_and_saveexec_b32 s1, vcc_lo
	s_cbranch_execz .LBB260_18
.LBB260_29:
	v_cmp_gt_f32_e32 vcc_lo, 0xf800000, v2
	v_mul_f32_e32 v0, 0x4f800000, v2
	s_delay_alu instid0(VALU_DEP_1) | instskip(NEXT) | instid1(VALU_DEP_1)
	v_cndmask_b32_e32 v0, v2, v0, vcc_lo
	v_sqrt_f32_e32 v2, v0
	s_waitcnt_depctr 0xfff
	v_add_nc_u32_e32 v11, -1, v2
	v_add_nc_u32_e32 v12, 1, v2
	s_delay_alu instid0(VALU_DEP_2) | instskip(NEXT) | instid1(VALU_DEP_2)
	v_fma_f32 v13, -v11, v2, v0
	v_fma_f32 v14, -v12, v2, v0
	s_delay_alu instid0(VALU_DEP_2) | instskip(NEXT) | instid1(VALU_DEP_1)
	v_cmp_ge_f32_e64 s0, 0, v13
	v_cndmask_b32_e64 v2, v2, v11, s0
	s_delay_alu instid0(VALU_DEP_3) | instskip(NEXT) | instid1(VALU_DEP_1)
	v_cmp_lt_f32_e64 s0, 0, v14
	v_cndmask_b32_e64 v2, v2, v12, s0
	s_delay_alu instid0(VALU_DEP_1) | instskip(NEXT) | instid1(VALU_DEP_1)
	v_mul_f32_e32 v11, 0x37800000, v2
	v_dual_cndmask_b32 v11, v2, v11 :: v_dual_mov_b32 v2, 0
	v_cmp_class_f32_e64 vcc_lo, v0, 0x260
	s_delay_alu instid0(VALU_DEP_2) | instskip(NEXT) | instid1(VALU_DEP_3)
	v_cndmask_b32_e32 v11, v11, v0, vcc_lo
	v_lshlrev_b64 v[0:1], 1, v[1:2]
	s_delay_alu instid0(VALU_DEP_2) | instskip(NEXT) | instid1(VALU_DEP_2)
	v_cvt_f16_f32_e32 v2, v11
	v_add_co_u32 v11, vcc_lo, s8, v0
	s_delay_alu instid0(VALU_DEP_3) | instskip(SKIP_3) | instid1(SALU_CYCLE_1)
	v_add_co_ci_u32_e32 v12, vcc_lo, s9, v1, vcc_lo
	v_mov_b32_e32 v0, v9
	global_store_b16 v[11:12], v2, off
	s_or_b32 exec_lo, exec_lo, s1
	s_mov_b32 s1, exec_lo
	v_cmpx_gt_i32_e64 s7, v0
	s_cbranch_execz .LBB260_19
.LBB260_30:
	v_mul_f32_e32 v1, 0x4f800000, v8
	v_cmp_gt_f32_e32 vcc_lo, 0xf800000, v8
	s_delay_alu instid0(VALU_DEP_2) | instskip(NEXT) | instid1(VALU_DEP_1)
	v_cndmask_b32_e32 v8, v8, v1, vcc_lo
	v_sqrt_f32_e32 v1, v8
	s_waitcnt_depctr 0xfff
	v_add_nc_u32_e32 v2, -1, v1
	v_add_nc_u32_e32 v9, 1, v1
	s_delay_alu instid0(VALU_DEP_2) | instskip(NEXT) | instid1(VALU_DEP_2)
	v_fma_f32 v11, -v2, v1, v8
	v_fma_f32 v12, -v9, v1, v8
	s_delay_alu instid0(VALU_DEP_2) | instskip(NEXT) | instid1(VALU_DEP_1)
	v_cmp_ge_f32_e64 s0, 0, v11
	v_cndmask_b32_e64 v1, v1, v2, s0
	s_delay_alu instid0(VALU_DEP_3) | instskip(NEXT) | instid1(VALU_DEP_1)
	v_cmp_lt_f32_e64 s0, 0, v12
	v_cndmask_b32_e64 v2, v1, v9, s0
	v_add_nc_u32_e32 v1, s12, v0
	v_add_nc_u32_e32 v0, 0x100, v0
	s_delay_alu instid0(VALU_DEP_3) | instskip(NEXT) | instid1(VALU_DEP_1)
	v_mul_f32_e32 v9, 0x37800000, v2
	v_dual_cndmask_b32 v9, v2, v9 :: v_dual_mov_b32 v2, 0
	v_cmp_class_f32_e64 vcc_lo, v8, 0x260
	s_delay_alu instid0(VALU_DEP_2) | instskip(NEXT) | instid1(VALU_DEP_3)
	v_lshlrev_b64 v[1:2], 1, v[1:2]
	v_cndmask_b32_e32 v8, v9, v8, vcc_lo
	s_delay_alu instid0(VALU_DEP_1) | instskip(NEXT) | instid1(VALU_DEP_3)
	v_cvt_f16_f32_e32 v8, v8
	v_add_co_u32 v1, vcc_lo, s8, v1
	s_delay_alu instid0(VALU_DEP_4) | instskip(SKIP_2) | instid1(SALU_CYCLE_1)
	v_add_co_ci_u32_e32 v2, vcc_lo, s9, v2, vcc_lo
	global_store_b16 v[1:2], v8, off
	s_or_b32 exec_lo, exec_lo, s1
	s_mov_b32 s1, exec_lo
	v_cmpx_gt_i32_e64 s7, v0
	s_cbranch_execz .LBB260_20
.LBB260_31:
	v_mul_f32_e32 v1, 0x4f800000, v10
	v_cmp_gt_f32_e32 vcc_lo, 0xf800000, v10
	s_delay_alu instid0(VALU_DEP_2) | instskip(NEXT) | instid1(VALU_DEP_1)
	v_cndmask_b32_e32 v8, v10, v1, vcc_lo
	v_sqrt_f32_e32 v1, v8
	s_waitcnt_depctr 0xfff
	v_add_nc_u32_e32 v2, -1, v1
	v_add_nc_u32_e32 v9, 1, v1
	s_delay_alu instid0(VALU_DEP_2) | instskip(NEXT) | instid1(VALU_DEP_2)
	v_fma_f32 v10, -v2, v1, v8
	v_fma_f32 v11, -v9, v1, v8
	s_delay_alu instid0(VALU_DEP_2) | instskip(NEXT) | instid1(VALU_DEP_1)
	v_cmp_ge_f32_e64 s0, 0, v10
	v_cndmask_b32_e64 v1, v1, v2, s0
	s_delay_alu instid0(VALU_DEP_3) | instskip(NEXT) | instid1(VALU_DEP_1)
	v_cmp_lt_f32_e64 s0, 0, v11
	v_cndmask_b32_e64 v2, v1, v9, s0
	v_add_nc_u32_e32 v1, s12, v0
	v_add_nc_u32_e32 v0, 0x100, v0
	s_delay_alu instid0(VALU_DEP_3) | instskip(NEXT) | instid1(VALU_DEP_1)
	v_mul_f32_e32 v9, 0x37800000, v2
	v_dual_cndmask_b32 v9, v2, v9 :: v_dual_mov_b32 v2, 0
	v_cmp_class_f32_e64 vcc_lo, v8, 0x260
	s_delay_alu instid0(VALU_DEP_2) | instskip(NEXT) | instid1(VALU_DEP_3)
	v_lshlrev_b64 v[1:2], 1, v[1:2]
	v_cndmask_b32_e32 v8, v9, v8, vcc_lo
	s_delay_alu instid0(VALU_DEP_1) | instskip(NEXT) | instid1(VALU_DEP_3)
	v_cvt_f16_f32_e32 v8, v8
	v_add_co_u32 v1, vcc_lo, s8, v1
	s_delay_alu instid0(VALU_DEP_4) | instskip(SKIP_2) | instid1(SALU_CYCLE_1)
	v_add_co_ci_u32_e32 v2, vcc_lo, s9, v2, vcc_lo
	global_store_b16 v[1:2], v8, off
	s_or_b32 exec_lo, exec_lo, s1
	s_mov_b32 s1, exec_lo
	v_cmpx_gt_i32_e64 s7, v0
	s_cbranch_execz .LBB260_21
.LBB260_32:
	v_cmp_gt_f32_e32 vcc_lo, 0xf800000, v6
	v_mul_f32_e32 v1, 0x4f800000, v6
	s_delay_alu instid0(VALU_DEP_1) | instskip(NEXT) | instid1(VALU_DEP_1)
	v_cndmask_b32_e32 v6, v6, v1, vcc_lo
	v_sqrt_f32_e32 v1, v6
	s_waitcnt_depctr 0xfff
	v_add_nc_u32_e32 v2, -1, v1
	v_add_nc_u32_e32 v8, 1, v1
	s_delay_alu instid0(VALU_DEP_2) | instskip(NEXT) | instid1(VALU_DEP_2)
	v_fma_f32 v9, -v2, v1, v6
	v_fma_f32 v10, -v8, v1, v6
	s_delay_alu instid0(VALU_DEP_2) | instskip(NEXT) | instid1(VALU_DEP_1)
	v_cmp_ge_f32_e64 s0, 0, v9
	v_cndmask_b32_e64 v1, v1, v2, s0
	s_delay_alu instid0(VALU_DEP_3) | instskip(NEXT) | instid1(VALU_DEP_1)
	v_cmp_lt_f32_e64 s0, 0, v10
	v_cndmask_b32_e64 v2, v1, v8, s0
	v_add_nc_u32_e32 v1, s12, v0
	v_add_nc_u32_e32 v0, 0x100, v0
	s_delay_alu instid0(VALU_DEP_3) | instskip(NEXT) | instid1(VALU_DEP_1)
	v_mul_f32_e32 v8, 0x37800000, v2
	v_cndmask_b32_e32 v8, v2, v8, vcc_lo
	v_mov_b32_e32 v2, 0
	v_cmp_class_f32_e64 vcc_lo, v6, 0x260
	s_delay_alu instid0(VALU_DEP_2) | instskip(NEXT) | instid1(VALU_DEP_4)
	v_lshlrev_b64 v[1:2], 1, v[1:2]
	v_cndmask_b32_e32 v6, v8, v6, vcc_lo
	s_delay_alu instid0(VALU_DEP_1) | instskip(NEXT) | instid1(VALU_DEP_3)
	v_cvt_f16_f32_e32 v6, v6
	v_add_co_u32 v1, vcc_lo, s8, v1
	s_delay_alu instid0(VALU_DEP_4) | instskip(SKIP_2) | instid1(SALU_CYCLE_1)
	v_add_co_ci_u32_e32 v2, vcc_lo, s9, v2, vcc_lo
	global_store_b16 v[1:2], v6, off
	s_or_b32 exec_lo, exec_lo, s1
	s_mov_b32 s1, exec_lo
	v_cmpx_gt_i32_e64 s7, v0
	s_cbranch_execz .LBB260_22
.LBB260_33:
	v_mul_f32_e32 v1, 0x4f800000, v7
	v_cmp_gt_f32_e32 vcc_lo, 0xf800000, v7
	s_delay_alu instid0(VALU_DEP_2) | instskip(NEXT) | instid1(VALU_DEP_1)
	v_cndmask_b32_e32 v6, v7, v1, vcc_lo
	v_sqrt_f32_e32 v1, v6
	s_waitcnt_depctr 0xfff
	v_add_nc_u32_e32 v2, -1, v1
	v_add_nc_u32_e32 v7, 1, v1
	s_delay_alu instid0(VALU_DEP_2) | instskip(NEXT) | instid1(VALU_DEP_2)
	v_fma_f32 v8, -v2, v1, v6
	v_fma_f32 v9, -v7, v1, v6
	s_delay_alu instid0(VALU_DEP_2) | instskip(NEXT) | instid1(VALU_DEP_1)
	v_cmp_ge_f32_e64 s0, 0, v8
	v_cndmask_b32_e64 v1, v1, v2, s0
	s_delay_alu instid0(VALU_DEP_3) | instskip(NEXT) | instid1(VALU_DEP_1)
	v_cmp_lt_f32_e64 s0, 0, v9
	v_cndmask_b32_e64 v2, v1, v7, s0
	s_delay_alu instid0(VALU_DEP_1) | instskip(NEXT) | instid1(VALU_DEP_1)
	v_mul_f32_e32 v7, 0x37800000, v2
	v_dual_cndmask_b32 v7, v2, v7 :: v_dual_mov_b32 v2, 0
	v_cmp_class_f32_e64 vcc_lo, v6, 0x260
	v_add_nc_u32_e32 v1, s12, v0
	v_add_nc_u32_e32 v0, 0x100, v0
	s_delay_alu instid0(VALU_DEP_4) | instskip(NEXT) | instid1(VALU_DEP_3)
	v_cndmask_b32_e32 v6, v7, v6, vcc_lo
	v_lshlrev_b64 v[1:2], 1, v[1:2]
	s_delay_alu instid0(VALU_DEP_2) | instskip(NEXT) | instid1(VALU_DEP_2)
	v_cvt_f16_f32_e32 v6, v6
	v_add_co_u32 v1, vcc_lo, s8, v1
	s_delay_alu instid0(VALU_DEP_3) | instskip(SKIP_2) | instid1(SALU_CYCLE_1)
	v_add_co_ci_u32_e32 v2, vcc_lo, s9, v2, vcc_lo
	global_store_b16 v[1:2], v6, off
	s_or_b32 exec_lo, exec_lo, s1
	s_mov_b32 s1, exec_lo
	v_cmpx_gt_i32_e64 s7, v0
	s_cbranch_execz .LBB260_23
.LBB260_34:
	v_cmp_gt_f32_e32 vcc_lo, 0xf800000, v4
	v_mul_f32_e32 v1, 0x4f800000, v4
	s_delay_alu instid0(VALU_DEP_1) | instskip(NEXT) | instid1(VALU_DEP_1)
	v_cndmask_b32_e32 v4, v4, v1, vcc_lo
	v_sqrt_f32_e32 v1, v4
	s_waitcnt_depctr 0xfff
	v_add_nc_u32_e32 v2, -1, v1
	v_add_nc_u32_e32 v6, 1, v1
	s_delay_alu instid0(VALU_DEP_2) | instskip(NEXT) | instid1(VALU_DEP_2)
	v_fma_f32 v7, -v2, v1, v4
	v_fma_f32 v8, -v6, v1, v4
	s_delay_alu instid0(VALU_DEP_2) | instskip(NEXT) | instid1(VALU_DEP_1)
	v_cmp_ge_f32_e64 s0, 0, v7
	v_cndmask_b32_e64 v1, v1, v2, s0
	s_delay_alu instid0(VALU_DEP_3) | instskip(NEXT) | instid1(VALU_DEP_1)
	v_cmp_lt_f32_e64 s0, 0, v8
	v_cndmask_b32_e64 v2, v1, v6, s0
	v_add_nc_u32_e32 v1, s12, v0
	v_add_nc_u32_e32 v0, 0x100, v0
	s_delay_alu instid0(VALU_DEP_3) | instskip(NEXT) | instid1(VALU_DEP_1)
	v_mul_f32_e32 v6, 0x37800000, v2
	v_cndmask_b32_e32 v6, v2, v6, vcc_lo
	v_mov_b32_e32 v2, 0
	v_cmp_class_f32_e64 vcc_lo, v4, 0x260
	s_delay_alu instid0(VALU_DEP_2) | instskip(NEXT) | instid1(VALU_DEP_4)
	v_lshlrev_b64 v[1:2], 1, v[1:2]
	v_cndmask_b32_e32 v4, v6, v4, vcc_lo
	s_delay_alu instid0(VALU_DEP_1) | instskip(NEXT) | instid1(VALU_DEP_3)
	v_cvt_f16_f32_e32 v4, v4
	v_add_co_u32 v1, vcc_lo, s8, v1
	s_delay_alu instid0(VALU_DEP_4) | instskip(SKIP_2) | instid1(SALU_CYCLE_1)
	v_add_co_ci_u32_e32 v2, vcc_lo, s9, v2, vcc_lo
	global_store_b16 v[1:2], v4, off
	s_or_b32 exec_lo, exec_lo, s1
	s_mov_b32 s1, exec_lo
	v_cmpx_gt_i32_e64 s7, v0
	s_cbranch_execz .LBB260_24
.LBB260_35:
	v_mul_f32_e32 v1, 0x4f800000, v5
	v_cmp_gt_f32_e32 vcc_lo, 0xf800000, v5
	s_delay_alu instid0(VALU_DEP_2) | instskip(NEXT) | instid1(VALU_DEP_1)
	v_cndmask_b32_e32 v4, v5, v1, vcc_lo
	v_sqrt_f32_e32 v1, v4
	s_waitcnt_depctr 0xfff
	v_add_nc_u32_e32 v2, -1, v1
	v_add_nc_u32_e32 v5, 1, v1
	s_delay_alu instid0(VALU_DEP_2) | instskip(NEXT) | instid1(VALU_DEP_2)
	v_fma_f32 v6, -v2, v1, v4
	v_fma_f32 v7, -v5, v1, v4
	s_delay_alu instid0(VALU_DEP_2) | instskip(NEXT) | instid1(VALU_DEP_1)
	v_cmp_ge_f32_e64 s0, 0, v6
	v_cndmask_b32_e64 v1, v1, v2, s0
	s_delay_alu instid0(VALU_DEP_3) | instskip(NEXT) | instid1(VALU_DEP_1)
	v_cmp_lt_f32_e64 s0, 0, v7
	v_cndmask_b32_e64 v2, v1, v5, s0
	v_add_nc_u32_e32 v1, s12, v0
	v_add_nc_u32_e32 v0, 0x100, v0
	s_delay_alu instid0(VALU_DEP_3) | instskip(NEXT) | instid1(VALU_DEP_1)
	v_mul_f32_e32 v5, 0x37800000, v2
	v_dual_cndmask_b32 v5, v2, v5 :: v_dual_mov_b32 v2, 0
	v_cmp_class_f32_e64 vcc_lo, v4, 0x260
	s_delay_alu instid0(VALU_DEP_2) | instskip(NEXT) | instid1(VALU_DEP_3)
	v_lshlrev_b64 v[1:2], 1, v[1:2]
	v_cndmask_b32_e32 v4, v5, v4, vcc_lo
	s_delay_alu instid0(VALU_DEP_1) | instskip(NEXT) | instid1(VALU_DEP_3)
	v_cvt_f16_f32_e32 v4, v4
	v_add_co_u32 v1, vcc_lo, s8, v1
	s_delay_alu instid0(VALU_DEP_4) | instskip(SKIP_2) | instid1(SALU_CYCLE_1)
	v_add_co_ci_u32_e32 v2, vcc_lo, s9, v2, vcc_lo
	global_store_b16 v[1:2], v4, off
	s_or_b32 exec_lo, exec_lo, s1
	s_mov_b32 s0, exec_lo
	v_cmpx_gt_i32_e64 s7, v0
	s_cbranch_execnz .LBB260_25
	s_branch .LBB260_26
	.section	.rodata,"a",@progbits
	.p2align	6, 0x0
	.amdhsa_kernel _ZN2at6native29vectorized_elementwise_kernelILi4EZZZNS0_16sqrt_kernel_cudaERNS_18TensorIteratorBaseEENKUlvE0_clEvENKUlvE1_clEvEUlN3c104HalfEE_St5arrayIPcLm2EEEEviT0_T1_
		.amdhsa_group_segment_fixed_size 0
		.amdhsa_private_segment_fixed_size 0
		.amdhsa_kernarg_size 24
		.amdhsa_user_sgpr_count 15
		.amdhsa_user_sgpr_dispatch_ptr 0
		.amdhsa_user_sgpr_queue_ptr 0
		.amdhsa_user_sgpr_kernarg_segment_ptr 1
		.amdhsa_user_sgpr_dispatch_id 0
		.amdhsa_user_sgpr_private_segment_size 0
		.amdhsa_wavefront_size32 1
		.amdhsa_uses_dynamic_stack 0
		.amdhsa_enable_private_segment 0
		.amdhsa_system_sgpr_workgroup_id_x 1
		.amdhsa_system_sgpr_workgroup_id_y 0
		.amdhsa_system_sgpr_workgroup_id_z 0
		.amdhsa_system_sgpr_workgroup_info 0
		.amdhsa_system_vgpr_workitem_id 0
		.amdhsa_next_free_vgpr 31
		.amdhsa_next_free_sgpr 16
		.amdhsa_reserve_vcc 1
		.amdhsa_float_round_mode_32 0
		.amdhsa_float_round_mode_16_64 0
		.amdhsa_float_denorm_mode_32 3
		.amdhsa_float_denorm_mode_16_64 3
		.amdhsa_dx10_clamp 1
		.amdhsa_ieee_mode 1
		.amdhsa_fp16_overflow 0
		.amdhsa_workgroup_processor_mode 1
		.amdhsa_memory_ordered 1
		.amdhsa_forward_progress 0
		.amdhsa_shared_vgpr_count 0
		.amdhsa_exception_fp_ieee_invalid_op 0
		.amdhsa_exception_fp_denorm_src 0
		.amdhsa_exception_fp_ieee_div_zero 0
		.amdhsa_exception_fp_ieee_overflow 0
		.amdhsa_exception_fp_ieee_underflow 0
		.amdhsa_exception_fp_ieee_inexact 0
		.amdhsa_exception_int_div_zero 0
	.end_amdhsa_kernel
	.section	.text._ZN2at6native29vectorized_elementwise_kernelILi4EZZZNS0_16sqrt_kernel_cudaERNS_18TensorIteratorBaseEENKUlvE0_clEvENKUlvE1_clEvEUlN3c104HalfEE_St5arrayIPcLm2EEEEviT0_T1_,"axG",@progbits,_ZN2at6native29vectorized_elementwise_kernelILi4EZZZNS0_16sqrt_kernel_cudaERNS_18TensorIteratorBaseEENKUlvE0_clEvENKUlvE1_clEvEUlN3c104HalfEE_St5arrayIPcLm2EEEEviT0_T1_,comdat
.Lfunc_end260:
	.size	_ZN2at6native29vectorized_elementwise_kernelILi4EZZZNS0_16sqrt_kernel_cudaERNS_18TensorIteratorBaseEENKUlvE0_clEvENKUlvE1_clEvEUlN3c104HalfEE_St5arrayIPcLm2EEEEviT0_T1_, .Lfunc_end260-_ZN2at6native29vectorized_elementwise_kernelILi4EZZZNS0_16sqrt_kernel_cudaERNS_18TensorIteratorBaseEENKUlvE0_clEvENKUlvE1_clEvEUlN3c104HalfEE_St5arrayIPcLm2EEEEviT0_T1_
                                        ; -- End function
	.section	.AMDGPU.csdata,"",@progbits
; Kernel info:
; codeLenInByte = 3768
; NumSgprs: 18
; NumVgprs: 31
; ScratchSize: 0
; MemoryBound: 0
; FloatMode: 240
; IeeeMode: 1
; LDSByteSize: 0 bytes/workgroup (compile time only)
; SGPRBlocks: 2
; VGPRBlocks: 3
; NumSGPRsForWavesPerEU: 18
; NumVGPRsForWavesPerEU: 31
; Occupancy: 16
; WaveLimiterHint : 1
; COMPUTE_PGM_RSRC2:SCRATCH_EN: 0
; COMPUTE_PGM_RSRC2:USER_SGPR: 15
; COMPUTE_PGM_RSRC2:TRAP_HANDLER: 0
; COMPUTE_PGM_RSRC2:TGID_X_EN: 1
; COMPUTE_PGM_RSRC2:TGID_Y_EN: 0
; COMPUTE_PGM_RSRC2:TGID_Z_EN: 0
; COMPUTE_PGM_RSRC2:TIDIG_COMP_CNT: 0
	.section	.text._ZN2at6native29vectorized_elementwise_kernelILi2EZZZNS0_16sqrt_kernel_cudaERNS_18TensorIteratorBaseEENKUlvE0_clEvENKUlvE1_clEvEUlN3c104HalfEE_St5arrayIPcLm2EEEEviT0_T1_,"axG",@progbits,_ZN2at6native29vectorized_elementwise_kernelILi2EZZZNS0_16sqrt_kernel_cudaERNS_18TensorIteratorBaseEENKUlvE0_clEvENKUlvE1_clEvEUlN3c104HalfEE_St5arrayIPcLm2EEEEviT0_T1_,comdat
	.globl	_ZN2at6native29vectorized_elementwise_kernelILi2EZZZNS0_16sqrt_kernel_cudaERNS_18TensorIteratorBaseEENKUlvE0_clEvENKUlvE1_clEvEUlN3c104HalfEE_St5arrayIPcLm2EEEEviT0_T1_ ; -- Begin function _ZN2at6native29vectorized_elementwise_kernelILi2EZZZNS0_16sqrt_kernel_cudaERNS_18TensorIteratorBaseEENKUlvE0_clEvENKUlvE1_clEvEUlN3c104HalfEE_St5arrayIPcLm2EEEEviT0_T1_
	.p2align	8
	.type	_ZN2at6native29vectorized_elementwise_kernelILi2EZZZNS0_16sqrt_kernel_cudaERNS_18TensorIteratorBaseEENKUlvE0_clEvENKUlvE1_clEvEUlN3c104HalfEE_St5arrayIPcLm2EEEEviT0_T1_,@function
_ZN2at6native29vectorized_elementwise_kernelILi2EZZZNS0_16sqrt_kernel_cudaERNS_18TensorIteratorBaseEENKUlvE0_clEvENKUlvE1_clEvEUlN3c104HalfEE_St5arrayIPcLm2EEEEviT0_T1_: ; @_ZN2at6native29vectorized_elementwise_kernelILi2EZZZNS0_16sqrt_kernel_cudaERNS_18TensorIteratorBaseEENKUlvE0_clEvENKUlvE1_clEvEUlN3c104HalfEE_St5arrayIPcLm2EEEEviT0_T1_
; %bb.0:
	s_clause 0x1
	s_load_b32 s2, s[0:1], 0x0
	s_load_b128 s[8:11], s[0:1], 0x8
	s_lshl_b32 s12, s15, 11
	s_mov_b32 s0, -1
	s_waitcnt lgkmcnt(0)
	s_sub_i32 s16, s2, s12
	s_delay_alu instid0(SALU_CYCLE_1)
	s_cmpk_gt_i32 s16, 0x7ff
	s_cbranch_scc0 .LBB261_2
; %bb.1:
	s_ashr_i32 s13, s12, 31
	v_lshlrev_b32_e32 v1, 2, v0
	s_lshl_b64 s[6:7], s[12:13], 1
	s_delay_alu instid0(SALU_CYCLE_1)
	s_add_u32 s0, s10, s6
	s_addc_u32 s1, s11, s7
	s_add_u32 s14, s8, s6
	s_clause 0x3
	global_load_b32 v2, v1, s[0:1]
	global_load_b32 v3, v1, s[0:1] offset:1024
	global_load_b32 v4, v1, s[0:1] offset:2048
	;; [unrolled: 1-line block ×3, first 2 shown]
	s_addc_u32 s15, s9, s7
	s_waitcnt vmcnt(3)
	v_lshrrev_b32_e32 v6, 16, v2
	v_cvt_f32_f16_e32 v2, v2
	s_waitcnt vmcnt(2)
	v_lshrrev_b32_e32 v7, 16, v3
	s_waitcnt vmcnt(1)
	v_lshrrev_b32_e32 v8, 16, v4
	;; [unrolled: 2-line block ×3, first 2 shown]
	v_cvt_f32_f16_e32 v3, v3
	v_mul_f32_e32 v10, 0x4f800000, v2
	v_cvt_f32_f16_e32 v4, v4
	v_cvt_f32_f16_e32 v5, v5
	v_cmp_gt_f32_e32 vcc_lo, 0xf800000, v2
	v_cvt_f32_f16_e32 v6, v6
	s_delay_alu instid0(VALU_DEP_4)
	v_dual_mul_f32 v11, 0x4f800000, v3 :: v_dual_mul_f32 v12, 0x4f800000, v4
	v_cvt_f32_f16_e32 v7, v7
	v_cvt_f32_f16_e32 v8, v8
	v_dual_mul_f32 v13, 0x4f800000, v5 :: v_dual_cndmask_b32 v2, v2, v10
	v_cmp_gt_f32_e64 s0, 0xf800000, v3
	v_cmp_gt_f32_e64 s1, 0xf800000, v4
	;; [unrolled: 1-line block ×3, first 2 shown]
	v_cvt_f32_f16_e32 v9, v9
	v_mul_f32_e32 v10, 0x4f800000, v6
	v_cndmask_b32_e64 v3, v3, v11, s0
	v_mul_f32_e32 v11, 0x4f800000, v7
	v_cndmask_b32_e64 v4, v4, v12, s1
	;; [unrolled: 2-line block ×3, first 2 shown]
	v_mul_f32_e32 v13, 0x4f800000, v9
	v_rsq_f32_e32 v14, v2
	v_cmp_gt_f32_e64 s3, 0xf800000, v6
	v_cmp_gt_f32_e64 s4, 0xf800000, v7
	;; [unrolled: 1-line block ×4, first 2 shown]
	s_delay_alu instid0(VALU_DEP_4)
	v_cndmask_b32_e64 v6, v6, v10, s3
	v_rsq_f32_e32 v10, v3
	v_cndmask_b32_e64 v7, v7, v11, s4
	v_rsq_f32_e32 v11, v4
	;; [unrolled: 2-line block ×4, first 2 shown]
	v_rsq_f32_e32 v15, v7
	v_rsq_f32_e32 v16, v8
	v_mul_f32_e32 v18, v2, v14
	v_mul_f32_e32 v14, 0.5, v14
	v_rsq_f32_e32 v17, v9
	v_dual_mul_f32 v19, v3, v10 :: v_dual_mul_f32 v20, v4, v11
	v_dual_mul_f32 v10, 0.5, v10 :: v_dual_mul_f32 v11, 0.5, v11
	v_mul_f32_e32 v23, v6, v13
	v_mul_f32_e32 v21, v5, v12
	v_fma_f32 v22, -v14, v18, 0.5
	v_dual_mul_f32 v12, 0.5, v12 :: v_dual_mul_f32 v13, 0.5, v13
	v_fma_f32 v24, -v10, v19, 0.5
	v_mul_f32_e32 v25, v7, v15
	s_delay_alu instid0(VALU_DEP_4)
	v_dual_mul_f32 v15, 0.5, v15 :: v_dual_fmac_f32 v18, v18, v22
	v_fma_f32 v26, -v11, v20, 0.5
	v_dual_mul_f32 v27, v8, v16 :: v_dual_fmac_f32 v14, v14, v22
	v_mul_f32_e32 v16, 0.5, v16
	v_fma_f32 v28, -v12, v21, 0.5
	v_dual_mul_f32 v29, v9, v17 :: v_dual_fmac_f32 v10, v10, v24
	v_dual_mul_f32 v17, 0.5, v17 :: v_dual_fmac_f32 v20, v20, v26
	s_delay_alu instid0(VALU_DEP_3)
	v_dual_fmac_f32 v11, v11, v26 :: v_dual_fmac_f32 v12, v12, v28
	v_fma_f32 v26, -v16, v27, 0.5
	v_fmac_f32_e32 v19, v19, v24
	v_fma_f32 v24, -v15, v25, 0.5
	v_fma_f32 v30, -v18, v18, v2
	v_fma_f32 v22, -v13, v23, 0.5
	v_dual_fmac_f32 v16, v16, v26 :: v_dual_fmac_f32 v21, v21, v28
	v_fma_f32 v28, -v17, v29, 0.5
	s_delay_alu instid0(VALU_DEP_4)
	v_dual_fmac_f32 v18, v30, v14 :: v_dual_fmac_f32 v25, v25, v24
	v_fmac_f32_e32 v15, v15, v24
	v_fma_f32 v24, -v20, v20, v4
	v_fmac_f32_e32 v23, v23, v22
	v_fmac_f32_e32 v27, v27, v26
	v_fma_f32 v26, -v21, v21, v5
	s_delay_alu instid0(VALU_DEP_4)
	v_dual_fmac_f32 v29, v29, v28 :: v_dual_fmac_f32 v20, v24, v11
	v_fmac_f32_e32 v13, v13, v22
	v_fma_f32 v22, -v19, v19, v3
	v_fmac_f32_e32 v17, v17, v28
	v_fmac_f32_e32 v21, v26, v12
	v_fma_f32 v12, -v29, v29, v9
	v_fma_f32 v14, -v23, v23, v6
	v_fmac_f32_e32 v19, v22, v10
	v_mul_f32_e32 v22, 0x37800000, v18
	v_fma_f32 v10, -v25, v25, v7
	s_delay_alu instid0(VALU_DEP_2) | instskip(SKIP_1) | instid1(VALU_DEP_3)
	v_dual_fmac_f32 v29, v12, v17 :: v_dual_cndmask_b32 v12, v18, v22
	v_cmp_class_f32_e64 vcc_lo, v2, 0x260
	v_dual_fmac_f32 v25, v10, v15 :: v_dual_mul_f32 v10, 0x37800000, v20
	s_delay_alu instid0(VALU_DEP_3) | instskip(SKIP_1) | instid1(VALU_DEP_3)
	v_cndmask_b32_e32 v2, v12, v2, vcc_lo
	v_cmp_class_f32_e64 vcc_lo, v3, 0x260
	v_cndmask_b32_e64 v10, v20, v10, s1
	s_delay_alu instid0(VALU_DEP_3) | instskip(SKIP_2) | instid1(VALU_DEP_3)
	v_cvt_f16_f32_e32 v2, v2
	v_fmac_f32_e32 v23, v14, v13
	v_mul_f32_e32 v13, 0x37800000, v19
	v_and_b32_e32 v2, 0xffff, v2
	s_delay_alu instid0(VALU_DEP_3) | instskip(SKIP_1) | instid1(VALU_DEP_4)
	v_mul_f32_e32 v14, 0x37800000, v23
	v_fma_f32 v11, -v27, v27, v8
	v_cndmask_b32_e64 v13, v19, v13, s0
	s_mov_b32 s0, 0
	s_delay_alu instid0(VALU_DEP_3) | instskip(NEXT) | instid1(VALU_DEP_3)
	v_cndmask_b32_e64 v12, v23, v14, s3
	v_fmac_f32_e32 v27, v11, v16
	s_delay_alu instid0(VALU_DEP_3) | instskip(SKIP_1) | instid1(VALU_DEP_3)
	v_cndmask_b32_e32 v3, v13, v3, vcc_lo
	v_cmp_class_f32_e64 vcc_lo, v4, 0x260
	v_mul_f32_e32 v16, 0x37800000, v27
	s_delay_alu instid0(VALU_DEP_3) | instskip(SKIP_2) | instid1(VALU_DEP_4)
	v_cvt_f16_f32_e32 v3, v3
	v_cndmask_b32_e32 v4, v10, v4, vcc_lo
	v_cmp_class_f32_e64 vcc_lo, v5, 0x260
	v_cndmask_b32_e64 v10, v27, v16, s5
	v_mul_f32_e32 v11, 0x37800000, v21
	s_delay_alu instid0(VALU_DEP_4) | instskip(SKIP_1) | instid1(VALU_DEP_3)
	v_cvt_f16_f32_e32 v4, v4
	v_and_b32_e32 v3, 0xffff, v3
	v_cndmask_b32_e64 v11, v21, v11, s2
	s_delay_alu instid0(VALU_DEP_1) | instskip(SKIP_1) | instid1(VALU_DEP_2)
	v_dual_cndmask_b32 v5, v11, v5 :: v_dual_and_b32 v4, 0xffff, v4
	v_cmp_class_f32_e64 vcc_lo, v6, 0x260
	v_cvt_f16_f32_e32 v5, v5
	v_cndmask_b32_e32 v6, v12, v6, vcc_lo
	v_cmp_class_f32_e64 vcc_lo, v7, 0x260
	s_delay_alu instid0(VALU_DEP_3) | instskip(NEXT) | instid1(VALU_DEP_3)
	v_and_b32_e32 v5, 0xffff, v5
	v_cvt_f16_f32_e32 v6, v6
	s_delay_alu instid0(VALU_DEP_1) | instskip(NEXT) | instid1(VALU_DEP_1)
	v_dual_mul_f32 v15, 0x37800000, v25 :: v_dual_lshlrev_b32 v6, 16, v6
	v_or_b32_e32 v2, v6, v2
	s_delay_alu instid0(VALU_DEP_2) | instskip(NEXT) | instid1(VALU_DEP_1)
	v_cndmask_b32_e64 v13, v25, v15, s4
	v_cndmask_b32_e32 v7, v13, v7, vcc_lo
	v_cmp_class_f32_e64 vcc_lo, v8, 0x260
	s_delay_alu instid0(VALU_DEP_2) | instskip(SKIP_2) | instid1(VALU_DEP_3)
	v_cvt_f16_f32_e32 v7, v7
	v_cndmask_b32_e32 v8, v10, v8, vcc_lo
	v_cmp_class_f32_e64 vcc_lo, v9, 0x260
	v_lshlrev_b32_e32 v7, 16, v7
	s_delay_alu instid0(VALU_DEP_3) | instskip(NEXT) | instid1(VALU_DEP_2)
	v_cvt_f16_f32_e32 v8, v8
	v_or_b32_e32 v3, v7, v3
	s_delay_alu instid0(VALU_DEP_2) | instskip(NEXT) | instid1(VALU_DEP_1)
	v_dual_mul_f32 v17, 0x37800000, v29 :: v_dual_lshlrev_b32 v8, 16, v8
	v_or_b32_e32 v4, v8, v4
	s_delay_alu instid0(VALU_DEP_2) | instskip(NEXT) | instid1(VALU_DEP_1)
	v_cndmask_b32_e64 v11, v29, v17, s6
	v_cndmask_b32_e32 v9, v11, v9, vcc_lo
	s_delay_alu instid0(VALU_DEP_1) | instskip(NEXT) | instid1(VALU_DEP_1)
	v_cvt_f16_f32_e32 v9, v9
	v_lshlrev_b32_e32 v9, 16, v9
	s_delay_alu instid0(VALU_DEP_1)
	v_or_b32_e32 v5, v9, v5
	s_clause 0x3
	global_store_b32 v1, v2, s[14:15]
	global_store_b32 v1, v3, s[14:15] offset:1024
	global_store_b32 v1, v4, s[14:15] offset:2048
	;; [unrolled: 1-line block ×3, first 2 shown]
.LBB261_2:
	s_and_not1_b32 vcc_lo, exec_lo, s0
	s_cbranch_vccnz .LBB261_26
; %bb.3:
	v_cmp_gt_i32_e32 vcc_lo, s16, v0
	v_dual_mov_b32 v8, 0 :: v_dual_mov_b32 v11, v0
	v_or_b32_e32 v1, s12, v0
	v_or_b32_e32 v9, 0x100, v0
	v_mov_b32_e32 v2, 0
	s_and_saveexec_b32 s1, vcc_lo
	s_cbranch_execz .LBB261_5
; %bb.4:
	v_mov_b32_e32 v2, 0
	v_or_b32_e32 v11, 0x100, v0
	s_delay_alu instid0(VALU_DEP_2) | instskip(NEXT) | instid1(VALU_DEP_1)
	v_lshlrev_b64 v[2:3], 1, v[1:2]
	v_add_co_u32 v2, s0, s10, v2
	s_delay_alu instid0(VALU_DEP_1)
	v_add_co_ci_u32_e64 v3, s0, s11, v3, s0
	global_load_u16 v2, v[2:3], off
	s_waitcnt vmcnt(0)
	v_cvt_f32_f16_e32 v2, v2
.LBB261_5:
	s_or_b32 exec_lo, exec_lo, s1
	s_delay_alu instid0(SALU_CYCLE_1)
	s_mov_b32 s1, exec_lo
	v_cmpx_gt_i32_e64 s16, v11
	s_cbranch_execz .LBB261_7
; %bb.6:
	v_dual_mov_b32 v4, 0 :: v_dual_add_nc_u32 v3, s12, v11
	v_add_nc_u32_e32 v11, 0x100, v11
	s_delay_alu instid0(VALU_DEP_2) | instskip(NEXT) | instid1(VALU_DEP_1)
	v_lshlrev_b64 v[3:4], 1, v[3:4]
	v_add_co_u32 v3, s0, s10, v3
	s_delay_alu instid0(VALU_DEP_1)
	v_add_co_ci_u32_e64 v4, s0, s11, v4, s0
	global_load_u16 v3, v[3:4], off
	s_waitcnt vmcnt(0)
	v_cvt_f32_f16_e32 v8, v3
.LBB261_7:
	s_or_b32 exec_lo, exec_lo, s1
	v_mov_b32_e32 v6, 0
	v_mov_b32_e32 v10, 0
	s_mov_b32 s1, exec_lo
	v_cmpx_gt_i32_e64 s16, v11
	s_cbranch_execz .LBB261_9
; %bb.8:
	v_dual_mov_b32 v4, 0 :: v_dual_add_nc_u32 v3, s12, v11
	v_add_nc_u32_e32 v11, 0x100, v11
	s_delay_alu instid0(VALU_DEP_2) | instskip(NEXT) | instid1(VALU_DEP_1)
	v_lshlrev_b64 v[3:4], 1, v[3:4]
	v_add_co_u32 v3, s0, s10, v3
	s_delay_alu instid0(VALU_DEP_1)
	v_add_co_ci_u32_e64 v4, s0, s11, v4, s0
	global_load_u16 v3, v[3:4], off
	s_waitcnt vmcnt(0)
	v_cvt_f32_f16_e32 v10, v3
.LBB261_9:
	s_or_b32 exec_lo, exec_lo, s1
	s_delay_alu instid0(SALU_CYCLE_1)
	s_mov_b32 s1, exec_lo
	v_cmpx_gt_i32_e64 s16, v11
	s_cbranch_execz .LBB261_11
; %bb.10:
	v_dual_mov_b32 v4, 0 :: v_dual_add_nc_u32 v3, s12, v11
	v_add_nc_u32_e32 v11, 0x100, v11
	s_delay_alu instid0(VALU_DEP_2) | instskip(NEXT) | instid1(VALU_DEP_1)
	v_lshlrev_b64 v[3:4], 1, v[3:4]
	v_add_co_u32 v3, s0, s10, v3
	s_delay_alu instid0(VALU_DEP_1)
	v_add_co_ci_u32_e64 v4, s0, s11, v4, s0
	global_load_u16 v3, v[3:4], off
	s_waitcnt vmcnt(0)
	v_cvt_f32_f16_e32 v6, v3
.LBB261_11:
	s_or_b32 exec_lo, exec_lo, s1
	v_dual_mov_b32 v4, 0 :: v_dual_mov_b32 v7, 0
	s_mov_b32 s1, exec_lo
	v_cmpx_gt_i32_e64 s16, v11
	s_cbranch_execz .LBB261_13
; %bb.12:
	v_dual_mov_b32 v13, 0 :: v_dual_add_nc_u32 v12, s12, v11
	v_add_nc_u32_e32 v11, 0x100, v11
	s_delay_alu instid0(VALU_DEP_2) | instskip(NEXT) | instid1(VALU_DEP_1)
	v_lshlrev_b64 v[12:13], 1, v[12:13]
	v_add_co_u32 v12, s0, s10, v12
	s_delay_alu instid0(VALU_DEP_1)
	v_add_co_ci_u32_e64 v13, s0, s11, v13, s0
	global_load_u16 v3, v[12:13], off
	s_waitcnt vmcnt(0)
	v_cvt_f32_f16_e32 v7, v3
.LBB261_13:
	s_or_b32 exec_lo, exec_lo, s1
	s_delay_alu instid0(SALU_CYCLE_1)
	s_mov_b32 s1, exec_lo
	v_cmpx_gt_i32_e64 s16, v11
	s_cbranch_execz .LBB261_15
; %bb.14:
	v_dual_mov_b32 v4, 0 :: v_dual_add_nc_u32 v3, s12, v11
	v_add_nc_u32_e32 v11, 0x100, v11
	s_delay_alu instid0(VALU_DEP_2) | instskip(NEXT) | instid1(VALU_DEP_1)
	v_lshlrev_b64 v[3:4], 1, v[3:4]
	v_add_co_u32 v3, s0, s10, v3
	s_delay_alu instid0(VALU_DEP_1)
	v_add_co_ci_u32_e64 v4, s0, s11, v4, s0
	global_load_u16 v3, v[3:4], off
	s_waitcnt vmcnt(0)
	v_cvt_f32_f16_e32 v4, v3
.LBB261_15:
	s_or_b32 exec_lo, exec_lo, s1
	v_mov_b32_e32 v3, 0
	v_mov_b32_e32 v5, 0
	s_mov_b32 s1, exec_lo
	v_cmpx_gt_i32_e64 s16, v11
	s_cbranch_execnz .LBB261_27
; %bb.16:
	s_or_b32 exec_lo, exec_lo, s1
	s_delay_alu instid0(SALU_CYCLE_1)
	s_mov_b32 s1, exec_lo
	v_cmpx_gt_i32_e64 s16, v11
	s_cbranch_execnz .LBB261_28
.LBB261_17:
	s_or_b32 exec_lo, exec_lo, s1
	s_and_saveexec_b32 s1, vcc_lo
	s_cbranch_execnz .LBB261_29
.LBB261_18:
	s_or_b32 exec_lo, exec_lo, s1
	s_delay_alu instid0(SALU_CYCLE_1)
	s_mov_b32 s1, exec_lo
	v_cmpx_gt_i32_e64 s16, v0
	s_cbranch_execnz .LBB261_30
.LBB261_19:
	s_or_b32 exec_lo, exec_lo, s1
	s_delay_alu instid0(SALU_CYCLE_1)
	s_mov_b32 s1, exec_lo
	v_cmpx_gt_i32_e64 s16, v0
	s_cbranch_execnz .LBB261_31
.LBB261_20:
	s_or_b32 exec_lo, exec_lo, s1
	s_delay_alu instid0(SALU_CYCLE_1)
	s_mov_b32 s1, exec_lo
	v_cmpx_gt_i32_e64 s16, v0
	s_cbranch_execnz .LBB261_32
.LBB261_21:
	s_or_b32 exec_lo, exec_lo, s1
	s_delay_alu instid0(SALU_CYCLE_1)
	s_mov_b32 s1, exec_lo
	v_cmpx_gt_i32_e64 s16, v0
	s_cbranch_execnz .LBB261_33
.LBB261_22:
	s_or_b32 exec_lo, exec_lo, s1
	s_delay_alu instid0(SALU_CYCLE_1)
	s_mov_b32 s1, exec_lo
	v_cmpx_gt_i32_e64 s16, v0
	s_cbranch_execnz .LBB261_34
.LBB261_23:
	s_or_b32 exec_lo, exec_lo, s1
	s_delay_alu instid0(SALU_CYCLE_1)
	s_mov_b32 s1, exec_lo
	v_cmpx_gt_i32_e64 s16, v0
	s_cbranch_execnz .LBB261_35
.LBB261_24:
	s_or_b32 exec_lo, exec_lo, s1
	s_delay_alu instid0(SALU_CYCLE_1)
	s_mov_b32 s0, exec_lo
	v_cmpx_gt_i32_e64 s16, v0
	s_cbranch_execz .LBB261_26
.LBB261_25:
	v_dual_mul_f32 v1, 0x4f800000, v3 :: v_dual_add_nc_u32 v0, s12, v0
	v_cmp_gt_f32_e32 vcc_lo, 0xf800000, v3
	s_delay_alu instid0(VALU_DEP_2) | instskip(NEXT) | instid1(VALU_DEP_1)
	v_cndmask_b32_e32 v2, v3, v1, vcc_lo
	v_sqrt_f32_e32 v1, v2
	s_waitcnt_depctr 0xfff
	v_add_nc_u32_e32 v3, -1, v1
	v_add_nc_u32_e32 v4, 1, v1
	s_delay_alu instid0(VALU_DEP_2) | instskip(NEXT) | instid1(VALU_DEP_2)
	v_fma_f32 v5, -v3, v1, v2
	v_fma_f32 v6, -v4, v1, v2
	s_delay_alu instid0(VALU_DEP_2) | instskip(NEXT) | instid1(VALU_DEP_1)
	v_cmp_ge_f32_e64 s0, 0, v5
	v_cndmask_b32_e64 v1, v1, v3, s0
	s_delay_alu instid0(VALU_DEP_3) | instskip(NEXT) | instid1(VALU_DEP_1)
	v_cmp_lt_f32_e64 s0, 0, v6
	v_cndmask_b32_e64 v1, v1, v4, s0
	s_delay_alu instid0(VALU_DEP_1) | instskip(NEXT) | instid1(VALU_DEP_1)
	v_mul_f32_e32 v3, 0x37800000, v1
	v_cndmask_b32_e32 v3, v1, v3, vcc_lo
	v_mov_b32_e32 v1, 0
	v_cmp_class_f32_e64 vcc_lo, v2, 0x260
	s_delay_alu instid0(VALU_DEP_2) | instskip(NEXT) | instid1(VALU_DEP_4)
	v_lshlrev_b64 v[0:1], 1, v[0:1]
	v_cndmask_b32_e32 v2, v3, v2, vcc_lo
	s_delay_alu instid0(VALU_DEP_2) | instskip(NEXT) | instid1(VALU_DEP_2)
	v_add_co_u32 v0, vcc_lo, s8, v0
	v_cvt_f16_f32_e32 v2, v2
	s_delay_alu instid0(VALU_DEP_4)
	v_add_co_ci_u32_e32 v1, vcc_lo, s9, v1, vcc_lo
	global_store_b16 v[0:1], v2, off
.LBB261_26:
	s_nop 0
	s_sendmsg sendmsg(MSG_DEALLOC_VGPRS)
	s_endpgm
.LBB261_27:
	v_dual_mov_b32 v13, 0 :: v_dual_add_nc_u32 v12, s12, v11
	v_add_nc_u32_e32 v11, 0x100, v11
	s_delay_alu instid0(VALU_DEP_2) | instskip(NEXT) | instid1(VALU_DEP_1)
	v_lshlrev_b64 v[12:13], 1, v[12:13]
	v_add_co_u32 v12, s0, s10, v12
	s_delay_alu instid0(VALU_DEP_1) | instskip(SKIP_4) | instid1(SALU_CYCLE_1)
	v_add_co_ci_u32_e64 v13, s0, s11, v13, s0
	global_load_u16 v5, v[12:13], off
	s_waitcnt vmcnt(0)
	v_cvt_f32_f16_e32 v5, v5
	s_or_b32 exec_lo, exec_lo, s1
	s_mov_b32 s1, exec_lo
	v_cmpx_gt_i32_e64 s16, v11
	s_cbranch_execz .LBB261_17
.LBB261_28:
	v_dual_mov_b32 v12, 0 :: v_dual_add_nc_u32 v11, s12, v11
	s_delay_alu instid0(VALU_DEP_1) | instskip(NEXT) | instid1(VALU_DEP_1)
	v_lshlrev_b64 v[11:12], 1, v[11:12]
	v_add_co_u32 v11, s0, s10, v11
	s_delay_alu instid0(VALU_DEP_1)
	v_add_co_ci_u32_e64 v12, s0, s11, v12, s0
	global_load_u16 v3, v[11:12], off
	s_waitcnt vmcnt(0)
	v_cvt_f32_f16_e32 v3, v3
	s_or_b32 exec_lo, exec_lo, s1
	s_and_saveexec_b32 s1, vcc_lo
	s_cbranch_execz .LBB261_18
.LBB261_29:
	v_cmp_gt_f32_e32 vcc_lo, 0xf800000, v2
	v_mul_f32_e32 v0, 0x4f800000, v2
	s_delay_alu instid0(VALU_DEP_1) | instskip(NEXT) | instid1(VALU_DEP_1)
	v_cndmask_b32_e32 v0, v2, v0, vcc_lo
	v_sqrt_f32_e32 v2, v0
	s_waitcnt_depctr 0xfff
	v_add_nc_u32_e32 v11, -1, v2
	v_add_nc_u32_e32 v12, 1, v2
	s_delay_alu instid0(VALU_DEP_2) | instskip(NEXT) | instid1(VALU_DEP_2)
	v_fma_f32 v13, -v11, v2, v0
	v_fma_f32 v14, -v12, v2, v0
	s_delay_alu instid0(VALU_DEP_2) | instskip(NEXT) | instid1(VALU_DEP_1)
	v_cmp_ge_f32_e64 s0, 0, v13
	v_cndmask_b32_e64 v2, v2, v11, s0
	s_delay_alu instid0(VALU_DEP_3) | instskip(NEXT) | instid1(VALU_DEP_1)
	v_cmp_lt_f32_e64 s0, 0, v14
	v_cndmask_b32_e64 v2, v2, v12, s0
	s_delay_alu instid0(VALU_DEP_1) | instskip(NEXT) | instid1(VALU_DEP_1)
	v_mul_f32_e32 v11, 0x37800000, v2
	v_dual_cndmask_b32 v11, v2, v11 :: v_dual_mov_b32 v2, 0
	v_cmp_class_f32_e64 vcc_lo, v0, 0x260
	s_delay_alu instid0(VALU_DEP_2) | instskip(NEXT) | instid1(VALU_DEP_3)
	v_cndmask_b32_e32 v11, v11, v0, vcc_lo
	v_lshlrev_b64 v[0:1], 1, v[1:2]
	s_delay_alu instid0(VALU_DEP_2) | instskip(NEXT) | instid1(VALU_DEP_2)
	v_cvt_f16_f32_e32 v2, v11
	v_add_co_u32 v11, vcc_lo, s8, v0
	s_delay_alu instid0(VALU_DEP_3) | instskip(SKIP_3) | instid1(SALU_CYCLE_1)
	v_add_co_ci_u32_e32 v12, vcc_lo, s9, v1, vcc_lo
	v_mov_b32_e32 v0, v9
	global_store_b16 v[11:12], v2, off
	s_or_b32 exec_lo, exec_lo, s1
	s_mov_b32 s1, exec_lo
	v_cmpx_gt_i32_e64 s16, v0
	s_cbranch_execz .LBB261_19
.LBB261_30:
	v_mul_f32_e32 v1, 0x4f800000, v8
	v_cmp_gt_f32_e32 vcc_lo, 0xf800000, v8
	s_delay_alu instid0(VALU_DEP_2) | instskip(NEXT) | instid1(VALU_DEP_1)
	v_cndmask_b32_e32 v8, v8, v1, vcc_lo
	v_sqrt_f32_e32 v1, v8
	s_waitcnt_depctr 0xfff
	v_add_nc_u32_e32 v2, -1, v1
	v_add_nc_u32_e32 v9, 1, v1
	s_delay_alu instid0(VALU_DEP_2) | instskip(NEXT) | instid1(VALU_DEP_2)
	v_fma_f32 v11, -v2, v1, v8
	v_fma_f32 v12, -v9, v1, v8
	s_delay_alu instid0(VALU_DEP_2) | instskip(NEXT) | instid1(VALU_DEP_1)
	v_cmp_ge_f32_e64 s0, 0, v11
	v_cndmask_b32_e64 v1, v1, v2, s0
	s_delay_alu instid0(VALU_DEP_3) | instskip(NEXT) | instid1(VALU_DEP_1)
	v_cmp_lt_f32_e64 s0, 0, v12
	v_cndmask_b32_e64 v2, v1, v9, s0
	v_add_nc_u32_e32 v1, s12, v0
	v_add_nc_u32_e32 v0, 0x100, v0
	s_delay_alu instid0(VALU_DEP_3) | instskip(NEXT) | instid1(VALU_DEP_1)
	v_mul_f32_e32 v9, 0x37800000, v2
	v_dual_cndmask_b32 v9, v2, v9 :: v_dual_mov_b32 v2, 0
	v_cmp_class_f32_e64 vcc_lo, v8, 0x260
	s_delay_alu instid0(VALU_DEP_2) | instskip(NEXT) | instid1(VALU_DEP_3)
	v_lshlrev_b64 v[1:2], 1, v[1:2]
	v_cndmask_b32_e32 v8, v9, v8, vcc_lo
	s_delay_alu instid0(VALU_DEP_1) | instskip(NEXT) | instid1(VALU_DEP_3)
	v_cvt_f16_f32_e32 v8, v8
	v_add_co_u32 v1, vcc_lo, s8, v1
	s_delay_alu instid0(VALU_DEP_4) | instskip(SKIP_2) | instid1(SALU_CYCLE_1)
	v_add_co_ci_u32_e32 v2, vcc_lo, s9, v2, vcc_lo
	global_store_b16 v[1:2], v8, off
	s_or_b32 exec_lo, exec_lo, s1
	s_mov_b32 s1, exec_lo
	v_cmpx_gt_i32_e64 s16, v0
	s_cbranch_execz .LBB261_20
.LBB261_31:
	v_mul_f32_e32 v1, 0x4f800000, v10
	v_cmp_gt_f32_e32 vcc_lo, 0xf800000, v10
	s_delay_alu instid0(VALU_DEP_2) | instskip(NEXT) | instid1(VALU_DEP_1)
	v_cndmask_b32_e32 v8, v10, v1, vcc_lo
	v_sqrt_f32_e32 v1, v8
	s_waitcnt_depctr 0xfff
	v_add_nc_u32_e32 v2, -1, v1
	v_add_nc_u32_e32 v9, 1, v1
	s_delay_alu instid0(VALU_DEP_2) | instskip(NEXT) | instid1(VALU_DEP_2)
	v_fma_f32 v10, -v2, v1, v8
	v_fma_f32 v11, -v9, v1, v8
	s_delay_alu instid0(VALU_DEP_2) | instskip(NEXT) | instid1(VALU_DEP_1)
	v_cmp_ge_f32_e64 s0, 0, v10
	v_cndmask_b32_e64 v1, v1, v2, s0
	s_delay_alu instid0(VALU_DEP_3) | instskip(NEXT) | instid1(VALU_DEP_1)
	v_cmp_lt_f32_e64 s0, 0, v11
	v_cndmask_b32_e64 v2, v1, v9, s0
	v_add_nc_u32_e32 v1, s12, v0
	v_add_nc_u32_e32 v0, 0x100, v0
	s_delay_alu instid0(VALU_DEP_3) | instskip(NEXT) | instid1(VALU_DEP_1)
	v_mul_f32_e32 v9, 0x37800000, v2
	v_dual_cndmask_b32 v9, v2, v9 :: v_dual_mov_b32 v2, 0
	v_cmp_class_f32_e64 vcc_lo, v8, 0x260
	s_delay_alu instid0(VALU_DEP_2) | instskip(NEXT) | instid1(VALU_DEP_3)
	v_lshlrev_b64 v[1:2], 1, v[1:2]
	v_cndmask_b32_e32 v8, v9, v8, vcc_lo
	s_delay_alu instid0(VALU_DEP_1) | instskip(NEXT) | instid1(VALU_DEP_3)
	v_cvt_f16_f32_e32 v8, v8
	v_add_co_u32 v1, vcc_lo, s8, v1
	s_delay_alu instid0(VALU_DEP_4) | instskip(SKIP_2) | instid1(SALU_CYCLE_1)
	v_add_co_ci_u32_e32 v2, vcc_lo, s9, v2, vcc_lo
	global_store_b16 v[1:2], v8, off
	s_or_b32 exec_lo, exec_lo, s1
	s_mov_b32 s1, exec_lo
	v_cmpx_gt_i32_e64 s16, v0
	s_cbranch_execz .LBB261_21
.LBB261_32:
	v_cmp_gt_f32_e32 vcc_lo, 0xf800000, v6
	v_mul_f32_e32 v1, 0x4f800000, v6
	s_delay_alu instid0(VALU_DEP_1) | instskip(NEXT) | instid1(VALU_DEP_1)
	v_cndmask_b32_e32 v6, v6, v1, vcc_lo
	v_sqrt_f32_e32 v1, v6
	s_waitcnt_depctr 0xfff
	v_add_nc_u32_e32 v2, -1, v1
	v_add_nc_u32_e32 v8, 1, v1
	s_delay_alu instid0(VALU_DEP_2) | instskip(NEXT) | instid1(VALU_DEP_2)
	v_fma_f32 v9, -v2, v1, v6
	v_fma_f32 v10, -v8, v1, v6
	s_delay_alu instid0(VALU_DEP_2) | instskip(NEXT) | instid1(VALU_DEP_1)
	v_cmp_ge_f32_e64 s0, 0, v9
	v_cndmask_b32_e64 v1, v1, v2, s0
	s_delay_alu instid0(VALU_DEP_3) | instskip(NEXT) | instid1(VALU_DEP_1)
	v_cmp_lt_f32_e64 s0, 0, v10
	v_cndmask_b32_e64 v2, v1, v8, s0
	v_add_nc_u32_e32 v1, s12, v0
	v_add_nc_u32_e32 v0, 0x100, v0
	s_delay_alu instid0(VALU_DEP_3) | instskip(NEXT) | instid1(VALU_DEP_1)
	v_mul_f32_e32 v8, 0x37800000, v2
	v_cndmask_b32_e32 v8, v2, v8, vcc_lo
	v_mov_b32_e32 v2, 0
	v_cmp_class_f32_e64 vcc_lo, v6, 0x260
	s_delay_alu instid0(VALU_DEP_2) | instskip(NEXT) | instid1(VALU_DEP_4)
	v_lshlrev_b64 v[1:2], 1, v[1:2]
	v_cndmask_b32_e32 v6, v8, v6, vcc_lo
	s_delay_alu instid0(VALU_DEP_1) | instskip(NEXT) | instid1(VALU_DEP_3)
	v_cvt_f16_f32_e32 v6, v6
	v_add_co_u32 v1, vcc_lo, s8, v1
	s_delay_alu instid0(VALU_DEP_4) | instskip(SKIP_2) | instid1(SALU_CYCLE_1)
	v_add_co_ci_u32_e32 v2, vcc_lo, s9, v2, vcc_lo
	global_store_b16 v[1:2], v6, off
	s_or_b32 exec_lo, exec_lo, s1
	s_mov_b32 s1, exec_lo
	v_cmpx_gt_i32_e64 s16, v0
	s_cbranch_execz .LBB261_22
.LBB261_33:
	v_mul_f32_e32 v1, 0x4f800000, v7
	v_cmp_gt_f32_e32 vcc_lo, 0xf800000, v7
	s_delay_alu instid0(VALU_DEP_2) | instskip(NEXT) | instid1(VALU_DEP_1)
	v_cndmask_b32_e32 v6, v7, v1, vcc_lo
	v_sqrt_f32_e32 v1, v6
	s_waitcnt_depctr 0xfff
	v_add_nc_u32_e32 v2, -1, v1
	v_add_nc_u32_e32 v7, 1, v1
	s_delay_alu instid0(VALU_DEP_2) | instskip(NEXT) | instid1(VALU_DEP_2)
	v_fma_f32 v8, -v2, v1, v6
	v_fma_f32 v9, -v7, v1, v6
	s_delay_alu instid0(VALU_DEP_2) | instskip(NEXT) | instid1(VALU_DEP_1)
	v_cmp_ge_f32_e64 s0, 0, v8
	v_cndmask_b32_e64 v1, v1, v2, s0
	s_delay_alu instid0(VALU_DEP_3) | instskip(NEXT) | instid1(VALU_DEP_1)
	v_cmp_lt_f32_e64 s0, 0, v9
	v_cndmask_b32_e64 v2, v1, v7, s0
	s_delay_alu instid0(VALU_DEP_1) | instskip(NEXT) | instid1(VALU_DEP_1)
	v_mul_f32_e32 v7, 0x37800000, v2
	v_dual_cndmask_b32 v7, v2, v7 :: v_dual_mov_b32 v2, 0
	v_cmp_class_f32_e64 vcc_lo, v6, 0x260
	v_add_nc_u32_e32 v1, s12, v0
	v_add_nc_u32_e32 v0, 0x100, v0
	s_delay_alu instid0(VALU_DEP_4) | instskip(NEXT) | instid1(VALU_DEP_3)
	v_cndmask_b32_e32 v6, v7, v6, vcc_lo
	v_lshlrev_b64 v[1:2], 1, v[1:2]
	s_delay_alu instid0(VALU_DEP_2) | instskip(NEXT) | instid1(VALU_DEP_2)
	v_cvt_f16_f32_e32 v6, v6
	v_add_co_u32 v1, vcc_lo, s8, v1
	s_delay_alu instid0(VALU_DEP_3) | instskip(SKIP_2) | instid1(SALU_CYCLE_1)
	v_add_co_ci_u32_e32 v2, vcc_lo, s9, v2, vcc_lo
	global_store_b16 v[1:2], v6, off
	s_or_b32 exec_lo, exec_lo, s1
	s_mov_b32 s1, exec_lo
	v_cmpx_gt_i32_e64 s16, v0
	s_cbranch_execz .LBB261_23
.LBB261_34:
	v_cmp_gt_f32_e32 vcc_lo, 0xf800000, v4
	v_mul_f32_e32 v1, 0x4f800000, v4
	s_delay_alu instid0(VALU_DEP_1) | instskip(NEXT) | instid1(VALU_DEP_1)
	v_cndmask_b32_e32 v4, v4, v1, vcc_lo
	v_sqrt_f32_e32 v1, v4
	s_waitcnt_depctr 0xfff
	v_add_nc_u32_e32 v2, -1, v1
	v_add_nc_u32_e32 v6, 1, v1
	s_delay_alu instid0(VALU_DEP_2) | instskip(NEXT) | instid1(VALU_DEP_2)
	v_fma_f32 v7, -v2, v1, v4
	v_fma_f32 v8, -v6, v1, v4
	s_delay_alu instid0(VALU_DEP_2) | instskip(NEXT) | instid1(VALU_DEP_1)
	v_cmp_ge_f32_e64 s0, 0, v7
	v_cndmask_b32_e64 v1, v1, v2, s0
	s_delay_alu instid0(VALU_DEP_3) | instskip(NEXT) | instid1(VALU_DEP_1)
	v_cmp_lt_f32_e64 s0, 0, v8
	v_cndmask_b32_e64 v2, v1, v6, s0
	v_add_nc_u32_e32 v1, s12, v0
	v_add_nc_u32_e32 v0, 0x100, v0
	s_delay_alu instid0(VALU_DEP_3) | instskip(NEXT) | instid1(VALU_DEP_1)
	v_mul_f32_e32 v6, 0x37800000, v2
	v_cndmask_b32_e32 v6, v2, v6, vcc_lo
	v_mov_b32_e32 v2, 0
	v_cmp_class_f32_e64 vcc_lo, v4, 0x260
	s_delay_alu instid0(VALU_DEP_2) | instskip(NEXT) | instid1(VALU_DEP_4)
	v_lshlrev_b64 v[1:2], 1, v[1:2]
	v_cndmask_b32_e32 v4, v6, v4, vcc_lo
	s_delay_alu instid0(VALU_DEP_1) | instskip(NEXT) | instid1(VALU_DEP_3)
	v_cvt_f16_f32_e32 v4, v4
	v_add_co_u32 v1, vcc_lo, s8, v1
	s_delay_alu instid0(VALU_DEP_4) | instskip(SKIP_2) | instid1(SALU_CYCLE_1)
	v_add_co_ci_u32_e32 v2, vcc_lo, s9, v2, vcc_lo
	global_store_b16 v[1:2], v4, off
	s_or_b32 exec_lo, exec_lo, s1
	s_mov_b32 s1, exec_lo
	v_cmpx_gt_i32_e64 s16, v0
	s_cbranch_execz .LBB261_24
.LBB261_35:
	v_mul_f32_e32 v1, 0x4f800000, v5
	v_cmp_gt_f32_e32 vcc_lo, 0xf800000, v5
	s_delay_alu instid0(VALU_DEP_2) | instskip(NEXT) | instid1(VALU_DEP_1)
	v_cndmask_b32_e32 v4, v5, v1, vcc_lo
	v_sqrt_f32_e32 v1, v4
	s_waitcnt_depctr 0xfff
	v_add_nc_u32_e32 v2, -1, v1
	v_add_nc_u32_e32 v5, 1, v1
	s_delay_alu instid0(VALU_DEP_2) | instskip(NEXT) | instid1(VALU_DEP_2)
	v_fma_f32 v6, -v2, v1, v4
	v_fma_f32 v7, -v5, v1, v4
	s_delay_alu instid0(VALU_DEP_2) | instskip(NEXT) | instid1(VALU_DEP_1)
	v_cmp_ge_f32_e64 s0, 0, v6
	v_cndmask_b32_e64 v1, v1, v2, s0
	s_delay_alu instid0(VALU_DEP_3) | instskip(NEXT) | instid1(VALU_DEP_1)
	v_cmp_lt_f32_e64 s0, 0, v7
	v_cndmask_b32_e64 v2, v1, v5, s0
	v_add_nc_u32_e32 v1, s12, v0
	v_add_nc_u32_e32 v0, 0x100, v0
	s_delay_alu instid0(VALU_DEP_3) | instskip(NEXT) | instid1(VALU_DEP_1)
	v_mul_f32_e32 v5, 0x37800000, v2
	v_dual_cndmask_b32 v5, v2, v5 :: v_dual_mov_b32 v2, 0
	v_cmp_class_f32_e64 vcc_lo, v4, 0x260
	s_delay_alu instid0(VALU_DEP_2) | instskip(NEXT) | instid1(VALU_DEP_3)
	v_lshlrev_b64 v[1:2], 1, v[1:2]
	v_cndmask_b32_e32 v4, v5, v4, vcc_lo
	s_delay_alu instid0(VALU_DEP_1) | instskip(NEXT) | instid1(VALU_DEP_3)
	v_cvt_f16_f32_e32 v4, v4
	v_add_co_u32 v1, vcc_lo, s8, v1
	s_delay_alu instid0(VALU_DEP_4) | instskip(SKIP_2) | instid1(SALU_CYCLE_1)
	v_add_co_ci_u32_e32 v2, vcc_lo, s9, v2, vcc_lo
	global_store_b16 v[1:2], v4, off
	s_or_b32 exec_lo, exec_lo, s1
	s_mov_b32 s0, exec_lo
	v_cmpx_gt_i32_e64 s16, v0
	s_cbranch_execnz .LBB261_25
	s_branch .LBB261_26
	.section	.rodata,"a",@progbits
	.p2align	6, 0x0
	.amdhsa_kernel _ZN2at6native29vectorized_elementwise_kernelILi2EZZZNS0_16sqrt_kernel_cudaERNS_18TensorIteratorBaseEENKUlvE0_clEvENKUlvE1_clEvEUlN3c104HalfEE_St5arrayIPcLm2EEEEviT0_T1_
		.amdhsa_group_segment_fixed_size 0
		.amdhsa_private_segment_fixed_size 0
		.amdhsa_kernarg_size 24
		.amdhsa_user_sgpr_count 15
		.amdhsa_user_sgpr_dispatch_ptr 0
		.amdhsa_user_sgpr_queue_ptr 0
		.amdhsa_user_sgpr_kernarg_segment_ptr 1
		.amdhsa_user_sgpr_dispatch_id 0
		.amdhsa_user_sgpr_private_segment_size 0
		.amdhsa_wavefront_size32 1
		.amdhsa_uses_dynamic_stack 0
		.amdhsa_enable_private_segment 0
		.amdhsa_system_sgpr_workgroup_id_x 1
		.amdhsa_system_sgpr_workgroup_id_y 0
		.amdhsa_system_sgpr_workgroup_id_z 0
		.amdhsa_system_sgpr_workgroup_info 0
		.amdhsa_system_vgpr_workitem_id 0
		.amdhsa_next_free_vgpr 31
		.amdhsa_next_free_sgpr 17
		.amdhsa_reserve_vcc 1
		.amdhsa_float_round_mode_32 0
		.amdhsa_float_round_mode_16_64 0
		.amdhsa_float_denorm_mode_32 3
		.amdhsa_float_denorm_mode_16_64 3
		.amdhsa_dx10_clamp 1
		.amdhsa_ieee_mode 1
		.amdhsa_fp16_overflow 0
		.amdhsa_workgroup_processor_mode 1
		.amdhsa_memory_ordered 1
		.amdhsa_forward_progress 0
		.amdhsa_shared_vgpr_count 0
		.amdhsa_exception_fp_ieee_invalid_op 0
		.amdhsa_exception_fp_denorm_src 0
		.amdhsa_exception_fp_ieee_div_zero 0
		.amdhsa_exception_fp_ieee_overflow 0
		.amdhsa_exception_fp_ieee_underflow 0
		.amdhsa_exception_fp_ieee_inexact 0
		.amdhsa_exception_int_div_zero 0
	.end_amdhsa_kernel
	.section	.text._ZN2at6native29vectorized_elementwise_kernelILi2EZZZNS0_16sqrt_kernel_cudaERNS_18TensorIteratorBaseEENKUlvE0_clEvENKUlvE1_clEvEUlN3c104HalfEE_St5arrayIPcLm2EEEEviT0_T1_,"axG",@progbits,_ZN2at6native29vectorized_elementwise_kernelILi2EZZZNS0_16sqrt_kernel_cudaERNS_18TensorIteratorBaseEENKUlvE0_clEvENKUlvE1_clEvEUlN3c104HalfEE_St5arrayIPcLm2EEEEviT0_T1_,comdat
.Lfunc_end261:
	.size	_ZN2at6native29vectorized_elementwise_kernelILi2EZZZNS0_16sqrt_kernel_cudaERNS_18TensorIteratorBaseEENKUlvE0_clEvENKUlvE1_clEvEUlN3c104HalfEE_St5arrayIPcLm2EEEEviT0_T1_, .Lfunc_end261-_ZN2at6native29vectorized_elementwise_kernelILi2EZZZNS0_16sqrt_kernel_cudaERNS_18TensorIteratorBaseEENKUlvE0_clEvENKUlvE1_clEvEUlN3c104HalfEE_St5arrayIPcLm2EEEEviT0_T1_
                                        ; -- End function
	.section	.AMDGPU.csdata,"",@progbits
; Kernel info:
; codeLenInByte = 3808
; NumSgprs: 19
; NumVgprs: 31
; ScratchSize: 0
; MemoryBound: 0
; FloatMode: 240
; IeeeMode: 1
; LDSByteSize: 0 bytes/workgroup (compile time only)
; SGPRBlocks: 2
; VGPRBlocks: 3
; NumSGPRsForWavesPerEU: 19
; NumVGPRsForWavesPerEU: 31
; Occupancy: 16
; WaveLimiterHint : 1
; COMPUTE_PGM_RSRC2:SCRATCH_EN: 0
; COMPUTE_PGM_RSRC2:USER_SGPR: 15
; COMPUTE_PGM_RSRC2:TRAP_HANDLER: 0
; COMPUTE_PGM_RSRC2:TGID_X_EN: 1
; COMPUTE_PGM_RSRC2:TGID_Y_EN: 0
; COMPUTE_PGM_RSRC2:TGID_Z_EN: 0
; COMPUTE_PGM_RSRC2:TIDIG_COMP_CNT: 0
	.section	.text._ZN2at6native27unrolled_elementwise_kernelIZZZNS0_16sqrt_kernel_cudaERNS_18TensorIteratorBaseEENKUlvE0_clEvENKUlvE1_clEvEUlN3c104HalfEE_St5arrayIPcLm2EELi4E23TrivialOffsetCalculatorILi1EjESD_NS0_6memory15LoadWithoutCastENSE_16StoreWithoutCastEEEviT_T0_T2_T3_T4_T5_,"axG",@progbits,_ZN2at6native27unrolled_elementwise_kernelIZZZNS0_16sqrt_kernel_cudaERNS_18TensorIteratorBaseEENKUlvE0_clEvENKUlvE1_clEvEUlN3c104HalfEE_St5arrayIPcLm2EELi4E23TrivialOffsetCalculatorILi1EjESD_NS0_6memory15LoadWithoutCastENSE_16StoreWithoutCastEEEviT_T0_T2_T3_T4_T5_,comdat
	.globl	_ZN2at6native27unrolled_elementwise_kernelIZZZNS0_16sqrt_kernel_cudaERNS_18TensorIteratorBaseEENKUlvE0_clEvENKUlvE1_clEvEUlN3c104HalfEE_St5arrayIPcLm2EELi4E23TrivialOffsetCalculatorILi1EjESD_NS0_6memory15LoadWithoutCastENSE_16StoreWithoutCastEEEviT_T0_T2_T3_T4_T5_ ; -- Begin function _ZN2at6native27unrolled_elementwise_kernelIZZZNS0_16sqrt_kernel_cudaERNS_18TensorIteratorBaseEENKUlvE0_clEvENKUlvE1_clEvEUlN3c104HalfEE_St5arrayIPcLm2EELi4E23TrivialOffsetCalculatorILi1EjESD_NS0_6memory15LoadWithoutCastENSE_16StoreWithoutCastEEEviT_T0_T2_T3_T4_T5_
	.p2align	8
	.type	_ZN2at6native27unrolled_elementwise_kernelIZZZNS0_16sqrt_kernel_cudaERNS_18TensorIteratorBaseEENKUlvE0_clEvENKUlvE1_clEvEUlN3c104HalfEE_St5arrayIPcLm2EELi4E23TrivialOffsetCalculatorILi1EjESD_NS0_6memory15LoadWithoutCastENSE_16StoreWithoutCastEEEviT_T0_T2_T3_T4_T5_,@function
_ZN2at6native27unrolled_elementwise_kernelIZZZNS0_16sqrt_kernel_cudaERNS_18TensorIteratorBaseEENKUlvE0_clEvENKUlvE1_clEvEUlN3c104HalfEE_St5arrayIPcLm2EELi4E23TrivialOffsetCalculatorILi1EjESD_NS0_6memory15LoadWithoutCastENSE_16StoreWithoutCastEEEviT_T0_T2_T3_T4_T5_: ; @_ZN2at6native27unrolled_elementwise_kernelIZZZNS0_16sqrt_kernel_cudaERNS_18TensorIteratorBaseEENKUlvE0_clEvENKUlvE1_clEvEUlN3c104HalfEE_St5arrayIPcLm2EELi4E23TrivialOffsetCalculatorILi1EjESD_NS0_6memory15LoadWithoutCastENSE_16StoreWithoutCastEEEviT_T0_T2_T3_T4_T5_
; %bb.0:
	s_clause 0x1
	s_load_b32 s2, s[0:1], 0x0
	s_load_b128 s[4:7], s[0:1], 0x8
	s_lshl_b32 s1, s15, 10
	v_dual_mov_b32 v4, 0 :: v_dual_mov_b32 v7, v0
	v_mov_b32_e32 v2, 0
	v_or_b32_e32 v1, s1, v0
	v_or_b32_e32 v5, 0x100, v0
	s_waitcnt lgkmcnt(0)
	s_sub_i32 s2, s2, s1
	s_delay_alu instid0(SALU_CYCLE_1)
	v_cmp_gt_i32_e32 vcc_lo, s2, v0
	s_and_saveexec_b32 s3, vcc_lo
	s_cbranch_execz .LBB262_2
; %bb.1:
	v_mov_b32_e32 v2, 0
	v_or_b32_e32 v7, 0x100, v0
	s_delay_alu instid0(VALU_DEP_2) | instskip(NEXT) | instid1(VALU_DEP_1)
	v_lshlrev_b64 v[2:3], 1, v[1:2]
	v_add_co_u32 v2, s0, s6, v2
	s_delay_alu instid0(VALU_DEP_1)
	v_add_co_ci_u32_e64 v3, s0, s7, v3, s0
	global_load_u16 v2, v[2:3], off
	s_waitcnt vmcnt(0)
	v_cvt_f32_f16_e32 v2, v2
.LBB262_2:
	s_or_b32 exec_lo, exec_lo, s3
	s_delay_alu instid0(SALU_CYCLE_1)
	s_mov_b32 s3, exec_lo
	v_cmpx_gt_i32_e64 s2, v7
	s_cbranch_execz .LBB262_4
; %bb.3:
	v_dual_mov_b32 v4, 0 :: v_dual_add_nc_u32 v3, s1, v7
	v_add_nc_u32_e32 v7, 0x100, v7
	s_delay_alu instid0(VALU_DEP_2) | instskip(NEXT) | instid1(VALU_DEP_1)
	v_lshlrev_b64 v[3:4], 1, v[3:4]
	v_add_co_u32 v3, s0, s6, v3
	s_delay_alu instid0(VALU_DEP_1)
	v_add_co_ci_u32_e64 v4, s0, s7, v4, s0
	global_load_u16 v3, v[3:4], off
	s_waitcnt vmcnt(0)
	v_cvt_f32_f16_e32 v4, v3
.LBB262_4:
	s_or_b32 exec_lo, exec_lo, s3
	v_dual_mov_b32 v3, 0 :: v_dual_mov_b32 v6, 0
	s_mov_b32 s3, exec_lo
	v_cmpx_gt_i32_e64 s2, v7
	s_cbranch_execnz .LBB262_11
; %bb.5:
	s_or_b32 exec_lo, exec_lo, s3
	s_delay_alu instid0(SALU_CYCLE_1)
	s_mov_b32 s3, exec_lo
	v_cmpx_gt_i32_e64 s2, v7
	s_cbranch_execnz .LBB262_12
.LBB262_6:
	s_or_b32 exec_lo, exec_lo, s3
	s_and_saveexec_b32 s3, vcc_lo
	s_cbranch_execnz .LBB262_13
.LBB262_7:
	s_or_b32 exec_lo, exec_lo, s3
	s_delay_alu instid0(SALU_CYCLE_1)
	s_mov_b32 s3, exec_lo
	v_cmpx_gt_i32_e64 s2, v0
	s_cbranch_execnz .LBB262_14
.LBB262_8:
	s_or_b32 exec_lo, exec_lo, s3
	s_delay_alu instid0(SALU_CYCLE_1)
	s_mov_b32 s3, exec_lo
	v_cmpx_gt_i32_e64 s2, v0
	s_cbranch_execnz .LBB262_15
.LBB262_9:
	s_or_b32 exec_lo, exec_lo, s3
	s_delay_alu instid0(SALU_CYCLE_1)
	s_mov_b32 s0, exec_lo
	v_cmpx_gt_i32_e64 s2, v0
	s_cbranch_execnz .LBB262_16
.LBB262_10:
	s_nop 0
	s_sendmsg sendmsg(MSG_DEALLOC_VGPRS)
	s_endpgm
.LBB262_11:
	v_dual_mov_b32 v9, 0 :: v_dual_add_nc_u32 v8, s1, v7
	v_add_nc_u32_e32 v7, 0x100, v7
	s_delay_alu instid0(VALU_DEP_2) | instskip(NEXT) | instid1(VALU_DEP_1)
	v_lshlrev_b64 v[8:9], 1, v[8:9]
	v_add_co_u32 v8, s0, s6, v8
	s_delay_alu instid0(VALU_DEP_1) | instskip(SKIP_4) | instid1(SALU_CYCLE_1)
	v_add_co_ci_u32_e64 v9, s0, s7, v9, s0
	global_load_u16 v6, v[8:9], off
	s_waitcnt vmcnt(0)
	v_cvt_f32_f16_e32 v6, v6
	s_or_b32 exec_lo, exec_lo, s3
	s_mov_b32 s3, exec_lo
	v_cmpx_gt_i32_e64 s2, v7
	s_cbranch_execz .LBB262_6
.LBB262_12:
	v_dual_mov_b32 v8, 0 :: v_dual_add_nc_u32 v7, s1, v7
	s_delay_alu instid0(VALU_DEP_1) | instskip(NEXT) | instid1(VALU_DEP_1)
	v_lshlrev_b64 v[7:8], 1, v[7:8]
	v_add_co_u32 v7, s0, s6, v7
	s_delay_alu instid0(VALU_DEP_1)
	v_add_co_ci_u32_e64 v8, s0, s7, v8, s0
	global_load_u16 v3, v[7:8], off
	s_waitcnt vmcnt(0)
	v_cvt_f32_f16_e32 v3, v3
	s_or_b32 exec_lo, exec_lo, s3
	s_and_saveexec_b32 s3, vcc_lo
	s_cbranch_execz .LBB262_7
.LBB262_13:
	v_mul_f32_e32 v0, 0x4f800000, v2
	v_cmp_gt_f32_e32 vcc_lo, 0xf800000, v2
	s_delay_alu instid0(VALU_DEP_2) | instskip(NEXT) | instid1(VALU_DEP_1)
	v_cndmask_b32_e32 v7, v2, v0, vcc_lo
	v_sqrt_f32_e32 v0, v7
	s_waitcnt_depctr 0xfff
	v_add_nc_u32_e32 v2, -1, v0
	v_add_nc_u32_e32 v8, 1, v0
	s_delay_alu instid0(VALU_DEP_2) | instskip(NEXT) | instid1(VALU_DEP_2)
	v_fma_f32 v9, -v2, v0, v7
	v_fma_f32 v10, -v8, v0, v7
	s_delay_alu instid0(VALU_DEP_2) | instskip(NEXT) | instid1(VALU_DEP_1)
	v_cmp_ge_f32_e64 s0, 0, v9
	v_cndmask_b32_e64 v0, v0, v2, s0
	v_mov_b32_e32 v2, 0
	s_delay_alu instid0(VALU_DEP_4) | instskip(NEXT) | instid1(VALU_DEP_1)
	v_cmp_lt_f32_e64 s0, 0, v10
	v_cndmask_b32_e64 v0, v0, v8, s0
	s_delay_alu instid0(VALU_DEP_1) | instskip(NEXT) | instid1(VALU_DEP_1)
	v_mul_f32_e32 v8, 0x37800000, v0
	v_cndmask_b32_e32 v8, v0, v8, vcc_lo
	v_cmp_class_f32_e64 vcc_lo, v7, 0x260
	v_lshlrev_b64 v[0:1], 1, v[1:2]
	s_delay_alu instid0(VALU_DEP_3) | instskip(NEXT) | instid1(VALU_DEP_2)
	v_cndmask_b32_e32 v2, v8, v7, vcc_lo
	v_add_co_u32 v7, vcc_lo, s4, v0
	s_delay_alu instid0(VALU_DEP_3) | instskip(NEXT) | instid1(VALU_DEP_3)
	v_add_co_ci_u32_e32 v8, vcc_lo, s5, v1, vcc_lo
	v_cvt_f16_f32_e32 v1, v2
	v_mov_b32_e32 v0, v5
	global_store_b16 v[7:8], v1, off
	s_or_b32 exec_lo, exec_lo, s3
	s_delay_alu instid0(SALU_CYCLE_1)
	s_mov_b32 s3, exec_lo
	v_cmpx_gt_i32_e64 s2, v0
	s_cbranch_execz .LBB262_8
.LBB262_14:
	v_mul_f32_e32 v1, 0x4f800000, v4
	v_cmp_gt_f32_e32 vcc_lo, 0xf800000, v4
	s_delay_alu instid0(VALU_DEP_2) | instskip(NEXT) | instid1(VALU_DEP_1)
	v_cndmask_b32_e32 v4, v4, v1, vcc_lo
	v_sqrt_f32_e32 v1, v4
	s_waitcnt_depctr 0xfff
	v_add_nc_u32_e32 v2, -1, v1
	v_add_nc_u32_e32 v5, 1, v1
	s_delay_alu instid0(VALU_DEP_2) | instskip(NEXT) | instid1(VALU_DEP_2)
	v_fma_f32 v7, -v2, v1, v4
	v_fma_f32 v8, -v5, v1, v4
	s_delay_alu instid0(VALU_DEP_2) | instskip(NEXT) | instid1(VALU_DEP_1)
	v_cmp_ge_f32_e64 s0, 0, v7
	v_cndmask_b32_e64 v1, v1, v2, s0
	s_delay_alu instid0(VALU_DEP_3) | instskip(NEXT) | instid1(VALU_DEP_1)
	v_cmp_lt_f32_e64 s0, 0, v8
	v_cndmask_b32_e64 v2, v1, v5, s0
	v_add_nc_u32_e32 v1, s1, v0
	v_add_nc_u32_e32 v0, 0x100, v0
	s_delay_alu instid0(VALU_DEP_3) | instskip(NEXT) | instid1(VALU_DEP_1)
	v_mul_f32_e32 v5, 0x37800000, v2
	v_dual_cndmask_b32 v5, v2, v5 :: v_dual_mov_b32 v2, 0
	v_cmp_class_f32_e64 vcc_lo, v4, 0x260
	s_delay_alu instid0(VALU_DEP_2) | instskip(NEXT) | instid1(VALU_DEP_3)
	v_lshlrev_b64 v[1:2], 1, v[1:2]
	v_cndmask_b32_e32 v4, v5, v4, vcc_lo
	s_delay_alu instid0(VALU_DEP_1) | instskip(NEXT) | instid1(VALU_DEP_3)
	v_cvt_f16_f32_e32 v4, v4
	v_add_co_u32 v1, vcc_lo, s4, v1
	s_delay_alu instid0(VALU_DEP_4) | instskip(SKIP_2) | instid1(SALU_CYCLE_1)
	v_add_co_ci_u32_e32 v2, vcc_lo, s5, v2, vcc_lo
	global_store_b16 v[1:2], v4, off
	s_or_b32 exec_lo, exec_lo, s3
	s_mov_b32 s3, exec_lo
	v_cmpx_gt_i32_e64 s2, v0
	s_cbranch_execz .LBB262_9
.LBB262_15:
	v_mul_f32_e32 v1, 0x4f800000, v6
	v_cmp_gt_f32_e32 vcc_lo, 0xf800000, v6
	s_delay_alu instid0(VALU_DEP_2) | instskip(NEXT) | instid1(VALU_DEP_1)
	v_cndmask_b32_e32 v4, v6, v1, vcc_lo
	v_sqrt_f32_e32 v1, v4
	s_waitcnt_depctr 0xfff
	v_add_nc_u32_e32 v2, -1, v1
	v_add_nc_u32_e32 v5, 1, v1
	s_delay_alu instid0(VALU_DEP_2) | instskip(NEXT) | instid1(VALU_DEP_2)
	v_fma_f32 v6, -v2, v1, v4
	v_fma_f32 v7, -v5, v1, v4
	s_delay_alu instid0(VALU_DEP_2) | instskip(NEXT) | instid1(VALU_DEP_1)
	v_cmp_ge_f32_e64 s0, 0, v6
	v_cndmask_b32_e64 v1, v1, v2, s0
	s_delay_alu instid0(VALU_DEP_3) | instskip(NEXT) | instid1(VALU_DEP_1)
	v_cmp_lt_f32_e64 s0, 0, v7
	v_cndmask_b32_e64 v2, v1, v5, s0
	v_add_nc_u32_e32 v1, s1, v0
	v_add_nc_u32_e32 v0, 0x100, v0
	s_delay_alu instid0(VALU_DEP_3) | instskip(NEXT) | instid1(VALU_DEP_1)
	v_mul_f32_e32 v5, 0x37800000, v2
	v_dual_cndmask_b32 v5, v2, v5 :: v_dual_mov_b32 v2, 0
	v_cmp_class_f32_e64 vcc_lo, v4, 0x260
	s_delay_alu instid0(VALU_DEP_2) | instskip(NEXT) | instid1(VALU_DEP_3)
	v_lshlrev_b64 v[1:2], 1, v[1:2]
	v_cndmask_b32_e32 v4, v5, v4, vcc_lo
	s_delay_alu instid0(VALU_DEP_1) | instskip(NEXT) | instid1(VALU_DEP_3)
	v_cvt_f16_f32_e32 v4, v4
	v_add_co_u32 v1, vcc_lo, s4, v1
	s_delay_alu instid0(VALU_DEP_4) | instskip(SKIP_2) | instid1(SALU_CYCLE_1)
	v_add_co_ci_u32_e32 v2, vcc_lo, s5, v2, vcc_lo
	global_store_b16 v[1:2], v4, off
	s_or_b32 exec_lo, exec_lo, s3
	s_mov_b32 s0, exec_lo
	v_cmpx_gt_i32_e64 s2, v0
	s_cbranch_execz .LBB262_10
.LBB262_16:
	v_dual_mul_f32 v1, 0x4f800000, v3 :: v_dual_add_nc_u32 v0, s1, v0
	v_cmp_gt_f32_e32 vcc_lo, 0xf800000, v3
	s_delay_alu instid0(VALU_DEP_2) | instskip(NEXT) | instid1(VALU_DEP_1)
	v_cndmask_b32_e32 v2, v3, v1, vcc_lo
	v_sqrt_f32_e32 v1, v2
	s_waitcnt_depctr 0xfff
	v_add_nc_u32_e32 v3, -1, v1
	v_add_nc_u32_e32 v4, 1, v1
	s_delay_alu instid0(VALU_DEP_2) | instskip(NEXT) | instid1(VALU_DEP_2)
	v_fma_f32 v5, -v3, v1, v2
	v_fma_f32 v6, -v4, v1, v2
	s_delay_alu instid0(VALU_DEP_2) | instskip(NEXT) | instid1(VALU_DEP_1)
	v_cmp_ge_f32_e64 s0, 0, v5
	v_cndmask_b32_e64 v1, v1, v3, s0
	s_delay_alu instid0(VALU_DEP_3) | instskip(NEXT) | instid1(VALU_DEP_1)
	v_cmp_lt_f32_e64 s0, 0, v6
	v_cndmask_b32_e64 v1, v1, v4, s0
	s_delay_alu instid0(VALU_DEP_1) | instskip(NEXT) | instid1(VALU_DEP_1)
	v_mul_f32_e32 v3, 0x37800000, v1
	v_cndmask_b32_e32 v3, v1, v3, vcc_lo
	v_mov_b32_e32 v1, 0
	v_cmp_class_f32_e64 vcc_lo, v2, 0x260
	s_delay_alu instid0(VALU_DEP_2) | instskip(NEXT) | instid1(VALU_DEP_4)
	v_lshlrev_b64 v[0:1], 1, v[0:1]
	v_cndmask_b32_e32 v2, v3, v2, vcc_lo
	s_delay_alu instid0(VALU_DEP_2) | instskip(NEXT) | instid1(VALU_DEP_2)
	v_add_co_u32 v0, vcc_lo, s4, v0
	v_cvt_f16_f32_e32 v2, v2
	s_delay_alu instid0(VALU_DEP_4)
	v_add_co_ci_u32_e32 v1, vcc_lo, s5, v1, vcc_lo
	global_store_b16 v[0:1], v2, off
	s_nop 0
	s_sendmsg sendmsg(MSG_DEALLOC_VGPRS)
	s_endpgm
	.section	.rodata,"a",@progbits
	.p2align	6, 0x0
	.amdhsa_kernel _ZN2at6native27unrolled_elementwise_kernelIZZZNS0_16sqrt_kernel_cudaERNS_18TensorIteratorBaseEENKUlvE0_clEvENKUlvE1_clEvEUlN3c104HalfEE_St5arrayIPcLm2EELi4E23TrivialOffsetCalculatorILi1EjESD_NS0_6memory15LoadWithoutCastENSE_16StoreWithoutCastEEEviT_T0_T2_T3_T4_T5_
		.amdhsa_group_segment_fixed_size 0
		.amdhsa_private_segment_fixed_size 0
		.amdhsa_kernarg_size 28
		.amdhsa_user_sgpr_count 15
		.amdhsa_user_sgpr_dispatch_ptr 0
		.amdhsa_user_sgpr_queue_ptr 0
		.amdhsa_user_sgpr_kernarg_segment_ptr 1
		.amdhsa_user_sgpr_dispatch_id 0
		.amdhsa_user_sgpr_private_segment_size 0
		.amdhsa_wavefront_size32 1
		.amdhsa_uses_dynamic_stack 0
		.amdhsa_enable_private_segment 0
		.amdhsa_system_sgpr_workgroup_id_x 1
		.amdhsa_system_sgpr_workgroup_id_y 0
		.amdhsa_system_sgpr_workgroup_id_z 0
		.amdhsa_system_sgpr_workgroup_info 0
		.amdhsa_system_vgpr_workitem_id 0
		.amdhsa_next_free_vgpr 11
		.amdhsa_next_free_sgpr 16
		.amdhsa_reserve_vcc 1
		.amdhsa_float_round_mode_32 0
		.amdhsa_float_round_mode_16_64 0
		.amdhsa_float_denorm_mode_32 3
		.amdhsa_float_denorm_mode_16_64 3
		.amdhsa_dx10_clamp 1
		.amdhsa_ieee_mode 1
		.amdhsa_fp16_overflow 0
		.amdhsa_workgroup_processor_mode 1
		.amdhsa_memory_ordered 1
		.amdhsa_forward_progress 0
		.amdhsa_shared_vgpr_count 0
		.amdhsa_exception_fp_ieee_invalid_op 0
		.amdhsa_exception_fp_denorm_src 0
		.amdhsa_exception_fp_ieee_div_zero 0
		.amdhsa_exception_fp_ieee_overflow 0
		.amdhsa_exception_fp_ieee_underflow 0
		.amdhsa_exception_fp_ieee_inexact 0
		.amdhsa_exception_int_div_zero 0
	.end_amdhsa_kernel
	.section	.text._ZN2at6native27unrolled_elementwise_kernelIZZZNS0_16sqrt_kernel_cudaERNS_18TensorIteratorBaseEENKUlvE0_clEvENKUlvE1_clEvEUlN3c104HalfEE_St5arrayIPcLm2EELi4E23TrivialOffsetCalculatorILi1EjESD_NS0_6memory15LoadWithoutCastENSE_16StoreWithoutCastEEEviT_T0_T2_T3_T4_T5_,"axG",@progbits,_ZN2at6native27unrolled_elementwise_kernelIZZZNS0_16sqrt_kernel_cudaERNS_18TensorIteratorBaseEENKUlvE0_clEvENKUlvE1_clEvEUlN3c104HalfEE_St5arrayIPcLm2EELi4E23TrivialOffsetCalculatorILi1EjESD_NS0_6memory15LoadWithoutCastENSE_16StoreWithoutCastEEEviT_T0_T2_T3_T4_T5_,comdat
.Lfunc_end262:
	.size	_ZN2at6native27unrolled_elementwise_kernelIZZZNS0_16sqrt_kernel_cudaERNS_18TensorIteratorBaseEENKUlvE0_clEvENKUlvE1_clEvEUlN3c104HalfEE_St5arrayIPcLm2EELi4E23TrivialOffsetCalculatorILi1EjESD_NS0_6memory15LoadWithoutCastENSE_16StoreWithoutCastEEEviT_T0_T2_T3_T4_T5_, .Lfunc_end262-_ZN2at6native27unrolled_elementwise_kernelIZZZNS0_16sqrt_kernel_cudaERNS_18TensorIteratorBaseEENKUlvE0_clEvENKUlvE1_clEvEUlN3c104HalfEE_St5arrayIPcLm2EELi4E23TrivialOffsetCalculatorILi1EjESD_NS0_6memory15LoadWithoutCastENSE_16StoreWithoutCastEEEviT_T0_T2_T3_T4_T5_
                                        ; -- End function
	.section	.AMDGPU.csdata,"",@progbits
; Kernel info:
; codeLenInByte = 1344
; NumSgprs: 18
; NumVgprs: 11
; ScratchSize: 0
; MemoryBound: 0
; FloatMode: 240
; IeeeMode: 1
; LDSByteSize: 0 bytes/workgroup (compile time only)
; SGPRBlocks: 2
; VGPRBlocks: 1
; NumSGPRsForWavesPerEU: 18
; NumVGPRsForWavesPerEU: 11
; Occupancy: 16
; WaveLimiterHint : 0
; COMPUTE_PGM_RSRC2:SCRATCH_EN: 0
; COMPUTE_PGM_RSRC2:USER_SGPR: 15
; COMPUTE_PGM_RSRC2:TRAP_HANDLER: 0
; COMPUTE_PGM_RSRC2:TGID_X_EN: 1
; COMPUTE_PGM_RSRC2:TGID_Y_EN: 0
; COMPUTE_PGM_RSRC2:TGID_Z_EN: 0
; COMPUTE_PGM_RSRC2:TIDIG_COMP_CNT: 0
	.section	.text._ZN2at6native32elementwise_kernel_manual_unrollILi128ELi8EZNS0_22gpu_kernel_impl_nocastIZZZNS0_16sqrt_kernel_cudaERNS_18TensorIteratorBaseEENKUlvE0_clEvENKUlvE1_clEvEUlN3c104HalfEE_EEvS4_RKT_EUlibE_EEviT1_,"axG",@progbits,_ZN2at6native32elementwise_kernel_manual_unrollILi128ELi8EZNS0_22gpu_kernel_impl_nocastIZZZNS0_16sqrt_kernel_cudaERNS_18TensorIteratorBaseEENKUlvE0_clEvENKUlvE1_clEvEUlN3c104HalfEE_EEvS4_RKT_EUlibE_EEviT1_,comdat
	.globl	_ZN2at6native32elementwise_kernel_manual_unrollILi128ELi8EZNS0_22gpu_kernel_impl_nocastIZZZNS0_16sqrt_kernel_cudaERNS_18TensorIteratorBaseEENKUlvE0_clEvENKUlvE1_clEvEUlN3c104HalfEE_EEvS4_RKT_EUlibE_EEviT1_ ; -- Begin function _ZN2at6native32elementwise_kernel_manual_unrollILi128ELi8EZNS0_22gpu_kernel_impl_nocastIZZZNS0_16sqrt_kernel_cudaERNS_18TensorIteratorBaseEENKUlvE0_clEvENKUlvE1_clEvEUlN3c104HalfEE_EEvS4_RKT_EUlibE_EEviT1_
	.p2align	8
	.type	_ZN2at6native32elementwise_kernel_manual_unrollILi128ELi8EZNS0_22gpu_kernel_impl_nocastIZZZNS0_16sqrt_kernel_cudaERNS_18TensorIteratorBaseEENKUlvE0_clEvENKUlvE1_clEvEUlN3c104HalfEE_EEvS4_RKT_EUlibE_EEviT1_,@function
_ZN2at6native32elementwise_kernel_manual_unrollILi128ELi8EZNS0_22gpu_kernel_impl_nocastIZZZNS0_16sqrt_kernel_cudaERNS_18TensorIteratorBaseEENKUlvE0_clEvENKUlvE1_clEvEUlN3c104HalfEE_EEvS4_RKT_EUlibE_EEviT1_: ; @_ZN2at6native32elementwise_kernel_manual_unrollILi128ELi8EZNS0_22gpu_kernel_impl_nocastIZZZNS0_16sqrt_kernel_cudaERNS_18TensorIteratorBaseEENKUlvE0_clEvENKUlvE1_clEvEUlN3c104HalfEE_EEvS4_RKT_EUlibE_EEviT1_
; %bb.0:
	s_clause 0x1
	s_load_b32 s22, s[0:1], 0x8
	s_load_b32 s27, s[0:1], 0x0
	v_lshl_or_b32 v12, s15, 10, v0
	s_or_b32 s0, s0, 8
	s_mov_b32 s2, exec_lo
	s_delay_alu instid0(VALU_DEP_1) | instskip(SKIP_2) | instid1(SALU_CYCLE_1)
	v_or_b32_e32 v16, 0x380, v12
	s_waitcnt lgkmcnt(0)
	s_add_i32 s23, s22, -1
	s_cmp_gt_u32 s23, 1
	s_cselect_b32 s24, -1, 0
	v_cmpx_le_i32_e64 s27, v16
	s_xor_b32 s25, exec_lo, s2
	s_cbranch_execz .LBB263_7
; %bb.1:
	s_clause 0x3
	s_load_b128 s[12:15], s[0:1], 0x4
	s_load_b64 s[2:3], s[0:1], 0x14
	s_load_b128 s[8:11], s[0:1], 0xc4
	s_load_b128 s[4:7], s[0:1], 0x148
	s_cmp_lg_u32 s22, 0
	s_mov_b32 s30, exec_lo
	s_cselect_b32 s29, -1, 0
	s_add_u32 s16, s0, 0xc4
	s_addc_u32 s17, s1, 0
	s_min_u32 s28, s23, 15
	s_cmp_gt_u32 s22, 1
	s_cselect_b32 s26, -1, 0
	v_cmpx_gt_i32_e64 s27, v12
	s_cbranch_execz .LBB263_14
; %bb.2:
	s_and_not1_b32 vcc_lo, exec_lo, s24
	s_cbranch_vccnz .LBB263_21
; %bb.3:
	v_dual_mov_b32 v0, 0 :: v_dual_mov_b32 v1, 0
	s_and_not1_b32 vcc_lo, exec_lo, s29
	s_mov_b32 s31, 0
	s_cbranch_vccnz .LBB263_125
; %bb.4:
	v_mov_b32_e32 v0, 0
	s_add_i32 s34, s28, 1
	s_cmp_eq_u32 s23, 2
	s_mov_b32 s33, 0
	s_cbranch_scc1 .LBB263_121
; %bb.5:
	v_dual_mov_b32 v1, 0 :: v_dual_mov_b32 v0, 0
	v_mov_b32_e32 v2, v12
	s_and_b32 s33, s34, 28
	s_mov_b32 s35, 0
	s_mov_b64 s[18:19], s[16:17]
	s_mov_b64 s[20:21], s[0:1]
.LBB263_6:                              ; =>This Inner Loop Header: Depth=1
	s_clause 0x1
	s_load_b256 s[36:43], s[20:21], 0x4
	s_load_b128 s[52:55], s[20:21], 0x24
	s_load_b256 s[44:51], s[18:19], 0x0
	s_add_u32 s20, s20, 48
	s_addc_u32 s21, s21, 0
	s_add_i32 s35, s35, 4
	s_add_u32 s18, s18, 32
	s_addc_u32 s19, s19, 0
	s_cmp_lg_u32 s33, s35
	s_waitcnt lgkmcnt(0)
	v_mul_hi_u32 v3, s37, v2
	s_delay_alu instid0(VALU_DEP_1) | instskip(NEXT) | instid1(VALU_DEP_1)
	v_add_nc_u32_e32 v3, v2, v3
	v_lshrrev_b32_e32 v3, s38, v3
	s_delay_alu instid0(VALU_DEP_1) | instskip(SKIP_1) | instid1(VALU_DEP_2)
	v_mul_hi_u32 v4, s40, v3
	v_mul_lo_u32 v6, v3, s36
	v_add_nc_u32_e32 v4, v3, v4
	s_delay_alu instid0(VALU_DEP_2) | instskip(NEXT) | instid1(VALU_DEP_2)
	v_sub_nc_u32_e32 v2, v2, v6
	v_lshrrev_b32_e32 v4, s41, v4
	s_delay_alu instid0(VALU_DEP_2) | instskip(SKIP_1) | instid1(VALU_DEP_3)
	v_mul_lo_u32 v6, v2, s44
	v_mul_lo_u32 v8, v2, s45
	v_mul_hi_u32 v5, s43, v4
	s_delay_alu instid0(VALU_DEP_1) | instskip(NEXT) | instid1(VALU_DEP_1)
	v_add_nc_u32_e32 v5, v4, v5
	v_lshrrev_b32_e32 v5, s52, v5
	s_delay_alu instid0(VALU_DEP_1) | instskip(SKIP_1) | instid1(VALU_DEP_2)
	v_mul_hi_u32 v7, s54, v5
	v_mul_lo_u32 v9, v5, s42
	v_add_nc_u32_e32 v2, v5, v7
	v_mul_lo_u32 v7, v4, s39
	s_delay_alu instid0(VALU_DEP_3) | instskip(NEXT) | instid1(VALU_DEP_3)
	v_sub_nc_u32_e32 v4, v4, v9
	v_lshrrev_b32_e32 v2, s55, v2
	s_delay_alu instid0(VALU_DEP_2) | instskip(SKIP_2) | instid1(VALU_DEP_4)
	v_mul_lo_u32 v9, v4, s48
	v_mul_lo_u32 v4, v4, s49
	v_sub_nc_u32_e32 v3, v3, v7
	v_mul_lo_u32 v10, v2, s53
	s_delay_alu instid0(VALU_DEP_2) | instskip(SKIP_1) | instid1(VALU_DEP_3)
	v_mul_lo_u32 v7, v3, s46
	v_mul_lo_u32 v3, v3, s47
	v_sub_nc_u32_e32 v5, v5, v10
	s_delay_alu instid0(VALU_DEP_3) | instskip(NEXT) | instid1(VALU_DEP_2)
	v_add3_u32 v0, v6, v0, v7
	v_mul_lo_u32 v10, v5, s50
	v_mul_lo_u32 v5, v5, s51
	v_add3_u32 v1, v8, v1, v3
	s_delay_alu instid0(VALU_DEP_3) | instskip(NEXT) | instid1(VALU_DEP_2)
	v_add3_u32 v0, v9, v0, v10
	v_add3_u32 v1, v4, v1, v5
	s_cbranch_scc1 .LBB263_6
	s_branch .LBB263_122
.LBB263_7:
	s_and_not1_saveexec_b32 s2, s25
	s_cbranch_execz .LBB263_206
.LBB263_8:
	v_cndmask_b32_e64 v14, 0, 1, s24
	s_and_not1_b32 vcc_lo, exec_lo, s24
	s_cbranch_vccnz .LBB263_20
; %bb.9:
	v_dual_mov_b32 v0, 0 :: v_dual_mov_b32 v1, 0
	s_cmp_lg_u32 s22, 0
	s_mov_b32 s6, 0
	s_cbranch_scc0 .LBB263_26
; %bb.10:
	s_min_u32 s7, s23, 15
	v_mov_b32_e32 v0, 0
	s_add_i32 s7, s7, 1
	s_cmp_eq_u32 s23, 2
	s_mov_b32 s8, 0
	s_cbranch_scc1 .LBB263_23
; %bb.11:
	v_dual_mov_b32 v1, 0 :: v_dual_mov_b32 v0, 0
	v_mov_b32_e32 v2, v12
	s_add_u32 s2, s0, 0xc4
	s_addc_u32 s3, s1, 0
	s_and_b32 s8, s7, 28
	s_mov_b32 s9, 0
	s_mov_b64 s[4:5], s[0:1]
.LBB263_12:                             ; =>This Inner Loop Header: Depth=1
	s_clause 0x1
	s_load_b256 s[12:19], s[4:5], 0x4
	s_load_b128 s[36:39], s[4:5], 0x24
	s_load_b256 s[24:31], s[2:3], 0x0
	s_add_u32 s4, s4, 48
	s_addc_u32 s5, s5, 0
	s_add_i32 s9, s9, 4
	s_add_u32 s2, s2, 32
	s_addc_u32 s3, s3, 0
	s_cmp_lg_u32 s8, s9
	s_waitcnt lgkmcnt(0)
	v_mul_hi_u32 v3, s13, v2
	s_delay_alu instid0(VALU_DEP_1) | instskip(NEXT) | instid1(VALU_DEP_1)
	v_add_nc_u32_e32 v3, v2, v3
	v_lshrrev_b32_e32 v3, s14, v3
	s_delay_alu instid0(VALU_DEP_1) | instskip(SKIP_1) | instid1(VALU_DEP_2)
	v_mul_hi_u32 v4, s16, v3
	v_mul_lo_u32 v6, v3, s12
	v_add_nc_u32_e32 v4, v3, v4
	s_delay_alu instid0(VALU_DEP_2) | instskip(NEXT) | instid1(VALU_DEP_2)
	v_sub_nc_u32_e32 v2, v2, v6
	v_lshrrev_b32_e32 v4, s17, v4
	s_delay_alu instid0(VALU_DEP_2) | instskip(SKIP_1) | instid1(VALU_DEP_3)
	v_mul_lo_u32 v6, v2, s24
	v_mul_lo_u32 v8, v2, s25
	v_mul_hi_u32 v5, s19, v4
	s_delay_alu instid0(VALU_DEP_1) | instskip(NEXT) | instid1(VALU_DEP_1)
	v_add_nc_u32_e32 v5, v4, v5
	v_lshrrev_b32_e32 v5, s36, v5
	s_delay_alu instid0(VALU_DEP_1) | instskip(SKIP_1) | instid1(VALU_DEP_2)
	v_mul_hi_u32 v7, s38, v5
	v_mul_lo_u32 v9, v5, s18
	v_add_nc_u32_e32 v2, v5, v7
	v_mul_lo_u32 v7, v4, s15
	s_delay_alu instid0(VALU_DEP_3) | instskip(NEXT) | instid1(VALU_DEP_3)
	v_sub_nc_u32_e32 v4, v4, v9
	v_lshrrev_b32_e32 v2, s39, v2
	s_delay_alu instid0(VALU_DEP_2) | instskip(SKIP_2) | instid1(VALU_DEP_4)
	v_mul_lo_u32 v9, v4, s28
	v_mul_lo_u32 v4, v4, s29
	v_sub_nc_u32_e32 v3, v3, v7
	v_mul_lo_u32 v10, v2, s37
	s_delay_alu instid0(VALU_DEP_2) | instskip(SKIP_1) | instid1(VALU_DEP_3)
	v_mul_lo_u32 v7, v3, s26
	v_mul_lo_u32 v3, v3, s27
	v_sub_nc_u32_e32 v5, v5, v10
	s_delay_alu instid0(VALU_DEP_3) | instskip(NEXT) | instid1(VALU_DEP_2)
	v_add3_u32 v0, v6, v0, v7
	v_mul_lo_u32 v10, v5, s30
	v_mul_lo_u32 v5, v5, s31
	v_add3_u32 v1, v8, v1, v3
	s_delay_alu instid0(VALU_DEP_3) | instskip(NEXT) | instid1(VALU_DEP_2)
	v_add3_u32 v0, v9, v0, v10
	v_add3_u32 v1, v4, v1, v5
	s_cbranch_scc1 .LBB263_12
; %bb.13:
	s_and_b32 s7, s7, 3
	s_delay_alu instid0(SALU_CYCLE_1)
	s_cmp_eq_u32 s7, 0
	s_cbranch_scc0 .LBB263_24
	s_branch .LBB263_26
.LBB263_14:
	s_or_b32 exec_lo, exec_lo, s30
	s_delay_alu instid0(SALU_CYCLE_1)
	s_mov_b32 s30, exec_lo
	v_cmpx_gt_i32_e64 s27, v12
	s_cbranch_execz .LBB263_129
.LBB263_15:
	s_and_not1_b32 vcc_lo, exec_lo, s24
	s_cbranch_vccnz .LBB263_22
; %bb.16:
	v_dual_mov_b32 v0, 0 :: v_dual_mov_b32 v1, 0
	s_and_not1_b32 vcc_lo, exec_lo, s29
	s_mov_b32 s31, 0
	s_cbranch_vccnz .LBB263_140
; %bb.17:
	v_mov_b32_e32 v0, 0
	s_add_i32 s34, s28, 1
	s_cmp_eq_u32 s23, 2
	s_mov_b32 s33, 0
	s_cbranch_scc1 .LBB263_136
; %bb.18:
	v_dual_mov_b32 v1, 0 :: v_dual_mov_b32 v0, 0
	v_mov_b32_e32 v2, v12
	s_and_b32 s33, s34, 28
	s_mov_b32 s35, 0
	s_mov_b64 s[18:19], s[16:17]
	s_mov_b64 s[20:21], s[0:1]
.LBB263_19:                             ; =>This Inner Loop Header: Depth=1
	s_clause 0x1
	s_load_b256 s[36:43], s[20:21], 0x4
	s_load_b128 s[52:55], s[20:21], 0x24
	s_load_b256 s[44:51], s[18:19], 0x0
	s_add_u32 s20, s20, 48
	s_addc_u32 s21, s21, 0
	s_add_i32 s35, s35, 4
	s_add_u32 s18, s18, 32
	s_addc_u32 s19, s19, 0
	s_cmp_eq_u32 s33, s35
	s_waitcnt lgkmcnt(0)
	v_mul_hi_u32 v3, s37, v2
	s_delay_alu instid0(VALU_DEP_1) | instskip(NEXT) | instid1(VALU_DEP_1)
	v_add_nc_u32_e32 v3, v2, v3
	v_lshrrev_b32_e32 v3, s38, v3
	s_delay_alu instid0(VALU_DEP_1) | instskip(SKIP_1) | instid1(VALU_DEP_2)
	v_mul_hi_u32 v4, s40, v3
	v_mul_lo_u32 v6, v3, s36
	v_add_nc_u32_e32 v4, v3, v4
	s_delay_alu instid0(VALU_DEP_2) | instskip(NEXT) | instid1(VALU_DEP_2)
	v_sub_nc_u32_e32 v2, v2, v6
	v_lshrrev_b32_e32 v4, s41, v4
	s_delay_alu instid0(VALU_DEP_2) | instskip(SKIP_1) | instid1(VALU_DEP_3)
	v_mul_lo_u32 v6, v2, s44
	v_mul_lo_u32 v8, v2, s45
	v_mul_hi_u32 v5, s43, v4
	s_delay_alu instid0(VALU_DEP_1) | instskip(NEXT) | instid1(VALU_DEP_1)
	v_add_nc_u32_e32 v5, v4, v5
	v_lshrrev_b32_e32 v5, s52, v5
	s_delay_alu instid0(VALU_DEP_1) | instskip(SKIP_1) | instid1(VALU_DEP_2)
	v_mul_hi_u32 v7, s54, v5
	v_mul_lo_u32 v9, v5, s42
	v_add_nc_u32_e32 v2, v5, v7
	v_mul_lo_u32 v7, v4, s39
	s_delay_alu instid0(VALU_DEP_3) | instskip(NEXT) | instid1(VALU_DEP_3)
	v_sub_nc_u32_e32 v4, v4, v9
	v_lshrrev_b32_e32 v2, s55, v2
	s_delay_alu instid0(VALU_DEP_2) | instskip(SKIP_2) | instid1(VALU_DEP_4)
	v_mul_lo_u32 v9, v4, s48
	v_mul_lo_u32 v4, v4, s49
	v_sub_nc_u32_e32 v3, v3, v7
	v_mul_lo_u32 v10, v2, s53
	s_delay_alu instid0(VALU_DEP_2) | instskip(SKIP_1) | instid1(VALU_DEP_3)
	v_mul_lo_u32 v7, v3, s46
	v_mul_lo_u32 v3, v3, s47
	v_sub_nc_u32_e32 v5, v5, v10
	s_delay_alu instid0(VALU_DEP_3) | instskip(NEXT) | instid1(VALU_DEP_2)
	v_add3_u32 v0, v6, v0, v7
	v_mul_lo_u32 v10, v5, s50
	v_mul_lo_u32 v5, v5, s51
	v_add3_u32 v1, v8, v1, v3
	s_delay_alu instid0(VALU_DEP_3) | instskip(NEXT) | instid1(VALU_DEP_2)
	v_add3_u32 v0, v9, v0, v10
	v_add3_u32 v1, v4, v1, v5
	s_cbranch_scc0 .LBB263_19
	s_branch .LBB263_137
.LBB263_20:
	s_mov_b32 s6, -1
                                        ; implicit-def: $vgpr0
                                        ; implicit-def: $vgpr1
	s_branch .LBB263_26
.LBB263_21:
	s_mov_b32 s31, -1
                                        ; implicit-def: $vgpr0
                                        ; implicit-def: $vgpr1
	s_branch .LBB263_125
.LBB263_22:
	s_mov_b32 s31, -1
                                        ; implicit-def: $vgpr0
                                        ; implicit-def: $vgpr1
	s_branch .LBB263_140
.LBB263_23:
	v_dual_mov_b32 v2, v12 :: v_dual_mov_b32 v1, 0
	s_and_b32 s7, s7, 3
	s_delay_alu instid0(SALU_CYCLE_1)
	s_cmp_eq_u32 s7, 0
	s_cbranch_scc1 .LBB263_26
.LBB263_24:
	s_lshl_b32 s2, s8, 3
	s_mul_i32 s4, s8, 12
	s_add_u32 s2, s2, s0
	s_addc_u32 s3, 0, s1
	s_add_u32 s2, s2, 0xc4
	s_addc_u32 s3, s3, 0
	;; [unrolled: 2-line block ×3, first 2 shown]
	.p2align	6
.LBB263_25:                             ; =>This Inner Loop Header: Depth=1
	s_clause 0x1
	s_load_b64 s[8:9], s[4:5], 0x4
	s_load_b32 s12, s[4:5], 0xc
	s_load_b64 s[10:11], s[2:3], 0x0
	s_add_u32 s4, s4, 12
	s_addc_u32 s5, s5, 0
	s_add_u32 s2, s2, 8
	s_addc_u32 s3, s3, 0
	s_add_i32 s7, s7, -1
	s_delay_alu instid0(SALU_CYCLE_1) | instskip(SKIP_2) | instid1(VALU_DEP_1)
	s_cmp_lg_u32 s7, 0
	s_waitcnt lgkmcnt(0)
	v_mul_hi_u32 v3, s9, v2
	v_add_nc_u32_e32 v3, v2, v3
	s_delay_alu instid0(VALU_DEP_1) | instskip(NEXT) | instid1(VALU_DEP_1)
	v_lshrrev_b32_e32 v6, s12, v3
	v_mul_lo_u32 v3, v6, s8
	s_delay_alu instid0(VALU_DEP_1) | instskip(NEXT) | instid1(VALU_DEP_1)
	v_sub_nc_u32_e32 v2, v2, v3
	v_mad_u64_u32 v[3:4], null, v2, s10, v[0:1]
	v_mad_u64_u32 v[4:5], null, v2, s11, v[1:2]
	v_mov_b32_e32 v2, v6
	s_delay_alu instid0(VALU_DEP_2)
	v_dual_mov_b32 v0, v3 :: v_dual_mov_b32 v1, v4
	s_cbranch_scc1 .LBB263_25
.LBB263_26:
	s_and_not1_b32 vcc_lo, exec_lo, s6
	s_cbranch_vccnz .LBB263_29
; %bb.27:
	s_clause 0x1
	s_load_b128 s[4:7], s[0:1], 0x4
	s_load_b64 s[2:3], s[0:1], 0xc4
	s_cmp_lt_u32 s22, 2
	s_waitcnt lgkmcnt(0)
	v_mul_hi_u32 v0, s5, v12
	s_delay_alu instid0(VALU_DEP_1) | instskip(NEXT) | instid1(VALU_DEP_1)
	v_add_nc_u32_e32 v0, v12, v0
	v_lshrrev_b32_e32 v2, s6, v0
	s_delay_alu instid0(VALU_DEP_1) | instskip(NEXT) | instid1(VALU_DEP_1)
	v_mul_lo_u32 v0, v2, s4
	v_sub_nc_u32_e32 v1, v12, v0
	s_delay_alu instid0(VALU_DEP_1)
	v_mul_lo_u32 v0, v1, s2
	v_mul_lo_u32 v1, v1, s3
	s_cbranch_scc1 .LBB263_29
; %bb.28:
	s_clause 0x1
	s_load_b128 s[4:7], s[0:1], 0x10
	s_load_b64 s[2:3], s[0:1], 0xcc
	s_waitcnt lgkmcnt(0)
	v_mul_hi_u32 v3, s5, v2
	s_delay_alu instid0(VALU_DEP_1) | instskip(NEXT) | instid1(VALU_DEP_1)
	v_add_nc_u32_e32 v3, v2, v3
	v_lshrrev_b32_e32 v3, s6, v3
	s_delay_alu instid0(VALU_DEP_1) | instskip(NEXT) | instid1(VALU_DEP_1)
	v_mul_lo_u32 v3, v3, s4
	v_sub_nc_u32_e32 v5, v2, v3
	s_delay_alu instid0(VALU_DEP_1) | instskip(NEXT) | instid1(VALU_DEP_1)
	v_mad_u64_u32 v[2:3], null, v5, s2, v[0:1]
	v_mad_u64_u32 v[3:4], null, v5, s3, v[1:2]
	s_delay_alu instid0(VALU_DEP_1)
	v_dual_mov_b32 v0, v2 :: v_dual_mov_b32 v1, v3
.LBB263_29:
	v_cmp_ne_u32_e32 vcc_lo, 1, v14
	v_add_nc_u32_e32 v4, 0x80, v12
	s_cbranch_vccnz .LBB263_35
; %bb.30:
	v_dual_mov_b32 v2, 0 :: v_dual_mov_b32 v3, 0
	s_cmp_lg_u32 s22, 0
	s_mov_b32 s6, 0
	s_cbranch_scc0 .LBB263_39
; %bb.31:
	s_min_u32 s7, s23, 15
	v_mov_b32_e32 v2, 0
	s_add_i32 s7, s7, 1
	s_cmp_eq_u32 s23, 2
	s_mov_b32 s8, 0
	s_cbranch_scc1 .LBB263_36
; %bb.32:
	v_dual_mov_b32 v3, 0 :: v_dual_mov_b32 v2, 0
	v_mov_b32_e32 v5, v4
	s_add_u32 s2, s0, 0xc4
	s_addc_u32 s3, s1, 0
	s_and_b32 s8, s7, 28
	s_mov_b32 s9, 0
	s_mov_b64 s[4:5], s[0:1]
.LBB263_33:                             ; =>This Inner Loop Header: Depth=1
	s_clause 0x1
	s_load_b256 s[12:19], s[4:5], 0x4
	s_load_b128 s[36:39], s[4:5], 0x24
	s_load_b256 s[24:31], s[2:3], 0x0
	s_add_u32 s4, s4, 48
	s_addc_u32 s5, s5, 0
	s_add_i32 s9, s9, 4
	s_add_u32 s2, s2, 32
	s_addc_u32 s3, s3, 0
	s_cmp_lg_u32 s8, s9
	s_waitcnt lgkmcnt(0)
	v_mul_hi_u32 v6, s13, v5
	s_delay_alu instid0(VALU_DEP_1) | instskip(NEXT) | instid1(VALU_DEP_1)
	v_add_nc_u32_e32 v6, v5, v6
	v_lshrrev_b32_e32 v6, s14, v6
	s_delay_alu instid0(VALU_DEP_1) | instskip(SKIP_1) | instid1(VALU_DEP_2)
	v_mul_hi_u32 v7, s16, v6
	v_mul_lo_u32 v9, v6, s12
	v_add_nc_u32_e32 v7, v6, v7
	s_delay_alu instid0(VALU_DEP_2) | instskip(NEXT) | instid1(VALU_DEP_2)
	v_sub_nc_u32_e32 v5, v5, v9
	v_lshrrev_b32_e32 v7, s17, v7
	s_delay_alu instid0(VALU_DEP_2) | instskip(SKIP_1) | instid1(VALU_DEP_3)
	v_mul_lo_u32 v9, v5, s24
	v_mul_lo_u32 v11, v5, s25
	v_mul_hi_u32 v8, s19, v7
	s_delay_alu instid0(VALU_DEP_1) | instskip(NEXT) | instid1(VALU_DEP_1)
	v_add_nc_u32_e32 v8, v7, v8
	v_lshrrev_b32_e32 v8, s36, v8
	s_delay_alu instid0(VALU_DEP_1) | instskip(SKIP_1) | instid1(VALU_DEP_2)
	v_mul_hi_u32 v10, s38, v8
	v_mul_lo_u32 v13, v8, s18
	v_add_nc_u32_e32 v5, v8, v10
	v_mul_lo_u32 v10, v7, s15
	s_delay_alu instid0(VALU_DEP_3) | instskip(NEXT) | instid1(VALU_DEP_3)
	v_sub_nc_u32_e32 v7, v7, v13
	v_lshrrev_b32_e32 v5, s39, v5
	s_delay_alu instid0(VALU_DEP_2) | instskip(SKIP_2) | instid1(VALU_DEP_4)
	v_mul_lo_u32 v13, v7, s28
	v_mul_lo_u32 v7, v7, s29
	v_sub_nc_u32_e32 v6, v6, v10
	v_mul_lo_u32 v15, v5, s37
	s_delay_alu instid0(VALU_DEP_2) | instskip(SKIP_1) | instid1(VALU_DEP_3)
	v_mul_lo_u32 v10, v6, s26
	v_mul_lo_u32 v6, v6, s27
	v_sub_nc_u32_e32 v8, v8, v15
	s_delay_alu instid0(VALU_DEP_3) | instskip(NEXT) | instid1(VALU_DEP_2)
	v_add3_u32 v2, v9, v2, v10
	v_mul_lo_u32 v15, v8, s30
	v_mul_lo_u32 v8, v8, s31
	v_add3_u32 v3, v11, v3, v6
	s_delay_alu instid0(VALU_DEP_3) | instskip(NEXT) | instid1(VALU_DEP_2)
	v_add3_u32 v2, v13, v2, v15
	v_add3_u32 v3, v7, v3, v8
	s_cbranch_scc1 .LBB263_33
; %bb.34:
	s_and_b32 s7, s7, 3
	s_delay_alu instid0(SALU_CYCLE_1)
	s_cmp_eq_u32 s7, 0
	s_cbranch_scc0 .LBB263_37
	s_branch .LBB263_39
.LBB263_35:
	s_mov_b32 s6, -1
                                        ; implicit-def: $vgpr2
                                        ; implicit-def: $vgpr3
	s_branch .LBB263_39
.LBB263_36:
	v_mov_b32_e32 v5, v4
	v_mov_b32_e32 v3, 0
	s_and_b32 s7, s7, 3
	s_delay_alu instid0(SALU_CYCLE_1)
	s_cmp_eq_u32 s7, 0
	s_cbranch_scc1 .LBB263_39
.LBB263_37:
	s_lshl_b32 s2, s8, 3
	s_mul_i32 s4, s8, 12
	s_add_u32 s2, s2, s0
	s_addc_u32 s3, 0, s1
	s_add_u32 s2, s2, 0xc4
	s_addc_u32 s3, s3, 0
	;; [unrolled: 2-line block ×3, first 2 shown]
	.p2align	6
.LBB263_38:                             ; =>This Inner Loop Header: Depth=1
	s_clause 0x1
	s_load_b64 s[8:9], s[4:5], 0x4
	s_load_b32 s12, s[4:5], 0xc
	s_load_b64 s[10:11], s[2:3], 0x0
	s_add_u32 s4, s4, 12
	s_addc_u32 s5, s5, 0
	s_add_u32 s2, s2, 8
	s_addc_u32 s3, s3, 0
	s_add_i32 s7, s7, -1
	s_delay_alu instid0(SALU_CYCLE_1) | instskip(SKIP_2) | instid1(VALU_DEP_1)
	s_cmp_lg_u32 s7, 0
	s_waitcnt lgkmcnt(0)
	v_mul_hi_u32 v6, s9, v5
	v_add_nc_u32_e32 v6, v5, v6
	s_delay_alu instid0(VALU_DEP_1) | instskip(NEXT) | instid1(VALU_DEP_1)
	v_lshrrev_b32_e32 v9, s12, v6
	v_mul_lo_u32 v6, v9, s8
	s_delay_alu instid0(VALU_DEP_1) | instskip(NEXT) | instid1(VALU_DEP_1)
	v_sub_nc_u32_e32 v5, v5, v6
	v_mad_u64_u32 v[6:7], null, v5, s10, v[2:3]
	v_mad_u64_u32 v[7:8], null, v5, s11, v[3:4]
	s_delay_alu instid0(VALU_DEP_2) | instskip(NEXT) | instid1(VALU_DEP_2)
	v_dual_mov_b32 v5, v9 :: v_dual_mov_b32 v2, v6
	v_mov_b32_e32 v3, v7
	s_cbranch_scc1 .LBB263_38
.LBB263_39:
	s_and_not1_b32 vcc_lo, exec_lo, s6
	s_cbranch_vccnz .LBB263_42
; %bb.40:
	s_clause 0x1
	s_load_b128 s[4:7], s[0:1], 0x4
	s_load_b64 s[2:3], s[0:1], 0xc4
	s_cmp_lt_u32 s22, 2
	s_waitcnt lgkmcnt(0)
	v_mul_hi_u32 v2, s5, v4
	s_delay_alu instid0(VALU_DEP_1) | instskip(NEXT) | instid1(VALU_DEP_1)
	v_add_nc_u32_e32 v2, v4, v2
	v_lshrrev_b32_e32 v5, s6, v2
	s_delay_alu instid0(VALU_DEP_1) | instskip(NEXT) | instid1(VALU_DEP_1)
	v_mul_lo_u32 v2, v5, s4
	v_sub_nc_u32_e32 v3, v4, v2
	s_delay_alu instid0(VALU_DEP_1)
	v_mul_lo_u32 v2, v3, s2
	v_mul_lo_u32 v3, v3, s3
	s_cbranch_scc1 .LBB263_42
; %bb.41:
	s_clause 0x1
	s_load_b128 s[4:7], s[0:1], 0x10
	s_load_b64 s[2:3], s[0:1], 0xcc
	s_waitcnt lgkmcnt(0)
	v_mul_hi_u32 v4, s5, v5
	s_delay_alu instid0(VALU_DEP_1) | instskip(NEXT) | instid1(VALU_DEP_1)
	v_add_nc_u32_e32 v4, v5, v4
	v_lshrrev_b32_e32 v4, s6, v4
	s_delay_alu instid0(VALU_DEP_1) | instskip(NEXT) | instid1(VALU_DEP_1)
	v_mul_lo_u32 v4, v4, s4
	v_sub_nc_u32_e32 v7, v5, v4
	s_delay_alu instid0(VALU_DEP_1) | instskip(NEXT) | instid1(VALU_DEP_1)
	v_mad_u64_u32 v[4:5], null, v7, s2, v[2:3]
	v_mad_u64_u32 v[5:6], null, v7, s3, v[3:4]
	s_delay_alu instid0(VALU_DEP_1)
	v_dual_mov_b32 v2, v4 :: v_dual_mov_b32 v3, v5
.LBB263_42:
	v_cmp_ne_u32_e32 vcc_lo, 1, v14
	v_add_nc_u32_e32 v6, 0x100, v12
	s_cbranch_vccnz .LBB263_48
; %bb.43:
	v_dual_mov_b32 v4, 0 :: v_dual_mov_b32 v5, 0
	s_cmp_lg_u32 s22, 0
	s_mov_b32 s6, 0
	s_cbranch_scc0 .LBB263_52
; %bb.44:
	s_min_u32 s7, s23, 15
	v_mov_b32_e32 v4, 0
	s_add_i32 s7, s7, 1
	s_cmp_eq_u32 s23, 2
	s_mov_b32 s8, 0
	s_cbranch_scc1 .LBB263_49
; %bb.45:
	v_dual_mov_b32 v5, 0 :: v_dual_mov_b32 v4, 0
	v_mov_b32_e32 v7, v6
	s_add_u32 s2, s0, 0xc4
	s_addc_u32 s3, s1, 0
	s_and_b32 s8, s7, 28
	s_mov_b32 s9, 0
	s_mov_b64 s[4:5], s[0:1]
.LBB263_46:                             ; =>This Inner Loop Header: Depth=1
	s_clause 0x1
	s_load_b256 s[12:19], s[4:5], 0x4
	s_load_b128 s[36:39], s[4:5], 0x24
	s_load_b256 s[24:31], s[2:3], 0x0
	s_add_u32 s4, s4, 48
	s_addc_u32 s5, s5, 0
	s_add_i32 s9, s9, 4
	s_add_u32 s2, s2, 32
	s_addc_u32 s3, s3, 0
	s_cmp_lg_u32 s8, s9
	s_waitcnt lgkmcnt(0)
	v_mul_hi_u32 v8, s13, v7
	s_delay_alu instid0(VALU_DEP_1) | instskip(NEXT) | instid1(VALU_DEP_1)
	v_add_nc_u32_e32 v8, v7, v8
	v_lshrrev_b32_e32 v8, s14, v8
	s_delay_alu instid0(VALU_DEP_1) | instskip(SKIP_1) | instid1(VALU_DEP_2)
	v_mul_hi_u32 v9, s16, v8
	v_mul_lo_u32 v11, v8, s12
	v_add_nc_u32_e32 v9, v8, v9
	s_delay_alu instid0(VALU_DEP_2) | instskip(NEXT) | instid1(VALU_DEP_2)
	v_sub_nc_u32_e32 v7, v7, v11
	v_lshrrev_b32_e32 v9, s17, v9
	s_delay_alu instid0(VALU_DEP_2) | instskip(SKIP_1) | instid1(VALU_DEP_3)
	v_mul_lo_u32 v11, v7, s24
	v_mul_lo_u32 v15, v7, s25
	v_mul_hi_u32 v10, s19, v9
	s_delay_alu instid0(VALU_DEP_1) | instskip(NEXT) | instid1(VALU_DEP_1)
	v_add_nc_u32_e32 v10, v9, v10
	v_lshrrev_b32_e32 v10, s36, v10
	s_delay_alu instid0(VALU_DEP_1) | instskip(SKIP_1) | instid1(VALU_DEP_2)
	v_mul_hi_u32 v13, s38, v10
	v_mul_lo_u32 v17, v10, s18
	v_add_nc_u32_e32 v7, v10, v13
	v_mul_lo_u32 v13, v9, s15
	s_delay_alu instid0(VALU_DEP_3) | instskip(NEXT) | instid1(VALU_DEP_3)
	v_sub_nc_u32_e32 v9, v9, v17
	v_lshrrev_b32_e32 v7, s39, v7
	s_delay_alu instid0(VALU_DEP_2) | instskip(SKIP_2) | instid1(VALU_DEP_4)
	v_mul_lo_u32 v17, v9, s28
	v_mul_lo_u32 v9, v9, s29
	v_sub_nc_u32_e32 v8, v8, v13
	v_mul_lo_u32 v18, v7, s37
	s_delay_alu instid0(VALU_DEP_2) | instskip(SKIP_1) | instid1(VALU_DEP_3)
	v_mul_lo_u32 v13, v8, s26
	v_mul_lo_u32 v8, v8, s27
	v_sub_nc_u32_e32 v10, v10, v18
	s_delay_alu instid0(VALU_DEP_3) | instskip(NEXT) | instid1(VALU_DEP_2)
	v_add3_u32 v4, v11, v4, v13
	v_mul_lo_u32 v18, v10, s30
	v_mul_lo_u32 v10, v10, s31
	v_add3_u32 v5, v15, v5, v8
	s_delay_alu instid0(VALU_DEP_3) | instskip(NEXT) | instid1(VALU_DEP_2)
	v_add3_u32 v4, v17, v4, v18
	v_add3_u32 v5, v9, v5, v10
	s_cbranch_scc1 .LBB263_46
; %bb.47:
	s_and_b32 s7, s7, 3
	s_delay_alu instid0(SALU_CYCLE_1)
	s_cmp_eq_u32 s7, 0
	s_cbranch_scc0 .LBB263_50
	s_branch .LBB263_52
.LBB263_48:
	s_mov_b32 s6, -1
                                        ; implicit-def: $vgpr4
                                        ; implicit-def: $vgpr5
	s_branch .LBB263_52
.LBB263_49:
	v_mov_b32_e32 v7, v6
	v_mov_b32_e32 v5, 0
	s_and_b32 s7, s7, 3
	s_delay_alu instid0(SALU_CYCLE_1)
	s_cmp_eq_u32 s7, 0
	s_cbranch_scc1 .LBB263_52
.LBB263_50:
	s_lshl_b32 s2, s8, 3
	s_mul_i32 s4, s8, 12
	s_add_u32 s2, s2, s0
	s_addc_u32 s3, 0, s1
	s_add_u32 s2, s2, 0xc4
	s_addc_u32 s3, s3, 0
	;; [unrolled: 2-line block ×3, first 2 shown]
	.p2align	6
.LBB263_51:                             ; =>This Inner Loop Header: Depth=1
	s_clause 0x1
	s_load_b64 s[8:9], s[4:5], 0x4
	s_load_b32 s12, s[4:5], 0xc
	s_load_b64 s[10:11], s[2:3], 0x0
	s_add_u32 s4, s4, 12
	s_addc_u32 s5, s5, 0
	s_add_u32 s2, s2, 8
	s_addc_u32 s3, s3, 0
	s_add_i32 s7, s7, -1
	s_delay_alu instid0(SALU_CYCLE_1) | instskip(SKIP_2) | instid1(VALU_DEP_1)
	s_cmp_lg_u32 s7, 0
	s_waitcnt lgkmcnt(0)
	v_mul_hi_u32 v8, s9, v7
	v_add_nc_u32_e32 v8, v7, v8
	s_delay_alu instid0(VALU_DEP_1) | instskip(NEXT) | instid1(VALU_DEP_1)
	v_lshrrev_b32_e32 v11, s12, v8
	v_mul_lo_u32 v8, v11, s8
	s_delay_alu instid0(VALU_DEP_1) | instskip(NEXT) | instid1(VALU_DEP_1)
	v_sub_nc_u32_e32 v7, v7, v8
	v_mad_u64_u32 v[8:9], null, v7, s10, v[4:5]
	v_mad_u64_u32 v[9:10], null, v7, s11, v[5:6]
	s_delay_alu instid0(VALU_DEP_2) | instskip(NEXT) | instid1(VALU_DEP_2)
	v_dual_mov_b32 v7, v11 :: v_dual_mov_b32 v4, v8
	v_mov_b32_e32 v5, v9
	s_cbranch_scc1 .LBB263_51
.LBB263_52:
	s_and_not1_b32 vcc_lo, exec_lo, s6
	s_cbranch_vccnz .LBB263_55
; %bb.53:
	s_clause 0x1
	s_load_b128 s[4:7], s[0:1], 0x4
	s_load_b64 s[2:3], s[0:1], 0xc4
	s_cmp_lt_u32 s22, 2
	s_waitcnt lgkmcnt(0)
	v_mul_hi_u32 v4, s5, v6
	s_delay_alu instid0(VALU_DEP_1) | instskip(NEXT) | instid1(VALU_DEP_1)
	v_add_nc_u32_e32 v4, v6, v4
	v_lshrrev_b32_e32 v7, s6, v4
	s_delay_alu instid0(VALU_DEP_1) | instskip(NEXT) | instid1(VALU_DEP_1)
	v_mul_lo_u32 v4, v7, s4
	v_sub_nc_u32_e32 v5, v6, v4
	s_delay_alu instid0(VALU_DEP_1)
	v_mul_lo_u32 v4, v5, s2
	v_mul_lo_u32 v5, v5, s3
	s_cbranch_scc1 .LBB263_55
; %bb.54:
	s_clause 0x1
	s_load_b128 s[4:7], s[0:1], 0x10
	s_load_b64 s[2:3], s[0:1], 0xcc
	s_waitcnt lgkmcnt(0)
	v_mul_hi_u32 v6, s5, v7
	s_delay_alu instid0(VALU_DEP_1) | instskip(NEXT) | instid1(VALU_DEP_1)
	v_add_nc_u32_e32 v6, v7, v6
	v_lshrrev_b32_e32 v6, s6, v6
	s_delay_alu instid0(VALU_DEP_1) | instskip(NEXT) | instid1(VALU_DEP_1)
	v_mul_lo_u32 v6, v6, s4
	v_sub_nc_u32_e32 v9, v7, v6
	s_delay_alu instid0(VALU_DEP_1) | instskip(NEXT) | instid1(VALU_DEP_1)
	v_mad_u64_u32 v[6:7], null, v9, s2, v[4:5]
	v_mad_u64_u32 v[7:8], null, v9, s3, v[5:6]
	s_delay_alu instid0(VALU_DEP_1)
	v_dual_mov_b32 v4, v6 :: v_dual_mov_b32 v5, v7
.LBB263_55:
	v_cmp_ne_u32_e32 vcc_lo, 1, v14
	v_add_nc_u32_e32 v8, 0x180, v12
	s_cbranch_vccnz .LBB263_61
; %bb.56:
	v_dual_mov_b32 v6, 0 :: v_dual_mov_b32 v7, 0
	s_cmp_lg_u32 s22, 0
	s_mov_b32 s6, 0
	s_cbranch_scc0 .LBB263_65
; %bb.57:
	s_min_u32 s7, s23, 15
	v_mov_b32_e32 v6, 0
	s_add_i32 s7, s7, 1
	s_cmp_eq_u32 s23, 2
	s_mov_b32 s8, 0
	s_cbranch_scc1 .LBB263_62
; %bb.58:
	v_dual_mov_b32 v7, 0 :: v_dual_mov_b32 v6, 0
	v_mov_b32_e32 v9, v8
	s_add_u32 s2, s0, 0xc4
	s_addc_u32 s3, s1, 0
	s_and_b32 s8, s7, 28
	s_mov_b32 s9, 0
	s_mov_b64 s[4:5], s[0:1]
.LBB263_59:                             ; =>This Inner Loop Header: Depth=1
	s_clause 0x1
	s_load_b256 s[12:19], s[4:5], 0x4
	s_load_b128 s[36:39], s[4:5], 0x24
	s_load_b256 s[24:31], s[2:3], 0x0
	s_add_u32 s4, s4, 48
	s_addc_u32 s5, s5, 0
	s_add_i32 s9, s9, 4
	s_add_u32 s2, s2, 32
	s_addc_u32 s3, s3, 0
	s_cmp_lg_u32 s8, s9
	s_waitcnt lgkmcnt(0)
	v_mul_hi_u32 v10, s13, v9
	s_delay_alu instid0(VALU_DEP_1) | instskip(NEXT) | instid1(VALU_DEP_1)
	v_add_nc_u32_e32 v10, v9, v10
	v_lshrrev_b32_e32 v10, s14, v10
	s_delay_alu instid0(VALU_DEP_1) | instskip(SKIP_1) | instid1(VALU_DEP_2)
	v_mul_hi_u32 v11, s16, v10
	v_mul_lo_u32 v15, v10, s12
	v_add_nc_u32_e32 v11, v10, v11
	s_delay_alu instid0(VALU_DEP_2) | instskip(NEXT) | instid1(VALU_DEP_2)
	v_sub_nc_u32_e32 v9, v9, v15
	v_lshrrev_b32_e32 v11, s17, v11
	s_delay_alu instid0(VALU_DEP_2) | instskip(SKIP_1) | instid1(VALU_DEP_3)
	v_mul_lo_u32 v15, v9, s24
	v_mul_lo_u32 v18, v9, s25
	v_mul_hi_u32 v13, s19, v11
	s_delay_alu instid0(VALU_DEP_1) | instskip(NEXT) | instid1(VALU_DEP_1)
	v_add_nc_u32_e32 v13, v11, v13
	v_lshrrev_b32_e32 v13, s36, v13
	s_delay_alu instid0(VALU_DEP_1) | instskip(SKIP_1) | instid1(VALU_DEP_2)
	v_mul_hi_u32 v17, s38, v13
	v_mul_lo_u32 v19, v13, s18
	v_add_nc_u32_e32 v9, v13, v17
	v_mul_lo_u32 v17, v11, s15
	s_delay_alu instid0(VALU_DEP_3) | instskip(NEXT) | instid1(VALU_DEP_3)
	v_sub_nc_u32_e32 v11, v11, v19
	v_lshrrev_b32_e32 v9, s39, v9
	s_delay_alu instid0(VALU_DEP_2) | instskip(SKIP_2) | instid1(VALU_DEP_4)
	v_mul_lo_u32 v19, v11, s28
	v_mul_lo_u32 v11, v11, s29
	v_sub_nc_u32_e32 v10, v10, v17
	v_mul_lo_u32 v20, v9, s37
	s_delay_alu instid0(VALU_DEP_2) | instskip(SKIP_1) | instid1(VALU_DEP_3)
	v_mul_lo_u32 v17, v10, s26
	v_mul_lo_u32 v10, v10, s27
	v_sub_nc_u32_e32 v13, v13, v20
	s_delay_alu instid0(VALU_DEP_3) | instskip(NEXT) | instid1(VALU_DEP_2)
	v_add3_u32 v6, v15, v6, v17
	v_mul_lo_u32 v20, v13, s30
	v_mul_lo_u32 v13, v13, s31
	v_add3_u32 v7, v18, v7, v10
	s_delay_alu instid0(VALU_DEP_3) | instskip(NEXT) | instid1(VALU_DEP_2)
	v_add3_u32 v6, v19, v6, v20
	v_add3_u32 v7, v11, v7, v13
	s_cbranch_scc1 .LBB263_59
; %bb.60:
	s_and_b32 s7, s7, 3
	s_delay_alu instid0(SALU_CYCLE_1)
	s_cmp_eq_u32 s7, 0
	s_cbranch_scc0 .LBB263_63
	s_branch .LBB263_65
.LBB263_61:
	s_mov_b32 s6, -1
                                        ; implicit-def: $vgpr6
                                        ; implicit-def: $vgpr7
	s_branch .LBB263_65
.LBB263_62:
	v_mov_b32_e32 v9, v8
	v_mov_b32_e32 v7, 0
	s_and_b32 s7, s7, 3
	s_delay_alu instid0(SALU_CYCLE_1)
	s_cmp_eq_u32 s7, 0
	s_cbranch_scc1 .LBB263_65
.LBB263_63:
	s_lshl_b32 s2, s8, 3
	s_mul_i32 s4, s8, 12
	s_add_u32 s2, s2, s0
	s_addc_u32 s3, 0, s1
	s_add_u32 s2, s2, 0xc4
	s_addc_u32 s3, s3, 0
	s_add_u32 s4, s0, s4
	s_addc_u32 s5, 0, s1
	.p2align	6
.LBB263_64:                             ; =>This Inner Loop Header: Depth=1
	s_clause 0x1
	s_load_b64 s[8:9], s[4:5], 0x4
	s_load_b32 s12, s[4:5], 0xc
	s_load_b64 s[10:11], s[2:3], 0x0
	s_add_u32 s4, s4, 12
	s_addc_u32 s5, s5, 0
	s_add_u32 s2, s2, 8
	s_addc_u32 s3, s3, 0
	s_add_i32 s7, s7, -1
	s_delay_alu instid0(SALU_CYCLE_1) | instskip(SKIP_2) | instid1(VALU_DEP_1)
	s_cmp_lg_u32 s7, 0
	s_waitcnt lgkmcnt(0)
	v_mul_hi_u32 v10, s9, v9
	v_add_nc_u32_e32 v10, v9, v10
	s_delay_alu instid0(VALU_DEP_1) | instskip(NEXT) | instid1(VALU_DEP_1)
	v_lshrrev_b32_e32 v13, s12, v10
	v_mul_lo_u32 v10, v13, s8
	s_delay_alu instid0(VALU_DEP_1) | instskip(NEXT) | instid1(VALU_DEP_1)
	v_sub_nc_u32_e32 v9, v9, v10
	v_mad_u64_u32 v[10:11], null, v9, s10, v[6:7]
	v_mad_u64_u32 v[17:18], null, v9, s11, v[7:8]
	s_delay_alu instid0(VALU_DEP_2) | instskip(NEXT) | instid1(VALU_DEP_2)
	v_dual_mov_b32 v9, v13 :: v_dual_mov_b32 v6, v10
	v_mov_b32_e32 v7, v17
	s_cbranch_scc1 .LBB263_64
.LBB263_65:
	s_and_not1_b32 vcc_lo, exec_lo, s6
	s_cbranch_vccnz .LBB263_68
; %bb.66:
	s_clause 0x1
	s_load_b128 s[4:7], s[0:1], 0x4
	s_load_b64 s[2:3], s[0:1], 0xc4
	s_cmp_lt_u32 s22, 2
	s_waitcnt lgkmcnt(0)
	v_mul_hi_u32 v6, s5, v8
	s_delay_alu instid0(VALU_DEP_1) | instskip(NEXT) | instid1(VALU_DEP_1)
	v_add_nc_u32_e32 v6, v8, v6
	v_lshrrev_b32_e32 v9, s6, v6
	s_delay_alu instid0(VALU_DEP_1) | instskip(NEXT) | instid1(VALU_DEP_1)
	v_mul_lo_u32 v6, v9, s4
	v_sub_nc_u32_e32 v7, v8, v6
	s_delay_alu instid0(VALU_DEP_1)
	v_mul_lo_u32 v6, v7, s2
	v_mul_lo_u32 v7, v7, s3
	s_cbranch_scc1 .LBB263_68
; %bb.67:
	s_clause 0x1
	s_load_b128 s[4:7], s[0:1], 0x10
	s_load_b64 s[2:3], s[0:1], 0xcc
	s_waitcnt lgkmcnt(0)
	v_mul_hi_u32 v8, s5, v9
	s_delay_alu instid0(VALU_DEP_1) | instskip(NEXT) | instid1(VALU_DEP_1)
	v_add_nc_u32_e32 v8, v9, v8
	v_lshrrev_b32_e32 v8, s6, v8
	s_delay_alu instid0(VALU_DEP_1) | instskip(NEXT) | instid1(VALU_DEP_1)
	v_mul_lo_u32 v8, v8, s4
	v_sub_nc_u32_e32 v11, v9, v8
	s_delay_alu instid0(VALU_DEP_1) | instskip(NEXT) | instid1(VALU_DEP_1)
	v_mad_u64_u32 v[8:9], null, v11, s2, v[6:7]
	v_mad_u64_u32 v[9:10], null, v11, s3, v[7:8]
	s_delay_alu instid0(VALU_DEP_1)
	v_dual_mov_b32 v6, v8 :: v_dual_mov_b32 v7, v9
.LBB263_68:
	v_cmp_ne_u32_e32 vcc_lo, 1, v14
	v_add_nc_u32_e32 v10, 0x200, v12
	s_cbranch_vccnz .LBB263_74
; %bb.69:
	v_dual_mov_b32 v8, 0 :: v_dual_mov_b32 v9, 0
	s_cmp_lg_u32 s22, 0
	s_mov_b32 s6, 0
	s_cbranch_scc0 .LBB263_78
; %bb.70:
	s_min_u32 s7, s23, 15
	v_mov_b32_e32 v8, 0
	s_add_i32 s7, s7, 1
	s_cmp_eq_u32 s23, 2
	s_mov_b32 s8, 0
	s_cbranch_scc1 .LBB263_75
; %bb.71:
	v_dual_mov_b32 v9, 0 :: v_dual_mov_b32 v8, 0
	v_mov_b32_e32 v11, v10
	s_add_u32 s2, s0, 0xc4
	s_addc_u32 s3, s1, 0
	s_and_b32 s8, s7, 28
	s_mov_b32 s9, 0
	s_mov_b64 s[4:5], s[0:1]
.LBB263_72:                             ; =>This Inner Loop Header: Depth=1
	s_clause 0x1
	s_load_b256 s[12:19], s[4:5], 0x4
	s_load_b128 s[36:39], s[4:5], 0x24
	s_load_b256 s[24:31], s[2:3], 0x0
	s_add_u32 s4, s4, 48
	s_addc_u32 s5, s5, 0
	s_add_i32 s9, s9, 4
	s_add_u32 s2, s2, 32
	s_addc_u32 s3, s3, 0
	s_cmp_lg_u32 s8, s9
	s_waitcnt lgkmcnt(0)
	v_mul_hi_u32 v13, s13, v11
	s_delay_alu instid0(VALU_DEP_1) | instskip(NEXT) | instid1(VALU_DEP_1)
	v_add_nc_u32_e32 v13, v11, v13
	v_lshrrev_b32_e32 v13, s14, v13
	s_delay_alu instid0(VALU_DEP_1) | instskip(SKIP_1) | instid1(VALU_DEP_2)
	v_mul_hi_u32 v15, s16, v13
	v_mul_lo_u32 v18, v13, s12
	v_add_nc_u32_e32 v15, v13, v15
	s_delay_alu instid0(VALU_DEP_2) | instskip(NEXT) | instid1(VALU_DEP_2)
	v_sub_nc_u32_e32 v11, v11, v18
	v_lshrrev_b32_e32 v15, s17, v15
	s_delay_alu instid0(VALU_DEP_2) | instskip(SKIP_1) | instid1(VALU_DEP_3)
	v_mul_lo_u32 v18, v11, s24
	v_mul_lo_u32 v20, v11, s25
	v_mul_hi_u32 v17, s19, v15
	s_delay_alu instid0(VALU_DEP_1) | instskip(NEXT) | instid1(VALU_DEP_1)
	v_add_nc_u32_e32 v17, v15, v17
	v_lshrrev_b32_e32 v17, s36, v17
	s_delay_alu instid0(VALU_DEP_1) | instskip(SKIP_1) | instid1(VALU_DEP_2)
	v_mul_hi_u32 v19, s38, v17
	v_mul_lo_u32 v21, v17, s18
	v_add_nc_u32_e32 v11, v17, v19
	v_mul_lo_u32 v19, v15, s15
	s_delay_alu instid0(VALU_DEP_3) | instskip(NEXT) | instid1(VALU_DEP_3)
	v_sub_nc_u32_e32 v15, v15, v21
	v_lshrrev_b32_e32 v11, s39, v11
	s_delay_alu instid0(VALU_DEP_2) | instskip(SKIP_2) | instid1(VALU_DEP_4)
	v_mul_lo_u32 v21, v15, s28
	v_mul_lo_u32 v15, v15, s29
	v_sub_nc_u32_e32 v13, v13, v19
	v_mul_lo_u32 v22, v11, s37
	s_delay_alu instid0(VALU_DEP_2) | instskip(SKIP_1) | instid1(VALU_DEP_3)
	v_mul_lo_u32 v19, v13, s26
	v_mul_lo_u32 v13, v13, s27
	v_sub_nc_u32_e32 v17, v17, v22
	s_delay_alu instid0(VALU_DEP_3) | instskip(NEXT) | instid1(VALU_DEP_2)
	v_add3_u32 v8, v18, v8, v19
	v_mul_lo_u32 v22, v17, s30
	v_mul_lo_u32 v17, v17, s31
	v_add3_u32 v9, v20, v9, v13
	s_delay_alu instid0(VALU_DEP_3) | instskip(NEXT) | instid1(VALU_DEP_2)
	v_add3_u32 v8, v21, v8, v22
	v_add3_u32 v9, v15, v9, v17
	s_cbranch_scc1 .LBB263_72
; %bb.73:
	s_and_b32 s7, s7, 3
	s_delay_alu instid0(SALU_CYCLE_1)
	s_cmp_eq_u32 s7, 0
	s_cbranch_scc0 .LBB263_76
	s_branch .LBB263_78
.LBB263_74:
	s_mov_b32 s6, -1
                                        ; implicit-def: $vgpr8
                                        ; implicit-def: $vgpr9
	s_branch .LBB263_78
.LBB263_75:
	v_mov_b32_e32 v11, v10
	v_mov_b32_e32 v9, 0
	s_and_b32 s7, s7, 3
	s_delay_alu instid0(SALU_CYCLE_1)
	s_cmp_eq_u32 s7, 0
	s_cbranch_scc1 .LBB263_78
.LBB263_76:
	s_lshl_b32 s2, s8, 3
	s_mul_i32 s4, s8, 12
	s_add_u32 s2, s2, s0
	s_addc_u32 s3, 0, s1
	s_add_u32 s2, s2, 0xc4
	s_addc_u32 s3, s3, 0
	;; [unrolled: 2-line block ×3, first 2 shown]
	.p2align	6
.LBB263_77:                             ; =>This Inner Loop Header: Depth=1
	s_clause 0x1
	s_load_b64 s[8:9], s[4:5], 0x4
	s_load_b32 s12, s[4:5], 0xc
	s_load_b64 s[10:11], s[2:3], 0x0
	s_add_u32 s4, s4, 12
	s_addc_u32 s5, s5, 0
	s_add_u32 s2, s2, 8
	s_addc_u32 s3, s3, 0
	s_add_i32 s7, s7, -1
	s_delay_alu instid0(SALU_CYCLE_1) | instskip(SKIP_2) | instid1(VALU_DEP_1)
	s_cmp_lg_u32 s7, 0
	s_waitcnt lgkmcnt(0)
	v_mul_hi_u32 v13, s9, v11
	v_add_nc_u32_e32 v13, v11, v13
	s_delay_alu instid0(VALU_DEP_1) | instskip(NEXT) | instid1(VALU_DEP_1)
	v_lshrrev_b32_e32 v13, s12, v13
	v_mul_lo_u32 v15, v13, s8
	s_delay_alu instid0(VALU_DEP_1) | instskip(NEXT) | instid1(VALU_DEP_1)
	v_sub_nc_u32_e32 v11, v11, v15
	v_mad_u64_u32 v[17:18], null, v11, s10, v[8:9]
	v_mad_u64_u32 v[18:19], null, v11, s11, v[9:10]
	v_mov_b32_e32 v11, v13
	s_delay_alu instid0(VALU_DEP_2)
	v_dual_mov_b32 v8, v17 :: v_dual_mov_b32 v9, v18
	s_cbranch_scc1 .LBB263_77
.LBB263_78:
	s_and_not1_b32 vcc_lo, exec_lo, s6
	s_cbranch_vccnz .LBB263_81
; %bb.79:
	s_clause 0x1
	s_load_b128 s[4:7], s[0:1], 0x4
	s_load_b64 s[2:3], s[0:1], 0xc4
	s_cmp_lt_u32 s22, 2
	s_waitcnt lgkmcnt(0)
	v_mul_hi_u32 v8, s5, v10
	s_delay_alu instid0(VALU_DEP_1) | instskip(NEXT) | instid1(VALU_DEP_1)
	v_add_nc_u32_e32 v8, v10, v8
	v_lshrrev_b32_e32 v11, s6, v8
	s_delay_alu instid0(VALU_DEP_1) | instskip(NEXT) | instid1(VALU_DEP_1)
	v_mul_lo_u32 v8, v11, s4
	v_sub_nc_u32_e32 v9, v10, v8
	s_delay_alu instid0(VALU_DEP_1)
	v_mul_lo_u32 v8, v9, s2
	v_mul_lo_u32 v9, v9, s3
	s_cbranch_scc1 .LBB263_81
; %bb.80:
	s_clause 0x1
	s_load_b128 s[4:7], s[0:1], 0x10
	s_load_b64 s[2:3], s[0:1], 0xcc
	s_waitcnt lgkmcnt(0)
	v_mul_hi_u32 v10, s5, v11
	s_delay_alu instid0(VALU_DEP_1) | instskip(NEXT) | instid1(VALU_DEP_1)
	v_add_nc_u32_e32 v10, v11, v10
	v_lshrrev_b32_e32 v10, s6, v10
	s_delay_alu instid0(VALU_DEP_1) | instskip(NEXT) | instid1(VALU_DEP_1)
	v_mul_lo_u32 v10, v10, s4
	v_sub_nc_u32_e32 v13, v11, v10
	s_delay_alu instid0(VALU_DEP_1) | instskip(NEXT) | instid1(VALU_DEP_1)
	v_mad_u64_u32 v[10:11], null, v13, s2, v[8:9]
	v_mad_u64_u32 v[17:18], null, v13, s3, v[9:10]
	s_delay_alu instid0(VALU_DEP_1)
	v_dual_mov_b32 v8, v10 :: v_dual_mov_b32 v9, v17
.LBB263_81:
	v_cmp_ne_u32_e32 vcc_lo, 1, v14
	v_add_nc_u32_e32 v13, 0x280, v12
	s_cbranch_vccnz .LBB263_87
; %bb.82:
	v_dual_mov_b32 v10, 0 :: v_dual_mov_b32 v11, 0
	s_cmp_lg_u32 s22, 0
	s_mov_b32 s6, 0
	s_cbranch_scc0 .LBB263_91
; %bb.83:
	s_min_u32 s7, s23, 15
	v_mov_b32_e32 v10, 0
	s_add_i32 s7, s7, 1
	s_cmp_eq_u32 s23, 2
	s_mov_b32 s8, 0
	s_cbranch_scc1 .LBB263_88
; %bb.84:
	v_dual_mov_b32 v11, 0 :: v_dual_mov_b32 v10, 0
	v_mov_b32_e32 v15, v13
	s_add_u32 s2, s0, 0xc4
	s_addc_u32 s3, s1, 0
	s_and_b32 s8, s7, 28
	s_mov_b32 s9, 0
	s_mov_b64 s[4:5], s[0:1]
.LBB263_85:                             ; =>This Inner Loop Header: Depth=1
	s_clause 0x1
	s_load_b256 s[12:19], s[4:5], 0x4
	s_load_b128 s[36:39], s[4:5], 0x24
	s_load_b256 s[24:31], s[2:3], 0x0
	s_add_u32 s4, s4, 48
	s_addc_u32 s5, s5, 0
	s_add_i32 s9, s9, 4
	s_add_u32 s2, s2, 32
	s_addc_u32 s3, s3, 0
	s_cmp_lg_u32 s8, s9
	s_waitcnt lgkmcnt(0)
	v_mul_hi_u32 v17, s13, v15
	s_delay_alu instid0(VALU_DEP_1) | instskip(NEXT) | instid1(VALU_DEP_1)
	v_add_nc_u32_e32 v17, v15, v17
	v_lshrrev_b32_e32 v17, s14, v17
	s_delay_alu instid0(VALU_DEP_1) | instskip(SKIP_1) | instid1(VALU_DEP_2)
	v_mul_hi_u32 v18, s16, v17
	v_mul_lo_u32 v20, v17, s12
	v_add_nc_u32_e32 v18, v17, v18
	s_delay_alu instid0(VALU_DEP_2) | instskip(NEXT) | instid1(VALU_DEP_2)
	v_sub_nc_u32_e32 v15, v15, v20
	v_lshrrev_b32_e32 v18, s17, v18
	s_delay_alu instid0(VALU_DEP_2) | instskip(SKIP_1) | instid1(VALU_DEP_3)
	v_mul_lo_u32 v20, v15, s24
	v_mul_lo_u32 v22, v15, s25
	v_mul_hi_u32 v19, s19, v18
	s_delay_alu instid0(VALU_DEP_1) | instskip(NEXT) | instid1(VALU_DEP_1)
	v_add_nc_u32_e32 v19, v18, v19
	v_lshrrev_b32_e32 v19, s36, v19
	s_delay_alu instid0(VALU_DEP_1) | instskip(SKIP_1) | instid1(VALU_DEP_2)
	v_mul_hi_u32 v21, s38, v19
	v_mul_lo_u32 v23, v19, s18
	v_add_nc_u32_e32 v15, v19, v21
	v_mul_lo_u32 v21, v18, s15
	s_delay_alu instid0(VALU_DEP_3) | instskip(NEXT) | instid1(VALU_DEP_3)
	v_sub_nc_u32_e32 v18, v18, v23
	v_lshrrev_b32_e32 v15, s39, v15
	s_delay_alu instid0(VALU_DEP_2) | instskip(SKIP_2) | instid1(VALU_DEP_4)
	v_mul_lo_u32 v23, v18, s28
	v_mul_lo_u32 v18, v18, s29
	v_sub_nc_u32_e32 v17, v17, v21
	v_mul_lo_u32 v24, v15, s37
	s_delay_alu instid0(VALU_DEP_2) | instskip(SKIP_1) | instid1(VALU_DEP_3)
	v_mul_lo_u32 v21, v17, s26
	v_mul_lo_u32 v17, v17, s27
	v_sub_nc_u32_e32 v19, v19, v24
	s_delay_alu instid0(VALU_DEP_3) | instskip(NEXT) | instid1(VALU_DEP_2)
	v_add3_u32 v10, v20, v10, v21
	v_mul_lo_u32 v24, v19, s30
	v_mul_lo_u32 v19, v19, s31
	v_add3_u32 v11, v22, v11, v17
	s_delay_alu instid0(VALU_DEP_3) | instskip(NEXT) | instid1(VALU_DEP_2)
	v_add3_u32 v10, v23, v10, v24
	v_add3_u32 v11, v18, v11, v19
	s_cbranch_scc1 .LBB263_85
; %bb.86:
	s_and_b32 s7, s7, 3
	s_delay_alu instid0(SALU_CYCLE_1)
	s_cmp_eq_u32 s7, 0
	s_cbranch_scc0 .LBB263_89
	s_branch .LBB263_91
.LBB263_87:
	s_mov_b32 s6, -1
                                        ; implicit-def: $vgpr10
                                        ; implicit-def: $vgpr11
	s_branch .LBB263_91
.LBB263_88:
	v_mov_b32_e32 v15, v13
	v_mov_b32_e32 v11, 0
	s_and_b32 s7, s7, 3
	s_delay_alu instid0(SALU_CYCLE_1)
	s_cmp_eq_u32 s7, 0
	s_cbranch_scc1 .LBB263_91
.LBB263_89:
	s_lshl_b32 s2, s8, 3
	s_mul_i32 s4, s8, 12
	s_add_u32 s2, s2, s0
	s_addc_u32 s3, 0, s1
	s_add_u32 s2, s2, 0xc4
	s_addc_u32 s3, s3, 0
	;; [unrolled: 2-line block ×3, first 2 shown]
	.p2align	6
.LBB263_90:                             ; =>This Inner Loop Header: Depth=1
	s_clause 0x1
	s_load_b64 s[8:9], s[4:5], 0x4
	s_load_b32 s12, s[4:5], 0xc
	s_load_b64 s[10:11], s[2:3], 0x0
	s_add_u32 s4, s4, 12
	s_addc_u32 s5, s5, 0
	s_add_u32 s2, s2, 8
	s_addc_u32 s3, s3, 0
	s_add_i32 s7, s7, -1
	s_delay_alu instid0(SALU_CYCLE_1) | instskip(SKIP_2) | instid1(VALU_DEP_1)
	s_cmp_lg_u32 s7, 0
	s_waitcnt lgkmcnt(0)
	v_mul_hi_u32 v17, s9, v15
	v_add_nc_u32_e32 v17, v15, v17
	s_delay_alu instid0(VALU_DEP_1) | instskip(NEXT) | instid1(VALU_DEP_1)
	v_lshrrev_b32_e32 v20, s12, v17
	v_mul_lo_u32 v17, v20, s8
	s_delay_alu instid0(VALU_DEP_1) | instskip(NEXT) | instid1(VALU_DEP_1)
	v_sub_nc_u32_e32 v15, v15, v17
	v_mad_u64_u32 v[17:18], null, v15, s10, v[10:11]
	v_mad_u64_u32 v[18:19], null, v15, s11, v[11:12]
	s_delay_alu instid0(VALU_DEP_2) | instskip(NEXT) | instid1(VALU_DEP_2)
	v_dual_mov_b32 v15, v20 :: v_dual_mov_b32 v10, v17
	v_mov_b32_e32 v11, v18
	s_cbranch_scc1 .LBB263_90
.LBB263_91:
	s_and_not1_b32 vcc_lo, exec_lo, s6
	s_cbranch_vccnz .LBB263_94
; %bb.92:
	s_clause 0x1
	s_load_b128 s[4:7], s[0:1], 0x4
	s_load_b64 s[2:3], s[0:1], 0xc4
	s_cmp_lt_u32 s22, 2
	s_waitcnt lgkmcnt(0)
	v_mul_hi_u32 v10, s5, v13
	s_delay_alu instid0(VALU_DEP_1) | instskip(NEXT) | instid1(VALU_DEP_1)
	v_add_nc_u32_e32 v10, v13, v10
	v_lshrrev_b32_e32 v15, s6, v10
	s_delay_alu instid0(VALU_DEP_1) | instskip(NEXT) | instid1(VALU_DEP_1)
	v_mul_lo_u32 v10, v15, s4
	v_sub_nc_u32_e32 v11, v13, v10
	s_delay_alu instid0(VALU_DEP_1)
	v_mul_lo_u32 v10, v11, s2
	v_mul_lo_u32 v11, v11, s3
	s_cbranch_scc1 .LBB263_94
; %bb.93:
	s_clause 0x1
	s_load_b128 s[4:7], s[0:1], 0x10
	s_load_b64 s[2:3], s[0:1], 0xcc
	s_waitcnt lgkmcnt(0)
	v_mul_hi_u32 v13, s5, v15
	s_delay_alu instid0(VALU_DEP_1) | instskip(NEXT) | instid1(VALU_DEP_1)
	v_add_nc_u32_e32 v13, v15, v13
	v_lshrrev_b32_e32 v13, s6, v13
	s_delay_alu instid0(VALU_DEP_1) | instskip(NEXT) | instid1(VALU_DEP_1)
	v_mul_lo_u32 v13, v13, s4
	v_sub_nc_u32_e32 v13, v15, v13
	s_delay_alu instid0(VALU_DEP_1) | instskip(SKIP_1) | instid1(VALU_DEP_1)
	v_mad_u64_u32 v[17:18], null, v13, s2, v[10:11]
	v_mad_u64_u32 v[18:19], null, v13, s3, v[11:12]
	v_dual_mov_b32 v10, v17 :: v_dual_mov_b32 v11, v18
.LBB263_94:
	v_cmp_ne_u32_e32 vcc_lo, 1, v14
	v_add_nc_u32_e32 v15, 0x300, v12
	s_cbranch_vccnz .LBB263_100
; %bb.95:
	v_dual_mov_b32 v12, 0 :: v_dual_mov_b32 v13, 0
	s_cmp_lg_u32 s22, 0
	s_mov_b32 s6, 0
	s_cbranch_scc0 .LBB263_104
; %bb.96:
	s_min_u32 s7, s23, 15
	v_mov_b32_e32 v12, 0
	s_add_i32 s7, s7, 1
	s_cmp_eq_u32 s23, 2
	s_mov_b32 s8, 0
	s_cbranch_scc1 .LBB263_101
; %bb.97:
	v_dual_mov_b32 v13, 0 :: v_dual_mov_b32 v12, 0
	v_mov_b32_e32 v17, v15
	s_add_u32 s2, s0, 0xc4
	s_addc_u32 s3, s1, 0
	s_and_b32 s8, s7, 28
	s_mov_b32 s9, 0
	s_mov_b64 s[4:5], s[0:1]
.LBB263_98:                             ; =>This Inner Loop Header: Depth=1
	s_clause 0x1
	s_load_b256 s[12:19], s[4:5], 0x4
	s_load_b128 s[36:39], s[4:5], 0x24
	s_load_b256 s[24:31], s[2:3], 0x0
	s_add_u32 s4, s4, 48
	s_addc_u32 s5, s5, 0
	s_add_i32 s9, s9, 4
	s_add_u32 s2, s2, 32
	s_addc_u32 s3, s3, 0
	s_cmp_lg_u32 s8, s9
	s_waitcnt lgkmcnt(0)
	v_mul_hi_u32 v18, s13, v17
	s_delay_alu instid0(VALU_DEP_1) | instskip(NEXT) | instid1(VALU_DEP_1)
	v_add_nc_u32_e32 v18, v17, v18
	v_lshrrev_b32_e32 v18, s14, v18
	s_delay_alu instid0(VALU_DEP_1) | instskip(SKIP_1) | instid1(VALU_DEP_2)
	v_mul_hi_u32 v19, s16, v18
	v_mul_lo_u32 v21, v18, s12
	v_add_nc_u32_e32 v19, v18, v19
	s_delay_alu instid0(VALU_DEP_2) | instskip(NEXT) | instid1(VALU_DEP_2)
	v_sub_nc_u32_e32 v17, v17, v21
	v_lshrrev_b32_e32 v19, s17, v19
	s_delay_alu instid0(VALU_DEP_2) | instskip(SKIP_1) | instid1(VALU_DEP_3)
	v_mul_lo_u32 v21, v17, s24
	v_mul_lo_u32 v23, v17, s25
	v_mul_hi_u32 v20, s19, v19
	s_delay_alu instid0(VALU_DEP_1) | instskip(NEXT) | instid1(VALU_DEP_1)
	v_add_nc_u32_e32 v20, v19, v20
	v_lshrrev_b32_e32 v20, s36, v20
	s_delay_alu instid0(VALU_DEP_1) | instskip(SKIP_1) | instid1(VALU_DEP_2)
	v_mul_hi_u32 v22, s38, v20
	v_mul_lo_u32 v24, v20, s18
	v_add_nc_u32_e32 v17, v20, v22
	v_mul_lo_u32 v22, v19, s15
	s_delay_alu instid0(VALU_DEP_3) | instskip(NEXT) | instid1(VALU_DEP_3)
	v_sub_nc_u32_e32 v19, v19, v24
	v_lshrrev_b32_e32 v17, s39, v17
	s_delay_alu instid0(VALU_DEP_2) | instskip(SKIP_2) | instid1(VALU_DEP_4)
	v_mul_lo_u32 v24, v19, s28
	v_mul_lo_u32 v19, v19, s29
	v_sub_nc_u32_e32 v18, v18, v22
	v_mul_lo_u32 v25, v17, s37
	s_delay_alu instid0(VALU_DEP_2) | instskip(SKIP_1) | instid1(VALU_DEP_3)
	v_mul_lo_u32 v22, v18, s26
	v_mul_lo_u32 v18, v18, s27
	v_sub_nc_u32_e32 v20, v20, v25
	s_delay_alu instid0(VALU_DEP_3) | instskip(NEXT) | instid1(VALU_DEP_2)
	v_add3_u32 v12, v21, v12, v22
	v_mul_lo_u32 v25, v20, s30
	v_mul_lo_u32 v20, v20, s31
	v_add3_u32 v13, v23, v13, v18
	s_delay_alu instid0(VALU_DEP_3) | instskip(NEXT) | instid1(VALU_DEP_2)
	v_add3_u32 v12, v24, v12, v25
	v_add3_u32 v13, v19, v13, v20
	s_cbranch_scc1 .LBB263_98
; %bb.99:
	s_and_b32 s7, s7, 3
	s_delay_alu instid0(SALU_CYCLE_1)
	s_cmp_eq_u32 s7, 0
	s_cbranch_scc0 .LBB263_102
	s_branch .LBB263_104
.LBB263_100:
	s_mov_b32 s6, -1
                                        ; implicit-def: $vgpr12
                                        ; implicit-def: $vgpr13
	s_branch .LBB263_104
.LBB263_101:
	v_mov_b32_e32 v17, v15
	v_mov_b32_e32 v13, 0
	s_and_b32 s7, s7, 3
	s_delay_alu instid0(SALU_CYCLE_1)
	s_cmp_eq_u32 s7, 0
	s_cbranch_scc1 .LBB263_104
.LBB263_102:
	s_lshl_b32 s2, s8, 3
	s_mul_i32 s4, s8, 12
	s_add_u32 s2, s2, s0
	s_addc_u32 s3, 0, s1
	s_add_u32 s2, s2, 0xc4
	s_addc_u32 s3, s3, 0
	;; [unrolled: 2-line block ×3, first 2 shown]
	.p2align	6
.LBB263_103:                            ; =>This Inner Loop Header: Depth=1
	s_clause 0x1
	s_load_b64 s[8:9], s[4:5], 0x4
	s_load_b32 s12, s[4:5], 0xc
	s_load_b64 s[10:11], s[2:3], 0x0
	s_add_u32 s4, s4, 12
	s_addc_u32 s5, s5, 0
	s_add_u32 s2, s2, 8
	s_addc_u32 s3, s3, 0
	s_add_i32 s7, s7, -1
	s_delay_alu instid0(SALU_CYCLE_1) | instskip(SKIP_2) | instid1(VALU_DEP_1)
	s_cmp_lg_u32 s7, 0
	s_waitcnt lgkmcnt(0)
	v_mul_hi_u32 v18, s9, v17
	v_add_nc_u32_e32 v18, v17, v18
	s_delay_alu instid0(VALU_DEP_1) | instskip(NEXT) | instid1(VALU_DEP_1)
	v_lshrrev_b32_e32 v21, s12, v18
	v_mul_lo_u32 v18, v21, s8
	s_delay_alu instid0(VALU_DEP_1) | instskip(NEXT) | instid1(VALU_DEP_1)
	v_sub_nc_u32_e32 v17, v17, v18
	v_mad_u64_u32 v[18:19], null, v17, s10, v[12:13]
	v_mad_u64_u32 v[19:20], null, v17, s11, v[13:14]
	s_delay_alu instid0(VALU_DEP_2) | instskip(NEXT) | instid1(VALU_DEP_2)
	v_dual_mov_b32 v17, v21 :: v_dual_mov_b32 v12, v18
	v_mov_b32_e32 v13, v19
	s_cbranch_scc1 .LBB263_103
.LBB263_104:
	s_and_not1_b32 vcc_lo, exec_lo, s6
	s_cbranch_vccnz .LBB263_107
; %bb.105:
	s_clause 0x1
	s_load_b128 s[4:7], s[0:1], 0x4
	s_load_b64 s[2:3], s[0:1], 0xc4
	s_cmp_lt_u32 s22, 2
	s_waitcnt lgkmcnt(0)
	v_mul_hi_u32 v12, s5, v15
	s_delay_alu instid0(VALU_DEP_1) | instskip(NEXT) | instid1(VALU_DEP_1)
	v_add_nc_u32_e32 v12, v15, v12
	v_lshrrev_b32_e32 v17, s6, v12
	s_delay_alu instid0(VALU_DEP_1) | instskip(NEXT) | instid1(VALU_DEP_1)
	v_mul_lo_u32 v12, v17, s4
	v_sub_nc_u32_e32 v13, v15, v12
	s_delay_alu instid0(VALU_DEP_1)
	v_mul_lo_u32 v12, v13, s2
	v_mul_lo_u32 v13, v13, s3
	s_cbranch_scc1 .LBB263_107
; %bb.106:
	s_clause 0x1
	s_load_b128 s[4:7], s[0:1], 0x10
	s_load_b64 s[2:3], s[0:1], 0xcc
	s_waitcnt lgkmcnt(0)
	v_mul_hi_u32 v15, s5, v17
	s_delay_alu instid0(VALU_DEP_1) | instskip(NEXT) | instid1(VALU_DEP_1)
	v_add_nc_u32_e32 v15, v17, v15
	v_lshrrev_b32_e32 v15, s6, v15
	s_delay_alu instid0(VALU_DEP_1) | instskip(NEXT) | instid1(VALU_DEP_1)
	v_mul_lo_u32 v15, v15, s4
	v_sub_nc_u32_e32 v15, v17, v15
	s_delay_alu instid0(VALU_DEP_1) | instskip(SKIP_1) | instid1(VALU_DEP_1)
	v_mad_u64_u32 v[17:18], null, v15, s2, v[12:13]
	v_mad_u64_u32 v[18:19], null, v15, s3, v[13:14]
	v_dual_mov_b32 v12, v17 :: v_dual_mov_b32 v13, v18
.LBB263_107:
	v_cmp_ne_u32_e32 vcc_lo, 1, v14
	s_cbranch_vccnz .LBB263_113
; %bb.108:
	v_dual_mov_b32 v14, 0 :: v_dual_mov_b32 v15, 0
	s_cmp_lg_u32 s22, 0
	s_mov_b32 s6, 0
	s_cbranch_scc0 .LBB263_117
; %bb.109:
	s_min_u32 s7, s23, 15
	v_mov_b32_e32 v14, 0
	s_add_i32 s7, s7, 1
	s_cmp_eq_u32 s23, 2
	s_mov_b32 s8, 0
	s_cbranch_scc1 .LBB263_114
; %bb.110:
	v_dual_mov_b32 v15, 0 :: v_dual_mov_b32 v14, 0
	v_mov_b32_e32 v17, v16
	s_add_u32 s2, s0, 0xc4
	s_addc_u32 s3, s1, 0
	s_and_b32 s8, s7, 28
	s_mov_b32 s9, 0
	s_mov_b64 s[4:5], s[0:1]
.LBB263_111:                            ; =>This Inner Loop Header: Depth=1
	s_clause 0x1
	s_load_b256 s[12:19], s[4:5], 0x4
	s_load_b128 s[36:39], s[4:5], 0x24
	s_load_b256 s[24:31], s[2:3], 0x0
	s_add_u32 s4, s4, 48
	s_addc_u32 s5, s5, 0
	s_add_i32 s9, s9, 4
	s_add_u32 s2, s2, 32
	s_addc_u32 s3, s3, 0
	s_cmp_lg_u32 s8, s9
	s_waitcnt lgkmcnt(0)
	v_mul_hi_u32 v18, s13, v17
	s_delay_alu instid0(VALU_DEP_1) | instskip(NEXT) | instid1(VALU_DEP_1)
	v_add_nc_u32_e32 v18, v17, v18
	v_lshrrev_b32_e32 v18, s14, v18
	s_delay_alu instid0(VALU_DEP_1) | instskip(SKIP_1) | instid1(VALU_DEP_2)
	v_mul_hi_u32 v19, s16, v18
	v_mul_lo_u32 v21, v18, s12
	v_add_nc_u32_e32 v19, v18, v19
	s_delay_alu instid0(VALU_DEP_2) | instskip(NEXT) | instid1(VALU_DEP_2)
	v_sub_nc_u32_e32 v17, v17, v21
	v_lshrrev_b32_e32 v19, s17, v19
	s_delay_alu instid0(VALU_DEP_2) | instskip(SKIP_1) | instid1(VALU_DEP_3)
	v_mul_lo_u32 v21, v17, s24
	v_mul_lo_u32 v23, v17, s25
	v_mul_hi_u32 v20, s19, v19
	s_delay_alu instid0(VALU_DEP_1) | instskip(NEXT) | instid1(VALU_DEP_1)
	v_add_nc_u32_e32 v20, v19, v20
	v_lshrrev_b32_e32 v20, s36, v20
	s_delay_alu instid0(VALU_DEP_1) | instskip(SKIP_1) | instid1(VALU_DEP_2)
	v_mul_hi_u32 v22, s38, v20
	v_mul_lo_u32 v24, v20, s18
	v_add_nc_u32_e32 v17, v20, v22
	v_mul_lo_u32 v22, v19, s15
	s_delay_alu instid0(VALU_DEP_3) | instskip(NEXT) | instid1(VALU_DEP_3)
	v_sub_nc_u32_e32 v19, v19, v24
	v_lshrrev_b32_e32 v17, s39, v17
	s_delay_alu instid0(VALU_DEP_2) | instskip(SKIP_2) | instid1(VALU_DEP_4)
	v_mul_lo_u32 v24, v19, s28
	v_mul_lo_u32 v19, v19, s29
	v_sub_nc_u32_e32 v18, v18, v22
	v_mul_lo_u32 v25, v17, s37
	s_delay_alu instid0(VALU_DEP_2) | instskip(SKIP_1) | instid1(VALU_DEP_3)
	v_mul_lo_u32 v22, v18, s26
	v_mul_lo_u32 v18, v18, s27
	v_sub_nc_u32_e32 v20, v20, v25
	s_delay_alu instid0(VALU_DEP_3) | instskip(NEXT) | instid1(VALU_DEP_2)
	v_add3_u32 v14, v21, v14, v22
	v_mul_lo_u32 v25, v20, s30
	v_mul_lo_u32 v20, v20, s31
	v_add3_u32 v15, v23, v15, v18
	s_delay_alu instid0(VALU_DEP_3) | instskip(NEXT) | instid1(VALU_DEP_2)
	v_add3_u32 v14, v24, v14, v25
	v_add3_u32 v15, v19, v15, v20
	s_cbranch_scc1 .LBB263_111
; %bb.112:
	s_and_b32 s7, s7, 3
	s_delay_alu instid0(SALU_CYCLE_1)
	s_cmp_eq_u32 s7, 0
	s_cbranch_scc0 .LBB263_115
	s_branch .LBB263_117
.LBB263_113:
	s_mov_b32 s6, -1
                                        ; implicit-def: $vgpr14
                                        ; implicit-def: $vgpr15
	s_branch .LBB263_117
.LBB263_114:
	v_mov_b32_e32 v17, v16
	v_mov_b32_e32 v15, 0
	s_and_b32 s7, s7, 3
	s_delay_alu instid0(SALU_CYCLE_1)
	s_cmp_eq_u32 s7, 0
	s_cbranch_scc1 .LBB263_117
.LBB263_115:
	s_lshl_b32 s2, s8, 3
	s_mul_i32 s4, s8, 12
	s_add_u32 s2, s2, s0
	s_addc_u32 s3, 0, s1
	s_add_u32 s2, s2, 0xc4
	s_addc_u32 s3, s3, 0
	;; [unrolled: 2-line block ×3, first 2 shown]
	.p2align	6
.LBB263_116:                            ; =>This Inner Loop Header: Depth=1
	s_clause 0x1
	s_load_b64 s[8:9], s[4:5], 0x4
	s_load_b32 s12, s[4:5], 0xc
	s_load_b64 s[10:11], s[2:3], 0x0
	s_add_u32 s4, s4, 12
	s_addc_u32 s5, s5, 0
	s_add_u32 s2, s2, 8
	s_addc_u32 s3, s3, 0
	s_add_i32 s7, s7, -1
	s_delay_alu instid0(SALU_CYCLE_1) | instskip(SKIP_2) | instid1(VALU_DEP_1)
	s_cmp_lg_u32 s7, 0
	s_waitcnt lgkmcnt(0)
	v_mul_hi_u32 v18, s9, v17
	v_add_nc_u32_e32 v18, v17, v18
	s_delay_alu instid0(VALU_DEP_1) | instskip(NEXT) | instid1(VALU_DEP_1)
	v_lshrrev_b32_e32 v21, s12, v18
	v_mul_lo_u32 v18, v21, s8
	s_delay_alu instid0(VALU_DEP_1) | instskip(NEXT) | instid1(VALU_DEP_1)
	v_sub_nc_u32_e32 v17, v17, v18
	v_mad_u64_u32 v[18:19], null, v17, s10, v[14:15]
	v_mad_u64_u32 v[19:20], null, v17, s11, v[15:16]
	s_delay_alu instid0(VALU_DEP_2) | instskip(NEXT) | instid1(VALU_DEP_2)
	v_dual_mov_b32 v17, v21 :: v_dual_mov_b32 v14, v18
	v_mov_b32_e32 v15, v19
	s_cbranch_scc1 .LBB263_116
.LBB263_117:
	s_and_not1_b32 vcc_lo, exec_lo, s6
	s_cbranch_vccnz .LBB263_120
; %bb.118:
	s_clause 0x1
	s_load_b128 s[4:7], s[0:1], 0x4
	s_load_b64 s[2:3], s[0:1], 0xc4
	s_cmp_lt_u32 s22, 2
	s_waitcnt lgkmcnt(0)
	v_mul_hi_u32 v14, s5, v16
	s_delay_alu instid0(VALU_DEP_1) | instskip(NEXT) | instid1(VALU_DEP_1)
	v_add_nc_u32_e32 v14, v16, v14
	v_lshrrev_b32_e32 v17, s6, v14
	s_delay_alu instid0(VALU_DEP_1) | instskip(NEXT) | instid1(VALU_DEP_1)
	v_mul_lo_u32 v14, v17, s4
	v_sub_nc_u32_e32 v15, v16, v14
	s_delay_alu instid0(VALU_DEP_1)
	v_mul_lo_u32 v14, v15, s2
	v_mul_lo_u32 v15, v15, s3
	s_cbranch_scc1 .LBB263_120
; %bb.119:
	s_clause 0x1
	s_load_b128 s[4:7], s[0:1], 0x10
	s_load_b64 s[2:3], s[0:1], 0xcc
	s_waitcnt lgkmcnt(0)
	v_mul_hi_u32 v16, s5, v17
	s_delay_alu instid0(VALU_DEP_1) | instskip(NEXT) | instid1(VALU_DEP_1)
	v_add_nc_u32_e32 v16, v17, v16
	v_lshrrev_b32_e32 v16, s6, v16
	s_delay_alu instid0(VALU_DEP_1) | instskip(NEXT) | instid1(VALU_DEP_1)
	v_mul_lo_u32 v16, v16, s4
	v_sub_nc_u32_e32 v19, v17, v16
	s_delay_alu instid0(VALU_DEP_1) | instskip(NEXT) | instid1(VALU_DEP_1)
	v_mad_u64_u32 v[16:17], null, v19, s2, v[14:15]
	v_mad_u64_u32 v[17:18], null, v19, s3, v[15:16]
	s_delay_alu instid0(VALU_DEP_1)
	v_dual_mov_b32 v14, v16 :: v_dual_mov_b32 v15, v17
.LBB263_120:
	s_load_b128 s[8:11], s[0:1], 0x148
	s_waitcnt lgkmcnt(0)
	s_clause 0x7
	global_load_u16 v1, v1, s[10:11]
	global_load_u16 v3, v3, s[10:11]
	;; [unrolled: 1-line block ×8, first 2 shown]
	s_waitcnt vmcnt(7)
	v_cvt_f32_f16_e32 v1, v1
	s_waitcnt vmcnt(6)
	v_cvt_f32_f16_e32 v3, v3
	;; [unrolled: 2-line block ×7, first 2 shown]
	v_dual_mul_f32 v18, 0x4f800000, v5 :: v_dual_mul_f32 v19, 0x4f800000, v7
	v_cmp_gt_f32_e64 s1, 0xf800000, v5
	s_waitcnt vmcnt(0)
	v_cvt_f32_f16_e32 v15, v15
	v_dual_mul_f32 v16, 0x4f800000, v1 :: v_dual_mul_f32 v17, 0x4f800000, v3
	v_cmp_gt_f32_e32 vcc_lo, 0xf800000, v1
	v_cndmask_b32_e64 v5, v5, v18, s1
	v_cmp_gt_f32_e64 s2, 0xf800000, v7
	v_dual_mul_f32 v20, 0x4f800000, v9 :: v_dual_mul_f32 v21, 0x4f800000, v11
	v_dual_mul_f32 v22, 0x4f800000, v13 :: v_dual_mul_f32 v23, 0x4f800000, v15
	s_delay_alu instid0(VALU_DEP_4)
	v_rsq_f32_e32 v18, v5
	v_cndmask_b32_e32 v1, v1, v16, vcc_lo
	v_cmp_gt_f32_e64 s0, 0xf800000, v3
	v_cndmask_b32_e64 v7, v7, v19, s2
	v_cmp_gt_f32_e64 s3, 0xf800000, v9
	v_cmp_gt_f32_e64 s4, 0xf800000, v11
	;; [unrolled: 1-line block ×4, first 2 shown]
	v_cndmask_b32_e64 v3, v3, v17, s0
	v_cndmask_b32_e64 v9, v9, v20, s3
	;; [unrolled: 1-line block ×5, first 2 shown]
	v_rsq_f32_e32 v19, v7
	v_mul_f32_e32 v26, v5, v18
	v_mul_f32_e32 v18, 0.5, v18
	v_rsq_f32_e32 v16, v1
	v_rsq_f32_e32 v17, v3
	;; [unrolled: 1-line block ×6, first 2 shown]
	v_mul_f32_e32 v27, v7, v19
	v_mul_f32_e32 v19, 0.5, v19
	v_fma_f32 v34, -v18, v26, 0.5
	v_dual_mul_f32 v24, v1, v16 :: v_dual_mul_f32 v25, v3, v17
	v_dual_mul_f32 v16, 0.5, v16 :: v_dual_mul_f32 v17, 0.5, v17
	v_mul_f32_e32 v28, v9, v20
	s_delay_alu instid0(TRANS32_DEP_3) | instskip(NEXT) | instid1(TRANS32_DEP_2)
	v_dual_mul_f32 v20, 0.5, v20 :: v_dual_mul_f32 v29, v11, v21
	v_dual_mul_f32 v21, 0.5, v21 :: v_dual_mul_f32 v30, v13, v22
	s_delay_alu instid0(TRANS32_DEP_1) | instskip(SKIP_3) | instid1(VALU_DEP_4)
	v_dual_mul_f32 v22, 0.5, v22 :: v_dual_mul_f32 v31, v15, v23
	v_fma_f32 v32, -v16, v24, 0.5
	v_mul_f32_e32 v23, 0.5, v23
	v_fma_f32 v33, -v17, v25, 0.5
	v_fma_f32 v38, -v22, v30, 0.5
	;; [unrolled: 1-line block ×3, first 2 shown]
	v_fmac_f32_e32 v24, v24, v32
	v_fma_f32 v39, -v23, v31, 0.5
	v_dual_fmac_f32 v16, v16, v32 :: v_dual_fmac_f32 v25, v25, v33
	v_fmac_f32_e32 v22, v22, v38
	s_delay_alu instid0(VALU_DEP_4) | instskip(NEXT) | instid1(VALU_DEP_4)
	v_fma_f32 v32, -v24, v24, v1
	v_fmac_f32_e32 v31, v31, v39
	v_dual_fmac_f32 v17, v17, v33 :: v_dual_fmac_f32 v26, v26, v34
	s_delay_alu instid0(VALU_DEP_3) | instskip(SKIP_1) | instid1(VALU_DEP_4)
	v_dual_fmac_f32 v23, v23, v39 :: v_dual_fmac_f32 v24, v32, v16
	v_fma_f32 v33, -v25, v25, v3
	v_fma_f32 v39, -v31, v31, v15
	v_fma_f32 v36, -v20, v28, 0.5
	v_dual_fmac_f32 v18, v18, v34 :: v_dual_fmac_f32 v27, v27, v35
	v_fma_f32 v34, -v26, v26, v5
	v_fmac_f32_e32 v25, v33, v17
	v_dual_fmac_f32 v31, v39, v23 :: v_dual_mul_f32 v16, 0x37800000, v24
	v_fma_f32 v37, -v21, v29, 0.5
	v_dual_fmac_f32 v19, v19, v35 :: v_dual_fmac_f32 v28, v28, v36
	v_fma_f32 v35, -v27, v27, v7
	v_dual_fmac_f32 v26, v34, v18 :: v_dual_mul_f32 v17, 0x37800000, v25
	v_dual_mul_f32 v23, 0x37800000, v31 :: v_dual_cndmask_b32 v16, v24, v16
	v_cmp_class_f32_e64 vcc_lo, v1, 0x260
	v_dual_fmac_f32 v20, v20, v36 :: v_dual_fmac_f32 v29, v29, v37
	v_fma_f32 v36, -v28, v28, v9
	v_dual_fmac_f32 v27, v35, v19 :: v_dual_mul_f32 v18, 0x37800000, v26
	v_cndmask_b32_e64 v17, v25, v17, s0
	v_cndmask_b32_e32 v1, v16, v1, vcc_lo
	s_delay_alu instid0(VALU_DEP_4) | instskip(SKIP_3) | instid1(VALU_DEP_4)
	v_fmac_f32_e32 v28, v36, v20
	v_cmp_class_f32_e64 vcc_lo, v3, 0x260
	v_dual_fmac_f32 v21, v21, v37 :: v_dual_fmac_f32 v30, v30, v38
	v_fma_f32 v37, -v29, v29, v11
	v_dual_mul_f32 v19, 0x37800000, v27 :: v_dual_mul_f32 v20, 0x37800000, v28
	v_cndmask_b32_e64 v18, v26, v18, s1
	v_cndmask_b32_e32 v3, v17, v3, vcc_lo
	v_cmp_class_f32_e64 vcc_lo, v5, 0x260
	v_fma_f32 v38, -v30, v30, v13
	v_fmac_f32_e32 v29, v37, v21
	v_cndmask_b32_e64 v19, v27, v19, s2
	v_cndmask_b32_e64 v20, v28, v20, s3
	v_cndmask_b32_e32 v5, v18, v5, vcc_lo
	v_fmac_f32_e32 v30, v38, v22
	v_cmp_class_f32_e64 vcc_lo, v7, 0x260
	v_mul_f32_e32 v21, 0x37800000, v29
	v_cndmask_b32_e64 v23, v31, v23, s6
	v_cvt_f16_f32_e32 v1, v1
	v_dual_mul_f32 v22, 0x37800000, v30 :: v_dual_cndmask_b32 v7, v19, v7
	v_cmp_class_f32_e64 vcc_lo, v9, 0x260
	v_cndmask_b32_e64 v21, v29, v21, s4
	v_cvt_f16_f32_e32 v3, v3
	s_delay_alu instid0(VALU_DEP_4) | instskip(SKIP_4) | instid1(VALU_DEP_3)
	v_cndmask_b32_e64 v22, v30, v22, s5
	v_cvt_f16_f32_e32 v5, v5
	v_cndmask_b32_e32 v9, v20, v9, vcc_lo
	v_cmp_class_f32_e64 vcc_lo, v11, 0x260
	v_cvt_f16_f32_e32 v7, v7
	v_cvt_f16_f32_e32 v9, v9
	v_cndmask_b32_e32 v11, v21, v11, vcc_lo
	v_cmp_class_f32_e64 vcc_lo, v13, 0x260
	s_delay_alu instid0(VALU_DEP_2) | instskip(SKIP_2) | instid1(VALU_DEP_2)
	v_cvt_f16_f32_e32 v11, v11
	v_cndmask_b32_e32 v13, v22, v13, vcc_lo
	v_cmp_class_f32_e64 vcc_lo, v15, 0x260
	v_cvt_f16_f32_e32 v13, v13
	v_cndmask_b32_e32 v15, v23, v15, vcc_lo
	s_delay_alu instid0(VALU_DEP_1)
	v_cvt_f16_f32_e32 v15, v15
	s_clause 0x7
	global_store_b16 v0, v1, s[8:9]
	global_store_b16 v2, v3, s[8:9]
	;; [unrolled: 1-line block ×8, first 2 shown]
	s_nop 0
	s_sendmsg sendmsg(MSG_DEALLOC_VGPRS)
	s_endpgm
.LBB263_121:
	v_dual_mov_b32 v2, v12 :: v_dual_mov_b32 v1, 0
.LBB263_122:
	s_and_b32 s34, s34, 3
	s_delay_alu instid0(SALU_CYCLE_1)
	s_cmp_eq_u32 s34, 0
	s_cbranch_scc1 .LBB263_125
; %bb.123:
	s_lshl_b32 s18, s33, 3
	s_mul_i32 s20, s33, 12
	s_add_u32 s18, s18, s0
	s_addc_u32 s19, s1, 0
	s_add_u32 s18, s18, 0xc4
	s_addc_u32 s19, s19, 0
	;; [unrolled: 2-line block ×3, first 2 shown]
	.p2align	6
.LBB263_124:                            ; =>This Inner Loop Header: Depth=1
	s_clause 0x1
	s_load_b64 s[36:37], s[20:21], 0x4
	s_load_b32 s33, s[20:21], 0xc
	s_load_b64 s[38:39], s[18:19], 0x0
	s_add_u32 s20, s20, 12
	s_addc_u32 s21, s21, 0
	s_add_u32 s18, s18, 8
	s_addc_u32 s19, s19, 0
	s_add_i32 s34, s34, -1
	s_delay_alu instid0(SALU_CYCLE_1) | instskip(SKIP_2) | instid1(VALU_DEP_1)
	s_cmp_lg_u32 s34, 0
	s_waitcnt lgkmcnt(0)
	v_mul_hi_u32 v3, s37, v2
	v_add_nc_u32_e32 v3, v2, v3
	s_delay_alu instid0(VALU_DEP_1) | instskip(NEXT) | instid1(VALU_DEP_1)
	v_lshrrev_b32_e32 v6, s33, v3
	v_mul_lo_u32 v3, v6, s36
	s_delay_alu instid0(VALU_DEP_1) | instskip(NEXT) | instid1(VALU_DEP_1)
	v_sub_nc_u32_e32 v2, v2, v3
	v_mad_u64_u32 v[3:4], null, v2, s38, v[0:1]
	v_mad_u64_u32 v[4:5], null, v2, s39, v[1:2]
	v_mov_b32_e32 v2, v6
	s_delay_alu instid0(VALU_DEP_2)
	v_dual_mov_b32 v0, v3 :: v_dual_mov_b32 v1, v4
	s_cbranch_scc1 .LBB263_124
.LBB263_125:
	s_and_not1_b32 vcc_lo, exec_lo, s31
	s_cbranch_vccnz .LBB263_128
; %bb.126:
	s_waitcnt lgkmcnt(0)
	v_mul_hi_u32 v0, s13, v12
	s_and_not1_b32 vcc_lo, exec_lo, s26
	s_delay_alu instid0(VALU_DEP_1) | instskip(NEXT) | instid1(VALU_DEP_1)
	v_add_nc_u32_e32 v0, v12, v0
	v_lshrrev_b32_e32 v2, s14, v0
	s_delay_alu instid0(VALU_DEP_1) | instskip(NEXT) | instid1(VALU_DEP_1)
	v_mul_lo_u32 v0, v2, s12
	v_sub_nc_u32_e32 v1, v12, v0
	s_delay_alu instid0(VALU_DEP_1)
	v_mul_lo_u32 v0, v1, s8
	v_mul_lo_u32 v1, v1, s9
	s_cbranch_vccnz .LBB263_128
; %bb.127:
	v_mul_hi_u32 v3, s2, v2
	s_delay_alu instid0(VALU_DEP_1) | instskip(NEXT) | instid1(VALU_DEP_1)
	v_add_nc_u32_e32 v3, v2, v3
	v_lshrrev_b32_e32 v3, s3, v3
	s_delay_alu instid0(VALU_DEP_1) | instskip(NEXT) | instid1(VALU_DEP_1)
	v_mul_lo_u32 v3, v3, s15
	v_sub_nc_u32_e32 v5, v2, v3
	s_delay_alu instid0(VALU_DEP_1) | instskip(NEXT) | instid1(VALU_DEP_1)
	v_mad_u64_u32 v[2:3], null, v5, s10, v[0:1]
	v_mad_u64_u32 v[3:4], null, v5, s11, v[1:2]
	s_delay_alu instid0(VALU_DEP_1)
	v_dual_mov_b32 v0, v2 :: v_dual_mov_b32 v1, v3
.LBB263_128:
	s_waitcnt lgkmcnt(0)
	global_load_u16 v1, v1, s[6:7]
	v_add_nc_u32_e32 v12, 0x80, v12
	s_waitcnt vmcnt(0)
	v_cvt_f32_f16_e32 v1, v1
	s_delay_alu instid0(VALU_DEP_1) | instskip(SKIP_1) | instid1(VALU_DEP_2)
	v_mul_f32_e32 v2, 0x4f800000, v1
	v_cmp_gt_f32_e32 vcc_lo, 0xf800000, v1
	v_cndmask_b32_e32 v1, v1, v2, vcc_lo
	s_delay_alu instid0(VALU_DEP_1) | instskip(SKIP_3) | instid1(VALU_DEP_1)
	v_rsq_f32_e32 v2, v1
	s_waitcnt_depctr 0xfff
	v_mul_f32_e32 v3, v1, v2
	v_mul_f32_e32 v2, 0.5, v2
	v_fma_f32 v4, -v2, v3, 0.5
	s_delay_alu instid0(VALU_DEP_1) | instskip(SKIP_1) | instid1(VALU_DEP_2)
	v_fmac_f32_e32 v3, v3, v4
	v_fmac_f32_e32 v2, v2, v4
	v_fma_f32 v5, -v3, v3, v1
	s_delay_alu instid0(VALU_DEP_1) | instskip(NEXT) | instid1(VALU_DEP_1)
	v_fmac_f32_e32 v3, v5, v2
	v_mul_f32_e32 v2, 0x37800000, v3
	s_delay_alu instid0(VALU_DEP_1) | instskip(SKIP_1) | instid1(VALU_DEP_2)
	v_cndmask_b32_e32 v2, v3, v2, vcc_lo
	v_cmp_class_f32_e64 vcc_lo, v1, 0x260
	v_cndmask_b32_e32 v1, v2, v1, vcc_lo
	s_delay_alu instid0(VALU_DEP_1) | instskip(SKIP_2) | instid1(SALU_CYCLE_1)
	v_cvt_f16_f32_e32 v1, v1
	global_store_b16 v0, v1, s[4:5]
	s_or_b32 exec_lo, exec_lo, s30
	s_mov_b32 s30, exec_lo
	v_cmpx_gt_i32_e64 s27, v12
	s_cbranch_execnz .LBB263_15
.LBB263_129:
	s_or_b32 exec_lo, exec_lo, s30
	s_delay_alu instid0(SALU_CYCLE_1)
	s_mov_b32 s30, exec_lo
	v_cmpx_gt_i32_e64 s27, v12
	s_cbranch_execz .LBB263_144
.LBB263_130:
	s_and_not1_b32 vcc_lo, exec_lo, s24
	s_cbranch_vccnz .LBB263_135
; %bb.131:
	v_dual_mov_b32 v0, 0 :: v_dual_mov_b32 v1, 0
	s_and_not1_b32 vcc_lo, exec_lo, s29
	s_mov_b32 s31, 0
	s_cbranch_vccnz .LBB263_155
; %bb.132:
	v_mov_b32_e32 v0, 0
	s_add_i32 s34, s28, 1
	s_cmp_eq_u32 s23, 2
	s_mov_b32 s33, 0
	s_cbranch_scc1 .LBB263_151
; %bb.133:
	v_dual_mov_b32 v1, 0 :: v_dual_mov_b32 v0, 0
	v_mov_b32_e32 v2, v12
	s_and_b32 s33, s34, 28
	s_mov_b32 s35, 0
	s_mov_b64 s[18:19], s[16:17]
	s_mov_b64 s[20:21], s[0:1]
.LBB263_134:                            ; =>This Inner Loop Header: Depth=1
	s_clause 0x1
	s_load_b256 s[36:43], s[20:21], 0x4
	s_load_b128 s[52:55], s[20:21], 0x24
	s_load_b256 s[44:51], s[18:19], 0x0
	s_add_u32 s20, s20, 48
	s_addc_u32 s21, s21, 0
	s_add_i32 s35, s35, 4
	s_add_u32 s18, s18, 32
	s_addc_u32 s19, s19, 0
	s_cmp_eq_u32 s33, s35
	s_waitcnt lgkmcnt(0)
	v_mul_hi_u32 v3, s37, v2
	s_delay_alu instid0(VALU_DEP_1) | instskip(NEXT) | instid1(VALU_DEP_1)
	v_add_nc_u32_e32 v3, v2, v3
	v_lshrrev_b32_e32 v3, s38, v3
	s_delay_alu instid0(VALU_DEP_1) | instskip(SKIP_1) | instid1(VALU_DEP_2)
	v_mul_hi_u32 v4, s40, v3
	v_mul_lo_u32 v6, v3, s36
	v_add_nc_u32_e32 v4, v3, v4
	s_delay_alu instid0(VALU_DEP_2) | instskip(NEXT) | instid1(VALU_DEP_2)
	v_sub_nc_u32_e32 v2, v2, v6
	v_lshrrev_b32_e32 v4, s41, v4
	s_delay_alu instid0(VALU_DEP_2) | instskip(SKIP_1) | instid1(VALU_DEP_3)
	v_mul_lo_u32 v6, v2, s44
	v_mul_lo_u32 v8, v2, s45
	v_mul_hi_u32 v5, s43, v4
	s_delay_alu instid0(VALU_DEP_1) | instskip(NEXT) | instid1(VALU_DEP_1)
	v_add_nc_u32_e32 v5, v4, v5
	v_lshrrev_b32_e32 v5, s52, v5
	s_delay_alu instid0(VALU_DEP_1) | instskip(SKIP_1) | instid1(VALU_DEP_2)
	v_mul_hi_u32 v7, s54, v5
	v_mul_lo_u32 v9, v5, s42
	v_add_nc_u32_e32 v2, v5, v7
	v_mul_lo_u32 v7, v4, s39
	s_delay_alu instid0(VALU_DEP_3) | instskip(NEXT) | instid1(VALU_DEP_3)
	v_sub_nc_u32_e32 v4, v4, v9
	v_lshrrev_b32_e32 v2, s55, v2
	s_delay_alu instid0(VALU_DEP_2) | instskip(SKIP_2) | instid1(VALU_DEP_4)
	v_mul_lo_u32 v9, v4, s48
	v_mul_lo_u32 v4, v4, s49
	v_sub_nc_u32_e32 v3, v3, v7
	v_mul_lo_u32 v10, v2, s53
	s_delay_alu instid0(VALU_DEP_2) | instskip(SKIP_1) | instid1(VALU_DEP_3)
	v_mul_lo_u32 v7, v3, s46
	v_mul_lo_u32 v3, v3, s47
	v_sub_nc_u32_e32 v5, v5, v10
	s_delay_alu instid0(VALU_DEP_3) | instskip(NEXT) | instid1(VALU_DEP_2)
	v_add3_u32 v0, v6, v0, v7
	v_mul_lo_u32 v10, v5, s50
	v_mul_lo_u32 v5, v5, s51
	v_add3_u32 v1, v8, v1, v3
	s_delay_alu instid0(VALU_DEP_3) | instskip(NEXT) | instid1(VALU_DEP_2)
	v_add3_u32 v0, v9, v0, v10
	v_add3_u32 v1, v4, v1, v5
	s_cbranch_scc0 .LBB263_134
	s_branch .LBB263_152
.LBB263_135:
	s_mov_b32 s31, -1
                                        ; implicit-def: $vgpr0
                                        ; implicit-def: $vgpr1
	s_branch .LBB263_155
.LBB263_136:
	v_dual_mov_b32 v2, v12 :: v_dual_mov_b32 v1, 0
.LBB263_137:
	s_and_b32 s34, s34, 3
	s_delay_alu instid0(SALU_CYCLE_1)
	s_cmp_eq_u32 s34, 0
	s_cbranch_scc1 .LBB263_140
; %bb.138:
	s_lshl_b32 s18, s33, 3
	s_mul_i32 s20, s33, 12
	s_add_u32 s18, s18, s0
	s_addc_u32 s19, s1, 0
	s_add_u32 s18, s18, 0xc4
	s_addc_u32 s19, s19, 0
	;; [unrolled: 2-line block ×3, first 2 shown]
	.p2align	6
.LBB263_139:                            ; =>This Inner Loop Header: Depth=1
	s_clause 0x1
	s_load_b64 s[36:37], s[20:21], 0x4
	s_load_b32 s33, s[20:21], 0xc
	s_load_b64 s[38:39], s[18:19], 0x0
	s_add_u32 s20, s20, 12
	s_addc_u32 s21, s21, 0
	s_add_u32 s18, s18, 8
	s_addc_u32 s19, s19, 0
	s_add_i32 s34, s34, -1
	s_delay_alu instid0(SALU_CYCLE_1) | instskip(SKIP_2) | instid1(VALU_DEP_1)
	s_cmp_lg_u32 s34, 0
	s_waitcnt lgkmcnt(0)
	v_mul_hi_u32 v3, s37, v2
	v_add_nc_u32_e32 v3, v2, v3
	s_delay_alu instid0(VALU_DEP_1) | instskip(NEXT) | instid1(VALU_DEP_1)
	v_lshrrev_b32_e32 v6, s33, v3
	v_mul_lo_u32 v3, v6, s36
	s_delay_alu instid0(VALU_DEP_1) | instskip(NEXT) | instid1(VALU_DEP_1)
	v_sub_nc_u32_e32 v2, v2, v3
	v_mad_u64_u32 v[3:4], null, v2, s38, v[0:1]
	v_mad_u64_u32 v[4:5], null, v2, s39, v[1:2]
	v_mov_b32_e32 v2, v6
	s_delay_alu instid0(VALU_DEP_2)
	v_dual_mov_b32 v0, v3 :: v_dual_mov_b32 v1, v4
	s_cbranch_scc1 .LBB263_139
.LBB263_140:
	s_and_not1_b32 vcc_lo, exec_lo, s31
	s_cbranch_vccnz .LBB263_143
; %bb.141:
	s_waitcnt lgkmcnt(0)
	v_mul_hi_u32 v0, s13, v12
	s_and_not1_b32 vcc_lo, exec_lo, s26
	s_delay_alu instid0(VALU_DEP_1) | instskip(NEXT) | instid1(VALU_DEP_1)
	v_add_nc_u32_e32 v0, v12, v0
	v_lshrrev_b32_e32 v2, s14, v0
	s_delay_alu instid0(VALU_DEP_1) | instskip(NEXT) | instid1(VALU_DEP_1)
	v_mul_lo_u32 v0, v2, s12
	v_sub_nc_u32_e32 v1, v12, v0
	s_delay_alu instid0(VALU_DEP_1)
	v_mul_lo_u32 v0, v1, s8
	v_mul_lo_u32 v1, v1, s9
	s_cbranch_vccnz .LBB263_143
; %bb.142:
	v_mul_hi_u32 v3, s2, v2
	s_delay_alu instid0(VALU_DEP_1) | instskip(NEXT) | instid1(VALU_DEP_1)
	v_add_nc_u32_e32 v3, v2, v3
	v_lshrrev_b32_e32 v3, s3, v3
	s_delay_alu instid0(VALU_DEP_1) | instskip(NEXT) | instid1(VALU_DEP_1)
	v_mul_lo_u32 v3, v3, s15
	v_sub_nc_u32_e32 v5, v2, v3
	s_delay_alu instid0(VALU_DEP_1) | instskip(NEXT) | instid1(VALU_DEP_1)
	v_mad_u64_u32 v[2:3], null, v5, s10, v[0:1]
	v_mad_u64_u32 v[3:4], null, v5, s11, v[1:2]
	s_delay_alu instid0(VALU_DEP_1)
	v_dual_mov_b32 v0, v2 :: v_dual_mov_b32 v1, v3
.LBB263_143:
	s_waitcnt lgkmcnt(0)
	global_load_u16 v1, v1, s[6:7]
	v_add_nc_u32_e32 v12, 0x80, v12
	s_waitcnt vmcnt(0)
	v_cvt_f32_f16_e32 v1, v1
	s_delay_alu instid0(VALU_DEP_1) | instskip(SKIP_1) | instid1(VALU_DEP_2)
	v_mul_f32_e32 v2, 0x4f800000, v1
	v_cmp_gt_f32_e32 vcc_lo, 0xf800000, v1
	v_cndmask_b32_e32 v1, v1, v2, vcc_lo
	s_delay_alu instid0(VALU_DEP_1) | instskip(SKIP_3) | instid1(VALU_DEP_1)
	v_rsq_f32_e32 v2, v1
	s_waitcnt_depctr 0xfff
	v_mul_f32_e32 v3, v1, v2
	v_mul_f32_e32 v2, 0.5, v2
	v_fma_f32 v4, -v2, v3, 0.5
	s_delay_alu instid0(VALU_DEP_1) | instskip(SKIP_1) | instid1(VALU_DEP_2)
	v_fmac_f32_e32 v3, v3, v4
	v_fmac_f32_e32 v2, v2, v4
	v_fma_f32 v5, -v3, v3, v1
	s_delay_alu instid0(VALU_DEP_1) | instskip(NEXT) | instid1(VALU_DEP_1)
	v_fmac_f32_e32 v3, v5, v2
	v_mul_f32_e32 v2, 0x37800000, v3
	s_delay_alu instid0(VALU_DEP_1) | instskip(SKIP_1) | instid1(VALU_DEP_2)
	v_cndmask_b32_e32 v2, v3, v2, vcc_lo
	v_cmp_class_f32_e64 vcc_lo, v1, 0x260
	v_cndmask_b32_e32 v1, v2, v1, vcc_lo
	s_delay_alu instid0(VALU_DEP_1) | instskip(SKIP_2) | instid1(SALU_CYCLE_1)
	v_cvt_f16_f32_e32 v1, v1
	global_store_b16 v0, v1, s[4:5]
	s_or_b32 exec_lo, exec_lo, s30
	s_mov_b32 s30, exec_lo
	v_cmpx_gt_i32_e64 s27, v12
	s_cbranch_execnz .LBB263_130
.LBB263_144:
	s_or_b32 exec_lo, exec_lo, s30
	s_delay_alu instid0(SALU_CYCLE_1)
	s_mov_b32 s30, exec_lo
	v_cmpx_gt_i32_e64 s27, v12
	s_cbranch_execz .LBB263_159
.LBB263_145:
	s_and_not1_b32 vcc_lo, exec_lo, s24
	s_cbranch_vccnz .LBB263_150
; %bb.146:
	v_dual_mov_b32 v0, 0 :: v_dual_mov_b32 v1, 0
	s_and_not1_b32 vcc_lo, exec_lo, s29
	s_mov_b32 s31, 0
	s_cbranch_vccnz .LBB263_170
; %bb.147:
	v_mov_b32_e32 v0, 0
	s_add_i32 s34, s28, 1
	s_cmp_eq_u32 s23, 2
	s_mov_b32 s33, 0
	s_cbranch_scc1 .LBB263_166
; %bb.148:
	v_dual_mov_b32 v1, 0 :: v_dual_mov_b32 v0, 0
	v_mov_b32_e32 v2, v12
	s_and_b32 s33, s34, 28
	s_mov_b32 s35, 0
	s_mov_b64 s[18:19], s[16:17]
	s_mov_b64 s[20:21], s[0:1]
.LBB263_149:                            ; =>This Inner Loop Header: Depth=1
	s_clause 0x1
	s_load_b256 s[36:43], s[20:21], 0x4
	s_load_b128 s[52:55], s[20:21], 0x24
	s_load_b256 s[44:51], s[18:19], 0x0
	s_add_u32 s20, s20, 48
	s_addc_u32 s21, s21, 0
	s_add_i32 s35, s35, 4
	s_add_u32 s18, s18, 32
	s_addc_u32 s19, s19, 0
	s_cmp_eq_u32 s33, s35
	s_waitcnt lgkmcnt(0)
	v_mul_hi_u32 v3, s37, v2
	s_delay_alu instid0(VALU_DEP_1) | instskip(NEXT) | instid1(VALU_DEP_1)
	v_add_nc_u32_e32 v3, v2, v3
	v_lshrrev_b32_e32 v3, s38, v3
	s_delay_alu instid0(VALU_DEP_1) | instskip(SKIP_1) | instid1(VALU_DEP_2)
	v_mul_hi_u32 v4, s40, v3
	v_mul_lo_u32 v6, v3, s36
	v_add_nc_u32_e32 v4, v3, v4
	s_delay_alu instid0(VALU_DEP_2) | instskip(NEXT) | instid1(VALU_DEP_2)
	v_sub_nc_u32_e32 v2, v2, v6
	v_lshrrev_b32_e32 v4, s41, v4
	s_delay_alu instid0(VALU_DEP_2) | instskip(SKIP_1) | instid1(VALU_DEP_3)
	v_mul_lo_u32 v6, v2, s44
	v_mul_lo_u32 v8, v2, s45
	v_mul_hi_u32 v5, s43, v4
	s_delay_alu instid0(VALU_DEP_1) | instskip(NEXT) | instid1(VALU_DEP_1)
	v_add_nc_u32_e32 v5, v4, v5
	v_lshrrev_b32_e32 v5, s52, v5
	s_delay_alu instid0(VALU_DEP_1) | instskip(SKIP_1) | instid1(VALU_DEP_2)
	v_mul_hi_u32 v7, s54, v5
	v_mul_lo_u32 v9, v5, s42
	v_add_nc_u32_e32 v2, v5, v7
	v_mul_lo_u32 v7, v4, s39
	s_delay_alu instid0(VALU_DEP_3) | instskip(NEXT) | instid1(VALU_DEP_3)
	v_sub_nc_u32_e32 v4, v4, v9
	v_lshrrev_b32_e32 v2, s55, v2
	s_delay_alu instid0(VALU_DEP_2) | instskip(SKIP_2) | instid1(VALU_DEP_4)
	v_mul_lo_u32 v9, v4, s48
	v_mul_lo_u32 v4, v4, s49
	v_sub_nc_u32_e32 v3, v3, v7
	v_mul_lo_u32 v10, v2, s53
	s_delay_alu instid0(VALU_DEP_2) | instskip(SKIP_1) | instid1(VALU_DEP_3)
	v_mul_lo_u32 v7, v3, s46
	v_mul_lo_u32 v3, v3, s47
	v_sub_nc_u32_e32 v5, v5, v10
	s_delay_alu instid0(VALU_DEP_3) | instskip(NEXT) | instid1(VALU_DEP_2)
	v_add3_u32 v0, v6, v0, v7
	v_mul_lo_u32 v10, v5, s50
	v_mul_lo_u32 v5, v5, s51
	v_add3_u32 v1, v8, v1, v3
	s_delay_alu instid0(VALU_DEP_3) | instskip(NEXT) | instid1(VALU_DEP_2)
	v_add3_u32 v0, v9, v0, v10
	v_add3_u32 v1, v4, v1, v5
	s_cbranch_scc0 .LBB263_149
	s_branch .LBB263_167
.LBB263_150:
	s_mov_b32 s31, -1
                                        ; implicit-def: $vgpr0
                                        ; implicit-def: $vgpr1
	s_branch .LBB263_170
.LBB263_151:
	v_dual_mov_b32 v2, v12 :: v_dual_mov_b32 v1, 0
.LBB263_152:
	s_and_b32 s34, s34, 3
	s_delay_alu instid0(SALU_CYCLE_1)
	s_cmp_eq_u32 s34, 0
	s_cbranch_scc1 .LBB263_155
; %bb.153:
	s_lshl_b32 s18, s33, 3
	s_mul_i32 s20, s33, 12
	s_add_u32 s18, s18, s0
	s_addc_u32 s19, s1, 0
	s_add_u32 s18, s18, 0xc4
	s_addc_u32 s19, s19, 0
	;; [unrolled: 2-line block ×3, first 2 shown]
	.p2align	6
.LBB263_154:                            ; =>This Inner Loop Header: Depth=1
	s_clause 0x1
	s_load_b64 s[36:37], s[20:21], 0x4
	s_load_b32 s33, s[20:21], 0xc
	s_load_b64 s[38:39], s[18:19], 0x0
	s_add_u32 s20, s20, 12
	s_addc_u32 s21, s21, 0
	s_add_u32 s18, s18, 8
	s_addc_u32 s19, s19, 0
	s_add_i32 s34, s34, -1
	s_delay_alu instid0(SALU_CYCLE_1) | instskip(SKIP_2) | instid1(VALU_DEP_1)
	s_cmp_lg_u32 s34, 0
	s_waitcnt lgkmcnt(0)
	v_mul_hi_u32 v3, s37, v2
	v_add_nc_u32_e32 v3, v2, v3
	s_delay_alu instid0(VALU_DEP_1) | instskip(NEXT) | instid1(VALU_DEP_1)
	v_lshrrev_b32_e32 v6, s33, v3
	v_mul_lo_u32 v3, v6, s36
	s_delay_alu instid0(VALU_DEP_1) | instskip(NEXT) | instid1(VALU_DEP_1)
	v_sub_nc_u32_e32 v2, v2, v3
	v_mad_u64_u32 v[3:4], null, v2, s38, v[0:1]
	v_mad_u64_u32 v[4:5], null, v2, s39, v[1:2]
	v_mov_b32_e32 v2, v6
	s_delay_alu instid0(VALU_DEP_2)
	v_dual_mov_b32 v0, v3 :: v_dual_mov_b32 v1, v4
	s_cbranch_scc1 .LBB263_154
.LBB263_155:
	s_and_not1_b32 vcc_lo, exec_lo, s31
	s_cbranch_vccnz .LBB263_158
; %bb.156:
	s_waitcnt lgkmcnt(0)
	v_mul_hi_u32 v0, s13, v12
	s_and_not1_b32 vcc_lo, exec_lo, s26
	s_delay_alu instid0(VALU_DEP_1) | instskip(NEXT) | instid1(VALU_DEP_1)
	v_add_nc_u32_e32 v0, v12, v0
	v_lshrrev_b32_e32 v2, s14, v0
	s_delay_alu instid0(VALU_DEP_1) | instskip(NEXT) | instid1(VALU_DEP_1)
	v_mul_lo_u32 v0, v2, s12
	v_sub_nc_u32_e32 v1, v12, v0
	s_delay_alu instid0(VALU_DEP_1)
	v_mul_lo_u32 v0, v1, s8
	v_mul_lo_u32 v1, v1, s9
	s_cbranch_vccnz .LBB263_158
; %bb.157:
	v_mul_hi_u32 v3, s2, v2
	s_delay_alu instid0(VALU_DEP_1) | instskip(NEXT) | instid1(VALU_DEP_1)
	v_add_nc_u32_e32 v3, v2, v3
	v_lshrrev_b32_e32 v3, s3, v3
	s_delay_alu instid0(VALU_DEP_1) | instskip(NEXT) | instid1(VALU_DEP_1)
	v_mul_lo_u32 v3, v3, s15
	v_sub_nc_u32_e32 v5, v2, v3
	s_delay_alu instid0(VALU_DEP_1) | instskip(NEXT) | instid1(VALU_DEP_1)
	v_mad_u64_u32 v[2:3], null, v5, s10, v[0:1]
	v_mad_u64_u32 v[3:4], null, v5, s11, v[1:2]
	s_delay_alu instid0(VALU_DEP_1)
	v_dual_mov_b32 v0, v2 :: v_dual_mov_b32 v1, v3
.LBB263_158:
	s_waitcnt lgkmcnt(0)
	global_load_u16 v1, v1, s[6:7]
	v_add_nc_u32_e32 v12, 0x80, v12
	s_waitcnt vmcnt(0)
	v_cvt_f32_f16_e32 v1, v1
	s_delay_alu instid0(VALU_DEP_1) | instskip(SKIP_1) | instid1(VALU_DEP_2)
	v_mul_f32_e32 v2, 0x4f800000, v1
	v_cmp_gt_f32_e32 vcc_lo, 0xf800000, v1
	v_cndmask_b32_e32 v1, v1, v2, vcc_lo
	s_delay_alu instid0(VALU_DEP_1) | instskip(SKIP_3) | instid1(VALU_DEP_1)
	v_rsq_f32_e32 v2, v1
	s_waitcnt_depctr 0xfff
	v_mul_f32_e32 v3, v1, v2
	v_mul_f32_e32 v2, 0.5, v2
	v_fma_f32 v4, -v2, v3, 0.5
	s_delay_alu instid0(VALU_DEP_1) | instskip(SKIP_1) | instid1(VALU_DEP_2)
	v_fmac_f32_e32 v3, v3, v4
	v_fmac_f32_e32 v2, v2, v4
	v_fma_f32 v5, -v3, v3, v1
	s_delay_alu instid0(VALU_DEP_1) | instskip(NEXT) | instid1(VALU_DEP_1)
	v_fmac_f32_e32 v3, v5, v2
	v_mul_f32_e32 v2, 0x37800000, v3
	s_delay_alu instid0(VALU_DEP_1) | instskip(SKIP_1) | instid1(VALU_DEP_2)
	v_cndmask_b32_e32 v2, v3, v2, vcc_lo
	v_cmp_class_f32_e64 vcc_lo, v1, 0x260
	v_cndmask_b32_e32 v1, v2, v1, vcc_lo
	s_delay_alu instid0(VALU_DEP_1) | instskip(SKIP_2) | instid1(SALU_CYCLE_1)
	v_cvt_f16_f32_e32 v1, v1
	global_store_b16 v0, v1, s[4:5]
	s_or_b32 exec_lo, exec_lo, s30
	s_mov_b32 s30, exec_lo
	v_cmpx_gt_i32_e64 s27, v12
	s_cbranch_execnz .LBB263_145
.LBB263_159:
	s_or_b32 exec_lo, exec_lo, s30
	s_delay_alu instid0(SALU_CYCLE_1)
	s_mov_b32 s30, exec_lo
	v_cmpx_gt_i32_e64 s27, v12
	s_cbranch_execz .LBB263_174
.LBB263_160:
	s_and_not1_b32 vcc_lo, exec_lo, s24
	s_cbranch_vccnz .LBB263_165
; %bb.161:
	v_dual_mov_b32 v0, 0 :: v_dual_mov_b32 v1, 0
	s_and_not1_b32 vcc_lo, exec_lo, s29
	s_mov_b32 s31, 0
	s_cbranch_vccnz .LBB263_185
; %bb.162:
	v_mov_b32_e32 v0, 0
	s_add_i32 s34, s28, 1
	s_cmp_eq_u32 s23, 2
	s_mov_b32 s33, 0
	s_cbranch_scc1 .LBB263_181
; %bb.163:
	v_dual_mov_b32 v1, 0 :: v_dual_mov_b32 v0, 0
	v_mov_b32_e32 v2, v12
	s_and_b32 s33, s34, 28
	s_mov_b32 s35, 0
	s_mov_b64 s[18:19], s[16:17]
	s_mov_b64 s[20:21], s[0:1]
.LBB263_164:                            ; =>This Inner Loop Header: Depth=1
	s_clause 0x1
	s_load_b256 s[36:43], s[20:21], 0x4
	s_load_b128 s[52:55], s[20:21], 0x24
	s_load_b256 s[44:51], s[18:19], 0x0
	s_add_u32 s20, s20, 48
	s_addc_u32 s21, s21, 0
	s_add_i32 s35, s35, 4
	s_add_u32 s18, s18, 32
	s_addc_u32 s19, s19, 0
	s_cmp_eq_u32 s33, s35
	s_waitcnt lgkmcnt(0)
	v_mul_hi_u32 v3, s37, v2
	s_delay_alu instid0(VALU_DEP_1) | instskip(NEXT) | instid1(VALU_DEP_1)
	v_add_nc_u32_e32 v3, v2, v3
	v_lshrrev_b32_e32 v3, s38, v3
	s_delay_alu instid0(VALU_DEP_1) | instskip(SKIP_1) | instid1(VALU_DEP_2)
	v_mul_hi_u32 v4, s40, v3
	v_mul_lo_u32 v6, v3, s36
	v_add_nc_u32_e32 v4, v3, v4
	s_delay_alu instid0(VALU_DEP_2) | instskip(NEXT) | instid1(VALU_DEP_2)
	v_sub_nc_u32_e32 v2, v2, v6
	v_lshrrev_b32_e32 v4, s41, v4
	s_delay_alu instid0(VALU_DEP_2) | instskip(SKIP_1) | instid1(VALU_DEP_3)
	v_mul_lo_u32 v6, v2, s44
	v_mul_lo_u32 v8, v2, s45
	v_mul_hi_u32 v5, s43, v4
	s_delay_alu instid0(VALU_DEP_1) | instskip(NEXT) | instid1(VALU_DEP_1)
	v_add_nc_u32_e32 v5, v4, v5
	v_lshrrev_b32_e32 v5, s52, v5
	s_delay_alu instid0(VALU_DEP_1) | instskip(SKIP_1) | instid1(VALU_DEP_2)
	v_mul_hi_u32 v7, s54, v5
	v_mul_lo_u32 v9, v5, s42
	v_add_nc_u32_e32 v2, v5, v7
	v_mul_lo_u32 v7, v4, s39
	s_delay_alu instid0(VALU_DEP_3) | instskip(NEXT) | instid1(VALU_DEP_3)
	v_sub_nc_u32_e32 v4, v4, v9
	v_lshrrev_b32_e32 v2, s55, v2
	s_delay_alu instid0(VALU_DEP_2) | instskip(SKIP_2) | instid1(VALU_DEP_4)
	v_mul_lo_u32 v9, v4, s48
	v_mul_lo_u32 v4, v4, s49
	v_sub_nc_u32_e32 v3, v3, v7
	v_mul_lo_u32 v10, v2, s53
	s_delay_alu instid0(VALU_DEP_2) | instskip(SKIP_1) | instid1(VALU_DEP_3)
	v_mul_lo_u32 v7, v3, s46
	v_mul_lo_u32 v3, v3, s47
	v_sub_nc_u32_e32 v5, v5, v10
	s_delay_alu instid0(VALU_DEP_3) | instskip(NEXT) | instid1(VALU_DEP_2)
	v_add3_u32 v0, v6, v0, v7
	v_mul_lo_u32 v10, v5, s50
	v_mul_lo_u32 v5, v5, s51
	v_add3_u32 v1, v8, v1, v3
	s_delay_alu instid0(VALU_DEP_3) | instskip(NEXT) | instid1(VALU_DEP_2)
	v_add3_u32 v0, v9, v0, v10
	v_add3_u32 v1, v4, v1, v5
	s_cbranch_scc0 .LBB263_164
	s_branch .LBB263_182
.LBB263_165:
	s_mov_b32 s31, -1
                                        ; implicit-def: $vgpr0
                                        ; implicit-def: $vgpr1
	s_branch .LBB263_185
.LBB263_166:
	v_dual_mov_b32 v2, v12 :: v_dual_mov_b32 v1, 0
.LBB263_167:
	s_and_b32 s34, s34, 3
	s_delay_alu instid0(SALU_CYCLE_1)
	s_cmp_eq_u32 s34, 0
	s_cbranch_scc1 .LBB263_170
; %bb.168:
	s_lshl_b32 s18, s33, 3
	s_mul_i32 s20, s33, 12
	s_add_u32 s18, s18, s0
	s_addc_u32 s19, s1, 0
	s_add_u32 s18, s18, 0xc4
	s_addc_u32 s19, s19, 0
	;; [unrolled: 2-line block ×3, first 2 shown]
	.p2align	6
.LBB263_169:                            ; =>This Inner Loop Header: Depth=1
	s_clause 0x1
	s_load_b64 s[36:37], s[20:21], 0x4
	s_load_b32 s33, s[20:21], 0xc
	s_load_b64 s[38:39], s[18:19], 0x0
	s_add_u32 s20, s20, 12
	s_addc_u32 s21, s21, 0
	s_add_u32 s18, s18, 8
	s_addc_u32 s19, s19, 0
	s_add_i32 s34, s34, -1
	s_delay_alu instid0(SALU_CYCLE_1) | instskip(SKIP_2) | instid1(VALU_DEP_1)
	s_cmp_lg_u32 s34, 0
	s_waitcnt lgkmcnt(0)
	v_mul_hi_u32 v3, s37, v2
	v_add_nc_u32_e32 v3, v2, v3
	s_delay_alu instid0(VALU_DEP_1) | instskip(NEXT) | instid1(VALU_DEP_1)
	v_lshrrev_b32_e32 v6, s33, v3
	v_mul_lo_u32 v3, v6, s36
	s_delay_alu instid0(VALU_DEP_1) | instskip(NEXT) | instid1(VALU_DEP_1)
	v_sub_nc_u32_e32 v2, v2, v3
	v_mad_u64_u32 v[3:4], null, v2, s38, v[0:1]
	v_mad_u64_u32 v[4:5], null, v2, s39, v[1:2]
	v_mov_b32_e32 v2, v6
	s_delay_alu instid0(VALU_DEP_2)
	v_dual_mov_b32 v0, v3 :: v_dual_mov_b32 v1, v4
	s_cbranch_scc1 .LBB263_169
.LBB263_170:
	s_and_not1_b32 vcc_lo, exec_lo, s31
	s_cbranch_vccnz .LBB263_173
; %bb.171:
	s_waitcnt lgkmcnt(0)
	v_mul_hi_u32 v0, s13, v12
	s_and_not1_b32 vcc_lo, exec_lo, s26
	s_delay_alu instid0(VALU_DEP_1) | instskip(NEXT) | instid1(VALU_DEP_1)
	v_add_nc_u32_e32 v0, v12, v0
	v_lshrrev_b32_e32 v2, s14, v0
	s_delay_alu instid0(VALU_DEP_1) | instskip(NEXT) | instid1(VALU_DEP_1)
	v_mul_lo_u32 v0, v2, s12
	v_sub_nc_u32_e32 v1, v12, v0
	s_delay_alu instid0(VALU_DEP_1)
	v_mul_lo_u32 v0, v1, s8
	v_mul_lo_u32 v1, v1, s9
	s_cbranch_vccnz .LBB263_173
; %bb.172:
	v_mul_hi_u32 v3, s2, v2
	s_delay_alu instid0(VALU_DEP_1) | instskip(NEXT) | instid1(VALU_DEP_1)
	v_add_nc_u32_e32 v3, v2, v3
	v_lshrrev_b32_e32 v3, s3, v3
	s_delay_alu instid0(VALU_DEP_1) | instskip(NEXT) | instid1(VALU_DEP_1)
	v_mul_lo_u32 v3, v3, s15
	v_sub_nc_u32_e32 v5, v2, v3
	s_delay_alu instid0(VALU_DEP_1) | instskip(NEXT) | instid1(VALU_DEP_1)
	v_mad_u64_u32 v[2:3], null, v5, s10, v[0:1]
	v_mad_u64_u32 v[3:4], null, v5, s11, v[1:2]
	s_delay_alu instid0(VALU_DEP_1)
	v_dual_mov_b32 v0, v2 :: v_dual_mov_b32 v1, v3
.LBB263_173:
	s_waitcnt lgkmcnt(0)
	global_load_u16 v1, v1, s[6:7]
	v_add_nc_u32_e32 v12, 0x80, v12
	s_waitcnt vmcnt(0)
	v_cvt_f32_f16_e32 v1, v1
	s_delay_alu instid0(VALU_DEP_1) | instskip(SKIP_1) | instid1(VALU_DEP_2)
	v_mul_f32_e32 v2, 0x4f800000, v1
	v_cmp_gt_f32_e32 vcc_lo, 0xf800000, v1
	v_cndmask_b32_e32 v1, v1, v2, vcc_lo
	s_delay_alu instid0(VALU_DEP_1) | instskip(SKIP_3) | instid1(VALU_DEP_1)
	v_rsq_f32_e32 v2, v1
	s_waitcnt_depctr 0xfff
	v_mul_f32_e32 v3, v1, v2
	v_mul_f32_e32 v2, 0.5, v2
	v_fma_f32 v4, -v2, v3, 0.5
	s_delay_alu instid0(VALU_DEP_1) | instskip(SKIP_1) | instid1(VALU_DEP_2)
	v_fmac_f32_e32 v3, v3, v4
	v_fmac_f32_e32 v2, v2, v4
	v_fma_f32 v5, -v3, v3, v1
	s_delay_alu instid0(VALU_DEP_1) | instskip(NEXT) | instid1(VALU_DEP_1)
	v_fmac_f32_e32 v3, v5, v2
	v_mul_f32_e32 v2, 0x37800000, v3
	s_delay_alu instid0(VALU_DEP_1) | instskip(SKIP_1) | instid1(VALU_DEP_2)
	v_cndmask_b32_e32 v2, v3, v2, vcc_lo
	v_cmp_class_f32_e64 vcc_lo, v1, 0x260
	v_cndmask_b32_e32 v1, v2, v1, vcc_lo
	s_delay_alu instid0(VALU_DEP_1) | instskip(SKIP_2) | instid1(SALU_CYCLE_1)
	v_cvt_f16_f32_e32 v1, v1
	global_store_b16 v0, v1, s[4:5]
	s_or_b32 exec_lo, exec_lo, s30
	s_mov_b32 s30, exec_lo
	v_cmpx_gt_i32_e64 s27, v12
	s_cbranch_execnz .LBB263_160
.LBB263_174:
	s_or_b32 exec_lo, exec_lo, s30
	s_delay_alu instid0(SALU_CYCLE_1)
	s_mov_b32 s30, exec_lo
	v_cmpx_gt_i32_e64 s27, v12
	s_cbranch_execz .LBB263_189
.LBB263_175:
	s_and_not1_b32 vcc_lo, exec_lo, s24
	s_cbranch_vccnz .LBB263_180
; %bb.176:
	v_dual_mov_b32 v0, 0 :: v_dual_mov_b32 v1, 0
	s_and_not1_b32 vcc_lo, exec_lo, s29
	s_mov_b32 s31, 0
	s_cbranch_vccnz .LBB263_200
; %bb.177:
	v_mov_b32_e32 v0, 0
	s_add_i32 s34, s28, 1
	s_cmp_eq_u32 s23, 2
	s_mov_b32 s33, 0
	s_cbranch_scc1 .LBB263_196
; %bb.178:
	v_dual_mov_b32 v1, 0 :: v_dual_mov_b32 v0, 0
	v_mov_b32_e32 v2, v12
	s_and_b32 s33, s34, 28
	s_mov_b32 s35, 0
	s_mov_b64 s[18:19], s[16:17]
	s_mov_b64 s[20:21], s[0:1]
.LBB263_179:                            ; =>This Inner Loop Header: Depth=1
	s_clause 0x1
	s_load_b256 s[36:43], s[20:21], 0x4
	s_load_b128 s[52:55], s[20:21], 0x24
	s_load_b256 s[44:51], s[18:19], 0x0
	s_add_u32 s20, s20, 48
	s_addc_u32 s21, s21, 0
	s_add_i32 s35, s35, 4
	s_add_u32 s18, s18, 32
	s_addc_u32 s19, s19, 0
	s_cmp_eq_u32 s33, s35
	s_waitcnt lgkmcnt(0)
	v_mul_hi_u32 v3, s37, v2
	s_delay_alu instid0(VALU_DEP_1) | instskip(NEXT) | instid1(VALU_DEP_1)
	v_add_nc_u32_e32 v3, v2, v3
	v_lshrrev_b32_e32 v3, s38, v3
	s_delay_alu instid0(VALU_DEP_1) | instskip(SKIP_1) | instid1(VALU_DEP_2)
	v_mul_hi_u32 v4, s40, v3
	v_mul_lo_u32 v6, v3, s36
	v_add_nc_u32_e32 v4, v3, v4
	s_delay_alu instid0(VALU_DEP_2) | instskip(NEXT) | instid1(VALU_DEP_2)
	v_sub_nc_u32_e32 v2, v2, v6
	v_lshrrev_b32_e32 v4, s41, v4
	s_delay_alu instid0(VALU_DEP_2) | instskip(SKIP_1) | instid1(VALU_DEP_3)
	v_mul_lo_u32 v6, v2, s44
	v_mul_lo_u32 v8, v2, s45
	v_mul_hi_u32 v5, s43, v4
	s_delay_alu instid0(VALU_DEP_1) | instskip(NEXT) | instid1(VALU_DEP_1)
	v_add_nc_u32_e32 v5, v4, v5
	v_lshrrev_b32_e32 v5, s52, v5
	s_delay_alu instid0(VALU_DEP_1) | instskip(SKIP_1) | instid1(VALU_DEP_2)
	v_mul_hi_u32 v7, s54, v5
	v_mul_lo_u32 v9, v5, s42
	v_add_nc_u32_e32 v2, v5, v7
	v_mul_lo_u32 v7, v4, s39
	s_delay_alu instid0(VALU_DEP_3) | instskip(NEXT) | instid1(VALU_DEP_3)
	v_sub_nc_u32_e32 v4, v4, v9
	v_lshrrev_b32_e32 v2, s55, v2
	s_delay_alu instid0(VALU_DEP_2) | instskip(SKIP_2) | instid1(VALU_DEP_4)
	v_mul_lo_u32 v9, v4, s48
	v_mul_lo_u32 v4, v4, s49
	v_sub_nc_u32_e32 v3, v3, v7
	v_mul_lo_u32 v10, v2, s53
	s_delay_alu instid0(VALU_DEP_2) | instskip(SKIP_1) | instid1(VALU_DEP_3)
	v_mul_lo_u32 v7, v3, s46
	v_mul_lo_u32 v3, v3, s47
	v_sub_nc_u32_e32 v5, v5, v10
	s_delay_alu instid0(VALU_DEP_3) | instskip(NEXT) | instid1(VALU_DEP_2)
	v_add3_u32 v0, v6, v0, v7
	v_mul_lo_u32 v10, v5, s50
	v_mul_lo_u32 v5, v5, s51
	v_add3_u32 v1, v8, v1, v3
	s_delay_alu instid0(VALU_DEP_3) | instskip(NEXT) | instid1(VALU_DEP_2)
	v_add3_u32 v0, v9, v0, v10
	v_add3_u32 v1, v4, v1, v5
	s_cbranch_scc0 .LBB263_179
	s_branch .LBB263_197
.LBB263_180:
	s_mov_b32 s31, -1
                                        ; implicit-def: $vgpr0
                                        ; implicit-def: $vgpr1
	s_branch .LBB263_200
.LBB263_181:
	v_dual_mov_b32 v2, v12 :: v_dual_mov_b32 v1, 0
.LBB263_182:
	s_and_b32 s34, s34, 3
	s_delay_alu instid0(SALU_CYCLE_1)
	s_cmp_eq_u32 s34, 0
	s_cbranch_scc1 .LBB263_185
; %bb.183:
	s_lshl_b32 s18, s33, 3
	s_mul_i32 s20, s33, 12
	s_add_u32 s18, s18, s0
	s_addc_u32 s19, s1, 0
	s_add_u32 s18, s18, 0xc4
	s_addc_u32 s19, s19, 0
	;; [unrolled: 2-line block ×3, first 2 shown]
	.p2align	6
.LBB263_184:                            ; =>This Inner Loop Header: Depth=1
	s_clause 0x1
	s_load_b64 s[36:37], s[20:21], 0x4
	s_load_b32 s33, s[20:21], 0xc
	s_load_b64 s[38:39], s[18:19], 0x0
	s_add_u32 s20, s20, 12
	s_addc_u32 s21, s21, 0
	s_add_u32 s18, s18, 8
	s_addc_u32 s19, s19, 0
	s_add_i32 s34, s34, -1
	s_delay_alu instid0(SALU_CYCLE_1) | instskip(SKIP_2) | instid1(VALU_DEP_1)
	s_cmp_lg_u32 s34, 0
	s_waitcnt lgkmcnt(0)
	v_mul_hi_u32 v3, s37, v2
	v_add_nc_u32_e32 v3, v2, v3
	s_delay_alu instid0(VALU_DEP_1) | instskip(NEXT) | instid1(VALU_DEP_1)
	v_lshrrev_b32_e32 v6, s33, v3
	v_mul_lo_u32 v3, v6, s36
	s_delay_alu instid0(VALU_DEP_1) | instskip(NEXT) | instid1(VALU_DEP_1)
	v_sub_nc_u32_e32 v2, v2, v3
	v_mad_u64_u32 v[3:4], null, v2, s38, v[0:1]
	v_mad_u64_u32 v[4:5], null, v2, s39, v[1:2]
	v_mov_b32_e32 v2, v6
	s_delay_alu instid0(VALU_DEP_2)
	v_dual_mov_b32 v0, v3 :: v_dual_mov_b32 v1, v4
	s_cbranch_scc1 .LBB263_184
.LBB263_185:
	s_and_not1_b32 vcc_lo, exec_lo, s31
	s_cbranch_vccnz .LBB263_188
; %bb.186:
	s_waitcnt lgkmcnt(0)
	v_mul_hi_u32 v0, s13, v12
	s_and_not1_b32 vcc_lo, exec_lo, s26
	s_delay_alu instid0(VALU_DEP_1) | instskip(NEXT) | instid1(VALU_DEP_1)
	v_add_nc_u32_e32 v0, v12, v0
	v_lshrrev_b32_e32 v2, s14, v0
	s_delay_alu instid0(VALU_DEP_1) | instskip(NEXT) | instid1(VALU_DEP_1)
	v_mul_lo_u32 v0, v2, s12
	v_sub_nc_u32_e32 v1, v12, v0
	s_delay_alu instid0(VALU_DEP_1)
	v_mul_lo_u32 v0, v1, s8
	v_mul_lo_u32 v1, v1, s9
	s_cbranch_vccnz .LBB263_188
; %bb.187:
	v_mul_hi_u32 v3, s2, v2
	s_delay_alu instid0(VALU_DEP_1) | instskip(NEXT) | instid1(VALU_DEP_1)
	v_add_nc_u32_e32 v3, v2, v3
	v_lshrrev_b32_e32 v3, s3, v3
	s_delay_alu instid0(VALU_DEP_1) | instskip(NEXT) | instid1(VALU_DEP_1)
	v_mul_lo_u32 v3, v3, s15
	v_sub_nc_u32_e32 v5, v2, v3
	s_delay_alu instid0(VALU_DEP_1) | instskip(NEXT) | instid1(VALU_DEP_1)
	v_mad_u64_u32 v[2:3], null, v5, s10, v[0:1]
	v_mad_u64_u32 v[3:4], null, v5, s11, v[1:2]
	s_delay_alu instid0(VALU_DEP_1)
	v_dual_mov_b32 v0, v2 :: v_dual_mov_b32 v1, v3
.LBB263_188:
	s_waitcnt lgkmcnt(0)
	global_load_u16 v1, v1, s[6:7]
	v_add_nc_u32_e32 v12, 0x80, v12
	s_waitcnt vmcnt(0)
	v_cvt_f32_f16_e32 v1, v1
	s_delay_alu instid0(VALU_DEP_1) | instskip(SKIP_1) | instid1(VALU_DEP_2)
	v_mul_f32_e32 v2, 0x4f800000, v1
	v_cmp_gt_f32_e32 vcc_lo, 0xf800000, v1
	v_cndmask_b32_e32 v1, v1, v2, vcc_lo
	s_delay_alu instid0(VALU_DEP_1) | instskip(SKIP_3) | instid1(VALU_DEP_1)
	v_rsq_f32_e32 v2, v1
	s_waitcnt_depctr 0xfff
	v_mul_f32_e32 v3, v1, v2
	v_mul_f32_e32 v2, 0.5, v2
	v_fma_f32 v4, -v2, v3, 0.5
	s_delay_alu instid0(VALU_DEP_1) | instskip(SKIP_1) | instid1(VALU_DEP_2)
	v_fmac_f32_e32 v3, v3, v4
	v_fmac_f32_e32 v2, v2, v4
	v_fma_f32 v5, -v3, v3, v1
	s_delay_alu instid0(VALU_DEP_1) | instskip(NEXT) | instid1(VALU_DEP_1)
	v_fmac_f32_e32 v3, v5, v2
	v_mul_f32_e32 v2, 0x37800000, v3
	s_delay_alu instid0(VALU_DEP_1) | instskip(SKIP_1) | instid1(VALU_DEP_2)
	v_cndmask_b32_e32 v2, v3, v2, vcc_lo
	v_cmp_class_f32_e64 vcc_lo, v1, 0x260
	v_cndmask_b32_e32 v1, v2, v1, vcc_lo
	s_delay_alu instid0(VALU_DEP_1) | instskip(SKIP_2) | instid1(SALU_CYCLE_1)
	v_cvt_f16_f32_e32 v1, v1
	global_store_b16 v0, v1, s[4:5]
	s_or_b32 exec_lo, exec_lo, s30
	s_mov_b32 s30, exec_lo
	v_cmpx_gt_i32_e64 s27, v12
	s_cbranch_execnz .LBB263_175
.LBB263_189:
	s_or_b32 exec_lo, exec_lo, s30
	s_delay_alu instid0(SALU_CYCLE_1)
	s_mov_b32 s30, exec_lo
	v_cmpx_gt_i32_e64 s27, v12
	s_cbranch_execz .LBB263_204
.LBB263_190:
	s_and_not1_b32 vcc_lo, exec_lo, s24
	s_cbranch_vccnz .LBB263_195
; %bb.191:
	v_dual_mov_b32 v0, 0 :: v_dual_mov_b32 v1, 0
	s_and_not1_b32 vcc_lo, exec_lo, s29
	s_mov_b32 s31, 0
	s_cbranch_vccnz .LBB263_211
; %bb.192:
	v_mov_b32_e32 v0, 0
	s_add_i32 s34, s28, 1
	s_cmp_eq_u32 s23, 2
	s_mov_b32 s33, 0
	s_cbranch_scc1 .LBB263_207
; %bb.193:
	v_dual_mov_b32 v1, 0 :: v_dual_mov_b32 v0, 0
	v_mov_b32_e32 v2, v12
	s_and_b32 s33, s34, 28
	s_mov_b32 s35, 0
	s_mov_b64 s[18:19], s[16:17]
	s_mov_b64 s[20:21], s[0:1]
.LBB263_194:                            ; =>This Inner Loop Header: Depth=1
	s_clause 0x1
	s_load_b256 s[36:43], s[20:21], 0x4
	s_load_b128 s[52:55], s[20:21], 0x24
	s_load_b256 s[44:51], s[18:19], 0x0
	s_add_u32 s20, s20, 48
	s_addc_u32 s21, s21, 0
	s_add_i32 s35, s35, 4
	s_add_u32 s18, s18, 32
	s_addc_u32 s19, s19, 0
	s_cmp_eq_u32 s33, s35
	s_waitcnt lgkmcnt(0)
	v_mul_hi_u32 v3, s37, v2
	s_delay_alu instid0(VALU_DEP_1) | instskip(NEXT) | instid1(VALU_DEP_1)
	v_add_nc_u32_e32 v3, v2, v3
	v_lshrrev_b32_e32 v3, s38, v3
	s_delay_alu instid0(VALU_DEP_1) | instskip(SKIP_1) | instid1(VALU_DEP_2)
	v_mul_hi_u32 v4, s40, v3
	v_mul_lo_u32 v6, v3, s36
	v_add_nc_u32_e32 v4, v3, v4
	s_delay_alu instid0(VALU_DEP_2) | instskip(NEXT) | instid1(VALU_DEP_2)
	v_sub_nc_u32_e32 v2, v2, v6
	v_lshrrev_b32_e32 v4, s41, v4
	s_delay_alu instid0(VALU_DEP_2) | instskip(SKIP_1) | instid1(VALU_DEP_3)
	v_mul_lo_u32 v6, v2, s44
	v_mul_lo_u32 v8, v2, s45
	v_mul_hi_u32 v5, s43, v4
	s_delay_alu instid0(VALU_DEP_1) | instskip(NEXT) | instid1(VALU_DEP_1)
	v_add_nc_u32_e32 v5, v4, v5
	v_lshrrev_b32_e32 v5, s52, v5
	s_delay_alu instid0(VALU_DEP_1) | instskip(SKIP_1) | instid1(VALU_DEP_2)
	v_mul_hi_u32 v7, s54, v5
	v_mul_lo_u32 v9, v5, s42
	v_add_nc_u32_e32 v2, v5, v7
	v_mul_lo_u32 v7, v4, s39
	s_delay_alu instid0(VALU_DEP_3) | instskip(NEXT) | instid1(VALU_DEP_3)
	v_sub_nc_u32_e32 v4, v4, v9
	v_lshrrev_b32_e32 v2, s55, v2
	s_delay_alu instid0(VALU_DEP_2) | instskip(SKIP_2) | instid1(VALU_DEP_4)
	v_mul_lo_u32 v9, v4, s48
	v_mul_lo_u32 v4, v4, s49
	v_sub_nc_u32_e32 v3, v3, v7
	v_mul_lo_u32 v10, v2, s53
	s_delay_alu instid0(VALU_DEP_2) | instskip(SKIP_1) | instid1(VALU_DEP_3)
	v_mul_lo_u32 v7, v3, s46
	v_mul_lo_u32 v3, v3, s47
	v_sub_nc_u32_e32 v5, v5, v10
	s_delay_alu instid0(VALU_DEP_3) | instskip(NEXT) | instid1(VALU_DEP_2)
	v_add3_u32 v0, v6, v0, v7
	v_mul_lo_u32 v10, v5, s50
	v_mul_lo_u32 v5, v5, s51
	v_add3_u32 v1, v8, v1, v3
	s_delay_alu instid0(VALU_DEP_3) | instskip(NEXT) | instid1(VALU_DEP_2)
	v_add3_u32 v0, v9, v0, v10
	v_add3_u32 v1, v4, v1, v5
	s_cbranch_scc0 .LBB263_194
	s_branch .LBB263_208
.LBB263_195:
	s_mov_b32 s31, -1
                                        ; implicit-def: $vgpr0
                                        ; implicit-def: $vgpr1
	s_branch .LBB263_211
.LBB263_196:
	v_dual_mov_b32 v2, v12 :: v_dual_mov_b32 v1, 0
.LBB263_197:
	s_and_b32 s34, s34, 3
	s_delay_alu instid0(SALU_CYCLE_1)
	s_cmp_eq_u32 s34, 0
	s_cbranch_scc1 .LBB263_200
; %bb.198:
	s_lshl_b32 s18, s33, 3
	s_mul_i32 s20, s33, 12
	s_add_u32 s18, s18, s0
	s_addc_u32 s19, s1, 0
	s_add_u32 s18, s18, 0xc4
	s_addc_u32 s19, s19, 0
	;; [unrolled: 2-line block ×3, first 2 shown]
	.p2align	6
.LBB263_199:                            ; =>This Inner Loop Header: Depth=1
	s_clause 0x1
	s_load_b64 s[36:37], s[20:21], 0x4
	s_load_b32 s33, s[20:21], 0xc
	s_load_b64 s[38:39], s[18:19], 0x0
	s_add_u32 s20, s20, 12
	s_addc_u32 s21, s21, 0
	s_add_u32 s18, s18, 8
	s_addc_u32 s19, s19, 0
	s_add_i32 s34, s34, -1
	s_delay_alu instid0(SALU_CYCLE_1) | instskip(SKIP_2) | instid1(VALU_DEP_1)
	s_cmp_lg_u32 s34, 0
	s_waitcnt lgkmcnt(0)
	v_mul_hi_u32 v3, s37, v2
	v_add_nc_u32_e32 v3, v2, v3
	s_delay_alu instid0(VALU_DEP_1) | instskip(NEXT) | instid1(VALU_DEP_1)
	v_lshrrev_b32_e32 v6, s33, v3
	v_mul_lo_u32 v3, v6, s36
	s_delay_alu instid0(VALU_DEP_1) | instskip(NEXT) | instid1(VALU_DEP_1)
	v_sub_nc_u32_e32 v2, v2, v3
	v_mad_u64_u32 v[3:4], null, v2, s38, v[0:1]
	v_mad_u64_u32 v[4:5], null, v2, s39, v[1:2]
	v_mov_b32_e32 v2, v6
	s_delay_alu instid0(VALU_DEP_2)
	v_dual_mov_b32 v0, v3 :: v_dual_mov_b32 v1, v4
	s_cbranch_scc1 .LBB263_199
.LBB263_200:
	s_and_not1_b32 vcc_lo, exec_lo, s31
	s_cbranch_vccnz .LBB263_203
; %bb.201:
	s_waitcnt lgkmcnt(0)
	v_mul_hi_u32 v0, s13, v12
	s_and_not1_b32 vcc_lo, exec_lo, s26
	s_delay_alu instid0(VALU_DEP_1) | instskip(NEXT) | instid1(VALU_DEP_1)
	v_add_nc_u32_e32 v0, v12, v0
	v_lshrrev_b32_e32 v2, s14, v0
	s_delay_alu instid0(VALU_DEP_1) | instskip(NEXT) | instid1(VALU_DEP_1)
	v_mul_lo_u32 v0, v2, s12
	v_sub_nc_u32_e32 v1, v12, v0
	s_delay_alu instid0(VALU_DEP_1)
	v_mul_lo_u32 v0, v1, s8
	v_mul_lo_u32 v1, v1, s9
	s_cbranch_vccnz .LBB263_203
; %bb.202:
	v_mul_hi_u32 v3, s2, v2
	s_delay_alu instid0(VALU_DEP_1) | instskip(NEXT) | instid1(VALU_DEP_1)
	v_add_nc_u32_e32 v3, v2, v3
	v_lshrrev_b32_e32 v3, s3, v3
	s_delay_alu instid0(VALU_DEP_1) | instskip(NEXT) | instid1(VALU_DEP_1)
	v_mul_lo_u32 v3, v3, s15
	v_sub_nc_u32_e32 v5, v2, v3
	s_delay_alu instid0(VALU_DEP_1) | instskip(NEXT) | instid1(VALU_DEP_1)
	v_mad_u64_u32 v[2:3], null, v5, s10, v[0:1]
	v_mad_u64_u32 v[3:4], null, v5, s11, v[1:2]
	s_delay_alu instid0(VALU_DEP_1)
	v_dual_mov_b32 v0, v2 :: v_dual_mov_b32 v1, v3
.LBB263_203:
	s_waitcnt lgkmcnt(0)
	global_load_u16 v1, v1, s[6:7]
	v_add_nc_u32_e32 v12, 0x80, v12
	s_waitcnt vmcnt(0)
	v_cvt_f32_f16_e32 v1, v1
	s_delay_alu instid0(VALU_DEP_1) | instskip(SKIP_1) | instid1(VALU_DEP_2)
	v_mul_f32_e32 v2, 0x4f800000, v1
	v_cmp_gt_f32_e32 vcc_lo, 0xf800000, v1
	v_cndmask_b32_e32 v1, v1, v2, vcc_lo
	s_delay_alu instid0(VALU_DEP_1) | instskip(SKIP_3) | instid1(VALU_DEP_1)
	v_rsq_f32_e32 v2, v1
	s_waitcnt_depctr 0xfff
	v_mul_f32_e32 v3, v1, v2
	v_mul_f32_e32 v2, 0.5, v2
	v_fma_f32 v4, -v2, v3, 0.5
	s_delay_alu instid0(VALU_DEP_1) | instskip(SKIP_1) | instid1(VALU_DEP_2)
	v_fmac_f32_e32 v3, v3, v4
	v_fmac_f32_e32 v2, v2, v4
	v_fma_f32 v5, -v3, v3, v1
	s_delay_alu instid0(VALU_DEP_1) | instskip(NEXT) | instid1(VALU_DEP_1)
	v_fmac_f32_e32 v3, v5, v2
	v_mul_f32_e32 v2, 0x37800000, v3
	s_delay_alu instid0(VALU_DEP_1) | instskip(SKIP_1) | instid1(VALU_DEP_2)
	v_cndmask_b32_e32 v2, v3, v2, vcc_lo
	v_cmp_class_f32_e64 vcc_lo, v1, 0x260
	v_cndmask_b32_e32 v1, v2, v1, vcc_lo
	s_delay_alu instid0(VALU_DEP_1) | instskip(SKIP_2) | instid1(SALU_CYCLE_1)
	v_cvt_f16_f32_e32 v1, v1
	global_store_b16 v0, v1, s[4:5]
	s_or_b32 exec_lo, exec_lo, s30
	s_mov_b32 s30, exec_lo
	v_cmpx_gt_i32_e64 s27, v12
	s_cbranch_execnz .LBB263_190
.LBB263_204:
	s_or_b32 exec_lo, exec_lo, s30
	s_delay_alu instid0(SALU_CYCLE_1)
	s_mov_b32 s20, exec_lo
	v_cmpx_gt_i32_e64 s27, v12
	s_cbranch_execnz .LBB263_215
.LBB263_205:
	s_or_b32 exec_lo, exec_lo, s20
                                        ; implicit-def: $vgpr16
                                        ; implicit-def: $vgpr12
	s_waitcnt lgkmcnt(0)
	s_and_not1_saveexec_b32 s2, s25
	s_cbranch_execnz .LBB263_8
.LBB263_206:
	s_nop 0
	s_sendmsg sendmsg(MSG_DEALLOC_VGPRS)
	s_endpgm
.LBB263_207:
	v_dual_mov_b32 v2, v12 :: v_dual_mov_b32 v1, 0
.LBB263_208:
	s_and_b32 s34, s34, 3
	s_delay_alu instid0(SALU_CYCLE_1)
	s_cmp_eq_u32 s34, 0
	s_cbranch_scc1 .LBB263_211
; %bb.209:
	s_lshl_b32 s18, s33, 3
	s_mul_i32 s20, s33, 12
	s_add_u32 s18, s18, s0
	s_addc_u32 s19, s1, 0
	s_add_u32 s18, s18, 0xc4
	s_addc_u32 s19, s19, 0
	;; [unrolled: 2-line block ×3, first 2 shown]
	.p2align	6
.LBB263_210:                            ; =>This Inner Loop Header: Depth=1
	s_clause 0x1
	s_load_b64 s[36:37], s[20:21], 0x4
	s_load_b32 s33, s[20:21], 0xc
	s_load_b64 s[38:39], s[18:19], 0x0
	s_add_u32 s20, s20, 12
	s_addc_u32 s21, s21, 0
	s_add_u32 s18, s18, 8
	s_addc_u32 s19, s19, 0
	s_add_i32 s34, s34, -1
	s_delay_alu instid0(SALU_CYCLE_1) | instskip(SKIP_2) | instid1(VALU_DEP_1)
	s_cmp_lg_u32 s34, 0
	s_waitcnt lgkmcnt(0)
	v_mul_hi_u32 v3, s37, v2
	v_add_nc_u32_e32 v3, v2, v3
	s_delay_alu instid0(VALU_DEP_1) | instskip(NEXT) | instid1(VALU_DEP_1)
	v_lshrrev_b32_e32 v6, s33, v3
	v_mul_lo_u32 v3, v6, s36
	s_delay_alu instid0(VALU_DEP_1) | instskip(NEXT) | instid1(VALU_DEP_1)
	v_sub_nc_u32_e32 v2, v2, v3
	v_mad_u64_u32 v[3:4], null, v2, s38, v[0:1]
	v_mad_u64_u32 v[4:5], null, v2, s39, v[1:2]
	v_mov_b32_e32 v2, v6
	s_delay_alu instid0(VALU_DEP_2)
	v_dual_mov_b32 v0, v3 :: v_dual_mov_b32 v1, v4
	s_cbranch_scc1 .LBB263_210
.LBB263_211:
	s_and_not1_b32 vcc_lo, exec_lo, s31
	s_cbranch_vccnz .LBB263_214
; %bb.212:
	s_waitcnt lgkmcnt(0)
	v_mul_hi_u32 v0, s13, v12
	s_and_not1_b32 vcc_lo, exec_lo, s26
	s_delay_alu instid0(VALU_DEP_1) | instskip(NEXT) | instid1(VALU_DEP_1)
	v_add_nc_u32_e32 v0, v12, v0
	v_lshrrev_b32_e32 v2, s14, v0
	s_delay_alu instid0(VALU_DEP_1) | instskip(NEXT) | instid1(VALU_DEP_1)
	v_mul_lo_u32 v0, v2, s12
	v_sub_nc_u32_e32 v1, v12, v0
	s_delay_alu instid0(VALU_DEP_1)
	v_mul_lo_u32 v0, v1, s8
	v_mul_lo_u32 v1, v1, s9
	s_cbranch_vccnz .LBB263_214
; %bb.213:
	v_mul_hi_u32 v3, s2, v2
	s_delay_alu instid0(VALU_DEP_1) | instskip(NEXT) | instid1(VALU_DEP_1)
	v_add_nc_u32_e32 v3, v2, v3
	v_lshrrev_b32_e32 v3, s3, v3
	s_delay_alu instid0(VALU_DEP_1) | instskip(NEXT) | instid1(VALU_DEP_1)
	v_mul_lo_u32 v3, v3, s15
	v_sub_nc_u32_e32 v5, v2, v3
	s_delay_alu instid0(VALU_DEP_1) | instskip(NEXT) | instid1(VALU_DEP_1)
	v_mad_u64_u32 v[2:3], null, v5, s10, v[0:1]
	v_mad_u64_u32 v[3:4], null, v5, s11, v[1:2]
	s_delay_alu instid0(VALU_DEP_1)
	v_dual_mov_b32 v0, v2 :: v_dual_mov_b32 v1, v3
.LBB263_214:
	s_waitcnt lgkmcnt(0)
	global_load_u16 v1, v1, s[6:7]
	v_add_nc_u32_e32 v12, 0x80, v12
	s_waitcnt vmcnt(0)
	v_cvt_f32_f16_e32 v1, v1
	s_delay_alu instid0(VALU_DEP_1) | instskip(SKIP_1) | instid1(VALU_DEP_2)
	v_mul_f32_e32 v2, 0x4f800000, v1
	v_cmp_gt_f32_e32 vcc_lo, 0xf800000, v1
	v_cndmask_b32_e32 v1, v1, v2, vcc_lo
	s_delay_alu instid0(VALU_DEP_1) | instskip(SKIP_3) | instid1(VALU_DEP_1)
	v_rsq_f32_e32 v2, v1
	s_waitcnt_depctr 0xfff
	v_mul_f32_e32 v3, v1, v2
	v_mul_f32_e32 v2, 0.5, v2
	v_fma_f32 v4, -v2, v3, 0.5
	s_delay_alu instid0(VALU_DEP_1) | instskip(SKIP_1) | instid1(VALU_DEP_2)
	v_fmac_f32_e32 v3, v3, v4
	v_fmac_f32_e32 v2, v2, v4
	v_fma_f32 v5, -v3, v3, v1
	s_delay_alu instid0(VALU_DEP_1) | instskip(NEXT) | instid1(VALU_DEP_1)
	v_fmac_f32_e32 v3, v5, v2
	v_mul_f32_e32 v2, 0x37800000, v3
	s_delay_alu instid0(VALU_DEP_1) | instskip(SKIP_1) | instid1(VALU_DEP_2)
	v_cndmask_b32_e32 v2, v3, v2, vcc_lo
	v_cmp_class_f32_e64 vcc_lo, v1, 0x260
	v_cndmask_b32_e32 v1, v2, v1, vcc_lo
	s_delay_alu instid0(VALU_DEP_1) | instskip(SKIP_2) | instid1(SALU_CYCLE_1)
	v_cvt_f16_f32_e32 v1, v1
	global_store_b16 v0, v1, s[4:5]
	s_or_b32 exec_lo, exec_lo, s30
	s_mov_b32 s20, exec_lo
	v_cmpx_gt_i32_e64 s27, v12
	s_cbranch_execz .LBB263_205
.LBB263_215:
	s_and_not1_b32 vcc_lo, exec_lo, s24
	s_cbranch_vccnz .LBB263_220
; %bb.216:
	v_dual_mov_b32 v0, 0 :: v_dual_mov_b32 v1, 0
	s_and_not1_b32 vcc_lo, exec_lo, s29
	s_mov_b32 s21, 0
	s_cbranch_vccnz .LBB263_225
; %bb.217:
	v_mov_b32_e32 v0, 0
	s_add_i32 s28, s28, 1
	s_cmp_eq_u32 s23, 2
	s_mov_b32 s27, 0
	s_cbranch_scc1 .LBB263_221
; %bb.218:
	v_dual_mov_b32 v1, 0 :: v_dual_mov_b32 v0, 0
	v_mov_b32_e32 v2, v12
	s_and_b32 s27, s28, 28
	s_mov_b32 s29, 0
	s_mov_b64 s[18:19], s[0:1]
.LBB263_219:                            ; =>This Inner Loop Header: Depth=1
	s_clause 0x1
	s_load_b256 s[36:43], s[18:19], 0x4
	s_load_b128 s[52:55], s[18:19], 0x24
	s_load_b256 s[44:51], s[16:17], 0x0
	s_add_u32 s18, s18, 48
	s_addc_u32 s19, s19, 0
	s_add_i32 s29, s29, 4
	s_add_u32 s16, s16, 32
	s_addc_u32 s17, s17, 0
	s_cmp_eq_u32 s27, s29
	s_waitcnt lgkmcnt(0)
	v_mul_hi_u32 v3, s37, v2
	s_delay_alu instid0(VALU_DEP_1) | instskip(NEXT) | instid1(VALU_DEP_1)
	v_add_nc_u32_e32 v3, v2, v3
	v_lshrrev_b32_e32 v3, s38, v3
	s_delay_alu instid0(VALU_DEP_1) | instskip(SKIP_1) | instid1(VALU_DEP_2)
	v_mul_hi_u32 v4, s40, v3
	v_mul_lo_u32 v6, v3, s36
	v_add_nc_u32_e32 v4, v3, v4
	s_delay_alu instid0(VALU_DEP_2) | instskip(NEXT) | instid1(VALU_DEP_2)
	v_sub_nc_u32_e32 v2, v2, v6
	v_lshrrev_b32_e32 v4, s41, v4
	s_delay_alu instid0(VALU_DEP_2) | instskip(SKIP_1) | instid1(VALU_DEP_3)
	v_mul_lo_u32 v6, v2, s44
	v_mul_lo_u32 v8, v2, s45
	v_mul_hi_u32 v5, s43, v4
	s_delay_alu instid0(VALU_DEP_1) | instskip(NEXT) | instid1(VALU_DEP_1)
	v_add_nc_u32_e32 v5, v4, v5
	v_lshrrev_b32_e32 v5, s52, v5
	s_delay_alu instid0(VALU_DEP_1) | instskip(SKIP_1) | instid1(VALU_DEP_2)
	v_mul_hi_u32 v7, s54, v5
	v_mul_lo_u32 v9, v5, s42
	v_add_nc_u32_e32 v2, v5, v7
	v_mul_lo_u32 v7, v4, s39
	s_delay_alu instid0(VALU_DEP_3) | instskip(NEXT) | instid1(VALU_DEP_3)
	v_sub_nc_u32_e32 v4, v4, v9
	v_lshrrev_b32_e32 v2, s55, v2
	s_delay_alu instid0(VALU_DEP_2) | instskip(SKIP_2) | instid1(VALU_DEP_4)
	v_mul_lo_u32 v9, v4, s48
	v_mul_lo_u32 v4, v4, s49
	v_sub_nc_u32_e32 v3, v3, v7
	v_mul_lo_u32 v10, v2, s53
	s_delay_alu instid0(VALU_DEP_2) | instskip(SKIP_1) | instid1(VALU_DEP_3)
	v_mul_lo_u32 v7, v3, s46
	v_mul_lo_u32 v3, v3, s47
	v_sub_nc_u32_e32 v5, v5, v10
	s_delay_alu instid0(VALU_DEP_3) | instskip(NEXT) | instid1(VALU_DEP_2)
	v_add3_u32 v0, v6, v0, v7
	v_mul_lo_u32 v10, v5, s50
	v_mul_lo_u32 v5, v5, s51
	v_add3_u32 v1, v8, v1, v3
	s_delay_alu instid0(VALU_DEP_3) | instskip(NEXT) | instid1(VALU_DEP_2)
	v_add3_u32 v0, v9, v0, v10
	v_add3_u32 v1, v4, v1, v5
	s_cbranch_scc0 .LBB263_219
	s_branch .LBB263_222
.LBB263_220:
	s_mov_b32 s21, -1
                                        ; implicit-def: $vgpr0
                                        ; implicit-def: $vgpr1
	s_branch .LBB263_225
.LBB263_221:
	v_dual_mov_b32 v2, v12 :: v_dual_mov_b32 v1, 0
.LBB263_222:
	s_and_b32 s28, s28, 3
	s_delay_alu instid0(SALU_CYCLE_1)
	s_cmp_eq_u32 s28, 0
	s_cbranch_scc1 .LBB263_225
; %bb.223:
	s_lshl_b32 s16, s27, 3
	s_mul_i32 s18, s27, 12
	s_add_u32 s16, s16, s0
	s_addc_u32 s17, s1, 0
	s_add_u32 s16, s16, 0xc4
	s_addc_u32 s17, s17, 0
	;; [unrolled: 2-line block ×3, first 2 shown]
	.p2align	6
.LBB263_224:                            ; =>This Inner Loop Header: Depth=1
	s_clause 0x1
	s_load_b64 s[30:31], s[18:19], 0x4
	s_load_b32 s27, s[18:19], 0xc
	s_load_b64 s[34:35], s[16:17], 0x0
	s_add_u32 s18, s18, 12
	s_addc_u32 s19, s19, 0
	s_add_u32 s16, s16, 8
	s_addc_u32 s17, s17, 0
	s_add_i32 s28, s28, -1
	s_delay_alu instid0(SALU_CYCLE_1) | instskip(SKIP_2) | instid1(VALU_DEP_1)
	s_cmp_lg_u32 s28, 0
	s_waitcnt lgkmcnt(0)
	v_mul_hi_u32 v3, s31, v2
	v_add_nc_u32_e32 v3, v2, v3
	s_delay_alu instid0(VALU_DEP_1) | instskip(NEXT) | instid1(VALU_DEP_1)
	v_lshrrev_b32_e32 v6, s27, v3
	v_mul_lo_u32 v3, v6, s30
	s_delay_alu instid0(VALU_DEP_1) | instskip(NEXT) | instid1(VALU_DEP_1)
	v_sub_nc_u32_e32 v2, v2, v3
	v_mad_u64_u32 v[3:4], null, v2, s34, v[0:1]
	v_mad_u64_u32 v[4:5], null, v2, s35, v[1:2]
	v_mov_b32_e32 v2, v6
	s_delay_alu instid0(VALU_DEP_2)
	v_dual_mov_b32 v0, v3 :: v_dual_mov_b32 v1, v4
	s_cbranch_scc1 .LBB263_224
.LBB263_225:
	s_and_not1_b32 vcc_lo, exec_lo, s21
	s_cbranch_vccnz .LBB263_228
; %bb.226:
	s_waitcnt lgkmcnt(0)
	v_mul_hi_u32 v0, s13, v12
	s_and_not1_b32 vcc_lo, exec_lo, s26
	s_delay_alu instid0(VALU_DEP_1) | instskip(NEXT) | instid1(VALU_DEP_1)
	v_add_nc_u32_e32 v0, v12, v0
	v_lshrrev_b32_e32 v2, s14, v0
	s_delay_alu instid0(VALU_DEP_1) | instskip(NEXT) | instid1(VALU_DEP_1)
	v_mul_lo_u32 v0, v2, s12
	v_sub_nc_u32_e32 v1, v12, v0
	s_delay_alu instid0(VALU_DEP_1)
	v_mul_lo_u32 v0, v1, s8
	v_mul_lo_u32 v1, v1, s9
	s_cbranch_vccnz .LBB263_228
; %bb.227:
	v_mul_hi_u32 v3, s2, v2
	s_delay_alu instid0(VALU_DEP_1) | instskip(NEXT) | instid1(VALU_DEP_1)
	v_add_nc_u32_e32 v3, v2, v3
	v_lshrrev_b32_e32 v3, s3, v3
	s_delay_alu instid0(VALU_DEP_1) | instskip(NEXT) | instid1(VALU_DEP_1)
	v_mul_lo_u32 v3, v3, s15
	v_sub_nc_u32_e32 v5, v2, v3
	s_delay_alu instid0(VALU_DEP_1) | instskip(NEXT) | instid1(VALU_DEP_1)
	v_mad_u64_u32 v[2:3], null, v5, s10, v[0:1]
	v_mad_u64_u32 v[3:4], null, v5, s11, v[1:2]
	s_delay_alu instid0(VALU_DEP_1)
	v_dual_mov_b32 v0, v2 :: v_dual_mov_b32 v1, v3
.LBB263_228:
	s_waitcnt lgkmcnt(0)
	global_load_u16 v1, v1, s[6:7]
	s_waitcnt vmcnt(0)
	v_cvt_f32_f16_e32 v1, v1
	s_delay_alu instid0(VALU_DEP_1) | instskip(SKIP_1) | instid1(VALU_DEP_2)
	v_mul_f32_e32 v2, 0x4f800000, v1
	v_cmp_gt_f32_e32 vcc_lo, 0xf800000, v1
	v_cndmask_b32_e32 v1, v1, v2, vcc_lo
	s_delay_alu instid0(VALU_DEP_1) | instskip(SKIP_3) | instid1(VALU_DEP_1)
	v_rsq_f32_e32 v2, v1
	s_waitcnt_depctr 0xfff
	v_mul_f32_e32 v3, v1, v2
	v_mul_f32_e32 v2, 0.5, v2
	v_fma_f32 v4, -v2, v3, 0.5
	s_delay_alu instid0(VALU_DEP_1) | instskip(SKIP_1) | instid1(VALU_DEP_1)
	v_fmac_f32_e32 v2, v2, v4
	v_fmac_f32_e32 v3, v3, v4
	v_fma_f32 v5, -v3, v3, v1
	s_delay_alu instid0(VALU_DEP_1) | instskip(NEXT) | instid1(VALU_DEP_1)
	v_fmac_f32_e32 v3, v5, v2
	v_mul_f32_e32 v2, 0x37800000, v3
	s_delay_alu instid0(VALU_DEP_1) | instskip(SKIP_1) | instid1(VALU_DEP_2)
	v_cndmask_b32_e32 v2, v3, v2, vcc_lo
	v_cmp_class_f32_e64 vcc_lo, v1, 0x260
	v_cndmask_b32_e32 v1, v2, v1, vcc_lo
	s_delay_alu instid0(VALU_DEP_1)
	v_cvt_f16_f32_e32 v1, v1
	global_store_b16 v0, v1, s[4:5]
	s_or_b32 exec_lo, exec_lo, s20
                                        ; implicit-def: $vgpr16
                                        ; implicit-def: $vgpr12
	s_and_not1_saveexec_b32 s2, s25
	s_cbranch_execz .LBB263_206
	s_branch .LBB263_8
	.section	.rodata,"a",@progbits
	.p2align	6, 0x0
	.amdhsa_kernel _ZN2at6native32elementwise_kernel_manual_unrollILi128ELi8EZNS0_22gpu_kernel_impl_nocastIZZZNS0_16sqrt_kernel_cudaERNS_18TensorIteratorBaseEENKUlvE0_clEvENKUlvE1_clEvEUlN3c104HalfEE_EEvS4_RKT_EUlibE_EEviT1_
		.amdhsa_group_segment_fixed_size 0
		.amdhsa_private_segment_fixed_size 0
		.amdhsa_kernarg_size 360
		.amdhsa_user_sgpr_count 15
		.amdhsa_user_sgpr_dispatch_ptr 0
		.amdhsa_user_sgpr_queue_ptr 0
		.amdhsa_user_sgpr_kernarg_segment_ptr 1
		.amdhsa_user_sgpr_dispatch_id 0
		.amdhsa_user_sgpr_private_segment_size 0
		.amdhsa_wavefront_size32 1
		.amdhsa_uses_dynamic_stack 0
		.amdhsa_enable_private_segment 0
		.amdhsa_system_sgpr_workgroup_id_x 1
		.amdhsa_system_sgpr_workgroup_id_y 0
		.amdhsa_system_sgpr_workgroup_id_z 0
		.amdhsa_system_sgpr_workgroup_info 0
		.amdhsa_system_vgpr_workitem_id 0
		.amdhsa_next_free_vgpr 40
		.amdhsa_next_free_sgpr 56
		.amdhsa_reserve_vcc 1
		.amdhsa_float_round_mode_32 0
		.amdhsa_float_round_mode_16_64 0
		.amdhsa_float_denorm_mode_32 3
		.amdhsa_float_denorm_mode_16_64 3
		.amdhsa_dx10_clamp 1
		.amdhsa_ieee_mode 1
		.amdhsa_fp16_overflow 0
		.amdhsa_workgroup_processor_mode 1
		.amdhsa_memory_ordered 1
		.amdhsa_forward_progress 0
		.amdhsa_shared_vgpr_count 0
		.amdhsa_exception_fp_ieee_invalid_op 0
		.amdhsa_exception_fp_denorm_src 0
		.amdhsa_exception_fp_ieee_div_zero 0
		.amdhsa_exception_fp_ieee_overflow 0
		.amdhsa_exception_fp_ieee_underflow 0
		.amdhsa_exception_fp_ieee_inexact 0
		.amdhsa_exception_int_div_zero 0
	.end_amdhsa_kernel
	.section	.text._ZN2at6native32elementwise_kernel_manual_unrollILi128ELi8EZNS0_22gpu_kernel_impl_nocastIZZZNS0_16sqrt_kernel_cudaERNS_18TensorIteratorBaseEENKUlvE0_clEvENKUlvE1_clEvEUlN3c104HalfEE_EEvS4_RKT_EUlibE_EEviT1_,"axG",@progbits,_ZN2at6native32elementwise_kernel_manual_unrollILi128ELi8EZNS0_22gpu_kernel_impl_nocastIZZZNS0_16sqrt_kernel_cudaERNS_18TensorIteratorBaseEENKUlvE0_clEvENKUlvE1_clEvEUlN3c104HalfEE_EEvS4_RKT_EUlibE_EEviT1_,comdat
.Lfunc_end263:
	.size	_ZN2at6native32elementwise_kernel_manual_unrollILi128ELi8EZNS0_22gpu_kernel_impl_nocastIZZZNS0_16sqrt_kernel_cudaERNS_18TensorIteratorBaseEENKUlvE0_clEvENKUlvE1_clEvEUlN3c104HalfEE_EEvS4_RKT_EUlibE_EEviT1_, .Lfunc_end263-_ZN2at6native32elementwise_kernel_manual_unrollILi128ELi8EZNS0_22gpu_kernel_impl_nocastIZZZNS0_16sqrt_kernel_cudaERNS_18TensorIteratorBaseEENKUlvE0_clEvENKUlvE1_clEvEUlN3c104HalfEE_EEvS4_RKT_EUlibE_EEviT1_
                                        ; -- End function
	.section	.AMDGPU.csdata,"",@progbits
; Kernel info:
; codeLenInByte = 15220
; NumSgprs: 58
; NumVgprs: 40
; ScratchSize: 0
; MemoryBound: 0
; FloatMode: 240
; IeeeMode: 1
; LDSByteSize: 0 bytes/workgroup (compile time only)
; SGPRBlocks: 7
; VGPRBlocks: 4
; NumSGPRsForWavesPerEU: 58
; NumVGPRsForWavesPerEU: 40
; Occupancy: 16
; WaveLimiterHint : 1
; COMPUTE_PGM_RSRC2:SCRATCH_EN: 0
; COMPUTE_PGM_RSRC2:USER_SGPR: 15
; COMPUTE_PGM_RSRC2:TRAP_HANDLER: 0
; COMPUTE_PGM_RSRC2:TGID_X_EN: 1
; COMPUTE_PGM_RSRC2:TGID_Y_EN: 0
; COMPUTE_PGM_RSRC2:TGID_Z_EN: 0
; COMPUTE_PGM_RSRC2:TIDIG_COMP_CNT: 0
	.section	.text._ZN2at6native32elementwise_kernel_manual_unrollILi128ELi4EZNS0_15gpu_kernel_implIZZZNS0_16sqrt_kernel_cudaERNS_18TensorIteratorBaseEENKUlvE0_clEvENKUlvE1_clEvEUlN3c104HalfEE_EEvS4_RKT_EUlibE_EEviT1_,"axG",@progbits,_ZN2at6native32elementwise_kernel_manual_unrollILi128ELi4EZNS0_15gpu_kernel_implIZZZNS0_16sqrt_kernel_cudaERNS_18TensorIteratorBaseEENKUlvE0_clEvENKUlvE1_clEvEUlN3c104HalfEE_EEvS4_RKT_EUlibE_EEviT1_,comdat
	.globl	_ZN2at6native32elementwise_kernel_manual_unrollILi128ELi4EZNS0_15gpu_kernel_implIZZZNS0_16sqrt_kernel_cudaERNS_18TensorIteratorBaseEENKUlvE0_clEvENKUlvE1_clEvEUlN3c104HalfEE_EEvS4_RKT_EUlibE_EEviT1_ ; -- Begin function _ZN2at6native32elementwise_kernel_manual_unrollILi128ELi4EZNS0_15gpu_kernel_implIZZZNS0_16sqrt_kernel_cudaERNS_18TensorIteratorBaseEENKUlvE0_clEvENKUlvE1_clEvEUlN3c104HalfEE_EEvS4_RKT_EUlibE_EEviT1_
	.p2align	8
	.type	_ZN2at6native32elementwise_kernel_manual_unrollILi128ELi4EZNS0_15gpu_kernel_implIZZZNS0_16sqrt_kernel_cudaERNS_18TensorIteratorBaseEENKUlvE0_clEvENKUlvE1_clEvEUlN3c104HalfEE_EEvS4_RKT_EUlibE_EEviT1_,@function
_ZN2at6native32elementwise_kernel_manual_unrollILi128ELi4EZNS0_15gpu_kernel_implIZZZNS0_16sqrt_kernel_cudaERNS_18TensorIteratorBaseEENKUlvE0_clEvENKUlvE1_clEvEUlN3c104HalfEE_EEvS4_RKT_EUlibE_EEviT1_: ; @_ZN2at6native32elementwise_kernel_manual_unrollILi128ELi4EZNS0_15gpu_kernel_implIZZZNS0_16sqrt_kernel_cudaERNS_18TensorIteratorBaseEENKUlvE0_clEvENKUlvE1_clEvEUlN3c104HalfEE_EEvS4_RKT_EUlibE_EEviT1_
; %bb.0:
	v_mov_b32_e32 v1, 0
	s_clause 0x2
	s_load_b32 s10, s[0:1], 0x0
	s_load_b64 s[2:3], s[0:1], 0x18
	s_load_b128 s[4:7], s[0:1], 0x8
	v_lshl_or_b32 v3, s15, 9, v0
	s_mov_b32 s9, 0
	global_load_u16 v2, v1, s[0:1] offset:33
	s_mov_b32 s1, 0
	v_or_b32_e32 v0, 0x180, v3
	s_mov_b32 s0, exec_lo
	s_waitcnt vmcnt(0)
	v_lshrrev_b16 v4, 8, v2
	s_waitcnt lgkmcnt(0)
	v_cmpx_le_i32_e64 s10, v0
	s_xor_b32 s8, exec_lo, s0
	s_cbranch_execz .LBB264_1033
; %bb.1:
	s_mov_b32 s15, -1
	s_mov_b32 s13, 0
	s_mov_b32 s11, 0
	s_mov_b32 s12, exec_lo
	v_cmpx_gt_i32_e64 s10, v3
	s_cbranch_execz .LBB264_252
; %bb.2:
	v_mul_lo_u32 v0, v3, s3
	v_cmp_gt_i16_e32 vcc_lo, 11, v4
	s_delay_alu instid0(VALU_DEP_2) | instskip(SKIP_1) | instid1(VALU_DEP_1)
	v_ashrrev_i32_e32 v1, 31, v0
	v_add_co_u32 v0, s0, s6, v0
	v_add_co_ci_u32_e64 v1, s0, s7, v1, s0
	s_cbranch_vccnz .LBB264_9
; %bb.3:
	v_cmp_lt_i16_e32 vcc_lo, 25, v4
	s_cbranch_vccz .LBB264_18
; %bb.4:
	v_cmp_lt_i16_e32 vcc_lo, 28, v4
	s_cbranch_vccz .LBB264_21
	;; [unrolled: 3-line block ×4, first 2 shown]
; %bb.7:
	v_cmp_eq_u16_e32 vcc_lo, 46, v4
	s_cbranch_vccz .LBB264_27
; %bb.8:
	global_load_b32 v5, v[0:1], off
	s_mov_b32 s0, -1
	s_waitcnt vmcnt(0)
	v_lshlrev_b32_e32 v5, 16, v5
	s_delay_alu instid0(VALU_DEP_1)
	v_cvt_f16_f32_e32 v5, v5
	s_branch .LBB264_29
.LBB264_9:
	s_mov_b32 s0, 0
                                        ; implicit-def: $vgpr5
	s_cbranch_execnz .LBB264_202
.LBB264_10:
	s_and_not1_b32 vcc_lo, exec_lo, s0
	s_cbranch_vccnz .LBB264_249
.LBB264_11:
	s_waitcnt vmcnt(0)
	s_delay_alu instid0(VALU_DEP_1) | instskip(NEXT) | instid1(VALU_DEP_1)
	v_cvt_f32_f16_e32 v0, v5
	v_mul_f32_e32 v1, 0x4f800000, v0
	v_cmp_gt_f32_e32 vcc_lo, 0xf800000, v0
	s_delay_alu instid0(VALU_DEP_2) | instskip(NEXT) | instid1(VALU_DEP_1)
	v_cndmask_b32_e32 v0, v0, v1, vcc_lo
	v_rsq_f32_e32 v1, v0
	s_waitcnt_depctr 0xfff
	v_mul_f32_e32 v5, v0, v1
	v_mul_f32_e32 v1, 0.5, v1
	s_delay_alu instid0(VALU_DEP_1) | instskip(NEXT) | instid1(VALU_DEP_1)
	v_fma_f32 v6, -v1, v5, 0.5
	v_fmac_f32_e32 v5, v5, v6
	v_fmac_f32_e32 v1, v1, v6
	v_cmp_class_f32_e64 s0, v0, 0x260
	s_delay_alu instid0(VALU_DEP_3) | instskip(NEXT) | instid1(VALU_DEP_1)
	v_fma_f32 v6, -v5, v5, v0
	v_dual_fmac_f32 v5, v6, v1 :: v_dual_and_b32 v6, 0xff, v2
	v_mul_lo_u32 v1, v3, s2
	s_delay_alu instid0(VALU_DEP_2) | instskip(NEXT) | instid1(VALU_DEP_1)
	v_mul_f32_e32 v7, 0x37800000, v5
	v_cndmask_b32_e32 v5, v5, v7, vcc_lo
	s_delay_alu instid0(VALU_DEP_3) | instskip(SKIP_1) | instid1(VALU_DEP_3)
	v_ashrrev_i32_e32 v7, 31, v1
	v_cmp_gt_i16_e32 vcc_lo, 11, v6
	v_cndmask_b32_e64 v5, v5, v0, s0
	v_add_co_u32 v0, s0, s4, v1
	s_delay_alu instid0(VALU_DEP_1) | instskip(NEXT) | instid1(VALU_DEP_3)
	v_add_co_ci_u32_e64 v1, s0, s5, v7, s0
	v_cvt_f16_f32_e32 v5, v5
	s_cbranch_vccnz .LBB264_19
; %bb.12:
	v_cmp_lt_i16_e32 vcc_lo, 25, v6
	s_cbranch_vccz .LBB264_22
; %bb.13:
	v_cmp_lt_i16_e32 vcc_lo, 28, v6
	s_cbranch_vccz .LBB264_24
	;; [unrolled: 3-line block ×4, first 2 shown]
; %bb.16:
	v_cmp_eq_u16_e32 vcc_lo, 46, v6
	s_mov_b32 s14, 0
	s_mov_b32 s0, -1
	s_mov_b32 s9, 0
	s_cbranch_vccz .LBB264_33
; %bb.17:
	v_cvt_f32_f16_e32 v7, v5
	v_cmp_o_f16_e32 vcc_lo, v5, v5
	s_mov_b32 s9, -1
	s_mov_b32 s0, 0
	s_delay_alu instid0(VALU_DEP_2) | instskip(NEXT) | instid1(VALU_DEP_1)
	v_bfe_u32 v8, v7, 16, 1
	v_add3_u32 v7, v7, v8, 0x7fff
	s_delay_alu instid0(VALU_DEP_1) | instskip(NEXT) | instid1(VALU_DEP_1)
	v_lshrrev_b32_e32 v7, 16, v7
	v_cndmask_b32_e32 v7, 0x7fc0, v7, vcc_lo
	global_store_b32 v[0:1], v7, off
	s_branch .LBB264_33
.LBB264_18:
	s_mov_b32 s0, 0
                                        ; implicit-def: $vgpr5
	s_cbranch_execnz .LBB264_167
	s_branch .LBB264_201
.LBB264_19:
	s_mov_b32 s0, 0
	s_mov_b32 s9, 0
	s_cbranch_execnz .LBB264_102
.LBB264_20:
	s_and_not1_b32 vcc_lo, exec_lo, s9
	s_cbranch_vccnz .LBB264_250
	s_branch .LBB264_140
.LBB264_21:
	s_mov_b32 s9, -1
	s_mov_b32 s0, 0
                                        ; implicit-def: $vgpr5
	s_branch .LBB264_148
.LBB264_22:
	s_mov_b32 s14, -1
	s_mov_b32 s0, 0
	s_mov_b32 s9, 0
	s_branch .LBB264_60
.LBB264_23:
	s_mov_b32 s9, -1
	s_mov_b32 s0, 0
                                        ; implicit-def: $vgpr5
	s_branch .LBB264_143
.LBB264_24:
	s_mov_b32 s14, -1
	s_mov_b32 s0, 0
	s_mov_b32 s9, 0
	s_branch .LBB264_43
.LBB264_25:
	s_mov_b32 s9, -1
	s_branch .LBB264_28
.LBB264_26:
	s_mov_b32 s14, -1
	s_mov_b32 s0, 0
	s_mov_b32 s9, 0
	s_branch .LBB264_39
.LBB264_27:
	s_mov_b32 s11, -1
.LBB264_28:
	s_mov_b32 s0, 0
                                        ; implicit-def: $vgpr5
.LBB264_29:
	s_and_b32 vcc_lo, exec_lo, s9
	s_cbranch_vccz .LBB264_142
; %bb.30:
	v_cmp_eq_u16_e32 vcc_lo, 44, v4
	s_cbranch_vccz .LBB264_141
; %bb.31:
	global_load_u8 v5, v[0:1], off
	s_mov_b32 s11, 0
	s_mov_b32 s0, -1
	s_waitcnt vmcnt(0)
	v_lshlrev_b32_e32 v6, 23, v5
	v_cmp_ne_u32_e32 vcc_lo, 0xff, v5
	s_delay_alu instid0(VALU_DEP_2) | instskip(NEXT) | instid1(VALU_DEP_1)
	v_cvt_f16_f32_e32 v6, v6
	v_cndmask_b32_e32 v6, 0x7e00, v6, vcc_lo
	v_cmp_ne_u32_e32 vcc_lo, 0, v5
	s_delay_alu instid0(VALU_DEP_2)
	v_cndmask_b32_e32 v5, 0, v6, vcc_lo
	s_branch .LBB264_142
.LBB264_32:
	s_mov_b32 s14, -1
	s_mov_b32 s0, 0
	s_mov_b32 s9, 0
.LBB264_33:
	s_and_b32 vcc_lo, exec_lo, s14
	s_cbranch_vccz .LBB264_38
; %bb.34:
	v_cmp_eq_u16_e32 vcc_lo, 44, v6
	s_mov_b32 s0, -1
	s_cbranch_vccz .LBB264_38
; %bb.35:
	v_cvt_f32_f16_e32 v7, v5
	v_mov_b32_e32 v8, 0xff
	s_mov_b32 s9, exec_lo
	s_delay_alu instid0(VALU_DEP_2) | instskip(NEXT) | instid1(VALU_DEP_1)
	v_bfe_u32 v9, v7, 23, 8
	v_cmpx_ne_u32_e32 0xff, v9
; %bb.36:
	v_and_b32_e32 v8, 0x400000, v7
	v_and_or_b32 v9, 0x3fffff, v7, v9
	v_lshrrev_b32_e32 v7, 23, v7
	s_delay_alu instid0(VALU_DEP_3) | instskip(NEXT) | instid1(VALU_DEP_3)
	v_cmp_ne_u32_e32 vcc_lo, 0, v8
	v_cmp_ne_u32_e64 s0, 0, v9
	s_delay_alu instid0(VALU_DEP_1) | instskip(NEXT) | instid1(SALU_CYCLE_1)
	s_and_b32 s0, vcc_lo, s0
	v_cndmask_b32_e64 v8, 0, 1, s0
	s_delay_alu instid0(VALU_DEP_1)
	v_add_nc_u32_e32 v8, v7, v8
; %bb.37:
	s_or_b32 exec_lo, exec_lo, s9
	s_mov_b32 s9, -1
	s_mov_b32 s0, 0
	global_store_b8 v[0:1], v8, off
.LBB264_38:
	s_mov_b32 s14, 0
.LBB264_39:
	s_delay_alu instid0(SALU_CYCLE_1)
	s_and_b32 vcc_lo, exec_lo, s14
	s_cbranch_vccz .LBB264_42
; %bb.40:
	v_cmp_eq_u16_e32 vcc_lo, 29, v6
	s_mov_b32 s0, -1
	s_cbranch_vccz .LBB264_42
; %bb.41:
	v_cvt_f32_f16_e32 v7, v5
	v_mov_b32_e32 v8, 0
	s_mov_b32 s0, 0
	s_mov_b32 s9, -1
	s_mov_b32 s14, 0
	v_cvt_u32_f32_e32 v7, v7
	global_store_b64 v[0:1], v[7:8], off
	s_branch .LBB264_43
.LBB264_42:
	s_mov_b32 s14, 0
.LBB264_43:
	s_delay_alu instid0(SALU_CYCLE_1)
	s_and_b32 vcc_lo, exec_lo, s14
	s_cbranch_vccz .LBB264_59
; %bb.44:
	v_cmp_gt_i16_e32 vcc_lo, 27, v6
	s_mov_b32 s9, -1
	s_cbranch_vccnz .LBB264_50
; %bb.45:
	v_cmp_lt_i16_e32 vcc_lo, 27, v6
	s_cbranch_vccz .LBB264_47
; %bb.46:
	v_cvt_f32_f16_e32 v7, v5
	s_mov_b32 s9, 0
	s_delay_alu instid0(VALU_DEP_1)
	v_cvt_u32_f32_e32 v7, v7
	global_store_b32 v[0:1], v7, off
.LBB264_47:
	s_and_not1_b32 vcc_lo, exec_lo, s9
	s_cbranch_vccnz .LBB264_49
; %bb.48:
	v_cvt_u16_f16_e32 v7, v5
	global_store_b16 v[0:1], v7, off
.LBB264_49:
	s_mov_b32 s9, 0
.LBB264_50:
	s_delay_alu instid0(SALU_CYCLE_1)
	s_and_not1_b32 vcc_lo, exec_lo, s9
	s_cbranch_vccnz .LBB264_58
; %bb.51:
	v_cvt_f32_f16_e32 v7, v5
	v_mov_b32_e32 v9, 0x80
	s_mov_b32 s9, exec_lo
	s_delay_alu instid0(VALU_DEP_2) | instskip(NEXT) | instid1(VALU_DEP_1)
	v_and_b32_e32 v8, 0x7fffffff, v7
	v_cmpx_gt_u32_e32 0x43800000, v8
	s_cbranch_execz .LBB264_57
; %bb.52:
	v_cmp_lt_u32_e32 vcc_lo, 0x3bffffff, v8
	s_mov_b32 s14, 0
                                        ; implicit-def: $vgpr8
	s_and_saveexec_b32 s15, vcc_lo
	s_delay_alu instid0(SALU_CYCLE_1)
	s_xor_b32 s15, exec_lo, s15
	s_cbranch_execz .LBB264_276
; %bb.53:
	v_bfe_u32 v8, v7, 20, 1
	s_mov_b32 s14, exec_lo
	s_delay_alu instid0(VALU_DEP_1) | instskip(NEXT) | instid1(VALU_DEP_1)
	v_add3_u32 v8, v7, v8, 0x487ffff
	v_lshrrev_b32_e32 v8, 20, v8
	s_or_saveexec_b32 s15, s15
                                        ; implicit-def: $sgpr16
	s_delay_alu instid0(SALU_CYCLE_1)
	s_xor_b32 exec_lo, exec_lo, s15
	s_cbranch_execnz .LBB264_277
.LBB264_54:
	s_or_b32 exec_lo, exec_lo, s15
	v_mov_b32_e32 v9, s16
	s_and_saveexec_b32 s15, s14
.LBB264_55:
	v_lshrrev_b32_e32 v7, 24, v7
	s_delay_alu instid0(VALU_DEP_1)
	v_and_or_b32 v9, 0x80, v7, v8
.LBB264_56:
	s_or_b32 exec_lo, exec_lo, s15
.LBB264_57:
	s_delay_alu instid0(SALU_CYCLE_1)
	s_or_b32 exec_lo, exec_lo, s9
	global_store_b8 v[0:1], v9, off
.LBB264_58:
	s_mov_b32 s9, -1
.LBB264_59:
	s_mov_b32 s14, 0
.LBB264_60:
	s_delay_alu instid0(SALU_CYCLE_1)
	s_and_b32 vcc_lo, exec_lo, s14
	s_cbranch_vccz .LBB264_101
; %bb.61:
	v_cmp_lt_i16_e32 vcc_lo, 22, v6
	s_mov_b32 s14, -1
	s_cbranch_vccz .LBB264_93
; %bb.62:
	v_cmp_gt_i16_e32 vcc_lo, 24, v6
	s_mov_b32 s9, -1
	s_cbranch_vccnz .LBB264_82
; %bb.63:
	v_cmp_lt_i16_e32 vcc_lo, 24, v6
	s_cbranch_vccz .LBB264_71
; %bb.64:
	v_cvt_f32_f16_e32 v7, v5
	v_mov_b32_e32 v9, 0x80
	s_mov_b32 s9, exec_lo
	s_delay_alu instid0(VALU_DEP_2) | instskip(NEXT) | instid1(VALU_DEP_1)
	v_and_b32_e32 v8, 0x7fffffff, v7
	v_cmpx_gt_u32_e32 0x47800000, v8
	s_cbranch_execz .LBB264_70
; %bb.65:
	v_cmp_lt_u32_e32 vcc_lo, 0x37ffffff, v8
	s_mov_b32 s14, 0
                                        ; implicit-def: $vgpr8
	s_and_saveexec_b32 s15, vcc_lo
	s_delay_alu instid0(SALU_CYCLE_1)
	s_xor_b32 s15, exec_lo, s15
	s_cbranch_execz .LBB264_280
; %bb.66:
	v_bfe_u32 v8, v7, 21, 1
	s_mov_b32 s14, exec_lo
	s_delay_alu instid0(VALU_DEP_1) | instskip(NEXT) | instid1(VALU_DEP_1)
	v_add3_u32 v8, v7, v8, 0x88fffff
	v_lshrrev_b32_e32 v8, 21, v8
	s_or_saveexec_b32 s15, s15
                                        ; implicit-def: $sgpr16
	s_delay_alu instid0(SALU_CYCLE_1)
	s_xor_b32 exec_lo, exec_lo, s15
	s_cbranch_execnz .LBB264_281
.LBB264_67:
	s_or_b32 exec_lo, exec_lo, s15
	v_mov_b32_e32 v9, s16
	s_and_saveexec_b32 s15, s14
.LBB264_68:
	v_lshrrev_b32_e32 v7, 24, v7
	s_delay_alu instid0(VALU_DEP_1)
	v_and_or_b32 v9, 0x80, v7, v8
.LBB264_69:
	s_or_b32 exec_lo, exec_lo, s15
.LBB264_70:
	s_delay_alu instid0(SALU_CYCLE_1)
	s_or_b32 exec_lo, exec_lo, s9
	s_mov_b32 s9, 0
	global_store_b8 v[0:1], v9, off
.LBB264_71:
	s_and_b32 vcc_lo, exec_lo, s9
	s_cbranch_vccz .LBB264_81
; %bb.72:
	v_cvt_f32_f16_e32 v7, v5
	s_mov_b32 s9, exec_lo
                                        ; implicit-def: $vgpr8
	s_delay_alu instid0(VALU_DEP_1) | instskip(NEXT) | instid1(VALU_DEP_1)
	v_and_b32_e32 v9, 0x7fffffff, v7
	v_cmpx_gt_u32_e32 0x43f00000, v9
	s_xor_b32 s9, exec_lo, s9
	s_cbranch_execz .LBB264_78
; %bb.73:
	s_mov_b32 s14, exec_lo
                                        ; implicit-def: $vgpr8
	v_cmpx_lt_u32_e32 0x3c7fffff, v9
	s_xor_b32 s14, exec_lo, s14
; %bb.74:
	v_bfe_u32 v8, v7, 20, 1
	s_delay_alu instid0(VALU_DEP_1) | instskip(NEXT) | instid1(VALU_DEP_1)
	v_add3_u32 v8, v7, v8, 0x407ffff
	v_and_b32_e32 v9, 0xff00000, v8
	v_lshrrev_b32_e32 v8, 20, v8
	s_delay_alu instid0(VALU_DEP_2) | instskip(NEXT) | instid1(VALU_DEP_2)
	v_cmp_ne_u32_e32 vcc_lo, 0x7f00000, v9
	v_cndmask_b32_e32 v8, 0x7e, v8, vcc_lo
; %bb.75:
	s_and_not1_saveexec_b32 s14, s14
; %bb.76:
	v_add_f32_e64 v8, 0x46800000, |v7|
; %bb.77:
	s_or_b32 exec_lo, exec_lo, s14
                                        ; implicit-def: $vgpr9
.LBB264_78:
	s_and_not1_saveexec_b32 s9, s9
; %bb.79:
	v_mov_b32_e32 v8, 0x7f
	v_cmp_lt_u32_e32 vcc_lo, 0x7f800000, v9
	s_delay_alu instid0(VALU_DEP_2)
	v_cndmask_b32_e32 v8, 0x7e, v8, vcc_lo
; %bb.80:
	s_or_b32 exec_lo, exec_lo, s9
	v_lshrrev_b32_e32 v7, 24, v7
	s_delay_alu instid0(VALU_DEP_1)
	v_and_or_b32 v7, 0x80, v7, v8
	global_store_b8 v[0:1], v7, off
.LBB264_81:
	s_mov_b32 s9, 0
.LBB264_82:
	s_delay_alu instid0(SALU_CYCLE_1)
	s_and_not1_b32 vcc_lo, exec_lo, s9
	s_cbranch_vccnz .LBB264_92
; %bb.83:
	v_cvt_f32_f16_e32 v7, v5
	s_mov_b32 s9, exec_lo
                                        ; implicit-def: $vgpr8
	s_delay_alu instid0(VALU_DEP_1) | instskip(NEXT) | instid1(VALU_DEP_1)
	v_and_b32_e32 v9, 0x7fffffff, v7
	v_cmpx_gt_u32_e32 0x47800000, v9
	s_xor_b32 s9, exec_lo, s9
	s_cbranch_execz .LBB264_89
; %bb.84:
	s_mov_b32 s14, exec_lo
                                        ; implicit-def: $vgpr8
	v_cmpx_lt_u32_e32 0x387fffff, v9
	s_xor_b32 s14, exec_lo, s14
; %bb.85:
	v_bfe_u32 v8, v7, 21, 1
	s_delay_alu instid0(VALU_DEP_1) | instskip(NEXT) | instid1(VALU_DEP_1)
	v_add3_u32 v8, v7, v8, 0x80fffff
	v_lshrrev_b32_e32 v8, 21, v8
; %bb.86:
	s_and_not1_saveexec_b32 s14, s14
; %bb.87:
	v_add_f32_e64 v8, 0x43000000, |v7|
; %bb.88:
	s_or_b32 exec_lo, exec_lo, s14
                                        ; implicit-def: $vgpr9
.LBB264_89:
	s_and_not1_saveexec_b32 s9, s9
; %bb.90:
	v_mov_b32_e32 v8, 0x7f
	v_cmp_lt_u32_e32 vcc_lo, 0x7f800000, v9
	s_delay_alu instid0(VALU_DEP_2)
	v_cndmask_b32_e32 v8, 0x7c, v8, vcc_lo
; %bb.91:
	s_or_b32 exec_lo, exec_lo, s9
	v_lshrrev_b32_e32 v7, 24, v7
	s_delay_alu instid0(VALU_DEP_1)
	v_and_or_b32 v7, 0x80, v7, v8
	global_store_b8 v[0:1], v7, off
.LBB264_92:
	s_mov_b32 s14, 0
	s_mov_b32 s9, -1
.LBB264_93:
	s_and_not1_b32 vcc_lo, exec_lo, s14
	s_cbranch_vccnz .LBB264_101
; %bb.94:
	v_cmp_lt_i16_e32 vcc_lo, 14, v6
	s_mov_b32 s14, -1
	s_cbranch_vccz .LBB264_98
; %bb.95:
	v_cmp_eq_u16_e32 vcc_lo, 15, v6
	s_mov_b32 s0, -1
	s_cbranch_vccz .LBB264_97
; %bb.96:
	v_cvt_f32_f16_e32 v7, v5
	v_cmp_o_f16_e32 vcc_lo, v5, v5
	s_mov_b32 s9, -1
	s_mov_b32 s0, 0
	s_delay_alu instid0(VALU_DEP_2) | instskip(NEXT) | instid1(VALU_DEP_1)
	v_bfe_u32 v8, v7, 16, 1
	v_add3_u32 v7, v7, v8, 0x7fff
	s_delay_alu instid0(VALU_DEP_1) | instskip(NEXT) | instid1(VALU_DEP_1)
	v_lshrrev_b32_e32 v7, 16, v7
	v_cndmask_b32_e32 v7, 0x7fc0, v7, vcc_lo
	global_store_b16 v[0:1], v7, off
.LBB264_97:
	s_mov_b32 s14, 0
.LBB264_98:
	s_delay_alu instid0(SALU_CYCLE_1)
	s_and_b32 vcc_lo, exec_lo, s14
	s_cbranch_vccz .LBB264_101
; %bb.99:
	v_cmp_eq_u16_e32 vcc_lo, 11, v6
	s_mov_b32 s0, -1
	s_cbranch_vccz .LBB264_101
; %bb.100:
	v_cmp_neq_f16_e32 vcc_lo, 0, v5
	s_mov_b32 s0, 0
	s_mov_b32 s9, -1
	v_cndmask_b32_e64 v7, 0, 1, vcc_lo
	global_store_b8 v[0:1], v7, off
.LBB264_101:
	s_branch .LBB264_20
.LBB264_102:
	v_cmp_gt_i16_e32 vcc_lo, 5, v6
	s_mov_b32 s9, -1
	s_cbranch_vccnz .LBB264_123
; %bb.103:
	v_cmp_gt_i16_e32 vcc_lo, 8, v6
	s_cbranch_vccnz .LBB264_113
; %bb.104:
	v_cmp_gt_i16_e32 vcc_lo, 9, v6
	s_cbranch_vccnz .LBB264_110
; %bb.105:
	v_cmp_lt_i16_e32 vcc_lo, 9, v6
	s_cbranch_vccz .LBB264_107
; %bb.106:
	v_cvt_f32_f16_e32 v7, v5
	v_mov_b32_e32 v9, 0
	s_mov_b32 s9, 0
	s_delay_alu instid0(VALU_DEP_2) | instskip(NEXT) | instid1(VALU_DEP_2)
	v_cvt_f64_f32_e32 v[7:8], v7
	v_mov_b32_e32 v10, v9
	global_store_b128 v[0:1], v[7:10], off
.LBB264_107:
	s_and_not1_b32 vcc_lo, exec_lo, s9
	s_cbranch_vccnz .LBB264_109
; %bb.108:
	v_cvt_f32_f16_e32 v7, v5
	v_mov_b32_e32 v8, 0
	global_store_b64 v[0:1], v[7:8], off
.LBB264_109:
	s_mov_b32 s9, 0
.LBB264_110:
	s_delay_alu instid0(SALU_CYCLE_1)
	s_and_not1_b32 vcc_lo, exec_lo, s9
	s_cbranch_vccnz .LBB264_112
; %bb.111:
	v_and_b32_e32 v7, 0xffff, v5
	global_store_b32 v[0:1], v7, off
.LBB264_112:
	s_mov_b32 s9, 0
.LBB264_113:
	s_delay_alu instid0(SALU_CYCLE_1)
	s_and_not1_b32 vcc_lo, exec_lo, s9
	s_cbranch_vccnz .LBB264_122
; %bb.114:
	v_cmp_gt_i16_e32 vcc_lo, 6, v6
	s_mov_b32 s9, -1
	s_cbranch_vccnz .LBB264_120
; %bb.115:
	v_cmp_lt_i16_e32 vcc_lo, 6, v6
	s_cbranch_vccz .LBB264_117
; %bb.116:
	v_cvt_f32_f16_e32 v7, v5
	s_mov_b32 s9, 0
	s_delay_alu instid0(VALU_DEP_1)
	v_cvt_f64_f32_e32 v[7:8], v7
	global_store_b64 v[0:1], v[7:8], off
.LBB264_117:
	s_and_not1_b32 vcc_lo, exec_lo, s9
	s_cbranch_vccnz .LBB264_119
; %bb.118:
	v_cvt_f32_f16_e32 v7, v5
	global_store_b32 v[0:1], v7, off
.LBB264_119:
	s_mov_b32 s9, 0
.LBB264_120:
	s_delay_alu instid0(SALU_CYCLE_1)
	s_and_not1_b32 vcc_lo, exec_lo, s9
	s_cbranch_vccnz .LBB264_122
; %bb.121:
	global_store_b16 v[0:1], v5, off
.LBB264_122:
	s_mov_b32 s9, 0
.LBB264_123:
	s_delay_alu instid0(SALU_CYCLE_1)
	s_and_not1_b32 vcc_lo, exec_lo, s9
	s_cbranch_vccnz .LBB264_139
; %bb.124:
	v_cmp_gt_i16_e32 vcc_lo, 2, v6
	s_mov_b32 s9, -1
	s_cbranch_vccnz .LBB264_134
; %bb.125:
	v_cmp_gt_i16_e32 vcc_lo, 3, v6
	s_cbranch_vccnz .LBB264_131
; %bb.126:
	v_cmp_lt_i16_e32 vcc_lo, 3, v6
	s_cbranch_vccz .LBB264_128
; %bb.127:
	v_cvt_f32_f16_e32 v7, v5
	s_mov_b32 s9, 0
	s_delay_alu instid0(VALU_DEP_1) | instskip(NEXT) | instid1(VALU_DEP_1)
	v_cvt_i32_f32_e32 v7, v7
	v_ashrrev_i32_e32 v8, 31, v7
	global_store_b64 v[0:1], v[7:8], off
.LBB264_128:
	s_and_not1_b32 vcc_lo, exec_lo, s9
	s_cbranch_vccnz .LBB264_130
; %bb.129:
	v_cvt_f32_f16_e32 v7, v5
	s_delay_alu instid0(VALU_DEP_1)
	v_cvt_i32_f32_e32 v7, v7
	global_store_b32 v[0:1], v7, off
.LBB264_130:
	s_mov_b32 s9, 0
.LBB264_131:
	s_delay_alu instid0(SALU_CYCLE_1)
	s_and_not1_b32 vcc_lo, exec_lo, s9
	s_cbranch_vccnz .LBB264_133
; %bb.132:
	v_cvt_i16_f16_e32 v7, v5
	global_store_b16 v[0:1], v7, off
.LBB264_133:
	s_mov_b32 s9, 0
.LBB264_134:
	s_delay_alu instid0(SALU_CYCLE_1)
	s_and_not1_b32 vcc_lo, exec_lo, s9
	s_cbranch_vccnz .LBB264_139
; %bb.135:
	v_cmp_lt_i16_e32 vcc_lo, 0, v6
	s_mov_b32 s9, -1
	s_cbranch_vccz .LBB264_137
; %bb.136:
	v_cvt_i16_f16_e32 v6, v5
	s_mov_b32 s9, 0
	global_store_b8 v[0:1], v6, off
.LBB264_137:
	s_and_not1_b32 vcc_lo, exec_lo, s9
	s_cbranch_vccnz .LBB264_139
; %bb.138:
	v_cvt_f32_f16_e32 v5, v5
	s_delay_alu instid0(VALU_DEP_1)
	v_cvt_i32_f32_e32 v5, v5
	global_store_b8 v[0:1], v5, off
.LBB264_139:
.LBB264_140:
	v_add_nc_u32_e32 v3, 0x80, v3
	s_mov_b32 s14, -1
	s_branch .LBB264_251
.LBB264_141:
	s_mov_b32 s11, -1
                                        ; implicit-def: $vgpr5
.LBB264_142:
	s_mov_b32 s9, 0
.LBB264_143:
	s_delay_alu instid0(SALU_CYCLE_1)
	s_and_b32 vcc_lo, exec_lo, s9
	s_cbranch_vccz .LBB264_147
; %bb.144:
	v_cmp_eq_u16_e32 vcc_lo, 29, v4
	s_cbranch_vccz .LBB264_146
; %bb.145:
	global_load_b64 v[5:6], v[0:1], off
	s_mov_b32 s0, -1
	s_mov_b32 s11, 0
	s_mov_b32 s9, 0
	s_waitcnt vmcnt(0)
	v_clz_i32_u32_e32 v7, v6
	s_delay_alu instid0(VALU_DEP_1) | instskip(NEXT) | instid1(VALU_DEP_1)
	v_min_u32_e32 v7, 32, v7
	v_lshlrev_b64 v[5:6], v7, v[5:6]
	s_delay_alu instid0(VALU_DEP_1) | instskip(NEXT) | instid1(VALU_DEP_1)
	v_min_u32_e32 v5, 1, v5
	v_or_b32_e32 v5, v6, v5
	v_sub_nc_u32_e32 v6, 32, v7
	s_delay_alu instid0(VALU_DEP_2) | instskip(NEXT) | instid1(VALU_DEP_1)
	v_cvt_f32_u32_e32 v5, v5
	v_ldexp_f32 v5, v5, v6
	s_delay_alu instid0(VALU_DEP_1)
	v_cvt_f16_f32_e32 v5, v5
	s_branch .LBB264_148
.LBB264_146:
	s_mov_b32 s11, -1
                                        ; implicit-def: $vgpr5
.LBB264_147:
	s_mov_b32 s9, 0
.LBB264_148:
	s_delay_alu instid0(SALU_CYCLE_1)
	s_and_b32 vcc_lo, exec_lo, s9
	s_cbranch_vccz .LBB264_166
; %bb.149:
	v_cmp_gt_i16_e32 vcc_lo, 27, v4
	s_cbranch_vccnz .LBB264_152
; %bb.150:
	v_cmp_lt_i16_e32 vcc_lo, 27, v4
	s_cbranch_vccz .LBB264_153
; %bb.151:
	global_load_b32 v5, v[0:1], off
	s_mov_b32 s0, 0
	s_waitcnt vmcnt(0)
	v_cvt_f32_u32_e32 v5, v5
	s_delay_alu instid0(VALU_DEP_1)
	v_cvt_f16_f32_e32 v5, v5
	s_branch .LBB264_154
.LBB264_152:
	s_mov_b32 s0, -1
                                        ; implicit-def: $vgpr5
	s_branch .LBB264_157
.LBB264_153:
	s_mov_b32 s0, -1
                                        ; implicit-def: $vgpr5
.LBB264_154:
	s_delay_alu instid0(SALU_CYCLE_1)
	s_and_not1_b32 vcc_lo, exec_lo, s0
	s_cbranch_vccnz .LBB264_156
; %bb.155:
	global_load_u16 v5, v[0:1], off
	s_waitcnt vmcnt(0)
	v_cvt_f16_u16_e32 v5, v5
.LBB264_156:
	s_mov_b32 s0, 0
.LBB264_157:
	s_delay_alu instid0(SALU_CYCLE_1)
	s_and_not1_b32 vcc_lo, exec_lo, s0
	s_cbranch_vccnz .LBB264_165
; %bb.158:
	global_load_u8 v6, v[0:1], off
	s_mov_b32 s0, 0
	s_mov_b32 s14, exec_lo
                                        ; implicit-def: $sgpr9
	s_waitcnt vmcnt(0)
	v_cmpx_lt_i16_e32 0x7f, v6
	s_xor_b32 s14, exec_lo, s14
	s_cbranch_execz .LBB264_178
; %bb.159:
	s_mov_b32 s0, -1
	s_mov_b32 s15, exec_lo
                                        ; implicit-def: $sgpr9
	v_cmpx_eq_u16_e32 0x80, v6
; %bb.160:
	s_movk_i32 s9, 0x7e00
	s_xor_b32 s0, exec_lo, -1
; %bb.161:
	s_or_b32 exec_lo, exec_lo, s15
	s_delay_alu instid0(SALU_CYCLE_1)
	s_and_b32 s0, s0, exec_lo
	s_or_saveexec_b32 s14, s14
	v_mov_b32_e32 v5, s9
	s_xor_b32 exec_lo, exec_lo, s14
	s_cbranch_execnz .LBB264_179
.LBB264_162:
	s_or_b32 exec_lo, exec_lo, s14
	s_and_saveexec_b32 s9, s0
	s_cbranch_execz .LBB264_164
.LBB264_163:
	v_and_b32_e32 v5, 0xffff, v6
	s_delay_alu instid0(VALU_DEP_1) | instskip(NEXT) | instid1(VALU_DEP_1)
	v_and_b32_e32 v7, 7, v5
	v_clz_i32_u32_e32 v8, v7
	s_delay_alu instid0(VALU_DEP_1) | instskip(NEXT) | instid1(VALU_DEP_1)
	v_min_u32_e32 v8, 32, v8
	v_subrev_nc_u32_e32 v9, 28, v8
	v_sub_nc_u32_e32 v8, 29, v8
	s_delay_alu instid0(VALU_DEP_2) | instskip(SKIP_1) | instid1(VALU_DEP_2)
	v_lshlrev_b32_e32 v9, v9, v5
	v_bfe_u32 v5, v5, 3, 4
	v_and_b32_e32 v9, 7, v9
	s_delay_alu instid0(VALU_DEP_2) | instskip(SKIP_1) | instid1(VALU_DEP_1)
	v_cmp_eq_u32_e32 vcc_lo, 0, v5
	v_dual_cndmask_b32 v5, v5, v8 :: v_dual_lshlrev_b32 v6, 24, v6
	v_dual_cndmask_b32 v7, v7, v9 :: v_dual_and_b32 v6, 0x80000000, v6
	s_delay_alu instid0(VALU_DEP_2) | instskip(NEXT) | instid1(VALU_DEP_2)
	v_lshl_add_u32 v5, v5, 23, 0x3b800000
	v_lshlrev_b32_e32 v7, 20, v7
	s_delay_alu instid0(VALU_DEP_1) | instskip(NEXT) | instid1(VALU_DEP_1)
	v_or3_b32 v5, v6, v5, v7
	v_cvt_f16_f32_e32 v5, v5
.LBB264_164:
	s_or_b32 exec_lo, exec_lo, s9
.LBB264_165:
	s_mov_b32 s0, -1
.LBB264_166:
	s_branch .LBB264_201
.LBB264_167:
	v_cmp_lt_i16_e32 vcc_lo, 22, v4
	s_cbranch_vccz .LBB264_177
; %bb.168:
	v_cmp_gt_i16_e32 vcc_lo, 24, v4
	s_cbranch_vccnz .LBB264_180
; %bb.169:
	v_cmp_lt_i16_e32 vcc_lo, 24, v4
	s_cbranch_vccz .LBB264_181
; %bb.170:
	global_load_u8 v6, v[0:1], off
	s_mov_b32 s0, 0
	s_mov_b32 s14, exec_lo
                                        ; implicit-def: $sgpr9
	s_waitcnt vmcnt(0)
	v_cmpx_lt_i16_e32 0x7f, v6
	s_xor_b32 s14, exec_lo, s14
	s_cbranch_execz .LBB264_193
; %bb.171:
	s_mov_b32 s0, -1
	s_mov_b32 s15, exec_lo
                                        ; implicit-def: $sgpr9
	v_cmpx_eq_u16_e32 0x80, v6
; %bb.172:
	s_movk_i32 s9, 0x7e00
	s_xor_b32 s0, exec_lo, -1
; %bb.173:
	s_or_b32 exec_lo, exec_lo, s15
	s_delay_alu instid0(SALU_CYCLE_1)
	s_and_b32 s0, s0, exec_lo
	s_or_saveexec_b32 s14, s14
	v_mov_b32_e32 v5, s9
	s_xor_b32 exec_lo, exec_lo, s14
	s_cbranch_execnz .LBB264_194
.LBB264_174:
	s_or_b32 exec_lo, exec_lo, s14
	s_and_saveexec_b32 s9, s0
	s_cbranch_execz .LBB264_176
.LBB264_175:
	v_and_b32_e32 v5, 0xffff, v6
	s_delay_alu instid0(VALU_DEP_1) | instskip(NEXT) | instid1(VALU_DEP_1)
	v_and_b32_e32 v7, 3, v5
	v_clz_i32_u32_e32 v8, v7
	s_delay_alu instid0(VALU_DEP_1) | instskip(NEXT) | instid1(VALU_DEP_1)
	v_min_u32_e32 v8, 32, v8
	v_subrev_nc_u32_e32 v9, 29, v8
	v_sub_nc_u32_e32 v8, 30, v8
	s_delay_alu instid0(VALU_DEP_2) | instskip(SKIP_1) | instid1(VALU_DEP_2)
	v_lshlrev_b32_e32 v9, v9, v5
	v_bfe_u32 v5, v5, 2, 5
	v_and_b32_e32 v9, 3, v9
	s_delay_alu instid0(VALU_DEP_2) | instskip(SKIP_1) | instid1(VALU_DEP_1)
	v_cmp_eq_u32_e32 vcc_lo, 0, v5
	v_dual_cndmask_b32 v5, v5, v8 :: v_dual_lshlrev_b32 v6, 24, v6
	v_dual_cndmask_b32 v7, v7, v9 :: v_dual_and_b32 v6, 0x80000000, v6
	s_delay_alu instid0(VALU_DEP_2) | instskip(NEXT) | instid1(VALU_DEP_2)
	v_lshl_add_u32 v5, v5, 23, 0x37800000
	v_lshlrev_b32_e32 v7, 21, v7
	s_delay_alu instid0(VALU_DEP_1) | instskip(NEXT) | instid1(VALU_DEP_1)
	v_or3_b32 v5, v6, v5, v7
	v_cvt_f16_f32_e32 v5, v5
.LBB264_176:
	s_or_b32 exec_lo, exec_lo, s9
	s_mov_b32 s0, 0
	s_branch .LBB264_182
.LBB264_177:
	s_mov_b32 s9, -1
                                        ; implicit-def: $vgpr5
	s_branch .LBB264_188
.LBB264_178:
	s_or_saveexec_b32 s14, s14
	v_mov_b32_e32 v5, s9
	s_xor_b32 exec_lo, exec_lo, s14
	s_cbranch_execz .LBB264_162
.LBB264_179:
	v_cmp_ne_u16_e32 vcc_lo, 0, v6
	v_mov_b32_e32 v5, v6
	s_and_not1_b32 s0, s0, exec_lo
	s_and_b32 s9, vcc_lo, exec_lo
	s_delay_alu instid0(SALU_CYCLE_1)
	s_or_b32 s0, s0, s9
	s_or_b32 exec_lo, exec_lo, s14
	s_and_saveexec_b32 s9, s0
	s_cbranch_execnz .LBB264_163
	s_branch .LBB264_164
.LBB264_180:
	s_mov_b32 s0, -1
                                        ; implicit-def: $vgpr5
	s_branch .LBB264_185
.LBB264_181:
	s_mov_b32 s0, -1
                                        ; implicit-def: $vgpr5
.LBB264_182:
	s_delay_alu instid0(SALU_CYCLE_1)
	s_and_b32 vcc_lo, exec_lo, s0
	s_cbranch_vccz .LBB264_184
; %bb.183:
	global_load_u8 v5, v[0:1], off
	s_waitcnt vmcnt(0)
	v_lshlrev_b32_e32 v5, 24, v5
	s_delay_alu instid0(VALU_DEP_1) | instskip(NEXT) | instid1(VALU_DEP_1)
	v_and_b32_e32 v6, 0x7f000000, v5
	v_clz_i32_u32_e32 v7, v6
	v_add_nc_u32_e32 v9, 0x1000000, v6
	v_cmp_ne_u32_e32 vcc_lo, 0, v6
	s_delay_alu instid0(VALU_DEP_3) | instskip(NEXT) | instid1(VALU_DEP_1)
	v_min_u32_e32 v7, 32, v7
	v_sub_nc_u32_e64 v7, v7, 4 clamp
	s_delay_alu instid0(VALU_DEP_1) | instskip(SKIP_1) | instid1(VALU_DEP_2)
	v_lshlrev_b32_e32 v8, v7, v6
	v_lshlrev_b32_e32 v7, 23, v7
	v_lshrrev_b32_e32 v8, 4, v8
	s_delay_alu instid0(VALU_DEP_1) | instskip(SKIP_1) | instid1(VALU_DEP_2)
	v_sub_nc_u32_e32 v7, v8, v7
	v_ashrrev_i32_e32 v8, 8, v9
	v_add_nc_u32_e32 v7, 0x3c000000, v7
	s_delay_alu instid0(VALU_DEP_1) | instskip(NEXT) | instid1(VALU_DEP_1)
	v_and_or_b32 v7, 0x7f800000, v8, v7
	v_cndmask_b32_e32 v6, 0, v7, vcc_lo
	s_delay_alu instid0(VALU_DEP_1) | instskip(NEXT) | instid1(VALU_DEP_1)
	v_and_or_b32 v5, 0x80000000, v5, v6
	v_cvt_f16_f32_e32 v5, v5
.LBB264_184:
	s_mov_b32 s0, 0
.LBB264_185:
	s_delay_alu instid0(SALU_CYCLE_1)
	s_and_not1_b32 vcc_lo, exec_lo, s0
	s_cbranch_vccnz .LBB264_187
; %bb.186:
	global_load_u8 v5, v[0:1], off
	s_waitcnt vmcnt(0)
	v_lshlrev_b32_e32 v6, 25, v5
	v_lshlrev_b16 v5, 8, v5
	s_delay_alu instid0(VALU_DEP_2) | instskip(NEXT) | instid1(VALU_DEP_2)
	v_lshrrev_b32_e32 v7, 4, v6
	v_and_or_b32 v8, 0x7f00, v5, 0.5
	v_bfe_i32 v5, v5, 0, 16
	s_delay_alu instid0(VALU_DEP_3) | instskip(NEXT) | instid1(VALU_DEP_1)
	v_or_b32_e32 v7, 0x70000000, v7
	v_dual_add_f32 v8, -0.5, v8 :: v_dual_mul_f32 v7, 0x7800000, v7
	v_cmp_gt_u32_e32 vcc_lo, 0x8000000, v6
	s_delay_alu instid0(VALU_DEP_2) | instskip(NEXT) | instid1(VALU_DEP_1)
	v_cndmask_b32_e32 v6, v7, v8, vcc_lo
	v_and_or_b32 v5, 0x80000000, v5, v6
	s_delay_alu instid0(VALU_DEP_1)
	v_cvt_f16_f32_e32 v5, v5
.LBB264_187:
	s_mov_b32 s9, 0
	s_mov_b32 s0, -1
.LBB264_188:
	s_and_not1_b32 vcc_lo, exec_lo, s9
	s_cbranch_vccnz .LBB264_201
; %bb.189:
	v_cmp_lt_i16_e32 vcc_lo, 14, v4
	s_cbranch_vccz .LBB264_192
; %bb.190:
	v_cmp_eq_u16_e32 vcc_lo, 15, v4
	s_cbranch_vccz .LBB264_195
; %bb.191:
	global_load_u16 v5, v[0:1], off
	s_mov_b32 s0, -1
	s_mov_b32 s11, 0
	s_waitcnt vmcnt(0)
	v_lshlrev_b32_e32 v5, 16, v5
	s_delay_alu instid0(VALU_DEP_1)
	v_cvt_f16_f32_e32 v5, v5
	s_branch .LBB264_196
.LBB264_192:
	s_mov_b32 s9, -1
                                        ; implicit-def: $vgpr5
	s_branch .LBB264_197
.LBB264_193:
	s_or_saveexec_b32 s14, s14
	v_mov_b32_e32 v5, s9
	s_xor_b32 exec_lo, exec_lo, s14
	s_cbranch_execz .LBB264_174
.LBB264_194:
	v_cmp_ne_u16_e32 vcc_lo, 0, v6
	v_mov_b32_e32 v5, v6
	s_and_not1_b32 s0, s0, exec_lo
	s_and_b32 s9, vcc_lo, exec_lo
	s_delay_alu instid0(SALU_CYCLE_1)
	s_or_b32 s0, s0, s9
	s_or_b32 exec_lo, exec_lo, s14
	s_and_saveexec_b32 s9, s0
	s_cbranch_execnz .LBB264_175
	s_branch .LBB264_176
.LBB264_195:
	s_mov_b32 s11, -1
                                        ; implicit-def: $vgpr5
.LBB264_196:
	s_mov_b32 s9, 0
.LBB264_197:
	s_delay_alu instid0(SALU_CYCLE_1)
	s_and_b32 vcc_lo, exec_lo, s9
	s_cbranch_vccz .LBB264_201
; %bb.198:
	v_cmp_eq_u16_e32 vcc_lo, 11, v4
	s_cbranch_vccz .LBB264_200
; %bb.199:
	global_load_u8 v5, v[0:1], off
	s_mov_b32 s11, 0
	s_mov_b32 s0, -1
	s_waitcnt vmcnt(0)
	v_cmp_ne_u16_e32 vcc_lo, 0, v5
	v_cndmask_b32_e64 v5, 0, 0x3c00, vcc_lo
	s_branch .LBB264_201
.LBB264_200:
	s_mov_b32 s11, -1
                                        ; implicit-def: $vgpr5
.LBB264_201:
	s_branch .LBB264_10
.LBB264_202:
	v_cmp_gt_i16_e32 vcc_lo, 5, v4
	s_cbranch_vccnz .LBB264_207
; %bb.203:
	v_cmp_gt_i16_e32 vcc_lo, 8, v4
	s_cbranch_vccnz .LBB264_208
; %bb.204:
	;; [unrolled: 3-line block ×3, first 2 shown]
	v_cmp_lt_i16_e32 vcc_lo, 9, v4
	s_cbranch_vccz .LBB264_210
; %bb.206:
	global_load_b64 v[5:6], v[0:1], off
	s_mov_b32 s0, 0
	s_waitcnt vmcnt(0)
	v_cvt_f32_f64_e32 v5, v[5:6]
	s_delay_alu instid0(VALU_DEP_1)
	v_cvt_f16_f32_e32 v5, v5
	s_branch .LBB264_211
.LBB264_207:
                                        ; implicit-def: $vgpr5
	s_branch .LBB264_229
.LBB264_208:
	s_mov_b32 s0, -1
                                        ; implicit-def: $vgpr5
	s_branch .LBB264_217
.LBB264_209:
	s_mov_b32 s0, -1
                                        ; implicit-def: $vgpr5
	s_branch .LBB264_214
.LBB264_210:
	s_mov_b32 s0, -1
                                        ; implicit-def: $vgpr5
.LBB264_211:
	s_delay_alu instid0(SALU_CYCLE_1)
	s_and_not1_b32 vcc_lo, exec_lo, s0
	s_cbranch_vccnz .LBB264_213
; %bb.212:
	global_load_b32 v5, v[0:1], off
	s_waitcnt vmcnt(0)
	v_cvt_f16_f32_e32 v5, v5
.LBB264_213:
	s_mov_b32 s0, 0
.LBB264_214:
	s_delay_alu instid0(SALU_CYCLE_1)
	s_and_not1_b32 vcc_lo, exec_lo, s0
	s_cbranch_vccnz .LBB264_216
; %bb.215:
	global_load_b32 v5, v[0:1], off
.LBB264_216:
	s_mov_b32 s0, 0
.LBB264_217:
	s_delay_alu instid0(SALU_CYCLE_1)
	s_and_not1_b32 vcc_lo, exec_lo, s0
	s_cbranch_vccnz .LBB264_228
; %bb.218:
	v_cmp_gt_i16_e32 vcc_lo, 6, v4
	s_cbranch_vccnz .LBB264_221
; %bb.219:
	v_cmp_lt_i16_e32 vcc_lo, 6, v4
	s_cbranch_vccz .LBB264_222
; %bb.220:
	global_load_b64 v[5:6], v[0:1], off
	s_mov_b32 s0, 0
	s_waitcnt vmcnt(0)
	v_cvt_f32_f64_e32 v5, v[5:6]
	s_delay_alu instid0(VALU_DEP_1)
	v_cvt_f16_f32_e32 v5, v5
	s_branch .LBB264_223
.LBB264_221:
	s_mov_b32 s0, -1
                                        ; implicit-def: $vgpr5
	s_branch .LBB264_226
.LBB264_222:
	s_mov_b32 s0, -1
                                        ; implicit-def: $vgpr5
.LBB264_223:
	s_delay_alu instid0(SALU_CYCLE_1)
	s_and_not1_b32 vcc_lo, exec_lo, s0
	s_cbranch_vccnz .LBB264_225
; %bb.224:
	global_load_b32 v5, v[0:1], off
	s_waitcnt vmcnt(0)
	v_cvt_f16_f32_e32 v5, v5
.LBB264_225:
	s_mov_b32 s0, 0
.LBB264_226:
	s_delay_alu instid0(SALU_CYCLE_1)
	s_and_not1_b32 vcc_lo, exec_lo, s0
	s_cbranch_vccnz .LBB264_228
; %bb.227:
	global_load_u16 v5, v[0:1], off
.LBB264_228:
	s_cbranch_execnz .LBB264_248
.LBB264_229:
	v_cmp_gt_i16_e32 vcc_lo, 2, v4
	s_cbranch_vccnz .LBB264_233
; %bb.230:
	v_cmp_gt_i16_e32 vcc_lo, 3, v4
	s_cbranch_vccnz .LBB264_234
; %bb.231:
	v_cmp_lt_i16_e32 vcc_lo, 3, v4
	s_cbranch_vccz .LBB264_235
; %bb.232:
	global_load_b64 v[5:6], v[0:1], off
	s_mov_b32 s0, 0
	s_waitcnt vmcnt(0)
	v_xor_b32_e32 v7, v5, v6
	v_cls_i32_e32 v8, v6
	s_delay_alu instid0(VALU_DEP_2) | instskip(NEXT) | instid1(VALU_DEP_2)
	v_ashrrev_i32_e32 v7, 31, v7
	v_add_nc_u32_e32 v8, -1, v8
	s_delay_alu instid0(VALU_DEP_2) | instskip(NEXT) | instid1(VALU_DEP_1)
	v_add_nc_u32_e32 v7, 32, v7
	v_min_u32_e32 v7, v8, v7
	s_delay_alu instid0(VALU_DEP_1) | instskip(NEXT) | instid1(VALU_DEP_1)
	v_lshlrev_b64 v[5:6], v7, v[5:6]
	v_min_u32_e32 v5, 1, v5
	s_delay_alu instid0(VALU_DEP_1) | instskip(SKIP_1) | instid1(VALU_DEP_2)
	v_or_b32_e32 v5, v6, v5
	v_sub_nc_u32_e32 v6, 32, v7
	v_cvt_f32_i32_e32 v5, v5
	s_delay_alu instid0(VALU_DEP_1) | instskip(NEXT) | instid1(VALU_DEP_1)
	v_ldexp_f32 v5, v5, v6
	v_cvt_f16_f32_e32 v5, v5
	s_branch .LBB264_236
.LBB264_233:
	s_mov_b32 s0, -1
                                        ; implicit-def: $vgpr5
	s_branch .LBB264_242
.LBB264_234:
	s_mov_b32 s0, -1
                                        ; implicit-def: $vgpr5
	s_branch .LBB264_239
.LBB264_235:
	s_mov_b32 s0, -1
                                        ; implicit-def: $vgpr5
.LBB264_236:
	s_delay_alu instid0(SALU_CYCLE_1)
	s_and_not1_b32 vcc_lo, exec_lo, s0
	s_cbranch_vccnz .LBB264_238
; %bb.237:
	global_load_b32 v5, v[0:1], off
	s_waitcnt vmcnt(0)
	v_cvt_f32_i32_e32 v5, v5
	s_delay_alu instid0(VALU_DEP_1)
	v_cvt_f16_f32_e32 v5, v5
.LBB264_238:
	s_mov_b32 s0, 0
.LBB264_239:
	s_delay_alu instid0(SALU_CYCLE_1)
	s_and_not1_b32 vcc_lo, exec_lo, s0
	s_cbranch_vccnz .LBB264_241
; %bb.240:
	global_load_u16 v5, v[0:1], off
	s_waitcnt vmcnt(0)
	v_cvt_f16_i16_e32 v5, v5
.LBB264_241:
	s_mov_b32 s0, 0
.LBB264_242:
	s_delay_alu instid0(SALU_CYCLE_1)
	s_and_not1_b32 vcc_lo, exec_lo, s0
	s_cbranch_vccnz .LBB264_248
; %bb.243:
	v_cmp_lt_i16_e32 vcc_lo, 0, v4
	s_mov_b32 s0, 0
	s_cbranch_vccz .LBB264_245
; %bb.244:
	global_load_i8 v5, v[0:1], off
	s_waitcnt vmcnt(0)
	v_cvt_f16_i16_e32 v5, v5
	s_branch .LBB264_246
.LBB264_245:
	s_mov_b32 s0, -1
                                        ; implicit-def: $vgpr5
.LBB264_246:
	s_delay_alu instid0(SALU_CYCLE_1)
	s_and_not1_b32 vcc_lo, exec_lo, s0
	s_cbranch_vccnz .LBB264_248
; %bb.247:
	global_load_u8 v0, v[0:1], off
	s_waitcnt vmcnt(0)
	v_cvt_f16_u16_e32 v5, v0
.LBB264_248:
	s_branch .LBB264_11
.LBB264_249:
	s_mov_b32 s0, 0
.LBB264_250:
	s_mov_b32 s14, 0
                                        ; implicit-def: $vgpr3
.LBB264_251:
	s_and_b32 s9, s0, exec_lo
	s_and_b32 s11, s11, exec_lo
	s_or_not1_b32 s15, s14, exec_lo
.LBB264_252:
	s_or_b32 exec_lo, exec_lo, s12
	s_mov_b32 s14, 0
	s_mov_b32 s0, 0
                                        ; implicit-def: $vgpr0_vgpr1
                                        ; implicit-def: $vgpr6
	s_and_saveexec_b32 s12, s15
	s_cbranch_execz .LBB264_860
; %bb.253:
	s_mov_b32 s17, -1
	s_mov_b32 s13, s11
	s_mov_b32 s14, s9
	s_mov_b32 s15, exec_lo
	v_cmpx_gt_i32_e64 s10, v3
	s_cbranch_execz .LBB264_512
; %bb.254:
	v_mul_lo_u32 v0, v3, s3
	v_cmp_gt_i16_e32 vcc_lo, 11, v4
	s_delay_alu instid0(VALU_DEP_2) | instskip(SKIP_1) | instid1(VALU_DEP_1)
	v_ashrrev_i32_e32 v1, 31, v0
	v_add_co_u32 v0, s0, s6, v0
	v_add_co_ci_u32_e64 v1, s0, s7, v1, s0
	s_cbranch_vccnz .LBB264_261
; %bb.255:
	v_cmp_lt_i16_e32 vcc_lo, 25, v4
	s_cbranch_vccz .LBB264_270
; %bb.256:
	v_cmp_lt_i16_e32 vcc_lo, 28, v4
	s_cbranch_vccz .LBB264_272
	;; [unrolled: 3-line block ×4, first 2 shown]
; %bb.259:
	v_cmp_eq_u16_e32 vcc_lo, 46, v4
	s_mov_b32 s14, 0
	s_cbranch_vccz .LBB264_282
; %bb.260:
	global_load_b32 v5, v[0:1], off
	s_mov_b32 s0, -1
	s_mov_b32 s13, 0
	s_waitcnt vmcnt(0)
	v_lshlrev_b32_e32 v5, 16, v5
	s_delay_alu instid0(VALU_DEP_1)
	v_cvt_f16_f32_e32 v5, v5
	s_branch .LBB264_284
.LBB264_261:
	s_mov_b32 s0, 0
	s_mov_b32 s13, s11
                                        ; implicit-def: $vgpr5
	s_cbranch_execnz .LBB264_461
.LBB264_262:
	s_and_not1_b32 vcc_lo, exec_lo, s0
	s_cbranch_vccnz .LBB264_509
.LBB264_263:
	s_waitcnt vmcnt(0)
	s_delay_alu instid0(VALU_DEP_1) | instskip(NEXT) | instid1(VALU_DEP_1)
	v_cvt_f32_f16_e32 v0, v5
	v_mul_f32_e32 v1, 0x4f800000, v0
	v_cmp_gt_f32_e32 vcc_lo, 0xf800000, v0
	s_delay_alu instid0(VALU_DEP_2) | instskip(NEXT) | instid1(VALU_DEP_1)
	v_cndmask_b32_e32 v0, v0, v1, vcc_lo
	v_rsq_f32_e32 v1, v0
	s_waitcnt_depctr 0xfff
	v_mul_f32_e32 v5, v0, v1
	v_mul_f32_e32 v1, 0.5, v1
	s_delay_alu instid0(VALU_DEP_1) | instskip(NEXT) | instid1(VALU_DEP_1)
	v_fma_f32 v6, -v1, v5, 0.5
	v_fmac_f32_e32 v5, v5, v6
	v_fmac_f32_e32 v1, v1, v6
	v_cmp_class_f32_e64 s0, v0, 0x260
	s_delay_alu instid0(VALU_DEP_3) | instskip(NEXT) | instid1(VALU_DEP_1)
	v_fma_f32 v6, -v5, v5, v0
	v_dual_fmac_f32 v5, v6, v1 :: v_dual_and_b32 v6, 0xff, v2
	v_mul_lo_u32 v1, v3, s2
	s_delay_alu instid0(VALU_DEP_2) | instskip(NEXT) | instid1(VALU_DEP_1)
	v_mul_f32_e32 v7, 0x37800000, v5
	v_cndmask_b32_e32 v5, v5, v7, vcc_lo
	s_delay_alu instid0(VALU_DEP_3) | instskip(SKIP_1) | instid1(VALU_DEP_3)
	v_ashrrev_i32_e32 v7, 31, v1
	v_cmp_gt_i16_e32 vcc_lo, 11, v6
	v_cndmask_b32_e64 v5, v5, v0, s0
	v_add_co_u32 v0, s0, s4, v1
	s_delay_alu instid0(VALU_DEP_1) | instskip(NEXT) | instid1(VALU_DEP_3)
	v_add_co_ci_u32_e64 v1, s0, s5, v7, s0
	v_cvt_f16_f32_e32 v5, v5
	s_cbranch_vccnz .LBB264_271
; %bb.264:
	v_cmp_lt_i16_e32 vcc_lo, 25, v6
	s_cbranch_vccz .LBB264_273
; %bb.265:
	v_cmp_lt_i16_e32 vcc_lo, 28, v6
	s_cbranch_vccz .LBB264_275
; %bb.266:
	v_cmp_lt_i16_e32 vcc_lo, 43, v6
	s_cbranch_vccz .LBB264_279
; %bb.267:
	v_cmp_lt_i16_e32 vcc_lo, 45, v6
	s_cbranch_vccz .LBB264_287
; %bb.268:
	v_cmp_eq_u16_e32 vcc_lo, 46, v6
	s_mov_b32 s16, 0
	s_mov_b32 s0, -1
	s_mov_b32 s14, 0
	s_cbranch_vccz .LBB264_288
; %bb.269:
	v_cvt_f32_f16_e32 v7, v5
	v_cmp_o_f16_e32 vcc_lo, v5, v5
	s_mov_b32 s14, -1
	s_mov_b32 s0, 0
	s_delay_alu instid0(VALU_DEP_2) | instskip(NEXT) | instid1(VALU_DEP_1)
	v_bfe_u32 v8, v7, 16, 1
	v_add3_u32 v7, v7, v8, 0x7fff
	s_delay_alu instid0(VALU_DEP_1) | instskip(NEXT) | instid1(VALU_DEP_1)
	v_lshrrev_b32_e32 v7, 16, v7
	v_cndmask_b32_e32 v7, 0x7fc0, v7, vcc_lo
	global_store_b32 v[0:1], v7, off
	s_branch .LBB264_288
.LBB264_270:
	s_mov_b32 s14, -1
	s_mov_b32 s0, 0
	s_mov_b32 s13, s11
                                        ; implicit-def: $vgpr5
	s_branch .LBB264_425
.LBB264_271:
	s_mov_b32 s16, -1
	s_mov_b32 s14, 0
	s_mov_b32 s0, s9
	s_branch .LBB264_357
.LBB264_272:
	s_mov_b32 s14, -1
	s_mov_b32 s0, 0
	s_mov_b32 s13, s11
                                        ; implicit-def: $vgpr5
	s_branch .LBB264_406
.LBB264_273:
	s_mov_b32 s16, -1
	s_mov_b32 s14, 0
	s_mov_b32 s0, s9
	s_branch .LBB264_315
.LBB264_274:
	s_mov_b32 s14, -1
	s_mov_b32 s0, 0
	s_mov_b32 s13, s11
                                        ; implicit-def: $vgpr5
	s_branch .LBB264_401
.LBB264_275:
	s_mov_b32 s16, -1
	s_mov_b32 s14, 0
	s_mov_b32 s0, s9
	s_branch .LBB264_298
.LBB264_276:
	s_or_saveexec_b32 s15, s15
                                        ; implicit-def: $sgpr16
	s_delay_alu instid0(SALU_CYCLE_1)
	s_xor_b32 exec_lo, exec_lo, s15
	s_cbranch_execz .LBB264_54
.LBB264_277:
	v_add_f32_e64 v8, 0x46000000, |v7|
	s_and_not1_b32 s14, s14, exec_lo
	s_mov_b32 s16, 0
	s_delay_alu instid0(VALU_DEP_1) | instskip(NEXT) | instid1(VALU_DEP_1)
	v_and_b32_e32 v8, 0xff, v8
	v_cmp_ne_u32_e32 vcc_lo, 0, v8
	s_and_b32 s17, vcc_lo, exec_lo
	s_delay_alu instid0(SALU_CYCLE_1)
	s_or_b32 s14, s14, s17
	s_or_b32 exec_lo, exec_lo, s15
	v_mov_b32_e32 v9, s16
	s_and_saveexec_b32 s15, s14
	s_cbranch_execnz .LBB264_55
	s_branch .LBB264_56
.LBB264_278:
	s_mov_b32 s14, -1
	s_mov_b32 s0, 0
	s_mov_b32 s13, s11
	s_branch .LBB264_283
.LBB264_279:
	s_mov_b32 s16, -1
	s_mov_b32 s14, 0
	s_mov_b32 s0, s9
	s_branch .LBB264_294
.LBB264_280:
	s_or_saveexec_b32 s15, s15
                                        ; implicit-def: $sgpr16
	s_delay_alu instid0(SALU_CYCLE_1)
	s_xor_b32 exec_lo, exec_lo, s15
	s_cbranch_execz .LBB264_67
.LBB264_281:
	v_add_f32_e64 v8, 0x42800000, |v7|
	s_and_not1_b32 s14, s14, exec_lo
	s_mov_b32 s16, 0
	s_delay_alu instid0(VALU_DEP_1) | instskip(NEXT) | instid1(VALU_DEP_1)
	v_and_b32_e32 v8, 0xff, v8
	v_cmp_ne_u32_e32 vcc_lo, 0, v8
	s_and_b32 s17, vcc_lo, exec_lo
	s_delay_alu instid0(SALU_CYCLE_1)
	s_or_b32 s14, s14, s17
	s_or_b32 exec_lo, exec_lo, s15
	v_mov_b32_e32 v9, s16
	s_and_saveexec_b32 s15, s14
	s_cbranch_execnz .LBB264_68
	s_branch .LBB264_69
.LBB264_282:
	s_mov_b32 s13, -1
	s_mov_b32 s0, 0
.LBB264_283:
                                        ; implicit-def: $vgpr5
.LBB264_284:
	s_and_b32 vcc_lo, exec_lo, s14
	s_cbranch_vccz .LBB264_400
; %bb.285:
	v_cmp_eq_u16_e32 vcc_lo, 44, v4
	s_cbranch_vccz .LBB264_399
; %bb.286:
	global_load_u8 v5, v[0:1], off
	s_mov_b32 s13, 0
	s_mov_b32 s0, -1
	s_waitcnt vmcnt(0)
	v_lshlrev_b32_e32 v6, 23, v5
	v_cmp_ne_u32_e32 vcc_lo, 0xff, v5
	s_delay_alu instid0(VALU_DEP_2) | instskip(NEXT) | instid1(VALU_DEP_1)
	v_cvt_f16_f32_e32 v6, v6
	v_cndmask_b32_e32 v6, 0x7e00, v6, vcc_lo
	v_cmp_ne_u32_e32 vcc_lo, 0, v5
	s_delay_alu instid0(VALU_DEP_2)
	v_cndmask_b32_e32 v5, 0, v6, vcc_lo
	s_branch .LBB264_400
.LBB264_287:
	s_mov_b32 s16, -1
	s_mov_b32 s14, 0
	s_mov_b32 s0, s9
.LBB264_288:
	s_and_b32 vcc_lo, exec_lo, s16
	s_cbranch_vccz .LBB264_293
; %bb.289:
	v_cmp_eq_u16_e32 vcc_lo, 44, v6
	s_mov_b32 s0, -1
	s_cbranch_vccz .LBB264_293
; %bb.290:
	v_cvt_f32_f16_e32 v7, v5
	v_mov_b32_e32 v8, 0xff
	s_mov_b32 s14, exec_lo
	s_delay_alu instid0(VALU_DEP_2) | instskip(NEXT) | instid1(VALU_DEP_1)
	v_bfe_u32 v9, v7, 23, 8
	v_cmpx_ne_u32_e32 0xff, v9
; %bb.291:
	v_and_b32_e32 v8, 0x400000, v7
	v_and_or_b32 v9, 0x3fffff, v7, v9
	v_lshrrev_b32_e32 v7, 23, v7
	s_delay_alu instid0(VALU_DEP_3) | instskip(NEXT) | instid1(VALU_DEP_3)
	v_cmp_ne_u32_e32 vcc_lo, 0, v8
	v_cmp_ne_u32_e64 s0, 0, v9
	s_delay_alu instid0(VALU_DEP_1) | instskip(NEXT) | instid1(SALU_CYCLE_1)
	s_and_b32 s0, vcc_lo, s0
	v_cndmask_b32_e64 v8, 0, 1, s0
	s_delay_alu instid0(VALU_DEP_1)
	v_add_nc_u32_e32 v8, v7, v8
; %bb.292:
	s_or_b32 exec_lo, exec_lo, s14
	s_mov_b32 s14, -1
	s_mov_b32 s0, 0
	global_store_b8 v[0:1], v8, off
.LBB264_293:
	s_mov_b32 s16, 0
.LBB264_294:
	s_delay_alu instid0(SALU_CYCLE_1)
	s_and_b32 vcc_lo, exec_lo, s16
	s_cbranch_vccz .LBB264_297
; %bb.295:
	v_cmp_eq_u16_e32 vcc_lo, 29, v6
	s_mov_b32 s0, -1
	s_cbranch_vccz .LBB264_297
; %bb.296:
	v_cvt_f32_f16_e32 v7, v5
	v_mov_b32_e32 v8, 0
	s_mov_b32 s0, 0
	s_mov_b32 s14, -1
	s_mov_b32 s16, 0
	v_cvt_u32_f32_e32 v7, v7
	global_store_b64 v[0:1], v[7:8], off
	s_branch .LBB264_298
.LBB264_297:
	s_mov_b32 s16, 0
.LBB264_298:
	s_delay_alu instid0(SALU_CYCLE_1)
	s_and_b32 vcc_lo, exec_lo, s16
	s_cbranch_vccz .LBB264_314
; %bb.299:
	v_cmp_gt_i16_e32 vcc_lo, 27, v6
	s_mov_b32 s14, -1
	s_cbranch_vccnz .LBB264_305
; %bb.300:
	v_cmp_lt_i16_e32 vcc_lo, 27, v6
	s_cbranch_vccz .LBB264_302
; %bb.301:
	v_cvt_f32_f16_e32 v7, v5
	s_mov_b32 s14, 0
	s_delay_alu instid0(VALU_DEP_1)
	v_cvt_u32_f32_e32 v7, v7
	global_store_b32 v[0:1], v7, off
.LBB264_302:
	s_and_not1_b32 vcc_lo, exec_lo, s14
	s_cbranch_vccnz .LBB264_304
; %bb.303:
	v_cvt_u16_f16_e32 v7, v5
	global_store_b16 v[0:1], v7, off
.LBB264_304:
	s_mov_b32 s14, 0
.LBB264_305:
	s_delay_alu instid0(SALU_CYCLE_1)
	s_and_not1_b32 vcc_lo, exec_lo, s14
	s_cbranch_vccnz .LBB264_313
; %bb.306:
	v_cvt_f32_f16_e32 v7, v5
	v_mov_b32_e32 v9, 0x80
	s_mov_b32 s14, exec_lo
	s_delay_alu instid0(VALU_DEP_2) | instskip(NEXT) | instid1(VALU_DEP_1)
	v_and_b32_e32 v8, 0x7fffffff, v7
	v_cmpx_gt_u32_e32 0x43800000, v8
	s_cbranch_execz .LBB264_312
; %bb.307:
	v_cmp_lt_u32_e32 vcc_lo, 0x3bffffff, v8
	s_mov_b32 s16, 0
                                        ; implicit-def: $vgpr8
	s_and_saveexec_b32 s17, vcc_lo
	s_delay_alu instid0(SALU_CYCLE_1)
	s_xor_b32 s17, exec_lo, s17
	s_cbranch_execz .LBB264_525
; %bb.308:
	v_bfe_u32 v8, v7, 20, 1
	s_mov_b32 s16, exec_lo
	s_delay_alu instid0(VALU_DEP_1) | instskip(NEXT) | instid1(VALU_DEP_1)
	v_add3_u32 v8, v7, v8, 0x487ffff
	v_lshrrev_b32_e32 v8, 20, v8
	s_or_saveexec_b32 s17, s17
                                        ; implicit-def: $sgpr18
	s_delay_alu instid0(SALU_CYCLE_1)
	s_xor_b32 exec_lo, exec_lo, s17
	s_cbranch_execnz .LBB264_526
.LBB264_309:
	s_or_b32 exec_lo, exec_lo, s17
	v_mov_b32_e32 v9, s18
	s_and_saveexec_b32 s17, s16
.LBB264_310:
	v_lshrrev_b32_e32 v7, 24, v7
	s_delay_alu instid0(VALU_DEP_1)
	v_and_or_b32 v9, 0x80, v7, v8
.LBB264_311:
	s_or_b32 exec_lo, exec_lo, s17
.LBB264_312:
	s_delay_alu instid0(SALU_CYCLE_1)
	s_or_b32 exec_lo, exec_lo, s14
	global_store_b8 v[0:1], v9, off
.LBB264_313:
	s_mov_b32 s14, -1
.LBB264_314:
	s_mov_b32 s16, 0
.LBB264_315:
	s_delay_alu instid0(SALU_CYCLE_1)
	s_and_b32 vcc_lo, exec_lo, s16
	s_cbranch_vccz .LBB264_356
; %bb.316:
	v_cmp_lt_i16_e32 vcc_lo, 22, v6
	s_mov_b32 s16, -1
	s_cbranch_vccz .LBB264_348
; %bb.317:
	v_cmp_gt_i16_e32 vcc_lo, 24, v6
	s_mov_b32 s14, -1
	s_cbranch_vccnz .LBB264_337
; %bb.318:
	v_cmp_lt_i16_e32 vcc_lo, 24, v6
	s_cbranch_vccz .LBB264_326
; %bb.319:
	v_cvt_f32_f16_e32 v7, v5
	v_mov_b32_e32 v9, 0x80
	s_mov_b32 s14, exec_lo
	s_delay_alu instid0(VALU_DEP_2) | instskip(NEXT) | instid1(VALU_DEP_1)
	v_and_b32_e32 v8, 0x7fffffff, v7
	v_cmpx_gt_u32_e32 0x47800000, v8
	s_cbranch_execz .LBB264_325
; %bb.320:
	v_cmp_lt_u32_e32 vcc_lo, 0x37ffffff, v8
	s_mov_b32 s16, 0
                                        ; implicit-def: $vgpr8
	s_and_saveexec_b32 s17, vcc_lo
	s_delay_alu instid0(SALU_CYCLE_1)
	s_xor_b32 s17, exec_lo, s17
	s_cbranch_execz .LBB264_528
; %bb.321:
	v_bfe_u32 v8, v7, 21, 1
	s_mov_b32 s16, exec_lo
	s_delay_alu instid0(VALU_DEP_1) | instskip(NEXT) | instid1(VALU_DEP_1)
	v_add3_u32 v8, v7, v8, 0x88fffff
	v_lshrrev_b32_e32 v8, 21, v8
	s_or_saveexec_b32 s17, s17
                                        ; implicit-def: $sgpr18
	s_delay_alu instid0(SALU_CYCLE_1)
	s_xor_b32 exec_lo, exec_lo, s17
	s_cbranch_execnz .LBB264_529
.LBB264_322:
	s_or_b32 exec_lo, exec_lo, s17
	v_mov_b32_e32 v9, s18
	s_and_saveexec_b32 s17, s16
.LBB264_323:
	v_lshrrev_b32_e32 v7, 24, v7
	s_delay_alu instid0(VALU_DEP_1)
	v_and_or_b32 v9, 0x80, v7, v8
.LBB264_324:
	s_or_b32 exec_lo, exec_lo, s17
.LBB264_325:
	s_delay_alu instid0(SALU_CYCLE_1)
	s_or_b32 exec_lo, exec_lo, s14
	s_mov_b32 s14, 0
	global_store_b8 v[0:1], v9, off
.LBB264_326:
	s_and_b32 vcc_lo, exec_lo, s14
	s_cbranch_vccz .LBB264_336
; %bb.327:
	v_cvt_f32_f16_e32 v7, v5
	s_mov_b32 s14, exec_lo
                                        ; implicit-def: $vgpr8
	s_delay_alu instid0(VALU_DEP_1) | instskip(NEXT) | instid1(VALU_DEP_1)
	v_and_b32_e32 v9, 0x7fffffff, v7
	v_cmpx_gt_u32_e32 0x43f00000, v9
	s_xor_b32 s14, exec_lo, s14
	s_cbranch_execz .LBB264_333
; %bb.328:
	s_mov_b32 s16, exec_lo
                                        ; implicit-def: $vgpr8
	v_cmpx_lt_u32_e32 0x3c7fffff, v9
	s_xor_b32 s16, exec_lo, s16
; %bb.329:
	v_bfe_u32 v8, v7, 20, 1
	s_delay_alu instid0(VALU_DEP_1) | instskip(NEXT) | instid1(VALU_DEP_1)
	v_add3_u32 v8, v7, v8, 0x407ffff
	v_and_b32_e32 v9, 0xff00000, v8
	v_lshrrev_b32_e32 v8, 20, v8
	s_delay_alu instid0(VALU_DEP_2) | instskip(NEXT) | instid1(VALU_DEP_2)
	v_cmp_ne_u32_e32 vcc_lo, 0x7f00000, v9
	v_cndmask_b32_e32 v8, 0x7e, v8, vcc_lo
; %bb.330:
	s_and_not1_saveexec_b32 s16, s16
; %bb.331:
	v_add_f32_e64 v8, 0x46800000, |v7|
; %bb.332:
	s_or_b32 exec_lo, exec_lo, s16
                                        ; implicit-def: $vgpr9
.LBB264_333:
	s_and_not1_saveexec_b32 s14, s14
; %bb.334:
	v_mov_b32_e32 v8, 0x7f
	v_cmp_lt_u32_e32 vcc_lo, 0x7f800000, v9
	s_delay_alu instid0(VALU_DEP_2)
	v_cndmask_b32_e32 v8, 0x7e, v8, vcc_lo
; %bb.335:
	s_or_b32 exec_lo, exec_lo, s14
	v_lshrrev_b32_e32 v7, 24, v7
	s_delay_alu instid0(VALU_DEP_1)
	v_and_or_b32 v7, 0x80, v7, v8
	global_store_b8 v[0:1], v7, off
.LBB264_336:
	s_mov_b32 s14, 0
.LBB264_337:
	s_delay_alu instid0(SALU_CYCLE_1)
	s_and_not1_b32 vcc_lo, exec_lo, s14
	s_cbranch_vccnz .LBB264_347
; %bb.338:
	v_cvt_f32_f16_e32 v7, v5
	s_mov_b32 s14, exec_lo
                                        ; implicit-def: $vgpr8
	s_delay_alu instid0(VALU_DEP_1) | instskip(NEXT) | instid1(VALU_DEP_1)
	v_and_b32_e32 v9, 0x7fffffff, v7
	v_cmpx_gt_u32_e32 0x47800000, v9
	s_xor_b32 s14, exec_lo, s14
	s_cbranch_execz .LBB264_344
; %bb.339:
	s_mov_b32 s16, exec_lo
                                        ; implicit-def: $vgpr8
	v_cmpx_lt_u32_e32 0x387fffff, v9
	s_xor_b32 s16, exec_lo, s16
; %bb.340:
	v_bfe_u32 v8, v7, 21, 1
	s_delay_alu instid0(VALU_DEP_1) | instskip(NEXT) | instid1(VALU_DEP_1)
	v_add3_u32 v8, v7, v8, 0x80fffff
	v_lshrrev_b32_e32 v8, 21, v8
; %bb.341:
	s_and_not1_saveexec_b32 s16, s16
; %bb.342:
	v_add_f32_e64 v8, 0x43000000, |v7|
; %bb.343:
	s_or_b32 exec_lo, exec_lo, s16
                                        ; implicit-def: $vgpr9
.LBB264_344:
	s_and_not1_saveexec_b32 s14, s14
; %bb.345:
	v_mov_b32_e32 v8, 0x7f
	v_cmp_lt_u32_e32 vcc_lo, 0x7f800000, v9
	s_delay_alu instid0(VALU_DEP_2)
	v_cndmask_b32_e32 v8, 0x7c, v8, vcc_lo
; %bb.346:
	s_or_b32 exec_lo, exec_lo, s14
	v_lshrrev_b32_e32 v7, 24, v7
	s_delay_alu instid0(VALU_DEP_1)
	v_and_or_b32 v7, 0x80, v7, v8
	global_store_b8 v[0:1], v7, off
.LBB264_347:
	s_mov_b32 s16, 0
	s_mov_b32 s14, -1
.LBB264_348:
	s_and_not1_b32 vcc_lo, exec_lo, s16
	s_cbranch_vccnz .LBB264_356
; %bb.349:
	v_cmp_lt_i16_e32 vcc_lo, 14, v6
	s_mov_b32 s16, -1
	s_cbranch_vccz .LBB264_353
; %bb.350:
	v_cmp_eq_u16_e32 vcc_lo, 15, v6
	s_mov_b32 s0, -1
	s_cbranch_vccz .LBB264_352
; %bb.351:
	v_cvt_f32_f16_e32 v7, v5
	v_cmp_o_f16_e32 vcc_lo, v5, v5
	s_mov_b32 s14, -1
	s_mov_b32 s0, 0
	s_delay_alu instid0(VALU_DEP_2) | instskip(NEXT) | instid1(VALU_DEP_1)
	v_bfe_u32 v8, v7, 16, 1
	v_add3_u32 v7, v7, v8, 0x7fff
	s_delay_alu instid0(VALU_DEP_1) | instskip(NEXT) | instid1(VALU_DEP_1)
	v_lshrrev_b32_e32 v7, 16, v7
	v_cndmask_b32_e32 v7, 0x7fc0, v7, vcc_lo
	global_store_b16 v[0:1], v7, off
.LBB264_352:
	s_mov_b32 s16, 0
.LBB264_353:
	s_delay_alu instid0(SALU_CYCLE_1)
	s_and_b32 vcc_lo, exec_lo, s16
	s_cbranch_vccz .LBB264_356
; %bb.354:
	v_cmp_eq_u16_e32 vcc_lo, 11, v6
	s_mov_b32 s0, -1
	s_cbranch_vccz .LBB264_356
; %bb.355:
	v_cmp_neq_f16_e32 vcc_lo, 0, v5
	s_mov_b32 s0, 0
	s_mov_b32 s14, -1
	v_cndmask_b32_e64 v7, 0, 1, vcc_lo
	global_store_b8 v[0:1], v7, off
.LBB264_356:
	s_mov_b32 s16, 0
.LBB264_357:
	s_delay_alu instid0(SALU_CYCLE_1)
	s_and_b32 vcc_lo, exec_lo, s16
	s_cbranch_vccz .LBB264_396
; %bb.358:
	v_cmp_gt_i16_e32 vcc_lo, 5, v6
	s_mov_b32 s14, -1
	s_cbranch_vccnz .LBB264_379
; %bb.359:
	v_cmp_gt_i16_e32 vcc_lo, 8, v6
	s_cbranch_vccnz .LBB264_369
; %bb.360:
	v_cmp_gt_i16_e32 vcc_lo, 9, v6
	s_cbranch_vccnz .LBB264_366
; %bb.361:
	v_cmp_lt_i16_e32 vcc_lo, 9, v6
	s_cbranch_vccz .LBB264_363
; %bb.362:
	v_cvt_f32_f16_e32 v7, v5
	v_mov_b32_e32 v9, 0
	s_mov_b32 s14, 0
	s_delay_alu instid0(VALU_DEP_2) | instskip(NEXT) | instid1(VALU_DEP_2)
	v_cvt_f64_f32_e32 v[7:8], v7
	v_mov_b32_e32 v10, v9
	global_store_b128 v[0:1], v[7:10], off
.LBB264_363:
	s_and_not1_b32 vcc_lo, exec_lo, s14
	s_cbranch_vccnz .LBB264_365
; %bb.364:
	v_cvt_f32_f16_e32 v7, v5
	v_mov_b32_e32 v8, 0
	global_store_b64 v[0:1], v[7:8], off
.LBB264_365:
	s_mov_b32 s14, 0
.LBB264_366:
	s_delay_alu instid0(SALU_CYCLE_1)
	s_and_not1_b32 vcc_lo, exec_lo, s14
	s_cbranch_vccnz .LBB264_368
; %bb.367:
	v_and_b32_e32 v7, 0xffff, v5
	global_store_b32 v[0:1], v7, off
.LBB264_368:
	s_mov_b32 s14, 0
.LBB264_369:
	s_delay_alu instid0(SALU_CYCLE_1)
	s_and_not1_b32 vcc_lo, exec_lo, s14
	s_cbranch_vccnz .LBB264_378
; %bb.370:
	v_cmp_gt_i16_e32 vcc_lo, 6, v6
	s_mov_b32 s14, -1
	s_cbranch_vccnz .LBB264_376
; %bb.371:
	v_cmp_lt_i16_e32 vcc_lo, 6, v6
	s_cbranch_vccz .LBB264_373
; %bb.372:
	v_cvt_f32_f16_e32 v7, v5
	s_mov_b32 s14, 0
	s_delay_alu instid0(VALU_DEP_1)
	v_cvt_f64_f32_e32 v[7:8], v7
	global_store_b64 v[0:1], v[7:8], off
.LBB264_373:
	s_and_not1_b32 vcc_lo, exec_lo, s14
	s_cbranch_vccnz .LBB264_375
; %bb.374:
	v_cvt_f32_f16_e32 v7, v5
	global_store_b32 v[0:1], v7, off
.LBB264_375:
	s_mov_b32 s14, 0
.LBB264_376:
	s_delay_alu instid0(SALU_CYCLE_1)
	s_and_not1_b32 vcc_lo, exec_lo, s14
	s_cbranch_vccnz .LBB264_378
; %bb.377:
	global_store_b16 v[0:1], v5, off
.LBB264_378:
	s_mov_b32 s14, 0
.LBB264_379:
	s_delay_alu instid0(SALU_CYCLE_1)
	s_and_not1_b32 vcc_lo, exec_lo, s14
	s_cbranch_vccnz .LBB264_395
; %bb.380:
	v_cmp_gt_i16_e32 vcc_lo, 2, v6
	s_mov_b32 s14, -1
	s_cbranch_vccnz .LBB264_390
; %bb.381:
	v_cmp_gt_i16_e32 vcc_lo, 3, v6
	s_cbranch_vccnz .LBB264_387
; %bb.382:
	v_cmp_lt_i16_e32 vcc_lo, 3, v6
	s_cbranch_vccz .LBB264_384
; %bb.383:
	v_cvt_f32_f16_e32 v7, v5
	s_mov_b32 s14, 0
	s_delay_alu instid0(VALU_DEP_1) | instskip(NEXT) | instid1(VALU_DEP_1)
	v_cvt_i32_f32_e32 v7, v7
	v_ashrrev_i32_e32 v8, 31, v7
	global_store_b64 v[0:1], v[7:8], off
.LBB264_384:
	s_and_not1_b32 vcc_lo, exec_lo, s14
	s_cbranch_vccnz .LBB264_386
; %bb.385:
	v_cvt_f32_f16_e32 v7, v5
	s_delay_alu instid0(VALU_DEP_1)
	v_cvt_i32_f32_e32 v7, v7
	global_store_b32 v[0:1], v7, off
.LBB264_386:
	s_mov_b32 s14, 0
.LBB264_387:
	s_delay_alu instid0(SALU_CYCLE_1)
	s_and_not1_b32 vcc_lo, exec_lo, s14
	s_cbranch_vccnz .LBB264_389
; %bb.388:
	v_cvt_i16_f16_e32 v7, v5
	global_store_b16 v[0:1], v7, off
.LBB264_389:
	s_mov_b32 s14, 0
.LBB264_390:
	s_delay_alu instid0(SALU_CYCLE_1)
	s_and_not1_b32 vcc_lo, exec_lo, s14
	s_cbranch_vccnz .LBB264_395
; %bb.391:
	v_cmp_lt_i16_e32 vcc_lo, 0, v6
	s_mov_b32 s14, -1
	s_cbranch_vccz .LBB264_393
; %bb.392:
	v_cvt_i16_f16_e32 v6, v5
	s_mov_b32 s14, 0
	global_store_b8 v[0:1], v6, off
.LBB264_393:
	s_and_not1_b32 vcc_lo, exec_lo, s14
	s_cbranch_vccnz .LBB264_395
; %bb.394:
	v_cvt_f32_f16_e32 v5, v5
	s_delay_alu instid0(VALU_DEP_1)
	v_cvt_i32_f32_e32 v5, v5
	global_store_b8 v[0:1], v5, off
.LBB264_395:
	s_mov_b32 s14, -1
.LBB264_396:
	s_delay_alu instid0(SALU_CYCLE_1)
	s_and_not1_b32 vcc_lo, exec_lo, s14
	s_cbranch_vccnz .LBB264_398
; %bb.397:
	v_add_nc_u32_e32 v3, 0x80, v3
	s_mov_b32 s16, -1
	s_branch .LBB264_511
.LBB264_398:
	s_mov_b32 s16, 0
	s_branch .LBB264_510
.LBB264_399:
	s_mov_b32 s13, -1
                                        ; implicit-def: $vgpr5
.LBB264_400:
	s_mov_b32 s14, 0
.LBB264_401:
	s_delay_alu instid0(SALU_CYCLE_1)
	s_and_b32 vcc_lo, exec_lo, s14
	s_cbranch_vccz .LBB264_405
; %bb.402:
	v_cmp_eq_u16_e32 vcc_lo, 29, v4
	s_cbranch_vccz .LBB264_404
; %bb.403:
	global_load_b64 v[5:6], v[0:1], off
	s_mov_b32 s0, -1
	s_mov_b32 s13, 0
	s_mov_b32 s14, 0
	s_waitcnt vmcnt(0)
	v_clz_i32_u32_e32 v7, v6
	s_delay_alu instid0(VALU_DEP_1) | instskip(NEXT) | instid1(VALU_DEP_1)
	v_min_u32_e32 v7, 32, v7
	v_lshlrev_b64 v[5:6], v7, v[5:6]
	s_delay_alu instid0(VALU_DEP_1) | instskip(NEXT) | instid1(VALU_DEP_1)
	v_min_u32_e32 v5, 1, v5
	v_or_b32_e32 v5, v6, v5
	v_sub_nc_u32_e32 v6, 32, v7
	s_delay_alu instid0(VALU_DEP_2) | instskip(NEXT) | instid1(VALU_DEP_1)
	v_cvt_f32_u32_e32 v5, v5
	v_ldexp_f32 v5, v5, v6
	s_delay_alu instid0(VALU_DEP_1)
	v_cvt_f16_f32_e32 v5, v5
	s_branch .LBB264_406
.LBB264_404:
	s_mov_b32 s13, -1
                                        ; implicit-def: $vgpr5
.LBB264_405:
	s_mov_b32 s14, 0
.LBB264_406:
	s_delay_alu instid0(SALU_CYCLE_1)
	s_and_b32 vcc_lo, exec_lo, s14
	s_cbranch_vccz .LBB264_424
; %bb.407:
	v_cmp_gt_i16_e32 vcc_lo, 27, v4
	s_cbranch_vccnz .LBB264_410
; %bb.408:
	v_cmp_lt_i16_e32 vcc_lo, 27, v4
	s_cbranch_vccz .LBB264_411
; %bb.409:
	global_load_b32 v5, v[0:1], off
	s_mov_b32 s0, 0
	s_waitcnt vmcnt(0)
	v_cvt_f32_u32_e32 v5, v5
	s_delay_alu instid0(VALU_DEP_1)
	v_cvt_f16_f32_e32 v5, v5
	s_branch .LBB264_412
.LBB264_410:
	s_mov_b32 s0, -1
                                        ; implicit-def: $vgpr5
	s_branch .LBB264_415
.LBB264_411:
	s_mov_b32 s0, -1
                                        ; implicit-def: $vgpr5
.LBB264_412:
	s_delay_alu instid0(SALU_CYCLE_1)
	s_and_not1_b32 vcc_lo, exec_lo, s0
	s_cbranch_vccnz .LBB264_414
; %bb.413:
	global_load_u16 v5, v[0:1], off
	s_waitcnt vmcnt(0)
	v_cvt_f16_u16_e32 v5, v5
.LBB264_414:
	s_mov_b32 s0, 0
.LBB264_415:
	s_delay_alu instid0(SALU_CYCLE_1)
	s_and_not1_b32 vcc_lo, exec_lo, s0
	s_cbranch_vccnz .LBB264_423
; %bb.416:
	global_load_u8 v6, v[0:1], off
	s_mov_b32 s0, 0
	s_mov_b32 s16, exec_lo
                                        ; implicit-def: $sgpr14
	s_waitcnt vmcnt(0)
	v_cmpx_lt_i16_e32 0x7f, v6
	s_xor_b32 s16, exec_lo, s16
	s_cbranch_execz .LBB264_437
; %bb.417:
	s_mov_b32 s0, -1
	s_mov_b32 s17, exec_lo
                                        ; implicit-def: $sgpr14
	v_cmpx_eq_u16_e32 0x80, v6
; %bb.418:
	s_movk_i32 s14, 0x7e00
	s_xor_b32 s0, exec_lo, -1
; %bb.419:
	s_or_b32 exec_lo, exec_lo, s17
	s_delay_alu instid0(SALU_CYCLE_1)
	s_and_b32 s0, s0, exec_lo
	s_or_saveexec_b32 s16, s16
	v_mov_b32_e32 v5, s14
	s_xor_b32 exec_lo, exec_lo, s16
	s_cbranch_execnz .LBB264_438
.LBB264_420:
	s_or_b32 exec_lo, exec_lo, s16
	s_and_saveexec_b32 s14, s0
	s_cbranch_execz .LBB264_422
.LBB264_421:
	v_and_b32_e32 v5, 0xffff, v6
	s_delay_alu instid0(VALU_DEP_1) | instskip(NEXT) | instid1(VALU_DEP_1)
	v_and_b32_e32 v7, 7, v5
	v_clz_i32_u32_e32 v8, v7
	s_delay_alu instid0(VALU_DEP_1) | instskip(NEXT) | instid1(VALU_DEP_1)
	v_min_u32_e32 v8, 32, v8
	v_subrev_nc_u32_e32 v9, 28, v8
	v_sub_nc_u32_e32 v8, 29, v8
	s_delay_alu instid0(VALU_DEP_2) | instskip(SKIP_1) | instid1(VALU_DEP_2)
	v_lshlrev_b32_e32 v9, v9, v5
	v_bfe_u32 v5, v5, 3, 4
	v_and_b32_e32 v9, 7, v9
	s_delay_alu instid0(VALU_DEP_2) | instskip(SKIP_1) | instid1(VALU_DEP_1)
	v_cmp_eq_u32_e32 vcc_lo, 0, v5
	v_dual_cndmask_b32 v5, v5, v8 :: v_dual_lshlrev_b32 v6, 24, v6
	v_dual_cndmask_b32 v7, v7, v9 :: v_dual_and_b32 v6, 0x80000000, v6
	s_delay_alu instid0(VALU_DEP_2) | instskip(NEXT) | instid1(VALU_DEP_2)
	v_lshl_add_u32 v5, v5, 23, 0x3b800000
	v_lshlrev_b32_e32 v7, 20, v7
	s_delay_alu instid0(VALU_DEP_1) | instskip(NEXT) | instid1(VALU_DEP_1)
	v_or3_b32 v5, v6, v5, v7
	v_cvt_f16_f32_e32 v5, v5
.LBB264_422:
	s_or_b32 exec_lo, exec_lo, s14
.LBB264_423:
	s_mov_b32 s0, -1
.LBB264_424:
	s_mov_b32 s14, 0
.LBB264_425:
	s_delay_alu instid0(SALU_CYCLE_1)
	s_and_b32 vcc_lo, exec_lo, s14
	s_cbranch_vccz .LBB264_460
; %bb.426:
	v_cmp_lt_i16_e32 vcc_lo, 22, v4
	s_cbranch_vccz .LBB264_436
; %bb.427:
	v_cmp_gt_i16_e32 vcc_lo, 24, v4
	s_cbranch_vccnz .LBB264_439
; %bb.428:
	v_cmp_lt_i16_e32 vcc_lo, 24, v4
	s_cbranch_vccz .LBB264_440
; %bb.429:
	global_load_u8 v6, v[0:1], off
	s_mov_b32 s0, 0
	s_mov_b32 s16, exec_lo
                                        ; implicit-def: $sgpr14
	s_waitcnt vmcnt(0)
	v_cmpx_lt_i16_e32 0x7f, v6
	s_xor_b32 s16, exec_lo, s16
	s_cbranch_execz .LBB264_452
; %bb.430:
	s_mov_b32 s0, -1
	s_mov_b32 s17, exec_lo
                                        ; implicit-def: $sgpr14
	v_cmpx_eq_u16_e32 0x80, v6
; %bb.431:
	s_movk_i32 s14, 0x7e00
	s_xor_b32 s0, exec_lo, -1
; %bb.432:
	s_or_b32 exec_lo, exec_lo, s17
	s_delay_alu instid0(SALU_CYCLE_1)
	s_and_b32 s0, s0, exec_lo
	s_or_saveexec_b32 s16, s16
	v_mov_b32_e32 v5, s14
	s_xor_b32 exec_lo, exec_lo, s16
	s_cbranch_execnz .LBB264_453
.LBB264_433:
	s_or_b32 exec_lo, exec_lo, s16
	s_and_saveexec_b32 s14, s0
	s_cbranch_execz .LBB264_435
.LBB264_434:
	v_and_b32_e32 v5, 0xffff, v6
	s_delay_alu instid0(VALU_DEP_1) | instskip(NEXT) | instid1(VALU_DEP_1)
	v_and_b32_e32 v7, 3, v5
	v_clz_i32_u32_e32 v8, v7
	s_delay_alu instid0(VALU_DEP_1) | instskip(NEXT) | instid1(VALU_DEP_1)
	v_min_u32_e32 v8, 32, v8
	v_subrev_nc_u32_e32 v9, 29, v8
	v_sub_nc_u32_e32 v8, 30, v8
	s_delay_alu instid0(VALU_DEP_2) | instskip(SKIP_1) | instid1(VALU_DEP_2)
	v_lshlrev_b32_e32 v9, v9, v5
	v_bfe_u32 v5, v5, 2, 5
	v_and_b32_e32 v9, 3, v9
	s_delay_alu instid0(VALU_DEP_2) | instskip(SKIP_1) | instid1(VALU_DEP_1)
	v_cmp_eq_u32_e32 vcc_lo, 0, v5
	v_dual_cndmask_b32 v5, v5, v8 :: v_dual_lshlrev_b32 v6, 24, v6
	v_dual_cndmask_b32 v7, v7, v9 :: v_dual_and_b32 v6, 0x80000000, v6
	s_delay_alu instid0(VALU_DEP_2) | instskip(NEXT) | instid1(VALU_DEP_2)
	v_lshl_add_u32 v5, v5, 23, 0x37800000
	v_lshlrev_b32_e32 v7, 21, v7
	s_delay_alu instid0(VALU_DEP_1) | instskip(NEXT) | instid1(VALU_DEP_1)
	v_or3_b32 v5, v6, v5, v7
	v_cvt_f16_f32_e32 v5, v5
.LBB264_435:
	s_or_b32 exec_lo, exec_lo, s14
	s_mov_b32 s0, 0
	s_branch .LBB264_441
.LBB264_436:
	s_mov_b32 s14, -1
                                        ; implicit-def: $vgpr5
	s_branch .LBB264_447
.LBB264_437:
	s_or_saveexec_b32 s16, s16
	v_mov_b32_e32 v5, s14
	s_xor_b32 exec_lo, exec_lo, s16
	s_cbranch_execz .LBB264_420
.LBB264_438:
	v_cmp_ne_u16_e32 vcc_lo, 0, v6
	v_mov_b32_e32 v5, v6
	s_and_not1_b32 s0, s0, exec_lo
	s_and_b32 s14, vcc_lo, exec_lo
	s_delay_alu instid0(SALU_CYCLE_1)
	s_or_b32 s0, s0, s14
	s_or_b32 exec_lo, exec_lo, s16
	s_and_saveexec_b32 s14, s0
	s_cbranch_execnz .LBB264_421
	s_branch .LBB264_422
.LBB264_439:
	s_mov_b32 s0, -1
                                        ; implicit-def: $vgpr5
	s_branch .LBB264_444
.LBB264_440:
	s_mov_b32 s0, -1
                                        ; implicit-def: $vgpr5
.LBB264_441:
	s_delay_alu instid0(SALU_CYCLE_1)
	s_and_b32 vcc_lo, exec_lo, s0
	s_cbranch_vccz .LBB264_443
; %bb.442:
	global_load_u8 v5, v[0:1], off
	s_waitcnt vmcnt(0)
	v_lshlrev_b32_e32 v5, 24, v5
	s_delay_alu instid0(VALU_DEP_1) | instskip(NEXT) | instid1(VALU_DEP_1)
	v_and_b32_e32 v6, 0x7f000000, v5
	v_clz_i32_u32_e32 v7, v6
	v_add_nc_u32_e32 v9, 0x1000000, v6
	v_cmp_ne_u32_e32 vcc_lo, 0, v6
	s_delay_alu instid0(VALU_DEP_3) | instskip(NEXT) | instid1(VALU_DEP_1)
	v_min_u32_e32 v7, 32, v7
	v_sub_nc_u32_e64 v7, v7, 4 clamp
	s_delay_alu instid0(VALU_DEP_1) | instskip(SKIP_1) | instid1(VALU_DEP_2)
	v_lshlrev_b32_e32 v8, v7, v6
	v_lshlrev_b32_e32 v7, 23, v7
	v_lshrrev_b32_e32 v8, 4, v8
	s_delay_alu instid0(VALU_DEP_1) | instskip(SKIP_1) | instid1(VALU_DEP_2)
	v_sub_nc_u32_e32 v7, v8, v7
	v_ashrrev_i32_e32 v8, 8, v9
	v_add_nc_u32_e32 v7, 0x3c000000, v7
	s_delay_alu instid0(VALU_DEP_1) | instskip(NEXT) | instid1(VALU_DEP_1)
	v_and_or_b32 v7, 0x7f800000, v8, v7
	v_cndmask_b32_e32 v6, 0, v7, vcc_lo
	s_delay_alu instid0(VALU_DEP_1) | instskip(NEXT) | instid1(VALU_DEP_1)
	v_and_or_b32 v5, 0x80000000, v5, v6
	v_cvt_f16_f32_e32 v5, v5
.LBB264_443:
	s_mov_b32 s0, 0
.LBB264_444:
	s_delay_alu instid0(SALU_CYCLE_1)
	s_and_not1_b32 vcc_lo, exec_lo, s0
	s_cbranch_vccnz .LBB264_446
; %bb.445:
	global_load_u8 v5, v[0:1], off
	s_waitcnt vmcnt(0)
	v_lshlrev_b32_e32 v6, 25, v5
	v_lshlrev_b16 v5, 8, v5
	s_delay_alu instid0(VALU_DEP_2) | instskip(NEXT) | instid1(VALU_DEP_2)
	v_lshrrev_b32_e32 v7, 4, v6
	v_and_or_b32 v8, 0x7f00, v5, 0.5
	v_bfe_i32 v5, v5, 0, 16
	s_delay_alu instid0(VALU_DEP_3) | instskip(NEXT) | instid1(VALU_DEP_1)
	v_or_b32_e32 v7, 0x70000000, v7
	v_dual_add_f32 v8, -0.5, v8 :: v_dual_mul_f32 v7, 0x7800000, v7
	v_cmp_gt_u32_e32 vcc_lo, 0x8000000, v6
	s_delay_alu instid0(VALU_DEP_2) | instskip(NEXT) | instid1(VALU_DEP_1)
	v_cndmask_b32_e32 v6, v7, v8, vcc_lo
	v_and_or_b32 v5, 0x80000000, v5, v6
	s_delay_alu instid0(VALU_DEP_1)
	v_cvt_f16_f32_e32 v5, v5
.LBB264_446:
	s_mov_b32 s14, 0
	s_mov_b32 s0, -1
.LBB264_447:
	s_and_not1_b32 vcc_lo, exec_lo, s14
	s_cbranch_vccnz .LBB264_460
; %bb.448:
	v_cmp_lt_i16_e32 vcc_lo, 14, v4
	s_cbranch_vccz .LBB264_451
; %bb.449:
	v_cmp_eq_u16_e32 vcc_lo, 15, v4
	s_cbranch_vccz .LBB264_454
; %bb.450:
	global_load_u16 v5, v[0:1], off
	s_mov_b32 s0, -1
	s_mov_b32 s13, 0
	s_waitcnt vmcnt(0)
	v_lshlrev_b32_e32 v5, 16, v5
	s_delay_alu instid0(VALU_DEP_1)
	v_cvt_f16_f32_e32 v5, v5
	s_branch .LBB264_455
.LBB264_451:
	s_mov_b32 s14, -1
                                        ; implicit-def: $vgpr5
	s_branch .LBB264_456
.LBB264_452:
	s_or_saveexec_b32 s16, s16
	v_mov_b32_e32 v5, s14
	s_xor_b32 exec_lo, exec_lo, s16
	s_cbranch_execz .LBB264_433
.LBB264_453:
	v_cmp_ne_u16_e32 vcc_lo, 0, v6
	v_mov_b32_e32 v5, v6
	s_and_not1_b32 s0, s0, exec_lo
	s_and_b32 s14, vcc_lo, exec_lo
	s_delay_alu instid0(SALU_CYCLE_1)
	s_or_b32 s0, s0, s14
	s_or_b32 exec_lo, exec_lo, s16
	s_and_saveexec_b32 s14, s0
	s_cbranch_execnz .LBB264_434
	s_branch .LBB264_435
.LBB264_454:
	s_mov_b32 s13, -1
                                        ; implicit-def: $vgpr5
.LBB264_455:
	s_mov_b32 s14, 0
.LBB264_456:
	s_delay_alu instid0(SALU_CYCLE_1)
	s_and_b32 vcc_lo, exec_lo, s14
	s_cbranch_vccz .LBB264_460
; %bb.457:
	v_cmp_eq_u16_e32 vcc_lo, 11, v4
	s_cbranch_vccz .LBB264_459
; %bb.458:
	global_load_u8 v5, v[0:1], off
	s_mov_b32 s13, 0
	s_mov_b32 s0, -1
	s_waitcnt vmcnt(0)
	v_cmp_ne_u16_e32 vcc_lo, 0, v5
	v_cndmask_b32_e64 v5, 0, 0x3c00, vcc_lo
	s_branch .LBB264_460
.LBB264_459:
	s_mov_b32 s13, -1
                                        ; implicit-def: $vgpr5
.LBB264_460:
	s_branch .LBB264_262
.LBB264_461:
	v_cmp_gt_i16_e32 vcc_lo, 5, v4
	s_cbranch_vccnz .LBB264_466
; %bb.462:
	v_cmp_gt_i16_e32 vcc_lo, 8, v4
	s_cbranch_vccnz .LBB264_467
; %bb.463:
	;; [unrolled: 3-line block ×3, first 2 shown]
	v_cmp_lt_i16_e32 vcc_lo, 9, v4
	s_cbranch_vccz .LBB264_469
; %bb.465:
	global_load_b64 v[5:6], v[0:1], off
	s_mov_b32 s0, 0
	s_waitcnt vmcnt(0)
	v_cvt_f32_f64_e32 v5, v[5:6]
	s_delay_alu instid0(VALU_DEP_1)
	v_cvt_f16_f32_e32 v5, v5
	s_branch .LBB264_470
.LBB264_466:
	s_mov_b32 s0, -1
                                        ; implicit-def: $vgpr5
	s_branch .LBB264_488
.LBB264_467:
	s_mov_b32 s0, -1
                                        ; implicit-def: $vgpr5
	s_branch .LBB264_476
.LBB264_468:
	s_mov_b32 s0, -1
                                        ; implicit-def: $vgpr5
	s_branch .LBB264_473
.LBB264_469:
	s_mov_b32 s0, -1
                                        ; implicit-def: $vgpr5
.LBB264_470:
	s_delay_alu instid0(SALU_CYCLE_1)
	s_and_not1_b32 vcc_lo, exec_lo, s0
	s_cbranch_vccnz .LBB264_472
; %bb.471:
	global_load_b32 v5, v[0:1], off
	s_waitcnt vmcnt(0)
	v_cvt_f16_f32_e32 v5, v5
.LBB264_472:
	s_mov_b32 s0, 0
.LBB264_473:
	s_delay_alu instid0(SALU_CYCLE_1)
	s_and_not1_b32 vcc_lo, exec_lo, s0
	s_cbranch_vccnz .LBB264_475
; %bb.474:
	global_load_b32 v5, v[0:1], off
.LBB264_475:
	s_mov_b32 s0, 0
.LBB264_476:
	s_delay_alu instid0(SALU_CYCLE_1)
	s_and_not1_b32 vcc_lo, exec_lo, s0
	s_cbranch_vccnz .LBB264_487
; %bb.477:
	v_cmp_gt_i16_e32 vcc_lo, 6, v4
	s_cbranch_vccnz .LBB264_480
; %bb.478:
	v_cmp_lt_i16_e32 vcc_lo, 6, v4
	s_cbranch_vccz .LBB264_481
; %bb.479:
	global_load_b64 v[5:6], v[0:1], off
	s_mov_b32 s0, 0
	s_waitcnt vmcnt(0)
	v_cvt_f32_f64_e32 v5, v[5:6]
	s_delay_alu instid0(VALU_DEP_1)
	v_cvt_f16_f32_e32 v5, v5
	s_branch .LBB264_482
.LBB264_480:
	s_mov_b32 s0, -1
                                        ; implicit-def: $vgpr5
	s_branch .LBB264_485
.LBB264_481:
	s_mov_b32 s0, -1
                                        ; implicit-def: $vgpr5
.LBB264_482:
	s_delay_alu instid0(SALU_CYCLE_1)
	s_and_not1_b32 vcc_lo, exec_lo, s0
	s_cbranch_vccnz .LBB264_484
; %bb.483:
	global_load_b32 v5, v[0:1], off
	s_waitcnt vmcnt(0)
	v_cvt_f16_f32_e32 v5, v5
.LBB264_484:
	s_mov_b32 s0, 0
.LBB264_485:
	s_delay_alu instid0(SALU_CYCLE_1)
	s_and_not1_b32 vcc_lo, exec_lo, s0
	s_cbranch_vccnz .LBB264_487
; %bb.486:
	global_load_u16 v5, v[0:1], off
.LBB264_487:
	s_mov_b32 s0, 0
.LBB264_488:
	s_delay_alu instid0(SALU_CYCLE_1)
	s_and_not1_b32 vcc_lo, exec_lo, s0
	s_cbranch_vccnz .LBB264_508
; %bb.489:
	v_cmp_gt_i16_e32 vcc_lo, 2, v4
	s_cbranch_vccnz .LBB264_493
; %bb.490:
	v_cmp_gt_i16_e32 vcc_lo, 3, v4
	s_cbranch_vccnz .LBB264_494
; %bb.491:
	v_cmp_lt_i16_e32 vcc_lo, 3, v4
	s_cbranch_vccz .LBB264_495
; %bb.492:
	global_load_b64 v[5:6], v[0:1], off
	s_mov_b32 s0, 0
	s_waitcnt vmcnt(0)
	v_xor_b32_e32 v7, v5, v6
	v_cls_i32_e32 v8, v6
	s_delay_alu instid0(VALU_DEP_2) | instskip(NEXT) | instid1(VALU_DEP_2)
	v_ashrrev_i32_e32 v7, 31, v7
	v_add_nc_u32_e32 v8, -1, v8
	s_delay_alu instid0(VALU_DEP_2) | instskip(NEXT) | instid1(VALU_DEP_1)
	v_add_nc_u32_e32 v7, 32, v7
	v_min_u32_e32 v7, v8, v7
	s_delay_alu instid0(VALU_DEP_1) | instskip(NEXT) | instid1(VALU_DEP_1)
	v_lshlrev_b64 v[5:6], v7, v[5:6]
	v_min_u32_e32 v5, 1, v5
	s_delay_alu instid0(VALU_DEP_1) | instskip(SKIP_1) | instid1(VALU_DEP_2)
	v_or_b32_e32 v5, v6, v5
	v_sub_nc_u32_e32 v6, 32, v7
	v_cvt_f32_i32_e32 v5, v5
	s_delay_alu instid0(VALU_DEP_1) | instskip(NEXT) | instid1(VALU_DEP_1)
	v_ldexp_f32 v5, v5, v6
	v_cvt_f16_f32_e32 v5, v5
	s_branch .LBB264_496
.LBB264_493:
	s_mov_b32 s0, -1
                                        ; implicit-def: $vgpr5
	s_branch .LBB264_502
.LBB264_494:
	s_mov_b32 s0, -1
                                        ; implicit-def: $vgpr5
	s_branch .LBB264_499
.LBB264_495:
	s_mov_b32 s0, -1
                                        ; implicit-def: $vgpr5
.LBB264_496:
	s_delay_alu instid0(SALU_CYCLE_1)
	s_and_not1_b32 vcc_lo, exec_lo, s0
	s_cbranch_vccnz .LBB264_498
; %bb.497:
	global_load_b32 v5, v[0:1], off
	s_waitcnt vmcnt(0)
	v_cvt_f32_i32_e32 v5, v5
	s_delay_alu instid0(VALU_DEP_1)
	v_cvt_f16_f32_e32 v5, v5
.LBB264_498:
	s_mov_b32 s0, 0
.LBB264_499:
	s_delay_alu instid0(SALU_CYCLE_1)
	s_and_not1_b32 vcc_lo, exec_lo, s0
	s_cbranch_vccnz .LBB264_501
; %bb.500:
	global_load_u16 v5, v[0:1], off
	s_waitcnt vmcnt(0)
	v_cvt_f16_i16_e32 v5, v5
.LBB264_501:
	s_mov_b32 s0, 0
.LBB264_502:
	s_delay_alu instid0(SALU_CYCLE_1)
	s_and_not1_b32 vcc_lo, exec_lo, s0
	s_cbranch_vccnz .LBB264_508
; %bb.503:
	v_cmp_lt_i16_e32 vcc_lo, 0, v4
	s_mov_b32 s0, 0
	s_cbranch_vccz .LBB264_505
; %bb.504:
	global_load_i8 v5, v[0:1], off
	s_waitcnt vmcnt(0)
	v_cvt_f16_i16_e32 v5, v5
	s_branch .LBB264_506
.LBB264_505:
	s_mov_b32 s0, -1
                                        ; implicit-def: $vgpr5
.LBB264_506:
	s_delay_alu instid0(SALU_CYCLE_1)
	s_and_not1_b32 vcc_lo, exec_lo, s0
	s_cbranch_vccnz .LBB264_508
; %bb.507:
	global_load_u8 v0, v[0:1], off
	s_waitcnt vmcnt(0)
	v_cvt_f16_u16_e32 v5, v0
.LBB264_508:
	s_branch .LBB264_263
.LBB264_509:
	s_mov_b32 s16, 0
	s_mov_b32 s0, s9
.LBB264_510:
                                        ; implicit-def: $vgpr3
.LBB264_511:
	s_and_not1_b32 s14, s9, exec_lo
	s_and_b32 s0, s0, exec_lo
	s_and_not1_b32 s17, s11, exec_lo
	s_and_b32 s13, s13, exec_lo
	s_or_b32 s14, s14, s0
	s_or_b32 s13, s17, s13
	s_or_not1_b32 s17, s16, exec_lo
.LBB264_512:
	s_or_b32 exec_lo, exec_lo, s15
	s_mov_b32 s16, 0
	s_mov_b32 s18, 0
	;; [unrolled: 1-line block ×3, first 2 shown]
                                        ; implicit-def: $vgpr0_vgpr1
                                        ; implicit-def: $vgpr6
	s_and_saveexec_b32 s15, s17
	s_cbranch_execz .LBB264_859
; %bb.513:
	s_mov_b32 s0, -1
	s_mov_b32 s17, s13
	s_mov_b32 s18, s14
	s_mov_b32 s16, exec_lo
	v_cmpx_gt_i32_e64 s10, v3
	s_cbranch_execz .LBB264_773
; %bb.514:
	v_mul_lo_u32 v0, v3, s3
	v_cmp_gt_i16_e32 vcc_lo, 11, v4
	s_delay_alu instid0(VALU_DEP_2) | instskip(SKIP_1) | instid1(VALU_DEP_1)
	v_ashrrev_i32_e32 v1, 31, v0
	v_add_co_u32 v0, s0, s6, v0
	v_add_co_ci_u32_e64 v1, s0, s7, v1, s0
	s_cbranch_vccnz .LBB264_521
; %bb.515:
	v_cmp_lt_i16_e32 vcc_lo, 25, v4
	s_cbranch_vccz .LBB264_522
; %bb.516:
	v_cmp_lt_i16_e32 vcc_lo, 28, v4
	s_cbranch_vccz .LBB264_523
	;; [unrolled: 3-line block ×4, first 2 shown]
; %bb.519:
	v_cmp_eq_u16_e32 vcc_lo, 46, v4
	s_mov_b32 s18, 0
	s_cbranch_vccz .LBB264_530
; %bb.520:
	global_load_b32 v5, v[0:1], off
	s_mov_b32 s0, -1
	s_mov_b32 s17, 0
	s_waitcnt vmcnt(0)
	v_lshlrev_b32_e32 v5, 16, v5
	s_delay_alu instid0(VALU_DEP_1)
	v_cvt_f16_f32_e32 v5, v5
	s_branch .LBB264_532
.LBB264_521:
	s_mov_b32 s18, -1
	s_mov_b32 s0, 0
	s_mov_b32 s17, s13
                                        ; implicit-def: $vgpr5
	s_branch .LBB264_597
.LBB264_522:
	s_mov_b32 s18, -1
	s_mov_b32 s0, 0
	s_mov_b32 s17, s13
                                        ; implicit-def: $vgpr5
	s_branch .LBB264_561
.LBB264_523:
	s_mov_b32 s18, -1
	s_mov_b32 s0, 0
	s_mov_b32 s17, s13
                                        ; implicit-def: $vgpr5
	s_branch .LBB264_542
.LBB264_524:
	s_mov_b32 s18, -1
	s_mov_b32 s0, 0
	s_mov_b32 s17, s13
                                        ; implicit-def: $vgpr5
	s_branch .LBB264_537
.LBB264_525:
	s_or_saveexec_b32 s17, s17
                                        ; implicit-def: $sgpr18
	s_delay_alu instid0(SALU_CYCLE_1)
	s_xor_b32 exec_lo, exec_lo, s17
	s_cbranch_execz .LBB264_309
.LBB264_526:
	v_add_f32_e64 v8, 0x46000000, |v7|
	s_and_not1_b32 s16, s16, exec_lo
	s_mov_b32 s18, 0
	s_delay_alu instid0(VALU_DEP_1) | instskip(NEXT) | instid1(VALU_DEP_1)
	v_and_b32_e32 v8, 0xff, v8
	v_cmp_ne_u32_e32 vcc_lo, 0, v8
	s_and_b32 s19, vcc_lo, exec_lo
	s_delay_alu instid0(SALU_CYCLE_1)
	s_or_b32 s16, s16, s19
	s_or_b32 exec_lo, exec_lo, s17
	v_mov_b32_e32 v9, s18
	s_and_saveexec_b32 s17, s16
	s_cbranch_execnz .LBB264_310
	s_branch .LBB264_311
.LBB264_527:
	s_mov_b32 s18, -1
	s_mov_b32 s0, 0
	s_mov_b32 s17, s13
	s_branch .LBB264_531
.LBB264_528:
	s_or_saveexec_b32 s17, s17
                                        ; implicit-def: $sgpr18
	s_delay_alu instid0(SALU_CYCLE_1)
	s_xor_b32 exec_lo, exec_lo, s17
	s_cbranch_execz .LBB264_322
.LBB264_529:
	v_add_f32_e64 v8, 0x42800000, |v7|
	s_and_not1_b32 s16, s16, exec_lo
	s_mov_b32 s18, 0
	s_delay_alu instid0(VALU_DEP_1) | instskip(NEXT) | instid1(VALU_DEP_1)
	v_and_b32_e32 v8, 0xff, v8
	v_cmp_ne_u32_e32 vcc_lo, 0, v8
	s_and_b32 s19, vcc_lo, exec_lo
	s_delay_alu instid0(SALU_CYCLE_1)
	s_or_b32 s16, s16, s19
	s_or_b32 exec_lo, exec_lo, s17
	v_mov_b32_e32 v9, s18
	s_and_saveexec_b32 s17, s16
	s_cbranch_execnz .LBB264_323
	s_branch .LBB264_324
.LBB264_530:
	s_mov_b32 s17, -1
	s_mov_b32 s0, 0
.LBB264_531:
                                        ; implicit-def: $vgpr5
.LBB264_532:
	s_and_b32 vcc_lo, exec_lo, s18
	s_cbranch_vccz .LBB264_536
; %bb.533:
	v_cmp_eq_u16_e32 vcc_lo, 44, v4
	s_cbranch_vccz .LBB264_535
; %bb.534:
	global_load_u8 v5, v[0:1], off
	s_mov_b32 s17, 0
	s_mov_b32 s0, -1
	s_waitcnt vmcnt(0)
	v_lshlrev_b32_e32 v6, 23, v5
	v_cmp_ne_u32_e32 vcc_lo, 0xff, v5
	s_delay_alu instid0(VALU_DEP_2) | instskip(NEXT) | instid1(VALU_DEP_1)
	v_cvt_f16_f32_e32 v6, v6
	v_cndmask_b32_e32 v6, 0x7e00, v6, vcc_lo
	v_cmp_ne_u32_e32 vcc_lo, 0, v5
	s_delay_alu instid0(VALU_DEP_2)
	v_cndmask_b32_e32 v5, 0, v6, vcc_lo
	s_branch .LBB264_536
.LBB264_535:
	s_mov_b32 s17, -1
                                        ; implicit-def: $vgpr5
.LBB264_536:
	s_mov_b32 s18, 0
.LBB264_537:
	s_delay_alu instid0(SALU_CYCLE_1)
	s_and_b32 vcc_lo, exec_lo, s18
	s_cbranch_vccz .LBB264_541
; %bb.538:
	v_cmp_eq_u16_e32 vcc_lo, 29, v4
	s_cbranch_vccz .LBB264_540
; %bb.539:
	global_load_b64 v[5:6], v[0:1], off
	s_mov_b32 s0, -1
	s_mov_b32 s17, 0
	s_mov_b32 s18, 0
	s_waitcnt vmcnt(0)
	v_clz_i32_u32_e32 v7, v6
	s_delay_alu instid0(VALU_DEP_1) | instskip(NEXT) | instid1(VALU_DEP_1)
	v_min_u32_e32 v7, 32, v7
	v_lshlrev_b64 v[5:6], v7, v[5:6]
	s_delay_alu instid0(VALU_DEP_1) | instskip(NEXT) | instid1(VALU_DEP_1)
	v_min_u32_e32 v5, 1, v5
	v_or_b32_e32 v5, v6, v5
	v_sub_nc_u32_e32 v6, 32, v7
	s_delay_alu instid0(VALU_DEP_2) | instskip(NEXT) | instid1(VALU_DEP_1)
	v_cvt_f32_u32_e32 v5, v5
	v_ldexp_f32 v5, v5, v6
	s_delay_alu instid0(VALU_DEP_1)
	v_cvt_f16_f32_e32 v5, v5
	s_branch .LBB264_542
.LBB264_540:
	s_mov_b32 s17, -1
                                        ; implicit-def: $vgpr5
.LBB264_541:
	s_mov_b32 s18, 0
.LBB264_542:
	s_delay_alu instid0(SALU_CYCLE_1)
	s_and_b32 vcc_lo, exec_lo, s18
	s_cbranch_vccz .LBB264_560
; %bb.543:
	v_cmp_gt_i16_e32 vcc_lo, 27, v4
	s_cbranch_vccnz .LBB264_546
; %bb.544:
	v_cmp_lt_i16_e32 vcc_lo, 27, v4
	s_cbranch_vccz .LBB264_547
; %bb.545:
	global_load_b32 v5, v[0:1], off
	s_mov_b32 s0, 0
	s_waitcnt vmcnt(0)
	v_cvt_f32_u32_e32 v5, v5
	s_delay_alu instid0(VALU_DEP_1)
	v_cvt_f16_f32_e32 v5, v5
	s_branch .LBB264_548
.LBB264_546:
	s_mov_b32 s0, -1
                                        ; implicit-def: $vgpr5
	s_branch .LBB264_551
.LBB264_547:
	s_mov_b32 s0, -1
                                        ; implicit-def: $vgpr5
.LBB264_548:
	s_delay_alu instid0(SALU_CYCLE_1)
	s_and_not1_b32 vcc_lo, exec_lo, s0
	s_cbranch_vccnz .LBB264_550
; %bb.549:
	global_load_u16 v5, v[0:1], off
	s_waitcnt vmcnt(0)
	v_cvt_f16_u16_e32 v5, v5
.LBB264_550:
	s_mov_b32 s0, 0
.LBB264_551:
	s_delay_alu instid0(SALU_CYCLE_1)
	s_and_not1_b32 vcc_lo, exec_lo, s0
	s_cbranch_vccnz .LBB264_559
; %bb.552:
	global_load_u8 v6, v[0:1], off
	s_mov_b32 s0, 0
	s_mov_b32 s19, exec_lo
                                        ; implicit-def: $sgpr18
	s_waitcnt vmcnt(0)
	v_cmpx_lt_i16_e32 0x7f, v6
	s_xor_b32 s19, exec_lo, s19
	s_cbranch_execz .LBB264_573
; %bb.553:
	s_mov_b32 s0, -1
	s_mov_b32 s20, exec_lo
                                        ; implicit-def: $sgpr18
	v_cmpx_eq_u16_e32 0x80, v6
; %bb.554:
	s_movk_i32 s18, 0x7e00
	s_xor_b32 s0, exec_lo, -1
; %bb.555:
	s_or_b32 exec_lo, exec_lo, s20
	s_delay_alu instid0(SALU_CYCLE_1)
	s_and_b32 s0, s0, exec_lo
	s_or_saveexec_b32 s19, s19
	v_mov_b32_e32 v5, s18
	s_xor_b32 exec_lo, exec_lo, s19
	s_cbranch_execnz .LBB264_574
.LBB264_556:
	s_or_b32 exec_lo, exec_lo, s19
	s_and_saveexec_b32 s18, s0
	s_cbranch_execz .LBB264_558
.LBB264_557:
	v_and_b32_e32 v5, 0xffff, v6
	s_delay_alu instid0(VALU_DEP_1) | instskip(NEXT) | instid1(VALU_DEP_1)
	v_and_b32_e32 v7, 7, v5
	v_clz_i32_u32_e32 v8, v7
	s_delay_alu instid0(VALU_DEP_1) | instskip(NEXT) | instid1(VALU_DEP_1)
	v_min_u32_e32 v8, 32, v8
	v_subrev_nc_u32_e32 v9, 28, v8
	v_sub_nc_u32_e32 v8, 29, v8
	s_delay_alu instid0(VALU_DEP_2) | instskip(SKIP_1) | instid1(VALU_DEP_2)
	v_lshlrev_b32_e32 v9, v9, v5
	v_bfe_u32 v5, v5, 3, 4
	v_and_b32_e32 v9, 7, v9
	s_delay_alu instid0(VALU_DEP_2) | instskip(SKIP_1) | instid1(VALU_DEP_1)
	v_cmp_eq_u32_e32 vcc_lo, 0, v5
	v_dual_cndmask_b32 v5, v5, v8 :: v_dual_lshlrev_b32 v6, 24, v6
	v_dual_cndmask_b32 v7, v7, v9 :: v_dual_and_b32 v6, 0x80000000, v6
	s_delay_alu instid0(VALU_DEP_2) | instskip(NEXT) | instid1(VALU_DEP_2)
	v_lshl_add_u32 v5, v5, 23, 0x3b800000
	v_lshlrev_b32_e32 v7, 20, v7
	s_delay_alu instid0(VALU_DEP_1) | instskip(NEXT) | instid1(VALU_DEP_1)
	v_or3_b32 v5, v6, v5, v7
	v_cvt_f16_f32_e32 v5, v5
.LBB264_558:
	s_or_b32 exec_lo, exec_lo, s18
.LBB264_559:
	s_mov_b32 s0, -1
.LBB264_560:
	s_mov_b32 s18, 0
.LBB264_561:
	s_delay_alu instid0(SALU_CYCLE_1)
	s_and_b32 vcc_lo, exec_lo, s18
	s_cbranch_vccz .LBB264_596
; %bb.562:
	v_cmp_lt_i16_e32 vcc_lo, 22, v4
	s_cbranch_vccz .LBB264_572
; %bb.563:
	v_cmp_gt_i16_e32 vcc_lo, 24, v4
	s_cbranch_vccnz .LBB264_575
; %bb.564:
	v_cmp_lt_i16_e32 vcc_lo, 24, v4
	s_cbranch_vccz .LBB264_576
; %bb.565:
	global_load_u8 v6, v[0:1], off
	s_mov_b32 s0, 0
	s_mov_b32 s19, exec_lo
                                        ; implicit-def: $sgpr18
	s_waitcnt vmcnt(0)
	v_cmpx_lt_i16_e32 0x7f, v6
	s_xor_b32 s19, exec_lo, s19
	s_cbranch_execz .LBB264_588
; %bb.566:
	s_mov_b32 s0, -1
	s_mov_b32 s20, exec_lo
                                        ; implicit-def: $sgpr18
	v_cmpx_eq_u16_e32 0x80, v6
; %bb.567:
	s_movk_i32 s18, 0x7e00
	s_xor_b32 s0, exec_lo, -1
; %bb.568:
	s_or_b32 exec_lo, exec_lo, s20
	s_delay_alu instid0(SALU_CYCLE_1)
	s_and_b32 s0, s0, exec_lo
	s_or_saveexec_b32 s19, s19
	v_mov_b32_e32 v5, s18
	s_xor_b32 exec_lo, exec_lo, s19
	s_cbranch_execnz .LBB264_589
.LBB264_569:
	s_or_b32 exec_lo, exec_lo, s19
	s_and_saveexec_b32 s18, s0
	s_cbranch_execz .LBB264_571
.LBB264_570:
	v_and_b32_e32 v5, 0xffff, v6
	s_delay_alu instid0(VALU_DEP_1) | instskip(NEXT) | instid1(VALU_DEP_1)
	v_and_b32_e32 v7, 3, v5
	v_clz_i32_u32_e32 v8, v7
	s_delay_alu instid0(VALU_DEP_1) | instskip(NEXT) | instid1(VALU_DEP_1)
	v_min_u32_e32 v8, 32, v8
	v_subrev_nc_u32_e32 v9, 29, v8
	v_sub_nc_u32_e32 v8, 30, v8
	s_delay_alu instid0(VALU_DEP_2) | instskip(SKIP_1) | instid1(VALU_DEP_2)
	v_lshlrev_b32_e32 v9, v9, v5
	v_bfe_u32 v5, v5, 2, 5
	v_and_b32_e32 v9, 3, v9
	s_delay_alu instid0(VALU_DEP_2) | instskip(SKIP_1) | instid1(VALU_DEP_1)
	v_cmp_eq_u32_e32 vcc_lo, 0, v5
	v_dual_cndmask_b32 v5, v5, v8 :: v_dual_lshlrev_b32 v6, 24, v6
	v_dual_cndmask_b32 v7, v7, v9 :: v_dual_and_b32 v6, 0x80000000, v6
	s_delay_alu instid0(VALU_DEP_2) | instskip(NEXT) | instid1(VALU_DEP_2)
	v_lshl_add_u32 v5, v5, 23, 0x37800000
	v_lshlrev_b32_e32 v7, 21, v7
	s_delay_alu instid0(VALU_DEP_1) | instskip(NEXT) | instid1(VALU_DEP_1)
	v_or3_b32 v5, v6, v5, v7
	v_cvt_f16_f32_e32 v5, v5
.LBB264_571:
	s_or_b32 exec_lo, exec_lo, s18
	s_mov_b32 s0, 0
	s_branch .LBB264_577
.LBB264_572:
	s_mov_b32 s18, -1
                                        ; implicit-def: $vgpr5
	s_branch .LBB264_583
.LBB264_573:
	s_or_saveexec_b32 s19, s19
	v_mov_b32_e32 v5, s18
	s_xor_b32 exec_lo, exec_lo, s19
	s_cbranch_execz .LBB264_556
.LBB264_574:
	v_cmp_ne_u16_e32 vcc_lo, 0, v6
	v_mov_b32_e32 v5, v6
	s_and_not1_b32 s0, s0, exec_lo
	s_and_b32 s18, vcc_lo, exec_lo
	s_delay_alu instid0(SALU_CYCLE_1)
	s_or_b32 s0, s0, s18
	s_or_b32 exec_lo, exec_lo, s19
	s_and_saveexec_b32 s18, s0
	s_cbranch_execnz .LBB264_557
	s_branch .LBB264_558
.LBB264_575:
	s_mov_b32 s0, -1
                                        ; implicit-def: $vgpr5
	s_branch .LBB264_580
.LBB264_576:
	s_mov_b32 s0, -1
                                        ; implicit-def: $vgpr5
.LBB264_577:
	s_delay_alu instid0(SALU_CYCLE_1)
	s_and_b32 vcc_lo, exec_lo, s0
	s_cbranch_vccz .LBB264_579
; %bb.578:
	global_load_u8 v5, v[0:1], off
	s_waitcnt vmcnt(0)
	v_lshlrev_b32_e32 v5, 24, v5
	s_delay_alu instid0(VALU_DEP_1) | instskip(NEXT) | instid1(VALU_DEP_1)
	v_and_b32_e32 v6, 0x7f000000, v5
	v_clz_i32_u32_e32 v7, v6
	v_add_nc_u32_e32 v9, 0x1000000, v6
	v_cmp_ne_u32_e32 vcc_lo, 0, v6
	s_delay_alu instid0(VALU_DEP_3) | instskip(NEXT) | instid1(VALU_DEP_1)
	v_min_u32_e32 v7, 32, v7
	v_sub_nc_u32_e64 v7, v7, 4 clamp
	s_delay_alu instid0(VALU_DEP_1) | instskip(SKIP_1) | instid1(VALU_DEP_2)
	v_lshlrev_b32_e32 v8, v7, v6
	v_lshlrev_b32_e32 v7, 23, v7
	v_lshrrev_b32_e32 v8, 4, v8
	s_delay_alu instid0(VALU_DEP_1) | instskip(SKIP_1) | instid1(VALU_DEP_2)
	v_sub_nc_u32_e32 v7, v8, v7
	v_ashrrev_i32_e32 v8, 8, v9
	v_add_nc_u32_e32 v7, 0x3c000000, v7
	s_delay_alu instid0(VALU_DEP_1) | instskip(NEXT) | instid1(VALU_DEP_1)
	v_and_or_b32 v7, 0x7f800000, v8, v7
	v_cndmask_b32_e32 v6, 0, v7, vcc_lo
	s_delay_alu instid0(VALU_DEP_1) | instskip(NEXT) | instid1(VALU_DEP_1)
	v_and_or_b32 v5, 0x80000000, v5, v6
	v_cvt_f16_f32_e32 v5, v5
.LBB264_579:
	s_mov_b32 s0, 0
.LBB264_580:
	s_delay_alu instid0(SALU_CYCLE_1)
	s_and_not1_b32 vcc_lo, exec_lo, s0
	s_cbranch_vccnz .LBB264_582
; %bb.581:
	global_load_u8 v5, v[0:1], off
	s_waitcnt vmcnt(0)
	v_lshlrev_b32_e32 v6, 25, v5
	v_lshlrev_b16 v5, 8, v5
	s_delay_alu instid0(VALU_DEP_2) | instskip(NEXT) | instid1(VALU_DEP_2)
	v_lshrrev_b32_e32 v7, 4, v6
	v_and_or_b32 v8, 0x7f00, v5, 0.5
	v_bfe_i32 v5, v5, 0, 16
	s_delay_alu instid0(VALU_DEP_3) | instskip(NEXT) | instid1(VALU_DEP_1)
	v_or_b32_e32 v7, 0x70000000, v7
	v_dual_add_f32 v8, -0.5, v8 :: v_dual_mul_f32 v7, 0x7800000, v7
	v_cmp_gt_u32_e32 vcc_lo, 0x8000000, v6
	s_delay_alu instid0(VALU_DEP_2) | instskip(NEXT) | instid1(VALU_DEP_1)
	v_cndmask_b32_e32 v6, v7, v8, vcc_lo
	v_and_or_b32 v5, 0x80000000, v5, v6
	s_delay_alu instid0(VALU_DEP_1)
	v_cvt_f16_f32_e32 v5, v5
.LBB264_582:
	s_mov_b32 s18, 0
	s_mov_b32 s0, -1
.LBB264_583:
	s_and_not1_b32 vcc_lo, exec_lo, s18
	s_cbranch_vccnz .LBB264_596
; %bb.584:
	v_cmp_lt_i16_e32 vcc_lo, 14, v4
	s_cbranch_vccz .LBB264_587
; %bb.585:
	v_cmp_eq_u16_e32 vcc_lo, 15, v4
	s_cbranch_vccz .LBB264_590
; %bb.586:
	global_load_u16 v5, v[0:1], off
	s_mov_b32 s0, -1
	s_mov_b32 s17, 0
	s_waitcnt vmcnt(0)
	v_lshlrev_b32_e32 v5, 16, v5
	s_delay_alu instid0(VALU_DEP_1)
	v_cvt_f16_f32_e32 v5, v5
	s_branch .LBB264_591
.LBB264_587:
	s_mov_b32 s18, -1
                                        ; implicit-def: $vgpr5
	s_branch .LBB264_592
.LBB264_588:
	s_or_saveexec_b32 s19, s19
	v_mov_b32_e32 v5, s18
	s_xor_b32 exec_lo, exec_lo, s19
	s_cbranch_execz .LBB264_569
.LBB264_589:
	v_cmp_ne_u16_e32 vcc_lo, 0, v6
	v_mov_b32_e32 v5, v6
	s_and_not1_b32 s0, s0, exec_lo
	s_and_b32 s18, vcc_lo, exec_lo
	s_delay_alu instid0(SALU_CYCLE_1)
	s_or_b32 s0, s0, s18
	s_or_b32 exec_lo, exec_lo, s19
	s_and_saveexec_b32 s18, s0
	s_cbranch_execnz .LBB264_570
	s_branch .LBB264_571
.LBB264_590:
	s_mov_b32 s17, -1
                                        ; implicit-def: $vgpr5
.LBB264_591:
	s_mov_b32 s18, 0
.LBB264_592:
	s_delay_alu instid0(SALU_CYCLE_1)
	s_and_b32 vcc_lo, exec_lo, s18
	s_cbranch_vccz .LBB264_596
; %bb.593:
	v_cmp_eq_u16_e32 vcc_lo, 11, v4
	s_cbranch_vccz .LBB264_595
; %bb.594:
	global_load_u8 v5, v[0:1], off
	s_mov_b32 s17, 0
	s_mov_b32 s0, -1
	s_waitcnt vmcnt(0)
	v_cmp_ne_u16_e32 vcc_lo, 0, v5
	v_cndmask_b32_e64 v5, 0, 0x3c00, vcc_lo
	s_branch .LBB264_596
.LBB264_595:
	s_mov_b32 s17, -1
                                        ; implicit-def: $vgpr5
.LBB264_596:
	s_mov_b32 s18, 0
.LBB264_597:
	s_delay_alu instid0(SALU_CYCLE_1)
	s_and_b32 vcc_lo, exec_lo, s18
	s_cbranch_vccz .LBB264_646
; %bb.598:
	v_cmp_gt_i16_e32 vcc_lo, 5, v4
	s_cbranch_vccnz .LBB264_603
; %bb.599:
	v_cmp_gt_i16_e32 vcc_lo, 8, v4
	s_cbranch_vccnz .LBB264_604
	;; [unrolled: 3-line block ×3, first 2 shown]
; %bb.601:
	v_cmp_lt_i16_e32 vcc_lo, 9, v4
	s_cbranch_vccz .LBB264_606
; %bb.602:
	global_load_b64 v[5:6], v[0:1], off
	s_mov_b32 s0, 0
	s_waitcnt vmcnt(0)
	v_cvt_f32_f64_e32 v5, v[5:6]
	s_delay_alu instid0(VALU_DEP_1)
	v_cvt_f16_f32_e32 v5, v5
	s_branch .LBB264_607
.LBB264_603:
	s_mov_b32 s0, -1
                                        ; implicit-def: $vgpr5
	s_branch .LBB264_625
.LBB264_604:
	s_mov_b32 s0, -1
                                        ; implicit-def: $vgpr5
	s_branch .LBB264_613
.LBB264_605:
	s_mov_b32 s0, -1
                                        ; implicit-def: $vgpr5
	s_branch .LBB264_610
.LBB264_606:
	s_mov_b32 s0, -1
                                        ; implicit-def: $vgpr5
.LBB264_607:
	s_delay_alu instid0(SALU_CYCLE_1)
	s_and_not1_b32 vcc_lo, exec_lo, s0
	s_cbranch_vccnz .LBB264_609
; %bb.608:
	global_load_b32 v5, v[0:1], off
	s_waitcnt vmcnt(0)
	v_cvt_f16_f32_e32 v5, v5
.LBB264_609:
	s_mov_b32 s0, 0
.LBB264_610:
	s_delay_alu instid0(SALU_CYCLE_1)
	s_and_not1_b32 vcc_lo, exec_lo, s0
	s_cbranch_vccnz .LBB264_612
; %bb.611:
	global_load_b32 v5, v[0:1], off
.LBB264_612:
	s_mov_b32 s0, 0
.LBB264_613:
	s_delay_alu instid0(SALU_CYCLE_1)
	s_and_not1_b32 vcc_lo, exec_lo, s0
	s_cbranch_vccnz .LBB264_624
; %bb.614:
	v_cmp_gt_i16_e32 vcc_lo, 6, v4
	s_cbranch_vccnz .LBB264_617
; %bb.615:
	v_cmp_lt_i16_e32 vcc_lo, 6, v4
	s_cbranch_vccz .LBB264_618
; %bb.616:
	global_load_b64 v[5:6], v[0:1], off
	s_mov_b32 s0, 0
	s_waitcnt vmcnt(0)
	v_cvt_f32_f64_e32 v5, v[5:6]
	s_delay_alu instid0(VALU_DEP_1)
	v_cvt_f16_f32_e32 v5, v5
	s_branch .LBB264_619
.LBB264_617:
	s_mov_b32 s0, -1
                                        ; implicit-def: $vgpr5
	s_branch .LBB264_622
.LBB264_618:
	s_mov_b32 s0, -1
                                        ; implicit-def: $vgpr5
.LBB264_619:
	s_delay_alu instid0(SALU_CYCLE_1)
	s_and_not1_b32 vcc_lo, exec_lo, s0
	s_cbranch_vccnz .LBB264_621
; %bb.620:
	global_load_b32 v5, v[0:1], off
	s_waitcnt vmcnt(0)
	v_cvt_f16_f32_e32 v5, v5
.LBB264_621:
	s_mov_b32 s0, 0
.LBB264_622:
	s_delay_alu instid0(SALU_CYCLE_1)
	s_and_not1_b32 vcc_lo, exec_lo, s0
	s_cbranch_vccnz .LBB264_624
; %bb.623:
	global_load_u16 v5, v[0:1], off
.LBB264_624:
	s_mov_b32 s0, 0
.LBB264_625:
	s_delay_alu instid0(SALU_CYCLE_1)
	s_and_not1_b32 vcc_lo, exec_lo, s0
	s_cbranch_vccnz .LBB264_645
; %bb.626:
	v_cmp_gt_i16_e32 vcc_lo, 2, v4
	s_cbranch_vccnz .LBB264_630
; %bb.627:
	v_cmp_gt_i16_e32 vcc_lo, 3, v4
	s_cbranch_vccnz .LBB264_631
; %bb.628:
	v_cmp_lt_i16_e32 vcc_lo, 3, v4
	s_cbranch_vccz .LBB264_632
; %bb.629:
	global_load_b64 v[5:6], v[0:1], off
	s_mov_b32 s0, 0
	s_waitcnt vmcnt(0)
	v_xor_b32_e32 v7, v5, v6
	v_cls_i32_e32 v8, v6
	s_delay_alu instid0(VALU_DEP_2) | instskip(NEXT) | instid1(VALU_DEP_2)
	v_ashrrev_i32_e32 v7, 31, v7
	v_add_nc_u32_e32 v8, -1, v8
	s_delay_alu instid0(VALU_DEP_2) | instskip(NEXT) | instid1(VALU_DEP_1)
	v_add_nc_u32_e32 v7, 32, v7
	v_min_u32_e32 v7, v8, v7
	s_delay_alu instid0(VALU_DEP_1) | instskip(NEXT) | instid1(VALU_DEP_1)
	v_lshlrev_b64 v[5:6], v7, v[5:6]
	v_min_u32_e32 v5, 1, v5
	s_delay_alu instid0(VALU_DEP_1) | instskip(SKIP_1) | instid1(VALU_DEP_2)
	v_or_b32_e32 v5, v6, v5
	v_sub_nc_u32_e32 v6, 32, v7
	v_cvt_f32_i32_e32 v5, v5
	s_delay_alu instid0(VALU_DEP_1) | instskip(NEXT) | instid1(VALU_DEP_1)
	v_ldexp_f32 v5, v5, v6
	v_cvt_f16_f32_e32 v5, v5
	s_branch .LBB264_633
.LBB264_630:
	s_mov_b32 s0, -1
                                        ; implicit-def: $vgpr5
	s_branch .LBB264_639
.LBB264_631:
	s_mov_b32 s0, -1
                                        ; implicit-def: $vgpr5
	s_branch .LBB264_636
.LBB264_632:
	s_mov_b32 s0, -1
                                        ; implicit-def: $vgpr5
.LBB264_633:
	s_delay_alu instid0(SALU_CYCLE_1)
	s_and_not1_b32 vcc_lo, exec_lo, s0
	s_cbranch_vccnz .LBB264_635
; %bb.634:
	global_load_b32 v5, v[0:1], off
	s_waitcnt vmcnt(0)
	v_cvt_f32_i32_e32 v5, v5
	s_delay_alu instid0(VALU_DEP_1)
	v_cvt_f16_f32_e32 v5, v5
.LBB264_635:
	s_mov_b32 s0, 0
.LBB264_636:
	s_delay_alu instid0(SALU_CYCLE_1)
	s_and_not1_b32 vcc_lo, exec_lo, s0
	s_cbranch_vccnz .LBB264_638
; %bb.637:
	global_load_u16 v5, v[0:1], off
	s_waitcnt vmcnt(0)
	v_cvt_f16_i16_e32 v5, v5
.LBB264_638:
	s_mov_b32 s0, 0
.LBB264_639:
	s_delay_alu instid0(SALU_CYCLE_1)
	s_and_not1_b32 vcc_lo, exec_lo, s0
	s_cbranch_vccnz .LBB264_645
; %bb.640:
	v_cmp_lt_i16_e32 vcc_lo, 0, v4
	s_mov_b32 s0, 0
	s_cbranch_vccz .LBB264_642
; %bb.641:
	global_load_i8 v5, v[0:1], off
	s_waitcnt vmcnt(0)
	v_cvt_f16_i16_e32 v5, v5
	s_branch .LBB264_643
.LBB264_642:
	s_mov_b32 s0, -1
                                        ; implicit-def: $vgpr5
.LBB264_643:
	s_delay_alu instid0(SALU_CYCLE_1)
	s_and_not1_b32 vcc_lo, exec_lo, s0
	s_cbranch_vccnz .LBB264_645
; %bb.644:
	global_load_u8 v0, v[0:1], off
	s_waitcnt vmcnt(0)
	v_cvt_f16_u16_e32 v5, v0
.LBB264_645:
	s_mov_b32 s0, -1
.LBB264_646:
	s_delay_alu instid0(SALU_CYCLE_1)
	s_and_not1_b32 vcc_lo, exec_lo, s0
	s_cbranch_vccnz .LBB264_654
; %bb.647:
	s_waitcnt vmcnt(0)
	v_cvt_f32_f16_e32 v0, v5
	s_delay_alu instid0(VALU_DEP_1) | instskip(SKIP_1) | instid1(VALU_DEP_2)
	v_mul_f32_e32 v1, 0x4f800000, v0
	v_cmp_gt_f32_e32 vcc_lo, 0xf800000, v0
	v_cndmask_b32_e32 v0, v0, v1, vcc_lo
	s_delay_alu instid0(VALU_DEP_1) | instskip(SKIP_3) | instid1(VALU_DEP_1)
	v_rsq_f32_e32 v1, v0
	s_waitcnt_depctr 0xfff
	v_mul_f32_e32 v5, v0, v1
	v_mul_f32_e32 v1, 0.5, v1
	v_fma_f32 v6, -v1, v5, 0.5
	s_delay_alu instid0(VALU_DEP_1) | instskip(SKIP_2) | instid1(VALU_DEP_3)
	v_fmac_f32_e32 v5, v5, v6
	v_fmac_f32_e32 v1, v1, v6
	v_cmp_class_f32_e64 s0, v0, 0x260
	v_fma_f32 v6, -v5, v5, v0
	s_delay_alu instid0(VALU_DEP_1) | instskip(SKIP_1) | instid1(VALU_DEP_2)
	v_dual_fmac_f32 v5, v6, v1 :: v_dual_and_b32 v6, 0xff, v2
	v_mul_lo_u32 v1, v3, s2
	v_mul_f32_e32 v7, 0x37800000, v5
	s_delay_alu instid0(VALU_DEP_1) | instskip(NEXT) | instid1(VALU_DEP_3)
	v_cndmask_b32_e32 v5, v5, v7, vcc_lo
	v_ashrrev_i32_e32 v7, 31, v1
	v_cmp_gt_i16_e32 vcc_lo, 11, v6
	s_delay_alu instid0(VALU_DEP_3) | instskip(SKIP_1) | instid1(VALU_DEP_1)
	v_cndmask_b32_e64 v5, v5, v0, s0
	v_add_co_u32 v0, s0, s4, v1
	v_add_co_ci_u32_e64 v1, s0, s5, v7, s0
	s_delay_alu instid0(VALU_DEP_3)
	v_cvt_f16_f32_e32 v5, v5
	s_cbranch_vccnz .LBB264_655
; %bb.648:
	v_cmp_lt_i16_e32 vcc_lo, 25, v6
	s_cbranch_vccz .LBB264_656
; %bb.649:
	v_cmp_lt_i16_e32 vcc_lo, 28, v6
	s_cbranch_vccz .LBB264_657
	;; [unrolled: 3-line block ×4, first 2 shown]
; %bb.652:
	v_cmp_eq_u16_e32 vcc_lo, 46, v6
	s_mov_b32 s19, 0
	s_mov_b32 s0, -1
	s_mov_b32 s18, 0
	s_cbranch_vccz .LBB264_660
; %bb.653:
	v_cvt_f32_f16_e32 v7, v5
	v_cmp_o_f16_e32 vcc_lo, v5, v5
	s_mov_b32 s18, -1
	s_mov_b32 s0, 0
	s_delay_alu instid0(VALU_DEP_2) | instskip(NEXT) | instid1(VALU_DEP_1)
	v_bfe_u32 v8, v7, 16, 1
	v_add3_u32 v7, v7, v8, 0x7fff
	s_delay_alu instid0(VALU_DEP_1) | instskip(NEXT) | instid1(VALU_DEP_1)
	v_lshrrev_b32_e32 v7, 16, v7
	v_cndmask_b32_e32 v7, 0x7fc0, v7, vcc_lo
	global_store_b32 v[0:1], v7, off
	s_branch .LBB264_660
.LBB264_654:
	s_mov_b32 s19, 0
	s_mov_b32 s0, s14
	s_branch .LBB264_771
.LBB264_655:
	s_mov_b32 s19, -1
	s_mov_b32 s18, 0
	s_mov_b32 s0, s14
	s_branch .LBB264_729
.LBB264_656:
	s_mov_b32 s19, -1
	s_mov_b32 s18, 0
	s_mov_b32 s0, s14
	s_branch .LBB264_687
.LBB264_657:
	s_mov_b32 s19, -1
	s_mov_b32 s18, 0
	s_mov_b32 s0, s14
	s_branch .LBB264_670
.LBB264_658:
	s_mov_b32 s19, -1
	s_mov_b32 s18, 0
	s_mov_b32 s0, s14
	s_branch .LBB264_666
.LBB264_659:
	s_mov_b32 s19, -1
	s_mov_b32 s18, 0
	s_mov_b32 s0, s14
.LBB264_660:
	s_and_b32 vcc_lo, exec_lo, s19
	s_cbranch_vccz .LBB264_665
; %bb.661:
	v_cmp_eq_u16_e32 vcc_lo, 44, v6
	s_mov_b32 s0, -1
	s_cbranch_vccz .LBB264_665
; %bb.662:
	v_cvt_f32_f16_e32 v7, v5
	v_mov_b32_e32 v8, 0xff
	s_mov_b32 s18, exec_lo
	s_delay_alu instid0(VALU_DEP_2) | instskip(NEXT) | instid1(VALU_DEP_1)
	v_bfe_u32 v9, v7, 23, 8
	v_cmpx_ne_u32_e32 0xff, v9
; %bb.663:
	v_and_b32_e32 v8, 0x400000, v7
	v_and_or_b32 v9, 0x3fffff, v7, v9
	v_lshrrev_b32_e32 v7, 23, v7
	s_delay_alu instid0(VALU_DEP_3) | instskip(NEXT) | instid1(VALU_DEP_3)
	v_cmp_ne_u32_e32 vcc_lo, 0, v8
	v_cmp_ne_u32_e64 s0, 0, v9
	s_delay_alu instid0(VALU_DEP_1) | instskip(NEXT) | instid1(SALU_CYCLE_1)
	s_and_b32 s0, vcc_lo, s0
	v_cndmask_b32_e64 v8, 0, 1, s0
	s_delay_alu instid0(VALU_DEP_1)
	v_add_nc_u32_e32 v8, v7, v8
; %bb.664:
	s_or_b32 exec_lo, exec_lo, s18
	s_mov_b32 s18, -1
	s_mov_b32 s0, 0
	global_store_b8 v[0:1], v8, off
.LBB264_665:
	s_mov_b32 s19, 0
.LBB264_666:
	s_delay_alu instid0(SALU_CYCLE_1)
	s_and_b32 vcc_lo, exec_lo, s19
	s_cbranch_vccz .LBB264_669
; %bb.667:
	v_cmp_eq_u16_e32 vcc_lo, 29, v6
	s_mov_b32 s0, -1
	s_cbranch_vccz .LBB264_669
; %bb.668:
	v_cvt_f32_f16_e32 v7, v5
	v_mov_b32_e32 v8, 0
	s_mov_b32 s0, 0
	s_mov_b32 s18, -1
	s_mov_b32 s19, 0
	v_cvt_u32_f32_e32 v7, v7
	global_store_b64 v[0:1], v[7:8], off
	s_branch .LBB264_670
.LBB264_669:
	s_mov_b32 s19, 0
.LBB264_670:
	s_delay_alu instid0(SALU_CYCLE_1)
	s_and_b32 vcc_lo, exec_lo, s19
	s_cbranch_vccz .LBB264_686
; %bb.671:
	v_cmp_gt_i16_e32 vcc_lo, 27, v6
	s_mov_b32 s18, -1
	s_cbranch_vccnz .LBB264_677
; %bb.672:
	v_cmp_lt_i16_e32 vcc_lo, 27, v6
	s_cbranch_vccz .LBB264_674
; %bb.673:
	v_cvt_f32_f16_e32 v7, v5
	s_mov_b32 s18, 0
	s_delay_alu instid0(VALU_DEP_1)
	v_cvt_u32_f32_e32 v7, v7
	global_store_b32 v[0:1], v7, off
.LBB264_674:
	s_and_not1_b32 vcc_lo, exec_lo, s18
	s_cbranch_vccnz .LBB264_676
; %bb.675:
	v_cvt_u16_f16_e32 v7, v5
	global_store_b16 v[0:1], v7, off
.LBB264_676:
	s_mov_b32 s18, 0
.LBB264_677:
	s_delay_alu instid0(SALU_CYCLE_1)
	s_and_not1_b32 vcc_lo, exec_lo, s18
	s_cbranch_vccnz .LBB264_685
; %bb.678:
	v_cvt_f32_f16_e32 v7, v5
	v_mov_b32_e32 v9, 0x80
	s_mov_b32 s18, exec_lo
	s_delay_alu instid0(VALU_DEP_2) | instskip(NEXT) | instid1(VALU_DEP_1)
	v_and_b32_e32 v8, 0x7fffffff, v7
	v_cmpx_gt_u32_e32 0x43800000, v8
	s_cbranch_execz .LBB264_684
; %bb.679:
	v_cmp_lt_u32_e32 vcc_lo, 0x3bffffff, v8
	s_mov_b32 s19, 0
                                        ; implicit-def: $vgpr8
	s_and_saveexec_b32 s20, vcc_lo
	s_delay_alu instid0(SALU_CYCLE_1)
	s_xor_b32 s20, exec_lo, s20
	s_cbranch_execz .LBB264_786
; %bb.680:
	v_bfe_u32 v8, v7, 20, 1
	s_mov_b32 s19, exec_lo
	s_delay_alu instid0(VALU_DEP_1) | instskip(NEXT) | instid1(VALU_DEP_1)
	v_add3_u32 v8, v7, v8, 0x487ffff
	v_lshrrev_b32_e32 v8, 20, v8
	s_or_saveexec_b32 s20, s20
                                        ; implicit-def: $sgpr21
	s_delay_alu instid0(SALU_CYCLE_1)
	s_xor_b32 exec_lo, exec_lo, s20
	s_cbranch_execnz .LBB264_787
.LBB264_681:
	s_or_b32 exec_lo, exec_lo, s20
	v_mov_b32_e32 v9, s21
	s_and_saveexec_b32 s20, s19
.LBB264_682:
	v_lshrrev_b32_e32 v7, 24, v7
	s_delay_alu instid0(VALU_DEP_1)
	v_and_or_b32 v9, 0x80, v7, v8
.LBB264_683:
	s_or_b32 exec_lo, exec_lo, s20
.LBB264_684:
	s_delay_alu instid0(SALU_CYCLE_1)
	s_or_b32 exec_lo, exec_lo, s18
	global_store_b8 v[0:1], v9, off
.LBB264_685:
	s_mov_b32 s18, -1
.LBB264_686:
	s_mov_b32 s19, 0
.LBB264_687:
	s_delay_alu instid0(SALU_CYCLE_1)
	s_and_b32 vcc_lo, exec_lo, s19
	s_cbranch_vccz .LBB264_728
; %bb.688:
	v_cmp_lt_i16_e32 vcc_lo, 22, v6
	s_mov_b32 s19, -1
	s_cbranch_vccz .LBB264_720
; %bb.689:
	v_cmp_gt_i16_e32 vcc_lo, 24, v6
	s_mov_b32 s18, -1
	s_cbranch_vccnz .LBB264_709
; %bb.690:
	v_cmp_lt_i16_e32 vcc_lo, 24, v6
	s_cbranch_vccz .LBB264_698
; %bb.691:
	v_cvt_f32_f16_e32 v7, v5
	v_mov_b32_e32 v9, 0x80
	s_mov_b32 s18, exec_lo
	s_delay_alu instid0(VALU_DEP_2) | instskip(NEXT) | instid1(VALU_DEP_1)
	v_and_b32_e32 v8, 0x7fffffff, v7
	v_cmpx_gt_u32_e32 0x47800000, v8
	s_cbranch_execz .LBB264_697
; %bb.692:
	v_cmp_lt_u32_e32 vcc_lo, 0x37ffffff, v8
	s_mov_b32 s19, 0
                                        ; implicit-def: $vgpr8
	s_and_saveexec_b32 s20, vcc_lo
	s_delay_alu instid0(SALU_CYCLE_1)
	s_xor_b32 s20, exec_lo, s20
	s_cbranch_execz .LBB264_789
; %bb.693:
	v_bfe_u32 v8, v7, 21, 1
	s_mov_b32 s19, exec_lo
	s_delay_alu instid0(VALU_DEP_1) | instskip(NEXT) | instid1(VALU_DEP_1)
	v_add3_u32 v8, v7, v8, 0x88fffff
	v_lshrrev_b32_e32 v8, 21, v8
	s_or_saveexec_b32 s20, s20
                                        ; implicit-def: $sgpr21
	s_delay_alu instid0(SALU_CYCLE_1)
	s_xor_b32 exec_lo, exec_lo, s20
	s_cbranch_execnz .LBB264_790
.LBB264_694:
	s_or_b32 exec_lo, exec_lo, s20
	v_mov_b32_e32 v9, s21
	s_and_saveexec_b32 s20, s19
.LBB264_695:
	v_lshrrev_b32_e32 v7, 24, v7
	s_delay_alu instid0(VALU_DEP_1)
	v_and_or_b32 v9, 0x80, v7, v8
.LBB264_696:
	s_or_b32 exec_lo, exec_lo, s20
.LBB264_697:
	s_delay_alu instid0(SALU_CYCLE_1)
	s_or_b32 exec_lo, exec_lo, s18
	s_mov_b32 s18, 0
	global_store_b8 v[0:1], v9, off
.LBB264_698:
	s_and_b32 vcc_lo, exec_lo, s18
	s_cbranch_vccz .LBB264_708
; %bb.699:
	v_cvt_f32_f16_e32 v7, v5
	s_mov_b32 s18, exec_lo
                                        ; implicit-def: $vgpr8
	s_delay_alu instid0(VALU_DEP_1) | instskip(NEXT) | instid1(VALU_DEP_1)
	v_and_b32_e32 v9, 0x7fffffff, v7
	v_cmpx_gt_u32_e32 0x43f00000, v9
	s_xor_b32 s18, exec_lo, s18
	s_cbranch_execz .LBB264_705
; %bb.700:
	s_mov_b32 s19, exec_lo
                                        ; implicit-def: $vgpr8
	v_cmpx_lt_u32_e32 0x3c7fffff, v9
	s_xor_b32 s19, exec_lo, s19
; %bb.701:
	v_bfe_u32 v8, v7, 20, 1
	s_delay_alu instid0(VALU_DEP_1) | instskip(NEXT) | instid1(VALU_DEP_1)
	v_add3_u32 v8, v7, v8, 0x407ffff
	v_and_b32_e32 v9, 0xff00000, v8
	v_lshrrev_b32_e32 v8, 20, v8
	s_delay_alu instid0(VALU_DEP_2) | instskip(NEXT) | instid1(VALU_DEP_2)
	v_cmp_ne_u32_e32 vcc_lo, 0x7f00000, v9
	v_cndmask_b32_e32 v8, 0x7e, v8, vcc_lo
; %bb.702:
	s_and_not1_saveexec_b32 s19, s19
; %bb.703:
	v_add_f32_e64 v8, 0x46800000, |v7|
; %bb.704:
	s_or_b32 exec_lo, exec_lo, s19
                                        ; implicit-def: $vgpr9
.LBB264_705:
	s_and_not1_saveexec_b32 s18, s18
; %bb.706:
	v_mov_b32_e32 v8, 0x7f
	v_cmp_lt_u32_e32 vcc_lo, 0x7f800000, v9
	s_delay_alu instid0(VALU_DEP_2)
	v_cndmask_b32_e32 v8, 0x7e, v8, vcc_lo
; %bb.707:
	s_or_b32 exec_lo, exec_lo, s18
	v_lshrrev_b32_e32 v7, 24, v7
	s_delay_alu instid0(VALU_DEP_1)
	v_and_or_b32 v7, 0x80, v7, v8
	global_store_b8 v[0:1], v7, off
.LBB264_708:
	s_mov_b32 s18, 0
.LBB264_709:
	s_delay_alu instid0(SALU_CYCLE_1)
	s_and_not1_b32 vcc_lo, exec_lo, s18
	s_cbranch_vccnz .LBB264_719
; %bb.710:
	v_cvt_f32_f16_e32 v7, v5
	s_mov_b32 s18, exec_lo
                                        ; implicit-def: $vgpr8
	s_delay_alu instid0(VALU_DEP_1) | instskip(NEXT) | instid1(VALU_DEP_1)
	v_and_b32_e32 v9, 0x7fffffff, v7
	v_cmpx_gt_u32_e32 0x47800000, v9
	s_xor_b32 s18, exec_lo, s18
	s_cbranch_execz .LBB264_716
; %bb.711:
	s_mov_b32 s19, exec_lo
                                        ; implicit-def: $vgpr8
	v_cmpx_lt_u32_e32 0x387fffff, v9
	s_xor_b32 s19, exec_lo, s19
; %bb.712:
	v_bfe_u32 v8, v7, 21, 1
	s_delay_alu instid0(VALU_DEP_1) | instskip(NEXT) | instid1(VALU_DEP_1)
	v_add3_u32 v8, v7, v8, 0x80fffff
	v_lshrrev_b32_e32 v8, 21, v8
; %bb.713:
	s_and_not1_saveexec_b32 s19, s19
; %bb.714:
	v_add_f32_e64 v8, 0x43000000, |v7|
; %bb.715:
	s_or_b32 exec_lo, exec_lo, s19
                                        ; implicit-def: $vgpr9
.LBB264_716:
	s_and_not1_saveexec_b32 s18, s18
; %bb.717:
	v_mov_b32_e32 v8, 0x7f
	v_cmp_lt_u32_e32 vcc_lo, 0x7f800000, v9
	s_delay_alu instid0(VALU_DEP_2)
	v_cndmask_b32_e32 v8, 0x7c, v8, vcc_lo
; %bb.718:
	s_or_b32 exec_lo, exec_lo, s18
	v_lshrrev_b32_e32 v7, 24, v7
	s_delay_alu instid0(VALU_DEP_1)
	v_and_or_b32 v7, 0x80, v7, v8
	global_store_b8 v[0:1], v7, off
.LBB264_719:
	s_mov_b32 s19, 0
	s_mov_b32 s18, -1
.LBB264_720:
	s_and_not1_b32 vcc_lo, exec_lo, s19
	s_cbranch_vccnz .LBB264_728
; %bb.721:
	v_cmp_lt_i16_e32 vcc_lo, 14, v6
	s_mov_b32 s19, -1
	s_cbranch_vccz .LBB264_725
; %bb.722:
	v_cmp_eq_u16_e32 vcc_lo, 15, v6
	s_mov_b32 s0, -1
	s_cbranch_vccz .LBB264_724
; %bb.723:
	v_cvt_f32_f16_e32 v7, v5
	v_cmp_o_f16_e32 vcc_lo, v5, v5
	s_mov_b32 s18, -1
	s_mov_b32 s0, 0
	s_delay_alu instid0(VALU_DEP_2) | instskip(NEXT) | instid1(VALU_DEP_1)
	v_bfe_u32 v8, v7, 16, 1
	v_add3_u32 v7, v7, v8, 0x7fff
	s_delay_alu instid0(VALU_DEP_1) | instskip(NEXT) | instid1(VALU_DEP_1)
	v_lshrrev_b32_e32 v7, 16, v7
	v_cndmask_b32_e32 v7, 0x7fc0, v7, vcc_lo
	global_store_b16 v[0:1], v7, off
.LBB264_724:
	s_mov_b32 s19, 0
.LBB264_725:
	s_delay_alu instid0(SALU_CYCLE_1)
	s_and_b32 vcc_lo, exec_lo, s19
	s_cbranch_vccz .LBB264_728
; %bb.726:
	v_cmp_eq_u16_e32 vcc_lo, 11, v6
	s_mov_b32 s0, -1
	s_cbranch_vccz .LBB264_728
; %bb.727:
	v_cmp_neq_f16_e32 vcc_lo, 0, v5
	s_mov_b32 s0, 0
	s_mov_b32 s18, -1
	v_cndmask_b32_e64 v7, 0, 1, vcc_lo
	global_store_b8 v[0:1], v7, off
.LBB264_728:
	s_mov_b32 s19, 0
.LBB264_729:
	s_delay_alu instid0(SALU_CYCLE_1)
	s_and_b32 vcc_lo, exec_lo, s19
	s_cbranch_vccz .LBB264_768
; %bb.730:
	v_cmp_gt_i16_e32 vcc_lo, 5, v6
	s_mov_b32 s18, -1
	s_cbranch_vccnz .LBB264_751
; %bb.731:
	v_cmp_gt_i16_e32 vcc_lo, 8, v6
	s_cbranch_vccnz .LBB264_741
; %bb.732:
	v_cmp_gt_i16_e32 vcc_lo, 9, v6
	s_cbranch_vccnz .LBB264_738
; %bb.733:
	v_cmp_lt_i16_e32 vcc_lo, 9, v6
	s_cbranch_vccz .LBB264_735
; %bb.734:
	v_cvt_f32_f16_e32 v7, v5
	v_mov_b32_e32 v9, 0
	s_mov_b32 s18, 0
	s_delay_alu instid0(VALU_DEP_2) | instskip(NEXT) | instid1(VALU_DEP_2)
	v_cvt_f64_f32_e32 v[7:8], v7
	v_mov_b32_e32 v10, v9
	global_store_b128 v[0:1], v[7:10], off
.LBB264_735:
	s_and_not1_b32 vcc_lo, exec_lo, s18
	s_cbranch_vccnz .LBB264_737
; %bb.736:
	v_cvt_f32_f16_e32 v7, v5
	v_mov_b32_e32 v8, 0
	global_store_b64 v[0:1], v[7:8], off
.LBB264_737:
	s_mov_b32 s18, 0
.LBB264_738:
	s_delay_alu instid0(SALU_CYCLE_1)
	s_and_not1_b32 vcc_lo, exec_lo, s18
	s_cbranch_vccnz .LBB264_740
; %bb.739:
	v_and_b32_e32 v7, 0xffff, v5
	global_store_b32 v[0:1], v7, off
.LBB264_740:
	s_mov_b32 s18, 0
.LBB264_741:
	s_delay_alu instid0(SALU_CYCLE_1)
	s_and_not1_b32 vcc_lo, exec_lo, s18
	s_cbranch_vccnz .LBB264_750
; %bb.742:
	v_cmp_gt_i16_e32 vcc_lo, 6, v6
	s_mov_b32 s18, -1
	s_cbranch_vccnz .LBB264_748
; %bb.743:
	v_cmp_lt_i16_e32 vcc_lo, 6, v6
	s_cbranch_vccz .LBB264_745
; %bb.744:
	v_cvt_f32_f16_e32 v7, v5
	s_mov_b32 s18, 0
	s_delay_alu instid0(VALU_DEP_1)
	v_cvt_f64_f32_e32 v[7:8], v7
	global_store_b64 v[0:1], v[7:8], off
.LBB264_745:
	s_and_not1_b32 vcc_lo, exec_lo, s18
	s_cbranch_vccnz .LBB264_747
; %bb.746:
	v_cvt_f32_f16_e32 v7, v5
	global_store_b32 v[0:1], v7, off
.LBB264_747:
	s_mov_b32 s18, 0
.LBB264_748:
	s_delay_alu instid0(SALU_CYCLE_1)
	s_and_not1_b32 vcc_lo, exec_lo, s18
	s_cbranch_vccnz .LBB264_750
; %bb.749:
	global_store_b16 v[0:1], v5, off
.LBB264_750:
	s_mov_b32 s18, 0
.LBB264_751:
	s_delay_alu instid0(SALU_CYCLE_1)
	s_and_not1_b32 vcc_lo, exec_lo, s18
	s_cbranch_vccnz .LBB264_767
; %bb.752:
	v_cmp_gt_i16_e32 vcc_lo, 2, v6
	s_mov_b32 s18, -1
	s_cbranch_vccnz .LBB264_762
; %bb.753:
	v_cmp_gt_i16_e32 vcc_lo, 3, v6
	s_cbranch_vccnz .LBB264_759
; %bb.754:
	v_cmp_lt_i16_e32 vcc_lo, 3, v6
	s_cbranch_vccz .LBB264_756
; %bb.755:
	v_cvt_f32_f16_e32 v7, v5
	s_mov_b32 s18, 0
	s_delay_alu instid0(VALU_DEP_1) | instskip(NEXT) | instid1(VALU_DEP_1)
	v_cvt_i32_f32_e32 v7, v7
	v_ashrrev_i32_e32 v8, 31, v7
	global_store_b64 v[0:1], v[7:8], off
.LBB264_756:
	s_and_not1_b32 vcc_lo, exec_lo, s18
	s_cbranch_vccnz .LBB264_758
; %bb.757:
	v_cvt_f32_f16_e32 v7, v5
	s_delay_alu instid0(VALU_DEP_1)
	v_cvt_i32_f32_e32 v7, v7
	global_store_b32 v[0:1], v7, off
.LBB264_758:
	s_mov_b32 s18, 0
.LBB264_759:
	s_delay_alu instid0(SALU_CYCLE_1)
	s_and_not1_b32 vcc_lo, exec_lo, s18
	s_cbranch_vccnz .LBB264_761
; %bb.760:
	v_cvt_i16_f16_e32 v7, v5
	global_store_b16 v[0:1], v7, off
.LBB264_761:
	s_mov_b32 s18, 0
.LBB264_762:
	s_delay_alu instid0(SALU_CYCLE_1)
	s_and_not1_b32 vcc_lo, exec_lo, s18
	s_cbranch_vccnz .LBB264_767
; %bb.763:
	v_cmp_lt_i16_e32 vcc_lo, 0, v6
	s_mov_b32 s18, -1
	s_cbranch_vccz .LBB264_765
; %bb.764:
	v_cvt_i16_f16_e32 v6, v5
	s_mov_b32 s18, 0
	global_store_b8 v[0:1], v6, off
.LBB264_765:
	s_and_not1_b32 vcc_lo, exec_lo, s18
	s_cbranch_vccnz .LBB264_767
; %bb.766:
	v_cvt_f32_f16_e32 v5, v5
	s_delay_alu instid0(VALU_DEP_1)
	v_cvt_i32_f32_e32 v5, v5
	global_store_b8 v[0:1], v5, off
.LBB264_767:
	s_mov_b32 s18, -1
.LBB264_768:
	s_delay_alu instid0(SALU_CYCLE_1)
	s_and_not1_b32 vcc_lo, exec_lo, s18
	s_cbranch_vccnz .LBB264_770
; %bb.769:
	v_add_nc_u32_e32 v3, 0x80, v3
	s_mov_b32 s19, -1
	s_branch .LBB264_772
.LBB264_770:
	s_mov_b32 s19, 0
.LBB264_771:
                                        ; implicit-def: $vgpr3
.LBB264_772:
	s_and_not1_b32 s18, s14, exec_lo
	s_and_b32 s0, s0, exec_lo
	s_and_not1_b32 s20, s13, exec_lo
	s_and_b32 s17, s17, exec_lo
	s_or_b32 s18, s18, s0
	s_or_b32 s17, s20, s17
	s_or_not1_b32 s0, s19, exec_lo
.LBB264_773:
	s_or_b32 exec_lo, exec_lo, s16
	s_mov_b32 s19, 0
	s_mov_b32 s20, 0
	;; [unrolled: 1-line block ×3, first 2 shown]
                                        ; implicit-def: $vgpr0_vgpr1
                                        ; implicit-def: $vgpr6
	s_and_saveexec_b32 s16, s0
	s_cbranch_execz .LBB264_858
; %bb.774:
	v_cmp_gt_i32_e32 vcc_lo, s10, v3
	s_mov_b32 s0, 0
	s_mov_b32 s19, s17
                                        ; implicit-def: $vgpr0_vgpr1
                                        ; implicit-def: $vgpr6
	s_and_saveexec_b32 s10, vcc_lo
	s_cbranch_execz .LBB264_857
; %bb.775:
	v_mul_lo_u32 v0, v3, s3
	v_cmp_gt_i16_e32 vcc_lo, 11, v4
	s_delay_alu instid0(VALU_DEP_2) | instskip(SKIP_1) | instid1(VALU_DEP_1)
	v_ashrrev_i32_e32 v1, 31, v0
	v_add_co_u32 v0, s0, s6, v0
	v_add_co_ci_u32_e64 v1, s0, s7, v1, s0
	s_cbranch_vccnz .LBB264_782
; %bb.776:
	v_cmp_lt_i16_e32 vcc_lo, 25, v4
	s_mov_b32 s19, 0
	s_cbranch_vccz .LBB264_783
; %bb.777:
	v_cmp_lt_i16_e32 vcc_lo, 28, v4
	s_cbranch_vccz .LBB264_784
; %bb.778:
	v_cmp_lt_i16_e32 vcc_lo, 43, v4
	;; [unrolled: 3-line block ×3, first 2 shown]
	s_cbranch_vccz .LBB264_788
; %bb.780:
	v_cmp_eq_u16_e32 vcc_lo, 46, v4
	s_cbranch_vccz .LBB264_791
; %bb.781:
	global_load_b32 v5, v[0:1], off
	s_mov_b32 s0, 0
	s_mov_b32 s20, -1
	s_waitcnt vmcnt(0)
	v_lshlrev_b32_e32 v5, 16, v5
	s_delay_alu instid0(VALU_DEP_1)
	v_cvt_f16_f32_e32 v6, v5
	s_branch .LBB264_793
.LBB264_782:
	s_mov_b32 s22, -1
	s_mov_b32 s19, 0
	s_mov_b32 s0, s17
                                        ; implicit-def: $vgpr6
	s_branch .LBB264_856
.LBB264_783:
	s_mov_b32 s21, -1
	s_mov_b32 s0, s17
                                        ; implicit-def: $vgpr6
	s_branch .LBB264_822
.LBB264_784:
	s_mov_b32 s21, -1
	s_mov_b32 s0, s17
                                        ; implicit-def: $vgpr6
	s_branch .LBB264_803
.LBB264_785:
	s_mov_b32 s21, -1
	s_mov_b32 s0, s17
                                        ; implicit-def: $vgpr6
	s_branch .LBB264_798
.LBB264_786:
	s_or_saveexec_b32 s20, s20
                                        ; implicit-def: $sgpr21
	s_delay_alu instid0(SALU_CYCLE_1)
	s_xor_b32 exec_lo, exec_lo, s20
	s_cbranch_execz .LBB264_681
.LBB264_787:
	v_add_f32_e64 v8, 0x46000000, |v7|
	s_and_not1_b32 s19, s19, exec_lo
	s_mov_b32 s21, 0
	s_delay_alu instid0(VALU_DEP_1) | instskip(NEXT) | instid1(VALU_DEP_1)
	v_and_b32_e32 v8, 0xff, v8
	v_cmp_ne_u32_e32 vcc_lo, 0, v8
	s_and_b32 s22, vcc_lo, exec_lo
	s_delay_alu instid0(SALU_CYCLE_1)
	s_or_b32 s19, s19, s22
	s_or_b32 exec_lo, exec_lo, s20
	v_mov_b32_e32 v9, s21
	s_and_saveexec_b32 s20, s19
	s_cbranch_execnz .LBB264_682
	s_branch .LBB264_683
.LBB264_788:
	s_mov_b32 s21, -1
	s_mov_b32 s0, s17
	s_branch .LBB264_792
.LBB264_789:
	s_or_saveexec_b32 s20, s20
                                        ; implicit-def: $sgpr21
	s_delay_alu instid0(SALU_CYCLE_1)
	s_xor_b32 exec_lo, exec_lo, s20
	s_cbranch_execz .LBB264_694
.LBB264_790:
	v_add_f32_e64 v8, 0x42800000, |v7|
	s_and_not1_b32 s19, s19, exec_lo
	s_mov_b32 s21, 0
	s_delay_alu instid0(VALU_DEP_1) | instskip(NEXT) | instid1(VALU_DEP_1)
	v_and_b32_e32 v8, 0xff, v8
	v_cmp_ne_u32_e32 vcc_lo, 0, v8
	s_and_b32 s22, vcc_lo, exec_lo
	s_delay_alu instid0(SALU_CYCLE_1)
	s_or_b32 s19, s19, s22
	s_or_b32 exec_lo, exec_lo, s20
	v_mov_b32_e32 v9, s21
	s_and_saveexec_b32 s20, s19
	s_cbranch_execnz .LBB264_695
	s_branch .LBB264_696
.LBB264_791:
	s_mov_b32 s0, -1
.LBB264_792:
                                        ; implicit-def: $vgpr6
.LBB264_793:
	s_and_b32 vcc_lo, exec_lo, s21
	s_cbranch_vccz .LBB264_797
; %bb.794:
	v_cmp_eq_u16_e32 vcc_lo, 44, v4
	s_cbranch_vccz .LBB264_796
; %bb.795:
	global_load_u8 v5, v[0:1], off
	s_mov_b32 s0, 0
	s_mov_b32 s20, -1
	s_waitcnt vmcnt(0)
	v_lshlrev_b32_e32 v6, 23, v5
	v_cmp_ne_u32_e32 vcc_lo, 0xff, v5
	s_delay_alu instid0(VALU_DEP_2) | instskip(NEXT) | instid1(VALU_DEP_1)
	v_cvt_f16_f32_e32 v6, v6
	v_cndmask_b32_e32 v6, 0x7e00, v6, vcc_lo
	v_cmp_ne_u32_e32 vcc_lo, 0, v5
	s_delay_alu instid0(VALU_DEP_2)
	v_cndmask_b32_e32 v6, 0, v6, vcc_lo
	s_branch .LBB264_797
.LBB264_796:
	s_mov_b32 s0, -1
                                        ; implicit-def: $vgpr6
.LBB264_797:
	s_mov_b32 s21, 0
.LBB264_798:
	s_delay_alu instid0(SALU_CYCLE_1)
	s_and_b32 vcc_lo, exec_lo, s21
	s_cbranch_vccz .LBB264_802
; %bb.799:
	v_cmp_eq_u16_e32 vcc_lo, 29, v4
	s_cbranch_vccz .LBB264_801
; %bb.800:
	global_load_b64 v[5:6], v[0:1], off
	s_mov_b32 s0, 0
	s_mov_b32 s20, -1
	s_mov_b32 s21, 0
	s_waitcnt vmcnt(0)
	v_clz_i32_u32_e32 v7, v6
	s_delay_alu instid0(VALU_DEP_1) | instskip(NEXT) | instid1(VALU_DEP_1)
	v_min_u32_e32 v7, 32, v7
	v_lshlrev_b64 v[5:6], v7, v[5:6]
	s_delay_alu instid0(VALU_DEP_1) | instskip(NEXT) | instid1(VALU_DEP_1)
	v_min_u32_e32 v5, 1, v5
	v_or_b32_e32 v5, v6, v5
	v_sub_nc_u32_e32 v6, 32, v7
	s_delay_alu instid0(VALU_DEP_2) | instskip(NEXT) | instid1(VALU_DEP_1)
	v_cvt_f32_u32_e32 v5, v5
	v_ldexp_f32 v5, v5, v6
	s_delay_alu instid0(VALU_DEP_1)
	v_cvt_f16_f32_e32 v6, v5
	s_branch .LBB264_803
.LBB264_801:
	s_mov_b32 s0, -1
                                        ; implicit-def: $vgpr6
.LBB264_802:
	s_mov_b32 s21, 0
.LBB264_803:
	s_delay_alu instid0(SALU_CYCLE_1)
	s_and_b32 vcc_lo, exec_lo, s21
	s_cbranch_vccz .LBB264_821
; %bb.804:
	v_cmp_gt_i16_e32 vcc_lo, 27, v4
	s_cbranch_vccnz .LBB264_807
; %bb.805:
	v_cmp_lt_i16_e32 vcc_lo, 27, v4
	s_cbranch_vccz .LBB264_808
; %bb.806:
	global_load_b32 v5, v[0:1], off
	s_mov_b32 s20, 0
	s_waitcnt vmcnt(0)
	v_cvt_f32_u32_e32 v5, v5
	s_delay_alu instid0(VALU_DEP_1)
	v_cvt_f16_f32_e32 v6, v5
	s_branch .LBB264_809
.LBB264_807:
	s_mov_b32 s20, -1
                                        ; implicit-def: $vgpr6
	s_branch .LBB264_812
.LBB264_808:
	s_mov_b32 s20, -1
                                        ; implicit-def: $vgpr6
.LBB264_809:
	s_delay_alu instid0(SALU_CYCLE_1)
	s_and_not1_b32 vcc_lo, exec_lo, s20
	s_cbranch_vccnz .LBB264_811
; %bb.810:
	global_load_u16 v5, v[0:1], off
	s_waitcnt vmcnt(0)
	v_cvt_f16_u16_e32 v6, v5
.LBB264_811:
	s_mov_b32 s20, 0
.LBB264_812:
	s_delay_alu instid0(SALU_CYCLE_1)
	s_and_not1_b32 vcc_lo, exec_lo, s20
	s_cbranch_vccnz .LBB264_820
; %bb.813:
	global_load_u8 v5, v[0:1], off
	s_mov_b32 s20, 0
	s_mov_b32 s22, exec_lo
                                        ; implicit-def: $sgpr21
	s_waitcnt vmcnt(0)
	v_cmpx_lt_i16_e32 0x7f, v5
	s_xor_b32 s22, exec_lo, s22
	s_cbranch_execz .LBB264_834
; %bb.814:
	s_mov_b32 s20, -1
	s_mov_b32 s23, exec_lo
                                        ; implicit-def: $sgpr21
	v_cmpx_eq_u16_e32 0x80, v5
; %bb.815:
	s_movk_i32 s21, 0x7e00
	s_xor_b32 s20, exec_lo, -1
; %bb.816:
	s_or_b32 exec_lo, exec_lo, s23
	s_delay_alu instid0(SALU_CYCLE_1)
	s_and_b32 s20, s20, exec_lo
	s_or_saveexec_b32 s22, s22
	v_mov_b32_e32 v6, s21
	s_xor_b32 exec_lo, exec_lo, s22
	s_cbranch_execnz .LBB264_835
.LBB264_817:
	s_or_b32 exec_lo, exec_lo, s22
	s_and_saveexec_b32 s21, s20
	s_cbranch_execz .LBB264_819
.LBB264_818:
	v_and_b32_e32 v6, 0xffff, v5
	v_lshlrev_b32_e32 v5, 24, v5
	s_delay_alu instid0(VALU_DEP_2) | instskip(NEXT) | instid1(VALU_DEP_2)
	v_and_b32_e32 v7, 7, v6
	v_and_b32_e32 v5, 0x80000000, v5
	s_delay_alu instid0(VALU_DEP_2) | instskip(NEXT) | instid1(VALU_DEP_1)
	v_clz_i32_u32_e32 v8, v7
	v_min_u32_e32 v8, 32, v8
	s_delay_alu instid0(VALU_DEP_1) | instskip(SKIP_1) | instid1(VALU_DEP_2)
	v_subrev_nc_u32_e32 v9, 28, v8
	v_sub_nc_u32_e32 v8, 29, v8
	v_lshlrev_b32_e32 v9, v9, v6
	v_bfe_u32 v6, v6, 3, 4
	s_delay_alu instid0(VALU_DEP_2) | instskip(NEXT) | instid1(VALU_DEP_2)
	v_and_b32_e32 v9, 7, v9
	v_cmp_eq_u32_e32 vcc_lo, 0, v6
	s_delay_alu instid0(VALU_DEP_2) | instskip(NEXT) | instid1(VALU_DEP_1)
	v_dual_cndmask_b32 v6, v6, v8 :: v_dual_cndmask_b32 v7, v7, v9
	v_lshl_add_u32 v6, v6, 23, 0x3b800000
	s_delay_alu instid0(VALU_DEP_2) | instskip(NEXT) | instid1(VALU_DEP_1)
	v_lshlrev_b32_e32 v7, 20, v7
	v_or3_b32 v5, v5, v6, v7
	s_delay_alu instid0(VALU_DEP_1)
	v_cvt_f16_f32_e32 v6, v5
.LBB264_819:
	s_or_b32 exec_lo, exec_lo, s21
.LBB264_820:
	s_mov_b32 s20, -1
.LBB264_821:
	s_mov_b32 s21, 0
.LBB264_822:
	s_delay_alu instid0(SALU_CYCLE_1)
	s_and_b32 vcc_lo, exec_lo, s21
	s_cbranch_vccz .LBB264_855
; %bb.823:
	v_cmp_lt_i16_e32 vcc_lo, 22, v4
	s_cbranch_vccz .LBB264_833
; %bb.824:
	v_cmp_gt_i16_e32 vcc_lo, 24, v4
	s_cbranch_vccnz .LBB264_836
; %bb.825:
	v_cmp_lt_i16_e32 vcc_lo, 24, v4
	s_cbranch_vccz .LBB264_837
; %bb.826:
	global_load_u8 v5, v[0:1], off
	s_mov_b32 s21, exec_lo
                                        ; implicit-def: $sgpr20
	s_waitcnt vmcnt(0)
	v_cmpx_lt_i16_e32 0x7f, v5
	s_xor_b32 s21, exec_lo, s21
	s_cbranch_execz .LBB264_849
; %bb.827:
	s_mov_b32 s19, -1
	s_mov_b32 s22, exec_lo
                                        ; implicit-def: $sgpr20
	v_cmpx_eq_u16_e32 0x80, v5
; %bb.828:
	s_movk_i32 s20, 0x7e00
	s_xor_b32 s19, exec_lo, -1
; %bb.829:
	s_or_b32 exec_lo, exec_lo, s22
	s_delay_alu instid0(SALU_CYCLE_1)
	s_and_b32 s19, s19, exec_lo
	s_or_saveexec_b32 s21, s21
	v_mov_b32_e32 v6, s20
	s_xor_b32 exec_lo, exec_lo, s21
	s_cbranch_execnz .LBB264_850
.LBB264_830:
	s_or_b32 exec_lo, exec_lo, s21
	s_and_saveexec_b32 s20, s19
	s_cbranch_execz .LBB264_832
.LBB264_831:
	v_and_b32_e32 v6, 0xffff, v5
	v_lshlrev_b32_e32 v5, 24, v5
	s_delay_alu instid0(VALU_DEP_2) | instskip(NEXT) | instid1(VALU_DEP_2)
	v_and_b32_e32 v7, 3, v6
	v_and_b32_e32 v5, 0x80000000, v5
	s_delay_alu instid0(VALU_DEP_2) | instskip(NEXT) | instid1(VALU_DEP_1)
	v_clz_i32_u32_e32 v8, v7
	v_min_u32_e32 v8, 32, v8
	s_delay_alu instid0(VALU_DEP_1) | instskip(SKIP_1) | instid1(VALU_DEP_2)
	v_subrev_nc_u32_e32 v9, 29, v8
	v_sub_nc_u32_e32 v8, 30, v8
	v_lshlrev_b32_e32 v9, v9, v6
	v_bfe_u32 v6, v6, 2, 5
	s_delay_alu instid0(VALU_DEP_2) | instskip(NEXT) | instid1(VALU_DEP_2)
	v_and_b32_e32 v9, 3, v9
	v_cmp_eq_u32_e32 vcc_lo, 0, v6
	s_delay_alu instid0(VALU_DEP_2) | instskip(NEXT) | instid1(VALU_DEP_1)
	v_dual_cndmask_b32 v6, v6, v8 :: v_dual_cndmask_b32 v7, v7, v9
	v_lshl_add_u32 v6, v6, 23, 0x37800000
	s_delay_alu instid0(VALU_DEP_2) | instskip(NEXT) | instid1(VALU_DEP_1)
	v_lshlrev_b32_e32 v7, 21, v7
	v_or3_b32 v5, v5, v6, v7
	s_delay_alu instid0(VALU_DEP_1)
	v_cvt_f16_f32_e32 v6, v5
.LBB264_832:
	s_or_b32 exec_lo, exec_lo, s20
	s_mov_b32 s19, 0
	s_branch .LBB264_838
.LBB264_833:
	s_mov_b32 s19, -1
                                        ; implicit-def: $vgpr6
	s_branch .LBB264_844
.LBB264_834:
	s_or_saveexec_b32 s22, s22
	v_mov_b32_e32 v6, s21
	s_xor_b32 exec_lo, exec_lo, s22
	s_cbranch_execz .LBB264_817
.LBB264_835:
	v_cmp_ne_u16_e32 vcc_lo, 0, v5
	v_mov_b32_e32 v6, v5
	s_and_not1_b32 s20, s20, exec_lo
	s_and_b32 s21, vcc_lo, exec_lo
	s_delay_alu instid0(SALU_CYCLE_1)
	s_or_b32 s20, s20, s21
	s_or_b32 exec_lo, exec_lo, s22
	s_and_saveexec_b32 s21, s20
	s_cbranch_execnz .LBB264_818
	s_branch .LBB264_819
.LBB264_836:
	s_mov_b32 s19, -1
                                        ; implicit-def: $vgpr6
	s_branch .LBB264_841
.LBB264_837:
	s_mov_b32 s19, -1
                                        ; implicit-def: $vgpr6
.LBB264_838:
	s_delay_alu instid0(SALU_CYCLE_1)
	s_and_b32 vcc_lo, exec_lo, s19
	s_cbranch_vccz .LBB264_840
; %bb.839:
	global_load_u8 v5, v[0:1], off
	s_waitcnt vmcnt(0)
	v_lshlrev_b32_e32 v5, 24, v5
	s_delay_alu instid0(VALU_DEP_1) | instskip(NEXT) | instid1(VALU_DEP_1)
	v_and_b32_e32 v6, 0x7f000000, v5
	v_clz_i32_u32_e32 v7, v6
	v_add_nc_u32_e32 v9, 0x1000000, v6
	v_cmp_ne_u32_e32 vcc_lo, 0, v6
	s_delay_alu instid0(VALU_DEP_3) | instskip(NEXT) | instid1(VALU_DEP_1)
	v_min_u32_e32 v7, 32, v7
	v_sub_nc_u32_e64 v7, v7, 4 clamp
	s_delay_alu instid0(VALU_DEP_1) | instskip(SKIP_1) | instid1(VALU_DEP_2)
	v_lshlrev_b32_e32 v8, v7, v6
	v_lshlrev_b32_e32 v7, 23, v7
	v_lshrrev_b32_e32 v8, 4, v8
	s_delay_alu instid0(VALU_DEP_1) | instskip(SKIP_1) | instid1(VALU_DEP_2)
	v_sub_nc_u32_e32 v7, v8, v7
	v_ashrrev_i32_e32 v8, 8, v9
	v_add_nc_u32_e32 v7, 0x3c000000, v7
	s_delay_alu instid0(VALU_DEP_1) | instskip(NEXT) | instid1(VALU_DEP_1)
	v_and_or_b32 v7, 0x7f800000, v8, v7
	v_cndmask_b32_e32 v6, 0, v7, vcc_lo
	s_delay_alu instid0(VALU_DEP_1) | instskip(NEXT) | instid1(VALU_DEP_1)
	v_and_or_b32 v5, 0x80000000, v5, v6
	v_cvt_f16_f32_e32 v6, v5
.LBB264_840:
	s_mov_b32 s19, 0
.LBB264_841:
	s_delay_alu instid0(SALU_CYCLE_1)
	s_and_not1_b32 vcc_lo, exec_lo, s19
	s_cbranch_vccnz .LBB264_843
; %bb.842:
	global_load_u8 v5, v[0:1], off
	s_waitcnt vmcnt(0)
	v_lshlrev_b32_e32 v6, 25, v5
	v_lshlrev_b16 v5, 8, v5
	s_delay_alu instid0(VALU_DEP_2) | instskip(NEXT) | instid1(VALU_DEP_2)
	v_lshrrev_b32_e32 v7, 4, v6
	v_and_or_b32 v8, 0x7f00, v5, 0.5
	v_bfe_i32 v5, v5, 0, 16
	s_delay_alu instid0(VALU_DEP_3) | instskip(NEXT) | instid1(VALU_DEP_1)
	v_or_b32_e32 v7, 0x70000000, v7
	v_dual_add_f32 v8, -0.5, v8 :: v_dual_mul_f32 v7, 0x7800000, v7
	v_cmp_gt_u32_e32 vcc_lo, 0x8000000, v6
	s_delay_alu instid0(VALU_DEP_2) | instskip(NEXT) | instid1(VALU_DEP_1)
	v_cndmask_b32_e32 v6, v7, v8, vcc_lo
	v_and_or_b32 v5, 0x80000000, v5, v6
	s_delay_alu instid0(VALU_DEP_1)
	v_cvt_f16_f32_e32 v6, v5
.LBB264_843:
	s_mov_b32 s19, 0
	s_mov_b32 s20, -1
.LBB264_844:
	s_and_not1_b32 vcc_lo, exec_lo, s19
	s_mov_b32 s19, 0
	s_cbranch_vccnz .LBB264_855
; %bb.845:
	v_cmp_lt_i16_e32 vcc_lo, 14, v4
	s_cbranch_vccz .LBB264_848
; %bb.846:
	v_cmp_eq_u16_e32 vcc_lo, 15, v4
	s_cbranch_vccz .LBB264_851
; %bb.847:
	global_load_u16 v5, v[0:1], off
	s_mov_b32 s0, 0
	s_mov_b32 s20, -1
	s_waitcnt vmcnt(0)
	v_lshlrev_b32_e32 v5, 16, v5
	s_delay_alu instid0(VALU_DEP_1)
	v_cvt_f16_f32_e32 v6, v5
	s_branch .LBB264_853
.LBB264_848:
	s_mov_b32 s19, -1
	s_branch .LBB264_852
.LBB264_849:
	s_or_saveexec_b32 s21, s21
	v_mov_b32_e32 v6, s20
	s_xor_b32 exec_lo, exec_lo, s21
	s_cbranch_execz .LBB264_830
.LBB264_850:
	v_cmp_ne_u16_e32 vcc_lo, 0, v5
	v_mov_b32_e32 v6, v5
	s_and_not1_b32 s19, s19, exec_lo
	s_and_b32 s20, vcc_lo, exec_lo
	s_delay_alu instid0(SALU_CYCLE_1)
	s_or_b32 s19, s19, s20
	s_or_b32 exec_lo, exec_lo, s21
	s_and_saveexec_b32 s20, s19
	s_cbranch_execnz .LBB264_831
	s_branch .LBB264_832
.LBB264_851:
	s_mov_b32 s0, -1
.LBB264_852:
                                        ; implicit-def: $vgpr6
.LBB264_853:
	s_and_b32 vcc_lo, exec_lo, s19
	s_mov_b32 s19, 0
	s_cbranch_vccz .LBB264_855
; %bb.854:
	v_cmp_ne_u16_e32 vcc_lo, 11, v4
	s_and_not1_b32 s0, s0, exec_lo
	s_mov_b32 s19, -1
                                        ; implicit-def: $vgpr6
	s_and_b32 s21, vcc_lo, exec_lo
	s_delay_alu instid0(SALU_CYCLE_1)
	s_or_b32 s0, s0, s21
.LBB264_855:
	s_mov_b32 s22, 0
.LBB264_856:
	s_and_b32 s21, s20, exec_lo
	s_and_b32 s20, s22, exec_lo
	s_and_not1_b32 s22, s17, exec_lo
	s_and_b32 s23, s0, exec_lo
	s_and_b32 s0, s19, exec_lo
	s_or_b32 s19, s22, s23
.LBB264_857:
	s_or_b32 exec_lo, exec_lo, s10
	s_delay_alu instid0(SALU_CYCLE_1)
	s_and_not1_b32 s10, s17, exec_lo
	s_and_b32 s17, s19, exec_lo
	s_and_b32 s21, s21, exec_lo
	;; [unrolled: 1-line block ×4, first 2 shown]
	s_or_b32 s17, s10, s17
.LBB264_858:
	s_or_b32 exec_lo, exec_lo, s16
	s_delay_alu instid0(SALU_CYCLE_1)
	s_and_not1_b32 s0, s14, exec_lo
	s_and_b32 s10, s18, exec_lo
	s_and_b32 s18, s20, exec_lo
	s_or_b32 s14, s0, s10
	s_and_not1_b32 s10, s13, exec_lo
	s_and_b32 s13, s17, exec_lo
	s_and_b32 s0, s21, exec_lo
	;; [unrolled: 1-line block ×3, first 2 shown]
	s_or_b32 s13, s10, s13
.LBB264_859:
	s_or_b32 exec_lo, exec_lo, s15
	s_delay_alu instid0(SALU_CYCLE_1)
	s_and_not1_b32 s9, s9, exec_lo
	s_and_b32 s10, s14, exec_lo
	s_and_b32 s0, s0, exec_lo
	s_or_b32 s9, s9, s10
	s_and_not1_b32 s10, s11, exec_lo
	s_and_b32 s11, s13, exec_lo
	s_and_b32 s14, s18, exec_lo
	;; [unrolled: 1-line block ×3, first 2 shown]
	s_or_b32 s11, s10, s11
.LBB264_860:
	s_or_b32 exec_lo, exec_lo, s12
	s_mov_b32 s10, 0
	s_and_saveexec_b32 s12, s11
	s_cbranch_execnz .LBB264_872
; %bb.861:
	s_or_b32 exec_lo, exec_lo, s12
	s_and_saveexec_b32 s11, s13
	s_delay_alu instid0(SALU_CYCLE_1)
	s_xor_b32 s11, exec_lo, s11
	s_cbranch_execz .LBB264_863
.LBB264_862:
	global_load_u8 v5, v[0:1], off
	s_or_b32 s0, s0, exec_lo
	s_waitcnt vmcnt(0)
	v_cmp_ne_u16_e32 vcc_lo, 0, v5
	v_cndmask_b32_e64 v6, 0, 0x3c00, vcc_lo
.LBB264_863:
	s_or_b32 exec_lo, exec_lo, s11
	s_and_saveexec_b32 s11, s14
	s_cbranch_execz .LBB264_911
; %bb.864:
	v_cmp_gt_i16_e32 vcc_lo, 5, v4
	s_cbranch_vccnz .LBB264_869
; %bb.865:
	v_cmp_gt_i16_e32 vcc_lo, 8, v4
	s_cbranch_vccnz .LBB264_870
	;; [unrolled: 3-line block ×3, first 2 shown]
; %bb.867:
	v_cmp_lt_i16_e32 vcc_lo, 9, v4
	s_cbranch_vccz .LBB264_874
; %bb.868:
	global_load_b64 v[5:6], v[0:1], off
	s_mov_b32 s12, 0
	s_waitcnt vmcnt(0)
	v_cvt_f32_f64_e32 v5, v[5:6]
	s_delay_alu instid0(VALU_DEP_1)
	v_cvt_f16_f32_e32 v6, v5
	s_branch .LBB264_875
.LBB264_869:
                                        ; implicit-def: $vgpr6
	s_branch .LBB264_892
.LBB264_870:
                                        ; implicit-def: $vgpr6
	s_branch .LBB264_881
.LBB264_871:
	s_mov_b32 s12, -1
                                        ; implicit-def: $vgpr6
	s_branch .LBB264_878
.LBB264_872:
	s_cbranch_execnz .LBB264_920
; %bb.873:
	s_mov_b32 s10, exec_lo
	s_and_not1_b32 s13, s13, exec_lo
                                        ; implicit-def: $vgpr6
	s_or_b32 exec_lo, exec_lo, s12
	s_and_saveexec_b32 s11, s13
	s_delay_alu instid0(SALU_CYCLE_1)
	s_xor_b32 s11, exec_lo, s11
	s_cbranch_execnz .LBB264_862
	s_branch .LBB264_863
.LBB264_874:
	s_mov_b32 s12, -1
                                        ; implicit-def: $vgpr6
.LBB264_875:
	s_delay_alu instid0(SALU_CYCLE_1)
	s_and_not1_b32 vcc_lo, exec_lo, s12
	s_cbranch_vccnz .LBB264_877
; %bb.876:
	global_load_b32 v5, v[0:1], off
	s_waitcnt vmcnt(0)
	v_cvt_f16_f32_e32 v6, v5
.LBB264_877:
	s_mov_b32 s12, 0
.LBB264_878:
	s_delay_alu instid0(SALU_CYCLE_1)
	s_and_not1_b32 vcc_lo, exec_lo, s12
	s_cbranch_vccnz .LBB264_880
; %bb.879:
	global_load_b32 v6, v[0:1], off
.LBB264_880:
	s_cbranch_execnz .LBB264_891
.LBB264_881:
	v_cmp_gt_i16_e32 vcc_lo, 6, v4
	s_cbranch_vccnz .LBB264_884
; %bb.882:
	v_cmp_lt_i16_e32 vcc_lo, 6, v4
	s_cbranch_vccz .LBB264_885
; %bb.883:
	global_load_b64 v[5:6], v[0:1], off
	s_mov_b32 s12, 0
	s_waitcnt vmcnt(0)
	v_cvt_f32_f64_e32 v5, v[5:6]
	s_delay_alu instid0(VALU_DEP_1)
	v_cvt_f16_f32_e32 v6, v5
	s_branch .LBB264_886
.LBB264_884:
	s_mov_b32 s12, -1
                                        ; implicit-def: $vgpr6
	s_branch .LBB264_889
.LBB264_885:
	s_mov_b32 s12, -1
                                        ; implicit-def: $vgpr6
.LBB264_886:
	s_delay_alu instid0(SALU_CYCLE_1)
	s_and_not1_b32 vcc_lo, exec_lo, s12
	s_cbranch_vccnz .LBB264_888
; %bb.887:
	global_load_b32 v5, v[0:1], off
	s_waitcnt vmcnt(0)
	v_cvt_f16_f32_e32 v6, v5
.LBB264_888:
	s_mov_b32 s12, 0
.LBB264_889:
	s_delay_alu instid0(SALU_CYCLE_1)
	s_and_not1_b32 vcc_lo, exec_lo, s12
	s_cbranch_vccnz .LBB264_891
; %bb.890:
	global_load_u16 v6, v[0:1], off
.LBB264_891:
	s_cbranch_execnz .LBB264_910
.LBB264_892:
	v_cmp_gt_i16_e32 vcc_lo, 2, v4
	s_cbranch_vccnz .LBB264_896
; %bb.893:
	v_cmp_gt_i16_e32 vcc_lo, 3, v4
	s_cbranch_vccnz .LBB264_897
; %bb.894:
	v_cmp_lt_i16_e32 vcc_lo, 3, v4
	s_cbranch_vccz .LBB264_898
; %bb.895:
	global_load_b64 v[5:6], v[0:1], off
	s_mov_b32 s12, 0
	s_waitcnt vmcnt(0)
	v_xor_b32_e32 v7, v5, v6
	v_cls_i32_e32 v8, v6
	s_delay_alu instid0(VALU_DEP_2) | instskip(NEXT) | instid1(VALU_DEP_2)
	v_ashrrev_i32_e32 v7, 31, v7
	v_add_nc_u32_e32 v8, -1, v8
	s_delay_alu instid0(VALU_DEP_2) | instskip(NEXT) | instid1(VALU_DEP_1)
	v_add_nc_u32_e32 v7, 32, v7
	v_min_u32_e32 v7, v8, v7
	s_delay_alu instid0(VALU_DEP_1) | instskip(NEXT) | instid1(VALU_DEP_1)
	v_lshlrev_b64 v[5:6], v7, v[5:6]
	v_min_u32_e32 v5, 1, v5
	s_delay_alu instid0(VALU_DEP_1) | instskip(SKIP_1) | instid1(VALU_DEP_2)
	v_or_b32_e32 v5, v6, v5
	v_sub_nc_u32_e32 v6, 32, v7
	v_cvt_f32_i32_e32 v5, v5
	s_delay_alu instid0(VALU_DEP_1) | instskip(NEXT) | instid1(VALU_DEP_1)
	v_ldexp_f32 v5, v5, v6
	v_cvt_f16_f32_e32 v6, v5
	s_branch .LBB264_899
.LBB264_896:
                                        ; implicit-def: $vgpr6
	s_branch .LBB264_905
.LBB264_897:
	s_mov_b32 s12, -1
                                        ; implicit-def: $vgpr6
	s_branch .LBB264_902
.LBB264_898:
	s_mov_b32 s12, -1
                                        ; implicit-def: $vgpr6
.LBB264_899:
	s_delay_alu instid0(SALU_CYCLE_1)
	s_and_not1_b32 vcc_lo, exec_lo, s12
	s_cbranch_vccnz .LBB264_901
; %bb.900:
	global_load_b32 v5, v[0:1], off
	s_waitcnt vmcnt(0)
	v_cvt_f32_i32_e32 v5, v5
	s_delay_alu instid0(VALU_DEP_1)
	v_cvt_f16_f32_e32 v6, v5
.LBB264_901:
	s_mov_b32 s12, 0
.LBB264_902:
	s_delay_alu instid0(SALU_CYCLE_1)
	s_and_not1_b32 vcc_lo, exec_lo, s12
	s_cbranch_vccnz .LBB264_904
; %bb.903:
	global_load_u16 v5, v[0:1], off
	s_waitcnt vmcnt(0)
	v_cvt_f16_i16_e32 v6, v5
.LBB264_904:
	s_cbranch_execnz .LBB264_910
.LBB264_905:
	v_cmp_lt_i16_e32 vcc_lo, 0, v4
	s_mov_b32 s12, 0
	s_cbranch_vccz .LBB264_907
; %bb.906:
	global_load_i8 v4, v[0:1], off
	s_waitcnt vmcnt(0)
	v_cvt_f16_i16_e32 v6, v4
	s_branch .LBB264_908
.LBB264_907:
	s_mov_b32 s12, -1
                                        ; implicit-def: $vgpr6
.LBB264_908:
	s_delay_alu instid0(SALU_CYCLE_1)
	s_and_not1_b32 vcc_lo, exec_lo, s12
	s_cbranch_vccnz .LBB264_910
; %bb.909:
	global_load_u8 v0, v[0:1], off
	s_waitcnt vmcnt(0)
	v_cvt_f16_u16_e32 v6, v0
.LBB264_910:
	s_or_b32 s0, s0, exec_lo
.LBB264_911:
	s_or_b32 exec_lo, exec_lo, s11
	s_mov_b32 s13, 0
	s_mov_b32 s12, 0
                                        ; implicit-def: $vgpr5
                                        ; implicit-def: $vgpr0_vgpr1
                                        ; implicit-def: $vgpr4
	s_and_saveexec_b32 s11, s0
	s_cbranch_execz .LBB264_991
; %bb.912:
	s_waitcnt vmcnt(0)
	v_cvt_f32_f16_e32 v0, v6
	s_delay_alu instid0(VALU_DEP_1) | instskip(SKIP_1) | instid1(VALU_DEP_2)
	v_mul_f32_e32 v1, 0x4f800000, v0
	v_cmp_gt_f32_e32 vcc_lo, 0xf800000, v0
	v_cndmask_b32_e32 v0, v0, v1, vcc_lo
	s_delay_alu instid0(VALU_DEP_1) | instskip(SKIP_3) | instid1(VALU_DEP_1)
	v_rsq_f32_e32 v1, v0
	s_waitcnt_depctr 0xfff
	v_mul_f32_e32 v4, v0, v1
	v_mul_f32_e32 v1, 0.5, v1
	v_fma_f32 v5, -v1, v4, 0.5
	s_delay_alu instid0(VALU_DEP_1) | instskip(SKIP_1) | instid1(VALU_DEP_2)
	v_fmac_f32_e32 v4, v4, v5
	v_fmac_f32_e32 v1, v1, v5
	v_fma_f32 v5, -v4, v4, v0
	s_delay_alu instid0(VALU_DEP_1) | instskip(SKIP_2) | instid1(VALU_DEP_3)
	v_fmac_f32_e32 v4, v5, v1
	v_mul_lo_u32 v1, v3, s2
	v_and_b32_e32 v5, 0xff, v2
	v_mul_f32_e32 v3, 0x37800000, v4
	v_cmp_class_f32_e64 s0, v0, 0x260
	s_delay_alu instid0(VALU_DEP_2) | instskip(SKIP_2) | instid1(VALU_DEP_3)
	v_cndmask_b32_e32 v2, v4, v3, vcc_lo
	v_ashrrev_i32_e32 v3, 31, v1
	v_cmp_gt_i16_e32 vcc_lo, 11, v5
	v_cndmask_b32_e64 v2, v2, v0, s0
	v_add_co_u32 v0, s0, s4, v1
	s_delay_alu instid0(VALU_DEP_1) | instskip(NEXT) | instid1(VALU_DEP_3)
	v_add_co_ci_u32_e64 v1, s0, s5, v3, s0
	v_cvt_f16_f32_e32 v4, v2
	s_cbranch_vccnz .LBB264_919
; %bb.913:
	v_cmp_lt_i16_e32 vcc_lo, 25, v5
	s_mov_b32 s12, -1
	s_mov_b32 s0, s9
	s_cbranch_vccz .LBB264_949
; %bb.914:
	v_cmp_lt_i16_e32 vcc_lo, 28, v5
	s_mov_b32 s0, s9
	s_cbranch_vccz .LBB264_933
; %bb.915:
	v_cmp_lt_i16_e32 vcc_lo, 43, v5
	;; [unrolled: 4-line block ×3, first 2 shown]
	s_mov_b32 s0, s9
	s_cbranch_vccz .LBB264_923
; %bb.917:
	v_cmp_eq_u16_e32 vcc_lo, 46, v5
	s_mov_b32 s0, -1
	s_cbranch_vccz .LBB264_922
; %bb.918:
	v_cvt_f32_f16_e32 v2, v4
	v_cmp_o_f16_e32 vcc_lo, v4, v4
	s_mov_b32 s0, 0
	s_mov_b32 s12, 0
	s_delay_alu instid0(VALU_DEP_2) | instskip(NEXT) | instid1(VALU_DEP_1)
	v_bfe_u32 v3, v2, 16, 1
	v_add3_u32 v2, v2, v3, 0x7fff
	s_delay_alu instid0(VALU_DEP_1) | instskip(NEXT) | instid1(VALU_DEP_1)
	v_lshrrev_b32_e32 v2, 16, v2
	v_cndmask_b32_e32 v2, 0x7fc0, v2, vcc_lo
	global_store_b32 v[0:1], v2, off
	s_branch .LBB264_923
.LBB264_919:
	s_mov_b32 s12, -1
	s_mov_b32 s0, s9
	s_branch .LBB264_990
.LBB264_920:
	s_trap 2
	s_sendmsg_rtn_b32 s0, sendmsg(MSG_RTN_GET_DOORBELL)
	s_mov_b32 ttmp2, m0
	s_waitcnt lgkmcnt(0)
	s_and_b32 s0, s0, 0x3ff
	s_delay_alu instid0(SALU_CYCLE_1) | instskip(NEXT) | instid1(SALU_CYCLE_1)
	s_bitset1_b32 s0, 10
	s_mov_b32 m0, s0
	s_sendmsg sendmsg(MSG_INTERRUPT)
	s_mov_b32 m0, ttmp2
.LBB264_921:                            ; =>This Inner Loop Header: Depth=1
	s_sethalt 5
	s_branch .LBB264_921
.LBB264_922:
	s_mov_b32 s12, 0
.LBB264_923:
	s_delay_alu instid0(SALU_CYCLE_1)
	s_and_b32 vcc_lo, exec_lo, s12
	s_cbranch_vccz .LBB264_928
; %bb.924:
	v_cmp_eq_u16_e32 vcc_lo, 44, v5
	s_mov_b32 s0, -1
	s_cbranch_vccz .LBB264_928
; %bb.925:
	v_cvt_f32_f16_e32 v2, v4
	v_mov_b32_e32 v3, 0xff
	s_mov_b32 s12, exec_lo
	s_delay_alu instid0(VALU_DEP_2) | instskip(NEXT) | instid1(VALU_DEP_1)
	v_bfe_u32 v6, v2, 23, 8
	v_cmpx_ne_u32_e32 0xff, v6
; %bb.926:
	v_and_b32_e32 v3, 0x400000, v2
	v_and_or_b32 v6, 0x3fffff, v2, v6
	v_lshrrev_b32_e32 v2, 23, v2
	s_delay_alu instid0(VALU_DEP_3) | instskip(NEXT) | instid1(VALU_DEP_3)
	v_cmp_ne_u32_e32 vcc_lo, 0, v3
	v_cmp_ne_u32_e64 s0, 0, v6
	s_delay_alu instid0(VALU_DEP_1) | instskip(NEXT) | instid1(SALU_CYCLE_1)
	s_and_b32 s0, vcc_lo, s0
	v_cndmask_b32_e64 v3, 0, 1, s0
	s_delay_alu instid0(VALU_DEP_1)
	v_add_nc_u32_e32 v3, v2, v3
; %bb.927:
	s_or_b32 exec_lo, exec_lo, s12
	s_mov_b32 s0, 0
	global_store_b8 v[0:1], v3, off
.LBB264_928:
	s_mov_b32 s12, 0
.LBB264_929:
	s_delay_alu instid0(SALU_CYCLE_1)
	s_and_b32 vcc_lo, exec_lo, s12
	s_cbranch_vccz .LBB264_932
; %bb.930:
	v_cmp_eq_u16_e32 vcc_lo, 29, v5
	s_mov_b32 s0, -1
	s_cbranch_vccz .LBB264_932
; %bb.931:
	v_cvt_f32_f16_e32 v2, v4
	v_mov_b32_e32 v3, 0
	s_mov_b32 s0, 0
	s_mov_b32 s12, 0
	s_delay_alu instid0(VALU_DEP_2)
	v_cvt_u32_f32_e32 v2, v2
	global_store_b64 v[0:1], v[2:3], off
	s_branch .LBB264_933
.LBB264_932:
	s_mov_b32 s12, 0
.LBB264_933:
	s_delay_alu instid0(SALU_CYCLE_1)
	s_and_b32 vcc_lo, exec_lo, s12
	s_cbranch_vccz .LBB264_948
; %bb.934:
	v_cmp_gt_i16_e32 vcc_lo, 27, v5
	s_mov_b32 s12, -1
	s_cbranch_vccnz .LBB264_940
; %bb.935:
	v_cmp_lt_i16_e32 vcc_lo, 27, v5
	s_cbranch_vccz .LBB264_937
; %bb.936:
	v_cvt_f32_f16_e32 v2, v4
	s_mov_b32 s12, 0
	s_delay_alu instid0(VALU_DEP_1)
	v_cvt_u32_f32_e32 v2, v2
	global_store_b32 v[0:1], v2, off
.LBB264_937:
	s_and_not1_b32 vcc_lo, exec_lo, s12
	s_cbranch_vccnz .LBB264_939
; %bb.938:
	v_cvt_u16_f16_e32 v2, v4
	global_store_b16 v[0:1], v2, off
.LBB264_939:
	s_mov_b32 s12, 0
.LBB264_940:
	s_delay_alu instid0(SALU_CYCLE_1)
	s_and_not1_b32 vcc_lo, exec_lo, s12
	s_cbranch_vccnz .LBB264_948
; %bb.941:
	v_cvt_f32_f16_e32 v2, v4
	v_mov_b32_e32 v6, 0x80
	s_mov_b32 s12, exec_lo
	s_delay_alu instid0(VALU_DEP_2) | instskip(NEXT) | instid1(VALU_DEP_1)
	v_and_b32_e32 v3, 0x7fffffff, v2
	v_cmpx_gt_u32_e32 0x43800000, v3
	s_cbranch_execz .LBB264_947
; %bb.942:
	v_cmp_lt_u32_e32 vcc_lo, 0x3bffffff, v3
                                        ; implicit-def: $vgpr3
	s_and_saveexec_b32 s14, vcc_lo
	s_delay_alu instid0(SALU_CYCLE_1)
	s_xor_b32 s14, exec_lo, s14
	s_cbranch_execz .LBB264_1182
; %bb.943:
	v_bfe_u32 v3, v2, 20, 1
	s_mov_b32 s13, exec_lo
	s_delay_alu instid0(VALU_DEP_1) | instskip(NEXT) | instid1(VALU_DEP_1)
	v_add3_u32 v3, v2, v3, 0x487ffff
	v_lshrrev_b32_e32 v3, 20, v3
	s_or_saveexec_b32 s14, s14
                                        ; implicit-def: $sgpr15
	s_delay_alu instid0(SALU_CYCLE_1)
	s_xor_b32 exec_lo, exec_lo, s14
	s_cbranch_execnz .LBB264_1183
.LBB264_944:
	s_or_b32 exec_lo, exec_lo, s14
	v_mov_b32_e32 v6, s15
	s_and_saveexec_b32 s14, s13
.LBB264_945:
	v_lshrrev_b32_e32 v2, 24, v2
	s_delay_alu instid0(VALU_DEP_1)
	v_and_or_b32 v6, 0x80, v2, v3
.LBB264_946:
	s_or_b32 exec_lo, exec_lo, s14
.LBB264_947:
	s_delay_alu instid0(SALU_CYCLE_1)
	s_or_b32 exec_lo, exec_lo, s12
	global_store_b8 v[0:1], v6, off
.LBB264_948:
	s_mov_b32 s12, 0
.LBB264_949:
	s_delay_alu instid0(SALU_CYCLE_1)
	s_and_b32 vcc_lo, exec_lo, s12
	s_mov_b32 s12, 0
	s_cbranch_vccz .LBB264_989
; %bb.950:
	v_cmp_lt_i16_e32 vcc_lo, 22, v5
	s_mov_b32 s13, -1
	s_cbranch_vccz .LBB264_982
; %bb.951:
	v_cmp_gt_i16_e32 vcc_lo, 24, v5
	s_cbranch_vccnz .LBB264_971
; %bb.952:
	v_cmp_lt_i16_e32 vcc_lo, 24, v5
	s_cbranch_vccz .LBB264_960
; %bb.953:
	v_cvt_f32_f16_e32 v2, v4
	v_mov_b32_e32 v6, 0x80
	s_mov_b32 s13, exec_lo
	s_delay_alu instid0(VALU_DEP_2) | instskip(NEXT) | instid1(VALU_DEP_1)
	v_and_b32_e32 v3, 0x7fffffff, v2
	v_cmpx_gt_u32_e32 0x47800000, v3
	s_cbranch_execz .LBB264_959
; %bb.954:
	v_cmp_lt_u32_e32 vcc_lo, 0x37ffffff, v3
	s_mov_b32 s14, 0
                                        ; implicit-def: $vgpr3
	s_and_saveexec_b32 s15, vcc_lo
	s_delay_alu instid0(SALU_CYCLE_1)
	s_xor_b32 s15, exec_lo, s15
	s_cbranch_execz .LBB264_1226
; %bb.955:
	v_bfe_u32 v3, v2, 21, 1
	s_mov_b32 s14, exec_lo
	s_delay_alu instid0(VALU_DEP_1) | instskip(NEXT) | instid1(VALU_DEP_1)
	v_add3_u32 v3, v2, v3, 0x88fffff
	v_lshrrev_b32_e32 v3, 21, v3
	s_or_saveexec_b32 s15, s15
                                        ; implicit-def: $sgpr16
	s_delay_alu instid0(SALU_CYCLE_1)
	s_xor_b32 exec_lo, exec_lo, s15
	s_cbranch_execnz .LBB264_1227
.LBB264_956:
	s_or_b32 exec_lo, exec_lo, s15
	v_mov_b32_e32 v6, s16
	s_and_saveexec_b32 s15, s14
.LBB264_957:
	v_lshrrev_b32_e32 v2, 24, v2
	s_delay_alu instid0(VALU_DEP_1)
	v_and_or_b32 v6, 0x80, v2, v3
.LBB264_958:
	s_or_b32 exec_lo, exec_lo, s15
.LBB264_959:
	s_delay_alu instid0(SALU_CYCLE_1)
	s_or_b32 exec_lo, exec_lo, s13
	s_mov_b32 s13, 0
	global_store_b8 v[0:1], v6, off
.LBB264_960:
	s_and_b32 vcc_lo, exec_lo, s13
	s_cbranch_vccz .LBB264_970
; %bb.961:
	v_cvt_f32_f16_e32 v2, v4
	s_mov_b32 s13, exec_lo
                                        ; implicit-def: $vgpr3
	s_delay_alu instid0(VALU_DEP_1) | instskip(NEXT) | instid1(VALU_DEP_1)
	v_and_b32_e32 v6, 0x7fffffff, v2
	v_cmpx_gt_u32_e32 0x43f00000, v6
	s_xor_b32 s13, exec_lo, s13
	s_cbranch_execz .LBB264_967
; %bb.962:
	s_mov_b32 s14, exec_lo
                                        ; implicit-def: $vgpr3
	v_cmpx_lt_u32_e32 0x3c7fffff, v6
	s_xor_b32 s14, exec_lo, s14
; %bb.963:
	v_bfe_u32 v3, v2, 20, 1
	s_delay_alu instid0(VALU_DEP_1) | instskip(NEXT) | instid1(VALU_DEP_1)
	v_add3_u32 v3, v2, v3, 0x407ffff
	v_and_b32_e32 v6, 0xff00000, v3
	v_lshrrev_b32_e32 v3, 20, v3
	s_delay_alu instid0(VALU_DEP_2) | instskip(NEXT) | instid1(VALU_DEP_2)
	v_cmp_ne_u32_e32 vcc_lo, 0x7f00000, v6
	v_cndmask_b32_e32 v3, 0x7e, v3, vcc_lo
; %bb.964:
	s_and_not1_saveexec_b32 s14, s14
; %bb.965:
	v_add_f32_e64 v3, 0x46800000, |v2|
; %bb.966:
	s_or_b32 exec_lo, exec_lo, s14
                                        ; implicit-def: $vgpr6
.LBB264_967:
	s_and_not1_saveexec_b32 s13, s13
; %bb.968:
	v_mov_b32_e32 v3, 0x7f
	v_cmp_lt_u32_e32 vcc_lo, 0x7f800000, v6
	s_delay_alu instid0(VALU_DEP_2)
	v_cndmask_b32_e32 v3, 0x7e, v3, vcc_lo
; %bb.969:
	s_or_b32 exec_lo, exec_lo, s13
	v_lshrrev_b32_e32 v2, 24, v2
	s_delay_alu instid0(VALU_DEP_1)
	v_and_or_b32 v2, 0x80, v2, v3
	global_store_b8 v[0:1], v2, off
.LBB264_970:
	s_mov_b32 s13, 0
.LBB264_971:
	s_delay_alu instid0(SALU_CYCLE_1)
	s_and_not1_b32 vcc_lo, exec_lo, s13
	s_cbranch_vccnz .LBB264_981
; %bb.972:
	v_cvt_f32_f16_e32 v2, v4
	s_mov_b32 s13, exec_lo
                                        ; implicit-def: $vgpr3
	s_delay_alu instid0(VALU_DEP_1) | instskip(NEXT) | instid1(VALU_DEP_1)
	v_and_b32_e32 v6, 0x7fffffff, v2
	v_cmpx_gt_u32_e32 0x47800000, v6
	s_xor_b32 s13, exec_lo, s13
	s_cbranch_execz .LBB264_978
; %bb.973:
	s_mov_b32 s14, exec_lo
                                        ; implicit-def: $vgpr3
	v_cmpx_lt_u32_e32 0x387fffff, v6
	s_xor_b32 s14, exec_lo, s14
; %bb.974:
	v_bfe_u32 v3, v2, 21, 1
	s_delay_alu instid0(VALU_DEP_1) | instskip(NEXT) | instid1(VALU_DEP_1)
	v_add3_u32 v3, v2, v3, 0x80fffff
	v_lshrrev_b32_e32 v3, 21, v3
; %bb.975:
	s_and_not1_saveexec_b32 s14, s14
; %bb.976:
	v_add_f32_e64 v3, 0x43000000, |v2|
; %bb.977:
	s_or_b32 exec_lo, exec_lo, s14
                                        ; implicit-def: $vgpr6
.LBB264_978:
	s_and_not1_saveexec_b32 s13, s13
; %bb.979:
	v_mov_b32_e32 v3, 0x7f
	v_cmp_lt_u32_e32 vcc_lo, 0x7f800000, v6
	s_delay_alu instid0(VALU_DEP_2)
	v_cndmask_b32_e32 v3, 0x7c, v3, vcc_lo
; %bb.980:
	s_or_b32 exec_lo, exec_lo, s13
	v_lshrrev_b32_e32 v2, 24, v2
	s_delay_alu instid0(VALU_DEP_1)
	v_and_or_b32 v2, 0x80, v2, v3
	global_store_b8 v[0:1], v2, off
.LBB264_981:
	s_mov_b32 s13, 0
.LBB264_982:
	s_delay_alu instid0(SALU_CYCLE_1)
	s_and_not1_b32 vcc_lo, exec_lo, s13
	s_mov_b32 s13, 0
	s_cbranch_vccnz .LBB264_990
; %bb.983:
	v_cmp_lt_i16_e32 vcc_lo, 14, v5
	s_mov_b32 s13, -1
	s_cbranch_vccz .LBB264_987
; %bb.984:
	v_cmp_eq_u16_e32 vcc_lo, 15, v5
	s_mov_b32 s0, -1
	s_cbranch_vccz .LBB264_986
; %bb.985:
	v_cvt_f32_f16_e32 v2, v4
	v_cmp_o_f16_e32 vcc_lo, v4, v4
	s_mov_b32 s0, 0
	s_delay_alu instid0(VALU_DEP_2) | instskip(NEXT) | instid1(VALU_DEP_1)
	v_bfe_u32 v3, v2, 16, 1
	v_add3_u32 v2, v2, v3, 0x7fff
	s_delay_alu instid0(VALU_DEP_1) | instskip(NEXT) | instid1(VALU_DEP_1)
	v_lshrrev_b32_e32 v2, 16, v2
	v_cndmask_b32_e32 v2, 0x7fc0, v2, vcc_lo
	global_store_b16 v[0:1], v2, off
.LBB264_986:
	s_mov_b32 s13, 0
.LBB264_987:
	s_delay_alu instid0(SALU_CYCLE_1)
	s_and_b32 vcc_lo, exec_lo, s13
	s_mov_b32 s13, 0
	s_cbranch_vccz .LBB264_990
; %bb.988:
	v_cmp_ne_u16_e32 vcc_lo, 11, v5
	s_and_not1_b32 s0, s0, exec_lo
	s_mov_b32 s13, -1
	s_and_b32 s14, vcc_lo, exec_lo
	s_delay_alu instid0(SALU_CYCLE_1)
	s_or_b32 s0, s0, s14
	s_branch .LBB264_990
.LBB264_989:
	s_mov_b32 s13, 0
.LBB264_990:
	s_and_not1_b32 s9, s9, exec_lo
	s_and_b32 s0, s0, exec_lo
	s_and_b32 s12, s12, exec_lo
	;; [unrolled: 1-line block ×3, first 2 shown]
	s_or_b32 s9, s9, s0
.LBB264_991:
	s_or_b32 exec_lo, exec_lo, s11
	s_and_saveexec_b32 s0, s9
	s_cbranch_execnz .LBB264_1053
; %bb.992:
	s_or_b32 exec_lo, exec_lo, s0
	s_and_saveexec_b32 s0, s13
	s_delay_alu instid0(SALU_CYCLE_1)
	s_xor_b32 s0, exec_lo, s0
	s_cbranch_execz .LBB264_994
.LBB264_993:
	v_cmp_neq_f16_e32 vcc_lo, 0, v4
	v_cndmask_b32_e64 v2, 0, 1, vcc_lo
	global_store_b8 v[0:1], v2, off
.LBB264_994:
	s_or_b32 exec_lo, exec_lo, s0
	s_and_saveexec_b32 s0, s12
	s_delay_alu instid0(SALU_CYCLE_1)
	s_xor_b32 s0, exec_lo, s0
	s_cbranch_execz .LBB264_1032
; %bb.995:
	s_waitcnt vmcnt(0)
	v_cmp_gt_i16_e32 vcc_lo, 5, v5
	s_mov_b32 s9, -1
	s_cbranch_vccnz .LBB264_1016
; %bb.996:
	v_cmp_gt_i16_e32 vcc_lo, 8, v5
	s_cbranch_vccnz .LBB264_1006
; %bb.997:
	v_cmp_gt_i16_e32 vcc_lo, 9, v5
	s_cbranch_vccnz .LBB264_1003
; %bb.998:
	v_cmp_lt_i16_e32 vcc_lo, 9, v5
	s_cbranch_vccz .LBB264_1000
; %bb.999:
	v_cvt_f32_f16_e32 v2, v4
	v_mov_b32_e32 v8, 0
	s_mov_b32 s9, 0
	s_delay_alu instid0(VALU_DEP_2) | instskip(NEXT) | instid1(VALU_DEP_2)
	v_cvt_f64_f32_e32 v[6:7], v2
	v_mov_b32_e32 v9, v8
	global_store_b128 v[0:1], v[6:9], off
.LBB264_1000:
	s_and_not1_b32 vcc_lo, exec_lo, s9
	s_cbranch_vccnz .LBB264_1002
; %bb.1001:
	v_cvt_f32_f16_e32 v2, v4
	v_mov_b32_e32 v3, 0
	global_store_b64 v[0:1], v[2:3], off
.LBB264_1002:
	s_mov_b32 s9, 0
.LBB264_1003:
	s_delay_alu instid0(SALU_CYCLE_1)
	s_and_not1_b32 vcc_lo, exec_lo, s9
	s_cbranch_vccnz .LBB264_1005
; %bb.1004:
	v_and_b32_e32 v2, 0xffff, v4
	global_store_b32 v[0:1], v2, off
.LBB264_1005:
	s_mov_b32 s9, 0
.LBB264_1006:
	s_delay_alu instid0(SALU_CYCLE_1)
	s_and_not1_b32 vcc_lo, exec_lo, s9
	s_cbranch_vccnz .LBB264_1015
; %bb.1007:
	v_cmp_gt_i16_e32 vcc_lo, 6, v5
	s_mov_b32 s9, -1
	s_cbranch_vccnz .LBB264_1013
; %bb.1008:
	v_cmp_lt_i16_e32 vcc_lo, 6, v5
	s_cbranch_vccz .LBB264_1010
; %bb.1009:
	v_cvt_f32_f16_e32 v2, v4
	s_mov_b32 s9, 0
	s_delay_alu instid0(VALU_DEP_1)
	v_cvt_f64_f32_e32 v[2:3], v2
	global_store_b64 v[0:1], v[2:3], off
.LBB264_1010:
	s_and_not1_b32 vcc_lo, exec_lo, s9
	s_cbranch_vccnz .LBB264_1012
; %bb.1011:
	v_cvt_f32_f16_e32 v2, v4
	global_store_b32 v[0:1], v2, off
.LBB264_1012:
	s_mov_b32 s9, 0
.LBB264_1013:
	s_delay_alu instid0(SALU_CYCLE_1)
	s_and_not1_b32 vcc_lo, exec_lo, s9
	s_cbranch_vccnz .LBB264_1015
; %bb.1014:
	global_store_b16 v[0:1], v4, off
.LBB264_1015:
	s_mov_b32 s9, 0
.LBB264_1016:
	s_delay_alu instid0(SALU_CYCLE_1)
	s_and_not1_b32 vcc_lo, exec_lo, s9
	s_cbranch_vccnz .LBB264_1032
; %bb.1017:
	v_cmp_gt_i16_e32 vcc_lo, 2, v5
	s_mov_b32 s9, -1
	s_cbranch_vccnz .LBB264_1027
; %bb.1018:
	v_cmp_gt_i16_e32 vcc_lo, 3, v5
	s_cbranch_vccnz .LBB264_1024
; %bb.1019:
	v_cmp_lt_i16_e32 vcc_lo, 3, v5
	s_cbranch_vccz .LBB264_1021
; %bb.1020:
	v_cvt_f32_f16_e32 v2, v4
	s_mov_b32 s9, 0
	s_delay_alu instid0(VALU_DEP_1) | instskip(NEXT) | instid1(VALU_DEP_1)
	v_cvt_i32_f32_e32 v2, v2
	v_ashrrev_i32_e32 v3, 31, v2
	global_store_b64 v[0:1], v[2:3], off
.LBB264_1021:
	s_and_not1_b32 vcc_lo, exec_lo, s9
	s_cbranch_vccnz .LBB264_1023
; %bb.1022:
	v_cvt_f32_f16_e32 v2, v4
	s_delay_alu instid0(VALU_DEP_1)
	v_cvt_i32_f32_e32 v2, v2
	global_store_b32 v[0:1], v2, off
.LBB264_1023:
	s_mov_b32 s9, 0
.LBB264_1024:
	s_delay_alu instid0(SALU_CYCLE_1)
	s_and_not1_b32 vcc_lo, exec_lo, s9
	s_cbranch_vccnz .LBB264_1026
; %bb.1025:
	v_cvt_i16_f16_e32 v2, v4
	global_store_b16 v[0:1], v2, off
.LBB264_1026:
	s_mov_b32 s9, 0
.LBB264_1027:
	s_delay_alu instid0(SALU_CYCLE_1)
	s_and_not1_b32 vcc_lo, exec_lo, s9
	s_cbranch_vccnz .LBB264_1032
; %bb.1028:
	v_cmp_lt_i16_e32 vcc_lo, 0, v5
	s_mov_b32 s9, -1
	s_cbranch_vccz .LBB264_1030
; %bb.1029:
	v_cvt_i16_f16_e32 v2, v4
	s_mov_b32 s9, 0
	global_store_b8 v[0:1], v2, off
.LBB264_1030:
	s_and_not1_b32 vcc_lo, exec_lo, s9
	s_cbranch_vccnz .LBB264_1032
; %bb.1031:
	v_cvt_f32_f16_e32 v2, v4
	s_delay_alu instid0(VALU_DEP_1)
	v_cvt_i32_f32_e32 v2, v2
	global_store_b8 v[0:1], v2, off
.LBB264_1032:
	s_or_b32 exec_lo, exec_lo, s0
	s_delay_alu instid0(SALU_CYCLE_1)
	s_and_b32 s9, s10, exec_lo
                                        ; implicit-def: $vgpr3
                                        ; implicit-def: $vgpr4
                                        ; implicit-def: $vgpr2
.LBB264_1033:
	s_or_saveexec_b32 s8, s8
	s_mov_b32 s0, 0
                                        ; implicit-def: $vgpr5
                                        ; implicit-def: $vgpr0_vgpr1
                                        ; implicit-def: $vgpr6
	s_xor_b32 exec_lo, exec_lo, s8
	s_cbranch_execz .LBB264_1998
; %bb.1034:
	s_waitcnt vmcnt(0)
	v_mul_lo_u32 v6, s3, v3
	v_cmp_gt_i16_e32 vcc_lo, 11, v4
	s_delay_alu instid0(VALU_DEP_2) | instskip(SKIP_1) | instid1(VALU_DEP_1)
	v_ashrrev_i32_e32 v1, 31, v6
	v_add_co_u32 v0, s0, s6, v6
	v_add_co_ci_u32_e64 v1, s0, s7, v1, s0
	s_cbranch_vccnz .LBB264_1041
; %bb.1035:
	v_cmp_lt_i16_e32 vcc_lo, 25, v4
	s_mov_b32 s10, 0
	s_cbranch_vccz .LBB264_1047
; %bb.1036:
	v_cmp_lt_i16_e32 vcc_lo, 28, v4
	s_cbranch_vccz .LBB264_1049
; %bb.1037:
	v_cmp_lt_i16_e32 vcc_lo, 43, v4
	s_cbranch_vccz .LBB264_1051
; %bb.1038:
	v_cmp_lt_i16_e32 vcc_lo, 45, v4
	s_cbranch_vccz .LBB264_1055
; %bb.1039:
	v_cmp_eq_u16_e32 vcc_lo, 46, v4
	s_cbranch_vccz .LBB264_1095
; %bb.1040:
	global_load_b32 v5, v[0:1], off
	s_mov_b32 s0, 0
	s_mov_b32 s11, -1
	s_waitcnt vmcnt(0)
	v_lshlrev_b32_e32 v5, 16, v5
	s_delay_alu instid0(VALU_DEP_1)
	v_cvt_f16_f32_e32 v5, v5
	s_branch .LBB264_1097
.LBB264_1041:
	s_mov_b32 s11, 0
	s_mov_b32 s1, s9
                                        ; implicit-def: $vgpr5
	s_cbranch_execz .LBB264_1160
; %bb.1042:
	v_cmp_gt_i16_e32 vcc_lo, 5, v4
	s_cbranch_vccnz .LBB264_1048
; %bb.1043:
	v_cmp_gt_i16_e32 vcc_lo, 8, v4
	s_cbranch_vccnz .LBB264_1050
	;; [unrolled: 3-line block ×3, first 2 shown]
; %bb.1045:
	v_cmp_lt_i16_e32 vcc_lo, 9, v4
	s_cbranch_vccz .LBB264_1056
; %bb.1046:
	global_load_b64 v[7:8], v[0:1], off
	s_mov_b32 s0, 0
	s_waitcnt vmcnt(0)
	v_cvt_f32_f64_e32 v5, v[7:8]
	s_delay_alu instid0(VALU_DEP_1)
	v_cvt_f16_f32_e32 v5, v5
	s_branch .LBB264_1057
.LBB264_1047:
	s_mov_b32 s11, 0
	s_mov_b32 s0, 0
                                        ; implicit-def: $vgpr5
	s_cbranch_execnz .LBB264_1125
	s_branch .LBB264_1156
.LBB264_1048:
                                        ; implicit-def: $vgpr5
	s_branch .LBB264_1074
.LBB264_1049:
	s_mov_b32 s1, -1
	s_mov_b32 s11, 0
	s_mov_b32 s0, 0
                                        ; implicit-def: $vgpr5
	s_branch .LBB264_1106
.LBB264_1050:
                                        ; implicit-def: $vgpr5
	s_branch .LBB264_1063
.LBB264_1051:
	s_mov_b32 s11, 0
	s_mov_b32 s0, 0
                                        ; implicit-def: $vgpr5
	s_cbranch_execnz .LBB264_1102
	s_branch .LBB264_1105
.LBB264_1052:
	s_mov_b32 s0, -1
                                        ; implicit-def: $vgpr5
	s_branch .LBB264_1060
.LBB264_1053:
	s_cbranch_execnz .LBB264_1093
; %bb.1054:
	s_or_b32 s10, s10, exec_lo
	s_and_not1_b32 s13, s13, exec_lo
	s_or_b32 exec_lo, exec_lo, s0
	s_and_saveexec_b32 s0, s13
	s_delay_alu instid0(SALU_CYCLE_1)
	s_xor_b32 s0, exec_lo, s0
	s_cbranch_execnz .LBB264_993
	s_branch .LBB264_994
.LBB264_1055:
	s_mov_b32 s1, -1
	s_mov_b32 s11, 0
	s_mov_b32 s0, 0
	s_branch .LBB264_1096
.LBB264_1056:
	s_mov_b32 s0, -1
                                        ; implicit-def: $vgpr5
.LBB264_1057:
	s_delay_alu instid0(SALU_CYCLE_1)
	s_and_not1_b32 vcc_lo, exec_lo, s0
	s_cbranch_vccnz .LBB264_1059
; %bb.1058:
	global_load_b32 v5, v[0:1], off
	s_waitcnt vmcnt(0)
	v_cvt_f16_f32_e32 v5, v5
.LBB264_1059:
	s_mov_b32 s0, 0
.LBB264_1060:
	s_delay_alu instid0(SALU_CYCLE_1)
	s_and_not1_b32 vcc_lo, exec_lo, s0
	s_cbranch_vccnz .LBB264_1062
; %bb.1061:
	global_load_b32 v5, v[0:1], off
.LBB264_1062:
	s_cbranch_execnz .LBB264_1073
.LBB264_1063:
	v_cmp_gt_i16_e32 vcc_lo, 6, v4
	s_cbranch_vccnz .LBB264_1066
; %bb.1064:
	v_cmp_lt_i16_e32 vcc_lo, 6, v4
	s_cbranch_vccz .LBB264_1067
; %bb.1065:
	global_load_b64 v[7:8], v[0:1], off
	s_mov_b32 s0, 0
	s_waitcnt vmcnt(0)
	v_cvt_f32_f64_e32 v5, v[7:8]
	s_delay_alu instid0(VALU_DEP_1)
	v_cvt_f16_f32_e32 v5, v5
	s_branch .LBB264_1068
.LBB264_1066:
	s_mov_b32 s0, -1
                                        ; implicit-def: $vgpr5
	s_branch .LBB264_1071
.LBB264_1067:
	s_mov_b32 s0, -1
                                        ; implicit-def: $vgpr5
.LBB264_1068:
	s_delay_alu instid0(SALU_CYCLE_1)
	s_and_not1_b32 vcc_lo, exec_lo, s0
	s_cbranch_vccnz .LBB264_1070
; %bb.1069:
	global_load_b32 v5, v[0:1], off
	s_waitcnt vmcnt(0)
	v_cvt_f16_f32_e32 v5, v5
.LBB264_1070:
	s_mov_b32 s0, 0
.LBB264_1071:
	s_delay_alu instid0(SALU_CYCLE_1)
	s_and_not1_b32 vcc_lo, exec_lo, s0
	s_cbranch_vccnz .LBB264_1073
; %bb.1072:
	global_load_u16 v5, v[0:1], off
.LBB264_1073:
	s_cbranch_execnz .LBB264_1092
.LBB264_1074:
	v_cmp_gt_i16_e32 vcc_lo, 2, v4
	s_cbranch_vccnz .LBB264_1078
; %bb.1075:
	v_cmp_gt_i16_e32 vcc_lo, 3, v4
	s_cbranch_vccnz .LBB264_1079
; %bb.1076:
	v_cmp_lt_i16_e32 vcc_lo, 3, v4
	s_cbranch_vccz .LBB264_1080
; %bb.1077:
	global_load_b64 v[7:8], v[0:1], off
	s_mov_b32 s0, 0
	s_waitcnt vmcnt(0)
	v_xor_b32_e32 v5, v7, v8
	v_cls_i32_e32 v9, v8
	s_delay_alu instid0(VALU_DEP_2) | instskip(NEXT) | instid1(VALU_DEP_2)
	v_ashrrev_i32_e32 v5, 31, v5
	v_add_nc_u32_e32 v9, -1, v9
	s_delay_alu instid0(VALU_DEP_2) | instskip(NEXT) | instid1(VALU_DEP_1)
	v_add_nc_u32_e32 v5, 32, v5
	v_min_u32_e32 v5, v9, v5
	s_delay_alu instid0(VALU_DEP_1) | instskip(SKIP_1) | instid1(VALU_DEP_2)
	v_lshlrev_b64 v[7:8], v5, v[7:8]
	v_sub_nc_u32_e32 v5, 32, v5
	v_min_u32_e32 v7, 1, v7
	s_delay_alu instid0(VALU_DEP_1) | instskip(NEXT) | instid1(VALU_DEP_1)
	v_or_b32_e32 v7, v8, v7
	v_cvt_f32_i32_e32 v7, v7
	s_delay_alu instid0(VALU_DEP_1) | instskip(NEXT) | instid1(VALU_DEP_1)
	v_ldexp_f32 v5, v7, v5
	v_cvt_f16_f32_e32 v5, v5
	s_branch .LBB264_1081
.LBB264_1078:
                                        ; implicit-def: $vgpr5
	s_branch .LBB264_1087
.LBB264_1079:
	s_mov_b32 s0, -1
                                        ; implicit-def: $vgpr5
	s_branch .LBB264_1084
.LBB264_1080:
	s_mov_b32 s0, -1
                                        ; implicit-def: $vgpr5
.LBB264_1081:
	s_delay_alu instid0(SALU_CYCLE_1)
	s_and_not1_b32 vcc_lo, exec_lo, s0
	s_cbranch_vccnz .LBB264_1083
; %bb.1082:
	global_load_b32 v5, v[0:1], off
	s_waitcnt vmcnt(0)
	v_cvt_f32_i32_e32 v5, v5
	s_delay_alu instid0(VALU_DEP_1)
	v_cvt_f16_f32_e32 v5, v5
.LBB264_1083:
	s_mov_b32 s0, 0
.LBB264_1084:
	s_delay_alu instid0(SALU_CYCLE_1)
	s_and_not1_b32 vcc_lo, exec_lo, s0
	s_cbranch_vccnz .LBB264_1086
; %bb.1085:
	global_load_u16 v5, v[0:1], off
	s_waitcnt vmcnt(0)
	v_cvt_f16_i16_e32 v5, v5
.LBB264_1086:
	s_cbranch_execnz .LBB264_1092
.LBB264_1087:
	v_cmp_lt_i16_e32 vcc_lo, 0, v4
	s_mov_b32 s0, 0
	s_cbranch_vccz .LBB264_1089
; %bb.1088:
	global_load_i8 v5, v[0:1], off
	s_waitcnt vmcnt(0)
	v_cvt_f16_i16_e32 v5, v5
	s_branch .LBB264_1090
.LBB264_1089:
	s_mov_b32 s0, -1
                                        ; implicit-def: $vgpr5
.LBB264_1090:
	s_delay_alu instid0(SALU_CYCLE_1)
	s_and_not1_b32 vcc_lo, exec_lo, s0
	s_cbranch_vccnz .LBB264_1092
; %bb.1091:
	global_load_u8 v0, v[0:1], off
	s_waitcnt vmcnt(0)
	v_cvt_f16_u16_e32 v5, v0
.LBB264_1092:
	s_branch .LBB264_1161
.LBB264_1093:
	s_trap 2
	s_sendmsg_rtn_b32 s0, sendmsg(MSG_RTN_GET_DOORBELL)
	s_mov_b32 ttmp2, m0
	s_waitcnt lgkmcnt(0)
	s_and_b32 s0, s0, 0x3ff
	s_delay_alu instid0(SALU_CYCLE_1) | instskip(NEXT) | instid1(SALU_CYCLE_1)
	s_bitset1_b32 s0, 10
	s_mov_b32 m0, s0
	s_sendmsg sendmsg(MSG_INTERRUPT)
	s_mov_b32 m0, ttmp2
.LBB264_1094:                           ; =>This Inner Loop Header: Depth=1
	s_sethalt 5
	s_branch .LBB264_1094
.LBB264_1095:
	s_mov_b32 s0, -1
	s_mov_b32 s11, 0
.LBB264_1096:
                                        ; implicit-def: $vgpr5
.LBB264_1097:
	s_and_b32 vcc_lo, exec_lo, s1
	s_cbranch_vccz .LBB264_1100
; %bb.1098:
	v_cmp_eq_u16_e32 vcc_lo, 44, v4
	s_cbranch_vccz .LBB264_1101
; %bb.1099:
	global_load_u8 v5, v[0:1], off
	s_mov_b32 s0, 0
	s_mov_b32 s11, -1
	s_waitcnt vmcnt(0)
	v_lshlrev_b32_e32 v7, 23, v5
	v_cmp_ne_u32_e32 vcc_lo, 0xff, v5
	s_delay_alu instid0(VALU_DEP_2) | instskip(NEXT) | instid1(VALU_DEP_1)
	v_cvt_f16_f32_e32 v7, v7
	v_cndmask_b32_e32 v7, 0x7e00, v7, vcc_lo
	v_cmp_ne_u32_e32 vcc_lo, 0, v5
	s_delay_alu instid0(VALU_DEP_2)
	v_cndmask_b32_e32 v5, 0, v7, vcc_lo
.LBB264_1100:
	s_branch .LBB264_1105
.LBB264_1101:
	s_mov_b32 s0, -1
                                        ; implicit-def: $vgpr5
	s_branch .LBB264_1105
.LBB264_1102:
	v_cmp_eq_u16_e32 vcc_lo, 29, v4
	s_cbranch_vccz .LBB264_1104
; %bb.1103:
	global_load_b64 v[7:8], v[0:1], off
	s_mov_b32 s0, 0
	s_mov_b32 s11, -1
	s_mov_b32 s1, 0
	s_waitcnt vmcnt(0)
	v_clz_i32_u32_e32 v5, v8
	s_delay_alu instid0(VALU_DEP_1) | instskip(NEXT) | instid1(VALU_DEP_1)
	v_min_u32_e32 v5, 32, v5
	v_lshlrev_b64 v[7:8], v5, v[7:8]
	v_sub_nc_u32_e32 v5, 32, v5
	s_delay_alu instid0(VALU_DEP_2) | instskip(NEXT) | instid1(VALU_DEP_1)
	v_min_u32_e32 v7, 1, v7
	v_or_b32_e32 v7, v8, v7
	s_delay_alu instid0(VALU_DEP_1) | instskip(NEXT) | instid1(VALU_DEP_1)
	v_cvt_f32_u32_e32 v7, v7
	v_ldexp_f32 v5, v7, v5
	s_delay_alu instid0(VALU_DEP_1)
	v_cvt_f16_f32_e32 v5, v5
	s_branch .LBB264_1106
.LBB264_1104:
	s_mov_b32 s0, -1
                                        ; implicit-def: $vgpr5
.LBB264_1105:
	s_mov_b32 s1, 0
.LBB264_1106:
	s_delay_alu instid0(SALU_CYCLE_1)
	s_and_b32 vcc_lo, exec_lo, s1
	s_cbranch_vccz .LBB264_1124
; %bb.1107:
	v_cmp_gt_i16_e32 vcc_lo, 27, v4
	s_cbranch_vccnz .LBB264_1110
; %bb.1108:
	v_cmp_lt_i16_e32 vcc_lo, 27, v4
	s_cbranch_vccz .LBB264_1111
; %bb.1109:
	global_load_b32 v5, v[0:1], off
	s_mov_b32 s1, 0
	s_waitcnt vmcnt(0)
	v_cvt_f32_u32_e32 v5, v5
	s_delay_alu instid0(VALU_DEP_1)
	v_cvt_f16_f32_e32 v5, v5
	s_branch .LBB264_1112
.LBB264_1110:
	s_mov_b32 s1, -1
                                        ; implicit-def: $vgpr5
	s_branch .LBB264_1115
.LBB264_1111:
	s_mov_b32 s1, -1
                                        ; implicit-def: $vgpr5
.LBB264_1112:
	s_delay_alu instid0(SALU_CYCLE_1)
	s_and_not1_b32 vcc_lo, exec_lo, s1
	s_cbranch_vccnz .LBB264_1114
; %bb.1113:
	global_load_u16 v5, v[0:1], off
	s_waitcnt vmcnt(0)
	v_cvt_f16_u16_e32 v5, v5
.LBB264_1114:
	s_mov_b32 s1, 0
.LBB264_1115:
	s_delay_alu instid0(SALU_CYCLE_1)
	s_and_not1_b32 vcc_lo, exec_lo, s1
	s_cbranch_vccnz .LBB264_1123
; %bb.1116:
	global_load_u8 v7, v[0:1], off
	s_mov_b32 s1, 0
	s_mov_b32 s12, exec_lo
                                        ; implicit-def: $sgpr11
	s_waitcnt vmcnt(0)
	v_cmpx_lt_i16_e32 0x7f, v7
	s_xor_b32 s12, exec_lo, s12
	s_cbranch_execz .LBB264_1136
; %bb.1117:
	s_mov_b32 s1, -1
	s_mov_b32 s13, exec_lo
                                        ; implicit-def: $sgpr11
	v_cmpx_eq_u16_e32 0x80, v7
; %bb.1118:
	s_movk_i32 s11, 0x7e00
	s_xor_b32 s1, exec_lo, -1
; %bb.1119:
	s_or_b32 exec_lo, exec_lo, s13
	s_delay_alu instid0(SALU_CYCLE_1)
	s_and_b32 s1, s1, exec_lo
	s_or_saveexec_b32 s12, s12
	v_mov_b32_e32 v5, s11
	s_xor_b32 exec_lo, exec_lo, s12
	s_cbranch_execnz .LBB264_1137
.LBB264_1120:
	s_or_b32 exec_lo, exec_lo, s12
	s_and_saveexec_b32 s11, s1
	s_cbranch_execz .LBB264_1122
.LBB264_1121:
	v_and_b32_e32 v5, 0xffff, v7
	v_lshlrev_b32_e32 v7, 24, v7
	s_delay_alu instid0(VALU_DEP_2) | instskip(NEXT) | instid1(VALU_DEP_2)
	v_and_b32_e32 v8, 7, v5
	v_and_b32_e32 v7, 0x80000000, v7
	s_delay_alu instid0(VALU_DEP_2) | instskip(NEXT) | instid1(VALU_DEP_1)
	v_clz_i32_u32_e32 v9, v8
	v_min_u32_e32 v9, 32, v9
	s_delay_alu instid0(VALU_DEP_1) | instskip(SKIP_1) | instid1(VALU_DEP_2)
	v_subrev_nc_u32_e32 v10, 28, v9
	v_sub_nc_u32_e32 v9, 29, v9
	v_lshlrev_b32_e32 v10, v10, v5
	v_bfe_u32 v5, v5, 3, 4
	s_delay_alu instid0(VALU_DEP_1) | instskip(NEXT) | instid1(VALU_DEP_3)
	v_cmp_eq_u32_e32 vcc_lo, 0, v5
	v_dual_cndmask_b32 v5, v5, v9 :: v_dual_and_b32 v10, 7, v10
	s_delay_alu instid0(VALU_DEP_1) | instskip(NEXT) | instid1(VALU_DEP_2)
	v_cndmask_b32_e32 v8, v8, v10, vcc_lo
	v_lshl_add_u32 v5, v5, 23, 0x3b800000
	s_delay_alu instid0(VALU_DEP_2) | instskip(NEXT) | instid1(VALU_DEP_1)
	v_lshlrev_b32_e32 v8, 20, v8
	v_or3_b32 v5, v7, v5, v8
	s_delay_alu instid0(VALU_DEP_1)
	v_cvt_f16_f32_e32 v5, v5
.LBB264_1122:
	s_or_b32 exec_lo, exec_lo, s11
.LBB264_1123:
	s_mov_b32 s11, -1
.LBB264_1124:
	s_branch .LBB264_1156
.LBB264_1125:
	v_cmp_lt_i16_e32 vcc_lo, 22, v4
	s_cbranch_vccz .LBB264_1135
; %bb.1126:
	v_cmp_gt_i16_e32 vcc_lo, 24, v4
	s_cbranch_vccnz .LBB264_1138
; %bb.1127:
	v_cmp_lt_i16_e32 vcc_lo, 24, v4
	s_cbranch_vccz .LBB264_1139
; %bb.1128:
	global_load_u8 v7, v[0:1], off
	s_mov_b32 s1, 0
	s_mov_b32 s11, exec_lo
                                        ; implicit-def: $sgpr10
	s_waitcnt vmcnt(0)
	v_cmpx_lt_i16_e32 0x7f, v7
	s_xor_b32 s11, exec_lo, s11
	s_cbranch_execz .LBB264_1150
; %bb.1129:
	s_mov_b32 s1, -1
	s_mov_b32 s12, exec_lo
                                        ; implicit-def: $sgpr10
	v_cmpx_eq_u16_e32 0x80, v7
; %bb.1130:
	s_movk_i32 s10, 0x7e00
	s_xor_b32 s1, exec_lo, -1
; %bb.1131:
	s_or_b32 exec_lo, exec_lo, s12
	s_delay_alu instid0(SALU_CYCLE_1)
	s_and_b32 s1, s1, exec_lo
	s_or_saveexec_b32 s11, s11
	v_mov_b32_e32 v5, s10
	s_xor_b32 exec_lo, exec_lo, s11
	s_cbranch_execnz .LBB264_1151
.LBB264_1132:
	s_or_b32 exec_lo, exec_lo, s11
	s_and_saveexec_b32 s10, s1
	s_cbranch_execz .LBB264_1134
.LBB264_1133:
	v_and_b32_e32 v5, 0xffff, v7
	v_lshlrev_b32_e32 v7, 24, v7
	s_delay_alu instid0(VALU_DEP_2) | instskip(NEXT) | instid1(VALU_DEP_2)
	v_and_b32_e32 v8, 3, v5
	v_and_b32_e32 v7, 0x80000000, v7
	s_delay_alu instid0(VALU_DEP_2) | instskip(NEXT) | instid1(VALU_DEP_1)
	v_clz_i32_u32_e32 v9, v8
	v_min_u32_e32 v9, 32, v9
	s_delay_alu instid0(VALU_DEP_1) | instskip(SKIP_1) | instid1(VALU_DEP_2)
	v_subrev_nc_u32_e32 v10, 29, v9
	v_sub_nc_u32_e32 v9, 30, v9
	v_lshlrev_b32_e32 v10, v10, v5
	v_bfe_u32 v5, v5, 2, 5
	s_delay_alu instid0(VALU_DEP_1) | instskip(NEXT) | instid1(VALU_DEP_3)
	v_cmp_eq_u32_e32 vcc_lo, 0, v5
	v_dual_cndmask_b32 v5, v5, v9 :: v_dual_and_b32 v10, 3, v10
	s_delay_alu instid0(VALU_DEP_1) | instskip(NEXT) | instid1(VALU_DEP_2)
	v_cndmask_b32_e32 v8, v8, v10, vcc_lo
	v_lshl_add_u32 v5, v5, 23, 0x37800000
	s_delay_alu instid0(VALU_DEP_2) | instskip(NEXT) | instid1(VALU_DEP_1)
	v_lshlrev_b32_e32 v8, 21, v8
	v_or3_b32 v5, v7, v5, v8
	s_delay_alu instid0(VALU_DEP_1)
	v_cvt_f16_f32_e32 v5, v5
.LBB264_1134:
	s_or_b32 exec_lo, exec_lo, s10
	s_mov_b32 s1, 0
	s_branch .LBB264_1140
.LBB264_1135:
                                        ; implicit-def: $vgpr5
	s_mov_b32 s10, 0
	s_branch .LBB264_1146
.LBB264_1136:
	s_or_saveexec_b32 s12, s12
	v_mov_b32_e32 v5, s11
	s_xor_b32 exec_lo, exec_lo, s12
	s_cbranch_execz .LBB264_1120
.LBB264_1137:
	v_cmp_ne_u16_e32 vcc_lo, 0, v7
	v_mov_b32_e32 v5, v7
	s_and_not1_b32 s1, s1, exec_lo
	s_and_b32 s11, vcc_lo, exec_lo
	s_delay_alu instid0(SALU_CYCLE_1)
	s_or_b32 s1, s1, s11
	s_or_b32 exec_lo, exec_lo, s12
	s_and_saveexec_b32 s11, s1
	s_cbranch_execnz .LBB264_1121
	s_branch .LBB264_1122
.LBB264_1138:
	s_mov_b32 s1, -1
                                        ; implicit-def: $vgpr5
	s_branch .LBB264_1143
.LBB264_1139:
	s_mov_b32 s1, -1
                                        ; implicit-def: $vgpr5
.LBB264_1140:
	s_delay_alu instid0(SALU_CYCLE_1)
	s_and_b32 vcc_lo, exec_lo, s1
	s_cbranch_vccz .LBB264_1142
; %bb.1141:
	global_load_u8 v5, v[0:1], off
	s_waitcnt vmcnt(0)
	v_lshlrev_b32_e32 v5, 24, v5
	s_delay_alu instid0(VALU_DEP_1) | instskip(NEXT) | instid1(VALU_DEP_1)
	v_and_b32_e32 v7, 0x7f000000, v5
	v_clz_i32_u32_e32 v8, v7
	v_cmp_ne_u32_e32 vcc_lo, 0, v7
	v_add_nc_u32_e32 v10, 0x1000000, v7
	s_delay_alu instid0(VALU_DEP_3) | instskip(NEXT) | instid1(VALU_DEP_1)
	v_min_u32_e32 v8, 32, v8
	v_sub_nc_u32_e64 v8, v8, 4 clamp
	s_delay_alu instid0(VALU_DEP_1) | instskip(SKIP_1) | instid1(VALU_DEP_2)
	v_lshlrev_b32_e32 v9, v8, v7
	v_lshlrev_b32_e32 v8, 23, v8
	v_lshrrev_b32_e32 v9, 4, v9
	s_delay_alu instid0(VALU_DEP_1) | instskip(SKIP_1) | instid1(VALU_DEP_2)
	v_sub_nc_u32_e32 v8, v9, v8
	v_ashrrev_i32_e32 v9, 8, v10
	v_add_nc_u32_e32 v8, 0x3c000000, v8
	s_delay_alu instid0(VALU_DEP_1) | instskip(NEXT) | instid1(VALU_DEP_1)
	v_and_or_b32 v8, 0x7f800000, v9, v8
	v_cndmask_b32_e32 v7, 0, v8, vcc_lo
	s_delay_alu instid0(VALU_DEP_1) | instskip(NEXT) | instid1(VALU_DEP_1)
	v_and_or_b32 v5, 0x80000000, v5, v7
	v_cvt_f16_f32_e32 v5, v5
.LBB264_1142:
	s_mov_b32 s1, 0
.LBB264_1143:
	s_delay_alu instid0(SALU_CYCLE_1)
	s_and_not1_b32 vcc_lo, exec_lo, s1
	s_cbranch_vccnz .LBB264_1145
; %bb.1144:
	global_load_u8 v5, v[0:1], off
	s_waitcnt vmcnt(0)
	v_lshlrev_b32_e32 v7, 25, v5
	v_lshlrev_b16 v5, 8, v5
	s_delay_alu instid0(VALU_DEP_2) | instskip(NEXT) | instid1(VALU_DEP_2)
	v_lshrrev_b32_e32 v8, 4, v7
	v_and_or_b32 v9, 0x7f00, v5, 0.5
	v_bfe_i32 v5, v5, 0, 16
	s_delay_alu instid0(VALU_DEP_3) | instskip(NEXT) | instid1(VALU_DEP_1)
	v_or_b32_e32 v8, 0x70000000, v8
	v_dual_add_f32 v9, -0.5, v9 :: v_dual_mul_f32 v8, 0x7800000, v8
	v_cmp_gt_u32_e32 vcc_lo, 0x8000000, v7
	s_delay_alu instid0(VALU_DEP_2) | instskip(NEXT) | instid1(VALU_DEP_1)
	v_cndmask_b32_e32 v7, v8, v9, vcc_lo
	v_and_or_b32 v5, 0x80000000, v5, v7
	s_delay_alu instid0(VALU_DEP_1)
	v_cvt_f16_f32_e32 v5, v5
.LBB264_1145:
	s_mov_b32 s11, -1
	s_mov_b32 s10, 0
	s_cbranch_execnz .LBB264_1156
.LBB264_1146:
	v_cmp_lt_i16_e32 vcc_lo, 14, v4
	s_cbranch_vccz .LBB264_1149
; %bb.1147:
	v_cmp_eq_u16_e32 vcc_lo, 15, v4
	s_cbranch_vccz .LBB264_1152
; %bb.1148:
	global_load_u16 v5, v[0:1], off
	s_mov_b32 s0, 0
	s_mov_b32 s11, -1
	s_waitcnt vmcnt(0)
	v_lshlrev_b32_e32 v5, 16, v5
	s_delay_alu instid0(VALU_DEP_1)
	v_cvt_f16_f32_e32 v5, v5
	s_branch .LBB264_1153
.LBB264_1149:
	s_mov_b32 s1, -1
                                        ; implicit-def: $vgpr5
	s_branch .LBB264_1154
.LBB264_1150:
	s_or_saveexec_b32 s11, s11
	v_mov_b32_e32 v5, s10
	s_xor_b32 exec_lo, exec_lo, s11
	s_cbranch_execz .LBB264_1132
.LBB264_1151:
	v_cmp_ne_u16_e32 vcc_lo, 0, v7
	v_mov_b32_e32 v5, v7
	s_and_not1_b32 s1, s1, exec_lo
	s_and_b32 s10, vcc_lo, exec_lo
	s_delay_alu instid0(SALU_CYCLE_1)
	s_or_b32 s1, s1, s10
	s_or_b32 exec_lo, exec_lo, s11
	s_and_saveexec_b32 s10, s1
	s_cbranch_execnz .LBB264_1133
	s_branch .LBB264_1134
.LBB264_1152:
	s_mov_b32 s0, -1
                                        ; implicit-def: $vgpr5
.LBB264_1153:
	s_mov_b32 s1, 0
.LBB264_1154:
	s_delay_alu instid0(SALU_CYCLE_1)
	s_and_b32 vcc_lo, exec_lo, s1
	s_cbranch_vccz .LBB264_1156
; %bb.1155:
	v_cmp_ne_u16_e64 s0, 11, v4
	s_mov_b32 s10, -1
                                        ; implicit-def: $vgpr5
.LBB264_1156:
	s_delay_alu instid0(VALU_DEP_1)
	s_and_b32 vcc_lo, exec_lo, s0
	s_mov_b32 s1, s9
	s_cbranch_vccnz .LBB264_1180
; %bb.1157:
	s_and_not1_b32 vcc_lo, exec_lo, s10
	s_cbranch_vccnz .LBB264_1159
.LBB264_1158:
	global_load_u8 v5, v[0:1], off
	s_mov_b32 s11, -1
	s_waitcnt vmcnt(0)
	v_cmp_ne_u16_e32 vcc_lo, 0, v5
	v_cndmask_b32_e64 v5, 0, 0x3c00, vcc_lo
.LBB264_1159:
.LBB264_1160:
	s_and_not1_b32 vcc_lo, exec_lo, s11
	s_cbranch_vccnz .LBB264_1996
.LBB264_1161:
	s_lshl_b32 s3, s3, 7
	v_cmp_gt_i16_e32 vcc_lo, 11, v4
	v_add_nc_u32_e32 v7, s3, v6
	s_delay_alu instid0(VALU_DEP_1) | instskip(SKIP_1) | instid1(VALU_DEP_1)
	v_ashrrev_i32_e32 v1, 31, v7
	v_add_co_u32 v0, s0, s6, v7
	v_add_co_ci_u32_e64 v1, s0, s7, v1, s0
	s_cbranch_vccnz .LBB264_1168
; %bb.1162:
	v_cmp_lt_i16_e32 vcc_lo, 25, v4
	s_mov_b32 s10, 0
	s_cbranch_vccz .LBB264_1174
; %bb.1163:
	v_cmp_lt_i16_e32 vcc_lo, 28, v4
	s_cbranch_vccz .LBB264_1176
; %bb.1164:
	v_cmp_lt_i16_e32 vcc_lo, 43, v4
	s_cbranch_vccz .LBB264_1178
; %bb.1165:
	v_cmp_lt_i16_e32 vcc_lo, 45, v4
	s_cbranch_vccz .LBB264_1184
; %bb.1166:
	v_cmp_eq_u16_e32 vcc_lo, 46, v4
	s_mov_b32 s12, 0
	s_cbranch_vccz .LBB264_1228
; %bb.1167:
	global_load_b32 v6, v[0:1], off
	s_mov_b32 s0, 0
	s_mov_b32 s11, -1
	s_waitcnt vmcnt(0)
	v_lshlrev_b32_e32 v6, 16, v6
	s_delay_alu instid0(VALU_DEP_1)
	v_cvt_f16_f32_e32 v6, v6
	s_branch .LBB264_1230
.LBB264_1168:
	s_mov_b32 s11, 0
                                        ; implicit-def: $vgpr6
	s_cbranch_execz .LBB264_1295
; %bb.1169:
	v_cmp_gt_i16_e32 vcc_lo, 5, v4
	s_cbranch_vccnz .LBB264_1175
; %bb.1170:
	v_cmp_gt_i16_e32 vcc_lo, 8, v4
	s_cbranch_vccnz .LBB264_1177
; %bb.1171:
	v_cmp_gt_i16_e32 vcc_lo, 9, v4
	s_cbranch_vccnz .LBB264_1179
; %bb.1172:
	v_cmp_lt_i16_e32 vcc_lo, 9, v4
	s_cbranch_vccz .LBB264_1185
; %bb.1173:
	global_load_b64 v[8:9], v[0:1], off
	s_mov_b32 s0, 0
	s_waitcnt vmcnt(0)
	v_cvt_f32_f64_e32 v6, v[8:9]
	s_delay_alu instid0(VALU_DEP_1)
	v_cvt_f16_f32_e32 v6, v6
	s_branch .LBB264_1186
.LBB264_1174:
	s_mov_b32 s11, 0
	s_mov_b32 s0, 0
                                        ; implicit-def: $vgpr6
	s_cbranch_execnz .LBB264_1259
	s_branch .LBB264_1291
.LBB264_1175:
                                        ; implicit-def: $vgpr6
	s_branch .LBB264_1204
.LBB264_1176:
	s_mov_b32 s12, -1
	s_mov_b32 s11, 0
	s_mov_b32 s0, 0
                                        ; implicit-def: $vgpr6
	s_branch .LBB264_1240
.LBB264_1177:
	s_mov_b32 s0, -1
                                        ; implicit-def: $vgpr6
	s_branch .LBB264_1192
.LBB264_1178:
	s_mov_b32 s12, -1
	s_mov_b32 s11, 0
	s_mov_b32 s0, 0
                                        ; implicit-def: $vgpr6
	s_branch .LBB264_1235
.LBB264_1179:
	s_mov_b32 s0, -1
                                        ; implicit-def: $vgpr6
	s_branch .LBB264_1189
.LBB264_1180:
	s_cbranch_execnz .LBB264_1224
; %bb.1181:
	s_or_b32 s1, s9, exec_lo
                                        ; implicit-def: $vgpr5
	s_cbranch_execz .LBB264_1158
	s_branch .LBB264_1159
.LBB264_1182:
	s_or_saveexec_b32 s14, s14
                                        ; implicit-def: $sgpr15
	s_delay_alu instid0(SALU_CYCLE_1)
	s_xor_b32 exec_lo, exec_lo, s14
	s_cbranch_execz .LBB264_944
.LBB264_1183:
	v_add_f32_e64 v3, 0x46000000, |v2|
	s_and_not1_b32 s13, s13, exec_lo
	s_mov_b32 s15, 0
	s_delay_alu instid0(VALU_DEP_1) | instskip(NEXT) | instid1(VALU_DEP_1)
	v_and_b32_e32 v3, 0xff, v3
	v_cmp_ne_u32_e32 vcc_lo, 0, v3
	s_and_b32 s16, vcc_lo, exec_lo
	s_delay_alu instid0(SALU_CYCLE_1)
	s_or_b32 s13, s13, s16
	s_or_b32 exec_lo, exec_lo, s14
	v_mov_b32_e32 v6, s15
	s_and_saveexec_b32 s14, s13
	s_cbranch_execnz .LBB264_945
	s_branch .LBB264_946
.LBB264_1184:
	s_mov_b32 s12, -1
	s_mov_b32 s11, 0
	s_mov_b32 s0, 0
	s_branch .LBB264_1229
.LBB264_1185:
	s_mov_b32 s0, -1
                                        ; implicit-def: $vgpr6
.LBB264_1186:
	s_delay_alu instid0(SALU_CYCLE_1)
	s_and_not1_b32 vcc_lo, exec_lo, s0
	s_cbranch_vccnz .LBB264_1188
; %bb.1187:
	global_load_b32 v6, v[0:1], off
	s_waitcnt vmcnt(0)
	v_cvt_f16_f32_e32 v6, v6
.LBB264_1188:
	s_mov_b32 s0, 0
.LBB264_1189:
	s_delay_alu instid0(SALU_CYCLE_1)
	s_and_not1_b32 vcc_lo, exec_lo, s0
	s_cbranch_vccnz .LBB264_1191
; %bb.1190:
	global_load_b32 v6, v[0:1], off
.LBB264_1191:
	s_mov_b32 s0, 0
.LBB264_1192:
	s_delay_alu instid0(SALU_CYCLE_1)
	s_and_not1_b32 vcc_lo, exec_lo, s0
	s_cbranch_vccnz .LBB264_1203
; %bb.1193:
	v_cmp_gt_i16_e32 vcc_lo, 6, v4
	s_cbranch_vccnz .LBB264_1196
; %bb.1194:
	v_cmp_lt_i16_e32 vcc_lo, 6, v4
	s_cbranch_vccz .LBB264_1197
; %bb.1195:
	global_load_b64 v[8:9], v[0:1], off
	s_mov_b32 s0, 0
	s_waitcnt vmcnt(0)
	v_cvt_f32_f64_e32 v6, v[8:9]
	s_delay_alu instid0(VALU_DEP_1)
	v_cvt_f16_f32_e32 v6, v6
	s_branch .LBB264_1198
.LBB264_1196:
	s_mov_b32 s0, -1
                                        ; implicit-def: $vgpr6
	s_branch .LBB264_1201
.LBB264_1197:
	s_mov_b32 s0, -1
                                        ; implicit-def: $vgpr6
.LBB264_1198:
	s_delay_alu instid0(SALU_CYCLE_1)
	s_and_not1_b32 vcc_lo, exec_lo, s0
	s_cbranch_vccnz .LBB264_1200
; %bb.1199:
	global_load_b32 v6, v[0:1], off
	s_waitcnt vmcnt(0)
	v_cvt_f16_f32_e32 v6, v6
.LBB264_1200:
	s_mov_b32 s0, 0
.LBB264_1201:
	s_delay_alu instid0(SALU_CYCLE_1)
	s_and_not1_b32 vcc_lo, exec_lo, s0
	s_cbranch_vccnz .LBB264_1203
; %bb.1202:
	global_load_u16 v6, v[0:1], off
.LBB264_1203:
	s_cbranch_execnz .LBB264_1223
.LBB264_1204:
	v_cmp_gt_i16_e32 vcc_lo, 2, v4
	s_cbranch_vccnz .LBB264_1208
; %bb.1205:
	v_cmp_gt_i16_e32 vcc_lo, 3, v4
	s_cbranch_vccnz .LBB264_1209
; %bb.1206:
	v_cmp_lt_i16_e32 vcc_lo, 3, v4
	s_cbranch_vccz .LBB264_1210
; %bb.1207:
	global_load_b64 v[8:9], v[0:1], off
	s_mov_b32 s0, 0
	s_waitcnt vmcnt(0)
	v_xor_b32_e32 v6, v8, v9
	v_cls_i32_e32 v10, v9
	s_delay_alu instid0(VALU_DEP_2) | instskip(NEXT) | instid1(VALU_DEP_2)
	v_ashrrev_i32_e32 v6, 31, v6
	v_add_nc_u32_e32 v10, -1, v10
	s_delay_alu instid0(VALU_DEP_2) | instskip(NEXT) | instid1(VALU_DEP_1)
	v_add_nc_u32_e32 v6, 32, v6
	v_min_u32_e32 v6, v10, v6
	s_delay_alu instid0(VALU_DEP_1) | instskip(SKIP_1) | instid1(VALU_DEP_2)
	v_lshlrev_b64 v[8:9], v6, v[8:9]
	v_sub_nc_u32_e32 v6, 32, v6
	v_min_u32_e32 v8, 1, v8
	s_delay_alu instid0(VALU_DEP_1) | instskip(NEXT) | instid1(VALU_DEP_1)
	v_or_b32_e32 v8, v9, v8
	v_cvt_f32_i32_e32 v8, v8
	s_delay_alu instid0(VALU_DEP_1) | instskip(NEXT) | instid1(VALU_DEP_1)
	v_ldexp_f32 v6, v8, v6
	v_cvt_f16_f32_e32 v6, v6
	s_branch .LBB264_1211
.LBB264_1208:
	s_mov_b32 s0, -1
                                        ; implicit-def: $vgpr6
	s_branch .LBB264_1217
.LBB264_1209:
	s_mov_b32 s0, -1
                                        ; implicit-def: $vgpr6
	s_branch .LBB264_1214
.LBB264_1210:
	s_mov_b32 s0, -1
                                        ; implicit-def: $vgpr6
.LBB264_1211:
	s_delay_alu instid0(SALU_CYCLE_1)
	s_and_not1_b32 vcc_lo, exec_lo, s0
	s_cbranch_vccnz .LBB264_1213
; %bb.1212:
	global_load_b32 v6, v[0:1], off
	s_waitcnt vmcnt(0)
	v_cvt_f32_i32_e32 v6, v6
	s_delay_alu instid0(VALU_DEP_1)
	v_cvt_f16_f32_e32 v6, v6
.LBB264_1213:
	s_mov_b32 s0, 0
.LBB264_1214:
	s_delay_alu instid0(SALU_CYCLE_1)
	s_and_not1_b32 vcc_lo, exec_lo, s0
	s_cbranch_vccnz .LBB264_1216
; %bb.1215:
	global_load_u16 v6, v[0:1], off
	s_waitcnt vmcnt(0)
	v_cvt_f16_i16_e32 v6, v6
.LBB264_1216:
	s_mov_b32 s0, 0
.LBB264_1217:
	s_delay_alu instid0(SALU_CYCLE_1)
	s_and_not1_b32 vcc_lo, exec_lo, s0
	s_cbranch_vccnz .LBB264_1223
; %bb.1218:
	v_cmp_lt_i16_e32 vcc_lo, 0, v4
	s_mov_b32 s0, 0
	s_cbranch_vccz .LBB264_1220
; %bb.1219:
	global_load_i8 v6, v[0:1], off
	s_waitcnt vmcnt(0)
	v_cvt_f16_i16_e32 v6, v6
	s_branch .LBB264_1221
.LBB264_1220:
	s_mov_b32 s0, -1
                                        ; implicit-def: $vgpr6
.LBB264_1221:
	s_delay_alu instid0(SALU_CYCLE_1)
	s_and_not1_b32 vcc_lo, exec_lo, s0
	s_cbranch_vccnz .LBB264_1223
; %bb.1222:
	global_load_u8 v0, v[0:1], off
	s_waitcnt vmcnt(0)
	v_cvt_f16_u16_e32 v6, v0
.LBB264_1223:
	s_branch .LBB264_1296
.LBB264_1224:
	s_trap 2
	s_sendmsg_rtn_b32 s0, sendmsg(MSG_RTN_GET_DOORBELL)
	s_mov_b32 ttmp2, m0
	s_waitcnt lgkmcnt(0)
	s_and_b32 s0, s0, 0x3ff
	s_delay_alu instid0(SALU_CYCLE_1) | instskip(NEXT) | instid1(SALU_CYCLE_1)
	s_bitset1_b32 s0, 10
	s_mov_b32 m0, s0
	s_sendmsg sendmsg(MSG_INTERRUPT)
	s_mov_b32 m0, ttmp2
.LBB264_1225:                           ; =>This Inner Loop Header: Depth=1
	s_sethalt 5
	s_branch .LBB264_1225
.LBB264_1226:
	s_or_saveexec_b32 s15, s15
                                        ; implicit-def: $sgpr16
	s_delay_alu instid0(SALU_CYCLE_1)
	s_xor_b32 exec_lo, exec_lo, s15
	s_cbranch_execz .LBB264_956
.LBB264_1227:
	v_add_f32_e64 v3, 0x42800000, |v2|
	s_and_not1_b32 s14, s14, exec_lo
	s_mov_b32 s16, 0
	s_delay_alu instid0(VALU_DEP_1) | instskip(NEXT) | instid1(VALU_DEP_1)
	v_and_b32_e32 v3, 0xff, v3
	v_cmp_ne_u32_e32 vcc_lo, 0, v3
	s_and_b32 s17, vcc_lo, exec_lo
	s_delay_alu instid0(SALU_CYCLE_1)
	s_or_b32 s14, s14, s17
	s_or_b32 exec_lo, exec_lo, s15
	v_mov_b32_e32 v6, s16
	s_and_saveexec_b32 s15, s14
	s_cbranch_execnz .LBB264_957
	s_branch .LBB264_958
.LBB264_1228:
	s_mov_b32 s0, -1
	s_mov_b32 s11, 0
.LBB264_1229:
                                        ; implicit-def: $vgpr6
.LBB264_1230:
	s_and_b32 vcc_lo, exec_lo, s12
	s_cbranch_vccz .LBB264_1234
; %bb.1231:
	v_cmp_eq_u16_e32 vcc_lo, 44, v4
	s_cbranch_vccz .LBB264_1233
; %bb.1232:
	global_load_u8 v6, v[0:1], off
	s_mov_b32 s0, 0
	s_mov_b32 s11, -1
	s_waitcnt vmcnt(0)
	v_lshlrev_b32_e32 v8, 23, v6
	v_cmp_ne_u32_e32 vcc_lo, 0xff, v6
	s_delay_alu instid0(VALU_DEP_2) | instskip(NEXT) | instid1(VALU_DEP_1)
	v_cvt_f16_f32_e32 v8, v8
	v_cndmask_b32_e32 v8, 0x7e00, v8, vcc_lo
	v_cmp_ne_u32_e32 vcc_lo, 0, v6
	s_delay_alu instid0(VALU_DEP_2)
	v_cndmask_b32_e32 v6, 0, v8, vcc_lo
	s_branch .LBB264_1234
.LBB264_1233:
	s_mov_b32 s0, -1
                                        ; implicit-def: $vgpr6
.LBB264_1234:
	s_mov_b32 s12, 0
.LBB264_1235:
	s_delay_alu instid0(SALU_CYCLE_1)
	s_and_b32 vcc_lo, exec_lo, s12
	s_cbranch_vccz .LBB264_1239
; %bb.1236:
	v_cmp_eq_u16_e32 vcc_lo, 29, v4
	s_cbranch_vccz .LBB264_1238
; %bb.1237:
	global_load_b64 v[8:9], v[0:1], off
	s_mov_b32 s0, 0
	s_mov_b32 s11, -1
	s_mov_b32 s12, 0
	s_waitcnt vmcnt(0)
	v_clz_i32_u32_e32 v6, v9
	s_delay_alu instid0(VALU_DEP_1) | instskip(NEXT) | instid1(VALU_DEP_1)
	v_min_u32_e32 v6, 32, v6
	v_lshlrev_b64 v[8:9], v6, v[8:9]
	v_sub_nc_u32_e32 v6, 32, v6
	s_delay_alu instid0(VALU_DEP_2) | instskip(NEXT) | instid1(VALU_DEP_1)
	v_min_u32_e32 v8, 1, v8
	v_or_b32_e32 v8, v9, v8
	s_delay_alu instid0(VALU_DEP_1) | instskip(NEXT) | instid1(VALU_DEP_1)
	v_cvt_f32_u32_e32 v8, v8
	v_ldexp_f32 v6, v8, v6
	s_delay_alu instid0(VALU_DEP_1)
	v_cvt_f16_f32_e32 v6, v6
	s_branch .LBB264_1240
.LBB264_1238:
	s_mov_b32 s0, -1
                                        ; implicit-def: $vgpr6
.LBB264_1239:
	s_mov_b32 s12, 0
.LBB264_1240:
	s_delay_alu instid0(SALU_CYCLE_1)
	s_and_b32 vcc_lo, exec_lo, s12
	s_cbranch_vccz .LBB264_1258
; %bb.1241:
	v_cmp_gt_i16_e32 vcc_lo, 27, v4
	s_cbranch_vccnz .LBB264_1244
; %bb.1242:
	v_cmp_lt_i16_e32 vcc_lo, 27, v4
	s_cbranch_vccz .LBB264_1245
; %bb.1243:
	global_load_b32 v6, v[0:1], off
	s_mov_b32 s11, 0
	s_waitcnt vmcnt(0)
	v_cvt_f32_u32_e32 v6, v6
	s_delay_alu instid0(VALU_DEP_1)
	v_cvt_f16_f32_e32 v6, v6
	s_branch .LBB264_1246
.LBB264_1244:
	s_mov_b32 s11, -1
                                        ; implicit-def: $vgpr6
	s_branch .LBB264_1249
.LBB264_1245:
	s_mov_b32 s11, -1
                                        ; implicit-def: $vgpr6
.LBB264_1246:
	s_delay_alu instid0(SALU_CYCLE_1)
	s_and_not1_b32 vcc_lo, exec_lo, s11
	s_cbranch_vccnz .LBB264_1248
; %bb.1247:
	global_load_u16 v6, v[0:1], off
	s_waitcnt vmcnt(0)
	v_cvt_f16_u16_e32 v6, v6
.LBB264_1248:
	s_mov_b32 s11, 0
.LBB264_1249:
	s_delay_alu instid0(SALU_CYCLE_1)
	s_and_not1_b32 vcc_lo, exec_lo, s11
	s_cbranch_vccnz .LBB264_1257
; %bb.1250:
	global_load_u8 v8, v[0:1], off
	s_mov_b32 s11, 0
	s_mov_b32 s13, exec_lo
                                        ; implicit-def: $sgpr12
	s_waitcnt vmcnt(0)
	v_cmpx_lt_i16_e32 0x7f, v8
	s_xor_b32 s13, exec_lo, s13
	s_cbranch_execz .LBB264_1270
; %bb.1251:
	s_mov_b32 s11, -1
	s_mov_b32 s14, exec_lo
                                        ; implicit-def: $sgpr12
	v_cmpx_eq_u16_e32 0x80, v8
; %bb.1252:
	s_movk_i32 s12, 0x7e00
	s_xor_b32 s11, exec_lo, -1
; %bb.1253:
	s_or_b32 exec_lo, exec_lo, s14
	s_delay_alu instid0(SALU_CYCLE_1)
	s_and_b32 s11, s11, exec_lo
	s_or_saveexec_b32 s13, s13
	v_mov_b32_e32 v6, s12
	s_xor_b32 exec_lo, exec_lo, s13
	s_cbranch_execnz .LBB264_1271
.LBB264_1254:
	s_or_b32 exec_lo, exec_lo, s13
	s_and_saveexec_b32 s12, s11
	s_cbranch_execz .LBB264_1256
.LBB264_1255:
	v_and_b32_e32 v6, 0xffff, v8
	v_lshlrev_b32_e32 v8, 24, v8
	s_delay_alu instid0(VALU_DEP_2) | instskip(NEXT) | instid1(VALU_DEP_2)
	v_and_b32_e32 v9, 7, v6
	v_and_b32_e32 v8, 0x80000000, v8
	s_delay_alu instid0(VALU_DEP_2) | instskip(NEXT) | instid1(VALU_DEP_1)
	v_clz_i32_u32_e32 v10, v9
	v_min_u32_e32 v10, 32, v10
	s_delay_alu instid0(VALU_DEP_1) | instskip(SKIP_1) | instid1(VALU_DEP_2)
	v_subrev_nc_u32_e32 v11, 28, v10
	v_sub_nc_u32_e32 v10, 29, v10
	v_lshlrev_b32_e32 v11, v11, v6
	v_bfe_u32 v6, v6, 3, 4
	s_delay_alu instid0(VALU_DEP_1) | instskip(NEXT) | instid1(VALU_DEP_3)
	v_cmp_eq_u32_e32 vcc_lo, 0, v6
	v_dual_cndmask_b32 v6, v6, v10 :: v_dual_and_b32 v11, 7, v11
	s_delay_alu instid0(VALU_DEP_1) | instskip(NEXT) | instid1(VALU_DEP_2)
	v_cndmask_b32_e32 v9, v9, v11, vcc_lo
	v_lshl_add_u32 v6, v6, 23, 0x3b800000
	s_delay_alu instid0(VALU_DEP_2) | instskip(NEXT) | instid1(VALU_DEP_1)
	v_lshlrev_b32_e32 v9, 20, v9
	v_or3_b32 v6, v8, v6, v9
	s_delay_alu instid0(VALU_DEP_1)
	v_cvt_f16_f32_e32 v6, v6
.LBB264_1256:
	s_or_b32 exec_lo, exec_lo, s12
.LBB264_1257:
	s_mov_b32 s11, -1
.LBB264_1258:
	s_branch .LBB264_1291
.LBB264_1259:
	v_cmp_lt_i16_e32 vcc_lo, 22, v4
	s_cbranch_vccz .LBB264_1269
; %bb.1260:
	v_cmp_gt_i16_e32 vcc_lo, 24, v4
	s_cbranch_vccnz .LBB264_1272
; %bb.1261:
	v_cmp_lt_i16_e32 vcc_lo, 24, v4
	s_cbranch_vccz .LBB264_1273
; %bb.1262:
	global_load_u8 v8, v[0:1], off
	s_mov_b32 s12, exec_lo
                                        ; implicit-def: $sgpr11
	s_waitcnt vmcnt(0)
	v_cmpx_lt_i16_e32 0x7f, v8
	s_xor_b32 s12, exec_lo, s12
	s_cbranch_execz .LBB264_1285
; %bb.1263:
	s_mov_b32 s10, -1
	s_mov_b32 s13, exec_lo
                                        ; implicit-def: $sgpr11
	v_cmpx_eq_u16_e32 0x80, v8
; %bb.1264:
	s_movk_i32 s11, 0x7e00
	s_xor_b32 s10, exec_lo, -1
; %bb.1265:
	s_or_b32 exec_lo, exec_lo, s13
	s_delay_alu instid0(SALU_CYCLE_1)
	s_and_b32 s10, s10, exec_lo
	s_or_saveexec_b32 s12, s12
	v_mov_b32_e32 v6, s11
	s_xor_b32 exec_lo, exec_lo, s12
	s_cbranch_execnz .LBB264_1286
.LBB264_1266:
	s_or_b32 exec_lo, exec_lo, s12
	s_and_saveexec_b32 s11, s10
	s_cbranch_execz .LBB264_1268
.LBB264_1267:
	v_and_b32_e32 v6, 0xffff, v8
	v_lshlrev_b32_e32 v8, 24, v8
	s_delay_alu instid0(VALU_DEP_2) | instskip(NEXT) | instid1(VALU_DEP_2)
	v_and_b32_e32 v9, 3, v6
	v_and_b32_e32 v8, 0x80000000, v8
	s_delay_alu instid0(VALU_DEP_2) | instskip(NEXT) | instid1(VALU_DEP_1)
	v_clz_i32_u32_e32 v10, v9
	v_min_u32_e32 v10, 32, v10
	s_delay_alu instid0(VALU_DEP_1) | instskip(SKIP_1) | instid1(VALU_DEP_2)
	v_subrev_nc_u32_e32 v11, 29, v10
	v_sub_nc_u32_e32 v10, 30, v10
	v_lshlrev_b32_e32 v11, v11, v6
	v_bfe_u32 v6, v6, 2, 5
	s_delay_alu instid0(VALU_DEP_1) | instskip(NEXT) | instid1(VALU_DEP_3)
	v_cmp_eq_u32_e32 vcc_lo, 0, v6
	v_dual_cndmask_b32 v6, v6, v10 :: v_dual_and_b32 v11, 3, v11
	s_delay_alu instid0(VALU_DEP_1) | instskip(NEXT) | instid1(VALU_DEP_2)
	v_cndmask_b32_e32 v9, v9, v11, vcc_lo
	v_lshl_add_u32 v6, v6, 23, 0x37800000
	s_delay_alu instid0(VALU_DEP_2) | instskip(NEXT) | instid1(VALU_DEP_1)
	v_lshlrev_b32_e32 v9, 21, v9
	v_or3_b32 v6, v8, v6, v9
	s_delay_alu instid0(VALU_DEP_1)
	v_cvt_f16_f32_e32 v6, v6
.LBB264_1268:
	s_or_b32 exec_lo, exec_lo, s11
	s_mov_b32 s10, 0
	s_branch .LBB264_1274
.LBB264_1269:
	s_mov_b32 s10, -1
                                        ; implicit-def: $vgpr6
	s_branch .LBB264_1280
.LBB264_1270:
	s_or_saveexec_b32 s13, s13
	v_mov_b32_e32 v6, s12
	s_xor_b32 exec_lo, exec_lo, s13
	s_cbranch_execz .LBB264_1254
.LBB264_1271:
	v_cmp_ne_u16_e32 vcc_lo, 0, v8
	v_mov_b32_e32 v6, v8
	s_and_not1_b32 s11, s11, exec_lo
	s_and_b32 s12, vcc_lo, exec_lo
	s_delay_alu instid0(SALU_CYCLE_1)
	s_or_b32 s11, s11, s12
	s_or_b32 exec_lo, exec_lo, s13
	s_and_saveexec_b32 s12, s11
	s_cbranch_execnz .LBB264_1255
	s_branch .LBB264_1256
.LBB264_1272:
	s_mov_b32 s10, -1
                                        ; implicit-def: $vgpr6
	s_branch .LBB264_1277
.LBB264_1273:
	s_mov_b32 s10, -1
                                        ; implicit-def: $vgpr6
.LBB264_1274:
	s_delay_alu instid0(SALU_CYCLE_1)
	s_and_b32 vcc_lo, exec_lo, s10
	s_cbranch_vccz .LBB264_1276
; %bb.1275:
	global_load_u8 v6, v[0:1], off
	s_waitcnt vmcnt(0)
	v_lshlrev_b32_e32 v6, 24, v6
	s_delay_alu instid0(VALU_DEP_1) | instskip(NEXT) | instid1(VALU_DEP_1)
	v_and_b32_e32 v8, 0x7f000000, v6
	v_clz_i32_u32_e32 v9, v8
	v_cmp_ne_u32_e32 vcc_lo, 0, v8
	v_add_nc_u32_e32 v11, 0x1000000, v8
	s_delay_alu instid0(VALU_DEP_3) | instskip(NEXT) | instid1(VALU_DEP_1)
	v_min_u32_e32 v9, 32, v9
	v_sub_nc_u32_e64 v9, v9, 4 clamp
	s_delay_alu instid0(VALU_DEP_1) | instskip(SKIP_1) | instid1(VALU_DEP_2)
	v_lshlrev_b32_e32 v10, v9, v8
	v_lshlrev_b32_e32 v9, 23, v9
	v_lshrrev_b32_e32 v10, 4, v10
	s_delay_alu instid0(VALU_DEP_1) | instskip(SKIP_1) | instid1(VALU_DEP_2)
	v_sub_nc_u32_e32 v9, v10, v9
	v_ashrrev_i32_e32 v10, 8, v11
	v_add_nc_u32_e32 v9, 0x3c000000, v9
	s_delay_alu instid0(VALU_DEP_1) | instskip(NEXT) | instid1(VALU_DEP_1)
	v_and_or_b32 v9, 0x7f800000, v10, v9
	v_cndmask_b32_e32 v8, 0, v9, vcc_lo
	s_delay_alu instid0(VALU_DEP_1) | instskip(NEXT) | instid1(VALU_DEP_1)
	v_and_or_b32 v6, 0x80000000, v6, v8
	v_cvt_f16_f32_e32 v6, v6
.LBB264_1276:
	s_mov_b32 s10, 0
.LBB264_1277:
	s_delay_alu instid0(SALU_CYCLE_1)
	s_and_not1_b32 vcc_lo, exec_lo, s10
	s_cbranch_vccnz .LBB264_1279
; %bb.1278:
	global_load_u8 v6, v[0:1], off
	s_waitcnt vmcnt(0)
	v_lshlrev_b32_e32 v8, 25, v6
	v_lshlrev_b16 v6, 8, v6
	s_delay_alu instid0(VALU_DEP_2) | instskip(NEXT) | instid1(VALU_DEP_2)
	v_lshrrev_b32_e32 v9, 4, v8
	v_and_or_b32 v10, 0x7f00, v6, 0.5
	v_bfe_i32 v6, v6, 0, 16
	s_delay_alu instid0(VALU_DEP_3) | instskip(NEXT) | instid1(VALU_DEP_1)
	v_or_b32_e32 v9, 0x70000000, v9
	v_dual_add_f32 v10, -0.5, v10 :: v_dual_mul_f32 v9, 0x7800000, v9
	v_cmp_gt_u32_e32 vcc_lo, 0x8000000, v8
	s_delay_alu instid0(VALU_DEP_2) | instskip(NEXT) | instid1(VALU_DEP_1)
	v_cndmask_b32_e32 v8, v9, v10, vcc_lo
	v_and_or_b32 v6, 0x80000000, v6, v8
	s_delay_alu instid0(VALU_DEP_1)
	v_cvt_f16_f32_e32 v6, v6
.LBB264_1279:
	s_mov_b32 s10, 0
	s_mov_b32 s11, -1
.LBB264_1280:
	s_and_not1_b32 vcc_lo, exec_lo, s10
	s_mov_b32 s10, 0
	s_cbranch_vccnz .LBB264_1291
; %bb.1281:
	v_cmp_lt_i16_e32 vcc_lo, 14, v4
	s_cbranch_vccz .LBB264_1284
; %bb.1282:
	v_cmp_eq_u16_e32 vcc_lo, 15, v4
	s_cbranch_vccz .LBB264_1287
; %bb.1283:
	global_load_u16 v6, v[0:1], off
	s_mov_b32 s0, 0
	s_mov_b32 s11, -1
	s_waitcnt vmcnt(0)
	v_lshlrev_b32_e32 v6, 16, v6
	s_delay_alu instid0(VALU_DEP_1)
	v_cvt_f16_f32_e32 v6, v6
	s_branch .LBB264_1289
.LBB264_1284:
	s_mov_b32 s10, -1
	s_branch .LBB264_1288
.LBB264_1285:
	s_or_saveexec_b32 s12, s12
	v_mov_b32_e32 v6, s11
	s_xor_b32 exec_lo, exec_lo, s12
	s_cbranch_execz .LBB264_1266
.LBB264_1286:
	v_cmp_ne_u16_e32 vcc_lo, 0, v8
	v_mov_b32_e32 v6, v8
	s_and_not1_b32 s10, s10, exec_lo
	s_and_b32 s11, vcc_lo, exec_lo
	s_delay_alu instid0(SALU_CYCLE_1)
	s_or_b32 s10, s10, s11
	s_or_b32 exec_lo, exec_lo, s12
	s_and_saveexec_b32 s11, s10
	s_cbranch_execnz .LBB264_1267
	s_branch .LBB264_1268
.LBB264_1287:
	s_mov_b32 s0, -1
.LBB264_1288:
                                        ; implicit-def: $vgpr6
.LBB264_1289:
	s_and_b32 vcc_lo, exec_lo, s10
	s_mov_b32 s10, 0
	s_cbranch_vccz .LBB264_1291
; %bb.1290:
	v_cmp_ne_u16_e64 s0, 11, v4
	s_mov_b32 s10, -1
                                        ; implicit-def: $vgpr6
.LBB264_1291:
	s_delay_alu instid0(VALU_DEP_1)
	s_and_b32 vcc_lo, exec_lo, s0
	s_cbranch_vccnz .LBB264_1315
; %bb.1292:
	s_and_not1_b32 vcc_lo, exec_lo, s10
	s_cbranch_vccnz .LBB264_1294
.LBB264_1293:
	global_load_u8 v6, v[0:1], off
	s_mov_b32 s11, -1
	s_waitcnt vmcnt(0)
	v_cmp_ne_u16_e32 vcc_lo, 0, v6
	v_cndmask_b32_e64 v6, 0, 0x3c00, vcc_lo
.LBB264_1294:
.LBB264_1295:
	s_and_not1_b32 vcc_lo, exec_lo, s11
	s_cbranch_vccnz .LBB264_1996
.LBB264_1296:
	v_add_nc_u32_e32 v8, s3, v7
	v_cmp_gt_i16_e32 vcc_lo, 11, v4
	s_delay_alu instid0(VALU_DEP_2) | instskip(SKIP_1) | instid1(VALU_DEP_1)
	v_ashrrev_i32_e32 v1, 31, v8
	v_add_co_u32 v0, s0, s6, v8
	v_add_co_ci_u32_e64 v1, s0, s7, v1, s0
	s_cbranch_vccnz .LBB264_1303
; %bb.1297:
	v_cmp_lt_i16_e32 vcc_lo, 25, v4
	s_mov_b32 s10, 0
	s_cbranch_vccz .LBB264_1309
; %bb.1298:
	v_cmp_lt_i16_e32 vcc_lo, 28, v4
	s_cbranch_vccz .LBB264_1311
; %bb.1299:
	v_cmp_lt_i16_e32 vcc_lo, 43, v4
	;; [unrolled: 3-line block ×3, first 2 shown]
	s_cbranch_vccz .LBB264_1317
; %bb.1301:
	v_cmp_eq_u16_e32 vcc_lo, 46, v4
	s_mov_b32 s12, 0
	s_cbranch_vccz .LBB264_1360
; %bb.1302:
	global_load_b32 v7, v[0:1], off
	s_mov_b32 s0, 0
	s_mov_b32 s11, -1
	s_waitcnt vmcnt(0)
	v_lshlrev_b32_e32 v7, 16, v7
	s_delay_alu instid0(VALU_DEP_1)
	v_cvt_f16_f32_e32 v7, v7
	s_branch .LBB264_1362
.LBB264_1303:
	s_mov_b32 s11, 0
                                        ; implicit-def: $vgpr7
	s_cbranch_execz .LBB264_1428
; %bb.1304:
	v_cmp_gt_i16_e32 vcc_lo, 5, v4
	s_cbranch_vccnz .LBB264_1310
; %bb.1305:
	v_cmp_gt_i16_e32 vcc_lo, 8, v4
	s_cbranch_vccnz .LBB264_1312
	;; [unrolled: 3-line block ×3, first 2 shown]
; %bb.1307:
	v_cmp_lt_i16_e32 vcc_lo, 9, v4
	s_cbranch_vccz .LBB264_1318
; %bb.1308:
	global_load_b64 v[9:10], v[0:1], off
	s_mov_b32 s0, 0
	s_waitcnt vmcnt(0)
	v_cvt_f32_f64_e32 v7, v[9:10]
	s_delay_alu instid0(VALU_DEP_1)
	v_cvt_f16_f32_e32 v7, v7
	s_branch .LBB264_1319
.LBB264_1309:
	s_mov_b32 s12, -1
	s_mov_b32 s11, 0
	s_mov_b32 s0, 0
                                        ; implicit-def: $vgpr7
	s_branch .LBB264_1391
.LBB264_1310:
	s_mov_b32 s0, -1
                                        ; implicit-def: $vgpr7
	s_branch .LBB264_1337
.LBB264_1311:
	s_mov_b32 s12, -1
	s_mov_b32 s11, 0
	s_mov_b32 s0, 0
                                        ; implicit-def: $vgpr7
	s_branch .LBB264_1372
.LBB264_1312:
	s_mov_b32 s0, -1
                                        ; implicit-def: $vgpr7
	s_branch .LBB264_1325
.LBB264_1313:
	s_mov_b32 s12, -1
	s_mov_b32 s11, 0
	s_mov_b32 s0, 0
                                        ; implicit-def: $vgpr7
	s_branch .LBB264_1367
.LBB264_1314:
	s_mov_b32 s0, -1
                                        ; implicit-def: $vgpr7
	s_branch .LBB264_1322
.LBB264_1315:
	s_cbranch_execnz .LBB264_1358
; %bb.1316:
	s_or_b32 s1, s1, exec_lo
                                        ; implicit-def: $vgpr6
	s_cbranch_execz .LBB264_1293
	s_branch .LBB264_1294
.LBB264_1317:
	s_mov_b32 s12, -1
	s_mov_b32 s11, 0
	s_mov_b32 s0, 0
	s_branch .LBB264_1361
.LBB264_1318:
	s_mov_b32 s0, -1
                                        ; implicit-def: $vgpr7
.LBB264_1319:
	s_delay_alu instid0(SALU_CYCLE_1)
	s_and_not1_b32 vcc_lo, exec_lo, s0
	s_cbranch_vccnz .LBB264_1321
; %bb.1320:
	global_load_b32 v7, v[0:1], off
	s_waitcnt vmcnt(0)
	v_cvt_f16_f32_e32 v7, v7
.LBB264_1321:
	s_mov_b32 s0, 0
.LBB264_1322:
	s_delay_alu instid0(SALU_CYCLE_1)
	s_and_not1_b32 vcc_lo, exec_lo, s0
	s_cbranch_vccnz .LBB264_1324
; %bb.1323:
	global_load_b32 v7, v[0:1], off
.LBB264_1324:
	s_mov_b32 s0, 0
.LBB264_1325:
	s_delay_alu instid0(SALU_CYCLE_1)
	s_and_not1_b32 vcc_lo, exec_lo, s0
	s_cbranch_vccnz .LBB264_1336
; %bb.1326:
	v_cmp_gt_i16_e32 vcc_lo, 6, v4
	s_cbranch_vccnz .LBB264_1329
; %bb.1327:
	v_cmp_lt_i16_e32 vcc_lo, 6, v4
	s_cbranch_vccz .LBB264_1330
; %bb.1328:
	global_load_b64 v[9:10], v[0:1], off
	s_mov_b32 s0, 0
	s_waitcnt vmcnt(0)
	v_cvt_f32_f64_e32 v7, v[9:10]
	s_delay_alu instid0(VALU_DEP_1)
	v_cvt_f16_f32_e32 v7, v7
	s_branch .LBB264_1331
.LBB264_1329:
	s_mov_b32 s0, -1
                                        ; implicit-def: $vgpr7
	s_branch .LBB264_1334
.LBB264_1330:
	s_mov_b32 s0, -1
                                        ; implicit-def: $vgpr7
.LBB264_1331:
	s_delay_alu instid0(SALU_CYCLE_1)
	s_and_not1_b32 vcc_lo, exec_lo, s0
	s_cbranch_vccnz .LBB264_1333
; %bb.1332:
	global_load_b32 v7, v[0:1], off
	s_waitcnt vmcnt(0)
	v_cvt_f16_f32_e32 v7, v7
.LBB264_1333:
	s_mov_b32 s0, 0
.LBB264_1334:
	s_delay_alu instid0(SALU_CYCLE_1)
	s_and_not1_b32 vcc_lo, exec_lo, s0
	s_cbranch_vccnz .LBB264_1336
; %bb.1335:
	global_load_u16 v7, v[0:1], off
.LBB264_1336:
	s_mov_b32 s0, 0
.LBB264_1337:
	s_delay_alu instid0(SALU_CYCLE_1)
	s_and_not1_b32 vcc_lo, exec_lo, s0
	s_cbranch_vccnz .LBB264_1357
; %bb.1338:
	v_cmp_gt_i16_e32 vcc_lo, 2, v4
	s_cbranch_vccnz .LBB264_1342
; %bb.1339:
	v_cmp_gt_i16_e32 vcc_lo, 3, v4
	s_cbranch_vccnz .LBB264_1343
; %bb.1340:
	v_cmp_lt_i16_e32 vcc_lo, 3, v4
	s_cbranch_vccz .LBB264_1344
; %bb.1341:
	global_load_b64 v[9:10], v[0:1], off
	s_mov_b32 s0, 0
	s_waitcnt vmcnt(0)
	v_xor_b32_e32 v7, v9, v10
	v_cls_i32_e32 v11, v10
	s_delay_alu instid0(VALU_DEP_2) | instskip(NEXT) | instid1(VALU_DEP_2)
	v_ashrrev_i32_e32 v7, 31, v7
	v_add_nc_u32_e32 v11, -1, v11
	s_delay_alu instid0(VALU_DEP_2) | instskip(NEXT) | instid1(VALU_DEP_1)
	v_add_nc_u32_e32 v7, 32, v7
	v_min_u32_e32 v7, v11, v7
	s_delay_alu instid0(VALU_DEP_1) | instskip(SKIP_1) | instid1(VALU_DEP_2)
	v_lshlrev_b64 v[9:10], v7, v[9:10]
	v_sub_nc_u32_e32 v7, 32, v7
	v_min_u32_e32 v9, 1, v9
	s_delay_alu instid0(VALU_DEP_1) | instskip(NEXT) | instid1(VALU_DEP_1)
	v_or_b32_e32 v9, v10, v9
	v_cvt_f32_i32_e32 v9, v9
	s_delay_alu instid0(VALU_DEP_1) | instskip(NEXT) | instid1(VALU_DEP_1)
	v_ldexp_f32 v7, v9, v7
	v_cvt_f16_f32_e32 v7, v7
	s_branch .LBB264_1345
.LBB264_1342:
	s_mov_b32 s0, -1
                                        ; implicit-def: $vgpr7
	s_branch .LBB264_1351
.LBB264_1343:
	s_mov_b32 s0, -1
                                        ; implicit-def: $vgpr7
	s_branch .LBB264_1348
.LBB264_1344:
	s_mov_b32 s0, -1
                                        ; implicit-def: $vgpr7
.LBB264_1345:
	s_delay_alu instid0(SALU_CYCLE_1)
	s_and_not1_b32 vcc_lo, exec_lo, s0
	s_cbranch_vccnz .LBB264_1347
; %bb.1346:
	global_load_b32 v7, v[0:1], off
	s_waitcnt vmcnt(0)
	v_cvt_f32_i32_e32 v7, v7
	s_delay_alu instid0(VALU_DEP_1)
	v_cvt_f16_f32_e32 v7, v7
.LBB264_1347:
	s_mov_b32 s0, 0
.LBB264_1348:
	s_delay_alu instid0(SALU_CYCLE_1)
	s_and_not1_b32 vcc_lo, exec_lo, s0
	s_cbranch_vccnz .LBB264_1350
; %bb.1349:
	global_load_u16 v7, v[0:1], off
	s_waitcnt vmcnt(0)
	v_cvt_f16_i16_e32 v7, v7
.LBB264_1350:
	s_mov_b32 s0, 0
.LBB264_1351:
	s_delay_alu instid0(SALU_CYCLE_1)
	s_and_not1_b32 vcc_lo, exec_lo, s0
	s_cbranch_vccnz .LBB264_1357
; %bb.1352:
	v_cmp_lt_i16_e32 vcc_lo, 0, v4
	s_mov_b32 s0, 0
	s_cbranch_vccz .LBB264_1354
; %bb.1353:
	global_load_i8 v7, v[0:1], off
	s_waitcnt vmcnt(0)
	v_cvt_f16_i16_e32 v7, v7
	s_branch .LBB264_1355
.LBB264_1354:
	s_mov_b32 s0, -1
                                        ; implicit-def: $vgpr7
.LBB264_1355:
	s_delay_alu instid0(SALU_CYCLE_1)
	s_and_not1_b32 vcc_lo, exec_lo, s0
	s_cbranch_vccnz .LBB264_1357
; %bb.1356:
	global_load_u8 v0, v[0:1], off
	s_waitcnt vmcnt(0)
	v_cvt_f16_u16_e32 v7, v0
.LBB264_1357:
	s_branch .LBB264_1429
.LBB264_1358:
	s_trap 2
	s_sendmsg_rtn_b32 s0, sendmsg(MSG_RTN_GET_DOORBELL)
	s_mov_b32 ttmp2, m0
	s_waitcnt lgkmcnt(0)
	s_and_b32 s0, s0, 0x3ff
	s_delay_alu instid0(SALU_CYCLE_1) | instskip(NEXT) | instid1(SALU_CYCLE_1)
	s_bitset1_b32 s0, 10
	s_mov_b32 m0, s0
	s_sendmsg sendmsg(MSG_INTERRUPT)
	s_mov_b32 m0, ttmp2
.LBB264_1359:                           ; =>This Inner Loop Header: Depth=1
	s_sethalt 5
	s_branch .LBB264_1359
.LBB264_1360:
	s_mov_b32 s0, -1
	s_mov_b32 s11, 0
.LBB264_1361:
                                        ; implicit-def: $vgpr7
.LBB264_1362:
	s_and_b32 vcc_lo, exec_lo, s12
	s_cbranch_vccz .LBB264_1366
; %bb.1363:
	v_cmp_eq_u16_e32 vcc_lo, 44, v4
	s_cbranch_vccz .LBB264_1365
; %bb.1364:
	global_load_u8 v7, v[0:1], off
	s_mov_b32 s0, 0
	s_mov_b32 s11, -1
	s_waitcnt vmcnt(0)
	v_lshlrev_b32_e32 v9, 23, v7
	v_cmp_ne_u32_e32 vcc_lo, 0xff, v7
	s_delay_alu instid0(VALU_DEP_2) | instskip(NEXT) | instid1(VALU_DEP_1)
	v_cvt_f16_f32_e32 v9, v9
	v_cndmask_b32_e32 v9, 0x7e00, v9, vcc_lo
	v_cmp_ne_u32_e32 vcc_lo, 0, v7
	s_delay_alu instid0(VALU_DEP_2)
	v_cndmask_b32_e32 v7, 0, v9, vcc_lo
	s_branch .LBB264_1366
.LBB264_1365:
	s_mov_b32 s0, -1
                                        ; implicit-def: $vgpr7
.LBB264_1366:
	s_mov_b32 s12, 0
.LBB264_1367:
	s_delay_alu instid0(SALU_CYCLE_1)
	s_and_b32 vcc_lo, exec_lo, s12
	s_cbranch_vccz .LBB264_1371
; %bb.1368:
	v_cmp_eq_u16_e32 vcc_lo, 29, v4
	s_cbranch_vccz .LBB264_1370
; %bb.1369:
	global_load_b64 v[9:10], v[0:1], off
	s_mov_b32 s0, 0
	s_mov_b32 s11, -1
	s_mov_b32 s12, 0
	s_waitcnt vmcnt(0)
	v_clz_i32_u32_e32 v7, v10
	s_delay_alu instid0(VALU_DEP_1) | instskip(NEXT) | instid1(VALU_DEP_1)
	v_min_u32_e32 v7, 32, v7
	v_lshlrev_b64 v[9:10], v7, v[9:10]
	v_sub_nc_u32_e32 v7, 32, v7
	s_delay_alu instid0(VALU_DEP_2) | instskip(NEXT) | instid1(VALU_DEP_1)
	v_min_u32_e32 v9, 1, v9
	v_or_b32_e32 v9, v10, v9
	s_delay_alu instid0(VALU_DEP_1) | instskip(NEXT) | instid1(VALU_DEP_1)
	v_cvt_f32_u32_e32 v9, v9
	v_ldexp_f32 v7, v9, v7
	s_delay_alu instid0(VALU_DEP_1)
	v_cvt_f16_f32_e32 v7, v7
	s_branch .LBB264_1372
.LBB264_1370:
	s_mov_b32 s0, -1
                                        ; implicit-def: $vgpr7
.LBB264_1371:
	s_mov_b32 s12, 0
.LBB264_1372:
	s_delay_alu instid0(SALU_CYCLE_1)
	s_and_b32 vcc_lo, exec_lo, s12
	s_cbranch_vccz .LBB264_1390
; %bb.1373:
	v_cmp_gt_i16_e32 vcc_lo, 27, v4
	s_cbranch_vccnz .LBB264_1376
; %bb.1374:
	v_cmp_lt_i16_e32 vcc_lo, 27, v4
	s_cbranch_vccz .LBB264_1377
; %bb.1375:
	global_load_b32 v7, v[0:1], off
	s_mov_b32 s11, 0
	s_waitcnt vmcnt(0)
	v_cvt_f32_u32_e32 v7, v7
	s_delay_alu instid0(VALU_DEP_1)
	v_cvt_f16_f32_e32 v7, v7
	s_branch .LBB264_1378
.LBB264_1376:
	s_mov_b32 s11, -1
                                        ; implicit-def: $vgpr7
	s_branch .LBB264_1381
.LBB264_1377:
	s_mov_b32 s11, -1
                                        ; implicit-def: $vgpr7
.LBB264_1378:
	s_delay_alu instid0(SALU_CYCLE_1)
	s_and_not1_b32 vcc_lo, exec_lo, s11
	s_cbranch_vccnz .LBB264_1380
; %bb.1379:
	global_load_u16 v7, v[0:1], off
	s_waitcnt vmcnt(0)
	v_cvt_f16_u16_e32 v7, v7
.LBB264_1380:
	s_mov_b32 s11, 0
.LBB264_1381:
	s_delay_alu instid0(SALU_CYCLE_1)
	s_and_not1_b32 vcc_lo, exec_lo, s11
	s_cbranch_vccnz .LBB264_1389
; %bb.1382:
	global_load_u8 v9, v[0:1], off
	s_mov_b32 s11, 0
	s_mov_b32 s13, exec_lo
                                        ; implicit-def: $sgpr12
	s_waitcnt vmcnt(0)
	v_cmpx_lt_i16_e32 0x7f, v9
	s_xor_b32 s13, exec_lo, s13
	s_cbranch_execz .LBB264_1403
; %bb.1383:
	s_mov_b32 s11, -1
	s_mov_b32 s14, exec_lo
                                        ; implicit-def: $sgpr12
	v_cmpx_eq_u16_e32 0x80, v9
; %bb.1384:
	s_movk_i32 s12, 0x7e00
	s_xor_b32 s11, exec_lo, -1
; %bb.1385:
	s_or_b32 exec_lo, exec_lo, s14
	s_delay_alu instid0(SALU_CYCLE_1)
	s_and_b32 s11, s11, exec_lo
	s_or_saveexec_b32 s13, s13
	v_mov_b32_e32 v7, s12
	s_xor_b32 exec_lo, exec_lo, s13
	s_cbranch_execnz .LBB264_1404
.LBB264_1386:
	s_or_b32 exec_lo, exec_lo, s13
	s_and_saveexec_b32 s12, s11
	s_cbranch_execz .LBB264_1388
.LBB264_1387:
	v_and_b32_e32 v7, 0xffff, v9
	v_lshlrev_b32_e32 v9, 24, v9
	s_delay_alu instid0(VALU_DEP_2) | instskip(NEXT) | instid1(VALU_DEP_2)
	v_and_b32_e32 v10, 7, v7
	v_and_b32_e32 v9, 0x80000000, v9
	s_delay_alu instid0(VALU_DEP_2) | instskip(NEXT) | instid1(VALU_DEP_1)
	v_clz_i32_u32_e32 v11, v10
	v_min_u32_e32 v11, 32, v11
	s_delay_alu instid0(VALU_DEP_1) | instskip(SKIP_1) | instid1(VALU_DEP_2)
	v_subrev_nc_u32_e32 v12, 28, v11
	v_sub_nc_u32_e32 v11, 29, v11
	v_lshlrev_b32_e32 v12, v12, v7
	v_bfe_u32 v7, v7, 3, 4
	s_delay_alu instid0(VALU_DEP_1) | instskip(NEXT) | instid1(VALU_DEP_3)
	v_cmp_eq_u32_e32 vcc_lo, 0, v7
	v_dual_cndmask_b32 v7, v7, v11 :: v_dual_and_b32 v12, 7, v12
	s_delay_alu instid0(VALU_DEP_1) | instskip(NEXT) | instid1(VALU_DEP_2)
	v_cndmask_b32_e32 v10, v10, v12, vcc_lo
	v_lshl_add_u32 v7, v7, 23, 0x3b800000
	s_delay_alu instid0(VALU_DEP_2) | instskip(NEXT) | instid1(VALU_DEP_1)
	v_lshlrev_b32_e32 v10, 20, v10
	v_or3_b32 v7, v9, v7, v10
	s_delay_alu instid0(VALU_DEP_1)
	v_cvt_f16_f32_e32 v7, v7
.LBB264_1388:
	s_or_b32 exec_lo, exec_lo, s12
.LBB264_1389:
	s_mov_b32 s11, -1
.LBB264_1390:
	s_mov_b32 s12, 0
.LBB264_1391:
	s_delay_alu instid0(SALU_CYCLE_1)
	s_and_b32 vcc_lo, exec_lo, s12
	s_cbranch_vccz .LBB264_1424
; %bb.1392:
	v_cmp_lt_i16_e32 vcc_lo, 22, v4
	s_cbranch_vccz .LBB264_1402
; %bb.1393:
	v_cmp_gt_i16_e32 vcc_lo, 24, v4
	s_cbranch_vccnz .LBB264_1405
; %bb.1394:
	v_cmp_lt_i16_e32 vcc_lo, 24, v4
	s_cbranch_vccz .LBB264_1406
; %bb.1395:
	global_load_u8 v9, v[0:1], off
	s_mov_b32 s12, exec_lo
                                        ; implicit-def: $sgpr11
	s_waitcnt vmcnt(0)
	v_cmpx_lt_i16_e32 0x7f, v9
	s_xor_b32 s12, exec_lo, s12
	s_cbranch_execz .LBB264_1418
; %bb.1396:
	s_mov_b32 s10, -1
	s_mov_b32 s13, exec_lo
                                        ; implicit-def: $sgpr11
	v_cmpx_eq_u16_e32 0x80, v9
; %bb.1397:
	s_movk_i32 s11, 0x7e00
	s_xor_b32 s10, exec_lo, -1
; %bb.1398:
	s_or_b32 exec_lo, exec_lo, s13
	s_delay_alu instid0(SALU_CYCLE_1)
	s_and_b32 s10, s10, exec_lo
	s_or_saveexec_b32 s12, s12
	v_mov_b32_e32 v7, s11
	s_xor_b32 exec_lo, exec_lo, s12
	s_cbranch_execnz .LBB264_1419
.LBB264_1399:
	s_or_b32 exec_lo, exec_lo, s12
	s_and_saveexec_b32 s11, s10
	s_cbranch_execz .LBB264_1401
.LBB264_1400:
	v_and_b32_e32 v7, 0xffff, v9
	v_lshlrev_b32_e32 v9, 24, v9
	s_delay_alu instid0(VALU_DEP_2) | instskip(NEXT) | instid1(VALU_DEP_2)
	v_and_b32_e32 v10, 3, v7
	v_and_b32_e32 v9, 0x80000000, v9
	s_delay_alu instid0(VALU_DEP_2) | instskip(NEXT) | instid1(VALU_DEP_1)
	v_clz_i32_u32_e32 v11, v10
	v_min_u32_e32 v11, 32, v11
	s_delay_alu instid0(VALU_DEP_1) | instskip(SKIP_1) | instid1(VALU_DEP_2)
	v_subrev_nc_u32_e32 v12, 29, v11
	v_sub_nc_u32_e32 v11, 30, v11
	v_lshlrev_b32_e32 v12, v12, v7
	v_bfe_u32 v7, v7, 2, 5
	s_delay_alu instid0(VALU_DEP_1) | instskip(NEXT) | instid1(VALU_DEP_3)
	v_cmp_eq_u32_e32 vcc_lo, 0, v7
	v_dual_cndmask_b32 v7, v7, v11 :: v_dual_and_b32 v12, 3, v12
	s_delay_alu instid0(VALU_DEP_1) | instskip(NEXT) | instid1(VALU_DEP_2)
	v_cndmask_b32_e32 v10, v10, v12, vcc_lo
	v_lshl_add_u32 v7, v7, 23, 0x37800000
	s_delay_alu instid0(VALU_DEP_2) | instskip(NEXT) | instid1(VALU_DEP_1)
	v_lshlrev_b32_e32 v10, 21, v10
	v_or3_b32 v7, v9, v7, v10
	s_delay_alu instid0(VALU_DEP_1)
	v_cvt_f16_f32_e32 v7, v7
.LBB264_1401:
	s_or_b32 exec_lo, exec_lo, s11
	s_mov_b32 s10, 0
	s_branch .LBB264_1407
.LBB264_1402:
	s_mov_b32 s10, -1
                                        ; implicit-def: $vgpr7
	s_branch .LBB264_1413
.LBB264_1403:
	s_or_saveexec_b32 s13, s13
	v_mov_b32_e32 v7, s12
	s_xor_b32 exec_lo, exec_lo, s13
	s_cbranch_execz .LBB264_1386
.LBB264_1404:
	v_cmp_ne_u16_e32 vcc_lo, 0, v9
	v_mov_b32_e32 v7, v9
	s_and_not1_b32 s11, s11, exec_lo
	s_and_b32 s12, vcc_lo, exec_lo
	s_delay_alu instid0(SALU_CYCLE_1)
	s_or_b32 s11, s11, s12
	s_or_b32 exec_lo, exec_lo, s13
	s_and_saveexec_b32 s12, s11
	s_cbranch_execnz .LBB264_1387
	s_branch .LBB264_1388
.LBB264_1405:
	s_mov_b32 s10, -1
                                        ; implicit-def: $vgpr7
	s_branch .LBB264_1410
.LBB264_1406:
	s_mov_b32 s10, -1
                                        ; implicit-def: $vgpr7
.LBB264_1407:
	s_delay_alu instid0(SALU_CYCLE_1)
	s_and_b32 vcc_lo, exec_lo, s10
	s_cbranch_vccz .LBB264_1409
; %bb.1408:
	global_load_u8 v7, v[0:1], off
	s_waitcnt vmcnt(0)
	v_lshlrev_b32_e32 v7, 24, v7
	s_delay_alu instid0(VALU_DEP_1) | instskip(NEXT) | instid1(VALU_DEP_1)
	v_and_b32_e32 v9, 0x7f000000, v7
	v_clz_i32_u32_e32 v10, v9
	v_cmp_ne_u32_e32 vcc_lo, 0, v9
	v_add_nc_u32_e32 v12, 0x1000000, v9
	s_delay_alu instid0(VALU_DEP_3) | instskip(NEXT) | instid1(VALU_DEP_1)
	v_min_u32_e32 v10, 32, v10
	v_sub_nc_u32_e64 v10, v10, 4 clamp
	s_delay_alu instid0(VALU_DEP_1) | instskip(SKIP_1) | instid1(VALU_DEP_2)
	v_lshlrev_b32_e32 v11, v10, v9
	v_lshlrev_b32_e32 v10, 23, v10
	v_lshrrev_b32_e32 v11, 4, v11
	s_delay_alu instid0(VALU_DEP_1) | instskip(SKIP_1) | instid1(VALU_DEP_2)
	v_sub_nc_u32_e32 v10, v11, v10
	v_ashrrev_i32_e32 v11, 8, v12
	v_add_nc_u32_e32 v10, 0x3c000000, v10
	s_delay_alu instid0(VALU_DEP_1) | instskip(NEXT) | instid1(VALU_DEP_1)
	v_and_or_b32 v10, 0x7f800000, v11, v10
	v_cndmask_b32_e32 v9, 0, v10, vcc_lo
	s_delay_alu instid0(VALU_DEP_1) | instskip(NEXT) | instid1(VALU_DEP_1)
	v_and_or_b32 v7, 0x80000000, v7, v9
	v_cvt_f16_f32_e32 v7, v7
.LBB264_1409:
	s_mov_b32 s10, 0
.LBB264_1410:
	s_delay_alu instid0(SALU_CYCLE_1)
	s_and_not1_b32 vcc_lo, exec_lo, s10
	s_cbranch_vccnz .LBB264_1412
; %bb.1411:
	global_load_u8 v7, v[0:1], off
	s_waitcnt vmcnt(0)
	v_lshlrev_b32_e32 v9, 25, v7
	v_lshlrev_b16 v7, 8, v7
	s_delay_alu instid0(VALU_DEP_2) | instskip(NEXT) | instid1(VALU_DEP_2)
	v_lshrrev_b32_e32 v10, 4, v9
	v_and_or_b32 v11, 0x7f00, v7, 0.5
	v_bfe_i32 v7, v7, 0, 16
	s_delay_alu instid0(VALU_DEP_3) | instskip(NEXT) | instid1(VALU_DEP_1)
	v_or_b32_e32 v10, 0x70000000, v10
	v_dual_add_f32 v11, -0.5, v11 :: v_dual_mul_f32 v10, 0x7800000, v10
	v_cmp_gt_u32_e32 vcc_lo, 0x8000000, v9
	s_delay_alu instid0(VALU_DEP_2) | instskip(NEXT) | instid1(VALU_DEP_1)
	v_cndmask_b32_e32 v9, v10, v11, vcc_lo
	v_and_or_b32 v7, 0x80000000, v7, v9
	s_delay_alu instid0(VALU_DEP_1)
	v_cvt_f16_f32_e32 v7, v7
.LBB264_1412:
	s_mov_b32 s10, 0
	s_mov_b32 s11, -1
.LBB264_1413:
	s_and_not1_b32 vcc_lo, exec_lo, s10
	s_mov_b32 s10, 0
	s_cbranch_vccnz .LBB264_1424
; %bb.1414:
	v_cmp_lt_i16_e32 vcc_lo, 14, v4
	s_cbranch_vccz .LBB264_1417
; %bb.1415:
	v_cmp_eq_u16_e32 vcc_lo, 15, v4
	s_cbranch_vccz .LBB264_1420
; %bb.1416:
	global_load_u16 v7, v[0:1], off
	s_mov_b32 s0, 0
	s_mov_b32 s11, -1
	s_waitcnt vmcnt(0)
	v_lshlrev_b32_e32 v7, 16, v7
	s_delay_alu instid0(VALU_DEP_1)
	v_cvt_f16_f32_e32 v7, v7
	s_branch .LBB264_1422
.LBB264_1417:
	s_mov_b32 s10, -1
	s_branch .LBB264_1421
.LBB264_1418:
	s_or_saveexec_b32 s12, s12
	v_mov_b32_e32 v7, s11
	s_xor_b32 exec_lo, exec_lo, s12
	s_cbranch_execz .LBB264_1399
.LBB264_1419:
	v_cmp_ne_u16_e32 vcc_lo, 0, v9
	v_mov_b32_e32 v7, v9
	s_and_not1_b32 s10, s10, exec_lo
	s_and_b32 s11, vcc_lo, exec_lo
	s_delay_alu instid0(SALU_CYCLE_1)
	s_or_b32 s10, s10, s11
	s_or_b32 exec_lo, exec_lo, s12
	s_and_saveexec_b32 s11, s10
	s_cbranch_execnz .LBB264_1400
	s_branch .LBB264_1401
.LBB264_1420:
	s_mov_b32 s0, -1
.LBB264_1421:
                                        ; implicit-def: $vgpr7
.LBB264_1422:
	s_and_b32 vcc_lo, exec_lo, s10
	s_mov_b32 s10, 0
	s_cbranch_vccz .LBB264_1424
; %bb.1423:
	v_cmp_ne_u16_e64 s0, 11, v4
	s_mov_b32 s10, -1
                                        ; implicit-def: $vgpr7
.LBB264_1424:
	s_delay_alu instid0(VALU_DEP_1)
	s_and_b32 vcc_lo, exec_lo, s0
	s_cbranch_vccnz .LBB264_1440
; %bb.1425:
	s_and_not1_b32 vcc_lo, exec_lo, s10
	s_cbranch_vccnz .LBB264_1427
.LBB264_1426:
	global_load_u8 v7, v[0:1], off
	s_mov_b32 s11, -1
	s_waitcnt vmcnt(0)
	v_cmp_ne_u16_e32 vcc_lo, 0, v7
	v_cndmask_b32_e64 v7, 0, 0x3c00, vcc_lo
.LBB264_1427:
.LBB264_1428:
	s_and_not1_b32 vcc_lo, exec_lo, s11
	s_cbranch_vccnz .LBB264_1996
.LBB264_1429:
	v_add_nc_u32_e32 v0, s3, v8
	v_cmp_gt_i16_e32 vcc_lo, 11, v4
	s_delay_alu instid0(VALU_DEP_2) | instskip(SKIP_1) | instid1(VALU_DEP_1)
	v_ashrrev_i32_e32 v1, 31, v0
	v_add_co_u32 v0, s0, s6, v0
	v_add_co_ci_u32_e64 v1, s0, s7, v1, s0
	s_cbranch_vccnz .LBB264_1436
; %bb.1430:
	v_cmp_lt_i16_e32 vcc_lo, 25, v4
	s_mov_b32 s3, 0
	s_cbranch_vccz .LBB264_1437
; %bb.1431:
	v_cmp_lt_i16_e32 vcc_lo, 28, v4
	s_cbranch_vccz .LBB264_1438
; %bb.1432:
	v_cmp_lt_i16_e32 vcc_lo, 43, v4
	;; [unrolled: 3-line block ×3, first 2 shown]
	s_cbranch_vccz .LBB264_1442
; %bb.1434:
	v_cmp_eq_u16_e32 vcc_lo, 46, v4
	s_mov_b32 s7, 0
	s_cbranch_vccz .LBB264_1445
; %bb.1435:
	global_load_b32 v8, v[0:1], off
	s_mov_b32 s0, 0
	s_mov_b32 s6, -1
	s_waitcnt vmcnt(0)
	v_lshlrev_b32_e32 v8, 16, v8
	s_delay_alu instid0(VALU_DEP_1)
	v_cvt_f16_f32_e32 v8, v8
	s_branch .LBB264_1447
.LBB264_1436:
	s_mov_b32 s0, -1
	s_mov_b32 s6, 0
                                        ; implicit-def: $vgpr8
	s_branch .LBB264_1513
.LBB264_1437:
	s_mov_b32 s7, -1
	s_mov_b32 s6, 0
	s_mov_b32 s0, 0
                                        ; implicit-def: $vgpr8
	s_branch .LBB264_1476
.LBB264_1438:
	s_mov_b32 s7, -1
	s_mov_b32 s6, 0
	s_mov_b32 s0, 0
                                        ; implicit-def: $vgpr8
	s_branch .LBB264_1457
.LBB264_1439:
	s_mov_b32 s7, -1
	s_mov_b32 s6, 0
	s_mov_b32 s0, 0
                                        ; implicit-def: $vgpr8
	s_branch .LBB264_1452
.LBB264_1440:
	s_cbranch_execnz .LBB264_1443
; %bb.1441:
	s_or_b32 s1, s1, exec_lo
                                        ; implicit-def: $vgpr7
	s_cbranch_execz .LBB264_1426
	s_branch .LBB264_1427
.LBB264_1442:
	s_mov_b32 s7, -1
	s_mov_b32 s6, 0
	s_mov_b32 s0, 0
	s_branch .LBB264_1446
.LBB264_1443:
	s_trap 2
	s_sendmsg_rtn_b32 s0, sendmsg(MSG_RTN_GET_DOORBELL)
	s_mov_b32 ttmp2, m0
	s_waitcnt lgkmcnt(0)
	s_and_b32 s0, s0, 0x3ff
	s_delay_alu instid0(SALU_CYCLE_1) | instskip(NEXT) | instid1(SALU_CYCLE_1)
	s_bitset1_b32 s0, 10
	s_mov_b32 m0, s0
	s_sendmsg sendmsg(MSG_INTERRUPT)
	s_mov_b32 m0, ttmp2
.LBB264_1444:                           ; =>This Inner Loop Header: Depth=1
	s_sethalt 5
	s_branch .LBB264_1444
.LBB264_1445:
	s_mov_b32 s0, -1
	s_mov_b32 s6, 0
.LBB264_1446:
                                        ; implicit-def: $vgpr8
.LBB264_1447:
	s_and_b32 vcc_lo, exec_lo, s7
	s_cbranch_vccz .LBB264_1451
; %bb.1448:
	v_cmp_eq_u16_e32 vcc_lo, 44, v4
	s_cbranch_vccz .LBB264_1450
; %bb.1449:
	global_load_u8 v8, v[0:1], off
	s_mov_b32 s0, 0
	s_mov_b32 s6, -1
	s_waitcnt vmcnt(0)
	v_lshlrev_b32_e32 v9, 23, v8
	v_cmp_ne_u32_e32 vcc_lo, 0xff, v8
	s_delay_alu instid0(VALU_DEP_2) | instskip(NEXT) | instid1(VALU_DEP_1)
	v_cvt_f16_f32_e32 v9, v9
	v_cndmask_b32_e32 v9, 0x7e00, v9, vcc_lo
	v_cmp_ne_u32_e32 vcc_lo, 0, v8
	s_delay_alu instid0(VALU_DEP_2)
	v_cndmask_b32_e32 v8, 0, v9, vcc_lo
	s_branch .LBB264_1451
.LBB264_1450:
	s_mov_b32 s0, -1
                                        ; implicit-def: $vgpr8
.LBB264_1451:
	s_mov_b32 s7, 0
.LBB264_1452:
	s_delay_alu instid0(SALU_CYCLE_1)
	s_and_b32 vcc_lo, exec_lo, s7
	s_cbranch_vccz .LBB264_1456
; %bb.1453:
	v_cmp_eq_u16_e32 vcc_lo, 29, v4
	s_cbranch_vccz .LBB264_1455
; %bb.1454:
	global_load_b64 v[8:9], v[0:1], off
	s_mov_b32 s0, 0
	s_mov_b32 s6, -1
	s_mov_b32 s7, 0
	s_waitcnt vmcnt(0)
	v_clz_i32_u32_e32 v10, v9
	s_delay_alu instid0(VALU_DEP_1) | instskip(NEXT) | instid1(VALU_DEP_1)
	v_min_u32_e32 v10, 32, v10
	v_lshlrev_b64 v[8:9], v10, v[8:9]
	s_delay_alu instid0(VALU_DEP_1) | instskip(NEXT) | instid1(VALU_DEP_1)
	v_min_u32_e32 v8, 1, v8
	v_or_b32_e32 v8, v9, v8
	v_sub_nc_u32_e32 v9, 32, v10
	s_delay_alu instid0(VALU_DEP_2) | instskip(NEXT) | instid1(VALU_DEP_1)
	v_cvt_f32_u32_e32 v8, v8
	v_ldexp_f32 v8, v8, v9
	s_delay_alu instid0(VALU_DEP_1)
	v_cvt_f16_f32_e32 v8, v8
	s_branch .LBB264_1457
.LBB264_1455:
	s_mov_b32 s0, -1
                                        ; implicit-def: $vgpr8
.LBB264_1456:
	s_mov_b32 s7, 0
.LBB264_1457:
	s_delay_alu instid0(SALU_CYCLE_1)
	s_and_b32 vcc_lo, exec_lo, s7
	s_cbranch_vccz .LBB264_1475
; %bb.1458:
	v_cmp_gt_i16_e32 vcc_lo, 27, v4
	s_cbranch_vccnz .LBB264_1461
; %bb.1459:
	v_cmp_lt_i16_e32 vcc_lo, 27, v4
	s_cbranch_vccz .LBB264_1462
; %bb.1460:
	global_load_b32 v8, v[0:1], off
	s_mov_b32 s6, 0
	s_waitcnt vmcnt(0)
	v_cvt_f32_u32_e32 v8, v8
	s_delay_alu instid0(VALU_DEP_1)
	v_cvt_f16_f32_e32 v8, v8
	s_branch .LBB264_1463
.LBB264_1461:
	s_mov_b32 s6, -1
                                        ; implicit-def: $vgpr8
	s_branch .LBB264_1466
.LBB264_1462:
	s_mov_b32 s6, -1
                                        ; implicit-def: $vgpr8
.LBB264_1463:
	s_delay_alu instid0(SALU_CYCLE_1)
	s_and_not1_b32 vcc_lo, exec_lo, s6
	s_cbranch_vccnz .LBB264_1465
; %bb.1464:
	global_load_u16 v8, v[0:1], off
	s_waitcnt vmcnt(0)
	v_cvt_f16_u16_e32 v8, v8
.LBB264_1465:
	s_mov_b32 s6, 0
.LBB264_1466:
	s_delay_alu instid0(SALU_CYCLE_1)
	s_and_not1_b32 vcc_lo, exec_lo, s6
	s_cbranch_vccnz .LBB264_1474
; %bb.1467:
	global_load_u8 v9, v[0:1], off
	s_mov_b32 s6, 0
	s_mov_b32 s10, exec_lo
                                        ; implicit-def: $sgpr7
	s_waitcnt vmcnt(0)
	v_cmpx_lt_i16_e32 0x7f, v9
	s_xor_b32 s10, exec_lo, s10
	s_cbranch_execz .LBB264_1488
; %bb.1468:
	s_mov_b32 s6, -1
	s_mov_b32 s11, exec_lo
                                        ; implicit-def: $sgpr7
	v_cmpx_eq_u16_e32 0x80, v9
; %bb.1469:
	s_movk_i32 s7, 0x7e00
	s_xor_b32 s6, exec_lo, -1
; %bb.1470:
	s_or_b32 exec_lo, exec_lo, s11
	s_delay_alu instid0(SALU_CYCLE_1)
	s_and_b32 s6, s6, exec_lo
	s_or_saveexec_b32 s10, s10
	v_mov_b32_e32 v8, s7
	s_xor_b32 exec_lo, exec_lo, s10
	s_cbranch_execnz .LBB264_1489
.LBB264_1471:
	s_or_b32 exec_lo, exec_lo, s10
	s_and_saveexec_b32 s7, s6
	s_cbranch_execz .LBB264_1473
.LBB264_1472:
	v_and_b32_e32 v8, 0xffff, v9
	s_delay_alu instid0(VALU_DEP_1) | instskip(NEXT) | instid1(VALU_DEP_1)
	v_and_b32_e32 v10, 7, v8
	v_clz_i32_u32_e32 v11, v10
	s_delay_alu instid0(VALU_DEP_1) | instskip(NEXT) | instid1(VALU_DEP_1)
	v_min_u32_e32 v11, 32, v11
	v_subrev_nc_u32_e32 v12, 28, v11
	v_sub_nc_u32_e32 v11, 29, v11
	s_delay_alu instid0(VALU_DEP_2) | instskip(SKIP_1) | instid1(VALU_DEP_2)
	v_lshlrev_b32_e32 v12, v12, v8
	v_bfe_u32 v8, v8, 3, 4
	v_and_b32_e32 v12, 7, v12
	s_delay_alu instid0(VALU_DEP_2) | instskip(SKIP_1) | instid1(VALU_DEP_1)
	v_cmp_eq_u32_e32 vcc_lo, 0, v8
	v_dual_cndmask_b32 v8, v8, v11 :: v_dual_lshlrev_b32 v9, 24, v9
	v_dual_cndmask_b32 v10, v10, v12 :: v_dual_and_b32 v9, 0x80000000, v9
	s_delay_alu instid0(VALU_DEP_2) | instskip(NEXT) | instid1(VALU_DEP_2)
	v_lshl_add_u32 v8, v8, 23, 0x3b800000
	v_lshlrev_b32_e32 v10, 20, v10
	s_delay_alu instid0(VALU_DEP_1) | instskip(NEXT) | instid1(VALU_DEP_1)
	v_or3_b32 v8, v9, v8, v10
	v_cvt_f16_f32_e32 v8, v8
.LBB264_1473:
	s_or_b32 exec_lo, exec_lo, s7
.LBB264_1474:
	s_mov_b32 s6, -1
.LBB264_1475:
	s_mov_b32 s7, 0
.LBB264_1476:
	s_delay_alu instid0(SALU_CYCLE_1)
	s_and_b32 vcc_lo, exec_lo, s7
	s_cbranch_vccz .LBB264_1509
; %bb.1477:
	v_cmp_lt_i16_e32 vcc_lo, 22, v4
	s_cbranch_vccz .LBB264_1487
; %bb.1478:
	v_cmp_gt_i16_e32 vcc_lo, 24, v4
	s_cbranch_vccnz .LBB264_1490
; %bb.1479:
	v_cmp_lt_i16_e32 vcc_lo, 24, v4
	s_cbranch_vccz .LBB264_1491
; %bb.1480:
	global_load_u8 v9, v[0:1], off
	s_mov_b32 s7, exec_lo
                                        ; implicit-def: $sgpr6
	s_waitcnt vmcnt(0)
	v_cmpx_lt_i16_e32 0x7f, v9
	s_xor_b32 s7, exec_lo, s7
	s_cbranch_execz .LBB264_1503
; %bb.1481:
	s_mov_b32 s3, -1
	s_mov_b32 s10, exec_lo
                                        ; implicit-def: $sgpr6
	v_cmpx_eq_u16_e32 0x80, v9
; %bb.1482:
	s_movk_i32 s6, 0x7e00
	s_xor_b32 s3, exec_lo, -1
; %bb.1483:
	s_or_b32 exec_lo, exec_lo, s10
	s_delay_alu instid0(SALU_CYCLE_1)
	s_and_b32 s3, s3, exec_lo
	s_or_saveexec_b32 s7, s7
	v_mov_b32_e32 v8, s6
	s_xor_b32 exec_lo, exec_lo, s7
	s_cbranch_execnz .LBB264_1504
.LBB264_1484:
	s_or_b32 exec_lo, exec_lo, s7
	s_and_saveexec_b32 s6, s3
	s_cbranch_execz .LBB264_1486
.LBB264_1485:
	v_and_b32_e32 v8, 0xffff, v9
	s_delay_alu instid0(VALU_DEP_1) | instskip(NEXT) | instid1(VALU_DEP_1)
	v_and_b32_e32 v10, 3, v8
	v_clz_i32_u32_e32 v11, v10
	s_delay_alu instid0(VALU_DEP_1) | instskip(NEXT) | instid1(VALU_DEP_1)
	v_min_u32_e32 v11, 32, v11
	v_subrev_nc_u32_e32 v12, 29, v11
	v_sub_nc_u32_e32 v11, 30, v11
	s_delay_alu instid0(VALU_DEP_2) | instskip(SKIP_1) | instid1(VALU_DEP_2)
	v_lshlrev_b32_e32 v12, v12, v8
	v_bfe_u32 v8, v8, 2, 5
	v_and_b32_e32 v12, 3, v12
	s_delay_alu instid0(VALU_DEP_2) | instskip(SKIP_1) | instid1(VALU_DEP_1)
	v_cmp_eq_u32_e32 vcc_lo, 0, v8
	v_dual_cndmask_b32 v8, v8, v11 :: v_dual_lshlrev_b32 v9, 24, v9
	v_dual_cndmask_b32 v10, v10, v12 :: v_dual_and_b32 v9, 0x80000000, v9
	s_delay_alu instid0(VALU_DEP_2) | instskip(NEXT) | instid1(VALU_DEP_2)
	v_lshl_add_u32 v8, v8, 23, 0x37800000
	v_lshlrev_b32_e32 v10, 21, v10
	s_delay_alu instid0(VALU_DEP_1) | instskip(NEXT) | instid1(VALU_DEP_1)
	v_or3_b32 v8, v9, v8, v10
	v_cvt_f16_f32_e32 v8, v8
.LBB264_1486:
	s_or_b32 exec_lo, exec_lo, s6
	s_mov_b32 s3, 0
	s_branch .LBB264_1492
.LBB264_1487:
	s_mov_b32 s3, -1
                                        ; implicit-def: $vgpr8
	s_branch .LBB264_1498
.LBB264_1488:
	s_or_saveexec_b32 s10, s10
	v_mov_b32_e32 v8, s7
	s_xor_b32 exec_lo, exec_lo, s10
	s_cbranch_execz .LBB264_1471
.LBB264_1489:
	v_cmp_ne_u16_e32 vcc_lo, 0, v9
	v_mov_b32_e32 v8, v9
	s_and_not1_b32 s6, s6, exec_lo
	s_and_b32 s7, vcc_lo, exec_lo
	s_delay_alu instid0(SALU_CYCLE_1)
	s_or_b32 s6, s6, s7
	s_or_b32 exec_lo, exec_lo, s10
	s_and_saveexec_b32 s7, s6
	s_cbranch_execnz .LBB264_1472
	s_branch .LBB264_1473
.LBB264_1490:
	s_mov_b32 s3, -1
                                        ; implicit-def: $vgpr8
	s_branch .LBB264_1495
.LBB264_1491:
	s_mov_b32 s3, -1
                                        ; implicit-def: $vgpr8
.LBB264_1492:
	s_delay_alu instid0(SALU_CYCLE_1)
	s_and_b32 vcc_lo, exec_lo, s3
	s_cbranch_vccz .LBB264_1494
; %bb.1493:
	global_load_u8 v8, v[0:1], off
	s_waitcnt vmcnt(0)
	v_lshlrev_b32_e32 v8, 24, v8
	s_delay_alu instid0(VALU_DEP_1) | instskip(NEXT) | instid1(VALU_DEP_1)
	v_and_b32_e32 v9, 0x7f000000, v8
	v_clz_i32_u32_e32 v10, v9
	v_add_nc_u32_e32 v12, 0x1000000, v9
	v_cmp_ne_u32_e32 vcc_lo, 0, v9
	s_delay_alu instid0(VALU_DEP_3) | instskip(NEXT) | instid1(VALU_DEP_1)
	v_min_u32_e32 v10, 32, v10
	v_sub_nc_u32_e64 v10, v10, 4 clamp
	s_delay_alu instid0(VALU_DEP_1) | instskip(SKIP_1) | instid1(VALU_DEP_2)
	v_lshlrev_b32_e32 v11, v10, v9
	v_lshlrev_b32_e32 v10, 23, v10
	v_lshrrev_b32_e32 v11, 4, v11
	s_delay_alu instid0(VALU_DEP_1) | instskip(SKIP_1) | instid1(VALU_DEP_2)
	v_sub_nc_u32_e32 v10, v11, v10
	v_ashrrev_i32_e32 v11, 8, v12
	v_add_nc_u32_e32 v10, 0x3c000000, v10
	s_delay_alu instid0(VALU_DEP_1) | instskip(NEXT) | instid1(VALU_DEP_1)
	v_and_or_b32 v10, 0x7f800000, v11, v10
	v_cndmask_b32_e32 v9, 0, v10, vcc_lo
	s_delay_alu instid0(VALU_DEP_1) | instskip(NEXT) | instid1(VALU_DEP_1)
	v_and_or_b32 v8, 0x80000000, v8, v9
	v_cvt_f16_f32_e32 v8, v8
.LBB264_1494:
	s_mov_b32 s3, 0
.LBB264_1495:
	s_delay_alu instid0(SALU_CYCLE_1)
	s_and_not1_b32 vcc_lo, exec_lo, s3
	s_cbranch_vccnz .LBB264_1497
; %bb.1496:
	global_load_u8 v8, v[0:1], off
	s_waitcnt vmcnt(0)
	v_lshlrev_b32_e32 v9, 25, v8
	v_lshlrev_b16 v8, 8, v8
	s_delay_alu instid0(VALU_DEP_2) | instskip(NEXT) | instid1(VALU_DEP_2)
	v_lshrrev_b32_e32 v10, 4, v9
	v_and_or_b32 v11, 0x7f00, v8, 0.5
	v_bfe_i32 v8, v8, 0, 16
	s_delay_alu instid0(VALU_DEP_3) | instskip(NEXT) | instid1(VALU_DEP_1)
	v_or_b32_e32 v10, 0x70000000, v10
	v_dual_add_f32 v11, -0.5, v11 :: v_dual_mul_f32 v10, 0x7800000, v10
	v_cmp_gt_u32_e32 vcc_lo, 0x8000000, v9
	s_delay_alu instid0(VALU_DEP_2) | instskip(NEXT) | instid1(VALU_DEP_1)
	v_cndmask_b32_e32 v9, v10, v11, vcc_lo
	v_and_or_b32 v8, 0x80000000, v8, v9
	s_delay_alu instid0(VALU_DEP_1)
	v_cvt_f16_f32_e32 v8, v8
.LBB264_1497:
	s_mov_b32 s3, 0
	s_mov_b32 s6, -1
.LBB264_1498:
	s_and_not1_b32 vcc_lo, exec_lo, s3
	s_mov_b32 s3, 0
	s_cbranch_vccnz .LBB264_1509
; %bb.1499:
	v_cmp_lt_i16_e32 vcc_lo, 14, v4
	s_cbranch_vccz .LBB264_1502
; %bb.1500:
	v_cmp_eq_u16_e32 vcc_lo, 15, v4
	s_cbranch_vccz .LBB264_1505
; %bb.1501:
	global_load_u16 v8, v[0:1], off
	s_mov_b32 s0, 0
	s_mov_b32 s6, -1
	s_waitcnt vmcnt(0)
	v_lshlrev_b32_e32 v8, 16, v8
	s_delay_alu instid0(VALU_DEP_1)
	v_cvt_f16_f32_e32 v8, v8
	s_branch .LBB264_1507
.LBB264_1502:
	s_mov_b32 s3, -1
	s_branch .LBB264_1506
.LBB264_1503:
	s_or_saveexec_b32 s7, s7
	v_mov_b32_e32 v8, s6
	s_xor_b32 exec_lo, exec_lo, s7
	s_cbranch_execz .LBB264_1484
.LBB264_1504:
	v_cmp_ne_u16_e32 vcc_lo, 0, v9
	v_mov_b32_e32 v8, v9
	s_and_not1_b32 s3, s3, exec_lo
	s_and_b32 s6, vcc_lo, exec_lo
	s_delay_alu instid0(SALU_CYCLE_1)
	s_or_b32 s3, s3, s6
	s_or_b32 exec_lo, exec_lo, s7
	s_and_saveexec_b32 s6, s3
	s_cbranch_execnz .LBB264_1485
	s_branch .LBB264_1486
.LBB264_1505:
	s_mov_b32 s0, -1
.LBB264_1506:
                                        ; implicit-def: $vgpr8
.LBB264_1507:
	s_and_b32 vcc_lo, exec_lo, s3
	s_mov_b32 s3, 0
	s_cbranch_vccz .LBB264_1509
; %bb.1508:
	v_cmp_ne_u16_e64 s0, 11, v4
	s_mov_b32 s3, -1
                                        ; implicit-def: $vgpr8
.LBB264_1509:
	s_delay_alu instid0(VALU_DEP_1)
	s_and_b32 vcc_lo, exec_lo, s0
	s_cbranch_vccnz .LBB264_2042
; %bb.1510:
	s_and_not1_b32 vcc_lo, exec_lo, s3
	s_cbranch_vccnz .LBB264_1512
.LBB264_1511:
	global_load_u8 v8, v[0:1], off
	s_mov_b32 s6, -1
	s_waitcnt vmcnt(0)
	v_cmp_ne_u16_e32 vcc_lo, 0, v8
	v_cndmask_b32_e64 v8, 0, 0x3c00, vcc_lo
.LBB264_1512:
	s_mov_b32 s0, 0
.LBB264_1513:
	s_delay_alu instid0(SALU_CYCLE_1)
	s_and_b32 vcc_lo, exec_lo, s0
	s_cbranch_vccz .LBB264_1562
; %bb.1514:
	v_cmp_gt_i16_e32 vcc_lo, 5, v4
	s_cbranch_vccnz .LBB264_1519
; %bb.1515:
	v_cmp_gt_i16_e32 vcc_lo, 8, v4
	s_cbranch_vccnz .LBB264_1520
	;; [unrolled: 3-line block ×3, first 2 shown]
; %bb.1517:
	v_cmp_lt_i16_e32 vcc_lo, 9, v4
	s_cbranch_vccz .LBB264_1522
; %bb.1518:
	global_load_b64 v[8:9], v[0:1], off
	s_mov_b32 s0, 0
	s_waitcnt vmcnt(0)
	v_cvt_f32_f64_e32 v8, v[8:9]
	s_delay_alu instid0(VALU_DEP_1)
	v_cvt_f16_f32_e32 v8, v8
	s_branch .LBB264_1523
.LBB264_1519:
	s_mov_b32 s0, -1
                                        ; implicit-def: $vgpr8
	s_branch .LBB264_1541
.LBB264_1520:
	s_mov_b32 s0, -1
                                        ; implicit-def: $vgpr8
	s_branch .LBB264_1529
.LBB264_1521:
	s_mov_b32 s0, -1
                                        ; implicit-def: $vgpr8
	s_branch .LBB264_1526
.LBB264_1522:
	s_mov_b32 s0, -1
                                        ; implicit-def: $vgpr8
.LBB264_1523:
	s_delay_alu instid0(SALU_CYCLE_1)
	s_and_not1_b32 vcc_lo, exec_lo, s0
	s_cbranch_vccnz .LBB264_1525
; %bb.1524:
	global_load_b32 v8, v[0:1], off
	s_waitcnt vmcnt(0)
	v_cvt_f16_f32_e32 v8, v8
.LBB264_1525:
	s_mov_b32 s0, 0
.LBB264_1526:
	s_delay_alu instid0(SALU_CYCLE_1)
	s_and_not1_b32 vcc_lo, exec_lo, s0
	s_cbranch_vccnz .LBB264_1528
; %bb.1527:
	global_load_b32 v8, v[0:1], off
.LBB264_1528:
	s_mov_b32 s0, 0
.LBB264_1529:
	s_delay_alu instid0(SALU_CYCLE_1)
	s_and_not1_b32 vcc_lo, exec_lo, s0
	s_cbranch_vccnz .LBB264_1540
; %bb.1530:
	v_cmp_gt_i16_e32 vcc_lo, 6, v4
	s_cbranch_vccnz .LBB264_1533
; %bb.1531:
	v_cmp_lt_i16_e32 vcc_lo, 6, v4
	s_cbranch_vccz .LBB264_1534
; %bb.1532:
	global_load_b64 v[8:9], v[0:1], off
	s_mov_b32 s0, 0
	s_waitcnt vmcnt(0)
	v_cvt_f32_f64_e32 v8, v[8:9]
	s_delay_alu instid0(VALU_DEP_1)
	v_cvt_f16_f32_e32 v8, v8
	s_branch .LBB264_1535
.LBB264_1533:
	s_mov_b32 s0, -1
                                        ; implicit-def: $vgpr8
	s_branch .LBB264_1538
.LBB264_1534:
	s_mov_b32 s0, -1
                                        ; implicit-def: $vgpr8
.LBB264_1535:
	s_delay_alu instid0(SALU_CYCLE_1)
	s_and_not1_b32 vcc_lo, exec_lo, s0
	s_cbranch_vccnz .LBB264_1537
; %bb.1536:
	global_load_b32 v8, v[0:1], off
	s_waitcnt vmcnt(0)
	v_cvt_f16_f32_e32 v8, v8
.LBB264_1537:
	s_mov_b32 s0, 0
.LBB264_1538:
	s_delay_alu instid0(SALU_CYCLE_1)
	s_and_not1_b32 vcc_lo, exec_lo, s0
	s_cbranch_vccnz .LBB264_1540
; %bb.1539:
	global_load_u16 v8, v[0:1], off
.LBB264_1540:
	s_mov_b32 s0, 0
.LBB264_1541:
	s_delay_alu instid0(SALU_CYCLE_1)
	s_and_not1_b32 vcc_lo, exec_lo, s0
	s_cbranch_vccnz .LBB264_1561
; %bb.1542:
	v_cmp_gt_i16_e32 vcc_lo, 2, v4
	s_cbranch_vccnz .LBB264_1546
; %bb.1543:
	v_cmp_gt_i16_e32 vcc_lo, 3, v4
	s_cbranch_vccnz .LBB264_1547
; %bb.1544:
	v_cmp_lt_i16_e32 vcc_lo, 3, v4
	s_cbranch_vccz .LBB264_1548
; %bb.1545:
	global_load_b64 v[8:9], v[0:1], off
	s_mov_b32 s0, 0
	s_waitcnt vmcnt(0)
	v_xor_b32_e32 v10, v8, v9
	v_cls_i32_e32 v11, v9
	s_delay_alu instid0(VALU_DEP_2) | instskip(NEXT) | instid1(VALU_DEP_2)
	v_ashrrev_i32_e32 v10, 31, v10
	v_add_nc_u32_e32 v11, -1, v11
	s_delay_alu instid0(VALU_DEP_2) | instskip(NEXT) | instid1(VALU_DEP_1)
	v_add_nc_u32_e32 v10, 32, v10
	v_min_u32_e32 v10, v11, v10
	s_delay_alu instid0(VALU_DEP_1) | instskip(NEXT) | instid1(VALU_DEP_1)
	v_lshlrev_b64 v[8:9], v10, v[8:9]
	v_min_u32_e32 v8, 1, v8
	s_delay_alu instid0(VALU_DEP_1) | instskip(SKIP_1) | instid1(VALU_DEP_2)
	v_or_b32_e32 v8, v9, v8
	v_sub_nc_u32_e32 v9, 32, v10
	v_cvt_f32_i32_e32 v8, v8
	s_delay_alu instid0(VALU_DEP_1) | instskip(NEXT) | instid1(VALU_DEP_1)
	v_ldexp_f32 v8, v8, v9
	v_cvt_f16_f32_e32 v8, v8
	s_branch .LBB264_1549
.LBB264_1546:
	s_mov_b32 s0, -1
                                        ; implicit-def: $vgpr8
	s_branch .LBB264_1555
.LBB264_1547:
	s_mov_b32 s0, -1
                                        ; implicit-def: $vgpr8
	s_branch .LBB264_1552
.LBB264_1548:
	s_mov_b32 s0, -1
                                        ; implicit-def: $vgpr8
.LBB264_1549:
	s_delay_alu instid0(SALU_CYCLE_1)
	s_and_not1_b32 vcc_lo, exec_lo, s0
	s_cbranch_vccnz .LBB264_1551
; %bb.1550:
	global_load_b32 v8, v[0:1], off
	s_waitcnt vmcnt(0)
	v_cvt_f32_i32_e32 v8, v8
	s_delay_alu instid0(VALU_DEP_1)
	v_cvt_f16_f32_e32 v8, v8
.LBB264_1551:
	s_mov_b32 s0, 0
.LBB264_1552:
	s_delay_alu instid0(SALU_CYCLE_1)
	s_and_not1_b32 vcc_lo, exec_lo, s0
	s_cbranch_vccnz .LBB264_1554
; %bb.1553:
	global_load_u16 v8, v[0:1], off
	s_waitcnt vmcnt(0)
	v_cvt_f16_i16_e32 v8, v8
.LBB264_1554:
	s_mov_b32 s0, 0
.LBB264_1555:
	s_delay_alu instid0(SALU_CYCLE_1)
	s_and_not1_b32 vcc_lo, exec_lo, s0
	s_cbranch_vccnz .LBB264_1561
; %bb.1556:
	v_cmp_lt_i16_e32 vcc_lo, 0, v4
	s_mov_b32 s0, 0
	s_cbranch_vccz .LBB264_1558
; %bb.1557:
	global_load_i8 v4, v[0:1], off
	s_waitcnt vmcnt(0)
	v_cvt_f16_i16_e32 v8, v4
	s_branch .LBB264_1559
.LBB264_1558:
	s_mov_b32 s0, -1
                                        ; implicit-def: $vgpr8
.LBB264_1559:
	s_delay_alu instid0(SALU_CYCLE_1)
	s_and_not1_b32 vcc_lo, exec_lo, s0
	s_cbranch_vccnz .LBB264_1561
; %bb.1560:
	global_load_u8 v0, v[0:1], off
	s_waitcnt vmcnt(0)
	v_cvt_f16_u16_e32 v8, v0
.LBB264_1561:
	s_mov_b32 s6, -1
.LBB264_1562:
	s_delay_alu instid0(SALU_CYCLE_1)
	s_and_not1_b32 vcc_lo, exec_lo, s6
	s_cbranch_vccnz .LBB264_1996
; %bb.1563:
	s_waitcnt vmcnt(0)
	v_cvt_f32_f16_e32 v0, v5
	v_mul_lo_u32 v3, s2, v3
	s_delay_alu instid0(VALU_DEP_2) | instskip(SKIP_1) | instid1(VALU_DEP_2)
	v_mul_f32_e32 v1, 0x4f800000, v0
	v_cmp_gt_f32_e32 vcc_lo, 0xf800000, v0
	v_cndmask_b32_e32 v0, v0, v1, vcc_lo
	s_delay_alu instid0(VALU_DEP_1) | instskip(SKIP_3) | instid1(VALU_DEP_1)
	v_rsq_f32_e32 v1, v0
	s_waitcnt_depctr 0xfff
	v_mul_f32_e32 v4, v0, v1
	v_mul_f32_e32 v1, 0.5, v1
	v_fma_f32 v5, -v1, v4, 0.5
	s_delay_alu instid0(VALU_DEP_1) | instskip(SKIP_1) | instid1(VALU_DEP_2)
	v_fmac_f32_e32 v4, v4, v5
	v_fmac_f32_e32 v1, v1, v5
	v_fma_f32 v5, -v4, v4, v0
	s_delay_alu instid0(VALU_DEP_1) | instskip(SKIP_1) | instid1(VALU_DEP_2)
	v_dual_fmac_f32 v4, v5, v1 :: v_dual_and_b32 v5, 0xff, v2
	v_ashrrev_i32_e32 v2, 31, v3
	v_mul_f32_e32 v1, 0x37800000, v4
	v_cmp_class_f32_e64 s0, v0, 0x260
	s_delay_alu instid0(VALU_DEP_2) | instskip(SKIP_1) | instid1(VALU_DEP_2)
	v_cndmask_b32_e32 v1, v4, v1, vcc_lo
	v_cmp_gt_i16_e32 vcc_lo, 11, v5
	v_cndmask_b32_e64 v4, v1, v0, s0
	v_add_co_u32 v0, s0, s4, v3
	s_delay_alu instid0(VALU_DEP_1) | instskip(NEXT) | instid1(VALU_DEP_3)
	v_add_co_ci_u32_e64 v1, s0, s5, v2, s0
	v_cvt_f16_f32_e32 v2, v4
	s_cbranch_vccnz .LBB264_1641
; %bb.1564:
	v_cmp_lt_i16_e32 vcc_lo, 25, v5
	s_mov_b32 s7, -1
	s_mov_b32 s3, 0
	s_mov_b32 s6, 0
	;; [unrolled: 1-line block ×3, first 2 shown]
	s_cbranch_vccz .LBB264_1597
; %bb.1565:
	v_cmp_lt_i16_e32 vcc_lo, 28, v5
	s_cbranch_vccz .LBB264_1580
; %bb.1566:
	v_cmp_lt_i16_e32 vcc_lo, 43, v5
	;; [unrolled: 3-line block ×3, first 2 shown]
	s_cbranch_vccz .LBB264_1570
; %bb.1568:
	v_cmp_eq_u16_e32 vcc_lo, 46, v5
	s_mov_b32 s0, -1
	s_mov_b32 s7, 0
	s_cbranch_vccz .LBB264_1570
; %bb.1569:
	v_cvt_f32_f16_e32 v4, v2
	v_cmp_o_f16_e32 vcc_lo, v2, v2
	s_mov_b32 s0, 0
	s_mov_b32 s6, -1
	s_delay_alu instid0(VALU_DEP_2) | instskip(NEXT) | instid1(VALU_DEP_1)
	v_bfe_u32 v9, v4, 16, 1
	v_add3_u32 v4, v4, v9, 0x7fff
	s_delay_alu instid0(VALU_DEP_1) | instskip(NEXT) | instid1(VALU_DEP_1)
	v_lshrrev_b32_e32 v4, 16, v4
	v_cndmask_b32_e32 v4, 0x7fc0, v4, vcc_lo
	global_store_b32 v[0:1], v4, off
.LBB264_1570:
	s_and_b32 vcc_lo, exec_lo, s7
	s_cbranch_vccz .LBB264_1575
; %bb.1571:
	v_cmp_eq_u16_e32 vcc_lo, 44, v5
	s_mov_b32 s0, -1
	s_cbranch_vccz .LBB264_1575
; %bb.1572:
	v_cvt_f32_f16_e32 v4, v2
	v_mov_b32_e32 v9, 0xff
	s_mov_b32 s6, exec_lo
	s_delay_alu instid0(VALU_DEP_2) | instskip(NEXT) | instid1(VALU_DEP_1)
	v_bfe_u32 v10, v4, 23, 8
	v_cmpx_ne_u32_e32 0xff, v10
; %bb.1573:
	v_and_b32_e32 v9, 0x400000, v4
	v_and_or_b32 v10, 0x3fffff, v4, v10
	v_lshrrev_b32_e32 v4, 23, v4
	s_delay_alu instid0(VALU_DEP_3) | instskip(NEXT) | instid1(VALU_DEP_3)
	v_cmp_ne_u32_e32 vcc_lo, 0, v9
	v_cmp_ne_u32_e64 s0, 0, v10
	s_delay_alu instid0(VALU_DEP_1) | instskip(NEXT) | instid1(SALU_CYCLE_1)
	s_and_b32 s0, vcc_lo, s0
	v_cndmask_b32_e64 v9, 0, 1, s0
	s_delay_alu instid0(VALU_DEP_1)
	v_add_nc_u32_e32 v9, v4, v9
; %bb.1574:
	s_or_b32 exec_lo, exec_lo, s6
	s_mov_b32 s0, 0
	s_mov_b32 s6, -1
	global_store_b8 v[0:1], v9, off
.LBB264_1575:
	s_mov_b32 s7, 0
.LBB264_1576:
	s_delay_alu instid0(SALU_CYCLE_1)
	s_and_b32 vcc_lo, exec_lo, s7
	s_cbranch_vccz .LBB264_1579
; %bb.1577:
	v_cmp_eq_u16_e32 vcc_lo, 29, v5
	s_mov_b32 s0, -1
	s_cbranch_vccz .LBB264_1579
; %bb.1578:
	v_cvt_f32_f16_e32 v4, v2
	v_mov_b32_e32 v10, 0
	s_mov_b32 s0, 0
	s_mov_b32 s6, -1
	s_delay_alu instid0(VALU_DEP_2)
	v_cvt_u32_f32_e32 v9, v4
	global_store_b64 v[0:1], v[9:10], off
.LBB264_1579:
	s_mov_b32 s7, 0
.LBB264_1580:
	s_delay_alu instid0(SALU_CYCLE_1)
	s_and_b32 vcc_lo, exec_lo, s7
	s_cbranch_vccz .LBB264_1596
; %bb.1581:
	v_cmp_gt_i16_e32 vcc_lo, 27, v5
	s_mov_b32 s6, -1
	s_cbranch_vccnz .LBB264_1587
; %bb.1582:
	v_cmp_lt_i16_e32 vcc_lo, 27, v5
	s_cbranch_vccz .LBB264_1584
; %bb.1583:
	v_cvt_f32_f16_e32 v4, v2
	s_mov_b32 s6, 0
	s_delay_alu instid0(VALU_DEP_1)
	v_cvt_u32_f32_e32 v4, v4
	global_store_b32 v[0:1], v4, off
.LBB264_1584:
	s_and_not1_b32 vcc_lo, exec_lo, s6
	s_cbranch_vccnz .LBB264_1586
; %bb.1585:
	v_cvt_u16_f16_e32 v4, v2
	global_store_b16 v[0:1], v4, off
.LBB264_1586:
	s_mov_b32 s6, 0
.LBB264_1587:
	s_delay_alu instid0(SALU_CYCLE_1)
	s_and_not1_b32 vcc_lo, exec_lo, s6
	s_cbranch_vccnz .LBB264_1595
; %bb.1588:
	v_cvt_f32_f16_e32 v4, v2
	v_mov_b32_e32 v10, 0x80
	s_mov_b32 s6, exec_lo
	s_delay_alu instid0(VALU_DEP_2) | instskip(NEXT) | instid1(VALU_DEP_1)
	v_and_b32_e32 v9, 0x7fffffff, v4
	v_cmpx_gt_u32_e32 0x43800000, v9
	s_cbranch_execz .LBB264_1594
; %bb.1589:
	v_cmp_lt_u32_e32 vcc_lo, 0x3bffffff, v9
	s_mov_b32 s7, 0
                                        ; implicit-def: $vgpr9
	s_and_saveexec_b32 s10, vcc_lo
	s_delay_alu instid0(SALU_CYCLE_1)
	s_xor_b32 s10, exec_lo, s10
	s_cbranch_execz .LBB264_2044
; %bb.1590:
	v_bfe_u32 v9, v4, 20, 1
	s_mov_b32 s7, exec_lo
	s_delay_alu instid0(VALU_DEP_1) | instskip(NEXT) | instid1(VALU_DEP_1)
	v_add3_u32 v9, v4, v9, 0x487ffff
	v_lshrrev_b32_e32 v9, 20, v9
	s_or_saveexec_b32 s10, s10
                                        ; implicit-def: $sgpr11
	s_delay_alu instid0(SALU_CYCLE_1)
	s_xor_b32 exec_lo, exec_lo, s10
	s_cbranch_execnz .LBB264_2045
.LBB264_1591:
	s_or_b32 exec_lo, exec_lo, s10
	v_mov_b32_e32 v10, s11
	s_and_saveexec_b32 s10, s7
.LBB264_1592:
	v_lshrrev_b32_e32 v4, 24, v4
	s_delay_alu instid0(VALU_DEP_1)
	v_and_or_b32 v10, 0x80, v4, v9
.LBB264_1593:
	s_or_b32 exec_lo, exec_lo, s10
.LBB264_1594:
	s_delay_alu instid0(SALU_CYCLE_1)
	s_or_b32 exec_lo, exec_lo, s6
	global_store_b8 v[0:1], v10, off
.LBB264_1595:
	s_mov_b32 s6, -1
.LBB264_1596:
	s_mov_b32 s7, 0
.LBB264_1597:
	s_delay_alu instid0(SALU_CYCLE_1)
	s_and_b32 vcc_lo, exec_lo, s7
	s_cbranch_vccz .LBB264_1637
; %bb.1598:
	v_cmp_lt_i16_e32 vcc_lo, 22, v5
	s_mov_b32 s3, -1
	s_cbranch_vccz .LBB264_1630
; %bb.1599:
	v_cmp_gt_i16_e32 vcc_lo, 24, v5
	s_cbranch_vccnz .LBB264_1619
; %bb.1600:
	v_cmp_lt_i16_e32 vcc_lo, 24, v5
	s_cbranch_vccz .LBB264_1608
; %bb.1601:
	v_cvt_f32_f16_e32 v4, v2
	v_mov_b32_e32 v10, 0x80
	s_mov_b32 s3, exec_lo
	s_delay_alu instid0(VALU_DEP_2) | instskip(NEXT) | instid1(VALU_DEP_1)
	v_and_b32_e32 v9, 0x7fffffff, v4
	v_cmpx_gt_u32_e32 0x47800000, v9
	s_cbranch_execz .LBB264_1607
; %bb.1602:
	v_cmp_lt_u32_e32 vcc_lo, 0x37ffffff, v9
	s_mov_b32 s6, 0
                                        ; implicit-def: $vgpr9
	s_and_saveexec_b32 s7, vcc_lo
	s_delay_alu instid0(SALU_CYCLE_1)
	s_xor_b32 s7, exec_lo, s7
	s_cbranch_execz .LBB264_2050
; %bb.1603:
	v_bfe_u32 v9, v4, 21, 1
	s_mov_b32 s6, exec_lo
	s_delay_alu instid0(VALU_DEP_1) | instskip(NEXT) | instid1(VALU_DEP_1)
	v_add3_u32 v9, v4, v9, 0x88fffff
	v_lshrrev_b32_e32 v9, 21, v9
	s_or_saveexec_b32 s7, s7
                                        ; implicit-def: $sgpr10
	s_delay_alu instid0(SALU_CYCLE_1)
	s_xor_b32 exec_lo, exec_lo, s7
	s_cbranch_execnz .LBB264_2051
.LBB264_1604:
	s_or_b32 exec_lo, exec_lo, s7
	v_mov_b32_e32 v10, s10
	s_and_saveexec_b32 s7, s6
.LBB264_1605:
	v_lshrrev_b32_e32 v4, 24, v4
	s_delay_alu instid0(VALU_DEP_1)
	v_and_or_b32 v10, 0x80, v4, v9
.LBB264_1606:
	s_or_b32 exec_lo, exec_lo, s7
.LBB264_1607:
	s_delay_alu instid0(SALU_CYCLE_1)
	s_or_b32 exec_lo, exec_lo, s3
	s_mov_b32 s3, 0
	global_store_b8 v[0:1], v10, off
.LBB264_1608:
	s_and_b32 vcc_lo, exec_lo, s3
	s_cbranch_vccz .LBB264_1618
; %bb.1609:
	v_cvt_f32_f16_e32 v4, v2
	s_mov_b32 s3, exec_lo
                                        ; implicit-def: $vgpr9
	s_delay_alu instid0(VALU_DEP_1) | instskip(NEXT) | instid1(VALU_DEP_1)
	v_and_b32_e32 v10, 0x7fffffff, v4
	v_cmpx_gt_u32_e32 0x43f00000, v10
	s_xor_b32 s3, exec_lo, s3
	s_cbranch_execz .LBB264_1615
; %bb.1610:
	s_mov_b32 s6, exec_lo
                                        ; implicit-def: $vgpr9
	v_cmpx_lt_u32_e32 0x3c7fffff, v10
	s_xor_b32 s6, exec_lo, s6
; %bb.1611:
	v_bfe_u32 v9, v4, 20, 1
	s_delay_alu instid0(VALU_DEP_1) | instskip(NEXT) | instid1(VALU_DEP_1)
	v_add3_u32 v9, v4, v9, 0x407ffff
	v_and_b32_e32 v10, 0xff00000, v9
	v_lshrrev_b32_e32 v9, 20, v9
	s_delay_alu instid0(VALU_DEP_2) | instskip(NEXT) | instid1(VALU_DEP_2)
	v_cmp_ne_u32_e32 vcc_lo, 0x7f00000, v10
	v_cndmask_b32_e32 v9, 0x7e, v9, vcc_lo
; %bb.1612:
	s_and_not1_saveexec_b32 s6, s6
; %bb.1613:
	v_add_f32_e64 v9, 0x46800000, |v4|
; %bb.1614:
	s_or_b32 exec_lo, exec_lo, s6
                                        ; implicit-def: $vgpr10
.LBB264_1615:
	s_and_not1_saveexec_b32 s3, s3
; %bb.1616:
	v_mov_b32_e32 v9, 0x7f
	v_cmp_lt_u32_e32 vcc_lo, 0x7f800000, v10
	s_delay_alu instid0(VALU_DEP_2)
	v_cndmask_b32_e32 v9, 0x7e, v9, vcc_lo
; %bb.1617:
	s_or_b32 exec_lo, exec_lo, s3
	v_lshrrev_b32_e32 v4, 24, v4
	s_delay_alu instid0(VALU_DEP_1)
	v_and_or_b32 v4, 0x80, v4, v9
	global_store_b8 v[0:1], v4, off
.LBB264_1618:
	s_mov_b32 s3, 0
.LBB264_1619:
	s_delay_alu instid0(SALU_CYCLE_1)
	s_and_not1_b32 vcc_lo, exec_lo, s3
	s_cbranch_vccnz .LBB264_1629
; %bb.1620:
	v_cvt_f32_f16_e32 v4, v2
	s_mov_b32 s3, exec_lo
                                        ; implicit-def: $vgpr9
	s_delay_alu instid0(VALU_DEP_1) | instskip(NEXT) | instid1(VALU_DEP_1)
	v_and_b32_e32 v10, 0x7fffffff, v4
	v_cmpx_gt_u32_e32 0x47800000, v10
	s_xor_b32 s3, exec_lo, s3
	s_cbranch_execz .LBB264_1626
; %bb.1621:
	s_mov_b32 s6, exec_lo
                                        ; implicit-def: $vgpr9
	v_cmpx_lt_u32_e32 0x387fffff, v10
	s_xor_b32 s6, exec_lo, s6
; %bb.1622:
	v_bfe_u32 v9, v4, 21, 1
	s_delay_alu instid0(VALU_DEP_1) | instskip(NEXT) | instid1(VALU_DEP_1)
	v_add3_u32 v9, v4, v9, 0x80fffff
	v_lshrrev_b32_e32 v9, 21, v9
; %bb.1623:
	s_and_not1_saveexec_b32 s6, s6
; %bb.1624:
	v_add_f32_e64 v9, 0x43000000, |v4|
; %bb.1625:
	s_or_b32 exec_lo, exec_lo, s6
                                        ; implicit-def: $vgpr10
.LBB264_1626:
	s_and_not1_saveexec_b32 s3, s3
; %bb.1627:
	v_mov_b32_e32 v9, 0x7f
	v_cmp_lt_u32_e32 vcc_lo, 0x7f800000, v10
	s_delay_alu instid0(VALU_DEP_2)
	v_cndmask_b32_e32 v9, 0x7c, v9, vcc_lo
; %bb.1628:
	s_or_b32 exec_lo, exec_lo, s3
	v_lshrrev_b32_e32 v4, 24, v4
	s_delay_alu instid0(VALU_DEP_1)
	v_and_or_b32 v4, 0x80, v4, v9
	global_store_b8 v[0:1], v4, off
.LBB264_1629:
	s_mov_b32 s3, 0
	s_mov_b32 s6, -1
.LBB264_1630:
	s_and_not1_b32 vcc_lo, exec_lo, s3
	s_mov_b32 s3, 0
	s_cbranch_vccnz .LBB264_1637
; %bb.1631:
	v_cmp_lt_i16_e32 vcc_lo, 14, v5
	s_mov_b32 s3, -1
	s_cbranch_vccz .LBB264_1635
; %bb.1632:
	v_cmp_eq_u16_e32 vcc_lo, 15, v5
	s_mov_b32 s0, -1
	s_cbranch_vccz .LBB264_1634
; %bb.1633:
	v_cvt_f32_f16_e32 v4, v2
	v_cmp_o_f16_e32 vcc_lo, v2, v2
	s_mov_b32 s0, 0
	s_mov_b32 s6, -1
	s_delay_alu instid0(VALU_DEP_2) | instskip(NEXT) | instid1(VALU_DEP_1)
	v_bfe_u32 v9, v4, 16, 1
	v_add3_u32 v4, v4, v9, 0x7fff
	s_delay_alu instid0(VALU_DEP_1) | instskip(NEXT) | instid1(VALU_DEP_1)
	v_lshrrev_b32_e32 v4, 16, v4
	v_cndmask_b32_e32 v4, 0x7fc0, v4, vcc_lo
	global_store_b16 v[0:1], v4, off
.LBB264_1634:
	s_mov_b32 s3, 0
.LBB264_1635:
	s_delay_alu instid0(SALU_CYCLE_1)
	s_and_b32 vcc_lo, exec_lo, s3
	s_mov_b32 s3, 0
	s_cbranch_vccz .LBB264_1637
; %bb.1636:
	v_cmp_ne_u16_e64 s0, 11, v5
	s_mov_b32 s3, -1
.LBB264_1637:
	s_delay_alu instid0(VALU_DEP_1)
	s_and_b32 vcc_lo, exec_lo, s0
	s_cbranch_vccnz .LBB264_2048
; %bb.1638:
	s_and_not1_b32 vcc_lo, exec_lo, s3
	s_cbranch_vccnz .LBB264_1640
.LBB264_1639:
	v_cmp_neq_f16_e32 vcc_lo, 0, v2
	s_mov_b32 s6, -1
	v_cndmask_b32_e64 v4, 0, 1, vcc_lo
	global_store_b8 v[0:1], v4, off
.LBB264_1640:
	s_mov_b32 s0, 0
	s_branch .LBB264_1642
.LBB264_1641:
	s_mov_b32 s0, -1
	s_mov_b32 s6, 0
.LBB264_1642:
	s_and_b32 vcc_lo, exec_lo, s0
	s_cbranch_vccz .LBB264_1681
; %bb.1643:
	v_cmp_gt_i16_e32 vcc_lo, 5, v5
	s_mov_b32 s0, -1
	s_cbranch_vccnz .LBB264_1664
; %bb.1644:
	v_cmp_gt_i16_e32 vcc_lo, 8, v5
	s_cbranch_vccnz .LBB264_1654
; %bb.1645:
	v_cmp_gt_i16_e32 vcc_lo, 9, v5
	s_cbranch_vccnz .LBB264_1651
; %bb.1646:
	v_cmp_lt_i16_e32 vcc_lo, 9, v5
	s_cbranch_vccz .LBB264_1648
; %bb.1647:
	v_cvt_f32_f16_e32 v4, v2
	v_mov_b32_e32 v11, 0
	s_mov_b32 s0, 0
	s_delay_alu instid0(VALU_DEP_2) | instskip(NEXT) | instid1(VALU_DEP_2)
	v_cvt_f64_f32_e32 v[9:10], v4
	v_mov_b32_e32 v12, v11
	global_store_b128 v[0:1], v[9:12], off
.LBB264_1648:
	s_and_not1_b32 vcc_lo, exec_lo, s0
	s_cbranch_vccnz .LBB264_1650
; %bb.1649:
	v_cvt_f32_f16_e32 v9, v2
	v_mov_b32_e32 v10, 0
	global_store_b64 v[0:1], v[9:10], off
.LBB264_1650:
	s_mov_b32 s0, 0
.LBB264_1651:
	s_delay_alu instid0(SALU_CYCLE_1)
	s_and_not1_b32 vcc_lo, exec_lo, s0
	s_cbranch_vccnz .LBB264_1653
; %bb.1652:
	v_and_b32_e32 v4, 0xffff, v2
	global_store_b32 v[0:1], v4, off
.LBB264_1653:
	s_mov_b32 s0, 0
.LBB264_1654:
	s_delay_alu instid0(SALU_CYCLE_1)
	s_and_not1_b32 vcc_lo, exec_lo, s0
	s_cbranch_vccnz .LBB264_1663
; %bb.1655:
	v_cmp_gt_i16_e32 vcc_lo, 6, v5
	s_mov_b32 s0, -1
	s_cbranch_vccnz .LBB264_1661
; %bb.1656:
	v_cmp_lt_i16_e32 vcc_lo, 6, v5
	s_cbranch_vccz .LBB264_1658
; %bb.1657:
	v_cvt_f32_f16_e32 v4, v2
	s_mov_b32 s0, 0
	s_delay_alu instid0(VALU_DEP_1)
	v_cvt_f64_f32_e32 v[9:10], v4
	global_store_b64 v[0:1], v[9:10], off
.LBB264_1658:
	s_and_not1_b32 vcc_lo, exec_lo, s0
	s_cbranch_vccnz .LBB264_1660
; %bb.1659:
	v_cvt_f32_f16_e32 v4, v2
	global_store_b32 v[0:1], v4, off
.LBB264_1660:
	s_mov_b32 s0, 0
.LBB264_1661:
	s_delay_alu instid0(SALU_CYCLE_1)
	s_and_not1_b32 vcc_lo, exec_lo, s0
	s_cbranch_vccnz .LBB264_1663
; %bb.1662:
	global_store_b16 v[0:1], v2, off
.LBB264_1663:
	s_mov_b32 s0, 0
.LBB264_1664:
	s_delay_alu instid0(SALU_CYCLE_1)
	s_and_not1_b32 vcc_lo, exec_lo, s0
	s_cbranch_vccnz .LBB264_1680
; %bb.1665:
	v_cmp_gt_i16_e32 vcc_lo, 2, v5
	s_mov_b32 s0, -1
	s_cbranch_vccnz .LBB264_1675
; %bb.1666:
	v_cmp_gt_i16_e32 vcc_lo, 3, v5
	s_cbranch_vccnz .LBB264_1672
; %bb.1667:
	v_cmp_lt_i16_e32 vcc_lo, 3, v5
	s_cbranch_vccz .LBB264_1669
; %bb.1668:
	v_cvt_f32_f16_e32 v4, v2
	s_mov_b32 s0, 0
	s_delay_alu instid0(VALU_DEP_1) | instskip(NEXT) | instid1(VALU_DEP_1)
	v_cvt_i32_f32_e32 v9, v4
	v_ashrrev_i32_e32 v10, 31, v9
	global_store_b64 v[0:1], v[9:10], off
.LBB264_1669:
	s_and_not1_b32 vcc_lo, exec_lo, s0
	s_cbranch_vccnz .LBB264_1671
; %bb.1670:
	v_cvt_f32_f16_e32 v4, v2
	s_delay_alu instid0(VALU_DEP_1)
	v_cvt_i32_f32_e32 v4, v4
	global_store_b32 v[0:1], v4, off
.LBB264_1671:
	s_mov_b32 s0, 0
.LBB264_1672:
	s_delay_alu instid0(SALU_CYCLE_1)
	s_and_not1_b32 vcc_lo, exec_lo, s0
	s_cbranch_vccnz .LBB264_1674
; %bb.1673:
	v_cvt_i16_f16_e32 v4, v2
	global_store_b16 v[0:1], v4, off
.LBB264_1674:
	s_mov_b32 s0, 0
.LBB264_1675:
	s_delay_alu instid0(SALU_CYCLE_1)
	s_and_not1_b32 vcc_lo, exec_lo, s0
	s_cbranch_vccnz .LBB264_1680
; %bb.1676:
	v_cmp_lt_i16_e32 vcc_lo, 0, v5
	s_mov_b32 s0, -1
	s_cbranch_vccz .LBB264_1678
; %bb.1677:
	v_cvt_i16_f16_e32 v4, v2
	s_mov_b32 s0, 0
	global_store_b8 v[0:1], v4, off
.LBB264_1678:
	s_and_not1_b32 vcc_lo, exec_lo, s0
	s_cbranch_vccnz .LBB264_1680
; %bb.1679:
	v_cvt_f32_f16_e32 v2, v2
	s_delay_alu instid0(VALU_DEP_1)
	v_cvt_i32_f32_e32 v2, v2
	global_store_b8 v[0:1], v2, off
.LBB264_1680:
	s_mov_b32 s6, -1
.LBB264_1681:
	s_delay_alu instid0(SALU_CYCLE_1)
	s_and_not1_b32 vcc_lo, exec_lo, s6
	s_cbranch_vccnz .LBB264_1996
; %bb.1682:
	v_cvt_f32_f16_e32 v0, v6
	s_lshl_b32 s2, s2, 7
	s_delay_alu instid0(VALU_DEP_1) | instskip(SKIP_1) | instid1(VALU_DEP_2)
	v_mul_f32_e32 v1, 0x4f800000, v0
	v_cmp_gt_f32_e32 vcc_lo, 0xf800000, v0
	v_cndmask_b32_e32 v0, v0, v1, vcc_lo
	s_delay_alu instid0(VALU_DEP_1) | instskip(SKIP_3) | instid1(VALU_DEP_1)
	v_rsq_f32_e32 v1, v0
	s_waitcnt_depctr 0xfff
	v_mul_f32_e32 v4, v0, v1
	v_mul_f32_e32 v1, 0.5, v1
	v_fma_f32 v2, -v1, v4, 0.5
	s_delay_alu instid0(VALU_DEP_1) | instskip(SKIP_2) | instid1(VALU_DEP_3)
	v_fmac_f32_e32 v4, v4, v2
	v_fmac_f32_e32 v1, v1, v2
	v_cmp_class_f32_e64 s0, v0, 0x260
	v_fma_f32 v2, -v4, v4, v0
	s_delay_alu instid0(VALU_DEP_1) | instskip(NEXT) | instid1(VALU_DEP_1)
	v_fmac_f32_e32 v4, v2, v1
	v_dual_mul_f32 v1, 0x37800000, v4 :: v_dual_add_nc_u32 v2, s2, v3
	s_delay_alu instid0(VALU_DEP_1) | instskip(NEXT) | instid1(VALU_DEP_2)
	v_ashrrev_i32_e32 v3, 31, v2
	v_cndmask_b32_e32 v1, v4, v1, vcc_lo
	v_cmp_gt_i16_e32 vcc_lo, 11, v5
	s_delay_alu instid0(VALU_DEP_2) | instskip(SKIP_1) | instid1(VALU_DEP_1)
	v_cndmask_b32_e64 v4, v1, v0, s0
	v_add_co_u32 v0, s0, s4, v2
	v_add_co_ci_u32_e64 v1, s0, s5, v3, s0
	s_delay_alu instid0(VALU_DEP_3)
	v_cvt_f16_f32_e32 v3, v4
	s_cbranch_vccnz .LBB264_1760
; %bb.1683:
	v_cmp_lt_i16_e32 vcc_lo, 25, v5
	s_mov_b32 s7, -1
	s_mov_b32 s3, 0
	s_mov_b32 s6, 0
	;; [unrolled: 1-line block ×3, first 2 shown]
	s_cbranch_vccz .LBB264_1716
; %bb.1684:
	v_cmp_lt_i16_e32 vcc_lo, 28, v5
	s_cbranch_vccz .LBB264_1699
; %bb.1685:
	v_cmp_lt_i16_e32 vcc_lo, 43, v5
	;; [unrolled: 3-line block ×3, first 2 shown]
	s_cbranch_vccz .LBB264_1689
; %bb.1687:
	v_cmp_eq_u16_e32 vcc_lo, 46, v5
	s_mov_b32 s0, -1
	s_mov_b32 s7, 0
	s_cbranch_vccz .LBB264_1689
; %bb.1688:
	v_cvt_f32_f16_e32 v4, v3
	v_cmp_o_f16_e32 vcc_lo, v3, v3
	s_mov_b32 s0, 0
	s_mov_b32 s6, -1
	s_delay_alu instid0(VALU_DEP_2) | instskip(NEXT) | instid1(VALU_DEP_1)
	v_bfe_u32 v6, v4, 16, 1
	v_add3_u32 v4, v4, v6, 0x7fff
	s_delay_alu instid0(VALU_DEP_1) | instskip(NEXT) | instid1(VALU_DEP_1)
	v_lshrrev_b32_e32 v4, 16, v4
	v_cndmask_b32_e32 v4, 0x7fc0, v4, vcc_lo
	global_store_b32 v[0:1], v4, off
.LBB264_1689:
	s_and_b32 vcc_lo, exec_lo, s7
	s_cbranch_vccz .LBB264_1694
; %bb.1690:
	v_cmp_eq_u16_e32 vcc_lo, 44, v5
	s_mov_b32 s0, -1
	s_cbranch_vccz .LBB264_1694
; %bb.1691:
	v_cvt_f32_f16_e32 v4, v3
	v_mov_b32_e32 v6, 0xff
	s_mov_b32 s6, exec_lo
	s_delay_alu instid0(VALU_DEP_2) | instskip(NEXT) | instid1(VALU_DEP_1)
	v_bfe_u32 v9, v4, 23, 8
	v_cmpx_ne_u32_e32 0xff, v9
; %bb.1692:
	v_and_b32_e32 v6, 0x400000, v4
	v_and_or_b32 v9, 0x3fffff, v4, v9
	v_lshrrev_b32_e32 v4, 23, v4
	s_delay_alu instid0(VALU_DEP_3) | instskip(NEXT) | instid1(VALU_DEP_3)
	v_cmp_ne_u32_e32 vcc_lo, 0, v6
	v_cmp_ne_u32_e64 s0, 0, v9
	s_delay_alu instid0(VALU_DEP_1) | instskip(NEXT) | instid1(SALU_CYCLE_1)
	s_and_b32 s0, vcc_lo, s0
	v_cndmask_b32_e64 v6, 0, 1, s0
	s_delay_alu instid0(VALU_DEP_1)
	v_add_nc_u32_e32 v6, v4, v6
; %bb.1693:
	s_or_b32 exec_lo, exec_lo, s6
	s_mov_b32 s0, 0
	s_mov_b32 s6, -1
	global_store_b8 v[0:1], v6, off
.LBB264_1694:
	s_mov_b32 s7, 0
.LBB264_1695:
	s_delay_alu instid0(SALU_CYCLE_1)
	s_and_b32 vcc_lo, exec_lo, s7
	s_cbranch_vccz .LBB264_1698
; %bb.1696:
	v_cmp_eq_u16_e32 vcc_lo, 29, v5
	s_mov_b32 s0, -1
	s_cbranch_vccz .LBB264_1698
; %bb.1697:
	v_cvt_f32_f16_e32 v4, v3
	v_mov_b32_e32 v10, 0
	s_mov_b32 s0, 0
	s_mov_b32 s6, -1
	s_delay_alu instid0(VALU_DEP_2)
	v_cvt_u32_f32_e32 v9, v4
	global_store_b64 v[0:1], v[9:10], off
.LBB264_1698:
	s_mov_b32 s7, 0
.LBB264_1699:
	s_delay_alu instid0(SALU_CYCLE_1)
	s_and_b32 vcc_lo, exec_lo, s7
	s_cbranch_vccz .LBB264_1715
; %bb.1700:
	v_cmp_gt_i16_e32 vcc_lo, 27, v5
	s_mov_b32 s6, -1
	s_cbranch_vccnz .LBB264_1706
; %bb.1701:
	v_cmp_lt_i16_e32 vcc_lo, 27, v5
	s_cbranch_vccz .LBB264_1703
; %bb.1702:
	v_cvt_f32_f16_e32 v4, v3
	s_mov_b32 s6, 0
	s_delay_alu instid0(VALU_DEP_1)
	v_cvt_u32_f32_e32 v4, v4
	global_store_b32 v[0:1], v4, off
.LBB264_1703:
	s_and_not1_b32 vcc_lo, exec_lo, s6
	s_cbranch_vccnz .LBB264_1705
; %bb.1704:
	v_cvt_u16_f16_e32 v4, v3
	global_store_b16 v[0:1], v4, off
.LBB264_1705:
	s_mov_b32 s6, 0
.LBB264_1706:
	s_delay_alu instid0(SALU_CYCLE_1)
	s_and_not1_b32 vcc_lo, exec_lo, s6
	s_cbranch_vccnz .LBB264_1714
; %bb.1707:
	v_cvt_f32_f16_e32 v4, v3
	v_mov_b32_e32 v9, 0x80
	s_mov_b32 s6, exec_lo
	s_delay_alu instid0(VALU_DEP_2) | instskip(NEXT) | instid1(VALU_DEP_1)
	v_and_b32_e32 v6, 0x7fffffff, v4
	v_cmpx_gt_u32_e32 0x43800000, v6
	s_cbranch_execz .LBB264_1713
; %bb.1708:
	v_cmp_lt_u32_e32 vcc_lo, 0x3bffffff, v6
	s_mov_b32 s7, 0
                                        ; implicit-def: $vgpr6
	s_and_saveexec_b32 s10, vcc_lo
	s_delay_alu instid0(SALU_CYCLE_1)
	s_xor_b32 s10, exec_lo, s10
	s_cbranch_execz .LBB264_2052
; %bb.1709:
	v_bfe_u32 v6, v4, 20, 1
	s_mov_b32 s7, exec_lo
	s_delay_alu instid0(VALU_DEP_1) | instskip(NEXT) | instid1(VALU_DEP_1)
	v_add3_u32 v6, v4, v6, 0x487ffff
	v_lshrrev_b32_e32 v6, 20, v6
	s_or_saveexec_b32 s10, s10
                                        ; implicit-def: $sgpr11
	s_delay_alu instid0(SALU_CYCLE_1)
	s_xor_b32 exec_lo, exec_lo, s10
	s_cbranch_execnz .LBB264_2053
.LBB264_1710:
	s_or_b32 exec_lo, exec_lo, s10
	v_mov_b32_e32 v9, s11
	s_and_saveexec_b32 s10, s7
.LBB264_1711:
	v_lshrrev_b32_e32 v4, 24, v4
	s_delay_alu instid0(VALU_DEP_1)
	v_and_or_b32 v9, 0x80, v4, v6
.LBB264_1712:
	s_or_b32 exec_lo, exec_lo, s10
.LBB264_1713:
	s_delay_alu instid0(SALU_CYCLE_1)
	s_or_b32 exec_lo, exec_lo, s6
	global_store_b8 v[0:1], v9, off
.LBB264_1714:
	s_mov_b32 s6, -1
.LBB264_1715:
	s_mov_b32 s7, 0
.LBB264_1716:
	s_delay_alu instid0(SALU_CYCLE_1)
	s_and_b32 vcc_lo, exec_lo, s7
	s_cbranch_vccz .LBB264_1756
; %bb.1717:
	v_cmp_lt_i16_e32 vcc_lo, 22, v5
	s_mov_b32 s3, -1
	s_cbranch_vccz .LBB264_1749
; %bb.1718:
	v_cmp_gt_i16_e32 vcc_lo, 24, v5
	s_cbranch_vccnz .LBB264_1738
; %bb.1719:
	v_cmp_lt_i16_e32 vcc_lo, 24, v5
	s_cbranch_vccz .LBB264_1727
; %bb.1720:
	v_cvt_f32_f16_e32 v4, v3
	v_mov_b32_e32 v9, 0x80
	s_mov_b32 s3, exec_lo
	s_delay_alu instid0(VALU_DEP_2) | instskip(NEXT) | instid1(VALU_DEP_1)
	v_and_b32_e32 v6, 0x7fffffff, v4
	v_cmpx_gt_u32_e32 0x47800000, v6
	s_cbranch_execz .LBB264_1726
; %bb.1721:
	v_cmp_lt_u32_e32 vcc_lo, 0x37ffffff, v6
	s_mov_b32 s6, 0
                                        ; implicit-def: $vgpr6
	s_and_saveexec_b32 s7, vcc_lo
	s_delay_alu instid0(SALU_CYCLE_1)
	s_xor_b32 s7, exec_lo, s7
	s_cbranch_execz .LBB264_2058
; %bb.1722:
	v_bfe_u32 v6, v4, 21, 1
	s_mov_b32 s6, exec_lo
	s_delay_alu instid0(VALU_DEP_1) | instskip(NEXT) | instid1(VALU_DEP_1)
	v_add3_u32 v6, v4, v6, 0x88fffff
	v_lshrrev_b32_e32 v6, 21, v6
	s_or_saveexec_b32 s7, s7
                                        ; implicit-def: $sgpr10
	s_delay_alu instid0(SALU_CYCLE_1)
	s_xor_b32 exec_lo, exec_lo, s7
	s_cbranch_execnz .LBB264_2059
.LBB264_1723:
	s_or_b32 exec_lo, exec_lo, s7
	v_mov_b32_e32 v9, s10
	s_and_saveexec_b32 s7, s6
.LBB264_1724:
	v_lshrrev_b32_e32 v4, 24, v4
	s_delay_alu instid0(VALU_DEP_1)
	v_and_or_b32 v9, 0x80, v4, v6
.LBB264_1725:
	s_or_b32 exec_lo, exec_lo, s7
.LBB264_1726:
	s_delay_alu instid0(SALU_CYCLE_1)
	s_or_b32 exec_lo, exec_lo, s3
	s_mov_b32 s3, 0
	global_store_b8 v[0:1], v9, off
.LBB264_1727:
	s_and_b32 vcc_lo, exec_lo, s3
	s_cbranch_vccz .LBB264_1737
; %bb.1728:
	v_cvt_f32_f16_e32 v4, v3
	s_mov_b32 s3, exec_lo
                                        ; implicit-def: $vgpr6
	s_delay_alu instid0(VALU_DEP_1) | instskip(NEXT) | instid1(VALU_DEP_1)
	v_and_b32_e32 v9, 0x7fffffff, v4
	v_cmpx_gt_u32_e32 0x43f00000, v9
	s_xor_b32 s3, exec_lo, s3
	s_cbranch_execz .LBB264_1734
; %bb.1729:
	s_mov_b32 s6, exec_lo
                                        ; implicit-def: $vgpr6
	v_cmpx_lt_u32_e32 0x3c7fffff, v9
	s_xor_b32 s6, exec_lo, s6
; %bb.1730:
	v_bfe_u32 v6, v4, 20, 1
	s_delay_alu instid0(VALU_DEP_1) | instskip(NEXT) | instid1(VALU_DEP_1)
	v_add3_u32 v6, v4, v6, 0x407ffff
	v_and_b32_e32 v9, 0xff00000, v6
	v_lshrrev_b32_e32 v6, 20, v6
	s_delay_alu instid0(VALU_DEP_2) | instskip(NEXT) | instid1(VALU_DEP_2)
	v_cmp_ne_u32_e32 vcc_lo, 0x7f00000, v9
	v_cndmask_b32_e32 v6, 0x7e, v6, vcc_lo
; %bb.1731:
	s_and_not1_saveexec_b32 s6, s6
; %bb.1732:
	v_add_f32_e64 v6, 0x46800000, |v4|
; %bb.1733:
	s_or_b32 exec_lo, exec_lo, s6
                                        ; implicit-def: $vgpr9
.LBB264_1734:
	s_and_not1_saveexec_b32 s3, s3
; %bb.1735:
	v_mov_b32_e32 v6, 0x7f
	v_cmp_lt_u32_e32 vcc_lo, 0x7f800000, v9
	s_delay_alu instid0(VALU_DEP_2)
	v_cndmask_b32_e32 v6, 0x7e, v6, vcc_lo
; %bb.1736:
	s_or_b32 exec_lo, exec_lo, s3
	v_lshrrev_b32_e32 v4, 24, v4
	s_delay_alu instid0(VALU_DEP_1)
	v_and_or_b32 v4, 0x80, v4, v6
	global_store_b8 v[0:1], v4, off
.LBB264_1737:
	s_mov_b32 s3, 0
.LBB264_1738:
	s_delay_alu instid0(SALU_CYCLE_1)
	s_and_not1_b32 vcc_lo, exec_lo, s3
	s_cbranch_vccnz .LBB264_1748
; %bb.1739:
	v_cvt_f32_f16_e32 v4, v3
	s_mov_b32 s3, exec_lo
                                        ; implicit-def: $vgpr6
	s_delay_alu instid0(VALU_DEP_1) | instskip(NEXT) | instid1(VALU_DEP_1)
	v_and_b32_e32 v9, 0x7fffffff, v4
	v_cmpx_gt_u32_e32 0x47800000, v9
	s_xor_b32 s3, exec_lo, s3
	s_cbranch_execz .LBB264_1745
; %bb.1740:
	s_mov_b32 s6, exec_lo
                                        ; implicit-def: $vgpr6
	v_cmpx_lt_u32_e32 0x387fffff, v9
	s_xor_b32 s6, exec_lo, s6
; %bb.1741:
	v_bfe_u32 v6, v4, 21, 1
	s_delay_alu instid0(VALU_DEP_1) | instskip(NEXT) | instid1(VALU_DEP_1)
	v_add3_u32 v6, v4, v6, 0x80fffff
	v_lshrrev_b32_e32 v6, 21, v6
; %bb.1742:
	s_and_not1_saveexec_b32 s6, s6
; %bb.1743:
	v_add_f32_e64 v6, 0x43000000, |v4|
; %bb.1744:
	s_or_b32 exec_lo, exec_lo, s6
                                        ; implicit-def: $vgpr9
.LBB264_1745:
	s_and_not1_saveexec_b32 s3, s3
; %bb.1746:
	v_mov_b32_e32 v6, 0x7f
	v_cmp_lt_u32_e32 vcc_lo, 0x7f800000, v9
	s_delay_alu instid0(VALU_DEP_2)
	v_cndmask_b32_e32 v6, 0x7c, v6, vcc_lo
; %bb.1747:
	s_or_b32 exec_lo, exec_lo, s3
	v_lshrrev_b32_e32 v4, 24, v4
	s_delay_alu instid0(VALU_DEP_1)
	v_and_or_b32 v4, 0x80, v4, v6
	global_store_b8 v[0:1], v4, off
.LBB264_1748:
	s_mov_b32 s3, 0
	s_mov_b32 s6, -1
.LBB264_1749:
	s_and_not1_b32 vcc_lo, exec_lo, s3
	s_mov_b32 s3, 0
	s_cbranch_vccnz .LBB264_1756
; %bb.1750:
	v_cmp_lt_i16_e32 vcc_lo, 14, v5
	s_mov_b32 s3, -1
	s_cbranch_vccz .LBB264_1754
; %bb.1751:
	v_cmp_eq_u16_e32 vcc_lo, 15, v5
	s_mov_b32 s0, -1
	s_cbranch_vccz .LBB264_1753
; %bb.1752:
	v_cvt_f32_f16_e32 v4, v3
	v_cmp_o_f16_e32 vcc_lo, v3, v3
	s_mov_b32 s0, 0
	s_mov_b32 s6, -1
	s_delay_alu instid0(VALU_DEP_2) | instskip(NEXT) | instid1(VALU_DEP_1)
	v_bfe_u32 v6, v4, 16, 1
	v_add3_u32 v4, v4, v6, 0x7fff
	s_delay_alu instid0(VALU_DEP_1) | instskip(NEXT) | instid1(VALU_DEP_1)
	v_lshrrev_b32_e32 v4, 16, v4
	v_cndmask_b32_e32 v4, 0x7fc0, v4, vcc_lo
	global_store_b16 v[0:1], v4, off
.LBB264_1753:
	s_mov_b32 s3, 0
.LBB264_1754:
	s_delay_alu instid0(SALU_CYCLE_1)
	s_and_b32 vcc_lo, exec_lo, s3
	s_mov_b32 s3, 0
	s_cbranch_vccz .LBB264_1756
; %bb.1755:
	v_cmp_ne_u16_e64 s0, 11, v5
	s_mov_b32 s3, -1
.LBB264_1756:
	s_delay_alu instid0(VALU_DEP_1)
	s_and_b32 vcc_lo, exec_lo, s0
	s_cbranch_vccnz .LBB264_2056
; %bb.1757:
	s_and_not1_b32 vcc_lo, exec_lo, s3
	s_cbranch_vccnz .LBB264_1759
.LBB264_1758:
	v_cmp_neq_f16_e32 vcc_lo, 0, v3
	s_mov_b32 s6, -1
	v_cndmask_b32_e64 v4, 0, 1, vcc_lo
	global_store_b8 v[0:1], v4, off
.LBB264_1759:
	s_mov_b32 s0, 0
	s_branch .LBB264_1761
.LBB264_1760:
	s_mov_b32 s0, -1
	s_mov_b32 s6, 0
.LBB264_1761:
	s_and_b32 vcc_lo, exec_lo, s0
	s_cbranch_vccz .LBB264_1800
; %bb.1762:
	v_cmp_gt_i16_e32 vcc_lo, 5, v5
	s_mov_b32 s0, -1
	s_cbranch_vccnz .LBB264_1783
; %bb.1763:
	v_cmp_gt_i16_e32 vcc_lo, 8, v5
	s_cbranch_vccnz .LBB264_1773
; %bb.1764:
	v_cmp_gt_i16_e32 vcc_lo, 9, v5
	s_cbranch_vccnz .LBB264_1770
; %bb.1765:
	v_cmp_lt_i16_e32 vcc_lo, 9, v5
	s_cbranch_vccz .LBB264_1767
; %bb.1766:
	v_cvt_f32_f16_e32 v4, v3
	v_mov_b32_e32 v11, 0
	s_mov_b32 s0, 0
	s_delay_alu instid0(VALU_DEP_2) | instskip(NEXT) | instid1(VALU_DEP_2)
	v_cvt_f64_f32_e32 v[9:10], v4
	v_mov_b32_e32 v12, v11
	global_store_b128 v[0:1], v[9:12], off
.LBB264_1767:
	s_and_not1_b32 vcc_lo, exec_lo, s0
	s_cbranch_vccnz .LBB264_1769
; %bb.1768:
	v_cvt_f32_f16_e32 v9, v3
	v_mov_b32_e32 v10, 0
	global_store_b64 v[0:1], v[9:10], off
.LBB264_1769:
	s_mov_b32 s0, 0
.LBB264_1770:
	s_delay_alu instid0(SALU_CYCLE_1)
	s_and_not1_b32 vcc_lo, exec_lo, s0
	s_cbranch_vccnz .LBB264_1772
; %bb.1771:
	v_and_b32_e32 v4, 0xffff, v3
	global_store_b32 v[0:1], v4, off
.LBB264_1772:
	s_mov_b32 s0, 0
.LBB264_1773:
	s_delay_alu instid0(SALU_CYCLE_1)
	s_and_not1_b32 vcc_lo, exec_lo, s0
	s_cbranch_vccnz .LBB264_1782
; %bb.1774:
	v_cmp_gt_i16_e32 vcc_lo, 6, v5
	s_mov_b32 s0, -1
	s_cbranch_vccnz .LBB264_1780
; %bb.1775:
	v_cmp_lt_i16_e32 vcc_lo, 6, v5
	s_cbranch_vccz .LBB264_1777
; %bb.1776:
	v_cvt_f32_f16_e32 v4, v3
	s_mov_b32 s0, 0
	s_delay_alu instid0(VALU_DEP_1)
	v_cvt_f64_f32_e32 v[9:10], v4
	global_store_b64 v[0:1], v[9:10], off
.LBB264_1777:
	s_and_not1_b32 vcc_lo, exec_lo, s0
	s_cbranch_vccnz .LBB264_1779
; %bb.1778:
	v_cvt_f32_f16_e32 v4, v3
	global_store_b32 v[0:1], v4, off
.LBB264_1779:
	s_mov_b32 s0, 0
.LBB264_1780:
	s_delay_alu instid0(SALU_CYCLE_1)
	s_and_not1_b32 vcc_lo, exec_lo, s0
	s_cbranch_vccnz .LBB264_1782
; %bb.1781:
	global_store_b16 v[0:1], v3, off
.LBB264_1782:
	s_mov_b32 s0, 0
.LBB264_1783:
	s_delay_alu instid0(SALU_CYCLE_1)
	s_and_not1_b32 vcc_lo, exec_lo, s0
	s_cbranch_vccnz .LBB264_1799
; %bb.1784:
	v_cmp_gt_i16_e32 vcc_lo, 2, v5
	s_mov_b32 s0, -1
	s_cbranch_vccnz .LBB264_1794
; %bb.1785:
	v_cmp_gt_i16_e32 vcc_lo, 3, v5
	s_cbranch_vccnz .LBB264_1791
; %bb.1786:
	v_cmp_lt_i16_e32 vcc_lo, 3, v5
	s_cbranch_vccz .LBB264_1788
; %bb.1787:
	v_cvt_f32_f16_e32 v4, v3
	s_mov_b32 s0, 0
	s_delay_alu instid0(VALU_DEP_1) | instskip(NEXT) | instid1(VALU_DEP_1)
	v_cvt_i32_f32_e32 v9, v4
	v_ashrrev_i32_e32 v10, 31, v9
	global_store_b64 v[0:1], v[9:10], off
.LBB264_1788:
	s_and_not1_b32 vcc_lo, exec_lo, s0
	s_cbranch_vccnz .LBB264_1790
; %bb.1789:
	v_cvt_f32_f16_e32 v4, v3
	s_delay_alu instid0(VALU_DEP_1)
	v_cvt_i32_f32_e32 v4, v4
	global_store_b32 v[0:1], v4, off
.LBB264_1790:
	s_mov_b32 s0, 0
.LBB264_1791:
	s_delay_alu instid0(SALU_CYCLE_1)
	s_and_not1_b32 vcc_lo, exec_lo, s0
	s_cbranch_vccnz .LBB264_1793
; %bb.1792:
	v_cvt_i16_f16_e32 v4, v3
	global_store_b16 v[0:1], v4, off
.LBB264_1793:
	s_mov_b32 s0, 0
.LBB264_1794:
	s_delay_alu instid0(SALU_CYCLE_1)
	s_and_not1_b32 vcc_lo, exec_lo, s0
	s_cbranch_vccnz .LBB264_1799
; %bb.1795:
	v_cmp_lt_i16_e32 vcc_lo, 0, v5
	s_mov_b32 s0, -1
	s_cbranch_vccz .LBB264_1797
; %bb.1796:
	v_cvt_i16_f16_e32 v4, v3
	s_mov_b32 s0, 0
	global_store_b8 v[0:1], v4, off
.LBB264_1797:
	s_and_not1_b32 vcc_lo, exec_lo, s0
	s_cbranch_vccnz .LBB264_1799
; %bb.1798:
	v_cvt_f32_f16_e32 v3, v3
	s_delay_alu instid0(VALU_DEP_1)
	v_cvt_i32_f32_e32 v3, v3
	global_store_b8 v[0:1], v3, off
.LBB264_1799:
	s_mov_b32 s6, -1
.LBB264_1800:
	s_delay_alu instid0(SALU_CYCLE_1)
	s_and_not1_b32 vcc_lo, exec_lo, s6
	s_cbranch_vccnz .LBB264_1996
; %bb.1801:
	v_cvt_f32_f16_e32 v0, v7
	s_delay_alu instid0(VALU_DEP_1) | instskip(SKIP_1) | instid1(VALU_DEP_2)
	v_dual_mul_f32 v1, 0x4f800000, v0 :: v_dual_add_nc_u32 v2, s2, v2
	v_cmp_gt_f32_e32 vcc_lo, 0xf800000, v0
	v_cndmask_b32_e32 v0, v0, v1, vcc_lo
	s_delay_alu instid0(VALU_DEP_1) | instskip(SKIP_3) | instid1(VALU_DEP_1)
	v_rsq_f32_e32 v1, v0
	s_waitcnt_depctr 0xfff
	v_mul_f32_e32 v3, v0, v1
	v_mul_f32_e32 v1, 0.5, v1
	v_fma_f32 v4, -v1, v3, 0.5
	s_delay_alu instid0(VALU_DEP_1) | instskip(SKIP_2) | instid1(VALU_DEP_3)
	v_fmac_f32_e32 v3, v3, v4
	v_fmac_f32_e32 v1, v1, v4
	v_cmp_class_f32_e64 s0, v0, 0x260
	v_fma_f32 v4, -v3, v3, v0
	s_delay_alu instid0(VALU_DEP_1) | instskip(NEXT) | instid1(VALU_DEP_1)
	v_fmac_f32_e32 v3, v4, v1
	v_mul_f32_e32 v1, 0x37800000, v3
	s_delay_alu instid0(VALU_DEP_1) | instskip(SKIP_2) | instid1(VALU_DEP_3)
	v_cndmask_b32_e32 v1, v3, v1, vcc_lo
	v_ashrrev_i32_e32 v3, 31, v2
	v_cmp_gt_i16_e32 vcc_lo, 11, v5
	v_cndmask_b32_e64 v4, v1, v0, s0
	v_add_co_u32 v0, s0, s4, v2
	s_delay_alu instid0(VALU_DEP_1) | instskip(NEXT) | instid1(VALU_DEP_3)
	v_add_co_ci_u32_e64 v1, s0, s5, v3, s0
	v_cvt_f16_f32_e32 v3, v4
	s_cbranch_vccnz .LBB264_1879
; %bb.1802:
	v_cmp_lt_i16_e32 vcc_lo, 25, v5
	s_mov_b32 s7, -1
	s_mov_b32 s3, 0
	s_mov_b32 s6, 0
	s_mov_b32 s0, 0
	s_cbranch_vccz .LBB264_1835
; %bb.1803:
	v_cmp_lt_i16_e32 vcc_lo, 28, v5
	s_cbranch_vccz .LBB264_1818
; %bb.1804:
	v_cmp_lt_i16_e32 vcc_lo, 43, v5
	;; [unrolled: 3-line block ×3, first 2 shown]
	s_cbranch_vccz .LBB264_1808
; %bb.1806:
	v_cmp_eq_u16_e32 vcc_lo, 46, v5
	s_mov_b32 s0, -1
	s_mov_b32 s7, 0
	s_cbranch_vccz .LBB264_1808
; %bb.1807:
	v_cvt_f32_f16_e32 v4, v3
	v_cmp_o_f16_e32 vcc_lo, v3, v3
	s_mov_b32 s0, 0
	s_mov_b32 s6, -1
	s_delay_alu instid0(VALU_DEP_2) | instskip(NEXT) | instid1(VALU_DEP_1)
	v_bfe_u32 v6, v4, 16, 1
	v_add3_u32 v4, v4, v6, 0x7fff
	s_delay_alu instid0(VALU_DEP_1) | instskip(NEXT) | instid1(VALU_DEP_1)
	v_lshrrev_b32_e32 v4, 16, v4
	v_cndmask_b32_e32 v4, 0x7fc0, v4, vcc_lo
	global_store_b32 v[0:1], v4, off
.LBB264_1808:
	s_and_b32 vcc_lo, exec_lo, s7
	s_cbranch_vccz .LBB264_1813
; %bb.1809:
	v_cmp_eq_u16_e32 vcc_lo, 44, v5
	s_mov_b32 s0, -1
	s_cbranch_vccz .LBB264_1813
; %bb.1810:
	v_cvt_f32_f16_e32 v4, v3
	v_mov_b32_e32 v6, 0xff
	s_mov_b32 s6, exec_lo
	s_delay_alu instid0(VALU_DEP_2) | instskip(NEXT) | instid1(VALU_DEP_1)
	v_bfe_u32 v7, v4, 23, 8
	v_cmpx_ne_u32_e32 0xff, v7
; %bb.1811:
	v_and_b32_e32 v6, 0x400000, v4
	v_and_or_b32 v7, 0x3fffff, v4, v7
	v_lshrrev_b32_e32 v4, 23, v4
	s_delay_alu instid0(VALU_DEP_3) | instskip(NEXT) | instid1(VALU_DEP_3)
	v_cmp_ne_u32_e32 vcc_lo, 0, v6
	v_cmp_ne_u32_e64 s0, 0, v7
	s_delay_alu instid0(VALU_DEP_1) | instskip(NEXT) | instid1(SALU_CYCLE_1)
	s_and_b32 s0, vcc_lo, s0
	v_cndmask_b32_e64 v6, 0, 1, s0
	s_delay_alu instid0(VALU_DEP_1)
	v_add_nc_u32_e32 v6, v4, v6
; %bb.1812:
	s_or_b32 exec_lo, exec_lo, s6
	s_mov_b32 s0, 0
	s_mov_b32 s6, -1
	global_store_b8 v[0:1], v6, off
.LBB264_1813:
	s_mov_b32 s7, 0
.LBB264_1814:
	s_delay_alu instid0(SALU_CYCLE_1)
	s_and_b32 vcc_lo, exec_lo, s7
	s_cbranch_vccz .LBB264_1817
; %bb.1815:
	v_cmp_eq_u16_e32 vcc_lo, 29, v5
	s_mov_b32 s0, -1
	s_cbranch_vccz .LBB264_1817
; %bb.1816:
	v_cvt_f32_f16_e32 v4, v3
	v_mov_b32_e32 v7, 0
	s_mov_b32 s0, 0
	s_mov_b32 s6, -1
	s_delay_alu instid0(VALU_DEP_2)
	v_cvt_u32_f32_e32 v6, v4
	global_store_b64 v[0:1], v[6:7], off
.LBB264_1817:
	s_mov_b32 s7, 0
.LBB264_1818:
	s_delay_alu instid0(SALU_CYCLE_1)
	s_and_b32 vcc_lo, exec_lo, s7
	s_cbranch_vccz .LBB264_1834
; %bb.1819:
	v_cmp_gt_i16_e32 vcc_lo, 27, v5
	s_mov_b32 s6, -1
	s_cbranch_vccnz .LBB264_1825
; %bb.1820:
	v_cmp_lt_i16_e32 vcc_lo, 27, v5
	s_cbranch_vccz .LBB264_1822
; %bb.1821:
	v_cvt_f32_f16_e32 v4, v3
	s_mov_b32 s6, 0
	s_delay_alu instid0(VALU_DEP_1)
	v_cvt_u32_f32_e32 v4, v4
	global_store_b32 v[0:1], v4, off
.LBB264_1822:
	s_and_not1_b32 vcc_lo, exec_lo, s6
	s_cbranch_vccnz .LBB264_1824
; %bb.1823:
	v_cvt_u16_f16_e32 v4, v3
	global_store_b16 v[0:1], v4, off
.LBB264_1824:
	s_mov_b32 s6, 0
.LBB264_1825:
	s_delay_alu instid0(SALU_CYCLE_1)
	s_and_not1_b32 vcc_lo, exec_lo, s6
	s_cbranch_vccnz .LBB264_1833
; %bb.1826:
	v_cvt_f32_f16_e32 v4, v3
	v_mov_b32_e32 v7, 0x80
	s_mov_b32 s6, exec_lo
	s_delay_alu instid0(VALU_DEP_2) | instskip(NEXT) | instid1(VALU_DEP_1)
	v_and_b32_e32 v6, 0x7fffffff, v4
	v_cmpx_gt_u32_e32 0x43800000, v6
	s_cbranch_execz .LBB264_1832
; %bb.1827:
	v_cmp_lt_u32_e32 vcc_lo, 0x3bffffff, v6
	s_mov_b32 s7, 0
                                        ; implicit-def: $vgpr6
	s_and_saveexec_b32 s10, vcc_lo
	s_delay_alu instid0(SALU_CYCLE_1)
	s_xor_b32 s10, exec_lo, s10
	s_cbranch_execz .LBB264_2060
; %bb.1828:
	v_bfe_u32 v6, v4, 20, 1
	s_mov_b32 s7, exec_lo
	s_delay_alu instid0(VALU_DEP_1) | instskip(NEXT) | instid1(VALU_DEP_1)
	v_add3_u32 v6, v4, v6, 0x487ffff
	v_lshrrev_b32_e32 v6, 20, v6
	s_or_saveexec_b32 s10, s10
                                        ; implicit-def: $sgpr11
	s_delay_alu instid0(SALU_CYCLE_1)
	s_xor_b32 exec_lo, exec_lo, s10
	s_cbranch_execnz .LBB264_2061
.LBB264_1829:
	s_or_b32 exec_lo, exec_lo, s10
	v_mov_b32_e32 v7, s11
	s_and_saveexec_b32 s10, s7
.LBB264_1830:
	v_lshrrev_b32_e32 v4, 24, v4
	s_delay_alu instid0(VALU_DEP_1)
	v_and_or_b32 v7, 0x80, v4, v6
.LBB264_1831:
	s_or_b32 exec_lo, exec_lo, s10
.LBB264_1832:
	s_delay_alu instid0(SALU_CYCLE_1)
	s_or_b32 exec_lo, exec_lo, s6
	global_store_b8 v[0:1], v7, off
.LBB264_1833:
	s_mov_b32 s6, -1
.LBB264_1834:
	s_mov_b32 s7, 0
.LBB264_1835:
	s_delay_alu instid0(SALU_CYCLE_1)
	s_and_b32 vcc_lo, exec_lo, s7
	s_cbranch_vccz .LBB264_1875
; %bb.1836:
	v_cmp_lt_i16_e32 vcc_lo, 22, v5
	s_mov_b32 s3, -1
	s_cbranch_vccz .LBB264_1868
; %bb.1837:
	v_cmp_gt_i16_e32 vcc_lo, 24, v5
	s_cbranch_vccnz .LBB264_1857
; %bb.1838:
	v_cmp_lt_i16_e32 vcc_lo, 24, v5
	s_cbranch_vccz .LBB264_1846
; %bb.1839:
	v_cvt_f32_f16_e32 v4, v3
	v_mov_b32_e32 v7, 0x80
	s_mov_b32 s3, exec_lo
	s_delay_alu instid0(VALU_DEP_2) | instskip(NEXT) | instid1(VALU_DEP_1)
	v_and_b32_e32 v6, 0x7fffffff, v4
	v_cmpx_gt_u32_e32 0x47800000, v6
	s_cbranch_execz .LBB264_1845
; %bb.1840:
	v_cmp_lt_u32_e32 vcc_lo, 0x37ffffff, v6
	s_mov_b32 s6, 0
                                        ; implicit-def: $vgpr6
	s_and_saveexec_b32 s7, vcc_lo
	s_delay_alu instid0(SALU_CYCLE_1)
	s_xor_b32 s7, exec_lo, s7
	s_cbranch_execz .LBB264_2066
; %bb.1841:
	v_bfe_u32 v6, v4, 21, 1
	s_mov_b32 s6, exec_lo
	s_delay_alu instid0(VALU_DEP_1) | instskip(NEXT) | instid1(VALU_DEP_1)
	v_add3_u32 v6, v4, v6, 0x88fffff
	v_lshrrev_b32_e32 v6, 21, v6
	s_or_saveexec_b32 s7, s7
                                        ; implicit-def: $sgpr10
	s_delay_alu instid0(SALU_CYCLE_1)
	s_xor_b32 exec_lo, exec_lo, s7
	s_cbranch_execnz .LBB264_2067
.LBB264_1842:
	s_or_b32 exec_lo, exec_lo, s7
	v_mov_b32_e32 v7, s10
	s_and_saveexec_b32 s7, s6
.LBB264_1843:
	v_lshrrev_b32_e32 v4, 24, v4
	s_delay_alu instid0(VALU_DEP_1)
	v_and_or_b32 v7, 0x80, v4, v6
.LBB264_1844:
	s_or_b32 exec_lo, exec_lo, s7
.LBB264_1845:
	s_delay_alu instid0(SALU_CYCLE_1)
	s_or_b32 exec_lo, exec_lo, s3
	s_mov_b32 s3, 0
	global_store_b8 v[0:1], v7, off
.LBB264_1846:
	s_and_b32 vcc_lo, exec_lo, s3
	s_cbranch_vccz .LBB264_1856
; %bb.1847:
	v_cvt_f32_f16_e32 v4, v3
	s_mov_b32 s3, exec_lo
                                        ; implicit-def: $vgpr6
	s_delay_alu instid0(VALU_DEP_1) | instskip(NEXT) | instid1(VALU_DEP_1)
	v_and_b32_e32 v7, 0x7fffffff, v4
	v_cmpx_gt_u32_e32 0x43f00000, v7
	s_xor_b32 s3, exec_lo, s3
	s_cbranch_execz .LBB264_1853
; %bb.1848:
	s_mov_b32 s6, exec_lo
                                        ; implicit-def: $vgpr6
	v_cmpx_lt_u32_e32 0x3c7fffff, v7
	s_xor_b32 s6, exec_lo, s6
; %bb.1849:
	v_bfe_u32 v6, v4, 20, 1
	s_delay_alu instid0(VALU_DEP_1) | instskip(NEXT) | instid1(VALU_DEP_1)
	v_add3_u32 v6, v4, v6, 0x407ffff
	v_and_b32_e32 v7, 0xff00000, v6
	v_lshrrev_b32_e32 v6, 20, v6
	s_delay_alu instid0(VALU_DEP_2) | instskip(NEXT) | instid1(VALU_DEP_2)
	v_cmp_ne_u32_e32 vcc_lo, 0x7f00000, v7
	v_cndmask_b32_e32 v6, 0x7e, v6, vcc_lo
; %bb.1850:
	s_and_not1_saveexec_b32 s6, s6
; %bb.1851:
	v_add_f32_e64 v6, 0x46800000, |v4|
; %bb.1852:
	s_or_b32 exec_lo, exec_lo, s6
                                        ; implicit-def: $vgpr7
.LBB264_1853:
	s_and_not1_saveexec_b32 s3, s3
; %bb.1854:
	v_mov_b32_e32 v6, 0x7f
	v_cmp_lt_u32_e32 vcc_lo, 0x7f800000, v7
	s_delay_alu instid0(VALU_DEP_2)
	v_cndmask_b32_e32 v6, 0x7e, v6, vcc_lo
; %bb.1855:
	s_or_b32 exec_lo, exec_lo, s3
	v_lshrrev_b32_e32 v4, 24, v4
	s_delay_alu instid0(VALU_DEP_1)
	v_and_or_b32 v4, 0x80, v4, v6
	global_store_b8 v[0:1], v4, off
.LBB264_1856:
	s_mov_b32 s3, 0
.LBB264_1857:
	s_delay_alu instid0(SALU_CYCLE_1)
	s_and_not1_b32 vcc_lo, exec_lo, s3
	s_cbranch_vccnz .LBB264_1867
; %bb.1858:
	v_cvt_f32_f16_e32 v4, v3
	s_mov_b32 s3, exec_lo
                                        ; implicit-def: $vgpr6
	s_delay_alu instid0(VALU_DEP_1) | instskip(NEXT) | instid1(VALU_DEP_1)
	v_and_b32_e32 v7, 0x7fffffff, v4
	v_cmpx_gt_u32_e32 0x47800000, v7
	s_xor_b32 s3, exec_lo, s3
	s_cbranch_execz .LBB264_1864
; %bb.1859:
	s_mov_b32 s6, exec_lo
                                        ; implicit-def: $vgpr6
	v_cmpx_lt_u32_e32 0x387fffff, v7
	s_xor_b32 s6, exec_lo, s6
; %bb.1860:
	v_bfe_u32 v6, v4, 21, 1
	s_delay_alu instid0(VALU_DEP_1) | instskip(NEXT) | instid1(VALU_DEP_1)
	v_add3_u32 v6, v4, v6, 0x80fffff
	v_lshrrev_b32_e32 v6, 21, v6
; %bb.1861:
	s_and_not1_saveexec_b32 s6, s6
; %bb.1862:
	v_add_f32_e64 v6, 0x43000000, |v4|
; %bb.1863:
	s_or_b32 exec_lo, exec_lo, s6
                                        ; implicit-def: $vgpr7
.LBB264_1864:
	s_and_not1_saveexec_b32 s3, s3
; %bb.1865:
	v_mov_b32_e32 v6, 0x7f
	v_cmp_lt_u32_e32 vcc_lo, 0x7f800000, v7
	s_delay_alu instid0(VALU_DEP_2)
	v_cndmask_b32_e32 v6, 0x7c, v6, vcc_lo
; %bb.1866:
	s_or_b32 exec_lo, exec_lo, s3
	v_lshrrev_b32_e32 v4, 24, v4
	s_delay_alu instid0(VALU_DEP_1)
	v_and_or_b32 v4, 0x80, v4, v6
	global_store_b8 v[0:1], v4, off
.LBB264_1867:
	s_mov_b32 s3, 0
	s_mov_b32 s6, -1
.LBB264_1868:
	s_and_not1_b32 vcc_lo, exec_lo, s3
	s_mov_b32 s3, 0
	s_cbranch_vccnz .LBB264_1875
; %bb.1869:
	v_cmp_lt_i16_e32 vcc_lo, 14, v5
	s_mov_b32 s3, -1
	s_cbranch_vccz .LBB264_1873
; %bb.1870:
	v_cmp_eq_u16_e32 vcc_lo, 15, v5
	s_mov_b32 s0, -1
	s_cbranch_vccz .LBB264_1872
; %bb.1871:
	v_cvt_f32_f16_e32 v4, v3
	v_cmp_o_f16_e32 vcc_lo, v3, v3
	s_mov_b32 s0, 0
	s_mov_b32 s6, -1
	s_delay_alu instid0(VALU_DEP_2) | instskip(NEXT) | instid1(VALU_DEP_1)
	v_bfe_u32 v6, v4, 16, 1
	v_add3_u32 v4, v4, v6, 0x7fff
	s_delay_alu instid0(VALU_DEP_1) | instskip(NEXT) | instid1(VALU_DEP_1)
	v_lshrrev_b32_e32 v4, 16, v4
	v_cndmask_b32_e32 v4, 0x7fc0, v4, vcc_lo
	global_store_b16 v[0:1], v4, off
.LBB264_1872:
	s_mov_b32 s3, 0
.LBB264_1873:
	s_delay_alu instid0(SALU_CYCLE_1)
	s_and_b32 vcc_lo, exec_lo, s3
	s_mov_b32 s3, 0
	s_cbranch_vccz .LBB264_1875
; %bb.1874:
	v_cmp_ne_u16_e64 s0, 11, v5
	s_mov_b32 s3, -1
.LBB264_1875:
	s_delay_alu instid0(VALU_DEP_1)
	s_and_b32 vcc_lo, exec_lo, s0
	s_cbranch_vccnz .LBB264_2064
; %bb.1876:
	s_and_not1_b32 vcc_lo, exec_lo, s3
	s_cbranch_vccnz .LBB264_1878
.LBB264_1877:
	v_cmp_neq_f16_e32 vcc_lo, 0, v3
	s_mov_b32 s6, -1
	v_cndmask_b32_e64 v4, 0, 1, vcc_lo
	global_store_b8 v[0:1], v4, off
.LBB264_1878:
	s_mov_b32 s0, 0
	s_branch .LBB264_1880
.LBB264_1879:
	s_mov_b32 s0, -1
	s_mov_b32 s6, 0
.LBB264_1880:
	s_and_b32 vcc_lo, exec_lo, s0
	s_cbranch_vccz .LBB264_1919
; %bb.1881:
	v_cmp_gt_i16_e32 vcc_lo, 5, v5
	s_mov_b32 s0, -1
	s_cbranch_vccnz .LBB264_1902
; %bb.1882:
	v_cmp_gt_i16_e32 vcc_lo, 8, v5
	s_cbranch_vccnz .LBB264_1892
; %bb.1883:
	v_cmp_gt_i16_e32 vcc_lo, 9, v5
	s_cbranch_vccnz .LBB264_1889
; %bb.1884:
	v_cmp_lt_i16_e32 vcc_lo, 9, v5
	s_cbranch_vccz .LBB264_1886
; %bb.1885:
	v_cvt_f32_f16_e32 v4, v3
	v_mov_b32_e32 v11, 0
	s_mov_b32 s0, 0
	s_delay_alu instid0(VALU_DEP_2) | instskip(NEXT) | instid1(VALU_DEP_2)
	v_cvt_f64_f32_e32 v[9:10], v4
	v_mov_b32_e32 v12, v11
	global_store_b128 v[0:1], v[9:12], off
.LBB264_1886:
	s_and_not1_b32 vcc_lo, exec_lo, s0
	s_cbranch_vccnz .LBB264_1888
; %bb.1887:
	v_cvt_f32_f16_e32 v6, v3
	v_mov_b32_e32 v7, 0
	global_store_b64 v[0:1], v[6:7], off
.LBB264_1888:
	s_mov_b32 s0, 0
.LBB264_1889:
	s_delay_alu instid0(SALU_CYCLE_1)
	s_and_not1_b32 vcc_lo, exec_lo, s0
	s_cbranch_vccnz .LBB264_1891
; %bb.1890:
	v_and_b32_e32 v4, 0xffff, v3
	global_store_b32 v[0:1], v4, off
.LBB264_1891:
	s_mov_b32 s0, 0
.LBB264_1892:
	s_delay_alu instid0(SALU_CYCLE_1)
	s_and_not1_b32 vcc_lo, exec_lo, s0
	s_cbranch_vccnz .LBB264_1901
; %bb.1893:
	v_cmp_gt_i16_e32 vcc_lo, 6, v5
	s_mov_b32 s0, -1
	s_cbranch_vccnz .LBB264_1899
; %bb.1894:
	v_cmp_lt_i16_e32 vcc_lo, 6, v5
	s_cbranch_vccz .LBB264_1896
; %bb.1895:
	v_cvt_f32_f16_e32 v4, v3
	s_mov_b32 s0, 0
	s_delay_alu instid0(VALU_DEP_1)
	v_cvt_f64_f32_e32 v[6:7], v4
	global_store_b64 v[0:1], v[6:7], off
.LBB264_1896:
	s_and_not1_b32 vcc_lo, exec_lo, s0
	s_cbranch_vccnz .LBB264_1898
; %bb.1897:
	v_cvt_f32_f16_e32 v4, v3
	global_store_b32 v[0:1], v4, off
.LBB264_1898:
	s_mov_b32 s0, 0
.LBB264_1899:
	s_delay_alu instid0(SALU_CYCLE_1)
	s_and_not1_b32 vcc_lo, exec_lo, s0
	s_cbranch_vccnz .LBB264_1901
; %bb.1900:
	global_store_b16 v[0:1], v3, off
.LBB264_1901:
	s_mov_b32 s0, 0
.LBB264_1902:
	s_delay_alu instid0(SALU_CYCLE_1)
	s_and_not1_b32 vcc_lo, exec_lo, s0
	s_cbranch_vccnz .LBB264_1918
; %bb.1903:
	v_cmp_gt_i16_e32 vcc_lo, 2, v5
	s_mov_b32 s0, -1
	s_cbranch_vccnz .LBB264_1913
; %bb.1904:
	v_cmp_gt_i16_e32 vcc_lo, 3, v5
	s_cbranch_vccnz .LBB264_1910
; %bb.1905:
	v_cmp_lt_i16_e32 vcc_lo, 3, v5
	s_cbranch_vccz .LBB264_1907
; %bb.1906:
	v_cvt_f32_f16_e32 v4, v3
	s_mov_b32 s0, 0
	s_delay_alu instid0(VALU_DEP_1) | instskip(NEXT) | instid1(VALU_DEP_1)
	v_cvt_i32_f32_e32 v6, v4
	v_ashrrev_i32_e32 v7, 31, v6
	global_store_b64 v[0:1], v[6:7], off
.LBB264_1907:
	s_and_not1_b32 vcc_lo, exec_lo, s0
	s_cbranch_vccnz .LBB264_1909
; %bb.1908:
	v_cvt_f32_f16_e32 v4, v3
	s_delay_alu instid0(VALU_DEP_1)
	v_cvt_i32_f32_e32 v4, v4
	global_store_b32 v[0:1], v4, off
.LBB264_1909:
	s_mov_b32 s0, 0
.LBB264_1910:
	s_delay_alu instid0(SALU_CYCLE_1)
	s_and_not1_b32 vcc_lo, exec_lo, s0
	s_cbranch_vccnz .LBB264_1912
; %bb.1911:
	v_cvt_i16_f16_e32 v4, v3
	global_store_b16 v[0:1], v4, off
.LBB264_1912:
	s_mov_b32 s0, 0
.LBB264_1913:
	s_delay_alu instid0(SALU_CYCLE_1)
	s_and_not1_b32 vcc_lo, exec_lo, s0
	s_cbranch_vccnz .LBB264_1918
; %bb.1914:
	v_cmp_lt_i16_e32 vcc_lo, 0, v5
	s_mov_b32 s0, -1
	s_cbranch_vccz .LBB264_1916
; %bb.1915:
	v_cvt_i16_f16_e32 v4, v3
	s_mov_b32 s0, 0
	global_store_b8 v[0:1], v4, off
.LBB264_1916:
	s_and_not1_b32 vcc_lo, exec_lo, s0
	s_cbranch_vccnz .LBB264_1918
; %bb.1917:
	v_cvt_f32_f16_e32 v3, v3
	s_delay_alu instid0(VALU_DEP_1)
	v_cvt_i32_f32_e32 v3, v3
	global_store_b8 v[0:1], v3, off
.LBB264_1918:
	s_mov_b32 s6, -1
.LBB264_1919:
	s_delay_alu instid0(SALU_CYCLE_1)
	s_and_not1_b32 vcc_lo, exec_lo, s6
	s_cbranch_vccnz .LBB264_1996
; %bb.1920:
	v_cvt_f32_f16_e32 v0, v8
	s_delay_alu instid0(VALU_DEP_1) | instskip(SKIP_1) | instid1(VALU_DEP_2)
	v_dual_mul_f32 v1, 0x4f800000, v0 :: v_dual_add_nc_u32 v2, s2, v2
	v_cmp_gt_f32_e32 vcc_lo, 0xf800000, v0
	v_cndmask_b32_e32 v0, v0, v1, vcc_lo
	s_delay_alu instid0(VALU_DEP_1) | instskip(SKIP_3) | instid1(VALU_DEP_1)
	v_rsq_f32_e32 v1, v0
	s_waitcnt_depctr 0xfff
	v_mul_f32_e32 v3, v0, v1
	v_mul_f32_e32 v1, 0.5, v1
	v_fma_f32 v4, -v1, v3, 0.5
	s_delay_alu instid0(VALU_DEP_1) | instskip(SKIP_2) | instid1(VALU_DEP_3)
	v_fmac_f32_e32 v3, v3, v4
	v_fmac_f32_e32 v1, v1, v4
	v_cmp_class_f32_e64 s0, v0, 0x260
	v_fma_f32 v4, -v3, v3, v0
	s_delay_alu instid0(VALU_DEP_1) | instskip(NEXT) | instid1(VALU_DEP_1)
	v_fmac_f32_e32 v3, v4, v1
	v_mul_f32_e32 v1, 0x37800000, v3
	s_delay_alu instid0(VALU_DEP_1) | instskip(SKIP_2) | instid1(VALU_DEP_3)
	v_cndmask_b32_e32 v1, v3, v1, vcc_lo
	v_ashrrev_i32_e32 v3, 31, v2
	v_cmp_gt_i16_e32 vcc_lo, 11, v5
	v_cndmask_b32_e64 v4, v1, v0, s0
	v_add_co_u32 v0, s0, s4, v2
	s_delay_alu instid0(VALU_DEP_1) | instskip(NEXT) | instid1(VALU_DEP_3)
	v_add_co_ci_u32_e64 v1, s0, s5, v3, s0
	v_cvt_f16_f32_e32 v6, v4
	s_cbranch_vccnz .LBB264_2041
; %bb.1921:
	v_cmp_lt_i16_e32 vcc_lo, 25, v5
	s_mov_b32 s3, -1
	s_mov_b32 s2, 0
	s_mov_b32 s0, 0
	s_cbranch_vccz .LBB264_1954
; %bb.1922:
	v_cmp_lt_i16_e32 vcc_lo, 28, v5
	s_cbranch_vccz .LBB264_1938
; %bb.1923:
	v_cmp_lt_i16_e32 vcc_lo, 43, v5
	;; [unrolled: 3-line block ×3, first 2 shown]
	s_cbranch_vccz .LBB264_1928
; %bb.1925:
	v_cmp_eq_u16_e32 vcc_lo, 46, v5
	s_mov_b32 s0, -1
	s_cbranch_vccz .LBB264_1927
; %bb.1926:
	v_cvt_f32_f16_e32 v2, v6
	v_cmp_o_f16_e32 vcc_lo, v6, v6
	s_mov_b32 s0, 0
	s_delay_alu instid0(VALU_DEP_2) | instskip(NEXT) | instid1(VALU_DEP_1)
	v_bfe_u32 v3, v2, 16, 1
	v_add3_u32 v2, v2, v3, 0x7fff
	s_delay_alu instid0(VALU_DEP_1) | instskip(NEXT) | instid1(VALU_DEP_1)
	v_lshrrev_b32_e32 v2, 16, v2
	v_cndmask_b32_e32 v2, 0x7fc0, v2, vcc_lo
	global_store_b32 v[0:1], v2, off
.LBB264_1927:
	s_mov_b32 s3, 0
.LBB264_1928:
	s_delay_alu instid0(SALU_CYCLE_1)
	s_and_b32 vcc_lo, exec_lo, s3
	s_cbranch_vccz .LBB264_1933
; %bb.1929:
	v_cmp_eq_u16_e32 vcc_lo, 44, v5
	s_mov_b32 s0, -1
	s_cbranch_vccz .LBB264_1933
; %bb.1930:
	v_cvt_f32_f16_e32 v2, v6
	v_mov_b32_e32 v3, 0xff
	s_mov_b32 s3, exec_lo
	s_delay_alu instid0(VALU_DEP_2) | instskip(NEXT) | instid1(VALU_DEP_1)
	v_bfe_u32 v4, v2, 23, 8
	v_cmpx_ne_u32_e32 0xff, v4
; %bb.1931:
	v_and_b32_e32 v3, 0x400000, v2
	v_and_or_b32 v4, 0x3fffff, v2, v4
	v_lshrrev_b32_e32 v2, 23, v2
	s_delay_alu instid0(VALU_DEP_3) | instskip(NEXT) | instid1(VALU_DEP_3)
	v_cmp_ne_u32_e32 vcc_lo, 0, v3
	v_cmp_ne_u32_e64 s0, 0, v4
	s_delay_alu instid0(VALU_DEP_1) | instskip(NEXT) | instid1(SALU_CYCLE_1)
	s_and_b32 s0, vcc_lo, s0
	v_cndmask_b32_e64 v3, 0, 1, s0
	s_delay_alu instid0(VALU_DEP_1)
	v_add_nc_u32_e32 v3, v2, v3
; %bb.1932:
	s_or_b32 exec_lo, exec_lo, s3
	s_mov_b32 s0, 0
	global_store_b8 v[0:1], v3, off
.LBB264_1933:
	s_mov_b32 s3, 0
.LBB264_1934:
	s_delay_alu instid0(SALU_CYCLE_1)
	s_and_b32 vcc_lo, exec_lo, s3
	s_cbranch_vccz .LBB264_1937
; %bb.1935:
	v_cmp_eq_u16_e32 vcc_lo, 29, v5
	s_mov_b32 s0, -1
	s_cbranch_vccz .LBB264_1937
; %bb.1936:
	v_cvt_f32_f16_e32 v2, v6
	v_mov_b32_e32 v3, 0
	s_mov_b32 s0, 0
	s_delay_alu instid0(VALU_DEP_2)
	v_cvt_u32_f32_e32 v2, v2
	global_store_b64 v[0:1], v[2:3], off
.LBB264_1937:
	s_mov_b32 s3, 0
.LBB264_1938:
	s_delay_alu instid0(SALU_CYCLE_1)
	s_and_b32 vcc_lo, exec_lo, s3
	s_cbranch_vccz .LBB264_1953
; %bb.1939:
	v_cmp_gt_i16_e32 vcc_lo, 27, v5
	s_mov_b32 s3, -1
	s_cbranch_vccnz .LBB264_1945
; %bb.1940:
	v_cmp_lt_i16_e32 vcc_lo, 27, v5
	s_cbranch_vccz .LBB264_1942
; %bb.1941:
	v_cvt_f32_f16_e32 v2, v6
	s_mov_b32 s3, 0
	s_delay_alu instid0(VALU_DEP_1)
	v_cvt_u32_f32_e32 v2, v2
	global_store_b32 v[0:1], v2, off
.LBB264_1942:
	s_and_not1_b32 vcc_lo, exec_lo, s3
	s_cbranch_vccnz .LBB264_1944
; %bb.1943:
	v_cvt_u16_f16_e32 v2, v6
	global_store_b16 v[0:1], v2, off
.LBB264_1944:
	s_mov_b32 s3, 0
.LBB264_1945:
	s_delay_alu instid0(SALU_CYCLE_1)
	s_and_not1_b32 vcc_lo, exec_lo, s3
	s_cbranch_vccnz .LBB264_1953
; %bb.1946:
	v_cvt_f32_f16_e32 v2, v6
	v_mov_b32_e32 v4, 0x80
	s_mov_b32 s3, exec_lo
	s_delay_alu instid0(VALU_DEP_2) | instskip(NEXT) | instid1(VALU_DEP_1)
	v_and_b32_e32 v3, 0x7fffffff, v2
	v_cmpx_gt_u32_e32 0x43800000, v3
	s_cbranch_execz .LBB264_1952
; %bb.1947:
	v_cmp_lt_u32_e32 vcc_lo, 0x3bffffff, v3
	s_mov_b32 s4, 0
                                        ; implicit-def: $vgpr3
	s_and_saveexec_b32 s5, vcc_lo
	s_delay_alu instid0(SALU_CYCLE_1)
	s_xor_b32 s5, exec_lo, s5
	s_cbranch_execz .LBB264_2068
; %bb.1948:
	v_bfe_u32 v3, v2, 20, 1
	s_mov_b32 s4, exec_lo
	s_delay_alu instid0(VALU_DEP_1) | instskip(NEXT) | instid1(VALU_DEP_1)
	v_add3_u32 v3, v2, v3, 0x487ffff
	v_lshrrev_b32_e32 v3, 20, v3
	s_or_saveexec_b32 s5, s5
                                        ; implicit-def: $sgpr6
	s_delay_alu instid0(SALU_CYCLE_1)
	s_xor_b32 exec_lo, exec_lo, s5
	s_cbranch_execnz .LBB264_2069
.LBB264_1949:
	s_or_b32 exec_lo, exec_lo, s5
	v_mov_b32_e32 v4, s6
	s_and_saveexec_b32 s5, s4
.LBB264_1950:
	v_lshrrev_b32_e32 v2, 24, v2
	s_delay_alu instid0(VALU_DEP_1)
	v_and_or_b32 v4, 0x80, v2, v3
.LBB264_1951:
	s_or_b32 exec_lo, exec_lo, s5
.LBB264_1952:
	s_delay_alu instid0(SALU_CYCLE_1)
	s_or_b32 exec_lo, exec_lo, s3
	global_store_b8 v[0:1], v4, off
.LBB264_1953:
	s_mov_b32 s3, 0
.LBB264_1954:
	s_delay_alu instid0(SALU_CYCLE_1)
	s_and_b32 vcc_lo, exec_lo, s3
	s_cbranch_vccz .LBB264_1994
; %bb.1955:
	v_cmp_lt_i16_e32 vcc_lo, 22, v5
	s_mov_b32 s2, -1
	s_cbranch_vccz .LBB264_1987
; %bb.1956:
	v_cmp_gt_i16_e32 vcc_lo, 24, v5
	s_cbranch_vccnz .LBB264_1976
; %bb.1957:
	v_cmp_lt_i16_e32 vcc_lo, 24, v5
	s_cbranch_vccz .LBB264_1965
; %bb.1958:
	v_cvt_f32_f16_e32 v2, v6
	v_mov_b32_e32 v4, 0x80
	s_mov_b32 s2, exec_lo
	s_delay_alu instid0(VALU_DEP_2) | instskip(NEXT) | instid1(VALU_DEP_1)
	v_and_b32_e32 v3, 0x7fffffff, v2
	v_cmpx_gt_u32_e32 0x47800000, v3
	s_cbranch_execz .LBB264_1964
; %bb.1959:
	v_cmp_lt_u32_e32 vcc_lo, 0x37ffffff, v3
	s_mov_b32 s3, 0
                                        ; implicit-def: $vgpr3
	s_and_saveexec_b32 s4, vcc_lo
	s_delay_alu instid0(SALU_CYCLE_1)
	s_xor_b32 s4, exec_lo, s4
	s_cbranch_execz .LBB264_2074
; %bb.1960:
	v_bfe_u32 v3, v2, 21, 1
	s_mov_b32 s3, exec_lo
	s_delay_alu instid0(VALU_DEP_1) | instskip(NEXT) | instid1(VALU_DEP_1)
	v_add3_u32 v3, v2, v3, 0x88fffff
	v_lshrrev_b32_e32 v3, 21, v3
	s_or_saveexec_b32 s4, s4
                                        ; implicit-def: $sgpr5
	s_delay_alu instid0(SALU_CYCLE_1)
	s_xor_b32 exec_lo, exec_lo, s4
	s_cbranch_execnz .LBB264_2075
.LBB264_1961:
	s_or_b32 exec_lo, exec_lo, s4
	v_mov_b32_e32 v4, s5
	s_and_saveexec_b32 s4, s3
.LBB264_1962:
	v_lshrrev_b32_e32 v2, 24, v2
	s_delay_alu instid0(VALU_DEP_1)
	v_and_or_b32 v4, 0x80, v2, v3
.LBB264_1963:
	s_or_b32 exec_lo, exec_lo, s4
.LBB264_1964:
	s_delay_alu instid0(SALU_CYCLE_1)
	s_or_b32 exec_lo, exec_lo, s2
	s_mov_b32 s2, 0
	global_store_b8 v[0:1], v4, off
.LBB264_1965:
	s_and_b32 vcc_lo, exec_lo, s2
	s_cbranch_vccz .LBB264_1975
; %bb.1966:
	v_cvt_f32_f16_e32 v2, v6
	s_mov_b32 s2, exec_lo
                                        ; implicit-def: $vgpr3
	s_delay_alu instid0(VALU_DEP_1) | instskip(NEXT) | instid1(VALU_DEP_1)
	v_and_b32_e32 v4, 0x7fffffff, v2
	v_cmpx_gt_u32_e32 0x43f00000, v4
	s_xor_b32 s2, exec_lo, s2
	s_cbranch_execz .LBB264_1972
; %bb.1967:
	s_mov_b32 s3, exec_lo
                                        ; implicit-def: $vgpr3
	v_cmpx_lt_u32_e32 0x3c7fffff, v4
	s_xor_b32 s3, exec_lo, s3
; %bb.1968:
	v_bfe_u32 v3, v2, 20, 1
	s_delay_alu instid0(VALU_DEP_1) | instskip(NEXT) | instid1(VALU_DEP_1)
	v_add3_u32 v3, v2, v3, 0x407ffff
	v_and_b32_e32 v4, 0xff00000, v3
	v_lshrrev_b32_e32 v3, 20, v3
	s_delay_alu instid0(VALU_DEP_2) | instskip(NEXT) | instid1(VALU_DEP_2)
	v_cmp_ne_u32_e32 vcc_lo, 0x7f00000, v4
	v_cndmask_b32_e32 v3, 0x7e, v3, vcc_lo
; %bb.1969:
	s_and_not1_saveexec_b32 s3, s3
; %bb.1970:
	v_add_f32_e64 v3, 0x46800000, |v2|
; %bb.1971:
	s_or_b32 exec_lo, exec_lo, s3
                                        ; implicit-def: $vgpr4
.LBB264_1972:
	s_and_not1_saveexec_b32 s2, s2
; %bb.1973:
	v_mov_b32_e32 v3, 0x7f
	v_cmp_lt_u32_e32 vcc_lo, 0x7f800000, v4
	s_delay_alu instid0(VALU_DEP_2)
	v_cndmask_b32_e32 v3, 0x7e, v3, vcc_lo
; %bb.1974:
	s_or_b32 exec_lo, exec_lo, s2
	v_lshrrev_b32_e32 v2, 24, v2
	s_delay_alu instid0(VALU_DEP_1)
	v_and_or_b32 v2, 0x80, v2, v3
	global_store_b8 v[0:1], v2, off
.LBB264_1975:
	s_mov_b32 s2, 0
.LBB264_1976:
	s_delay_alu instid0(SALU_CYCLE_1)
	s_and_not1_b32 vcc_lo, exec_lo, s2
	s_cbranch_vccnz .LBB264_1986
; %bb.1977:
	v_cvt_f32_f16_e32 v2, v6
	s_mov_b32 s2, exec_lo
                                        ; implicit-def: $vgpr3
	s_delay_alu instid0(VALU_DEP_1) | instskip(NEXT) | instid1(VALU_DEP_1)
	v_and_b32_e32 v4, 0x7fffffff, v2
	v_cmpx_gt_u32_e32 0x47800000, v4
	s_xor_b32 s2, exec_lo, s2
	s_cbranch_execz .LBB264_1983
; %bb.1978:
	s_mov_b32 s3, exec_lo
                                        ; implicit-def: $vgpr3
	v_cmpx_lt_u32_e32 0x387fffff, v4
	s_xor_b32 s3, exec_lo, s3
; %bb.1979:
	v_bfe_u32 v3, v2, 21, 1
	s_delay_alu instid0(VALU_DEP_1) | instskip(NEXT) | instid1(VALU_DEP_1)
	v_add3_u32 v3, v2, v3, 0x80fffff
	v_lshrrev_b32_e32 v3, 21, v3
; %bb.1980:
	s_and_not1_saveexec_b32 s3, s3
; %bb.1981:
	v_add_f32_e64 v3, 0x43000000, |v2|
; %bb.1982:
	s_or_b32 exec_lo, exec_lo, s3
                                        ; implicit-def: $vgpr4
.LBB264_1983:
	s_and_not1_saveexec_b32 s2, s2
; %bb.1984:
	v_mov_b32_e32 v3, 0x7f
	v_cmp_lt_u32_e32 vcc_lo, 0x7f800000, v4
	s_delay_alu instid0(VALU_DEP_2)
	v_cndmask_b32_e32 v3, 0x7c, v3, vcc_lo
; %bb.1985:
	s_or_b32 exec_lo, exec_lo, s2
	v_lshrrev_b32_e32 v2, 24, v2
	s_delay_alu instid0(VALU_DEP_1)
	v_and_or_b32 v2, 0x80, v2, v3
	global_store_b8 v[0:1], v2, off
.LBB264_1986:
	s_mov_b32 s2, 0
.LBB264_1987:
	s_delay_alu instid0(SALU_CYCLE_1)
	s_and_not1_b32 vcc_lo, exec_lo, s2
	s_mov_b32 s2, 0
	s_cbranch_vccnz .LBB264_1994
; %bb.1988:
	v_cmp_lt_i16_e32 vcc_lo, 14, v5
	s_mov_b32 s2, -1
	s_cbranch_vccz .LBB264_1992
; %bb.1989:
	v_cmp_eq_u16_e32 vcc_lo, 15, v5
	s_mov_b32 s0, -1
	s_cbranch_vccz .LBB264_1991
; %bb.1990:
	v_cvt_f32_f16_e32 v2, v6
	v_cmp_o_f16_e32 vcc_lo, v6, v6
	s_mov_b32 s0, 0
	s_delay_alu instid0(VALU_DEP_2) | instskip(NEXT) | instid1(VALU_DEP_1)
	v_bfe_u32 v3, v2, 16, 1
	v_add3_u32 v2, v2, v3, 0x7fff
	s_delay_alu instid0(VALU_DEP_1) | instskip(NEXT) | instid1(VALU_DEP_1)
	v_lshrrev_b32_e32 v2, 16, v2
	v_cndmask_b32_e32 v2, 0x7fc0, v2, vcc_lo
	global_store_b16 v[0:1], v2, off
.LBB264_1991:
	s_mov_b32 s2, 0
.LBB264_1992:
	s_delay_alu instid0(SALU_CYCLE_1)
	s_and_b32 vcc_lo, exec_lo, s2
	s_mov_b32 s2, 0
	s_cbranch_vccz .LBB264_1994
; %bb.1993:
	v_cmp_ne_u16_e64 s0, 11, v5
	s_mov_b32 s2, -1
.LBB264_1994:
	s_delay_alu instid0(VALU_DEP_1)
	s_and_b32 vcc_lo, exec_lo, s0
	s_cbranch_vccnz .LBB264_2072
.LBB264_1995:
	s_mov_b32 s0, 0
	s_branch .LBB264_1997
.LBB264_1996:
	s_mov_b32 s0, 0
	s_mov_b32 s2, 0
                                        ; implicit-def: $vgpr5
                                        ; implicit-def: $vgpr0_vgpr1
                                        ; implicit-def: $vgpr6
.LBB264_1997:
	s_and_not1_b32 s3, s9, exec_lo
	s_and_b32 s4, s1, exec_lo
	s_and_b32 s0, s0, exec_lo
	;; [unrolled: 1-line block ×3, first 2 shown]
	s_or_b32 s9, s3, s4
.LBB264_1998:
	s_or_b32 exec_lo, exec_lo, s8
	s_and_saveexec_b32 s2, s9
	s_cbranch_execz .LBB264_2001
; %bb.1999:
	; divergent unreachable
	s_or_b32 exec_lo, exec_lo, s2
	s_and_saveexec_b32 s2, s1
	s_delay_alu instid0(SALU_CYCLE_1)
	s_xor_b32 s1, exec_lo, s2
	s_cbranch_execnz .LBB264_2002
.LBB264_2000:
	s_or_b32 exec_lo, exec_lo, s1
	s_and_saveexec_b32 s1, s0
	s_cbranch_execnz .LBB264_2003
	s_branch .LBB264_2040
.LBB264_2001:
	s_or_b32 exec_lo, exec_lo, s2
	s_and_saveexec_b32 s2, s1
	s_delay_alu instid0(SALU_CYCLE_1)
	s_xor_b32 s1, exec_lo, s2
	s_cbranch_execz .LBB264_2000
.LBB264_2002:
	s_waitcnt vmcnt(0)
	v_cmp_neq_f16_e32 vcc_lo, 0, v6
	v_cndmask_b32_e64 v2, 0, 1, vcc_lo
	global_store_b8 v[0:1], v2, off
	s_or_b32 exec_lo, exec_lo, s1
	s_and_saveexec_b32 s1, s0
	s_cbranch_execz .LBB264_2040
.LBB264_2003:
	s_waitcnt vmcnt(0)
	v_cmp_gt_i16_e32 vcc_lo, 5, v5
	s_mov_b32 s0, -1
	s_cbranch_vccnz .LBB264_2024
; %bb.2004:
	v_cmp_gt_i16_e32 vcc_lo, 8, v5
	s_cbranch_vccnz .LBB264_2014
; %bb.2005:
	v_cmp_gt_i16_e32 vcc_lo, 9, v5
	s_cbranch_vccnz .LBB264_2011
; %bb.2006:
	v_cmp_lt_i16_e32 vcc_lo, 9, v5
	s_cbranch_vccz .LBB264_2008
; %bb.2007:
	v_cvt_f32_f16_e32 v2, v6
	v_mov_b32_e32 v9, 0
	s_mov_b32 s0, 0
	s_delay_alu instid0(VALU_DEP_2) | instskip(NEXT) | instid1(VALU_DEP_2)
	v_cvt_f64_f32_e32 v[7:8], v2
	v_mov_b32_e32 v10, v9
	global_store_b128 v[0:1], v[7:10], off
.LBB264_2008:
	s_and_not1_b32 vcc_lo, exec_lo, s0
	s_cbranch_vccnz .LBB264_2010
; %bb.2009:
	v_cvt_f32_f16_e32 v2, v6
	v_mov_b32_e32 v3, 0
	global_store_b64 v[0:1], v[2:3], off
.LBB264_2010:
	s_mov_b32 s0, 0
.LBB264_2011:
	s_delay_alu instid0(SALU_CYCLE_1)
	s_and_not1_b32 vcc_lo, exec_lo, s0
	s_cbranch_vccnz .LBB264_2013
; %bb.2012:
	v_and_b32_e32 v2, 0xffff, v6
	global_store_b32 v[0:1], v2, off
.LBB264_2013:
	s_mov_b32 s0, 0
.LBB264_2014:
	s_delay_alu instid0(SALU_CYCLE_1)
	s_and_not1_b32 vcc_lo, exec_lo, s0
	s_cbranch_vccnz .LBB264_2023
; %bb.2015:
	v_cmp_gt_i16_e32 vcc_lo, 6, v5
	s_mov_b32 s0, -1
	s_cbranch_vccnz .LBB264_2021
; %bb.2016:
	v_cmp_lt_i16_e32 vcc_lo, 6, v5
	s_cbranch_vccz .LBB264_2018
; %bb.2017:
	v_cvt_f32_f16_e32 v2, v6
	s_mov_b32 s0, 0
	s_delay_alu instid0(VALU_DEP_1)
	v_cvt_f64_f32_e32 v[2:3], v2
	global_store_b64 v[0:1], v[2:3], off
.LBB264_2018:
	s_and_not1_b32 vcc_lo, exec_lo, s0
	s_cbranch_vccnz .LBB264_2020
; %bb.2019:
	v_cvt_f32_f16_e32 v2, v6
	global_store_b32 v[0:1], v2, off
.LBB264_2020:
	s_mov_b32 s0, 0
.LBB264_2021:
	s_delay_alu instid0(SALU_CYCLE_1)
	s_and_not1_b32 vcc_lo, exec_lo, s0
	s_cbranch_vccnz .LBB264_2023
; %bb.2022:
	global_store_b16 v[0:1], v6, off
.LBB264_2023:
	s_mov_b32 s0, 0
.LBB264_2024:
	s_delay_alu instid0(SALU_CYCLE_1)
	s_and_not1_b32 vcc_lo, exec_lo, s0
	s_cbranch_vccnz .LBB264_2040
; %bb.2025:
	v_cmp_gt_i16_e32 vcc_lo, 2, v5
	s_mov_b32 s0, -1
	s_cbranch_vccnz .LBB264_2035
; %bb.2026:
	v_cmp_gt_i16_e32 vcc_lo, 3, v5
	s_cbranch_vccnz .LBB264_2032
; %bb.2027:
	v_cmp_lt_i16_e32 vcc_lo, 3, v5
	s_cbranch_vccz .LBB264_2029
; %bb.2028:
	v_cvt_f32_f16_e32 v2, v6
	s_mov_b32 s0, 0
	s_delay_alu instid0(VALU_DEP_1) | instskip(NEXT) | instid1(VALU_DEP_1)
	v_cvt_i32_f32_e32 v2, v2
	v_ashrrev_i32_e32 v3, 31, v2
	global_store_b64 v[0:1], v[2:3], off
.LBB264_2029:
	s_and_not1_b32 vcc_lo, exec_lo, s0
	s_cbranch_vccnz .LBB264_2031
; %bb.2030:
	v_cvt_f32_f16_e32 v2, v6
	s_delay_alu instid0(VALU_DEP_1)
	v_cvt_i32_f32_e32 v2, v2
	global_store_b32 v[0:1], v2, off
.LBB264_2031:
	s_mov_b32 s0, 0
.LBB264_2032:
	s_delay_alu instid0(SALU_CYCLE_1)
	s_and_not1_b32 vcc_lo, exec_lo, s0
	s_cbranch_vccnz .LBB264_2034
; %bb.2033:
	v_cvt_i16_f16_e32 v2, v6
	global_store_b16 v[0:1], v2, off
.LBB264_2034:
	s_mov_b32 s0, 0
.LBB264_2035:
	s_delay_alu instid0(SALU_CYCLE_1)
	s_and_not1_b32 vcc_lo, exec_lo, s0
	s_cbranch_vccnz .LBB264_2040
; %bb.2036:
	v_cmp_lt_i16_e32 vcc_lo, 0, v5
	s_mov_b32 s0, -1
	s_cbranch_vccz .LBB264_2038
; %bb.2037:
	v_cvt_i16_f16_e32 v2, v6
	s_mov_b32 s0, 0
	global_store_b8 v[0:1], v2, off
.LBB264_2038:
	s_and_not1_b32 vcc_lo, exec_lo, s0
	s_cbranch_vccnz .LBB264_2040
; %bb.2039:
	v_cvt_f32_f16_e32 v2, v6
	s_delay_alu instid0(VALU_DEP_1)
	v_cvt_i32_f32_e32 v2, v2
	global_store_b8 v[0:1], v2, off
	s_nop 0
	s_sendmsg sendmsg(MSG_DEALLOC_VGPRS)
	s_endpgm
.LBB264_2040:
	s_nop 0
	s_sendmsg sendmsg(MSG_DEALLOC_VGPRS)
	s_endpgm
.LBB264_2041:
	s_mov_b32 s2, 0
	s_mov_b32 s0, -1
	s_branch .LBB264_1997
.LBB264_2042:
	s_cbranch_execnz .LBB264_2046
; %bb.2043:
	s_or_b32 s1, s1, exec_lo
                                        ; implicit-def: $vgpr8
	s_cbranch_execz .LBB264_1511
	s_branch .LBB264_1512
.LBB264_2044:
	s_or_saveexec_b32 s10, s10
                                        ; implicit-def: $sgpr11
	s_delay_alu instid0(SALU_CYCLE_1)
	s_xor_b32 exec_lo, exec_lo, s10
	s_cbranch_execz .LBB264_1591
.LBB264_2045:
	v_add_f32_e64 v9, 0x46000000, |v4|
	s_and_not1_b32 s7, s7, exec_lo
	s_mov_b32 s11, 0
	s_delay_alu instid0(VALU_DEP_1) | instskip(NEXT) | instid1(VALU_DEP_1)
	v_and_b32_e32 v9, 0xff, v9
	v_cmp_ne_u32_e32 vcc_lo, 0, v9
	s_and_b32 s12, vcc_lo, exec_lo
	s_delay_alu instid0(SALU_CYCLE_1)
	s_or_b32 s7, s7, s12
	s_or_b32 exec_lo, exec_lo, s10
	v_mov_b32_e32 v10, s11
	s_and_saveexec_b32 s10, s7
	s_cbranch_execnz .LBB264_1592
	s_branch .LBB264_1593
.LBB264_2046:
	s_trap 2
	s_sendmsg_rtn_b32 s0, sendmsg(MSG_RTN_GET_DOORBELL)
	s_mov_b32 ttmp2, m0
	s_waitcnt lgkmcnt(0)
	s_and_b32 s0, s0, 0x3ff
	s_delay_alu instid0(SALU_CYCLE_1) | instskip(NEXT) | instid1(SALU_CYCLE_1)
	s_bitset1_b32 s0, 10
	s_mov_b32 m0, s0
	s_sendmsg sendmsg(MSG_INTERRUPT)
	s_mov_b32 m0, ttmp2
.LBB264_2047:                           ; =>This Inner Loop Header: Depth=1
	s_sethalt 5
	s_branch .LBB264_2047
.LBB264_2048:
	s_cbranch_execnz .LBB264_2054
; %bb.2049:
	s_or_b32 s1, s1, exec_lo
	s_cbranch_execz .LBB264_1639
	s_branch .LBB264_1640
.LBB264_2050:
	s_or_saveexec_b32 s7, s7
                                        ; implicit-def: $sgpr10
	s_delay_alu instid0(SALU_CYCLE_1)
	s_xor_b32 exec_lo, exec_lo, s7
	s_cbranch_execz .LBB264_1604
.LBB264_2051:
	v_add_f32_e64 v9, 0x42800000, |v4|
	s_and_not1_b32 s6, s6, exec_lo
	s_mov_b32 s10, 0
	s_delay_alu instid0(VALU_DEP_1) | instskip(NEXT) | instid1(VALU_DEP_1)
	v_and_b32_e32 v9, 0xff, v9
	v_cmp_ne_u32_e32 vcc_lo, 0, v9
	s_and_b32 s11, vcc_lo, exec_lo
	s_delay_alu instid0(SALU_CYCLE_1)
	s_or_b32 s6, s6, s11
	s_or_b32 exec_lo, exec_lo, s7
	v_mov_b32_e32 v10, s10
	s_and_saveexec_b32 s7, s6
	s_cbranch_execnz .LBB264_1605
	s_branch .LBB264_1606
.LBB264_2052:
	s_or_saveexec_b32 s10, s10
                                        ; implicit-def: $sgpr11
	s_delay_alu instid0(SALU_CYCLE_1)
	s_xor_b32 exec_lo, exec_lo, s10
	s_cbranch_execz .LBB264_1710
.LBB264_2053:
	v_add_f32_e64 v6, 0x46000000, |v4|
	s_and_not1_b32 s7, s7, exec_lo
	s_mov_b32 s11, 0
	s_delay_alu instid0(VALU_DEP_1) | instskip(NEXT) | instid1(VALU_DEP_1)
	v_and_b32_e32 v6, 0xff, v6
	v_cmp_ne_u32_e32 vcc_lo, 0, v6
	s_and_b32 s12, vcc_lo, exec_lo
	s_delay_alu instid0(SALU_CYCLE_1)
	s_or_b32 s7, s7, s12
	s_or_b32 exec_lo, exec_lo, s10
	v_mov_b32_e32 v9, s11
	s_and_saveexec_b32 s10, s7
	s_cbranch_execnz .LBB264_1711
	s_branch .LBB264_1712
.LBB264_2054:
	s_trap 2
	s_sendmsg_rtn_b32 s0, sendmsg(MSG_RTN_GET_DOORBELL)
	s_mov_b32 ttmp2, m0
	s_waitcnt lgkmcnt(0)
	s_and_b32 s0, s0, 0x3ff
	s_delay_alu instid0(SALU_CYCLE_1) | instskip(NEXT) | instid1(SALU_CYCLE_1)
	s_bitset1_b32 s0, 10
	s_mov_b32 m0, s0
	s_sendmsg sendmsg(MSG_INTERRUPT)
	s_mov_b32 m0, ttmp2
.LBB264_2055:                           ; =>This Inner Loop Header: Depth=1
	s_sethalt 5
	s_branch .LBB264_2055
.LBB264_2056:
	s_cbranch_execnz .LBB264_2062
; %bb.2057:
	s_or_b32 s1, s1, exec_lo
	s_cbranch_execz .LBB264_1758
	s_branch .LBB264_1759
.LBB264_2058:
	s_or_saveexec_b32 s7, s7
                                        ; implicit-def: $sgpr10
	s_delay_alu instid0(SALU_CYCLE_1)
	s_xor_b32 exec_lo, exec_lo, s7
	s_cbranch_execz .LBB264_1723
.LBB264_2059:
	v_add_f32_e64 v6, 0x42800000, |v4|
	s_and_not1_b32 s6, s6, exec_lo
	s_mov_b32 s10, 0
	s_delay_alu instid0(VALU_DEP_1) | instskip(NEXT) | instid1(VALU_DEP_1)
	v_and_b32_e32 v6, 0xff, v6
	v_cmp_ne_u32_e32 vcc_lo, 0, v6
	s_and_b32 s11, vcc_lo, exec_lo
	s_delay_alu instid0(SALU_CYCLE_1)
	s_or_b32 s6, s6, s11
	s_or_b32 exec_lo, exec_lo, s7
	v_mov_b32_e32 v9, s10
	s_and_saveexec_b32 s7, s6
	s_cbranch_execnz .LBB264_1724
	s_branch .LBB264_1725
.LBB264_2060:
	s_or_saveexec_b32 s10, s10
                                        ; implicit-def: $sgpr11
	s_delay_alu instid0(SALU_CYCLE_1)
	s_xor_b32 exec_lo, exec_lo, s10
	s_cbranch_execz .LBB264_1829
.LBB264_2061:
	v_add_f32_e64 v6, 0x46000000, |v4|
	s_and_not1_b32 s7, s7, exec_lo
	s_mov_b32 s11, 0
	s_delay_alu instid0(VALU_DEP_1) | instskip(NEXT) | instid1(VALU_DEP_1)
	v_and_b32_e32 v6, 0xff, v6
	v_cmp_ne_u32_e32 vcc_lo, 0, v6
	s_and_b32 s12, vcc_lo, exec_lo
	s_delay_alu instid0(SALU_CYCLE_1)
	s_or_b32 s7, s7, s12
	s_or_b32 exec_lo, exec_lo, s10
	v_mov_b32_e32 v7, s11
	s_and_saveexec_b32 s10, s7
	s_cbranch_execnz .LBB264_1830
	s_branch .LBB264_1831
.LBB264_2062:
	s_trap 2
	s_sendmsg_rtn_b32 s0, sendmsg(MSG_RTN_GET_DOORBELL)
	s_mov_b32 ttmp2, m0
	s_waitcnt lgkmcnt(0)
	s_and_b32 s0, s0, 0x3ff
	s_delay_alu instid0(SALU_CYCLE_1) | instskip(NEXT) | instid1(SALU_CYCLE_1)
	s_bitset1_b32 s0, 10
	s_mov_b32 m0, s0
	s_sendmsg sendmsg(MSG_INTERRUPT)
	s_mov_b32 m0, ttmp2
.LBB264_2063:                           ; =>This Inner Loop Header: Depth=1
	s_sethalt 5
	s_branch .LBB264_2063
.LBB264_2064:
	s_cbranch_execnz .LBB264_2070
; %bb.2065:
	s_or_b32 s1, s1, exec_lo
	s_cbranch_execz .LBB264_1877
	s_branch .LBB264_1878
.LBB264_2066:
	s_or_saveexec_b32 s7, s7
                                        ; implicit-def: $sgpr10
	s_delay_alu instid0(SALU_CYCLE_1)
	s_xor_b32 exec_lo, exec_lo, s7
	s_cbranch_execz .LBB264_1842
.LBB264_2067:
	v_add_f32_e64 v6, 0x42800000, |v4|
	s_and_not1_b32 s6, s6, exec_lo
	s_mov_b32 s10, 0
	s_delay_alu instid0(VALU_DEP_1) | instskip(NEXT) | instid1(VALU_DEP_1)
	v_and_b32_e32 v6, 0xff, v6
	v_cmp_ne_u32_e32 vcc_lo, 0, v6
	s_and_b32 s11, vcc_lo, exec_lo
	s_delay_alu instid0(SALU_CYCLE_1)
	s_or_b32 s6, s6, s11
	s_or_b32 exec_lo, exec_lo, s7
	v_mov_b32_e32 v7, s10
	s_and_saveexec_b32 s7, s6
	s_cbranch_execnz .LBB264_1843
	s_branch .LBB264_1844
.LBB264_2068:
	s_or_saveexec_b32 s5, s5
                                        ; implicit-def: $sgpr6
	s_delay_alu instid0(SALU_CYCLE_1)
	s_xor_b32 exec_lo, exec_lo, s5
	s_cbranch_execz .LBB264_1949
.LBB264_2069:
	v_add_f32_e64 v3, 0x46000000, |v2|
	s_and_not1_b32 s4, s4, exec_lo
	s_mov_b32 s6, 0
	s_delay_alu instid0(VALU_DEP_1) | instskip(NEXT) | instid1(VALU_DEP_1)
	v_and_b32_e32 v3, 0xff, v3
	v_cmp_ne_u32_e32 vcc_lo, 0, v3
	s_and_b32 s7, vcc_lo, exec_lo
	s_delay_alu instid0(SALU_CYCLE_1)
	s_or_b32 s4, s4, s7
	s_or_b32 exec_lo, exec_lo, s5
	v_mov_b32_e32 v4, s6
	s_and_saveexec_b32 s5, s4
	s_cbranch_execnz .LBB264_1950
	s_branch .LBB264_1951
.LBB264_2070:
	s_trap 2
	s_sendmsg_rtn_b32 s0, sendmsg(MSG_RTN_GET_DOORBELL)
	s_mov_b32 ttmp2, m0
	s_waitcnt lgkmcnt(0)
	s_and_b32 s0, s0, 0x3ff
	s_delay_alu instid0(SALU_CYCLE_1) | instskip(NEXT) | instid1(SALU_CYCLE_1)
	s_bitset1_b32 s0, 10
	s_mov_b32 m0, s0
	s_sendmsg sendmsg(MSG_INTERRUPT)
	s_mov_b32 m0, ttmp2
.LBB264_2071:                           ; =>This Inner Loop Header: Depth=1
	s_sethalt 5
	s_branch .LBB264_2071
.LBB264_2072:
	s_cbranch_execnz .LBB264_2076
; %bb.2073:
	s_mov_b32 s2, 0
	s_or_b32 s1, s1, exec_lo
	s_branch .LBB264_1995
.LBB264_2074:
	s_or_saveexec_b32 s4, s4
                                        ; implicit-def: $sgpr5
	s_delay_alu instid0(SALU_CYCLE_1)
	s_xor_b32 exec_lo, exec_lo, s4
	s_cbranch_execz .LBB264_1961
.LBB264_2075:
	v_add_f32_e64 v3, 0x42800000, |v2|
	s_and_not1_b32 s3, s3, exec_lo
	s_mov_b32 s5, 0
	s_delay_alu instid0(VALU_DEP_1) | instskip(NEXT) | instid1(VALU_DEP_1)
	v_and_b32_e32 v3, 0xff, v3
	v_cmp_ne_u32_e32 vcc_lo, 0, v3
	s_and_b32 s6, vcc_lo, exec_lo
	s_delay_alu instid0(SALU_CYCLE_1)
	s_or_b32 s3, s3, s6
	s_or_b32 exec_lo, exec_lo, s4
	v_mov_b32_e32 v4, s5
	s_and_saveexec_b32 s4, s3
	s_cbranch_execnz .LBB264_1962
	s_branch .LBB264_1963
.LBB264_2076:
	s_trap 2
	s_sendmsg_rtn_b32 s0, sendmsg(MSG_RTN_GET_DOORBELL)
	s_mov_b32 ttmp2, m0
	s_waitcnt lgkmcnt(0)
	s_and_b32 s0, s0, 0x3ff
	s_delay_alu instid0(SALU_CYCLE_1) | instskip(NEXT) | instid1(SALU_CYCLE_1)
	s_bitset1_b32 s0, 10
	s_mov_b32 m0, s0
	s_sendmsg sendmsg(MSG_INTERRUPT)
	s_mov_b32 m0, ttmp2
.LBB264_2077:                           ; =>This Inner Loop Header: Depth=1
	s_sethalt 5
	s_branch .LBB264_2077
	.section	.rodata,"a",@progbits
	.p2align	6, 0x0
	.amdhsa_kernel _ZN2at6native32elementwise_kernel_manual_unrollILi128ELi4EZNS0_15gpu_kernel_implIZZZNS0_16sqrt_kernel_cudaERNS_18TensorIteratorBaseEENKUlvE0_clEvENKUlvE1_clEvEUlN3c104HalfEE_EEvS4_RKT_EUlibE_EEviT1_
		.amdhsa_group_segment_fixed_size 0
		.amdhsa_private_segment_fixed_size 0
		.amdhsa_kernarg_size 40
		.amdhsa_user_sgpr_count 15
		.amdhsa_user_sgpr_dispatch_ptr 0
		.amdhsa_user_sgpr_queue_ptr 0
		.amdhsa_user_sgpr_kernarg_segment_ptr 1
		.amdhsa_user_sgpr_dispatch_id 0
		.amdhsa_user_sgpr_private_segment_size 0
		.amdhsa_wavefront_size32 1
		.amdhsa_uses_dynamic_stack 0
		.amdhsa_enable_private_segment 0
		.amdhsa_system_sgpr_workgroup_id_x 1
		.amdhsa_system_sgpr_workgroup_id_y 0
		.amdhsa_system_sgpr_workgroup_id_z 0
		.amdhsa_system_sgpr_workgroup_info 0
		.amdhsa_system_vgpr_workitem_id 0
		.amdhsa_next_free_vgpr 13
		.amdhsa_next_free_sgpr 24
		.amdhsa_reserve_vcc 1
		.amdhsa_float_round_mode_32 0
		.amdhsa_float_round_mode_16_64 0
		.amdhsa_float_denorm_mode_32 3
		.amdhsa_float_denorm_mode_16_64 3
		.amdhsa_dx10_clamp 1
		.amdhsa_ieee_mode 1
		.amdhsa_fp16_overflow 0
		.amdhsa_workgroup_processor_mode 1
		.amdhsa_memory_ordered 1
		.amdhsa_forward_progress 0
		.amdhsa_shared_vgpr_count 0
		.amdhsa_exception_fp_ieee_invalid_op 0
		.amdhsa_exception_fp_denorm_src 0
		.amdhsa_exception_fp_ieee_div_zero 0
		.amdhsa_exception_fp_ieee_overflow 0
		.amdhsa_exception_fp_ieee_underflow 0
		.amdhsa_exception_fp_ieee_inexact 0
		.amdhsa_exception_int_div_zero 0
	.end_amdhsa_kernel
	.section	.text._ZN2at6native32elementwise_kernel_manual_unrollILi128ELi4EZNS0_15gpu_kernel_implIZZZNS0_16sqrt_kernel_cudaERNS_18TensorIteratorBaseEENKUlvE0_clEvENKUlvE1_clEvEUlN3c104HalfEE_EEvS4_RKT_EUlibE_EEviT1_,"axG",@progbits,_ZN2at6native32elementwise_kernel_manual_unrollILi128ELi4EZNS0_15gpu_kernel_implIZZZNS0_16sqrt_kernel_cudaERNS_18TensorIteratorBaseEENKUlvE0_clEvENKUlvE1_clEvEUlN3c104HalfEE_EEvS4_RKT_EUlibE_EEviT1_,comdat
.Lfunc_end264:
	.size	_ZN2at6native32elementwise_kernel_manual_unrollILi128ELi4EZNS0_15gpu_kernel_implIZZZNS0_16sqrt_kernel_cudaERNS_18TensorIteratorBaseEENKUlvE0_clEvENKUlvE1_clEvEUlN3c104HalfEE_EEvS4_RKT_EUlibE_EEviT1_, .Lfunc_end264-_ZN2at6native32elementwise_kernel_manual_unrollILi128ELi4EZNS0_15gpu_kernel_implIZZZNS0_16sqrt_kernel_cudaERNS_18TensorIteratorBaseEENKUlvE0_clEvENKUlvE1_clEvEUlN3c104HalfEE_EEvS4_RKT_EUlibE_EEviT1_
                                        ; -- End function
	.section	.AMDGPU.csdata,"",@progbits
; Kernel info:
; codeLenInByte = 36380
; NumSgprs: 26
; NumVgprs: 13
; ScratchSize: 0
; MemoryBound: 0
; FloatMode: 240
; IeeeMode: 1
; LDSByteSize: 0 bytes/workgroup (compile time only)
; SGPRBlocks: 3
; VGPRBlocks: 1
; NumSGPRsForWavesPerEU: 26
; NumVGPRsForWavesPerEU: 13
; Occupancy: 16
; WaveLimiterHint : 0
; COMPUTE_PGM_RSRC2:SCRATCH_EN: 0
; COMPUTE_PGM_RSRC2:USER_SGPR: 15
; COMPUTE_PGM_RSRC2:TRAP_HANDLER: 0
; COMPUTE_PGM_RSRC2:TGID_X_EN: 1
; COMPUTE_PGM_RSRC2:TGID_Y_EN: 0
; COMPUTE_PGM_RSRC2:TGID_Z_EN: 0
; COMPUTE_PGM_RSRC2:TIDIG_COMP_CNT: 0
	.section	.text._ZN2at6native32elementwise_kernel_manual_unrollILi128ELi4EZNS0_15gpu_kernel_implIZZZNS0_16sqrt_kernel_cudaERNS_18TensorIteratorBaseEENKUlvE0_clEvENKUlvE1_clEvEUlN3c104HalfEE_EEvS4_RKT_EUlibE0_EEviT1_,"axG",@progbits,_ZN2at6native32elementwise_kernel_manual_unrollILi128ELi4EZNS0_15gpu_kernel_implIZZZNS0_16sqrt_kernel_cudaERNS_18TensorIteratorBaseEENKUlvE0_clEvENKUlvE1_clEvEUlN3c104HalfEE_EEvS4_RKT_EUlibE0_EEviT1_,comdat
	.globl	_ZN2at6native32elementwise_kernel_manual_unrollILi128ELi4EZNS0_15gpu_kernel_implIZZZNS0_16sqrt_kernel_cudaERNS_18TensorIteratorBaseEENKUlvE0_clEvENKUlvE1_clEvEUlN3c104HalfEE_EEvS4_RKT_EUlibE0_EEviT1_ ; -- Begin function _ZN2at6native32elementwise_kernel_manual_unrollILi128ELi4EZNS0_15gpu_kernel_implIZZZNS0_16sqrt_kernel_cudaERNS_18TensorIteratorBaseEENKUlvE0_clEvENKUlvE1_clEvEUlN3c104HalfEE_EEvS4_RKT_EUlibE0_EEviT1_
	.p2align	8
	.type	_ZN2at6native32elementwise_kernel_manual_unrollILi128ELi4EZNS0_15gpu_kernel_implIZZZNS0_16sqrt_kernel_cudaERNS_18TensorIteratorBaseEENKUlvE0_clEvENKUlvE1_clEvEUlN3c104HalfEE_EEvS4_RKT_EUlibE0_EEviT1_,@function
_ZN2at6native32elementwise_kernel_manual_unrollILi128ELi4EZNS0_15gpu_kernel_implIZZZNS0_16sqrt_kernel_cudaERNS_18TensorIteratorBaseEENKUlvE0_clEvENKUlvE1_clEvEUlN3c104HalfEE_EEvS4_RKT_EUlibE0_EEviT1_: ; @_ZN2at6native32elementwise_kernel_manual_unrollILi128ELi4EZNS0_15gpu_kernel_implIZZZNS0_16sqrt_kernel_cudaERNS_18TensorIteratorBaseEENKUlvE0_clEvENKUlvE1_clEvEUlN3c104HalfEE_EEvS4_RKT_EUlibE0_EEviT1_
; %bb.0:
	s_clause 0x1
	s_load_b32 s24, s[0:1], 0x8
	s_load_b32 s30, s[0:1], 0x0
	v_lshl_or_b32 v5, s15, 9, v0
	s_or_b32 s16, s0, 8
	s_mov_b32 s3, -1
	s_mov_b32 s26, 0
	s_mov_b32 s17, s1
	v_or_b32_e32 v8, 0x180, v5
	s_mov_b32 s8, 0
	s_mov_b32 s2, exec_lo
	s_waitcnt lgkmcnt(0)
	s_add_i32 s25, s24, -1
	s_delay_alu instid0(SALU_CYCLE_1)
	s_cmp_gt_u32 s25, 1
	s_cselect_b32 s27, -1, 0
	v_cmpx_le_i32_e64 s30, v8
	s_xor_b32 s28, exec_lo, s2
	s_cbranch_execz .LBB265_1076
; %bb.1:
	v_mov_b32_e32 v0, 0
	s_clause 0x3
	s_load_b128 s[12:15], s[16:17], 0x4
	s_load_b64 s[18:19], s[16:17], 0x14
	s_load_b128 s[8:11], s[16:17], 0xc4
	s_load_b128 s[4:7], s[16:17], 0x148
	s_cmp_lg_u32 s24, 0
	s_mov_b32 s37, 0
	s_cselect_b32 s33, -1, 0
	global_load_u16 v3, v0, s[16:17] offset:345
	s_add_u32 s20, s16, 0xc4
	s_addc_u32 s21, s17, 0
	s_min_u32 s31, s25, 15
	s_cmp_gt_u32 s24, 1
	s_mov_b32 s35, 0
	s_cselect_b32 s29, -1, 0
	s_mov_b32 s34, 0
	s_mov_b32 s36, exec_lo
	s_waitcnt vmcnt(0)
	v_lshrrev_b16 v4, 8, v3
	v_cmpx_gt_i32_e64 s30, v5
	s_cbranch_execz .LBB265_263
; %bb.2:
	s_and_not1_b32 vcc_lo, exec_lo, s27
	s_cbranch_vccnz .LBB265_7
; %bb.3:
	v_dual_mov_b32 v0, 0 :: v_dual_mov_b32 v1, 0
	s_and_not1_b32 vcc_lo, exec_lo, s33
	s_cbranch_vccnz .LBB265_12
; %bb.4:
	v_mov_b32_e32 v0, 0
	s_add_i32 s38, s31, 1
	s_cmp_eq_u32 s25, 2
	s_cbranch_scc1 .LBB265_8
; %bb.5:
	v_dual_mov_b32 v1, 0 :: v_dual_mov_b32 v0, 0
	v_mov_b32_e32 v2, v5
	s_and_b32 s35, s38, 28
	s_mov_b32 s39, 0
	s_mov_b64 s[2:3], s[20:21]
	s_mov_b64 s[22:23], s[16:17]
.LBB265_6:                              ; =>This Inner Loop Header: Depth=1
	s_clause 0x1
	s_load_b256 s[40:47], s[22:23], 0x4
	s_load_b128 s[56:59], s[22:23], 0x24
	s_load_b256 s[48:55], s[2:3], 0x0
	s_add_u32 s22, s22, 48
	s_addc_u32 s23, s23, 0
	s_add_i32 s39, s39, 4
	s_add_u32 s2, s2, 32
	s_addc_u32 s3, s3, 0
	s_cmp_lg_u32 s35, s39
	s_waitcnt lgkmcnt(0)
	v_mul_hi_u32 v6, s41, v2
	s_delay_alu instid0(VALU_DEP_1) | instskip(NEXT) | instid1(VALU_DEP_1)
	v_add_nc_u32_e32 v6, v2, v6
	v_lshrrev_b32_e32 v6, s42, v6
	s_delay_alu instid0(VALU_DEP_1) | instskip(SKIP_1) | instid1(VALU_DEP_2)
	v_mul_hi_u32 v7, s44, v6
	v_mul_lo_u32 v9, v6, s40
	v_add_nc_u32_e32 v7, v6, v7
	s_delay_alu instid0(VALU_DEP_2) | instskip(NEXT) | instid1(VALU_DEP_2)
	v_sub_nc_u32_e32 v2, v2, v9
	v_lshrrev_b32_e32 v7, s45, v7
	s_delay_alu instid0(VALU_DEP_2) | instskip(SKIP_1) | instid1(VALU_DEP_3)
	v_mul_lo_u32 v9, v2, s48
	v_mul_lo_u32 v11, v2, s49
	v_mul_hi_u32 v8, s47, v7
	s_delay_alu instid0(VALU_DEP_1) | instskip(NEXT) | instid1(VALU_DEP_1)
	v_add_nc_u32_e32 v8, v7, v8
	v_lshrrev_b32_e32 v8, s56, v8
	s_delay_alu instid0(VALU_DEP_1) | instskip(SKIP_1) | instid1(VALU_DEP_2)
	v_mul_hi_u32 v10, s58, v8
	v_mul_lo_u32 v12, v8, s46
	v_add_nc_u32_e32 v2, v8, v10
	v_mul_lo_u32 v10, v7, s43
	s_delay_alu instid0(VALU_DEP_3) | instskip(NEXT) | instid1(VALU_DEP_3)
	v_sub_nc_u32_e32 v7, v7, v12
	v_lshrrev_b32_e32 v2, s59, v2
	s_delay_alu instid0(VALU_DEP_2) | instskip(SKIP_2) | instid1(VALU_DEP_4)
	v_mul_lo_u32 v12, v7, s52
	v_mul_lo_u32 v7, v7, s53
	v_sub_nc_u32_e32 v6, v6, v10
	v_mul_lo_u32 v13, v2, s57
	s_delay_alu instid0(VALU_DEP_2) | instskip(SKIP_1) | instid1(VALU_DEP_3)
	v_mul_lo_u32 v10, v6, s50
	v_mul_lo_u32 v6, v6, s51
	v_sub_nc_u32_e32 v8, v8, v13
	s_delay_alu instid0(VALU_DEP_3) | instskip(NEXT) | instid1(VALU_DEP_2)
	v_add3_u32 v0, v9, v0, v10
	v_mul_lo_u32 v13, v8, s54
	v_mul_lo_u32 v8, v8, s55
	v_add3_u32 v1, v11, v1, v6
	s_delay_alu instid0(VALU_DEP_3) | instskip(NEXT) | instid1(VALU_DEP_2)
	v_add3_u32 v0, v12, v0, v13
	v_add3_u32 v1, v7, v1, v8
	s_cbranch_scc1 .LBB265_6
	s_branch .LBB265_9
.LBB265_7:
	s_mov_b32 s34, -1
                                        ; implicit-def: $vgpr0
                                        ; implicit-def: $vgpr1
	s_branch .LBB265_12
.LBB265_8:
	v_dual_mov_b32 v2, v5 :: v_dual_mov_b32 v1, 0
.LBB265_9:
	s_and_b32 s38, s38, 3
	s_delay_alu instid0(SALU_CYCLE_1)
	s_cmp_eq_u32 s38, 0
	s_cbranch_scc1 .LBB265_12
; %bb.10:
	s_lshl_b32 s2, s35, 3
	s_mul_i32 s22, s35, 12
	s_add_u32 s2, s2, s16
	s_addc_u32 s3, s17, 0
	s_add_u32 s2, s2, 0xc4
	s_addc_u32 s3, s3, 0
	;; [unrolled: 2-line block ×3, first 2 shown]
	.p2align	6
.LBB265_11:                             ; =>This Inner Loop Header: Depth=1
	s_clause 0x1
	s_load_b64 s[40:41], s[22:23], 0x4
	s_load_b32 s35, s[22:23], 0xc
	s_load_b64 s[42:43], s[2:3], 0x0
	s_add_u32 s22, s22, 12
	s_addc_u32 s23, s23, 0
	s_add_u32 s2, s2, 8
	s_addc_u32 s3, s3, 0
	s_add_i32 s38, s38, -1
	s_delay_alu instid0(SALU_CYCLE_1) | instskip(SKIP_2) | instid1(VALU_DEP_1)
	s_cmp_lg_u32 s38, 0
	s_waitcnt lgkmcnt(0)
	v_mul_hi_u32 v6, s41, v2
	v_add_nc_u32_e32 v6, v2, v6
	s_delay_alu instid0(VALU_DEP_1) | instskip(NEXT) | instid1(VALU_DEP_1)
	v_lshrrev_b32_e32 v9, s35, v6
	v_mul_lo_u32 v6, v9, s40
	s_delay_alu instid0(VALU_DEP_1) | instskip(NEXT) | instid1(VALU_DEP_1)
	v_sub_nc_u32_e32 v2, v2, v6
	v_mad_u64_u32 v[6:7], null, v2, s42, v[0:1]
	v_mad_u64_u32 v[7:8], null, v2, s43, v[1:2]
	v_mov_b32_e32 v2, v9
	s_delay_alu instid0(VALU_DEP_2)
	v_dual_mov_b32 v0, v6 :: v_dual_mov_b32 v1, v7
	s_cbranch_scc1 .LBB265_11
.LBB265_12:
	s_and_not1_b32 vcc_lo, exec_lo, s34
	s_cbranch_vccnz .LBB265_15
; %bb.13:
	s_waitcnt lgkmcnt(0)
	v_mul_hi_u32 v0, s13, v5
	s_and_not1_b32 vcc_lo, exec_lo, s29
	s_delay_alu instid0(VALU_DEP_1) | instskip(NEXT) | instid1(VALU_DEP_1)
	v_add_nc_u32_e32 v0, v5, v0
	v_lshrrev_b32_e32 v2, s14, v0
	s_delay_alu instid0(VALU_DEP_1) | instskip(NEXT) | instid1(VALU_DEP_1)
	v_mul_lo_u32 v0, v2, s12
	v_sub_nc_u32_e32 v1, v5, v0
	s_delay_alu instid0(VALU_DEP_1)
	v_mul_lo_u32 v0, v1, s8
	v_mul_lo_u32 v1, v1, s9
	s_cbranch_vccnz .LBB265_15
; %bb.14:
	v_mul_hi_u32 v6, s18, v2
	s_delay_alu instid0(VALU_DEP_1) | instskip(NEXT) | instid1(VALU_DEP_1)
	v_add_nc_u32_e32 v6, v2, v6
	v_lshrrev_b32_e32 v6, s19, v6
	s_delay_alu instid0(VALU_DEP_1) | instskip(NEXT) | instid1(VALU_DEP_1)
	v_mul_lo_u32 v6, v6, s15
	v_sub_nc_u32_e32 v2, v2, v6
	s_delay_alu instid0(VALU_DEP_1) | instskip(SKIP_1) | instid1(VALU_DEP_1)
	v_mad_u64_u32 v[6:7], null, v2, s10, v[0:1]
	v_mad_u64_u32 v[7:8], null, v2, s11, v[1:2]
	v_dual_mov_b32 v0, v6 :: v_dual_mov_b32 v1, v7
.LBB265_15:
	v_cmp_gt_i16_e32 vcc_lo, 11, v4
	s_waitcnt lgkmcnt(0)
	s_delay_alu instid0(VALU_DEP_2) | instskip(NEXT) | instid1(VALU_DEP_1)
	v_add_co_u32 v1, s2, s6, v1
	v_add_co_ci_u32_e64 v2, null, s7, 0, s2
	s_mov_b32 s3, 0
	s_cbranch_vccnz .LBB265_22
; %bb.16:
	v_cmp_lt_i16_e32 vcc_lo, 25, v4
	s_cbranch_vccz .LBB265_141
; %bb.17:
	v_cmp_lt_i16_e32 vcc_lo, 28, v4
	s_cbranch_vccz .LBB265_142
	;; [unrolled: 3-line block ×4, first 2 shown]
; %bb.20:
	v_cmp_eq_u16_e32 vcc_lo, 46, v4
	s_mov_b32 s22, 0
	s_cbranch_vccz .LBB265_145
; %bb.21:
	global_load_b32 v6, v[1:2], off
	s_mov_b32 s2, -1
	s_waitcnt vmcnt(0)
	v_lshlrev_b32_e32 v6, 16, v6
	s_delay_alu instid0(VALU_DEP_1)
	v_cvt_f16_f32_e32 v6, v6
	s_branch .LBB265_147
.LBB265_22:
	s_mov_b32 s2, 0
                                        ; implicit-def: $vgpr6
	s_cbranch_execnz .LBB265_213
.LBB265_23:
	s_and_not1_b32 vcc_lo, exec_lo, s2
	s_cbranch_vccnz .LBB265_260
.LBB265_24:
	s_waitcnt vmcnt(0)
	s_delay_alu instid0(VALU_DEP_1) | instskip(SKIP_2) | instid1(VALU_DEP_1)
	v_cvt_f32_f16_e32 v1, v6
	s_mov_b32 s22, 0
	s_mov_b32 s23, -1
	v_mul_f32_e32 v2, 0x4f800000, v1
	v_cmp_gt_f32_e32 vcc_lo, 0xf800000, v1
	s_delay_alu instid0(VALU_DEP_2) | instskip(NEXT) | instid1(VALU_DEP_1)
	v_cndmask_b32_e32 v1, v1, v2, vcc_lo
	v_rsq_f32_e32 v2, v1
	s_waitcnt_depctr 0xfff
	v_mul_f32_e32 v7, v1, v2
	v_mul_f32_e32 v2, 0.5, v2
	s_delay_alu instid0(VALU_DEP_1) | instskip(NEXT) | instid1(VALU_DEP_1)
	v_fma_f32 v6, -v2, v7, 0.5
	v_fmac_f32_e32 v7, v7, v6
	v_fmac_f32_e32 v2, v2, v6
	s_delay_alu instid0(VALU_DEP_2) | instskip(NEXT) | instid1(VALU_DEP_1)
	v_fma_f32 v6, -v7, v7, v1
	v_dual_fmac_f32 v7, v6, v2 :: v_dual_and_b32 v6, 0xff, v3
	s_delay_alu instid0(VALU_DEP_1) | instskip(SKIP_1) | instid1(VALU_DEP_2)
	v_mul_f32_e32 v2, 0x37800000, v7
	v_cmp_class_f32_e64 s2, v1, 0x260
	v_cndmask_b32_e32 v2, v7, v2, vcc_lo
	s_delay_alu instid0(VALU_DEP_4) | instskip(NEXT) | instid1(VALU_DEP_2)
	v_cmp_gt_i16_e32 vcc_lo, 11, v6
	v_cndmask_b32_e64 v2, v2, v1, s2
	v_add_co_u32 v0, s2, s4, v0
	s_delay_alu instid0(VALU_DEP_1) | instskip(NEXT) | instid1(VALU_DEP_3)
	v_add_co_ci_u32_e64 v1, null, s5, 0, s2
	v_cvt_f16_f32_e32 v2, v2
	s_mov_b32 s2, 0
	s_cbranch_vccnz .LBB265_101
; %bb.25:
	v_cmp_lt_i16_e32 vcc_lo, 25, v6
	s_cbranch_vccz .LBB265_58
; %bb.26:
	v_cmp_lt_i16_e32 vcc_lo, 28, v6
	s_cbranch_vccz .LBB265_41
	;; [unrolled: 3-line block ×4, first 2 shown]
; %bb.29:
	v_cmp_eq_u16_e32 vcc_lo, 46, v6
	s_mov_b32 s23, 0
	s_mov_b32 s22, -1
	s_cbranch_vccz .LBB265_31
; %bb.30:
	v_cvt_f32_f16_e32 v7, v2
	v_cmp_o_f16_e32 vcc_lo, v2, v2
	s_mov_b32 s2, -1
	s_mov_b32 s22, 0
	s_delay_alu instid0(VALU_DEP_2) | instskip(NEXT) | instid1(VALU_DEP_1)
	v_bfe_u32 v8, v7, 16, 1
	v_add3_u32 v7, v7, v8, 0x7fff
	s_delay_alu instid0(VALU_DEP_1) | instskip(NEXT) | instid1(VALU_DEP_1)
	v_lshrrev_b32_e32 v7, 16, v7
	v_cndmask_b32_e32 v7, 0x7fc0, v7, vcc_lo
	global_store_b32 v[0:1], v7, off
.LBB265_31:
	s_and_b32 vcc_lo, exec_lo, s23
	s_cbranch_vccz .LBB265_36
; %bb.32:
	v_cmp_eq_u16_e32 vcc_lo, 44, v6
	s_mov_b32 s22, -1
	s_cbranch_vccz .LBB265_36
; %bb.33:
	v_cvt_f32_f16_e32 v7, v2
	v_mov_b32_e32 v8, 0xff
	s_mov_b32 s22, exec_lo
	s_delay_alu instid0(VALU_DEP_2) | instskip(NEXT) | instid1(VALU_DEP_1)
	v_bfe_u32 v9, v7, 23, 8
	v_cmpx_ne_u32_e32 0xff, v9
; %bb.34:
	v_and_b32_e32 v8, 0x400000, v7
	v_and_or_b32 v9, 0x3fffff, v7, v9
	v_lshrrev_b32_e32 v7, 23, v7
	s_delay_alu instid0(VALU_DEP_3) | instskip(NEXT) | instid1(VALU_DEP_3)
	v_cmp_ne_u32_e32 vcc_lo, 0, v8
	v_cmp_ne_u32_e64 s2, 0, v9
	s_delay_alu instid0(VALU_DEP_1) | instskip(NEXT) | instid1(SALU_CYCLE_1)
	s_and_b32 s2, vcc_lo, s2
	v_cndmask_b32_e64 v8, 0, 1, s2
	s_delay_alu instid0(VALU_DEP_1)
	v_add_nc_u32_e32 v8, v7, v8
; %bb.35:
	s_or_b32 exec_lo, exec_lo, s22
	s_mov_b32 s2, -1
	s_mov_b32 s22, 0
	global_store_b8 v[0:1], v8, off
.LBB265_36:
	s_mov_b32 s23, 0
.LBB265_37:
	s_delay_alu instid0(SALU_CYCLE_1)
	s_and_b32 vcc_lo, exec_lo, s23
	s_cbranch_vccz .LBB265_40
; %bb.38:
	v_cmp_eq_u16_e32 vcc_lo, 29, v6
	s_mov_b32 s22, -1
	s_cbranch_vccz .LBB265_40
; %bb.39:
	v_cvt_f32_f16_e32 v7, v2
	v_mov_b32_e32 v8, 0
	s_mov_b32 s22, 0
	s_mov_b32 s2, -1
	s_delay_alu instid0(VALU_DEP_2)
	v_cvt_u32_f32_e32 v7, v7
	global_store_b64 v[0:1], v[7:8], off
.LBB265_40:
	s_mov_b32 s23, 0
.LBB265_41:
	s_delay_alu instid0(SALU_CYCLE_1)
	s_and_b32 vcc_lo, exec_lo, s23
	s_cbranch_vccz .LBB265_57
; %bb.42:
	v_cmp_gt_i16_e32 vcc_lo, 27, v6
	s_mov_b32 s2, -1
	s_cbranch_vccnz .LBB265_48
; %bb.43:
	v_cmp_lt_i16_e32 vcc_lo, 27, v6
	s_cbranch_vccz .LBB265_45
; %bb.44:
	v_cvt_f32_f16_e32 v7, v2
	s_mov_b32 s2, 0
	s_delay_alu instid0(VALU_DEP_1)
	v_cvt_u32_f32_e32 v7, v7
	global_store_b32 v[0:1], v7, off
.LBB265_45:
	s_and_not1_b32 vcc_lo, exec_lo, s2
	s_cbranch_vccnz .LBB265_47
; %bb.46:
	v_cvt_u16_f16_e32 v7, v2
	global_store_b16 v[0:1], v7, off
.LBB265_47:
	s_mov_b32 s2, 0
.LBB265_48:
	s_delay_alu instid0(SALU_CYCLE_1)
	s_and_not1_b32 vcc_lo, exec_lo, s2
	s_cbranch_vccnz .LBB265_56
; %bb.49:
	v_cvt_f32_f16_e32 v7, v2
	v_mov_b32_e32 v9, 0x80
	s_mov_b32 s2, exec_lo
	s_delay_alu instid0(VALU_DEP_2) | instskip(NEXT) | instid1(VALU_DEP_1)
	v_and_b32_e32 v8, 0x7fffffff, v7
	v_cmpx_gt_u32_e32 0x43800000, v8
	s_cbranch_execz .LBB265_55
; %bb.50:
	v_cmp_lt_u32_e32 vcc_lo, 0x3bffffff, v8
	s_mov_b32 s23, 0
                                        ; implicit-def: $vgpr8
	s_and_saveexec_b32 s34, vcc_lo
	s_delay_alu instid0(SALU_CYCLE_1)
	s_xor_b32 s34, exec_lo, s34
	s_cbranch_execz .LBB265_150
; %bb.51:
	v_bfe_u32 v8, v7, 20, 1
	s_mov_b32 s23, exec_lo
	s_delay_alu instid0(VALU_DEP_1) | instskip(NEXT) | instid1(VALU_DEP_1)
	v_add3_u32 v8, v7, v8, 0x487ffff
	v_lshrrev_b32_e32 v8, 20, v8
	s_or_saveexec_b32 s34, s34
                                        ; implicit-def: $sgpr35
	s_delay_alu instid0(SALU_CYCLE_1)
	s_xor_b32 exec_lo, exec_lo, s34
	s_cbranch_execnz .LBB265_151
.LBB265_52:
	s_or_b32 exec_lo, exec_lo, s34
	v_mov_b32_e32 v9, s35
	s_and_saveexec_b32 s34, s23
.LBB265_53:
	v_lshrrev_b32_e32 v7, 24, v7
	s_delay_alu instid0(VALU_DEP_1)
	v_and_or_b32 v9, 0x80, v7, v8
.LBB265_54:
	s_or_b32 exec_lo, exec_lo, s34
.LBB265_55:
	s_delay_alu instid0(SALU_CYCLE_1)
	s_or_b32 exec_lo, exec_lo, s2
	global_store_b8 v[0:1], v9, off
.LBB265_56:
	s_mov_b32 s2, -1
.LBB265_57:
	s_mov_b32 s23, 0
.LBB265_58:
	s_delay_alu instid0(SALU_CYCLE_1)
	s_and_b32 vcc_lo, exec_lo, s23
	s_cbranch_vccz .LBB265_99
; %bb.59:
	v_cmp_lt_i16_e32 vcc_lo, 22, v6
	s_mov_b32 s23, -1
	s_cbranch_vccz .LBB265_91
; %bb.60:
	v_cmp_gt_i16_e32 vcc_lo, 24, v6
	s_mov_b32 s2, -1
	s_cbranch_vccnz .LBB265_80
; %bb.61:
	v_cmp_lt_i16_e32 vcc_lo, 24, v6
	s_cbranch_vccz .LBB265_69
; %bb.62:
	v_cvt_f32_f16_e32 v7, v2
	v_mov_b32_e32 v9, 0x80
	s_mov_b32 s2, exec_lo
	s_delay_alu instid0(VALU_DEP_2) | instskip(NEXT) | instid1(VALU_DEP_1)
	v_and_b32_e32 v8, 0x7fffffff, v7
	v_cmpx_gt_u32_e32 0x47800000, v8
	s_cbranch_execz .LBB265_68
; %bb.63:
	v_cmp_lt_u32_e32 vcc_lo, 0x37ffffff, v8
	s_mov_b32 s23, 0
                                        ; implicit-def: $vgpr8
	s_and_saveexec_b32 s34, vcc_lo
	s_delay_alu instid0(SALU_CYCLE_1)
	s_xor_b32 s34, exec_lo, s34
	s_cbranch_execz .LBB265_341
; %bb.64:
	v_bfe_u32 v8, v7, 21, 1
	s_mov_b32 s23, exec_lo
	s_delay_alu instid0(VALU_DEP_1) | instskip(NEXT) | instid1(VALU_DEP_1)
	v_add3_u32 v8, v7, v8, 0x88fffff
	v_lshrrev_b32_e32 v8, 21, v8
	s_or_saveexec_b32 s34, s34
                                        ; implicit-def: $sgpr35
	s_delay_alu instid0(SALU_CYCLE_1)
	s_xor_b32 exec_lo, exec_lo, s34
	s_cbranch_execnz .LBB265_342
.LBB265_65:
	s_or_b32 exec_lo, exec_lo, s34
	v_mov_b32_e32 v9, s35
	s_and_saveexec_b32 s34, s23
.LBB265_66:
	v_lshrrev_b32_e32 v7, 24, v7
	s_delay_alu instid0(VALU_DEP_1)
	v_and_or_b32 v9, 0x80, v7, v8
.LBB265_67:
	s_or_b32 exec_lo, exec_lo, s34
.LBB265_68:
	s_delay_alu instid0(SALU_CYCLE_1)
	s_or_b32 exec_lo, exec_lo, s2
	s_mov_b32 s2, 0
	global_store_b8 v[0:1], v9, off
.LBB265_69:
	s_and_b32 vcc_lo, exec_lo, s2
	s_cbranch_vccz .LBB265_79
; %bb.70:
	v_cvt_f32_f16_e32 v7, v2
	s_mov_b32 s2, exec_lo
                                        ; implicit-def: $vgpr8
	s_delay_alu instid0(VALU_DEP_1) | instskip(NEXT) | instid1(VALU_DEP_1)
	v_and_b32_e32 v9, 0x7fffffff, v7
	v_cmpx_gt_u32_e32 0x43f00000, v9
	s_xor_b32 s2, exec_lo, s2
	s_cbranch_execz .LBB265_76
; %bb.71:
	s_mov_b32 s23, exec_lo
                                        ; implicit-def: $vgpr8
	v_cmpx_lt_u32_e32 0x3c7fffff, v9
	s_xor_b32 s23, exec_lo, s23
; %bb.72:
	v_bfe_u32 v8, v7, 20, 1
	s_delay_alu instid0(VALU_DEP_1) | instskip(NEXT) | instid1(VALU_DEP_1)
	v_add3_u32 v8, v7, v8, 0x407ffff
	v_and_b32_e32 v9, 0xff00000, v8
	v_lshrrev_b32_e32 v8, 20, v8
	s_delay_alu instid0(VALU_DEP_2) | instskip(NEXT) | instid1(VALU_DEP_2)
	v_cmp_ne_u32_e32 vcc_lo, 0x7f00000, v9
	v_cndmask_b32_e32 v8, 0x7e, v8, vcc_lo
; %bb.73:
	s_and_not1_saveexec_b32 s23, s23
; %bb.74:
	v_add_f32_e64 v8, 0x46800000, |v7|
; %bb.75:
	s_or_b32 exec_lo, exec_lo, s23
                                        ; implicit-def: $vgpr9
.LBB265_76:
	s_and_not1_saveexec_b32 s2, s2
; %bb.77:
	v_mov_b32_e32 v8, 0x7f
	v_cmp_lt_u32_e32 vcc_lo, 0x7f800000, v9
	s_delay_alu instid0(VALU_DEP_2)
	v_cndmask_b32_e32 v8, 0x7e, v8, vcc_lo
; %bb.78:
	s_or_b32 exec_lo, exec_lo, s2
	v_lshrrev_b32_e32 v7, 24, v7
	s_delay_alu instid0(VALU_DEP_1)
	v_and_or_b32 v7, 0x80, v7, v8
	global_store_b8 v[0:1], v7, off
.LBB265_79:
	s_mov_b32 s2, 0
.LBB265_80:
	s_delay_alu instid0(SALU_CYCLE_1)
	s_and_not1_b32 vcc_lo, exec_lo, s2
	s_cbranch_vccnz .LBB265_90
; %bb.81:
	v_cvt_f32_f16_e32 v7, v2
	s_mov_b32 s2, exec_lo
                                        ; implicit-def: $vgpr8
	s_delay_alu instid0(VALU_DEP_1) | instskip(NEXT) | instid1(VALU_DEP_1)
	v_and_b32_e32 v9, 0x7fffffff, v7
	v_cmpx_gt_u32_e32 0x47800000, v9
	s_xor_b32 s2, exec_lo, s2
	s_cbranch_execz .LBB265_87
; %bb.82:
	s_mov_b32 s23, exec_lo
                                        ; implicit-def: $vgpr8
	v_cmpx_lt_u32_e32 0x387fffff, v9
	s_xor_b32 s23, exec_lo, s23
; %bb.83:
	v_bfe_u32 v8, v7, 21, 1
	s_delay_alu instid0(VALU_DEP_1) | instskip(NEXT) | instid1(VALU_DEP_1)
	v_add3_u32 v8, v7, v8, 0x80fffff
	v_lshrrev_b32_e32 v8, 21, v8
; %bb.84:
	s_and_not1_saveexec_b32 s23, s23
; %bb.85:
	v_add_f32_e64 v8, 0x43000000, |v7|
; %bb.86:
	s_or_b32 exec_lo, exec_lo, s23
                                        ; implicit-def: $vgpr9
.LBB265_87:
	s_and_not1_saveexec_b32 s2, s2
; %bb.88:
	v_mov_b32_e32 v8, 0x7f
	v_cmp_lt_u32_e32 vcc_lo, 0x7f800000, v9
	s_delay_alu instid0(VALU_DEP_2)
	v_cndmask_b32_e32 v8, 0x7c, v8, vcc_lo
; %bb.89:
	s_or_b32 exec_lo, exec_lo, s2
	v_lshrrev_b32_e32 v7, 24, v7
	s_delay_alu instid0(VALU_DEP_1)
	v_and_or_b32 v7, 0x80, v7, v8
	global_store_b8 v[0:1], v7, off
.LBB265_90:
	s_mov_b32 s23, 0
	s_mov_b32 s2, -1
.LBB265_91:
	s_and_not1_b32 vcc_lo, exec_lo, s23
	s_cbranch_vccnz .LBB265_99
; %bb.92:
	v_cmp_lt_i16_e32 vcc_lo, 14, v6
	s_mov_b32 s23, -1
	s_cbranch_vccz .LBB265_96
; %bb.93:
	v_cmp_eq_u16_e32 vcc_lo, 15, v6
	s_mov_b32 s22, -1
	s_cbranch_vccz .LBB265_95
; %bb.94:
	v_cvt_f32_f16_e32 v7, v2
	v_cmp_o_f16_e32 vcc_lo, v2, v2
	s_mov_b32 s2, -1
	s_mov_b32 s22, 0
	s_delay_alu instid0(VALU_DEP_2) | instskip(NEXT) | instid1(VALU_DEP_1)
	v_bfe_u32 v8, v7, 16, 1
	v_add3_u32 v7, v7, v8, 0x7fff
	s_delay_alu instid0(VALU_DEP_1) | instskip(NEXT) | instid1(VALU_DEP_1)
	v_lshrrev_b32_e32 v7, 16, v7
	v_cndmask_b32_e32 v7, 0x7fc0, v7, vcc_lo
	global_store_b16 v[0:1], v7, off
.LBB265_95:
	s_mov_b32 s23, 0
.LBB265_96:
	s_delay_alu instid0(SALU_CYCLE_1)
	s_and_b32 vcc_lo, exec_lo, s23
	s_cbranch_vccz .LBB265_99
; %bb.97:
	v_cmp_eq_u16_e32 vcc_lo, 11, v6
	s_mov_b32 s22, -1
	s_cbranch_vccz .LBB265_99
; %bb.98:
	v_cmp_neq_f16_e32 vcc_lo, 0, v2
	s_mov_b32 s22, 0
	s_mov_b32 s2, -1
	v_cndmask_b32_e64 v7, 0, 1, vcc_lo
	global_store_b8 v[0:1], v7, off
.LBB265_99:
.LBB265_100:
	s_and_not1_b32 vcc_lo, exec_lo, s2
	s_cbranch_vccz .LBB265_140
	s_branch .LBB265_261
.LBB265_101:
	s_and_b32 vcc_lo, exec_lo, s23
	s_cbranch_vccz .LBB265_100
; %bb.102:
	v_cmp_gt_i16_e32 vcc_lo, 5, v6
	s_mov_b32 s2, -1
	s_cbranch_vccnz .LBB265_123
; %bb.103:
	v_cmp_gt_i16_e32 vcc_lo, 8, v6
	s_cbranch_vccnz .LBB265_113
; %bb.104:
	v_cmp_gt_i16_e32 vcc_lo, 9, v6
	s_cbranch_vccnz .LBB265_110
; %bb.105:
	v_cmp_lt_i16_e32 vcc_lo, 9, v6
	s_cbranch_vccz .LBB265_107
; %bb.106:
	v_cvt_f32_f16_e32 v7, v2
	v_mov_b32_e32 v9, 0
	s_mov_b32 s2, 0
	s_delay_alu instid0(VALU_DEP_2) | instskip(NEXT) | instid1(VALU_DEP_2)
	v_cvt_f64_f32_e32 v[7:8], v7
	v_mov_b32_e32 v10, v9
	global_store_b128 v[0:1], v[7:10], off
.LBB265_107:
	s_and_not1_b32 vcc_lo, exec_lo, s2
	s_cbranch_vccnz .LBB265_109
; %bb.108:
	v_cvt_f32_f16_e32 v7, v2
	v_mov_b32_e32 v8, 0
	global_store_b64 v[0:1], v[7:8], off
.LBB265_109:
	s_mov_b32 s2, 0
.LBB265_110:
	s_delay_alu instid0(SALU_CYCLE_1)
	s_and_not1_b32 vcc_lo, exec_lo, s2
	s_cbranch_vccnz .LBB265_112
; %bb.111:
	v_and_b32_e32 v7, 0xffff, v2
	global_store_b32 v[0:1], v7, off
.LBB265_112:
	s_mov_b32 s2, 0
.LBB265_113:
	s_delay_alu instid0(SALU_CYCLE_1)
	s_and_not1_b32 vcc_lo, exec_lo, s2
	s_cbranch_vccnz .LBB265_122
; %bb.114:
	v_cmp_gt_i16_e32 vcc_lo, 6, v6
	s_mov_b32 s2, -1
	s_cbranch_vccnz .LBB265_120
; %bb.115:
	v_cmp_lt_i16_e32 vcc_lo, 6, v6
	s_cbranch_vccz .LBB265_117
; %bb.116:
	v_cvt_f32_f16_e32 v7, v2
	s_mov_b32 s2, 0
	s_delay_alu instid0(VALU_DEP_1)
	v_cvt_f64_f32_e32 v[7:8], v7
	global_store_b64 v[0:1], v[7:8], off
.LBB265_117:
	s_and_not1_b32 vcc_lo, exec_lo, s2
	s_cbranch_vccnz .LBB265_119
; %bb.118:
	v_cvt_f32_f16_e32 v7, v2
	global_store_b32 v[0:1], v7, off
.LBB265_119:
	s_mov_b32 s2, 0
.LBB265_120:
	s_delay_alu instid0(SALU_CYCLE_1)
	s_and_not1_b32 vcc_lo, exec_lo, s2
	s_cbranch_vccnz .LBB265_122
; %bb.121:
	global_store_b16 v[0:1], v2, off
.LBB265_122:
	s_mov_b32 s2, 0
.LBB265_123:
	s_delay_alu instid0(SALU_CYCLE_1)
	s_and_not1_b32 vcc_lo, exec_lo, s2
	s_cbranch_vccnz .LBB265_139
; %bb.124:
	v_cmp_gt_i16_e32 vcc_lo, 2, v6
	s_mov_b32 s2, -1
	s_cbranch_vccnz .LBB265_134
; %bb.125:
	v_cmp_gt_i16_e32 vcc_lo, 3, v6
	s_cbranch_vccnz .LBB265_131
; %bb.126:
	v_cmp_lt_i16_e32 vcc_lo, 3, v6
	s_cbranch_vccz .LBB265_128
; %bb.127:
	v_cvt_f32_f16_e32 v7, v2
	s_mov_b32 s2, 0
	s_delay_alu instid0(VALU_DEP_1) | instskip(NEXT) | instid1(VALU_DEP_1)
	v_cvt_i32_f32_e32 v7, v7
	v_ashrrev_i32_e32 v8, 31, v7
	global_store_b64 v[0:1], v[7:8], off
.LBB265_128:
	s_and_not1_b32 vcc_lo, exec_lo, s2
	s_cbranch_vccnz .LBB265_130
; %bb.129:
	v_cvt_f32_f16_e32 v7, v2
	s_delay_alu instid0(VALU_DEP_1)
	v_cvt_i32_f32_e32 v7, v7
	global_store_b32 v[0:1], v7, off
.LBB265_130:
	s_mov_b32 s2, 0
.LBB265_131:
	s_delay_alu instid0(SALU_CYCLE_1)
	s_and_not1_b32 vcc_lo, exec_lo, s2
	s_cbranch_vccnz .LBB265_133
; %bb.132:
	v_cvt_i16_f16_e32 v7, v2
	global_store_b16 v[0:1], v7, off
.LBB265_133:
	s_mov_b32 s2, 0
.LBB265_134:
	s_delay_alu instid0(SALU_CYCLE_1)
	s_and_not1_b32 vcc_lo, exec_lo, s2
	s_cbranch_vccnz .LBB265_139
; %bb.135:
	v_cmp_lt_i16_e32 vcc_lo, 0, v6
	s_mov_b32 s2, -1
	s_cbranch_vccz .LBB265_137
; %bb.136:
	v_cvt_i16_f16_e32 v6, v2
	s_mov_b32 s2, 0
	global_store_b8 v[0:1], v6, off
.LBB265_137:
	s_and_not1_b32 vcc_lo, exec_lo, s2
	s_cbranch_vccnz .LBB265_139
; %bb.138:
	v_cvt_f32_f16_e32 v2, v2
	s_delay_alu instid0(VALU_DEP_1)
	v_cvt_i32_f32_e32 v2, v2
	global_store_b8 v[0:1], v2, off
.LBB265_139:
.LBB265_140:
	v_add_nc_u32_e32 v5, 0x80, v5
	s_mov_b32 s2, -1
	s_branch .LBB265_262
.LBB265_141:
	s_mov_b32 s2, 0
                                        ; implicit-def: $vgpr6
	s_cbranch_execnz .LBB265_178
	s_branch .LBB265_212
.LBB265_142:
	s_mov_b32 s22, -1
	s_mov_b32 s2, 0
                                        ; implicit-def: $vgpr6
	s_branch .LBB265_159
.LBB265_143:
	s_mov_b32 s22, -1
	s_mov_b32 s2, 0
                                        ; implicit-def: $vgpr6
	s_branch .LBB265_154
.LBB265_144:
	s_mov_b32 s22, -1
	s_branch .LBB265_146
.LBB265_145:
	s_mov_b32 s3, -1
.LBB265_146:
	s_mov_b32 s2, 0
                                        ; implicit-def: $vgpr6
.LBB265_147:
	s_and_b32 vcc_lo, exec_lo, s22
	s_cbranch_vccz .LBB265_153
; %bb.148:
	v_cmp_eq_u16_e32 vcc_lo, 44, v4
	s_cbranch_vccz .LBB265_152
; %bb.149:
	global_load_u8 v6, v[1:2], off
	s_mov_b32 s3, 0
	s_mov_b32 s2, -1
	s_waitcnt vmcnt(0)
	v_lshlrev_b32_e32 v7, 23, v6
	v_cmp_ne_u32_e32 vcc_lo, 0xff, v6
	s_delay_alu instid0(VALU_DEP_2) | instskip(NEXT) | instid1(VALU_DEP_1)
	v_cvt_f16_f32_e32 v7, v7
	v_cndmask_b32_e32 v7, 0x7e00, v7, vcc_lo
	v_cmp_ne_u32_e32 vcc_lo, 0, v6
	s_delay_alu instid0(VALU_DEP_2)
	v_cndmask_b32_e32 v6, 0, v7, vcc_lo
	s_branch .LBB265_153
.LBB265_150:
	s_or_saveexec_b32 s34, s34
                                        ; implicit-def: $sgpr35
	s_delay_alu instid0(SALU_CYCLE_1)
	s_xor_b32 exec_lo, exec_lo, s34
	s_cbranch_execz .LBB265_52
.LBB265_151:
	v_add_f32_e64 v8, 0x46000000, |v7|
	s_and_not1_b32 s23, s23, exec_lo
	s_mov_b32 s35, 0
	s_delay_alu instid0(VALU_DEP_1) | instskip(NEXT) | instid1(VALU_DEP_1)
	v_and_b32_e32 v8, 0xff, v8
	v_cmp_ne_u32_e32 vcc_lo, 0, v8
	s_and_b32 s38, vcc_lo, exec_lo
	s_delay_alu instid0(SALU_CYCLE_1)
	s_or_b32 s23, s23, s38
	s_or_b32 exec_lo, exec_lo, s34
	v_mov_b32_e32 v9, s35
	s_and_saveexec_b32 s34, s23
	s_cbranch_execnz .LBB265_53
	s_branch .LBB265_54
.LBB265_152:
	s_mov_b32 s3, -1
                                        ; implicit-def: $vgpr6
.LBB265_153:
	s_mov_b32 s22, 0
.LBB265_154:
	s_delay_alu instid0(SALU_CYCLE_1)
	s_and_b32 vcc_lo, exec_lo, s22
	s_cbranch_vccz .LBB265_158
; %bb.155:
	v_cmp_eq_u16_e32 vcc_lo, 29, v4
	s_cbranch_vccz .LBB265_157
; %bb.156:
	global_load_b64 v[6:7], v[1:2], off
	s_mov_b32 s2, -1
	s_mov_b32 s3, 0
	s_mov_b32 s22, 0
	s_waitcnt vmcnt(0)
	v_clz_i32_u32_e32 v8, v7
	s_delay_alu instid0(VALU_DEP_1) | instskip(NEXT) | instid1(VALU_DEP_1)
	v_min_u32_e32 v8, 32, v8
	v_lshlrev_b64 v[6:7], v8, v[6:7]
	s_delay_alu instid0(VALU_DEP_1) | instskip(NEXT) | instid1(VALU_DEP_1)
	v_min_u32_e32 v6, 1, v6
	v_or_b32_e32 v6, v7, v6
	v_sub_nc_u32_e32 v7, 32, v8
	s_delay_alu instid0(VALU_DEP_2) | instskip(NEXT) | instid1(VALU_DEP_1)
	v_cvt_f32_u32_e32 v6, v6
	v_ldexp_f32 v6, v6, v7
	s_delay_alu instid0(VALU_DEP_1)
	v_cvt_f16_f32_e32 v6, v6
	s_branch .LBB265_159
.LBB265_157:
	s_mov_b32 s3, -1
                                        ; implicit-def: $vgpr6
.LBB265_158:
	s_mov_b32 s22, 0
.LBB265_159:
	s_delay_alu instid0(SALU_CYCLE_1)
	s_and_b32 vcc_lo, exec_lo, s22
	s_cbranch_vccz .LBB265_177
; %bb.160:
	v_cmp_gt_i16_e32 vcc_lo, 27, v4
	s_cbranch_vccnz .LBB265_163
; %bb.161:
	v_cmp_lt_i16_e32 vcc_lo, 27, v4
	s_cbranch_vccz .LBB265_164
; %bb.162:
	global_load_b32 v6, v[1:2], off
	s_mov_b32 s2, 0
	s_waitcnt vmcnt(0)
	v_cvt_f32_u32_e32 v6, v6
	s_delay_alu instid0(VALU_DEP_1)
	v_cvt_f16_f32_e32 v6, v6
	s_branch .LBB265_165
.LBB265_163:
	s_mov_b32 s2, -1
                                        ; implicit-def: $vgpr6
	s_branch .LBB265_168
.LBB265_164:
	s_mov_b32 s2, -1
                                        ; implicit-def: $vgpr6
.LBB265_165:
	s_delay_alu instid0(SALU_CYCLE_1)
	s_and_not1_b32 vcc_lo, exec_lo, s2
	s_cbranch_vccnz .LBB265_167
; %bb.166:
	global_load_u16 v6, v[1:2], off
	s_waitcnt vmcnt(0)
	v_cvt_f16_u16_e32 v6, v6
.LBB265_167:
	s_mov_b32 s2, 0
.LBB265_168:
	s_delay_alu instid0(SALU_CYCLE_1)
	s_and_not1_b32 vcc_lo, exec_lo, s2
	s_cbranch_vccnz .LBB265_176
; %bb.169:
	global_load_u8 v7, v[1:2], off
	s_mov_b32 s2, 0
	s_mov_b32 s23, exec_lo
                                        ; implicit-def: $sgpr22
	s_waitcnt vmcnt(0)
	v_cmpx_lt_i16_e32 0x7f, v7
	s_xor_b32 s23, exec_lo, s23
	s_cbranch_execz .LBB265_189
; %bb.170:
	s_mov_b32 s2, -1
	s_mov_b32 s34, exec_lo
                                        ; implicit-def: $sgpr22
	v_cmpx_eq_u16_e32 0x80, v7
; %bb.171:
	s_movk_i32 s22, 0x7e00
	s_xor_b32 s2, exec_lo, -1
; %bb.172:
	s_or_b32 exec_lo, exec_lo, s34
	s_delay_alu instid0(SALU_CYCLE_1)
	s_and_b32 s2, s2, exec_lo
	s_or_saveexec_b32 s23, s23
	v_mov_b32_e32 v6, s22
	s_xor_b32 exec_lo, exec_lo, s23
	s_cbranch_execnz .LBB265_190
.LBB265_173:
	s_or_b32 exec_lo, exec_lo, s23
	s_and_saveexec_b32 s22, s2
	s_cbranch_execz .LBB265_175
.LBB265_174:
	v_and_b32_e32 v6, 0xffff, v7
	s_delay_alu instid0(VALU_DEP_1) | instskip(NEXT) | instid1(VALU_DEP_1)
	v_and_b32_e32 v8, 7, v6
	v_clz_i32_u32_e32 v9, v8
	s_delay_alu instid0(VALU_DEP_1) | instskip(NEXT) | instid1(VALU_DEP_1)
	v_min_u32_e32 v9, 32, v9
	v_subrev_nc_u32_e32 v10, 28, v9
	v_sub_nc_u32_e32 v9, 29, v9
	s_delay_alu instid0(VALU_DEP_2) | instskip(SKIP_1) | instid1(VALU_DEP_2)
	v_lshlrev_b32_e32 v10, v10, v6
	v_bfe_u32 v6, v6, 3, 4
	v_and_b32_e32 v10, 7, v10
	s_delay_alu instid0(VALU_DEP_2) | instskip(SKIP_1) | instid1(VALU_DEP_1)
	v_cmp_eq_u32_e32 vcc_lo, 0, v6
	v_dual_cndmask_b32 v6, v6, v9 :: v_dual_lshlrev_b32 v7, 24, v7
	v_dual_cndmask_b32 v8, v8, v10 :: v_dual_and_b32 v7, 0x80000000, v7
	s_delay_alu instid0(VALU_DEP_2) | instskip(NEXT) | instid1(VALU_DEP_2)
	v_lshl_add_u32 v6, v6, 23, 0x3b800000
	v_lshlrev_b32_e32 v8, 20, v8
	s_delay_alu instid0(VALU_DEP_1) | instskip(NEXT) | instid1(VALU_DEP_1)
	v_or3_b32 v6, v7, v6, v8
	v_cvt_f16_f32_e32 v6, v6
.LBB265_175:
	s_or_b32 exec_lo, exec_lo, s22
.LBB265_176:
	s_mov_b32 s2, -1
.LBB265_177:
	s_branch .LBB265_212
.LBB265_178:
	v_cmp_lt_i16_e32 vcc_lo, 22, v4
	s_cbranch_vccz .LBB265_188
; %bb.179:
	v_cmp_gt_i16_e32 vcc_lo, 24, v4
	s_cbranch_vccnz .LBB265_191
; %bb.180:
	v_cmp_lt_i16_e32 vcc_lo, 24, v4
	s_cbranch_vccz .LBB265_192
; %bb.181:
	global_load_u8 v7, v[1:2], off
	s_mov_b32 s2, 0
	s_mov_b32 s23, exec_lo
                                        ; implicit-def: $sgpr22
	s_waitcnt vmcnt(0)
	v_cmpx_lt_i16_e32 0x7f, v7
	s_xor_b32 s23, exec_lo, s23
	s_cbranch_execz .LBB265_204
; %bb.182:
	s_mov_b32 s2, -1
	s_mov_b32 s34, exec_lo
                                        ; implicit-def: $sgpr22
	v_cmpx_eq_u16_e32 0x80, v7
; %bb.183:
	s_movk_i32 s22, 0x7e00
	s_xor_b32 s2, exec_lo, -1
; %bb.184:
	s_or_b32 exec_lo, exec_lo, s34
	s_delay_alu instid0(SALU_CYCLE_1)
	s_and_b32 s2, s2, exec_lo
	s_or_saveexec_b32 s23, s23
	v_mov_b32_e32 v6, s22
	s_xor_b32 exec_lo, exec_lo, s23
	s_cbranch_execnz .LBB265_205
.LBB265_185:
	s_or_b32 exec_lo, exec_lo, s23
	s_and_saveexec_b32 s22, s2
	s_cbranch_execz .LBB265_187
.LBB265_186:
	v_and_b32_e32 v6, 0xffff, v7
	s_delay_alu instid0(VALU_DEP_1) | instskip(NEXT) | instid1(VALU_DEP_1)
	v_and_b32_e32 v8, 3, v6
	v_clz_i32_u32_e32 v9, v8
	s_delay_alu instid0(VALU_DEP_1) | instskip(NEXT) | instid1(VALU_DEP_1)
	v_min_u32_e32 v9, 32, v9
	v_subrev_nc_u32_e32 v10, 29, v9
	v_sub_nc_u32_e32 v9, 30, v9
	s_delay_alu instid0(VALU_DEP_2) | instskip(SKIP_1) | instid1(VALU_DEP_2)
	v_lshlrev_b32_e32 v10, v10, v6
	v_bfe_u32 v6, v6, 2, 5
	v_and_b32_e32 v10, 3, v10
	s_delay_alu instid0(VALU_DEP_2) | instskip(SKIP_1) | instid1(VALU_DEP_1)
	v_cmp_eq_u32_e32 vcc_lo, 0, v6
	v_dual_cndmask_b32 v6, v6, v9 :: v_dual_lshlrev_b32 v7, 24, v7
	v_dual_cndmask_b32 v8, v8, v10 :: v_dual_and_b32 v7, 0x80000000, v7
	s_delay_alu instid0(VALU_DEP_2) | instskip(NEXT) | instid1(VALU_DEP_2)
	v_lshl_add_u32 v6, v6, 23, 0x37800000
	v_lshlrev_b32_e32 v8, 21, v8
	s_delay_alu instid0(VALU_DEP_1) | instskip(NEXT) | instid1(VALU_DEP_1)
	v_or3_b32 v6, v7, v6, v8
	v_cvt_f16_f32_e32 v6, v6
.LBB265_187:
	s_or_b32 exec_lo, exec_lo, s22
	s_mov_b32 s2, 0
	s_branch .LBB265_193
.LBB265_188:
	s_mov_b32 s22, -1
                                        ; implicit-def: $vgpr6
	s_branch .LBB265_199
.LBB265_189:
	s_or_saveexec_b32 s23, s23
	v_mov_b32_e32 v6, s22
	s_xor_b32 exec_lo, exec_lo, s23
	s_cbranch_execz .LBB265_173
.LBB265_190:
	v_cmp_ne_u16_e32 vcc_lo, 0, v7
	v_mov_b32_e32 v6, v7
	s_and_not1_b32 s2, s2, exec_lo
	s_and_b32 s22, vcc_lo, exec_lo
	s_delay_alu instid0(SALU_CYCLE_1)
	s_or_b32 s2, s2, s22
	s_or_b32 exec_lo, exec_lo, s23
	s_and_saveexec_b32 s22, s2
	s_cbranch_execnz .LBB265_174
	s_branch .LBB265_175
.LBB265_191:
	s_mov_b32 s2, -1
                                        ; implicit-def: $vgpr6
	s_branch .LBB265_196
.LBB265_192:
	s_mov_b32 s2, -1
                                        ; implicit-def: $vgpr6
.LBB265_193:
	s_delay_alu instid0(SALU_CYCLE_1)
	s_and_b32 vcc_lo, exec_lo, s2
	s_cbranch_vccz .LBB265_195
; %bb.194:
	global_load_u8 v6, v[1:2], off
	s_waitcnt vmcnt(0)
	v_lshlrev_b32_e32 v6, 24, v6
	s_delay_alu instid0(VALU_DEP_1) | instskip(NEXT) | instid1(VALU_DEP_1)
	v_and_b32_e32 v7, 0x7f000000, v6
	v_clz_i32_u32_e32 v8, v7
	v_add_nc_u32_e32 v10, 0x1000000, v7
	v_cmp_ne_u32_e32 vcc_lo, 0, v7
	s_delay_alu instid0(VALU_DEP_3) | instskip(NEXT) | instid1(VALU_DEP_1)
	v_min_u32_e32 v8, 32, v8
	v_sub_nc_u32_e64 v8, v8, 4 clamp
	s_delay_alu instid0(VALU_DEP_1) | instskip(SKIP_1) | instid1(VALU_DEP_2)
	v_lshlrev_b32_e32 v9, v8, v7
	v_lshlrev_b32_e32 v8, 23, v8
	v_lshrrev_b32_e32 v9, 4, v9
	s_delay_alu instid0(VALU_DEP_1) | instskip(SKIP_1) | instid1(VALU_DEP_2)
	v_sub_nc_u32_e32 v8, v9, v8
	v_ashrrev_i32_e32 v9, 8, v10
	v_add_nc_u32_e32 v8, 0x3c000000, v8
	s_delay_alu instid0(VALU_DEP_1) | instskip(NEXT) | instid1(VALU_DEP_1)
	v_and_or_b32 v8, 0x7f800000, v9, v8
	v_cndmask_b32_e32 v7, 0, v8, vcc_lo
	s_delay_alu instid0(VALU_DEP_1) | instskip(NEXT) | instid1(VALU_DEP_1)
	v_and_or_b32 v6, 0x80000000, v6, v7
	v_cvt_f16_f32_e32 v6, v6
.LBB265_195:
	s_mov_b32 s2, 0
.LBB265_196:
	s_delay_alu instid0(SALU_CYCLE_1)
	s_and_not1_b32 vcc_lo, exec_lo, s2
	s_cbranch_vccnz .LBB265_198
; %bb.197:
	global_load_u8 v6, v[1:2], off
	s_waitcnt vmcnt(0)
	v_lshlrev_b32_e32 v7, 25, v6
	v_lshlrev_b16 v6, 8, v6
	s_delay_alu instid0(VALU_DEP_2) | instskip(NEXT) | instid1(VALU_DEP_2)
	v_lshrrev_b32_e32 v8, 4, v7
	v_and_or_b32 v9, 0x7f00, v6, 0.5
	v_bfe_i32 v6, v6, 0, 16
	s_delay_alu instid0(VALU_DEP_3) | instskip(NEXT) | instid1(VALU_DEP_1)
	v_or_b32_e32 v8, 0x70000000, v8
	v_dual_add_f32 v9, -0.5, v9 :: v_dual_mul_f32 v8, 0x7800000, v8
	v_cmp_gt_u32_e32 vcc_lo, 0x8000000, v7
	s_delay_alu instid0(VALU_DEP_2) | instskip(NEXT) | instid1(VALU_DEP_1)
	v_cndmask_b32_e32 v7, v8, v9, vcc_lo
	v_and_or_b32 v6, 0x80000000, v6, v7
	s_delay_alu instid0(VALU_DEP_1)
	v_cvt_f16_f32_e32 v6, v6
.LBB265_198:
	s_mov_b32 s22, 0
	s_mov_b32 s2, -1
.LBB265_199:
	s_and_not1_b32 vcc_lo, exec_lo, s22
	s_cbranch_vccnz .LBB265_212
; %bb.200:
	v_cmp_lt_i16_e32 vcc_lo, 14, v4
	s_cbranch_vccz .LBB265_203
; %bb.201:
	v_cmp_eq_u16_e32 vcc_lo, 15, v4
	s_cbranch_vccz .LBB265_206
; %bb.202:
	global_load_u16 v6, v[1:2], off
	s_mov_b32 s2, -1
	s_mov_b32 s3, 0
	s_waitcnt vmcnt(0)
	v_lshlrev_b32_e32 v6, 16, v6
	s_delay_alu instid0(VALU_DEP_1)
	v_cvt_f16_f32_e32 v6, v6
	s_branch .LBB265_207
.LBB265_203:
	s_mov_b32 s22, -1
                                        ; implicit-def: $vgpr6
	s_branch .LBB265_208
.LBB265_204:
	s_or_saveexec_b32 s23, s23
	v_mov_b32_e32 v6, s22
	s_xor_b32 exec_lo, exec_lo, s23
	s_cbranch_execz .LBB265_185
.LBB265_205:
	v_cmp_ne_u16_e32 vcc_lo, 0, v7
	v_mov_b32_e32 v6, v7
	s_and_not1_b32 s2, s2, exec_lo
	s_and_b32 s22, vcc_lo, exec_lo
	s_delay_alu instid0(SALU_CYCLE_1)
	s_or_b32 s2, s2, s22
	s_or_b32 exec_lo, exec_lo, s23
	s_and_saveexec_b32 s22, s2
	s_cbranch_execnz .LBB265_186
	s_branch .LBB265_187
.LBB265_206:
	s_mov_b32 s3, -1
                                        ; implicit-def: $vgpr6
.LBB265_207:
	s_mov_b32 s22, 0
.LBB265_208:
	s_delay_alu instid0(SALU_CYCLE_1)
	s_and_b32 vcc_lo, exec_lo, s22
	s_cbranch_vccz .LBB265_212
; %bb.209:
	v_cmp_eq_u16_e32 vcc_lo, 11, v4
	s_cbranch_vccz .LBB265_211
; %bb.210:
	global_load_u8 v6, v[1:2], off
	s_mov_b32 s3, 0
	s_mov_b32 s2, -1
	s_waitcnt vmcnt(0)
	v_cmp_ne_u16_e32 vcc_lo, 0, v6
	v_cndmask_b32_e64 v6, 0, 0x3c00, vcc_lo
	s_branch .LBB265_212
.LBB265_211:
	s_mov_b32 s3, -1
                                        ; implicit-def: $vgpr6
.LBB265_212:
	s_branch .LBB265_23
.LBB265_213:
	v_cmp_gt_i16_e32 vcc_lo, 5, v4
	s_cbranch_vccnz .LBB265_218
; %bb.214:
	v_cmp_gt_i16_e32 vcc_lo, 8, v4
	s_cbranch_vccnz .LBB265_219
; %bb.215:
	;; [unrolled: 3-line block ×3, first 2 shown]
	v_cmp_lt_i16_e32 vcc_lo, 9, v4
	s_cbranch_vccz .LBB265_221
; %bb.217:
	global_load_b64 v[6:7], v[1:2], off
	s_mov_b32 s2, 0
	s_waitcnt vmcnt(0)
	v_cvt_f32_f64_e32 v6, v[6:7]
	s_delay_alu instid0(VALU_DEP_1)
	v_cvt_f16_f32_e32 v6, v6
	s_branch .LBB265_222
.LBB265_218:
                                        ; implicit-def: $vgpr6
	s_branch .LBB265_240
.LBB265_219:
	s_mov_b32 s2, -1
                                        ; implicit-def: $vgpr6
	s_branch .LBB265_228
.LBB265_220:
	s_mov_b32 s2, -1
                                        ; implicit-def: $vgpr6
	s_branch .LBB265_225
.LBB265_221:
	s_mov_b32 s2, -1
                                        ; implicit-def: $vgpr6
.LBB265_222:
	s_delay_alu instid0(SALU_CYCLE_1)
	s_and_not1_b32 vcc_lo, exec_lo, s2
	s_cbranch_vccnz .LBB265_224
; %bb.223:
	global_load_b32 v6, v[1:2], off
	s_waitcnt vmcnt(0)
	v_cvt_f16_f32_e32 v6, v6
.LBB265_224:
	s_mov_b32 s2, 0
.LBB265_225:
	s_delay_alu instid0(SALU_CYCLE_1)
	s_and_not1_b32 vcc_lo, exec_lo, s2
	s_cbranch_vccnz .LBB265_227
; %bb.226:
	global_load_b32 v6, v[1:2], off
.LBB265_227:
	s_mov_b32 s2, 0
.LBB265_228:
	s_delay_alu instid0(SALU_CYCLE_1)
	s_and_not1_b32 vcc_lo, exec_lo, s2
	s_cbranch_vccnz .LBB265_239
; %bb.229:
	v_cmp_gt_i16_e32 vcc_lo, 6, v4
	s_cbranch_vccnz .LBB265_232
; %bb.230:
	v_cmp_lt_i16_e32 vcc_lo, 6, v4
	s_cbranch_vccz .LBB265_233
; %bb.231:
	global_load_b64 v[6:7], v[1:2], off
	s_mov_b32 s2, 0
	s_waitcnt vmcnt(0)
	v_cvt_f32_f64_e32 v6, v[6:7]
	s_delay_alu instid0(VALU_DEP_1)
	v_cvt_f16_f32_e32 v6, v6
	s_branch .LBB265_234
.LBB265_232:
	s_mov_b32 s2, -1
                                        ; implicit-def: $vgpr6
	s_branch .LBB265_237
.LBB265_233:
	s_mov_b32 s2, -1
                                        ; implicit-def: $vgpr6
.LBB265_234:
	s_delay_alu instid0(SALU_CYCLE_1)
	s_and_not1_b32 vcc_lo, exec_lo, s2
	s_cbranch_vccnz .LBB265_236
; %bb.235:
	global_load_b32 v6, v[1:2], off
	s_waitcnt vmcnt(0)
	v_cvt_f16_f32_e32 v6, v6
.LBB265_236:
	s_mov_b32 s2, 0
.LBB265_237:
	s_delay_alu instid0(SALU_CYCLE_1)
	s_and_not1_b32 vcc_lo, exec_lo, s2
	s_cbranch_vccnz .LBB265_239
; %bb.238:
	global_load_u16 v6, v[1:2], off
.LBB265_239:
	s_cbranch_execnz .LBB265_259
.LBB265_240:
	v_cmp_gt_i16_e32 vcc_lo, 2, v4
	s_cbranch_vccnz .LBB265_244
; %bb.241:
	v_cmp_gt_i16_e32 vcc_lo, 3, v4
	s_cbranch_vccnz .LBB265_245
; %bb.242:
	v_cmp_lt_i16_e32 vcc_lo, 3, v4
	s_cbranch_vccz .LBB265_246
; %bb.243:
	global_load_b64 v[6:7], v[1:2], off
	s_mov_b32 s2, 0
	s_waitcnt vmcnt(0)
	v_xor_b32_e32 v8, v6, v7
	v_cls_i32_e32 v9, v7
	s_delay_alu instid0(VALU_DEP_2) | instskip(NEXT) | instid1(VALU_DEP_2)
	v_ashrrev_i32_e32 v8, 31, v8
	v_add_nc_u32_e32 v9, -1, v9
	s_delay_alu instid0(VALU_DEP_2) | instskip(NEXT) | instid1(VALU_DEP_1)
	v_add_nc_u32_e32 v8, 32, v8
	v_min_u32_e32 v8, v9, v8
	s_delay_alu instid0(VALU_DEP_1) | instskip(NEXT) | instid1(VALU_DEP_1)
	v_lshlrev_b64 v[6:7], v8, v[6:7]
	v_min_u32_e32 v6, 1, v6
	s_delay_alu instid0(VALU_DEP_1) | instskip(SKIP_1) | instid1(VALU_DEP_2)
	v_or_b32_e32 v6, v7, v6
	v_sub_nc_u32_e32 v7, 32, v8
	v_cvt_f32_i32_e32 v6, v6
	s_delay_alu instid0(VALU_DEP_1) | instskip(NEXT) | instid1(VALU_DEP_1)
	v_ldexp_f32 v6, v6, v7
	v_cvt_f16_f32_e32 v6, v6
	s_branch .LBB265_247
.LBB265_244:
	s_mov_b32 s2, -1
                                        ; implicit-def: $vgpr6
	s_branch .LBB265_253
.LBB265_245:
	s_mov_b32 s2, -1
                                        ; implicit-def: $vgpr6
	s_branch .LBB265_250
.LBB265_246:
	s_mov_b32 s2, -1
                                        ; implicit-def: $vgpr6
.LBB265_247:
	s_delay_alu instid0(SALU_CYCLE_1)
	s_and_not1_b32 vcc_lo, exec_lo, s2
	s_cbranch_vccnz .LBB265_249
; %bb.248:
	global_load_b32 v6, v[1:2], off
	s_waitcnt vmcnt(0)
	v_cvt_f32_i32_e32 v6, v6
	s_delay_alu instid0(VALU_DEP_1)
	v_cvt_f16_f32_e32 v6, v6
.LBB265_249:
	s_mov_b32 s2, 0
.LBB265_250:
	s_delay_alu instid0(SALU_CYCLE_1)
	s_and_not1_b32 vcc_lo, exec_lo, s2
	s_cbranch_vccnz .LBB265_252
; %bb.251:
	global_load_u16 v6, v[1:2], off
	s_waitcnt vmcnt(0)
	v_cvt_f16_i16_e32 v6, v6
.LBB265_252:
	s_mov_b32 s2, 0
.LBB265_253:
	s_delay_alu instid0(SALU_CYCLE_1)
	s_and_not1_b32 vcc_lo, exec_lo, s2
	s_cbranch_vccnz .LBB265_259
; %bb.254:
	v_cmp_lt_i16_e32 vcc_lo, 0, v4
	s_mov_b32 s2, 0
	s_cbranch_vccz .LBB265_256
; %bb.255:
	global_load_i8 v6, v[1:2], off
	s_waitcnt vmcnt(0)
	v_cvt_f16_i16_e32 v6, v6
	s_branch .LBB265_257
.LBB265_256:
	s_mov_b32 s2, -1
                                        ; implicit-def: $vgpr6
.LBB265_257:
	s_delay_alu instid0(SALU_CYCLE_1)
	s_and_not1_b32 vcc_lo, exec_lo, s2
	s_cbranch_vccnz .LBB265_259
; %bb.258:
	global_load_u8 v1, v[1:2], off
	s_waitcnt vmcnt(0)
	v_cvt_f16_u16_e32 v6, v1
.LBB265_259:
	s_branch .LBB265_24
.LBB265_260:
	s_mov_b32 s22, 0
.LBB265_261:
	s_mov_b32 s2, 0
                                        ; implicit-def: $vgpr5
.LBB265_262:
	s_and_b32 s34, s22, exec_lo
	s_and_b32 s35, s3, exec_lo
	s_or_not1_b32 s3, s2, exec_lo
.LBB265_263:
	s_or_b32 exec_lo, exec_lo, s36
	s_mov_b32 s22, 0
	s_mov_b32 s2, 0
                                        ; implicit-def: $vgpr1_vgpr2
                                        ; implicit-def: $vgpr0
                                        ; implicit-def: $vgpr6
	s_and_saveexec_b32 s36, s3
	s_cbranch_execz .LBB265_906
; %bb.264:
	s_mov_b32 s2, -1
	s_mov_b32 s37, s35
	s_mov_b32 s38, s34
	s_mov_b32 s39, exec_lo
	v_cmpx_gt_i32_e64 s30, v5
	s_cbranch_execz .LBB265_533
; %bb.265:
	s_and_not1_b32 vcc_lo, exec_lo, s27
	s_cbranch_vccnz .LBB265_270
; %bb.266:
	v_dual_mov_b32 v0, 0 :: v_dual_mov_b32 v1, 0
	s_and_not1_b32 vcc_lo, exec_lo, s33
	s_mov_b32 s37, 0
	s_cbranch_vccnz .LBB265_275
; %bb.267:
	v_mov_b32_e32 v0, 0
	s_add_i32 s40, s31, 1
	s_cmp_eq_u32 s25, 2
	s_mov_b32 s38, 0
	s_cbranch_scc1 .LBB265_271
; %bb.268:
	v_dual_mov_b32 v1, 0 :: v_dual_mov_b32 v0, 0
	v_mov_b32_e32 v2, v5
	s_and_b32 s38, s40, 28
	s_mov_b32 s41, 0
	s_mov_b64 s[2:3], s[20:21]
	s_mov_b64 s[22:23], s[16:17]
.LBB265_269:                            ; =>This Inner Loop Header: Depth=1
	s_clause 0x1
	s_load_b256 s[44:51], s[22:23], 0x4
	s_load_b128 s[60:63], s[22:23], 0x24
	s_load_b256 s[52:59], s[2:3], 0x0
	s_add_u32 s22, s22, 48
	s_addc_u32 s23, s23, 0
	s_add_i32 s41, s41, 4
	s_add_u32 s2, s2, 32
	s_addc_u32 s3, s3, 0
	s_cmp_eq_u32 s38, s41
	s_waitcnt vmcnt(0) lgkmcnt(0)
	v_mul_hi_u32 v6, s45, v2
	s_delay_alu instid0(VALU_DEP_1) | instskip(NEXT) | instid1(VALU_DEP_1)
	v_add_nc_u32_e32 v6, v2, v6
	v_lshrrev_b32_e32 v6, s46, v6
	s_delay_alu instid0(VALU_DEP_1) | instskip(SKIP_1) | instid1(VALU_DEP_2)
	v_mul_hi_u32 v7, s48, v6
	v_mul_lo_u32 v9, v6, s44
	v_add_nc_u32_e32 v7, v6, v7
	s_delay_alu instid0(VALU_DEP_2) | instskip(NEXT) | instid1(VALU_DEP_2)
	v_sub_nc_u32_e32 v2, v2, v9
	v_lshrrev_b32_e32 v7, s49, v7
	s_delay_alu instid0(VALU_DEP_2) | instskip(SKIP_1) | instid1(VALU_DEP_3)
	v_mul_lo_u32 v9, v2, s52
	v_mul_lo_u32 v11, v2, s53
	v_mul_hi_u32 v8, s51, v7
	s_delay_alu instid0(VALU_DEP_1) | instskip(NEXT) | instid1(VALU_DEP_1)
	v_add_nc_u32_e32 v8, v7, v8
	v_lshrrev_b32_e32 v8, s60, v8
	s_delay_alu instid0(VALU_DEP_1) | instskip(SKIP_1) | instid1(VALU_DEP_2)
	v_mul_hi_u32 v10, s62, v8
	v_mul_lo_u32 v12, v8, s50
	v_add_nc_u32_e32 v2, v8, v10
	v_mul_lo_u32 v10, v7, s47
	s_delay_alu instid0(VALU_DEP_3) | instskip(NEXT) | instid1(VALU_DEP_3)
	v_sub_nc_u32_e32 v7, v7, v12
	v_lshrrev_b32_e32 v2, s63, v2
	s_delay_alu instid0(VALU_DEP_2) | instskip(SKIP_2) | instid1(VALU_DEP_4)
	v_mul_lo_u32 v12, v7, s56
	v_mul_lo_u32 v7, v7, s57
	v_sub_nc_u32_e32 v6, v6, v10
	v_mul_lo_u32 v13, v2, s61
	s_delay_alu instid0(VALU_DEP_2) | instskip(SKIP_1) | instid1(VALU_DEP_3)
	v_mul_lo_u32 v10, v6, s54
	v_mul_lo_u32 v6, v6, s55
	v_sub_nc_u32_e32 v8, v8, v13
	s_delay_alu instid0(VALU_DEP_3) | instskip(NEXT) | instid1(VALU_DEP_2)
	v_add3_u32 v0, v9, v0, v10
	v_mul_lo_u32 v13, v8, s58
	v_mul_lo_u32 v8, v8, s59
	v_add3_u32 v1, v11, v1, v6
	s_delay_alu instid0(VALU_DEP_3) | instskip(NEXT) | instid1(VALU_DEP_2)
	v_add3_u32 v0, v12, v0, v13
	v_add3_u32 v1, v7, v1, v8
	s_cbranch_scc0 .LBB265_269
	s_branch .LBB265_272
.LBB265_270:
	s_mov_b32 s37, -1
                                        ; implicit-def: $vgpr0
                                        ; implicit-def: $vgpr1
	s_branch .LBB265_275
.LBB265_271:
	v_dual_mov_b32 v2, v5 :: v_dual_mov_b32 v1, 0
.LBB265_272:
	s_and_b32 s40, s40, 3
	s_delay_alu instid0(SALU_CYCLE_1)
	s_cmp_eq_u32 s40, 0
	s_cbranch_scc1 .LBB265_275
; %bb.273:
	s_lshl_b32 s2, s38, 3
	s_mul_i32 s22, s38, 12
	s_add_u32 s2, s2, s16
	s_addc_u32 s3, s17, 0
	s_add_u32 s2, s2, 0xc4
	s_addc_u32 s3, s3, 0
	;; [unrolled: 2-line block ×3, first 2 shown]
	.p2align	6
.LBB265_274:                            ; =>This Inner Loop Header: Depth=1
	s_clause 0x1
	s_load_b64 s[42:43], s[22:23], 0x4
	s_load_b32 s38, s[22:23], 0xc
	s_load_b64 s[44:45], s[2:3], 0x0
	s_add_u32 s22, s22, 12
	s_addc_u32 s23, s23, 0
	s_add_u32 s2, s2, 8
	s_addc_u32 s3, s3, 0
	s_add_i32 s40, s40, -1
	s_delay_alu instid0(SALU_CYCLE_1) | instskip(SKIP_2) | instid1(VALU_DEP_1)
	s_cmp_lg_u32 s40, 0
	s_waitcnt vmcnt(0) lgkmcnt(0)
	v_mul_hi_u32 v6, s43, v2
	v_add_nc_u32_e32 v6, v2, v6
	s_delay_alu instid0(VALU_DEP_1) | instskip(NEXT) | instid1(VALU_DEP_1)
	v_lshrrev_b32_e32 v9, s38, v6
	v_mul_lo_u32 v6, v9, s42
	s_delay_alu instid0(VALU_DEP_1) | instskip(NEXT) | instid1(VALU_DEP_1)
	v_sub_nc_u32_e32 v2, v2, v6
	v_mad_u64_u32 v[6:7], null, v2, s44, v[0:1]
	v_mad_u64_u32 v[7:8], null, v2, s45, v[1:2]
	v_mov_b32_e32 v2, v9
	s_delay_alu instid0(VALU_DEP_2)
	v_dual_mov_b32 v0, v6 :: v_dual_mov_b32 v1, v7
	s_cbranch_scc1 .LBB265_274
.LBB265_275:
	s_and_not1_b32 vcc_lo, exec_lo, s37
	s_cbranch_vccnz .LBB265_278
; %bb.276:
	s_waitcnt lgkmcnt(0)
	v_mul_hi_u32 v0, s13, v5
	s_and_not1_b32 vcc_lo, exec_lo, s29
	s_delay_alu instid0(VALU_DEP_1) | instskip(NEXT) | instid1(VALU_DEP_1)
	v_add_nc_u32_e32 v0, v5, v0
	v_lshrrev_b32_e32 v2, s14, v0
	s_delay_alu instid0(VALU_DEP_1) | instskip(NEXT) | instid1(VALU_DEP_1)
	v_mul_lo_u32 v0, v2, s12
	v_sub_nc_u32_e32 v1, v5, v0
	s_delay_alu instid0(VALU_DEP_1)
	v_mul_lo_u32 v0, v1, s8
	v_mul_lo_u32 v1, v1, s9
	s_cbranch_vccnz .LBB265_278
; %bb.277:
	s_waitcnt vmcnt(0)
	v_mul_hi_u32 v6, s18, v2
	s_delay_alu instid0(VALU_DEP_1) | instskip(NEXT) | instid1(VALU_DEP_1)
	v_add_nc_u32_e32 v6, v2, v6
	v_lshrrev_b32_e32 v6, s19, v6
	s_delay_alu instid0(VALU_DEP_1) | instskip(NEXT) | instid1(VALU_DEP_1)
	v_mul_lo_u32 v6, v6, s15
	v_sub_nc_u32_e32 v2, v2, v6
	s_delay_alu instid0(VALU_DEP_1) | instskip(SKIP_1) | instid1(VALU_DEP_1)
	v_mad_u64_u32 v[6:7], null, v2, s10, v[0:1]
	v_mad_u64_u32 v[7:8], null, v2, s11, v[1:2]
	v_dual_mov_b32 v0, v6 :: v_dual_mov_b32 v1, v7
.LBB265_278:
	v_cmp_gt_i16_e32 vcc_lo, 11, v4
	s_waitcnt lgkmcnt(0)
	s_delay_alu instid0(VALU_DEP_2) | instskip(NEXT) | instid1(VALU_DEP_1)
	v_add_co_u32 v1, s2, s6, v1
	v_add_co_ci_u32_e64 v2, null, s7, 0, s2
	s_mov_b32 s2, 0
	s_cbranch_vccnz .LBB265_285
; %bb.279:
	v_cmp_lt_i16_e32 vcc_lo, 25, v4
	s_cbranch_vccz .LBB265_334
; %bb.280:
	v_cmp_lt_i16_e32 vcc_lo, 28, v4
	s_cbranch_vccz .LBB265_335
	;; [unrolled: 3-line block ×4, first 2 shown]
; %bb.283:
	v_cmp_eq_u16_e32 vcc_lo, 46, v4
	s_mov_b32 s22, 0
	s_cbranch_vccz .LBB265_343
; %bb.284:
	global_load_b32 v6, v[1:2], off
	s_mov_b32 s2, -1
	s_mov_b32 s3, 0
	s_waitcnt vmcnt(0)
	v_lshlrev_b32_e32 v6, 16, v6
	s_delay_alu instid0(VALU_DEP_1)
	v_cvt_f16_f32_e32 v6, v6
	s_branch .LBB265_345
.LBB265_285:
	s_mov_b32 s3, s35
                                        ; implicit-def: $vgpr6
	s_cbranch_execnz .LBB265_482
.LBB265_286:
	s_and_not1_b32 vcc_lo, exec_lo, s2
	s_cbranch_vccnz .LBB265_530
.LBB265_287:
	s_waitcnt vmcnt(0)
	s_delay_alu instid0(VALU_DEP_1) | instskip(SKIP_2) | instid1(VALU_DEP_1)
	v_cvt_f32_f16_e32 v1, v6
	s_mov_b32 s22, 0
	s_mov_b32 s23, -1
	v_mul_f32_e32 v2, 0x4f800000, v1
	v_cmp_gt_f32_e32 vcc_lo, 0xf800000, v1
	s_delay_alu instid0(VALU_DEP_2) | instskip(NEXT) | instid1(VALU_DEP_1)
	v_cndmask_b32_e32 v1, v1, v2, vcc_lo
	v_rsq_f32_e32 v2, v1
	s_waitcnt_depctr 0xfff
	v_mul_f32_e32 v7, v1, v2
	v_mul_f32_e32 v2, 0.5, v2
	s_delay_alu instid0(VALU_DEP_1) | instskip(NEXT) | instid1(VALU_DEP_1)
	v_fma_f32 v6, -v2, v7, 0.5
	v_fmac_f32_e32 v7, v7, v6
	v_fmac_f32_e32 v2, v2, v6
	s_delay_alu instid0(VALU_DEP_2) | instskip(NEXT) | instid1(VALU_DEP_1)
	v_fma_f32 v6, -v7, v7, v1
	v_dual_fmac_f32 v7, v6, v2 :: v_dual_and_b32 v6, 0xff, v3
	s_delay_alu instid0(VALU_DEP_1) | instskip(SKIP_1) | instid1(VALU_DEP_2)
	v_mul_f32_e32 v2, 0x37800000, v7
	v_cmp_class_f32_e64 s2, v1, 0x260
	v_cndmask_b32_e32 v2, v7, v2, vcc_lo
	s_delay_alu instid0(VALU_DEP_4) | instskip(NEXT) | instid1(VALU_DEP_2)
	v_cmp_gt_i16_e32 vcc_lo, 11, v6
	v_cndmask_b32_e64 v2, v2, v1, s2
	v_add_co_u32 v0, s2, s4, v0
	s_delay_alu instid0(VALU_DEP_1) | instskip(NEXT) | instid1(VALU_DEP_3)
	v_add_co_ci_u32_e64 v1, null, s5, 0, s2
	v_cvt_f16_f32_e32 v2, v2
	s_mov_b32 s2, s34
	s_cbranch_vccnz .LBB265_294
; %bb.288:
	v_cmp_lt_i16_e32 vcc_lo, 25, v6
	s_cbranch_vccz .LBB265_336
; %bb.289:
	v_cmp_lt_i16_e32 vcc_lo, 28, v6
	s_cbranch_vccz .LBB265_338
	;; [unrolled: 3-line block ×4, first 2 shown]
; %bb.292:
	v_cmp_eq_u16_e32 vcc_lo, 46, v6
	s_mov_b32 s23, 0
	s_mov_b32 s2, -1
	s_cbranch_vccz .LBB265_349
; %bb.293:
	v_cvt_f32_f16_e32 v7, v2
	v_cmp_o_f16_e32 vcc_lo, v2, v2
	s_mov_b32 s22, -1
	s_mov_b32 s2, 0
	s_delay_alu instid0(VALU_DEP_2) | instskip(NEXT) | instid1(VALU_DEP_1)
	v_bfe_u32 v8, v7, 16, 1
	v_add3_u32 v7, v7, v8, 0x7fff
	s_delay_alu instid0(VALU_DEP_1) | instskip(NEXT) | instid1(VALU_DEP_1)
	v_lshrrev_b32_e32 v7, 16, v7
	v_cndmask_b32_e32 v7, 0x7fc0, v7, vcc_lo
	global_store_b32 v[0:1], v7, off
	s_branch .LBB265_349
.LBB265_294:
	s_and_b32 vcc_lo, exec_lo, s23
	s_cbranch_vccz .LBB265_418
; %bb.295:
	v_cmp_gt_i16_e32 vcc_lo, 5, v6
	s_mov_b32 s22, -1
	s_cbranch_vccnz .LBB265_316
; %bb.296:
	v_cmp_gt_i16_e32 vcc_lo, 8, v6
	s_cbranch_vccnz .LBB265_306
; %bb.297:
	v_cmp_gt_i16_e32 vcc_lo, 9, v6
	s_cbranch_vccnz .LBB265_303
; %bb.298:
	v_cmp_lt_i16_e32 vcc_lo, 9, v6
	s_cbranch_vccz .LBB265_300
; %bb.299:
	v_cvt_f32_f16_e32 v7, v2
	v_mov_b32_e32 v9, 0
	s_mov_b32 s22, 0
	s_delay_alu instid0(VALU_DEP_2) | instskip(NEXT) | instid1(VALU_DEP_2)
	v_cvt_f64_f32_e32 v[7:8], v7
	v_mov_b32_e32 v10, v9
	global_store_b128 v[0:1], v[7:10], off
.LBB265_300:
	s_and_not1_b32 vcc_lo, exec_lo, s22
	s_cbranch_vccnz .LBB265_302
; %bb.301:
	v_cvt_f32_f16_e32 v7, v2
	v_mov_b32_e32 v8, 0
	global_store_b64 v[0:1], v[7:8], off
.LBB265_302:
	s_mov_b32 s22, 0
.LBB265_303:
	s_delay_alu instid0(SALU_CYCLE_1)
	s_and_not1_b32 vcc_lo, exec_lo, s22
	s_cbranch_vccnz .LBB265_305
; %bb.304:
	v_and_b32_e32 v7, 0xffff, v2
	global_store_b32 v[0:1], v7, off
.LBB265_305:
	s_mov_b32 s22, 0
.LBB265_306:
	s_delay_alu instid0(SALU_CYCLE_1)
	s_and_not1_b32 vcc_lo, exec_lo, s22
	s_cbranch_vccnz .LBB265_315
; %bb.307:
	v_cmp_gt_i16_e32 vcc_lo, 6, v6
	s_mov_b32 s22, -1
	s_cbranch_vccnz .LBB265_313
; %bb.308:
	v_cmp_lt_i16_e32 vcc_lo, 6, v6
	s_cbranch_vccz .LBB265_310
; %bb.309:
	v_cvt_f32_f16_e32 v7, v2
	s_mov_b32 s22, 0
	s_delay_alu instid0(VALU_DEP_1)
	v_cvt_f64_f32_e32 v[7:8], v7
	global_store_b64 v[0:1], v[7:8], off
.LBB265_310:
	s_and_not1_b32 vcc_lo, exec_lo, s22
	s_cbranch_vccnz .LBB265_312
; %bb.311:
	v_cvt_f32_f16_e32 v7, v2
	global_store_b32 v[0:1], v7, off
.LBB265_312:
	s_mov_b32 s22, 0
.LBB265_313:
	s_delay_alu instid0(SALU_CYCLE_1)
	s_and_not1_b32 vcc_lo, exec_lo, s22
	s_cbranch_vccnz .LBB265_315
; %bb.314:
	global_store_b16 v[0:1], v2, off
.LBB265_315:
	s_mov_b32 s22, 0
.LBB265_316:
	s_delay_alu instid0(SALU_CYCLE_1)
	s_and_not1_b32 vcc_lo, exec_lo, s22
	s_cbranch_vccnz .LBB265_332
; %bb.317:
	v_cmp_gt_i16_e32 vcc_lo, 2, v6
	s_mov_b32 s22, -1
	s_cbranch_vccnz .LBB265_327
; %bb.318:
	v_cmp_gt_i16_e32 vcc_lo, 3, v6
	s_cbranch_vccnz .LBB265_324
; %bb.319:
	v_cmp_lt_i16_e32 vcc_lo, 3, v6
	s_cbranch_vccz .LBB265_321
; %bb.320:
	v_cvt_f32_f16_e32 v7, v2
	s_mov_b32 s22, 0
	s_delay_alu instid0(VALU_DEP_1) | instskip(NEXT) | instid1(VALU_DEP_1)
	v_cvt_i32_f32_e32 v7, v7
	v_ashrrev_i32_e32 v8, 31, v7
	global_store_b64 v[0:1], v[7:8], off
.LBB265_321:
	s_and_not1_b32 vcc_lo, exec_lo, s22
	s_cbranch_vccnz .LBB265_323
; %bb.322:
	v_cvt_f32_f16_e32 v7, v2
	s_delay_alu instid0(VALU_DEP_1)
	v_cvt_i32_f32_e32 v7, v7
	global_store_b32 v[0:1], v7, off
.LBB265_323:
	s_mov_b32 s22, 0
.LBB265_324:
	s_delay_alu instid0(SALU_CYCLE_1)
	s_and_not1_b32 vcc_lo, exec_lo, s22
	s_cbranch_vccnz .LBB265_326
; %bb.325:
	v_cvt_i16_f16_e32 v7, v2
	global_store_b16 v[0:1], v7, off
.LBB265_326:
	s_mov_b32 s22, 0
.LBB265_327:
	s_delay_alu instid0(SALU_CYCLE_1)
	s_and_not1_b32 vcc_lo, exec_lo, s22
	s_cbranch_vccnz .LBB265_332
; %bb.328:
	v_cmp_lt_i16_e32 vcc_lo, 0, v6
	s_mov_b32 s22, -1
	s_cbranch_vccz .LBB265_330
; %bb.329:
	v_cvt_i16_f16_e32 v6, v2
	s_mov_b32 s22, 0
	global_store_b8 v[0:1], v6, off
.LBB265_330:
	s_and_not1_b32 vcc_lo, exec_lo, s22
	s_cbranch_vccnz .LBB265_332
; %bb.331:
	v_cvt_f32_f16_e32 v2, v2
	s_delay_alu instid0(VALU_DEP_1)
	v_cvt_i32_f32_e32 v2, v2
	global_store_b8 v[0:1], v2, off
.LBB265_332:
	s_branch .LBB265_419
.LBB265_333:
	s_mov_b32 s22, 0
	s_branch .LBB265_531
.LBB265_334:
	s_mov_b32 s22, -1
	s_mov_b32 s3, s35
                                        ; implicit-def: $vgpr6
	s_branch .LBB265_446
.LBB265_335:
	s_mov_b32 s22, -1
	s_mov_b32 s3, s35
                                        ; implicit-def: $vgpr6
	s_branch .LBB265_427
.LBB265_336:
	s_mov_b32 s2, s34
	s_branch .LBB265_376
.LBB265_337:
	s_mov_b32 s22, -1
	s_mov_b32 s3, s35
                                        ; implicit-def: $vgpr6
	s_branch .LBB265_422
.LBB265_338:
	s_mov_b32 s2, s34
	s_branch .LBB265_359
.LBB265_339:
	s_mov_b32 s22, -1
	s_mov_b32 s3, s35
	s_branch .LBB265_344
.LBB265_340:
	s_mov_b32 s2, s34
	s_branch .LBB265_355
.LBB265_341:
	s_or_saveexec_b32 s34, s34
                                        ; implicit-def: $sgpr35
	s_delay_alu instid0(SALU_CYCLE_1)
	s_xor_b32 exec_lo, exec_lo, s34
	s_cbranch_execz .LBB265_65
.LBB265_342:
	v_add_f32_e64 v8, 0x42800000, |v7|
	s_and_not1_b32 s23, s23, exec_lo
	s_mov_b32 s35, 0
	s_delay_alu instid0(VALU_DEP_1) | instskip(NEXT) | instid1(VALU_DEP_1)
	v_and_b32_e32 v8, 0xff, v8
	v_cmp_ne_u32_e32 vcc_lo, 0, v8
	s_and_b32 s38, vcc_lo, exec_lo
	s_delay_alu instid0(SALU_CYCLE_1)
	s_or_b32 s23, s23, s38
	s_or_b32 exec_lo, exec_lo, s34
	v_mov_b32_e32 v9, s35
	s_and_saveexec_b32 s34, s23
	s_cbranch_execnz .LBB265_66
	s_branch .LBB265_67
.LBB265_343:
	s_mov_b32 s3, -1
.LBB265_344:
                                        ; implicit-def: $vgpr6
.LBB265_345:
	s_and_b32 vcc_lo, exec_lo, s22
	s_cbranch_vccz .LBB265_421
; %bb.346:
	v_cmp_eq_u16_e32 vcc_lo, 44, v4
	s_cbranch_vccz .LBB265_420
; %bb.347:
	global_load_u8 v6, v[1:2], off
	s_mov_b32 s3, 0
	s_mov_b32 s2, -1
	s_waitcnt vmcnt(0)
	v_lshlrev_b32_e32 v7, 23, v6
	v_cmp_ne_u32_e32 vcc_lo, 0xff, v6
	s_delay_alu instid0(VALU_DEP_2) | instskip(NEXT) | instid1(VALU_DEP_1)
	v_cvt_f16_f32_e32 v7, v7
	v_cndmask_b32_e32 v7, 0x7e00, v7, vcc_lo
	v_cmp_ne_u32_e32 vcc_lo, 0, v6
	s_delay_alu instid0(VALU_DEP_2)
	v_cndmask_b32_e32 v6, 0, v7, vcc_lo
	s_branch .LBB265_421
.LBB265_348:
	s_mov_b32 s2, s34
.LBB265_349:
	s_and_b32 vcc_lo, exec_lo, s23
	s_cbranch_vccz .LBB265_354
; %bb.350:
	v_cmp_eq_u16_e32 vcc_lo, 44, v6
	s_mov_b32 s2, -1
	s_cbranch_vccz .LBB265_354
; %bb.351:
	v_cvt_f32_f16_e32 v7, v2
	v_mov_b32_e32 v8, 0xff
	s_mov_b32 s22, exec_lo
	s_delay_alu instid0(VALU_DEP_2) | instskip(NEXT) | instid1(VALU_DEP_1)
	v_bfe_u32 v9, v7, 23, 8
	v_cmpx_ne_u32_e32 0xff, v9
; %bb.352:
	v_and_b32_e32 v8, 0x400000, v7
	v_and_or_b32 v9, 0x3fffff, v7, v9
	v_lshrrev_b32_e32 v7, 23, v7
	s_delay_alu instid0(VALU_DEP_3) | instskip(NEXT) | instid1(VALU_DEP_3)
	v_cmp_ne_u32_e32 vcc_lo, 0, v8
	v_cmp_ne_u32_e64 s2, 0, v9
	s_delay_alu instid0(VALU_DEP_1) | instskip(NEXT) | instid1(SALU_CYCLE_1)
	s_and_b32 s2, vcc_lo, s2
	v_cndmask_b32_e64 v8, 0, 1, s2
	s_delay_alu instid0(VALU_DEP_1)
	v_add_nc_u32_e32 v8, v7, v8
; %bb.353:
	s_or_b32 exec_lo, exec_lo, s22
	s_mov_b32 s22, -1
	s_mov_b32 s2, 0
	global_store_b8 v[0:1], v8, off
.LBB265_354:
	s_mov_b32 s23, 0
.LBB265_355:
	s_delay_alu instid0(SALU_CYCLE_1)
	s_and_b32 vcc_lo, exec_lo, s23
	s_cbranch_vccz .LBB265_358
; %bb.356:
	v_cmp_eq_u16_e32 vcc_lo, 29, v6
	s_mov_b32 s2, -1
	s_cbranch_vccz .LBB265_358
; %bb.357:
	v_cvt_f32_f16_e32 v7, v2
	v_mov_b32_e32 v8, 0
	s_mov_b32 s2, 0
	s_mov_b32 s22, -1
	s_mov_b32 s23, 0
	v_cvt_u32_f32_e32 v7, v7
	global_store_b64 v[0:1], v[7:8], off
	s_branch .LBB265_359
.LBB265_358:
	s_mov_b32 s23, 0
.LBB265_359:
	s_delay_alu instid0(SALU_CYCLE_1)
	s_and_b32 vcc_lo, exec_lo, s23
	s_cbranch_vccz .LBB265_375
; %bb.360:
	v_cmp_gt_i16_e32 vcc_lo, 27, v6
	s_mov_b32 s22, -1
	s_cbranch_vccnz .LBB265_366
; %bb.361:
	v_cmp_lt_i16_e32 vcc_lo, 27, v6
	s_cbranch_vccz .LBB265_363
; %bb.362:
	v_cvt_f32_f16_e32 v7, v2
	s_mov_b32 s22, 0
	s_delay_alu instid0(VALU_DEP_1)
	v_cvt_u32_f32_e32 v7, v7
	global_store_b32 v[0:1], v7, off
.LBB265_363:
	s_and_not1_b32 vcc_lo, exec_lo, s22
	s_cbranch_vccnz .LBB265_365
; %bb.364:
	v_cvt_u16_f16_e32 v7, v2
	global_store_b16 v[0:1], v7, off
.LBB265_365:
	s_mov_b32 s22, 0
.LBB265_366:
	s_delay_alu instid0(SALU_CYCLE_1)
	s_and_not1_b32 vcc_lo, exec_lo, s22
	s_cbranch_vccnz .LBB265_374
; %bb.367:
	v_cvt_f32_f16_e32 v7, v2
	v_mov_b32_e32 v9, 0x80
	s_mov_b32 s22, exec_lo
	s_delay_alu instid0(VALU_DEP_2) | instskip(NEXT) | instid1(VALU_DEP_1)
	v_and_b32_e32 v8, 0x7fffffff, v7
	v_cmpx_gt_u32_e32 0x43800000, v8
	s_cbranch_execz .LBB265_373
; %bb.368:
	v_cmp_lt_u32_e32 vcc_lo, 0x3bffffff, v8
	s_mov_b32 s23, 0
                                        ; implicit-def: $vgpr8
	s_and_saveexec_b32 s37, vcc_lo
	s_delay_alu instid0(SALU_CYCLE_1)
	s_xor_b32 s37, exec_lo, s37
	s_cbranch_execz .LBB265_559
; %bb.369:
	v_bfe_u32 v8, v7, 20, 1
	s_mov_b32 s23, exec_lo
	s_delay_alu instid0(VALU_DEP_1) | instskip(NEXT) | instid1(VALU_DEP_1)
	v_add3_u32 v8, v7, v8, 0x487ffff
	v_lshrrev_b32_e32 v8, 20, v8
	s_or_saveexec_b32 s37, s37
                                        ; implicit-def: $sgpr38
	s_delay_alu instid0(SALU_CYCLE_1)
	s_xor_b32 exec_lo, exec_lo, s37
	s_cbranch_execnz .LBB265_560
.LBB265_370:
	s_or_b32 exec_lo, exec_lo, s37
	v_mov_b32_e32 v9, s38
	s_and_saveexec_b32 s37, s23
.LBB265_371:
	v_lshrrev_b32_e32 v7, 24, v7
	s_delay_alu instid0(VALU_DEP_1)
	v_and_or_b32 v9, 0x80, v7, v8
.LBB265_372:
	s_or_b32 exec_lo, exec_lo, s37
.LBB265_373:
	s_delay_alu instid0(SALU_CYCLE_1)
	s_or_b32 exec_lo, exec_lo, s22
	global_store_b8 v[0:1], v9, off
.LBB265_374:
	s_mov_b32 s22, -1
.LBB265_375:
	s_mov_b32 s23, 0
.LBB265_376:
	s_delay_alu instid0(SALU_CYCLE_1)
	s_and_b32 vcc_lo, exec_lo, s23
	s_cbranch_vccz .LBB265_417
; %bb.377:
	v_cmp_lt_i16_e32 vcc_lo, 22, v6
	s_mov_b32 s23, -1
	s_cbranch_vccz .LBB265_409
; %bb.378:
	v_cmp_gt_i16_e32 vcc_lo, 24, v6
	s_mov_b32 s22, -1
	s_cbranch_vccnz .LBB265_398
; %bb.379:
	v_cmp_lt_i16_e32 vcc_lo, 24, v6
	s_cbranch_vccz .LBB265_387
; %bb.380:
	v_cvt_f32_f16_e32 v7, v2
	v_mov_b32_e32 v9, 0x80
	s_mov_b32 s22, exec_lo
	s_delay_alu instid0(VALU_DEP_2) | instskip(NEXT) | instid1(VALU_DEP_1)
	v_and_b32_e32 v8, 0x7fffffff, v7
	v_cmpx_gt_u32_e32 0x47800000, v8
	s_cbranch_execz .LBB265_386
; %bb.381:
	v_cmp_lt_u32_e32 vcc_lo, 0x37ffffff, v8
	s_mov_b32 s23, 0
                                        ; implicit-def: $vgpr8
	s_and_saveexec_b32 s37, vcc_lo
	s_delay_alu instid0(SALU_CYCLE_1)
	s_xor_b32 s37, exec_lo, s37
	s_cbranch_execz .LBB265_562
; %bb.382:
	v_bfe_u32 v8, v7, 21, 1
	s_mov_b32 s23, exec_lo
	s_delay_alu instid0(VALU_DEP_1) | instskip(NEXT) | instid1(VALU_DEP_1)
	v_add3_u32 v8, v7, v8, 0x88fffff
	v_lshrrev_b32_e32 v8, 21, v8
	s_or_saveexec_b32 s37, s37
                                        ; implicit-def: $sgpr38
	s_delay_alu instid0(SALU_CYCLE_1)
	s_xor_b32 exec_lo, exec_lo, s37
	s_cbranch_execnz .LBB265_563
.LBB265_383:
	s_or_b32 exec_lo, exec_lo, s37
	v_mov_b32_e32 v9, s38
	s_and_saveexec_b32 s37, s23
.LBB265_384:
	v_lshrrev_b32_e32 v7, 24, v7
	s_delay_alu instid0(VALU_DEP_1)
	v_and_or_b32 v9, 0x80, v7, v8
.LBB265_385:
	s_or_b32 exec_lo, exec_lo, s37
.LBB265_386:
	s_delay_alu instid0(SALU_CYCLE_1)
	s_or_b32 exec_lo, exec_lo, s22
	s_mov_b32 s22, 0
	global_store_b8 v[0:1], v9, off
.LBB265_387:
	s_and_b32 vcc_lo, exec_lo, s22
	s_cbranch_vccz .LBB265_397
; %bb.388:
	v_cvt_f32_f16_e32 v7, v2
	s_mov_b32 s22, exec_lo
                                        ; implicit-def: $vgpr8
	s_delay_alu instid0(VALU_DEP_1) | instskip(NEXT) | instid1(VALU_DEP_1)
	v_and_b32_e32 v9, 0x7fffffff, v7
	v_cmpx_gt_u32_e32 0x43f00000, v9
	s_xor_b32 s22, exec_lo, s22
	s_cbranch_execz .LBB265_394
; %bb.389:
	s_mov_b32 s23, exec_lo
                                        ; implicit-def: $vgpr8
	v_cmpx_lt_u32_e32 0x3c7fffff, v9
	s_xor_b32 s23, exec_lo, s23
; %bb.390:
	v_bfe_u32 v8, v7, 20, 1
	s_delay_alu instid0(VALU_DEP_1) | instskip(NEXT) | instid1(VALU_DEP_1)
	v_add3_u32 v8, v7, v8, 0x407ffff
	v_and_b32_e32 v9, 0xff00000, v8
	v_lshrrev_b32_e32 v8, 20, v8
	s_delay_alu instid0(VALU_DEP_2) | instskip(NEXT) | instid1(VALU_DEP_2)
	v_cmp_ne_u32_e32 vcc_lo, 0x7f00000, v9
	v_cndmask_b32_e32 v8, 0x7e, v8, vcc_lo
; %bb.391:
	s_and_not1_saveexec_b32 s23, s23
; %bb.392:
	v_add_f32_e64 v8, 0x46800000, |v7|
; %bb.393:
	s_or_b32 exec_lo, exec_lo, s23
                                        ; implicit-def: $vgpr9
.LBB265_394:
	s_and_not1_saveexec_b32 s22, s22
; %bb.395:
	v_mov_b32_e32 v8, 0x7f
	v_cmp_lt_u32_e32 vcc_lo, 0x7f800000, v9
	s_delay_alu instid0(VALU_DEP_2)
	v_cndmask_b32_e32 v8, 0x7e, v8, vcc_lo
; %bb.396:
	s_or_b32 exec_lo, exec_lo, s22
	v_lshrrev_b32_e32 v7, 24, v7
	s_delay_alu instid0(VALU_DEP_1)
	v_and_or_b32 v7, 0x80, v7, v8
	global_store_b8 v[0:1], v7, off
.LBB265_397:
	s_mov_b32 s22, 0
.LBB265_398:
	s_delay_alu instid0(SALU_CYCLE_1)
	s_and_not1_b32 vcc_lo, exec_lo, s22
	s_cbranch_vccnz .LBB265_408
; %bb.399:
	v_cvt_f32_f16_e32 v7, v2
	s_mov_b32 s22, exec_lo
                                        ; implicit-def: $vgpr8
	s_delay_alu instid0(VALU_DEP_1) | instskip(NEXT) | instid1(VALU_DEP_1)
	v_and_b32_e32 v9, 0x7fffffff, v7
	v_cmpx_gt_u32_e32 0x47800000, v9
	s_xor_b32 s22, exec_lo, s22
	s_cbranch_execz .LBB265_405
; %bb.400:
	s_mov_b32 s23, exec_lo
                                        ; implicit-def: $vgpr8
	v_cmpx_lt_u32_e32 0x387fffff, v9
	s_xor_b32 s23, exec_lo, s23
; %bb.401:
	v_bfe_u32 v8, v7, 21, 1
	s_delay_alu instid0(VALU_DEP_1) | instskip(NEXT) | instid1(VALU_DEP_1)
	v_add3_u32 v8, v7, v8, 0x80fffff
	v_lshrrev_b32_e32 v8, 21, v8
; %bb.402:
	s_and_not1_saveexec_b32 s23, s23
; %bb.403:
	v_add_f32_e64 v8, 0x43000000, |v7|
; %bb.404:
	s_or_b32 exec_lo, exec_lo, s23
                                        ; implicit-def: $vgpr9
.LBB265_405:
	s_and_not1_saveexec_b32 s22, s22
; %bb.406:
	v_mov_b32_e32 v8, 0x7f
	v_cmp_lt_u32_e32 vcc_lo, 0x7f800000, v9
	s_delay_alu instid0(VALU_DEP_2)
	v_cndmask_b32_e32 v8, 0x7c, v8, vcc_lo
; %bb.407:
	s_or_b32 exec_lo, exec_lo, s22
	v_lshrrev_b32_e32 v7, 24, v7
	s_delay_alu instid0(VALU_DEP_1)
	v_and_or_b32 v7, 0x80, v7, v8
	global_store_b8 v[0:1], v7, off
.LBB265_408:
	s_mov_b32 s23, 0
	s_mov_b32 s22, -1
.LBB265_409:
	s_and_not1_b32 vcc_lo, exec_lo, s23
	s_cbranch_vccnz .LBB265_417
; %bb.410:
	v_cmp_lt_i16_e32 vcc_lo, 14, v6
	s_mov_b32 s23, -1
	s_cbranch_vccz .LBB265_414
; %bb.411:
	v_cmp_eq_u16_e32 vcc_lo, 15, v6
	s_mov_b32 s2, -1
	s_cbranch_vccz .LBB265_413
; %bb.412:
	v_cvt_f32_f16_e32 v7, v2
	v_cmp_o_f16_e32 vcc_lo, v2, v2
	s_mov_b32 s22, -1
	s_mov_b32 s2, 0
	s_delay_alu instid0(VALU_DEP_2) | instskip(NEXT) | instid1(VALU_DEP_1)
	v_bfe_u32 v8, v7, 16, 1
	v_add3_u32 v7, v7, v8, 0x7fff
	s_delay_alu instid0(VALU_DEP_1) | instskip(NEXT) | instid1(VALU_DEP_1)
	v_lshrrev_b32_e32 v7, 16, v7
	v_cndmask_b32_e32 v7, 0x7fc0, v7, vcc_lo
	global_store_b16 v[0:1], v7, off
.LBB265_413:
	s_mov_b32 s23, 0
.LBB265_414:
	s_delay_alu instid0(SALU_CYCLE_1)
	s_and_b32 vcc_lo, exec_lo, s23
	s_cbranch_vccz .LBB265_417
; %bb.415:
	v_cmp_eq_u16_e32 vcc_lo, 11, v6
	s_mov_b32 s2, -1
	s_cbranch_vccz .LBB265_417
; %bb.416:
	v_cmp_neq_f16_e32 vcc_lo, 0, v2
	s_mov_b32 s2, 0
	s_mov_b32 s22, -1
	v_cndmask_b32_e64 v7, 0, 1, vcc_lo
	global_store_b8 v[0:1], v7, off
.LBB265_417:
.LBB265_418:
	s_and_not1_b32 vcc_lo, exec_lo, s22
	s_cbranch_vccnz .LBB265_333
.LBB265_419:
	v_add_nc_u32_e32 v5, 0x80, v5
	s_mov_b32 s22, -1
	s_branch .LBB265_532
.LBB265_420:
	s_mov_b32 s3, -1
                                        ; implicit-def: $vgpr6
.LBB265_421:
	s_mov_b32 s22, 0
.LBB265_422:
	s_delay_alu instid0(SALU_CYCLE_1)
	s_and_b32 vcc_lo, exec_lo, s22
	s_cbranch_vccz .LBB265_426
; %bb.423:
	v_cmp_eq_u16_e32 vcc_lo, 29, v4
	s_cbranch_vccz .LBB265_425
; %bb.424:
	global_load_b64 v[6:7], v[1:2], off
	s_mov_b32 s2, -1
	s_mov_b32 s3, 0
	s_mov_b32 s22, 0
	s_waitcnt vmcnt(0)
	v_clz_i32_u32_e32 v8, v7
	s_delay_alu instid0(VALU_DEP_1) | instskip(NEXT) | instid1(VALU_DEP_1)
	v_min_u32_e32 v8, 32, v8
	v_lshlrev_b64 v[6:7], v8, v[6:7]
	s_delay_alu instid0(VALU_DEP_1) | instskip(NEXT) | instid1(VALU_DEP_1)
	v_min_u32_e32 v6, 1, v6
	v_or_b32_e32 v6, v7, v6
	v_sub_nc_u32_e32 v7, 32, v8
	s_delay_alu instid0(VALU_DEP_2) | instskip(NEXT) | instid1(VALU_DEP_1)
	v_cvt_f32_u32_e32 v6, v6
	v_ldexp_f32 v6, v6, v7
	s_delay_alu instid0(VALU_DEP_1)
	v_cvt_f16_f32_e32 v6, v6
	s_branch .LBB265_427
.LBB265_425:
	s_mov_b32 s3, -1
                                        ; implicit-def: $vgpr6
.LBB265_426:
	s_mov_b32 s22, 0
.LBB265_427:
	s_delay_alu instid0(SALU_CYCLE_1)
	s_and_b32 vcc_lo, exec_lo, s22
	s_cbranch_vccz .LBB265_445
; %bb.428:
	v_cmp_gt_i16_e32 vcc_lo, 27, v4
	s_cbranch_vccnz .LBB265_431
; %bb.429:
	v_cmp_lt_i16_e32 vcc_lo, 27, v4
	s_cbranch_vccz .LBB265_432
; %bb.430:
	global_load_b32 v6, v[1:2], off
	s_mov_b32 s2, 0
	s_waitcnt vmcnt(0)
	v_cvt_f32_u32_e32 v6, v6
	s_delay_alu instid0(VALU_DEP_1)
	v_cvt_f16_f32_e32 v6, v6
	s_branch .LBB265_433
.LBB265_431:
	s_mov_b32 s2, -1
                                        ; implicit-def: $vgpr6
	s_branch .LBB265_436
.LBB265_432:
	s_mov_b32 s2, -1
                                        ; implicit-def: $vgpr6
.LBB265_433:
	s_delay_alu instid0(SALU_CYCLE_1)
	s_and_not1_b32 vcc_lo, exec_lo, s2
	s_cbranch_vccnz .LBB265_435
; %bb.434:
	global_load_u16 v6, v[1:2], off
	s_waitcnt vmcnt(0)
	v_cvt_f16_u16_e32 v6, v6
.LBB265_435:
	s_mov_b32 s2, 0
.LBB265_436:
	s_delay_alu instid0(SALU_CYCLE_1)
	s_and_not1_b32 vcc_lo, exec_lo, s2
	s_cbranch_vccnz .LBB265_444
; %bb.437:
	global_load_u8 v7, v[1:2], off
	s_mov_b32 s2, 0
	s_mov_b32 s23, exec_lo
                                        ; implicit-def: $sgpr22
	s_waitcnt vmcnt(0)
	v_cmpx_lt_i16_e32 0x7f, v7
	s_xor_b32 s23, exec_lo, s23
	s_cbranch_execz .LBB265_458
; %bb.438:
	s_mov_b32 s2, -1
	s_mov_b32 s37, exec_lo
                                        ; implicit-def: $sgpr22
	v_cmpx_eq_u16_e32 0x80, v7
; %bb.439:
	s_movk_i32 s22, 0x7e00
	s_xor_b32 s2, exec_lo, -1
; %bb.440:
	s_or_b32 exec_lo, exec_lo, s37
	s_delay_alu instid0(SALU_CYCLE_1)
	s_and_b32 s2, s2, exec_lo
	s_or_saveexec_b32 s23, s23
	v_mov_b32_e32 v6, s22
	s_xor_b32 exec_lo, exec_lo, s23
	s_cbranch_execnz .LBB265_459
.LBB265_441:
	s_or_b32 exec_lo, exec_lo, s23
	s_and_saveexec_b32 s22, s2
	s_cbranch_execz .LBB265_443
.LBB265_442:
	v_and_b32_e32 v6, 0xffff, v7
	s_delay_alu instid0(VALU_DEP_1) | instskip(NEXT) | instid1(VALU_DEP_1)
	v_and_b32_e32 v8, 7, v6
	v_clz_i32_u32_e32 v9, v8
	s_delay_alu instid0(VALU_DEP_1) | instskip(NEXT) | instid1(VALU_DEP_1)
	v_min_u32_e32 v9, 32, v9
	v_subrev_nc_u32_e32 v10, 28, v9
	v_sub_nc_u32_e32 v9, 29, v9
	s_delay_alu instid0(VALU_DEP_2) | instskip(SKIP_1) | instid1(VALU_DEP_2)
	v_lshlrev_b32_e32 v10, v10, v6
	v_bfe_u32 v6, v6, 3, 4
	v_and_b32_e32 v10, 7, v10
	s_delay_alu instid0(VALU_DEP_2) | instskip(SKIP_1) | instid1(VALU_DEP_1)
	v_cmp_eq_u32_e32 vcc_lo, 0, v6
	v_dual_cndmask_b32 v6, v6, v9 :: v_dual_lshlrev_b32 v7, 24, v7
	v_dual_cndmask_b32 v8, v8, v10 :: v_dual_and_b32 v7, 0x80000000, v7
	s_delay_alu instid0(VALU_DEP_2) | instskip(NEXT) | instid1(VALU_DEP_2)
	v_lshl_add_u32 v6, v6, 23, 0x3b800000
	v_lshlrev_b32_e32 v8, 20, v8
	s_delay_alu instid0(VALU_DEP_1) | instskip(NEXT) | instid1(VALU_DEP_1)
	v_or3_b32 v6, v7, v6, v8
	v_cvt_f16_f32_e32 v6, v6
.LBB265_443:
	s_or_b32 exec_lo, exec_lo, s22
.LBB265_444:
	s_mov_b32 s2, -1
.LBB265_445:
	s_mov_b32 s22, 0
.LBB265_446:
	s_delay_alu instid0(SALU_CYCLE_1)
	s_and_b32 vcc_lo, exec_lo, s22
	s_cbranch_vccz .LBB265_481
; %bb.447:
	v_cmp_lt_i16_e32 vcc_lo, 22, v4
	s_cbranch_vccz .LBB265_457
; %bb.448:
	v_cmp_gt_i16_e32 vcc_lo, 24, v4
	s_cbranch_vccnz .LBB265_460
; %bb.449:
	v_cmp_lt_i16_e32 vcc_lo, 24, v4
	s_cbranch_vccz .LBB265_461
; %bb.450:
	global_load_u8 v7, v[1:2], off
	s_mov_b32 s2, 0
	s_mov_b32 s23, exec_lo
                                        ; implicit-def: $sgpr22
	s_waitcnt vmcnt(0)
	v_cmpx_lt_i16_e32 0x7f, v7
	s_xor_b32 s23, exec_lo, s23
	s_cbranch_execz .LBB265_473
; %bb.451:
	s_mov_b32 s2, -1
	s_mov_b32 s37, exec_lo
                                        ; implicit-def: $sgpr22
	v_cmpx_eq_u16_e32 0x80, v7
; %bb.452:
	s_movk_i32 s22, 0x7e00
	s_xor_b32 s2, exec_lo, -1
; %bb.453:
	s_or_b32 exec_lo, exec_lo, s37
	s_delay_alu instid0(SALU_CYCLE_1)
	s_and_b32 s2, s2, exec_lo
	s_or_saveexec_b32 s23, s23
	v_mov_b32_e32 v6, s22
	s_xor_b32 exec_lo, exec_lo, s23
	s_cbranch_execnz .LBB265_474
.LBB265_454:
	s_or_b32 exec_lo, exec_lo, s23
	s_and_saveexec_b32 s22, s2
	s_cbranch_execz .LBB265_456
.LBB265_455:
	v_and_b32_e32 v6, 0xffff, v7
	s_delay_alu instid0(VALU_DEP_1) | instskip(NEXT) | instid1(VALU_DEP_1)
	v_and_b32_e32 v8, 3, v6
	v_clz_i32_u32_e32 v9, v8
	s_delay_alu instid0(VALU_DEP_1) | instskip(NEXT) | instid1(VALU_DEP_1)
	v_min_u32_e32 v9, 32, v9
	v_subrev_nc_u32_e32 v10, 29, v9
	v_sub_nc_u32_e32 v9, 30, v9
	s_delay_alu instid0(VALU_DEP_2) | instskip(SKIP_1) | instid1(VALU_DEP_2)
	v_lshlrev_b32_e32 v10, v10, v6
	v_bfe_u32 v6, v6, 2, 5
	v_and_b32_e32 v10, 3, v10
	s_delay_alu instid0(VALU_DEP_2) | instskip(SKIP_1) | instid1(VALU_DEP_1)
	v_cmp_eq_u32_e32 vcc_lo, 0, v6
	v_dual_cndmask_b32 v6, v6, v9 :: v_dual_lshlrev_b32 v7, 24, v7
	v_dual_cndmask_b32 v8, v8, v10 :: v_dual_and_b32 v7, 0x80000000, v7
	s_delay_alu instid0(VALU_DEP_2) | instskip(NEXT) | instid1(VALU_DEP_2)
	v_lshl_add_u32 v6, v6, 23, 0x37800000
	v_lshlrev_b32_e32 v8, 21, v8
	s_delay_alu instid0(VALU_DEP_1) | instskip(NEXT) | instid1(VALU_DEP_1)
	v_or3_b32 v6, v7, v6, v8
	v_cvt_f16_f32_e32 v6, v6
.LBB265_456:
	s_or_b32 exec_lo, exec_lo, s22
	s_mov_b32 s2, 0
	s_branch .LBB265_462
.LBB265_457:
	s_mov_b32 s22, -1
                                        ; implicit-def: $vgpr6
	s_branch .LBB265_468
.LBB265_458:
	s_or_saveexec_b32 s23, s23
	v_mov_b32_e32 v6, s22
	s_xor_b32 exec_lo, exec_lo, s23
	s_cbranch_execz .LBB265_441
.LBB265_459:
	v_cmp_ne_u16_e32 vcc_lo, 0, v7
	v_mov_b32_e32 v6, v7
	s_and_not1_b32 s2, s2, exec_lo
	s_and_b32 s22, vcc_lo, exec_lo
	s_delay_alu instid0(SALU_CYCLE_1)
	s_or_b32 s2, s2, s22
	s_or_b32 exec_lo, exec_lo, s23
	s_and_saveexec_b32 s22, s2
	s_cbranch_execnz .LBB265_442
	s_branch .LBB265_443
.LBB265_460:
	s_mov_b32 s2, -1
                                        ; implicit-def: $vgpr6
	s_branch .LBB265_465
.LBB265_461:
	s_mov_b32 s2, -1
                                        ; implicit-def: $vgpr6
.LBB265_462:
	s_delay_alu instid0(SALU_CYCLE_1)
	s_and_b32 vcc_lo, exec_lo, s2
	s_cbranch_vccz .LBB265_464
; %bb.463:
	global_load_u8 v6, v[1:2], off
	s_waitcnt vmcnt(0)
	v_lshlrev_b32_e32 v6, 24, v6
	s_delay_alu instid0(VALU_DEP_1) | instskip(NEXT) | instid1(VALU_DEP_1)
	v_and_b32_e32 v7, 0x7f000000, v6
	v_clz_i32_u32_e32 v8, v7
	v_add_nc_u32_e32 v10, 0x1000000, v7
	v_cmp_ne_u32_e32 vcc_lo, 0, v7
	s_delay_alu instid0(VALU_DEP_3) | instskip(NEXT) | instid1(VALU_DEP_1)
	v_min_u32_e32 v8, 32, v8
	v_sub_nc_u32_e64 v8, v8, 4 clamp
	s_delay_alu instid0(VALU_DEP_1) | instskip(SKIP_1) | instid1(VALU_DEP_2)
	v_lshlrev_b32_e32 v9, v8, v7
	v_lshlrev_b32_e32 v8, 23, v8
	v_lshrrev_b32_e32 v9, 4, v9
	s_delay_alu instid0(VALU_DEP_1) | instskip(SKIP_1) | instid1(VALU_DEP_2)
	v_sub_nc_u32_e32 v8, v9, v8
	v_ashrrev_i32_e32 v9, 8, v10
	v_add_nc_u32_e32 v8, 0x3c000000, v8
	s_delay_alu instid0(VALU_DEP_1) | instskip(NEXT) | instid1(VALU_DEP_1)
	v_and_or_b32 v8, 0x7f800000, v9, v8
	v_cndmask_b32_e32 v7, 0, v8, vcc_lo
	s_delay_alu instid0(VALU_DEP_1) | instskip(NEXT) | instid1(VALU_DEP_1)
	v_and_or_b32 v6, 0x80000000, v6, v7
	v_cvt_f16_f32_e32 v6, v6
.LBB265_464:
	s_mov_b32 s2, 0
.LBB265_465:
	s_delay_alu instid0(SALU_CYCLE_1)
	s_and_not1_b32 vcc_lo, exec_lo, s2
	s_cbranch_vccnz .LBB265_467
; %bb.466:
	global_load_u8 v6, v[1:2], off
	s_waitcnt vmcnt(0)
	v_lshlrev_b32_e32 v7, 25, v6
	v_lshlrev_b16 v6, 8, v6
	s_delay_alu instid0(VALU_DEP_2) | instskip(NEXT) | instid1(VALU_DEP_2)
	v_lshrrev_b32_e32 v8, 4, v7
	v_and_or_b32 v9, 0x7f00, v6, 0.5
	v_bfe_i32 v6, v6, 0, 16
	s_delay_alu instid0(VALU_DEP_3) | instskip(NEXT) | instid1(VALU_DEP_1)
	v_or_b32_e32 v8, 0x70000000, v8
	v_dual_add_f32 v9, -0.5, v9 :: v_dual_mul_f32 v8, 0x7800000, v8
	v_cmp_gt_u32_e32 vcc_lo, 0x8000000, v7
	s_delay_alu instid0(VALU_DEP_2) | instskip(NEXT) | instid1(VALU_DEP_1)
	v_cndmask_b32_e32 v7, v8, v9, vcc_lo
	v_and_or_b32 v6, 0x80000000, v6, v7
	s_delay_alu instid0(VALU_DEP_1)
	v_cvt_f16_f32_e32 v6, v6
.LBB265_467:
	s_mov_b32 s22, 0
	s_mov_b32 s2, -1
.LBB265_468:
	s_and_not1_b32 vcc_lo, exec_lo, s22
	s_cbranch_vccnz .LBB265_481
; %bb.469:
	v_cmp_lt_i16_e32 vcc_lo, 14, v4
	s_cbranch_vccz .LBB265_472
; %bb.470:
	v_cmp_eq_u16_e32 vcc_lo, 15, v4
	s_cbranch_vccz .LBB265_475
; %bb.471:
	global_load_u16 v6, v[1:2], off
	s_mov_b32 s2, -1
	s_mov_b32 s3, 0
	s_waitcnt vmcnt(0)
	v_lshlrev_b32_e32 v6, 16, v6
	s_delay_alu instid0(VALU_DEP_1)
	v_cvt_f16_f32_e32 v6, v6
	s_branch .LBB265_476
.LBB265_472:
	s_mov_b32 s22, -1
                                        ; implicit-def: $vgpr6
	s_branch .LBB265_477
.LBB265_473:
	s_or_saveexec_b32 s23, s23
	v_mov_b32_e32 v6, s22
	s_xor_b32 exec_lo, exec_lo, s23
	s_cbranch_execz .LBB265_454
.LBB265_474:
	v_cmp_ne_u16_e32 vcc_lo, 0, v7
	v_mov_b32_e32 v6, v7
	s_and_not1_b32 s2, s2, exec_lo
	s_and_b32 s22, vcc_lo, exec_lo
	s_delay_alu instid0(SALU_CYCLE_1)
	s_or_b32 s2, s2, s22
	s_or_b32 exec_lo, exec_lo, s23
	s_and_saveexec_b32 s22, s2
	s_cbranch_execnz .LBB265_455
	s_branch .LBB265_456
.LBB265_475:
	s_mov_b32 s3, -1
                                        ; implicit-def: $vgpr6
.LBB265_476:
	s_mov_b32 s22, 0
.LBB265_477:
	s_delay_alu instid0(SALU_CYCLE_1)
	s_and_b32 vcc_lo, exec_lo, s22
	s_cbranch_vccz .LBB265_481
; %bb.478:
	v_cmp_eq_u16_e32 vcc_lo, 11, v4
	s_cbranch_vccz .LBB265_480
; %bb.479:
	global_load_u8 v6, v[1:2], off
	s_mov_b32 s3, 0
	s_mov_b32 s2, -1
	s_waitcnt vmcnt(0)
	v_cmp_ne_u16_e32 vcc_lo, 0, v6
	v_cndmask_b32_e64 v6, 0, 0x3c00, vcc_lo
	s_branch .LBB265_481
.LBB265_480:
	s_mov_b32 s3, -1
                                        ; implicit-def: $vgpr6
.LBB265_481:
	s_branch .LBB265_286
.LBB265_482:
	v_cmp_gt_i16_e32 vcc_lo, 5, v4
	s_cbranch_vccnz .LBB265_487
; %bb.483:
	v_cmp_gt_i16_e32 vcc_lo, 8, v4
	s_cbranch_vccnz .LBB265_488
; %bb.484:
	;; [unrolled: 3-line block ×3, first 2 shown]
	v_cmp_lt_i16_e32 vcc_lo, 9, v4
	s_cbranch_vccz .LBB265_490
; %bb.486:
	global_load_b64 v[6:7], v[1:2], off
	s_mov_b32 s2, 0
	s_waitcnt vmcnt(0)
	v_cvt_f32_f64_e32 v6, v[6:7]
	s_delay_alu instid0(VALU_DEP_1)
	v_cvt_f16_f32_e32 v6, v6
	s_branch .LBB265_491
.LBB265_487:
	s_mov_b32 s2, -1
                                        ; implicit-def: $vgpr6
	s_branch .LBB265_509
.LBB265_488:
	s_mov_b32 s2, -1
                                        ; implicit-def: $vgpr6
	s_branch .LBB265_497
.LBB265_489:
	s_mov_b32 s2, -1
                                        ; implicit-def: $vgpr6
	s_branch .LBB265_494
.LBB265_490:
	s_mov_b32 s2, -1
                                        ; implicit-def: $vgpr6
.LBB265_491:
	s_delay_alu instid0(SALU_CYCLE_1)
	s_and_not1_b32 vcc_lo, exec_lo, s2
	s_cbranch_vccnz .LBB265_493
; %bb.492:
	global_load_b32 v6, v[1:2], off
	s_waitcnt vmcnt(0)
	v_cvt_f16_f32_e32 v6, v6
.LBB265_493:
	s_mov_b32 s2, 0
.LBB265_494:
	s_delay_alu instid0(SALU_CYCLE_1)
	s_and_not1_b32 vcc_lo, exec_lo, s2
	s_cbranch_vccnz .LBB265_496
; %bb.495:
	global_load_b32 v6, v[1:2], off
.LBB265_496:
	s_mov_b32 s2, 0
.LBB265_497:
	s_delay_alu instid0(SALU_CYCLE_1)
	s_and_not1_b32 vcc_lo, exec_lo, s2
	s_cbranch_vccnz .LBB265_508
; %bb.498:
	v_cmp_gt_i16_e32 vcc_lo, 6, v4
	s_cbranch_vccnz .LBB265_501
; %bb.499:
	v_cmp_lt_i16_e32 vcc_lo, 6, v4
	s_cbranch_vccz .LBB265_502
; %bb.500:
	global_load_b64 v[6:7], v[1:2], off
	s_mov_b32 s2, 0
	s_waitcnt vmcnt(0)
	v_cvt_f32_f64_e32 v6, v[6:7]
	s_delay_alu instid0(VALU_DEP_1)
	v_cvt_f16_f32_e32 v6, v6
	s_branch .LBB265_503
.LBB265_501:
	s_mov_b32 s2, -1
                                        ; implicit-def: $vgpr6
	s_branch .LBB265_506
.LBB265_502:
	s_mov_b32 s2, -1
                                        ; implicit-def: $vgpr6
.LBB265_503:
	s_delay_alu instid0(SALU_CYCLE_1)
	s_and_not1_b32 vcc_lo, exec_lo, s2
	s_cbranch_vccnz .LBB265_505
; %bb.504:
	global_load_b32 v6, v[1:2], off
	s_waitcnt vmcnt(0)
	v_cvt_f16_f32_e32 v6, v6
.LBB265_505:
	s_mov_b32 s2, 0
.LBB265_506:
	s_delay_alu instid0(SALU_CYCLE_1)
	s_and_not1_b32 vcc_lo, exec_lo, s2
	s_cbranch_vccnz .LBB265_508
; %bb.507:
	global_load_u16 v6, v[1:2], off
.LBB265_508:
	s_mov_b32 s2, 0
.LBB265_509:
	s_delay_alu instid0(SALU_CYCLE_1)
	s_and_not1_b32 vcc_lo, exec_lo, s2
	s_cbranch_vccnz .LBB265_529
; %bb.510:
	v_cmp_gt_i16_e32 vcc_lo, 2, v4
	s_cbranch_vccnz .LBB265_514
; %bb.511:
	v_cmp_gt_i16_e32 vcc_lo, 3, v4
	s_cbranch_vccnz .LBB265_515
; %bb.512:
	v_cmp_lt_i16_e32 vcc_lo, 3, v4
	s_cbranch_vccz .LBB265_516
; %bb.513:
	global_load_b64 v[6:7], v[1:2], off
	s_mov_b32 s2, 0
	s_waitcnt vmcnt(0)
	v_xor_b32_e32 v8, v6, v7
	v_cls_i32_e32 v9, v7
	s_delay_alu instid0(VALU_DEP_2) | instskip(NEXT) | instid1(VALU_DEP_2)
	v_ashrrev_i32_e32 v8, 31, v8
	v_add_nc_u32_e32 v9, -1, v9
	s_delay_alu instid0(VALU_DEP_2) | instskip(NEXT) | instid1(VALU_DEP_1)
	v_add_nc_u32_e32 v8, 32, v8
	v_min_u32_e32 v8, v9, v8
	s_delay_alu instid0(VALU_DEP_1) | instskip(NEXT) | instid1(VALU_DEP_1)
	v_lshlrev_b64 v[6:7], v8, v[6:7]
	v_min_u32_e32 v6, 1, v6
	s_delay_alu instid0(VALU_DEP_1) | instskip(SKIP_1) | instid1(VALU_DEP_2)
	v_or_b32_e32 v6, v7, v6
	v_sub_nc_u32_e32 v7, 32, v8
	v_cvt_f32_i32_e32 v6, v6
	s_delay_alu instid0(VALU_DEP_1) | instskip(NEXT) | instid1(VALU_DEP_1)
	v_ldexp_f32 v6, v6, v7
	v_cvt_f16_f32_e32 v6, v6
	s_branch .LBB265_517
.LBB265_514:
	s_mov_b32 s2, -1
                                        ; implicit-def: $vgpr6
	s_branch .LBB265_523
.LBB265_515:
	s_mov_b32 s2, -1
                                        ; implicit-def: $vgpr6
	s_branch .LBB265_520
.LBB265_516:
	s_mov_b32 s2, -1
                                        ; implicit-def: $vgpr6
.LBB265_517:
	s_delay_alu instid0(SALU_CYCLE_1)
	s_and_not1_b32 vcc_lo, exec_lo, s2
	s_cbranch_vccnz .LBB265_519
; %bb.518:
	global_load_b32 v6, v[1:2], off
	s_waitcnt vmcnt(0)
	v_cvt_f32_i32_e32 v6, v6
	s_delay_alu instid0(VALU_DEP_1)
	v_cvt_f16_f32_e32 v6, v6
.LBB265_519:
	s_mov_b32 s2, 0
.LBB265_520:
	s_delay_alu instid0(SALU_CYCLE_1)
	s_and_not1_b32 vcc_lo, exec_lo, s2
	s_cbranch_vccnz .LBB265_522
; %bb.521:
	global_load_u16 v6, v[1:2], off
	s_waitcnt vmcnt(0)
	v_cvt_f16_i16_e32 v6, v6
.LBB265_522:
	s_mov_b32 s2, 0
.LBB265_523:
	s_delay_alu instid0(SALU_CYCLE_1)
	s_and_not1_b32 vcc_lo, exec_lo, s2
	s_cbranch_vccnz .LBB265_529
; %bb.524:
	v_cmp_lt_i16_e32 vcc_lo, 0, v4
	s_mov_b32 s2, 0
	s_cbranch_vccz .LBB265_526
; %bb.525:
	global_load_i8 v6, v[1:2], off
	s_waitcnt vmcnt(0)
	v_cvt_f16_i16_e32 v6, v6
	s_branch .LBB265_527
.LBB265_526:
	s_mov_b32 s2, -1
                                        ; implicit-def: $vgpr6
.LBB265_527:
	s_delay_alu instid0(SALU_CYCLE_1)
	s_and_not1_b32 vcc_lo, exec_lo, s2
	s_cbranch_vccnz .LBB265_529
; %bb.528:
	global_load_u8 v1, v[1:2], off
	s_waitcnt vmcnt(0)
	v_cvt_f16_u16_e32 v6, v1
.LBB265_529:
	s_branch .LBB265_287
.LBB265_530:
	s_mov_b32 s22, 0
	s_mov_b32 s2, s34
.LBB265_531:
                                        ; implicit-def: $vgpr5
.LBB265_532:
	s_and_not1_b32 s23, s34, exec_lo
	s_and_b32 s2, s2, exec_lo
	s_and_not1_b32 s37, s35, exec_lo
	s_and_b32 s3, s3, exec_lo
	s_or_b32 s38, s23, s2
	s_or_b32 s37, s37, s3
	s_or_not1_b32 s2, s22, exec_lo
.LBB265_533:
	s_or_b32 exec_lo, exec_lo, s39
	s_mov_b32 s3, 0
	s_mov_b32 s23, 0
	;; [unrolled: 1-line block ×3, first 2 shown]
                                        ; implicit-def: $vgpr1_vgpr2
                                        ; implicit-def: $vgpr0
                                        ; implicit-def: $vgpr6
	s_and_saveexec_b32 s39, s2
	s_cbranch_execz .LBB265_905
; %bb.534:
	s_mov_b32 s42, -1
	s_mov_b32 s22, s37
	s_mov_b32 s23, s38
	s_mov_b32 s40, exec_lo
	v_cmpx_gt_i32_e64 s30, v5
	s_cbranch_execz .LBB265_806
; %bb.535:
	s_and_not1_b32 vcc_lo, exec_lo, s27
	s_cbranch_vccnz .LBB265_540
; %bb.536:
	v_dual_mov_b32 v0, 0 :: v_dual_mov_b32 v1, 0
	s_and_not1_b32 vcc_lo, exec_lo, s33
	s_mov_b32 s41, 0
	s_cbranch_vccnz .LBB265_545
; %bb.537:
	v_mov_b32_e32 v0, 0
	s_add_i32 s43, s31, 1
	s_cmp_eq_u32 s25, 2
	s_mov_b32 s42, 0
	s_cbranch_scc1 .LBB265_541
; %bb.538:
	v_dual_mov_b32 v1, 0 :: v_dual_mov_b32 v0, 0
	v_mov_b32_e32 v2, v5
	s_and_b32 s42, s43, 28
	s_mov_b32 s44, 0
	s_mov_b64 s[2:3], s[20:21]
	s_mov_b64 s[22:23], s[16:17]
.LBB265_539:                            ; =>This Inner Loop Header: Depth=1
	s_clause 0x1
	s_load_b256 s[48:55], s[22:23], 0x4
	s_load_b128 s[64:67], s[22:23], 0x24
	s_load_b256 s[56:63], s[2:3], 0x0
	s_add_u32 s22, s22, 48
	s_addc_u32 s23, s23, 0
	s_add_i32 s44, s44, 4
	s_add_u32 s2, s2, 32
	s_addc_u32 s3, s3, 0
	s_cmp_eq_u32 s42, s44
	s_waitcnt vmcnt(0) lgkmcnt(0)
	v_mul_hi_u32 v6, s49, v2
	s_delay_alu instid0(VALU_DEP_1) | instskip(NEXT) | instid1(VALU_DEP_1)
	v_add_nc_u32_e32 v6, v2, v6
	v_lshrrev_b32_e32 v6, s50, v6
	s_delay_alu instid0(VALU_DEP_1) | instskip(SKIP_1) | instid1(VALU_DEP_2)
	v_mul_hi_u32 v7, s52, v6
	v_mul_lo_u32 v9, v6, s48
	v_add_nc_u32_e32 v7, v6, v7
	s_delay_alu instid0(VALU_DEP_2) | instskip(NEXT) | instid1(VALU_DEP_2)
	v_sub_nc_u32_e32 v2, v2, v9
	v_lshrrev_b32_e32 v7, s53, v7
	s_delay_alu instid0(VALU_DEP_2) | instskip(SKIP_1) | instid1(VALU_DEP_3)
	v_mul_lo_u32 v9, v2, s56
	v_mul_lo_u32 v11, v2, s57
	v_mul_hi_u32 v8, s55, v7
	s_delay_alu instid0(VALU_DEP_1) | instskip(NEXT) | instid1(VALU_DEP_1)
	v_add_nc_u32_e32 v8, v7, v8
	v_lshrrev_b32_e32 v8, s64, v8
	s_delay_alu instid0(VALU_DEP_1) | instskip(SKIP_1) | instid1(VALU_DEP_2)
	v_mul_hi_u32 v10, s66, v8
	v_mul_lo_u32 v12, v8, s54
	v_add_nc_u32_e32 v2, v8, v10
	v_mul_lo_u32 v10, v7, s51
	s_delay_alu instid0(VALU_DEP_3) | instskip(NEXT) | instid1(VALU_DEP_3)
	v_sub_nc_u32_e32 v7, v7, v12
	v_lshrrev_b32_e32 v2, s67, v2
	s_delay_alu instid0(VALU_DEP_2) | instskip(SKIP_2) | instid1(VALU_DEP_4)
	v_mul_lo_u32 v12, v7, s60
	v_mul_lo_u32 v7, v7, s61
	v_sub_nc_u32_e32 v6, v6, v10
	v_mul_lo_u32 v13, v2, s65
	s_delay_alu instid0(VALU_DEP_2) | instskip(SKIP_1) | instid1(VALU_DEP_3)
	v_mul_lo_u32 v10, v6, s58
	v_mul_lo_u32 v6, v6, s59
	v_sub_nc_u32_e32 v8, v8, v13
	s_delay_alu instid0(VALU_DEP_3) | instskip(NEXT) | instid1(VALU_DEP_2)
	v_add3_u32 v0, v9, v0, v10
	v_mul_lo_u32 v13, v8, s62
	v_mul_lo_u32 v8, v8, s63
	v_add3_u32 v1, v11, v1, v6
	s_delay_alu instid0(VALU_DEP_3) | instskip(NEXT) | instid1(VALU_DEP_2)
	v_add3_u32 v0, v12, v0, v13
	v_add3_u32 v1, v7, v1, v8
	s_cbranch_scc0 .LBB265_539
	s_branch .LBB265_542
.LBB265_540:
	s_mov_b32 s41, -1
                                        ; implicit-def: $vgpr0
                                        ; implicit-def: $vgpr1
	s_branch .LBB265_545
.LBB265_541:
	v_dual_mov_b32 v2, v5 :: v_dual_mov_b32 v1, 0
.LBB265_542:
	s_and_b32 s43, s43, 3
	s_delay_alu instid0(SALU_CYCLE_1)
	s_cmp_eq_u32 s43, 0
	s_cbranch_scc1 .LBB265_545
; %bb.543:
	s_lshl_b32 s2, s42, 3
	s_mul_i32 s22, s42, 12
	s_add_u32 s2, s2, s16
	s_addc_u32 s3, s17, 0
	s_add_u32 s2, s2, 0xc4
	s_addc_u32 s3, s3, 0
	;; [unrolled: 2-line block ×3, first 2 shown]
	.p2align	6
.LBB265_544:                            ; =>This Inner Loop Header: Depth=1
	s_clause 0x1
	s_load_b64 s[44:45], s[22:23], 0x4
	s_load_b32 s42, s[22:23], 0xc
	s_load_b64 s[46:47], s[2:3], 0x0
	s_add_u32 s22, s22, 12
	s_addc_u32 s23, s23, 0
	s_add_u32 s2, s2, 8
	s_addc_u32 s3, s3, 0
	s_add_i32 s43, s43, -1
	s_delay_alu instid0(SALU_CYCLE_1) | instskip(SKIP_2) | instid1(VALU_DEP_1)
	s_cmp_lg_u32 s43, 0
	s_waitcnt vmcnt(0) lgkmcnt(0)
	v_mul_hi_u32 v6, s45, v2
	v_add_nc_u32_e32 v6, v2, v6
	s_delay_alu instid0(VALU_DEP_1) | instskip(NEXT) | instid1(VALU_DEP_1)
	v_lshrrev_b32_e32 v9, s42, v6
	v_mul_lo_u32 v6, v9, s44
	s_delay_alu instid0(VALU_DEP_1) | instskip(NEXT) | instid1(VALU_DEP_1)
	v_sub_nc_u32_e32 v2, v2, v6
	v_mad_u64_u32 v[6:7], null, v2, s46, v[0:1]
	v_mad_u64_u32 v[7:8], null, v2, s47, v[1:2]
	v_mov_b32_e32 v2, v9
	s_delay_alu instid0(VALU_DEP_2)
	v_dual_mov_b32 v0, v6 :: v_dual_mov_b32 v1, v7
	s_cbranch_scc1 .LBB265_544
.LBB265_545:
	s_and_not1_b32 vcc_lo, exec_lo, s41
	s_cbranch_vccnz .LBB265_548
; %bb.546:
	s_waitcnt lgkmcnt(0)
	v_mul_hi_u32 v0, s13, v5
	s_and_not1_b32 vcc_lo, exec_lo, s29
	s_delay_alu instid0(VALU_DEP_1) | instskip(NEXT) | instid1(VALU_DEP_1)
	v_add_nc_u32_e32 v0, v5, v0
	v_lshrrev_b32_e32 v2, s14, v0
	s_delay_alu instid0(VALU_DEP_1) | instskip(NEXT) | instid1(VALU_DEP_1)
	v_mul_lo_u32 v0, v2, s12
	v_sub_nc_u32_e32 v1, v5, v0
	s_delay_alu instid0(VALU_DEP_1)
	v_mul_lo_u32 v0, v1, s8
	v_mul_lo_u32 v1, v1, s9
	s_cbranch_vccnz .LBB265_548
; %bb.547:
	s_waitcnt vmcnt(0)
	v_mul_hi_u32 v6, s18, v2
	s_delay_alu instid0(VALU_DEP_1) | instskip(NEXT) | instid1(VALU_DEP_1)
	v_add_nc_u32_e32 v6, v2, v6
	v_lshrrev_b32_e32 v6, s19, v6
	s_delay_alu instid0(VALU_DEP_1) | instskip(NEXT) | instid1(VALU_DEP_1)
	v_mul_lo_u32 v6, v6, s15
	v_sub_nc_u32_e32 v2, v2, v6
	s_delay_alu instid0(VALU_DEP_1) | instskip(SKIP_1) | instid1(VALU_DEP_1)
	v_mad_u64_u32 v[6:7], null, v2, s10, v[0:1]
	v_mad_u64_u32 v[7:8], null, v2, s11, v[1:2]
	v_dual_mov_b32 v0, v6 :: v_dual_mov_b32 v1, v7
.LBB265_548:
	v_cmp_gt_i16_e32 vcc_lo, 11, v4
	s_waitcnt lgkmcnt(0)
	s_delay_alu instid0(VALU_DEP_2) | instskip(NEXT) | instid1(VALU_DEP_1)
	v_add_co_u32 v1, s2, s6, v1
	v_add_co_ci_u32_e64 v2, null, s7, 0, s2
	s_mov_b32 s2, 0
	s_cbranch_vccnz .LBB265_555
; %bb.549:
	v_cmp_lt_i16_e32 vcc_lo, 25, v4
	s_cbranch_vccz .LBB265_556
; %bb.550:
	v_cmp_lt_i16_e32 vcc_lo, 28, v4
	s_cbranch_vccz .LBB265_557
	;; [unrolled: 3-line block ×4, first 2 shown]
; %bb.553:
	v_cmp_eq_u16_e32 vcc_lo, 46, v4
	s_mov_b32 s22, 0
	s_cbranch_vccz .LBB265_564
; %bb.554:
	global_load_b32 v6, v[1:2], off
	s_mov_b32 s2, -1
	s_mov_b32 s3, 0
	s_waitcnt vmcnt(0)
	v_lshlrev_b32_e32 v6, 16, v6
	s_delay_alu instid0(VALU_DEP_1)
	v_cvt_f16_f32_e32 v6, v6
	s_branch .LBB265_566
.LBB265_555:
	s_mov_b32 s22, -1
	s_mov_b32 s3, s37
                                        ; implicit-def: $vgpr6
	s_branch .LBB265_631
.LBB265_556:
	s_mov_b32 s22, -1
	s_mov_b32 s3, s37
                                        ; implicit-def: $vgpr6
	s_branch .LBB265_595
.LBB265_557:
	s_mov_b32 s22, -1
	s_mov_b32 s3, s37
                                        ; implicit-def: $vgpr6
	s_branch .LBB265_576
.LBB265_558:
	s_mov_b32 s22, -1
	s_mov_b32 s3, s37
                                        ; implicit-def: $vgpr6
	s_branch .LBB265_571
.LBB265_559:
	s_or_saveexec_b32 s37, s37
                                        ; implicit-def: $sgpr38
	s_delay_alu instid0(SALU_CYCLE_1)
	s_xor_b32 exec_lo, exec_lo, s37
	s_cbranch_execz .LBB265_370
.LBB265_560:
	v_add_f32_e64 v8, 0x46000000, |v7|
	s_and_not1_b32 s23, s23, exec_lo
	s_mov_b32 s38, 0
	s_delay_alu instid0(VALU_DEP_1) | instskip(NEXT) | instid1(VALU_DEP_1)
	v_and_b32_e32 v8, 0xff, v8
	v_cmp_ne_u32_e32 vcc_lo, 0, v8
	s_and_b32 s40, vcc_lo, exec_lo
	s_delay_alu instid0(SALU_CYCLE_1)
	s_or_b32 s23, s23, s40
	s_or_b32 exec_lo, exec_lo, s37
	v_mov_b32_e32 v9, s38
	s_and_saveexec_b32 s37, s23
	s_cbranch_execnz .LBB265_371
	s_branch .LBB265_372
.LBB265_561:
	s_mov_b32 s22, -1
	s_mov_b32 s3, s37
	s_branch .LBB265_565
.LBB265_562:
	s_or_saveexec_b32 s37, s37
                                        ; implicit-def: $sgpr38
	s_delay_alu instid0(SALU_CYCLE_1)
	s_xor_b32 exec_lo, exec_lo, s37
	s_cbranch_execz .LBB265_383
.LBB265_563:
	v_add_f32_e64 v8, 0x42800000, |v7|
	s_and_not1_b32 s23, s23, exec_lo
	s_mov_b32 s38, 0
	s_delay_alu instid0(VALU_DEP_1) | instskip(NEXT) | instid1(VALU_DEP_1)
	v_and_b32_e32 v8, 0xff, v8
	v_cmp_ne_u32_e32 vcc_lo, 0, v8
	s_and_b32 s40, vcc_lo, exec_lo
	s_delay_alu instid0(SALU_CYCLE_1)
	s_or_b32 s23, s23, s40
	s_or_b32 exec_lo, exec_lo, s37
	v_mov_b32_e32 v9, s38
	s_and_saveexec_b32 s37, s23
	s_cbranch_execnz .LBB265_384
	s_branch .LBB265_385
.LBB265_564:
	s_mov_b32 s3, -1
.LBB265_565:
                                        ; implicit-def: $vgpr6
.LBB265_566:
	s_and_b32 vcc_lo, exec_lo, s22
	s_cbranch_vccz .LBB265_570
; %bb.567:
	v_cmp_eq_u16_e32 vcc_lo, 44, v4
	s_cbranch_vccz .LBB265_569
; %bb.568:
	global_load_u8 v6, v[1:2], off
	s_mov_b32 s3, 0
	s_mov_b32 s2, -1
	s_waitcnt vmcnt(0)
	v_lshlrev_b32_e32 v7, 23, v6
	v_cmp_ne_u32_e32 vcc_lo, 0xff, v6
	s_delay_alu instid0(VALU_DEP_2) | instskip(NEXT) | instid1(VALU_DEP_1)
	v_cvt_f16_f32_e32 v7, v7
	v_cndmask_b32_e32 v7, 0x7e00, v7, vcc_lo
	v_cmp_ne_u32_e32 vcc_lo, 0, v6
	s_delay_alu instid0(VALU_DEP_2)
	v_cndmask_b32_e32 v6, 0, v7, vcc_lo
	s_branch .LBB265_570
.LBB265_569:
	s_mov_b32 s3, -1
                                        ; implicit-def: $vgpr6
.LBB265_570:
	s_mov_b32 s22, 0
.LBB265_571:
	s_delay_alu instid0(SALU_CYCLE_1)
	s_and_b32 vcc_lo, exec_lo, s22
	s_cbranch_vccz .LBB265_575
; %bb.572:
	v_cmp_eq_u16_e32 vcc_lo, 29, v4
	s_cbranch_vccz .LBB265_574
; %bb.573:
	global_load_b64 v[6:7], v[1:2], off
	s_mov_b32 s2, -1
	s_mov_b32 s3, 0
	s_mov_b32 s22, 0
	s_waitcnt vmcnt(0)
	v_clz_i32_u32_e32 v8, v7
	s_delay_alu instid0(VALU_DEP_1) | instskip(NEXT) | instid1(VALU_DEP_1)
	v_min_u32_e32 v8, 32, v8
	v_lshlrev_b64 v[6:7], v8, v[6:7]
	s_delay_alu instid0(VALU_DEP_1) | instskip(NEXT) | instid1(VALU_DEP_1)
	v_min_u32_e32 v6, 1, v6
	v_or_b32_e32 v6, v7, v6
	v_sub_nc_u32_e32 v7, 32, v8
	s_delay_alu instid0(VALU_DEP_2) | instskip(NEXT) | instid1(VALU_DEP_1)
	v_cvt_f32_u32_e32 v6, v6
	v_ldexp_f32 v6, v6, v7
	s_delay_alu instid0(VALU_DEP_1)
	v_cvt_f16_f32_e32 v6, v6
	s_branch .LBB265_576
.LBB265_574:
	s_mov_b32 s3, -1
                                        ; implicit-def: $vgpr6
.LBB265_575:
	s_mov_b32 s22, 0
.LBB265_576:
	s_delay_alu instid0(SALU_CYCLE_1)
	s_and_b32 vcc_lo, exec_lo, s22
	s_cbranch_vccz .LBB265_594
; %bb.577:
	v_cmp_gt_i16_e32 vcc_lo, 27, v4
	s_cbranch_vccnz .LBB265_580
; %bb.578:
	v_cmp_lt_i16_e32 vcc_lo, 27, v4
	s_cbranch_vccz .LBB265_581
; %bb.579:
	global_load_b32 v6, v[1:2], off
	s_mov_b32 s2, 0
	s_waitcnt vmcnt(0)
	v_cvt_f32_u32_e32 v6, v6
	s_delay_alu instid0(VALU_DEP_1)
	v_cvt_f16_f32_e32 v6, v6
	s_branch .LBB265_582
.LBB265_580:
	s_mov_b32 s2, -1
                                        ; implicit-def: $vgpr6
	s_branch .LBB265_585
.LBB265_581:
	s_mov_b32 s2, -1
                                        ; implicit-def: $vgpr6
.LBB265_582:
	s_delay_alu instid0(SALU_CYCLE_1)
	s_and_not1_b32 vcc_lo, exec_lo, s2
	s_cbranch_vccnz .LBB265_584
; %bb.583:
	global_load_u16 v6, v[1:2], off
	s_waitcnt vmcnt(0)
	v_cvt_f16_u16_e32 v6, v6
.LBB265_584:
	s_mov_b32 s2, 0
.LBB265_585:
	s_delay_alu instid0(SALU_CYCLE_1)
	s_and_not1_b32 vcc_lo, exec_lo, s2
	s_cbranch_vccnz .LBB265_593
; %bb.586:
	global_load_u8 v7, v[1:2], off
	s_mov_b32 s2, 0
	s_mov_b32 s23, exec_lo
                                        ; implicit-def: $sgpr22
	s_waitcnt vmcnt(0)
	v_cmpx_lt_i16_e32 0x7f, v7
	s_xor_b32 s23, exec_lo, s23
	s_cbranch_execz .LBB265_607
; %bb.587:
	s_mov_b32 s2, -1
	s_mov_b32 s41, exec_lo
                                        ; implicit-def: $sgpr22
	v_cmpx_eq_u16_e32 0x80, v7
; %bb.588:
	s_movk_i32 s22, 0x7e00
	s_xor_b32 s2, exec_lo, -1
; %bb.589:
	s_or_b32 exec_lo, exec_lo, s41
	s_delay_alu instid0(SALU_CYCLE_1)
	s_and_b32 s2, s2, exec_lo
	s_or_saveexec_b32 s23, s23
	v_mov_b32_e32 v6, s22
	s_xor_b32 exec_lo, exec_lo, s23
	s_cbranch_execnz .LBB265_608
.LBB265_590:
	s_or_b32 exec_lo, exec_lo, s23
	s_and_saveexec_b32 s22, s2
	s_cbranch_execz .LBB265_592
.LBB265_591:
	v_and_b32_e32 v6, 0xffff, v7
	s_delay_alu instid0(VALU_DEP_1) | instskip(NEXT) | instid1(VALU_DEP_1)
	v_and_b32_e32 v8, 7, v6
	v_clz_i32_u32_e32 v9, v8
	s_delay_alu instid0(VALU_DEP_1) | instskip(NEXT) | instid1(VALU_DEP_1)
	v_min_u32_e32 v9, 32, v9
	v_subrev_nc_u32_e32 v10, 28, v9
	v_sub_nc_u32_e32 v9, 29, v9
	s_delay_alu instid0(VALU_DEP_2) | instskip(SKIP_1) | instid1(VALU_DEP_2)
	v_lshlrev_b32_e32 v10, v10, v6
	v_bfe_u32 v6, v6, 3, 4
	v_and_b32_e32 v10, 7, v10
	s_delay_alu instid0(VALU_DEP_2) | instskip(SKIP_1) | instid1(VALU_DEP_1)
	v_cmp_eq_u32_e32 vcc_lo, 0, v6
	v_dual_cndmask_b32 v6, v6, v9 :: v_dual_lshlrev_b32 v7, 24, v7
	v_dual_cndmask_b32 v8, v8, v10 :: v_dual_and_b32 v7, 0x80000000, v7
	s_delay_alu instid0(VALU_DEP_2) | instskip(NEXT) | instid1(VALU_DEP_2)
	v_lshl_add_u32 v6, v6, 23, 0x3b800000
	v_lshlrev_b32_e32 v8, 20, v8
	s_delay_alu instid0(VALU_DEP_1) | instskip(NEXT) | instid1(VALU_DEP_1)
	v_or3_b32 v6, v7, v6, v8
	v_cvt_f16_f32_e32 v6, v6
.LBB265_592:
	s_or_b32 exec_lo, exec_lo, s22
.LBB265_593:
	s_mov_b32 s2, -1
.LBB265_594:
	s_mov_b32 s22, 0
.LBB265_595:
	s_delay_alu instid0(SALU_CYCLE_1)
	s_and_b32 vcc_lo, exec_lo, s22
	s_cbranch_vccz .LBB265_630
; %bb.596:
	v_cmp_lt_i16_e32 vcc_lo, 22, v4
	s_cbranch_vccz .LBB265_606
; %bb.597:
	v_cmp_gt_i16_e32 vcc_lo, 24, v4
	s_cbranch_vccnz .LBB265_609
; %bb.598:
	v_cmp_lt_i16_e32 vcc_lo, 24, v4
	s_cbranch_vccz .LBB265_610
; %bb.599:
	global_load_u8 v7, v[1:2], off
	s_mov_b32 s2, 0
	s_mov_b32 s23, exec_lo
                                        ; implicit-def: $sgpr22
	s_waitcnt vmcnt(0)
	v_cmpx_lt_i16_e32 0x7f, v7
	s_xor_b32 s23, exec_lo, s23
	s_cbranch_execz .LBB265_622
; %bb.600:
	s_mov_b32 s2, -1
	s_mov_b32 s41, exec_lo
                                        ; implicit-def: $sgpr22
	v_cmpx_eq_u16_e32 0x80, v7
; %bb.601:
	s_movk_i32 s22, 0x7e00
	s_xor_b32 s2, exec_lo, -1
; %bb.602:
	s_or_b32 exec_lo, exec_lo, s41
	s_delay_alu instid0(SALU_CYCLE_1)
	s_and_b32 s2, s2, exec_lo
	s_or_saveexec_b32 s23, s23
	v_mov_b32_e32 v6, s22
	s_xor_b32 exec_lo, exec_lo, s23
	s_cbranch_execnz .LBB265_623
.LBB265_603:
	s_or_b32 exec_lo, exec_lo, s23
	s_and_saveexec_b32 s22, s2
	s_cbranch_execz .LBB265_605
.LBB265_604:
	v_and_b32_e32 v6, 0xffff, v7
	s_delay_alu instid0(VALU_DEP_1) | instskip(NEXT) | instid1(VALU_DEP_1)
	v_and_b32_e32 v8, 3, v6
	v_clz_i32_u32_e32 v9, v8
	s_delay_alu instid0(VALU_DEP_1) | instskip(NEXT) | instid1(VALU_DEP_1)
	v_min_u32_e32 v9, 32, v9
	v_subrev_nc_u32_e32 v10, 29, v9
	v_sub_nc_u32_e32 v9, 30, v9
	s_delay_alu instid0(VALU_DEP_2) | instskip(SKIP_1) | instid1(VALU_DEP_2)
	v_lshlrev_b32_e32 v10, v10, v6
	v_bfe_u32 v6, v6, 2, 5
	v_and_b32_e32 v10, 3, v10
	s_delay_alu instid0(VALU_DEP_2) | instskip(SKIP_1) | instid1(VALU_DEP_1)
	v_cmp_eq_u32_e32 vcc_lo, 0, v6
	v_dual_cndmask_b32 v6, v6, v9 :: v_dual_lshlrev_b32 v7, 24, v7
	v_dual_cndmask_b32 v8, v8, v10 :: v_dual_and_b32 v7, 0x80000000, v7
	s_delay_alu instid0(VALU_DEP_2) | instskip(NEXT) | instid1(VALU_DEP_2)
	v_lshl_add_u32 v6, v6, 23, 0x37800000
	v_lshlrev_b32_e32 v8, 21, v8
	s_delay_alu instid0(VALU_DEP_1) | instskip(NEXT) | instid1(VALU_DEP_1)
	v_or3_b32 v6, v7, v6, v8
	v_cvt_f16_f32_e32 v6, v6
.LBB265_605:
	s_or_b32 exec_lo, exec_lo, s22
	s_mov_b32 s2, 0
	s_branch .LBB265_611
.LBB265_606:
	s_mov_b32 s22, -1
                                        ; implicit-def: $vgpr6
	s_branch .LBB265_617
.LBB265_607:
	s_or_saveexec_b32 s23, s23
	v_mov_b32_e32 v6, s22
	s_xor_b32 exec_lo, exec_lo, s23
	s_cbranch_execz .LBB265_590
.LBB265_608:
	v_cmp_ne_u16_e32 vcc_lo, 0, v7
	v_mov_b32_e32 v6, v7
	s_and_not1_b32 s2, s2, exec_lo
	s_and_b32 s22, vcc_lo, exec_lo
	s_delay_alu instid0(SALU_CYCLE_1)
	s_or_b32 s2, s2, s22
	s_or_b32 exec_lo, exec_lo, s23
	s_and_saveexec_b32 s22, s2
	s_cbranch_execnz .LBB265_591
	s_branch .LBB265_592
.LBB265_609:
	s_mov_b32 s2, -1
                                        ; implicit-def: $vgpr6
	s_branch .LBB265_614
.LBB265_610:
	s_mov_b32 s2, -1
                                        ; implicit-def: $vgpr6
.LBB265_611:
	s_delay_alu instid0(SALU_CYCLE_1)
	s_and_b32 vcc_lo, exec_lo, s2
	s_cbranch_vccz .LBB265_613
; %bb.612:
	global_load_u8 v6, v[1:2], off
	s_waitcnt vmcnt(0)
	v_lshlrev_b32_e32 v6, 24, v6
	s_delay_alu instid0(VALU_DEP_1) | instskip(NEXT) | instid1(VALU_DEP_1)
	v_and_b32_e32 v7, 0x7f000000, v6
	v_clz_i32_u32_e32 v8, v7
	v_add_nc_u32_e32 v10, 0x1000000, v7
	v_cmp_ne_u32_e32 vcc_lo, 0, v7
	s_delay_alu instid0(VALU_DEP_3) | instskip(NEXT) | instid1(VALU_DEP_1)
	v_min_u32_e32 v8, 32, v8
	v_sub_nc_u32_e64 v8, v8, 4 clamp
	s_delay_alu instid0(VALU_DEP_1) | instskip(SKIP_1) | instid1(VALU_DEP_2)
	v_lshlrev_b32_e32 v9, v8, v7
	v_lshlrev_b32_e32 v8, 23, v8
	v_lshrrev_b32_e32 v9, 4, v9
	s_delay_alu instid0(VALU_DEP_1) | instskip(SKIP_1) | instid1(VALU_DEP_2)
	v_sub_nc_u32_e32 v8, v9, v8
	v_ashrrev_i32_e32 v9, 8, v10
	v_add_nc_u32_e32 v8, 0x3c000000, v8
	s_delay_alu instid0(VALU_DEP_1) | instskip(NEXT) | instid1(VALU_DEP_1)
	v_and_or_b32 v8, 0x7f800000, v9, v8
	v_cndmask_b32_e32 v7, 0, v8, vcc_lo
	s_delay_alu instid0(VALU_DEP_1) | instskip(NEXT) | instid1(VALU_DEP_1)
	v_and_or_b32 v6, 0x80000000, v6, v7
	v_cvt_f16_f32_e32 v6, v6
.LBB265_613:
	s_mov_b32 s2, 0
.LBB265_614:
	s_delay_alu instid0(SALU_CYCLE_1)
	s_and_not1_b32 vcc_lo, exec_lo, s2
	s_cbranch_vccnz .LBB265_616
; %bb.615:
	global_load_u8 v6, v[1:2], off
	s_waitcnt vmcnt(0)
	v_lshlrev_b32_e32 v7, 25, v6
	v_lshlrev_b16 v6, 8, v6
	s_delay_alu instid0(VALU_DEP_2) | instskip(NEXT) | instid1(VALU_DEP_2)
	v_lshrrev_b32_e32 v8, 4, v7
	v_and_or_b32 v9, 0x7f00, v6, 0.5
	v_bfe_i32 v6, v6, 0, 16
	s_delay_alu instid0(VALU_DEP_3) | instskip(NEXT) | instid1(VALU_DEP_1)
	v_or_b32_e32 v8, 0x70000000, v8
	v_dual_add_f32 v9, -0.5, v9 :: v_dual_mul_f32 v8, 0x7800000, v8
	v_cmp_gt_u32_e32 vcc_lo, 0x8000000, v7
	s_delay_alu instid0(VALU_DEP_2) | instskip(NEXT) | instid1(VALU_DEP_1)
	v_cndmask_b32_e32 v7, v8, v9, vcc_lo
	v_and_or_b32 v6, 0x80000000, v6, v7
	s_delay_alu instid0(VALU_DEP_1)
	v_cvt_f16_f32_e32 v6, v6
.LBB265_616:
	s_mov_b32 s22, 0
	s_mov_b32 s2, -1
.LBB265_617:
	s_and_not1_b32 vcc_lo, exec_lo, s22
	s_cbranch_vccnz .LBB265_630
; %bb.618:
	v_cmp_lt_i16_e32 vcc_lo, 14, v4
	s_cbranch_vccz .LBB265_621
; %bb.619:
	v_cmp_eq_u16_e32 vcc_lo, 15, v4
	s_cbranch_vccz .LBB265_624
; %bb.620:
	global_load_u16 v6, v[1:2], off
	s_mov_b32 s2, -1
	s_mov_b32 s3, 0
	s_waitcnt vmcnt(0)
	v_lshlrev_b32_e32 v6, 16, v6
	s_delay_alu instid0(VALU_DEP_1)
	v_cvt_f16_f32_e32 v6, v6
	s_branch .LBB265_625
.LBB265_621:
	s_mov_b32 s22, -1
                                        ; implicit-def: $vgpr6
	s_branch .LBB265_626
.LBB265_622:
	s_or_saveexec_b32 s23, s23
	v_mov_b32_e32 v6, s22
	s_xor_b32 exec_lo, exec_lo, s23
	s_cbranch_execz .LBB265_603
.LBB265_623:
	v_cmp_ne_u16_e32 vcc_lo, 0, v7
	v_mov_b32_e32 v6, v7
	s_and_not1_b32 s2, s2, exec_lo
	s_and_b32 s22, vcc_lo, exec_lo
	s_delay_alu instid0(SALU_CYCLE_1)
	s_or_b32 s2, s2, s22
	s_or_b32 exec_lo, exec_lo, s23
	s_and_saveexec_b32 s22, s2
	s_cbranch_execnz .LBB265_604
	s_branch .LBB265_605
.LBB265_624:
	s_mov_b32 s3, -1
                                        ; implicit-def: $vgpr6
.LBB265_625:
	s_mov_b32 s22, 0
.LBB265_626:
	s_delay_alu instid0(SALU_CYCLE_1)
	s_and_b32 vcc_lo, exec_lo, s22
	s_cbranch_vccz .LBB265_630
; %bb.627:
	v_cmp_eq_u16_e32 vcc_lo, 11, v4
	s_cbranch_vccz .LBB265_629
; %bb.628:
	global_load_u8 v6, v[1:2], off
	s_mov_b32 s3, 0
	s_mov_b32 s2, -1
	s_waitcnt vmcnt(0)
	v_cmp_ne_u16_e32 vcc_lo, 0, v6
	v_cndmask_b32_e64 v6, 0, 0x3c00, vcc_lo
	s_branch .LBB265_630
.LBB265_629:
	s_mov_b32 s3, -1
                                        ; implicit-def: $vgpr6
.LBB265_630:
	s_mov_b32 s22, 0
.LBB265_631:
	s_delay_alu instid0(SALU_CYCLE_1)
	s_and_b32 vcc_lo, exec_lo, s22
	s_cbranch_vccz .LBB265_680
; %bb.632:
	v_cmp_gt_i16_e32 vcc_lo, 5, v4
	s_cbranch_vccnz .LBB265_637
; %bb.633:
	v_cmp_gt_i16_e32 vcc_lo, 8, v4
	s_cbranch_vccnz .LBB265_638
; %bb.634:
	v_cmp_gt_i16_e32 vcc_lo, 9, v4
	s_cbranch_vccnz .LBB265_639
; %bb.635:
	v_cmp_lt_i16_e32 vcc_lo, 9, v4
	s_cbranch_vccz .LBB265_640
; %bb.636:
	global_load_b64 v[6:7], v[1:2], off
	s_mov_b32 s2, 0
	s_waitcnt vmcnt(0)
	v_cvt_f32_f64_e32 v6, v[6:7]
	s_delay_alu instid0(VALU_DEP_1)
	v_cvt_f16_f32_e32 v6, v6
	s_branch .LBB265_641
.LBB265_637:
	s_mov_b32 s2, -1
                                        ; implicit-def: $vgpr6
	s_branch .LBB265_659
.LBB265_638:
	s_mov_b32 s2, -1
                                        ; implicit-def: $vgpr6
	s_branch .LBB265_647
.LBB265_639:
	s_mov_b32 s2, -1
                                        ; implicit-def: $vgpr6
	s_branch .LBB265_644
.LBB265_640:
	s_mov_b32 s2, -1
                                        ; implicit-def: $vgpr6
.LBB265_641:
	s_delay_alu instid0(SALU_CYCLE_1)
	s_and_not1_b32 vcc_lo, exec_lo, s2
	s_cbranch_vccnz .LBB265_643
; %bb.642:
	global_load_b32 v6, v[1:2], off
	s_waitcnt vmcnt(0)
	v_cvt_f16_f32_e32 v6, v6
.LBB265_643:
	s_mov_b32 s2, 0
.LBB265_644:
	s_delay_alu instid0(SALU_CYCLE_1)
	s_and_not1_b32 vcc_lo, exec_lo, s2
	s_cbranch_vccnz .LBB265_646
; %bb.645:
	global_load_b32 v6, v[1:2], off
.LBB265_646:
	s_mov_b32 s2, 0
.LBB265_647:
	s_delay_alu instid0(SALU_CYCLE_1)
	s_and_not1_b32 vcc_lo, exec_lo, s2
	s_cbranch_vccnz .LBB265_658
; %bb.648:
	v_cmp_gt_i16_e32 vcc_lo, 6, v4
	s_cbranch_vccnz .LBB265_651
; %bb.649:
	v_cmp_lt_i16_e32 vcc_lo, 6, v4
	s_cbranch_vccz .LBB265_652
; %bb.650:
	global_load_b64 v[6:7], v[1:2], off
	s_mov_b32 s2, 0
	s_waitcnt vmcnt(0)
	v_cvt_f32_f64_e32 v6, v[6:7]
	s_delay_alu instid0(VALU_DEP_1)
	v_cvt_f16_f32_e32 v6, v6
	s_branch .LBB265_653
.LBB265_651:
	s_mov_b32 s2, -1
                                        ; implicit-def: $vgpr6
	s_branch .LBB265_656
.LBB265_652:
	s_mov_b32 s2, -1
                                        ; implicit-def: $vgpr6
.LBB265_653:
	s_delay_alu instid0(SALU_CYCLE_1)
	s_and_not1_b32 vcc_lo, exec_lo, s2
	s_cbranch_vccnz .LBB265_655
; %bb.654:
	global_load_b32 v6, v[1:2], off
	s_waitcnt vmcnt(0)
	v_cvt_f16_f32_e32 v6, v6
.LBB265_655:
	s_mov_b32 s2, 0
.LBB265_656:
	s_delay_alu instid0(SALU_CYCLE_1)
	s_and_not1_b32 vcc_lo, exec_lo, s2
	s_cbranch_vccnz .LBB265_658
; %bb.657:
	global_load_u16 v6, v[1:2], off
.LBB265_658:
	s_mov_b32 s2, 0
.LBB265_659:
	s_delay_alu instid0(SALU_CYCLE_1)
	s_and_not1_b32 vcc_lo, exec_lo, s2
	s_cbranch_vccnz .LBB265_679
; %bb.660:
	v_cmp_gt_i16_e32 vcc_lo, 2, v4
	s_cbranch_vccnz .LBB265_664
; %bb.661:
	v_cmp_gt_i16_e32 vcc_lo, 3, v4
	s_cbranch_vccnz .LBB265_665
; %bb.662:
	v_cmp_lt_i16_e32 vcc_lo, 3, v4
	s_cbranch_vccz .LBB265_666
; %bb.663:
	global_load_b64 v[6:7], v[1:2], off
	s_mov_b32 s2, 0
	s_waitcnt vmcnt(0)
	v_xor_b32_e32 v8, v6, v7
	v_cls_i32_e32 v9, v7
	s_delay_alu instid0(VALU_DEP_2) | instskip(NEXT) | instid1(VALU_DEP_2)
	v_ashrrev_i32_e32 v8, 31, v8
	v_add_nc_u32_e32 v9, -1, v9
	s_delay_alu instid0(VALU_DEP_2) | instskip(NEXT) | instid1(VALU_DEP_1)
	v_add_nc_u32_e32 v8, 32, v8
	v_min_u32_e32 v8, v9, v8
	s_delay_alu instid0(VALU_DEP_1) | instskip(NEXT) | instid1(VALU_DEP_1)
	v_lshlrev_b64 v[6:7], v8, v[6:7]
	v_min_u32_e32 v6, 1, v6
	s_delay_alu instid0(VALU_DEP_1) | instskip(SKIP_1) | instid1(VALU_DEP_2)
	v_or_b32_e32 v6, v7, v6
	v_sub_nc_u32_e32 v7, 32, v8
	v_cvt_f32_i32_e32 v6, v6
	s_delay_alu instid0(VALU_DEP_1) | instskip(NEXT) | instid1(VALU_DEP_1)
	v_ldexp_f32 v6, v6, v7
	v_cvt_f16_f32_e32 v6, v6
	s_branch .LBB265_667
.LBB265_664:
	s_mov_b32 s2, -1
                                        ; implicit-def: $vgpr6
	s_branch .LBB265_673
.LBB265_665:
	s_mov_b32 s2, -1
                                        ; implicit-def: $vgpr6
	s_branch .LBB265_670
.LBB265_666:
	s_mov_b32 s2, -1
                                        ; implicit-def: $vgpr6
.LBB265_667:
	s_delay_alu instid0(SALU_CYCLE_1)
	s_and_not1_b32 vcc_lo, exec_lo, s2
	s_cbranch_vccnz .LBB265_669
; %bb.668:
	global_load_b32 v6, v[1:2], off
	s_waitcnt vmcnt(0)
	v_cvt_f32_i32_e32 v6, v6
	s_delay_alu instid0(VALU_DEP_1)
	v_cvt_f16_f32_e32 v6, v6
.LBB265_669:
	s_mov_b32 s2, 0
.LBB265_670:
	s_delay_alu instid0(SALU_CYCLE_1)
	s_and_not1_b32 vcc_lo, exec_lo, s2
	s_cbranch_vccnz .LBB265_672
; %bb.671:
	global_load_u16 v6, v[1:2], off
	s_waitcnt vmcnt(0)
	v_cvt_f16_i16_e32 v6, v6
.LBB265_672:
	s_mov_b32 s2, 0
.LBB265_673:
	s_delay_alu instid0(SALU_CYCLE_1)
	s_and_not1_b32 vcc_lo, exec_lo, s2
	s_cbranch_vccnz .LBB265_679
; %bb.674:
	v_cmp_lt_i16_e32 vcc_lo, 0, v4
	s_mov_b32 s2, 0
	s_cbranch_vccz .LBB265_676
; %bb.675:
	global_load_i8 v6, v[1:2], off
	s_waitcnt vmcnt(0)
	v_cvt_f16_i16_e32 v6, v6
	s_branch .LBB265_677
.LBB265_676:
	s_mov_b32 s2, -1
                                        ; implicit-def: $vgpr6
.LBB265_677:
	s_delay_alu instid0(SALU_CYCLE_1)
	s_and_not1_b32 vcc_lo, exec_lo, s2
	s_cbranch_vccnz .LBB265_679
; %bb.678:
	global_load_u8 v1, v[1:2], off
	s_waitcnt vmcnt(0)
	v_cvt_f16_u16_e32 v6, v1
.LBB265_679:
	s_mov_b32 s2, -1
.LBB265_680:
	s_delay_alu instid0(SALU_CYCLE_1)
	s_and_not1_b32 vcc_lo, exec_lo, s2
	s_cbranch_vccnz .LBB265_688
; %bb.681:
	s_waitcnt vmcnt(0)
	v_cvt_f32_f16_e32 v1, v6
	s_mov_b32 s22, 0
	s_mov_b32 s23, -1
	s_delay_alu instid0(VALU_DEP_1) | instskip(SKIP_1) | instid1(VALU_DEP_2)
	v_mul_f32_e32 v2, 0x4f800000, v1
	v_cmp_gt_f32_e32 vcc_lo, 0xf800000, v1
	v_cndmask_b32_e32 v1, v1, v2, vcc_lo
	s_delay_alu instid0(VALU_DEP_1) | instskip(SKIP_3) | instid1(VALU_DEP_1)
	v_rsq_f32_e32 v2, v1
	s_waitcnt_depctr 0xfff
	v_mul_f32_e32 v7, v1, v2
	v_mul_f32_e32 v2, 0.5, v2
	v_fma_f32 v6, -v2, v7, 0.5
	s_delay_alu instid0(VALU_DEP_1) | instskip(SKIP_1) | instid1(VALU_DEP_2)
	v_fmac_f32_e32 v7, v7, v6
	v_fmac_f32_e32 v2, v2, v6
	v_fma_f32 v6, -v7, v7, v1
	s_delay_alu instid0(VALU_DEP_1) | instskip(NEXT) | instid1(VALU_DEP_1)
	v_dual_fmac_f32 v7, v6, v2 :: v_dual_and_b32 v6, 0xff, v3
	v_mul_f32_e32 v2, 0x37800000, v7
	v_cmp_class_f32_e64 s2, v1, 0x260
	s_delay_alu instid0(VALU_DEP_2) | instskip(NEXT) | instid1(VALU_DEP_4)
	v_cndmask_b32_e32 v2, v7, v2, vcc_lo
	v_cmp_gt_i16_e32 vcc_lo, 11, v6
	s_delay_alu instid0(VALU_DEP_2) | instskip(SKIP_1) | instid1(VALU_DEP_1)
	v_cndmask_b32_e64 v2, v2, v1, s2
	v_add_co_u32 v0, s2, s4, v0
	v_add_co_ci_u32_e64 v1, null, s5, 0, s2
	s_delay_alu instid0(VALU_DEP_3)
	v_cvt_f16_f32_e32 v2, v2
	s_mov_b32 s2, s38
	s_cbranch_vccnz .LBB265_689
; %bb.682:
	v_cmp_lt_i16_e32 vcc_lo, 25, v6
	s_cbranch_vccz .LBB265_730
; %bb.683:
	v_cmp_lt_i16_e32 vcc_lo, 28, v6
	s_cbranch_vccz .LBB265_731
	;; [unrolled: 3-line block ×4, first 2 shown]
; %bb.686:
	v_cmp_eq_u16_e32 vcc_lo, 46, v6
	s_mov_b32 s23, 0
	s_mov_b32 s2, -1
	s_cbranch_vccz .LBB265_734
; %bb.687:
	v_cvt_f32_f16_e32 v7, v2
	v_cmp_o_f16_e32 vcc_lo, v2, v2
	s_mov_b32 s22, -1
	s_mov_b32 s2, 0
	s_delay_alu instid0(VALU_DEP_2) | instskip(NEXT) | instid1(VALU_DEP_1)
	v_bfe_u32 v8, v7, 16, 1
	v_add3_u32 v7, v7, v8, 0x7fff
	s_delay_alu instid0(VALU_DEP_1) | instskip(NEXT) | instid1(VALU_DEP_1)
	v_lshrrev_b32_e32 v7, 16, v7
	v_cndmask_b32_e32 v7, 0x7fc0, v7, vcc_lo
	global_store_b32 v[0:1], v7, off
	s_branch .LBB265_734
.LBB265_688:
	s_mov_b32 s41, 0
	s_mov_b32 s2, s38
	s_branch .LBB265_729
.LBB265_689:
	s_and_b32 vcc_lo, exec_lo, s23
	s_cbranch_vccz .LBB265_803
; %bb.690:
	v_cmp_gt_i16_e32 vcc_lo, 5, v6
	s_mov_b32 s22, -1
	s_cbranch_vccnz .LBB265_711
; %bb.691:
	v_cmp_gt_i16_e32 vcc_lo, 8, v6
	s_cbranch_vccnz .LBB265_701
; %bb.692:
	v_cmp_gt_i16_e32 vcc_lo, 9, v6
	s_cbranch_vccnz .LBB265_698
; %bb.693:
	v_cmp_lt_i16_e32 vcc_lo, 9, v6
	s_cbranch_vccz .LBB265_695
; %bb.694:
	v_cvt_f32_f16_e32 v7, v2
	v_mov_b32_e32 v9, 0
	s_mov_b32 s22, 0
	s_delay_alu instid0(VALU_DEP_2) | instskip(NEXT) | instid1(VALU_DEP_2)
	v_cvt_f64_f32_e32 v[7:8], v7
	v_mov_b32_e32 v10, v9
	global_store_b128 v[0:1], v[7:10], off
.LBB265_695:
	s_and_not1_b32 vcc_lo, exec_lo, s22
	s_cbranch_vccnz .LBB265_697
; %bb.696:
	v_cvt_f32_f16_e32 v7, v2
	v_mov_b32_e32 v8, 0
	global_store_b64 v[0:1], v[7:8], off
.LBB265_697:
	s_mov_b32 s22, 0
.LBB265_698:
	s_delay_alu instid0(SALU_CYCLE_1)
	s_and_not1_b32 vcc_lo, exec_lo, s22
	s_cbranch_vccnz .LBB265_700
; %bb.699:
	v_and_b32_e32 v7, 0xffff, v2
	global_store_b32 v[0:1], v7, off
.LBB265_700:
	s_mov_b32 s22, 0
.LBB265_701:
	s_delay_alu instid0(SALU_CYCLE_1)
	s_and_not1_b32 vcc_lo, exec_lo, s22
	s_cbranch_vccnz .LBB265_710
; %bb.702:
	v_cmp_gt_i16_e32 vcc_lo, 6, v6
	s_mov_b32 s22, -1
	s_cbranch_vccnz .LBB265_708
; %bb.703:
	v_cmp_lt_i16_e32 vcc_lo, 6, v6
	s_cbranch_vccz .LBB265_705
; %bb.704:
	v_cvt_f32_f16_e32 v7, v2
	s_mov_b32 s22, 0
	s_delay_alu instid0(VALU_DEP_1)
	v_cvt_f64_f32_e32 v[7:8], v7
	global_store_b64 v[0:1], v[7:8], off
.LBB265_705:
	s_and_not1_b32 vcc_lo, exec_lo, s22
	s_cbranch_vccnz .LBB265_707
; %bb.706:
	v_cvt_f32_f16_e32 v7, v2
	global_store_b32 v[0:1], v7, off
.LBB265_707:
	s_mov_b32 s22, 0
.LBB265_708:
	s_delay_alu instid0(SALU_CYCLE_1)
	s_and_not1_b32 vcc_lo, exec_lo, s22
	s_cbranch_vccnz .LBB265_710
; %bb.709:
	global_store_b16 v[0:1], v2, off
.LBB265_710:
	s_mov_b32 s22, 0
.LBB265_711:
	s_delay_alu instid0(SALU_CYCLE_1)
	s_and_not1_b32 vcc_lo, exec_lo, s22
	s_cbranch_vccnz .LBB265_727
; %bb.712:
	v_cmp_gt_i16_e32 vcc_lo, 2, v6
	s_mov_b32 s22, -1
	s_cbranch_vccnz .LBB265_722
; %bb.713:
	v_cmp_gt_i16_e32 vcc_lo, 3, v6
	s_cbranch_vccnz .LBB265_719
; %bb.714:
	v_cmp_lt_i16_e32 vcc_lo, 3, v6
	s_cbranch_vccz .LBB265_716
; %bb.715:
	v_cvt_f32_f16_e32 v7, v2
	s_mov_b32 s22, 0
	s_delay_alu instid0(VALU_DEP_1) | instskip(NEXT) | instid1(VALU_DEP_1)
	v_cvt_i32_f32_e32 v7, v7
	v_ashrrev_i32_e32 v8, 31, v7
	global_store_b64 v[0:1], v[7:8], off
.LBB265_716:
	s_and_not1_b32 vcc_lo, exec_lo, s22
	s_cbranch_vccnz .LBB265_718
; %bb.717:
	v_cvt_f32_f16_e32 v7, v2
	s_delay_alu instid0(VALU_DEP_1)
	v_cvt_i32_f32_e32 v7, v7
	global_store_b32 v[0:1], v7, off
.LBB265_718:
	s_mov_b32 s22, 0
.LBB265_719:
	s_delay_alu instid0(SALU_CYCLE_1)
	s_and_not1_b32 vcc_lo, exec_lo, s22
	s_cbranch_vccnz .LBB265_721
; %bb.720:
	v_cvt_i16_f16_e32 v7, v2
	global_store_b16 v[0:1], v7, off
.LBB265_721:
	s_mov_b32 s22, 0
.LBB265_722:
	s_delay_alu instid0(SALU_CYCLE_1)
	s_and_not1_b32 vcc_lo, exec_lo, s22
	s_cbranch_vccnz .LBB265_727
; %bb.723:
	v_cmp_lt_i16_e32 vcc_lo, 0, v6
	s_mov_b32 s22, -1
	s_cbranch_vccz .LBB265_725
; %bb.724:
	v_cvt_i16_f16_e32 v6, v2
	s_mov_b32 s22, 0
	global_store_b8 v[0:1], v6, off
.LBB265_725:
	s_and_not1_b32 vcc_lo, exec_lo, s22
	s_cbranch_vccnz .LBB265_727
; %bb.726:
	v_cvt_f32_f16_e32 v2, v2
	s_delay_alu instid0(VALU_DEP_1)
	v_cvt_i32_f32_e32 v2, v2
	global_store_b8 v[0:1], v2, off
.LBB265_727:
	s_branch .LBB265_804
.LBB265_728:
	s_mov_b32 s41, 0
.LBB265_729:
                                        ; implicit-def: $vgpr5
	s_branch .LBB265_805
.LBB265_730:
	s_mov_b32 s2, s38
	s_branch .LBB265_761
.LBB265_731:
	s_mov_b32 s2, s38
	s_branch .LBB265_744
.LBB265_732:
	s_mov_b32 s2, s38
	s_branch .LBB265_740
.LBB265_733:
	s_mov_b32 s2, s38
.LBB265_734:
	s_and_b32 vcc_lo, exec_lo, s23
	s_cbranch_vccz .LBB265_739
; %bb.735:
	v_cmp_eq_u16_e32 vcc_lo, 44, v6
	s_mov_b32 s2, -1
	s_cbranch_vccz .LBB265_739
; %bb.736:
	v_cvt_f32_f16_e32 v7, v2
	v_mov_b32_e32 v8, 0xff
	s_mov_b32 s22, exec_lo
	s_delay_alu instid0(VALU_DEP_2) | instskip(NEXT) | instid1(VALU_DEP_1)
	v_bfe_u32 v9, v7, 23, 8
	v_cmpx_ne_u32_e32 0xff, v9
; %bb.737:
	v_and_b32_e32 v8, 0x400000, v7
	v_and_or_b32 v9, 0x3fffff, v7, v9
	v_lshrrev_b32_e32 v7, 23, v7
	s_delay_alu instid0(VALU_DEP_3) | instskip(NEXT) | instid1(VALU_DEP_3)
	v_cmp_ne_u32_e32 vcc_lo, 0, v8
	v_cmp_ne_u32_e64 s2, 0, v9
	s_delay_alu instid0(VALU_DEP_1) | instskip(NEXT) | instid1(SALU_CYCLE_1)
	s_and_b32 s2, vcc_lo, s2
	v_cndmask_b32_e64 v8, 0, 1, s2
	s_delay_alu instid0(VALU_DEP_1)
	v_add_nc_u32_e32 v8, v7, v8
; %bb.738:
	s_or_b32 exec_lo, exec_lo, s22
	s_mov_b32 s22, -1
	s_mov_b32 s2, 0
	global_store_b8 v[0:1], v8, off
.LBB265_739:
	s_mov_b32 s23, 0
.LBB265_740:
	s_delay_alu instid0(SALU_CYCLE_1)
	s_and_b32 vcc_lo, exec_lo, s23
	s_cbranch_vccz .LBB265_743
; %bb.741:
	v_cmp_eq_u16_e32 vcc_lo, 29, v6
	s_mov_b32 s2, -1
	s_cbranch_vccz .LBB265_743
; %bb.742:
	v_cvt_f32_f16_e32 v7, v2
	v_mov_b32_e32 v8, 0
	s_mov_b32 s2, 0
	s_mov_b32 s22, -1
	s_mov_b32 s23, 0
	v_cvt_u32_f32_e32 v7, v7
	global_store_b64 v[0:1], v[7:8], off
	s_branch .LBB265_744
.LBB265_743:
	s_mov_b32 s23, 0
.LBB265_744:
	s_delay_alu instid0(SALU_CYCLE_1)
	s_and_b32 vcc_lo, exec_lo, s23
	s_cbranch_vccz .LBB265_760
; %bb.745:
	v_cmp_gt_i16_e32 vcc_lo, 27, v6
	s_mov_b32 s22, -1
	s_cbranch_vccnz .LBB265_751
; %bb.746:
	v_cmp_lt_i16_e32 vcc_lo, 27, v6
	s_cbranch_vccz .LBB265_748
; %bb.747:
	v_cvt_f32_f16_e32 v7, v2
	s_mov_b32 s22, 0
	s_delay_alu instid0(VALU_DEP_1)
	v_cvt_u32_f32_e32 v7, v7
	global_store_b32 v[0:1], v7, off
.LBB265_748:
	s_and_not1_b32 vcc_lo, exec_lo, s22
	s_cbranch_vccnz .LBB265_750
; %bb.749:
	v_cvt_u16_f16_e32 v7, v2
	global_store_b16 v[0:1], v7, off
.LBB265_750:
	s_mov_b32 s22, 0
.LBB265_751:
	s_delay_alu instid0(SALU_CYCLE_1)
	s_and_not1_b32 vcc_lo, exec_lo, s22
	s_cbranch_vccnz .LBB265_759
; %bb.752:
	v_cvt_f32_f16_e32 v7, v2
	v_mov_b32_e32 v9, 0x80
	s_mov_b32 s22, exec_lo
	s_delay_alu instid0(VALU_DEP_2) | instskip(NEXT) | instid1(VALU_DEP_1)
	v_and_b32_e32 v8, 0x7fffffff, v7
	v_cmpx_gt_u32_e32 0x43800000, v8
	s_cbranch_execz .LBB265_758
; %bb.753:
	v_cmp_lt_u32_e32 vcc_lo, 0x3bffffff, v8
	s_mov_b32 s23, 0
                                        ; implicit-def: $vgpr8
	s_and_saveexec_b32 s41, vcc_lo
	s_delay_alu instid0(SALU_CYCLE_1)
	s_xor_b32 s41, exec_lo, s41
	s_cbranch_execz .LBB265_832
; %bb.754:
	v_bfe_u32 v8, v7, 20, 1
	s_mov_b32 s23, exec_lo
	s_delay_alu instid0(VALU_DEP_1) | instskip(NEXT) | instid1(VALU_DEP_1)
	v_add3_u32 v8, v7, v8, 0x487ffff
	v_lshrrev_b32_e32 v8, 20, v8
	s_or_saveexec_b32 s41, s41
                                        ; implicit-def: $sgpr42
	s_delay_alu instid0(SALU_CYCLE_1)
	s_xor_b32 exec_lo, exec_lo, s41
	s_cbranch_execnz .LBB265_833
.LBB265_755:
	s_or_b32 exec_lo, exec_lo, s41
	v_mov_b32_e32 v9, s42
	s_and_saveexec_b32 s41, s23
.LBB265_756:
	v_lshrrev_b32_e32 v7, 24, v7
	s_delay_alu instid0(VALU_DEP_1)
	v_and_or_b32 v9, 0x80, v7, v8
.LBB265_757:
	s_or_b32 exec_lo, exec_lo, s41
.LBB265_758:
	s_delay_alu instid0(SALU_CYCLE_1)
	s_or_b32 exec_lo, exec_lo, s22
	global_store_b8 v[0:1], v9, off
.LBB265_759:
	s_mov_b32 s22, -1
.LBB265_760:
	s_mov_b32 s23, 0
.LBB265_761:
	s_delay_alu instid0(SALU_CYCLE_1)
	s_and_b32 vcc_lo, exec_lo, s23
	s_cbranch_vccz .LBB265_802
; %bb.762:
	v_cmp_lt_i16_e32 vcc_lo, 22, v6
	s_mov_b32 s23, -1
	s_cbranch_vccz .LBB265_794
; %bb.763:
	v_cmp_gt_i16_e32 vcc_lo, 24, v6
	s_mov_b32 s22, -1
	s_cbranch_vccnz .LBB265_783
; %bb.764:
	v_cmp_lt_i16_e32 vcc_lo, 24, v6
	s_cbranch_vccz .LBB265_772
; %bb.765:
	v_cvt_f32_f16_e32 v7, v2
	v_mov_b32_e32 v9, 0x80
	s_mov_b32 s22, exec_lo
	s_delay_alu instid0(VALU_DEP_2) | instskip(NEXT) | instid1(VALU_DEP_1)
	v_and_b32_e32 v8, 0x7fffffff, v7
	v_cmpx_gt_u32_e32 0x47800000, v8
	s_cbranch_execz .LBB265_771
; %bb.766:
	v_cmp_lt_u32_e32 vcc_lo, 0x37ffffff, v8
	s_mov_b32 s23, 0
                                        ; implicit-def: $vgpr8
	s_and_saveexec_b32 s41, vcc_lo
	s_delay_alu instid0(SALU_CYCLE_1)
	s_xor_b32 s41, exec_lo, s41
	s_cbranch_execz .LBB265_835
; %bb.767:
	v_bfe_u32 v8, v7, 21, 1
	s_mov_b32 s23, exec_lo
	s_delay_alu instid0(VALU_DEP_1) | instskip(NEXT) | instid1(VALU_DEP_1)
	v_add3_u32 v8, v7, v8, 0x88fffff
	v_lshrrev_b32_e32 v8, 21, v8
	s_or_saveexec_b32 s41, s41
                                        ; implicit-def: $sgpr42
	s_delay_alu instid0(SALU_CYCLE_1)
	s_xor_b32 exec_lo, exec_lo, s41
	s_cbranch_execnz .LBB265_836
.LBB265_768:
	s_or_b32 exec_lo, exec_lo, s41
	v_mov_b32_e32 v9, s42
	s_and_saveexec_b32 s41, s23
.LBB265_769:
	v_lshrrev_b32_e32 v7, 24, v7
	s_delay_alu instid0(VALU_DEP_1)
	v_and_or_b32 v9, 0x80, v7, v8
.LBB265_770:
	s_or_b32 exec_lo, exec_lo, s41
.LBB265_771:
	s_delay_alu instid0(SALU_CYCLE_1)
	s_or_b32 exec_lo, exec_lo, s22
	s_mov_b32 s22, 0
	global_store_b8 v[0:1], v9, off
.LBB265_772:
	s_and_b32 vcc_lo, exec_lo, s22
	s_cbranch_vccz .LBB265_782
; %bb.773:
	v_cvt_f32_f16_e32 v7, v2
	s_mov_b32 s22, exec_lo
                                        ; implicit-def: $vgpr8
	s_delay_alu instid0(VALU_DEP_1) | instskip(NEXT) | instid1(VALU_DEP_1)
	v_and_b32_e32 v9, 0x7fffffff, v7
	v_cmpx_gt_u32_e32 0x43f00000, v9
	s_xor_b32 s22, exec_lo, s22
	s_cbranch_execz .LBB265_779
; %bb.774:
	s_mov_b32 s23, exec_lo
                                        ; implicit-def: $vgpr8
	v_cmpx_lt_u32_e32 0x3c7fffff, v9
	s_xor_b32 s23, exec_lo, s23
; %bb.775:
	v_bfe_u32 v8, v7, 20, 1
	s_delay_alu instid0(VALU_DEP_1) | instskip(NEXT) | instid1(VALU_DEP_1)
	v_add3_u32 v8, v7, v8, 0x407ffff
	v_and_b32_e32 v9, 0xff00000, v8
	v_lshrrev_b32_e32 v8, 20, v8
	s_delay_alu instid0(VALU_DEP_2) | instskip(NEXT) | instid1(VALU_DEP_2)
	v_cmp_ne_u32_e32 vcc_lo, 0x7f00000, v9
	v_cndmask_b32_e32 v8, 0x7e, v8, vcc_lo
; %bb.776:
	s_and_not1_saveexec_b32 s23, s23
; %bb.777:
	v_add_f32_e64 v8, 0x46800000, |v7|
; %bb.778:
	s_or_b32 exec_lo, exec_lo, s23
                                        ; implicit-def: $vgpr9
.LBB265_779:
	s_and_not1_saveexec_b32 s22, s22
; %bb.780:
	v_mov_b32_e32 v8, 0x7f
	v_cmp_lt_u32_e32 vcc_lo, 0x7f800000, v9
	s_delay_alu instid0(VALU_DEP_2)
	v_cndmask_b32_e32 v8, 0x7e, v8, vcc_lo
; %bb.781:
	s_or_b32 exec_lo, exec_lo, s22
	v_lshrrev_b32_e32 v7, 24, v7
	s_delay_alu instid0(VALU_DEP_1)
	v_and_or_b32 v7, 0x80, v7, v8
	global_store_b8 v[0:1], v7, off
.LBB265_782:
	s_mov_b32 s22, 0
.LBB265_783:
	s_delay_alu instid0(SALU_CYCLE_1)
	s_and_not1_b32 vcc_lo, exec_lo, s22
	s_cbranch_vccnz .LBB265_793
; %bb.784:
	v_cvt_f32_f16_e32 v7, v2
	s_mov_b32 s22, exec_lo
                                        ; implicit-def: $vgpr8
	s_delay_alu instid0(VALU_DEP_1) | instskip(NEXT) | instid1(VALU_DEP_1)
	v_and_b32_e32 v9, 0x7fffffff, v7
	v_cmpx_gt_u32_e32 0x47800000, v9
	s_xor_b32 s22, exec_lo, s22
	s_cbranch_execz .LBB265_790
; %bb.785:
	s_mov_b32 s23, exec_lo
                                        ; implicit-def: $vgpr8
	v_cmpx_lt_u32_e32 0x387fffff, v9
	s_xor_b32 s23, exec_lo, s23
; %bb.786:
	v_bfe_u32 v8, v7, 21, 1
	s_delay_alu instid0(VALU_DEP_1) | instskip(NEXT) | instid1(VALU_DEP_1)
	v_add3_u32 v8, v7, v8, 0x80fffff
	v_lshrrev_b32_e32 v8, 21, v8
; %bb.787:
	s_and_not1_saveexec_b32 s23, s23
; %bb.788:
	v_add_f32_e64 v8, 0x43000000, |v7|
; %bb.789:
	s_or_b32 exec_lo, exec_lo, s23
                                        ; implicit-def: $vgpr9
.LBB265_790:
	s_and_not1_saveexec_b32 s22, s22
; %bb.791:
	v_mov_b32_e32 v8, 0x7f
	v_cmp_lt_u32_e32 vcc_lo, 0x7f800000, v9
	s_delay_alu instid0(VALU_DEP_2)
	v_cndmask_b32_e32 v8, 0x7c, v8, vcc_lo
; %bb.792:
	s_or_b32 exec_lo, exec_lo, s22
	v_lshrrev_b32_e32 v7, 24, v7
	s_delay_alu instid0(VALU_DEP_1)
	v_and_or_b32 v7, 0x80, v7, v8
	global_store_b8 v[0:1], v7, off
.LBB265_793:
	s_mov_b32 s23, 0
	s_mov_b32 s22, -1
.LBB265_794:
	s_and_not1_b32 vcc_lo, exec_lo, s23
	s_cbranch_vccnz .LBB265_802
; %bb.795:
	v_cmp_lt_i16_e32 vcc_lo, 14, v6
	s_mov_b32 s23, -1
	s_cbranch_vccz .LBB265_799
; %bb.796:
	v_cmp_eq_u16_e32 vcc_lo, 15, v6
	s_mov_b32 s2, -1
	s_cbranch_vccz .LBB265_798
; %bb.797:
	v_cvt_f32_f16_e32 v7, v2
	v_cmp_o_f16_e32 vcc_lo, v2, v2
	s_mov_b32 s22, -1
	s_mov_b32 s2, 0
	s_delay_alu instid0(VALU_DEP_2) | instskip(NEXT) | instid1(VALU_DEP_1)
	v_bfe_u32 v8, v7, 16, 1
	v_add3_u32 v7, v7, v8, 0x7fff
	s_delay_alu instid0(VALU_DEP_1) | instskip(NEXT) | instid1(VALU_DEP_1)
	v_lshrrev_b32_e32 v7, 16, v7
	v_cndmask_b32_e32 v7, 0x7fc0, v7, vcc_lo
	global_store_b16 v[0:1], v7, off
.LBB265_798:
	s_mov_b32 s23, 0
.LBB265_799:
	s_delay_alu instid0(SALU_CYCLE_1)
	s_and_b32 vcc_lo, exec_lo, s23
	s_cbranch_vccz .LBB265_802
; %bb.800:
	v_cmp_eq_u16_e32 vcc_lo, 11, v6
	s_mov_b32 s2, -1
	s_cbranch_vccz .LBB265_802
; %bb.801:
	v_cmp_neq_f16_e32 vcc_lo, 0, v2
	s_mov_b32 s2, 0
	s_mov_b32 s22, -1
	v_cndmask_b32_e64 v7, 0, 1, vcc_lo
	global_store_b8 v[0:1], v7, off
.LBB265_802:
.LBB265_803:
	s_and_not1_b32 vcc_lo, exec_lo, s22
	s_cbranch_vccnz .LBB265_728
.LBB265_804:
	v_add_nc_u32_e32 v5, 0x80, v5
	s_mov_b32 s41, -1
.LBB265_805:
	s_and_not1_b32 s22, s38, exec_lo
	s_and_b32 s2, s2, exec_lo
	s_and_not1_b32 s42, s37, exec_lo
	s_and_b32 s3, s3, exec_lo
	s_or_b32 s23, s22, s2
	s_or_b32 s22, s42, s3
	s_or_not1_b32 s42, s41, exec_lo
.LBB265_806:
	s_or_b32 exec_lo, exec_lo, s40
	s_mov_b32 s2, 0
	s_mov_b32 s3, 0
	;; [unrolled: 1-line block ×3, first 2 shown]
                                        ; implicit-def: $vgpr1_vgpr2
                                        ; implicit-def: $vgpr0
                                        ; implicit-def: $vgpr6
	s_and_saveexec_b32 s40, s42
	s_cbranch_execz .LBB265_904
; %bb.807:
	v_cmp_gt_i32_e32 vcc_lo, s30, v5
	s_mov_b32 s43, s22
	s_mov_b32 s42, 0
                                        ; implicit-def: $vgpr1_vgpr2
                                        ; implicit-def: $vgpr0
                                        ; implicit-def: $vgpr6
	s_and_saveexec_b32 s30, vcc_lo
	s_cbranch_execz .LBB265_903
; %bb.808:
	s_and_not1_b32 vcc_lo, exec_lo, s27
	s_cbranch_vccnz .LBB265_813
; %bb.809:
	v_dual_mov_b32 v0, 0 :: v_dual_mov_b32 v1, 0
	s_and_not1_b32 vcc_lo, exec_lo, s33
	s_mov_b32 s33, 0
	s_cbranch_vccnz .LBB265_818
; %bb.810:
	v_mov_b32_e32 v0, 0
	s_add_i32 s41, s31, 1
	s_cmp_eq_u32 s25, 2
	s_mov_b32 s31, 0
	s_cbranch_scc1 .LBB265_814
; %bb.811:
	v_dual_mov_b32 v1, 0 :: v_dual_mov_b32 v0, 0
	v_mov_b32_e32 v2, v5
	s_and_b32 s31, s41, 28
	s_mov_b64 s[2:3], s[16:17]
.LBB265_812:                            ; =>This Inner Loop Header: Depth=1
	s_clause 0x1
	s_load_b256 s[44:51], s[2:3], 0x4
	s_load_b128 s[60:63], s[2:3], 0x24
	s_load_b256 s[52:59], s[20:21], 0x0
	s_add_u32 s2, s2, 48
	s_addc_u32 s3, s3, 0
	s_add_i32 s42, s42, 4
	s_add_u32 s20, s20, 32
	s_addc_u32 s21, s21, 0
	s_cmp_eq_u32 s31, s42
	s_waitcnt vmcnt(0) lgkmcnt(0)
	v_mul_hi_u32 v6, s45, v2
	s_delay_alu instid0(VALU_DEP_1) | instskip(NEXT) | instid1(VALU_DEP_1)
	v_add_nc_u32_e32 v6, v2, v6
	v_lshrrev_b32_e32 v6, s46, v6
	s_delay_alu instid0(VALU_DEP_1) | instskip(SKIP_1) | instid1(VALU_DEP_2)
	v_mul_hi_u32 v7, s48, v6
	v_mul_lo_u32 v9, v6, s44
	v_add_nc_u32_e32 v7, v6, v7
	s_delay_alu instid0(VALU_DEP_2) | instskip(NEXT) | instid1(VALU_DEP_2)
	v_sub_nc_u32_e32 v2, v2, v9
	v_lshrrev_b32_e32 v7, s49, v7
	s_delay_alu instid0(VALU_DEP_2) | instskip(SKIP_1) | instid1(VALU_DEP_3)
	v_mul_lo_u32 v9, v2, s52
	v_mul_lo_u32 v11, v2, s53
	v_mul_hi_u32 v8, s51, v7
	s_delay_alu instid0(VALU_DEP_1) | instskip(NEXT) | instid1(VALU_DEP_1)
	v_add_nc_u32_e32 v8, v7, v8
	v_lshrrev_b32_e32 v8, s60, v8
	s_delay_alu instid0(VALU_DEP_1) | instskip(SKIP_1) | instid1(VALU_DEP_2)
	v_mul_hi_u32 v10, s62, v8
	v_mul_lo_u32 v12, v8, s50
	v_add_nc_u32_e32 v2, v8, v10
	v_mul_lo_u32 v10, v7, s47
	s_delay_alu instid0(VALU_DEP_3) | instskip(NEXT) | instid1(VALU_DEP_3)
	v_sub_nc_u32_e32 v7, v7, v12
	v_lshrrev_b32_e32 v2, s63, v2
	s_delay_alu instid0(VALU_DEP_2) | instskip(SKIP_2) | instid1(VALU_DEP_4)
	v_mul_lo_u32 v12, v7, s56
	v_mul_lo_u32 v7, v7, s57
	v_sub_nc_u32_e32 v6, v6, v10
	v_mul_lo_u32 v13, v2, s61
	s_delay_alu instid0(VALU_DEP_2) | instskip(SKIP_1) | instid1(VALU_DEP_3)
	v_mul_lo_u32 v10, v6, s54
	v_mul_lo_u32 v6, v6, s55
	v_sub_nc_u32_e32 v8, v8, v13
	s_delay_alu instid0(VALU_DEP_3) | instskip(NEXT) | instid1(VALU_DEP_2)
	v_add3_u32 v0, v9, v0, v10
	v_mul_lo_u32 v13, v8, s58
	v_mul_lo_u32 v8, v8, s59
	v_add3_u32 v1, v11, v1, v6
	s_delay_alu instid0(VALU_DEP_3) | instskip(NEXT) | instid1(VALU_DEP_2)
	v_add3_u32 v0, v12, v0, v13
	v_add3_u32 v1, v7, v1, v8
	s_cbranch_scc0 .LBB265_812
	s_branch .LBB265_815
.LBB265_813:
	s_mov_b32 s33, -1
                                        ; implicit-def: $vgpr0
                                        ; implicit-def: $vgpr1
	s_branch .LBB265_818
.LBB265_814:
	v_dual_mov_b32 v2, v5 :: v_dual_mov_b32 v1, 0
.LBB265_815:
	s_and_b32 s41, s41, 3
	s_delay_alu instid0(SALU_CYCLE_1)
	s_cmp_eq_u32 s41, 0
	s_cbranch_scc1 .LBB265_818
; %bb.816:
	s_lshl_b32 s2, s31, 3
	s_mul_i32 s20, s31, 12
	s_add_u32 s2, s2, s16
	s_addc_u32 s3, s17, 0
	s_add_u32 s2, s2, 0xc4
	s_addc_u32 s3, s3, 0
	;; [unrolled: 2-line block ×3, first 2 shown]
.LBB265_817:                            ; =>This Inner Loop Header: Depth=1
	s_clause 0x1
	s_load_b64 s[42:43], s[20:21], 0x4
	s_load_b32 s31, s[20:21], 0xc
	s_load_b64 s[44:45], s[2:3], 0x0
	s_add_u32 s20, s20, 12
	s_addc_u32 s21, s21, 0
	s_add_u32 s2, s2, 8
	s_addc_u32 s3, s3, 0
	s_add_i32 s41, s41, -1
	s_delay_alu instid0(SALU_CYCLE_1) | instskip(SKIP_2) | instid1(VALU_DEP_1)
	s_cmp_lg_u32 s41, 0
	s_waitcnt vmcnt(0) lgkmcnt(0)
	v_mul_hi_u32 v6, s43, v2
	v_add_nc_u32_e32 v6, v2, v6
	s_delay_alu instid0(VALU_DEP_1) | instskip(NEXT) | instid1(VALU_DEP_1)
	v_lshrrev_b32_e32 v9, s31, v6
	v_mul_lo_u32 v6, v9, s42
	s_delay_alu instid0(VALU_DEP_1) | instskip(NEXT) | instid1(VALU_DEP_1)
	v_sub_nc_u32_e32 v2, v2, v6
	v_mad_u64_u32 v[6:7], null, v2, s44, v[0:1]
	v_mad_u64_u32 v[7:8], null, v2, s45, v[1:2]
	v_mov_b32_e32 v2, v9
	s_delay_alu instid0(VALU_DEP_2)
	v_dual_mov_b32 v0, v6 :: v_dual_mov_b32 v1, v7
	s_cbranch_scc1 .LBB265_817
.LBB265_818:
	s_and_not1_b32 vcc_lo, exec_lo, s33
	s_cbranch_vccnz .LBB265_821
; %bb.819:
	s_waitcnt lgkmcnt(0)
	v_mul_hi_u32 v0, s13, v5
	s_and_not1_b32 vcc_lo, exec_lo, s29
	s_delay_alu instid0(VALU_DEP_1) | instskip(NEXT) | instid1(VALU_DEP_1)
	v_add_nc_u32_e32 v0, v5, v0
	v_lshrrev_b32_e32 v2, s14, v0
	s_delay_alu instid0(VALU_DEP_1) | instskip(NEXT) | instid1(VALU_DEP_1)
	v_mul_lo_u32 v0, v2, s12
	v_sub_nc_u32_e32 v1, v5, v0
	s_delay_alu instid0(VALU_DEP_1)
	v_mul_lo_u32 v0, v1, s8
	v_mul_lo_u32 v1, v1, s9
	s_cbranch_vccnz .LBB265_821
; %bb.820:
	v_mul_hi_u32 v5, s18, v2
	s_delay_alu instid0(VALU_DEP_1) | instskip(NEXT) | instid1(VALU_DEP_1)
	v_add_nc_u32_e32 v5, v2, v5
	v_lshrrev_b32_e32 v5, s19, v5
	s_delay_alu instid0(VALU_DEP_1) | instskip(NEXT) | instid1(VALU_DEP_1)
	v_mul_lo_u32 v5, v5, s15
	v_sub_nc_u32_e32 v2, v2, v5
	s_waitcnt vmcnt(0)
	s_delay_alu instid0(VALU_DEP_1) | instskip(SKIP_1) | instid1(VALU_DEP_1)
	v_mad_u64_u32 v[5:6], null, v2, s10, v[0:1]
	v_mad_u64_u32 v[6:7], null, v2, s11, v[1:2]
	v_dual_mov_b32 v0, v5 :: v_dual_mov_b32 v1, v6
.LBB265_821:
	v_cmp_gt_i16_e32 vcc_lo, 11, v4
	s_waitcnt lgkmcnt(0)
	s_delay_alu instid0(VALU_DEP_2) | instskip(NEXT) | instid1(VALU_DEP_1)
	v_add_co_u32 v1, s2, s6, v1
	v_add_co_ci_u32_e64 v2, null, s7, 0, s2
	s_mov_b32 s6, 0
	s_cbranch_vccnz .LBB265_828
; %bb.822:
	v_cmp_lt_i16_e32 vcc_lo, 25, v4
	s_mov_b32 s3, 0
	s_cbranch_vccz .LBB265_829
; %bb.823:
	v_cmp_lt_i16_e32 vcc_lo, 28, v4
	s_cbranch_vccz .LBB265_830
; %bb.824:
	v_cmp_lt_i16_e32 vcc_lo, 43, v4
	;; [unrolled: 3-line block ×3, first 2 shown]
	s_cbranch_vccz .LBB265_834
; %bb.826:
	v_cmp_eq_u16_e32 vcc_lo, 46, v4
	s_mov_b32 s7, 0
	s_cbranch_vccz .LBB265_837
; %bb.827:
	global_load_b32 v5, v[1:2], off
	s_mov_b32 s2, 0
	s_mov_b32 s6, -1
	s_waitcnt vmcnt(0)
	v_lshlrev_b32_e32 v5, 16, v5
	s_delay_alu instid0(VALU_DEP_1)
	v_cvt_f16_f32_e32 v6, v5
	s_branch .LBB265_839
.LBB265_828:
	s_mov_b32 s7, -1
	s_mov_b32 s3, 0
	s_mov_b32 s2, s22
                                        ; implicit-def: $vgpr6
	s_branch .LBB265_902
.LBB265_829:
	s_mov_b32 s7, -1
	s_mov_b32 s2, s22
                                        ; implicit-def: $vgpr6
	s_branch .LBB265_868
.LBB265_830:
	s_mov_b32 s7, -1
	s_mov_b32 s2, s22
                                        ; implicit-def: $vgpr6
	s_branch .LBB265_849
.LBB265_831:
	s_mov_b32 s7, -1
	s_mov_b32 s2, s22
                                        ; implicit-def: $vgpr6
	s_branch .LBB265_844
.LBB265_832:
	s_or_saveexec_b32 s41, s41
                                        ; implicit-def: $sgpr42
	s_delay_alu instid0(SALU_CYCLE_1)
	s_xor_b32 exec_lo, exec_lo, s41
	s_cbranch_execz .LBB265_755
.LBB265_833:
	v_add_f32_e64 v8, 0x46000000, |v7|
	s_and_not1_b32 s23, s23, exec_lo
	s_mov_b32 s42, 0
	s_delay_alu instid0(VALU_DEP_1) | instskip(NEXT) | instid1(VALU_DEP_1)
	v_and_b32_e32 v8, 0xff, v8
	v_cmp_ne_u32_e32 vcc_lo, 0, v8
	s_and_b32 s43, vcc_lo, exec_lo
	s_delay_alu instid0(SALU_CYCLE_1)
	s_or_b32 s23, s23, s43
	s_or_b32 exec_lo, exec_lo, s41
	v_mov_b32_e32 v9, s42
	s_and_saveexec_b32 s41, s23
	s_cbranch_execnz .LBB265_756
	s_branch .LBB265_757
.LBB265_834:
	s_mov_b32 s7, -1
	s_mov_b32 s2, s22
	s_branch .LBB265_838
.LBB265_835:
	s_or_saveexec_b32 s41, s41
                                        ; implicit-def: $sgpr42
	s_delay_alu instid0(SALU_CYCLE_1)
	s_xor_b32 exec_lo, exec_lo, s41
	s_cbranch_execz .LBB265_768
.LBB265_836:
	v_add_f32_e64 v8, 0x42800000, |v7|
	s_and_not1_b32 s23, s23, exec_lo
	s_mov_b32 s42, 0
	s_delay_alu instid0(VALU_DEP_1) | instskip(NEXT) | instid1(VALU_DEP_1)
	v_and_b32_e32 v8, 0xff, v8
	v_cmp_ne_u32_e32 vcc_lo, 0, v8
	s_and_b32 s43, vcc_lo, exec_lo
	s_delay_alu instid0(SALU_CYCLE_1)
	s_or_b32 s23, s23, s43
	s_or_b32 exec_lo, exec_lo, s41
	v_mov_b32_e32 v9, s42
	s_and_saveexec_b32 s41, s23
	s_cbranch_execnz .LBB265_769
	s_branch .LBB265_770
.LBB265_837:
	s_mov_b32 s2, -1
.LBB265_838:
                                        ; implicit-def: $vgpr6
.LBB265_839:
	s_and_b32 vcc_lo, exec_lo, s7
	s_cbranch_vccz .LBB265_843
; %bb.840:
	v_cmp_eq_u16_e32 vcc_lo, 44, v4
	s_cbranch_vccz .LBB265_842
; %bb.841:
	global_load_u8 v5, v[1:2], off
	s_mov_b32 s2, 0
	s_mov_b32 s6, -1
	s_waitcnt vmcnt(0)
	v_lshlrev_b32_e32 v6, 23, v5
	v_cmp_ne_u32_e32 vcc_lo, 0xff, v5
	s_delay_alu instid0(VALU_DEP_2) | instskip(NEXT) | instid1(VALU_DEP_1)
	v_cvt_f16_f32_e32 v6, v6
	v_cndmask_b32_e32 v6, 0x7e00, v6, vcc_lo
	v_cmp_ne_u32_e32 vcc_lo, 0, v5
	s_delay_alu instid0(VALU_DEP_2)
	v_cndmask_b32_e32 v6, 0, v6, vcc_lo
	s_branch .LBB265_843
.LBB265_842:
	s_mov_b32 s2, -1
                                        ; implicit-def: $vgpr6
.LBB265_843:
	s_mov_b32 s7, 0
.LBB265_844:
	s_delay_alu instid0(SALU_CYCLE_1)
	s_and_b32 vcc_lo, exec_lo, s7
	s_cbranch_vccz .LBB265_848
; %bb.845:
	v_cmp_eq_u16_e32 vcc_lo, 29, v4
	s_cbranch_vccz .LBB265_847
; %bb.846:
	global_load_b64 v[5:6], v[1:2], off
	s_mov_b32 s2, 0
	s_mov_b32 s6, -1
	s_mov_b32 s7, 0
	s_waitcnt vmcnt(0)
	v_clz_i32_u32_e32 v7, v6
	s_delay_alu instid0(VALU_DEP_1) | instskip(NEXT) | instid1(VALU_DEP_1)
	v_min_u32_e32 v7, 32, v7
	v_lshlrev_b64 v[5:6], v7, v[5:6]
	s_delay_alu instid0(VALU_DEP_1) | instskip(NEXT) | instid1(VALU_DEP_1)
	v_min_u32_e32 v5, 1, v5
	v_or_b32_e32 v5, v6, v5
	v_sub_nc_u32_e32 v6, 32, v7
	s_delay_alu instid0(VALU_DEP_2) | instskip(NEXT) | instid1(VALU_DEP_1)
	v_cvt_f32_u32_e32 v5, v5
	v_ldexp_f32 v5, v5, v6
	s_delay_alu instid0(VALU_DEP_1)
	v_cvt_f16_f32_e32 v6, v5
	s_branch .LBB265_849
.LBB265_847:
	s_mov_b32 s2, -1
                                        ; implicit-def: $vgpr6
.LBB265_848:
	s_mov_b32 s7, 0
.LBB265_849:
	s_delay_alu instid0(SALU_CYCLE_1)
	s_and_b32 vcc_lo, exec_lo, s7
	s_cbranch_vccz .LBB265_867
; %bb.850:
	v_cmp_gt_i16_e32 vcc_lo, 27, v4
	s_cbranch_vccnz .LBB265_853
; %bb.851:
	v_cmp_lt_i16_e32 vcc_lo, 27, v4
	s_cbranch_vccz .LBB265_854
; %bb.852:
	global_load_b32 v5, v[1:2], off
	s_mov_b32 s6, 0
	s_waitcnt vmcnt(0)
	v_cvt_f32_u32_e32 v5, v5
	s_delay_alu instid0(VALU_DEP_1)
	v_cvt_f16_f32_e32 v6, v5
	s_branch .LBB265_855
.LBB265_853:
	s_mov_b32 s6, -1
                                        ; implicit-def: $vgpr6
	s_branch .LBB265_858
.LBB265_854:
	s_mov_b32 s6, -1
                                        ; implicit-def: $vgpr6
.LBB265_855:
	s_delay_alu instid0(SALU_CYCLE_1)
	s_and_not1_b32 vcc_lo, exec_lo, s6
	s_cbranch_vccnz .LBB265_857
; %bb.856:
	global_load_u16 v5, v[1:2], off
	s_waitcnt vmcnt(0)
	v_cvt_f16_u16_e32 v6, v5
.LBB265_857:
	s_mov_b32 s6, 0
.LBB265_858:
	s_delay_alu instid0(SALU_CYCLE_1)
	s_and_not1_b32 vcc_lo, exec_lo, s6
	s_cbranch_vccnz .LBB265_866
; %bb.859:
	global_load_u8 v5, v[1:2], off
	s_mov_b32 s6, 0
	s_mov_b32 s8, exec_lo
                                        ; implicit-def: $sgpr7
	s_waitcnt vmcnt(0)
	v_cmpx_lt_i16_e32 0x7f, v5
	s_xor_b32 s8, exec_lo, s8
	s_cbranch_execz .LBB265_880
; %bb.860:
	s_mov_b32 s6, -1
	s_mov_b32 s9, exec_lo
                                        ; implicit-def: $sgpr7
	v_cmpx_eq_u16_e32 0x80, v5
; %bb.861:
	s_movk_i32 s7, 0x7e00
	s_xor_b32 s6, exec_lo, -1
; %bb.862:
	s_or_b32 exec_lo, exec_lo, s9
	s_delay_alu instid0(SALU_CYCLE_1)
	s_and_b32 s6, s6, exec_lo
	s_or_saveexec_b32 s8, s8
	v_mov_b32_e32 v6, s7
	s_xor_b32 exec_lo, exec_lo, s8
	s_cbranch_execnz .LBB265_881
.LBB265_863:
	s_or_b32 exec_lo, exec_lo, s8
	s_and_saveexec_b32 s7, s6
	s_cbranch_execz .LBB265_865
.LBB265_864:
	v_and_b32_e32 v6, 0xffff, v5
	v_lshlrev_b32_e32 v5, 24, v5
	s_delay_alu instid0(VALU_DEP_2) | instskip(NEXT) | instid1(VALU_DEP_2)
	v_and_b32_e32 v7, 7, v6
	v_and_b32_e32 v5, 0x80000000, v5
	s_delay_alu instid0(VALU_DEP_2) | instskip(NEXT) | instid1(VALU_DEP_1)
	v_clz_i32_u32_e32 v8, v7
	v_min_u32_e32 v8, 32, v8
	s_delay_alu instid0(VALU_DEP_1) | instskip(SKIP_1) | instid1(VALU_DEP_2)
	v_subrev_nc_u32_e32 v9, 28, v8
	v_sub_nc_u32_e32 v8, 29, v8
	v_lshlrev_b32_e32 v9, v9, v6
	v_bfe_u32 v6, v6, 3, 4
	s_delay_alu instid0(VALU_DEP_2) | instskip(NEXT) | instid1(VALU_DEP_2)
	v_and_b32_e32 v9, 7, v9
	v_cmp_eq_u32_e32 vcc_lo, 0, v6
	s_delay_alu instid0(VALU_DEP_2) | instskip(NEXT) | instid1(VALU_DEP_1)
	v_dual_cndmask_b32 v6, v6, v8 :: v_dual_cndmask_b32 v7, v7, v9
	v_lshl_add_u32 v6, v6, 23, 0x3b800000
	s_delay_alu instid0(VALU_DEP_2) | instskip(NEXT) | instid1(VALU_DEP_1)
	v_lshlrev_b32_e32 v7, 20, v7
	v_or3_b32 v5, v5, v6, v7
	s_delay_alu instid0(VALU_DEP_1)
	v_cvt_f16_f32_e32 v6, v5
.LBB265_865:
	s_or_b32 exec_lo, exec_lo, s7
.LBB265_866:
	s_mov_b32 s6, -1
.LBB265_867:
	s_mov_b32 s7, 0
.LBB265_868:
	s_delay_alu instid0(SALU_CYCLE_1)
	s_and_b32 vcc_lo, exec_lo, s7
	s_cbranch_vccz .LBB265_901
; %bb.869:
	v_cmp_lt_i16_e32 vcc_lo, 22, v4
	s_cbranch_vccz .LBB265_879
; %bb.870:
	v_cmp_gt_i16_e32 vcc_lo, 24, v4
	s_cbranch_vccnz .LBB265_882
; %bb.871:
	v_cmp_lt_i16_e32 vcc_lo, 24, v4
	s_cbranch_vccz .LBB265_883
; %bb.872:
	global_load_u8 v5, v[1:2], off
	s_mov_b32 s7, exec_lo
                                        ; implicit-def: $sgpr6
	s_waitcnt vmcnt(0)
	v_cmpx_lt_i16_e32 0x7f, v5
	s_xor_b32 s7, exec_lo, s7
	s_cbranch_execz .LBB265_895
; %bb.873:
	s_mov_b32 s3, -1
	s_mov_b32 s8, exec_lo
                                        ; implicit-def: $sgpr6
	v_cmpx_eq_u16_e32 0x80, v5
; %bb.874:
	s_movk_i32 s6, 0x7e00
	s_xor_b32 s3, exec_lo, -1
; %bb.875:
	s_or_b32 exec_lo, exec_lo, s8
	s_delay_alu instid0(SALU_CYCLE_1)
	s_and_b32 s3, s3, exec_lo
	s_or_saveexec_b32 s7, s7
	v_mov_b32_e32 v6, s6
	s_xor_b32 exec_lo, exec_lo, s7
	s_cbranch_execnz .LBB265_896
.LBB265_876:
	s_or_b32 exec_lo, exec_lo, s7
	s_and_saveexec_b32 s6, s3
	s_cbranch_execz .LBB265_878
.LBB265_877:
	v_and_b32_e32 v6, 0xffff, v5
	v_lshlrev_b32_e32 v5, 24, v5
	s_delay_alu instid0(VALU_DEP_2) | instskip(NEXT) | instid1(VALU_DEP_2)
	v_and_b32_e32 v7, 3, v6
	v_and_b32_e32 v5, 0x80000000, v5
	s_delay_alu instid0(VALU_DEP_2) | instskip(NEXT) | instid1(VALU_DEP_1)
	v_clz_i32_u32_e32 v8, v7
	v_min_u32_e32 v8, 32, v8
	s_delay_alu instid0(VALU_DEP_1) | instskip(SKIP_1) | instid1(VALU_DEP_2)
	v_subrev_nc_u32_e32 v9, 29, v8
	v_sub_nc_u32_e32 v8, 30, v8
	v_lshlrev_b32_e32 v9, v9, v6
	v_bfe_u32 v6, v6, 2, 5
	s_delay_alu instid0(VALU_DEP_2) | instskip(NEXT) | instid1(VALU_DEP_2)
	v_and_b32_e32 v9, 3, v9
	v_cmp_eq_u32_e32 vcc_lo, 0, v6
	s_delay_alu instid0(VALU_DEP_2) | instskip(NEXT) | instid1(VALU_DEP_1)
	v_dual_cndmask_b32 v6, v6, v8 :: v_dual_cndmask_b32 v7, v7, v9
	v_lshl_add_u32 v6, v6, 23, 0x37800000
	s_delay_alu instid0(VALU_DEP_2) | instskip(NEXT) | instid1(VALU_DEP_1)
	v_lshlrev_b32_e32 v7, 21, v7
	v_or3_b32 v5, v5, v6, v7
	s_delay_alu instid0(VALU_DEP_1)
	v_cvt_f16_f32_e32 v6, v5
.LBB265_878:
	s_or_b32 exec_lo, exec_lo, s6
	s_mov_b32 s3, 0
	s_branch .LBB265_884
.LBB265_879:
	s_mov_b32 s3, -1
                                        ; implicit-def: $vgpr6
	s_branch .LBB265_890
.LBB265_880:
	s_or_saveexec_b32 s8, s8
	v_mov_b32_e32 v6, s7
	s_xor_b32 exec_lo, exec_lo, s8
	s_cbranch_execz .LBB265_863
.LBB265_881:
	v_cmp_ne_u16_e32 vcc_lo, 0, v5
	v_mov_b32_e32 v6, v5
	s_and_not1_b32 s6, s6, exec_lo
	s_and_b32 s7, vcc_lo, exec_lo
	s_delay_alu instid0(SALU_CYCLE_1)
	s_or_b32 s6, s6, s7
	s_or_b32 exec_lo, exec_lo, s8
	s_and_saveexec_b32 s7, s6
	s_cbranch_execnz .LBB265_864
	s_branch .LBB265_865
.LBB265_882:
	s_mov_b32 s3, -1
                                        ; implicit-def: $vgpr6
	s_branch .LBB265_887
.LBB265_883:
	s_mov_b32 s3, -1
                                        ; implicit-def: $vgpr6
.LBB265_884:
	s_delay_alu instid0(SALU_CYCLE_1)
	s_and_b32 vcc_lo, exec_lo, s3
	s_cbranch_vccz .LBB265_886
; %bb.885:
	global_load_u8 v5, v[1:2], off
	s_waitcnt vmcnt(0)
	v_lshlrev_b32_e32 v5, 24, v5
	s_delay_alu instid0(VALU_DEP_1) | instskip(NEXT) | instid1(VALU_DEP_1)
	v_and_b32_e32 v6, 0x7f000000, v5
	v_clz_i32_u32_e32 v7, v6
	v_add_nc_u32_e32 v9, 0x1000000, v6
	v_cmp_ne_u32_e32 vcc_lo, 0, v6
	s_delay_alu instid0(VALU_DEP_3) | instskip(NEXT) | instid1(VALU_DEP_1)
	v_min_u32_e32 v7, 32, v7
	v_sub_nc_u32_e64 v7, v7, 4 clamp
	s_delay_alu instid0(VALU_DEP_1) | instskip(SKIP_1) | instid1(VALU_DEP_2)
	v_lshlrev_b32_e32 v8, v7, v6
	v_lshlrev_b32_e32 v7, 23, v7
	v_lshrrev_b32_e32 v8, 4, v8
	s_delay_alu instid0(VALU_DEP_1) | instskip(SKIP_1) | instid1(VALU_DEP_2)
	v_sub_nc_u32_e32 v7, v8, v7
	v_ashrrev_i32_e32 v8, 8, v9
	v_add_nc_u32_e32 v7, 0x3c000000, v7
	s_delay_alu instid0(VALU_DEP_1) | instskip(NEXT) | instid1(VALU_DEP_1)
	v_and_or_b32 v7, 0x7f800000, v8, v7
	v_cndmask_b32_e32 v6, 0, v7, vcc_lo
	s_delay_alu instid0(VALU_DEP_1) | instskip(NEXT) | instid1(VALU_DEP_1)
	v_and_or_b32 v5, 0x80000000, v5, v6
	v_cvt_f16_f32_e32 v6, v5
.LBB265_886:
	s_mov_b32 s3, 0
.LBB265_887:
	s_delay_alu instid0(SALU_CYCLE_1)
	s_and_not1_b32 vcc_lo, exec_lo, s3
	s_cbranch_vccnz .LBB265_889
; %bb.888:
	global_load_u8 v5, v[1:2], off
	s_waitcnt vmcnt(0)
	v_lshlrev_b32_e32 v6, 25, v5
	v_lshlrev_b16 v5, 8, v5
	s_delay_alu instid0(VALU_DEP_2) | instskip(NEXT) | instid1(VALU_DEP_2)
	v_lshrrev_b32_e32 v7, 4, v6
	v_and_or_b32 v8, 0x7f00, v5, 0.5
	v_bfe_i32 v5, v5, 0, 16
	s_delay_alu instid0(VALU_DEP_3) | instskip(NEXT) | instid1(VALU_DEP_1)
	v_or_b32_e32 v7, 0x70000000, v7
	v_dual_add_f32 v8, -0.5, v8 :: v_dual_mul_f32 v7, 0x7800000, v7
	v_cmp_gt_u32_e32 vcc_lo, 0x8000000, v6
	s_delay_alu instid0(VALU_DEP_2) | instskip(NEXT) | instid1(VALU_DEP_1)
	v_cndmask_b32_e32 v6, v7, v8, vcc_lo
	v_and_or_b32 v5, 0x80000000, v5, v6
	s_delay_alu instid0(VALU_DEP_1)
	v_cvt_f16_f32_e32 v6, v5
.LBB265_889:
	s_mov_b32 s3, 0
	s_mov_b32 s6, -1
.LBB265_890:
	s_and_not1_b32 vcc_lo, exec_lo, s3
	s_mov_b32 s3, 0
	s_cbranch_vccnz .LBB265_901
; %bb.891:
	v_cmp_lt_i16_e32 vcc_lo, 14, v4
	s_cbranch_vccz .LBB265_894
; %bb.892:
	v_cmp_eq_u16_e32 vcc_lo, 15, v4
	s_cbranch_vccz .LBB265_897
; %bb.893:
	global_load_u16 v5, v[1:2], off
	s_mov_b32 s2, 0
	s_mov_b32 s6, -1
	s_waitcnt vmcnt(0)
	v_lshlrev_b32_e32 v5, 16, v5
	s_delay_alu instid0(VALU_DEP_1)
	v_cvt_f16_f32_e32 v6, v5
	s_branch .LBB265_899
.LBB265_894:
	s_mov_b32 s3, -1
	s_branch .LBB265_898
.LBB265_895:
	s_or_saveexec_b32 s7, s7
	v_mov_b32_e32 v6, s6
	s_xor_b32 exec_lo, exec_lo, s7
	s_cbranch_execz .LBB265_876
.LBB265_896:
	v_cmp_ne_u16_e32 vcc_lo, 0, v5
	v_mov_b32_e32 v6, v5
	s_and_not1_b32 s3, s3, exec_lo
	s_and_b32 s6, vcc_lo, exec_lo
	s_delay_alu instid0(SALU_CYCLE_1)
	s_or_b32 s3, s3, s6
	s_or_b32 exec_lo, exec_lo, s7
	s_and_saveexec_b32 s6, s3
	s_cbranch_execnz .LBB265_877
	s_branch .LBB265_878
.LBB265_897:
	s_mov_b32 s2, -1
.LBB265_898:
                                        ; implicit-def: $vgpr6
.LBB265_899:
	s_and_b32 vcc_lo, exec_lo, s3
	s_mov_b32 s3, 0
	s_cbranch_vccz .LBB265_901
; %bb.900:
	v_cmp_ne_u16_e32 vcc_lo, 11, v4
	s_and_not1_b32 s2, s2, exec_lo
	s_mov_b32 s3, -1
                                        ; implicit-def: $vgpr6
	s_and_b32 s7, vcc_lo, exec_lo
	s_delay_alu instid0(SALU_CYCLE_1)
	s_or_b32 s2, s2, s7
.LBB265_901:
	s_mov_b32 s7, 0
.LBB265_902:
	s_and_b32 s41, s6, exec_lo
	s_and_b32 s42, s7, exec_lo
	s_and_not1_b32 s6, s22, exec_lo
	s_and_b32 s7, s2, exec_lo
	s_and_b32 s2, s3, exec_lo
	s_or_b32 s43, s6, s7
.LBB265_903:
	s_or_b32 exec_lo, exec_lo, s30
	s_waitcnt lgkmcnt(0)
	s_and_not1_b32 s6, s22, exec_lo
	s_and_b32 s7, s43, exec_lo
	s_and_b32 s41, s41, exec_lo
	;; [unrolled: 1-line block ×4, first 2 shown]
	s_or_b32 s22, s6, s7
.LBB265_904:
	s_or_b32 exec_lo, exec_lo, s40
	s_waitcnt lgkmcnt(0)
	s_and_not1_b32 s6, s38, exec_lo
	s_and_b32 s7, s23, exec_lo
	s_and_b32 s40, s41, exec_lo
	s_or_b32 s38, s6, s7
	s_and_not1_b32 s6, s37, exec_lo
	s_and_b32 s7, s22, exec_lo
	s_and_b32 s23, s3, exec_lo
	;; [unrolled: 1-line block ×3, first 2 shown]
	s_or_b32 s37, s6, s7
.LBB265_905:
	s_or_b32 exec_lo, exec_lo, s39
	s_delay_alu instid0(SALU_CYCLE_1)
	s_and_not1_b32 s2, s34, exec_lo
	s_waitcnt lgkmcnt(0)
	s_and_b32 s6, s38, exec_lo
	s_and_b32 s7, s37, exec_lo
	s_or_b32 s34, s2, s6
	s_and_not1_b32 s6, s35, exec_lo
	s_and_b32 s2, s40, exec_lo
	s_and_b32 s22, s23, exec_lo
	;; [unrolled: 1-line block ×3, first 2 shown]
	s_or_b32 s35, s6, s7
.LBB265_906:
	s_or_b32 exec_lo, exec_lo, s36
	s_mov_b32 s3, 0
	s_waitcnt lgkmcnt(0)
	s_and_saveexec_b32 s6, s35
	s_cbranch_execnz .LBB265_918
; %bb.907:
	s_or_b32 exec_lo, exec_lo, s6
	s_and_saveexec_b32 s6, s37
	s_delay_alu instid0(SALU_CYCLE_1)
	s_xor_b32 s6, exec_lo, s6
	s_cbranch_execz .LBB265_909
.LBB265_908:
	global_load_u8 v5, v[1:2], off
	s_or_b32 s2, s2, exec_lo
	s_waitcnt vmcnt(0)
	v_cmp_ne_u16_e32 vcc_lo, 0, v5
	v_cndmask_b32_e64 v6, 0, 0x3c00, vcc_lo
.LBB265_909:
	s_or_b32 exec_lo, exec_lo, s6
	s_and_saveexec_b32 s6, s22
	s_cbranch_execz .LBB265_957
; %bb.910:
	v_cmp_gt_i16_e32 vcc_lo, 5, v4
	s_cbranch_vccnz .LBB265_915
; %bb.911:
	v_cmp_gt_i16_e32 vcc_lo, 8, v4
	s_cbranch_vccnz .LBB265_916
	;; [unrolled: 3-line block ×3, first 2 shown]
; %bb.913:
	v_cmp_lt_i16_e32 vcc_lo, 9, v4
	s_cbranch_vccz .LBB265_920
; %bb.914:
	global_load_b64 v[5:6], v[1:2], off
	s_mov_b32 s7, 0
	s_waitcnt vmcnt(0)
	v_cvt_f32_f64_e32 v5, v[5:6]
	s_delay_alu instid0(VALU_DEP_1)
	v_cvt_f16_f32_e32 v6, v5
	s_branch .LBB265_921
.LBB265_915:
                                        ; implicit-def: $vgpr6
	s_branch .LBB265_938
.LBB265_916:
                                        ; implicit-def: $vgpr6
	s_branch .LBB265_927
.LBB265_917:
	s_mov_b32 s7, -1
                                        ; implicit-def: $vgpr6
	s_branch .LBB265_924
.LBB265_918:
	s_cbranch_execnz .LBB265_1188
; %bb.919:
	s_mov_b32 s3, exec_lo
	s_and_not1_b32 s37, s37, exec_lo
                                        ; implicit-def: $vgpr6
	s_or_b32 exec_lo, exec_lo, s6
	s_and_saveexec_b32 s6, s37
	s_delay_alu instid0(SALU_CYCLE_1)
	s_xor_b32 s6, exec_lo, s6
	s_cbranch_execnz .LBB265_908
	s_branch .LBB265_909
.LBB265_920:
	s_mov_b32 s7, -1
                                        ; implicit-def: $vgpr6
.LBB265_921:
	s_delay_alu instid0(SALU_CYCLE_1)
	s_and_not1_b32 vcc_lo, exec_lo, s7
	s_cbranch_vccnz .LBB265_923
; %bb.922:
	global_load_b32 v5, v[1:2], off
	s_waitcnt vmcnt(0)
	v_cvt_f16_f32_e32 v6, v5
.LBB265_923:
	s_mov_b32 s7, 0
.LBB265_924:
	s_delay_alu instid0(SALU_CYCLE_1)
	s_and_not1_b32 vcc_lo, exec_lo, s7
	s_cbranch_vccnz .LBB265_926
; %bb.925:
	global_load_b32 v6, v[1:2], off
.LBB265_926:
	s_cbranch_execnz .LBB265_937
.LBB265_927:
	v_cmp_gt_i16_e32 vcc_lo, 6, v4
	s_cbranch_vccnz .LBB265_930
; %bb.928:
	v_cmp_lt_i16_e32 vcc_lo, 6, v4
	s_cbranch_vccz .LBB265_931
; %bb.929:
	global_load_b64 v[5:6], v[1:2], off
	s_mov_b32 s7, 0
	s_waitcnt vmcnt(0)
	v_cvt_f32_f64_e32 v5, v[5:6]
	s_delay_alu instid0(VALU_DEP_1)
	v_cvt_f16_f32_e32 v6, v5
	s_branch .LBB265_932
.LBB265_930:
	s_mov_b32 s7, -1
                                        ; implicit-def: $vgpr6
	s_branch .LBB265_935
.LBB265_931:
	s_mov_b32 s7, -1
                                        ; implicit-def: $vgpr6
.LBB265_932:
	s_delay_alu instid0(SALU_CYCLE_1)
	s_and_not1_b32 vcc_lo, exec_lo, s7
	s_cbranch_vccnz .LBB265_934
; %bb.933:
	global_load_b32 v5, v[1:2], off
	s_waitcnt vmcnt(0)
	v_cvt_f16_f32_e32 v6, v5
.LBB265_934:
	s_mov_b32 s7, 0
.LBB265_935:
	s_delay_alu instid0(SALU_CYCLE_1)
	s_and_not1_b32 vcc_lo, exec_lo, s7
	s_cbranch_vccnz .LBB265_937
; %bb.936:
	global_load_u16 v6, v[1:2], off
.LBB265_937:
	s_cbranch_execnz .LBB265_956
.LBB265_938:
	v_cmp_gt_i16_e32 vcc_lo, 2, v4
	s_cbranch_vccnz .LBB265_942
; %bb.939:
	v_cmp_gt_i16_e32 vcc_lo, 3, v4
	s_cbranch_vccnz .LBB265_943
; %bb.940:
	v_cmp_lt_i16_e32 vcc_lo, 3, v4
	s_cbranch_vccz .LBB265_944
; %bb.941:
	global_load_b64 v[5:6], v[1:2], off
	s_mov_b32 s7, 0
	s_waitcnt vmcnt(0)
	v_xor_b32_e32 v7, v5, v6
	v_cls_i32_e32 v8, v6
	s_delay_alu instid0(VALU_DEP_2) | instskip(NEXT) | instid1(VALU_DEP_2)
	v_ashrrev_i32_e32 v7, 31, v7
	v_add_nc_u32_e32 v8, -1, v8
	s_delay_alu instid0(VALU_DEP_2) | instskip(NEXT) | instid1(VALU_DEP_1)
	v_add_nc_u32_e32 v7, 32, v7
	v_min_u32_e32 v7, v8, v7
	s_delay_alu instid0(VALU_DEP_1) | instskip(NEXT) | instid1(VALU_DEP_1)
	v_lshlrev_b64 v[5:6], v7, v[5:6]
	v_min_u32_e32 v5, 1, v5
	s_delay_alu instid0(VALU_DEP_1) | instskip(SKIP_1) | instid1(VALU_DEP_2)
	v_or_b32_e32 v5, v6, v5
	v_sub_nc_u32_e32 v6, 32, v7
	v_cvt_f32_i32_e32 v5, v5
	s_delay_alu instid0(VALU_DEP_1) | instskip(NEXT) | instid1(VALU_DEP_1)
	v_ldexp_f32 v5, v5, v6
	v_cvt_f16_f32_e32 v6, v5
	s_branch .LBB265_945
.LBB265_942:
                                        ; implicit-def: $vgpr6
	s_branch .LBB265_951
.LBB265_943:
	s_mov_b32 s7, -1
                                        ; implicit-def: $vgpr6
	s_branch .LBB265_948
.LBB265_944:
	s_mov_b32 s7, -1
                                        ; implicit-def: $vgpr6
.LBB265_945:
	s_delay_alu instid0(SALU_CYCLE_1)
	s_and_not1_b32 vcc_lo, exec_lo, s7
	s_cbranch_vccnz .LBB265_947
; %bb.946:
	global_load_b32 v5, v[1:2], off
	s_waitcnt vmcnt(0)
	v_cvt_f32_i32_e32 v5, v5
	s_delay_alu instid0(VALU_DEP_1)
	v_cvt_f16_f32_e32 v6, v5
.LBB265_947:
	s_mov_b32 s7, 0
.LBB265_948:
	s_delay_alu instid0(SALU_CYCLE_1)
	s_and_not1_b32 vcc_lo, exec_lo, s7
	s_cbranch_vccnz .LBB265_950
; %bb.949:
	global_load_u16 v5, v[1:2], off
	s_waitcnt vmcnt(0)
	v_cvt_f16_i16_e32 v6, v5
.LBB265_950:
	s_cbranch_execnz .LBB265_956
.LBB265_951:
	v_cmp_lt_i16_e32 vcc_lo, 0, v4
	s_mov_b32 s7, 0
	s_cbranch_vccz .LBB265_953
; %bb.952:
	global_load_i8 v4, v[1:2], off
	s_waitcnt vmcnt(0)
	v_cvt_f16_i16_e32 v6, v4
	s_branch .LBB265_954
.LBB265_953:
	s_mov_b32 s7, -1
                                        ; implicit-def: $vgpr6
.LBB265_954:
	s_delay_alu instid0(SALU_CYCLE_1)
	s_and_not1_b32 vcc_lo, exec_lo, s7
	s_cbranch_vccnz .LBB265_956
; %bb.955:
	global_load_u8 v1, v[1:2], off
	s_waitcnt vmcnt(0)
	v_cvt_f16_u16_e32 v6, v1
.LBB265_956:
	s_or_b32 s2, s2, exec_lo
.LBB265_957:
	s_or_b32 exec_lo, exec_lo, s6
	s_mov_b32 s8, 0
	s_mov_b32 s7, 0
                                        ; implicit-def: $vgpr5
                                        ; implicit-def: $vgpr1_vgpr2
                                        ; implicit-def: $vgpr4
	s_and_saveexec_b32 s6, s2
	s_cbranch_execz .LBB265_1034
; %bb.958:
	s_waitcnt vmcnt(0)
	v_cvt_f32_f16_e32 v1, v6
	s_delay_alu instid0(VALU_DEP_1) | instskip(SKIP_1) | instid1(VALU_DEP_2)
	v_mul_f32_e32 v2, 0x4f800000, v1
	v_cmp_gt_f32_e32 vcc_lo, 0xf800000, v1
	v_cndmask_b32_e32 v1, v1, v2, vcc_lo
	s_delay_alu instid0(VALU_DEP_1) | instskip(SKIP_3) | instid1(VALU_DEP_1)
	v_rsq_f32_e32 v2, v1
	s_waitcnt_depctr 0xfff
	v_mul_f32_e32 v4, v1, v2
	v_mul_f32_e32 v2, 0.5, v2
	v_fma_f32 v5, -v2, v4, 0.5
	s_delay_alu instid0(VALU_DEP_1) | instskip(SKIP_2) | instid1(VALU_DEP_3)
	v_fmac_f32_e32 v4, v4, v5
	v_fmac_f32_e32 v2, v2, v5
	v_cmp_class_f32_e64 s2, v1, 0x260
	v_fma_f32 v5, -v4, v4, v1
	s_delay_alu instid0(VALU_DEP_1) | instskip(NEXT) | instid1(VALU_DEP_1)
	v_dual_fmac_f32 v4, v5, v2 :: v_dual_and_b32 v5, 0xff, v3
	v_mul_f32_e32 v2, 0x37800000, v4
	s_delay_alu instid0(VALU_DEP_1) | instskip(NEXT) | instid1(VALU_DEP_3)
	v_cndmask_b32_e32 v2, v4, v2, vcc_lo
	v_cmp_gt_i16_e32 vcc_lo, 11, v5
	s_delay_alu instid0(VALU_DEP_2) | instskip(SKIP_1) | instid1(VALU_DEP_1)
	v_cndmask_b32_e64 v3, v2, v1, s2
	v_add_co_u32 v1, s2, s4, v0
	v_add_co_ci_u32_e64 v2, null, s5, 0, s2
	s_delay_alu instid0(VALU_DEP_3)
	v_cvt_f16_f32_e32 v4, v3
	s_mov_b32 s4, -1
	s_mov_b32 s2, s34
	s_cbranch_vccnz .LBB265_1033
; %bb.959:
	v_cmp_lt_i16_e32 vcc_lo, 25, v5
	s_mov_b32 s2, s34
	s_cbranch_vccz .LBB265_992
; %bb.960:
	v_cmp_lt_i16_e32 vcc_lo, 28, v5
	s_mov_b32 s2, s34
	s_cbranch_vccz .LBB265_976
	;; [unrolled: 4-line block ×4, first 2 shown]
; %bb.963:
	v_cmp_eq_u16_e32 vcc_lo, 46, v5
	s_mov_b32 s2, -1
	s_cbranch_vccz .LBB265_965
; %bb.964:
	v_cvt_f32_f16_e32 v0, v4
	v_cmp_o_f16_e32 vcc_lo, v4, v4
	s_mov_b32 s2, 0
	s_delay_alu instid0(VALU_DEP_2) | instskip(NEXT) | instid1(VALU_DEP_1)
	v_bfe_u32 v3, v0, 16, 1
	v_add3_u32 v0, v0, v3, 0x7fff
	s_delay_alu instid0(VALU_DEP_1) | instskip(NEXT) | instid1(VALU_DEP_1)
	v_lshrrev_b32_e32 v0, 16, v0
	v_cndmask_b32_e32 v0, 0x7fc0, v0, vcc_lo
	global_store_b32 v[1:2], v0, off
.LBB265_965:
	s_mov_b32 s4, 0
.LBB265_966:
	s_delay_alu instid0(SALU_CYCLE_1)
	s_and_b32 vcc_lo, exec_lo, s4
	s_cbranch_vccz .LBB265_971
; %bb.967:
	v_cmp_eq_u16_e32 vcc_lo, 44, v5
	s_mov_b32 s2, -1
	s_cbranch_vccz .LBB265_971
; %bb.968:
	v_cvt_f32_f16_e32 v0, v4
	v_mov_b32_e32 v3, 0xff
	s_mov_b32 s4, exec_lo
	s_delay_alu instid0(VALU_DEP_2) | instskip(NEXT) | instid1(VALU_DEP_1)
	v_bfe_u32 v6, v0, 23, 8
	v_cmpx_ne_u32_e32 0xff, v6
; %bb.969:
	v_and_b32_e32 v3, 0x400000, v0
	v_and_or_b32 v6, 0x3fffff, v0, v6
	v_lshrrev_b32_e32 v0, 23, v0
	s_delay_alu instid0(VALU_DEP_3) | instskip(NEXT) | instid1(VALU_DEP_3)
	v_cmp_ne_u32_e32 vcc_lo, 0, v3
	v_cmp_ne_u32_e64 s2, 0, v6
	s_delay_alu instid0(VALU_DEP_1) | instskip(NEXT) | instid1(SALU_CYCLE_1)
	s_and_b32 s2, vcc_lo, s2
	v_cndmask_b32_e64 v3, 0, 1, s2
	s_delay_alu instid0(VALU_DEP_1)
	v_add_nc_u32_e32 v3, v0, v3
; %bb.970:
	s_or_b32 exec_lo, exec_lo, s4
	s_mov_b32 s2, 0
	global_store_b8 v[1:2], v3, off
.LBB265_971:
	s_mov_b32 s4, 0
.LBB265_972:
	s_delay_alu instid0(SALU_CYCLE_1)
	s_and_b32 vcc_lo, exec_lo, s4
	s_cbranch_vccz .LBB265_975
; %bb.973:
	v_cmp_eq_u16_e32 vcc_lo, 29, v5
	s_mov_b32 s2, -1
	s_cbranch_vccz .LBB265_975
; %bb.974:
	v_cvt_f32_f16_e32 v0, v4
	v_mov_b32_e32 v7, 0
	s_mov_b32 s2, 0
	s_delay_alu instid0(VALU_DEP_2)
	v_cvt_u32_f32_e32 v6, v0
	global_store_b64 v[1:2], v[6:7], off
.LBB265_975:
	s_mov_b32 s4, 0
.LBB265_976:
	s_delay_alu instid0(SALU_CYCLE_1)
	s_and_b32 vcc_lo, exec_lo, s4
	s_cbranch_vccz .LBB265_991
; %bb.977:
	v_cmp_gt_i16_e32 vcc_lo, 27, v5
	s_mov_b32 s4, -1
	s_cbranch_vccnz .LBB265_983
; %bb.978:
	v_cmp_lt_i16_e32 vcc_lo, 27, v5
	s_cbranch_vccz .LBB265_980
; %bb.979:
	v_cvt_f32_f16_e32 v0, v4
	s_mov_b32 s4, 0
	s_delay_alu instid0(VALU_DEP_1)
	v_cvt_u32_f32_e32 v0, v0
	global_store_b32 v[1:2], v0, off
.LBB265_980:
	s_and_not1_b32 vcc_lo, exec_lo, s4
	s_cbranch_vccnz .LBB265_982
; %bb.981:
	v_cvt_u16_f16_e32 v0, v4
	global_store_b16 v[1:2], v0, off
.LBB265_982:
	s_mov_b32 s4, 0
.LBB265_983:
	s_delay_alu instid0(SALU_CYCLE_1)
	s_and_not1_b32 vcc_lo, exec_lo, s4
	s_cbranch_vccnz .LBB265_991
; %bb.984:
	v_cvt_f32_f16_e32 v0, v4
	v_mov_b32_e32 v6, 0x80
	s_mov_b32 s4, exec_lo
	s_delay_alu instid0(VALU_DEP_2) | instskip(NEXT) | instid1(VALU_DEP_1)
	v_and_b32_e32 v3, 0x7fffffff, v0
	v_cmpx_gt_u32_e32 0x43800000, v3
	s_cbranch_execz .LBB265_990
; %bb.985:
	v_cmp_lt_u32_e32 vcc_lo, 0x3bffffff, v3
	s_mov_b32 s5, 0
                                        ; implicit-def: $vgpr3
	s_and_saveexec_b32 s7, vcc_lo
	s_delay_alu instid0(SALU_CYCLE_1)
	s_xor_b32 s7, exec_lo, s7
	s_cbranch_execz .LBB265_1279
; %bb.986:
	v_bfe_u32 v3, v0, 20, 1
	s_mov_b32 s5, exec_lo
	s_delay_alu instid0(VALU_DEP_1) | instskip(NEXT) | instid1(VALU_DEP_1)
	v_add3_u32 v3, v0, v3, 0x487ffff
	v_lshrrev_b32_e32 v3, 20, v3
	s_or_saveexec_b32 s7, s7
                                        ; implicit-def: $sgpr8
	s_delay_alu instid0(SALU_CYCLE_1)
	s_xor_b32 exec_lo, exec_lo, s7
	s_cbranch_execnz .LBB265_1280
.LBB265_987:
	s_or_b32 exec_lo, exec_lo, s7
	v_mov_b32_e32 v6, s8
	s_and_saveexec_b32 s7, s5
.LBB265_988:
	v_lshrrev_b32_e32 v0, 24, v0
	s_delay_alu instid0(VALU_DEP_1)
	v_and_or_b32 v6, 0x80, v0, v3
.LBB265_989:
	s_or_b32 exec_lo, exec_lo, s7
.LBB265_990:
	s_delay_alu instid0(SALU_CYCLE_1)
	s_or_b32 exec_lo, exec_lo, s4
	global_store_b8 v[1:2], v6, off
.LBB265_991:
	s_mov_b32 s4, 0
.LBB265_992:
	s_delay_alu instid0(SALU_CYCLE_1)
	s_and_b32 vcc_lo, exec_lo, s4
	s_mov_b32 s4, 0
	s_cbranch_vccz .LBB265_1032
; %bb.993:
	v_cmp_lt_i16_e32 vcc_lo, 22, v5
	s_mov_b32 s5, -1
	s_cbranch_vccz .LBB265_1025
; %bb.994:
	v_cmp_gt_i16_e32 vcc_lo, 24, v5
	s_cbranch_vccnz .LBB265_1014
; %bb.995:
	v_cmp_lt_i16_e32 vcc_lo, 24, v5
	s_cbranch_vccz .LBB265_1003
; %bb.996:
	v_cvt_f32_f16_e32 v0, v4
	v_mov_b32_e32 v6, 0x80
	s_mov_b32 s5, exec_lo
	s_delay_alu instid0(VALU_DEP_2) | instskip(NEXT) | instid1(VALU_DEP_1)
	v_and_b32_e32 v3, 0x7fffffff, v0
	v_cmpx_gt_u32_e32 0x47800000, v3
	s_cbranch_execz .LBB265_1002
; %bb.997:
	v_cmp_lt_u32_e32 vcc_lo, 0x37ffffff, v3
	s_mov_b32 s7, 0
                                        ; implicit-def: $vgpr3
	s_and_saveexec_b32 s8, vcc_lo
	s_delay_alu instid0(SALU_CYCLE_1)
	s_xor_b32 s8, exec_lo, s8
	s_cbranch_execz .LBB265_1323
; %bb.998:
	v_bfe_u32 v3, v0, 21, 1
	s_mov_b32 s7, exec_lo
	s_delay_alu instid0(VALU_DEP_1) | instskip(NEXT) | instid1(VALU_DEP_1)
	v_add3_u32 v3, v0, v3, 0x88fffff
	v_lshrrev_b32_e32 v3, 21, v3
	s_or_saveexec_b32 s8, s8
                                        ; implicit-def: $sgpr9
	s_delay_alu instid0(SALU_CYCLE_1)
	s_xor_b32 exec_lo, exec_lo, s8
	s_cbranch_execnz .LBB265_1324
.LBB265_999:
	s_or_b32 exec_lo, exec_lo, s8
	v_mov_b32_e32 v6, s9
	s_and_saveexec_b32 s8, s7
.LBB265_1000:
	v_lshrrev_b32_e32 v0, 24, v0
	s_delay_alu instid0(VALU_DEP_1)
	v_and_or_b32 v6, 0x80, v0, v3
.LBB265_1001:
	s_or_b32 exec_lo, exec_lo, s8
.LBB265_1002:
	s_delay_alu instid0(SALU_CYCLE_1)
	s_or_b32 exec_lo, exec_lo, s5
	s_mov_b32 s5, 0
	global_store_b8 v[1:2], v6, off
.LBB265_1003:
	s_and_b32 vcc_lo, exec_lo, s5
	s_cbranch_vccz .LBB265_1013
; %bb.1004:
	v_cvt_f32_f16_e32 v0, v4
	s_mov_b32 s5, exec_lo
                                        ; implicit-def: $vgpr3
	s_delay_alu instid0(VALU_DEP_1) | instskip(NEXT) | instid1(VALU_DEP_1)
	v_and_b32_e32 v6, 0x7fffffff, v0
	v_cmpx_gt_u32_e32 0x43f00000, v6
	s_xor_b32 s5, exec_lo, s5
	s_cbranch_execz .LBB265_1010
; %bb.1005:
	s_mov_b32 s7, exec_lo
                                        ; implicit-def: $vgpr3
	v_cmpx_lt_u32_e32 0x3c7fffff, v6
	s_xor_b32 s7, exec_lo, s7
; %bb.1006:
	v_bfe_u32 v3, v0, 20, 1
	s_delay_alu instid0(VALU_DEP_1) | instskip(NEXT) | instid1(VALU_DEP_1)
	v_add3_u32 v3, v0, v3, 0x407ffff
	v_and_b32_e32 v6, 0xff00000, v3
	v_lshrrev_b32_e32 v3, 20, v3
	s_delay_alu instid0(VALU_DEP_2) | instskip(NEXT) | instid1(VALU_DEP_2)
	v_cmp_ne_u32_e32 vcc_lo, 0x7f00000, v6
	v_cndmask_b32_e32 v3, 0x7e, v3, vcc_lo
; %bb.1007:
	s_and_not1_saveexec_b32 s7, s7
; %bb.1008:
	v_add_f32_e64 v3, 0x46800000, |v0|
; %bb.1009:
	s_or_b32 exec_lo, exec_lo, s7
                                        ; implicit-def: $vgpr6
.LBB265_1010:
	s_and_not1_saveexec_b32 s5, s5
; %bb.1011:
	v_mov_b32_e32 v3, 0x7f
	v_cmp_lt_u32_e32 vcc_lo, 0x7f800000, v6
	s_delay_alu instid0(VALU_DEP_2)
	v_cndmask_b32_e32 v3, 0x7e, v3, vcc_lo
; %bb.1012:
	s_or_b32 exec_lo, exec_lo, s5
	v_lshrrev_b32_e32 v0, 24, v0
	s_delay_alu instid0(VALU_DEP_1)
	v_and_or_b32 v0, 0x80, v0, v3
	global_store_b8 v[1:2], v0, off
.LBB265_1013:
	s_mov_b32 s5, 0
.LBB265_1014:
	s_delay_alu instid0(SALU_CYCLE_1)
	s_and_not1_b32 vcc_lo, exec_lo, s5
	s_cbranch_vccnz .LBB265_1024
; %bb.1015:
	v_cvt_f32_f16_e32 v0, v4
	s_mov_b32 s5, exec_lo
                                        ; implicit-def: $vgpr3
	s_delay_alu instid0(VALU_DEP_1) | instskip(NEXT) | instid1(VALU_DEP_1)
	v_and_b32_e32 v6, 0x7fffffff, v0
	v_cmpx_gt_u32_e32 0x47800000, v6
	s_xor_b32 s5, exec_lo, s5
	s_cbranch_execz .LBB265_1021
; %bb.1016:
	s_mov_b32 s7, exec_lo
                                        ; implicit-def: $vgpr3
	v_cmpx_lt_u32_e32 0x387fffff, v6
	s_xor_b32 s7, exec_lo, s7
; %bb.1017:
	v_bfe_u32 v3, v0, 21, 1
	s_delay_alu instid0(VALU_DEP_1) | instskip(NEXT) | instid1(VALU_DEP_1)
	v_add3_u32 v3, v0, v3, 0x80fffff
	v_lshrrev_b32_e32 v3, 21, v3
; %bb.1018:
	s_and_not1_saveexec_b32 s7, s7
; %bb.1019:
	v_add_f32_e64 v3, 0x43000000, |v0|
; %bb.1020:
	s_or_b32 exec_lo, exec_lo, s7
                                        ; implicit-def: $vgpr6
.LBB265_1021:
	s_and_not1_saveexec_b32 s5, s5
; %bb.1022:
	v_mov_b32_e32 v3, 0x7f
	v_cmp_lt_u32_e32 vcc_lo, 0x7f800000, v6
	s_delay_alu instid0(VALU_DEP_2)
	v_cndmask_b32_e32 v3, 0x7c, v3, vcc_lo
; %bb.1023:
	s_or_b32 exec_lo, exec_lo, s5
	v_lshrrev_b32_e32 v0, 24, v0
	s_delay_alu instid0(VALU_DEP_1)
	v_and_or_b32 v0, 0x80, v0, v3
	global_store_b8 v[1:2], v0, off
.LBB265_1024:
	s_mov_b32 s5, 0
.LBB265_1025:
	s_delay_alu instid0(SALU_CYCLE_1)
	s_and_not1_b32 vcc_lo, exec_lo, s5
	s_mov_b32 s8, 0
	s_cbranch_vccnz .LBB265_1033
; %bb.1026:
	v_cmp_lt_i16_e32 vcc_lo, 14, v5
	s_mov_b32 s5, -1
	s_cbranch_vccz .LBB265_1030
; %bb.1027:
	v_cmp_eq_u16_e32 vcc_lo, 15, v5
	s_mov_b32 s2, -1
	s_cbranch_vccz .LBB265_1029
; %bb.1028:
	v_cvt_f32_f16_e32 v0, v4
	v_cmp_o_f16_e32 vcc_lo, v4, v4
	s_mov_b32 s2, 0
	s_delay_alu instid0(VALU_DEP_2) | instskip(NEXT) | instid1(VALU_DEP_1)
	v_bfe_u32 v3, v0, 16, 1
	v_add3_u32 v0, v0, v3, 0x7fff
	s_delay_alu instid0(VALU_DEP_1) | instskip(NEXT) | instid1(VALU_DEP_1)
	v_lshrrev_b32_e32 v0, 16, v0
	v_cndmask_b32_e32 v0, 0x7fc0, v0, vcc_lo
	global_store_b16 v[1:2], v0, off
.LBB265_1029:
	s_mov_b32 s5, 0
.LBB265_1030:
	s_delay_alu instid0(SALU_CYCLE_1)
	s_and_b32 vcc_lo, exec_lo, s5
	s_cbranch_vccz .LBB265_1033
; %bb.1031:
	v_cmp_ne_u16_e32 vcc_lo, 11, v5
	s_and_not1_b32 s2, s2, exec_lo
	s_mov_b32 s8, -1
	s_and_b32 s5, vcc_lo, exec_lo
	s_delay_alu instid0(SALU_CYCLE_1)
	s_or_b32 s2, s2, s5
	s_branch .LBB265_1033
.LBB265_1032:
	s_mov_b32 s8, 0
.LBB265_1033:
	s_and_b32 s7, s4, exec_lo
	s_and_not1_b32 s4, s34, exec_lo
	s_and_b32 s2, s2, exec_lo
	s_and_b32 s8, s8, exec_lo
	s_or_b32 s34, s4, s2
.LBB265_1034:
	s_or_b32 exec_lo, exec_lo, s6
	s_and_saveexec_b32 s2, s34
	s_cbranch_execnz .LBB265_1148
; %bb.1035:
	s_or_b32 exec_lo, exec_lo, s2
	s_and_saveexec_b32 s2, s8
	s_delay_alu instid0(SALU_CYCLE_1)
	s_xor_b32 s2, exec_lo, s2
	s_cbranch_execz .LBB265_1037
.LBB265_1036:
	v_cmp_neq_f16_e32 vcc_lo, 0, v4
	v_cndmask_b32_e64 v0, 0, 1, vcc_lo
	global_store_b8 v[1:2], v0, off
.LBB265_1037:
	s_or_b32 exec_lo, exec_lo, s2
	s_and_saveexec_b32 s2, s7
	s_delay_alu instid0(SALU_CYCLE_1)
	s_xor_b32 s2, exec_lo, s2
	s_cbranch_execz .LBB265_1075
; %bb.1038:
	v_cmp_gt_i16_e32 vcc_lo, 5, v5
	s_mov_b32 s4, -1
	s_cbranch_vccnz .LBB265_1059
; %bb.1039:
	v_cmp_gt_i16_e32 vcc_lo, 8, v5
	s_cbranch_vccnz .LBB265_1049
; %bb.1040:
	v_cmp_gt_i16_e32 vcc_lo, 9, v5
	s_cbranch_vccnz .LBB265_1046
; %bb.1041:
	v_cmp_lt_i16_e32 vcc_lo, 9, v5
	s_cbranch_vccz .LBB265_1043
; %bb.1042:
	v_cvt_f32_f16_e32 v0, v4
	v_mov_b32_e32 v8, 0
	s_mov_b32 s4, 0
	s_waitcnt vmcnt(0)
	s_delay_alu instid0(VALU_DEP_2) | instskip(NEXT) | instid1(VALU_DEP_2)
	v_cvt_f64_f32_e32 v[6:7], v0
	v_mov_b32_e32 v9, v8
	global_store_b128 v[1:2], v[6:9], off
.LBB265_1043:
	s_and_not1_b32 vcc_lo, exec_lo, s4
	s_cbranch_vccnz .LBB265_1045
; %bb.1044:
	s_waitcnt vmcnt(0)
	v_cvt_f32_f16_e32 v6, v4
	v_mov_b32_e32 v7, 0
	global_store_b64 v[1:2], v[6:7], off
.LBB265_1045:
	s_mov_b32 s4, 0
.LBB265_1046:
	s_delay_alu instid0(SALU_CYCLE_1)
	s_and_not1_b32 vcc_lo, exec_lo, s4
	s_cbranch_vccnz .LBB265_1048
; %bb.1047:
	v_and_b32_e32 v0, 0xffff, v4
	global_store_b32 v[1:2], v0, off
.LBB265_1048:
	s_mov_b32 s4, 0
.LBB265_1049:
	s_delay_alu instid0(SALU_CYCLE_1)
	s_and_not1_b32 vcc_lo, exec_lo, s4
	s_cbranch_vccnz .LBB265_1058
; %bb.1050:
	v_cmp_gt_i16_e32 vcc_lo, 6, v5
	s_mov_b32 s4, -1
	s_cbranch_vccnz .LBB265_1056
; %bb.1051:
	v_cmp_lt_i16_e32 vcc_lo, 6, v5
	s_cbranch_vccz .LBB265_1053
; %bb.1052:
	v_cvt_f32_f16_e32 v0, v4
	s_mov_b32 s4, 0
	s_waitcnt vmcnt(0)
	s_delay_alu instid0(VALU_DEP_1)
	v_cvt_f64_f32_e32 v[6:7], v0
	global_store_b64 v[1:2], v[6:7], off
.LBB265_1053:
	s_and_not1_b32 vcc_lo, exec_lo, s4
	s_cbranch_vccnz .LBB265_1055
; %bb.1054:
	v_cvt_f32_f16_e32 v0, v4
	global_store_b32 v[1:2], v0, off
.LBB265_1055:
	s_mov_b32 s4, 0
.LBB265_1056:
	s_delay_alu instid0(SALU_CYCLE_1)
	s_and_not1_b32 vcc_lo, exec_lo, s4
	s_cbranch_vccnz .LBB265_1058
; %bb.1057:
	global_store_b16 v[1:2], v4, off
.LBB265_1058:
	s_mov_b32 s4, 0
.LBB265_1059:
	s_delay_alu instid0(SALU_CYCLE_1)
	s_and_not1_b32 vcc_lo, exec_lo, s4
	s_cbranch_vccnz .LBB265_1075
; %bb.1060:
	v_cmp_gt_i16_e32 vcc_lo, 2, v5
	s_mov_b32 s4, -1
	s_cbranch_vccnz .LBB265_1070
; %bb.1061:
	v_cmp_gt_i16_e32 vcc_lo, 3, v5
	s_cbranch_vccnz .LBB265_1067
; %bb.1062:
	v_cmp_lt_i16_e32 vcc_lo, 3, v5
	s_cbranch_vccz .LBB265_1064
; %bb.1063:
	v_cvt_f32_f16_e32 v0, v4
	s_mov_b32 s4, 0
	s_waitcnt vmcnt(0)
	s_delay_alu instid0(VALU_DEP_1) | instskip(NEXT) | instid1(VALU_DEP_1)
	v_cvt_i32_f32_e32 v6, v0
	v_ashrrev_i32_e32 v7, 31, v6
	global_store_b64 v[1:2], v[6:7], off
.LBB265_1064:
	s_and_not1_b32 vcc_lo, exec_lo, s4
	s_cbranch_vccnz .LBB265_1066
; %bb.1065:
	v_cvt_f32_f16_e32 v0, v4
	s_delay_alu instid0(VALU_DEP_1)
	v_cvt_i32_f32_e32 v0, v0
	global_store_b32 v[1:2], v0, off
.LBB265_1066:
	s_mov_b32 s4, 0
.LBB265_1067:
	s_delay_alu instid0(SALU_CYCLE_1)
	s_and_not1_b32 vcc_lo, exec_lo, s4
	s_cbranch_vccnz .LBB265_1069
; %bb.1068:
	v_cvt_i16_f16_e32 v0, v4
	global_store_b16 v[1:2], v0, off
.LBB265_1069:
	s_mov_b32 s4, 0
.LBB265_1070:
	s_delay_alu instid0(SALU_CYCLE_1)
	s_and_not1_b32 vcc_lo, exec_lo, s4
	s_cbranch_vccnz .LBB265_1075
; %bb.1071:
	v_cmp_lt_i16_e32 vcc_lo, 0, v5
	s_mov_b32 s4, -1
	s_cbranch_vccz .LBB265_1073
; %bb.1072:
	v_cvt_i16_f16_e32 v0, v4
	s_mov_b32 s4, 0
	global_store_b8 v[1:2], v0, off
.LBB265_1073:
	s_and_not1_b32 vcc_lo, exec_lo, s4
	s_cbranch_vccnz .LBB265_1075
; %bb.1074:
	v_cvt_f32_f16_e32 v0, v4
	s_delay_alu instid0(VALU_DEP_1)
	v_cvt_i32_f32_e32 v0, v0
	global_store_b8 v[1:2], v0, off
.LBB265_1075:
	s_or_b32 exec_lo, exec_lo, s2
	s_delay_alu instid0(SALU_CYCLE_1)
	s_and_b32 s8, s3, exec_lo
                                        ; implicit-def: $vgpr8
                                        ; implicit-def: $vgpr5
.LBB265_1076:
	s_or_saveexec_b32 s9, s28
	s_mov_b32 s3, 0
                                        ; implicit-def: $vgpr0_vgpr1
                                        ; implicit-def: $vgpr6
                                        ; implicit-def: $vgpr2
	s_xor_b32 exec_lo, exec_lo, s9
	s_cbranch_execz .LBB265_2092
; %bb.1077:
	v_cndmask_b32_e64 v0, 0, 1, s27
	s_and_not1_b32 vcc_lo, exec_lo, s27
	s_cbranch_vccnz .LBB265_1083
; %bb.1078:
	v_mov_b32_e32 v3, 0
	v_mov_b32_e32 v7, 0
	s_cmp_lg_u32 s24, 0
	s_mov_b32 s6, 0
	s_cbranch_scc0 .LBB265_1087
; %bb.1079:
	s_min_u32 s7, s25, 15
	v_mov_b32_e32 v3, 0
	s_add_i32 s7, s7, 1
	s_cmp_eq_u32 s25, 2
	s_mov_b32 s10, 0
	s_cbranch_scc1 .LBB265_1084
; %bb.1080:
	v_mov_b32_e32 v7, 0
	v_mov_b32_e32 v3, 0
	;; [unrolled: 1-line block ×3, first 2 shown]
	s_add_u32 s2, s16, 0xc4
	s_addc_u32 s3, s17, 0
	s_and_b32 s10, s7, 28
	s_mov_b32 s11, 0
	s_mov_b64 s[4:5], s[16:17]
.LBB265_1081:                           ; =>This Inner Loop Header: Depth=1
	s_clause 0x1
	s_load_b256 s[36:43], s[4:5], 0x4
	s_load_b128 s[12:15], s[4:5], 0x24
	s_load_b256 s[44:51], s[2:3], 0x0
	s_add_u32 s4, s4, 48
	s_addc_u32 s5, s5, 0
	s_add_i32 s11, s11, 4
	s_add_u32 s2, s2, 32
	s_addc_u32 s3, s3, 0
	s_cmp_lg_u32 s10, s11
	s_waitcnt lgkmcnt(0)
	v_mul_hi_u32 v2, s37, v1
	s_delay_alu instid0(VALU_DEP_1) | instskip(NEXT) | instid1(VALU_DEP_1)
	v_add_nc_u32_e32 v2, v1, v2
	v_lshrrev_b32_e32 v2, s38, v2
	s_delay_alu instid0(VALU_DEP_1) | instskip(SKIP_1) | instid1(VALU_DEP_2)
	v_mul_hi_u32 v4, s40, v2
	v_mul_lo_u32 v9, v2, s36
	v_add_nc_u32_e32 v4, v2, v4
	s_delay_alu instid0(VALU_DEP_2) | instskip(NEXT) | instid1(VALU_DEP_2)
	v_sub_nc_u32_e32 v1, v1, v9
	v_lshrrev_b32_e32 v4, s41, v4
	s_delay_alu instid0(VALU_DEP_2) | instskip(SKIP_2) | instid1(VALU_DEP_3)
	v_mul_lo_u32 v9, v1, s44
	v_mul_lo_u32 v11, v1, s45
	s_waitcnt vmcnt(0)
	v_mul_hi_u32 v6, s43, v4
	s_delay_alu instid0(VALU_DEP_1) | instskip(NEXT) | instid1(VALU_DEP_1)
	v_add_nc_u32_e32 v6, v4, v6
	v_lshrrev_b32_e32 v6, s12, v6
	s_delay_alu instid0(VALU_DEP_1) | instskip(SKIP_1) | instid1(VALU_DEP_2)
	v_mul_hi_u32 v10, s14, v6
	v_mul_lo_u32 v12, v6, s42
	v_add_nc_u32_e32 v1, v6, v10
	v_mul_lo_u32 v10, v4, s39
	s_delay_alu instid0(VALU_DEP_3) | instskip(NEXT) | instid1(VALU_DEP_3)
	v_sub_nc_u32_e32 v4, v4, v12
	v_lshrrev_b32_e32 v1, s15, v1
	s_delay_alu instid0(VALU_DEP_2) | instskip(SKIP_2) | instid1(VALU_DEP_4)
	v_mul_lo_u32 v12, v4, s48
	v_mul_lo_u32 v4, v4, s49
	v_sub_nc_u32_e32 v2, v2, v10
	v_mul_lo_u32 v13, v1, s13
	s_delay_alu instid0(VALU_DEP_2) | instskip(SKIP_1) | instid1(VALU_DEP_3)
	v_mul_lo_u32 v10, v2, s46
	v_mul_lo_u32 v2, v2, s47
	v_sub_nc_u32_e32 v6, v6, v13
	s_delay_alu instid0(VALU_DEP_3) | instskip(NEXT) | instid1(VALU_DEP_2)
	v_add3_u32 v3, v9, v3, v10
	v_mul_lo_u32 v13, v6, s50
	v_mul_lo_u32 v6, v6, s51
	v_add3_u32 v2, v11, v7, v2
	s_delay_alu instid0(VALU_DEP_3) | instskip(NEXT) | instid1(VALU_DEP_2)
	v_add3_u32 v3, v12, v3, v13
	v_add3_u32 v7, v4, v2, v6
	s_cbranch_scc1 .LBB265_1081
; %bb.1082:
	s_and_b32 s7, s7, 3
	s_delay_alu instid0(SALU_CYCLE_1)
	s_cmp_eq_u32 s7, 0
	s_cbranch_scc0 .LBB265_1085
	s_branch .LBB265_1087
.LBB265_1083:
	s_mov_b32 s6, -1
                                        ; implicit-def: $vgpr3
                                        ; implicit-def: $vgpr7
	s_branch .LBB265_1087
.LBB265_1084:
	v_mov_b32_e32 v1, v5
	v_mov_b32_e32 v7, 0
	s_and_b32 s7, s7, 3
	s_delay_alu instid0(SALU_CYCLE_1)
	s_cmp_eq_u32 s7, 0
	s_cbranch_scc1 .LBB265_1087
.LBB265_1085:
	s_lshl_b32 s2, s10, 3
	s_mul_i32 s4, s10, 12
	s_add_u32 s2, s2, s16
	s_addc_u32 s3, 0, s17
	s_add_u32 s2, s2, 0xc4
	s_addc_u32 s3, s3, 0
	;; [unrolled: 2-line block ×3, first 2 shown]
	.p2align	6
.LBB265_1086:                           ; =>This Inner Loop Header: Depth=1
	s_clause 0x1
	s_load_b64 s[10:11], s[4:5], 0x4
	s_load_b32 s14, s[4:5], 0xc
	s_load_b64 s[12:13], s[2:3], 0x0
	s_add_u32 s4, s4, 12
	s_addc_u32 s5, s5, 0
	s_add_u32 s2, s2, 8
	s_addc_u32 s3, s3, 0
	s_add_i32 s7, s7, -1
	s_delay_alu instid0(SALU_CYCLE_1) | instskip(SKIP_2) | instid1(VALU_DEP_1)
	s_cmp_lg_u32 s7, 0
	s_waitcnt lgkmcnt(0)
	v_mul_hi_u32 v2, s11, v1
	v_add_nc_u32_e32 v2, v1, v2
	s_delay_alu instid0(VALU_DEP_1) | instskip(NEXT) | instid1(VALU_DEP_1)
	v_lshrrev_b32_e32 v4, s14, v2
	v_mul_lo_u32 v2, v4, s10
	s_delay_alu instid0(VALU_DEP_1) | instskip(NEXT) | instid1(VALU_DEP_1)
	v_sub_nc_u32_e32 v1, v1, v2
	v_mad_u64_u32 v[9:10], null, v1, s12, v[3:4]
	v_mad_u64_u32 v[2:3], null, v1, s13, v[7:8]
	v_mov_b32_e32 v1, v4
	s_delay_alu instid0(VALU_DEP_3) | instskip(NEXT) | instid1(VALU_DEP_3)
	v_mov_b32_e32 v3, v9
	v_mov_b32_e32 v7, v2
	s_cbranch_scc1 .LBB265_1086
.LBB265_1087:
	s_and_not1_b32 vcc_lo, exec_lo, s6
	s_cbranch_vccnz .LBB265_1090
; %bb.1088:
	s_clause 0x1
	s_load_b128 s[4:7], s[16:17], 0x4
	s_load_b64 s[2:3], s[16:17], 0xc4
	s_cmp_lt_u32 s24, 2
	s_waitcnt lgkmcnt(0)
	v_mul_hi_u32 v1, s5, v5
	s_delay_alu instid0(VALU_DEP_1) | instskip(NEXT) | instid1(VALU_DEP_1)
	v_add_nc_u32_e32 v1, v5, v1
	v_lshrrev_b32_e32 v1, s6, v1
	s_delay_alu instid0(VALU_DEP_1) | instskip(NEXT) | instid1(VALU_DEP_1)
	v_mul_lo_u32 v2, v1, s4
	v_sub_nc_u32_e32 v2, v5, v2
	s_delay_alu instid0(VALU_DEP_1)
	v_mul_lo_u32 v3, v2, s2
	v_mul_lo_u32 v7, v2, s3
	s_cbranch_scc1 .LBB265_1090
; %bb.1089:
	s_clause 0x1
	s_load_b128 s[4:7], s[16:17], 0x10
	s_load_b64 s[2:3], s[16:17], 0xcc
	s_waitcnt lgkmcnt(0)
	v_mul_hi_u32 v2, s5, v1
	s_delay_alu instid0(VALU_DEP_1) | instskip(NEXT) | instid1(VALU_DEP_1)
	v_add_nc_u32_e32 v2, v1, v2
	v_lshrrev_b32_e32 v2, s6, v2
	s_delay_alu instid0(VALU_DEP_1) | instskip(NEXT) | instid1(VALU_DEP_1)
	v_mul_lo_u32 v2, v2, s4
	v_sub_nc_u32_e32 v4, v1, v2
	s_delay_alu instid0(VALU_DEP_1) | instskip(SKIP_1) | instid1(VALU_DEP_2)
	v_mad_u64_u32 v[1:2], null, v4, s2, v[3:4]
	v_mad_u64_u32 v[2:3], null, v4, s3, v[7:8]
	v_mov_b32_e32 v3, v1
	s_delay_alu instid0(VALU_DEP_2)
	v_mov_b32_e32 v7, v2
.LBB265_1090:
	v_cmp_ne_u32_e32 vcc_lo, 1, v0
	v_add_nc_u32_e32 v1, 0x80, v5
	s_cbranch_vccnz .LBB265_1096
; %bb.1091:
	v_mov_b32_e32 v2, 0
	s_waitcnt vmcnt(0)
	v_mov_b32_e32 v6, 0
	s_cmp_lg_u32 s24, 0
	s_mov_b32 s6, 0
	s_cbranch_scc0 .LBB265_1100
; %bb.1092:
	s_min_u32 s7, s25, 15
	v_mov_b32_e32 v2, 0
	s_add_i32 s7, s7, 1
	s_cmp_eq_u32 s25, 2
	s_mov_b32 s10, 0
	s_cbranch_scc1 .LBB265_1097
; %bb.1093:
	v_mov_b32_e32 v6, 0
	v_mov_b32_e32 v2, 0
	;; [unrolled: 1-line block ×3, first 2 shown]
	s_add_u32 s2, s16, 0xc4
	s_addc_u32 s3, s17, 0
	s_and_b32 s10, s7, 28
	s_mov_b32 s11, 0
	s_mov_b64 s[4:5], s[16:17]
.LBB265_1094:                           ; =>This Inner Loop Header: Depth=1
	s_clause 0x1
	s_load_b256 s[36:43], s[4:5], 0x4
	s_load_b128 s[12:15], s[4:5], 0x24
	s_load_b256 s[44:51], s[2:3], 0x0
	s_add_u32 s4, s4, 48
	s_addc_u32 s5, s5, 0
	s_add_i32 s11, s11, 4
	s_add_u32 s2, s2, 32
	s_addc_u32 s3, s3, 0
	s_cmp_lg_u32 s10, s11
	s_waitcnt lgkmcnt(0)
	v_mul_hi_u32 v9, s37, v4
	s_delay_alu instid0(VALU_DEP_1) | instskip(NEXT) | instid1(VALU_DEP_1)
	v_add_nc_u32_e32 v9, v4, v9
	v_lshrrev_b32_e32 v9, s38, v9
	s_delay_alu instid0(VALU_DEP_1) | instskip(SKIP_1) | instid1(VALU_DEP_2)
	v_mul_hi_u32 v10, s40, v9
	v_mul_lo_u32 v12, v9, s36
	v_add_nc_u32_e32 v10, v9, v10
	s_delay_alu instid0(VALU_DEP_2) | instskip(NEXT) | instid1(VALU_DEP_2)
	v_sub_nc_u32_e32 v4, v4, v12
	v_lshrrev_b32_e32 v10, s41, v10
	s_delay_alu instid0(VALU_DEP_2) | instskip(SKIP_1) | instid1(VALU_DEP_3)
	v_mul_lo_u32 v12, v4, s44
	v_mul_lo_u32 v14, v4, s45
	v_mul_hi_u32 v11, s43, v10
	s_delay_alu instid0(VALU_DEP_1) | instskip(NEXT) | instid1(VALU_DEP_1)
	v_add_nc_u32_e32 v11, v10, v11
	v_lshrrev_b32_e32 v11, s12, v11
	s_delay_alu instid0(VALU_DEP_1) | instskip(SKIP_1) | instid1(VALU_DEP_2)
	v_mul_hi_u32 v13, s14, v11
	v_mul_lo_u32 v15, v11, s42
	v_add_nc_u32_e32 v4, v11, v13
	v_mul_lo_u32 v13, v10, s39
	s_delay_alu instid0(VALU_DEP_3) | instskip(NEXT) | instid1(VALU_DEP_3)
	v_sub_nc_u32_e32 v10, v10, v15
	v_lshrrev_b32_e32 v4, s15, v4
	s_delay_alu instid0(VALU_DEP_2) | instskip(SKIP_2) | instid1(VALU_DEP_4)
	v_mul_lo_u32 v15, v10, s48
	v_mul_lo_u32 v10, v10, s49
	v_sub_nc_u32_e32 v9, v9, v13
	v_mul_lo_u32 v16, v4, s13
	s_delay_alu instid0(VALU_DEP_2) | instskip(SKIP_1) | instid1(VALU_DEP_3)
	v_mul_lo_u32 v13, v9, s46
	v_mul_lo_u32 v9, v9, s47
	v_sub_nc_u32_e32 v11, v11, v16
	s_delay_alu instid0(VALU_DEP_3) | instskip(NEXT) | instid1(VALU_DEP_2)
	v_add3_u32 v2, v12, v2, v13
	v_mul_lo_u32 v16, v11, s50
	v_mul_lo_u32 v11, v11, s51
	v_add3_u32 v6, v14, v6, v9
	s_delay_alu instid0(VALU_DEP_3) | instskip(NEXT) | instid1(VALU_DEP_2)
	v_add3_u32 v2, v15, v2, v16
	v_add3_u32 v6, v10, v6, v11
	s_cbranch_scc1 .LBB265_1094
; %bb.1095:
	s_and_b32 s7, s7, 3
	s_delay_alu instid0(SALU_CYCLE_1)
	s_cmp_eq_u32 s7, 0
	s_cbranch_scc0 .LBB265_1098
	s_branch .LBB265_1100
.LBB265_1096:
	s_mov_b32 s6, -1
                                        ; implicit-def: $vgpr2
                                        ; implicit-def: $vgpr6
	s_branch .LBB265_1100
.LBB265_1097:
	v_mov_b32_e32 v4, v1
	v_mov_b32_e32 v6, 0
	s_and_b32 s7, s7, 3
	s_delay_alu instid0(SALU_CYCLE_1)
	s_cmp_eq_u32 s7, 0
	s_cbranch_scc1 .LBB265_1100
.LBB265_1098:
	s_lshl_b32 s2, s10, 3
	s_mul_i32 s4, s10, 12
	s_add_u32 s2, s2, s16
	s_addc_u32 s3, 0, s17
	s_add_u32 s2, s2, 0xc4
	s_addc_u32 s3, s3, 0
	;; [unrolled: 2-line block ×3, first 2 shown]
	.p2align	6
.LBB265_1099:                           ; =>This Inner Loop Header: Depth=1
	s_clause 0x1
	s_load_b64 s[10:11], s[4:5], 0x4
	s_load_b32 s14, s[4:5], 0xc
	s_load_b64 s[12:13], s[2:3], 0x0
	s_add_u32 s4, s4, 12
	s_addc_u32 s5, s5, 0
	s_add_u32 s2, s2, 8
	s_addc_u32 s3, s3, 0
	s_add_i32 s7, s7, -1
	s_delay_alu instid0(SALU_CYCLE_1) | instskip(SKIP_2) | instid1(VALU_DEP_1)
	s_cmp_lg_u32 s7, 0
	s_waitcnt lgkmcnt(0)
	v_mul_hi_u32 v9, s11, v4
	v_add_nc_u32_e32 v9, v4, v9
	s_delay_alu instid0(VALU_DEP_1) | instskip(NEXT) | instid1(VALU_DEP_1)
	v_lshrrev_b32_e32 v12, s14, v9
	v_mul_lo_u32 v9, v12, s10
	s_delay_alu instid0(VALU_DEP_1) | instskip(NEXT) | instid1(VALU_DEP_1)
	v_sub_nc_u32_e32 v4, v4, v9
	v_mad_u64_u32 v[9:10], null, v4, s12, v[2:3]
	v_mad_u64_u32 v[10:11], null, v4, s13, v[6:7]
	v_mov_b32_e32 v4, v12
	s_delay_alu instid0(VALU_DEP_3) | instskip(NEXT) | instid1(VALU_DEP_3)
	v_mov_b32_e32 v2, v9
	v_mov_b32_e32 v6, v10
	s_cbranch_scc1 .LBB265_1099
.LBB265_1100:
	s_and_not1_b32 vcc_lo, exec_lo, s6
	s_cbranch_vccnz .LBB265_1103
; %bb.1101:
	s_clause 0x1
	s_load_b128 s[4:7], s[16:17], 0x4
	s_load_b64 s[2:3], s[16:17], 0xc4
	s_cmp_lt_u32 s24, 2
	s_waitcnt lgkmcnt(0)
	v_mul_hi_u32 v2, s5, v1
	s_delay_alu instid0(VALU_DEP_1) | instskip(NEXT) | instid1(VALU_DEP_1)
	v_add_nc_u32_e32 v2, v1, v2
	v_lshrrev_b32_e32 v4, s6, v2
	s_delay_alu instid0(VALU_DEP_1) | instskip(NEXT) | instid1(VALU_DEP_1)
	v_mul_lo_u32 v2, v4, s4
	v_sub_nc_u32_e32 v1, v1, v2
	s_delay_alu instid0(VALU_DEP_1)
	v_mul_lo_u32 v2, v1, s2
	s_waitcnt vmcnt(0)
	v_mul_lo_u32 v6, v1, s3
	s_cbranch_scc1 .LBB265_1103
; %bb.1102:
	s_clause 0x1
	s_load_b128 s[4:7], s[16:17], 0x10
	s_load_b64 s[2:3], s[16:17], 0xcc
	s_waitcnt lgkmcnt(0)
	v_mul_hi_u32 v1, s5, v4
	s_delay_alu instid0(VALU_DEP_1) | instskip(NEXT) | instid1(VALU_DEP_1)
	v_add_nc_u32_e32 v1, v4, v1
	v_lshrrev_b32_e32 v1, s6, v1
	s_delay_alu instid0(VALU_DEP_1) | instskip(NEXT) | instid1(VALU_DEP_1)
	v_mul_lo_u32 v1, v1, s4
	v_sub_nc_u32_e32 v4, v4, v1
	s_delay_alu instid0(VALU_DEP_1) | instskip(SKIP_1) | instid1(VALU_DEP_2)
	v_mad_u64_u32 v[9:10], null, v4, s2, v[2:3]
	v_mad_u64_u32 v[1:2], null, v4, s3, v[6:7]
	v_mov_b32_e32 v2, v9
	s_delay_alu instid0(VALU_DEP_2)
	v_mov_b32_e32 v6, v1
.LBB265_1103:
	v_cmp_ne_u32_e32 vcc_lo, 1, v0
	v_add_nc_u32_e32 v4, 0x100, v5
	s_cbranch_vccnz .LBB265_1109
; %bb.1104:
	v_mov_b32_e32 v1, 0
	v_mov_b32_e32 v5, 0
	s_cmp_lg_u32 s24, 0
	s_mov_b32 s6, 0
	s_cbranch_scc0 .LBB265_1113
; %bb.1105:
	s_min_u32 s7, s25, 15
	v_mov_b32_e32 v1, 0
	s_add_i32 s7, s7, 1
	s_cmp_eq_u32 s25, 2
	s_mov_b32 s10, 0
	s_cbranch_scc1 .LBB265_1110
; %bb.1106:
	v_mov_b32_e32 v5, 0
	v_mov_b32_e32 v1, 0
	;; [unrolled: 1-line block ×3, first 2 shown]
	s_add_u32 s2, s16, 0xc4
	s_addc_u32 s3, s17, 0
	s_and_b32 s10, s7, 28
	s_mov_b32 s11, 0
	s_mov_b64 s[4:5], s[16:17]
.LBB265_1107:                           ; =>This Inner Loop Header: Depth=1
	s_clause 0x1
	s_load_b256 s[36:43], s[4:5], 0x4
	s_load_b128 s[12:15], s[4:5], 0x24
	s_load_b256 s[44:51], s[2:3], 0x0
	s_add_u32 s4, s4, 48
	s_addc_u32 s5, s5, 0
	s_add_i32 s11, s11, 4
	s_add_u32 s2, s2, 32
	s_addc_u32 s3, s3, 0
	s_cmp_lg_u32 s10, s11
	s_waitcnt lgkmcnt(0)
	v_mul_hi_u32 v10, s37, v9
	s_delay_alu instid0(VALU_DEP_1) | instskip(NEXT) | instid1(VALU_DEP_1)
	v_add_nc_u32_e32 v10, v9, v10
	v_lshrrev_b32_e32 v10, s38, v10
	s_delay_alu instid0(VALU_DEP_1) | instskip(SKIP_1) | instid1(VALU_DEP_2)
	v_mul_hi_u32 v11, s40, v10
	v_mul_lo_u32 v13, v10, s36
	v_add_nc_u32_e32 v11, v10, v11
	s_delay_alu instid0(VALU_DEP_2) | instskip(NEXT) | instid1(VALU_DEP_2)
	v_sub_nc_u32_e32 v9, v9, v13
	v_lshrrev_b32_e32 v11, s41, v11
	s_delay_alu instid0(VALU_DEP_2) | instskip(SKIP_1) | instid1(VALU_DEP_3)
	v_mul_lo_u32 v13, v9, s44
	v_mul_lo_u32 v15, v9, s45
	v_mul_hi_u32 v12, s43, v11
	s_delay_alu instid0(VALU_DEP_1) | instskip(NEXT) | instid1(VALU_DEP_1)
	v_add_nc_u32_e32 v12, v11, v12
	v_lshrrev_b32_e32 v12, s12, v12
	s_delay_alu instid0(VALU_DEP_1) | instskip(SKIP_1) | instid1(VALU_DEP_2)
	v_mul_hi_u32 v14, s14, v12
	v_mul_lo_u32 v16, v12, s42
	v_add_nc_u32_e32 v9, v12, v14
	v_mul_lo_u32 v14, v11, s39
	s_delay_alu instid0(VALU_DEP_3) | instskip(NEXT) | instid1(VALU_DEP_3)
	v_sub_nc_u32_e32 v11, v11, v16
	v_lshrrev_b32_e32 v9, s15, v9
	s_delay_alu instid0(VALU_DEP_2) | instskip(SKIP_2) | instid1(VALU_DEP_4)
	v_mul_lo_u32 v16, v11, s48
	v_mul_lo_u32 v11, v11, s49
	v_sub_nc_u32_e32 v10, v10, v14
	v_mul_lo_u32 v17, v9, s13
	s_delay_alu instid0(VALU_DEP_2) | instskip(SKIP_1) | instid1(VALU_DEP_3)
	v_mul_lo_u32 v14, v10, s46
	v_mul_lo_u32 v10, v10, s47
	v_sub_nc_u32_e32 v12, v12, v17
	s_delay_alu instid0(VALU_DEP_3) | instskip(NEXT) | instid1(VALU_DEP_2)
	v_add3_u32 v1, v13, v1, v14
	v_mul_lo_u32 v17, v12, s50
	v_mul_lo_u32 v12, v12, s51
	v_add3_u32 v5, v15, v5, v10
	s_delay_alu instid0(VALU_DEP_3) | instskip(NEXT) | instid1(VALU_DEP_2)
	v_add3_u32 v1, v16, v1, v17
	v_add3_u32 v5, v11, v5, v12
	s_cbranch_scc1 .LBB265_1107
; %bb.1108:
	s_and_b32 s7, s7, 3
	s_delay_alu instid0(SALU_CYCLE_1)
	s_cmp_eq_u32 s7, 0
	s_cbranch_scc0 .LBB265_1111
	s_branch .LBB265_1113
.LBB265_1109:
	s_mov_b32 s6, -1
                                        ; implicit-def: $vgpr1
                                        ; implicit-def: $vgpr5
	s_branch .LBB265_1113
.LBB265_1110:
	v_mov_b32_e32 v9, v4
	v_mov_b32_e32 v5, 0
	s_and_b32 s7, s7, 3
	s_delay_alu instid0(SALU_CYCLE_1)
	s_cmp_eq_u32 s7, 0
	s_cbranch_scc1 .LBB265_1113
.LBB265_1111:
	s_lshl_b32 s2, s10, 3
	s_mul_i32 s4, s10, 12
	s_add_u32 s2, s2, s16
	s_addc_u32 s3, 0, s17
	s_add_u32 s2, s2, 0xc4
	s_addc_u32 s3, s3, 0
	;; [unrolled: 2-line block ×3, first 2 shown]
	.p2align	6
.LBB265_1112:                           ; =>This Inner Loop Header: Depth=1
	s_clause 0x1
	s_load_b64 s[10:11], s[4:5], 0x4
	s_load_b32 s14, s[4:5], 0xc
	s_load_b64 s[12:13], s[2:3], 0x0
	s_add_u32 s4, s4, 12
	s_addc_u32 s5, s5, 0
	s_add_u32 s2, s2, 8
	s_addc_u32 s3, s3, 0
	s_add_i32 s7, s7, -1
	s_delay_alu instid0(SALU_CYCLE_1) | instskip(SKIP_2) | instid1(VALU_DEP_1)
	s_cmp_lg_u32 s7, 0
	s_waitcnt lgkmcnt(0)
	v_mul_hi_u32 v10, s11, v9
	v_add_nc_u32_e32 v10, v9, v10
	s_delay_alu instid0(VALU_DEP_1) | instskip(NEXT) | instid1(VALU_DEP_1)
	v_lshrrev_b32_e32 v13, s14, v10
	v_mul_lo_u32 v10, v13, s10
	s_delay_alu instid0(VALU_DEP_1) | instskip(NEXT) | instid1(VALU_DEP_1)
	v_sub_nc_u32_e32 v9, v9, v10
	v_mad_u64_u32 v[10:11], null, v9, s12, v[1:2]
	s_waitcnt vmcnt(0)
	v_mad_u64_u32 v[11:12], null, v9, s13, v[5:6]
	v_mov_b32_e32 v9, v13
	s_delay_alu instid0(VALU_DEP_3) | instskip(NEXT) | instid1(VALU_DEP_3)
	v_mov_b32_e32 v1, v10
	v_mov_b32_e32 v5, v11
	s_cbranch_scc1 .LBB265_1112
.LBB265_1113:
	s_and_not1_b32 vcc_lo, exec_lo, s6
	s_cbranch_vccnz .LBB265_1116
; %bb.1114:
	s_clause 0x1
	s_load_b128 s[4:7], s[16:17], 0x4
	s_load_b64 s[2:3], s[16:17], 0xc4
	s_cmp_lt_u32 s24, 2
	s_waitcnt lgkmcnt(0)
	v_mul_hi_u32 v1, s5, v4
	s_delay_alu instid0(VALU_DEP_1) | instskip(NEXT) | instid1(VALU_DEP_1)
	v_add_nc_u32_e32 v1, v4, v1
	v_lshrrev_b32_e32 v9, s6, v1
	s_delay_alu instid0(VALU_DEP_1) | instskip(NEXT) | instid1(VALU_DEP_1)
	v_mul_lo_u32 v1, v9, s4
	v_sub_nc_u32_e32 v4, v4, v1
	s_delay_alu instid0(VALU_DEP_1)
	v_mul_lo_u32 v1, v4, s2
	v_mul_lo_u32 v5, v4, s3
	s_cbranch_scc1 .LBB265_1116
; %bb.1115:
	s_clause 0x1
	s_load_b128 s[4:7], s[16:17], 0x10
	s_load_b64 s[2:3], s[16:17], 0xcc
	s_waitcnt lgkmcnt(0)
	v_mul_hi_u32 v4, s5, v9
	s_delay_alu instid0(VALU_DEP_1) | instskip(NEXT) | instid1(VALU_DEP_1)
	v_add_nc_u32_e32 v4, v9, v4
	v_lshrrev_b32_e32 v4, s6, v4
	s_delay_alu instid0(VALU_DEP_1) | instskip(NEXT) | instid1(VALU_DEP_1)
	v_mul_lo_u32 v4, v4, s4
	v_sub_nc_u32_e32 v4, v9, v4
	s_delay_alu instid0(VALU_DEP_1) | instskip(SKIP_2) | instid1(VALU_DEP_2)
	v_mad_u64_u32 v[9:10], null, v4, s2, v[1:2]
	s_waitcnt vmcnt(0)
	v_mad_u64_u32 v[10:11], null, v4, s3, v[5:6]
	v_mov_b32_e32 v1, v9
	s_delay_alu instid0(VALU_DEP_2)
	v_mov_b32_e32 v5, v10
.LBB265_1116:
	v_cmp_ne_u32_e32 vcc_lo, 1, v0
	s_cbranch_vccnz .LBB265_1122
; %bb.1117:
	v_mov_b32_e32 v0, 0
	v_mov_b32_e32 v4, 0
	s_cmp_lg_u32 s24, 0
	s_mov_b32 s6, 0
	s_cbranch_scc0 .LBB265_1126
; %bb.1118:
	s_min_u32 s7, s25, 15
	v_mov_b32_e32 v0, 0
	s_add_i32 s7, s7, 1
	s_cmp_eq_u32 s25, 2
	s_mov_b32 s10, 0
	s_cbranch_scc1 .LBB265_1123
; %bb.1119:
	v_dual_mov_b32 v4, 0 :: v_dual_mov_b32 v9, v8
	v_mov_b32_e32 v0, 0
	s_add_u32 s2, s16, 0xc4
	s_addc_u32 s3, s17, 0
	s_and_b32 s10, s7, 28
	s_mov_b32 s11, 0
	s_mov_b64 s[4:5], s[16:17]
.LBB265_1120:                           ; =>This Inner Loop Header: Depth=1
	s_clause 0x1
	s_load_b256 s[36:43], s[4:5], 0x4
	s_load_b128 s[12:15], s[4:5], 0x24
	s_load_b256 s[44:51], s[2:3], 0x0
	s_add_u32 s4, s4, 48
	s_addc_u32 s5, s5, 0
	s_add_i32 s11, s11, 4
	s_add_u32 s2, s2, 32
	s_addc_u32 s3, s3, 0
	s_cmp_lg_u32 s10, s11
	s_waitcnt lgkmcnt(0)
	v_mul_hi_u32 v10, s37, v9
	s_delay_alu instid0(VALU_DEP_1) | instskip(NEXT) | instid1(VALU_DEP_1)
	v_add_nc_u32_e32 v10, v9, v10
	v_lshrrev_b32_e32 v10, s38, v10
	s_delay_alu instid0(VALU_DEP_1) | instskip(SKIP_1) | instid1(VALU_DEP_2)
	v_mul_hi_u32 v11, s40, v10
	v_mul_lo_u32 v13, v10, s36
	v_add_nc_u32_e32 v11, v10, v11
	s_delay_alu instid0(VALU_DEP_2) | instskip(NEXT) | instid1(VALU_DEP_2)
	v_sub_nc_u32_e32 v9, v9, v13
	v_lshrrev_b32_e32 v11, s41, v11
	s_delay_alu instid0(VALU_DEP_2) | instskip(SKIP_1) | instid1(VALU_DEP_3)
	v_mul_lo_u32 v13, v9, s44
	v_mul_lo_u32 v15, v9, s45
	v_mul_hi_u32 v12, s43, v11
	s_delay_alu instid0(VALU_DEP_1) | instskip(NEXT) | instid1(VALU_DEP_1)
	v_add_nc_u32_e32 v12, v11, v12
	v_lshrrev_b32_e32 v12, s12, v12
	s_delay_alu instid0(VALU_DEP_1) | instskip(SKIP_1) | instid1(VALU_DEP_2)
	v_mul_hi_u32 v14, s14, v12
	v_mul_lo_u32 v16, v12, s42
	v_add_nc_u32_e32 v9, v12, v14
	v_mul_lo_u32 v14, v11, s39
	s_delay_alu instid0(VALU_DEP_3) | instskip(NEXT) | instid1(VALU_DEP_3)
	v_sub_nc_u32_e32 v11, v11, v16
	v_lshrrev_b32_e32 v9, s15, v9
	s_delay_alu instid0(VALU_DEP_2) | instskip(SKIP_2) | instid1(VALU_DEP_4)
	v_mul_lo_u32 v16, v11, s48
	v_mul_lo_u32 v11, v11, s49
	v_sub_nc_u32_e32 v10, v10, v14
	v_mul_lo_u32 v17, v9, s13
	s_delay_alu instid0(VALU_DEP_2) | instskip(SKIP_1) | instid1(VALU_DEP_3)
	v_mul_lo_u32 v14, v10, s46
	v_mul_lo_u32 v10, v10, s47
	v_sub_nc_u32_e32 v12, v12, v17
	s_delay_alu instid0(VALU_DEP_3) | instskip(NEXT) | instid1(VALU_DEP_2)
	v_add3_u32 v0, v13, v0, v14
	v_mul_lo_u32 v17, v12, s50
	v_mul_lo_u32 v12, v12, s51
	v_add3_u32 v4, v15, v4, v10
	s_delay_alu instid0(VALU_DEP_3) | instskip(NEXT) | instid1(VALU_DEP_2)
	v_add3_u32 v0, v16, v0, v17
	v_add3_u32 v4, v11, v4, v12
	s_cbranch_scc1 .LBB265_1120
; %bb.1121:
	s_and_b32 s7, s7, 3
	s_delay_alu instid0(SALU_CYCLE_1)
	s_cmp_eq_u32 s7, 0
	s_cbranch_scc0 .LBB265_1124
	s_branch .LBB265_1126
.LBB265_1122:
	s_mov_b32 s6, -1
                                        ; implicit-def: $vgpr0
                                        ; implicit-def: $vgpr4
	s_branch .LBB265_1126
.LBB265_1123:
	v_dual_mov_b32 v9, v8 :: v_dual_mov_b32 v4, 0
	s_and_b32 s7, s7, 3
	s_delay_alu instid0(SALU_CYCLE_1)
	s_cmp_eq_u32 s7, 0
	s_cbranch_scc1 .LBB265_1126
.LBB265_1124:
	s_lshl_b32 s2, s10, 3
	s_mul_i32 s4, s10, 12
	s_add_u32 s2, s2, s16
	s_addc_u32 s3, 0, s17
	s_add_u32 s2, s2, 0xc4
	s_addc_u32 s3, s3, 0
	;; [unrolled: 2-line block ×3, first 2 shown]
	.p2align	6
.LBB265_1125:                           ; =>This Inner Loop Header: Depth=1
	s_clause 0x1
	s_load_b64 s[10:11], s[4:5], 0x4
	s_load_b32 s14, s[4:5], 0xc
	s_load_b64 s[12:13], s[2:3], 0x0
	s_add_u32 s4, s4, 12
	s_addc_u32 s5, s5, 0
	s_add_u32 s2, s2, 8
	s_addc_u32 s3, s3, 0
	s_add_i32 s7, s7, -1
	s_delay_alu instid0(SALU_CYCLE_1) | instskip(SKIP_2) | instid1(VALU_DEP_1)
	s_cmp_lg_u32 s7, 0
	s_waitcnt lgkmcnt(0)
	v_mul_hi_u32 v10, s11, v9
	v_add_nc_u32_e32 v10, v9, v10
	s_delay_alu instid0(VALU_DEP_1) | instskip(NEXT) | instid1(VALU_DEP_1)
	v_lshrrev_b32_e32 v13, s14, v10
	v_mul_lo_u32 v10, v13, s10
	s_delay_alu instid0(VALU_DEP_1) | instskip(NEXT) | instid1(VALU_DEP_1)
	v_sub_nc_u32_e32 v9, v9, v10
	v_mad_u64_u32 v[10:11], null, v9, s12, v[0:1]
	v_mad_u64_u32 v[11:12], null, v9, s13, v[4:5]
	s_delay_alu instid0(VALU_DEP_2) | instskip(NEXT) | instid1(VALU_DEP_2)
	v_dual_mov_b32 v9, v13 :: v_dual_mov_b32 v0, v10
	v_mov_b32_e32 v4, v11
	s_cbranch_scc1 .LBB265_1125
.LBB265_1126:
	s_and_not1_b32 vcc_lo, exec_lo, s6
	s_cbranch_vccnz .LBB265_1129
; %bb.1127:
	s_clause 0x1
	s_load_b128 s[4:7], s[16:17], 0x4
	s_load_b64 s[2:3], s[16:17], 0xc4
	s_cmp_lt_u32 s24, 2
	s_waitcnt lgkmcnt(0)
	v_mul_hi_u32 v0, s5, v8
	s_delay_alu instid0(VALU_DEP_1) | instskip(NEXT) | instid1(VALU_DEP_1)
	v_add_nc_u32_e32 v0, v8, v0
	v_lshrrev_b32_e32 v9, s6, v0
	s_delay_alu instid0(VALU_DEP_1) | instskip(NEXT) | instid1(VALU_DEP_1)
	v_mul_lo_u32 v0, v9, s4
	v_sub_nc_u32_e32 v4, v8, v0
	s_delay_alu instid0(VALU_DEP_1)
	v_mul_lo_u32 v0, v4, s2
	v_mul_lo_u32 v4, v4, s3
	s_cbranch_scc1 .LBB265_1129
; %bb.1128:
	s_clause 0x1
	s_load_b128 s[4:7], s[16:17], 0x10
	s_load_b64 s[2:3], s[16:17], 0xcc
	s_waitcnt lgkmcnt(0)
	v_mul_hi_u32 v8, s5, v9
	s_delay_alu instid0(VALU_DEP_1) | instskip(NEXT) | instid1(VALU_DEP_1)
	v_add_nc_u32_e32 v8, v9, v8
	v_lshrrev_b32_e32 v8, s6, v8
	s_delay_alu instid0(VALU_DEP_1) | instskip(NEXT) | instid1(VALU_DEP_1)
	v_mul_lo_u32 v8, v8, s4
	v_sub_nc_u32_e32 v11, v9, v8
	s_delay_alu instid0(VALU_DEP_1) | instskip(SKIP_1) | instid1(VALU_DEP_2)
	v_mad_u64_u32 v[8:9], null, v11, s2, v[0:1]
	v_mad_u64_u32 v[9:10], null, v11, s3, v[4:5]
	v_mov_b32_e32 v0, v8
	s_delay_alu instid0(VALU_DEP_2)
	v_mov_b32_e32 v4, v9
.LBB265_1129:
	s_clause 0x1
	s_load_b32 s0, s[0:1], 0x160
	s_load_b128 s[4:7], s[16:17], 0x148
	s_mov_b32 s3, 0
	s_waitcnt lgkmcnt(0)
	s_lshr_b32 s1, s0, 16
	s_delay_alu instid0(SALU_CYCLE_1) | instskip(SKIP_1) | instid1(VALU_DEP_1)
	v_and_b32_e64 v9, 0xff, s1
	v_add_co_u32 v7, s1, s6, v7
	v_add_co_ci_u32_e64 v8, null, s7, 0, s1
	s_delay_alu instid0(VALU_DEP_3)
	v_cmp_gt_i16_e32 vcc_lo, 11, v9
	s_cbranch_vccnz .LBB265_1136
; %bb.1130:
	v_cmp_lt_i16_e32 vcc_lo, 25, v9
	s_mov_b32 s2, 0
	s_cbranch_vccz .LBB265_1142
; %bb.1131:
	v_cmp_lt_i16_e32 vcc_lo, 28, v9
	s_cbranch_vccz .LBB265_1144
; %bb.1132:
	v_cmp_lt_i16_e32 vcc_lo, 43, v9
	;; [unrolled: 3-line block ×3, first 2 shown]
	s_cbranch_vccz .LBB265_1150
; %bb.1134:
	v_cmp_eq_u16_e32 vcc_lo, 46, v9
	s_mov_b32 s10, 0
	s_cbranch_vccz .LBB265_1192
; %bb.1135:
	global_load_b32 v10, v[7:8], off
	s_mov_b32 s1, 0
	s_mov_b32 s3, -1
	s_waitcnt vmcnt(0)
	v_lshlrev_b32_e32 v10, 16, v10
	s_delay_alu instid0(VALU_DEP_1)
	v_cvt_f16_f32_e32 v10, v10
	s_branch .LBB265_1194
.LBB265_1136:
	s_mov_b32 s1, s8
                                        ; implicit-def: $vgpr10
	s_cbranch_execz .LBB265_1257
; %bb.1137:
	v_cmp_gt_i16_e32 vcc_lo, 5, v9
	s_cbranch_vccnz .LBB265_1143
; %bb.1138:
	v_cmp_gt_i16_e32 vcc_lo, 8, v9
	s_cbranch_vccnz .LBB265_1145
	;; [unrolled: 3-line block ×3, first 2 shown]
; %bb.1140:
	v_cmp_lt_i16_e32 vcc_lo, 9, v9
	s_cbranch_vccz .LBB265_1151
; %bb.1141:
	global_load_b64 v[10:11], v[7:8], off
	s_mov_b32 s2, 0
	s_waitcnt vmcnt(0)
	v_cvt_f32_f64_e32 v10, v[10:11]
	s_delay_alu instid0(VALU_DEP_1)
	v_cvt_f16_f32_e32 v10, v10
	s_branch .LBB265_1152
.LBB265_1142:
	s_mov_b32 s1, 0
                                        ; implicit-def: $vgpr10
	s_cbranch_execnz .LBB265_1222
	s_branch .LBB265_1253
.LBB265_1143:
                                        ; implicit-def: $vgpr10
	s_branch .LBB265_1169
.LBB265_1144:
	s_mov_b32 s10, -1
	s_mov_b32 s1, 0
                                        ; implicit-def: $vgpr10
	s_branch .LBB265_1203
.LBB265_1145:
                                        ; implicit-def: $vgpr10
	s_branch .LBB265_1158
.LBB265_1146:
	s_mov_b32 s1, 0
                                        ; implicit-def: $vgpr10
	s_cbranch_execnz .LBB265_1199
	s_branch .LBB265_1202
.LBB265_1147:
	s_mov_b32 s2, -1
                                        ; implicit-def: $vgpr10
	s_branch .LBB265_1155
.LBB265_1148:
	s_cbranch_execnz .LBB265_1190
; %bb.1149:
	s_or_b32 s3, s3, exec_lo
	s_and_not1_b32 s8, s8, exec_lo
	s_or_b32 exec_lo, exec_lo, s2
	s_and_saveexec_b32 s2, s8
	s_delay_alu instid0(SALU_CYCLE_1)
	s_xor_b32 s2, exec_lo, s2
	s_cbranch_execnz .LBB265_1036
	s_branch .LBB265_1037
.LBB265_1150:
	s_mov_b32 s10, -1
	s_mov_b32 s1, 0
	s_branch .LBB265_1193
.LBB265_1151:
	s_mov_b32 s2, -1
                                        ; implicit-def: $vgpr10
.LBB265_1152:
	s_delay_alu instid0(SALU_CYCLE_1)
	s_and_not1_b32 vcc_lo, exec_lo, s2
	s_cbranch_vccnz .LBB265_1154
; %bb.1153:
	global_load_b32 v10, v[7:8], off
	s_waitcnt vmcnt(0)
	v_cvt_f16_f32_e32 v10, v10
.LBB265_1154:
	s_mov_b32 s2, 0
.LBB265_1155:
	s_delay_alu instid0(SALU_CYCLE_1)
	s_and_not1_b32 vcc_lo, exec_lo, s2
	s_cbranch_vccnz .LBB265_1157
; %bb.1156:
	global_load_b32 v10, v[7:8], off
.LBB265_1157:
	s_cbranch_execnz .LBB265_1168
.LBB265_1158:
	v_cmp_gt_i16_e32 vcc_lo, 6, v9
	s_cbranch_vccnz .LBB265_1161
; %bb.1159:
	v_cmp_lt_i16_e32 vcc_lo, 6, v9
	s_cbranch_vccz .LBB265_1162
; %bb.1160:
	global_load_b64 v[10:11], v[7:8], off
	s_mov_b32 s2, 0
	s_waitcnt vmcnt(0)
	v_cvt_f32_f64_e32 v10, v[10:11]
	s_delay_alu instid0(VALU_DEP_1)
	v_cvt_f16_f32_e32 v10, v10
	s_branch .LBB265_1163
.LBB265_1161:
	s_mov_b32 s2, -1
                                        ; implicit-def: $vgpr10
	s_branch .LBB265_1166
.LBB265_1162:
	s_mov_b32 s2, -1
                                        ; implicit-def: $vgpr10
.LBB265_1163:
	s_delay_alu instid0(SALU_CYCLE_1)
	s_and_not1_b32 vcc_lo, exec_lo, s2
	s_cbranch_vccnz .LBB265_1165
; %bb.1164:
	global_load_b32 v10, v[7:8], off
	s_waitcnt vmcnt(0)
	v_cvt_f16_f32_e32 v10, v10
.LBB265_1165:
	s_mov_b32 s2, 0
.LBB265_1166:
	s_delay_alu instid0(SALU_CYCLE_1)
	s_and_not1_b32 vcc_lo, exec_lo, s2
	s_cbranch_vccnz .LBB265_1168
; %bb.1167:
	global_load_u16 v10, v[7:8], off
.LBB265_1168:
	s_cbranch_execnz .LBB265_1187
.LBB265_1169:
	v_cmp_gt_i16_e32 vcc_lo, 2, v9
	s_cbranch_vccnz .LBB265_1173
; %bb.1170:
	v_cmp_gt_i16_e32 vcc_lo, 3, v9
	s_cbranch_vccnz .LBB265_1174
; %bb.1171:
	v_cmp_lt_i16_e32 vcc_lo, 3, v9
	s_cbranch_vccz .LBB265_1175
; %bb.1172:
	global_load_b64 v[10:11], v[7:8], off
	s_mov_b32 s2, 0
	s_waitcnt vmcnt(0)
	v_xor_b32_e32 v12, v10, v11
	v_cls_i32_e32 v13, v11
	s_delay_alu instid0(VALU_DEP_2) | instskip(NEXT) | instid1(VALU_DEP_2)
	v_ashrrev_i32_e32 v12, 31, v12
	v_add_nc_u32_e32 v13, -1, v13
	s_delay_alu instid0(VALU_DEP_2) | instskip(NEXT) | instid1(VALU_DEP_1)
	v_add_nc_u32_e32 v12, 32, v12
	v_min_u32_e32 v12, v13, v12
	s_delay_alu instid0(VALU_DEP_1) | instskip(NEXT) | instid1(VALU_DEP_1)
	v_lshlrev_b64 v[10:11], v12, v[10:11]
	v_min_u32_e32 v10, 1, v10
	s_delay_alu instid0(VALU_DEP_1) | instskip(SKIP_1) | instid1(VALU_DEP_2)
	v_or_b32_e32 v10, v11, v10
	v_sub_nc_u32_e32 v11, 32, v12
	v_cvt_f32_i32_e32 v10, v10
	s_delay_alu instid0(VALU_DEP_1) | instskip(NEXT) | instid1(VALU_DEP_1)
	v_ldexp_f32 v10, v10, v11
	v_cvt_f16_f32_e32 v10, v10
	s_branch .LBB265_1176
.LBB265_1173:
                                        ; implicit-def: $vgpr10
	s_branch .LBB265_1182
.LBB265_1174:
	s_mov_b32 s2, -1
                                        ; implicit-def: $vgpr10
	s_branch .LBB265_1179
.LBB265_1175:
	s_mov_b32 s2, -1
                                        ; implicit-def: $vgpr10
.LBB265_1176:
	s_delay_alu instid0(SALU_CYCLE_1)
	s_and_not1_b32 vcc_lo, exec_lo, s2
	s_cbranch_vccnz .LBB265_1178
; %bb.1177:
	global_load_b32 v10, v[7:8], off
	s_waitcnt vmcnt(0)
	v_cvt_f32_i32_e32 v10, v10
	s_delay_alu instid0(VALU_DEP_1)
	v_cvt_f16_f32_e32 v10, v10
.LBB265_1178:
	s_mov_b32 s2, 0
.LBB265_1179:
	s_delay_alu instid0(SALU_CYCLE_1)
	s_and_not1_b32 vcc_lo, exec_lo, s2
	s_cbranch_vccnz .LBB265_1181
; %bb.1180:
	global_load_u16 v10, v[7:8], off
	s_waitcnt vmcnt(0)
	v_cvt_f16_i16_e32 v10, v10
.LBB265_1181:
	s_cbranch_execnz .LBB265_1187
.LBB265_1182:
	v_cmp_lt_i16_e32 vcc_lo, 0, v9
	s_mov_b32 s2, 0
	s_cbranch_vccz .LBB265_1184
; %bb.1183:
	global_load_i8 v10, v[7:8], off
	s_waitcnt vmcnt(0)
	v_cvt_f16_i16_e32 v10, v10
	s_branch .LBB265_1185
.LBB265_1184:
	s_mov_b32 s2, -1
                                        ; implicit-def: $vgpr10
.LBB265_1185:
	s_delay_alu instid0(SALU_CYCLE_1)
	s_and_not1_b32 vcc_lo, exec_lo, s2
	s_cbranch_vccnz .LBB265_1187
; %bb.1186:
	global_load_u8 v7, v[7:8], off
	s_waitcnt vmcnt(0)
	v_cvt_f16_u16_e32 v10, v7
.LBB265_1187:
	s_branch .LBB265_1258
.LBB265_1188:
	s_trap 2
	s_sendmsg_rtn_b32 s0, sendmsg(MSG_RTN_GET_DOORBELL)
	s_mov_b32 ttmp2, m0
	s_waitcnt lgkmcnt(0)
	s_and_b32 s0, s0, 0x3ff
	s_delay_alu instid0(SALU_CYCLE_1) | instskip(NEXT) | instid1(SALU_CYCLE_1)
	s_bitset1_b32 s0, 10
	s_mov_b32 m0, s0
	s_sendmsg sendmsg(MSG_INTERRUPT)
	s_mov_b32 m0, ttmp2
.LBB265_1189:                           ; =>This Inner Loop Header: Depth=1
	s_sethalt 5
	s_branch .LBB265_1189
.LBB265_1190:
	s_trap 2
	s_sendmsg_rtn_b32 s0, sendmsg(MSG_RTN_GET_DOORBELL)
	s_mov_b32 ttmp2, m0
	s_waitcnt lgkmcnt(0)
	s_and_b32 s0, s0, 0x3ff
	s_delay_alu instid0(SALU_CYCLE_1) | instskip(NEXT) | instid1(SALU_CYCLE_1)
	s_bitset1_b32 s0, 10
	s_mov_b32 m0, s0
	s_sendmsg sendmsg(MSG_INTERRUPT)
	s_mov_b32 m0, ttmp2
.LBB265_1191:                           ; =>This Inner Loop Header: Depth=1
	s_sethalt 5
	s_branch .LBB265_1191
.LBB265_1192:
	s_mov_b32 s1, -1
.LBB265_1193:
                                        ; implicit-def: $vgpr10
.LBB265_1194:
	s_and_b32 vcc_lo, exec_lo, s10
	s_cbranch_vccz .LBB265_1197
; %bb.1195:
	v_cmp_eq_u16_e32 vcc_lo, 44, v9
	s_cbranch_vccz .LBB265_1198
; %bb.1196:
	global_load_u8 v10, v[7:8], off
	s_mov_b32 s1, 0
	s_mov_b32 s3, -1
	s_waitcnt vmcnt(0)
	v_lshlrev_b32_e32 v11, 23, v10
	v_cmp_ne_u32_e32 vcc_lo, 0xff, v10
	s_delay_alu instid0(VALU_DEP_2) | instskip(NEXT) | instid1(VALU_DEP_1)
	v_cvt_f16_f32_e32 v11, v11
	v_cndmask_b32_e32 v11, 0x7e00, v11, vcc_lo
	v_cmp_ne_u32_e32 vcc_lo, 0, v10
	s_delay_alu instid0(VALU_DEP_2)
	v_cndmask_b32_e32 v10, 0, v11, vcc_lo
.LBB265_1197:
	s_branch .LBB265_1202
.LBB265_1198:
	s_mov_b32 s1, -1
                                        ; implicit-def: $vgpr10
	s_branch .LBB265_1202
.LBB265_1199:
	v_cmp_eq_u16_e32 vcc_lo, 29, v9
	s_cbranch_vccz .LBB265_1201
; %bb.1200:
	global_load_b64 v[10:11], v[7:8], off
	s_mov_b32 s1, 0
	s_mov_b32 s3, -1
	s_mov_b32 s10, 0
	s_waitcnt vmcnt(0)
	v_clz_i32_u32_e32 v12, v11
	s_delay_alu instid0(VALU_DEP_1) | instskip(NEXT) | instid1(VALU_DEP_1)
	v_min_u32_e32 v12, 32, v12
	v_lshlrev_b64 v[10:11], v12, v[10:11]
	s_delay_alu instid0(VALU_DEP_1) | instskip(NEXT) | instid1(VALU_DEP_1)
	v_min_u32_e32 v10, 1, v10
	v_or_b32_e32 v10, v11, v10
	v_sub_nc_u32_e32 v11, 32, v12
	s_delay_alu instid0(VALU_DEP_2) | instskip(NEXT) | instid1(VALU_DEP_1)
	v_cvt_f32_u32_e32 v10, v10
	v_ldexp_f32 v10, v10, v11
	s_delay_alu instid0(VALU_DEP_1)
	v_cvt_f16_f32_e32 v10, v10
	s_branch .LBB265_1203
.LBB265_1201:
	s_mov_b32 s1, -1
                                        ; implicit-def: $vgpr10
.LBB265_1202:
	s_mov_b32 s10, 0
.LBB265_1203:
	s_delay_alu instid0(SALU_CYCLE_1)
	s_and_b32 vcc_lo, exec_lo, s10
	s_cbranch_vccz .LBB265_1221
; %bb.1204:
	v_cmp_gt_i16_e32 vcc_lo, 27, v9
	s_cbranch_vccnz .LBB265_1207
; %bb.1205:
	v_cmp_lt_i16_e32 vcc_lo, 27, v9
	s_cbranch_vccz .LBB265_1208
; %bb.1206:
	global_load_b32 v10, v[7:8], off
	s_mov_b32 s3, 0
	s_waitcnt vmcnt(0)
	v_cvt_f32_u32_e32 v10, v10
	s_delay_alu instid0(VALU_DEP_1)
	v_cvt_f16_f32_e32 v10, v10
	s_branch .LBB265_1209
.LBB265_1207:
	s_mov_b32 s3, -1
                                        ; implicit-def: $vgpr10
	s_branch .LBB265_1212
.LBB265_1208:
	s_mov_b32 s3, -1
                                        ; implicit-def: $vgpr10
.LBB265_1209:
	s_delay_alu instid0(SALU_CYCLE_1)
	s_and_not1_b32 vcc_lo, exec_lo, s3
	s_cbranch_vccnz .LBB265_1211
; %bb.1210:
	global_load_u16 v10, v[7:8], off
	s_waitcnt vmcnt(0)
	v_cvt_f16_u16_e32 v10, v10
.LBB265_1211:
	s_mov_b32 s3, 0
.LBB265_1212:
	s_delay_alu instid0(SALU_CYCLE_1)
	s_and_not1_b32 vcc_lo, exec_lo, s3
	s_cbranch_vccnz .LBB265_1220
; %bb.1213:
	global_load_u8 v11, v[7:8], off
	s_mov_b32 s3, 0
	s_mov_b32 s11, exec_lo
                                        ; implicit-def: $sgpr10
	s_waitcnt vmcnt(0)
	v_cmpx_lt_i16_e32 0x7f, v11
	s_xor_b32 s11, exec_lo, s11
	s_cbranch_execz .LBB265_1233
; %bb.1214:
	s_mov_b32 s3, -1
	s_mov_b32 s12, exec_lo
                                        ; implicit-def: $sgpr10
	v_cmpx_eq_u16_e32 0x80, v11
; %bb.1215:
	s_movk_i32 s10, 0x7e00
	s_xor_b32 s3, exec_lo, -1
; %bb.1216:
	s_or_b32 exec_lo, exec_lo, s12
	s_delay_alu instid0(SALU_CYCLE_1)
	s_and_b32 s3, s3, exec_lo
	s_or_saveexec_b32 s11, s11
	v_mov_b32_e32 v10, s10
	s_xor_b32 exec_lo, exec_lo, s11
	s_cbranch_execnz .LBB265_1234
.LBB265_1217:
	s_or_b32 exec_lo, exec_lo, s11
	s_and_saveexec_b32 s10, s3
	s_cbranch_execz .LBB265_1219
.LBB265_1218:
	v_and_b32_e32 v10, 0xffff, v11
	s_delay_alu instid0(VALU_DEP_1) | instskip(NEXT) | instid1(VALU_DEP_1)
	v_and_b32_e32 v12, 7, v10
	v_clz_i32_u32_e32 v13, v12
	s_delay_alu instid0(VALU_DEP_1) | instskip(NEXT) | instid1(VALU_DEP_1)
	v_min_u32_e32 v13, 32, v13
	v_subrev_nc_u32_e32 v14, 28, v13
	v_sub_nc_u32_e32 v13, 29, v13
	s_delay_alu instid0(VALU_DEP_2) | instskip(SKIP_1) | instid1(VALU_DEP_2)
	v_lshlrev_b32_e32 v14, v14, v10
	v_bfe_u32 v10, v10, 3, 4
	v_and_b32_e32 v14, 7, v14
	s_delay_alu instid0(VALU_DEP_2) | instskip(SKIP_1) | instid1(VALU_DEP_1)
	v_cmp_eq_u32_e32 vcc_lo, 0, v10
	v_dual_cndmask_b32 v10, v10, v13 :: v_dual_lshlrev_b32 v11, 24, v11
	v_dual_cndmask_b32 v12, v12, v14 :: v_dual_and_b32 v11, 0x80000000, v11
	s_delay_alu instid0(VALU_DEP_2) | instskip(NEXT) | instid1(VALU_DEP_2)
	v_lshl_add_u32 v10, v10, 23, 0x3b800000
	v_lshlrev_b32_e32 v12, 20, v12
	s_delay_alu instid0(VALU_DEP_1) | instskip(NEXT) | instid1(VALU_DEP_1)
	v_or3_b32 v10, v11, v10, v12
	v_cvt_f16_f32_e32 v10, v10
.LBB265_1219:
	s_or_b32 exec_lo, exec_lo, s10
.LBB265_1220:
	s_mov_b32 s3, -1
.LBB265_1221:
	s_branch .LBB265_1253
.LBB265_1222:
	v_cmp_lt_i16_e32 vcc_lo, 22, v9
	s_cbranch_vccz .LBB265_1232
; %bb.1223:
	v_cmp_gt_i16_e32 vcc_lo, 24, v9
	s_cbranch_vccnz .LBB265_1235
; %bb.1224:
	v_cmp_lt_i16_e32 vcc_lo, 24, v9
	s_cbranch_vccz .LBB265_1236
; %bb.1225:
	global_load_u8 v11, v[7:8], off
	s_mov_b32 s10, exec_lo
                                        ; implicit-def: $sgpr3
	s_waitcnt vmcnt(0)
	v_cmpx_lt_i16_e32 0x7f, v11
	s_xor_b32 s10, exec_lo, s10
	s_cbranch_execz .LBB265_1247
; %bb.1226:
	s_mov_b32 s2, -1
	s_mov_b32 s11, exec_lo
                                        ; implicit-def: $sgpr3
	v_cmpx_eq_u16_e32 0x80, v11
; %bb.1227:
	s_movk_i32 s3, 0x7e00
	s_xor_b32 s2, exec_lo, -1
; %bb.1228:
	s_or_b32 exec_lo, exec_lo, s11
	s_delay_alu instid0(SALU_CYCLE_1)
	s_and_b32 s2, s2, exec_lo
	s_or_saveexec_b32 s10, s10
	v_mov_b32_e32 v10, s3
	s_xor_b32 exec_lo, exec_lo, s10
	s_cbranch_execnz .LBB265_1248
.LBB265_1229:
	s_or_b32 exec_lo, exec_lo, s10
	s_and_saveexec_b32 s3, s2
	s_cbranch_execz .LBB265_1231
.LBB265_1230:
	v_and_b32_e32 v10, 0xffff, v11
	s_delay_alu instid0(VALU_DEP_1) | instskip(NEXT) | instid1(VALU_DEP_1)
	v_and_b32_e32 v12, 3, v10
	v_clz_i32_u32_e32 v13, v12
	s_delay_alu instid0(VALU_DEP_1) | instskip(NEXT) | instid1(VALU_DEP_1)
	v_min_u32_e32 v13, 32, v13
	v_subrev_nc_u32_e32 v14, 29, v13
	v_sub_nc_u32_e32 v13, 30, v13
	s_delay_alu instid0(VALU_DEP_2) | instskip(SKIP_1) | instid1(VALU_DEP_2)
	v_lshlrev_b32_e32 v14, v14, v10
	v_bfe_u32 v10, v10, 2, 5
	v_and_b32_e32 v14, 3, v14
	s_delay_alu instid0(VALU_DEP_2) | instskip(SKIP_1) | instid1(VALU_DEP_1)
	v_cmp_eq_u32_e32 vcc_lo, 0, v10
	v_dual_cndmask_b32 v10, v10, v13 :: v_dual_lshlrev_b32 v11, 24, v11
	v_dual_cndmask_b32 v12, v12, v14 :: v_dual_and_b32 v11, 0x80000000, v11
	s_delay_alu instid0(VALU_DEP_2) | instskip(NEXT) | instid1(VALU_DEP_2)
	v_lshl_add_u32 v10, v10, 23, 0x37800000
	v_lshlrev_b32_e32 v12, 21, v12
	s_delay_alu instid0(VALU_DEP_1) | instskip(NEXT) | instid1(VALU_DEP_1)
	v_or3_b32 v10, v11, v10, v12
	v_cvt_f16_f32_e32 v10, v10
.LBB265_1231:
	s_or_b32 exec_lo, exec_lo, s3
	s_mov_b32 s2, 0
	s_branch .LBB265_1237
.LBB265_1232:
                                        ; implicit-def: $vgpr10
	s_mov_b32 s2, 0
	s_branch .LBB265_1243
.LBB265_1233:
	s_or_saveexec_b32 s11, s11
	v_mov_b32_e32 v10, s10
	s_xor_b32 exec_lo, exec_lo, s11
	s_cbranch_execz .LBB265_1217
.LBB265_1234:
	v_cmp_ne_u16_e32 vcc_lo, 0, v11
	v_mov_b32_e32 v10, v11
	s_and_not1_b32 s3, s3, exec_lo
	s_and_b32 s10, vcc_lo, exec_lo
	s_delay_alu instid0(SALU_CYCLE_1)
	s_or_b32 s3, s3, s10
	s_or_b32 exec_lo, exec_lo, s11
	s_and_saveexec_b32 s10, s3
	s_cbranch_execnz .LBB265_1218
	s_branch .LBB265_1219
.LBB265_1235:
	s_mov_b32 s2, -1
                                        ; implicit-def: $vgpr10
	s_branch .LBB265_1240
.LBB265_1236:
	s_mov_b32 s2, -1
                                        ; implicit-def: $vgpr10
.LBB265_1237:
	s_delay_alu instid0(SALU_CYCLE_1)
	s_and_b32 vcc_lo, exec_lo, s2
	s_cbranch_vccz .LBB265_1239
; %bb.1238:
	global_load_u8 v10, v[7:8], off
	s_waitcnt vmcnt(0)
	v_lshlrev_b32_e32 v10, 24, v10
	s_delay_alu instid0(VALU_DEP_1) | instskip(NEXT) | instid1(VALU_DEP_1)
	v_and_b32_e32 v11, 0x7f000000, v10
	v_clz_i32_u32_e32 v12, v11
	v_add_nc_u32_e32 v14, 0x1000000, v11
	v_cmp_ne_u32_e32 vcc_lo, 0, v11
	s_delay_alu instid0(VALU_DEP_3) | instskip(NEXT) | instid1(VALU_DEP_1)
	v_min_u32_e32 v12, 32, v12
	v_sub_nc_u32_e64 v12, v12, 4 clamp
	s_delay_alu instid0(VALU_DEP_1) | instskip(SKIP_1) | instid1(VALU_DEP_2)
	v_lshlrev_b32_e32 v13, v12, v11
	v_lshlrev_b32_e32 v12, 23, v12
	v_lshrrev_b32_e32 v13, 4, v13
	s_delay_alu instid0(VALU_DEP_1) | instskip(SKIP_1) | instid1(VALU_DEP_2)
	v_sub_nc_u32_e32 v12, v13, v12
	v_ashrrev_i32_e32 v13, 8, v14
	v_add_nc_u32_e32 v12, 0x3c000000, v12
	s_delay_alu instid0(VALU_DEP_1) | instskip(NEXT) | instid1(VALU_DEP_1)
	v_and_or_b32 v12, 0x7f800000, v13, v12
	v_cndmask_b32_e32 v11, 0, v12, vcc_lo
	s_delay_alu instid0(VALU_DEP_1) | instskip(NEXT) | instid1(VALU_DEP_1)
	v_and_or_b32 v10, 0x80000000, v10, v11
	v_cvt_f16_f32_e32 v10, v10
.LBB265_1239:
	s_mov_b32 s2, 0
.LBB265_1240:
	s_delay_alu instid0(SALU_CYCLE_1)
	s_and_not1_b32 vcc_lo, exec_lo, s2
	s_cbranch_vccnz .LBB265_1242
; %bb.1241:
	global_load_u8 v10, v[7:8], off
	s_waitcnt vmcnt(0)
	v_lshlrev_b32_e32 v11, 25, v10
	v_lshlrev_b16 v10, 8, v10
	s_delay_alu instid0(VALU_DEP_2) | instskip(NEXT) | instid1(VALU_DEP_2)
	v_lshrrev_b32_e32 v12, 4, v11
	v_and_or_b32 v13, 0x7f00, v10, 0.5
	v_bfe_i32 v10, v10, 0, 16
	s_delay_alu instid0(VALU_DEP_3) | instskip(NEXT) | instid1(VALU_DEP_1)
	v_or_b32_e32 v12, 0x70000000, v12
	v_dual_add_f32 v13, -0.5, v13 :: v_dual_mul_f32 v12, 0x7800000, v12
	v_cmp_gt_u32_e32 vcc_lo, 0x8000000, v11
	s_delay_alu instid0(VALU_DEP_2) | instskip(NEXT) | instid1(VALU_DEP_1)
	v_cndmask_b32_e32 v11, v12, v13, vcc_lo
	v_and_or_b32 v10, 0x80000000, v10, v11
	s_delay_alu instid0(VALU_DEP_1)
	v_cvt_f16_f32_e32 v10, v10
.LBB265_1242:
	s_mov_b32 s3, -1
	s_mov_b32 s2, 0
	s_cbranch_execnz .LBB265_1253
.LBB265_1243:
	v_cmp_lt_i16_e32 vcc_lo, 14, v9
	s_cbranch_vccz .LBB265_1246
; %bb.1244:
	v_cmp_eq_u16_e32 vcc_lo, 15, v9
	s_cbranch_vccz .LBB265_1249
; %bb.1245:
	global_load_u16 v10, v[7:8], off
	s_mov_b32 s1, 0
	s_mov_b32 s3, -1
	s_waitcnt vmcnt(0)
	v_lshlrev_b32_e32 v10, 16, v10
	s_delay_alu instid0(VALU_DEP_1)
	v_cvt_f16_f32_e32 v10, v10
	s_branch .LBB265_1251
.LBB265_1246:
	s_mov_b32 s2, -1
	s_branch .LBB265_1250
.LBB265_1247:
	s_or_saveexec_b32 s10, s10
	v_mov_b32_e32 v10, s3
	s_xor_b32 exec_lo, exec_lo, s10
	s_cbranch_execz .LBB265_1229
.LBB265_1248:
	v_cmp_ne_u16_e32 vcc_lo, 0, v11
	v_mov_b32_e32 v10, v11
	s_and_not1_b32 s2, s2, exec_lo
	s_and_b32 s3, vcc_lo, exec_lo
	s_delay_alu instid0(SALU_CYCLE_1)
	s_or_b32 s2, s2, s3
	s_or_b32 exec_lo, exec_lo, s10
	s_and_saveexec_b32 s3, s2
	s_cbranch_execnz .LBB265_1230
	s_branch .LBB265_1231
.LBB265_1249:
	s_mov_b32 s1, -1
.LBB265_1250:
                                        ; implicit-def: $vgpr10
.LBB265_1251:
	s_and_b32 vcc_lo, exec_lo, s2
	s_mov_b32 s2, 0
	s_cbranch_vccz .LBB265_1253
; %bb.1252:
	v_cmp_ne_u16_e64 s1, 11, v9
	s_mov_b32 s2, -1
                                        ; implicit-def: $vgpr10
.LBB265_1253:
	s_delay_alu instid0(VALU_DEP_1)
	s_and_b32 vcc_lo, exec_lo, s1
	s_mov_b32 s1, s8
	s_cbranch_vccnz .LBB265_1277
; %bb.1254:
	s_and_not1_b32 vcc_lo, exec_lo, s2
	s_cbranch_vccnz .LBB265_1256
.LBB265_1255:
	global_load_u8 v10, v[7:8], off
	s_mov_b32 s3, -1
	s_waitcnt vmcnt(0)
	v_cmp_ne_u16_e32 vcc_lo, 0, v10
	v_cndmask_b32_e64 v10, 0, 0x3c00, vcc_lo
.LBB265_1256:
.LBB265_1257:
	s_and_not1_b32 vcc_lo, exec_lo, s3
	s_cbranch_vccnz .LBB265_2090
.LBB265_1258:
	v_cmp_gt_i16_e32 vcc_lo, 11, v9
	s_waitcnt vmcnt(0)
	v_add_co_u32 v6, s2, s6, v6
	s_delay_alu instid0(VALU_DEP_1)
	v_add_co_ci_u32_e64 v7, null, s7, 0, s2
	s_mov_b32 s10, 0
	s_cbranch_vccnz .LBB265_1265
; %bb.1259:
	v_cmp_lt_i16_e32 vcc_lo, 25, v9
	s_mov_b32 s3, 0
	s_cbranch_vccz .LBB265_1271
; %bb.1260:
	v_cmp_lt_i16_e32 vcc_lo, 28, v9
	s_cbranch_vccz .LBB265_1273
; %bb.1261:
	v_cmp_lt_i16_e32 vcc_lo, 43, v9
	;; [unrolled: 3-line block ×3, first 2 shown]
	s_cbranch_vccz .LBB265_1281
; %bb.1263:
	v_cmp_eq_u16_e32 vcc_lo, 46, v9
	s_mov_b32 s11, 0
	s_cbranch_vccz .LBB265_1325
; %bb.1264:
	global_load_b32 v8, v[6:7], off
	s_mov_b32 s2, 0
	s_mov_b32 s10, -1
	s_waitcnt vmcnt(0)
	v_lshlrev_b32_e32 v8, 16, v8
	s_delay_alu instid0(VALU_DEP_1)
	v_cvt_f16_f32_e32 v8, v8
	s_branch .LBB265_1327
.LBB265_1265:
                                        ; implicit-def: $vgpr8
	s_cbranch_execz .LBB265_1392
; %bb.1266:
	v_cmp_gt_i16_e32 vcc_lo, 5, v9
	s_cbranch_vccnz .LBB265_1272
; %bb.1267:
	v_cmp_gt_i16_e32 vcc_lo, 8, v9
	s_cbranch_vccnz .LBB265_1274
	;; [unrolled: 3-line block ×3, first 2 shown]
; %bb.1269:
	v_cmp_lt_i16_e32 vcc_lo, 9, v9
	s_cbranch_vccz .LBB265_1282
; %bb.1270:
	global_load_b64 v[11:12], v[6:7], off
	s_mov_b32 s2, 0
	s_waitcnt vmcnt(0)
	v_cvt_f32_f64_e32 v8, v[11:12]
	s_delay_alu instid0(VALU_DEP_1)
	v_cvt_f16_f32_e32 v8, v8
	s_branch .LBB265_1283
.LBB265_1271:
	s_mov_b32 s2, 0
                                        ; implicit-def: $vgpr8
	s_cbranch_execnz .LBB265_1356
	s_branch .LBB265_1388
.LBB265_1272:
                                        ; implicit-def: $vgpr8
	s_branch .LBB265_1301
.LBB265_1273:
	s_mov_b32 s11, -1
	s_mov_b32 s2, 0
                                        ; implicit-def: $vgpr8
	s_branch .LBB265_1337
.LBB265_1274:
	s_mov_b32 s2, -1
                                        ; implicit-def: $vgpr8
	s_branch .LBB265_1289
.LBB265_1275:
	s_mov_b32 s11, -1
	s_mov_b32 s2, 0
                                        ; implicit-def: $vgpr8
	s_branch .LBB265_1332
.LBB265_1276:
	s_mov_b32 s2, -1
                                        ; implicit-def: $vgpr8
	s_branch .LBB265_1286
.LBB265_1277:
	s_cbranch_execnz .LBB265_1321
; %bb.1278:
	s_or_b32 s1, s8, exec_lo
                                        ; implicit-def: $vgpr10
	s_cbranch_execz .LBB265_1255
	s_branch .LBB265_1256
.LBB265_1279:
	s_or_saveexec_b32 s7, s7
                                        ; implicit-def: $sgpr8
	s_delay_alu instid0(SALU_CYCLE_1)
	s_xor_b32 exec_lo, exec_lo, s7
	s_cbranch_execz .LBB265_987
.LBB265_1280:
	v_add_f32_e64 v3, 0x46000000, |v0|
	s_and_not1_b32 s5, s5, exec_lo
	s_mov_b32 s8, 0
	s_delay_alu instid0(VALU_DEP_1) | instskip(NEXT) | instid1(VALU_DEP_1)
	v_and_b32_e32 v3, 0xff, v3
	v_cmp_ne_u32_e32 vcc_lo, 0, v3
	s_and_b32 s9, vcc_lo, exec_lo
	s_delay_alu instid0(SALU_CYCLE_1)
	s_or_b32 s5, s5, s9
	s_or_b32 exec_lo, exec_lo, s7
	v_mov_b32_e32 v6, s8
	s_and_saveexec_b32 s7, s5
	s_cbranch_execnz .LBB265_988
	s_branch .LBB265_989
.LBB265_1281:
	s_mov_b32 s11, -1
	s_mov_b32 s2, 0
	s_branch .LBB265_1326
.LBB265_1282:
	s_mov_b32 s2, -1
                                        ; implicit-def: $vgpr8
.LBB265_1283:
	s_delay_alu instid0(SALU_CYCLE_1)
	s_and_not1_b32 vcc_lo, exec_lo, s2
	s_cbranch_vccnz .LBB265_1285
; %bb.1284:
	global_load_b32 v8, v[6:7], off
	s_waitcnt vmcnt(0)
	v_cvt_f16_f32_e32 v8, v8
.LBB265_1285:
	s_mov_b32 s2, 0
.LBB265_1286:
	s_delay_alu instid0(SALU_CYCLE_1)
	s_and_not1_b32 vcc_lo, exec_lo, s2
	s_cbranch_vccnz .LBB265_1288
; %bb.1287:
	global_load_b32 v8, v[6:7], off
.LBB265_1288:
	s_mov_b32 s2, 0
.LBB265_1289:
	s_delay_alu instid0(SALU_CYCLE_1)
	s_and_not1_b32 vcc_lo, exec_lo, s2
	s_cbranch_vccnz .LBB265_1300
; %bb.1290:
	v_cmp_gt_i16_e32 vcc_lo, 6, v9
	s_cbranch_vccnz .LBB265_1293
; %bb.1291:
	v_cmp_lt_i16_e32 vcc_lo, 6, v9
	s_cbranch_vccz .LBB265_1294
; %bb.1292:
	global_load_b64 v[11:12], v[6:7], off
	s_mov_b32 s2, 0
	s_waitcnt vmcnt(0)
	v_cvt_f32_f64_e32 v8, v[11:12]
	s_delay_alu instid0(VALU_DEP_1)
	v_cvt_f16_f32_e32 v8, v8
	s_branch .LBB265_1295
.LBB265_1293:
	s_mov_b32 s2, -1
                                        ; implicit-def: $vgpr8
	s_branch .LBB265_1298
.LBB265_1294:
	s_mov_b32 s2, -1
                                        ; implicit-def: $vgpr8
.LBB265_1295:
	s_delay_alu instid0(SALU_CYCLE_1)
	s_and_not1_b32 vcc_lo, exec_lo, s2
	s_cbranch_vccnz .LBB265_1297
; %bb.1296:
	global_load_b32 v8, v[6:7], off
	s_waitcnt vmcnt(0)
	v_cvt_f16_f32_e32 v8, v8
.LBB265_1297:
	s_mov_b32 s2, 0
.LBB265_1298:
	s_delay_alu instid0(SALU_CYCLE_1)
	s_and_not1_b32 vcc_lo, exec_lo, s2
	s_cbranch_vccnz .LBB265_1300
; %bb.1299:
	global_load_u16 v8, v[6:7], off
.LBB265_1300:
	s_cbranch_execnz .LBB265_1320
.LBB265_1301:
	v_cmp_gt_i16_e32 vcc_lo, 2, v9
	s_cbranch_vccnz .LBB265_1305
; %bb.1302:
	v_cmp_gt_i16_e32 vcc_lo, 3, v9
	s_cbranch_vccnz .LBB265_1306
; %bb.1303:
	v_cmp_lt_i16_e32 vcc_lo, 3, v9
	s_cbranch_vccz .LBB265_1307
; %bb.1304:
	global_load_b64 v[11:12], v[6:7], off
	s_mov_b32 s2, 0
	s_waitcnt vmcnt(0)
	v_xor_b32_e32 v8, v11, v12
	v_cls_i32_e32 v13, v12
	s_delay_alu instid0(VALU_DEP_2) | instskip(NEXT) | instid1(VALU_DEP_2)
	v_ashrrev_i32_e32 v8, 31, v8
	v_add_nc_u32_e32 v13, -1, v13
	s_delay_alu instid0(VALU_DEP_2) | instskip(NEXT) | instid1(VALU_DEP_1)
	v_add_nc_u32_e32 v8, 32, v8
	v_min_u32_e32 v8, v13, v8
	s_delay_alu instid0(VALU_DEP_1) | instskip(SKIP_1) | instid1(VALU_DEP_2)
	v_lshlrev_b64 v[11:12], v8, v[11:12]
	v_sub_nc_u32_e32 v8, 32, v8
	v_min_u32_e32 v11, 1, v11
	s_delay_alu instid0(VALU_DEP_1) | instskip(NEXT) | instid1(VALU_DEP_1)
	v_or_b32_e32 v11, v12, v11
	v_cvt_f32_i32_e32 v11, v11
	s_delay_alu instid0(VALU_DEP_1) | instskip(NEXT) | instid1(VALU_DEP_1)
	v_ldexp_f32 v8, v11, v8
	v_cvt_f16_f32_e32 v8, v8
	s_branch .LBB265_1308
.LBB265_1305:
	s_mov_b32 s2, -1
                                        ; implicit-def: $vgpr8
	s_branch .LBB265_1314
.LBB265_1306:
	s_mov_b32 s2, -1
                                        ; implicit-def: $vgpr8
	s_branch .LBB265_1311
.LBB265_1307:
	s_mov_b32 s2, -1
                                        ; implicit-def: $vgpr8
.LBB265_1308:
	s_delay_alu instid0(SALU_CYCLE_1)
	s_and_not1_b32 vcc_lo, exec_lo, s2
	s_cbranch_vccnz .LBB265_1310
; %bb.1309:
	global_load_b32 v8, v[6:7], off
	s_waitcnt vmcnt(0)
	v_cvt_f32_i32_e32 v8, v8
	s_delay_alu instid0(VALU_DEP_1)
	v_cvt_f16_f32_e32 v8, v8
.LBB265_1310:
	s_mov_b32 s2, 0
.LBB265_1311:
	s_delay_alu instid0(SALU_CYCLE_1)
	s_and_not1_b32 vcc_lo, exec_lo, s2
	s_cbranch_vccnz .LBB265_1313
; %bb.1312:
	global_load_u16 v8, v[6:7], off
	s_waitcnt vmcnt(0)
	v_cvt_f16_i16_e32 v8, v8
.LBB265_1313:
	s_mov_b32 s2, 0
.LBB265_1314:
	s_delay_alu instid0(SALU_CYCLE_1)
	s_and_not1_b32 vcc_lo, exec_lo, s2
	s_cbranch_vccnz .LBB265_1320
; %bb.1315:
	v_cmp_lt_i16_e32 vcc_lo, 0, v9
	s_mov_b32 s2, 0
	s_cbranch_vccz .LBB265_1317
; %bb.1316:
	global_load_i8 v8, v[6:7], off
	s_waitcnt vmcnt(0)
	v_cvt_f16_i16_e32 v8, v8
	s_branch .LBB265_1318
.LBB265_1317:
	s_mov_b32 s2, -1
                                        ; implicit-def: $vgpr8
.LBB265_1318:
	s_delay_alu instid0(SALU_CYCLE_1)
	s_and_not1_b32 vcc_lo, exec_lo, s2
	s_cbranch_vccnz .LBB265_1320
; %bb.1319:
	global_load_u8 v6, v[6:7], off
	s_waitcnt vmcnt(0)
	v_cvt_f16_u16_e32 v8, v6
.LBB265_1320:
	s_branch .LBB265_1393
.LBB265_1321:
	s_trap 2
	s_sendmsg_rtn_b32 s0, sendmsg(MSG_RTN_GET_DOORBELL)
	s_mov_b32 ttmp2, m0
	s_waitcnt lgkmcnt(0)
	s_and_b32 s0, s0, 0x3ff
	s_delay_alu instid0(SALU_CYCLE_1) | instskip(NEXT) | instid1(SALU_CYCLE_1)
	s_bitset1_b32 s0, 10
	s_mov_b32 m0, s0
	s_sendmsg sendmsg(MSG_INTERRUPT)
	s_mov_b32 m0, ttmp2
.LBB265_1322:                           ; =>This Inner Loop Header: Depth=1
	s_sethalt 5
	s_branch .LBB265_1322
.LBB265_1323:
	s_or_saveexec_b32 s8, s8
                                        ; implicit-def: $sgpr9
	s_delay_alu instid0(SALU_CYCLE_1)
	s_xor_b32 exec_lo, exec_lo, s8
	s_cbranch_execz .LBB265_999
.LBB265_1324:
	v_add_f32_e64 v3, 0x42800000, |v0|
	s_and_not1_b32 s7, s7, exec_lo
	s_mov_b32 s9, 0
	s_delay_alu instid0(VALU_DEP_1) | instskip(NEXT) | instid1(VALU_DEP_1)
	v_and_b32_e32 v3, 0xff, v3
	v_cmp_ne_u32_e32 vcc_lo, 0, v3
	s_and_b32 s10, vcc_lo, exec_lo
	s_delay_alu instid0(SALU_CYCLE_1)
	s_or_b32 s7, s7, s10
	s_or_b32 exec_lo, exec_lo, s8
	v_mov_b32_e32 v6, s9
	s_and_saveexec_b32 s8, s7
	s_cbranch_execnz .LBB265_1000
	s_branch .LBB265_1001
.LBB265_1325:
	s_mov_b32 s2, -1
.LBB265_1326:
                                        ; implicit-def: $vgpr8
.LBB265_1327:
	s_and_b32 vcc_lo, exec_lo, s11
	s_cbranch_vccz .LBB265_1331
; %bb.1328:
	v_cmp_eq_u16_e32 vcc_lo, 44, v9
	s_cbranch_vccz .LBB265_1330
; %bb.1329:
	global_load_u8 v8, v[6:7], off
	s_mov_b32 s2, 0
	s_mov_b32 s10, -1
	s_waitcnt vmcnt(0)
	v_lshlrev_b32_e32 v11, 23, v8
	v_cmp_ne_u32_e32 vcc_lo, 0xff, v8
	s_delay_alu instid0(VALU_DEP_2) | instskip(NEXT) | instid1(VALU_DEP_1)
	v_cvt_f16_f32_e32 v11, v11
	v_cndmask_b32_e32 v11, 0x7e00, v11, vcc_lo
	v_cmp_ne_u32_e32 vcc_lo, 0, v8
	s_delay_alu instid0(VALU_DEP_2)
	v_cndmask_b32_e32 v8, 0, v11, vcc_lo
	s_branch .LBB265_1331
.LBB265_1330:
	s_mov_b32 s2, -1
                                        ; implicit-def: $vgpr8
.LBB265_1331:
	s_mov_b32 s11, 0
.LBB265_1332:
	s_delay_alu instid0(SALU_CYCLE_1)
	s_and_b32 vcc_lo, exec_lo, s11
	s_cbranch_vccz .LBB265_1336
; %bb.1333:
	v_cmp_eq_u16_e32 vcc_lo, 29, v9
	s_cbranch_vccz .LBB265_1335
; %bb.1334:
	global_load_b64 v[11:12], v[6:7], off
	s_mov_b32 s2, 0
	s_mov_b32 s10, -1
	s_mov_b32 s11, 0
	s_waitcnt vmcnt(0)
	v_clz_i32_u32_e32 v8, v12
	s_delay_alu instid0(VALU_DEP_1) | instskip(NEXT) | instid1(VALU_DEP_1)
	v_min_u32_e32 v8, 32, v8
	v_lshlrev_b64 v[11:12], v8, v[11:12]
	v_sub_nc_u32_e32 v8, 32, v8
	s_delay_alu instid0(VALU_DEP_2) | instskip(NEXT) | instid1(VALU_DEP_1)
	v_min_u32_e32 v11, 1, v11
	v_or_b32_e32 v11, v12, v11
	s_delay_alu instid0(VALU_DEP_1) | instskip(NEXT) | instid1(VALU_DEP_1)
	v_cvt_f32_u32_e32 v11, v11
	v_ldexp_f32 v8, v11, v8
	s_delay_alu instid0(VALU_DEP_1)
	v_cvt_f16_f32_e32 v8, v8
	s_branch .LBB265_1337
.LBB265_1335:
	s_mov_b32 s2, -1
                                        ; implicit-def: $vgpr8
.LBB265_1336:
	s_mov_b32 s11, 0
.LBB265_1337:
	s_delay_alu instid0(SALU_CYCLE_1)
	s_and_b32 vcc_lo, exec_lo, s11
	s_cbranch_vccz .LBB265_1355
; %bb.1338:
	v_cmp_gt_i16_e32 vcc_lo, 27, v9
	s_cbranch_vccnz .LBB265_1341
; %bb.1339:
	v_cmp_lt_i16_e32 vcc_lo, 27, v9
	s_cbranch_vccz .LBB265_1342
; %bb.1340:
	global_load_b32 v8, v[6:7], off
	s_mov_b32 s10, 0
	s_waitcnt vmcnt(0)
	v_cvt_f32_u32_e32 v8, v8
	s_delay_alu instid0(VALU_DEP_1)
	v_cvt_f16_f32_e32 v8, v8
	s_branch .LBB265_1343
.LBB265_1341:
	s_mov_b32 s10, -1
                                        ; implicit-def: $vgpr8
	s_branch .LBB265_1346
.LBB265_1342:
	s_mov_b32 s10, -1
                                        ; implicit-def: $vgpr8
.LBB265_1343:
	s_delay_alu instid0(SALU_CYCLE_1)
	s_and_not1_b32 vcc_lo, exec_lo, s10
	s_cbranch_vccnz .LBB265_1345
; %bb.1344:
	global_load_u16 v8, v[6:7], off
	s_waitcnt vmcnt(0)
	v_cvt_f16_u16_e32 v8, v8
.LBB265_1345:
	s_mov_b32 s10, 0
.LBB265_1346:
	s_delay_alu instid0(SALU_CYCLE_1)
	s_and_not1_b32 vcc_lo, exec_lo, s10
	s_cbranch_vccnz .LBB265_1354
; %bb.1347:
	global_load_u8 v11, v[6:7], off
	s_mov_b32 s10, 0
	s_mov_b32 s12, exec_lo
                                        ; implicit-def: $sgpr11
	s_waitcnt vmcnt(0)
	v_cmpx_lt_i16_e32 0x7f, v11
	s_xor_b32 s12, exec_lo, s12
	s_cbranch_execz .LBB265_1367
; %bb.1348:
	s_mov_b32 s10, -1
	s_mov_b32 s13, exec_lo
                                        ; implicit-def: $sgpr11
	v_cmpx_eq_u16_e32 0x80, v11
; %bb.1349:
	s_movk_i32 s11, 0x7e00
	s_xor_b32 s10, exec_lo, -1
; %bb.1350:
	s_or_b32 exec_lo, exec_lo, s13
	s_delay_alu instid0(SALU_CYCLE_1)
	s_and_b32 s10, s10, exec_lo
	s_or_saveexec_b32 s12, s12
	v_mov_b32_e32 v8, s11
	s_xor_b32 exec_lo, exec_lo, s12
	s_cbranch_execnz .LBB265_1368
.LBB265_1351:
	s_or_b32 exec_lo, exec_lo, s12
	s_and_saveexec_b32 s11, s10
	s_cbranch_execz .LBB265_1353
.LBB265_1352:
	v_and_b32_e32 v8, 0xffff, v11
	s_delay_alu instid0(VALU_DEP_1) | instskip(NEXT) | instid1(VALU_DEP_1)
	v_and_b32_e32 v12, 7, v8
	v_clz_i32_u32_e32 v13, v12
	s_delay_alu instid0(VALU_DEP_1) | instskip(NEXT) | instid1(VALU_DEP_1)
	v_min_u32_e32 v13, 32, v13
	v_subrev_nc_u32_e32 v14, 28, v13
	v_sub_nc_u32_e32 v13, 29, v13
	s_delay_alu instid0(VALU_DEP_2) | instskip(SKIP_1) | instid1(VALU_DEP_2)
	v_lshlrev_b32_e32 v14, v14, v8
	v_bfe_u32 v8, v8, 3, 4
	v_and_b32_e32 v14, 7, v14
	s_delay_alu instid0(VALU_DEP_2) | instskip(SKIP_1) | instid1(VALU_DEP_1)
	v_cmp_eq_u32_e32 vcc_lo, 0, v8
	v_dual_cndmask_b32 v8, v8, v13 :: v_dual_lshlrev_b32 v11, 24, v11
	v_dual_cndmask_b32 v12, v12, v14 :: v_dual_and_b32 v11, 0x80000000, v11
	s_delay_alu instid0(VALU_DEP_2) | instskip(NEXT) | instid1(VALU_DEP_2)
	v_lshl_add_u32 v8, v8, 23, 0x3b800000
	v_lshlrev_b32_e32 v12, 20, v12
	s_delay_alu instid0(VALU_DEP_1) | instskip(NEXT) | instid1(VALU_DEP_1)
	v_or3_b32 v8, v11, v8, v12
	v_cvt_f16_f32_e32 v8, v8
.LBB265_1353:
	s_or_b32 exec_lo, exec_lo, s11
.LBB265_1354:
	s_mov_b32 s10, -1
.LBB265_1355:
	s_branch .LBB265_1388
.LBB265_1356:
	v_cmp_lt_i16_e32 vcc_lo, 22, v9
	s_cbranch_vccz .LBB265_1366
; %bb.1357:
	v_cmp_gt_i16_e32 vcc_lo, 24, v9
	s_cbranch_vccnz .LBB265_1369
; %bb.1358:
	v_cmp_lt_i16_e32 vcc_lo, 24, v9
	s_cbranch_vccz .LBB265_1370
; %bb.1359:
	global_load_u8 v11, v[6:7], off
	s_mov_b32 s11, exec_lo
                                        ; implicit-def: $sgpr10
	s_waitcnt vmcnt(0)
	v_cmpx_lt_i16_e32 0x7f, v11
	s_xor_b32 s11, exec_lo, s11
	s_cbranch_execz .LBB265_1382
; %bb.1360:
	s_mov_b32 s3, -1
	s_mov_b32 s12, exec_lo
                                        ; implicit-def: $sgpr10
	v_cmpx_eq_u16_e32 0x80, v11
; %bb.1361:
	s_movk_i32 s10, 0x7e00
	s_xor_b32 s3, exec_lo, -1
; %bb.1362:
	s_or_b32 exec_lo, exec_lo, s12
	s_delay_alu instid0(SALU_CYCLE_1)
	s_and_b32 s3, s3, exec_lo
	s_or_saveexec_b32 s11, s11
	v_mov_b32_e32 v8, s10
	s_xor_b32 exec_lo, exec_lo, s11
	s_cbranch_execnz .LBB265_1383
.LBB265_1363:
	s_or_b32 exec_lo, exec_lo, s11
	s_and_saveexec_b32 s10, s3
	s_cbranch_execz .LBB265_1365
.LBB265_1364:
	v_and_b32_e32 v8, 0xffff, v11
	s_delay_alu instid0(VALU_DEP_1) | instskip(NEXT) | instid1(VALU_DEP_1)
	v_and_b32_e32 v12, 3, v8
	v_clz_i32_u32_e32 v13, v12
	s_delay_alu instid0(VALU_DEP_1) | instskip(NEXT) | instid1(VALU_DEP_1)
	v_min_u32_e32 v13, 32, v13
	v_subrev_nc_u32_e32 v14, 29, v13
	v_sub_nc_u32_e32 v13, 30, v13
	s_delay_alu instid0(VALU_DEP_2) | instskip(SKIP_1) | instid1(VALU_DEP_2)
	v_lshlrev_b32_e32 v14, v14, v8
	v_bfe_u32 v8, v8, 2, 5
	v_and_b32_e32 v14, 3, v14
	s_delay_alu instid0(VALU_DEP_2) | instskip(SKIP_1) | instid1(VALU_DEP_1)
	v_cmp_eq_u32_e32 vcc_lo, 0, v8
	v_dual_cndmask_b32 v8, v8, v13 :: v_dual_lshlrev_b32 v11, 24, v11
	v_dual_cndmask_b32 v12, v12, v14 :: v_dual_and_b32 v11, 0x80000000, v11
	s_delay_alu instid0(VALU_DEP_2) | instskip(NEXT) | instid1(VALU_DEP_2)
	v_lshl_add_u32 v8, v8, 23, 0x37800000
	v_lshlrev_b32_e32 v12, 21, v12
	s_delay_alu instid0(VALU_DEP_1) | instskip(NEXT) | instid1(VALU_DEP_1)
	v_or3_b32 v8, v11, v8, v12
	v_cvt_f16_f32_e32 v8, v8
.LBB265_1365:
	s_or_b32 exec_lo, exec_lo, s10
	s_mov_b32 s3, 0
	s_branch .LBB265_1371
.LBB265_1366:
	s_mov_b32 s3, -1
                                        ; implicit-def: $vgpr8
	s_branch .LBB265_1377
.LBB265_1367:
	s_or_saveexec_b32 s12, s12
	v_mov_b32_e32 v8, s11
	s_xor_b32 exec_lo, exec_lo, s12
	s_cbranch_execz .LBB265_1351
.LBB265_1368:
	v_cmp_ne_u16_e32 vcc_lo, 0, v11
	v_mov_b32_e32 v8, v11
	s_and_not1_b32 s10, s10, exec_lo
	s_and_b32 s11, vcc_lo, exec_lo
	s_delay_alu instid0(SALU_CYCLE_1)
	s_or_b32 s10, s10, s11
	s_or_b32 exec_lo, exec_lo, s12
	s_and_saveexec_b32 s11, s10
	s_cbranch_execnz .LBB265_1352
	s_branch .LBB265_1353
.LBB265_1369:
	s_mov_b32 s3, -1
                                        ; implicit-def: $vgpr8
	s_branch .LBB265_1374
.LBB265_1370:
	s_mov_b32 s3, -1
                                        ; implicit-def: $vgpr8
.LBB265_1371:
	s_delay_alu instid0(SALU_CYCLE_1)
	s_and_b32 vcc_lo, exec_lo, s3
	s_cbranch_vccz .LBB265_1373
; %bb.1372:
	global_load_u8 v8, v[6:7], off
	s_waitcnt vmcnt(0)
	v_lshlrev_b32_e32 v8, 24, v8
	s_delay_alu instid0(VALU_DEP_1) | instskip(NEXT) | instid1(VALU_DEP_1)
	v_and_b32_e32 v11, 0x7f000000, v8
	v_clz_i32_u32_e32 v12, v11
	v_cmp_ne_u32_e32 vcc_lo, 0, v11
	v_add_nc_u32_e32 v14, 0x1000000, v11
	s_delay_alu instid0(VALU_DEP_3) | instskip(NEXT) | instid1(VALU_DEP_1)
	v_min_u32_e32 v12, 32, v12
	v_sub_nc_u32_e64 v12, v12, 4 clamp
	s_delay_alu instid0(VALU_DEP_1) | instskip(SKIP_1) | instid1(VALU_DEP_2)
	v_lshlrev_b32_e32 v13, v12, v11
	v_lshlrev_b32_e32 v12, 23, v12
	v_lshrrev_b32_e32 v13, 4, v13
	s_delay_alu instid0(VALU_DEP_1) | instskip(SKIP_1) | instid1(VALU_DEP_2)
	v_sub_nc_u32_e32 v12, v13, v12
	v_ashrrev_i32_e32 v13, 8, v14
	v_add_nc_u32_e32 v12, 0x3c000000, v12
	s_delay_alu instid0(VALU_DEP_1) | instskip(NEXT) | instid1(VALU_DEP_1)
	v_and_or_b32 v12, 0x7f800000, v13, v12
	v_cndmask_b32_e32 v11, 0, v12, vcc_lo
	s_delay_alu instid0(VALU_DEP_1) | instskip(NEXT) | instid1(VALU_DEP_1)
	v_and_or_b32 v8, 0x80000000, v8, v11
	v_cvt_f16_f32_e32 v8, v8
.LBB265_1373:
	s_mov_b32 s3, 0
.LBB265_1374:
	s_delay_alu instid0(SALU_CYCLE_1)
	s_and_not1_b32 vcc_lo, exec_lo, s3
	s_cbranch_vccnz .LBB265_1376
; %bb.1375:
	global_load_u8 v8, v[6:7], off
	s_waitcnt vmcnt(0)
	v_lshlrev_b32_e32 v11, 25, v8
	v_lshlrev_b16 v8, 8, v8
	s_delay_alu instid0(VALU_DEP_2) | instskip(NEXT) | instid1(VALU_DEP_2)
	v_lshrrev_b32_e32 v12, 4, v11
	v_and_or_b32 v13, 0x7f00, v8, 0.5
	v_cmp_gt_u32_e32 vcc_lo, 0x8000000, v11
	v_bfe_i32 v8, v8, 0, 16
	s_delay_alu instid0(VALU_DEP_4) | instskip(NEXT) | instid1(VALU_DEP_1)
	v_or_b32_e32 v12, 0x70000000, v12
	v_dual_add_f32 v13, -0.5, v13 :: v_dual_mul_f32 v12, 0x7800000, v12
	s_delay_alu instid0(VALU_DEP_1) | instskip(NEXT) | instid1(VALU_DEP_1)
	v_cndmask_b32_e32 v11, v12, v13, vcc_lo
	v_and_or_b32 v8, 0x80000000, v8, v11
	s_delay_alu instid0(VALU_DEP_1)
	v_cvt_f16_f32_e32 v8, v8
.LBB265_1376:
	s_mov_b32 s3, 0
	s_mov_b32 s10, -1
.LBB265_1377:
	s_and_not1_b32 vcc_lo, exec_lo, s3
	s_mov_b32 s3, 0
	s_cbranch_vccnz .LBB265_1388
; %bb.1378:
	v_cmp_lt_i16_e32 vcc_lo, 14, v9
	s_cbranch_vccz .LBB265_1381
; %bb.1379:
	v_cmp_eq_u16_e32 vcc_lo, 15, v9
	s_cbranch_vccz .LBB265_1384
; %bb.1380:
	global_load_u16 v8, v[6:7], off
	s_mov_b32 s2, 0
	s_mov_b32 s10, -1
	s_waitcnt vmcnt(0)
	v_lshlrev_b32_e32 v8, 16, v8
	s_delay_alu instid0(VALU_DEP_1)
	v_cvt_f16_f32_e32 v8, v8
	s_branch .LBB265_1386
.LBB265_1381:
	s_mov_b32 s3, -1
	s_branch .LBB265_1385
.LBB265_1382:
	s_or_saveexec_b32 s11, s11
	v_mov_b32_e32 v8, s10
	s_xor_b32 exec_lo, exec_lo, s11
	s_cbranch_execz .LBB265_1363
.LBB265_1383:
	v_cmp_ne_u16_e32 vcc_lo, 0, v11
	v_mov_b32_e32 v8, v11
	s_and_not1_b32 s3, s3, exec_lo
	s_and_b32 s10, vcc_lo, exec_lo
	s_delay_alu instid0(SALU_CYCLE_1)
	s_or_b32 s3, s3, s10
	s_or_b32 exec_lo, exec_lo, s11
	s_and_saveexec_b32 s10, s3
	s_cbranch_execnz .LBB265_1364
	s_branch .LBB265_1365
.LBB265_1384:
	s_mov_b32 s2, -1
.LBB265_1385:
                                        ; implicit-def: $vgpr8
.LBB265_1386:
	s_and_b32 vcc_lo, exec_lo, s3
	s_mov_b32 s3, 0
	s_cbranch_vccz .LBB265_1388
; %bb.1387:
	v_cmp_ne_u16_e64 s2, 11, v9
	s_mov_b32 s3, -1
                                        ; implicit-def: $vgpr8
.LBB265_1388:
	s_delay_alu instid0(VALU_DEP_1)
	s_and_b32 vcc_lo, exec_lo, s2
	s_cbranch_vccnz .LBB265_1412
; %bb.1389:
	s_and_not1_b32 vcc_lo, exec_lo, s3
	s_cbranch_vccnz .LBB265_1391
.LBB265_1390:
	global_load_u8 v8, v[6:7], off
	s_mov_b32 s10, -1
	s_waitcnt vmcnt(0)
	v_cmp_ne_u16_e32 vcc_lo, 0, v8
	v_cndmask_b32_e64 v8, 0, 0x3c00, vcc_lo
.LBB265_1391:
.LBB265_1392:
	s_and_not1_b32 vcc_lo, exec_lo, s10
	s_cbranch_vccnz .LBB265_2090
.LBB265_1393:
	v_cmp_gt_i16_e32 vcc_lo, 11, v9
	v_add_co_u32 v5, s2, s6, v5
	s_delay_alu instid0(VALU_DEP_1)
	v_add_co_ci_u32_e64 v6, null, s7, 0, s2
	s_mov_b32 s10, 0
	s_cbranch_vccnz .LBB265_1400
; %bb.1394:
	v_cmp_lt_i16_e32 vcc_lo, 25, v9
	s_mov_b32 s3, 0
	s_cbranch_vccz .LBB265_1406
; %bb.1395:
	v_cmp_lt_i16_e32 vcc_lo, 28, v9
	s_cbranch_vccz .LBB265_1408
; %bb.1396:
	v_cmp_lt_i16_e32 vcc_lo, 43, v9
	;; [unrolled: 3-line block ×3, first 2 shown]
	s_cbranch_vccz .LBB265_1414
; %bb.1398:
	v_cmp_eq_u16_e32 vcc_lo, 46, v9
	s_mov_b32 s11, 0
	s_cbranch_vccz .LBB265_1457
; %bb.1399:
	global_load_b32 v7, v[5:6], off
	s_mov_b32 s2, 0
	s_mov_b32 s10, -1
	s_waitcnt vmcnt(0)
	v_lshlrev_b32_e32 v7, 16, v7
	s_delay_alu instid0(VALU_DEP_1)
	v_cvt_f16_f32_e32 v7, v7
	s_branch .LBB265_1459
.LBB265_1400:
                                        ; implicit-def: $vgpr7
	s_cbranch_execz .LBB265_1525
; %bb.1401:
	v_cmp_gt_i16_e32 vcc_lo, 5, v9
	s_cbranch_vccnz .LBB265_1407
; %bb.1402:
	v_cmp_gt_i16_e32 vcc_lo, 8, v9
	s_cbranch_vccnz .LBB265_1409
; %bb.1403:
	v_cmp_gt_i16_e32 vcc_lo, 9, v9
	s_cbranch_vccnz .LBB265_1411
; %bb.1404:
	v_cmp_lt_i16_e32 vcc_lo, 9, v9
	s_cbranch_vccz .LBB265_1415
; %bb.1405:
	global_load_b64 v[11:12], v[5:6], off
	s_mov_b32 s2, 0
	s_waitcnt vmcnt(0)
	v_cvt_f32_f64_e32 v7, v[11:12]
	s_delay_alu instid0(VALU_DEP_1)
	v_cvt_f16_f32_e32 v7, v7
	s_branch .LBB265_1416
.LBB265_1406:
	s_mov_b32 s11, -1
	s_mov_b32 s2, 0
                                        ; implicit-def: $vgpr7
	s_branch .LBB265_1488
.LBB265_1407:
	s_mov_b32 s2, -1
                                        ; implicit-def: $vgpr7
	s_branch .LBB265_1434
.LBB265_1408:
	s_mov_b32 s11, -1
	s_mov_b32 s2, 0
                                        ; implicit-def: $vgpr7
	s_branch .LBB265_1469
.LBB265_1409:
	s_mov_b32 s2, -1
                                        ; implicit-def: $vgpr7
	s_branch .LBB265_1422
.LBB265_1410:
	s_mov_b32 s11, -1
	s_mov_b32 s2, 0
                                        ; implicit-def: $vgpr7
	s_branch .LBB265_1464
.LBB265_1411:
	s_mov_b32 s2, -1
                                        ; implicit-def: $vgpr7
	s_branch .LBB265_1419
.LBB265_1412:
	s_cbranch_execnz .LBB265_1455
; %bb.1413:
	s_or_b32 s1, s1, exec_lo
                                        ; implicit-def: $vgpr8
	s_cbranch_execz .LBB265_1390
	s_branch .LBB265_1391
.LBB265_1414:
	s_mov_b32 s11, -1
	s_mov_b32 s2, 0
	s_branch .LBB265_1458
.LBB265_1415:
	s_mov_b32 s2, -1
                                        ; implicit-def: $vgpr7
.LBB265_1416:
	s_delay_alu instid0(SALU_CYCLE_1)
	s_and_not1_b32 vcc_lo, exec_lo, s2
	s_cbranch_vccnz .LBB265_1418
; %bb.1417:
	global_load_b32 v7, v[5:6], off
	s_waitcnt vmcnt(0)
	v_cvt_f16_f32_e32 v7, v7
.LBB265_1418:
	s_mov_b32 s2, 0
.LBB265_1419:
	s_delay_alu instid0(SALU_CYCLE_1)
	s_and_not1_b32 vcc_lo, exec_lo, s2
	s_cbranch_vccnz .LBB265_1421
; %bb.1420:
	global_load_b32 v7, v[5:6], off
.LBB265_1421:
	s_mov_b32 s2, 0
.LBB265_1422:
	s_delay_alu instid0(SALU_CYCLE_1)
	s_and_not1_b32 vcc_lo, exec_lo, s2
	s_cbranch_vccnz .LBB265_1433
; %bb.1423:
	v_cmp_gt_i16_e32 vcc_lo, 6, v9
	s_cbranch_vccnz .LBB265_1426
; %bb.1424:
	v_cmp_lt_i16_e32 vcc_lo, 6, v9
	s_cbranch_vccz .LBB265_1427
; %bb.1425:
	global_load_b64 v[11:12], v[5:6], off
	s_mov_b32 s2, 0
	s_waitcnt vmcnt(0)
	v_cvt_f32_f64_e32 v7, v[11:12]
	s_delay_alu instid0(VALU_DEP_1)
	v_cvt_f16_f32_e32 v7, v7
	s_branch .LBB265_1428
.LBB265_1426:
	s_mov_b32 s2, -1
                                        ; implicit-def: $vgpr7
	s_branch .LBB265_1431
.LBB265_1427:
	s_mov_b32 s2, -1
                                        ; implicit-def: $vgpr7
.LBB265_1428:
	s_delay_alu instid0(SALU_CYCLE_1)
	s_and_not1_b32 vcc_lo, exec_lo, s2
	s_cbranch_vccnz .LBB265_1430
; %bb.1429:
	global_load_b32 v7, v[5:6], off
	s_waitcnt vmcnt(0)
	v_cvt_f16_f32_e32 v7, v7
.LBB265_1430:
	s_mov_b32 s2, 0
.LBB265_1431:
	s_delay_alu instid0(SALU_CYCLE_1)
	s_and_not1_b32 vcc_lo, exec_lo, s2
	s_cbranch_vccnz .LBB265_1433
; %bb.1432:
	global_load_u16 v7, v[5:6], off
.LBB265_1433:
	s_mov_b32 s2, 0
.LBB265_1434:
	s_delay_alu instid0(SALU_CYCLE_1)
	s_and_not1_b32 vcc_lo, exec_lo, s2
	s_cbranch_vccnz .LBB265_1454
; %bb.1435:
	v_cmp_gt_i16_e32 vcc_lo, 2, v9
	s_cbranch_vccnz .LBB265_1439
; %bb.1436:
	v_cmp_gt_i16_e32 vcc_lo, 3, v9
	s_cbranch_vccnz .LBB265_1440
; %bb.1437:
	v_cmp_lt_i16_e32 vcc_lo, 3, v9
	s_cbranch_vccz .LBB265_1441
; %bb.1438:
	global_load_b64 v[11:12], v[5:6], off
	s_mov_b32 s2, 0
	s_waitcnt vmcnt(0)
	v_xor_b32_e32 v7, v11, v12
	v_cls_i32_e32 v13, v12
	s_delay_alu instid0(VALU_DEP_2) | instskip(NEXT) | instid1(VALU_DEP_2)
	v_ashrrev_i32_e32 v7, 31, v7
	v_add_nc_u32_e32 v13, -1, v13
	s_delay_alu instid0(VALU_DEP_2) | instskip(NEXT) | instid1(VALU_DEP_1)
	v_add_nc_u32_e32 v7, 32, v7
	v_min_u32_e32 v7, v13, v7
	s_delay_alu instid0(VALU_DEP_1) | instskip(SKIP_1) | instid1(VALU_DEP_2)
	v_lshlrev_b64 v[11:12], v7, v[11:12]
	v_sub_nc_u32_e32 v7, 32, v7
	v_min_u32_e32 v11, 1, v11
	s_delay_alu instid0(VALU_DEP_1) | instskip(NEXT) | instid1(VALU_DEP_1)
	v_or_b32_e32 v11, v12, v11
	v_cvt_f32_i32_e32 v11, v11
	s_delay_alu instid0(VALU_DEP_1) | instskip(NEXT) | instid1(VALU_DEP_1)
	v_ldexp_f32 v7, v11, v7
	v_cvt_f16_f32_e32 v7, v7
	s_branch .LBB265_1442
.LBB265_1439:
	s_mov_b32 s2, -1
                                        ; implicit-def: $vgpr7
	s_branch .LBB265_1448
.LBB265_1440:
	s_mov_b32 s2, -1
                                        ; implicit-def: $vgpr7
	s_branch .LBB265_1445
.LBB265_1441:
	s_mov_b32 s2, -1
                                        ; implicit-def: $vgpr7
.LBB265_1442:
	s_delay_alu instid0(SALU_CYCLE_1)
	s_and_not1_b32 vcc_lo, exec_lo, s2
	s_cbranch_vccnz .LBB265_1444
; %bb.1443:
	global_load_b32 v7, v[5:6], off
	s_waitcnt vmcnt(0)
	v_cvt_f32_i32_e32 v7, v7
	s_delay_alu instid0(VALU_DEP_1)
	v_cvt_f16_f32_e32 v7, v7
.LBB265_1444:
	s_mov_b32 s2, 0
.LBB265_1445:
	s_delay_alu instid0(SALU_CYCLE_1)
	s_and_not1_b32 vcc_lo, exec_lo, s2
	s_cbranch_vccnz .LBB265_1447
; %bb.1446:
	global_load_u16 v7, v[5:6], off
	s_waitcnt vmcnt(0)
	v_cvt_f16_i16_e32 v7, v7
.LBB265_1447:
	s_mov_b32 s2, 0
.LBB265_1448:
	s_delay_alu instid0(SALU_CYCLE_1)
	s_and_not1_b32 vcc_lo, exec_lo, s2
	s_cbranch_vccnz .LBB265_1454
; %bb.1449:
	v_cmp_lt_i16_e32 vcc_lo, 0, v9
	s_mov_b32 s2, 0
	s_cbranch_vccz .LBB265_1451
; %bb.1450:
	global_load_i8 v7, v[5:6], off
	s_waitcnt vmcnt(0)
	v_cvt_f16_i16_e32 v7, v7
	s_branch .LBB265_1452
.LBB265_1451:
	s_mov_b32 s2, -1
                                        ; implicit-def: $vgpr7
.LBB265_1452:
	s_delay_alu instid0(SALU_CYCLE_1)
	s_and_not1_b32 vcc_lo, exec_lo, s2
	s_cbranch_vccnz .LBB265_1454
; %bb.1453:
	global_load_u8 v5, v[5:6], off
	s_waitcnt vmcnt(0)
	v_cvt_f16_u16_e32 v7, v5
.LBB265_1454:
	s_branch .LBB265_1526
.LBB265_1455:
	s_trap 2
	s_sendmsg_rtn_b32 s0, sendmsg(MSG_RTN_GET_DOORBELL)
	s_mov_b32 ttmp2, m0
	s_waitcnt lgkmcnt(0)
	s_and_b32 s0, s0, 0x3ff
	s_delay_alu instid0(SALU_CYCLE_1) | instskip(NEXT) | instid1(SALU_CYCLE_1)
	s_bitset1_b32 s0, 10
	s_mov_b32 m0, s0
	s_sendmsg sendmsg(MSG_INTERRUPT)
	s_mov_b32 m0, ttmp2
.LBB265_1456:                           ; =>This Inner Loop Header: Depth=1
	s_sethalt 5
	s_branch .LBB265_1456
.LBB265_1457:
	s_mov_b32 s2, -1
.LBB265_1458:
                                        ; implicit-def: $vgpr7
.LBB265_1459:
	s_and_b32 vcc_lo, exec_lo, s11
	s_cbranch_vccz .LBB265_1463
; %bb.1460:
	v_cmp_eq_u16_e32 vcc_lo, 44, v9
	s_cbranch_vccz .LBB265_1462
; %bb.1461:
	global_load_u8 v7, v[5:6], off
	s_mov_b32 s2, 0
	s_mov_b32 s10, -1
	s_waitcnt vmcnt(0)
	v_lshlrev_b32_e32 v11, 23, v7
	v_cmp_ne_u32_e32 vcc_lo, 0xff, v7
	s_delay_alu instid0(VALU_DEP_2) | instskip(NEXT) | instid1(VALU_DEP_1)
	v_cvt_f16_f32_e32 v11, v11
	v_cndmask_b32_e32 v11, 0x7e00, v11, vcc_lo
	v_cmp_ne_u32_e32 vcc_lo, 0, v7
	s_delay_alu instid0(VALU_DEP_2)
	v_cndmask_b32_e32 v7, 0, v11, vcc_lo
	s_branch .LBB265_1463
.LBB265_1462:
	s_mov_b32 s2, -1
                                        ; implicit-def: $vgpr7
.LBB265_1463:
	s_mov_b32 s11, 0
.LBB265_1464:
	s_delay_alu instid0(SALU_CYCLE_1)
	s_and_b32 vcc_lo, exec_lo, s11
	s_cbranch_vccz .LBB265_1468
; %bb.1465:
	v_cmp_eq_u16_e32 vcc_lo, 29, v9
	s_cbranch_vccz .LBB265_1467
; %bb.1466:
	global_load_b64 v[11:12], v[5:6], off
	s_mov_b32 s2, 0
	s_mov_b32 s10, -1
	s_mov_b32 s11, 0
	s_waitcnt vmcnt(0)
	v_clz_i32_u32_e32 v7, v12
	s_delay_alu instid0(VALU_DEP_1) | instskip(NEXT) | instid1(VALU_DEP_1)
	v_min_u32_e32 v7, 32, v7
	v_lshlrev_b64 v[11:12], v7, v[11:12]
	v_sub_nc_u32_e32 v7, 32, v7
	s_delay_alu instid0(VALU_DEP_2) | instskip(NEXT) | instid1(VALU_DEP_1)
	v_min_u32_e32 v11, 1, v11
	v_or_b32_e32 v11, v12, v11
	s_delay_alu instid0(VALU_DEP_1) | instskip(NEXT) | instid1(VALU_DEP_1)
	v_cvt_f32_u32_e32 v11, v11
	v_ldexp_f32 v7, v11, v7
	s_delay_alu instid0(VALU_DEP_1)
	v_cvt_f16_f32_e32 v7, v7
	s_branch .LBB265_1469
.LBB265_1467:
	s_mov_b32 s2, -1
                                        ; implicit-def: $vgpr7
.LBB265_1468:
	s_mov_b32 s11, 0
.LBB265_1469:
	s_delay_alu instid0(SALU_CYCLE_1)
	s_and_b32 vcc_lo, exec_lo, s11
	s_cbranch_vccz .LBB265_1487
; %bb.1470:
	v_cmp_gt_i16_e32 vcc_lo, 27, v9
	s_cbranch_vccnz .LBB265_1473
; %bb.1471:
	v_cmp_lt_i16_e32 vcc_lo, 27, v9
	s_cbranch_vccz .LBB265_1474
; %bb.1472:
	global_load_b32 v7, v[5:6], off
	s_mov_b32 s10, 0
	s_waitcnt vmcnt(0)
	v_cvt_f32_u32_e32 v7, v7
	s_delay_alu instid0(VALU_DEP_1)
	v_cvt_f16_f32_e32 v7, v7
	s_branch .LBB265_1475
.LBB265_1473:
	s_mov_b32 s10, -1
                                        ; implicit-def: $vgpr7
	s_branch .LBB265_1478
.LBB265_1474:
	s_mov_b32 s10, -1
                                        ; implicit-def: $vgpr7
.LBB265_1475:
	s_delay_alu instid0(SALU_CYCLE_1)
	s_and_not1_b32 vcc_lo, exec_lo, s10
	s_cbranch_vccnz .LBB265_1477
; %bb.1476:
	global_load_u16 v7, v[5:6], off
	s_waitcnt vmcnt(0)
	v_cvt_f16_u16_e32 v7, v7
.LBB265_1477:
	s_mov_b32 s10, 0
.LBB265_1478:
	s_delay_alu instid0(SALU_CYCLE_1)
	s_and_not1_b32 vcc_lo, exec_lo, s10
	s_cbranch_vccnz .LBB265_1486
; %bb.1479:
	global_load_u8 v11, v[5:6], off
	s_mov_b32 s10, 0
	s_mov_b32 s12, exec_lo
                                        ; implicit-def: $sgpr11
	s_waitcnt vmcnt(0)
	v_cmpx_lt_i16_e32 0x7f, v11
	s_xor_b32 s12, exec_lo, s12
	s_cbranch_execz .LBB265_1500
; %bb.1480:
	s_mov_b32 s10, -1
	s_mov_b32 s13, exec_lo
                                        ; implicit-def: $sgpr11
	v_cmpx_eq_u16_e32 0x80, v11
; %bb.1481:
	s_movk_i32 s11, 0x7e00
	s_xor_b32 s10, exec_lo, -1
; %bb.1482:
	s_or_b32 exec_lo, exec_lo, s13
	s_delay_alu instid0(SALU_CYCLE_1)
	s_and_b32 s10, s10, exec_lo
	s_or_saveexec_b32 s12, s12
	v_mov_b32_e32 v7, s11
	s_xor_b32 exec_lo, exec_lo, s12
	s_cbranch_execnz .LBB265_1501
.LBB265_1483:
	s_or_b32 exec_lo, exec_lo, s12
	s_and_saveexec_b32 s11, s10
	s_cbranch_execz .LBB265_1485
.LBB265_1484:
	v_and_b32_e32 v7, 0xffff, v11
	v_lshlrev_b32_e32 v11, 24, v11
	s_delay_alu instid0(VALU_DEP_2) | instskip(NEXT) | instid1(VALU_DEP_2)
	v_and_b32_e32 v12, 7, v7
	v_and_b32_e32 v11, 0x80000000, v11
	s_delay_alu instid0(VALU_DEP_2) | instskip(NEXT) | instid1(VALU_DEP_1)
	v_clz_i32_u32_e32 v13, v12
	v_min_u32_e32 v13, 32, v13
	s_delay_alu instid0(VALU_DEP_1) | instskip(SKIP_1) | instid1(VALU_DEP_2)
	v_subrev_nc_u32_e32 v14, 28, v13
	v_sub_nc_u32_e32 v13, 29, v13
	v_lshlrev_b32_e32 v14, v14, v7
	v_bfe_u32 v7, v7, 3, 4
	s_delay_alu instid0(VALU_DEP_2) | instskip(NEXT) | instid1(VALU_DEP_2)
	v_and_b32_e32 v14, 7, v14
	v_cmp_eq_u32_e32 vcc_lo, 0, v7
	s_delay_alu instid0(VALU_DEP_2) | instskip(NEXT) | instid1(VALU_DEP_1)
	v_dual_cndmask_b32 v7, v7, v13 :: v_dual_cndmask_b32 v12, v12, v14
	v_lshl_add_u32 v7, v7, 23, 0x3b800000
	s_delay_alu instid0(VALU_DEP_2) | instskip(NEXT) | instid1(VALU_DEP_1)
	v_lshlrev_b32_e32 v12, 20, v12
	v_or3_b32 v7, v11, v7, v12
	s_delay_alu instid0(VALU_DEP_1)
	v_cvt_f16_f32_e32 v7, v7
.LBB265_1485:
	s_or_b32 exec_lo, exec_lo, s11
.LBB265_1486:
	s_mov_b32 s10, -1
.LBB265_1487:
	s_mov_b32 s11, 0
.LBB265_1488:
	s_delay_alu instid0(SALU_CYCLE_1)
	s_and_b32 vcc_lo, exec_lo, s11
	s_cbranch_vccz .LBB265_1521
; %bb.1489:
	v_cmp_lt_i16_e32 vcc_lo, 22, v9
	s_cbranch_vccz .LBB265_1499
; %bb.1490:
	v_cmp_gt_i16_e32 vcc_lo, 24, v9
	s_cbranch_vccnz .LBB265_1502
; %bb.1491:
	v_cmp_lt_i16_e32 vcc_lo, 24, v9
	s_cbranch_vccz .LBB265_1503
; %bb.1492:
	global_load_u8 v11, v[5:6], off
	s_mov_b32 s11, exec_lo
                                        ; implicit-def: $sgpr10
	s_waitcnt vmcnt(0)
	v_cmpx_lt_i16_e32 0x7f, v11
	s_xor_b32 s11, exec_lo, s11
	s_cbranch_execz .LBB265_1515
; %bb.1493:
	s_mov_b32 s3, -1
	s_mov_b32 s12, exec_lo
                                        ; implicit-def: $sgpr10
	v_cmpx_eq_u16_e32 0x80, v11
; %bb.1494:
	s_movk_i32 s10, 0x7e00
	s_xor_b32 s3, exec_lo, -1
; %bb.1495:
	s_or_b32 exec_lo, exec_lo, s12
	s_delay_alu instid0(SALU_CYCLE_1)
	s_and_b32 s3, s3, exec_lo
	s_or_saveexec_b32 s11, s11
	v_mov_b32_e32 v7, s10
	s_xor_b32 exec_lo, exec_lo, s11
	s_cbranch_execnz .LBB265_1516
.LBB265_1496:
	s_or_b32 exec_lo, exec_lo, s11
	s_and_saveexec_b32 s10, s3
	s_cbranch_execz .LBB265_1498
.LBB265_1497:
	v_and_b32_e32 v7, 0xffff, v11
	v_lshlrev_b32_e32 v11, 24, v11
	s_delay_alu instid0(VALU_DEP_2) | instskip(NEXT) | instid1(VALU_DEP_2)
	v_and_b32_e32 v12, 3, v7
	v_and_b32_e32 v11, 0x80000000, v11
	s_delay_alu instid0(VALU_DEP_2) | instskip(NEXT) | instid1(VALU_DEP_1)
	v_clz_i32_u32_e32 v13, v12
	v_min_u32_e32 v13, 32, v13
	s_delay_alu instid0(VALU_DEP_1) | instskip(SKIP_1) | instid1(VALU_DEP_2)
	v_subrev_nc_u32_e32 v14, 29, v13
	v_sub_nc_u32_e32 v13, 30, v13
	v_lshlrev_b32_e32 v14, v14, v7
	v_bfe_u32 v7, v7, 2, 5
	s_delay_alu instid0(VALU_DEP_2) | instskip(NEXT) | instid1(VALU_DEP_2)
	v_and_b32_e32 v14, 3, v14
	v_cmp_eq_u32_e32 vcc_lo, 0, v7
	s_delay_alu instid0(VALU_DEP_2) | instskip(NEXT) | instid1(VALU_DEP_1)
	v_dual_cndmask_b32 v7, v7, v13 :: v_dual_cndmask_b32 v12, v12, v14
	v_lshl_add_u32 v7, v7, 23, 0x37800000
	s_delay_alu instid0(VALU_DEP_2) | instskip(NEXT) | instid1(VALU_DEP_1)
	v_lshlrev_b32_e32 v12, 21, v12
	v_or3_b32 v7, v11, v7, v12
	s_delay_alu instid0(VALU_DEP_1)
	v_cvt_f16_f32_e32 v7, v7
.LBB265_1498:
	s_or_b32 exec_lo, exec_lo, s10
	s_mov_b32 s3, 0
	s_branch .LBB265_1504
.LBB265_1499:
	s_mov_b32 s3, -1
                                        ; implicit-def: $vgpr7
	s_branch .LBB265_1510
.LBB265_1500:
	s_or_saveexec_b32 s12, s12
	v_mov_b32_e32 v7, s11
	s_xor_b32 exec_lo, exec_lo, s12
	s_cbranch_execz .LBB265_1483
.LBB265_1501:
	v_cmp_ne_u16_e32 vcc_lo, 0, v11
	v_mov_b32_e32 v7, v11
	s_and_not1_b32 s10, s10, exec_lo
	s_and_b32 s11, vcc_lo, exec_lo
	s_delay_alu instid0(SALU_CYCLE_1)
	s_or_b32 s10, s10, s11
	s_or_b32 exec_lo, exec_lo, s12
	s_and_saveexec_b32 s11, s10
	s_cbranch_execnz .LBB265_1484
	s_branch .LBB265_1485
.LBB265_1502:
	s_mov_b32 s3, -1
                                        ; implicit-def: $vgpr7
	s_branch .LBB265_1507
.LBB265_1503:
	s_mov_b32 s3, -1
                                        ; implicit-def: $vgpr7
.LBB265_1504:
	s_delay_alu instid0(SALU_CYCLE_1)
	s_and_b32 vcc_lo, exec_lo, s3
	s_cbranch_vccz .LBB265_1506
; %bb.1505:
	global_load_u8 v7, v[5:6], off
	s_waitcnt vmcnt(0)
	v_lshlrev_b32_e32 v7, 24, v7
	s_delay_alu instid0(VALU_DEP_1) | instskip(NEXT) | instid1(VALU_DEP_1)
	v_and_b32_e32 v11, 0x7f000000, v7
	v_clz_i32_u32_e32 v12, v11
	v_cmp_ne_u32_e32 vcc_lo, 0, v11
	v_add_nc_u32_e32 v14, 0x1000000, v11
	s_delay_alu instid0(VALU_DEP_3) | instskip(NEXT) | instid1(VALU_DEP_1)
	v_min_u32_e32 v12, 32, v12
	v_sub_nc_u32_e64 v12, v12, 4 clamp
	s_delay_alu instid0(VALU_DEP_1) | instskip(SKIP_1) | instid1(VALU_DEP_2)
	v_lshlrev_b32_e32 v13, v12, v11
	v_lshlrev_b32_e32 v12, 23, v12
	v_lshrrev_b32_e32 v13, 4, v13
	s_delay_alu instid0(VALU_DEP_1) | instskip(SKIP_1) | instid1(VALU_DEP_2)
	v_sub_nc_u32_e32 v12, v13, v12
	v_ashrrev_i32_e32 v13, 8, v14
	v_add_nc_u32_e32 v12, 0x3c000000, v12
	s_delay_alu instid0(VALU_DEP_1) | instskip(NEXT) | instid1(VALU_DEP_1)
	v_and_or_b32 v12, 0x7f800000, v13, v12
	v_cndmask_b32_e32 v11, 0, v12, vcc_lo
	s_delay_alu instid0(VALU_DEP_1) | instskip(NEXT) | instid1(VALU_DEP_1)
	v_and_or_b32 v7, 0x80000000, v7, v11
	v_cvt_f16_f32_e32 v7, v7
.LBB265_1506:
	s_mov_b32 s3, 0
.LBB265_1507:
	s_delay_alu instid0(SALU_CYCLE_1)
	s_and_not1_b32 vcc_lo, exec_lo, s3
	s_cbranch_vccnz .LBB265_1509
; %bb.1508:
	global_load_u8 v7, v[5:6], off
	s_waitcnt vmcnt(0)
	v_lshlrev_b32_e32 v11, 25, v7
	v_lshlrev_b16 v7, 8, v7
	s_delay_alu instid0(VALU_DEP_2) | instskip(NEXT) | instid1(VALU_DEP_2)
	v_lshrrev_b32_e32 v12, 4, v11
	v_and_or_b32 v13, 0x7f00, v7, 0.5
	v_bfe_i32 v7, v7, 0, 16
	s_delay_alu instid0(VALU_DEP_3) | instskip(NEXT) | instid1(VALU_DEP_1)
	v_or_b32_e32 v12, 0x70000000, v12
	v_dual_add_f32 v13, -0.5, v13 :: v_dual_mul_f32 v12, 0x7800000, v12
	v_cmp_gt_u32_e32 vcc_lo, 0x8000000, v11
	s_delay_alu instid0(VALU_DEP_2) | instskip(NEXT) | instid1(VALU_DEP_1)
	v_cndmask_b32_e32 v11, v12, v13, vcc_lo
	v_and_or_b32 v7, 0x80000000, v7, v11
	s_delay_alu instid0(VALU_DEP_1)
	v_cvt_f16_f32_e32 v7, v7
.LBB265_1509:
	s_mov_b32 s3, 0
	s_mov_b32 s10, -1
.LBB265_1510:
	s_and_not1_b32 vcc_lo, exec_lo, s3
	s_mov_b32 s3, 0
	s_cbranch_vccnz .LBB265_1521
; %bb.1511:
	v_cmp_lt_i16_e32 vcc_lo, 14, v9
	s_cbranch_vccz .LBB265_1514
; %bb.1512:
	v_cmp_eq_u16_e32 vcc_lo, 15, v9
	s_cbranch_vccz .LBB265_1517
; %bb.1513:
	global_load_u16 v7, v[5:6], off
	s_mov_b32 s2, 0
	s_mov_b32 s10, -1
	s_waitcnt vmcnt(0)
	v_lshlrev_b32_e32 v7, 16, v7
	s_delay_alu instid0(VALU_DEP_1)
	v_cvt_f16_f32_e32 v7, v7
	s_branch .LBB265_1519
.LBB265_1514:
	s_mov_b32 s3, -1
	s_branch .LBB265_1518
.LBB265_1515:
	s_or_saveexec_b32 s11, s11
	v_mov_b32_e32 v7, s10
	s_xor_b32 exec_lo, exec_lo, s11
	s_cbranch_execz .LBB265_1496
.LBB265_1516:
	v_cmp_ne_u16_e32 vcc_lo, 0, v11
	v_mov_b32_e32 v7, v11
	s_and_not1_b32 s3, s3, exec_lo
	s_and_b32 s10, vcc_lo, exec_lo
	s_delay_alu instid0(SALU_CYCLE_1)
	s_or_b32 s3, s3, s10
	s_or_b32 exec_lo, exec_lo, s11
	s_and_saveexec_b32 s10, s3
	s_cbranch_execnz .LBB265_1497
	s_branch .LBB265_1498
.LBB265_1517:
	s_mov_b32 s2, -1
.LBB265_1518:
                                        ; implicit-def: $vgpr7
.LBB265_1519:
	s_and_b32 vcc_lo, exec_lo, s3
	s_mov_b32 s3, 0
	s_cbranch_vccz .LBB265_1521
; %bb.1520:
	v_cmp_ne_u16_e64 s2, 11, v9
	s_mov_b32 s3, -1
                                        ; implicit-def: $vgpr7
.LBB265_1521:
	s_delay_alu instid0(VALU_DEP_1)
	s_and_b32 vcc_lo, exec_lo, s2
	s_cbranch_vccnz .LBB265_1537
; %bb.1522:
	s_and_not1_b32 vcc_lo, exec_lo, s3
	s_cbranch_vccnz .LBB265_1524
.LBB265_1523:
	global_load_u8 v7, v[5:6], off
	s_mov_b32 s10, -1
	s_waitcnt vmcnt(0)
	v_cmp_ne_u16_e32 vcc_lo, 0, v7
	v_cndmask_b32_e64 v7, 0, 0x3c00, vcc_lo
.LBB265_1524:
.LBB265_1525:
	s_and_not1_b32 vcc_lo, exec_lo, s10
	s_cbranch_vccnz .LBB265_2090
.LBB265_1526:
	v_cmp_gt_i16_e32 vcc_lo, 11, v9
	v_add_co_u32 v4, s2, s6, v4
	s_delay_alu instid0(VALU_DEP_1)
	v_add_co_ci_u32_e64 v5, null, s7, 0, s2
	s_mov_b32 s6, 0
	s_cbranch_vccnz .LBB265_1533
; %bb.1527:
	v_cmp_lt_i16_e32 vcc_lo, 25, v9
	s_mov_b32 s3, 0
	s_cbranch_vccz .LBB265_1534
; %bb.1528:
	v_cmp_lt_i16_e32 vcc_lo, 28, v9
	s_cbranch_vccz .LBB265_1535
; %bb.1529:
	v_cmp_lt_i16_e32 vcc_lo, 43, v9
	s_cbranch_vccz .LBB265_1536
; %bb.1530:
	v_cmp_lt_i16_e32 vcc_lo, 45, v9
	s_cbranch_vccz .LBB265_1539
; %bb.1531:
	v_cmp_eq_u16_e32 vcc_lo, 46, v9
	s_mov_b32 s7, 0
	s_cbranch_vccz .LBB265_1542
; %bb.1532:
	global_load_b32 v6, v[4:5], off
	s_mov_b32 s2, 0
	s_mov_b32 s6, -1
	s_waitcnt vmcnt(0)
	v_lshlrev_b32_e32 v6, 16, v6
	s_delay_alu instid0(VALU_DEP_1)
	v_cvt_f16_f32_e32 v11, v6
	s_branch .LBB265_1544
.LBB265_1533:
	s_mov_b32 s2, -1
                                        ; implicit-def: $vgpr11
	s_branch .LBB265_1610
.LBB265_1534:
	s_mov_b32 s7, -1
	s_mov_b32 s2, 0
                                        ; implicit-def: $vgpr11
	s_branch .LBB265_1573
.LBB265_1535:
	s_mov_b32 s7, -1
	s_mov_b32 s2, 0
                                        ; implicit-def: $vgpr11
	s_branch .LBB265_1554
.LBB265_1536:
	s_mov_b32 s7, -1
	s_mov_b32 s2, 0
                                        ; implicit-def: $vgpr11
	s_branch .LBB265_1549
.LBB265_1537:
	s_cbranch_execnz .LBB265_1540
; %bb.1538:
	s_or_b32 s1, s1, exec_lo
                                        ; implicit-def: $vgpr7
	s_cbranch_execz .LBB265_1523
	s_branch .LBB265_1524
.LBB265_1539:
	s_mov_b32 s7, -1
	s_mov_b32 s2, 0
	s_branch .LBB265_1543
.LBB265_1540:
	s_trap 2
	s_sendmsg_rtn_b32 s0, sendmsg(MSG_RTN_GET_DOORBELL)
	s_mov_b32 ttmp2, m0
	s_waitcnt lgkmcnt(0)
	s_and_b32 s0, s0, 0x3ff
	s_delay_alu instid0(SALU_CYCLE_1) | instskip(NEXT) | instid1(SALU_CYCLE_1)
	s_bitset1_b32 s0, 10
	s_mov_b32 m0, s0
	s_sendmsg sendmsg(MSG_INTERRUPT)
	s_mov_b32 m0, ttmp2
.LBB265_1541:                           ; =>This Inner Loop Header: Depth=1
	s_sethalt 5
	s_branch .LBB265_1541
.LBB265_1542:
	s_mov_b32 s2, -1
.LBB265_1543:
                                        ; implicit-def: $vgpr11
.LBB265_1544:
	s_and_b32 vcc_lo, exec_lo, s7
	s_cbranch_vccz .LBB265_1548
; %bb.1545:
	v_cmp_eq_u16_e32 vcc_lo, 44, v9
	s_cbranch_vccz .LBB265_1547
; %bb.1546:
	global_load_u8 v6, v[4:5], off
	s_mov_b32 s2, 0
	s_mov_b32 s6, -1
	s_waitcnt vmcnt(0)
	v_lshlrev_b32_e32 v11, 23, v6
	v_cmp_ne_u32_e32 vcc_lo, 0xff, v6
	s_delay_alu instid0(VALU_DEP_2) | instskip(NEXT) | instid1(VALU_DEP_1)
	v_cvt_f16_f32_e32 v11, v11
	v_cndmask_b32_e32 v11, 0x7e00, v11, vcc_lo
	v_cmp_ne_u32_e32 vcc_lo, 0, v6
	s_delay_alu instid0(VALU_DEP_2)
	v_cndmask_b32_e32 v11, 0, v11, vcc_lo
	s_branch .LBB265_1548
.LBB265_1547:
	s_mov_b32 s2, -1
                                        ; implicit-def: $vgpr11
.LBB265_1548:
	s_mov_b32 s7, 0
.LBB265_1549:
	s_delay_alu instid0(SALU_CYCLE_1)
	s_and_b32 vcc_lo, exec_lo, s7
	s_cbranch_vccz .LBB265_1553
; %bb.1550:
	v_cmp_eq_u16_e32 vcc_lo, 29, v9
	s_cbranch_vccz .LBB265_1552
; %bb.1551:
	global_load_b64 v[11:12], v[4:5], off
	s_mov_b32 s2, 0
	s_mov_b32 s6, -1
	s_mov_b32 s7, 0
	s_waitcnt vmcnt(0)
	v_clz_i32_u32_e32 v6, v12
	s_delay_alu instid0(VALU_DEP_1) | instskip(NEXT) | instid1(VALU_DEP_1)
	v_min_u32_e32 v6, 32, v6
	v_lshlrev_b64 v[11:12], v6, v[11:12]
	v_sub_nc_u32_e32 v6, 32, v6
	s_delay_alu instid0(VALU_DEP_2) | instskip(NEXT) | instid1(VALU_DEP_1)
	v_min_u32_e32 v11, 1, v11
	v_or_b32_e32 v11, v12, v11
	s_delay_alu instid0(VALU_DEP_1) | instskip(NEXT) | instid1(VALU_DEP_1)
	v_cvt_f32_u32_e32 v11, v11
	v_ldexp_f32 v6, v11, v6
	s_delay_alu instid0(VALU_DEP_1)
	v_cvt_f16_f32_e32 v11, v6
	s_branch .LBB265_1554
.LBB265_1552:
	s_mov_b32 s2, -1
                                        ; implicit-def: $vgpr11
.LBB265_1553:
	s_mov_b32 s7, 0
.LBB265_1554:
	s_delay_alu instid0(SALU_CYCLE_1)
	s_and_b32 vcc_lo, exec_lo, s7
	s_cbranch_vccz .LBB265_1572
; %bb.1555:
	v_cmp_gt_i16_e32 vcc_lo, 27, v9
	s_cbranch_vccnz .LBB265_1558
; %bb.1556:
	v_cmp_lt_i16_e32 vcc_lo, 27, v9
	s_cbranch_vccz .LBB265_1559
; %bb.1557:
	global_load_b32 v6, v[4:5], off
	s_mov_b32 s6, 0
	s_waitcnt vmcnt(0)
	v_cvt_f32_u32_e32 v6, v6
	s_delay_alu instid0(VALU_DEP_1)
	v_cvt_f16_f32_e32 v11, v6
	s_branch .LBB265_1560
.LBB265_1558:
	s_mov_b32 s6, -1
                                        ; implicit-def: $vgpr11
	s_branch .LBB265_1563
.LBB265_1559:
	s_mov_b32 s6, -1
                                        ; implicit-def: $vgpr11
.LBB265_1560:
	s_delay_alu instid0(SALU_CYCLE_1)
	s_and_not1_b32 vcc_lo, exec_lo, s6
	s_cbranch_vccnz .LBB265_1562
; %bb.1561:
	global_load_u16 v6, v[4:5], off
	s_waitcnt vmcnt(0)
	v_cvt_f16_u16_e32 v11, v6
.LBB265_1562:
	s_mov_b32 s6, 0
.LBB265_1563:
	s_delay_alu instid0(SALU_CYCLE_1)
	s_and_not1_b32 vcc_lo, exec_lo, s6
	s_cbranch_vccnz .LBB265_1571
; %bb.1564:
	global_load_u8 v6, v[4:5], off
	s_mov_b32 s6, 0
	s_mov_b32 s10, exec_lo
                                        ; implicit-def: $sgpr7
	s_waitcnt vmcnt(0)
	v_cmpx_lt_i16_e32 0x7f, v6
	s_xor_b32 s10, exec_lo, s10
	s_cbranch_execz .LBB265_1585
; %bb.1565:
	s_mov_b32 s6, -1
	s_mov_b32 s11, exec_lo
                                        ; implicit-def: $sgpr7
	v_cmpx_eq_u16_e32 0x80, v6
; %bb.1566:
	s_movk_i32 s7, 0x7e00
	s_xor_b32 s6, exec_lo, -1
; %bb.1567:
	s_or_b32 exec_lo, exec_lo, s11
	s_delay_alu instid0(SALU_CYCLE_1)
	s_and_b32 s6, s6, exec_lo
	s_or_saveexec_b32 s10, s10
	v_mov_b32_e32 v11, s7
	s_xor_b32 exec_lo, exec_lo, s10
	s_cbranch_execnz .LBB265_1586
.LBB265_1568:
	s_or_b32 exec_lo, exec_lo, s10
	s_and_saveexec_b32 s7, s6
	s_cbranch_execz .LBB265_1570
.LBB265_1569:
	v_and_b32_e32 v11, 0xffff, v6
	v_lshlrev_b32_e32 v6, 24, v6
	s_delay_alu instid0(VALU_DEP_2) | instskip(NEXT) | instid1(VALU_DEP_2)
	v_and_b32_e32 v12, 7, v11
	v_and_b32_e32 v6, 0x80000000, v6
	s_delay_alu instid0(VALU_DEP_2) | instskip(NEXT) | instid1(VALU_DEP_1)
	v_clz_i32_u32_e32 v13, v12
	v_min_u32_e32 v13, 32, v13
	s_delay_alu instid0(VALU_DEP_1) | instskip(SKIP_1) | instid1(VALU_DEP_2)
	v_subrev_nc_u32_e32 v14, 28, v13
	v_sub_nc_u32_e32 v13, 29, v13
	v_lshlrev_b32_e32 v14, v14, v11
	v_bfe_u32 v11, v11, 3, 4
	s_delay_alu instid0(VALU_DEP_2) | instskip(NEXT) | instid1(VALU_DEP_2)
	v_and_b32_e32 v14, 7, v14
	v_cmp_eq_u32_e32 vcc_lo, 0, v11
	s_delay_alu instid0(VALU_DEP_2) | instskip(NEXT) | instid1(VALU_DEP_1)
	v_dual_cndmask_b32 v11, v11, v13 :: v_dual_cndmask_b32 v12, v12, v14
	v_lshl_add_u32 v11, v11, 23, 0x3b800000
	s_delay_alu instid0(VALU_DEP_2) | instskip(NEXT) | instid1(VALU_DEP_1)
	v_lshlrev_b32_e32 v12, 20, v12
	v_or3_b32 v6, v6, v11, v12
	s_delay_alu instid0(VALU_DEP_1)
	v_cvt_f16_f32_e32 v11, v6
.LBB265_1570:
	s_or_b32 exec_lo, exec_lo, s7
.LBB265_1571:
	s_mov_b32 s6, -1
.LBB265_1572:
	s_mov_b32 s7, 0
.LBB265_1573:
	s_delay_alu instid0(SALU_CYCLE_1)
	s_and_b32 vcc_lo, exec_lo, s7
	s_cbranch_vccz .LBB265_1606
; %bb.1574:
	v_cmp_lt_i16_e32 vcc_lo, 22, v9
	s_cbranch_vccz .LBB265_1584
; %bb.1575:
	v_cmp_gt_i16_e32 vcc_lo, 24, v9
	s_cbranch_vccnz .LBB265_1587
; %bb.1576:
	v_cmp_lt_i16_e32 vcc_lo, 24, v9
	s_cbranch_vccz .LBB265_1588
; %bb.1577:
	global_load_u8 v6, v[4:5], off
	s_mov_b32 s7, exec_lo
                                        ; implicit-def: $sgpr6
	s_waitcnt vmcnt(0)
	v_cmpx_lt_i16_e32 0x7f, v6
	s_xor_b32 s7, exec_lo, s7
	s_cbranch_execz .LBB265_1600
; %bb.1578:
	s_mov_b32 s3, -1
	s_mov_b32 s10, exec_lo
                                        ; implicit-def: $sgpr6
	v_cmpx_eq_u16_e32 0x80, v6
; %bb.1579:
	s_movk_i32 s6, 0x7e00
	s_xor_b32 s3, exec_lo, -1
; %bb.1580:
	s_or_b32 exec_lo, exec_lo, s10
	s_delay_alu instid0(SALU_CYCLE_1)
	s_and_b32 s3, s3, exec_lo
	s_or_saveexec_b32 s7, s7
	v_mov_b32_e32 v11, s6
	s_xor_b32 exec_lo, exec_lo, s7
	s_cbranch_execnz .LBB265_1601
.LBB265_1581:
	s_or_b32 exec_lo, exec_lo, s7
	s_and_saveexec_b32 s6, s3
	s_cbranch_execz .LBB265_1583
.LBB265_1582:
	v_and_b32_e32 v11, 0xffff, v6
	v_lshlrev_b32_e32 v6, 24, v6
	s_delay_alu instid0(VALU_DEP_2) | instskip(NEXT) | instid1(VALU_DEP_2)
	v_and_b32_e32 v12, 3, v11
	v_and_b32_e32 v6, 0x80000000, v6
	s_delay_alu instid0(VALU_DEP_2) | instskip(NEXT) | instid1(VALU_DEP_1)
	v_clz_i32_u32_e32 v13, v12
	v_min_u32_e32 v13, 32, v13
	s_delay_alu instid0(VALU_DEP_1) | instskip(SKIP_1) | instid1(VALU_DEP_2)
	v_subrev_nc_u32_e32 v14, 29, v13
	v_sub_nc_u32_e32 v13, 30, v13
	v_lshlrev_b32_e32 v14, v14, v11
	v_bfe_u32 v11, v11, 2, 5
	s_delay_alu instid0(VALU_DEP_2) | instskip(NEXT) | instid1(VALU_DEP_2)
	v_and_b32_e32 v14, 3, v14
	v_cmp_eq_u32_e32 vcc_lo, 0, v11
	s_delay_alu instid0(VALU_DEP_2) | instskip(NEXT) | instid1(VALU_DEP_1)
	v_dual_cndmask_b32 v11, v11, v13 :: v_dual_cndmask_b32 v12, v12, v14
	v_lshl_add_u32 v11, v11, 23, 0x37800000
	s_delay_alu instid0(VALU_DEP_2) | instskip(NEXT) | instid1(VALU_DEP_1)
	v_lshlrev_b32_e32 v12, 21, v12
	v_or3_b32 v6, v6, v11, v12
	s_delay_alu instid0(VALU_DEP_1)
	v_cvt_f16_f32_e32 v11, v6
.LBB265_1583:
	s_or_b32 exec_lo, exec_lo, s6
	s_mov_b32 s3, 0
	s_branch .LBB265_1589
.LBB265_1584:
	s_mov_b32 s3, -1
                                        ; implicit-def: $vgpr11
	s_branch .LBB265_1595
.LBB265_1585:
	s_or_saveexec_b32 s10, s10
	v_mov_b32_e32 v11, s7
	s_xor_b32 exec_lo, exec_lo, s10
	s_cbranch_execz .LBB265_1568
.LBB265_1586:
	v_cmp_ne_u16_e32 vcc_lo, 0, v6
	v_mov_b32_e32 v11, v6
	s_and_not1_b32 s6, s6, exec_lo
	s_and_b32 s7, vcc_lo, exec_lo
	s_delay_alu instid0(SALU_CYCLE_1)
	s_or_b32 s6, s6, s7
	s_or_b32 exec_lo, exec_lo, s10
	s_and_saveexec_b32 s7, s6
	s_cbranch_execnz .LBB265_1569
	s_branch .LBB265_1570
.LBB265_1587:
	s_mov_b32 s3, -1
                                        ; implicit-def: $vgpr11
	s_branch .LBB265_1592
.LBB265_1588:
	s_mov_b32 s3, -1
                                        ; implicit-def: $vgpr11
.LBB265_1589:
	s_delay_alu instid0(SALU_CYCLE_1)
	s_and_b32 vcc_lo, exec_lo, s3
	s_cbranch_vccz .LBB265_1591
; %bb.1590:
	global_load_u8 v6, v[4:5], off
	s_waitcnt vmcnt(0)
	v_lshlrev_b32_e32 v6, 24, v6
	s_delay_alu instid0(VALU_DEP_1) | instskip(NEXT) | instid1(VALU_DEP_1)
	v_and_b32_e32 v11, 0x7f000000, v6
	v_clz_i32_u32_e32 v12, v11
	v_add_nc_u32_e32 v14, 0x1000000, v11
	v_cmp_ne_u32_e32 vcc_lo, 0, v11
	s_delay_alu instid0(VALU_DEP_3) | instskip(NEXT) | instid1(VALU_DEP_1)
	v_min_u32_e32 v12, 32, v12
	v_sub_nc_u32_e64 v12, v12, 4 clamp
	s_delay_alu instid0(VALU_DEP_1) | instskip(SKIP_1) | instid1(VALU_DEP_2)
	v_lshlrev_b32_e32 v13, v12, v11
	v_lshlrev_b32_e32 v12, 23, v12
	v_lshrrev_b32_e32 v13, 4, v13
	s_delay_alu instid0(VALU_DEP_1) | instskip(SKIP_1) | instid1(VALU_DEP_2)
	v_sub_nc_u32_e32 v12, v13, v12
	v_ashrrev_i32_e32 v13, 8, v14
	v_add_nc_u32_e32 v12, 0x3c000000, v12
	s_delay_alu instid0(VALU_DEP_1) | instskip(NEXT) | instid1(VALU_DEP_1)
	v_and_or_b32 v12, 0x7f800000, v13, v12
	v_cndmask_b32_e32 v11, 0, v12, vcc_lo
	s_delay_alu instid0(VALU_DEP_1) | instskip(NEXT) | instid1(VALU_DEP_1)
	v_and_or_b32 v6, 0x80000000, v6, v11
	v_cvt_f16_f32_e32 v11, v6
.LBB265_1591:
	s_mov_b32 s3, 0
.LBB265_1592:
	s_delay_alu instid0(SALU_CYCLE_1)
	s_and_not1_b32 vcc_lo, exec_lo, s3
	s_cbranch_vccnz .LBB265_1594
; %bb.1593:
	global_load_u8 v6, v[4:5], off
	s_waitcnt vmcnt(0)
	v_lshlrev_b32_e32 v11, 25, v6
	v_lshlrev_b16 v6, 8, v6
	s_delay_alu instid0(VALU_DEP_2) | instskip(NEXT) | instid1(VALU_DEP_2)
	v_lshrrev_b32_e32 v12, 4, v11
	v_and_or_b32 v13, 0x7f00, v6, 0.5
	v_bfe_i32 v6, v6, 0, 16
	s_delay_alu instid0(VALU_DEP_3) | instskip(NEXT) | instid1(VALU_DEP_1)
	v_or_b32_e32 v12, 0x70000000, v12
	v_dual_add_f32 v13, -0.5, v13 :: v_dual_mul_f32 v12, 0x7800000, v12
	v_cmp_gt_u32_e32 vcc_lo, 0x8000000, v11
	s_delay_alu instid0(VALU_DEP_2) | instskip(NEXT) | instid1(VALU_DEP_1)
	v_cndmask_b32_e32 v11, v12, v13, vcc_lo
	v_and_or_b32 v6, 0x80000000, v6, v11
	s_delay_alu instid0(VALU_DEP_1)
	v_cvt_f16_f32_e32 v11, v6
.LBB265_1594:
	s_mov_b32 s3, 0
	s_mov_b32 s6, -1
.LBB265_1595:
	s_and_not1_b32 vcc_lo, exec_lo, s3
	s_mov_b32 s3, 0
	s_cbranch_vccnz .LBB265_1606
; %bb.1596:
	v_cmp_lt_i16_e32 vcc_lo, 14, v9
	s_cbranch_vccz .LBB265_1599
; %bb.1597:
	v_cmp_eq_u16_e32 vcc_lo, 15, v9
	s_cbranch_vccz .LBB265_1602
; %bb.1598:
	global_load_u16 v6, v[4:5], off
	s_mov_b32 s2, 0
	s_mov_b32 s6, -1
	s_waitcnt vmcnt(0)
	v_lshlrev_b32_e32 v6, 16, v6
	s_delay_alu instid0(VALU_DEP_1)
	v_cvt_f16_f32_e32 v11, v6
	s_branch .LBB265_1604
.LBB265_1599:
	s_mov_b32 s3, -1
	s_branch .LBB265_1603
.LBB265_1600:
	s_or_saveexec_b32 s7, s7
	v_mov_b32_e32 v11, s6
	s_xor_b32 exec_lo, exec_lo, s7
	s_cbranch_execz .LBB265_1581
.LBB265_1601:
	v_cmp_ne_u16_e32 vcc_lo, 0, v6
	v_mov_b32_e32 v11, v6
	s_and_not1_b32 s3, s3, exec_lo
	s_and_b32 s6, vcc_lo, exec_lo
	s_delay_alu instid0(SALU_CYCLE_1)
	s_or_b32 s3, s3, s6
	s_or_b32 exec_lo, exec_lo, s7
	s_and_saveexec_b32 s6, s3
	s_cbranch_execnz .LBB265_1582
	s_branch .LBB265_1583
.LBB265_1602:
	s_mov_b32 s2, -1
.LBB265_1603:
                                        ; implicit-def: $vgpr11
.LBB265_1604:
	s_and_b32 vcc_lo, exec_lo, s3
	s_mov_b32 s3, 0
	s_cbranch_vccz .LBB265_1606
; %bb.1605:
	v_cmp_ne_u16_e64 s2, 11, v9
	s_mov_b32 s3, -1
                                        ; implicit-def: $vgpr11
.LBB265_1606:
	s_delay_alu instid0(VALU_DEP_1)
	s_and_b32 vcc_lo, exec_lo, s2
	s_cbranch_vccnz .LBB265_2135
; %bb.1607:
	s_and_not1_b32 vcc_lo, exec_lo, s3
	s_cbranch_vccnz .LBB265_1609
.LBB265_1608:
	global_load_u8 v6, v[4:5], off
	s_mov_b32 s6, -1
	s_waitcnt vmcnt(0)
	v_cmp_ne_u16_e32 vcc_lo, 0, v6
	v_cndmask_b32_e64 v11, 0, 0x3c00, vcc_lo
.LBB265_1609:
	s_mov_b32 s2, 0
.LBB265_1610:
	s_delay_alu instid0(SALU_CYCLE_1)
	s_and_b32 vcc_lo, exec_lo, s2
	s_cbranch_vccz .LBB265_1659
; %bb.1611:
	v_cmp_gt_i16_e32 vcc_lo, 5, v9
	s_cbranch_vccnz .LBB265_1616
; %bb.1612:
	v_cmp_gt_i16_e32 vcc_lo, 8, v9
	s_cbranch_vccnz .LBB265_1617
	;; [unrolled: 3-line block ×3, first 2 shown]
; %bb.1614:
	v_cmp_lt_i16_e32 vcc_lo, 9, v9
	s_cbranch_vccz .LBB265_1619
; %bb.1615:
	global_load_b64 v[11:12], v[4:5], off
	s_mov_b32 s2, 0
	s_waitcnt vmcnt(0)
	v_cvt_f32_f64_e32 v6, v[11:12]
	s_delay_alu instid0(VALU_DEP_1)
	v_cvt_f16_f32_e32 v11, v6
	s_branch .LBB265_1620
.LBB265_1616:
	s_mov_b32 s2, -1
                                        ; implicit-def: $vgpr11
	s_branch .LBB265_1638
.LBB265_1617:
	s_mov_b32 s2, -1
                                        ; implicit-def: $vgpr11
	s_branch .LBB265_1626
.LBB265_1618:
	s_mov_b32 s2, -1
                                        ; implicit-def: $vgpr11
	s_branch .LBB265_1623
.LBB265_1619:
	s_mov_b32 s2, -1
                                        ; implicit-def: $vgpr11
.LBB265_1620:
	s_delay_alu instid0(SALU_CYCLE_1)
	s_and_not1_b32 vcc_lo, exec_lo, s2
	s_cbranch_vccnz .LBB265_1622
; %bb.1621:
	global_load_b32 v6, v[4:5], off
	s_waitcnt vmcnt(0)
	v_cvt_f16_f32_e32 v11, v6
.LBB265_1622:
	s_mov_b32 s2, 0
.LBB265_1623:
	s_delay_alu instid0(SALU_CYCLE_1)
	s_and_not1_b32 vcc_lo, exec_lo, s2
	s_cbranch_vccnz .LBB265_1625
; %bb.1624:
	global_load_b32 v11, v[4:5], off
.LBB265_1625:
	s_mov_b32 s2, 0
.LBB265_1626:
	s_delay_alu instid0(SALU_CYCLE_1)
	s_and_not1_b32 vcc_lo, exec_lo, s2
	s_cbranch_vccnz .LBB265_1637
; %bb.1627:
	v_cmp_gt_i16_e32 vcc_lo, 6, v9
	s_cbranch_vccnz .LBB265_1630
; %bb.1628:
	v_cmp_lt_i16_e32 vcc_lo, 6, v9
	s_cbranch_vccz .LBB265_1631
; %bb.1629:
	global_load_b64 v[11:12], v[4:5], off
	s_mov_b32 s2, 0
	s_waitcnt vmcnt(0)
	v_cvt_f32_f64_e32 v6, v[11:12]
	s_delay_alu instid0(VALU_DEP_1)
	v_cvt_f16_f32_e32 v11, v6
	s_branch .LBB265_1632
.LBB265_1630:
	s_mov_b32 s2, -1
                                        ; implicit-def: $vgpr11
	s_branch .LBB265_1635
.LBB265_1631:
	s_mov_b32 s2, -1
                                        ; implicit-def: $vgpr11
.LBB265_1632:
	s_delay_alu instid0(SALU_CYCLE_1)
	s_and_not1_b32 vcc_lo, exec_lo, s2
	s_cbranch_vccnz .LBB265_1634
; %bb.1633:
	global_load_b32 v6, v[4:5], off
	s_waitcnt vmcnt(0)
	v_cvt_f16_f32_e32 v11, v6
.LBB265_1634:
	s_mov_b32 s2, 0
.LBB265_1635:
	s_delay_alu instid0(SALU_CYCLE_1)
	s_and_not1_b32 vcc_lo, exec_lo, s2
	s_cbranch_vccnz .LBB265_1637
; %bb.1636:
	global_load_u16 v11, v[4:5], off
.LBB265_1637:
	s_mov_b32 s2, 0
.LBB265_1638:
	s_delay_alu instid0(SALU_CYCLE_1)
	s_and_not1_b32 vcc_lo, exec_lo, s2
	s_cbranch_vccnz .LBB265_1658
; %bb.1639:
	v_cmp_gt_i16_e32 vcc_lo, 2, v9
	s_cbranch_vccnz .LBB265_1643
; %bb.1640:
	v_cmp_gt_i16_e32 vcc_lo, 3, v9
	s_cbranch_vccnz .LBB265_1644
; %bb.1641:
	v_cmp_lt_i16_e32 vcc_lo, 3, v9
	s_cbranch_vccz .LBB265_1645
; %bb.1642:
	global_load_b64 v[11:12], v[4:5], off
	s_mov_b32 s2, 0
	s_waitcnt vmcnt(0)
	v_xor_b32_e32 v6, v11, v12
	v_cls_i32_e32 v13, v12
	s_delay_alu instid0(VALU_DEP_2) | instskip(NEXT) | instid1(VALU_DEP_2)
	v_ashrrev_i32_e32 v6, 31, v6
	v_add_nc_u32_e32 v13, -1, v13
	s_delay_alu instid0(VALU_DEP_2) | instskip(NEXT) | instid1(VALU_DEP_1)
	v_add_nc_u32_e32 v6, 32, v6
	v_min_u32_e32 v6, v13, v6
	s_delay_alu instid0(VALU_DEP_1) | instskip(SKIP_1) | instid1(VALU_DEP_2)
	v_lshlrev_b64 v[11:12], v6, v[11:12]
	v_sub_nc_u32_e32 v6, 32, v6
	v_min_u32_e32 v11, 1, v11
	s_delay_alu instid0(VALU_DEP_1) | instskip(NEXT) | instid1(VALU_DEP_1)
	v_or_b32_e32 v11, v12, v11
	v_cvt_f32_i32_e32 v11, v11
	s_delay_alu instid0(VALU_DEP_1) | instskip(NEXT) | instid1(VALU_DEP_1)
	v_ldexp_f32 v6, v11, v6
	v_cvt_f16_f32_e32 v11, v6
	s_branch .LBB265_1646
.LBB265_1643:
	s_mov_b32 s2, -1
                                        ; implicit-def: $vgpr11
	s_branch .LBB265_1652
.LBB265_1644:
	s_mov_b32 s2, -1
                                        ; implicit-def: $vgpr11
	s_branch .LBB265_1649
.LBB265_1645:
	s_mov_b32 s2, -1
                                        ; implicit-def: $vgpr11
.LBB265_1646:
	s_delay_alu instid0(SALU_CYCLE_1)
	s_and_not1_b32 vcc_lo, exec_lo, s2
	s_cbranch_vccnz .LBB265_1648
; %bb.1647:
	global_load_b32 v6, v[4:5], off
	s_waitcnt vmcnt(0)
	v_cvt_f32_i32_e32 v6, v6
	s_delay_alu instid0(VALU_DEP_1)
	v_cvt_f16_f32_e32 v11, v6
.LBB265_1648:
	s_mov_b32 s2, 0
.LBB265_1649:
	s_delay_alu instid0(SALU_CYCLE_1)
	s_and_not1_b32 vcc_lo, exec_lo, s2
	s_cbranch_vccnz .LBB265_1651
; %bb.1650:
	global_load_u16 v6, v[4:5], off
	s_waitcnt vmcnt(0)
	v_cvt_f16_i16_e32 v11, v6
.LBB265_1651:
	s_mov_b32 s2, 0
.LBB265_1652:
	s_delay_alu instid0(SALU_CYCLE_1)
	s_and_not1_b32 vcc_lo, exec_lo, s2
	s_cbranch_vccnz .LBB265_1658
; %bb.1653:
	v_cmp_lt_i16_e32 vcc_lo, 0, v9
	s_mov_b32 s2, 0
	s_cbranch_vccz .LBB265_1655
; %bb.1654:
	global_load_i8 v6, v[4:5], off
	s_waitcnt vmcnt(0)
	v_cvt_f16_i16_e32 v11, v6
	s_branch .LBB265_1656
.LBB265_1655:
	s_mov_b32 s2, -1
                                        ; implicit-def: $vgpr11
.LBB265_1656:
	s_delay_alu instid0(SALU_CYCLE_1)
	s_and_not1_b32 vcc_lo, exec_lo, s2
	s_cbranch_vccnz .LBB265_1658
; %bb.1657:
	global_load_u8 v4, v[4:5], off
	s_waitcnt vmcnt(0)
	v_cvt_f16_u16_e32 v11, v4
.LBB265_1658:
	s_mov_b32 s6, -1
.LBB265_1659:
	s_delay_alu instid0(SALU_CYCLE_1)
	s_and_not1_b32 vcc_lo, exec_lo, s6
	s_cbranch_vccnz .LBB265_2090
; %bb.1660:
	v_cvt_f32_f16_e32 v4, v10
	s_lshr_b32 s0, s0, 8
	s_mov_b32 s3, 0
	s_delay_alu instid0(VALU_DEP_1) | instskip(SKIP_1) | instid1(VALU_DEP_2)
	v_mul_f32_e32 v5, 0x4f800000, v4
	v_cmp_gt_f32_e32 vcc_lo, 0xf800000, v4
	v_cndmask_b32_e32 v4, v4, v5, vcc_lo
	s_delay_alu instid0(VALU_DEP_1) | instskip(SKIP_3) | instid1(VALU_DEP_1)
	v_rsq_f32_e32 v5, v4
	s_waitcnt_depctr 0xfff
	v_mul_f32_e32 v9, v4, v5
	v_mul_f32_e32 v5, 0.5, v5
	v_fma_f32 v6, -v5, v9, 0.5
	s_delay_alu instid0(VALU_DEP_1) | instskip(SKIP_1) | instid1(VALU_DEP_2)
	v_fmac_f32_e32 v9, v9, v6
	v_fmac_f32_e32 v5, v5, v6
	v_fma_f32 v6, -v9, v9, v4
	s_delay_alu instid0(VALU_DEP_1) | instskip(SKIP_2) | instid1(VALU_DEP_3)
	v_fmac_f32_e32 v9, v6, v5
	v_and_b32_e64 v6, 0xff, s0
	v_cmp_class_f32_e64 s0, v4, 0x260
	v_mul_f32_e32 v5, 0x37800000, v9
	s_delay_alu instid0(VALU_DEP_1) | instskip(NEXT) | instid1(VALU_DEP_4)
	v_cndmask_b32_e32 v5, v9, v5, vcc_lo
	v_cmp_gt_i16_e32 vcc_lo, 11, v6
	s_delay_alu instid0(VALU_DEP_2) | instskip(SKIP_1) | instid1(VALU_DEP_1)
	v_cndmask_b32_e64 v5, v5, v4, s0
	v_add_co_u32 v3, s0, s4, v3
	v_add_co_ci_u32_e64 v4, null, s5, 0, s0
	s_delay_alu instid0(VALU_DEP_3)
	v_cvt_f16_f32_e32 v5, v5
	s_mov_b32 s0, -1
	s_cbranch_vccnz .LBB265_1738
; %bb.1661:
	v_cmp_lt_i16_e32 vcc_lo, 25, v6
	s_mov_b32 s6, -1
	s_mov_b32 s2, 0
	s_mov_b32 s0, 0
	s_cbranch_vccz .LBB265_1694
; %bb.1662:
	v_cmp_lt_i16_e32 vcc_lo, 28, v6
	s_cbranch_vccz .LBB265_1677
; %bb.1663:
	v_cmp_lt_i16_e32 vcc_lo, 43, v6
	;; [unrolled: 3-line block ×3, first 2 shown]
	s_cbranch_vccz .LBB265_1667
; %bb.1665:
	v_cmp_eq_u16_e32 vcc_lo, 46, v6
	s_mov_b32 s0, -1
	s_mov_b32 s6, 0
	s_cbranch_vccz .LBB265_1667
; %bb.1666:
	v_cvt_f32_f16_e32 v9, v5
	v_cmp_o_f16_e32 vcc_lo, v5, v5
	s_mov_b32 s0, 0
	s_mov_b32 s3, -1
	s_delay_alu instid0(VALU_DEP_2) | instskip(NEXT) | instid1(VALU_DEP_1)
	v_bfe_u32 v10, v9, 16, 1
	v_add3_u32 v9, v9, v10, 0x7fff
	s_delay_alu instid0(VALU_DEP_1) | instskip(NEXT) | instid1(VALU_DEP_1)
	v_lshrrev_b32_e32 v9, 16, v9
	v_cndmask_b32_e32 v9, 0x7fc0, v9, vcc_lo
	global_store_b32 v[3:4], v9, off
.LBB265_1667:
	s_and_b32 vcc_lo, exec_lo, s6
	s_cbranch_vccz .LBB265_1672
; %bb.1668:
	v_cmp_eq_u16_e32 vcc_lo, 44, v6
	s_mov_b32 s0, -1
	s_cbranch_vccz .LBB265_1672
; %bb.1669:
	v_cvt_f32_f16_e32 v9, v5
	v_mov_b32_e32 v10, 0xff
	s_mov_b32 s3, exec_lo
	s_delay_alu instid0(VALU_DEP_2) | instskip(NEXT) | instid1(VALU_DEP_1)
	v_bfe_u32 v12, v9, 23, 8
	v_cmpx_ne_u32_e32 0xff, v12
; %bb.1670:
	v_and_b32_e32 v10, 0x400000, v9
	v_and_or_b32 v12, 0x3fffff, v9, v12
	v_lshrrev_b32_e32 v9, 23, v9
	s_delay_alu instid0(VALU_DEP_3) | instskip(NEXT) | instid1(VALU_DEP_3)
	v_cmp_ne_u32_e32 vcc_lo, 0, v10
	v_cmp_ne_u32_e64 s0, 0, v12
	s_delay_alu instid0(VALU_DEP_1) | instskip(NEXT) | instid1(SALU_CYCLE_1)
	s_and_b32 s0, vcc_lo, s0
	v_cndmask_b32_e64 v10, 0, 1, s0
	s_delay_alu instid0(VALU_DEP_1)
	v_add_nc_u32_e32 v10, v9, v10
; %bb.1671:
	s_or_b32 exec_lo, exec_lo, s3
	s_mov_b32 s0, 0
	s_mov_b32 s3, -1
	global_store_b8 v[3:4], v10, off
.LBB265_1672:
	s_mov_b32 s6, 0
.LBB265_1673:
	s_delay_alu instid0(SALU_CYCLE_1)
	s_and_b32 vcc_lo, exec_lo, s6
	s_cbranch_vccz .LBB265_1676
; %bb.1674:
	v_cmp_eq_u16_e32 vcc_lo, 29, v6
	s_mov_b32 s0, -1
	s_cbranch_vccz .LBB265_1676
; %bb.1675:
	v_cvt_f32_f16_e32 v9, v5
	v_mov_b32_e32 v10, 0
	s_mov_b32 s0, 0
	s_mov_b32 s3, -1
	s_delay_alu instid0(VALU_DEP_2)
	v_cvt_u32_f32_e32 v9, v9
	global_store_b64 v[3:4], v[9:10], off
.LBB265_1676:
	s_mov_b32 s6, 0
.LBB265_1677:
	s_delay_alu instid0(SALU_CYCLE_1)
	s_and_b32 vcc_lo, exec_lo, s6
	s_cbranch_vccz .LBB265_1693
; %bb.1678:
	v_cmp_gt_i16_e32 vcc_lo, 27, v6
	s_mov_b32 s3, -1
	s_cbranch_vccnz .LBB265_1684
; %bb.1679:
	v_cmp_lt_i16_e32 vcc_lo, 27, v6
	s_cbranch_vccz .LBB265_1681
; %bb.1680:
	v_cvt_f32_f16_e32 v9, v5
	s_mov_b32 s3, 0
	s_delay_alu instid0(VALU_DEP_1)
	v_cvt_u32_f32_e32 v9, v9
	global_store_b32 v[3:4], v9, off
.LBB265_1681:
	s_and_not1_b32 vcc_lo, exec_lo, s3
	s_cbranch_vccnz .LBB265_1683
; %bb.1682:
	v_cvt_u16_f16_e32 v9, v5
	global_store_b16 v[3:4], v9, off
.LBB265_1683:
	s_mov_b32 s3, 0
.LBB265_1684:
	s_delay_alu instid0(SALU_CYCLE_1)
	s_and_not1_b32 vcc_lo, exec_lo, s3
	s_cbranch_vccnz .LBB265_1692
; %bb.1685:
	v_cvt_f32_f16_e32 v9, v5
	v_mov_b32_e32 v12, 0x80
	s_mov_b32 s3, exec_lo
	s_delay_alu instid0(VALU_DEP_2) | instskip(NEXT) | instid1(VALU_DEP_1)
	v_and_b32_e32 v10, 0x7fffffff, v9
	v_cmpx_gt_u32_e32 0x43800000, v10
	s_cbranch_execz .LBB265_1691
; %bb.1686:
	v_cmp_lt_u32_e32 vcc_lo, 0x3bffffff, v10
	s_mov_b32 s6, 0
                                        ; implicit-def: $vgpr10
	s_and_saveexec_b32 s7, vcc_lo
	s_delay_alu instid0(SALU_CYCLE_1)
	s_xor_b32 s7, exec_lo, s7
	s_cbranch_execz .LBB265_2137
; %bb.1687:
	v_bfe_u32 v10, v9, 20, 1
	s_mov_b32 s6, exec_lo
	s_delay_alu instid0(VALU_DEP_1) | instskip(NEXT) | instid1(VALU_DEP_1)
	v_add3_u32 v10, v9, v10, 0x487ffff
	v_lshrrev_b32_e32 v10, 20, v10
	s_or_saveexec_b32 s7, s7
                                        ; implicit-def: $sgpr10
	s_delay_alu instid0(SALU_CYCLE_1)
	s_xor_b32 exec_lo, exec_lo, s7
	s_cbranch_execnz .LBB265_2138
.LBB265_1688:
	s_or_b32 exec_lo, exec_lo, s7
	v_mov_b32_e32 v12, s10
	s_and_saveexec_b32 s7, s6
.LBB265_1689:
	v_lshrrev_b32_e32 v9, 24, v9
	s_delay_alu instid0(VALU_DEP_1)
	v_and_or_b32 v12, 0x80, v9, v10
.LBB265_1690:
	s_or_b32 exec_lo, exec_lo, s7
.LBB265_1691:
	s_delay_alu instid0(SALU_CYCLE_1)
	s_or_b32 exec_lo, exec_lo, s3
	global_store_b8 v[3:4], v12, off
.LBB265_1692:
	s_mov_b32 s3, -1
.LBB265_1693:
	s_mov_b32 s6, 0
.LBB265_1694:
	s_delay_alu instid0(SALU_CYCLE_1)
	s_and_b32 vcc_lo, exec_lo, s6
	s_cbranch_vccz .LBB265_1734
; %bb.1695:
	v_cmp_lt_i16_e32 vcc_lo, 22, v6
	s_mov_b32 s2, -1
	s_cbranch_vccz .LBB265_1727
; %bb.1696:
	v_cmp_gt_i16_e32 vcc_lo, 24, v6
	s_cbranch_vccnz .LBB265_1716
; %bb.1697:
	v_cmp_lt_i16_e32 vcc_lo, 24, v6
	s_cbranch_vccz .LBB265_1705
; %bb.1698:
	v_cvt_f32_f16_e32 v9, v5
	v_mov_b32_e32 v12, 0x80
	s_mov_b32 s2, exec_lo
	s_delay_alu instid0(VALU_DEP_2) | instskip(NEXT) | instid1(VALU_DEP_1)
	v_and_b32_e32 v10, 0x7fffffff, v9
	v_cmpx_gt_u32_e32 0x47800000, v10
	s_cbranch_execz .LBB265_1704
; %bb.1699:
	v_cmp_lt_u32_e32 vcc_lo, 0x37ffffff, v10
	s_mov_b32 s3, 0
                                        ; implicit-def: $vgpr10
	s_and_saveexec_b32 s6, vcc_lo
	s_delay_alu instid0(SALU_CYCLE_1)
	s_xor_b32 s6, exec_lo, s6
	s_cbranch_execz .LBB265_2143
; %bb.1700:
	v_bfe_u32 v10, v9, 21, 1
	s_mov_b32 s3, exec_lo
	s_delay_alu instid0(VALU_DEP_1) | instskip(NEXT) | instid1(VALU_DEP_1)
	v_add3_u32 v10, v9, v10, 0x88fffff
	v_lshrrev_b32_e32 v10, 21, v10
	s_or_saveexec_b32 s6, s6
                                        ; implicit-def: $sgpr7
	s_delay_alu instid0(SALU_CYCLE_1)
	s_xor_b32 exec_lo, exec_lo, s6
	s_cbranch_execnz .LBB265_2144
.LBB265_1701:
	s_or_b32 exec_lo, exec_lo, s6
	v_mov_b32_e32 v12, s7
	s_and_saveexec_b32 s6, s3
.LBB265_1702:
	v_lshrrev_b32_e32 v9, 24, v9
	s_delay_alu instid0(VALU_DEP_1)
	v_and_or_b32 v12, 0x80, v9, v10
.LBB265_1703:
	s_or_b32 exec_lo, exec_lo, s6
.LBB265_1704:
	s_delay_alu instid0(SALU_CYCLE_1)
	s_or_b32 exec_lo, exec_lo, s2
	s_mov_b32 s2, 0
	global_store_b8 v[3:4], v12, off
.LBB265_1705:
	s_and_b32 vcc_lo, exec_lo, s2
	s_cbranch_vccz .LBB265_1715
; %bb.1706:
	v_cvt_f32_f16_e32 v9, v5
	s_mov_b32 s2, exec_lo
                                        ; implicit-def: $vgpr10
	s_delay_alu instid0(VALU_DEP_1) | instskip(NEXT) | instid1(VALU_DEP_1)
	v_and_b32_e32 v12, 0x7fffffff, v9
	v_cmpx_gt_u32_e32 0x43f00000, v12
	s_xor_b32 s2, exec_lo, s2
	s_cbranch_execz .LBB265_1712
; %bb.1707:
	s_mov_b32 s3, exec_lo
                                        ; implicit-def: $vgpr10
	v_cmpx_lt_u32_e32 0x3c7fffff, v12
	s_xor_b32 s3, exec_lo, s3
; %bb.1708:
	v_bfe_u32 v10, v9, 20, 1
	s_delay_alu instid0(VALU_DEP_1) | instskip(NEXT) | instid1(VALU_DEP_1)
	v_add3_u32 v10, v9, v10, 0x407ffff
	v_and_b32_e32 v12, 0xff00000, v10
	v_lshrrev_b32_e32 v10, 20, v10
	s_delay_alu instid0(VALU_DEP_2) | instskip(NEXT) | instid1(VALU_DEP_2)
	v_cmp_ne_u32_e32 vcc_lo, 0x7f00000, v12
	v_cndmask_b32_e32 v10, 0x7e, v10, vcc_lo
; %bb.1709:
	s_and_not1_saveexec_b32 s3, s3
; %bb.1710:
	v_add_f32_e64 v10, 0x46800000, |v9|
; %bb.1711:
	s_or_b32 exec_lo, exec_lo, s3
                                        ; implicit-def: $vgpr12
.LBB265_1712:
	s_and_not1_saveexec_b32 s2, s2
; %bb.1713:
	v_mov_b32_e32 v10, 0x7f
	v_cmp_lt_u32_e32 vcc_lo, 0x7f800000, v12
	s_delay_alu instid0(VALU_DEP_2)
	v_cndmask_b32_e32 v10, 0x7e, v10, vcc_lo
; %bb.1714:
	s_or_b32 exec_lo, exec_lo, s2
	v_lshrrev_b32_e32 v9, 24, v9
	s_delay_alu instid0(VALU_DEP_1)
	v_and_or_b32 v9, 0x80, v9, v10
	global_store_b8 v[3:4], v9, off
.LBB265_1715:
	s_mov_b32 s2, 0
.LBB265_1716:
	s_delay_alu instid0(SALU_CYCLE_1)
	s_and_not1_b32 vcc_lo, exec_lo, s2
	s_cbranch_vccnz .LBB265_1726
; %bb.1717:
	v_cvt_f32_f16_e32 v9, v5
	s_mov_b32 s2, exec_lo
                                        ; implicit-def: $vgpr10
	s_delay_alu instid0(VALU_DEP_1) | instskip(NEXT) | instid1(VALU_DEP_1)
	v_and_b32_e32 v12, 0x7fffffff, v9
	v_cmpx_gt_u32_e32 0x47800000, v12
	s_xor_b32 s2, exec_lo, s2
	s_cbranch_execz .LBB265_1723
; %bb.1718:
	s_mov_b32 s3, exec_lo
                                        ; implicit-def: $vgpr10
	v_cmpx_lt_u32_e32 0x387fffff, v12
	s_xor_b32 s3, exec_lo, s3
; %bb.1719:
	v_bfe_u32 v10, v9, 21, 1
	s_delay_alu instid0(VALU_DEP_1) | instskip(NEXT) | instid1(VALU_DEP_1)
	v_add3_u32 v10, v9, v10, 0x80fffff
	v_lshrrev_b32_e32 v10, 21, v10
; %bb.1720:
	s_and_not1_saveexec_b32 s3, s3
; %bb.1721:
	v_add_f32_e64 v10, 0x43000000, |v9|
; %bb.1722:
	s_or_b32 exec_lo, exec_lo, s3
                                        ; implicit-def: $vgpr12
.LBB265_1723:
	s_and_not1_saveexec_b32 s2, s2
; %bb.1724:
	v_mov_b32_e32 v10, 0x7f
	v_cmp_lt_u32_e32 vcc_lo, 0x7f800000, v12
	s_delay_alu instid0(VALU_DEP_2)
	v_cndmask_b32_e32 v10, 0x7c, v10, vcc_lo
; %bb.1725:
	s_or_b32 exec_lo, exec_lo, s2
	v_lshrrev_b32_e32 v9, 24, v9
	s_delay_alu instid0(VALU_DEP_1)
	v_and_or_b32 v9, 0x80, v9, v10
	global_store_b8 v[3:4], v9, off
.LBB265_1726:
	s_mov_b32 s2, 0
	s_mov_b32 s3, -1
.LBB265_1727:
	s_and_not1_b32 vcc_lo, exec_lo, s2
	s_mov_b32 s2, 0
	s_cbranch_vccnz .LBB265_1734
; %bb.1728:
	v_cmp_lt_i16_e32 vcc_lo, 14, v6
	s_mov_b32 s2, -1
	s_cbranch_vccz .LBB265_1732
; %bb.1729:
	v_cmp_eq_u16_e32 vcc_lo, 15, v6
	s_mov_b32 s0, -1
	s_cbranch_vccz .LBB265_1731
; %bb.1730:
	v_cvt_f32_f16_e32 v9, v5
	v_cmp_o_f16_e32 vcc_lo, v5, v5
	s_mov_b32 s0, 0
	s_mov_b32 s3, -1
	s_delay_alu instid0(VALU_DEP_2) | instskip(NEXT) | instid1(VALU_DEP_1)
	v_bfe_u32 v10, v9, 16, 1
	v_add3_u32 v9, v9, v10, 0x7fff
	s_delay_alu instid0(VALU_DEP_1) | instskip(NEXT) | instid1(VALU_DEP_1)
	v_lshrrev_b32_e32 v9, 16, v9
	v_cndmask_b32_e32 v9, 0x7fc0, v9, vcc_lo
	global_store_b16 v[3:4], v9, off
.LBB265_1731:
	s_mov_b32 s2, 0
.LBB265_1732:
	s_delay_alu instid0(SALU_CYCLE_1)
	s_and_b32 vcc_lo, exec_lo, s2
	s_mov_b32 s2, 0
	s_cbranch_vccz .LBB265_1734
; %bb.1733:
	v_cmp_ne_u16_e64 s0, 11, v6
	s_mov_b32 s2, -1
.LBB265_1734:
	s_delay_alu instid0(VALU_DEP_1)
	s_and_b32 vcc_lo, exec_lo, s0
	s_cbranch_vccnz .LBB265_2141
; %bb.1735:
	s_and_not1_b32 vcc_lo, exec_lo, s2
	s_cbranch_vccnz .LBB265_1737
.LBB265_1736:
	v_cmp_neq_f16_e32 vcc_lo, 0, v5
	s_mov_b32 s3, -1
	v_cndmask_b32_e64 v9, 0, 1, vcc_lo
	global_store_b8 v[3:4], v9, off
.LBB265_1737:
	s_mov_b32 s0, 0
.LBB265_1738:
	s_delay_alu instid0(SALU_CYCLE_1)
	s_and_b32 vcc_lo, exec_lo, s0
	s_cbranch_vccz .LBB265_1777
; %bb.1739:
	v_cmp_gt_i16_e32 vcc_lo, 5, v6
	s_mov_b32 s0, -1
	s_cbranch_vccnz .LBB265_1760
; %bb.1740:
	v_cmp_gt_i16_e32 vcc_lo, 8, v6
	s_cbranch_vccnz .LBB265_1750
; %bb.1741:
	v_cmp_gt_i16_e32 vcc_lo, 9, v6
	s_cbranch_vccnz .LBB265_1747
; %bb.1742:
	v_cmp_lt_i16_e32 vcc_lo, 9, v6
	s_cbranch_vccz .LBB265_1744
; %bb.1743:
	v_cvt_f32_f16_e32 v9, v5
	v_mov_b32_e32 v14, 0
	s_mov_b32 s0, 0
	s_delay_alu instid0(VALU_DEP_2) | instskip(NEXT) | instid1(VALU_DEP_2)
	v_cvt_f64_f32_e32 v[12:13], v9
	v_mov_b32_e32 v15, v14
	global_store_b128 v[3:4], v[12:15], off
.LBB265_1744:
	s_and_not1_b32 vcc_lo, exec_lo, s0
	s_cbranch_vccnz .LBB265_1746
; %bb.1745:
	v_cvt_f32_f16_e32 v9, v5
	v_mov_b32_e32 v10, 0
	global_store_b64 v[3:4], v[9:10], off
.LBB265_1746:
	s_mov_b32 s0, 0
.LBB265_1747:
	s_delay_alu instid0(SALU_CYCLE_1)
	s_and_not1_b32 vcc_lo, exec_lo, s0
	s_cbranch_vccnz .LBB265_1749
; %bb.1748:
	v_and_b32_e32 v9, 0xffff, v5
	global_store_b32 v[3:4], v9, off
.LBB265_1749:
	s_mov_b32 s0, 0
.LBB265_1750:
	s_delay_alu instid0(SALU_CYCLE_1)
	s_and_not1_b32 vcc_lo, exec_lo, s0
	s_cbranch_vccnz .LBB265_1759
; %bb.1751:
	v_cmp_gt_i16_e32 vcc_lo, 6, v6
	s_mov_b32 s0, -1
	s_cbranch_vccnz .LBB265_1757
; %bb.1752:
	v_cmp_lt_i16_e32 vcc_lo, 6, v6
	s_cbranch_vccz .LBB265_1754
; %bb.1753:
	v_cvt_f32_f16_e32 v9, v5
	s_mov_b32 s0, 0
	s_delay_alu instid0(VALU_DEP_1)
	v_cvt_f64_f32_e32 v[9:10], v9
	global_store_b64 v[3:4], v[9:10], off
.LBB265_1754:
	s_and_not1_b32 vcc_lo, exec_lo, s0
	s_cbranch_vccnz .LBB265_1756
; %bb.1755:
	v_cvt_f32_f16_e32 v9, v5
	global_store_b32 v[3:4], v9, off
.LBB265_1756:
	s_mov_b32 s0, 0
.LBB265_1757:
	s_delay_alu instid0(SALU_CYCLE_1)
	s_and_not1_b32 vcc_lo, exec_lo, s0
	s_cbranch_vccnz .LBB265_1759
; %bb.1758:
	global_store_b16 v[3:4], v5, off
.LBB265_1759:
	s_mov_b32 s0, 0
.LBB265_1760:
	s_delay_alu instid0(SALU_CYCLE_1)
	s_and_not1_b32 vcc_lo, exec_lo, s0
	s_cbranch_vccnz .LBB265_1776
; %bb.1761:
	v_cmp_gt_i16_e32 vcc_lo, 2, v6
	s_mov_b32 s0, -1
	s_cbranch_vccnz .LBB265_1771
; %bb.1762:
	v_cmp_gt_i16_e32 vcc_lo, 3, v6
	s_cbranch_vccnz .LBB265_1768
; %bb.1763:
	v_cmp_lt_i16_e32 vcc_lo, 3, v6
	s_cbranch_vccz .LBB265_1765
; %bb.1764:
	v_cvt_f32_f16_e32 v9, v5
	s_mov_b32 s0, 0
	s_delay_alu instid0(VALU_DEP_1) | instskip(NEXT) | instid1(VALU_DEP_1)
	v_cvt_i32_f32_e32 v9, v9
	v_ashrrev_i32_e32 v10, 31, v9
	global_store_b64 v[3:4], v[9:10], off
.LBB265_1765:
	s_and_not1_b32 vcc_lo, exec_lo, s0
	s_cbranch_vccnz .LBB265_1767
; %bb.1766:
	v_cvt_f32_f16_e32 v9, v5
	s_delay_alu instid0(VALU_DEP_1)
	v_cvt_i32_f32_e32 v9, v9
	global_store_b32 v[3:4], v9, off
.LBB265_1767:
	s_mov_b32 s0, 0
.LBB265_1768:
	s_delay_alu instid0(SALU_CYCLE_1)
	s_and_not1_b32 vcc_lo, exec_lo, s0
	s_cbranch_vccnz .LBB265_1770
; %bb.1769:
	v_cvt_i16_f16_e32 v9, v5
	global_store_b16 v[3:4], v9, off
.LBB265_1770:
	s_mov_b32 s0, 0
.LBB265_1771:
	s_delay_alu instid0(SALU_CYCLE_1)
	s_and_not1_b32 vcc_lo, exec_lo, s0
	s_cbranch_vccnz .LBB265_1776
; %bb.1772:
	v_cmp_lt_i16_e32 vcc_lo, 0, v6
	s_mov_b32 s0, -1
	s_cbranch_vccz .LBB265_1774
; %bb.1773:
	v_cvt_i16_f16_e32 v9, v5
	s_mov_b32 s0, 0
	global_store_b8 v[3:4], v9, off
.LBB265_1774:
	s_and_not1_b32 vcc_lo, exec_lo, s0
	s_cbranch_vccnz .LBB265_1776
; %bb.1775:
	v_cvt_f32_f16_e32 v5, v5
	s_delay_alu instid0(VALU_DEP_1)
	v_cvt_i32_f32_e32 v5, v5
	global_store_b8 v[3:4], v5, off
.LBB265_1776:
	s_mov_b32 s3, -1
.LBB265_1777:
	s_delay_alu instid0(SALU_CYCLE_1)
	s_and_not1_b32 vcc_lo, exec_lo, s3
	s_cbranch_vccnz .LBB265_2090
; %bb.1778:
	s_waitcnt vmcnt(0)
	v_cvt_f32_f16_e32 v3, v8
	s_mov_b32 s3, 0
	s_delay_alu instid0(VALU_DEP_1) | instskip(SKIP_1) | instid1(VALU_DEP_2)
	v_mul_f32_e32 v4, 0x4f800000, v3
	v_cmp_gt_f32_e32 vcc_lo, 0xf800000, v3
	v_cndmask_b32_e32 v3, v3, v4, vcc_lo
	s_delay_alu instid0(VALU_DEP_1) | instskip(SKIP_3) | instid1(VALU_DEP_1)
	v_rsq_f32_e32 v4, v3
	s_waitcnt_depctr 0xfff
	v_mul_f32_e32 v5, v3, v4
	v_mul_f32_e32 v4, 0.5, v4
	v_fma_f32 v8, -v4, v5, 0.5
	s_delay_alu instid0(VALU_DEP_1) | instskip(SKIP_1) | instid1(VALU_DEP_2)
	v_fmac_f32_e32 v5, v5, v8
	v_fmac_f32_e32 v4, v4, v8
	v_fma_f32 v8, -v5, v5, v3
	s_delay_alu instid0(VALU_DEP_1) | instskip(NEXT) | instid1(VALU_DEP_1)
	v_fmac_f32_e32 v5, v8, v4
	v_mul_f32_e32 v4, 0x37800000, v5
	v_cmp_class_f32_e64 s0, v3, 0x260
	s_delay_alu instid0(VALU_DEP_2) | instskip(SKIP_1) | instid1(VALU_DEP_2)
	v_cndmask_b32_e32 v4, v5, v4, vcc_lo
	v_cmp_gt_i16_e32 vcc_lo, 11, v6
	v_cndmask_b32_e64 v4, v4, v3, s0
	v_add_co_u32 v2, s0, s4, v2
	s_delay_alu instid0(VALU_DEP_1) | instskip(NEXT) | instid1(VALU_DEP_3)
	v_add_co_ci_u32_e64 v3, null, s5, 0, s0
	v_cvt_f16_f32_e32 v4, v4
	s_mov_b32 s0, -1
	s_cbranch_vccnz .LBB265_1856
; %bb.1779:
	v_cmp_lt_i16_e32 vcc_lo, 25, v6
	s_mov_b32 s6, -1
	s_mov_b32 s2, 0
	s_mov_b32 s0, 0
	s_cbranch_vccz .LBB265_1812
; %bb.1780:
	v_cmp_lt_i16_e32 vcc_lo, 28, v6
	s_cbranch_vccz .LBB265_1795
; %bb.1781:
	v_cmp_lt_i16_e32 vcc_lo, 43, v6
	;; [unrolled: 3-line block ×3, first 2 shown]
	s_cbranch_vccz .LBB265_1785
; %bb.1783:
	v_cmp_eq_u16_e32 vcc_lo, 46, v6
	s_mov_b32 s0, -1
	s_mov_b32 s6, 0
	s_cbranch_vccz .LBB265_1785
; %bb.1784:
	v_cvt_f32_f16_e32 v5, v4
	v_cmp_o_f16_e32 vcc_lo, v4, v4
	s_mov_b32 s0, 0
	s_mov_b32 s3, -1
	s_delay_alu instid0(VALU_DEP_2) | instskip(NEXT) | instid1(VALU_DEP_1)
	v_bfe_u32 v8, v5, 16, 1
	v_add3_u32 v5, v5, v8, 0x7fff
	s_delay_alu instid0(VALU_DEP_1) | instskip(NEXT) | instid1(VALU_DEP_1)
	v_lshrrev_b32_e32 v5, 16, v5
	v_cndmask_b32_e32 v5, 0x7fc0, v5, vcc_lo
	global_store_b32 v[2:3], v5, off
.LBB265_1785:
	s_and_b32 vcc_lo, exec_lo, s6
	s_cbranch_vccz .LBB265_1790
; %bb.1786:
	v_cmp_eq_u16_e32 vcc_lo, 44, v6
	s_mov_b32 s0, -1
	s_cbranch_vccz .LBB265_1790
; %bb.1787:
	v_cvt_f32_f16_e32 v5, v4
	v_mov_b32_e32 v8, 0xff
	s_mov_b32 s3, exec_lo
	s_delay_alu instid0(VALU_DEP_2) | instskip(NEXT) | instid1(VALU_DEP_1)
	v_bfe_u32 v9, v5, 23, 8
	v_cmpx_ne_u32_e32 0xff, v9
; %bb.1788:
	v_and_b32_e32 v8, 0x400000, v5
	v_and_or_b32 v9, 0x3fffff, v5, v9
	v_lshrrev_b32_e32 v5, 23, v5
	s_delay_alu instid0(VALU_DEP_3) | instskip(NEXT) | instid1(VALU_DEP_3)
	v_cmp_ne_u32_e32 vcc_lo, 0, v8
	v_cmp_ne_u32_e64 s0, 0, v9
	s_delay_alu instid0(VALU_DEP_1) | instskip(NEXT) | instid1(SALU_CYCLE_1)
	s_and_b32 s0, vcc_lo, s0
	v_cndmask_b32_e64 v8, 0, 1, s0
	s_delay_alu instid0(VALU_DEP_1)
	v_add_nc_u32_e32 v8, v5, v8
; %bb.1789:
	s_or_b32 exec_lo, exec_lo, s3
	s_mov_b32 s0, 0
	s_mov_b32 s3, -1
	global_store_b8 v[2:3], v8, off
.LBB265_1790:
	s_mov_b32 s6, 0
.LBB265_1791:
	s_delay_alu instid0(SALU_CYCLE_1)
	s_and_b32 vcc_lo, exec_lo, s6
	s_cbranch_vccz .LBB265_1794
; %bb.1792:
	v_cmp_eq_u16_e32 vcc_lo, 29, v6
	s_mov_b32 s0, -1
	s_cbranch_vccz .LBB265_1794
; %bb.1793:
	v_cvt_f32_f16_e32 v5, v4
	v_mov_b32_e32 v9, 0
	s_mov_b32 s0, 0
	s_mov_b32 s3, -1
	s_delay_alu instid0(VALU_DEP_2)
	v_cvt_u32_f32_e32 v8, v5
	global_store_b64 v[2:3], v[8:9], off
.LBB265_1794:
	s_mov_b32 s6, 0
.LBB265_1795:
	s_delay_alu instid0(SALU_CYCLE_1)
	s_and_b32 vcc_lo, exec_lo, s6
	s_cbranch_vccz .LBB265_1811
; %bb.1796:
	v_cmp_gt_i16_e32 vcc_lo, 27, v6
	s_mov_b32 s3, -1
	s_cbranch_vccnz .LBB265_1802
; %bb.1797:
	v_cmp_lt_i16_e32 vcc_lo, 27, v6
	s_cbranch_vccz .LBB265_1799
; %bb.1798:
	v_cvt_f32_f16_e32 v5, v4
	s_mov_b32 s3, 0
	s_delay_alu instid0(VALU_DEP_1)
	v_cvt_u32_f32_e32 v5, v5
	global_store_b32 v[2:3], v5, off
.LBB265_1799:
	s_and_not1_b32 vcc_lo, exec_lo, s3
	s_cbranch_vccnz .LBB265_1801
; %bb.1800:
	v_cvt_u16_f16_e32 v5, v4
	global_store_b16 v[2:3], v5, off
.LBB265_1801:
	s_mov_b32 s3, 0
.LBB265_1802:
	s_delay_alu instid0(SALU_CYCLE_1)
	s_and_not1_b32 vcc_lo, exec_lo, s3
	s_cbranch_vccnz .LBB265_1810
; %bb.1803:
	v_cvt_f32_f16_e32 v5, v4
	v_mov_b32_e32 v9, 0x80
	s_mov_b32 s3, exec_lo
	s_delay_alu instid0(VALU_DEP_2) | instskip(NEXT) | instid1(VALU_DEP_1)
	v_and_b32_e32 v8, 0x7fffffff, v5
	v_cmpx_gt_u32_e32 0x43800000, v8
	s_cbranch_execz .LBB265_1809
; %bb.1804:
	v_cmp_lt_u32_e32 vcc_lo, 0x3bffffff, v8
	s_mov_b32 s6, 0
                                        ; implicit-def: $vgpr8
	s_and_saveexec_b32 s7, vcc_lo
	s_delay_alu instid0(SALU_CYCLE_1)
	s_xor_b32 s7, exec_lo, s7
	s_cbranch_execz .LBB265_2145
; %bb.1805:
	v_bfe_u32 v8, v5, 20, 1
	s_mov_b32 s6, exec_lo
	s_delay_alu instid0(VALU_DEP_1) | instskip(NEXT) | instid1(VALU_DEP_1)
	v_add3_u32 v8, v5, v8, 0x487ffff
	v_lshrrev_b32_e32 v8, 20, v8
	s_or_saveexec_b32 s7, s7
                                        ; implicit-def: $sgpr10
	s_delay_alu instid0(SALU_CYCLE_1)
	s_xor_b32 exec_lo, exec_lo, s7
	s_cbranch_execnz .LBB265_2146
.LBB265_1806:
	s_or_b32 exec_lo, exec_lo, s7
	v_mov_b32_e32 v9, s10
	s_and_saveexec_b32 s7, s6
.LBB265_1807:
	v_lshrrev_b32_e32 v5, 24, v5
	s_delay_alu instid0(VALU_DEP_1)
	v_and_or_b32 v9, 0x80, v5, v8
.LBB265_1808:
	s_or_b32 exec_lo, exec_lo, s7
.LBB265_1809:
	s_delay_alu instid0(SALU_CYCLE_1)
	s_or_b32 exec_lo, exec_lo, s3
	global_store_b8 v[2:3], v9, off
.LBB265_1810:
	s_mov_b32 s3, -1
.LBB265_1811:
	s_mov_b32 s6, 0
.LBB265_1812:
	s_delay_alu instid0(SALU_CYCLE_1)
	s_and_b32 vcc_lo, exec_lo, s6
	s_cbranch_vccz .LBB265_1852
; %bb.1813:
	v_cmp_lt_i16_e32 vcc_lo, 22, v6
	s_mov_b32 s2, -1
	s_cbranch_vccz .LBB265_1845
; %bb.1814:
	v_cmp_gt_i16_e32 vcc_lo, 24, v6
	s_cbranch_vccnz .LBB265_1834
; %bb.1815:
	v_cmp_lt_i16_e32 vcc_lo, 24, v6
	s_cbranch_vccz .LBB265_1823
; %bb.1816:
	v_cvt_f32_f16_e32 v5, v4
	v_mov_b32_e32 v9, 0x80
	s_mov_b32 s2, exec_lo
	s_delay_alu instid0(VALU_DEP_2) | instskip(NEXT) | instid1(VALU_DEP_1)
	v_and_b32_e32 v8, 0x7fffffff, v5
	v_cmpx_gt_u32_e32 0x47800000, v8
	s_cbranch_execz .LBB265_1822
; %bb.1817:
	v_cmp_lt_u32_e32 vcc_lo, 0x37ffffff, v8
	s_mov_b32 s3, 0
                                        ; implicit-def: $vgpr8
	s_and_saveexec_b32 s6, vcc_lo
	s_delay_alu instid0(SALU_CYCLE_1)
	s_xor_b32 s6, exec_lo, s6
	s_cbranch_execz .LBB265_2151
; %bb.1818:
	v_bfe_u32 v8, v5, 21, 1
	s_mov_b32 s3, exec_lo
	s_delay_alu instid0(VALU_DEP_1) | instskip(NEXT) | instid1(VALU_DEP_1)
	v_add3_u32 v8, v5, v8, 0x88fffff
	v_lshrrev_b32_e32 v8, 21, v8
	s_or_saveexec_b32 s6, s6
                                        ; implicit-def: $sgpr7
	s_delay_alu instid0(SALU_CYCLE_1)
	s_xor_b32 exec_lo, exec_lo, s6
	s_cbranch_execnz .LBB265_2152
.LBB265_1819:
	s_or_b32 exec_lo, exec_lo, s6
	v_mov_b32_e32 v9, s7
	s_and_saveexec_b32 s6, s3
.LBB265_1820:
	v_lshrrev_b32_e32 v5, 24, v5
	s_delay_alu instid0(VALU_DEP_1)
	v_and_or_b32 v9, 0x80, v5, v8
.LBB265_1821:
	s_or_b32 exec_lo, exec_lo, s6
.LBB265_1822:
	s_delay_alu instid0(SALU_CYCLE_1)
	s_or_b32 exec_lo, exec_lo, s2
	s_mov_b32 s2, 0
	global_store_b8 v[2:3], v9, off
.LBB265_1823:
	s_and_b32 vcc_lo, exec_lo, s2
	s_cbranch_vccz .LBB265_1833
; %bb.1824:
	v_cvt_f32_f16_e32 v5, v4
	s_mov_b32 s2, exec_lo
                                        ; implicit-def: $vgpr8
	s_delay_alu instid0(VALU_DEP_1) | instskip(NEXT) | instid1(VALU_DEP_1)
	v_and_b32_e32 v9, 0x7fffffff, v5
	v_cmpx_gt_u32_e32 0x43f00000, v9
	s_xor_b32 s2, exec_lo, s2
	s_cbranch_execz .LBB265_1830
; %bb.1825:
	s_mov_b32 s3, exec_lo
                                        ; implicit-def: $vgpr8
	v_cmpx_lt_u32_e32 0x3c7fffff, v9
	s_xor_b32 s3, exec_lo, s3
; %bb.1826:
	v_bfe_u32 v8, v5, 20, 1
	s_delay_alu instid0(VALU_DEP_1) | instskip(NEXT) | instid1(VALU_DEP_1)
	v_add3_u32 v8, v5, v8, 0x407ffff
	v_and_b32_e32 v9, 0xff00000, v8
	v_lshrrev_b32_e32 v8, 20, v8
	s_delay_alu instid0(VALU_DEP_2) | instskip(NEXT) | instid1(VALU_DEP_2)
	v_cmp_ne_u32_e32 vcc_lo, 0x7f00000, v9
	v_cndmask_b32_e32 v8, 0x7e, v8, vcc_lo
; %bb.1827:
	s_and_not1_saveexec_b32 s3, s3
; %bb.1828:
	v_add_f32_e64 v8, 0x46800000, |v5|
; %bb.1829:
	s_or_b32 exec_lo, exec_lo, s3
                                        ; implicit-def: $vgpr9
.LBB265_1830:
	s_and_not1_saveexec_b32 s2, s2
; %bb.1831:
	v_mov_b32_e32 v8, 0x7f
	v_cmp_lt_u32_e32 vcc_lo, 0x7f800000, v9
	s_delay_alu instid0(VALU_DEP_2)
	v_cndmask_b32_e32 v8, 0x7e, v8, vcc_lo
; %bb.1832:
	s_or_b32 exec_lo, exec_lo, s2
	v_lshrrev_b32_e32 v5, 24, v5
	s_delay_alu instid0(VALU_DEP_1)
	v_and_or_b32 v5, 0x80, v5, v8
	global_store_b8 v[2:3], v5, off
.LBB265_1833:
	s_mov_b32 s2, 0
.LBB265_1834:
	s_delay_alu instid0(SALU_CYCLE_1)
	s_and_not1_b32 vcc_lo, exec_lo, s2
	s_cbranch_vccnz .LBB265_1844
; %bb.1835:
	v_cvt_f32_f16_e32 v5, v4
	s_mov_b32 s2, exec_lo
                                        ; implicit-def: $vgpr8
	s_delay_alu instid0(VALU_DEP_1) | instskip(NEXT) | instid1(VALU_DEP_1)
	v_and_b32_e32 v9, 0x7fffffff, v5
	v_cmpx_gt_u32_e32 0x47800000, v9
	s_xor_b32 s2, exec_lo, s2
	s_cbranch_execz .LBB265_1841
; %bb.1836:
	s_mov_b32 s3, exec_lo
                                        ; implicit-def: $vgpr8
	v_cmpx_lt_u32_e32 0x387fffff, v9
	s_xor_b32 s3, exec_lo, s3
; %bb.1837:
	v_bfe_u32 v8, v5, 21, 1
	s_delay_alu instid0(VALU_DEP_1) | instskip(NEXT) | instid1(VALU_DEP_1)
	v_add3_u32 v8, v5, v8, 0x80fffff
	v_lshrrev_b32_e32 v8, 21, v8
; %bb.1838:
	s_and_not1_saveexec_b32 s3, s3
; %bb.1839:
	v_add_f32_e64 v8, 0x43000000, |v5|
; %bb.1840:
	s_or_b32 exec_lo, exec_lo, s3
                                        ; implicit-def: $vgpr9
.LBB265_1841:
	s_and_not1_saveexec_b32 s2, s2
; %bb.1842:
	v_mov_b32_e32 v8, 0x7f
	v_cmp_lt_u32_e32 vcc_lo, 0x7f800000, v9
	s_delay_alu instid0(VALU_DEP_2)
	v_cndmask_b32_e32 v8, 0x7c, v8, vcc_lo
; %bb.1843:
	s_or_b32 exec_lo, exec_lo, s2
	v_lshrrev_b32_e32 v5, 24, v5
	s_delay_alu instid0(VALU_DEP_1)
	v_and_or_b32 v5, 0x80, v5, v8
	global_store_b8 v[2:3], v5, off
.LBB265_1844:
	s_mov_b32 s2, 0
	s_mov_b32 s3, -1
.LBB265_1845:
	s_and_not1_b32 vcc_lo, exec_lo, s2
	s_mov_b32 s2, 0
	s_cbranch_vccnz .LBB265_1852
; %bb.1846:
	v_cmp_lt_i16_e32 vcc_lo, 14, v6
	s_mov_b32 s2, -1
	s_cbranch_vccz .LBB265_1850
; %bb.1847:
	v_cmp_eq_u16_e32 vcc_lo, 15, v6
	s_mov_b32 s0, -1
	s_cbranch_vccz .LBB265_1849
; %bb.1848:
	v_cvt_f32_f16_e32 v5, v4
	v_cmp_o_f16_e32 vcc_lo, v4, v4
	s_mov_b32 s0, 0
	s_mov_b32 s3, -1
	s_delay_alu instid0(VALU_DEP_2) | instskip(NEXT) | instid1(VALU_DEP_1)
	v_bfe_u32 v8, v5, 16, 1
	v_add3_u32 v5, v5, v8, 0x7fff
	s_delay_alu instid0(VALU_DEP_1) | instskip(NEXT) | instid1(VALU_DEP_1)
	v_lshrrev_b32_e32 v5, 16, v5
	v_cndmask_b32_e32 v5, 0x7fc0, v5, vcc_lo
	global_store_b16 v[2:3], v5, off
.LBB265_1849:
	s_mov_b32 s2, 0
.LBB265_1850:
	s_delay_alu instid0(SALU_CYCLE_1)
	s_and_b32 vcc_lo, exec_lo, s2
	s_mov_b32 s2, 0
	s_cbranch_vccz .LBB265_1852
; %bb.1851:
	v_cmp_ne_u16_e64 s0, 11, v6
	s_mov_b32 s2, -1
.LBB265_1852:
	s_delay_alu instid0(VALU_DEP_1)
	s_and_b32 vcc_lo, exec_lo, s0
	s_cbranch_vccnz .LBB265_2149
; %bb.1853:
	s_and_not1_b32 vcc_lo, exec_lo, s2
	s_cbranch_vccnz .LBB265_1855
.LBB265_1854:
	v_cmp_neq_f16_e32 vcc_lo, 0, v4
	s_mov_b32 s3, -1
	v_cndmask_b32_e64 v5, 0, 1, vcc_lo
	global_store_b8 v[2:3], v5, off
.LBB265_1855:
	s_mov_b32 s0, 0
.LBB265_1856:
	s_delay_alu instid0(SALU_CYCLE_1)
	s_and_b32 vcc_lo, exec_lo, s0
	s_cbranch_vccz .LBB265_1895
; %bb.1857:
	v_cmp_gt_i16_e32 vcc_lo, 5, v6
	s_mov_b32 s0, -1
	s_cbranch_vccnz .LBB265_1878
; %bb.1858:
	v_cmp_gt_i16_e32 vcc_lo, 8, v6
	s_cbranch_vccnz .LBB265_1868
; %bb.1859:
	v_cmp_gt_i16_e32 vcc_lo, 9, v6
	s_cbranch_vccnz .LBB265_1865
; %bb.1860:
	v_cmp_lt_i16_e32 vcc_lo, 9, v6
	s_cbranch_vccz .LBB265_1862
; %bb.1861:
	v_cvt_f32_f16_e32 v5, v4
	v_mov_b32_e32 v14, 0
	s_mov_b32 s0, 0
	s_delay_alu instid0(VALU_DEP_2) | instskip(NEXT) | instid1(VALU_DEP_2)
	v_cvt_f64_f32_e32 v[12:13], v5
	v_mov_b32_e32 v15, v14
	global_store_b128 v[2:3], v[12:15], off
.LBB265_1862:
	s_and_not1_b32 vcc_lo, exec_lo, s0
	s_cbranch_vccnz .LBB265_1864
; %bb.1863:
	v_cvt_f32_f16_e32 v8, v4
	v_mov_b32_e32 v9, 0
	global_store_b64 v[2:3], v[8:9], off
.LBB265_1864:
	s_mov_b32 s0, 0
.LBB265_1865:
	s_delay_alu instid0(SALU_CYCLE_1)
	s_and_not1_b32 vcc_lo, exec_lo, s0
	s_cbranch_vccnz .LBB265_1867
; %bb.1866:
	v_and_b32_e32 v5, 0xffff, v4
	global_store_b32 v[2:3], v5, off
.LBB265_1867:
	s_mov_b32 s0, 0
.LBB265_1868:
	s_delay_alu instid0(SALU_CYCLE_1)
	s_and_not1_b32 vcc_lo, exec_lo, s0
	s_cbranch_vccnz .LBB265_1877
; %bb.1869:
	v_cmp_gt_i16_e32 vcc_lo, 6, v6
	s_mov_b32 s0, -1
	s_cbranch_vccnz .LBB265_1875
; %bb.1870:
	v_cmp_lt_i16_e32 vcc_lo, 6, v6
	s_cbranch_vccz .LBB265_1872
; %bb.1871:
	v_cvt_f32_f16_e32 v5, v4
	s_mov_b32 s0, 0
	s_delay_alu instid0(VALU_DEP_1)
	v_cvt_f64_f32_e32 v[8:9], v5
	global_store_b64 v[2:3], v[8:9], off
.LBB265_1872:
	s_and_not1_b32 vcc_lo, exec_lo, s0
	s_cbranch_vccnz .LBB265_1874
; %bb.1873:
	v_cvt_f32_f16_e32 v5, v4
	global_store_b32 v[2:3], v5, off
.LBB265_1874:
	s_mov_b32 s0, 0
.LBB265_1875:
	s_delay_alu instid0(SALU_CYCLE_1)
	s_and_not1_b32 vcc_lo, exec_lo, s0
	s_cbranch_vccnz .LBB265_1877
; %bb.1876:
	global_store_b16 v[2:3], v4, off
.LBB265_1877:
	s_mov_b32 s0, 0
.LBB265_1878:
	s_delay_alu instid0(SALU_CYCLE_1)
	s_and_not1_b32 vcc_lo, exec_lo, s0
	s_cbranch_vccnz .LBB265_1894
; %bb.1879:
	v_cmp_gt_i16_e32 vcc_lo, 2, v6
	s_mov_b32 s0, -1
	s_cbranch_vccnz .LBB265_1889
; %bb.1880:
	v_cmp_gt_i16_e32 vcc_lo, 3, v6
	s_cbranch_vccnz .LBB265_1886
; %bb.1881:
	v_cmp_lt_i16_e32 vcc_lo, 3, v6
	s_cbranch_vccz .LBB265_1883
; %bb.1882:
	v_cvt_f32_f16_e32 v5, v4
	s_mov_b32 s0, 0
	s_delay_alu instid0(VALU_DEP_1) | instskip(NEXT) | instid1(VALU_DEP_1)
	v_cvt_i32_f32_e32 v8, v5
	v_ashrrev_i32_e32 v9, 31, v8
	global_store_b64 v[2:3], v[8:9], off
.LBB265_1883:
	s_and_not1_b32 vcc_lo, exec_lo, s0
	s_cbranch_vccnz .LBB265_1885
; %bb.1884:
	v_cvt_f32_f16_e32 v5, v4
	s_delay_alu instid0(VALU_DEP_1)
	v_cvt_i32_f32_e32 v5, v5
	global_store_b32 v[2:3], v5, off
.LBB265_1885:
	s_mov_b32 s0, 0
.LBB265_1886:
	s_delay_alu instid0(SALU_CYCLE_1)
	s_and_not1_b32 vcc_lo, exec_lo, s0
	s_cbranch_vccnz .LBB265_1888
; %bb.1887:
	v_cvt_i16_f16_e32 v5, v4
	global_store_b16 v[2:3], v5, off
.LBB265_1888:
	s_mov_b32 s0, 0
.LBB265_1889:
	s_delay_alu instid0(SALU_CYCLE_1)
	s_and_not1_b32 vcc_lo, exec_lo, s0
	s_cbranch_vccnz .LBB265_1894
; %bb.1890:
	v_cmp_lt_i16_e32 vcc_lo, 0, v6
	s_mov_b32 s0, -1
	s_cbranch_vccz .LBB265_1892
; %bb.1891:
	v_cvt_i16_f16_e32 v5, v4
	s_mov_b32 s0, 0
	global_store_b8 v[2:3], v5, off
.LBB265_1892:
	s_and_not1_b32 vcc_lo, exec_lo, s0
	s_cbranch_vccnz .LBB265_1894
; %bb.1893:
	v_cvt_f32_f16_e32 v4, v4
	s_delay_alu instid0(VALU_DEP_1)
	v_cvt_i32_f32_e32 v4, v4
	global_store_b8 v[2:3], v4, off
.LBB265_1894:
	s_mov_b32 s3, -1
.LBB265_1895:
	s_delay_alu instid0(SALU_CYCLE_1)
	s_and_not1_b32 vcc_lo, exec_lo, s3
	s_cbranch_vccnz .LBB265_2090
; %bb.1896:
	v_cvt_f32_f16_e32 v2, v7
	s_mov_b32 s3, 0
	s_delay_alu instid0(VALU_DEP_1) | instskip(SKIP_1) | instid1(VALU_DEP_2)
	v_mul_f32_e32 v3, 0x4f800000, v2
	v_cmp_gt_f32_e32 vcc_lo, 0xf800000, v2
	v_cndmask_b32_e32 v2, v2, v3, vcc_lo
	s_delay_alu instid0(VALU_DEP_1) | instskip(SKIP_3) | instid1(VALU_DEP_1)
	v_rsq_f32_e32 v3, v2
	s_waitcnt_depctr 0xfff
	v_mul_f32_e32 v4, v2, v3
	v_mul_f32_e32 v3, 0.5, v3
	v_fma_f32 v5, -v3, v4, 0.5
	s_delay_alu instid0(VALU_DEP_1) | instskip(SKIP_2) | instid1(VALU_DEP_2)
	v_fmac_f32_e32 v3, v3, v5
	v_fmac_f32_e32 v4, v4, v5
	v_cmp_class_f32_e64 s0, v2, 0x260
	v_fma_f32 v5, -v4, v4, v2
	s_delay_alu instid0(VALU_DEP_1) | instskip(NEXT) | instid1(VALU_DEP_1)
	v_fmac_f32_e32 v4, v5, v3
	v_mul_f32_e32 v3, 0x37800000, v4
	s_delay_alu instid0(VALU_DEP_1) | instskip(SKIP_1) | instid1(VALU_DEP_2)
	v_cndmask_b32_e32 v3, v4, v3, vcc_lo
	v_cmp_gt_i16_e32 vcc_lo, 11, v6
	v_cndmask_b32_e64 v3, v3, v2, s0
	v_add_co_u32 v1, s0, s4, v1
	s_delay_alu instid0(VALU_DEP_1) | instskip(NEXT) | instid1(VALU_DEP_3)
	v_add_co_ci_u32_e64 v2, null, s5, 0, s0
	v_cvt_f16_f32_e32 v3, v3
	s_mov_b32 s0, -1
	s_cbranch_vccnz .LBB265_1974
; %bb.1897:
	v_cmp_lt_i16_e32 vcc_lo, 25, v6
	s_mov_b32 s6, -1
	s_mov_b32 s2, 0
	s_mov_b32 s0, 0
	s_cbranch_vccz .LBB265_1930
; %bb.1898:
	v_cmp_lt_i16_e32 vcc_lo, 28, v6
	s_cbranch_vccz .LBB265_1913
; %bb.1899:
	v_cmp_lt_i16_e32 vcc_lo, 43, v6
	;; [unrolled: 3-line block ×3, first 2 shown]
	s_cbranch_vccz .LBB265_1903
; %bb.1901:
	v_cmp_eq_u16_e32 vcc_lo, 46, v6
	s_mov_b32 s0, -1
	s_mov_b32 s6, 0
	s_cbranch_vccz .LBB265_1903
; %bb.1902:
	v_cvt_f32_f16_e32 v4, v3
	v_cmp_o_f16_e32 vcc_lo, v3, v3
	s_mov_b32 s0, 0
	s_mov_b32 s3, -1
	s_delay_alu instid0(VALU_DEP_2) | instskip(NEXT) | instid1(VALU_DEP_1)
	v_bfe_u32 v5, v4, 16, 1
	v_add3_u32 v4, v4, v5, 0x7fff
	s_delay_alu instid0(VALU_DEP_1) | instskip(NEXT) | instid1(VALU_DEP_1)
	v_lshrrev_b32_e32 v4, 16, v4
	v_cndmask_b32_e32 v4, 0x7fc0, v4, vcc_lo
	global_store_b32 v[1:2], v4, off
.LBB265_1903:
	s_and_b32 vcc_lo, exec_lo, s6
	s_cbranch_vccz .LBB265_1908
; %bb.1904:
	v_cmp_eq_u16_e32 vcc_lo, 44, v6
	s_mov_b32 s0, -1
	s_cbranch_vccz .LBB265_1908
; %bb.1905:
	v_cvt_f32_f16_e32 v4, v3
	v_mov_b32_e32 v5, 0xff
	s_mov_b32 s3, exec_lo
	s_delay_alu instid0(VALU_DEP_2) | instskip(NEXT) | instid1(VALU_DEP_1)
	v_bfe_u32 v7, v4, 23, 8
	v_cmpx_ne_u32_e32 0xff, v7
; %bb.1906:
	v_and_b32_e32 v5, 0x400000, v4
	v_and_or_b32 v7, 0x3fffff, v4, v7
	v_lshrrev_b32_e32 v4, 23, v4
	s_delay_alu instid0(VALU_DEP_3) | instskip(NEXT) | instid1(VALU_DEP_3)
	v_cmp_ne_u32_e32 vcc_lo, 0, v5
	v_cmp_ne_u32_e64 s0, 0, v7
	s_delay_alu instid0(VALU_DEP_1) | instskip(NEXT) | instid1(SALU_CYCLE_1)
	s_and_b32 s0, vcc_lo, s0
	v_cndmask_b32_e64 v5, 0, 1, s0
	s_delay_alu instid0(VALU_DEP_1)
	v_add_nc_u32_e32 v5, v4, v5
; %bb.1907:
	s_or_b32 exec_lo, exec_lo, s3
	s_mov_b32 s0, 0
	s_mov_b32 s3, -1
	global_store_b8 v[1:2], v5, off
.LBB265_1908:
	s_mov_b32 s6, 0
.LBB265_1909:
	s_delay_alu instid0(SALU_CYCLE_1)
	s_and_b32 vcc_lo, exec_lo, s6
	s_cbranch_vccz .LBB265_1912
; %bb.1910:
	v_cmp_eq_u16_e32 vcc_lo, 29, v6
	s_mov_b32 s0, -1
	s_cbranch_vccz .LBB265_1912
; %bb.1911:
	v_cvt_f32_f16_e32 v4, v3
	v_mov_b32_e32 v5, 0
	s_mov_b32 s0, 0
	s_mov_b32 s3, -1
	s_delay_alu instid0(VALU_DEP_2)
	v_cvt_u32_f32_e32 v4, v4
	global_store_b64 v[1:2], v[4:5], off
.LBB265_1912:
	s_mov_b32 s6, 0
.LBB265_1913:
	s_delay_alu instid0(SALU_CYCLE_1)
	s_and_b32 vcc_lo, exec_lo, s6
	s_cbranch_vccz .LBB265_1929
; %bb.1914:
	v_cmp_gt_i16_e32 vcc_lo, 27, v6
	s_mov_b32 s3, -1
	s_cbranch_vccnz .LBB265_1920
; %bb.1915:
	v_cmp_lt_i16_e32 vcc_lo, 27, v6
	s_cbranch_vccz .LBB265_1917
; %bb.1916:
	v_cvt_f32_f16_e32 v4, v3
	s_mov_b32 s3, 0
	s_delay_alu instid0(VALU_DEP_1)
	v_cvt_u32_f32_e32 v4, v4
	global_store_b32 v[1:2], v4, off
.LBB265_1917:
	s_and_not1_b32 vcc_lo, exec_lo, s3
	s_cbranch_vccnz .LBB265_1919
; %bb.1918:
	v_cvt_u16_f16_e32 v4, v3
	global_store_b16 v[1:2], v4, off
.LBB265_1919:
	s_mov_b32 s3, 0
.LBB265_1920:
	s_delay_alu instid0(SALU_CYCLE_1)
	s_and_not1_b32 vcc_lo, exec_lo, s3
	s_cbranch_vccnz .LBB265_1928
; %bb.1921:
	v_cvt_f32_f16_e32 v4, v3
	v_mov_b32_e32 v7, 0x80
	s_mov_b32 s3, exec_lo
	s_delay_alu instid0(VALU_DEP_2) | instskip(NEXT) | instid1(VALU_DEP_1)
	v_and_b32_e32 v5, 0x7fffffff, v4
	v_cmpx_gt_u32_e32 0x43800000, v5
	s_cbranch_execz .LBB265_1927
; %bb.1922:
	v_cmp_lt_u32_e32 vcc_lo, 0x3bffffff, v5
	s_mov_b32 s6, 0
                                        ; implicit-def: $vgpr5
	s_and_saveexec_b32 s7, vcc_lo
	s_delay_alu instid0(SALU_CYCLE_1)
	s_xor_b32 s7, exec_lo, s7
	s_cbranch_execz .LBB265_2153
; %bb.1923:
	v_bfe_u32 v5, v4, 20, 1
	s_mov_b32 s6, exec_lo
	s_delay_alu instid0(VALU_DEP_1) | instskip(NEXT) | instid1(VALU_DEP_1)
	v_add3_u32 v5, v4, v5, 0x487ffff
	v_lshrrev_b32_e32 v5, 20, v5
	s_or_saveexec_b32 s7, s7
                                        ; implicit-def: $sgpr10
	s_delay_alu instid0(SALU_CYCLE_1)
	s_xor_b32 exec_lo, exec_lo, s7
	s_cbranch_execnz .LBB265_2154
.LBB265_1924:
	s_or_b32 exec_lo, exec_lo, s7
	v_mov_b32_e32 v7, s10
	s_and_saveexec_b32 s7, s6
.LBB265_1925:
	v_lshrrev_b32_e32 v4, 24, v4
	s_delay_alu instid0(VALU_DEP_1)
	v_and_or_b32 v7, 0x80, v4, v5
.LBB265_1926:
	s_or_b32 exec_lo, exec_lo, s7
.LBB265_1927:
	s_delay_alu instid0(SALU_CYCLE_1)
	s_or_b32 exec_lo, exec_lo, s3
	global_store_b8 v[1:2], v7, off
.LBB265_1928:
	s_mov_b32 s3, -1
.LBB265_1929:
	s_mov_b32 s6, 0
.LBB265_1930:
	s_delay_alu instid0(SALU_CYCLE_1)
	s_and_b32 vcc_lo, exec_lo, s6
	s_cbranch_vccz .LBB265_1970
; %bb.1931:
	v_cmp_lt_i16_e32 vcc_lo, 22, v6
	s_mov_b32 s2, -1
	s_cbranch_vccz .LBB265_1963
; %bb.1932:
	v_cmp_gt_i16_e32 vcc_lo, 24, v6
	s_cbranch_vccnz .LBB265_1952
; %bb.1933:
	v_cmp_lt_i16_e32 vcc_lo, 24, v6
	s_cbranch_vccz .LBB265_1941
; %bb.1934:
	v_cvt_f32_f16_e32 v4, v3
	v_mov_b32_e32 v7, 0x80
	s_mov_b32 s2, exec_lo
	s_delay_alu instid0(VALU_DEP_2) | instskip(NEXT) | instid1(VALU_DEP_1)
	v_and_b32_e32 v5, 0x7fffffff, v4
	v_cmpx_gt_u32_e32 0x47800000, v5
	s_cbranch_execz .LBB265_1940
; %bb.1935:
	v_cmp_lt_u32_e32 vcc_lo, 0x37ffffff, v5
	s_mov_b32 s3, 0
                                        ; implicit-def: $vgpr5
	s_and_saveexec_b32 s6, vcc_lo
	s_delay_alu instid0(SALU_CYCLE_1)
	s_xor_b32 s6, exec_lo, s6
	s_cbranch_execz .LBB265_2159
; %bb.1936:
	v_bfe_u32 v5, v4, 21, 1
	s_mov_b32 s3, exec_lo
	s_delay_alu instid0(VALU_DEP_1) | instskip(NEXT) | instid1(VALU_DEP_1)
	v_add3_u32 v5, v4, v5, 0x88fffff
	v_lshrrev_b32_e32 v5, 21, v5
	s_or_saveexec_b32 s6, s6
                                        ; implicit-def: $sgpr7
	s_delay_alu instid0(SALU_CYCLE_1)
	s_xor_b32 exec_lo, exec_lo, s6
	s_cbranch_execnz .LBB265_2160
.LBB265_1937:
	s_or_b32 exec_lo, exec_lo, s6
	v_mov_b32_e32 v7, s7
	s_and_saveexec_b32 s6, s3
.LBB265_1938:
	v_lshrrev_b32_e32 v4, 24, v4
	s_delay_alu instid0(VALU_DEP_1)
	v_and_or_b32 v7, 0x80, v4, v5
.LBB265_1939:
	s_or_b32 exec_lo, exec_lo, s6
.LBB265_1940:
	s_delay_alu instid0(SALU_CYCLE_1)
	s_or_b32 exec_lo, exec_lo, s2
	s_mov_b32 s2, 0
	global_store_b8 v[1:2], v7, off
.LBB265_1941:
	s_and_b32 vcc_lo, exec_lo, s2
	s_cbranch_vccz .LBB265_1951
; %bb.1942:
	v_cvt_f32_f16_e32 v4, v3
	s_mov_b32 s2, exec_lo
                                        ; implicit-def: $vgpr5
	s_delay_alu instid0(VALU_DEP_1) | instskip(NEXT) | instid1(VALU_DEP_1)
	v_and_b32_e32 v7, 0x7fffffff, v4
	v_cmpx_gt_u32_e32 0x43f00000, v7
	s_xor_b32 s2, exec_lo, s2
	s_cbranch_execz .LBB265_1948
; %bb.1943:
	s_mov_b32 s3, exec_lo
                                        ; implicit-def: $vgpr5
	v_cmpx_lt_u32_e32 0x3c7fffff, v7
	s_xor_b32 s3, exec_lo, s3
; %bb.1944:
	v_bfe_u32 v5, v4, 20, 1
	s_delay_alu instid0(VALU_DEP_1) | instskip(NEXT) | instid1(VALU_DEP_1)
	v_add3_u32 v5, v4, v5, 0x407ffff
	v_and_b32_e32 v7, 0xff00000, v5
	v_lshrrev_b32_e32 v5, 20, v5
	s_delay_alu instid0(VALU_DEP_2) | instskip(NEXT) | instid1(VALU_DEP_2)
	v_cmp_ne_u32_e32 vcc_lo, 0x7f00000, v7
	v_cndmask_b32_e32 v5, 0x7e, v5, vcc_lo
; %bb.1945:
	s_and_not1_saveexec_b32 s3, s3
; %bb.1946:
	v_add_f32_e64 v5, 0x46800000, |v4|
; %bb.1947:
	s_or_b32 exec_lo, exec_lo, s3
                                        ; implicit-def: $vgpr7
.LBB265_1948:
	s_and_not1_saveexec_b32 s2, s2
; %bb.1949:
	v_mov_b32_e32 v5, 0x7f
	v_cmp_lt_u32_e32 vcc_lo, 0x7f800000, v7
	s_delay_alu instid0(VALU_DEP_2)
	v_cndmask_b32_e32 v5, 0x7e, v5, vcc_lo
; %bb.1950:
	s_or_b32 exec_lo, exec_lo, s2
	v_lshrrev_b32_e32 v4, 24, v4
	s_delay_alu instid0(VALU_DEP_1)
	v_and_or_b32 v4, 0x80, v4, v5
	global_store_b8 v[1:2], v4, off
.LBB265_1951:
	s_mov_b32 s2, 0
.LBB265_1952:
	s_delay_alu instid0(SALU_CYCLE_1)
	s_and_not1_b32 vcc_lo, exec_lo, s2
	s_cbranch_vccnz .LBB265_1962
; %bb.1953:
	v_cvt_f32_f16_e32 v4, v3
	s_mov_b32 s2, exec_lo
                                        ; implicit-def: $vgpr5
	s_delay_alu instid0(VALU_DEP_1) | instskip(NEXT) | instid1(VALU_DEP_1)
	v_and_b32_e32 v7, 0x7fffffff, v4
	v_cmpx_gt_u32_e32 0x47800000, v7
	s_xor_b32 s2, exec_lo, s2
	s_cbranch_execz .LBB265_1959
; %bb.1954:
	s_mov_b32 s3, exec_lo
                                        ; implicit-def: $vgpr5
	v_cmpx_lt_u32_e32 0x387fffff, v7
	s_xor_b32 s3, exec_lo, s3
; %bb.1955:
	v_bfe_u32 v5, v4, 21, 1
	s_delay_alu instid0(VALU_DEP_1) | instskip(NEXT) | instid1(VALU_DEP_1)
	v_add3_u32 v5, v4, v5, 0x80fffff
	v_lshrrev_b32_e32 v5, 21, v5
; %bb.1956:
	s_and_not1_saveexec_b32 s3, s3
; %bb.1957:
	v_add_f32_e64 v5, 0x43000000, |v4|
; %bb.1958:
	s_or_b32 exec_lo, exec_lo, s3
                                        ; implicit-def: $vgpr7
.LBB265_1959:
	s_and_not1_saveexec_b32 s2, s2
; %bb.1960:
	v_mov_b32_e32 v5, 0x7f
	v_cmp_lt_u32_e32 vcc_lo, 0x7f800000, v7
	s_delay_alu instid0(VALU_DEP_2)
	v_cndmask_b32_e32 v5, 0x7c, v5, vcc_lo
; %bb.1961:
	s_or_b32 exec_lo, exec_lo, s2
	v_lshrrev_b32_e32 v4, 24, v4
	s_delay_alu instid0(VALU_DEP_1)
	v_and_or_b32 v4, 0x80, v4, v5
	global_store_b8 v[1:2], v4, off
.LBB265_1962:
	s_mov_b32 s2, 0
	s_mov_b32 s3, -1
.LBB265_1963:
	s_and_not1_b32 vcc_lo, exec_lo, s2
	s_mov_b32 s2, 0
	s_cbranch_vccnz .LBB265_1970
; %bb.1964:
	v_cmp_lt_i16_e32 vcc_lo, 14, v6
	s_mov_b32 s2, -1
	s_cbranch_vccz .LBB265_1968
; %bb.1965:
	v_cmp_eq_u16_e32 vcc_lo, 15, v6
	s_mov_b32 s0, -1
	s_cbranch_vccz .LBB265_1967
; %bb.1966:
	v_cvt_f32_f16_e32 v4, v3
	v_cmp_o_f16_e32 vcc_lo, v3, v3
	s_mov_b32 s0, 0
	s_mov_b32 s3, -1
	s_delay_alu instid0(VALU_DEP_2) | instskip(NEXT) | instid1(VALU_DEP_1)
	v_bfe_u32 v5, v4, 16, 1
	v_add3_u32 v4, v4, v5, 0x7fff
	s_delay_alu instid0(VALU_DEP_1) | instskip(NEXT) | instid1(VALU_DEP_1)
	v_lshrrev_b32_e32 v4, 16, v4
	v_cndmask_b32_e32 v4, 0x7fc0, v4, vcc_lo
	global_store_b16 v[1:2], v4, off
.LBB265_1967:
	s_mov_b32 s2, 0
.LBB265_1968:
	s_delay_alu instid0(SALU_CYCLE_1)
	s_and_b32 vcc_lo, exec_lo, s2
	s_mov_b32 s2, 0
	s_cbranch_vccz .LBB265_1970
; %bb.1969:
	v_cmp_ne_u16_e64 s0, 11, v6
	s_mov_b32 s2, -1
.LBB265_1970:
	s_delay_alu instid0(VALU_DEP_1)
	s_and_b32 vcc_lo, exec_lo, s0
	s_cbranch_vccnz .LBB265_2157
; %bb.1971:
	s_and_not1_b32 vcc_lo, exec_lo, s2
	s_cbranch_vccnz .LBB265_1973
.LBB265_1972:
	v_cmp_neq_f16_e32 vcc_lo, 0, v3
	s_mov_b32 s3, -1
	v_cndmask_b32_e64 v4, 0, 1, vcc_lo
	global_store_b8 v[1:2], v4, off
.LBB265_1973:
	s_mov_b32 s0, 0
.LBB265_1974:
	s_delay_alu instid0(SALU_CYCLE_1)
	s_and_b32 vcc_lo, exec_lo, s0
	s_cbranch_vccz .LBB265_2013
; %bb.1975:
	v_cmp_gt_i16_e32 vcc_lo, 5, v6
	s_mov_b32 s0, -1
	s_cbranch_vccnz .LBB265_1996
; %bb.1976:
	v_cmp_gt_i16_e32 vcc_lo, 8, v6
	s_cbranch_vccnz .LBB265_1986
; %bb.1977:
	v_cmp_gt_i16_e32 vcc_lo, 9, v6
	s_cbranch_vccnz .LBB265_1983
; %bb.1978:
	v_cmp_lt_i16_e32 vcc_lo, 9, v6
	s_cbranch_vccz .LBB265_1980
; %bb.1979:
	v_cvt_f32_f16_e32 v4, v3
	v_mov_b32_e32 v9, 0
	s_mov_b32 s0, 0
	s_delay_alu instid0(VALU_DEP_2) | instskip(NEXT) | instid1(VALU_DEP_2)
	v_cvt_f64_f32_e32 v[7:8], v4
	v_mov_b32_e32 v10, v9
	global_store_b128 v[1:2], v[7:10], off
.LBB265_1980:
	s_and_not1_b32 vcc_lo, exec_lo, s0
	s_cbranch_vccnz .LBB265_1982
; %bb.1981:
	v_cvt_f32_f16_e32 v4, v3
	v_mov_b32_e32 v5, 0
	global_store_b64 v[1:2], v[4:5], off
.LBB265_1982:
	s_mov_b32 s0, 0
.LBB265_1983:
	s_delay_alu instid0(SALU_CYCLE_1)
	s_and_not1_b32 vcc_lo, exec_lo, s0
	s_cbranch_vccnz .LBB265_1985
; %bb.1984:
	v_and_b32_e32 v4, 0xffff, v3
	global_store_b32 v[1:2], v4, off
.LBB265_1985:
	s_mov_b32 s0, 0
.LBB265_1986:
	s_delay_alu instid0(SALU_CYCLE_1)
	s_and_not1_b32 vcc_lo, exec_lo, s0
	s_cbranch_vccnz .LBB265_1995
; %bb.1987:
	v_cmp_gt_i16_e32 vcc_lo, 6, v6
	s_mov_b32 s0, -1
	s_cbranch_vccnz .LBB265_1993
; %bb.1988:
	v_cmp_lt_i16_e32 vcc_lo, 6, v6
	s_cbranch_vccz .LBB265_1990
; %bb.1989:
	v_cvt_f32_f16_e32 v4, v3
	s_mov_b32 s0, 0
	s_delay_alu instid0(VALU_DEP_1)
	v_cvt_f64_f32_e32 v[4:5], v4
	global_store_b64 v[1:2], v[4:5], off
.LBB265_1990:
	s_and_not1_b32 vcc_lo, exec_lo, s0
	s_cbranch_vccnz .LBB265_1992
; %bb.1991:
	v_cvt_f32_f16_e32 v4, v3
	global_store_b32 v[1:2], v4, off
.LBB265_1992:
	s_mov_b32 s0, 0
.LBB265_1993:
	s_delay_alu instid0(SALU_CYCLE_1)
	s_and_not1_b32 vcc_lo, exec_lo, s0
	s_cbranch_vccnz .LBB265_1995
; %bb.1994:
	global_store_b16 v[1:2], v3, off
.LBB265_1995:
	s_mov_b32 s0, 0
.LBB265_1996:
	s_delay_alu instid0(SALU_CYCLE_1)
	s_and_not1_b32 vcc_lo, exec_lo, s0
	s_cbranch_vccnz .LBB265_2012
; %bb.1997:
	v_cmp_gt_i16_e32 vcc_lo, 2, v6
	s_mov_b32 s0, -1
	s_cbranch_vccnz .LBB265_2007
; %bb.1998:
	v_cmp_gt_i16_e32 vcc_lo, 3, v6
	s_cbranch_vccnz .LBB265_2004
; %bb.1999:
	v_cmp_lt_i16_e32 vcc_lo, 3, v6
	s_cbranch_vccz .LBB265_2001
; %bb.2000:
	v_cvt_f32_f16_e32 v4, v3
	s_mov_b32 s0, 0
	s_delay_alu instid0(VALU_DEP_1) | instskip(NEXT) | instid1(VALU_DEP_1)
	v_cvt_i32_f32_e32 v4, v4
	v_ashrrev_i32_e32 v5, 31, v4
	global_store_b64 v[1:2], v[4:5], off
.LBB265_2001:
	s_and_not1_b32 vcc_lo, exec_lo, s0
	s_cbranch_vccnz .LBB265_2003
; %bb.2002:
	v_cvt_f32_f16_e32 v4, v3
	s_delay_alu instid0(VALU_DEP_1)
	v_cvt_i32_f32_e32 v4, v4
	global_store_b32 v[1:2], v4, off
.LBB265_2003:
	s_mov_b32 s0, 0
.LBB265_2004:
	s_delay_alu instid0(SALU_CYCLE_1)
	s_and_not1_b32 vcc_lo, exec_lo, s0
	s_cbranch_vccnz .LBB265_2006
; %bb.2005:
	v_cvt_i16_f16_e32 v4, v3
	global_store_b16 v[1:2], v4, off
.LBB265_2006:
	s_mov_b32 s0, 0
.LBB265_2007:
	s_delay_alu instid0(SALU_CYCLE_1)
	s_and_not1_b32 vcc_lo, exec_lo, s0
	s_cbranch_vccnz .LBB265_2012
; %bb.2008:
	v_cmp_lt_i16_e32 vcc_lo, 0, v6
	s_mov_b32 s0, -1
	s_cbranch_vccz .LBB265_2010
; %bb.2009:
	v_cvt_i16_f16_e32 v4, v3
	s_mov_b32 s0, 0
	global_store_b8 v[1:2], v4, off
.LBB265_2010:
	s_and_not1_b32 vcc_lo, exec_lo, s0
	s_cbranch_vccnz .LBB265_2012
; %bb.2011:
	v_cvt_f32_f16_e32 v3, v3
	s_delay_alu instid0(VALU_DEP_1)
	v_cvt_i32_f32_e32 v3, v3
	global_store_b8 v[1:2], v3, off
.LBB265_2012:
	s_mov_b32 s3, -1
.LBB265_2013:
	s_delay_alu instid0(SALU_CYCLE_1)
	s_and_not1_b32 vcc_lo, exec_lo, s3
	s_cbranch_vccnz .LBB265_2090
; %bb.2014:
	v_cvt_f32_f16_e32 v1, v11
	s_mov_b32 s2, 0
	s_delay_alu instid0(VALU_DEP_1) | instskip(SKIP_1) | instid1(VALU_DEP_2)
	v_mul_f32_e32 v2, 0x4f800000, v1
	v_cmp_gt_f32_e32 vcc_lo, 0xf800000, v1
	v_cndmask_b32_e32 v1, v1, v2, vcc_lo
	s_delay_alu instid0(VALU_DEP_1) | instskip(SKIP_3) | instid1(VALU_DEP_1)
	v_rsq_f32_e32 v2, v1
	s_waitcnt_depctr 0xfff
	v_mul_f32_e32 v3, v1, v2
	v_mul_f32_e32 v2, 0.5, v2
	v_fma_f32 v4, -v2, v3, 0.5
	s_delay_alu instid0(VALU_DEP_1) | instskip(SKIP_2) | instid1(VALU_DEP_2)
	v_fmac_f32_e32 v2, v2, v4
	v_fmac_f32_e32 v3, v3, v4
	v_cmp_class_f32_e64 s0, v1, 0x260
	v_fma_f32 v4, -v3, v3, v1
	s_delay_alu instid0(VALU_DEP_1) | instskip(NEXT) | instid1(VALU_DEP_1)
	v_fmac_f32_e32 v3, v4, v2
	v_mul_f32_e32 v2, 0x37800000, v3
	s_delay_alu instid0(VALU_DEP_1) | instskip(SKIP_1) | instid1(VALU_DEP_2)
	v_cndmask_b32_e32 v2, v3, v2, vcc_lo
	v_cmp_gt_i16_e32 vcc_lo, 11, v6
	v_cndmask_b32_e64 v2, v2, v1, s0
	v_add_co_u32 v0, s0, s4, v0
	s_delay_alu instid0(VALU_DEP_1) | instskip(NEXT) | instid1(VALU_DEP_3)
	v_add_co_ci_u32_e64 v1, null, s5, 0, s0
	v_cvt_f16_f32_e32 v2, v2
	s_mov_b32 s0, -1
	s_cbranch_vccnz .LBB265_2091
; %bb.2015:
	v_cmp_lt_i16_e32 vcc_lo, 25, v6
	s_mov_b32 s3, -1
	s_mov_b32 s0, 0
	s_cbranch_vccz .LBB265_2048
; %bb.2016:
	v_cmp_lt_i16_e32 vcc_lo, 28, v6
	s_cbranch_vccz .LBB265_2032
; %bb.2017:
	v_cmp_lt_i16_e32 vcc_lo, 43, v6
	s_cbranch_vccz .LBB265_2028
; %bb.2018:
	v_cmp_lt_i16_e32 vcc_lo, 45, v6
	s_cbranch_vccz .LBB265_2022
; %bb.2019:
	v_cmp_eq_u16_e32 vcc_lo, 46, v6
	s_mov_b32 s0, -1
	s_cbranch_vccz .LBB265_2021
; %bb.2020:
	v_cvt_f32_f16_e32 v3, v2
	v_cmp_o_f16_e32 vcc_lo, v2, v2
	s_mov_b32 s0, 0
	s_delay_alu instid0(VALU_DEP_2) | instskip(NEXT) | instid1(VALU_DEP_1)
	v_bfe_u32 v4, v3, 16, 1
	v_add3_u32 v3, v3, v4, 0x7fff
	s_delay_alu instid0(VALU_DEP_1) | instskip(NEXT) | instid1(VALU_DEP_1)
	v_lshrrev_b32_e32 v3, 16, v3
	v_cndmask_b32_e32 v3, 0x7fc0, v3, vcc_lo
	global_store_b32 v[0:1], v3, off
.LBB265_2021:
	s_mov_b32 s3, 0
.LBB265_2022:
	s_delay_alu instid0(SALU_CYCLE_1)
	s_and_b32 vcc_lo, exec_lo, s3
	s_cbranch_vccz .LBB265_2027
; %bb.2023:
	v_cmp_eq_u16_e32 vcc_lo, 44, v6
	s_mov_b32 s0, -1
	s_cbranch_vccz .LBB265_2027
; %bb.2024:
	v_cvt_f32_f16_e32 v3, v2
	v_mov_b32_e32 v4, 0xff
	s_mov_b32 s3, exec_lo
	s_delay_alu instid0(VALU_DEP_2) | instskip(NEXT) | instid1(VALU_DEP_1)
	v_bfe_u32 v5, v3, 23, 8
	v_cmpx_ne_u32_e32 0xff, v5
; %bb.2025:
	v_and_b32_e32 v4, 0x400000, v3
	v_and_or_b32 v5, 0x3fffff, v3, v5
	v_lshrrev_b32_e32 v3, 23, v3
	s_delay_alu instid0(VALU_DEP_3) | instskip(NEXT) | instid1(VALU_DEP_3)
	v_cmp_ne_u32_e32 vcc_lo, 0, v4
	v_cmp_ne_u32_e64 s0, 0, v5
	s_delay_alu instid0(VALU_DEP_1) | instskip(NEXT) | instid1(SALU_CYCLE_1)
	s_and_b32 s0, vcc_lo, s0
	v_cndmask_b32_e64 v4, 0, 1, s0
	s_delay_alu instid0(VALU_DEP_1)
	v_add_nc_u32_e32 v4, v3, v4
; %bb.2026:
	s_or_b32 exec_lo, exec_lo, s3
	s_mov_b32 s0, 0
	global_store_b8 v[0:1], v4, off
.LBB265_2027:
	s_mov_b32 s3, 0
.LBB265_2028:
	s_delay_alu instid0(SALU_CYCLE_1)
	s_and_b32 vcc_lo, exec_lo, s3
	s_cbranch_vccz .LBB265_2031
; %bb.2029:
	v_cmp_eq_u16_e32 vcc_lo, 29, v6
	s_mov_b32 s0, -1
	s_cbranch_vccz .LBB265_2031
; %bb.2030:
	v_cvt_f32_f16_e32 v3, v2
	v_mov_b32_e32 v4, 0
	s_mov_b32 s0, 0
	s_delay_alu instid0(VALU_DEP_2)
	v_cvt_u32_f32_e32 v3, v3
	global_store_b64 v[0:1], v[3:4], off
.LBB265_2031:
	s_mov_b32 s3, 0
.LBB265_2032:
	s_delay_alu instid0(SALU_CYCLE_1)
	s_and_b32 vcc_lo, exec_lo, s3
	s_cbranch_vccz .LBB265_2047
; %bb.2033:
	v_cmp_gt_i16_e32 vcc_lo, 27, v6
	s_mov_b32 s3, -1
	s_cbranch_vccnz .LBB265_2039
; %bb.2034:
	v_cmp_lt_i16_e32 vcc_lo, 27, v6
	s_cbranch_vccz .LBB265_2036
; %bb.2035:
	v_cvt_f32_f16_e32 v3, v2
	s_mov_b32 s3, 0
	s_delay_alu instid0(VALU_DEP_1)
	v_cvt_u32_f32_e32 v3, v3
	global_store_b32 v[0:1], v3, off
.LBB265_2036:
	s_and_not1_b32 vcc_lo, exec_lo, s3
	s_cbranch_vccnz .LBB265_2038
; %bb.2037:
	v_cvt_u16_f16_e32 v3, v2
	global_store_b16 v[0:1], v3, off
.LBB265_2038:
	s_mov_b32 s3, 0
.LBB265_2039:
	s_delay_alu instid0(SALU_CYCLE_1)
	s_and_not1_b32 vcc_lo, exec_lo, s3
	s_cbranch_vccnz .LBB265_2047
; %bb.2040:
	v_cvt_f32_f16_e32 v3, v2
	v_mov_b32_e32 v5, 0x80
	s_mov_b32 s3, exec_lo
	s_delay_alu instid0(VALU_DEP_2) | instskip(NEXT) | instid1(VALU_DEP_1)
	v_and_b32_e32 v4, 0x7fffffff, v3
	v_cmpx_gt_u32_e32 0x43800000, v4
	s_cbranch_execz .LBB265_2046
; %bb.2041:
	v_cmp_lt_u32_e32 vcc_lo, 0x3bffffff, v4
	s_mov_b32 s4, 0
                                        ; implicit-def: $vgpr4
	s_and_saveexec_b32 s5, vcc_lo
	s_delay_alu instid0(SALU_CYCLE_1)
	s_xor_b32 s5, exec_lo, s5
	s_cbranch_execz .LBB265_2161
; %bb.2042:
	v_bfe_u32 v4, v3, 20, 1
	s_mov_b32 s4, exec_lo
	s_delay_alu instid0(VALU_DEP_1) | instskip(NEXT) | instid1(VALU_DEP_1)
	v_add3_u32 v4, v3, v4, 0x487ffff
	v_lshrrev_b32_e32 v4, 20, v4
	s_or_saveexec_b32 s5, s5
                                        ; implicit-def: $sgpr6
	s_delay_alu instid0(SALU_CYCLE_1)
	s_xor_b32 exec_lo, exec_lo, s5
	s_cbranch_execnz .LBB265_2162
.LBB265_2043:
	s_or_b32 exec_lo, exec_lo, s5
	v_mov_b32_e32 v5, s6
	s_and_saveexec_b32 s5, s4
.LBB265_2044:
	v_lshrrev_b32_e32 v3, 24, v3
	s_delay_alu instid0(VALU_DEP_1)
	v_and_or_b32 v5, 0x80, v3, v4
.LBB265_2045:
	s_or_b32 exec_lo, exec_lo, s5
.LBB265_2046:
	s_delay_alu instid0(SALU_CYCLE_1)
	s_or_b32 exec_lo, exec_lo, s3
	global_store_b8 v[0:1], v5, off
.LBB265_2047:
	s_mov_b32 s3, 0
.LBB265_2048:
	s_delay_alu instid0(SALU_CYCLE_1)
	s_and_b32 vcc_lo, exec_lo, s3
	s_cbranch_vccz .LBB265_2088
; %bb.2049:
	v_cmp_lt_i16_e32 vcc_lo, 22, v6
	s_mov_b32 s2, -1
	s_cbranch_vccz .LBB265_2081
; %bb.2050:
	v_cmp_gt_i16_e32 vcc_lo, 24, v6
	s_cbranch_vccnz .LBB265_2070
; %bb.2051:
	v_cmp_lt_i16_e32 vcc_lo, 24, v6
	s_cbranch_vccz .LBB265_2059
; %bb.2052:
	v_cvt_f32_f16_e32 v3, v2
	v_mov_b32_e32 v5, 0x80
	s_mov_b32 s2, exec_lo
	s_delay_alu instid0(VALU_DEP_2) | instskip(NEXT) | instid1(VALU_DEP_1)
	v_and_b32_e32 v4, 0x7fffffff, v3
	v_cmpx_gt_u32_e32 0x47800000, v4
	s_cbranch_execz .LBB265_2058
; %bb.2053:
	v_cmp_lt_u32_e32 vcc_lo, 0x37ffffff, v4
	s_mov_b32 s3, 0
                                        ; implicit-def: $vgpr4
	s_and_saveexec_b32 s4, vcc_lo
	s_delay_alu instid0(SALU_CYCLE_1)
	s_xor_b32 s4, exec_lo, s4
	s_cbranch_execz .LBB265_2167
; %bb.2054:
	v_bfe_u32 v4, v3, 21, 1
	s_mov_b32 s3, exec_lo
	s_delay_alu instid0(VALU_DEP_1) | instskip(NEXT) | instid1(VALU_DEP_1)
	v_add3_u32 v4, v3, v4, 0x88fffff
	v_lshrrev_b32_e32 v4, 21, v4
	s_or_saveexec_b32 s4, s4
                                        ; implicit-def: $sgpr5
	s_delay_alu instid0(SALU_CYCLE_1)
	s_xor_b32 exec_lo, exec_lo, s4
	s_cbranch_execnz .LBB265_2168
.LBB265_2055:
	s_or_b32 exec_lo, exec_lo, s4
	v_mov_b32_e32 v5, s5
	s_and_saveexec_b32 s4, s3
.LBB265_2056:
	v_lshrrev_b32_e32 v3, 24, v3
	s_delay_alu instid0(VALU_DEP_1)
	v_and_or_b32 v5, 0x80, v3, v4
.LBB265_2057:
	s_or_b32 exec_lo, exec_lo, s4
.LBB265_2058:
	s_delay_alu instid0(SALU_CYCLE_1)
	s_or_b32 exec_lo, exec_lo, s2
	s_mov_b32 s2, 0
	global_store_b8 v[0:1], v5, off
.LBB265_2059:
	s_and_b32 vcc_lo, exec_lo, s2
	s_cbranch_vccz .LBB265_2069
; %bb.2060:
	v_cvt_f32_f16_e32 v3, v2
	s_mov_b32 s2, exec_lo
                                        ; implicit-def: $vgpr4
	s_delay_alu instid0(VALU_DEP_1) | instskip(NEXT) | instid1(VALU_DEP_1)
	v_and_b32_e32 v5, 0x7fffffff, v3
	v_cmpx_gt_u32_e32 0x43f00000, v5
	s_xor_b32 s2, exec_lo, s2
	s_cbranch_execz .LBB265_2066
; %bb.2061:
	s_mov_b32 s3, exec_lo
                                        ; implicit-def: $vgpr4
	v_cmpx_lt_u32_e32 0x3c7fffff, v5
	s_xor_b32 s3, exec_lo, s3
; %bb.2062:
	v_bfe_u32 v4, v3, 20, 1
	s_delay_alu instid0(VALU_DEP_1) | instskip(NEXT) | instid1(VALU_DEP_1)
	v_add3_u32 v4, v3, v4, 0x407ffff
	v_and_b32_e32 v5, 0xff00000, v4
	v_lshrrev_b32_e32 v4, 20, v4
	s_delay_alu instid0(VALU_DEP_2) | instskip(NEXT) | instid1(VALU_DEP_2)
	v_cmp_ne_u32_e32 vcc_lo, 0x7f00000, v5
	v_cndmask_b32_e32 v4, 0x7e, v4, vcc_lo
; %bb.2063:
	s_and_not1_saveexec_b32 s3, s3
; %bb.2064:
	v_add_f32_e64 v4, 0x46800000, |v3|
; %bb.2065:
	s_or_b32 exec_lo, exec_lo, s3
                                        ; implicit-def: $vgpr5
.LBB265_2066:
	s_and_not1_saveexec_b32 s2, s2
; %bb.2067:
	v_mov_b32_e32 v4, 0x7f
	v_cmp_lt_u32_e32 vcc_lo, 0x7f800000, v5
	s_delay_alu instid0(VALU_DEP_2)
	v_cndmask_b32_e32 v4, 0x7e, v4, vcc_lo
; %bb.2068:
	s_or_b32 exec_lo, exec_lo, s2
	v_lshrrev_b32_e32 v3, 24, v3
	s_delay_alu instid0(VALU_DEP_1)
	v_and_or_b32 v3, 0x80, v3, v4
	global_store_b8 v[0:1], v3, off
.LBB265_2069:
	s_mov_b32 s2, 0
.LBB265_2070:
	s_delay_alu instid0(SALU_CYCLE_1)
	s_and_not1_b32 vcc_lo, exec_lo, s2
	s_cbranch_vccnz .LBB265_2080
; %bb.2071:
	v_cvt_f32_f16_e32 v3, v2
	s_mov_b32 s2, exec_lo
                                        ; implicit-def: $vgpr4
	s_delay_alu instid0(VALU_DEP_1) | instskip(NEXT) | instid1(VALU_DEP_1)
	v_and_b32_e32 v5, 0x7fffffff, v3
	v_cmpx_gt_u32_e32 0x47800000, v5
	s_xor_b32 s2, exec_lo, s2
	s_cbranch_execz .LBB265_2077
; %bb.2072:
	s_mov_b32 s3, exec_lo
                                        ; implicit-def: $vgpr4
	v_cmpx_lt_u32_e32 0x387fffff, v5
	s_xor_b32 s3, exec_lo, s3
; %bb.2073:
	v_bfe_u32 v4, v3, 21, 1
	s_delay_alu instid0(VALU_DEP_1) | instskip(NEXT) | instid1(VALU_DEP_1)
	v_add3_u32 v4, v3, v4, 0x80fffff
	v_lshrrev_b32_e32 v4, 21, v4
; %bb.2074:
	s_and_not1_saveexec_b32 s3, s3
; %bb.2075:
	v_add_f32_e64 v4, 0x43000000, |v3|
; %bb.2076:
	s_or_b32 exec_lo, exec_lo, s3
                                        ; implicit-def: $vgpr5
.LBB265_2077:
	s_and_not1_saveexec_b32 s2, s2
; %bb.2078:
	v_mov_b32_e32 v4, 0x7f
	v_cmp_lt_u32_e32 vcc_lo, 0x7f800000, v5
	s_delay_alu instid0(VALU_DEP_2)
	v_cndmask_b32_e32 v4, 0x7c, v4, vcc_lo
; %bb.2079:
	s_or_b32 exec_lo, exec_lo, s2
	v_lshrrev_b32_e32 v3, 24, v3
	s_delay_alu instid0(VALU_DEP_1)
	v_and_or_b32 v3, 0x80, v3, v4
	global_store_b8 v[0:1], v3, off
.LBB265_2080:
	s_mov_b32 s2, 0
.LBB265_2081:
	s_delay_alu instid0(SALU_CYCLE_1)
	s_and_not1_b32 vcc_lo, exec_lo, s2
	s_mov_b32 s2, 0
	s_cbranch_vccnz .LBB265_2088
; %bb.2082:
	v_cmp_lt_i16_e32 vcc_lo, 14, v6
	s_mov_b32 s2, -1
	s_cbranch_vccz .LBB265_2086
; %bb.2083:
	v_cmp_eq_u16_e32 vcc_lo, 15, v6
	s_mov_b32 s0, -1
	s_cbranch_vccz .LBB265_2085
; %bb.2084:
	v_cvt_f32_f16_e32 v3, v2
	v_cmp_o_f16_e32 vcc_lo, v2, v2
	s_mov_b32 s0, 0
	s_delay_alu instid0(VALU_DEP_2) | instskip(NEXT) | instid1(VALU_DEP_1)
	v_bfe_u32 v4, v3, 16, 1
	v_add3_u32 v3, v3, v4, 0x7fff
	s_delay_alu instid0(VALU_DEP_1) | instskip(NEXT) | instid1(VALU_DEP_1)
	v_lshrrev_b32_e32 v3, 16, v3
	v_cndmask_b32_e32 v3, 0x7fc0, v3, vcc_lo
	global_store_b16 v[0:1], v3, off
.LBB265_2085:
	s_mov_b32 s2, 0
.LBB265_2086:
	s_delay_alu instid0(SALU_CYCLE_1)
	s_and_b32 vcc_lo, exec_lo, s2
	s_mov_b32 s2, 0
	s_cbranch_vccz .LBB265_2088
; %bb.2087:
	v_cmp_ne_u16_e64 s0, 11, v6
	s_mov_b32 s2, -1
.LBB265_2088:
	s_delay_alu instid0(VALU_DEP_1)
	s_and_b32 vcc_lo, exec_lo, s0
	s_cbranch_vccnz .LBB265_2165
.LBB265_2089:
	s_mov_b32 s0, 0
	s_branch .LBB265_2091
.LBB265_2090:
	s_mov_b32 s0, 0
	s_mov_b32 s2, 0
                                        ; implicit-def: $vgpr0_vgpr1
                                        ; implicit-def: $vgpr6
                                        ; implicit-def: $vgpr2
.LBB265_2091:
	s_and_b32 s3, s0, exec_lo
	s_and_not1_b32 s0, s8, exec_lo
	s_and_b32 s1, s1, exec_lo
	s_and_b32 s26, s2, exec_lo
	s_or_b32 s8, s0, s1
.LBB265_2092:
	s_or_b32 exec_lo, exec_lo, s9
	s_and_saveexec_b32 s0, s8
	s_cbranch_execz .LBB265_2095
; %bb.2093:
	; divergent unreachable
	s_or_b32 exec_lo, exec_lo, s0
	s_and_saveexec_b32 s0, s26
	s_delay_alu instid0(SALU_CYCLE_1)
	s_xor_b32 s0, exec_lo, s0
	s_cbranch_execnz .LBB265_2096
.LBB265_2094:
	s_or_b32 exec_lo, exec_lo, s0
	s_and_saveexec_b32 s0, s3
	s_cbranch_execnz .LBB265_2097
	s_branch .LBB265_2134
.LBB265_2095:
	s_or_b32 exec_lo, exec_lo, s0
	s_and_saveexec_b32 s0, s26
	s_delay_alu instid0(SALU_CYCLE_1)
	s_xor_b32 s0, exec_lo, s0
	s_cbranch_execz .LBB265_2094
.LBB265_2096:
	v_cmp_neq_f16_e32 vcc_lo, 0, v2
	v_cndmask_b32_e64 v3, 0, 1, vcc_lo
	global_store_b8 v[0:1], v3, off
	s_or_b32 exec_lo, exec_lo, s0
	s_and_saveexec_b32 s0, s3
	s_cbranch_execz .LBB265_2134
.LBB265_2097:
	s_waitcnt vmcnt(0)
	v_cmp_gt_i16_e32 vcc_lo, 5, v6
	s_mov_b32 s0, -1
	s_cbranch_vccnz .LBB265_2118
; %bb.2098:
	v_cmp_gt_i16_e32 vcc_lo, 8, v6
	s_cbranch_vccnz .LBB265_2108
; %bb.2099:
	v_cmp_gt_i16_e32 vcc_lo, 9, v6
	s_cbranch_vccnz .LBB265_2105
; %bb.2100:
	v_cmp_lt_i16_e32 vcc_lo, 9, v6
	s_cbranch_vccz .LBB265_2102
; %bb.2101:
	v_cvt_f32_f16_e32 v3, v2
	v_mov_b32_e32 v9, 0
	s_mov_b32 s0, 0
	s_delay_alu instid0(VALU_DEP_2) | instskip(NEXT) | instid1(VALU_DEP_2)
	v_cvt_f64_f32_e32 v[7:8], v3
	v_mov_b32_e32 v10, v9
	global_store_b128 v[0:1], v[7:10], off
.LBB265_2102:
	s_and_not1_b32 vcc_lo, exec_lo, s0
	s_cbranch_vccnz .LBB265_2104
; %bb.2103:
	v_cvt_f32_f16_e32 v3, v2
	v_mov_b32_e32 v4, 0
	global_store_b64 v[0:1], v[3:4], off
.LBB265_2104:
	s_mov_b32 s0, 0
.LBB265_2105:
	s_delay_alu instid0(SALU_CYCLE_1)
	s_and_not1_b32 vcc_lo, exec_lo, s0
	s_cbranch_vccnz .LBB265_2107
; %bb.2106:
	v_and_b32_e32 v3, 0xffff, v2
	global_store_b32 v[0:1], v3, off
.LBB265_2107:
	s_mov_b32 s0, 0
.LBB265_2108:
	s_delay_alu instid0(SALU_CYCLE_1)
	s_and_not1_b32 vcc_lo, exec_lo, s0
	s_cbranch_vccnz .LBB265_2117
; %bb.2109:
	v_cmp_gt_i16_e32 vcc_lo, 6, v6
	s_mov_b32 s0, -1
	s_cbranch_vccnz .LBB265_2115
; %bb.2110:
	v_cmp_lt_i16_e32 vcc_lo, 6, v6
	s_cbranch_vccz .LBB265_2112
; %bb.2111:
	v_cvt_f32_f16_e32 v3, v2
	s_mov_b32 s0, 0
	s_delay_alu instid0(VALU_DEP_1)
	v_cvt_f64_f32_e32 v[3:4], v3
	global_store_b64 v[0:1], v[3:4], off
.LBB265_2112:
	s_and_not1_b32 vcc_lo, exec_lo, s0
	s_cbranch_vccnz .LBB265_2114
; %bb.2113:
	v_cvt_f32_f16_e32 v3, v2
	global_store_b32 v[0:1], v3, off
.LBB265_2114:
	s_mov_b32 s0, 0
.LBB265_2115:
	s_delay_alu instid0(SALU_CYCLE_1)
	s_and_not1_b32 vcc_lo, exec_lo, s0
	s_cbranch_vccnz .LBB265_2117
; %bb.2116:
	global_store_b16 v[0:1], v2, off
.LBB265_2117:
	s_mov_b32 s0, 0
.LBB265_2118:
	s_delay_alu instid0(SALU_CYCLE_1)
	s_and_not1_b32 vcc_lo, exec_lo, s0
	s_cbranch_vccnz .LBB265_2134
; %bb.2119:
	v_cmp_gt_i16_e32 vcc_lo, 2, v6
	s_mov_b32 s0, -1
	s_cbranch_vccnz .LBB265_2129
; %bb.2120:
	v_cmp_gt_i16_e32 vcc_lo, 3, v6
	s_cbranch_vccnz .LBB265_2126
; %bb.2121:
	v_cmp_lt_i16_e32 vcc_lo, 3, v6
	s_cbranch_vccz .LBB265_2123
; %bb.2122:
	v_cvt_f32_f16_e32 v3, v2
	s_mov_b32 s0, 0
	s_delay_alu instid0(VALU_DEP_1) | instskip(NEXT) | instid1(VALU_DEP_1)
	v_cvt_i32_f32_e32 v3, v3
	v_ashrrev_i32_e32 v4, 31, v3
	global_store_b64 v[0:1], v[3:4], off
.LBB265_2123:
	s_and_not1_b32 vcc_lo, exec_lo, s0
	s_cbranch_vccnz .LBB265_2125
; %bb.2124:
	v_cvt_f32_f16_e32 v3, v2
	s_delay_alu instid0(VALU_DEP_1)
	v_cvt_i32_f32_e32 v3, v3
	global_store_b32 v[0:1], v3, off
.LBB265_2125:
	s_mov_b32 s0, 0
.LBB265_2126:
	s_delay_alu instid0(SALU_CYCLE_1)
	s_and_not1_b32 vcc_lo, exec_lo, s0
	s_cbranch_vccnz .LBB265_2128
; %bb.2127:
	v_cvt_i16_f16_e32 v3, v2
	global_store_b16 v[0:1], v3, off
.LBB265_2128:
	s_mov_b32 s0, 0
.LBB265_2129:
	s_delay_alu instid0(SALU_CYCLE_1)
	s_and_not1_b32 vcc_lo, exec_lo, s0
	s_cbranch_vccnz .LBB265_2134
; %bb.2130:
	v_cmp_lt_i16_e32 vcc_lo, 0, v6
	s_mov_b32 s0, -1
	s_cbranch_vccz .LBB265_2132
; %bb.2131:
	v_cvt_i16_f16_e32 v3, v2
	s_mov_b32 s0, 0
	global_store_b8 v[0:1], v3, off
.LBB265_2132:
	s_and_not1_b32 vcc_lo, exec_lo, s0
	s_cbranch_vccnz .LBB265_2134
; %bb.2133:
	v_cvt_f32_f16_e32 v2, v2
	s_delay_alu instid0(VALU_DEP_1)
	v_cvt_i32_f32_e32 v2, v2
	global_store_b8 v[0:1], v2, off
	s_nop 0
	s_sendmsg sendmsg(MSG_DEALLOC_VGPRS)
	s_endpgm
.LBB265_2134:
	s_nop 0
	s_sendmsg sendmsg(MSG_DEALLOC_VGPRS)
	s_endpgm
.LBB265_2135:
	s_cbranch_execnz .LBB265_2139
; %bb.2136:
	s_or_b32 s1, s1, exec_lo
                                        ; implicit-def: $vgpr11
	s_cbranch_execz .LBB265_1608
	s_branch .LBB265_1609
.LBB265_2137:
	s_or_saveexec_b32 s7, s7
                                        ; implicit-def: $sgpr10
	s_delay_alu instid0(SALU_CYCLE_1)
	s_xor_b32 exec_lo, exec_lo, s7
	s_cbranch_execz .LBB265_1688
.LBB265_2138:
	v_add_f32_e64 v10, 0x46000000, |v9|
	s_and_not1_b32 s6, s6, exec_lo
	s_mov_b32 s10, 0
	s_delay_alu instid0(VALU_DEP_1) | instskip(NEXT) | instid1(VALU_DEP_1)
	v_and_b32_e32 v10, 0xff, v10
	v_cmp_ne_u32_e32 vcc_lo, 0, v10
	s_and_b32 s11, vcc_lo, exec_lo
	s_delay_alu instid0(SALU_CYCLE_1)
	s_or_b32 s6, s6, s11
	s_or_b32 exec_lo, exec_lo, s7
	v_mov_b32_e32 v12, s10
	s_and_saveexec_b32 s7, s6
	s_cbranch_execnz .LBB265_1689
	s_branch .LBB265_1690
.LBB265_2139:
	s_trap 2
	s_sendmsg_rtn_b32 s0, sendmsg(MSG_RTN_GET_DOORBELL)
	s_mov_b32 ttmp2, m0
	s_waitcnt lgkmcnt(0)
	s_and_b32 s0, s0, 0x3ff
	s_delay_alu instid0(SALU_CYCLE_1) | instskip(NEXT) | instid1(SALU_CYCLE_1)
	s_bitset1_b32 s0, 10
	s_mov_b32 m0, s0
	s_sendmsg sendmsg(MSG_INTERRUPT)
	s_mov_b32 m0, ttmp2
.LBB265_2140:                           ; =>This Inner Loop Header: Depth=1
	s_sethalt 5
	s_branch .LBB265_2140
.LBB265_2141:
	s_cbranch_execnz .LBB265_2147
; %bb.2142:
	s_or_b32 s1, s1, exec_lo
	s_cbranch_execz .LBB265_1736
	s_branch .LBB265_1737
.LBB265_2143:
	s_or_saveexec_b32 s6, s6
                                        ; implicit-def: $sgpr7
	s_delay_alu instid0(SALU_CYCLE_1)
	s_xor_b32 exec_lo, exec_lo, s6
	s_cbranch_execz .LBB265_1701
.LBB265_2144:
	v_add_f32_e64 v10, 0x42800000, |v9|
	s_and_not1_b32 s3, s3, exec_lo
	s_mov_b32 s7, 0
	s_delay_alu instid0(VALU_DEP_1) | instskip(NEXT) | instid1(VALU_DEP_1)
	v_and_b32_e32 v10, 0xff, v10
	v_cmp_ne_u32_e32 vcc_lo, 0, v10
	s_and_b32 s10, vcc_lo, exec_lo
	s_delay_alu instid0(SALU_CYCLE_1)
	s_or_b32 s3, s3, s10
	s_or_b32 exec_lo, exec_lo, s6
	v_mov_b32_e32 v12, s7
	s_and_saveexec_b32 s6, s3
	s_cbranch_execnz .LBB265_1702
	s_branch .LBB265_1703
.LBB265_2145:
	s_or_saveexec_b32 s7, s7
                                        ; implicit-def: $sgpr10
	s_delay_alu instid0(SALU_CYCLE_1)
	s_xor_b32 exec_lo, exec_lo, s7
	s_cbranch_execz .LBB265_1806
.LBB265_2146:
	v_add_f32_e64 v8, 0x46000000, |v5|
	s_and_not1_b32 s6, s6, exec_lo
	s_mov_b32 s10, 0
	s_delay_alu instid0(VALU_DEP_1) | instskip(NEXT) | instid1(VALU_DEP_1)
	v_and_b32_e32 v8, 0xff, v8
	v_cmp_ne_u32_e32 vcc_lo, 0, v8
	s_and_b32 s11, vcc_lo, exec_lo
	s_delay_alu instid0(SALU_CYCLE_1)
	s_or_b32 s6, s6, s11
	s_or_b32 exec_lo, exec_lo, s7
	v_mov_b32_e32 v9, s10
	s_and_saveexec_b32 s7, s6
	s_cbranch_execnz .LBB265_1807
	s_branch .LBB265_1808
.LBB265_2147:
	s_trap 2
	s_sendmsg_rtn_b32 s0, sendmsg(MSG_RTN_GET_DOORBELL)
	s_mov_b32 ttmp2, m0
	s_waitcnt lgkmcnt(0)
	s_and_b32 s0, s0, 0x3ff
	s_delay_alu instid0(SALU_CYCLE_1) | instskip(NEXT) | instid1(SALU_CYCLE_1)
	s_bitset1_b32 s0, 10
	s_mov_b32 m0, s0
	s_sendmsg sendmsg(MSG_INTERRUPT)
	s_mov_b32 m0, ttmp2
.LBB265_2148:                           ; =>This Inner Loop Header: Depth=1
	s_sethalt 5
	s_branch .LBB265_2148
.LBB265_2149:
	s_cbranch_execnz .LBB265_2155
; %bb.2150:
	s_or_b32 s1, s1, exec_lo
	s_cbranch_execz .LBB265_1854
	s_branch .LBB265_1855
.LBB265_2151:
	s_or_saveexec_b32 s6, s6
                                        ; implicit-def: $sgpr7
	s_delay_alu instid0(SALU_CYCLE_1)
	s_xor_b32 exec_lo, exec_lo, s6
	s_cbranch_execz .LBB265_1819
.LBB265_2152:
	v_add_f32_e64 v8, 0x42800000, |v5|
	s_and_not1_b32 s3, s3, exec_lo
	s_mov_b32 s7, 0
	s_delay_alu instid0(VALU_DEP_1) | instskip(NEXT) | instid1(VALU_DEP_1)
	v_and_b32_e32 v8, 0xff, v8
	v_cmp_ne_u32_e32 vcc_lo, 0, v8
	s_and_b32 s10, vcc_lo, exec_lo
	s_delay_alu instid0(SALU_CYCLE_1)
	s_or_b32 s3, s3, s10
	s_or_b32 exec_lo, exec_lo, s6
	v_mov_b32_e32 v9, s7
	s_and_saveexec_b32 s6, s3
	s_cbranch_execnz .LBB265_1820
	s_branch .LBB265_1821
.LBB265_2153:
	s_or_saveexec_b32 s7, s7
                                        ; implicit-def: $sgpr10
	s_delay_alu instid0(SALU_CYCLE_1)
	s_xor_b32 exec_lo, exec_lo, s7
	s_cbranch_execz .LBB265_1924
.LBB265_2154:
	v_add_f32_e64 v5, 0x46000000, |v4|
	s_and_not1_b32 s6, s6, exec_lo
	s_mov_b32 s10, 0
	s_delay_alu instid0(VALU_DEP_1) | instskip(NEXT) | instid1(VALU_DEP_1)
	v_and_b32_e32 v5, 0xff, v5
	v_cmp_ne_u32_e32 vcc_lo, 0, v5
	s_and_b32 s11, vcc_lo, exec_lo
	s_delay_alu instid0(SALU_CYCLE_1)
	s_or_b32 s6, s6, s11
	s_or_b32 exec_lo, exec_lo, s7
	v_mov_b32_e32 v7, s10
	s_and_saveexec_b32 s7, s6
	s_cbranch_execnz .LBB265_1925
	s_branch .LBB265_1926
.LBB265_2155:
	s_trap 2
	s_sendmsg_rtn_b32 s0, sendmsg(MSG_RTN_GET_DOORBELL)
	s_mov_b32 ttmp2, m0
	s_waitcnt lgkmcnt(0)
	s_and_b32 s0, s0, 0x3ff
	s_delay_alu instid0(SALU_CYCLE_1) | instskip(NEXT) | instid1(SALU_CYCLE_1)
	s_bitset1_b32 s0, 10
	s_mov_b32 m0, s0
	s_sendmsg sendmsg(MSG_INTERRUPT)
	s_mov_b32 m0, ttmp2
.LBB265_2156:                           ; =>This Inner Loop Header: Depth=1
	s_sethalt 5
	s_branch .LBB265_2156
.LBB265_2157:
	s_cbranch_execnz .LBB265_2163
; %bb.2158:
	s_or_b32 s1, s1, exec_lo
	s_cbranch_execz .LBB265_1972
	s_branch .LBB265_1973
.LBB265_2159:
	s_or_saveexec_b32 s6, s6
                                        ; implicit-def: $sgpr7
	s_delay_alu instid0(SALU_CYCLE_1)
	s_xor_b32 exec_lo, exec_lo, s6
	s_cbranch_execz .LBB265_1937
.LBB265_2160:
	v_add_f32_e64 v5, 0x42800000, |v4|
	s_and_not1_b32 s3, s3, exec_lo
	s_mov_b32 s7, 0
	s_delay_alu instid0(VALU_DEP_1) | instskip(NEXT) | instid1(VALU_DEP_1)
	v_and_b32_e32 v5, 0xff, v5
	v_cmp_ne_u32_e32 vcc_lo, 0, v5
	s_and_b32 s10, vcc_lo, exec_lo
	s_delay_alu instid0(SALU_CYCLE_1)
	s_or_b32 s3, s3, s10
	s_or_b32 exec_lo, exec_lo, s6
	v_mov_b32_e32 v7, s7
	s_and_saveexec_b32 s6, s3
	s_cbranch_execnz .LBB265_1938
	s_branch .LBB265_1939
.LBB265_2161:
	s_or_saveexec_b32 s5, s5
                                        ; implicit-def: $sgpr6
	s_delay_alu instid0(SALU_CYCLE_1)
	s_xor_b32 exec_lo, exec_lo, s5
	s_cbranch_execz .LBB265_2043
.LBB265_2162:
	v_add_f32_e64 v4, 0x46000000, |v3|
	s_and_not1_b32 s4, s4, exec_lo
	s_mov_b32 s6, 0
	s_delay_alu instid0(VALU_DEP_1) | instskip(NEXT) | instid1(VALU_DEP_1)
	v_and_b32_e32 v4, 0xff, v4
	v_cmp_ne_u32_e32 vcc_lo, 0, v4
	s_and_b32 s7, vcc_lo, exec_lo
	s_delay_alu instid0(SALU_CYCLE_1)
	s_or_b32 s4, s4, s7
	s_or_b32 exec_lo, exec_lo, s5
	v_mov_b32_e32 v5, s6
	s_and_saveexec_b32 s5, s4
	s_cbranch_execnz .LBB265_2044
	s_branch .LBB265_2045
.LBB265_2163:
	s_trap 2
	s_sendmsg_rtn_b32 s0, sendmsg(MSG_RTN_GET_DOORBELL)
	s_mov_b32 ttmp2, m0
	s_waitcnt lgkmcnt(0)
	s_and_b32 s0, s0, 0x3ff
	s_delay_alu instid0(SALU_CYCLE_1) | instskip(NEXT) | instid1(SALU_CYCLE_1)
	s_bitset1_b32 s0, 10
	s_mov_b32 m0, s0
	s_sendmsg sendmsg(MSG_INTERRUPT)
	s_mov_b32 m0, ttmp2
.LBB265_2164:                           ; =>This Inner Loop Header: Depth=1
	s_sethalt 5
	s_branch .LBB265_2164
.LBB265_2165:
	s_cbranch_execnz .LBB265_2169
; %bb.2166:
	s_mov_b32 s2, 0
	s_or_b32 s1, s1, exec_lo
	s_branch .LBB265_2089
.LBB265_2167:
	s_or_saveexec_b32 s4, s4
                                        ; implicit-def: $sgpr5
	s_delay_alu instid0(SALU_CYCLE_1)
	s_xor_b32 exec_lo, exec_lo, s4
	s_cbranch_execz .LBB265_2055
.LBB265_2168:
	v_add_f32_e64 v4, 0x42800000, |v3|
	s_and_not1_b32 s3, s3, exec_lo
	s_mov_b32 s5, 0
	s_delay_alu instid0(VALU_DEP_1) | instskip(NEXT) | instid1(VALU_DEP_1)
	v_and_b32_e32 v4, 0xff, v4
	v_cmp_ne_u32_e32 vcc_lo, 0, v4
	s_and_b32 s6, vcc_lo, exec_lo
	s_delay_alu instid0(SALU_CYCLE_1)
	s_or_b32 s3, s3, s6
	s_or_b32 exec_lo, exec_lo, s4
	v_mov_b32_e32 v5, s5
	s_and_saveexec_b32 s4, s3
	s_cbranch_execnz .LBB265_2056
	s_branch .LBB265_2057
.LBB265_2169:
	s_trap 2
	s_sendmsg_rtn_b32 s0, sendmsg(MSG_RTN_GET_DOORBELL)
	s_mov_b32 ttmp2, m0
	s_waitcnt lgkmcnt(0)
	s_and_b32 s0, s0, 0x3ff
	s_delay_alu instid0(SALU_CYCLE_1) | instskip(NEXT) | instid1(SALU_CYCLE_1)
	s_bitset1_b32 s0, 10
	s_mov_b32 m0, s0
	s_sendmsg sendmsg(MSG_INTERRUPT)
	s_mov_b32 m0, ttmp2
.LBB265_2170:                           ; =>This Inner Loop Header: Depth=1
	s_sethalt 5
	s_branch .LBB265_2170
	.section	.rodata,"a",@progbits
	.p2align	6, 0x0
	.amdhsa_kernel _ZN2at6native32elementwise_kernel_manual_unrollILi128ELi4EZNS0_15gpu_kernel_implIZZZNS0_16sqrt_kernel_cudaERNS_18TensorIteratorBaseEENKUlvE0_clEvENKUlvE1_clEvEUlN3c104HalfEE_EEvS4_RKT_EUlibE0_EEviT1_
		.amdhsa_group_segment_fixed_size 0
		.amdhsa_private_segment_fixed_size 0
		.amdhsa_kernarg_size 360
		.amdhsa_user_sgpr_count 15
		.amdhsa_user_sgpr_dispatch_ptr 0
		.amdhsa_user_sgpr_queue_ptr 0
		.amdhsa_user_sgpr_kernarg_segment_ptr 1
		.amdhsa_user_sgpr_dispatch_id 0
		.amdhsa_user_sgpr_private_segment_size 0
		.amdhsa_wavefront_size32 1
		.amdhsa_uses_dynamic_stack 0
		.amdhsa_enable_private_segment 0
		.amdhsa_system_sgpr_workgroup_id_x 1
		.amdhsa_system_sgpr_workgroup_id_y 0
		.amdhsa_system_sgpr_workgroup_id_z 0
		.amdhsa_system_sgpr_workgroup_info 0
		.amdhsa_system_vgpr_workitem_id 0
		.amdhsa_next_free_vgpr 18
		.amdhsa_next_free_sgpr 68
		.amdhsa_reserve_vcc 1
		.amdhsa_float_round_mode_32 0
		.amdhsa_float_round_mode_16_64 0
		.amdhsa_float_denorm_mode_32 3
		.amdhsa_float_denorm_mode_16_64 3
		.amdhsa_dx10_clamp 1
		.amdhsa_ieee_mode 1
		.amdhsa_fp16_overflow 0
		.amdhsa_workgroup_processor_mode 1
		.amdhsa_memory_ordered 1
		.amdhsa_forward_progress 0
		.amdhsa_shared_vgpr_count 0
		.amdhsa_exception_fp_ieee_invalid_op 0
		.amdhsa_exception_fp_denorm_src 0
		.amdhsa_exception_fp_ieee_div_zero 0
		.amdhsa_exception_fp_ieee_overflow 0
		.amdhsa_exception_fp_ieee_underflow 0
		.amdhsa_exception_fp_ieee_inexact 0
		.amdhsa_exception_int_div_zero 0
	.end_amdhsa_kernel
	.section	.text._ZN2at6native32elementwise_kernel_manual_unrollILi128ELi4EZNS0_15gpu_kernel_implIZZZNS0_16sqrt_kernel_cudaERNS_18TensorIteratorBaseEENKUlvE0_clEvENKUlvE1_clEvEUlN3c104HalfEE_EEvS4_RKT_EUlibE0_EEviT1_,"axG",@progbits,_ZN2at6native32elementwise_kernel_manual_unrollILi128ELi4EZNS0_15gpu_kernel_implIZZZNS0_16sqrt_kernel_cudaERNS_18TensorIteratorBaseEENKUlvE0_clEvENKUlvE1_clEvEUlN3c104HalfEE_EEvS4_RKT_EUlibE0_EEviT1_,comdat
.Lfunc_end265:
	.size	_ZN2at6native32elementwise_kernel_manual_unrollILi128ELi4EZNS0_15gpu_kernel_implIZZZNS0_16sqrt_kernel_cudaERNS_18TensorIteratorBaseEENKUlvE0_clEvENKUlvE1_clEvEUlN3c104HalfEE_EEvS4_RKT_EUlibE0_EEviT1_, .Lfunc_end265-_ZN2at6native32elementwise_kernel_manual_unrollILi128ELi4EZNS0_15gpu_kernel_implIZZZNS0_16sqrt_kernel_cudaERNS_18TensorIteratorBaseEENKUlvE0_clEvENKUlvE1_clEvEUlN3c104HalfEE_EEvS4_RKT_EUlibE0_EEviT1_
                                        ; -- End function
	.section	.AMDGPU.csdata,"",@progbits
; Kernel info:
; codeLenInByte = 42248
; NumSgprs: 70
; NumVgprs: 18
; ScratchSize: 0
; MemoryBound: 0
; FloatMode: 240
; IeeeMode: 1
; LDSByteSize: 0 bytes/workgroup (compile time only)
; SGPRBlocks: 8
; VGPRBlocks: 2
; NumSGPRsForWavesPerEU: 70
; NumVGPRsForWavesPerEU: 18
; Occupancy: 16
; WaveLimiterHint : 1
; COMPUTE_PGM_RSRC2:SCRATCH_EN: 0
; COMPUTE_PGM_RSRC2:USER_SGPR: 15
; COMPUTE_PGM_RSRC2:TRAP_HANDLER: 0
; COMPUTE_PGM_RSRC2:TGID_X_EN: 1
; COMPUTE_PGM_RSRC2:TGID_Y_EN: 0
; COMPUTE_PGM_RSRC2:TGID_Z_EN: 0
; COMPUTE_PGM_RSRC2:TIDIG_COMP_CNT: 0
	.section	.text._ZN2at6native29vectorized_elementwise_kernelILi16EZZZNS0_16sqrt_kernel_cudaERNS_18TensorIteratorBaseEENKUlvE0_clEvENKUlvE2_clEvEUlN3c108BFloat16EE_St5arrayIPcLm2EEEEviT0_T1_,"axG",@progbits,_ZN2at6native29vectorized_elementwise_kernelILi16EZZZNS0_16sqrt_kernel_cudaERNS_18TensorIteratorBaseEENKUlvE0_clEvENKUlvE2_clEvEUlN3c108BFloat16EE_St5arrayIPcLm2EEEEviT0_T1_,comdat
	.globl	_ZN2at6native29vectorized_elementwise_kernelILi16EZZZNS0_16sqrt_kernel_cudaERNS_18TensorIteratorBaseEENKUlvE0_clEvENKUlvE2_clEvEUlN3c108BFloat16EE_St5arrayIPcLm2EEEEviT0_T1_ ; -- Begin function _ZN2at6native29vectorized_elementwise_kernelILi16EZZZNS0_16sqrt_kernel_cudaERNS_18TensorIteratorBaseEENKUlvE0_clEvENKUlvE2_clEvEUlN3c108BFloat16EE_St5arrayIPcLm2EEEEviT0_T1_
	.p2align	8
	.type	_ZN2at6native29vectorized_elementwise_kernelILi16EZZZNS0_16sqrt_kernel_cudaERNS_18TensorIteratorBaseEENKUlvE0_clEvENKUlvE2_clEvEUlN3c108BFloat16EE_St5arrayIPcLm2EEEEviT0_T1_,@function
_ZN2at6native29vectorized_elementwise_kernelILi16EZZZNS0_16sqrt_kernel_cudaERNS_18TensorIteratorBaseEENKUlvE0_clEvENKUlvE2_clEvEUlN3c108BFloat16EE_St5arrayIPcLm2EEEEviT0_T1_: ; @_ZN2at6native29vectorized_elementwise_kernelILi16EZZZNS0_16sqrt_kernel_cudaERNS_18TensorIteratorBaseEENKUlvE0_clEvENKUlvE2_clEvEUlN3c108BFloat16EE_St5arrayIPcLm2EEEEviT0_T1_
; %bb.0:
	s_clause 0x1
	s_load_b32 s2, s[0:1], 0x0
	s_load_b128 s[8:11], s[0:1], 0x8
	s_lshl_b32 s12, s15, 11
	s_mov_b32 s0, -1
	s_waitcnt lgkmcnt(0)
	s_sub_i32 s16, s2, s12
	s_delay_alu instid0(SALU_CYCLE_1)
	s_cmpk_gt_i32 s16, 0x7ff
	s_cbranch_scc0 .LBB266_2
; %bb.1:
	s_ashr_i32 s13, s12, 31
	v_lshlrev_b32_e32 v5, 4, v0
	s_lshl_b64 s[14:15], s[12:13], 1
	s_delay_alu instid0(SALU_CYCLE_1)
	s_add_u32 s0, s10, s14
	s_addc_u32 s1, s11, s15
	global_load_b128 v[1:4], v5, s[0:1]
	s_waitcnt vmcnt(0)
	v_and_b32_e32 v8, 0xffff0000, v3
	v_and_b32_e32 v6, 0xffff0000, v1
	s_delay_alu instid0(VALU_DEP_2) | instskip(SKIP_1) | instid1(VALU_DEP_1)
	v_mul_f32_e32 v15, 0x4f800000, v8
	v_cmp_gt_f32_e64 s4, 0xf800000, v8
	v_cndmask_b32_e64 v8, v8, v15, s4
	v_and_b32_e32 v7, 0xffff0000, v2
	v_lshlrev_b32_e32 v2, 16, v2
	s_delay_alu instid0(VALU_DEP_3) | instskip(NEXT) | instid1(VALU_DEP_2)
	v_sqrt_f32_e32 v15, v8
	v_mul_f32_e32 v13, 0x4f800000, v7
	s_delay_alu instid0(VALU_DEP_2) | instskip(SKIP_2) | instid1(VALU_DEP_3)
	v_dual_mul_f32 v12, 0x4f800000, v2 :: v_dual_lshlrev_b32 v1, 16, v1
	v_cmp_gt_f32_e64 s1, 0xf800000, v2
	v_cmp_gt_f32_e64 s2, 0xf800000, v7
	v_mul_f32_e32 v10, 0x4f800000, v1
	v_cmp_gt_f32_e32 vcc_lo, 0xf800000, v1
	v_and_b32_e32 v9, 0xffff0000, v4
	v_cndmask_b32_e64 v2, v2, v12, s1
	v_cndmask_b32_e64 v7, v7, v13, s2
	v_dual_cndmask_b32 v1, v1, v10 :: v_dual_lshlrev_b32 v4, 16, v4
	v_mul_f32_e32 v11, 0x4f800000, v6
	v_cmp_gt_f32_e64 s0, 0xf800000, v6
	v_lshlrev_b32_e32 v3, 16, v3
	s_delay_alu instid0(VALU_DEP_4)
	v_sqrt_f32_e32 v10, v1
	v_mul_f32_e32 v16, 0x4f800000, v4
	v_sqrt_f32_e32 v12, v2
	v_cndmask_b32_e64 v6, v6, v11, s0
	v_dual_mul_f32 v14, 0x4f800000, v3 :: v_dual_mul_f32 v17, 0x4f800000, v9
	v_cmp_gt_f32_e64 s3, 0xf800000, v3
	v_sqrt_f32_e32 v13, v7
	s_delay_alu instid0(VALU_DEP_3)
	v_sqrt_f32_e32 v11, v6
	v_cmp_gt_f32_e64 s5, 0xf800000, v4
	v_add_nc_u32_e32 v18, -1, v10
	v_cndmask_b32_e64 v3, v3, v14, s3
	v_add_nc_u32_e32 v19, 1, v10
	v_add_nc_u32_e32 v22, -1, v12
	v_cndmask_b32_e64 v4, v4, v16, s5
	v_fma_f32 v34, -v18, v10, v1
	v_sqrt_f32_e32 v14, v3
	v_cmp_gt_f32_e64 s6, 0xf800000, v9
	v_add_nc_u32_e32 v20, -1, v11
	v_add_nc_u32_e32 v21, 1, v11
	v_cmp_ge_f32_e64 s7, 0, v34
	v_add_nc_u32_e32 v24, -1, v13
	v_fma_f32 v35, -v19, v10, v1
	v_fma_f32 v36, -v20, v11, v6
	;; [unrolled: 1-line block ×3, first 2 shown]
	v_cndmask_b32_e64 v10, v10, v18, s7
	v_cndmask_b32_e64 v9, v9, v17, s6
	v_sqrt_f32_e32 v16, v4
	v_cmp_ge_f32_e64 s7, 0, v36
	v_add_nc_u32_e32 v23, 1, v12
	v_add_nc_u32_e32 v26, -1, v14
	v_fma_f32 v37, -v21, v11, v6
	v_fma_f32 v40, -v24, v13, v7
	v_cndmask_b32_e64 v11, v11, v20, s7
	v_cmp_ge_f32_e64 s7, 0, v38
	v_sqrt_f32_e32 v17, v9
	v_add_nc_u32_e32 v25, 1, v13
	v_add_nc_u32_e32 v28, -1, v15
	v_fma_f32 v39, -v23, v12, v2
	v_fma_f32 v42, -v26, v14, v3
	v_cndmask_b32_e64 v12, v12, v22, s7
	v_cmp_ge_f32_e64 s7, 0, v40
	v_add_nc_u32_e32 v27, 1, v14
	v_add_nc_u32_e32 v30, -1, v16
	v_fma_f32 v41, -v25, v13, v7
	v_fma_f32 v44, -v28, v15, v8
	v_cndmask_b32_e64 v13, v13, v24, s7
	v_cmp_ge_f32_e64 s7, 0, v42
	;; [unrolled: 6-line block ×3, first 2 shown]
	v_add_nc_u32_e32 v31, 1, v16
	v_fma_f32 v45, -v29, v15, v8
	v_fma_f32 v48, -v32, v17, v9
	v_add_nc_u32_e32 v33, 1, v17
	v_cndmask_b32_e64 v15, v15, v28, s7
	v_cmp_ge_f32_e64 s7, 0, v46
	v_fma_f32 v47, -v31, v16, v4
	s_delay_alu instid0(VALU_DEP_4) | instskip(NEXT) | instid1(VALU_DEP_3)
	v_fma_f32 v49, -v33, v17, v9
	v_cndmask_b32_e64 v16, v16, v30, s7
	v_cmp_ge_f32_e64 s7, 0, v48
	s_delay_alu instid0(VALU_DEP_1) | instskip(SKIP_1) | instid1(VALU_DEP_1)
	v_cndmask_b32_e64 v17, v17, v32, s7
	v_cmp_lt_f32_e64 s7, 0, v35
	v_cndmask_b32_e64 v10, v10, v19, s7
	v_cmp_lt_f32_e64 s7, 0, v37
	s_delay_alu instid0(VALU_DEP_2) | instskip(NEXT) | instid1(VALU_DEP_2)
	v_mul_f32_e32 v18, 0x37800000, v10
	v_cndmask_b32_e64 v11, v11, v21, s7
	v_cmp_lt_f32_e64 s7, 0, v39
	s_delay_alu instid0(VALU_DEP_2) | instskip(NEXT) | instid1(VALU_DEP_2)
	v_dual_cndmask_b32 v10, v10, v18 :: v_dual_mul_f32 v19, 0x37800000, v11
	v_cndmask_b32_e64 v12, v12, v23, s7
	v_cmp_lt_f32_e64 s7, 0, v41
	v_cmp_class_f32_e64 vcc_lo, v1, 0x260
	s_delay_alu instid0(VALU_DEP_4) | instskip(NEXT) | instid1(VALU_DEP_4)
	v_cndmask_b32_e64 v11, v11, v19, s0
	v_mul_f32_e32 v20, 0x37800000, v12
	s_delay_alu instid0(VALU_DEP_4)
	v_cndmask_b32_e64 v13, v13, v25, s7
	v_cmp_lt_f32_e64 s7, 0, v43
	v_cndmask_b32_e32 v1, v10, v1, vcc_lo
	v_cmp_class_f32_e64 vcc_lo, v6, 0x260
	v_cndmask_b32_e64 v12, v12, v20, s1
	v_mul_f32_e32 v21, 0x37800000, v13
	v_cndmask_b32_e64 v14, v14, v27, s7
	v_cmp_lt_f32_e64 s7, 0, v45
	v_cndmask_b32_e32 v6, v11, v6, vcc_lo
	v_cmp_class_f32_e64 vcc_lo, v2, 0x260
	v_cndmask_b32_e64 v13, v13, v21, s2
	v_mul_f32_e32 v22, 0x37800000, v14
	;; [unrolled: 6-line block ×4, first 2 shown]
	v_cndmask_b32_e64 v17, v17, v33, s7
	v_bfe_u32 v10, v6, 16, 1
	v_cndmask_b32_e32 v3, v14, v3, vcc_lo
	v_cmp_class_f32_e64 vcc_lo, v8, 0x260
	v_cndmask_b32_e64 v16, v16, v24, s5
	v_mul_f32_e32 v25, 0x37800000, v17
	v_bfe_u32 v12, v7, 16, 1
	v_add3_u32 v10, v6, v10, 0x7fff
	v_cndmask_b32_e32 v8, v15, v8, vcc_lo
	v_cmp_class_f32_e64 vcc_lo, v4, 0x260
	v_cndmask_b32_e64 v17, v17, v25, s6
	v_bfe_u32 v13, v2, 16, 1
	v_add3_u32 v12, v7, v12, 0x7fff
	v_lshrrev_b32_e32 v10, 16, v10
	v_cndmask_b32_e32 v4, v16, v4, vcc_lo
	v_cmp_class_f32_e64 vcc_lo, v9, 0x260
	v_bfe_u32 v14, v8, 16, 1
	v_add3_u32 v13, v2, v13, 0x7fff
	v_lshrrev_b32_e32 v12, 16, v12
	v_bfe_u32 v15, v3, 16, 1
	v_cndmask_b32_e32 v9, v17, v9, vcc_lo
	v_cmp_o_f32_e32 vcc_lo, v6, v6
	v_add3_u32 v14, v8, v14, 0x7fff
	v_lshrrev_b32_e32 v13, 16, v13
	v_bfe_u32 v17, v4, 16, 1
	v_bfe_u32 v16, v9, 16, 1
	v_cndmask_b32_e32 v6, 0x7fc0, v10, vcc_lo
	v_cmp_o_f32_e32 vcc_lo, v7, v7
	v_lshrrev_b32_e32 v14, 16, v14
	v_add3_u32 v17, v4, v17, 0x7fff
	v_add3_u32 v16, v9, v16, 0x7fff
	v_bfe_u32 v11, v1, 16, 1
	v_cndmask_b32_e32 v7, 0x7fc0, v12, vcc_lo
	v_cmp_o_f32_e32 vcc_lo, v2, v2
	v_add3_u32 v15, v3, v15, 0x7fff
	v_lshrrev_b32_e32 v16, 16, v16
	v_lshrrev_b32_e32 v17, 16, v17
	v_add3_u32 v11, v1, v11, 0x7fff
	v_cndmask_b32_e32 v2, 0x7fc0, v13, vcc_lo
	v_cmp_o_f32_e32 vcc_lo, v8, v8
	v_lshrrev_b32_e32 v15, 16, v15
	s_add_u32 s2, s8, s14
	v_lshrrev_b32_e32 v11, 16, v11
	v_perm_b32 v2, v7, v2, 0x5040100
	v_cndmask_b32_e32 v8, 0x7fc0, v14, vcc_lo
	v_cmp_o_f32_e32 vcc_lo, v9, v9
	s_addc_u32 s3, s9, s15
	s_mov_b32 s0, 0
	v_cndmask_b32_e32 v9, 0x7fc0, v16, vcc_lo
	v_cmp_o_f32_e32 vcc_lo, v4, v4
	v_cndmask_b32_e32 v4, 0x7fc0, v17, vcc_lo
	v_cmp_o_f32_e32 vcc_lo, v3, v3
	s_delay_alu instid0(VALU_DEP_2) | instskip(SKIP_2) | instid1(VALU_DEP_2)
	v_perm_b32 v4, v9, v4, 0x5040100
	v_cndmask_b32_e32 v3, 0x7fc0, v15, vcc_lo
	v_cmp_o_f32_e32 vcc_lo, v1, v1
	v_perm_b32 v3, v8, v3, 0x5040100
	v_cndmask_b32_e32 v1, 0x7fc0, v11, vcc_lo
	s_delay_alu instid0(VALU_DEP_1)
	v_perm_b32 v1, v6, v1, 0x5040100
	global_store_b128 v5, v[1:4], s[2:3]
.LBB266_2:
	s_and_not1_b32 vcc_lo, exec_lo, s0
	s_cbranch_vccnz .LBB266_41
; %bb.3:
	v_cmp_gt_i32_e32 vcc_lo, s16, v0
	v_dual_mov_b32 v9, 0 :: v_dual_mov_b32 v6, 0
	v_or_b32_e32 v1, s12, v0
	v_or_b32_e32 v3, 0x100, v0
	v_mov_b32_e32 v4, v0
	s_and_saveexec_b32 s1, vcc_lo
	s_cbranch_execz .LBB266_5
; %bb.4:
	v_mov_b32_e32 v2, 0
	s_delay_alu instid0(VALU_DEP_1) | instskip(NEXT) | instid1(VALU_DEP_1)
	v_lshlrev_b64 v[4:5], 1, v[1:2]
	v_add_co_u32 v4, s0, s10, v4
	s_delay_alu instid0(VALU_DEP_1)
	v_add_co_ci_u32_e64 v5, s0, s11, v5, s0
	global_load_u16 v6, v[4:5], off
	v_or_b32_e32 v4, 0x100, v0
.LBB266_5:
	s_or_b32 exec_lo, exec_lo, s1
	s_delay_alu instid0(SALU_CYCLE_1) | instskip(NEXT) | instid1(VALU_DEP_1)
	s_mov_b32 s1, exec_lo
	v_cmpx_gt_i32_e64 s16, v4
	s_cbranch_execz .LBB266_7
; %bb.6:
	v_dual_mov_b32 v8, 0 :: v_dual_add_nc_u32 v7, s12, v4
	v_add_nc_u32_e32 v4, 0x100, v4
	s_delay_alu instid0(VALU_DEP_2) | instskip(NEXT) | instid1(VALU_DEP_1)
	v_lshlrev_b64 v[7:8], 1, v[7:8]
	v_add_co_u32 v7, s0, s10, v7
	s_delay_alu instid0(VALU_DEP_1)
	v_add_co_ci_u32_e64 v8, s0, s11, v8, s0
	global_load_u16 v9, v[7:8], off
.LBB266_7:
	s_or_b32 exec_lo, exec_lo, s1
	v_dual_mov_b32 v8, 0 :: v_dual_mov_b32 v11, 0
	s_mov_b32 s1, exec_lo
	v_cmpx_gt_i32_e64 s16, v4
	s_cbranch_execz .LBB266_9
; %bb.8:
	v_dual_mov_b32 v11, 0 :: v_dual_add_nc_u32 v10, s12, v4
	v_add_nc_u32_e32 v4, 0x100, v4
	s_delay_alu instid0(VALU_DEP_2) | instskip(NEXT) | instid1(VALU_DEP_1)
	v_lshlrev_b64 v[10:11], 1, v[10:11]
	v_add_co_u32 v10, s0, s10, v10
	s_delay_alu instid0(VALU_DEP_1)
	v_add_co_ci_u32_e64 v11, s0, s11, v11, s0
	global_load_u16 v11, v[10:11], off
.LBB266_9:
	s_or_b32 exec_lo, exec_lo, s1
	s_delay_alu instid0(SALU_CYCLE_1)
	s_mov_b32 s1, exec_lo
	v_cmpx_gt_i32_e64 s16, v4
	s_cbranch_execz .LBB266_11
; %bb.10:
	v_dual_mov_b32 v8, 0 :: v_dual_add_nc_u32 v7, s12, v4
	v_add_nc_u32_e32 v4, 0x100, v4
	s_delay_alu instid0(VALU_DEP_2) | instskip(NEXT) | instid1(VALU_DEP_1)
	v_lshlrev_b64 v[7:8], 1, v[7:8]
	v_add_co_u32 v7, s0, s10, v7
	s_delay_alu instid0(VALU_DEP_1)
	v_add_co_ci_u32_e64 v8, s0, s11, v8, s0
	global_load_u16 v8, v[7:8], off
.LBB266_11:
	s_or_b32 exec_lo, exec_lo, s1
	v_dual_mov_b32 v5, 0 :: v_dual_mov_b32 v10, 0
	s_mov_b32 s1, exec_lo
	v_cmpx_gt_i32_e64 s16, v4
	s_cbranch_execz .LBB266_13
; %bb.12:
	v_dual_mov_b32 v13, 0 :: v_dual_add_nc_u32 v12, s12, v4
	v_add_nc_u32_e32 v4, 0x100, v4
	s_delay_alu instid0(VALU_DEP_2) | instskip(NEXT) | instid1(VALU_DEP_1)
	v_lshlrev_b64 v[12:13], 1, v[12:13]
	v_add_co_u32 v12, s0, s10, v12
	s_delay_alu instid0(VALU_DEP_1)
	v_add_co_ci_u32_e64 v13, s0, s11, v13, s0
	global_load_u16 v10, v[12:13], off
.LBB266_13:
	s_or_b32 exec_lo, exec_lo, s1
	s_delay_alu instid0(SALU_CYCLE_1)
	s_mov_b32 s1, exec_lo
	v_cmpx_gt_i32_e64 s16, v4
	s_cbranch_execz .LBB266_15
; %bb.14:
	v_dual_mov_b32 v13, 0 :: v_dual_add_nc_u32 v12, s12, v4
	v_add_nc_u32_e32 v4, 0x100, v4
	s_delay_alu instid0(VALU_DEP_2) | instskip(NEXT) | instid1(VALU_DEP_1)
	v_lshlrev_b64 v[12:13], 1, v[12:13]
	v_add_co_u32 v12, s0, s10, v12
	s_delay_alu instid0(VALU_DEP_1)
	v_add_co_ci_u32_e64 v13, s0, s11, v13, s0
	global_load_u16 v5, v[12:13], off
.LBB266_15:
	s_or_b32 exec_lo, exec_lo, s1
	v_dual_mov_b32 v2, 0 :: v_dual_mov_b32 v7, 0
	s_mov_b32 s1, exec_lo
	v_cmpx_gt_i32_e64 s16, v4
	s_cbranch_execz .LBB266_42
; %bb.16:
	v_dual_mov_b32 v13, 0 :: v_dual_add_nc_u32 v12, s12, v4
	v_add_nc_u32_e32 v4, 0x100, v4
	s_delay_alu instid0(VALU_DEP_2) | instskip(NEXT) | instid1(VALU_DEP_1)
	v_lshlrev_b64 v[12:13], 1, v[12:13]
	v_add_co_u32 v12, s0, s10, v12
	s_delay_alu instid0(VALU_DEP_1) | instskip(SKIP_2) | instid1(SALU_CYCLE_1)
	v_add_co_ci_u32_e64 v13, s0, s11, v13, s0
	global_load_u16 v7, v[12:13], off
	s_or_b32 exec_lo, exec_lo, s1
	s_mov_b32 s1, exec_lo
	v_cmpx_gt_i32_e64 s16, v4
	s_cbranch_execnz .LBB266_43
.LBB266_17:
	s_or_b32 exec_lo, exec_lo, s1
                                        ; implicit-def: $vgpr4
	s_and_saveexec_b32 s2, vcc_lo
	s_cbranch_execz .LBB266_19
.LBB266_18:
	s_waitcnt vmcnt(0)
	v_lshlrev_b32_e32 v4, 16, v6
	s_delay_alu instid0(VALU_DEP_1) | instskip(SKIP_1) | instid1(VALU_DEP_1)
	v_mul_f32_e32 v6, 0x4f800000, v4
	v_cmp_gt_f32_e64 s0, 0xf800000, v4
	v_cndmask_b32_e64 v4, v4, v6, s0
	s_delay_alu instid0(VALU_DEP_1) | instskip(SKIP_3) | instid1(VALU_DEP_2)
	v_sqrt_f32_e32 v6, v4
	s_waitcnt_depctr 0xfff
	v_add_nc_u32_e32 v12, -1, v6
	v_add_nc_u32_e32 v13, 1, v6
	v_fma_f32 v14, -v12, v6, v4
	s_delay_alu instid0(VALU_DEP_2) | instskip(NEXT) | instid1(VALU_DEP_2)
	v_fma_f32 v15, -v13, v6, v4
	v_cmp_ge_f32_e64 s1, 0, v14
	s_delay_alu instid0(VALU_DEP_1) | instskip(NEXT) | instid1(VALU_DEP_3)
	v_cndmask_b32_e64 v6, v6, v12, s1
	v_cmp_lt_f32_e64 s1, 0, v15
	s_delay_alu instid0(VALU_DEP_1) | instskip(NEXT) | instid1(VALU_DEP_1)
	v_cndmask_b32_e64 v6, v6, v13, s1
	v_mul_f32_e32 v12, 0x37800000, v6
	s_delay_alu instid0(VALU_DEP_1) | instskip(SKIP_1) | instid1(VALU_DEP_1)
	v_cndmask_b32_e64 v6, v6, v12, s0
	v_cmp_class_f32_e64 s0, v4, 0x260
	v_cndmask_b32_e64 v4, v6, v4, s0
	s_delay_alu instid0(VALU_DEP_1) | instskip(SKIP_1) | instid1(VALU_DEP_2)
	v_bfe_u32 v6, v4, 16, 1
	v_cmp_o_f32_e64 s0, v4, v4
	v_add3_u32 v6, v4, v6, 0x7fff
	s_delay_alu instid0(VALU_DEP_1) | instskip(NEXT) | instid1(VALU_DEP_1)
	v_lshrrev_b32_e32 v6, 16, v6
	v_cndmask_b32_e64 v4, 0x7fc0, v6, s0
.LBB266_19:
	s_or_b32 exec_lo, exec_lo, s2
	s_delay_alu instid0(SALU_CYCLE_1)
	s_mov_b32 s2, exec_lo
                                        ; implicit-def: $vgpr6
	v_cmpx_gt_i32_e64 s16, v3
	s_cbranch_execz .LBB266_21
; %bb.20:
	s_waitcnt vmcnt(0)
	v_lshlrev_b32_e32 v6, 16, v9
	s_delay_alu instid0(VALU_DEP_1) | instskip(SKIP_1) | instid1(VALU_DEP_1)
	v_mul_f32_e32 v9, 0x4f800000, v6
	v_cmp_gt_f32_e64 s0, 0xf800000, v6
	v_cndmask_b32_e64 v6, v6, v9, s0
	s_delay_alu instid0(VALU_DEP_1) | instskip(SKIP_3) | instid1(VALU_DEP_2)
	v_sqrt_f32_e32 v9, v6
	s_waitcnt_depctr 0xfff
	v_add_nc_u32_e32 v12, -1, v9
	v_add_nc_u32_e32 v13, 1, v9
	v_fma_f32 v14, -v12, v9, v6
	s_delay_alu instid0(VALU_DEP_2) | instskip(NEXT) | instid1(VALU_DEP_2)
	v_fma_f32 v15, -v13, v9, v6
	v_cmp_ge_f32_e64 s1, 0, v14
	s_delay_alu instid0(VALU_DEP_1) | instskip(NEXT) | instid1(VALU_DEP_3)
	v_cndmask_b32_e64 v9, v9, v12, s1
	v_cmp_lt_f32_e64 s1, 0, v15
	s_delay_alu instid0(VALU_DEP_1) | instskip(NEXT) | instid1(VALU_DEP_1)
	v_cndmask_b32_e64 v9, v9, v13, s1
	v_mul_f32_e32 v12, 0x37800000, v9
	s_delay_alu instid0(VALU_DEP_1) | instskip(SKIP_1) | instid1(VALU_DEP_1)
	v_cndmask_b32_e64 v9, v9, v12, s0
	v_cmp_class_f32_e64 s0, v6, 0x260
	v_cndmask_b32_e64 v6, v9, v6, s0
	s_delay_alu instid0(VALU_DEP_1) | instskip(SKIP_1) | instid1(VALU_DEP_2)
	v_bfe_u32 v9, v6, 16, 1
	v_cmp_o_f32_e64 s0, v6, v6
	v_add3_u32 v9, v6, v9, 0x7fff
	s_delay_alu instid0(VALU_DEP_1) | instskip(NEXT) | instid1(VALU_DEP_1)
	v_lshrrev_b32_e32 v9, 16, v9
	v_cndmask_b32_e64 v6, 0x7fc0, v9, s0
.LBB266_21:
	s_or_b32 exec_lo, exec_lo, s2
	s_waitcnt vmcnt(0)
	v_or_b32_e32 v9, 0x200, v0
	s_delay_alu instid0(VALU_DEP_1) | instskip(NEXT) | instid1(VALU_DEP_1)
	v_cmp_gt_i32_e64 s0, s16, v9
                                        ; implicit-def: $vgpr9
	s_and_saveexec_b32 s2, s0
	s_cbranch_execz .LBB266_23
; %bb.22:
	v_lshlrev_b32_e32 v9, 16, v11
	s_delay_alu instid0(VALU_DEP_1) | instskip(SKIP_1) | instid1(VALU_DEP_1)
	v_mul_f32_e32 v11, 0x4f800000, v9
	v_cmp_gt_f32_e64 s0, 0xf800000, v9
	v_cndmask_b32_e64 v9, v9, v11, s0
	s_delay_alu instid0(VALU_DEP_1) | instskip(SKIP_3) | instid1(VALU_DEP_2)
	v_sqrt_f32_e32 v11, v9
	s_waitcnt_depctr 0xfff
	v_add_nc_u32_e32 v12, -1, v11
	v_add_nc_u32_e32 v13, 1, v11
	v_fma_f32 v14, -v12, v11, v9
	s_delay_alu instid0(VALU_DEP_2) | instskip(NEXT) | instid1(VALU_DEP_2)
	v_fma_f32 v15, -v13, v11, v9
	v_cmp_ge_f32_e64 s1, 0, v14
	s_delay_alu instid0(VALU_DEP_1) | instskip(NEXT) | instid1(VALU_DEP_3)
	v_cndmask_b32_e64 v11, v11, v12, s1
	v_cmp_lt_f32_e64 s1, 0, v15
	s_delay_alu instid0(VALU_DEP_1) | instskip(NEXT) | instid1(VALU_DEP_1)
	v_cndmask_b32_e64 v11, v11, v13, s1
	v_mul_f32_e32 v12, 0x37800000, v11
	s_delay_alu instid0(VALU_DEP_1) | instskip(SKIP_1) | instid1(VALU_DEP_1)
	v_cndmask_b32_e64 v11, v11, v12, s0
	v_cmp_class_f32_e64 s0, v9, 0x260
	v_cndmask_b32_e64 v9, v11, v9, s0
	s_delay_alu instid0(VALU_DEP_1) | instskip(SKIP_1) | instid1(VALU_DEP_2)
	v_bfe_u32 v11, v9, 16, 1
	v_cmp_o_f32_e64 s0, v9, v9
	v_add3_u32 v11, v9, v11, 0x7fff
	s_delay_alu instid0(VALU_DEP_1) | instskip(NEXT) | instid1(VALU_DEP_1)
	v_lshrrev_b32_e32 v11, 16, v11
	v_cndmask_b32_e64 v9, 0x7fc0, v11, s0
.LBB266_23:
	s_or_b32 exec_lo, exec_lo, s2
	v_or_b32_e32 v11, 0x300, v0
	s_delay_alu instid0(VALU_DEP_1) | instskip(NEXT) | instid1(VALU_DEP_1)
	v_cmp_gt_i32_e64 s0, s16, v11
                                        ; implicit-def: $vgpr11
	s_and_saveexec_b32 s2, s0
	s_cbranch_execz .LBB266_25
; %bb.24:
	v_lshlrev_b32_e32 v8, 16, v8
	s_delay_alu instid0(VALU_DEP_1) | instskip(SKIP_1) | instid1(VALU_DEP_1)
	v_mul_f32_e32 v11, 0x4f800000, v8
	v_cmp_gt_f32_e64 s0, 0xf800000, v8
	v_cndmask_b32_e64 v8, v8, v11, s0
	s_delay_alu instid0(VALU_DEP_1) | instskip(SKIP_3) | instid1(VALU_DEP_2)
	v_sqrt_f32_e32 v11, v8
	s_waitcnt_depctr 0xfff
	v_add_nc_u32_e32 v12, -1, v11
	v_add_nc_u32_e32 v13, 1, v11
	v_fma_f32 v14, -v12, v11, v8
	s_delay_alu instid0(VALU_DEP_2) | instskip(NEXT) | instid1(VALU_DEP_2)
	v_fma_f32 v15, -v13, v11, v8
	v_cmp_ge_f32_e64 s1, 0, v14
	s_delay_alu instid0(VALU_DEP_1) | instskip(NEXT) | instid1(VALU_DEP_3)
	v_cndmask_b32_e64 v11, v11, v12, s1
	v_cmp_lt_f32_e64 s1, 0, v15
	s_delay_alu instid0(VALU_DEP_1) | instskip(NEXT) | instid1(VALU_DEP_1)
	v_cndmask_b32_e64 v11, v11, v13, s1
	v_mul_f32_e32 v12, 0x37800000, v11
	s_delay_alu instid0(VALU_DEP_1) | instskip(SKIP_1) | instid1(VALU_DEP_1)
	v_cndmask_b32_e64 v11, v11, v12, s0
	v_cmp_class_f32_e64 s0, v8, 0x260
	v_cndmask_b32_e64 v8, v11, v8, s0
	s_delay_alu instid0(VALU_DEP_1) | instskip(SKIP_1) | instid1(VALU_DEP_2)
	v_bfe_u32 v11, v8, 16, 1
	v_cmp_o_f32_e64 s0, v8, v8
	v_add3_u32 v11, v8, v11, 0x7fff
	s_delay_alu instid0(VALU_DEP_1) | instskip(NEXT) | instid1(VALU_DEP_1)
	v_lshrrev_b32_e32 v11, 16, v11
	v_cndmask_b32_e64 v11, 0x7fc0, v11, s0
.LBB266_25:
	s_or_b32 exec_lo, exec_lo, s2
	v_or_b32_e32 v8, 0x400, v0
	s_delay_alu instid0(VALU_DEP_1) | instskip(NEXT) | instid1(VALU_DEP_1)
	v_cmp_gt_i32_e64 s0, s16, v8
                                        ; implicit-def: $vgpr8
	s_and_saveexec_b32 s2, s0
	s_cbranch_execz .LBB266_27
; %bb.26:
	v_lshlrev_b32_e32 v8, 16, v10
	s_delay_alu instid0(VALU_DEP_1) | instskip(SKIP_1) | instid1(VALU_DEP_1)
	v_mul_f32_e32 v10, 0x4f800000, v8
	v_cmp_gt_f32_e64 s0, 0xf800000, v8
	v_cndmask_b32_e64 v8, v8, v10, s0
	s_delay_alu instid0(VALU_DEP_1) | instskip(SKIP_3) | instid1(VALU_DEP_2)
	v_sqrt_f32_e32 v10, v8
	s_waitcnt_depctr 0xfff
	v_add_nc_u32_e32 v12, -1, v10
	v_add_nc_u32_e32 v13, 1, v10
	v_fma_f32 v14, -v12, v10, v8
	s_delay_alu instid0(VALU_DEP_2) | instskip(NEXT) | instid1(VALU_DEP_2)
	v_fma_f32 v15, -v13, v10, v8
	v_cmp_ge_f32_e64 s1, 0, v14
	s_delay_alu instid0(VALU_DEP_1) | instskip(NEXT) | instid1(VALU_DEP_3)
	v_cndmask_b32_e64 v10, v10, v12, s1
	v_cmp_lt_f32_e64 s1, 0, v15
	s_delay_alu instid0(VALU_DEP_1) | instskip(NEXT) | instid1(VALU_DEP_1)
	v_cndmask_b32_e64 v10, v10, v13, s1
	v_mul_f32_e32 v12, 0x37800000, v10
	s_delay_alu instid0(VALU_DEP_1) | instskip(SKIP_1) | instid1(VALU_DEP_1)
	v_cndmask_b32_e64 v10, v10, v12, s0
	v_cmp_class_f32_e64 s0, v8, 0x260
	v_cndmask_b32_e64 v8, v10, v8, s0
	s_delay_alu instid0(VALU_DEP_1) | instskip(SKIP_1) | instid1(VALU_DEP_2)
	v_bfe_u32 v10, v8, 16, 1
	v_cmp_o_f32_e64 s0, v8, v8
	v_add3_u32 v10, v8, v10, 0x7fff
	s_delay_alu instid0(VALU_DEP_1) | instskip(NEXT) | instid1(VALU_DEP_1)
	v_lshrrev_b32_e32 v10, 16, v10
	v_cndmask_b32_e64 v8, 0x7fc0, v10, s0
.LBB266_27:
	s_or_b32 exec_lo, exec_lo, s2
	v_or_b32_e32 v10, 0x500, v0
	s_delay_alu instid0(VALU_DEP_1) | instskip(NEXT) | instid1(VALU_DEP_1)
	v_cmp_gt_i32_e64 s0, s16, v10
                                        ; implicit-def: $vgpr10
	s_and_saveexec_b32 s2, s0
	s_cbranch_execz .LBB266_29
; %bb.28:
	v_lshlrev_b32_e32 v5, 16, v5
	s_delay_alu instid0(VALU_DEP_1) | instskip(SKIP_1) | instid1(VALU_DEP_1)
	v_mul_f32_e32 v10, 0x4f800000, v5
	v_cmp_gt_f32_e64 s0, 0xf800000, v5
	v_cndmask_b32_e64 v5, v5, v10, s0
	s_delay_alu instid0(VALU_DEP_1) | instskip(SKIP_3) | instid1(VALU_DEP_2)
	v_sqrt_f32_e32 v10, v5
	s_waitcnt_depctr 0xfff
	v_add_nc_u32_e32 v12, -1, v10
	v_add_nc_u32_e32 v13, 1, v10
	v_fma_f32 v14, -v12, v10, v5
	s_delay_alu instid0(VALU_DEP_2) | instskip(NEXT) | instid1(VALU_DEP_2)
	v_fma_f32 v15, -v13, v10, v5
	v_cmp_ge_f32_e64 s1, 0, v14
	s_delay_alu instid0(VALU_DEP_1) | instskip(NEXT) | instid1(VALU_DEP_3)
	v_cndmask_b32_e64 v10, v10, v12, s1
	v_cmp_lt_f32_e64 s1, 0, v15
	s_delay_alu instid0(VALU_DEP_1) | instskip(NEXT) | instid1(VALU_DEP_1)
	v_cndmask_b32_e64 v10, v10, v13, s1
	v_mul_f32_e32 v12, 0x37800000, v10
	s_delay_alu instid0(VALU_DEP_1) | instskip(SKIP_1) | instid1(VALU_DEP_1)
	v_cndmask_b32_e64 v10, v10, v12, s0
	v_cmp_class_f32_e64 s0, v5, 0x260
	v_cndmask_b32_e64 v5, v10, v5, s0
	s_delay_alu instid0(VALU_DEP_1) | instskip(SKIP_1) | instid1(VALU_DEP_2)
	v_bfe_u32 v10, v5, 16, 1
	v_cmp_o_f32_e64 s0, v5, v5
	v_add3_u32 v10, v5, v10, 0x7fff
	s_delay_alu instid0(VALU_DEP_1) | instskip(NEXT) | instid1(VALU_DEP_1)
	v_lshrrev_b32_e32 v10, 16, v10
	v_cndmask_b32_e64 v10, 0x7fc0, v10, s0
.LBB266_29:
	s_or_b32 exec_lo, exec_lo, s2
	v_or_b32_e32 v5, 0x600, v0
	s_delay_alu instid0(VALU_DEP_1) | instskip(NEXT) | instid1(VALU_DEP_1)
	v_cmp_gt_i32_e64 s0, s16, v5
                                        ; implicit-def: $vgpr5
	s_and_saveexec_b32 s2, s0
	s_cbranch_execz .LBB266_31
; %bb.30:
	v_lshlrev_b32_e32 v5, 16, v7
	s_delay_alu instid0(VALU_DEP_1) | instskip(SKIP_1) | instid1(VALU_DEP_1)
	v_mul_f32_e32 v7, 0x4f800000, v5
	v_cmp_gt_f32_e64 s0, 0xf800000, v5
	v_cndmask_b32_e64 v5, v5, v7, s0
	s_delay_alu instid0(VALU_DEP_1) | instskip(SKIP_3) | instid1(VALU_DEP_2)
	v_sqrt_f32_e32 v7, v5
	s_waitcnt_depctr 0xfff
	v_add_nc_u32_e32 v12, -1, v7
	v_add_nc_u32_e32 v13, 1, v7
	v_fma_f32 v14, -v12, v7, v5
	s_delay_alu instid0(VALU_DEP_2) | instskip(NEXT) | instid1(VALU_DEP_2)
	v_fma_f32 v15, -v13, v7, v5
	v_cmp_ge_f32_e64 s1, 0, v14
	s_delay_alu instid0(VALU_DEP_1) | instskip(NEXT) | instid1(VALU_DEP_3)
	v_cndmask_b32_e64 v7, v7, v12, s1
	v_cmp_lt_f32_e64 s1, 0, v15
	s_delay_alu instid0(VALU_DEP_1) | instskip(NEXT) | instid1(VALU_DEP_1)
	v_cndmask_b32_e64 v7, v7, v13, s1
	v_mul_f32_e32 v12, 0x37800000, v7
	s_delay_alu instid0(VALU_DEP_1) | instskip(SKIP_1) | instid1(VALU_DEP_1)
	v_cndmask_b32_e64 v7, v7, v12, s0
	v_cmp_class_f32_e64 s0, v5, 0x260
	v_cndmask_b32_e64 v5, v7, v5, s0
	s_delay_alu instid0(VALU_DEP_1) | instskip(SKIP_1) | instid1(VALU_DEP_2)
	v_bfe_u32 v7, v5, 16, 1
	v_cmp_o_f32_e64 s0, v5, v5
	v_add3_u32 v7, v5, v7, 0x7fff
	s_delay_alu instid0(VALU_DEP_1) | instskip(NEXT) | instid1(VALU_DEP_1)
	v_lshrrev_b32_e32 v7, 16, v7
	v_cndmask_b32_e64 v5, 0x7fc0, v7, s0
.LBB266_31:
	s_or_b32 exec_lo, exec_lo, s2
	v_or_b32_e32 v7, 0x700, v0
	s_delay_alu instid0(VALU_DEP_1) | instskip(NEXT) | instid1(VALU_DEP_1)
	v_cmp_gt_i32_e64 s0, s16, v7
                                        ; implicit-def: $vgpr7
	s_and_saveexec_b32 s2, s0
	s_cbranch_execz .LBB266_44
; %bb.32:
	v_lshlrev_b32_e32 v2, 16, v2
	s_delay_alu instid0(VALU_DEP_1) | instskip(SKIP_1) | instid1(VALU_DEP_1)
	v_mul_f32_e32 v7, 0x4f800000, v2
	v_cmp_gt_f32_e64 s0, 0xf800000, v2
	v_cndmask_b32_e64 v2, v2, v7, s0
	s_delay_alu instid0(VALU_DEP_1) | instskip(SKIP_3) | instid1(VALU_DEP_2)
	v_sqrt_f32_e32 v7, v2
	s_waitcnt_depctr 0xfff
	v_add_nc_u32_e32 v12, -1, v7
	v_add_nc_u32_e32 v13, 1, v7
	v_fma_f32 v14, -v12, v7, v2
	s_delay_alu instid0(VALU_DEP_2) | instskip(NEXT) | instid1(VALU_DEP_2)
	v_fma_f32 v15, -v13, v7, v2
	v_cmp_ge_f32_e64 s1, 0, v14
	s_delay_alu instid0(VALU_DEP_1) | instskip(NEXT) | instid1(VALU_DEP_3)
	v_cndmask_b32_e64 v7, v7, v12, s1
	v_cmp_lt_f32_e64 s1, 0, v15
	s_delay_alu instid0(VALU_DEP_1) | instskip(NEXT) | instid1(VALU_DEP_1)
	v_cndmask_b32_e64 v7, v7, v13, s1
	v_mul_f32_e32 v12, 0x37800000, v7
	s_delay_alu instid0(VALU_DEP_1) | instskip(SKIP_1) | instid1(VALU_DEP_1)
	v_cndmask_b32_e64 v7, v7, v12, s0
	v_cmp_class_f32_e64 s0, v2, 0x260
	v_cndmask_b32_e64 v2, v7, v2, s0
	s_delay_alu instid0(VALU_DEP_1) | instskip(SKIP_1) | instid1(VALU_DEP_2)
	v_bfe_u32 v7, v2, 16, 1
	v_cmp_o_f32_e64 s0, v2, v2
	v_add3_u32 v7, v2, v7, 0x7fff
	s_delay_alu instid0(VALU_DEP_1) | instskip(NEXT) | instid1(VALU_DEP_1)
	v_lshrrev_b32_e32 v7, 16, v7
	v_cndmask_b32_e64 v7, 0x7fc0, v7, s0
	s_or_b32 exec_lo, exec_lo, s2
	s_and_saveexec_b32 s0, vcc_lo
	s_delay_alu instid0(SALU_CYCLE_1)
	s_xor_b32 s0, exec_lo, s0
	s_cbranch_execnz .LBB266_45
.LBB266_33:
	s_or_b32 exec_lo, exec_lo, s0
	s_delay_alu instid0(SALU_CYCLE_1)
	s_mov_b32 s0, exec_lo
	v_cmpx_gt_i32_e64 s16, v0
	s_cbranch_execz .LBB266_46
.LBB266_34:
	v_dual_mov_b32 v2, 0 :: v_dual_add_nc_u32 v1, s12, v0
	v_add_nc_u32_e32 v0, 0x100, v0
	s_delay_alu instid0(VALU_DEP_2) | instskip(NEXT) | instid1(VALU_DEP_1)
	v_lshlrev_b64 v[1:2], 1, v[1:2]
	v_add_co_u32 v1, vcc_lo, s8, v1
	s_delay_alu instid0(VALU_DEP_2) | instskip(SKIP_2) | instid1(SALU_CYCLE_1)
	v_add_co_ci_u32_e32 v2, vcc_lo, s9, v2, vcc_lo
	global_store_b16 v[1:2], v6, off
	s_or_b32 exec_lo, exec_lo, s0
	s_mov_b32 s0, exec_lo
	v_cmpx_gt_i32_e64 s16, v0
	s_cbranch_execnz .LBB266_47
.LBB266_35:
	s_or_b32 exec_lo, exec_lo, s0
	s_delay_alu instid0(SALU_CYCLE_1)
	s_mov_b32 s0, exec_lo
	v_cmpx_gt_i32_e64 s16, v0
	s_cbranch_execz .LBB266_48
.LBB266_36:
	v_dual_mov_b32 v2, 0 :: v_dual_add_nc_u32 v1, s12, v0
	v_add_nc_u32_e32 v0, 0x100, v0
	s_delay_alu instid0(VALU_DEP_2) | instskip(NEXT) | instid1(VALU_DEP_1)
	v_lshlrev_b64 v[1:2], 1, v[1:2]
	v_add_co_u32 v1, vcc_lo, s8, v1
	s_delay_alu instid0(VALU_DEP_2) | instskip(SKIP_2) | instid1(SALU_CYCLE_1)
	v_add_co_ci_u32_e32 v2, vcc_lo, s9, v2, vcc_lo
	global_store_b16 v[1:2], v11, off
	s_or_b32 exec_lo, exec_lo, s0
	s_mov_b32 s0, exec_lo
	v_cmpx_gt_i32_e64 s16, v0
	s_cbranch_execnz .LBB266_49
.LBB266_37:
	s_or_b32 exec_lo, exec_lo, s0
	s_delay_alu instid0(SALU_CYCLE_1)
	s_mov_b32 s0, exec_lo
	v_cmpx_gt_i32_e64 s16, v0
	s_cbranch_execz .LBB266_50
.LBB266_38:
	v_dual_mov_b32 v2, 0 :: v_dual_add_nc_u32 v1, s12, v0
	v_add_nc_u32_e32 v0, 0x100, v0
	s_delay_alu instid0(VALU_DEP_2) | instskip(NEXT) | instid1(VALU_DEP_1)
	v_lshlrev_b64 v[1:2], 1, v[1:2]
	v_add_co_u32 v1, vcc_lo, s8, v1
	s_delay_alu instid0(VALU_DEP_2) | instskip(SKIP_2) | instid1(SALU_CYCLE_1)
	v_add_co_ci_u32_e32 v2, vcc_lo, s9, v2, vcc_lo
	global_store_b16 v[1:2], v10, off
	s_or_b32 exec_lo, exec_lo, s0
	s_mov_b32 s0, exec_lo
	v_cmpx_gt_i32_e64 s16, v0
	s_cbranch_execnz .LBB266_51
.LBB266_39:
	s_or_b32 exec_lo, exec_lo, s0
	s_delay_alu instid0(SALU_CYCLE_1)
	s_mov_b32 s0, exec_lo
	v_cmpx_gt_i32_e64 s16, v0
	s_cbranch_execz .LBB266_41
.LBB266_40:
	v_dual_mov_b32 v1, 0 :: v_dual_add_nc_u32 v0, s12, v0
	s_delay_alu instid0(VALU_DEP_1) | instskip(NEXT) | instid1(VALU_DEP_1)
	v_lshlrev_b64 v[0:1], 1, v[0:1]
	v_add_co_u32 v0, vcc_lo, s8, v0
	s_delay_alu instid0(VALU_DEP_2)
	v_add_co_ci_u32_e32 v1, vcc_lo, s9, v1, vcc_lo
	global_store_b16 v[0:1], v7, off
.LBB266_41:
	s_nop 0
	s_sendmsg sendmsg(MSG_DEALLOC_VGPRS)
	s_endpgm
.LBB266_42:
	s_or_b32 exec_lo, exec_lo, s1
	s_delay_alu instid0(SALU_CYCLE_1)
	s_mov_b32 s1, exec_lo
	v_cmpx_gt_i32_e64 s16, v4
	s_cbranch_execz .LBB266_17
.LBB266_43:
	v_dual_mov_b32 v13, 0 :: v_dual_add_nc_u32 v12, s12, v4
	s_delay_alu instid0(VALU_DEP_1) | instskip(NEXT) | instid1(VALU_DEP_1)
	v_lshlrev_b64 v[12:13], 1, v[12:13]
	v_add_co_u32 v12, s0, s10, v12
	s_delay_alu instid0(VALU_DEP_1)
	v_add_co_ci_u32_e64 v13, s0, s11, v13, s0
	global_load_u16 v2, v[12:13], off
	s_or_b32 exec_lo, exec_lo, s1
                                        ; implicit-def: $vgpr4
	s_and_saveexec_b32 s2, vcc_lo
	s_cbranch_execz .LBB266_19
	s_branch .LBB266_18
.LBB266_44:
	s_or_b32 exec_lo, exec_lo, s2
	s_and_saveexec_b32 s0, vcc_lo
	s_delay_alu instid0(SALU_CYCLE_1)
	s_xor_b32 s0, exec_lo, s0
	s_cbranch_execz .LBB266_33
.LBB266_45:
	v_mov_b32_e32 v2, 0
	s_delay_alu instid0(VALU_DEP_1) | instskip(NEXT) | instid1(VALU_DEP_1)
	v_lshlrev_b64 v[0:1], 1, v[1:2]
	v_add_co_u32 v12, vcc_lo, s8, v0
	s_delay_alu instid0(VALU_DEP_2) | instskip(SKIP_3) | instid1(SALU_CYCLE_1)
	v_add_co_ci_u32_e32 v13, vcc_lo, s9, v1, vcc_lo
	v_mov_b32_e32 v0, v3
	global_store_b16 v[12:13], v4, off
	s_or_b32 exec_lo, exec_lo, s0
	s_mov_b32 s0, exec_lo
	v_cmpx_gt_i32_e64 s16, v0
	s_cbranch_execnz .LBB266_34
.LBB266_46:
	s_or_b32 exec_lo, exec_lo, s0
	s_delay_alu instid0(SALU_CYCLE_1)
	s_mov_b32 s0, exec_lo
	v_cmpx_gt_i32_e64 s16, v0
	s_cbranch_execz .LBB266_35
.LBB266_47:
	v_dual_mov_b32 v2, 0 :: v_dual_add_nc_u32 v1, s12, v0
	v_add_nc_u32_e32 v0, 0x100, v0
	s_delay_alu instid0(VALU_DEP_2) | instskip(NEXT) | instid1(VALU_DEP_1)
	v_lshlrev_b64 v[1:2], 1, v[1:2]
	v_add_co_u32 v1, vcc_lo, s8, v1
	s_delay_alu instid0(VALU_DEP_2) | instskip(SKIP_2) | instid1(SALU_CYCLE_1)
	v_add_co_ci_u32_e32 v2, vcc_lo, s9, v2, vcc_lo
	global_store_b16 v[1:2], v9, off
	s_or_b32 exec_lo, exec_lo, s0
	s_mov_b32 s0, exec_lo
	v_cmpx_gt_i32_e64 s16, v0
	s_cbranch_execnz .LBB266_36
.LBB266_48:
	s_or_b32 exec_lo, exec_lo, s0
	s_delay_alu instid0(SALU_CYCLE_1)
	s_mov_b32 s0, exec_lo
	v_cmpx_gt_i32_e64 s16, v0
	s_cbranch_execz .LBB266_37
.LBB266_49:
	v_dual_mov_b32 v2, 0 :: v_dual_add_nc_u32 v1, s12, v0
	v_add_nc_u32_e32 v0, 0x100, v0
	s_delay_alu instid0(VALU_DEP_2) | instskip(NEXT) | instid1(VALU_DEP_1)
	v_lshlrev_b64 v[1:2], 1, v[1:2]
	v_add_co_u32 v1, vcc_lo, s8, v1
	s_delay_alu instid0(VALU_DEP_2) | instskip(SKIP_2) | instid1(SALU_CYCLE_1)
	v_add_co_ci_u32_e32 v2, vcc_lo, s9, v2, vcc_lo
	global_store_b16 v[1:2], v8, off
	s_or_b32 exec_lo, exec_lo, s0
	s_mov_b32 s0, exec_lo
	v_cmpx_gt_i32_e64 s16, v0
	s_cbranch_execnz .LBB266_38
.LBB266_50:
	s_or_b32 exec_lo, exec_lo, s0
	s_delay_alu instid0(SALU_CYCLE_1)
	s_mov_b32 s0, exec_lo
	v_cmpx_gt_i32_e64 s16, v0
	s_cbranch_execz .LBB266_39
.LBB266_51:
	v_dual_mov_b32 v2, 0 :: v_dual_add_nc_u32 v1, s12, v0
	v_add_nc_u32_e32 v0, 0x100, v0
	s_delay_alu instid0(VALU_DEP_2) | instskip(NEXT) | instid1(VALU_DEP_1)
	v_lshlrev_b64 v[1:2], 1, v[1:2]
	v_add_co_u32 v1, vcc_lo, s8, v1
	s_delay_alu instid0(VALU_DEP_2) | instskip(SKIP_2) | instid1(SALU_CYCLE_1)
	v_add_co_ci_u32_e32 v2, vcc_lo, s9, v2, vcc_lo
	global_store_b16 v[1:2], v5, off
	s_or_b32 exec_lo, exec_lo, s0
	s_mov_b32 s0, exec_lo
	v_cmpx_gt_i32_e64 s16, v0
	s_cbranch_execnz .LBB266_40
	s_branch .LBB266_41
	.section	.rodata,"a",@progbits
	.p2align	6, 0x0
	.amdhsa_kernel _ZN2at6native29vectorized_elementwise_kernelILi16EZZZNS0_16sqrt_kernel_cudaERNS_18TensorIteratorBaseEENKUlvE0_clEvENKUlvE2_clEvEUlN3c108BFloat16EE_St5arrayIPcLm2EEEEviT0_T1_
		.amdhsa_group_segment_fixed_size 0
		.amdhsa_private_segment_fixed_size 0
		.amdhsa_kernarg_size 24
		.amdhsa_user_sgpr_count 15
		.amdhsa_user_sgpr_dispatch_ptr 0
		.amdhsa_user_sgpr_queue_ptr 0
		.amdhsa_user_sgpr_kernarg_segment_ptr 1
		.amdhsa_user_sgpr_dispatch_id 0
		.amdhsa_user_sgpr_private_segment_size 0
		.amdhsa_wavefront_size32 1
		.amdhsa_uses_dynamic_stack 0
		.amdhsa_enable_private_segment 0
		.amdhsa_system_sgpr_workgroup_id_x 1
		.amdhsa_system_sgpr_workgroup_id_y 0
		.amdhsa_system_sgpr_workgroup_id_z 0
		.amdhsa_system_sgpr_workgroup_info 0
		.amdhsa_system_vgpr_workitem_id 0
		.amdhsa_next_free_vgpr 50
		.amdhsa_next_free_sgpr 17
		.amdhsa_reserve_vcc 1
		.amdhsa_float_round_mode_32 0
		.amdhsa_float_round_mode_16_64 0
		.amdhsa_float_denorm_mode_32 3
		.amdhsa_float_denorm_mode_16_64 3
		.amdhsa_dx10_clamp 1
		.amdhsa_ieee_mode 1
		.amdhsa_fp16_overflow 0
		.amdhsa_workgroup_processor_mode 1
		.amdhsa_memory_ordered 1
		.amdhsa_forward_progress 0
		.amdhsa_shared_vgpr_count 0
		.amdhsa_exception_fp_ieee_invalid_op 0
		.amdhsa_exception_fp_denorm_src 0
		.amdhsa_exception_fp_ieee_div_zero 0
		.amdhsa_exception_fp_ieee_overflow 0
		.amdhsa_exception_fp_ieee_underflow 0
		.amdhsa_exception_fp_ieee_inexact 0
		.amdhsa_exception_int_div_zero 0
	.end_amdhsa_kernel
	.section	.text._ZN2at6native29vectorized_elementwise_kernelILi16EZZZNS0_16sqrt_kernel_cudaERNS_18TensorIteratorBaseEENKUlvE0_clEvENKUlvE2_clEvEUlN3c108BFloat16EE_St5arrayIPcLm2EEEEviT0_T1_,"axG",@progbits,_ZN2at6native29vectorized_elementwise_kernelILi16EZZZNS0_16sqrt_kernel_cudaERNS_18TensorIteratorBaseEENKUlvE0_clEvENKUlvE2_clEvEUlN3c108BFloat16EE_St5arrayIPcLm2EEEEviT0_T1_,comdat
.Lfunc_end266:
	.size	_ZN2at6native29vectorized_elementwise_kernelILi16EZZZNS0_16sqrt_kernel_cudaERNS_18TensorIteratorBaseEENKUlvE0_clEvENKUlvE2_clEvEUlN3c108BFloat16EE_St5arrayIPcLm2EEEEviT0_T1_, .Lfunc_end266-_ZN2at6native29vectorized_elementwise_kernelILi16EZZZNS0_16sqrt_kernel_cudaERNS_18TensorIteratorBaseEENKUlvE0_clEvENKUlvE2_clEvEUlN3c108BFloat16EE_St5arrayIPcLm2EEEEviT0_T1_
                                        ; -- End function
	.section	.AMDGPU.csdata,"",@progbits
; Kernel info:
; codeLenInByte = 4848
; NumSgprs: 19
; NumVgprs: 50
; ScratchSize: 0
; MemoryBound: 0
; FloatMode: 240
; IeeeMode: 1
; LDSByteSize: 0 bytes/workgroup (compile time only)
; SGPRBlocks: 2
; VGPRBlocks: 6
; NumSGPRsForWavesPerEU: 19
; NumVGPRsForWavesPerEU: 50
; Occupancy: 16
; WaveLimiterHint : 0
; COMPUTE_PGM_RSRC2:SCRATCH_EN: 0
; COMPUTE_PGM_RSRC2:USER_SGPR: 15
; COMPUTE_PGM_RSRC2:TRAP_HANDLER: 0
; COMPUTE_PGM_RSRC2:TGID_X_EN: 1
; COMPUTE_PGM_RSRC2:TGID_Y_EN: 0
; COMPUTE_PGM_RSRC2:TGID_Z_EN: 0
; COMPUTE_PGM_RSRC2:TIDIG_COMP_CNT: 0
	.section	.text._ZN2at6native29vectorized_elementwise_kernelILi8EZZZNS0_16sqrt_kernel_cudaERNS_18TensorIteratorBaseEENKUlvE0_clEvENKUlvE2_clEvEUlN3c108BFloat16EE_St5arrayIPcLm2EEEEviT0_T1_,"axG",@progbits,_ZN2at6native29vectorized_elementwise_kernelILi8EZZZNS0_16sqrt_kernel_cudaERNS_18TensorIteratorBaseEENKUlvE0_clEvENKUlvE2_clEvEUlN3c108BFloat16EE_St5arrayIPcLm2EEEEviT0_T1_,comdat
	.globl	_ZN2at6native29vectorized_elementwise_kernelILi8EZZZNS0_16sqrt_kernel_cudaERNS_18TensorIteratorBaseEENKUlvE0_clEvENKUlvE2_clEvEUlN3c108BFloat16EE_St5arrayIPcLm2EEEEviT0_T1_ ; -- Begin function _ZN2at6native29vectorized_elementwise_kernelILi8EZZZNS0_16sqrt_kernel_cudaERNS_18TensorIteratorBaseEENKUlvE0_clEvENKUlvE2_clEvEUlN3c108BFloat16EE_St5arrayIPcLm2EEEEviT0_T1_
	.p2align	8
	.type	_ZN2at6native29vectorized_elementwise_kernelILi8EZZZNS0_16sqrt_kernel_cudaERNS_18TensorIteratorBaseEENKUlvE0_clEvENKUlvE2_clEvEUlN3c108BFloat16EE_St5arrayIPcLm2EEEEviT0_T1_,@function
_ZN2at6native29vectorized_elementwise_kernelILi8EZZZNS0_16sqrt_kernel_cudaERNS_18TensorIteratorBaseEENKUlvE0_clEvENKUlvE2_clEvEUlN3c108BFloat16EE_St5arrayIPcLm2EEEEviT0_T1_: ; @_ZN2at6native29vectorized_elementwise_kernelILi8EZZZNS0_16sqrt_kernel_cudaERNS_18TensorIteratorBaseEENKUlvE0_clEvENKUlvE2_clEvEUlN3c108BFloat16EE_St5arrayIPcLm2EEEEviT0_T1_
; %bb.0:
	s_clause 0x1
	s_load_b32 s2, s[0:1], 0x0
	s_load_b128 s[8:11], s[0:1], 0x8
	s_lshl_b32 s12, s15, 11
	s_mov_b32 s0, -1
	s_waitcnt lgkmcnt(0)
	s_sub_i32 s16, s2, s12
	s_delay_alu instid0(SALU_CYCLE_1)
	s_cmpk_gt_i32 s16, 0x7ff
	s_cbranch_scc0 .LBB267_2
; %bb.1:
	s_ashr_i32 s13, s12, 31
	v_lshlrev_b32_e32 v5, 4, v0
	s_lshl_b64 s[14:15], s[12:13], 1
	s_delay_alu instid0(SALU_CYCLE_1)
	s_add_u32 s0, s10, s14
	s_addc_u32 s1, s11, s15
	global_load_b128 v[1:4], v5, s[0:1]
	s_waitcnt vmcnt(0)
	v_and_b32_e32 v8, 0xffff0000, v3
	v_and_b32_e32 v6, 0xffff0000, v1
	s_delay_alu instid0(VALU_DEP_2) | instskip(SKIP_1) | instid1(VALU_DEP_1)
	v_mul_f32_e32 v15, 0x4f800000, v8
	v_cmp_gt_f32_e64 s4, 0xf800000, v8
	v_cndmask_b32_e64 v8, v8, v15, s4
	v_and_b32_e32 v7, 0xffff0000, v2
	v_lshlrev_b32_e32 v2, 16, v2
	s_delay_alu instid0(VALU_DEP_3) | instskip(NEXT) | instid1(VALU_DEP_2)
	v_sqrt_f32_e32 v15, v8
	v_mul_f32_e32 v13, 0x4f800000, v7
	s_delay_alu instid0(VALU_DEP_2) | instskip(SKIP_2) | instid1(VALU_DEP_3)
	v_dual_mul_f32 v12, 0x4f800000, v2 :: v_dual_lshlrev_b32 v1, 16, v1
	v_cmp_gt_f32_e64 s1, 0xf800000, v2
	v_cmp_gt_f32_e64 s2, 0xf800000, v7
	v_mul_f32_e32 v10, 0x4f800000, v1
	v_cmp_gt_f32_e32 vcc_lo, 0xf800000, v1
	v_and_b32_e32 v9, 0xffff0000, v4
	v_cndmask_b32_e64 v2, v2, v12, s1
	v_cndmask_b32_e64 v7, v7, v13, s2
	v_dual_cndmask_b32 v1, v1, v10 :: v_dual_lshlrev_b32 v4, 16, v4
	v_mul_f32_e32 v11, 0x4f800000, v6
	v_cmp_gt_f32_e64 s0, 0xf800000, v6
	v_lshlrev_b32_e32 v3, 16, v3
	s_delay_alu instid0(VALU_DEP_4)
	v_sqrt_f32_e32 v10, v1
	v_mul_f32_e32 v16, 0x4f800000, v4
	v_sqrt_f32_e32 v12, v2
	v_cndmask_b32_e64 v6, v6, v11, s0
	v_dual_mul_f32 v14, 0x4f800000, v3 :: v_dual_mul_f32 v17, 0x4f800000, v9
	v_cmp_gt_f32_e64 s3, 0xf800000, v3
	v_sqrt_f32_e32 v13, v7
	s_delay_alu instid0(VALU_DEP_3)
	v_sqrt_f32_e32 v11, v6
	v_cmp_gt_f32_e64 s5, 0xf800000, v4
	v_add_nc_u32_e32 v18, -1, v10
	v_cndmask_b32_e64 v3, v3, v14, s3
	v_add_nc_u32_e32 v19, 1, v10
	v_add_nc_u32_e32 v22, -1, v12
	v_cndmask_b32_e64 v4, v4, v16, s5
	v_fma_f32 v34, -v18, v10, v1
	v_sqrt_f32_e32 v14, v3
	v_cmp_gt_f32_e64 s6, 0xf800000, v9
	v_add_nc_u32_e32 v20, -1, v11
	v_add_nc_u32_e32 v21, 1, v11
	v_cmp_ge_f32_e64 s7, 0, v34
	v_add_nc_u32_e32 v24, -1, v13
	v_fma_f32 v35, -v19, v10, v1
	v_fma_f32 v36, -v20, v11, v6
	;; [unrolled: 1-line block ×3, first 2 shown]
	v_cndmask_b32_e64 v10, v10, v18, s7
	v_cndmask_b32_e64 v9, v9, v17, s6
	v_sqrt_f32_e32 v16, v4
	v_cmp_ge_f32_e64 s7, 0, v36
	v_add_nc_u32_e32 v23, 1, v12
	v_add_nc_u32_e32 v26, -1, v14
	v_fma_f32 v37, -v21, v11, v6
	v_fma_f32 v40, -v24, v13, v7
	v_cndmask_b32_e64 v11, v11, v20, s7
	v_cmp_ge_f32_e64 s7, 0, v38
	v_sqrt_f32_e32 v17, v9
	v_add_nc_u32_e32 v25, 1, v13
	v_add_nc_u32_e32 v28, -1, v15
	v_fma_f32 v39, -v23, v12, v2
	v_fma_f32 v42, -v26, v14, v3
	v_cndmask_b32_e64 v12, v12, v22, s7
	v_cmp_ge_f32_e64 s7, 0, v40
	v_add_nc_u32_e32 v27, 1, v14
	v_add_nc_u32_e32 v30, -1, v16
	v_fma_f32 v41, -v25, v13, v7
	v_fma_f32 v44, -v28, v15, v8
	v_cndmask_b32_e64 v13, v13, v24, s7
	v_cmp_ge_f32_e64 s7, 0, v42
	;; [unrolled: 6-line block ×3, first 2 shown]
	v_add_nc_u32_e32 v31, 1, v16
	v_fma_f32 v45, -v29, v15, v8
	v_fma_f32 v48, -v32, v17, v9
	v_add_nc_u32_e32 v33, 1, v17
	v_cndmask_b32_e64 v15, v15, v28, s7
	v_cmp_ge_f32_e64 s7, 0, v46
	v_fma_f32 v47, -v31, v16, v4
	s_delay_alu instid0(VALU_DEP_4) | instskip(NEXT) | instid1(VALU_DEP_3)
	v_fma_f32 v49, -v33, v17, v9
	v_cndmask_b32_e64 v16, v16, v30, s7
	v_cmp_ge_f32_e64 s7, 0, v48
	s_delay_alu instid0(VALU_DEP_1) | instskip(SKIP_1) | instid1(VALU_DEP_1)
	v_cndmask_b32_e64 v17, v17, v32, s7
	v_cmp_lt_f32_e64 s7, 0, v35
	v_cndmask_b32_e64 v10, v10, v19, s7
	v_cmp_lt_f32_e64 s7, 0, v37
	s_delay_alu instid0(VALU_DEP_2) | instskip(NEXT) | instid1(VALU_DEP_2)
	v_mul_f32_e32 v18, 0x37800000, v10
	v_cndmask_b32_e64 v11, v11, v21, s7
	v_cmp_lt_f32_e64 s7, 0, v39
	s_delay_alu instid0(VALU_DEP_2) | instskip(NEXT) | instid1(VALU_DEP_2)
	v_dual_cndmask_b32 v10, v10, v18 :: v_dual_mul_f32 v19, 0x37800000, v11
	v_cndmask_b32_e64 v12, v12, v23, s7
	v_cmp_lt_f32_e64 s7, 0, v41
	v_cmp_class_f32_e64 vcc_lo, v1, 0x260
	s_delay_alu instid0(VALU_DEP_4) | instskip(NEXT) | instid1(VALU_DEP_4)
	v_cndmask_b32_e64 v11, v11, v19, s0
	v_mul_f32_e32 v20, 0x37800000, v12
	s_delay_alu instid0(VALU_DEP_4)
	v_cndmask_b32_e64 v13, v13, v25, s7
	v_cmp_lt_f32_e64 s7, 0, v43
	v_cndmask_b32_e32 v1, v10, v1, vcc_lo
	v_cmp_class_f32_e64 vcc_lo, v6, 0x260
	v_cndmask_b32_e64 v12, v12, v20, s1
	v_mul_f32_e32 v21, 0x37800000, v13
	v_cndmask_b32_e64 v14, v14, v27, s7
	v_cmp_lt_f32_e64 s7, 0, v45
	v_cndmask_b32_e32 v6, v11, v6, vcc_lo
	v_cmp_class_f32_e64 vcc_lo, v2, 0x260
	v_cndmask_b32_e64 v13, v13, v21, s2
	v_mul_f32_e32 v22, 0x37800000, v14
	;; [unrolled: 6-line block ×4, first 2 shown]
	v_cndmask_b32_e64 v17, v17, v33, s7
	v_bfe_u32 v10, v6, 16, 1
	v_cndmask_b32_e32 v3, v14, v3, vcc_lo
	v_cmp_class_f32_e64 vcc_lo, v8, 0x260
	v_cndmask_b32_e64 v16, v16, v24, s5
	v_mul_f32_e32 v25, 0x37800000, v17
	v_bfe_u32 v12, v7, 16, 1
	v_add3_u32 v10, v6, v10, 0x7fff
	v_cndmask_b32_e32 v8, v15, v8, vcc_lo
	v_cmp_class_f32_e64 vcc_lo, v4, 0x260
	v_cndmask_b32_e64 v17, v17, v25, s6
	v_bfe_u32 v13, v2, 16, 1
	v_add3_u32 v12, v7, v12, 0x7fff
	v_lshrrev_b32_e32 v10, 16, v10
	v_cndmask_b32_e32 v4, v16, v4, vcc_lo
	v_cmp_class_f32_e64 vcc_lo, v9, 0x260
	v_bfe_u32 v14, v8, 16, 1
	v_add3_u32 v13, v2, v13, 0x7fff
	v_lshrrev_b32_e32 v12, 16, v12
	v_bfe_u32 v15, v3, 16, 1
	v_cndmask_b32_e32 v9, v17, v9, vcc_lo
	v_cmp_o_f32_e32 vcc_lo, v6, v6
	v_add3_u32 v14, v8, v14, 0x7fff
	v_lshrrev_b32_e32 v13, 16, v13
	v_bfe_u32 v17, v4, 16, 1
	v_bfe_u32 v16, v9, 16, 1
	v_cndmask_b32_e32 v6, 0x7fc0, v10, vcc_lo
	v_cmp_o_f32_e32 vcc_lo, v7, v7
	v_lshrrev_b32_e32 v14, 16, v14
	v_add3_u32 v17, v4, v17, 0x7fff
	v_add3_u32 v16, v9, v16, 0x7fff
	v_bfe_u32 v11, v1, 16, 1
	v_cndmask_b32_e32 v7, 0x7fc0, v12, vcc_lo
	v_cmp_o_f32_e32 vcc_lo, v2, v2
	v_add3_u32 v15, v3, v15, 0x7fff
	v_lshrrev_b32_e32 v16, 16, v16
	v_lshrrev_b32_e32 v17, 16, v17
	v_add3_u32 v11, v1, v11, 0x7fff
	v_cndmask_b32_e32 v2, 0x7fc0, v13, vcc_lo
	v_cmp_o_f32_e32 vcc_lo, v8, v8
	v_lshrrev_b32_e32 v15, 16, v15
	s_add_u32 s2, s8, s14
	v_lshrrev_b32_e32 v11, 16, v11
	v_perm_b32 v2, v7, v2, 0x5040100
	v_cndmask_b32_e32 v8, 0x7fc0, v14, vcc_lo
	v_cmp_o_f32_e32 vcc_lo, v9, v9
	s_addc_u32 s3, s9, s15
	s_mov_b32 s0, 0
	v_cndmask_b32_e32 v9, 0x7fc0, v16, vcc_lo
	v_cmp_o_f32_e32 vcc_lo, v4, v4
	v_cndmask_b32_e32 v4, 0x7fc0, v17, vcc_lo
	v_cmp_o_f32_e32 vcc_lo, v3, v3
	s_delay_alu instid0(VALU_DEP_2) | instskip(SKIP_2) | instid1(VALU_DEP_2)
	v_perm_b32 v4, v9, v4, 0x5040100
	v_cndmask_b32_e32 v3, 0x7fc0, v15, vcc_lo
	v_cmp_o_f32_e32 vcc_lo, v1, v1
	v_perm_b32 v3, v8, v3, 0x5040100
	v_cndmask_b32_e32 v1, 0x7fc0, v11, vcc_lo
	s_delay_alu instid0(VALU_DEP_1)
	v_perm_b32 v1, v6, v1, 0x5040100
	global_store_b128 v5, v[1:4], s[2:3]
.LBB267_2:
	s_and_not1_b32 vcc_lo, exec_lo, s0
	s_cbranch_vccnz .LBB267_41
; %bb.3:
	v_cmp_gt_i32_e32 vcc_lo, s16, v0
	v_dual_mov_b32 v9, 0 :: v_dual_mov_b32 v6, 0
	v_or_b32_e32 v1, s12, v0
	v_or_b32_e32 v3, 0x100, v0
	v_mov_b32_e32 v4, v0
	s_and_saveexec_b32 s1, vcc_lo
	s_cbranch_execz .LBB267_5
; %bb.4:
	v_mov_b32_e32 v2, 0
	s_delay_alu instid0(VALU_DEP_1) | instskip(NEXT) | instid1(VALU_DEP_1)
	v_lshlrev_b64 v[4:5], 1, v[1:2]
	v_add_co_u32 v4, s0, s10, v4
	s_delay_alu instid0(VALU_DEP_1)
	v_add_co_ci_u32_e64 v5, s0, s11, v5, s0
	global_load_u16 v6, v[4:5], off
	v_or_b32_e32 v4, 0x100, v0
.LBB267_5:
	s_or_b32 exec_lo, exec_lo, s1
	s_delay_alu instid0(SALU_CYCLE_1) | instskip(NEXT) | instid1(VALU_DEP_1)
	s_mov_b32 s1, exec_lo
	v_cmpx_gt_i32_e64 s16, v4
	s_cbranch_execz .LBB267_7
; %bb.6:
	v_dual_mov_b32 v8, 0 :: v_dual_add_nc_u32 v7, s12, v4
	v_add_nc_u32_e32 v4, 0x100, v4
	s_delay_alu instid0(VALU_DEP_2) | instskip(NEXT) | instid1(VALU_DEP_1)
	v_lshlrev_b64 v[7:8], 1, v[7:8]
	v_add_co_u32 v7, s0, s10, v7
	s_delay_alu instid0(VALU_DEP_1)
	v_add_co_ci_u32_e64 v8, s0, s11, v8, s0
	global_load_u16 v9, v[7:8], off
.LBB267_7:
	s_or_b32 exec_lo, exec_lo, s1
	v_dual_mov_b32 v8, 0 :: v_dual_mov_b32 v11, 0
	s_mov_b32 s1, exec_lo
	v_cmpx_gt_i32_e64 s16, v4
	s_cbranch_execz .LBB267_9
; %bb.8:
	v_dual_mov_b32 v11, 0 :: v_dual_add_nc_u32 v10, s12, v4
	v_add_nc_u32_e32 v4, 0x100, v4
	s_delay_alu instid0(VALU_DEP_2) | instskip(NEXT) | instid1(VALU_DEP_1)
	v_lshlrev_b64 v[10:11], 1, v[10:11]
	v_add_co_u32 v10, s0, s10, v10
	s_delay_alu instid0(VALU_DEP_1)
	v_add_co_ci_u32_e64 v11, s0, s11, v11, s0
	global_load_u16 v11, v[10:11], off
.LBB267_9:
	s_or_b32 exec_lo, exec_lo, s1
	s_delay_alu instid0(SALU_CYCLE_1)
	s_mov_b32 s1, exec_lo
	v_cmpx_gt_i32_e64 s16, v4
	s_cbranch_execz .LBB267_11
; %bb.10:
	v_dual_mov_b32 v8, 0 :: v_dual_add_nc_u32 v7, s12, v4
	v_add_nc_u32_e32 v4, 0x100, v4
	s_delay_alu instid0(VALU_DEP_2) | instskip(NEXT) | instid1(VALU_DEP_1)
	v_lshlrev_b64 v[7:8], 1, v[7:8]
	v_add_co_u32 v7, s0, s10, v7
	s_delay_alu instid0(VALU_DEP_1)
	v_add_co_ci_u32_e64 v8, s0, s11, v8, s0
	global_load_u16 v8, v[7:8], off
.LBB267_11:
	s_or_b32 exec_lo, exec_lo, s1
	v_dual_mov_b32 v5, 0 :: v_dual_mov_b32 v10, 0
	s_mov_b32 s1, exec_lo
	v_cmpx_gt_i32_e64 s16, v4
	s_cbranch_execz .LBB267_13
; %bb.12:
	v_dual_mov_b32 v13, 0 :: v_dual_add_nc_u32 v12, s12, v4
	v_add_nc_u32_e32 v4, 0x100, v4
	s_delay_alu instid0(VALU_DEP_2) | instskip(NEXT) | instid1(VALU_DEP_1)
	v_lshlrev_b64 v[12:13], 1, v[12:13]
	v_add_co_u32 v12, s0, s10, v12
	s_delay_alu instid0(VALU_DEP_1)
	v_add_co_ci_u32_e64 v13, s0, s11, v13, s0
	global_load_u16 v10, v[12:13], off
.LBB267_13:
	s_or_b32 exec_lo, exec_lo, s1
	s_delay_alu instid0(SALU_CYCLE_1)
	s_mov_b32 s1, exec_lo
	v_cmpx_gt_i32_e64 s16, v4
	s_cbranch_execz .LBB267_15
; %bb.14:
	v_dual_mov_b32 v13, 0 :: v_dual_add_nc_u32 v12, s12, v4
	v_add_nc_u32_e32 v4, 0x100, v4
	s_delay_alu instid0(VALU_DEP_2) | instskip(NEXT) | instid1(VALU_DEP_1)
	v_lshlrev_b64 v[12:13], 1, v[12:13]
	v_add_co_u32 v12, s0, s10, v12
	s_delay_alu instid0(VALU_DEP_1)
	v_add_co_ci_u32_e64 v13, s0, s11, v13, s0
	global_load_u16 v5, v[12:13], off
.LBB267_15:
	s_or_b32 exec_lo, exec_lo, s1
	v_dual_mov_b32 v2, 0 :: v_dual_mov_b32 v7, 0
	s_mov_b32 s1, exec_lo
	v_cmpx_gt_i32_e64 s16, v4
	s_cbranch_execz .LBB267_42
; %bb.16:
	v_dual_mov_b32 v13, 0 :: v_dual_add_nc_u32 v12, s12, v4
	v_add_nc_u32_e32 v4, 0x100, v4
	s_delay_alu instid0(VALU_DEP_2) | instskip(NEXT) | instid1(VALU_DEP_1)
	v_lshlrev_b64 v[12:13], 1, v[12:13]
	v_add_co_u32 v12, s0, s10, v12
	s_delay_alu instid0(VALU_DEP_1) | instskip(SKIP_2) | instid1(SALU_CYCLE_1)
	v_add_co_ci_u32_e64 v13, s0, s11, v13, s0
	global_load_u16 v7, v[12:13], off
	s_or_b32 exec_lo, exec_lo, s1
	s_mov_b32 s1, exec_lo
	v_cmpx_gt_i32_e64 s16, v4
	s_cbranch_execnz .LBB267_43
.LBB267_17:
	s_or_b32 exec_lo, exec_lo, s1
                                        ; implicit-def: $vgpr4
	s_and_saveexec_b32 s2, vcc_lo
	s_cbranch_execz .LBB267_19
.LBB267_18:
	s_waitcnt vmcnt(0)
	v_lshlrev_b32_e32 v4, 16, v6
	s_delay_alu instid0(VALU_DEP_1) | instskip(SKIP_1) | instid1(VALU_DEP_1)
	v_mul_f32_e32 v6, 0x4f800000, v4
	v_cmp_gt_f32_e64 s0, 0xf800000, v4
	v_cndmask_b32_e64 v4, v4, v6, s0
	s_delay_alu instid0(VALU_DEP_1) | instskip(SKIP_3) | instid1(VALU_DEP_2)
	v_sqrt_f32_e32 v6, v4
	s_waitcnt_depctr 0xfff
	v_add_nc_u32_e32 v12, -1, v6
	v_add_nc_u32_e32 v13, 1, v6
	v_fma_f32 v14, -v12, v6, v4
	s_delay_alu instid0(VALU_DEP_2) | instskip(NEXT) | instid1(VALU_DEP_2)
	v_fma_f32 v15, -v13, v6, v4
	v_cmp_ge_f32_e64 s1, 0, v14
	s_delay_alu instid0(VALU_DEP_1) | instskip(NEXT) | instid1(VALU_DEP_3)
	v_cndmask_b32_e64 v6, v6, v12, s1
	v_cmp_lt_f32_e64 s1, 0, v15
	s_delay_alu instid0(VALU_DEP_1) | instskip(NEXT) | instid1(VALU_DEP_1)
	v_cndmask_b32_e64 v6, v6, v13, s1
	v_mul_f32_e32 v12, 0x37800000, v6
	s_delay_alu instid0(VALU_DEP_1) | instskip(SKIP_1) | instid1(VALU_DEP_1)
	v_cndmask_b32_e64 v6, v6, v12, s0
	v_cmp_class_f32_e64 s0, v4, 0x260
	v_cndmask_b32_e64 v4, v6, v4, s0
	s_delay_alu instid0(VALU_DEP_1) | instskip(SKIP_1) | instid1(VALU_DEP_2)
	v_bfe_u32 v6, v4, 16, 1
	v_cmp_o_f32_e64 s0, v4, v4
	v_add3_u32 v6, v4, v6, 0x7fff
	s_delay_alu instid0(VALU_DEP_1) | instskip(NEXT) | instid1(VALU_DEP_1)
	v_lshrrev_b32_e32 v6, 16, v6
	v_cndmask_b32_e64 v4, 0x7fc0, v6, s0
.LBB267_19:
	s_or_b32 exec_lo, exec_lo, s2
	s_delay_alu instid0(SALU_CYCLE_1)
	s_mov_b32 s2, exec_lo
                                        ; implicit-def: $vgpr6
	v_cmpx_gt_i32_e64 s16, v3
	s_cbranch_execz .LBB267_21
; %bb.20:
	s_waitcnt vmcnt(0)
	v_lshlrev_b32_e32 v6, 16, v9
	s_delay_alu instid0(VALU_DEP_1) | instskip(SKIP_1) | instid1(VALU_DEP_1)
	v_mul_f32_e32 v9, 0x4f800000, v6
	v_cmp_gt_f32_e64 s0, 0xf800000, v6
	v_cndmask_b32_e64 v6, v6, v9, s0
	s_delay_alu instid0(VALU_DEP_1) | instskip(SKIP_3) | instid1(VALU_DEP_2)
	v_sqrt_f32_e32 v9, v6
	s_waitcnt_depctr 0xfff
	v_add_nc_u32_e32 v12, -1, v9
	v_add_nc_u32_e32 v13, 1, v9
	v_fma_f32 v14, -v12, v9, v6
	s_delay_alu instid0(VALU_DEP_2) | instskip(NEXT) | instid1(VALU_DEP_2)
	v_fma_f32 v15, -v13, v9, v6
	v_cmp_ge_f32_e64 s1, 0, v14
	s_delay_alu instid0(VALU_DEP_1) | instskip(NEXT) | instid1(VALU_DEP_3)
	v_cndmask_b32_e64 v9, v9, v12, s1
	v_cmp_lt_f32_e64 s1, 0, v15
	s_delay_alu instid0(VALU_DEP_1) | instskip(NEXT) | instid1(VALU_DEP_1)
	v_cndmask_b32_e64 v9, v9, v13, s1
	v_mul_f32_e32 v12, 0x37800000, v9
	s_delay_alu instid0(VALU_DEP_1) | instskip(SKIP_1) | instid1(VALU_DEP_1)
	v_cndmask_b32_e64 v9, v9, v12, s0
	v_cmp_class_f32_e64 s0, v6, 0x260
	v_cndmask_b32_e64 v6, v9, v6, s0
	s_delay_alu instid0(VALU_DEP_1) | instskip(SKIP_1) | instid1(VALU_DEP_2)
	v_bfe_u32 v9, v6, 16, 1
	v_cmp_o_f32_e64 s0, v6, v6
	v_add3_u32 v9, v6, v9, 0x7fff
	s_delay_alu instid0(VALU_DEP_1) | instskip(NEXT) | instid1(VALU_DEP_1)
	v_lshrrev_b32_e32 v9, 16, v9
	v_cndmask_b32_e64 v6, 0x7fc0, v9, s0
.LBB267_21:
	s_or_b32 exec_lo, exec_lo, s2
	s_waitcnt vmcnt(0)
	v_or_b32_e32 v9, 0x200, v0
	s_delay_alu instid0(VALU_DEP_1) | instskip(NEXT) | instid1(VALU_DEP_1)
	v_cmp_gt_i32_e64 s0, s16, v9
                                        ; implicit-def: $vgpr9
	s_and_saveexec_b32 s2, s0
	s_cbranch_execz .LBB267_23
; %bb.22:
	v_lshlrev_b32_e32 v9, 16, v11
	s_delay_alu instid0(VALU_DEP_1) | instskip(SKIP_1) | instid1(VALU_DEP_1)
	v_mul_f32_e32 v11, 0x4f800000, v9
	v_cmp_gt_f32_e64 s0, 0xf800000, v9
	v_cndmask_b32_e64 v9, v9, v11, s0
	s_delay_alu instid0(VALU_DEP_1) | instskip(SKIP_3) | instid1(VALU_DEP_2)
	v_sqrt_f32_e32 v11, v9
	s_waitcnt_depctr 0xfff
	v_add_nc_u32_e32 v12, -1, v11
	v_add_nc_u32_e32 v13, 1, v11
	v_fma_f32 v14, -v12, v11, v9
	s_delay_alu instid0(VALU_DEP_2) | instskip(NEXT) | instid1(VALU_DEP_2)
	v_fma_f32 v15, -v13, v11, v9
	v_cmp_ge_f32_e64 s1, 0, v14
	s_delay_alu instid0(VALU_DEP_1) | instskip(NEXT) | instid1(VALU_DEP_3)
	v_cndmask_b32_e64 v11, v11, v12, s1
	v_cmp_lt_f32_e64 s1, 0, v15
	s_delay_alu instid0(VALU_DEP_1) | instskip(NEXT) | instid1(VALU_DEP_1)
	v_cndmask_b32_e64 v11, v11, v13, s1
	v_mul_f32_e32 v12, 0x37800000, v11
	s_delay_alu instid0(VALU_DEP_1) | instskip(SKIP_1) | instid1(VALU_DEP_1)
	v_cndmask_b32_e64 v11, v11, v12, s0
	v_cmp_class_f32_e64 s0, v9, 0x260
	v_cndmask_b32_e64 v9, v11, v9, s0
	s_delay_alu instid0(VALU_DEP_1) | instskip(SKIP_1) | instid1(VALU_DEP_2)
	v_bfe_u32 v11, v9, 16, 1
	v_cmp_o_f32_e64 s0, v9, v9
	v_add3_u32 v11, v9, v11, 0x7fff
	s_delay_alu instid0(VALU_DEP_1) | instskip(NEXT) | instid1(VALU_DEP_1)
	v_lshrrev_b32_e32 v11, 16, v11
	v_cndmask_b32_e64 v9, 0x7fc0, v11, s0
.LBB267_23:
	s_or_b32 exec_lo, exec_lo, s2
	v_or_b32_e32 v11, 0x300, v0
	s_delay_alu instid0(VALU_DEP_1) | instskip(NEXT) | instid1(VALU_DEP_1)
	v_cmp_gt_i32_e64 s0, s16, v11
                                        ; implicit-def: $vgpr11
	s_and_saveexec_b32 s2, s0
	s_cbranch_execz .LBB267_25
; %bb.24:
	v_lshlrev_b32_e32 v8, 16, v8
	s_delay_alu instid0(VALU_DEP_1) | instskip(SKIP_1) | instid1(VALU_DEP_1)
	v_mul_f32_e32 v11, 0x4f800000, v8
	v_cmp_gt_f32_e64 s0, 0xf800000, v8
	v_cndmask_b32_e64 v8, v8, v11, s0
	s_delay_alu instid0(VALU_DEP_1) | instskip(SKIP_3) | instid1(VALU_DEP_2)
	v_sqrt_f32_e32 v11, v8
	s_waitcnt_depctr 0xfff
	v_add_nc_u32_e32 v12, -1, v11
	v_add_nc_u32_e32 v13, 1, v11
	v_fma_f32 v14, -v12, v11, v8
	s_delay_alu instid0(VALU_DEP_2) | instskip(NEXT) | instid1(VALU_DEP_2)
	v_fma_f32 v15, -v13, v11, v8
	v_cmp_ge_f32_e64 s1, 0, v14
	s_delay_alu instid0(VALU_DEP_1) | instskip(NEXT) | instid1(VALU_DEP_3)
	v_cndmask_b32_e64 v11, v11, v12, s1
	v_cmp_lt_f32_e64 s1, 0, v15
	s_delay_alu instid0(VALU_DEP_1) | instskip(NEXT) | instid1(VALU_DEP_1)
	v_cndmask_b32_e64 v11, v11, v13, s1
	v_mul_f32_e32 v12, 0x37800000, v11
	s_delay_alu instid0(VALU_DEP_1) | instskip(SKIP_1) | instid1(VALU_DEP_1)
	v_cndmask_b32_e64 v11, v11, v12, s0
	v_cmp_class_f32_e64 s0, v8, 0x260
	v_cndmask_b32_e64 v8, v11, v8, s0
	s_delay_alu instid0(VALU_DEP_1) | instskip(SKIP_1) | instid1(VALU_DEP_2)
	v_bfe_u32 v11, v8, 16, 1
	v_cmp_o_f32_e64 s0, v8, v8
	v_add3_u32 v11, v8, v11, 0x7fff
	s_delay_alu instid0(VALU_DEP_1) | instskip(NEXT) | instid1(VALU_DEP_1)
	v_lshrrev_b32_e32 v11, 16, v11
	v_cndmask_b32_e64 v11, 0x7fc0, v11, s0
.LBB267_25:
	s_or_b32 exec_lo, exec_lo, s2
	v_or_b32_e32 v8, 0x400, v0
	s_delay_alu instid0(VALU_DEP_1) | instskip(NEXT) | instid1(VALU_DEP_1)
	v_cmp_gt_i32_e64 s0, s16, v8
                                        ; implicit-def: $vgpr8
	s_and_saveexec_b32 s2, s0
	s_cbranch_execz .LBB267_27
; %bb.26:
	v_lshlrev_b32_e32 v8, 16, v10
	s_delay_alu instid0(VALU_DEP_1) | instskip(SKIP_1) | instid1(VALU_DEP_1)
	v_mul_f32_e32 v10, 0x4f800000, v8
	v_cmp_gt_f32_e64 s0, 0xf800000, v8
	v_cndmask_b32_e64 v8, v8, v10, s0
	s_delay_alu instid0(VALU_DEP_1) | instskip(SKIP_3) | instid1(VALU_DEP_2)
	v_sqrt_f32_e32 v10, v8
	s_waitcnt_depctr 0xfff
	v_add_nc_u32_e32 v12, -1, v10
	v_add_nc_u32_e32 v13, 1, v10
	v_fma_f32 v14, -v12, v10, v8
	s_delay_alu instid0(VALU_DEP_2) | instskip(NEXT) | instid1(VALU_DEP_2)
	v_fma_f32 v15, -v13, v10, v8
	v_cmp_ge_f32_e64 s1, 0, v14
	s_delay_alu instid0(VALU_DEP_1) | instskip(NEXT) | instid1(VALU_DEP_3)
	v_cndmask_b32_e64 v10, v10, v12, s1
	v_cmp_lt_f32_e64 s1, 0, v15
	s_delay_alu instid0(VALU_DEP_1) | instskip(NEXT) | instid1(VALU_DEP_1)
	v_cndmask_b32_e64 v10, v10, v13, s1
	v_mul_f32_e32 v12, 0x37800000, v10
	s_delay_alu instid0(VALU_DEP_1) | instskip(SKIP_1) | instid1(VALU_DEP_1)
	v_cndmask_b32_e64 v10, v10, v12, s0
	v_cmp_class_f32_e64 s0, v8, 0x260
	v_cndmask_b32_e64 v8, v10, v8, s0
	s_delay_alu instid0(VALU_DEP_1) | instskip(SKIP_1) | instid1(VALU_DEP_2)
	v_bfe_u32 v10, v8, 16, 1
	v_cmp_o_f32_e64 s0, v8, v8
	v_add3_u32 v10, v8, v10, 0x7fff
	s_delay_alu instid0(VALU_DEP_1) | instskip(NEXT) | instid1(VALU_DEP_1)
	v_lshrrev_b32_e32 v10, 16, v10
	v_cndmask_b32_e64 v8, 0x7fc0, v10, s0
.LBB267_27:
	s_or_b32 exec_lo, exec_lo, s2
	v_or_b32_e32 v10, 0x500, v0
	s_delay_alu instid0(VALU_DEP_1) | instskip(NEXT) | instid1(VALU_DEP_1)
	v_cmp_gt_i32_e64 s0, s16, v10
                                        ; implicit-def: $vgpr10
	s_and_saveexec_b32 s2, s0
	s_cbranch_execz .LBB267_29
; %bb.28:
	v_lshlrev_b32_e32 v5, 16, v5
	s_delay_alu instid0(VALU_DEP_1) | instskip(SKIP_1) | instid1(VALU_DEP_1)
	v_mul_f32_e32 v10, 0x4f800000, v5
	v_cmp_gt_f32_e64 s0, 0xf800000, v5
	v_cndmask_b32_e64 v5, v5, v10, s0
	s_delay_alu instid0(VALU_DEP_1) | instskip(SKIP_3) | instid1(VALU_DEP_2)
	v_sqrt_f32_e32 v10, v5
	s_waitcnt_depctr 0xfff
	v_add_nc_u32_e32 v12, -1, v10
	v_add_nc_u32_e32 v13, 1, v10
	v_fma_f32 v14, -v12, v10, v5
	s_delay_alu instid0(VALU_DEP_2) | instskip(NEXT) | instid1(VALU_DEP_2)
	v_fma_f32 v15, -v13, v10, v5
	v_cmp_ge_f32_e64 s1, 0, v14
	s_delay_alu instid0(VALU_DEP_1) | instskip(NEXT) | instid1(VALU_DEP_3)
	v_cndmask_b32_e64 v10, v10, v12, s1
	v_cmp_lt_f32_e64 s1, 0, v15
	s_delay_alu instid0(VALU_DEP_1) | instskip(NEXT) | instid1(VALU_DEP_1)
	v_cndmask_b32_e64 v10, v10, v13, s1
	v_mul_f32_e32 v12, 0x37800000, v10
	s_delay_alu instid0(VALU_DEP_1) | instskip(SKIP_1) | instid1(VALU_DEP_1)
	v_cndmask_b32_e64 v10, v10, v12, s0
	v_cmp_class_f32_e64 s0, v5, 0x260
	v_cndmask_b32_e64 v5, v10, v5, s0
	s_delay_alu instid0(VALU_DEP_1) | instskip(SKIP_1) | instid1(VALU_DEP_2)
	v_bfe_u32 v10, v5, 16, 1
	v_cmp_o_f32_e64 s0, v5, v5
	v_add3_u32 v10, v5, v10, 0x7fff
	s_delay_alu instid0(VALU_DEP_1) | instskip(NEXT) | instid1(VALU_DEP_1)
	v_lshrrev_b32_e32 v10, 16, v10
	v_cndmask_b32_e64 v10, 0x7fc0, v10, s0
.LBB267_29:
	s_or_b32 exec_lo, exec_lo, s2
	v_or_b32_e32 v5, 0x600, v0
	s_delay_alu instid0(VALU_DEP_1) | instskip(NEXT) | instid1(VALU_DEP_1)
	v_cmp_gt_i32_e64 s0, s16, v5
                                        ; implicit-def: $vgpr5
	s_and_saveexec_b32 s2, s0
	s_cbranch_execz .LBB267_31
; %bb.30:
	v_lshlrev_b32_e32 v5, 16, v7
	s_delay_alu instid0(VALU_DEP_1) | instskip(SKIP_1) | instid1(VALU_DEP_1)
	v_mul_f32_e32 v7, 0x4f800000, v5
	v_cmp_gt_f32_e64 s0, 0xf800000, v5
	v_cndmask_b32_e64 v5, v5, v7, s0
	s_delay_alu instid0(VALU_DEP_1) | instskip(SKIP_3) | instid1(VALU_DEP_2)
	v_sqrt_f32_e32 v7, v5
	s_waitcnt_depctr 0xfff
	v_add_nc_u32_e32 v12, -1, v7
	v_add_nc_u32_e32 v13, 1, v7
	v_fma_f32 v14, -v12, v7, v5
	s_delay_alu instid0(VALU_DEP_2) | instskip(NEXT) | instid1(VALU_DEP_2)
	v_fma_f32 v15, -v13, v7, v5
	v_cmp_ge_f32_e64 s1, 0, v14
	s_delay_alu instid0(VALU_DEP_1) | instskip(NEXT) | instid1(VALU_DEP_3)
	v_cndmask_b32_e64 v7, v7, v12, s1
	v_cmp_lt_f32_e64 s1, 0, v15
	s_delay_alu instid0(VALU_DEP_1) | instskip(NEXT) | instid1(VALU_DEP_1)
	v_cndmask_b32_e64 v7, v7, v13, s1
	v_mul_f32_e32 v12, 0x37800000, v7
	s_delay_alu instid0(VALU_DEP_1) | instskip(SKIP_1) | instid1(VALU_DEP_1)
	v_cndmask_b32_e64 v7, v7, v12, s0
	v_cmp_class_f32_e64 s0, v5, 0x260
	v_cndmask_b32_e64 v5, v7, v5, s0
	s_delay_alu instid0(VALU_DEP_1) | instskip(SKIP_1) | instid1(VALU_DEP_2)
	v_bfe_u32 v7, v5, 16, 1
	v_cmp_o_f32_e64 s0, v5, v5
	v_add3_u32 v7, v5, v7, 0x7fff
	s_delay_alu instid0(VALU_DEP_1) | instskip(NEXT) | instid1(VALU_DEP_1)
	v_lshrrev_b32_e32 v7, 16, v7
	v_cndmask_b32_e64 v5, 0x7fc0, v7, s0
.LBB267_31:
	s_or_b32 exec_lo, exec_lo, s2
	v_or_b32_e32 v7, 0x700, v0
	s_delay_alu instid0(VALU_DEP_1) | instskip(NEXT) | instid1(VALU_DEP_1)
	v_cmp_gt_i32_e64 s0, s16, v7
                                        ; implicit-def: $vgpr7
	s_and_saveexec_b32 s2, s0
	s_cbranch_execz .LBB267_44
; %bb.32:
	v_lshlrev_b32_e32 v2, 16, v2
	s_delay_alu instid0(VALU_DEP_1) | instskip(SKIP_1) | instid1(VALU_DEP_1)
	v_mul_f32_e32 v7, 0x4f800000, v2
	v_cmp_gt_f32_e64 s0, 0xf800000, v2
	v_cndmask_b32_e64 v2, v2, v7, s0
	s_delay_alu instid0(VALU_DEP_1) | instskip(SKIP_3) | instid1(VALU_DEP_2)
	v_sqrt_f32_e32 v7, v2
	s_waitcnt_depctr 0xfff
	v_add_nc_u32_e32 v12, -1, v7
	v_add_nc_u32_e32 v13, 1, v7
	v_fma_f32 v14, -v12, v7, v2
	s_delay_alu instid0(VALU_DEP_2) | instskip(NEXT) | instid1(VALU_DEP_2)
	v_fma_f32 v15, -v13, v7, v2
	v_cmp_ge_f32_e64 s1, 0, v14
	s_delay_alu instid0(VALU_DEP_1) | instskip(NEXT) | instid1(VALU_DEP_3)
	v_cndmask_b32_e64 v7, v7, v12, s1
	v_cmp_lt_f32_e64 s1, 0, v15
	s_delay_alu instid0(VALU_DEP_1) | instskip(NEXT) | instid1(VALU_DEP_1)
	v_cndmask_b32_e64 v7, v7, v13, s1
	v_mul_f32_e32 v12, 0x37800000, v7
	s_delay_alu instid0(VALU_DEP_1) | instskip(SKIP_1) | instid1(VALU_DEP_1)
	v_cndmask_b32_e64 v7, v7, v12, s0
	v_cmp_class_f32_e64 s0, v2, 0x260
	v_cndmask_b32_e64 v2, v7, v2, s0
	s_delay_alu instid0(VALU_DEP_1) | instskip(SKIP_1) | instid1(VALU_DEP_2)
	v_bfe_u32 v7, v2, 16, 1
	v_cmp_o_f32_e64 s0, v2, v2
	v_add3_u32 v7, v2, v7, 0x7fff
	s_delay_alu instid0(VALU_DEP_1) | instskip(NEXT) | instid1(VALU_DEP_1)
	v_lshrrev_b32_e32 v7, 16, v7
	v_cndmask_b32_e64 v7, 0x7fc0, v7, s0
	s_or_b32 exec_lo, exec_lo, s2
	s_and_saveexec_b32 s0, vcc_lo
	s_delay_alu instid0(SALU_CYCLE_1)
	s_xor_b32 s0, exec_lo, s0
	s_cbranch_execnz .LBB267_45
.LBB267_33:
	s_or_b32 exec_lo, exec_lo, s0
	s_delay_alu instid0(SALU_CYCLE_1)
	s_mov_b32 s0, exec_lo
	v_cmpx_gt_i32_e64 s16, v0
	s_cbranch_execz .LBB267_46
.LBB267_34:
	v_dual_mov_b32 v2, 0 :: v_dual_add_nc_u32 v1, s12, v0
	v_add_nc_u32_e32 v0, 0x100, v0
	s_delay_alu instid0(VALU_DEP_2) | instskip(NEXT) | instid1(VALU_DEP_1)
	v_lshlrev_b64 v[1:2], 1, v[1:2]
	v_add_co_u32 v1, vcc_lo, s8, v1
	s_delay_alu instid0(VALU_DEP_2) | instskip(SKIP_2) | instid1(SALU_CYCLE_1)
	v_add_co_ci_u32_e32 v2, vcc_lo, s9, v2, vcc_lo
	global_store_b16 v[1:2], v6, off
	s_or_b32 exec_lo, exec_lo, s0
	s_mov_b32 s0, exec_lo
	v_cmpx_gt_i32_e64 s16, v0
	s_cbranch_execnz .LBB267_47
.LBB267_35:
	s_or_b32 exec_lo, exec_lo, s0
	s_delay_alu instid0(SALU_CYCLE_1)
	s_mov_b32 s0, exec_lo
	v_cmpx_gt_i32_e64 s16, v0
	s_cbranch_execz .LBB267_48
.LBB267_36:
	v_dual_mov_b32 v2, 0 :: v_dual_add_nc_u32 v1, s12, v0
	v_add_nc_u32_e32 v0, 0x100, v0
	s_delay_alu instid0(VALU_DEP_2) | instskip(NEXT) | instid1(VALU_DEP_1)
	v_lshlrev_b64 v[1:2], 1, v[1:2]
	v_add_co_u32 v1, vcc_lo, s8, v1
	s_delay_alu instid0(VALU_DEP_2) | instskip(SKIP_2) | instid1(SALU_CYCLE_1)
	v_add_co_ci_u32_e32 v2, vcc_lo, s9, v2, vcc_lo
	global_store_b16 v[1:2], v11, off
	s_or_b32 exec_lo, exec_lo, s0
	s_mov_b32 s0, exec_lo
	v_cmpx_gt_i32_e64 s16, v0
	s_cbranch_execnz .LBB267_49
.LBB267_37:
	s_or_b32 exec_lo, exec_lo, s0
	s_delay_alu instid0(SALU_CYCLE_1)
	s_mov_b32 s0, exec_lo
	v_cmpx_gt_i32_e64 s16, v0
	s_cbranch_execz .LBB267_50
.LBB267_38:
	v_dual_mov_b32 v2, 0 :: v_dual_add_nc_u32 v1, s12, v0
	v_add_nc_u32_e32 v0, 0x100, v0
	s_delay_alu instid0(VALU_DEP_2) | instskip(NEXT) | instid1(VALU_DEP_1)
	v_lshlrev_b64 v[1:2], 1, v[1:2]
	v_add_co_u32 v1, vcc_lo, s8, v1
	s_delay_alu instid0(VALU_DEP_2) | instskip(SKIP_2) | instid1(SALU_CYCLE_1)
	v_add_co_ci_u32_e32 v2, vcc_lo, s9, v2, vcc_lo
	global_store_b16 v[1:2], v10, off
	s_or_b32 exec_lo, exec_lo, s0
	s_mov_b32 s0, exec_lo
	v_cmpx_gt_i32_e64 s16, v0
	s_cbranch_execnz .LBB267_51
.LBB267_39:
	s_or_b32 exec_lo, exec_lo, s0
	s_delay_alu instid0(SALU_CYCLE_1)
	s_mov_b32 s0, exec_lo
	v_cmpx_gt_i32_e64 s16, v0
	s_cbranch_execz .LBB267_41
.LBB267_40:
	v_dual_mov_b32 v1, 0 :: v_dual_add_nc_u32 v0, s12, v0
	s_delay_alu instid0(VALU_DEP_1) | instskip(NEXT) | instid1(VALU_DEP_1)
	v_lshlrev_b64 v[0:1], 1, v[0:1]
	v_add_co_u32 v0, vcc_lo, s8, v0
	s_delay_alu instid0(VALU_DEP_2)
	v_add_co_ci_u32_e32 v1, vcc_lo, s9, v1, vcc_lo
	global_store_b16 v[0:1], v7, off
.LBB267_41:
	s_nop 0
	s_sendmsg sendmsg(MSG_DEALLOC_VGPRS)
	s_endpgm
.LBB267_42:
	s_or_b32 exec_lo, exec_lo, s1
	s_delay_alu instid0(SALU_CYCLE_1)
	s_mov_b32 s1, exec_lo
	v_cmpx_gt_i32_e64 s16, v4
	s_cbranch_execz .LBB267_17
.LBB267_43:
	v_dual_mov_b32 v13, 0 :: v_dual_add_nc_u32 v12, s12, v4
	s_delay_alu instid0(VALU_DEP_1) | instskip(NEXT) | instid1(VALU_DEP_1)
	v_lshlrev_b64 v[12:13], 1, v[12:13]
	v_add_co_u32 v12, s0, s10, v12
	s_delay_alu instid0(VALU_DEP_1)
	v_add_co_ci_u32_e64 v13, s0, s11, v13, s0
	global_load_u16 v2, v[12:13], off
	s_or_b32 exec_lo, exec_lo, s1
                                        ; implicit-def: $vgpr4
	s_and_saveexec_b32 s2, vcc_lo
	s_cbranch_execz .LBB267_19
	s_branch .LBB267_18
.LBB267_44:
	s_or_b32 exec_lo, exec_lo, s2
	s_and_saveexec_b32 s0, vcc_lo
	s_delay_alu instid0(SALU_CYCLE_1)
	s_xor_b32 s0, exec_lo, s0
	s_cbranch_execz .LBB267_33
.LBB267_45:
	v_mov_b32_e32 v2, 0
	s_delay_alu instid0(VALU_DEP_1) | instskip(NEXT) | instid1(VALU_DEP_1)
	v_lshlrev_b64 v[0:1], 1, v[1:2]
	v_add_co_u32 v12, vcc_lo, s8, v0
	s_delay_alu instid0(VALU_DEP_2) | instskip(SKIP_3) | instid1(SALU_CYCLE_1)
	v_add_co_ci_u32_e32 v13, vcc_lo, s9, v1, vcc_lo
	v_mov_b32_e32 v0, v3
	global_store_b16 v[12:13], v4, off
	s_or_b32 exec_lo, exec_lo, s0
	s_mov_b32 s0, exec_lo
	v_cmpx_gt_i32_e64 s16, v0
	s_cbranch_execnz .LBB267_34
.LBB267_46:
	s_or_b32 exec_lo, exec_lo, s0
	s_delay_alu instid0(SALU_CYCLE_1)
	s_mov_b32 s0, exec_lo
	v_cmpx_gt_i32_e64 s16, v0
	s_cbranch_execz .LBB267_35
.LBB267_47:
	v_dual_mov_b32 v2, 0 :: v_dual_add_nc_u32 v1, s12, v0
	v_add_nc_u32_e32 v0, 0x100, v0
	s_delay_alu instid0(VALU_DEP_2) | instskip(NEXT) | instid1(VALU_DEP_1)
	v_lshlrev_b64 v[1:2], 1, v[1:2]
	v_add_co_u32 v1, vcc_lo, s8, v1
	s_delay_alu instid0(VALU_DEP_2) | instskip(SKIP_2) | instid1(SALU_CYCLE_1)
	v_add_co_ci_u32_e32 v2, vcc_lo, s9, v2, vcc_lo
	global_store_b16 v[1:2], v9, off
	s_or_b32 exec_lo, exec_lo, s0
	s_mov_b32 s0, exec_lo
	v_cmpx_gt_i32_e64 s16, v0
	s_cbranch_execnz .LBB267_36
.LBB267_48:
	s_or_b32 exec_lo, exec_lo, s0
	s_delay_alu instid0(SALU_CYCLE_1)
	s_mov_b32 s0, exec_lo
	v_cmpx_gt_i32_e64 s16, v0
	s_cbranch_execz .LBB267_37
.LBB267_49:
	v_dual_mov_b32 v2, 0 :: v_dual_add_nc_u32 v1, s12, v0
	v_add_nc_u32_e32 v0, 0x100, v0
	s_delay_alu instid0(VALU_DEP_2) | instskip(NEXT) | instid1(VALU_DEP_1)
	v_lshlrev_b64 v[1:2], 1, v[1:2]
	v_add_co_u32 v1, vcc_lo, s8, v1
	s_delay_alu instid0(VALU_DEP_2) | instskip(SKIP_2) | instid1(SALU_CYCLE_1)
	v_add_co_ci_u32_e32 v2, vcc_lo, s9, v2, vcc_lo
	global_store_b16 v[1:2], v8, off
	s_or_b32 exec_lo, exec_lo, s0
	s_mov_b32 s0, exec_lo
	v_cmpx_gt_i32_e64 s16, v0
	s_cbranch_execnz .LBB267_38
.LBB267_50:
	s_or_b32 exec_lo, exec_lo, s0
	s_delay_alu instid0(SALU_CYCLE_1)
	s_mov_b32 s0, exec_lo
	v_cmpx_gt_i32_e64 s16, v0
	s_cbranch_execz .LBB267_39
.LBB267_51:
	v_dual_mov_b32 v2, 0 :: v_dual_add_nc_u32 v1, s12, v0
	v_add_nc_u32_e32 v0, 0x100, v0
	s_delay_alu instid0(VALU_DEP_2) | instskip(NEXT) | instid1(VALU_DEP_1)
	v_lshlrev_b64 v[1:2], 1, v[1:2]
	v_add_co_u32 v1, vcc_lo, s8, v1
	s_delay_alu instid0(VALU_DEP_2) | instskip(SKIP_2) | instid1(SALU_CYCLE_1)
	v_add_co_ci_u32_e32 v2, vcc_lo, s9, v2, vcc_lo
	global_store_b16 v[1:2], v5, off
	s_or_b32 exec_lo, exec_lo, s0
	s_mov_b32 s0, exec_lo
	v_cmpx_gt_i32_e64 s16, v0
	s_cbranch_execnz .LBB267_40
	s_branch .LBB267_41
	.section	.rodata,"a",@progbits
	.p2align	6, 0x0
	.amdhsa_kernel _ZN2at6native29vectorized_elementwise_kernelILi8EZZZNS0_16sqrt_kernel_cudaERNS_18TensorIteratorBaseEENKUlvE0_clEvENKUlvE2_clEvEUlN3c108BFloat16EE_St5arrayIPcLm2EEEEviT0_T1_
		.amdhsa_group_segment_fixed_size 0
		.amdhsa_private_segment_fixed_size 0
		.amdhsa_kernarg_size 24
		.amdhsa_user_sgpr_count 15
		.amdhsa_user_sgpr_dispatch_ptr 0
		.amdhsa_user_sgpr_queue_ptr 0
		.amdhsa_user_sgpr_kernarg_segment_ptr 1
		.amdhsa_user_sgpr_dispatch_id 0
		.amdhsa_user_sgpr_private_segment_size 0
		.amdhsa_wavefront_size32 1
		.amdhsa_uses_dynamic_stack 0
		.amdhsa_enable_private_segment 0
		.amdhsa_system_sgpr_workgroup_id_x 1
		.amdhsa_system_sgpr_workgroup_id_y 0
		.amdhsa_system_sgpr_workgroup_id_z 0
		.amdhsa_system_sgpr_workgroup_info 0
		.amdhsa_system_vgpr_workitem_id 0
		.amdhsa_next_free_vgpr 50
		.amdhsa_next_free_sgpr 17
		.amdhsa_reserve_vcc 1
		.amdhsa_float_round_mode_32 0
		.amdhsa_float_round_mode_16_64 0
		.amdhsa_float_denorm_mode_32 3
		.amdhsa_float_denorm_mode_16_64 3
		.amdhsa_dx10_clamp 1
		.amdhsa_ieee_mode 1
		.amdhsa_fp16_overflow 0
		.amdhsa_workgroup_processor_mode 1
		.amdhsa_memory_ordered 1
		.amdhsa_forward_progress 0
		.amdhsa_shared_vgpr_count 0
		.amdhsa_exception_fp_ieee_invalid_op 0
		.amdhsa_exception_fp_denorm_src 0
		.amdhsa_exception_fp_ieee_div_zero 0
		.amdhsa_exception_fp_ieee_overflow 0
		.amdhsa_exception_fp_ieee_underflow 0
		.amdhsa_exception_fp_ieee_inexact 0
		.amdhsa_exception_int_div_zero 0
	.end_amdhsa_kernel
	.section	.text._ZN2at6native29vectorized_elementwise_kernelILi8EZZZNS0_16sqrt_kernel_cudaERNS_18TensorIteratorBaseEENKUlvE0_clEvENKUlvE2_clEvEUlN3c108BFloat16EE_St5arrayIPcLm2EEEEviT0_T1_,"axG",@progbits,_ZN2at6native29vectorized_elementwise_kernelILi8EZZZNS0_16sqrt_kernel_cudaERNS_18TensorIteratorBaseEENKUlvE0_clEvENKUlvE2_clEvEUlN3c108BFloat16EE_St5arrayIPcLm2EEEEviT0_T1_,comdat
.Lfunc_end267:
	.size	_ZN2at6native29vectorized_elementwise_kernelILi8EZZZNS0_16sqrt_kernel_cudaERNS_18TensorIteratorBaseEENKUlvE0_clEvENKUlvE2_clEvEUlN3c108BFloat16EE_St5arrayIPcLm2EEEEviT0_T1_, .Lfunc_end267-_ZN2at6native29vectorized_elementwise_kernelILi8EZZZNS0_16sqrt_kernel_cudaERNS_18TensorIteratorBaseEENKUlvE0_clEvENKUlvE2_clEvEUlN3c108BFloat16EE_St5arrayIPcLm2EEEEviT0_T1_
                                        ; -- End function
	.section	.AMDGPU.csdata,"",@progbits
; Kernel info:
; codeLenInByte = 4848
; NumSgprs: 19
; NumVgprs: 50
; ScratchSize: 0
; MemoryBound: 0
; FloatMode: 240
; IeeeMode: 1
; LDSByteSize: 0 bytes/workgroup (compile time only)
; SGPRBlocks: 2
; VGPRBlocks: 6
; NumSGPRsForWavesPerEU: 19
; NumVGPRsForWavesPerEU: 50
; Occupancy: 16
; WaveLimiterHint : 0
; COMPUTE_PGM_RSRC2:SCRATCH_EN: 0
; COMPUTE_PGM_RSRC2:USER_SGPR: 15
; COMPUTE_PGM_RSRC2:TRAP_HANDLER: 0
; COMPUTE_PGM_RSRC2:TGID_X_EN: 1
; COMPUTE_PGM_RSRC2:TGID_Y_EN: 0
; COMPUTE_PGM_RSRC2:TGID_Z_EN: 0
; COMPUTE_PGM_RSRC2:TIDIG_COMP_CNT: 0
	.section	.text._ZN2at6native29vectorized_elementwise_kernelILi4EZZZNS0_16sqrt_kernel_cudaERNS_18TensorIteratorBaseEENKUlvE0_clEvENKUlvE2_clEvEUlN3c108BFloat16EE_St5arrayIPcLm2EEEEviT0_T1_,"axG",@progbits,_ZN2at6native29vectorized_elementwise_kernelILi4EZZZNS0_16sqrt_kernel_cudaERNS_18TensorIteratorBaseEENKUlvE0_clEvENKUlvE2_clEvEUlN3c108BFloat16EE_St5arrayIPcLm2EEEEviT0_T1_,comdat
	.globl	_ZN2at6native29vectorized_elementwise_kernelILi4EZZZNS0_16sqrt_kernel_cudaERNS_18TensorIteratorBaseEENKUlvE0_clEvENKUlvE2_clEvEUlN3c108BFloat16EE_St5arrayIPcLm2EEEEviT0_T1_ ; -- Begin function _ZN2at6native29vectorized_elementwise_kernelILi4EZZZNS0_16sqrt_kernel_cudaERNS_18TensorIteratorBaseEENKUlvE0_clEvENKUlvE2_clEvEUlN3c108BFloat16EE_St5arrayIPcLm2EEEEviT0_T1_
	.p2align	8
	.type	_ZN2at6native29vectorized_elementwise_kernelILi4EZZZNS0_16sqrt_kernel_cudaERNS_18TensorIteratorBaseEENKUlvE0_clEvENKUlvE2_clEvEUlN3c108BFloat16EE_St5arrayIPcLm2EEEEviT0_T1_,@function
_ZN2at6native29vectorized_elementwise_kernelILi4EZZZNS0_16sqrt_kernel_cudaERNS_18TensorIteratorBaseEENKUlvE0_clEvENKUlvE2_clEvEUlN3c108BFloat16EE_St5arrayIPcLm2EEEEviT0_T1_: ; @_ZN2at6native29vectorized_elementwise_kernelILi4EZZZNS0_16sqrt_kernel_cudaERNS_18TensorIteratorBaseEENKUlvE0_clEvENKUlvE2_clEvEUlN3c108BFloat16EE_St5arrayIPcLm2EEEEviT0_T1_
; %bb.0:
	s_clause 0x1
	s_load_b32 s2, s[0:1], 0x0
	s_load_b128 s[8:11], s[0:1], 0x8
	s_lshl_b32 s12, s15, 11
	s_mov_b32 s0, -1
	s_waitcnt lgkmcnt(0)
	s_sub_i32 s16, s2, s12
	s_delay_alu instid0(SALU_CYCLE_1)
	s_cmpk_gt_i32 s16, 0x7ff
	s_cbranch_scc0 .LBB268_2
; %bb.1:
	s_ashr_i32 s13, s12, 31
	v_lshlrev_b32_e32 v5, 3, v0
	s_lshl_b64 s[14:15], s[12:13], 1
	s_delay_alu instid0(SALU_CYCLE_1)
	s_add_u32 s0, s10, s14
	s_addc_u32 s1, s11, s15
	s_clause 0x1
	global_load_b64 v[1:2], v5, s[0:1]
	global_load_b64 v[3:4], v5, s[0:1] offset:2048
	s_waitcnt vmcnt(1)
	v_and_b32_e32 v6, 0xffff0000, v1
	v_lshlrev_b32_e32 v1, 16, v1
	s_delay_alu instid0(VALU_DEP_1) | instskip(SKIP_3) | instid1(VALU_DEP_3)
	v_mul_f32_e32 v10, 0x4f800000, v1
	v_cmp_gt_f32_e32 vcc_lo, 0xf800000, v1
	s_waitcnt vmcnt(0)
	v_and_b32_e32 v9, 0xffff0000, v4
	v_dual_cndmask_b32 v1, v1, v10 :: v_dual_and_b32 v8, 0xffff0000, v3
	v_dual_mul_f32 v11, 0x4f800000, v6 :: v_dual_lshlrev_b32 v4, 16, v4
	v_lshlrev_b32_e32 v3, 16, v3
	v_cmp_gt_f32_e64 s0, 0xf800000, v6
	s_delay_alu instid0(VALU_DEP_4) | instskip(NEXT) | instid1(VALU_DEP_4)
	v_mul_f32_e32 v15, 0x4f800000, v8
	v_mul_f32_e32 v16, 0x4f800000, v4
	v_cmp_gt_f32_e64 s4, 0xf800000, v8
	v_mul_f32_e32 v14, 0x4f800000, v3
	v_cndmask_b32_e64 v6, v6, v11, s0
	v_sqrt_f32_e32 v10, v1
	v_mul_f32_e32 v17, 0x4f800000, v9
	v_cndmask_b32_e64 v8, v8, v15, s4
	v_and_b32_e32 v7, 0xffff0000, v2
	v_lshlrev_b32_e32 v2, 16, v2
	v_sqrt_f32_e32 v11, v6
	v_cmp_gt_f32_e64 s3, 0xf800000, v3
	v_cmp_gt_f32_e64 s5, 0xf800000, v4
	s_delay_alu instid0(VALU_DEP_3)
	v_dual_mul_f32 v13, 0x4f800000, v7 :: v_dual_mul_f32 v12, 0x4f800000, v2
	v_cmp_gt_f32_e64 s1, 0xf800000, v2
	v_cmp_gt_f32_e64 s2, 0xf800000, v7
	v_add_nc_u32_e32 v18, -1, v10
	v_cndmask_b32_e64 v3, v3, v14, s3
	v_add_nc_u32_e32 v19, 1, v10
	v_cndmask_b32_e64 v2, v2, v12, s1
	v_cndmask_b32_e64 v7, v7, v13, s2
	v_add_nc_u32_e32 v20, -1, v11
	v_fma_f32 v34, -v18, v10, v1
	v_sqrt_f32_e32 v14, v3
	v_sqrt_f32_e32 v12, v2
	;; [unrolled: 1-line block ×3, first 2 shown]
	v_fma_f32 v36, -v20, v11, v6
	v_cmp_ge_f32_e64 s7, 0, v34
	v_cndmask_b32_e64 v4, v4, v16, s5
	v_cmp_gt_f32_e64 s6, 0xf800000, v9
	v_sqrt_f32_e32 v15, v8
	v_add_nc_u32_e32 v21, 1, v11
	v_fma_f32 v35, -v19, v10, v1
	v_cndmask_b32_e64 v10, v10, v18, s7
	v_add_nc_u32_e32 v22, -1, v12
	v_add_nc_u32_e32 v24, -1, v13
	v_cmp_ge_f32_e64 s7, 0, v36
	v_cndmask_b32_e64 v9, v9, v17, s6
	v_sqrt_f32_e32 v16, v4
	v_fma_f32 v38, -v22, v12, v2
	v_add_nc_u32_e32 v23, 1, v12
	v_add_nc_u32_e32 v26, -1, v14
	v_fma_f32 v37, -v21, v11, v6
	v_fma_f32 v40, -v24, v13, v7
	v_cndmask_b32_e64 v11, v11, v20, s7
	v_cmp_ge_f32_e64 s7, 0, v38
	v_sqrt_f32_e32 v17, v9
	v_add_nc_u32_e32 v25, 1, v13
	v_add_nc_u32_e32 v28, -1, v15
	v_fma_f32 v39, -v23, v12, v2
	v_fma_f32 v42, -v26, v14, v3
	v_cndmask_b32_e64 v12, v12, v22, s7
	v_cmp_ge_f32_e64 s7, 0, v40
	v_add_nc_u32_e32 v27, 1, v14
	v_add_nc_u32_e32 v30, -1, v16
	v_fma_f32 v41, -v25, v13, v7
	v_fma_f32 v44, -v28, v15, v8
	v_cndmask_b32_e64 v13, v13, v24, s7
	v_cmp_ge_f32_e64 s7, 0, v42
	;; [unrolled: 6-line block ×3, first 2 shown]
	v_add_nc_u32_e32 v31, 1, v16
	v_fma_f32 v45, -v29, v15, v8
	v_fma_f32 v48, -v32, v17, v9
	v_add_nc_u32_e32 v33, 1, v17
	v_cndmask_b32_e64 v15, v15, v28, s7
	v_cmp_ge_f32_e64 s7, 0, v46
	v_fma_f32 v47, -v31, v16, v4
	s_delay_alu instid0(VALU_DEP_4) | instskip(NEXT) | instid1(VALU_DEP_3)
	v_fma_f32 v49, -v33, v17, v9
	v_cndmask_b32_e64 v16, v16, v30, s7
	v_cmp_ge_f32_e64 s7, 0, v48
	s_delay_alu instid0(VALU_DEP_1) | instskip(SKIP_1) | instid1(VALU_DEP_1)
	v_cndmask_b32_e64 v17, v17, v32, s7
	v_cmp_lt_f32_e64 s7, 0, v35
	v_cndmask_b32_e64 v10, v10, v19, s7
	v_cmp_lt_f32_e64 s7, 0, v37
	s_delay_alu instid0(VALU_DEP_2) | instskip(NEXT) | instid1(VALU_DEP_2)
	v_mul_f32_e32 v18, 0x37800000, v10
	v_cndmask_b32_e64 v11, v11, v21, s7
	v_cmp_lt_f32_e64 s7, 0, v39
	s_delay_alu instid0(VALU_DEP_2) | instskip(NEXT) | instid1(VALU_DEP_2)
	v_dual_cndmask_b32 v10, v10, v18 :: v_dual_mul_f32 v19, 0x37800000, v11
	v_cndmask_b32_e64 v12, v12, v23, s7
	v_cmp_lt_f32_e64 s7, 0, v41
	v_cmp_class_f32_e64 vcc_lo, v1, 0x260
	s_delay_alu instid0(VALU_DEP_4) | instskip(NEXT) | instid1(VALU_DEP_4)
	v_cndmask_b32_e64 v11, v11, v19, s0
	v_mul_f32_e32 v20, 0x37800000, v12
	s_delay_alu instid0(VALU_DEP_4)
	v_cndmask_b32_e64 v13, v13, v25, s7
	v_cmp_lt_f32_e64 s7, 0, v43
	v_cndmask_b32_e32 v1, v10, v1, vcc_lo
	v_cmp_class_f32_e64 vcc_lo, v6, 0x260
	v_cndmask_b32_e64 v12, v12, v20, s1
	v_mul_f32_e32 v21, 0x37800000, v13
	v_cndmask_b32_e64 v14, v14, v27, s7
	v_cmp_lt_f32_e64 s7, 0, v45
	v_cndmask_b32_e32 v6, v11, v6, vcc_lo
	v_cmp_class_f32_e64 vcc_lo, v2, 0x260
	v_cndmask_b32_e64 v13, v13, v21, s2
	v_mul_f32_e32 v22, 0x37800000, v14
	;; [unrolled: 6-line block ×4, first 2 shown]
	v_cndmask_b32_e64 v17, v17, v33, s7
	v_bfe_u32 v13, v7, 16, 1
	v_cndmask_b32_e32 v3, v14, v3, vcc_lo
	v_cmp_class_f32_e64 vcc_lo, v8, 0x260
	v_cndmask_b32_e64 v16, v16, v24, s5
	v_mul_f32_e32 v25, 0x37800000, v17
	v_bfe_u32 v12, v2, 16, 1
	v_add3_u32 v13, v7, v13, 0x7fff
	v_cndmask_b32_e32 v8, v15, v8, vcc_lo
	v_cmp_class_f32_e64 vcc_lo, v4, 0x260
	v_cndmask_b32_e64 v17, v17, v25, s6
	v_bfe_u32 v11, v6, 16, 1
	v_add3_u32 v12, v2, v12, 0x7fff
	v_dual_cndmask_b32 v4, v16, v4 :: v_dual_and_b32 v13, 0xffff0000, v13
	v_cmp_class_f32_e64 vcc_lo, v9, 0x260
	v_bfe_u32 v10, v1, 16, 1
	v_add3_u32 v11, v6, v11, 0x7fff
	v_lshrrev_b32_e32 v12, 16, v12
	v_bfe_u32 v15, v8, 16, 1
	v_cndmask_b32_e32 v9, v17, v9, vcc_lo
	v_cmp_o_f32_e32 vcc_lo, v7, v7
	v_add3_u32 v10, v1, v10, 0x7fff
	v_and_b32_e32 v11, 0xffff0000, v11
	v_bfe_u32 v14, v3, 16, 1
	v_add3_u32 v15, v8, v15, 0x7fff
	v_cndmask_b32_e32 v7, 0x7fc00000, v13, vcc_lo
	v_cmp_o_f32_e32 vcc_lo, v2, v2
	v_lshrrev_b32_e32 v10, 16, v10
	v_bfe_u32 v17, v9, 16, 1
	v_add3_u32 v14, v3, v14, 0x7fff
	v_and_b32_e32 v15, 0xffff0000, v15
	v_cndmask_b32_e32 v2, 0x7fc0, v12, vcc_lo
	v_cmp_o_f32_e32 vcc_lo, v6, v6
	v_bfe_u32 v16, v4, 16, 1
	v_add3_u32 v17, v9, v17, 0x7fff
	v_lshrrev_b32_e32 v14, 16, v14
	v_or3_b32 v2, 0, v2, v7
	v_cndmask_b32_e32 v6, 0x7fc00000, v11, vcc_lo
	v_cmp_o_f32_e32 vcc_lo, v1, v1
	v_add3_u32 v16, v4, v16, 0x7fff
	v_and_b32_e32 v17, 0xffff0000, v17
	s_add_u32 s2, s8, s14
	s_addc_u32 s3, s9, s15
	v_cndmask_b32_e32 v1, 0x7fc0, v10, vcc_lo
	v_cmp_o_f32_e32 vcc_lo, v8, v8
	v_lshrrev_b32_e32 v16, 16, v16
	s_mov_b32 s0, 0
	s_delay_alu instid0(VALU_DEP_3) | instskip(SKIP_2) | instid1(VALU_DEP_3)
	v_or_b32_e32 v1, v6, v1
	v_cndmask_b32_e32 v8, 0x7fc00000, v15, vcc_lo
	v_cmp_o_f32_e32 vcc_lo, v3, v3
	v_or3_b32 v1, v1, 0, 0
	v_cndmask_b32_e32 v3, 0x7fc0, v14, vcc_lo
	v_cmp_o_f32_e32 vcc_lo, v9, v9
	s_delay_alu instid0(VALU_DEP_2) | instskip(SKIP_2) | instid1(VALU_DEP_3)
	v_or_b32_e32 v3, v8, v3
	v_cndmask_b32_e32 v9, 0x7fc00000, v17, vcc_lo
	v_cmp_o_f32_e32 vcc_lo, v4, v4
	v_or3_b32 v3, v3, 0, 0
	v_cndmask_b32_e32 v4, 0x7fc0, v16, vcc_lo
	s_delay_alu instid0(VALU_DEP_1)
	v_or3_b32 v4, 0, v4, v9
	s_clause 0x1
	global_store_b64 v5, v[1:2], s[2:3]
	global_store_b64 v5, v[3:4], s[2:3] offset:2048
.LBB268_2:
	s_and_not1_b32 vcc_lo, exec_lo, s0
	s_cbranch_vccnz .LBB268_41
; %bb.3:
	v_cmp_gt_i32_e32 vcc_lo, s16, v0
	v_dual_mov_b32 v9, 0 :: v_dual_mov_b32 v6, 0
	v_or_b32_e32 v1, s12, v0
	v_or_b32_e32 v3, 0x100, v0
	v_mov_b32_e32 v4, v0
	s_and_saveexec_b32 s1, vcc_lo
	s_cbranch_execz .LBB268_5
; %bb.4:
	v_mov_b32_e32 v2, 0
	s_delay_alu instid0(VALU_DEP_1) | instskip(NEXT) | instid1(VALU_DEP_1)
	v_lshlrev_b64 v[4:5], 1, v[1:2]
	v_add_co_u32 v4, s0, s10, v4
	s_delay_alu instid0(VALU_DEP_1)
	v_add_co_ci_u32_e64 v5, s0, s11, v5, s0
	global_load_u16 v6, v[4:5], off
	v_or_b32_e32 v4, 0x100, v0
.LBB268_5:
	s_or_b32 exec_lo, exec_lo, s1
	s_delay_alu instid0(SALU_CYCLE_1) | instskip(NEXT) | instid1(VALU_DEP_1)
	s_mov_b32 s1, exec_lo
	v_cmpx_gt_i32_e64 s16, v4
	s_cbranch_execz .LBB268_7
; %bb.6:
	v_dual_mov_b32 v8, 0 :: v_dual_add_nc_u32 v7, s12, v4
	v_add_nc_u32_e32 v4, 0x100, v4
	s_delay_alu instid0(VALU_DEP_2) | instskip(NEXT) | instid1(VALU_DEP_1)
	v_lshlrev_b64 v[7:8], 1, v[7:8]
	v_add_co_u32 v7, s0, s10, v7
	s_delay_alu instid0(VALU_DEP_1)
	v_add_co_ci_u32_e64 v8, s0, s11, v8, s0
	global_load_u16 v9, v[7:8], off
.LBB268_7:
	s_or_b32 exec_lo, exec_lo, s1
	v_dual_mov_b32 v8, 0 :: v_dual_mov_b32 v11, 0
	s_mov_b32 s1, exec_lo
	v_cmpx_gt_i32_e64 s16, v4
	s_cbranch_execz .LBB268_9
; %bb.8:
	v_dual_mov_b32 v11, 0 :: v_dual_add_nc_u32 v10, s12, v4
	v_add_nc_u32_e32 v4, 0x100, v4
	s_delay_alu instid0(VALU_DEP_2) | instskip(NEXT) | instid1(VALU_DEP_1)
	v_lshlrev_b64 v[10:11], 1, v[10:11]
	v_add_co_u32 v10, s0, s10, v10
	s_delay_alu instid0(VALU_DEP_1)
	v_add_co_ci_u32_e64 v11, s0, s11, v11, s0
	global_load_u16 v11, v[10:11], off
.LBB268_9:
	s_or_b32 exec_lo, exec_lo, s1
	s_delay_alu instid0(SALU_CYCLE_1)
	s_mov_b32 s1, exec_lo
	v_cmpx_gt_i32_e64 s16, v4
	s_cbranch_execz .LBB268_11
; %bb.10:
	v_dual_mov_b32 v8, 0 :: v_dual_add_nc_u32 v7, s12, v4
	v_add_nc_u32_e32 v4, 0x100, v4
	s_delay_alu instid0(VALU_DEP_2) | instskip(NEXT) | instid1(VALU_DEP_1)
	v_lshlrev_b64 v[7:8], 1, v[7:8]
	v_add_co_u32 v7, s0, s10, v7
	s_delay_alu instid0(VALU_DEP_1)
	v_add_co_ci_u32_e64 v8, s0, s11, v8, s0
	global_load_u16 v8, v[7:8], off
.LBB268_11:
	s_or_b32 exec_lo, exec_lo, s1
	v_dual_mov_b32 v5, 0 :: v_dual_mov_b32 v10, 0
	s_mov_b32 s1, exec_lo
	v_cmpx_gt_i32_e64 s16, v4
	s_cbranch_execz .LBB268_13
; %bb.12:
	v_dual_mov_b32 v13, 0 :: v_dual_add_nc_u32 v12, s12, v4
	v_add_nc_u32_e32 v4, 0x100, v4
	s_delay_alu instid0(VALU_DEP_2) | instskip(NEXT) | instid1(VALU_DEP_1)
	v_lshlrev_b64 v[12:13], 1, v[12:13]
	v_add_co_u32 v12, s0, s10, v12
	s_delay_alu instid0(VALU_DEP_1)
	v_add_co_ci_u32_e64 v13, s0, s11, v13, s0
	global_load_u16 v10, v[12:13], off
.LBB268_13:
	s_or_b32 exec_lo, exec_lo, s1
	s_delay_alu instid0(SALU_CYCLE_1)
	s_mov_b32 s1, exec_lo
	v_cmpx_gt_i32_e64 s16, v4
	s_cbranch_execz .LBB268_15
; %bb.14:
	v_dual_mov_b32 v13, 0 :: v_dual_add_nc_u32 v12, s12, v4
	v_add_nc_u32_e32 v4, 0x100, v4
	s_delay_alu instid0(VALU_DEP_2) | instskip(NEXT) | instid1(VALU_DEP_1)
	v_lshlrev_b64 v[12:13], 1, v[12:13]
	v_add_co_u32 v12, s0, s10, v12
	s_delay_alu instid0(VALU_DEP_1)
	v_add_co_ci_u32_e64 v13, s0, s11, v13, s0
	global_load_u16 v5, v[12:13], off
.LBB268_15:
	s_or_b32 exec_lo, exec_lo, s1
	v_dual_mov_b32 v2, 0 :: v_dual_mov_b32 v7, 0
	s_mov_b32 s1, exec_lo
	v_cmpx_gt_i32_e64 s16, v4
	s_cbranch_execz .LBB268_42
; %bb.16:
	v_dual_mov_b32 v13, 0 :: v_dual_add_nc_u32 v12, s12, v4
	v_add_nc_u32_e32 v4, 0x100, v4
	s_delay_alu instid0(VALU_DEP_2) | instskip(NEXT) | instid1(VALU_DEP_1)
	v_lshlrev_b64 v[12:13], 1, v[12:13]
	v_add_co_u32 v12, s0, s10, v12
	s_delay_alu instid0(VALU_DEP_1) | instskip(SKIP_2) | instid1(SALU_CYCLE_1)
	v_add_co_ci_u32_e64 v13, s0, s11, v13, s0
	global_load_u16 v7, v[12:13], off
	s_or_b32 exec_lo, exec_lo, s1
	s_mov_b32 s1, exec_lo
	v_cmpx_gt_i32_e64 s16, v4
	s_cbranch_execnz .LBB268_43
.LBB268_17:
	s_or_b32 exec_lo, exec_lo, s1
                                        ; implicit-def: $vgpr4
	s_and_saveexec_b32 s2, vcc_lo
	s_cbranch_execz .LBB268_19
.LBB268_18:
	s_waitcnt vmcnt(0)
	v_lshlrev_b32_e32 v4, 16, v6
	s_delay_alu instid0(VALU_DEP_1) | instskip(SKIP_1) | instid1(VALU_DEP_1)
	v_mul_f32_e32 v6, 0x4f800000, v4
	v_cmp_gt_f32_e64 s0, 0xf800000, v4
	v_cndmask_b32_e64 v4, v4, v6, s0
	s_delay_alu instid0(VALU_DEP_1) | instskip(SKIP_3) | instid1(VALU_DEP_2)
	v_sqrt_f32_e32 v6, v4
	s_waitcnt_depctr 0xfff
	v_add_nc_u32_e32 v12, -1, v6
	v_add_nc_u32_e32 v13, 1, v6
	v_fma_f32 v14, -v12, v6, v4
	s_delay_alu instid0(VALU_DEP_2) | instskip(NEXT) | instid1(VALU_DEP_2)
	v_fma_f32 v15, -v13, v6, v4
	v_cmp_ge_f32_e64 s1, 0, v14
	s_delay_alu instid0(VALU_DEP_1) | instskip(NEXT) | instid1(VALU_DEP_3)
	v_cndmask_b32_e64 v6, v6, v12, s1
	v_cmp_lt_f32_e64 s1, 0, v15
	s_delay_alu instid0(VALU_DEP_1) | instskip(NEXT) | instid1(VALU_DEP_1)
	v_cndmask_b32_e64 v6, v6, v13, s1
	v_mul_f32_e32 v12, 0x37800000, v6
	s_delay_alu instid0(VALU_DEP_1) | instskip(SKIP_1) | instid1(VALU_DEP_1)
	v_cndmask_b32_e64 v6, v6, v12, s0
	v_cmp_class_f32_e64 s0, v4, 0x260
	v_cndmask_b32_e64 v4, v6, v4, s0
	s_delay_alu instid0(VALU_DEP_1) | instskip(SKIP_1) | instid1(VALU_DEP_2)
	v_bfe_u32 v6, v4, 16, 1
	v_cmp_o_f32_e64 s0, v4, v4
	v_add3_u32 v6, v4, v6, 0x7fff
	s_delay_alu instid0(VALU_DEP_1) | instskip(NEXT) | instid1(VALU_DEP_1)
	v_lshrrev_b32_e32 v6, 16, v6
	v_cndmask_b32_e64 v4, 0x7fc0, v6, s0
.LBB268_19:
	s_or_b32 exec_lo, exec_lo, s2
	s_delay_alu instid0(SALU_CYCLE_1)
	s_mov_b32 s2, exec_lo
                                        ; implicit-def: $vgpr6
	v_cmpx_gt_i32_e64 s16, v3
	s_cbranch_execz .LBB268_21
; %bb.20:
	s_waitcnt vmcnt(0)
	v_lshlrev_b32_e32 v6, 16, v9
	s_delay_alu instid0(VALU_DEP_1) | instskip(SKIP_1) | instid1(VALU_DEP_1)
	v_mul_f32_e32 v9, 0x4f800000, v6
	v_cmp_gt_f32_e64 s0, 0xf800000, v6
	v_cndmask_b32_e64 v6, v6, v9, s0
	s_delay_alu instid0(VALU_DEP_1) | instskip(SKIP_3) | instid1(VALU_DEP_2)
	v_sqrt_f32_e32 v9, v6
	s_waitcnt_depctr 0xfff
	v_add_nc_u32_e32 v12, -1, v9
	v_add_nc_u32_e32 v13, 1, v9
	v_fma_f32 v14, -v12, v9, v6
	s_delay_alu instid0(VALU_DEP_2) | instskip(NEXT) | instid1(VALU_DEP_2)
	v_fma_f32 v15, -v13, v9, v6
	v_cmp_ge_f32_e64 s1, 0, v14
	s_delay_alu instid0(VALU_DEP_1) | instskip(NEXT) | instid1(VALU_DEP_3)
	v_cndmask_b32_e64 v9, v9, v12, s1
	v_cmp_lt_f32_e64 s1, 0, v15
	s_delay_alu instid0(VALU_DEP_1) | instskip(NEXT) | instid1(VALU_DEP_1)
	v_cndmask_b32_e64 v9, v9, v13, s1
	v_mul_f32_e32 v12, 0x37800000, v9
	s_delay_alu instid0(VALU_DEP_1) | instskip(SKIP_1) | instid1(VALU_DEP_1)
	v_cndmask_b32_e64 v9, v9, v12, s0
	v_cmp_class_f32_e64 s0, v6, 0x260
	v_cndmask_b32_e64 v6, v9, v6, s0
	s_delay_alu instid0(VALU_DEP_1) | instskip(SKIP_1) | instid1(VALU_DEP_2)
	v_bfe_u32 v9, v6, 16, 1
	v_cmp_o_f32_e64 s0, v6, v6
	v_add3_u32 v9, v6, v9, 0x7fff
	s_delay_alu instid0(VALU_DEP_1) | instskip(NEXT) | instid1(VALU_DEP_1)
	v_lshrrev_b32_e32 v9, 16, v9
	v_cndmask_b32_e64 v6, 0x7fc0, v9, s0
.LBB268_21:
	s_or_b32 exec_lo, exec_lo, s2
	s_waitcnt vmcnt(0)
	v_or_b32_e32 v9, 0x200, v0
	s_delay_alu instid0(VALU_DEP_1) | instskip(NEXT) | instid1(VALU_DEP_1)
	v_cmp_gt_i32_e64 s0, s16, v9
                                        ; implicit-def: $vgpr9
	s_and_saveexec_b32 s2, s0
	s_cbranch_execz .LBB268_23
; %bb.22:
	v_lshlrev_b32_e32 v9, 16, v11
	s_delay_alu instid0(VALU_DEP_1) | instskip(SKIP_1) | instid1(VALU_DEP_1)
	v_mul_f32_e32 v11, 0x4f800000, v9
	v_cmp_gt_f32_e64 s0, 0xf800000, v9
	v_cndmask_b32_e64 v9, v9, v11, s0
	s_delay_alu instid0(VALU_DEP_1) | instskip(SKIP_3) | instid1(VALU_DEP_2)
	v_sqrt_f32_e32 v11, v9
	s_waitcnt_depctr 0xfff
	v_add_nc_u32_e32 v12, -1, v11
	v_add_nc_u32_e32 v13, 1, v11
	v_fma_f32 v14, -v12, v11, v9
	s_delay_alu instid0(VALU_DEP_2) | instskip(NEXT) | instid1(VALU_DEP_2)
	v_fma_f32 v15, -v13, v11, v9
	v_cmp_ge_f32_e64 s1, 0, v14
	s_delay_alu instid0(VALU_DEP_1) | instskip(NEXT) | instid1(VALU_DEP_3)
	v_cndmask_b32_e64 v11, v11, v12, s1
	v_cmp_lt_f32_e64 s1, 0, v15
	s_delay_alu instid0(VALU_DEP_1) | instskip(NEXT) | instid1(VALU_DEP_1)
	v_cndmask_b32_e64 v11, v11, v13, s1
	v_mul_f32_e32 v12, 0x37800000, v11
	s_delay_alu instid0(VALU_DEP_1) | instskip(SKIP_1) | instid1(VALU_DEP_1)
	v_cndmask_b32_e64 v11, v11, v12, s0
	v_cmp_class_f32_e64 s0, v9, 0x260
	v_cndmask_b32_e64 v9, v11, v9, s0
	s_delay_alu instid0(VALU_DEP_1) | instskip(SKIP_1) | instid1(VALU_DEP_2)
	v_bfe_u32 v11, v9, 16, 1
	v_cmp_o_f32_e64 s0, v9, v9
	v_add3_u32 v11, v9, v11, 0x7fff
	s_delay_alu instid0(VALU_DEP_1) | instskip(NEXT) | instid1(VALU_DEP_1)
	v_lshrrev_b32_e32 v11, 16, v11
	v_cndmask_b32_e64 v9, 0x7fc0, v11, s0
.LBB268_23:
	s_or_b32 exec_lo, exec_lo, s2
	v_or_b32_e32 v11, 0x300, v0
	s_delay_alu instid0(VALU_DEP_1) | instskip(NEXT) | instid1(VALU_DEP_1)
	v_cmp_gt_i32_e64 s0, s16, v11
                                        ; implicit-def: $vgpr11
	s_and_saveexec_b32 s2, s0
	s_cbranch_execz .LBB268_25
; %bb.24:
	v_lshlrev_b32_e32 v8, 16, v8
	s_delay_alu instid0(VALU_DEP_1) | instskip(SKIP_1) | instid1(VALU_DEP_1)
	v_mul_f32_e32 v11, 0x4f800000, v8
	v_cmp_gt_f32_e64 s0, 0xf800000, v8
	v_cndmask_b32_e64 v8, v8, v11, s0
	s_delay_alu instid0(VALU_DEP_1) | instskip(SKIP_3) | instid1(VALU_DEP_2)
	v_sqrt_f32_e32 v11, v8
	s_waitcnt_depctr 0xfff
	v_add_nc_u32_e32 v12, -1, v11
	v_add_nc_u32_e32 v13, 1, v11
	v_fma_f32 v14, -v12, v11, v8
	s_delay_alu instid0(VALU_DEP_2) | instskip(NEXT) | instid1(VALU_DEP_2)
	v_fma_f32 v15, -v13, v11, v8
	v_cmp_ge_f32_e64 s1, 0, v14
	s_delay_alu instid0(VALU_DEP_1) | instskip(NEXT) | instid1(VALU_DEP_3)
	v_cndmask_b32_e64 v11, v11, v12, s1
	v_cmp_lt_f32_e64 s1, 0, v15
	s_delay_alu instid0(VALU_DEP_1) | instskip(NEXT) | instid1(VALU_DEP_1)
	v_cndmask_b32_e64 v11, v11, v13, s1
	v_mul_f32_e32 v12, 0x37800000, v11
	s_delay_alu instid0(VALU_DEP_1) | instskip(SKIP_1) | instid1(VALU_DEP_1)
	v_cndmask_b32_e64 v11, v11, v12, s0
	v_cmp_class_f32_e64 s0, v8, 0x260
	v_cndmask_b32_e64 v8, v11, v8, s0
	s_delay_alu instid0(VALU_DEP_1) | instskip(SKIP_1) | instid1(VALU_DEP_2)
	v_bfe_u32 v11, v8, 16, 1
	v_cmp_o_f32_e64 s0, v8, v8
	v_add3_u32 v11, v8, v11, 0x7fff
	s_delay_alu instid0(VALU_DEP_1) | instskip(NEXT) | instid1(VALU_DEP_1)
	v_lshrrev_b32_e32 v11, 16, v11
	v_cndmask_b32_e64 v11, 0x7fc0, v11, s0
.LBB268_25:
	s_or_b32 exec_lo, exec_lo, s2
	v_or_b32_e32 v8, 0x400, v0
	s_delay_alu instid0(VALU_DEP_1) | instskip(NEXT) | instid1(VALU_DEP_1)
	v_cmp_gt_i32_e64 s0, s16, v8
                                        ; implicit-def: $vgpr8
	s_and_saveexec_b32 s2, s0
	s_cbranch_execz .LBB268_27
; %bb.26:
	v_lshlrev_b32_e32 v8, 16, v10
	s_delay_alu instid0(VALU_DEP_1) | instskip(SKIP_1) | instid1(VALU_DEP_1)
	v_mul_f32_e32 v10, 0x4f800000, v8
	v_cmp_gt_f32_e64 s0, 0xf800000, v8
	v_cndmask_b32_e64 v8, v8, v10, s0
	s_delay_alu instid0(VALU_DEP_1) | instskip(SKIP_3) | instid1(VALU_DEP_2)
	v_sqrt_f32_e32 v10, v8
	s_waitcnt_depctr 0xfff
	v_add_nc_u32_e32 v12, -1, v10
	v_add_nc_u32_e32 v13, 1, v10
	v_fma_f32 v14, -v12, v10, v8
	s_delay_alu instid0(VALU_DEP_2) | instskip(NEXT) | instid1(VALU_DEP_2)
	v_fma_f32 v15, -v13, v10, v8
	v_cmp_ge_f32_e64 s1, 0, v14
	s_delay_alu instid0(VALU_DEP_1) | instskip(NEXT) | instid1(VALU_DEP_3)
	v_cndmask_b32_e64 v10, v10, v12, s1
	v_cmp_lt_f32_e64 s1, 0, v15
	s_delay_alu instid0(VALU_DEP_1) | instskip(NEXT) | instid1(VALU_DEP_1)
	v_cndmask_b32_e64 v10, v10, v13, s1
	v_mul_f32_e32 v12, 0x37800000, v10
	s_delay_alu instid0(VALU_DEP_1) | instskip(SKIP_1) | instid1(VALU_DEP_1)
	v_cndmask_b32_e64 v10, v10, v12, s0
	v_cmp_class_f32_e64 s0, v8, 0x260
	v_cndmask_b32_e64 v8, v10, v8, s0
	s_delay_alu instid0(VALU_DEP_1) | instskip(SKIP_1) | instid1(VALU_DEP_2)
	v_bfe_u32 v10, v8, 16, 1
	v_cmp_o_f32_e64 s0, v8, v8
	v_add3_u32 v10, v8, v10, 0x7fff
	s_delay_alu instid0(VALU_DEP_1) | instskip(NEXT) | instid1(VALU_DEP_1)
	v_lshrrev_b32_e32 v10, 16, v10
	v_cndmask_b32_e64 v8, 0x7fc0, v10, s0
.LBB268_27:
	s_or_b32 exec_lo, exec_lo, s2
	v_or_b32_e32 v10, 0x500, v0
	s_delay_alu instid0(VALU_DEP_1) | instskip(NEXT) | instid1(VALU_DEP_1)
	v_cmp_gt_i32_e64 s0, s16, v10
                                        ; implicit-def: $vgpr10
	s_and_saveexec_b32 s2, s0
	s_cbranch_execz .LBB268_29
; %bb.28:
	v_lshlrev_b32_e32 v5, 16, v5
	s_delay_alu instid0(VALU_DEP_1) | instskip(SKIP_1) | instid1(VALU_DEP_1)
	v_mul_f32_e32 v10, 0x4f800000, v5
	v_cmp_gt_f32_e64 s0, 0xf800000, v5
	v_cndmask_b32_e64 v5, v5, v10, s0
	s_delay_alu instid0(VALU_DEP_1) | instskip(SKIP_3) | instid1(VALU_DEP_2)
	v_sqrt_f32_e32 v10, v5
	s_waitcnt_depctr 0xfff
	v_add_nc_u32_e32 v12, -1, v10
	v_add_nc_u32_e32 v13, 1, v10
	v_fma_f32 v14, -v12, v10, v5
	s_delay_alu instid0(VALU_DEP_2) | instskip(NEXT) | instid1(VALU_DEP_2)
	v_fma_f32 v15, -v13, v10, v5
	v_cmp_ge_f32_e64 s1, 0, v14
	s_delay_alu instid0(VALU_DEP_1) | instskip(NEXT) | instid1(VALU_DEP_3)
	v_cndmask_b32_e64 v10, v10, v12, s1
	v_cmp_lt_f32_e64 s1, 0, v15
	s_delay_alu instid0(VALU_DEP_1) | instskip(NEXT) | instid1(VALU_DEP_1)
	v_cndmask_b32_e64 v10, v10, v13, s1
	v_mul_f32_e32 v12, 0x37800000, v10
	s_delay_alu instid0(VALU_DEP_1) | instskip(SKIP_1) | instid1(VALU_DEP_1)
	v_cndmask_b32_e64 v10, v10, v12, s0
	v_cmp_class_f32_e64 s0, v5, 0x260
	v_cndmask_b32_e64 v5, v10, v5, s0
	s_delay_alu instid0(VALU_DEP_1) | instskip(SKIP_1) | instid1(VALU_DEP_2)
	v_bfe_u32 v10, v5, 16, 1
	v_cmp_o_f32_e64 s0, v5, v5
	v_add3_u32 v10, v5, v10, 0x7fff
	s_delay_alu instid0(VALU_DEP_1) | instskip(NEXT) | instid1(VALU_DEP_1)
	v_lshrrev_b32_e32 v10, 16, v10
	v_cndmask_b32_e64 v10, 0x7fc0, v10, s0
.LBB268_29:
	s_or_b32 exec_lo, exec_lo, s2
	v_or_b32_e32 v5, 0x600, v0
	s_delay_alu instid0(VALU_DEP_1) | instskip(NEXT) | instid1(VALU_DEP_1)
	v_cmp_gt_i32_e64 s0, s16, v5
                                        ; implicit-def: $vgpr5
	s_and_saveexec_b32 s2, s0
	s_cbranch_execz .LBB268_31
; %bb.30:
	v_lshlrev_b32_e32 v5, 16, v7
	s_delay_alu instid0(VALU_DEP_1) | instskip(SKIP_1) | instid1(VALU_DEP_1)
	v_mul_f32_e32 v7, 0x4f800000, v5
	v_cmp_gt_f32_e64 s0, 0xf800000, v5
	v_cndmask_b32_e64 v5, v5, v7, s0
	s_delay_alu instid0(VALU_DEP_1) | instskip(SKIP_3) | instid1(VALU_DEP_2)
	v_sqrt_f32_e32 v7, v5
	s_waitcnt_depctr 0xfff
	v_add_nc_u32_e32 v12, -1, v7
	v_add_nc_u32_e32 v13, 1, v7
	v_fma_f32 v14, -v12, v7, v5
	s_delay_alu instid0(VALU_DEP_2) | instskip(NEXT) | instid1(VALU_DEP_2)
	v_fma_f32 v15, -v13, v7, v5
	v_cmp_ge_f32_e64 s1, 0, v14
	s_delay_alu instid0(VALU_DEP_1) | instskip(NEXT) | instid1(VALU_DEP_3)
	v_cndmask_b32_e64 v7, v7, v12, s1
	v_cmp_lt_f32_e64 s1, 0, v15
	s_delay_alu instid0(VALU_DEP_1) | instskip(NEXT) | instid1(VALU_DEP_1)
	v_cndmask_b32_e64 v7, v7, v13, s1
	v_mul_f32_e32 v12, 0x37800000, v7
	s_delay_alu instid0(VALU_DEP_1) | instskip(SKIP_1) | instid1(VALU_DEP_1)
	v_cndmask_b32_e64 v7, v7, v12, s0
	v_cmp_class_f32_e64 s0, v5, 0x260
	v_cndmask_b32_e64 v5, v7, v5, s0
	s_delay_alu instid0(VALU_DEP_1) | instskip(SKIP_1) | instid1(VALU_DEP_2)
	v_bfe_u32 v7, v5, 16, 1
	v_cmp_o_f32_e64 s0, v5, v5
	v_add3_u32 v7, v5, v7, 0x7fff
	s_delay_alu instid0(VALU_DEP_1) | instskip(NEXT) | instid1(VALU_DEP_1)
	v_lshrrev_b32_e32 v7, 16, v7
	v_cndmask_b32_e64 v5, 0x7fc0, v7, s0
.LBB268_31:
	s_or_b32 exec_lo, exec_lo, s2
	v_or_b32_e32 v7, 0x700, v0
	s_delay_alu instid0(VALU_DEP_1) | instskip(NEXT) | instid1(VALU_DEP_1)
	v_cmp_gt_i32_e64 s0, s16, v7
                                        ; implicit-def: $vgpr7
	s_and_saveexec_b32 s2, s0
	s_cbranch_execz .LBB268_44
; %bb.32:
	v_lshlrev_b32_e32 v2, 16, v2
	s_delay_alu instid0(VALU_DEP_1) | instskip(SKIP_1) | instid1(VALU_DEP_1)
	v_mul_f32_e32 v7, 0x4f800000, v2
	v_cmp_gt_f32_e64 s0, 0xf800000, v2
	v_cndmask_b32_e64 v2, v2, v7, s0
	s_delay_alu instid0(VALU_DEP_1) | instskip(SKIP_3) | instid1(VALU_DEP_2)
	v_sqrt_f32_e32 v7, v2
	s_waitcnt_depctr 0xfff
	v_add_nc_u32_e32 v12, -1, v7
	v_add_nc_u32_e32 v13, 1, v7
	v_fma_f32 v14, -v12, v7, v2
	s_delay_alu instid0(VALU_DEP_2) | instskip(NEXT) | instid1(VALU_DEP_2)
	v_fma_f32 v15, -v13, v7, v2
	v_cmp_ge_f32_e64 s1, 0, v14
	s_delay_alu instid0(VALU_DEP_1) | instskip(NEXT) | instid1(VALU_DEP_3)
	v_cndmask_b32_e64 v7, v7, v12, s1
	v_cmp_lt_f32_e64 s1, 0, v15
	s_delay_alu instid0(VALU_DEP_1) | instskip(NEXT) | instid1(VALU_DEP_1)
	v_cndmask_b32_e64 v7, v7, v13, s1
	v_mul_f32_e32 v12, 0x37800000, v7
	s_delay_alu instid0(VALU_DEP_1) | instskip(SKIP_1) | instid1(VALU_DEP_1)
	v_cndmask_b32_e64 v7, v7, v12, s0
	v_cmp_class_f32_e64 s0, v2, 0x260
	v_cndmask_b32_e64 v2, v7, v2, s0
	s_delay_alu instid0(VALU_DEP_1) | instskip(SKIP_1) | instid1(VALU_DEP_2)
	v_bfe_u32 v7, v2, 16, 1
	v_cmp_o_f32_e64 s0, v2, v2
	v_add3_u32 v7, v2, v7, 0x7fff
	s_delay_alu instid0(VALU_DEP_1) | instskip(NEXT) | instid1(VALU_DEP_1)
	v_lshrrev_b32_e32 v7, 16, v7
	v_cndmask_b32_e64 v7, 0x7fc0, v7, s0
	s_or_b32 exec_lo, exec_lo, s2
	s_and_saveexec_b32 s0, vcc_lo
	s_delay_alu instid0(SALU_CYCLE_1)
	s_xor_b32 s0, exec_lo, s0
	s_cbranch_execnz .LBB268_45
.LBB268_33:
	s_or_b32 exec_lo, exec_lo, s0
	s_delay_alu instid0(SALU_CYCLE_1)
	s_mov_b32 s0, exec_lo
	v_cmpx_gt_i32_e64 s16, v0
	s_cbranch_execz .LBB268_46
.LBB268_34:
	v_dual_mov_b32 v2, 0 :: v_dual_add_nc_u32 v1, s12, v0
	v_add_nc_u32_e32 v0, 0x100, v0
	s_delay_alu instid0(VALU_DEP_2) | instskip(NEXT) | instid1(VALU_DEP_1)
	v_lshlrev_b64 v[1:2], 1, v[1:2]
	v_add_co_u32 v1, vcc_lo, s8, v1
	s_delay_alu instid0(VALU_DEP_2) | instskip(SKIP_2) | instid1(SALU_CYCLE_1)
	v_add_co_ci_u32_e32 v2, vcc_lo, s9, v2, vcc_lo
	global_store_b16 v[1:2], v6, off
	s_or_b32 exec_lo, exec_lo, s0
	s_mov_b32 s0, exec_lo
	v_cmpx_gt_i32_e64 s16, v0
	s_cbranch_execnz .LBB268_47
.LBB268_35:
	s_or_b32 exec_lo, exec_lo, s0
	s_delay_alu instid0(SALU_CYCLE_1)
	s_mov_b32 s0, exec_lo
	v_cmpx_gt_i32_e64 s16, v0
	s_cbranch_execz .LBB268_48
.LBB268_36:
	v_dual_mov_b32 v2, 0 :: v_dual_add_nc_u32 v1, s12, v0
	v_add_nc_u32_e32 v0, 0x100, v0
	s_delay_alu instid0(VALU_DEP_2) | instskip(NEXT) | instid1(VALU_DEP_1)
	v_lshlrev_b64 v[1:2], 1, v[1:2]
	v_add_co_u32 v1, vcc_lo, s8, v1
	s_delay_alu instid0(VALU_DEP_2) | instskip(SKIP_2) | instid1(SALU_CYCLE_1)
	v_add_co_ci_u32_e32 v2, vcc_lo, s9, v2, vcc_lo
	global_store_b16 v[1:2], v11, off
	s_or_b32 exec_lo, exec_lo, s0
	s_mov_b32 s0, exec_lo
	v_cmpx_gt_i32_e64 s16, v0
	s_cbranch_execnz .LBB268_49
.LBB268_37:
	s_or_b32 exec_lo, exec_lo, s0
	s_delay_alu instid0(SALU_CYCLE_1)
	s_mov_b32 s0, exec_lo
	v_cmpx_gt_i32_e64 s16, v0
	s_cbranch_execz .LBB268_50
.LBB268_38:
	v_dual_mov_b32 v2, 0 :: v_dual_add_nc_u32 v1, s12, v0
	v_add_nc_u32_e32 v0, 0x100, v0
	s_delay_alu instid0(VALU_DEP_2) | instskip(NEXT) | instid1(VALU_DEP_1)
	v_lshlrev_b64 v[1:2], 1, v[1:2]
	v_add_co_u32 v1, vcc_lo, s8, v1
	s_delay_alu instid0(VALU_DEP_2) | instskip(SKIP_2) | instid1(SALU_CYCLE_1)
	v_add_co_ci_u32_e32 v2, vcc_lo, s9, v2, vcc_lo
	global_store_b16 v[1:2], v10, off
	s_or_b32 exec_lo, exec_lo, s0
	s_mov_b32 s0, exec_lo
	v_cmpx_gt_i32_e64 s16, v0
	s_cbranch_execnz .LBB268_51
.LBB268_39:
	s_or_b32 exec_lo, exec_lo, s0
	s_delay_alu instid0(SALU_CYCLE_1)
	s_mov_b32 s0, exec_lo
	v_cmpx_gt_i32_e64 s16, v0
	s_cbranch_execz .LBB268_41
.LBB268_40:
	v_dual_mov_b32 v1, 0 :: v_dual_add_nc_u32 v0, s12, v0
	s_delay_alu instid0(VALU_DEP_1) | instskip(NEXT) | instid1(VALU_DEP_1)
	v_lshlrev_b64 v[0:1], 1, v[0:1]
	v_add_co_u32 v0, vcc_lo, s8, v0
	s_delay_alu instid0(VALU_DEP_2)
	v_add_co_ci_u32_e32 v1, vcc_lo, s9, v1, vcc_lo
	global_store_b16 v[0:1], v7, off
.LBB268_41:
	s_nop 0
	s_sendmsg sendmsg(MSG_DEALLOC_VGPRS)
	s_endpgm
.LBB268_42:
	s_or_b32 exec_lo, exec_lo, s1
	s_delay_alu instid0(SALU_CYCLE_1)
	s_mov_b32 s1, exec_lo
	v_cmpx_gt_i32_e64 s16, v4
	s_cbranch_execz .LBB268_17
.LBB268_43:
	v_dual_mov_b32 v13, 0 :: v_dual_add_nc_u32 v12, s12, v4
	s_delay_alu instid0(VALU_DEP_1) | instskip(NEXT) | instid1(VALU_DEP_1)
	v_lshlrev_b64 v[12:13], 1, v[12:13]
	v_add_co_u32 v12, s0, s10, v12
	s_delay_alu instid0(VALU_DEP_1)
	v_add_co_ci_u32_e64 v13, s0, s11, v13, s0
	global_load_u16 v2, v[12:13], off
	s_or_b32 exec_lo, exec_lo, s1
                                        ; implicit-def: $vgpr4
	s_and_saveexec_b32 s2, vcc_lo
	s_cbranch_execz .LBB268_19
	s_branch .LBB268_18
.LBB268_44:
	s_or_b32 exec_lo, exec_lo, s2
	s_and_saveexec_b32 s0, vcc_lo
	s_delay_alu instid0(SALU_CYCLE_1)
	s_xor_b32 s0, exec_lo, s0
	s_cbranch_execz .LBB268_33
.LBB268_45:
	v_mov_b32_e32 v2, 0
	s_delay_alu instid0(VALU_DEP_1) | instskip(NEXT) | instid1(VALU_DEP_1)
	v_lshlrev_b64 v[0:1], 1, v[1:2]
	v_add_co_u32 v12, vcc_lo, s8, v0
	s_delay_alu instid0(VALU_DEP_2) | instskip(SKIP_3) | instid1(SALU_CYCLE_1)
	v_add_co_ci_u32_e32 v13, vcc_lo, s9, v1, vcc_lo
	v_mov_b32_e32 v0, v3
	global_store_b16 v[12:13], v4, off
	s_or_b32 exec_lo, exec_lo, s0
	s_mov_b32 s0, exec_lo
	v_cmpx_gt_i32_e64 s16, v0
	s_cbranch_execnz .LBB268_34
.LBB268_46:
	s_or_b32 exec_lo, exec_lo, s0
	s_delay_alu instid0(SALU_CYCLE_1)
	s_mov_b32 s0, exec_lo
	v_cmpx_gt_i32_e64 s16, v0
	s_cbranch_execz .LBB268_35
.LBB268_47:
	v_dual_mov_b32 v2, 0 :: v_dual_add_nc_u32 v1, s12, v0
	v_add_nc_u32_e32 v0, 0x100, v0
	s_delay_alu instid0(VALU_DEP_2) | instskip(NEXT) | instid1(VALU_DEP_1)
	v_lshlrev_b64 v[1:2], 1, v[1:2]
	v_add_co_u32 v1, vcc_lo, s8, v1
	s_delay_alu instid0(VALU_DEP_2) | instskip(SKIP_2) | instid1(SALU_CYCLE_1)
	v_add_co_ci_u32_e32 v2, vcc_lo, s9, v2, vcc_lo
	global_store_b16 v[1:2], v9, off
	s_or_b32 exec_lo, exec_lo, s0
	s_mov_b32 s0, exec_lo
	v_cmpx_gt_i32_e64 s16, v0
	s_cbranch_execnz .LBB268_36
.LBB268_48:
	s_or_b32 exec_lo, exec_lo, s0
	s_delay_alu instid0(SALU_CYCLE_1)
	s_mov_b32 s0, exec_lo
	v_cmpx_gt_i32_e64 s16, v0
	s_cbranch_execz .LBB268_37
.LBB268_49:
	v_dual_mov_b32 v2, 0 :: v_dual_add_nc_u32 v1, s12, v0
	v_add_nc_u32_e32 v0, 0x100, v0
	s_delay_alu instid0(VALU_DEP_2) | instskip(NEXT) | instid1(VALU_DEP_1)
	v_lshlrev_b64 v[1:2], 1, v[1:2]
	v_add_co_u32 v1, vcc_lo, s8, v1
	s_delay_alu instid0(VALU_DEP_2) | instskip(SKIP_2) | instid1(SALU_CYCLE_1)
	v_add_co_ci_u32_e32 v2, vcc_lo, s9, v2, vcc_lo
	global_store_b16 v[1:2], v8, off
	s_or_b32 exec_lo, exec_lo, s0
	s_mov_b32 s0, exec_lo
	v_cmpx_gt_i32_e64 s16, v0
	s_cbranch_execnz .LBB268_38
.LBB268_50:
	s_or_b32 exec_lo, exec_lo, s0
	s_delay_alu instid0(SALU_CYCLE_1)
	s_mov_b32 s0, exec_lo
	v_cmpx_gt_i32_e64 s16, v0
	s_cbranch_execz .LBB268_39
.LBB268_51:
	v_dual_mov_b32 v2, 0 :: v_dual_add_nc_u32 v1, s12, v0
	v_add_nc_u32_e32 v0, 0x100, v0
	s_delay_alu instid0(VALU_DEP_2) | instskip(NEXT) | instid1(VALU_DEP_1)
	v_lshlrev_b64 v[1:2], 1, v[1:2]
	v_add_co_u32 v1, vcc_lo, s8, v1
	s_delay_alu instid0(VALU_DEP_2) | instskip(SKIP_2) | instid1(SALU_CYCLE_1)
	v_add_co_ci_u32_e32 v2, vcc_lo, s9, v2, vcc_lo
	global_store_b16 v[1:2], v5, off
	s_or_b32 exec_lo, exec_lo, s0
	s_mov_b32 s0, exec_lo
	v_cmpx_gt_i32_e64 s16, v0
	s_cbranch_execnz .LBB268_40
	s_branch .LBB268_41
	.section	.rodata,"a",@progbits
	.p2align	6, 0x0
	.amdhsa_kernel _ZN2at6native29vectorized_elementwise_kernelILi4EZZZNS0_16sqrt_kernel_cudaERNS_18TensorIteratorBaseEENKUlvE0_clEvENKUlvE2_clEvEUlN3c108BFloat16EE_St5arrayIPcLm2EEEEviT0_T1_
		.amdhsa_group_segment_fixed_size 0
		.amdhsa_private_segment_fixed_size 0
		.amdhsa_kernarg_size 24
		.amdhsa_user_sgpr_count 15
		.amdhsa_user_sgpr_dispatch_ptr 0
		.amdhsa_user_sgpr_queue_ptr 0
		.amdhsa_user_sgpr_kernarg_segment_ptr 1
		.amdhsa_user_sgpr_dispatch_id 0
		.amdhsa_user_sgpr_private_segment_size 0
		.amdhsa_wavefront_size32 1
		.amdhsa_uses_dynamic_stack 0
		.amdhsa_enable_private_segment 0
		.amdhsa_system_sgpr_workgroup_id_x 1
		.amdhsa_system_sgpr_workgroup_id_y 0
		.amdhsa_system_sgpr_workgroup_id_z 0
		.amdhsa_system_sgpr_workgroup_info 0
		.amdhsa_system_vgpr_workitem_id 0
		.amdhsa_next_free_vgpr 50
		.amdhsa_next_free_sgpr 17
		.amdhsa_reserve_vcc 1
		.amdhsa_float_round_mode_32 0
		.amdhsa_float_round_mode_16_64 0
		.amdhsa_float_denorm_mode_32 3
		.amdhsa_float_denorm_mode_16_64 3
		.amdhsa_dx10_clamp 1
		.amdhsa_ieee_mode 1
		.amdhsa_fp16_overflow 0
		.amdhsa_workgroup_processor_mode 1
		.amdhsa_memory_ordered 1
		.amdhsa_forward_progress 0
		.amdhsa_shared_vgpr_count 0
		.amdhsa_exception_fp_ieee_invalid_op 0
		.amdhsa_exception_fp_denorm_src 0
		.amdhsa_exception_fp_ieee_div_zero 0
		.amdhsa_exception_fp_ieee_overflow 0
		.amdhsa_exception_fp_ieee_underflow 0
		.amdhsa_exception_fp_ieee_inexact 0
		.amdhsa_exception_int_div_zero 0
	.end_amdhsa_kernel
	.section	.text._ZN2at6native29vectorized_elementwise_kernelILi4EZZZNS0_16sqrt_kernel_cudaERNS_18TensorIteratorBaseEENKUlvE0_clEvENKUlvE2_clEvEUlN3c108BFloat16EE_St5arrayIPcLm2EEEEviT0_T1_,"axG",@progbits,_ZN2at6native29vectorized_elementwise_kernelILi4EZZZNS0_16sqrt_kernel_cudaERNS_18TensorIteratorBaseEENKUlvE0_clEvENKUlvE2_clEvEUlN3c108BFloat16EE_St5arrayIPcLm2EEEEviT0_T1_,comdat
.Lfunc_end268:
	.size	_ZN2at6native29vectorized_elementwise_kernelILi4EZZZNS0_16sqrt_kernel_cudaERNS_18TensorIteratorBaseEENKUlvE0_clEvENKUlvE2_clEvEUlN3c108BFloat16EE_St5arrayIPcLm2EEEEviT0_T1_, .Lfunc_end268-_ZN2at6native29vectorized_elementwise_kernelILi4EZZZNS0_16sqrt_kernel_cudaERNS_18TensorIteratorBaseEENKUlvE0_clEvENKUlvE2_clEvEUlN3c108BFloat16EE_St5arrayIPcLm2EEEEviT0_T1_
                                        ; -- End function
	.section	.AMDGPU.csdata,"",@progbits
; Kernel info:
; codeLenInByte = 4880
; NumSgprs: 19
; NumVgprs: 50
; ScratchSize: 0
; MemoryBound: 0
; FloatMode: 240
; IeeeMode: 1
; LDSByteSize: 0 bytes/workgroup (compile time only)
; SGPRBlocks: 2
; VGPRBlocks: 6
; NumSGPRsForWavesPerEU: 19
; NumVGPRsForWavesPerEU: 50
; Occupancy: 16
; WaveLimiterHint : 1
; COMPUTE_PGM_RSRC2:SCRATCH_EN: 0
; COMPUTE_PGM_RSRC2:USER_SGPR: 15
; COMPUTE_PGM_RSRC2:TRAP_HANDLER: 0
; COMPUTE_PGM_RSRC2:TGID_X_EN: 1
; COMPUTE_PGM_RSRC2:TGID_Y_EN: 0
; COMPUTE_PGM_RSRC2:TGID_Z_EN: 0
; COMPUTE_PGM_RSRC2:TIDIG_COMP_CNT: 0
	.section	.text._ZN2at6native29vectorized_elementwise_kernelILi2EZZZNS0_16sqrt_kernel_cudaERNS_18TensorIteratorBaseEENKUlvE0_clEvENKUlvE2_clEvEUlN3c108BFloat16EE_St5arrayIPcLm2EEEEviT0_T1_,"axG",@progbits,_ZN2at6native29vectorized_elementwise_kernelILi2EZZZNS0_16sqrt_kernel_cudaERNS_18TensorIteratorBaseEENKUlvE0_clEvENKUlvE2_clEvEUlN3c108BFloat16EE_St5arrayIPcLm2EEEEviT0_T1_,comdat
	.globl	_ZN2at6native29vectorized_elementwise_kernelILi2EZZZNS0_16sqrt_kernel_cudaERNS_18TensorIteratorBaseEENKUlvE0_clEvENKUlvE2_clEvEUlN3c108BFloat16EE_St5arrayIPcLm2EEEEviT0_T1_ ; -- Begin function _ZN2at6native29vectorized_elementwise_kernelILi2EZZZNS0_16sqrt_kernel_cudaERNS_18TensorIteratorBaseEENKUlvE0_clEvENKUlvE2_clEvEUlN3c108BFloat16EE_St5arrayIPcLm2EEEEviT0_T1_
	.p2align	8
	.type	_ZN2at6native29vectorized_elementwise_kernelILi2EZZZNS0_16sqrt_kernel_cudaERNS_18TensorIteratorBaseEENKUlvE0_clEvENKUlvE2_clEvEUlN3c108BFloat16EE_St5arrayIPcLm2EEEEviT0_T1_,@function
_ZN2at6native29vectorized_elementwise_kernelILi2EZZZNS0_16sqrt_kernel_cudaERNS_18TensorIteratorBaseEENKUlvE0_clEvENKUlvE2_clEvEUlN3c108BFloat16EE_St5arrayIPcLm2EEEEviT0_T1_: ; @_ZN2at6native29vectorized_elementwise_kernelILi2EZZZNS0_16sqrt_kernel_cudaERNS_18TensorIteratorBaseEENKUlvE0_clEvENKUlvE2_clEvEUlN3c108BFloat16EE_St5arrayIPcLm2EEEEviT0_T1_
; %bb.0:
	s_clause 0x1
	s_load_b32 s2, s[0:1], 0x0
	s_load_b128 s[8:11], s[0:1], 0x8
	s_lshl_b32 s12, s15, 11
	s_mov_b32 s0, -1
	s_waitcnt lgkmcnt(0)
	s_sub_i32 s16, s2, s12
	s_delay_alu instid0(SALU_CYCLE_1)
	s_cmpk_gt_i32 s16, 0x7ff
	s_cbranch_scc0 .LBB269_2
; %bb.1:
	s_ashr_i32 s13, s12, 31
	v_lshlrev_b32_e32 v1, 2, v0
	s_lshl_b64 s[14:15], s[12:13], 1
	s_delay_alu instid0(SALU_CYCLE_1)
	s_add_u32 s0, s10, s14
	s_addc_u32 s1, s11, s15
	s_add_u32 s14, s8, s14
	s_clause 0x3
	global_load_b32 v2, v1, s[0:1]
	global_load_b32 v3, v1, s[0:1] offset:1024
	global_load_b32 v4, v1, s[0:1] offset:2048
	;; [unrolled: 1-line block ×3, first 2 shown]
	s_addc_u32 s15, s9, s15
	s_waitcnt vmcnt(2)
	v_and_b32_e32 v7, 0xffff0000, v3
	v_lshlrev_b32_e32 v3, 16, v3
	s_delay_alu instid0(VALU_DEP_1) | instskip(SKIP_1) | instid1(VALU_DEP_1)
	v_mul_f32_e32 v12, 0x4f800000, v3
	v_cmp_gt_f32_e64 s1, 0xf800000, v3
	v_cndmask_b32_e64 v3, v3, v12, s1
	v_and_b32_e32 v6, 0xffff0000, v2
	v_lshlrev_b32_e32 v2, 16, v2
	s_delay_alu instid0(VALU_DEP_3) | instskip(NEXT) | instid1(VALU_DEP_2)
	v_sqrt_f32_e32 v12, v3
	v_cmp_gt_f32_e64 s0, 0xf800000, v6
	s_delay_alu instid0(VALU_DEP_2)
	v_mul_f32_e32 v10, 0x4f800000, v2
	v_cmp_gt_f32_e32 vcc_lo, 0xf800000, v2
	s_waitcnt vmcnt(0)
	v_and_b32_e32 v9, 0xffff0000, v5
	v_lshlrev_b32_e32 v5, 16, v5
	v_mul_f32_e32 v11, 0x4f800000, v6
	v_dual_cndmask_b32 v2, v2, v10 :: v_dual_mul_f32 v13, 0x4f800000, v7
	v_cmp_gt_f32_e64 s2, 0xf800000, v7
	s_delay_alu instid0(VALU_DEP_4)
	v_cmp_gt_f32_e64 s5, 0xf800000, v5
	v_add_nc_u32_e32 v22, -1, v12
	v_cndmask_b32_e64 v6, v6, v11, s0
	v_sqrt_f32_e32 v10, v2
	v_cndmask_b32_e64 v7, v7, v13, s2
	v_and_b32_e32 v8, 0xffff0000, v4
	v_lshlrev_b32_e32 v4, 16, v4
	v_sqrt_f32_e32 v11, v6
	v_mul_f32_e32 v17, 0x4f800000, v9
	v_sqrt_f32_e32 v13, v7
	v_mul_f32_e32 v15, 0x4f800000, v8
	v_mul_f32_e32 v14, 0x4f800000, v4
	v_cmp_gt_f32_e64 s3, 0xf800000, v4
	v_add_nc_u32_e32 v18, -1, v10
	v_cmp_gt_f32_e64 s4, 0xf800000, v8
	v_dual_mul_f32 v16, 0x4f800000, v5 :: v_dual_add_nc_u32 v19, 1, v10
	s_delay_alu instid0(VALU_DEP_4)
	v_cndmask_b32_e64 v4, v4, v14, s3
	v_add_nc_u32_e32 v20, -1, v11
	v_fma_f32 v34, -v18, v10, v2
	v_cndmask_b32_e64 v8, v8, v15, s4
	v_cndmask_b32_e64 v5, v5, v16, s5
	v_sqrt_f32_e32 v14, v4
	v_fma_f32 v36, -v20, v11, v6
	v_cmp_ge_f32_e64 s7, 0, v34
	v_cmp_gt_f32_e64 s6, 0xf800000, v9
	v_sqrt_f32_e32 v15, v8
	v_add_nc_u32_e32 v21, 1, v11
	v_add_nc_u32_e32 v24, -1, v13
	v_fma_f32 v35, -v19, v10, v2
	v_fma_f32 v38, -v22, v12, v3
	v_cndmask_b32_e64 v10, v10, v18, s7
	v_cmp_ge_f32_e64 s7, 0, v36
	v_cndmask_b32_e64 v9, v9, v17, s6
	v_sqrt_f32_e32 v16, v5
	v_add_nc_u32_e32 v23, 1, v12
	v_add_nc_u32_e32 v26, -1, v14
	v_fma_f32 v37, -v21, v11, v6
	v_fma_f32 v40, -v24, v13, v7
	v_cndmask_b32_e64 v11, v11, v20, s7
	v_cmp_ge_f32_e64 s7, 0, v38
	v_sqrt_f32_e32 v17, v9
	v_add_nc_u32_e32 v25, 1, v13
	v_add_nc_u32_e32 v28, -1, v15
	v_fma_f32 v39, -v23, v12, v3
	v_fma_f32 v42, -v26, v14, v4
	v_cndmask_b32_e64 v12, v12, v22, s7
	v_cmp_ge_f32_e64 s7, 0, v40
	v_add_nc_u32_e32 v27, 1, v14
	v_add_nc_u32_e32 v30, -1, v16
	v_fma_f32 v41, -v25, v13, v7
	v_fma_f32 v44, -v28, v15, v8
	v_cndmask_b32_e64 v13, v13, v24, s7
	v_cmp_ge_f32_e64 s7, 0, v42
	;; [unrolled: 6-line block ×3, first 2 shown]
	v_add_nc_u32_e32 v31, 1, v16
	v_fma_f32 v45, -v29, v15, v8
	v_fma_f32 v48, -v32, v17, v9
	v_add_nc_u32_e32 v33, 1, v17
	v_cndmask_b32_e64 v15, v15, v28, s7
	v_cmp_ge_f32_e64 s7, 0, v46
	v_fma_f32 v47, -v31, v16, v5
	s_delay_alu instid0(VALU_DEP_4) | instskip(NEXT) | instid1(VALU_DEP_3)
	v_fma_f32 v49, -v33, v17, v9
	v_cndmask_b32_e64 v16, v16, v30, s7
	v_cmp_ge_f32_e64 s7, 0, v48
	s_delay_alu instid0(VALU_DEP_1) | instskip(SKIP_1) | instid1(VALU_DEP_1)
	v_cndmask_b32_e64 v17, v17, v32, s7
	v_cmp_lt_f32_e64 s7, 0, v35
	v_cndmask_b32_e64 v10, v10, v19, s7
	v_cmp_lt_f32_e64 s7, 0, v37
	s_delay_alu instid0(VALU_DEP_2) | instskip(NEXT) | instid1(VALU_DEP_2)
	v_mul_f32_e32 v18, 0x37800000, v10
	v_cndmask_b32_e64 v11, v11, v21, s7
	v_cmp_lt_f32_e64 s7, 0, v39
	s_delay_alu instid0(VALU_DEP_2) | instskip(NEXT) | instid1(VALU_DEP_2)
	v_dual_cndmask_b32 v10, v10, v18 :: v_dual_mul_f32 v19, 0x37800000, v11
	v_cndmask_b32_e64 v12, v12, v23, s7
	v_cmp_lt_f32_e64 s7, 0, v41
	v_cmp_class_f32_e64 vcc_lo, v2, 0x260
	s_delay_alu instid0(VALU_DEP_4) | instskip(NEXT) | instid1(VALU_DEP_4)
	v_cndmask_b32_e64 v11, v11, v19, s0
	v_mul_f32_e32 v20, 0x37800000, v12
	s_delay_alu instid0(VALU_DEP_4)
	v_cndmask_b32_e64 v13, v13, v25, s7
	v_cmp_lt_f32_e64 s7, 0, v43
	v_cndmask_b32_e32 v2, v10, v2, vcc_lo
	v_cmp_class_f32_e64 vcc_lo, v6, 0x260
	v_cndmask_b32_e64 v12, v12, v20, s1
	v_mul_f32_e32 v21, 0x37800000, v13
	v_cndmask_b32_e64 v14, v14, v27, s7
	v_cmp_lt_f32_e64 s7, 0, v45
	v_cndmask_b32_e32 v6, v11, v6, vcc_lo
	v_cmp_class_f32_e64 vcc_lo, v3, 0x260
	v_cndmask_b32_e64 v13, v13, v21, s2
	v_mul_f32_e32 v22, 0x37800000, v14
	;; [unrolled: 6-line block ×4, first 2 shown]
	v_bfe_u32 v11, v6, 16, 1
	v_bfe_u32 v10, v2, 16, 1
	v_cndmask_b32_e32 v4, v14, v4, vcc_lo
	v_cmp_class_f32_e64 vcc_lo, v8, 0x260
	v_cndmask_b32_e64 v16, v16, v24, s5
	v_add3_u32 v11, v6, v11, 0x7fff
	v_bfe_u32 v13, v7, 16, 1
	v_add3_u32 v10, v2, v10, 0x7fff
	v_cndmask_b32_e32 v8, v15, v8, vcc_lo
	v_cndmask_b32_e64 v17, v17, v33, s7
	v_cmp_class_f32_e64 vcc_lo, v5, 0x260
	v_and_b32_e32 v11, 0xffff0000, v11
	v_bfe_u32 v12, v3, 16, 1
	v_add3_u32 v13, v7, v13, 0x7fff
	v_mul_f32_e32 v25, 0x37800000, v17
	v_cndmask_b32_e32 v5, v16, v5, vcc_lo
	v_cmp_class_f32_e64 vcc_lo, v9, 0x260
	v_lshrrev_b32_e32 v10, 16, v10
	v_bfe_u32 v15, v8, 16, 1
	v_cndmask_b32_e64 v17, v17, v25, s6
	v_add3_u32 v12, v3, v12, 0x7fff
	v_and_b32_e32 v13, 0xffff0000, v13
	v_bfe_u32 v14, v4, 16, 1
	v_add3_u32 v15, v8, v15, 0x7fff
	v_cndmask_b32_e32 v9, v17, v9, vcc_lo
	v_cmp_o_f32_e32 vcc_lo, v6, v6
	v_lshrrev_b32_e32 v12, 16, v12
	v_add3_u32 v14, v4, v14, 0x7fff
	v_and_b32_e32 v15, 0xffff0000, v15
	v_bfe_u32 v17, v9, 16, 1
	v_cndmask_b32_e32 v6, 0x7fc00000, v11, vcc_lo
	v_cmp_o_f32_e32 vcc_lo, v2, v2
	v_bfe_u32 v16, v5, 16, 1
	v_lshrrev_b32_e32 v14, 16, v14
	v_add3_u32 v17, v9, v17, 0x7fff
	s_mov_b32 s0, 0
	v_cndmask_b32_e32 v2, 0x7fc0, v10, vcc_lo
	v_cmp_o_f32_e32 vcc_lo, v7, v7
	v_add3_u32 v16, v5, v16, 0x7fff
	v_and_b32_e32 v17, 0xffff0000, v17
	s_delay_alu instid0(VALU_DEP_4)
	v_or_b32_e32 v2, v6, v2
	v_cndmask_b32_e32 v7, 0x7fc00000, v13, vcc_lo
	v_cmp_o_f32_e32 vcc_lo, v3, v3
	v_lshrrev_b32_e32 v16, 16, v16
	v_cndmask_b32_e32 v3, 0x7fc0, v12, vcc_lo
	v_cmp_o_f32_e32 vcc_lo, v8, v8
	s_delay_alu instid0(VALU_DEP_2) | instskip(SKIP_4) | instid1(VALU_DEP_2)
	v_or_b32_e32 v3, v7, v3
	v_cndmask_b32_e32 v8, 0x7fc00000, v15, vcc_lo
	v_cmp_o_f32_e32 vcc_lo, v4, v4
	v_cndmask_b32_e32 v4, 0x7fc0, v14, vcc_lo
	v_cmp_o_f32_e32 vcc_lo, v9, v9
	v_or_b32_e32 v4, v8, v4
	v_cndmask_b32_e32 v9, 0x7fc00000, v17, vcc_lo
	v_cmp_o_f32_e32 vcc_lo, v5, v5
	v_cndmask_b32_e32 v5, 0x7fc0, v16, vcc_lo
	s_delay_alu instid0(VALU_DEP_1)
	v_or_b32_e32 v5, v9, v5
	s_clause 0x3
	global_store_b32 v1, v2, s[14:15]
	global_store_b32 v1, v3, s[14:15] offset:1024
	global_store_b32 v1, v4, s[14:15] offset:2048
	;; [unrolled: 1-line block ×3, first 2 shown]
.LBB269_2:
	s_and_not1_b32 vcc_lo, exec_lo, s0
	s_cbranch_vccnz .LBB269_41
; %bb.3:
	v_cmp_gt_i32_e32 vcc_lo, s16, v0
	v_dual_mov_b32 v9, 0 :: v_dual_mov_b32 v6, 0
	v_or_b32_e32 v1, s12, v0
	v_or_b32_e32 v3, 0x100, v0
	v_mov_b32_e32 v4, v0
	s_and_saveexec_b32 s1, vcc_lo
	s_cbranch_execz .LBB269_5
; %bb.4:
	v_mov_b32_e32 v2, 0
	s_delay_alu instid0(VALU_DEP_1) | instskip(NEXT) | instid1(VALU_DEP_1)
	v_lshlrev_b64 v[4:5], 1, v[1:2]
	v_add_co_u32 v4, s0, s10, v4
	s_delay_alu instid0(VALU_DEP_1)
	v_add_co_ci_u32_e64 v5, s0, s11, v5, s0
	global_load_u16 v6, v[4:5], off
	v_or_b32_e32 v4, 0x100, v0
.LBB269_5:
	s_or_b32 exec_lo, exec_lo, s1
	s_delay_alu instid0(SALU_CYCLE_1) | instskip(NEXT) | instid1(VALU_DEP_1)
	s_mov_b32 s1, exec_lo
	v_cmpx_gt_i32_e64 s16, v4
	s_cbranch_execz .LBB269_7
; %bb.6:
	v_dual_mov_b32 v8, 0 :: v_dual_add_nc_u32 v7, s12, v4
	v_add_nc_u32_e32 v4, 0x100, v4
	s_delay_alu instid0(VALU_DEP_2) | instskip(NEXT) | instid1(VALU_DEP_1)
	v_lshlrev_b64 v[7:8], 1, v[7:8]
	v_add_co_u32 v7, s0, s10, v7
	s_delay_alu instid0(VALU_DEP_1)
	v_add_co_ci_u32_e64 v8, s0, s11, v8, s0
	global_load_u16 v9, v[7:8], off
.LBB269_7:
	s_or_b32 exec_lo, exec_lo, s1
	v_dual_mov_b32 v8, 0 :: v_dual_mov_b32 v11, 0
	s_mov_b32 s1, exec_lo
	v_cmpx_gt_i32_e64 s16, v4
	s_cbranch_execz .LBB269_9
; %bb.8:
	v_dual_mov_b32 v11, 0 :: v_dual_add_nc_u32 v10, s12, v4
	v_add_nc_u32_e32 v4, 0x100, v4
	s_delay_alu instid0(VALU_DEP_2) | instskip(NEXT) | instid1(VALU_DEP_1)
	v_lshlrev_b64 v[10:11], 1, v[10:11]
	v_add_co_u32 v10, s0, s10, v10
	s_delay_alu instid0(VALU_DEP_1)
	v_add_co_ci_u32_e64 v11, s0, s11, v11, s0
	global_load_u16 v11, v[10:11], off
.LBB269_9:
	s_or_b32 exec_lo, exec_lo, s1
	s_delay_alu instid0(SALU_CYCLE_1)
	s_mov_b32 s1, exec_lo
	v_cmpx_gt_i32_e64 s16, v4
	s_cbranch_execz .LBB269_11
; %bb.10:
	v_dual_mov_b32 v8, 0 :: v_dual_add_nc_u32 v7, s12, v4
	v_add_nc_u32_e32 v4, 0x100, v4
	s_delay_alu instid0(VALU_DEP_2) | instskip(NEXT) | instid1(VALU_DEP_1)
	v_lshlrev_b64 v[7:8], 1, v[7:8]
	v_add_co_u32 v7, s0, s10, v7
	s_delay_alu instid0(VALU_DEP_1)
	v_add_co_ci_u32_e64 v8, s0, s11, v8, s0
	global_load_u16 v8, v[7:8], off
.LBB269_11:
	s_or_b32 exec_lo, exec_lo, s1
	v_dual_mov_b32 v5, 0 :: v_dual_mov_b32 v10, 0
	s_mov_b32 s1, exec_lo
	v_cmpx_gt_i32_e64 s16, v4
	s_cbranch_execz .LBB269_13
; %bb.12:
	v_dual_mov_b32 v13, 0 :: v_dual_add_nc_u32 v12, s12, v4
	v_add_nc_u32_e32 v4, 0x100, v4
	s_delay_alu instid0(VALU_DEP_2) | instskip(NEXT) | instid1(VALU_DEP_1)
	v_lshlrev_b64 v[12:13], 1, v[12:13]
	v_add_co_u32 v12, s0, s10, v12
	s_delay_alu instid0(VALU_DEP_1)
	v_add_co_ci_u32_e64 v13, s0, s11, v13, s0
	global_load_u16 v10, v[12:13], off
.LBB269_13:
	s_or_b32 exec_lo, exec_lo, s1
	s_delay_alu instid0(SALU_CYCLE_1)
	s_mov_b32 s1, exec_lo
	v_cmpx_gt_i32_e64 s16, v4
	s_cbranch_execz .LBB269_15
; %bb.14:
	v_dual_mov_b32 v13, 0 :: v_dual_add_nc_u32 v12, s12, v4
	v_add_nc_u32_e32 v4, 0x100, v4
	s_delay_alu instid0(VALU_DEP_2) | instskip(NEXT) | instid1(VALU_DEP_1)
	v_lshlrev_b64 v[12:13], 1, v[12:13]
	v_add_co_u32 v12, s0, s10, v12
	s_delay_alu instid0(VALU_DEP_1)
	v_add_co_ci_u32_e64 v13, s0, s11, v13, s0
	global_load_u16 v5, v[12:13], off
.LBB269_15:
	s_or_b32 exec_lo, exec_lo, s1
	v_dual_mov_b32 v2, 0 :: v_dual_mov_b32 v7, 0
	s_mov_b32 s1, exec_lo
	v_cmpx_gt_i32_e64 s16, v4
	s_cbranch_execz .LBB269_42
; %bb.16:
	v_dual_mov_b32 v13, 0 :: v_dual_add_nc_u32 v12, s12, v4
	v_add_nc_u32_e32 v4, 0x100, v4
	s_delay_alu instid0(VALU_DEP_2) | instskip(NEXT) | instid1(VALU_DEP_1)
	v_lshlrev_b64 v[12:13], 1, v[12:13]
	v_add_co_u32 v12, s0, s10, v12
	s_delay_alu instid0(VALU_DEP_1) | instskip(SKIP_2) | instid1(SALU_CYCLE_1)
	v_add_co_ci_u32_e64 v13, s0, s11, v13, s0
	global_load_u16 v7, v[12:13], off
	s_or_b32 exec_lo, exec_lo, s1
	s_mov_b32 s1, exec_lo
	v_cmpx_gt_i32_e64 s16, v4
	s_cbranch_execnz .LBB269_43
.LBB269_17:
	s_or_b32 exec_lo, exec_lo, s1
                                        ; implicit-def: $vgpr4
	s_and_saveexec_b32 s2, vcc_lo
	s_cbranch_execz .LBB269_19
.LBB269_18:
	s_waitcnt vmcnt(0)
	v_lshlrev_b32_e32 v4, 16, v6
	s_delay_alu instid0(VALU_DEP_1) | instskip(SKIP_1) | instid1(VALU_DEP_1)
	v_mul_f32_e32 v6, 0x4f800000, v4
	v_cmp_gt_f32_e64 s0, 0xf800000, v4
	v_cndmask_b32_e64 v4, v4, v6, s0
	s_delay_alu instid0(VALU_DEP_1) | instskip(SKIP_3) | instid1(VALU_DEP_2)
	v_sqrt_f32_e32 v6, v4
	s_waitcnt_depctr 0xfff
	v_add_nc_u32_e32 v12, -1, v6
	v_add_nc_u32_e32 v13, 1, v6
	v_fma_f32 v14, -v12, v6, v4
	s_delay_alu instid0(VALU_DEP_2) | instskip(NEXT) | instid1(VALU_DEP_2)
	v_fma_f32 v15, -v13, v6, v4
	v_cmp_ge_f32_e64 s1, 0, v14
	s_delay_alu instid0(VALU_DEP_1) | instskip(NEXT) | instid1(VALU_DEP_3)
	v_cndmask_b32_e64 v6, v6, v12, s1
	v_cmp_lt_f32_e64 s1, 0, v15
	s_delay_alu instid0(VALU_DEP_1) | instskip(NEXT) | instid1(VALU_DEP_1)
	v_cndmask_b32_e64 v6, v6, v13, s1
	v_mul_f32_e32 v12, 0x37800000, v6
	s_delay_alu instid0(VALU_DEP_1) | instskip(SKIP_1) | instid1(VALU_DEP_1)
	v_cndmask_b32_e64 v6, v6, v12, s0
	v_cmp_class_f32_e64 s0, v4, 0x260
	v_cndmask_b32_e64 v4, v6, v4, s0
	s_delay_alu instid0(VALU_DEP_1) | instskip(SKIP_1) | instid1(VALU_DEP_2)
	v_bfe_u32 v6, v4, 16, 1
	v_cmp_o_f32_e64 s0, v4, v4
	v_add3_u32 v6, v4, v6, 0x7fff
	s_delay_alu instid0(VALU_DEP_1) | instskip(NEXT) | instid1(VALU_DEP_1)
	v_lshrrev_b32_e32 v6, 16, v6
	v_cndmask_b32_e64 v4, 0x7fc0, v6, s0
.LBB269_19:
	s_or_b32 exec_lo, exec_lo, s2
	s_delay_alu instid0(SALU_CYCLE_1)
	s_mov_b32 s2, exec_lo
                                        ; implicit-def: $vgpr6
	v_cmpx_gt_i32_e64 s16, v3
	s_cbranch_execz .LBB269_21
; %bb.20:
	s_waitcnt vmcnt(0)
	v_lshlrev_b32_e32 v6, 16, v9
	s_delay_alu instid0(VALU_DEP_1) | instskip(SKIP_1) | instid1(VALU_DEP_1)
	v_mul_f32_e32 v9, 0x4f800000, v6
	v_cmp_gt_f32_e64 s0, 0xf800000, v6
	v_cndmask_b32_e64 v6, v6, v9, s0
	s_delay_alu instid0(VALU_DEP_1) | instskip(SKIP_3) | instid1(VALU_DEP_2)
	v_sqrt_f32_e32 v9, v6
	s_waitcnt_depctr 0xfff
	v_add_nc_u32_e32 v12, -1, v9
	v_add_nc_u32_e32 v13, 1, v9
	v_fma_f32 v14, -v12, v9, v6
	s_delay_alu instid0(VALU_DEP_2) | instskip(NEXT) | instid1(VALU_DEP_2)
	v_fma_f32 v15, -v13, v9, v6
	v_cmp_ge_f32_e64 s1, 0, v14
	s_delay_alu instid0(VALU_DEP_1) | instskip(NEXT) | instid1(VALU_DEP_3)
	v_cndmask_b32_e64 v9, v9, v12, s1
	v_cmp_lt_f32_e64 s1, 0, v15
	s_delay_alu instid0(VALU_DEP_1) | instskip(NEXT) | instid1(VALU_DEP_1)
	v_cndmask_b32_e64 v9, v9, v13, s1
	v_mul_f32_e32 v12, 0x37800000, v9
	s_delay_alu instid0(VALU_DEP_1) | instskip(SKIP_1) | instid1(VALU_DEP_1)
	v_cndmask_b32_e64 v9, v9, v12, s0
	v_cmp_class_f32_e64 s0, v6, 0x260
	v_cndmask_b32_e64 v6, v9, v6, s0
	s_delay_alu instid0(VALU_DEP_1) | instskip(SKIP_1) | instid1(VALU_DEP_2)
	v_bfe_u32 v9, v6, 16, 1
	v_cmp_o_f32_e64 s0, v6, v6
	v_add3_u32 v9, v6, v9, 0x7fff
	s_delay_alu instid0(VALU_DEP_1) | instskip(NEXT) | instid1(VALU_DEP_1)
	v_lshrrev_b32_e32 v9, 16, v9
	v_cndmask_b32_e64 v6, 0x7fc0, v9, s0
.LBB269_21:
	s_or_b32 exec_lo, exec_lo, s2
	s_waitcnt vmcnt(0)
	v_or_b32_e32 v9, 0x200, v0
	s_delay_alu instid0(VALU_DEP_1) | instskip(NEXT) | instid1(VALU_DEP_1)
	v_cmp_gt_i32_e64 s0, s16, v9
                                        ; implicit-def: $vgpr9
	s_and_saveexec_b32 s2, s0
	s_cbranch_execz .LBB269_23
; %bb.22:
	v_lshlrev_b32_e32 v9, 16, v11
	s_delay_alu instid0(VALU_DEP_1) | instskip(SKIP_1) | instid1(VALU_DEP_1)
	v_mul_f32_e32 v11, 0x4f800000, v9
	v_cmp_gt_f32_e64 s0, 0xf800000, v9
	v_cndmask_b32_e64 v9, v9, v11, s0
	s_delay_alu instid0(VALU_DEP_1) | instskip(SKIP_3) | instid1(VALU_DEP_2)
	v_sqrt_f32_e32 v11, v9
	s_waitcnt_depctr 0xfff
	v_add_nc_u32_e32 v12, -1, v11
	v_add_nc_u32_e32 v13, 1, v11
	v_fma_f32 v14, -v12, v11, v9
	s_delay_alu instid0(VALU_DEP_2) | instskip(NEXT) | instid1(VALU_DEP_2)
	v_fma_f32 v15, -v13, v11, v9
	v_cmp_ge_f32_e64 s1, 0, v14
	s_delay_alu instid0(VALU_DEP_1) | instskip(NEXT) | instid1(VALU_DEP_3)
	v_cndmask_b32_e64 v11, v11, v12, s1
	v_cmp_lt_f32_e64 s1, 0, v15
	s_delay_alu instid0(VALU_DEP_1) | instskip(NEXT) | instid1(VALU_DEP_1)
	v_cndmask_b32_e64 v11, v11, v13, s1
	v_mul_f32_e32 v12, 0x37800000, v11
	s_delay_alu instid0(VALU_DEP_1) | instskip(SKIP_1) | instid1(VALU_DEP_1)
	v_cndmask_b32_e64 v11, v11, v12, s0
	v_cmp_class_f32_e64 s0, v9, 0x260
	v_cndmask_b32_e64 v9, v11, v9, s0
	s_delay_alu instid0(VALU_DEP_1) | instskip(SKIP_1) | instid1(VALU_DEP_2)
	v_bfe_u32 v11, v9, 16, 1
	v_cmp_o_f32_e64 s0, v9, v9
	v_add3_u32 v11, v9, v11, 0x7fff
	s_delay_alu instid0(VALU_DEP_1) | instskip(NEXT) | instid1(VALU_DEP_1)
	v_lshrrev_b32_e32 v11, 16, v11
	v_cndmask_b32_e64 v9, 0x7fc0, v11, s0
.LBB269_23:
	s_or_b32 exec_lo, exec_lo, s2
	v_or_b32_e32 v11, 0x300, v0
	s_delay_alu instid0(VALU_DEP_1) | instskip(NEXT) | instid1(VALU_DEP_1)
	v_cmp_gt_i32_e64 s0, s16, v11
                                        ; implicit-def: $vgpr11
	s_and_saveexec_b32 s2, s0
	s_cbranch_execz .LBB269_25
; %bb.24:
	v_lshlrev_b32_e32 v8, 16, v8
	s_delay_alu instid0(VALU_DEP_1) | instskip(SKIP_1) | instid1(VALU_DEP_1)
	v_mul_f32_e32 v11, 0x4f800000, v8
	v_cmp_gt_f32_e64 s0, 0xf800000, v8
	v_cndmask_b32_e64 v8, v8, v11, s0
	s_delay_alu instid0(VALU_DEP_1) | instskip(SKIP_3) | instid1(VALU_DEP_2)
	v_sqrt_f32_e32 v11, v8
	s_waitcnt_depctr 0xfff
	v_add_nc_u32_e32 v12, -1, v11
	v_add_nc_u32_e32 v13, 1, v11
	v_fma_f32 v14, -v12, v11, v8
	s_delay_alu instid0(VALU_DEP_2) | instskip(NEXT) | instid1(VALU_DEP_2)
	v_fma_f32 v15, -v13, v11, v8
	v_cmp_ge_f32_e64 s1, 0, v14
	s_delay_alu instid0(VALU_DEP_1) | instskip(NEXT) | instid1(VALU_DEP_3)
	v_cndmask_b32_e64 v11, v11, v12, s1
	v_cmp_lt_f32_e64 s1, 0, v15
	s_delay_alu instid0(VALU_DEP_1) | instskip(NEXT) | instid1(VALU_DEP_1)
	v_cndmask_b32_e64 v11, v11, v13, s1
	v_mul_f32_e32 v12, 0x37800000, v11
	s_delay_alu instid0(VALU_DEP_1) | instskip(SKIP_1) | instid1(VALU_DEP_1)
	v_cndmask_b32_e64 v11, v11, v12, s0
	v_cmp_class_f32_e64 s0, v8, 0x260
	v_cndmask_b32_e64 v8, v11, v8, s0
	s_delay_alu instid0(VALU_DEP_1) | instskip(SKIP_1) | instid1(VALU_DEP_2)
	v_bfe_u32 v11, v8, 16, 1
	v_cmp_o_f32_e64 s0, v8, v8
	v_add3_u32 v11, v8, v11, 0x7fff
	s_delay_alu instid0(VALU_DEP_1) | instskip(NEXT) | instid1(VALU_DEP_1)
	v_lshrrev_b32_e32 v11, 16, v11
	v_cndmask_b32_e64 v11, 0x7fc0, v11, s0
.LBB269_25:
	s_or_b32 exec_lo, exec_lo, s2
	v_or_b32_e32 v8, 0x400, v0
	s_delay_alu instid0(VALU_DEP_1) | instskip(NEXT) | instid1(VALU_DEP_1)
	v_cmp_gt_i32_e64 s0, s16, v8
                                        ; implicit-def: $vgpr8
	s_and_saveexec_b32 s2, s0
	s_cbranch_execz .LBB269_27
; %bb.26:
	v_lshlrev_b32_e32 v8, 16, v10
	s_delay_alu instid0(VALU_DEP_1) | instskip(SKIP_1) | instid1(VALU_DEP_1)
	v_mul_f32_e32 v10, 0x4f800000, v8
	v_cmp_gt_f32_e64 s0, 0xf800000, v8
	v_cndmask_b32_e64 v8, v8, v10, s0
	s_delay_alu instid0(VALU_DEP_1) | instskip(SKIP_3) | instid1(VALU_DEP_2)
	v_sqrt_f32_e32 v10, v8
	s_waitcnt_depctr 0xfff
	v_add_nc_u32_e32 v12, -1, v10
	v_add_nc_u32_e32 v13, 1, v10
	v_fma_f32 v14, -v12, v10, v8
	s_delay_alu instid0(VALU_DEP_2) | instskip(NEXT) | instid1(VALU_DEP_2)
	v_fma_f32 v15, -v13, v10, v8
	v_cmp_ge_f32_e64 s1, 0, v14
	s_delay_alu instid0(VALU_DEP_1) | instskip(NEXT) | instid1(VALU_DEP_3)
	v_cndmask_b32_e64 v10, v10, v12, s1
	v_cmp_lt_f32_e64 s1, 0, v15
	s_delay_alu instid0(VALU_DEP_1) | instskip(NEXT) | instid1(VALU_DEP_1)
	v_cndmask_b32_e64 v10, v10, v13, s1
	v_mul_f32_e32 v12, 0x37800000, v10
	s_delay_alu instid0(VALU_DEP_1) | instskip(SKIP_1) | instid1(VALU_DEP_1)
	v_cndmask_b32_e64 v10, v10, v12, s0
	v_cmp_class_f32_e64 s0, v8, 0x260
	v_cndmask_b32_e64 v8, v10, v8, s0
	s_delay_alu instid0(VALU_DEP_1) | instskip(SKIP_1) | instid1(VALU_DEP_2)
	v_bfe_u32 v10, v8, 16, 1
	v_cmp_o_f32_e64 s0, v8, v8
	v_add3_u32 v10, v8, v10, 0x7fff
	s_delay_alu instid0(VALU_DEP_1) | instskip(NEXT) | instid1(VALU_DEP_1)
	v_lshrrev_b32_e32 v10, 16, v10
	v_cndmask_b32_e64 v8, 0x7fc0, v10, s0
.LBB269_27:
	s_or_b32 exec_lo, exec_lo, s2
	v_or_b32_e32 v10, 0x500, v0
	s_delay_alu instid0(VALU_DEP_1) | instskip(NEXT) | instid1(VALU_DEP_1)
	v_cmp_gt_i32_e64 s0, s16, v10
                                        ; implicit-def: $vgpr10
	s_and_saveexec_b32 s2, s0
	s_cbranch_execz .LBB269_29
; %bb.28:
	v_lshlrev_b32_e32 v5, 16, v5
	s_delay_alu instid0(VALU_DEP_1) | instskip(SKIP_1) | instid1(VALU_DEP_1)
	v_mul_f32_e32 v10, 0x4f800000, v5
	v_cmp_gt_f32_e64 s0, 0xf800000, v5
	v_cndmask_b32_e64 v5, v5, v10, s0
	s_delay_alu instid0(VALU_DEP_1) | instskip(SKIP_3) | instid1(VALU_DEP_2)
	v_sqrt_f32_e32 v10, v5
	s_waitcnt_depctr 0xfff
	v_add_nc_u32_e32 v12, -1, v10
	v_add_nc_u32_e32 v13, 1, v10
	v_fma_f32 v14, -v12, v10, v5
	s_delay_alu instid0(VALU_DEP_2) | instskip(NEXT) | instid1(VALU_DEP_2)
	v_fma_f32 v15, -v13, v10, v5
	v_cmp_ge_f32_e64 s1, 0, v14
	s_delay_alu instid0(VALU_DEP_1) | instskip(NEXT) | instid1(VALU_DEP_3)
	v_cndmask_b32_e64 v10, v10, v12, s1
	v_cmp_lt_f32_e64 s1, 0, v15
	s_delay_alu instid0(VALU_DEP_1) | instskip(NEXT) | instid1(VALU_DEP_1)
	v_cndmask_b32_e64 v10, v10, v13, s1
	v_mul_f32_e32 v12, 0x37800000, v10
	s_delay_alu instid0(VALU_DEP_1) | instskip(SKIP_1) | instid1(VALU_DEP_1)
	v_cndmask_b32_e64 v10, v10, v12, s0
	v_cmp_class_f32_e64 s0, v5, 0x260
	v_cndmask_b32_e64 v5, v10, v5, s0
	s_delay_alu instid0(VALU_DEP_1) | instskip(SKIP_1) | instid1(VALU_DEP_2)
	v_bfe_u32 v10, v5, 16, 1
	v_cmp_o_f32_e64 s0, v5, v5
	v_add3_u32 v10, v5, v10, 0x7fff
	s_delay_alu instid0(VALU_DEP_1) | instskip(NEXT) | instid1(VALU_DEP_1)
	v_lshrrev_b32_e32 v10, 16, v10
	v_cndmask_b32_e64 v10, 0x7fc0, v10, s0
.LBB269_29:
	s_or_b32 exec_lo, exec_lo, s2
	v_or_b32_e32 v5, 0x600, v0
	s_delay_alu instid0(VALU_DEP_1) | instskip(NEXT) | instid1(VALU_DEP_1)
	v_cmp_gt_i32_e64 s0, s16, v5
                                        ; implicit-def: $vgpr5
	s_and_saveexec_b32 s2, s0
	s_cbranch_execz .LBB269_31
; %bb.30:
	v_lshlrev_b32_e32 v5, 16, v7
	s_delay_alu instid0(VALU_DEP_1) | instskip(SKIP_1) | instid1(VALU_DEP_1)
	v_mul_f32_e32 v7, 0x4f800000, v5
	v_cmp_gt_f32_e64 s0, 0xf800000, v5
	v_cndmask_b32_e64 v5, v5, v7, s0
	s_delay_alu instid0(VALU_DEP_1) | instskip(SKIP_3) | instid1(VALU_DEP_2)
	v_sqrt_f32_e32 v7, v5
	s_waitcnt_depctr 0xfff
	v_add_nc_u32_e32 v12, -1, v7
	v_add_nc_u32_e32 v13, 1, v7
	v_fma_f32 v14, -v12, v7, v5
	s_delay_alu instid0(VALU_DEP_2) | instskip(NEXT) | instid1(VALU_DEP_2)
	v_fma_f32 v15, -v13, v7, v5
	v_cmp_ge_f32_e64 s1, 0, v14
	s_delay_alu instid0(VALU_DEP_1) | instskip(NEXT) | instid1(VALU_DEP_3)
	v_cndmask_b32_e64 v7, v7, v12, s1
	v_cmp_lt_f32_e64 s1, 0, v15
	s_delay_alu instid0(VALU_DEP_1) | instskip(NEXT) | instid1(VALU_DEP_1)
	v_cndmask_b32_e64 v7, v7, v13, s1
	v_mul_f32_e32 v12, 0x37800000, v7
	s_delay_alu instid0(VALU_DEP_1) | instskip(SKIP_1) | instid1(VALU_DEP_1)
	v_cndmask_b32_e64 v7, v7, v12, s0
	v_cmp_class_f32_e64 s0, v5, 0x260
	v_cndmask_b32_e64 v5, v7, v5, s0
	s_delay_alu instid0(VALU_DEP_1) | instskip(SKIP_1) | instid1(VALU_DEP_2)
	v_bfe_u32 v7, v5, 16, 1
	v_cmp_o_f32_e64 s0, v5, v5
	v_add3_u32 v7, v5, v7, 0x7fff
	s_delay_alu instid0(VALU_DEP_1) | instskip(NEXT) | instid1(VALU_DEP_1)
	v_lshrrev_b32_e32 v7, 16, v7
	v_cndmask_b32_e64 v5, 0x7fc0, v7, s0
.LBB269_31:
	s_or_b32 exec_lo, exec_lo, s2
	v_or_b32_e32 v7, 0x700, v0
	s_delay_alu instid0(VALU_DEP_1) | instskip(NEXT) | instid1(VALU_DEP_1)
	v_cmp_gt_i32_e64 s0, s16, v7
                                        ; implicit-def: $vgpr7
	s_and_saveexec_b32 s2, s0
	s_cbranch_execz .LBB269_44
; %bb.32:
	v_lshlrev_b32_e32 v2, 16, v2
	s_delay_alu instid0(VALU_DEP_1) | instskip(SKIP_1) | instid1(VALU_DEP_1)
	v_mul_f32_e32 v7, 0x4f800000, v2
	v_cmp_gt_f32_e64 s0, 0xf800000, v2
	v_cndmask_b32_e64 v2, v2, v7, s0
	s_delay_alu instid0(VALU_DEP_1) | instskip(SKIP_3) | instid1(VALU_DEP_2)
	v_sqrt_f32_e32 v7, v2
	s_waitcnt_depctr 0xfff
	v_add_nc_u32_e32 v12, -1, v7
	v_add_nc_u32_e32 v13, 1, v7
	v_fma_f32 v14, -v12, v7, v2
	s_delay_alu instid0(VALU_DEP_2) | instskip(NEXT) | instid1(VALU_DEP_2)
	v_fma_f32 v15, -v13, v7, v2
	v_cmp_ge_f32_e64 s1, 0, v14
	s_delay_alu instid0(VALU_DEP_1) | instskip(NEXT) | instid1(VALU_DEP_3)
	v_cndmask_b32_e64 v7, v7, v12, s1
	v_cmp_lt_f32_e64 s1, 0, v15
	s_delay_alu instid0(VALU_DEP_1) | instskip(NEXT) | instid1(VALU_DEP_1)
	v_cndmask_b32_e64 v7, v7, v13, s1
	v_mul_f32_e32 v12, 0x37800000, v7
	s_delay_alu instid0(VALU_DEP_1) | instskip(SKIP_1) | instid1(VALU_DEP_1)
	v_cndmask_b32_e64 v7, v7, v12, s0
	v_cmp_class_f32_e64 s0, v2, 0x260
	v_cndmask_b32_e64 v2, v7, v2, s0
	s_delay_alu instid0(VALU_DEP_1) | instskip(SKIP_1) | instid1(VALU_DEP_2)
	v_bfe_u32 v7, v2, 16, 1
	v_cmp_o_f32_e64 s0, v2, v2
	v_add3_u32 v7, v2, v7, 0x7fff
	s_delay_alu instid0(VALU_DEP_1) | instskip(NEXT) | instid1(VALU_DEP_1)
	v_lshrrev_b32_e32 v7, 16, v7
	v_cndmask_b32_e64 v7, 0x7fc0, v7, s0
	s_or_b32 exec_lo, exec_lo, s2
	s_and_saveexec_b32 s0, vcc_lo
	s_delay_alu instid0(SALU_CYCLE_1)
	s_xor_b32 s0, exec_lo, s0
	s_cbranch_execnz .LBB269_45
.LBB269_33:
	s_or_b32 exec_lo, exec_lo, s0
	s_delay_alu instid0(SALU_CYCLE_1)
	s_mov_b32 s0, exec_lo
	v_cmpx_gt_i32_e64 s16, v0
	s_cbranch_execz .LBB269_46
.LBB269_34:
	v_dual_mov_b32 v2, 0 :: v_dual_add_nc_u32 v1, s12, v0
	v_add_nc_u32_e32 v0, 0x100, v0
	s_delay_alu instid0(VALU_DEP_2) | instskip(NEXT) | instid1(VALU_DEP_1)
	v_lshlrev_b64 v[1:2], 1, v[1:2]
	v_add_co_u32 v1, vcc_lo, s8, v1
	s_delay_alu instid0(VALU_DEP_2) | instskip(SKIP_2) | instid1(SALU_CYCLE_1)
	v_add_co_ci_u32_e32 v2, vcc_lo, s9, v2, vcc_lo
	global_store_b16 v[1:2], v6, off
	s_or_b32 exec_lo, exec_lo, s0
	s_mov_b32 s0, exec_lo
	v_cmpx_gt_i32_e64 s16, v0
	s_cbranch_execnz .LBB269_47
.LBB269_35:
	s_or_b32 exec_lo, exec_lo, s0
	s_delay_alu instid0(SALU_CYCLE_1)
	s_mov_b32 s0, exec_lo
	v_cmpx_gt_i32_e64 s16, v0
	s_cbranch_execz .LBB269_48
.LBB269_36:
	v_dual_mov_b32 v2, 0 :: v_dual_add_nc_u32 v1, s12, v0
	v_add_nc_u32_e32 v0, 0x100, v0
	s_delay_alu instid0(VALU_DEP_2) | instskip(NEXT) | instid1(VALU_DEP_1)
	v_lshlrev_b64 v[1:2], 1, v[1:2]
	v_add_co_u32 v1, vcc_lo, s8, v1
	s_delay_alu instid0(VALU_DEP_2) | instskip(SKIP_2) | instid1(SALU_CYCLE_1)
	v_add_co_ci_u32_e32 v2, vcc_lo, s9, v2, vcc_lo
	global_store_b16 v[1:2], v11, off
	s_or_b32 exec_lo, exec_lo, s0
	s_mov_b32 s0, exec_lo
	v_cmpx_gt_i32_e64 s16, v0
	s_cbranch_execnz .LBB269_49
.LBB269_37:
	s_or_b32 exec_lo, exec_lo, s0
	s_delay_alu instid0(SALU_CYCLE_1)
	s_mov_b32 s0, exec_lo
	v_cmpx_gt_i32_e64 s16, v0
	s_cbranch_execz .LBB269_50
.LBB269_38:
	v_dual_mov_b32 v2, 0 :: v_dual_add_nc_u32 v1, s12, v0
	v_add_nc_u32_e32 v0, 0x100, v0
	s_delay_alu instid0(VALU_DEP_2) | instskip(NEXT) | instid1(VALU_DEP_1)
	v_lshlrev_b64 v[1:2], 1, v[1:2]
	v_add_co_u32 v1, vcc_lo, s8, v1
	s_delay_alu instid0(VALU_DEP_2) | instskip(SKIP_2) | instid1(SALU_CYCLE_1)
	v_add_co_ci_u32_e32 v2, vcc_lo, s9, v2, vcc_lo
	global_store_b16 v[1:2], v10, off
	s_or_b32 exec_lo, exec_lo, s0
	s_mov_b32 s0, exec_lo
	v_cmpx_gt_i32_e64 s16, v0
	s_cbranch_execnz .LBB269_51
.LBB269_39:
	s_or_b32 exec_lo, exec_lo, s0
	s_delay_alu instid0(SALU_CYCLE_1)
	s_mov_b32 s0, exec_lo
	v_cmpx_gt_i32_e64 s16, v0
	s_cbranch_execz .LBB269_41
.LBB269_40:
	v_dual_mov_b32 v1, 0 :: v_dual_add_nc_u32 v0, s12, v0
	s_delay_alu instid0(VALU_DEP_1) | instskip(NEXT) | instid1(VALU_DEP_1)
	v_lshlrev_b64 v[0:1], 1, v[0:1]
	v_add_co_u32 v0, vcc_lo, s8, v0
	s_delay_alu instid0(VALU_DEP_2)
	v_add_co_ci_u32_e32 v1, vcc_lo, s9, v1, vcc_lo
	global_store_b16 v[0:1], v7, off
.LBB269_41:
	s_nop 0
	s_sendmsg sendmsg(MSG_DEALLOC_VGPRS)
	s_endpgm
.LBB269_42:
	s_or_b32 exec_lo, exec_lo, s1
	s_delay_alu instid0(SALU_CYCLE_1)
	s_mov_b32 s1, exec_lo
	v_cmpx_gt_i32_e64 s16, v4
	s_cbranch_execz .LBB269_17
.LBB269_43:
	v_dual_mov_b32 v13, 0 :: v_dual_add_nc_u32 v12, s12, v4
	s_delay_alu instid0(VALU_DEP_1) | instskip(NEXT) | instid1(VALU_DEP_1)
	v_lshlrev_b64 v[12:13], 1, v[12:13]
	v_add_co_u32 v12, s0, s10, v12
	s_delay_alu instid0(VALU_DEP_1)
	v_add_co_ci_u32_e64 v13, s0, s11, v13, s0
	global_load_u16 v2, v[12:13], off
	s_or_b32 exec_lo, exec_lo, s1
                                        ; implicit-def: $vgpr4
	s_and_saveexec_b32 s2, vcc_lo
	s_cbranch_execz .LBB269_19
	s_branch .LBB269_18
.LBB269_44:
	s_or_b32 exec_lo, exec_lo, s2
	s_and_saveexec_b32 s0, vcc_lo
	s_delay_alu instid0(SALU_CYCLE_1)
	s_xor_b32 s0, exec_lo, s0
	s_cbranch_execz .LBB269_33
.LBB269_45:
	v_mov_b32_e32 v2, 0
	s_delay_alu instid0(VALU_DEP_1) | instskip(NEXT) | instid1(VALU_DEP_1)
	v_lshlrev_b64 v[0:1], 1, v[1:2]
	v_add_co_u32 v12, vcc_lo, s8, v0
	s_delay_alu instid0(VALU_DEP_2) | instskip(SKIP_3) | instid1(SALU_CYCLE_1)
	v_add_co_ci_u32_e32 v13, vcc_lo, s9, v1, vcc_lo
	v_mov_b32_e32 v0, v3
	global_store_b16 v[12:13], v4, off
	s_or_b32 exec_lo, exec_lo, s0
	s_mov_b32 s0, exec_lo
	v_cmpx_gt_i32_e64 s16, v0
	s_cbranch_execnz .LBB269_34
.LBB269_46:
	s_or_b32 exec_lo, exec_lo, s0
	s_delay_alu instid0(SALU_CYCLE_1)
	s_mov_b32 s0, exec_lo
	v_cmpx_gt_i32_e64 s16, v0
	s_cbranch_execz .LBB269_35
.LBB269_47:
	v_dual_mov_b32 v2, 0 :: v_dual_add_nc_u32 v1, s12, v0
	v_add_nc_u32_e32 v0, 0x100, v0
	s_delay_alu instid0(VALU_DEP_2) | instskip(NEXT) | instid1(VALU_DEP_1)
	v_lshlrev_b64 v[1:2], 1, v[1:2]
	v_add_co_u32 v1, vcc_lo, s8, v1
	s_delay_alu instid0(VALU_DEP_2) | instskip(SKIP_2) | instid1(SALU_CYCLE_1)
	v_add_co_ci_u32_e32 v2, vcc_lo, s9, v2, vcc_lo
	global_store_b16 v[1:2], v9, off
	s_or_b32 exec_lo, exec_lo, s0
	s_mov_b32 s0, exec_lo
	v_cmpx_gt_i32_e64 s16, v0
	s_cbranch_execnz .LBB269_36
.LBB269_48:
	s_or_b32 exec_lo, exec_lo, s0
	s_delay_alu instid0(SALU_CYCLE_1)
	s_mov_b32 s0, exec_lo
	v_cmpx_gt_i32_e64 s16, v0
	s_cbranch_execz .LBB269_37
.LBB269_49:
	v_dual_mov_b32 v2, 0 :: v_dual_add_nc_u32 v1, s12, v0
	v_add_nc_u32_e32 v0, 0x100, v0
	s_delay_alu instid0(VALU_DEP_2) | instskip(NEXT) | instid1(VALU_DEP_1)
	v_lshlrev_b64 v[1:2], 1, v[1:2]
	v_add_co_u32 v1, vcc_lo, s8, v1
	s_delay_alu instid0(VALU_DEP_2) | instskip(SKIP_2) | instid1(SALU_CYCLE_1)
	v_add_co_ci_u32_e32 v2, vcc_lo, s9, v2, vcc_lo
	global_store_b16 v[1:2], v8, off
	s_or_b32 exec_lo, exec_lo, s0
	s_mov_b32 s0, exec_lo
	v_cmpx_gt_i32_e64 s16, v0
	s_cbranch_execnz .LBB269_38
.LBB269_50:
	s_or_b32 exec_lo, exec_lo, s0
	s_delay_alu instid0(SALU_CYCLE_1)
	s_mov_b32 s0, exec_lo
	v_cmpx_gt_i32_e64 s16, v0
	s_cbranch_execz .LBB269_39
.LBB269_51:
	v_dual_mov_b32 v2, 0 :: v_dual_add_nc_u32 v1, s12, v0
	v_add_nc_u32_e32 v0, 0x100, v0
	s_delay_alu instid0(VALU_DEP_2) | instskip(NEXT) | instid1(VALU_DEP_1)
	v_lshlrev_b64 v[1:2], 1, v[1:2]
	v_add_co_u32 v1, vcc_lo, s8, v1
	s_delay_alu instid0(VALU_DEP_2) | instskip(SKIP_2) | instid1(SALU_CYCLE_1)
	v_add_co_ci_u32_e32 v2, vcc_lo, s9, v2, vcc_lo
	global_store_b16 v[1:2], v5, off
	s_or_b32 exec_lo, exec_lo, s0
	s_mov_b32 s0, exec_lo
	v_cmpx_gt_i32_e64 s16, v0
	s_cbranch_execnz .LBB269_40
	s_branch .LBB269_41
	.section	.rodata,"a",@progbits
	.p2align	6, 0x0
	.amdhsa_kernel _ZN2at6native29vectorized_elementwise_kernelILi2EZZZNS0_16sqrt_kernel_cudaERNS_18TensorIteratorBaseEENKUlvE0_clEvENKUlvE2_clEvEUlN3c108BFloat16EE_St5arrayIPcLm2EEEEviT0_T1_
		.amdhsa_group_segment_fixed_size 0
		.amdhsa_private_segment_fixed_size 0
		.amdhsa_kernarg_size 24
		.amdhsa_user_sgpr_count 15
		.amdhsa_user_sgpr_dispatch_ptr 0
		.amdhsa_user_sgpr_queue_ptr 0
		.amdhsa_user_sgpr_kernarg_segment_ptr 1
		.amdhsa_user_sgpr_dispatch_id 0
		.amdhsa_user_sgpr_private_segment_size 0
		.amdhsa_wavefront_size32 1
		.amdhsa_uses_dynamic_stack 0
		.amdhsa_enable_private_segment 0
		.amdhsa_system_sgpr_workgroup_id_x 1
		.amdhsa_system_sgpr_workgroup_id_y 0
		.amdhsa_system_sgpr_workgroup_id_z 0
		.amdhsa_system_sgpr_workgroup_info 0
		.amdhsa_system_vgpr_workitem_id 0
		.amdhsa_next_free_vgpr 50
		.amdhsa_next_free_sgpr 17
		.amdhsa_reserve_vcc 1
		.amdhsa_float_round_mode_32 0
		.amdhsa_float_round_mode_16_64 0
		.amdhsa_float_denorm_mode_32 3
		.amdhsa_float_denorm_mode_16_64 3
		.amdhsa_dx10_clamp 1
		.amdhsa_ieee_mode 1
		.amdhsa_fp16_overflow 0
		.amdhsa_workgroup_processor_mode 1
		.amdhsa_memory_ordered 1
		.amdhsa_forward_progress 0
		.amdhsa_shared_vgpr_count 0
		.amdhsa_exception_fp_ieee_invalid_op 0
		.amdhsa_exception_fp_denorm_src 0
		.amdhsa_exception_fp_ieee_div_zero 0
		.amdhsa_exception_fp_ieee_overflow 0
		.amdhsa_exception_fp_ieee_underflow 0
		.amdhsa_exception_fp_ieee_inexact 0
		.amdhsa_exception_int_div_zero 0
	.end_amdhsa_kernel
	.section	.text._ZN2at6native29vectorized_elementwise_kernelILi2EZZZNS0_16sqrt_kernel_cudaERNS_18TensorIteratorBaseEENKUlvE0_clEvENKUlvE2_clEvEUlN3c108BFloat16EE_St5arrayIPcLm2EEEEviT0_T1_,"axG",@progbits,_ZN2at6native29vectorized_elementwise_kernelILi2EZZZNS0_16sqrt_kernel_cudaERNS_18TensorIteratorBaseEENKUlvE0_clEvENKUlvE2_clEvEUlN3c108BFloat16EE_St5arrayIPcLm2EEEEviT0_T1_,comdat
.Lfunc_end269:
	.size	_ZN2at6native29vectorized_elementwise_kernelILi2EZZZNS0_16sqrt_kernel_cudaERNS_18TensorIteratorBaseEENKUlvE0_clEvENKUlvE2_clEvEUlN3c108BFloat16EE_St5arrayIPcLm2EEEEviT0_T1_, .Lfunc_end269-_ZN2at6native29vectorized_elementwise_kernelILi2EZZZNS0_16sqrt_kernel_cudaERNS_18TensorIteratorBaseEENKUlvE0_clEvENKUlvE2_clEvEUlN3c108BFloat16EE_St5arrayIPcLm2EEEEviT0_T1_
                                        ; -- End function
	.section	.AMDGPU.csdata,"",@progbits
; Kernel info:
; codeLenInByte = 4900
; NumSgprs: 19
; NumVgprs: 50
; ScratchSize: 0
; MemoryBound: 0
; FloatMode: 240
; IeeeMode: 1
; LDSByteSize: 0 bytes/workgroup (compile time only)
; SGPRBlocks: 2
; VGPRBlocks: 6
; NumSGPRsForWavesPerEU: 19
; NumVGPRsForWavesPerEU: 50
; Occupancy: 16
; WaveLimiterHint : 1
; COMPUTE_PGM_RSRC2:SCRATCH_EN: 0
; COMPUTE_PGM_RSRC2:USER_SGPR: 15
; COMPUTE_PGM_RSRC2:TRAP_HANDLER: 0
; COMPUTE_PGM_RSRC2:TGID_X_EN: 1
; COMPUTE_PGM_RSRC2:TGID_Y_EN: 0
; COMPUTE_PGM_RSRC2:TGID_Z_EN: 0
; COMPUTE_PGM_RSRC2:TIDIG_COMP_CNT: 0
	.section	.text._ZN2at6native27unrolled_elementwise_kernelIZZZNS0_16sqrt_kernel_cudaERNS_18TensorIteratorBaseEENKUlvE0_clEvENKUlvE2_clEvEUlN3c108BFloat16EE_St5arrayIPcLm2EELi4E23TrivialOffsetCalculatorILi1EjESD_NS0_6memory15LoadWithoutCastENSE_16StoreWithoutCastEEEviT_T0_T2_T3_T4_T5_,"axG",@progbits,_ZN2at6native27unrolled_elementwise_kernelIZZZNS0_16sqrt_kernel_cudaERNS_18TensorIteratorBaseEENKUlvE0_clEvENKUlvE2_clEvEUlN3c108BFloat16EE_St5arrayIPcLm2EELi4E23TrivialOffsetCalculatorILi1EjESD_NS0_6memory15LoadWithoutCastENSE_16StoreWithoutCastEEEviT_T0_T2_T3_T4_T5_,comdat
	.globl	_ZN2at6native27unrolled_elementwise_kernelIZZZNS0_16sqrt_kernel_cudaERNS_18TensorIteratorBaseEENKUlvE0_clEvENKUlvE2_clEvEUlN3c108BFloat16EE_St5arrayIPcLm2EELi4E23TrivialOffsetCalculatorILi1EjESD_NS0_6memory15LoadWithoutCastENSE_16StoreWithoutCastEEEviT_T0_T2_T3_T4_T5_ ; -- Begin function _ZN2at6native27unrolled_elementwise_kernelIZZZNS0_16sqrt_kernel_cudaERNS_18TensorIteratorBaseEENKUlvE0_clEvENKUlvE2_clEvEUlN3c108BFloat16EE_St5arrayIPcLm2EELi4E23TrivialOffsetCalculatorILi1EjESD_NS0_6memory15LoadWithoutCastENSE_16StoreWithoutCastEEEviT_T0_T2_T3_T4_T5_
	.p2align	8
	.type	_ZN2at6native27unrolled_elementwise_kernelIZZZNS0_16sqrt_kernel_cudaERNS_18TensorIteratorBaseEENKUlvE0_clEvENKUlvE2_clEvEUlN3c108BFloat16EE_St5arrayIPcLm2EELi4E23TrivialOffsetCalculatorILi1EjESD_NS0_6memory15LoadWithoutCastENSE_16StoreWithoutCastEEEviT_T0_T2_T3_T4_T5_,@function
_ZN2at6native27unrolled_elementwise_kernelIZZZNS0_16sqrt_kernel_cudaERNS_18TensorIteratorBaseEENKUlvE0_clEvENKUlvE2_clEvEUlN3c108BFloat16EE_St5arrayIPcLm2EELi4E23TrivialOffsetCalculatorILi1EjESD_NS0_6memory15LoadWithoutCastENSE_16StoreWithoutCastEEEviT_T0_T2_T3_T4_T5_: ; @_ZN2at6native27unrolled_elementwise_kernelIZZZNS0_16sqrt_kernel_cudaERNS_18TensorIteratorBaseEENKUlvE0_clEvENKUlvE2_clEvEUlN3c108BFloat16EE_St5arrayIPcLm2EELi4E23TrivialOffsetCalculatorILi1EjESD_NS0_6memory15LoadWithoutCastENSE_16StoreWithoutCastEEEviT_T0_T2_T3_T4_T5_
; %bb.0:
	s_clause 0x1
	s_load_b32 s3, s[0:1], 0x0
	s_load_b128 s[4:7], s[0:1], 0x8
	s_lshl_b32 s2, s15, 10
	v_dual_mov_b32 v4, 0 :: v_dual_mov_b32 v5, v0
	v_mov_b32_e32 v6, 0
	v_or_b32_e32 v1, s2, v0
	v_or_b32_e32 v3, 0x100, v0
	s_waitcnt lgkmcnt(0)
	s_sub_i32 s3, s3, s2
	s_delay_alu instid0(SALU_CYCLE_1)
	v_cmp_gt_i32_e32 vcc_lo, s3, v0
	s_and_saveexec_b32 s1, vcc_lo
	s_cbranch_execz .LBB270_2
; %bb.1:
	v_mov_b32_e32 v2, 0
	s_delay_alu instid0(VALU_DEP_1) | instskip(NEXT) | instid1(VALU_DEP_1)
	v_lshlrev_b64 v[5:6], 1, v[1:2]
	v_add_co_u32 v5, s0, s6, v5
	s_delay_alu instid0(VALU_DEP_1)
	v_add_co_ci_u32_e64 v6, s0, s7, v6, s0
	global_load_u16 v2, v[5:6], off
	v_or_b32_e32 v5, 0x100, v0
	s_waitcnt vmcnt(0)
	v_lshlrev_b32_e32 v6, 16, v2
.LBB270_2:
	s_or_b32 exec_lo, exec_lo, s1
	s_delay_alu instid0(SALU_CYCLE_1)
	s_mov_b32 s1, exec_lo
	v_cmpx_gt_i32_e64 s3, v5
	s_cbranch_execz .LBB270_4
; %bb.3:
	v_dual_mov_b32 v8, 0 :: v_dual_add_nc_u32 v7, s2, v5
	v_add_nc_u32_e32 v5, 0x100, v5
	s_delay_alu instid0(VALU_DEP_2) | instskip(NEXT) | instid1(VALU_DEP_1)
	v_lshlrev_b64 v[7:8], 1, v[7:8]
	v_add_co_u32 v7, s0, s6, v7
	s_delay_alu instid0(VALU_DEP_1)
	v_add_co_ci_u32_e64 v8, s0, s7, v8, s0
	global_load_u16 v2, v[7:8], off
	s_waitcnt vmcnt(0)
	v_lshlrev_b32_e32 v4, 16, v2
.LBB270_4:
	s_or_b32 exec_lo, exec_lo, s1
	v_dual_mov_b32 v2, 0 :: v_dual_mov_b32 v7, 0
	s_mov_b32 s1, exec_lo
	v_cmpx_gt_i32_e64 s3, v5
	s_cbranch_execz .LBB270_18
; %bb.5:
	v_dual_mov_b32 v8, 0 :: v_dual_add_nc_u32 v7, s2, v5
	v_add_nc_u32_e32 v5, 0x100, v5
	s_delay_alu instid0(VALU_DEP_2) | instskip(NEXT) | instid1(VALU_DEP_1)
	v_lshlrev_b64 v[7:8], 1, v[7:8]
	v_add_co_u32 v7, s0, s6, v7
	s_delay_alu instid0(VALU_DEP_1) | instskip(SKIP_4) | instid1(SALU_CYCLE_1)
	v_add_co_ci_u32_e64 v8, s0, s7, v8, s0
	global_load_u16 v7, v[7:8], off
	s_waitcnt vmcnt(0)
	v_lshlrev_b32_e32 v7, 16, v7
	s_or_b32 exec_lo, exec_lo, s1
	s_mov_b32 s1, exec_lo
	v_cmpx_gt_i32_e64 s3, v5
	s_cbranch_execnz .LBB270_19
.LBB270_6:
	s_or_b32 exec_lo, exec_lo, s1
                                        ; implicit-def: $vgpr5
	s_and_saveexec_b32 s6, vcc_lo
	s_cbranch_execz .LBB270_8
.LBB270_7:
	v_mul_f32_e32 v5, 0x4f800000, v6
	v_cmp_gt_f32_e64 s0, 0xf800000, v6
	s_delay_alu instid0(VALU_DEP_1) | instskip(NEXT) | instid1(VALU_DEP_1)
	v_cndmask_b32_e64 v5, v6, v5, s0
	v_sqrt_f32_e32 v6, v5
	s_waitcnt_depctr 0xfff
	v_add_nc_u32_e32 v8, -1, v6
	v_add_nc_u32_e32 v9, 1, v6
	s_delay_alu instid0(VALU_DEP_2) | instskip(NEXT) | instid1(VALU_DEP_2)
	v_fma_f32 v10, -v8, v6, v5
	v_fma_f32 v11, -v9, v6, v5
	s_delay_alu instid0(VALU_DEP_2) | instskip(NEXT) | instid1(VALU_DEP_1)
	v_cmp_ge_f32_e64 s1, 0, v10
	v_cndmask_b32_e64 v6, v6, v8, s1
	s_delay_alu instid0(VALU_DEP_3) | instskip(NEXT) | instid1(VALU_DEP_1)
	v_cmp_lt_f32_e64 s1, 0, v11
	v_cndmask_b32_e64 v6, v6, v9, s1
	s_delay_alu instid0(VALU_DEP_1) | instskip(NEXT) | instid1(VALU_DEP_1)
	v_mul_f32_e32 v8, 0x37800000, v6
	v_cndmask_b32_e64 v6, v6, v8, s0
	v_cmp_class_f32_e64 s0, v5, 0x260
	s_delay_alu instid0(VALU_DEP_1) | instskip(NEXT) | instid1(VALU_DEP_1)
	v_cndmask_b32_e64 v5, v6, v5, s0
	v_bfe_u32 v6, v5, 16, 1
	v_cmp_o_f32_e64 s0, v5, v5
	s_delay_alu instid0(VALU_DEP_2) | instskip(NEXT) | instid1(VALU_DEP_1)
	v_add3_u32 v6, v5, v6, 0x7fff
	v_lshrrev_b32_e32 v6, 16, v6
	s_delay_alu instid0(VALU_DEP_1)
	v_cndmask_b32_e64 v5, 0x7fc0, v6, s0
.LBB270_8:
	s_or_b32 exec_lo, exec_lo, s6
	s_delay_alu instid0(SALU_CYCLE_1)
	s_mov_b32 s6, exec_lo
                                        ; implicit-def: $vgpr6
	v_cmpx_gt_i32_e64 s3, v3
	s_cbranch_execz .LBB270_10
; %bb.9:
	v_mul_f32_e32 v6, 0x4f800000, v4
	v_cmp_gt_f32_e64 s0, 0xf800000, v4
	s_delay_alu instid0(VALU_DEP_1) | instskip(NEXT) | instid1(VALU_DEP_1)
	v_cndmask_b32_e64 v4, v4, v6, s0
	v_sqrt_f32_e32 v6, v4
	s_waitcnt_depctr 0xfff
	v_add_nc_u32_e32 v8, -1, v6
	v_add_nc_u32_e32 v9, 1, v6
	s_delay_alu instid0(VALU_DEP_2) | instskip(NEXT) | instid1(VALU_DEP_2)
	v_fma_f32 v10, -v8, v6, v4
	v_fma_f32 v11, -v9, v6, v4
	s_delay_alu instid0(VALU_DEP_2) | instskip(NEXT) | instid1(VALU_DEP_1)
	v_cmp_ge_f32_e64 s1, 0, v10
	v_cndmask_b32_e64 v6, v6, v8, s1
	s_delay_alu instid0(VALU_DEP_3) | instskip(NEXT) | instid1(VALU_DEP_1)
	v_cmp_lt_f32_e64 s1, 0, v11
	v_cndmask_b32_e64 v6, v6, v9, s1
	s_delay_alu instid0(VALU_DEP_1) | instskip(NEXT) | instid1(VALU_DEP_1)
	v_mul_f32_e32 v8, 0x37800000, v6
	v_cndmask_b32_e64 v6, v6, v8, s0
	v_cmp_class_f32_e64 s0, v4, 0x260
	s_delay_alu instid0(VALU_DEP_1) | instskip(NEXT) | instid1(VALU_DEP_1)
	v_cndmask_b32_e64 v4, v6, v4, s0
	v_bfe_u32 v6, v4, 16, 1
	v_cmp_o_f32_e64 s0, v4, v4
	s_delay_alu instid0(VALU_DEP_2) | instskip(NEXT) | instid1(VALU_DEP_1)
	v_add3_u32 v6, v4, v6, 0x7fff
	v_lshrrev_b32_e32 v6, 16, v6
	s_delay_alu instid0(VALU_DEP_1)
	v_cndmask_b32_e64 v6, 0x7fc0, v6, s0
.LBB270_10:
	s_or_b32 exec_lo, exec_lo, s6
	v_or_b32_e32 v4, 0x200, v0
	s_delay_alu instid0(VALU_DEP_1) | instskip(NEXT) | instid1(VALU_DEP_1)
	v_cmp_gt_i32_e64 s0, s3, v4
                                        ; implicit-def: $vgpr4
	s_and_saveexec_b32 s6, s0
	s_cbranch_execz .LBB270_12
; %bb.11:
	v_mul_f32_e32 v4, 0x4f800000, v7
	v_cmp_gt_f32_e64 s0, 0xf800000, v7
	s_delay_alu instid0(VALU_DEP_1) | instskip(NEXT) | instid1(VALU_DEP_1)
	v_cndmask_b32_e64 v4, v7, v4, s0
	v_sqrt_f32_e32 v7, v4
	s_waitcnt_depctr 0xfff
	v_add_nc_u32_e32 v8, -1, v7
	v_add_nc_u32_e32 v9, 1, v7
	s_delay_alu instid0(VALU_DEP_2) | instskip(NEXT) | instid1(VALU_DEP_2)
	v_fma_f32 v10, -v8, v7, v4
	v_fma_f32 v11, -v9, v7, v4
	s_delay_alu instid0(VALU_DEP_2) | instskip(NEXT) | instid1(VALU_DEP_1)
	v_cmp_ge_f32_e64 s1, 0, v10
	v_cndmask_b32_e64 v7, v7, v8, s1
	s_delay_alu instid0(VALU_DEP_3) | instskip(NEXT) | instid1(VALU_DEP_1)
	v_cmp_lt_f32_e64 s1, 0, v11
	v_cndmask_b32_e64 v7, v7, v9, s1
	s_delay_alu instid0(VALU_DEP_1) | instskip(NEXT) | instid1(VALU_DEP_1)
	v_mul_f32_e32 v8, 0x37800000, v7
	v_cndmask_b32_e64 v7, v7, v8, s0
	v_cmp_class_f32_e64 s0, v4, 0x260
	s_delay_alu instid0(VALU_DEP_1) | instskip(NEXT) | instid1(VALU_DEP_1)
	v_cndmask_b32_e64 v4, v7, v4, s0
	v_bfe_u32 v7, v4, 16, 1
	v_cmp_o_f32_e64 s0, v4, v4
	s_delay_alu instid0(VALU_DEP_2) | instskip(NEXT) | instid1(VALU_DEP_1)
	v_add3_u32 v7, v4, v7, 0x7fff
	v_lshrrev_b32_e32 v7, 16, v7
	s_delay_alu instid0(VALU_DEP_1)
	v_cndmask_b32_e64 v4, 0x7fc0, v7, s0
.LBB270_12:
	s_or_b32 exec_lo, exec_lo, s6
	v_or_b32_e32 v7, 0x300, v0
	s_delay_alu instid0(VALU_DEP_1) | instskip(NEXT) | instid1(VALU_DEP_1)
	v_cmp_gt_i32_e64 s0, s3, v7
                                        ; implicit-def: $vgpr7
	s_and_saveexec_b32 s6, s0
	s_cbranch_execz .LBB270_20
; %bb.13:
	v_mul_f32_e32 v7, 0x4f800000, v2
	v_cmp_gt_f32_e64 s0, 0xf800000, v2
	s_delay_alu instid0(VALU_DEP_1) | instskip(NEXT) | instid1(VALU_DEP_1)
	v_cndmask_b32_e64 v2, v2, v7, s0
	v_sqrt_f32_e32 v7, v2
	s_waitcnt_depctr 0xfff
	v_add_nc_u32_e32 v8, -1, v7
	v_add_nc_u32_e32 v9, 1, v7
	s_delay_alu instid0(VALU_DEP_2) | instskip(NEXT) | instid1(VALU_DEP_2)
	v_fma_f32 v10, -v8, v7, v2
	v_fma_f32 v11, -v9, v7, v2
	s_delay_alu instid0(VALU_DEP_2) | instskip(NEXT) | instid1(VALU_DEP_1)
	v_cmp_ge_f32_e64 s1, 0, v10
	v_cndmask_b32_e64 v7, v7, v8, s1
	s_delay_alu instid0(VALU_DEP_3) | instskip(NEXT) | instid1(VALU_DEP_1)
	v_cmp_lt_f32_e64 s1, 0, v11
	v_cndmask_b32_e64 v7, v7, v9, s1
	s_delay_alu instid0(VALU_DEP_1) | instskip(NEXT) | instid1(VALU_DEP_1)
	v_mul_f32_e32 v8, 0x37800000, v7
	v_cndmask_b32_e64 v7, v7, v8, s0
	v_cmp_class_f32_e64 s0, v2, 0x260
	s_delay_alu instid0(VALU_DEP_1) | instskip(NEXT) | instid1(VALU_DEP_1)
	v_cndmask_b32_e64 v2, v7, v2, s0
	v_bfe_u32 v7, v2, 16, 1
	v_cmp_o_f32_e64 s0, v2, v2
	s_delay_alu instid0(VALU_DEP_2) | instskip(NEXT) | instid1(VALU_DEP_1)
	v_add3_u32 v7, v2, v7, 0x7fff
	v_lshrrev_b32_e32 v7, 16, v7
	s_delay_alu instid0(VALU_DEP_1) | instskip(SKIP_2) | instid1(SALU_CYCLE_1)
	v_cndmask_b32_e64 v7, 0x7fc0, v7, s0
	s_or_b32 exec_lo, exec_lo, s6
	s_and_saveexec_b32 s0, vcc_lo
	s_xor_b32 s0, exec_lo, s0
	s_cbranch_execnz .LBB270_21
.LBB270_14:
	s_or_b32 exec_lo, exec_lo, s0
	s_delay_alu instid0(SALU_CYCLE_1)
	s_mov_b32 s0, exec_lo
	v_cmpx_gt_i32_e64 s3, v0
	s_cbranch_execz .LBB270_22
.LBB270_15:
	v_dual_mov_b32 v2, 0 :: v_dual_add_nc_u32 v1, s2, v0
	v_add_nc_u32_e32 v0, 0x100, v0
	s_delay_alu instid0(VALU_DEP_2) | instskip(NEXT) | instid1(VALU_DEP_1)
	v_lshlrev_b64 v[1:2], 1, v[1:2]
	v_add_co_u32 v1, vcc_lo, s4, v1
	s_delay_alu instid0(VALU_DEP_2) | instskip(SKIP_2) | instid1(SALU_CYCLE_1)
	v_add_co_ci_u32_e32 v2, vcc_lo, s5, v2, vcc_lo
	global_store_b16 v[1:2], v6, off
	s_or_b32 exec_lo, exec_lo, s0
	s_mov_b32 s0, exec_lo
	v_cmpx_gt_i32_e64 s3, v0
	s_cbranch_execnz .LBB270_23
.LBB270_16:
	s_or_b32 exec_lo, exec_lo, s0
	s_delay_alu instid0(SALU_CYCLE_1)
	s_mov_b32 s0, exec_lo
	v_cmpx_gt_i32_e64 s3, v0
	s_cbranch_execz .LBB270_24
.LBB270_17:
	v_dual_mov_b32 v1, 0 :: v_dual_add_nc_u32 v0, s2, v0
	s_delay_alu instid0(VALU_DEP_1) | instskip(NEXT) | instid1(VALU_DEP_1)
	v_lshlrev_b64 v[0:1], 1, v[0:1]
	v_add_co_u32 v0, vcc_lo, s4, v0
	s_delay_alu instid0(VALU_DEP_2)
	v_add_co_ci_u32_e32 v1, vcc_lo, s5, v1, vcc_lo
	global_store_b16 v[0:1], v7, off
	s_nop 0
	s_sendmsg sendmsg(MSG_DEALLOC_VGPRS)
	s_endpgm
.LBB270_18:
	s_or_b32 exec_lo, exec_lo, s1
	s_delay_alu instid0(SALU_CYCLE_1)
	s_mov_b32 s1, exec_lo
	v_cmpx_gt_i32_e64 s3, v5
	s_cbranch_execz .LBB270_6
.LBB270_19:
	v_dual_mov_b32 v9, 0 :: v_dual_add_nc_u32 v8, s2, v5
	s_delay_alu instid0(VALU_DEP_1) | instskip(NEXT) | instid1(VALU_DEP_1)
	v_lshlrev_b64 v[8:9], 1, v[8:9]
	v_add_co_u32 v8, s0, s6, v8
	s_delay_alu instid0(VALU_DEP_1)
	v_add_co_ci_u32_e64 v9, s0, s7, v9, s0
	global_load_u16 v2, v[8:9], off
	s_waitcnt vmcnt(0)
	v_lshlrev_b32_e32 v2, 16, v2
	s_or_b32 exec_lo, exec_lo, s1
                                        ; implicit-def: $vgpr5
	s_and_saveexec_b32 s6, vcc_lo
	s_cbranch_execz .LBB270_8
	s_branch .LBB270_7
.LBB270_20:
	s_or_b32 exec_lo, exec_lo, s6
	s_and_saveexec_b32 s0, vcc_lo
	s_delay_alu instid0(SALU_CYCLE_1)
	s_xor_b32 s0, exec_lo, s0
	s_cbranch_execz .LBB270_14
.LBB270_21:
	v_mov_b32_e32 v2, 0
	s_delay_alu instid0(VALU_DEP_1) | instskip(NEXT) | instid1(VALU_DEP_1)
	v_lshlrev_b64 v[0:1], 1, v[1:2]
	v_add_co_u32 v8, vcc_lo, s4, v0
	s_delay_alu instid0(VALU_DEP_2) | instskip(SKIP_3) | instid1(SALU_CYCLE_1)
	v_add_co_ci_u32_e32 v9, vcc_lo, s5, v1, vcc_lo
	v_mov_b32_e32 v0, v3
	global_store_b16 v[8:9], v5, off
	s_or_b32 exec_lo, exec_lo, s0
	s_mov_b32 s0, exec_lo
	v_cmpx_gt_i32_e64 s3, v0
	s_cbranch_execnz .LBB270_15
.LBB270_22:
	s_or_b32 exec_lo, exec_lo, s0
	s_delay_alu instid0(SALU_CYCLE_1)
	s_mov_b32 s0, exec_lo
	v_cmpx_gt_i32_e64 s3, v0
	s_cbranch_execz .LBB270_16
.LBB270_23:
	v_dual_mov_b32 v2, 0 :: v_dual_add_nc_u32 v1, s2, v0
	v_add_nc_u32_e32 v0, 0x100, v0
	s_delay_alu instid0(VALU_DEP_2) | instskip(NEXT) | instid1(VALU_DEP_1)
	v_lshlrev_b64 v[1:2], 1, v[1:2]
	v_add_co_u32 v1, vcc_lo, s4, v1
	s_delay_alu instid0(VALU_DEP_2) | instskip(SKIP_2) | instid1(SALU_CYCLE_1)
	v_add_co_ci_u32_e32 v2, vcc_lo, s5, v2, vcc_lo
	global_store_b16 v[1:2], v4, off
	s_or_b32 exec_lo, exec_lo, s0
	s_mov_b32 s0, exec_lo
	v_cmpx_gt_i32_e64 s3, v0
	s_cbranch_execnz .LBB270_17
.LBB270_24:
	s_nop 0
	s_sendmsg sendmsg(MSG_DEALLOC_VGPRS)
	s_endpgm
	.section	.rodata,"a",@progbits
	.p2align	6, 0x0
	.amdhsa_kernel _ZN2at6native27unrolled_elementwise_kernelIZZZNS0_16sqrt_kernel_cudaERNS_18TensorIteratorBaseEENKUlvE0_clEvENKUlvE2_clEvEUlN3c108BFloat16EE_St5arrayIPcLm2EELi4E23TrivialOffsetCalculatorILi1EjESD_NS0_6memory15LoadWithoutCastENSE_16StoreWithoutCastEEEviT_T0_T2_T3_T4_T5_
		.amdhsa_group_segment_fixed_size 0
		.amdhsa_private_segment_fixed_size 0
		.amdhsa_kernarg_size 28
		.amdhsa_user_sgpr_count 15
		.amdhsa_user_sgpr_dispatch_ptr 0
		.amdhsa_user_sgpr_queue_ptr 0
		.amdhsa_user_sgpr_kernarg_segment_ptr 1
		.amdhsa_user_sgpr_dispatch_id 0
		.amdhsa_user_sgpr_private_segment_size 0
		.amdhsa_wavefront_size32 1
		.amdhsa_uses_dynamic_stack 0
		.amdhsa_enable_private_segment 0
		.amdhsa_system_sgpr_workgroup_id_x 1
		.amdhsa_system_sgpr_workgroup_id_y 0
		.amdhsa_system_sgpr_workgroup_id_z 0
		.amdhsa_system_sgpr_workgroup_info 0
		.amdhsa_system_vgpr_workitem_id 0
		.amdhsa_next_free_vgpr 12
		.amdhsa_next_free_sgpr 16
		.amdhsa_reserve_vcc 1
		.amdhsa_float_round_mode_32 0
		.amdhsa_float_round_mode_16_64 0
		.amdhsa_float_denorm_mode_32 3
		.amdhsa_float_denorm_mode_16_64 3
		.amdhsa_dx10_clamp 1
		.amdhsa_ieee_mode 1
		.amdhsa_fp16_overflow 0
		.amdhsa_workgroup_processor_mode 1
		.amdhsa_memory_ordered 1
		.amdhsa_forward_progress 0
		.amdhsa_shared_vgpr_count 0
		.amdhsa_exception_fp_ieee_invalid_op 0
		.amdhsa_exception_fp_denorm_src 0
		.amdhsa_exception_fp_ieee_div_zero 0
		.amdhsa_exception_fp_ieee_overflow 0
		.amdhsa_exception_fp_ieee_underflow 0
		.amdhsa_exception_fp_ieee_inexact 0
		.amdhsa_exception_int_div_zero 0
	.end_amdhsa_kernel
	.section	.text._ZN2at6native27unrolled_elementwise_kernelIZZZNS0_16sqrt_kernel_cudaERNS_18TensorIteratorBaseEENKUlvE0_clEvENKUlvE2_clEvEUlN3c108BFloat16EE_St5arrayIPcLm2EELi4E23TrivialOffsetCalculatorILi1EjESD_NS0_6memory15LoadWithoutCastENSE_16StoreWithoutCastEEEviT_T0_T2_T3_T4_T5_,"axG",@progbits,_ZN2at6native27unrolled_elementwise_kernelIZZZNS0_16sqrt_kernel_cudaERNS_18TensorIteratorBaseEENKUlvE0_clEvENKUlvE2_clEvEUlN3c108BFloat16EE_St5arrayIPcLm2EELi4E23TrivialOffsetCalculatorILi1EjESD_NS0_6memory15LoadWithoutCastENSE_16StoreWithoutCastEEEviT_T0_T2_T3_T4_T5_,comdat
.Lfunc_end270:
	.size	_ZN2at6native27unrolled_elementwise_kernelIZZZNS0_16sqrt_kernel_cudaERNS_18TensorIteratorBaseEENKUlvE0_clEvENKUlvE2_clEvEUlN3c108BFloat16EE_St5arrayIPcLm2EELi4E23TrivialOffsetCalculatorILi1EjESD_NS0_6memory15LoadWithoutCastENSE_16StoreWithoutCastEEEviT_T0_T2_T3_T4_T5_, .Lfunc_end270-_ZN2at6native27unrolled_elementwise_kernelIZZZNS0_16sqrt_kernel_cudaERNS_18TensorIteratorBaseEENKUlvE0_clEvENKUlvE2_clEvEUlN3c108BFloat16EE_St5arrayIPcLm2EELi4E23TrivialOffsetCalculatorILi1EjESD_NS0_6memory15LoadWithoutCastENSE_16StoreWithoutCastEEEviT_T0_T2_T3_T4_T5_
                                        ; -- End function
	.section	.AMDGPU.csdata,"",@progbits
; Kernel info:
; codeLenInByte = 1728
; NumSgprs: 18
; NumVgprs: 12
; ScratchSize: 0
; MemoryBound: 0
; FloatMode: 240
; IeeeMode: 1
; LDSByteSize: 0 bytes/workgroup (compile time only)
; SGPRBlocks: 2
; VGPRBlocks: 1
; NumSGPRsForWavesPerEU: 18
; NumVGPRsForWavesPerEU: 12
; Occupancy: 16
; WaveLimiterHint : 0
; COMPUTE_PGM_RSRC2:SCRATCH_EN: 0
; COMPUTE_PGM_RSRC2:USER_SGPR: 15
; COMPUTE_PGM_RSRC2:TRAP_HANDLER: 0
; COMPUTE_PGM_RSRC2:TGID_X_EN: 1
; COMPUTE_PGM_RSRC2:TGID_Y_EN: 0
; COMPUTE_PGM_RSRC2:TGID_Z_EN: 0
; COMPUTE_PGM_RSRC2:TIDIG_COMP_CNT: 0
	.section	.text._ZN2at6native32elementwise_kernel_manual_unrollILi128ELi8EZNS0_22gpu_kernel_impl_nocastIZZZNS0_16sqrt_kernel_cudaERNS_18TensorIteratorBaseEENKUlvE0_clEvENKUlvE2_clEvEUlN3c108BFloat16EE_EEvS4_RKT_EUlibE_EEviT1_,"axG",@progbits,_ZN2at6native32elementwise_kernel_manual_unrollILi128ELi8EZNS0_22gpu_kernel_impl_nocastIZZZNS0_16sqrt_kernel_cudaERNS_18TensorIteratorBaseEENKUlvE0_clEvENKUlvE2_clEvEUlN3c108BFloat16EE_EEvS4_RKT_EUlibE_EEviT1_,comdat
	.globl	_ZN2at6native32elementwise_kernel_manual_unrollILi128ELi8EZNS0_22gpu_kernel_impl_nocastIZZZNS0_16sqrt_kernel_cudaERNS_18TensorIteratorBaseEENKUlvE0_clEvENKUlvE2_clEvEUlN3c108BFloat16EE_EEvS4_RKT_EUlibE_EEviT1_ ; -- Begin function _ZN2at6native32elementwise_kernel_manual_unrollILi128ELi8EZNS0_22gpu_kernel_impl_nocastIZZZNS0_16sqrt_kernel_cudaERNS_18TensorIteratorBaseEENKUlvE0_clEvENKUlvE2_clEvEUlN3c108BFloat16EE_EEvS4_RKT_EUlibE_EEviT1_
	.p2align	8
	.type	_ZN2at6native32elementwise_kernel_manual_unrollILi128ELi8EZNS0_22gpu_kernel_impl_nocastIZZZNS0_16sqrt_kernel_cudaERNS_18TensorIteratorBaseEENKUlvE0_clEvENKUlvE2_clEvEUlN3c108BFloat16EE_EEvS4_RKT_EUlibE_EEviT1_,@function
_ZN2at6native32elementwise_kernel_manual_unrollILi128ELi8EZNS0_22gpu_kernel_impl_nocastIZZZNS0_16sqrt_kernel_cudaERNS_18TensorIteratorBaseEENKUlvE0_clEvENKUlvE2_clEvEUlN3c108BFloat16EE_EEvS4_RKT_EUlibE_EEviT1_: ; @_ZN2at6native32elementwise_kernel_manual_unrollILi128ELi8EZNS0_22gpu_kernel_impl_nocastIZZZNS0_16sqrt_kernel_cudaERNS_18TensorIteratorBaseEENKUlvE0_clEvENKUlvE2_clEvEUlN3c108BFloat16EE_EEvS4_RKT_EUlibE_EEviT1_
; %bb.0:
	s_clause 0x1
	s_load_b32 s22, s[0:1], 0x8
	s_load_b32 s27, s[0:1], 0x0
	v_lshl_or_b32 v12, s15, 10, v0
	s_or_b32 s0, s0, 8
	s_mov_b32 s2, exec_lo
	s_delay_alu instid0(VALU_DEP_1) | instskip(SKIP_2) | instid1(SALU_CYCLE_1)
	v_or_b32_e32 v16, 0x380, v12
	s_waitcnt lgkmcnt(0)
	s_add_i32 s23, s22, -1
	s_cmp_gt_u32 s23, 1
	s_cselect_b32 s24, -1, 0
	v_cmpx_le_i32_e64 s27, v16
	s_xor_b32 s25, exec_lo, s2
	s_cbranch_execz .LBB271_7
; %bb.1:
	s_clause 0x3
	s_load_b128 s[12:15], s[0:1], 0x4
	s_load_b64 s[16:17], s[0:1], 0x14
	s_load_b128 s[8:11], s[0:1], 0xc4
	s_load_b128 s[4:7], s[0:1], 0x148
	s_cmp_lg_u32 s22, 0
	s_mov_b32 s30, exec_lo
	s_cselect_b32 s29, -1, 0
	s_add_u32 s18, s0, 0xc4
	s_addc_u32 s19, s1, 0
	s_min_u32 s28, s23, 15
	s_cmp_gt_u32 s22, 1
	s_cselect_b32 s26, -1, 0
	v_cmpx_gt_i32_e64 s27, v12
	s_cbranch_execz .LBB271_14
; %bb.2:
	s_and_not1_b32 vcc_lo, exec_lo, s24
	s_cbranch_vccnz .LBB271_21
; %bb.3:
	v_dual_mov_b32 v0, 0 :: v_dual_mov_b32 v1, 0
	s_and_not1_b32 vcc_lo, exec_lo, s29
	s_mov_b32 s31, 0
	s_cbranch_vccnz .LBB271_125
; %bb.4:
	v_mov_b32_e32 v0, 0
	s_add_i32 s34, s28, 1
	s_cmp_eq_u32 s23, 2
	s_mov_b32 s33, 0
	s_cbranch_scc1 .LBB271_121
; %bb.5:
	v_dual_mov_b32 v1, 0 :: v_dual_mov_b32 v0, 0
	v_mov_b32_e32 v2, v12
	s_and_b32 s33, s34, 28
	s_mov_b32 s35, 0
	s_mov_b64 s[2:3], s[18:19]
	s_mov_b64 s[20:21], s[0:1]
.LBB271_6:                              ; =>This Inner Loop Header: Depth=1
	s_clause 0x1
	s_load_b256 s[36:43], s[20:21], 0x4
	s_load_b128 s[52:55], s[20:21], 0x24
	s_load_b256 s[44:51], s[2:3], 0x0
	s_add_u32 s20, s20, 48
	s_addc_u32 s21, s21, 0
	s_add_i32 s35, s35, 4
	s_add_u32 s2, s2, 32
	s_addc_u32 s3, s3, 0
	s_cmp_lg_u32 s33, s35
	s_waitcnt lgkmcnt(0)
	v_mul_hi_u32 v3, s37, v2
	s_delay_alu instid0(VALU_DEP_1) | instskip(NEXT) | instid1(VALU_DEP_1)
	v_add_nc_u32_e32 v3, v2, v3
	v_lshrrev_b32_e32 v3, s38, v3
	s_delay_alu instid0(VALU_DEP_1) | instskip(SKIP_1) | instid1(VALU_DEP_2)
	v_mul_hi_u32 v4, s40, v3
	v_mul_lo_u32 v6, v3, s36
	v_add_nc_u32_e32 v4, v3, v4
	s_delay_alu instid0(VALU_DEP_2) | instskip(NEXT) | instid1(VALU_DEP_2)
	v_sub_nc_u32_e32 v2, v2, v6
	v_lshrrev_b32_e32 v4, s41, v4
	s_delay_alu instid0(VALU_DEP_2) | instskip(SKIP_1) | instid1(VALU_DEP_3)
	v_mul_lo_u32 v6, v2, s44
	v_mul_lo_u32 v8, v2, s45
	v_mul_hi_u32 v5, s43, v4
	s_delay_alu instid0(VALU_DEP_1) | instskip(NEXT) | instid1(VALU_DEP_1)
	v_add_nc_u32_e32 v5, v4, v5
	v_lshrrev_b32_e32 v5, s52, v5
	s_delay_alu instid0(VALU_DEP_1) | instskip(SKIP_1) | instid1(VALU_DEP_2)
	v_mul_hi_u32 v7, s54, v5
	v_mul_lo_u32 v9, v5, s42
	v_add_nc_u32_e32 v2, v5, v7
	v_mul_lo_u32 v7, v4, s39
	s_delay_alu instid0(VALU_DEP_3) | instskip(NEXT) | instid1(VALU_DEP_3)
	v_sub_nc_u32_e32 v4, v4, v9
	v_lshrrev_b32_e32 v2, s55, v2
	s_delay_alu instid0(VALU_DEP_2) | instskip(SKIP_2) | instid1(VALU_DEP_4)
	v_mul_lo_u32 v9, v4, s48
	v_mul_lo_u32 v4, v4, s49
	v_sub_nc_u32_e32 v3, v3, v7
	v_mul_lo_u32 v10, v2, s53
	s_delay_alu instid0(VALU_DEP_2) | instskip(SKIP_1) | instid1(VALU_DEP_3)
	v_mul_lo_u32 v7, v3, s46
	v_mul_lo_u32 v3, v3, s47
	v_sub_nc_u32_e32 v5, v5, v10
	s_delay_alu instid0(VALU_DEP_3) | instskip(NEXT) | instid1(VALU_DEP_2)
	v_add3_u32 v0, v6, v0, v7
	v_mul_lo_u32 v10, v5, s50
	v_mul_lo_u32 v5, v5, s51
	v_add3_u32 v1, v8, v1, v3
	s_delay_alu instid0(VALU_DEP_3) | instskip(NEXT) | instid1(VALU_DEP_2)
	v_add3_u32 v0, v9, v0, v10
	v_add3_u32 v1, v4, v1, v5
	s_cbranch_scc1 .LBB271_6
	s_branch .LBB271_122
.LBB271_7:
	s_and_not1_saveexec_b32 s2, s25
	s_cbranch_execz .LBB271_206
.LBB271_8:
	v_cndmask_b32_e64 v14, 0, 1, s24
	s_and_not1_b32 vcc_lo, exec_lo, s24
	s_cbranch_vccnz .LBB271_20
; %bb.9:
	v_mov_b32_e32 v0, 0
	v_mov_b32_e32 v2, 0
	s_cmp_lg_u32 s22, 0
	s_waitcnt lgkmcnt(0)
	s_mov_b32 s6, 0
	s_cbranch_scc0 .LBB271_26
; %bb.10:
	s_min_u32 s7, s23, 15
	v_mov_b32_e32 v0, 0
	s_add_i32 s7, s7, 1
	s_cmp_eq_u32 s23, 2
	s_mov_b32 s8, 0
	s_cbranch_scc1 .LBB271_23
; %bb.11:
	v_dual_mov_b32 v2, 0 :: v_dual_mov_b32 v1, v12
	v_mov_b32_e32 v0, 0
	s_add_u32 s2, s0, 0xc4
	s_addc_u32 s3, s1, 0
	s_and_b32 s8, s7, 28
	s_mov_b32 s9, 0
	s_mov_b64 s[4:5], s[0:1]
.LBB271_12:                             ; =>This Inner Loop Header: Depth=1
	s_clause 0x1
	s_load_b256 s[12:19], s[4:5], 0x4
	s_load_b128 s[36:39], s[4:5], 0x24
	s_load_b256 s[24:31], s[2:3], 0x0
	s_add_u32 s4, s4, 48
	s_addc_u32 s5, s5, 0
	s_add_i32 s9, s9, 4
	s_add_u32 s2, s2, 32
	s_addc_u32 s3, s3, 0
	s_cmp_lg_u32 s8, s9
	s_waitcnt lgkmcnt(0)
	v_mul_hi_u32 v3, s13, v1
	s_delay_alu instid0(VALU_DEP_1) | instskip(NEXT) | instid1(VALU_DEP_1)
	v_add_nc_u32_e32 v3, v1, v3
	v_lshrrev_b32_e32 v3, s14, v3
	s_delay_alu instid0(VALU_DEP_1) | instskip(SKIP_1) | instid1(VALU_DEP_2)
	v_mul_hi_u32 v4, s16, v3
	v_mul_lo_u32 v6, v3, s12
	v_add_nc_u32_e32 v4, v3, v4
	s_delay_alu instid0(VALU_DEP_2) | instskip(NEXT) | instid1(VALU_DEP_2)
	v_sub_nc_u32_e32 v1, v1, v6
	v_lshrrev_b32_e32 v4, s17, v4
	s_delay_alu instid0(VALU_DEP_2) | instskip(SKIP_1) | instid1(VALU_DEP_3)
	v_mul_lo_u32 v6, v1, s24
	v_mul_lo_u32 v8, v1, s25
	v_mul_hi_u32 v5, s19, v4
	s_delay_alu instid0(VALU_DEP_1) | instskip(NEXT) | instid1(VALU_DEP_1)
	v_add_nc_u32_e32 v5, v4, v5
	v_lshrrev_b32_e32 v5, s36, v5
	s_delay_alu instid0(VALU_DEP_1) | instskip(SKIP_1) | instid1(VALU_DEP_2)
	v_mul_hi_u32 v7, s38, v5
	v_mul_lo_u32 v9, v5, s18
	v_add_nc_u32_e32 v1, v5, v7
	v_mul_lo_u32 v7, v4, s15
	s_delay_alu instid0(VALU_DEP_3) | instskip(NEXT) | instid1(VALU_DEP_3)
	v_sub_nc_u32_e32 v4, v4, v9
	v_lshrrev_b32_e32 v1, s39, v1
	s_delay_alu instid0(VALU_DEP_2) | instskip(SKIP_2) | instid1(VALU_DEP_4)
	v_mul_lo_u32 v9, v4, s28
	v_mul_lo_u32 v4, v4, s29
	v_sub_nc_u32_e32 v3, v3, v7
	v_mul_lo_u32 v10, v1, s37
	s_delay_alu instid0(VALU_DEP_2) | instskip(SKIP_1) | instid1(VALU_DEP_3)
	v_mul_lo_u32 v7, v3, s26
	v_mul_lo_u32 v3, v3, s27
	v_sub_nc_u32_e32 v5, v5, v10
	s_delay_alu instid0(VALU_DEP_3) | instskip(NEXT) | instid1(VALU_DEP_2)
	v_add3_u32 v0, v6, v0, v7
	v_mul_lo_u32 v10, v5, s30
	v_mul_lo_u32 v5, v5, s31
	v_add3_u32 v2, v8, v2, v3
	s_delay_alu instid0(VALU_DEP_3) | instskip(NEXT) | instid1(VALU_DEP_2)
	v_add3_u32 v0, v9, v0, v10
	v_add3_u32 v2, v4, v2, v5
	s_cbranch_scc1 .LBB271_12
; %bb.13:
	s_and_b32 s7, s7, 3
	s_delay_alu instid0(SALU_CYCLE_1)
	s_cmp_eq_u32 s7, 0
	s_cbranch_scc0 .LBB271_24
	s_branch .LBB271_26
.LBB271_14:
	s_or_b32 exec_lo, exec_lo, s30
	s_delay_alu instid0(SALU_CYCLE_1)
	s_mov_b32 s30, exec_lo
	v_cmpx_gt_i32_e64 s27, v12
	s_cbranch_execz .LBB271_129
.LBB271_15:
	s_and_not1_b32 vcc_lo, exec_lo, s24
	s_cbranch_vccnz .LBB271_22
; %bb.16:
	v_dual_mov_b32 v0, 0 :: v_dual_mov_b32 v1, 0
	s_and_not1_b32 vcc_lo, exec_lo, s29
	s_mov_b32 s31, 0
	s_cbranch_vccnz .LBB271_140
; %bb.17:
	v_mov_b32_e32 v0, 0
	s_add_i32 s34, s28, 1
	s_cmp_eq_u32 s23, 2
	s_mov_b32 s33, 0
	s_cbranch_scc1 .LBB271_136
; %bb.18:
	v_dual_mov_b32 v1, 0 :: v_dual_mov_b32 v0, 0
	v_mov_b32_e32 v2, v12
	s_and_b32 s33, s34, 28
	s_mov_b32 s35, 0
	s_mov_b64 s[2:3], s[18:19]
	s_mov_b64 s[20:21], s[0:1]
.LBB271_19:                             ; =>This Inner Loop Header: Depth=1
	s_clause 0x1
	s_load_b256 s[36:43], s[20:21], 0x4
	s_load_b128 s[52:55], s[20:21], 0x24
	s_load_b256 s[44:51], s[2:3], 0x0
	s_add_u32 s20, s20, 48
	s_addc_u32 s21, s21, 0
	s_add_i32 s35, s35, 4
	s_add_u32 s2, s2, 32
	s_addc_u32 s3, s3, 0
	s_cmp_eq_u32 s33, s35
	s_waitcnt lgkmcnt(0)
	v_mul_hi_u32 v3, s37, v2
	s_delay_alu instid0(VALU_DEP_1) | instskip(NEXT) | instid1(VALU_DEP_1)
	v_add_nc_u32_e32 v3, v2, v3
	v_lshrrev_b32_e32 v3, s38, v3
	s_delay_alu instid0(VALU_DEP_1) | instskip(SKIP_1) | instid1(VALU_DEP_2)
	v_mul_hi_u32 v4, s40, v3
	v_mul_lo_u32 v6, v3, s36
	v_add_nc_u32_e32 v4, v3, v4
	s_delay_alu instid0(VALU_DEP_2) | instskip(NEXT) | instid1(VALU_DEP_2)
	v_sub_nc_u32_e32 v2, v2, v6
	v_lshrrev_b32_e32 v4, s41, v4
	s_delay_alu instid0(VALU_DEP_2) | instskip(SKIP_1) | instid1(VALU_DEP_3)
	v_mul_lo_u32 v6, v2, s44
	v_mul_lo_u32 v8, v2, s45
	v_mul_hi_u32 v5, s43, v4
	s_delay_alu instid0(VALU_DEP_1) | instskip(NEXT) | instid1(VALU_DEP_1)
	v_add_nc_u32_e32 v5, v4, v5
	v_lshrrev_b32_e32 v5, s52, v5
	s_delay_alu instid0(VALU_DEP_1) | instskip(SKIP_1) | instid1(VALU_DEP_2)
	v_mul_hi_u32 v7, s54, v5
	v_mul_lo_u32 v9, v5, s42
	v_add_nc_u32_e32 v2, v5, v7
	v_mul_lo_u32 v7, v4, s39
	s_delay_alu instid0(VALU_DEP_3) | instskip(NEXT) | instid1(VALU_DEP_3)
	v_sub_nc_u32_e32 v4, v4, v9
	v_lshrrev_b32_e32 v2, s55, v2
	s_delay_alu instid0(VALU_DEP_2) | instskip(SKIP_2) | instid1(VALU_DEP_4)
	v_mul_lo_u32 v9, v4, s48
	v_mul_lo_u32 v4, v4, s49
	v_sub_nc_u32_e32 v3, v3, v7
	v_mul_lo_u32 v10, v2, s53
	s_delay_alu instid0(VALU_DEP_2) | instskip(SKIP_1) | instid1(VALU_DEP_3)
	v_mul_lo_u32 v7, v3, s46
	v_mul_lo_u32 v3, v3, s47
	v_sub_nc_u32_e32 v5, v5, v10
	s_delay_alu instid0(VALU_DEP_3) | instskip(NEXT) | instid1(VALU_DEP_2)
	v_add3_u32 v0, v6, v0, v7
	v_mul_lo_u32 v10, v5, s50
	v_mul_lo_u32 v5, v5, s51
	v_add3_u32 v1, v8, v1, v3
	s_delay_alu instid0(VALU_DEP_3) | instskip(NEXT) | instid1(VALU_DEP_2)
	v_add3_u32 v0, v9, v0, v10
	v_add3_u32 v1, v4, v1, v5
	s_cbranch_scc0 .LBB271_19
	s_branch .LBB271_137
.LBB271_20:
	s_waitcnt lgkmcnt(0)
	s_mov_b32 s6, -1
                                        ; implicit-def: $vgpr0
                                        ; implicit-def: $vgpr2
	s_branch .LBB271_26
.LBB271_21:
	s_mov_b32 s31, -1
                                        ; implicit-def: $vgpr0
                                        ; implicit-def: $vgpr1
	s_branch .LBB271_125
.LBB271_22:
	s_mov_b32 s31, -1
                                        ; implicit-def: $vgpr0
                                        ; implicit-def: $vgpr1
	s_branch .LBB271_140
.LBB271_23:
	v_dual_mov_b32 v1, v12 :: v_dual_mov_b32 v2, 0
	s_and_b32 s7, s7, 3
	s_delay_alu instid0(SALU_CYCLE_1)
	s_cmp_eq_u32 s7, 0
	s_cbranch_scc1 .LBB271_26
.LBB271_24:
	s_lshl_b32 s2, s8, 3
	s_mul_i32 s4, s8, 12
	s_add_u32 s2, s2, s0
	s_addc_u32 s3, 0, s1
	s_add_u32 s2, s2, 0xc4
	s_addc_u32 s3, s3, 0
	;; [unrolled: 2-line block ×3, first 2 shown]
	.p2align	6
.LBB271_25:                             ; =>This Inner Loop Header: Depth=1
	s_clause 0x1
	s_load_b64 s[8:9], s[4:5], 0x4
	s_load_b32 s12, s[4:5], 0xc
	s_load_b64 s[10:11], s[2:3], 0x0
	s_add_u32 s4, s4, 12
	s_addc_u32 s5, s5, 0
	s_add_u32 s2, s2, 8
	s_addc_u32 s3, s3, 0
	s_add_i32 s7, s7, -1
	s_delay_alu instid0(SALU_CYCLE_1) | instskip(SKIP_2) | instid1(VALU_DEP_1)
	s_cmp_lg_u32 s7, 0
	s_waitcnt lgkmcnt(0)
	v_mul_hi_u32 v3, s9, v1
	v_add_nc_u32_e32 v3, v1, v3
	s_delay_alu instid0(VALU_DEP_1) | instskip(NEXT) | instid1(VALU_DEP_1)
	v_lshrrev_b32_e32 v6, s12, v3
	v_mul_lo_u32 v3, v6, s8
	s_delay_alu instid0(VALU_DEP_1) | instskip(NEXT) | instid1(VALU_DEP_1)
	v_sub_nc_u32_e32 v1, v1, v3
	v_mad_u64_u32 v[3:4], null, v1, s10, v[0:1]
	s_delay_alu instid0(VALU_DEP_1) | instskip(SKIP_1) | instid1(VALU_DEP_2)
	v_mad_u64_u32 v[4:5], null, v1, s11, v[2:3]
	v_dual_mov_b32 v1, v6 :: v_dual_mov_b32 v0, v3
	v_mov_b32_e32 v2, v4
	s_cbranch_scc1 .LBB271_25
.LBB271_26:
	s_and_not1_b32 vcc_lo, exec_lo, s6
	s_cbranch_vccnz .LBB271_29
; %bb.27:
	s_clause 0x1
	s_load_b128 s[4:7], s[0:1], 0x4
	s_load_b64 s[2:3], s[0:1], 0xc4
	s_cmp_lt_u32 s22, 2
	s_waitcnt lgkmcnt(0)
	v_mul_hi_u32 v0, s5, v12
	s_delay_alu instid0(VALU_DEP_1) | instskip(NEXT) | instid1(VALU_DEP_1)
	v_add_nc_u32_e32 v0, v12, v0
	v_lshrrev_b32_e32 v1, s6, v0
	s_delay_alu instid0(VALU_DEP_1) | instskip(NEXT) | instid1(VALU_DEP_1)
	v_mul_lo_u32 v0, v1, s4
	v_sub_nc_u32_e32 v2, v12, v0
	s_delay_alu instid0(VALU_DEP_1)
	v_mul_lo_u32 v0, v2, s2
	v_mul_lo_u32 v2, v2, s3
	s_cbranch_scc1 .LBB271_29
; %bb.28:
	s_clause 0x1
	s_load_b128 s[4:7], s[0:1], 0x10
	s_load_b64 s[2:3], s[0:1], 0xcc
	s_waitcnt lgkmcnt(0)
	v_mul_hi_u32 v3, s5, v1
	s_delay_alu instid0(VALU_DEP_1) | instskip(NEXT) | instid1(VALU_DEP_1)
	v_add_nc_u32_e32 v3, v1, v3
	v_lshrrev_b32_e32 v3, s6, v3
	s_delay_alu instid0(VALU_DEP_1) | instskip(NEXT) | instid1(VALU_DEP_1)
	v_mul_lo_u32 v3, v3, s4
	v_sub_nc_u32_e32 v1, v1, v3
	s_delay_alu instid0(VALU_DEP_1) | instskip(NEXT) | instid1(VALU_DEP_1)
	v_mad_u64_u32 v[3:4], null, v1, s2, v[0:1]
	v_mad_u64_u32 v[4:5], null, v1, s3, v[2:3]
	v_mov_b32_e32 v0, v3
	s_delay_alu instid0(VALU_DEP_2)
	v_mov_b32_e32 v2, v4
.LBB271_29:
	v_cmp_ne_u32_e32 vcc_lo, 1, v14
	v_add_nc_u32_e32 v3, 0x80, v12
	s_cbranch_vccnz .LBB271_35
; %bb.30:
	v_dual_mov_b32 v1, 0 :: v_dual_mov_b32 v4, 0
	s_cmp_lg_u32 s22, 0
	s_mov_b32 s6, 0
	s_cbranch_scc0 .LBB271_39
; %bb.31:
	s_min_u32 s7, s23, 15
	v_mov_b32_e32 v1, 0
	s_add_i32 s7, s7, 1
	s_cmp_eq_u32 s23, 2
	s_mov_b32 s8, 0
	s_cbranch_scc1 .LBB271_36
; %bb.32:
	v_dual_mov_b32 v4, 0 :: v_dual_mov_b32 v1, 0
	v_mov_b32_e32 v5, v3
	s_add_u32 s2, s0, 0xc4
	s_addc_u32 s3, s1, 0
	s_and_b32 s8, s7, 28
	s_mov_b32 s9, 0
	s_mov_b64 s[4:5], s[0:1]
.LBB271_33:                             ; =>This Inner Loop Header: Depth=1
	s_clause 0x1
	s_load_b256 s[12:19], s[4:5], 0x4
	s_load_b128 s[36:39], s[4:5], 0x24
	s_load_b256 s[24:31], s[2:3], 0x0
	s_add_u32 s4, s4, 48
	s_addc_u32 s5, s5, 0
	s_add_i32 s9, s9, 4
	s_add_u32 s2, s2, 32
	s_addc_u32 s3, s3, 0
	s_cmp_lg_u32 s8, s9
	s_waitcnt lgkmcnt(0)
	v_mul_hi_u32 v6, s13, v5
	s_delay_alu instid0(VALU_DEP_1) | instskip(NEXT) | instid1(VALU_DEP_1)
	v_add_nc_u32_e32 v6, v5, v6
	v_lshrrev_b32_e32 v6, s14, v6
	s_delay_alu instid0(VALU_DEP_1) | instskip(SKIP_1) | instid1(VALU_DEP_2)
	v_mul_hi_u32 v7, s16, v6
	v_mul_lo_u32 v9, v6, s12
	v_add_nc_u32_e32 v7, v6, v7
	s_delay_alu instid0(VALU_DEP_2) | instskip(NEXT) | instid1(VALU_DEP_2)
	v_sub_nc_u32_e32 v5, v5, v9
	v_lshrrev_b32_e32 v7, s17, v7
	s_delay_alu instid0(VALU_DEP_2) | instskip(SKIP_1) | instid1(VALU_DEP_3)
	v_mul_lo_u32 v9, v5, s24
	v_mul_lo_u32 v11, v5, s25
	v_mul_hi_u32 v8, s19, v7
	s_delay_alu instid0(VALU_DEP_1) | instskip(NEXT) | instid1(VALU_DEP_1)
	v_add_nc_u32_e32 v8, v7, v8
	v_lshrrev_b32_e32 v8, s36, v8
	s_delay_alu instid0(VALU_DEP_1) | instskip(SKIP_1) | instid1(VALU_DEP_2)
	v_mul_hi_u32 v10, s38, v8
	v_mul_lo_u32 v13, v8, s18
	v_add_nc_u32_e32 v5, v8, v10
	v_mul_lo_u32 v10, v7, s15
	s_delay_alu instid0(VALU_DEP_3) | instskip(NEXT) | instid1(VALU_DEP_3)
	v_sub_nc_u32_e32 v7, v7, v13
	v_lshrrev_b32_e32 v5, s39, v5
	s_delay_alu instid0(VALU_DEP_2) | instskip(SKIP_2) | instid1(VALU_DEP_4)
	v_mul_lo_u32 v13, v7, s28
	v_mul_lo_u32 v7, v7, s29
	v_sub_nc_u32_e32 v6, v6, v10
	v_mul_lo_u32 v15, v5, s37
	s_delay_alu instid0(VALU_DEP_2) | instskip(SKIP_1) | instid1(VALU_DEP_3)
	v_mul_lo_u32 v10, v6, s26
	v_mul_lo_u32 v6, v6, s27
	v_sub_nc_u32_e32 v8, v8, v15
	s_delay_alu instid0(VALU_DEP_3) | instskip(NEXT) | instid1(VALU_DEP_2)
	v_add3_u32 v1, v9, v1, v10
	v_mul_lo_u32 v15, v8, s30
	v_mul_lo_u32 v8, v8, s31
	v_add3_u32 v4, v11, v4, v6
	s_delay_alu instid0(VALU_DEP_3) | instskip(NEXT) | instid1(VALU_DEP_2)
	v_add3_u32 v1, v13, v1, v15
	v_add3_u32 v4, v7, v4, v8
	s_cbranch_scc1 .LBB271_33
; %bb.34:
	s_and_b32 s7, s7, 3
	s_delay_alu instid0(SALU_CYCLE_1)
	s_cmp_eq_u32 s7, 0
	s_cbranch_scc0 .LBB271_37
	s_branch .LBB271_39
.LBB271_35:
	s_mov_b32 s6, -1
                                        ; implicit-def: $vgpr1
                                        ; implicit-def: $vgpr4
	s_branch .LBB271_39
.LBB271_36:
	v_dual_mov_b32 v5, v3 :: v_dual_mov_b32 v4, 0
	s_and_b32 s7, s7, 3
	s_delay_alu instid0(SALU_CYCLE_1)
	s_cmp_eq_u32 s7, 0
	s_cbranch_scc1 .LBB271_39
.LBB271_37:
	s_lshl_b32 s2, s8, 3
	s_mul_i32 s4, s8, 12
	s_add_u32 s2, s2, s0
	s_addc_u32 s3, 0, s1
	s_add_u32 s2, s2, 0xc4
	s_addc_u32 s3, s3, 0
	;; [unrolled: 2-line block ×3, first 2 shown]
	.p2align	6
.LBB271_38:                             ; =>This Inner Loop Header: Depth=1
	s_clause 0x1
	s_load_b64 s[8:9], s[4:5], 0x4
	s_load_b32 s12, s[4:5], 0xc
	s_load_b64 s[10:11], s[2:3], 0x0
	s_add_u32 s4, s4, 12
	s_addc_u32 s5, s5, 0
	s_add_u32 s2, s2, 8
	s_addc_u32 s3, s3, 0
	s_add_i32 s7, s7, -1
	s_delay_alu instid0(SALU_CYCLE_1) | instskip(SKIP_2) | instid1(VALU_DEP_1)
	s_cmp_lg_u32 s7, 0
	s_waitcnt lgkmcnt(0)
	v_mul_hi_u32 v6, s9, v5
	v_add_nc_u32_e32 v6, v5, v6
	s_delay_alu instid0(VALU_DEP_1) | instskip(NEXT) | instid1(VALU_DEP_1)
	v_lshrrev_b32_e32 v9, s12, v6
	v_mul_lo_u32 v6, v9, s8
	s_delay_alu instid0(VALU_DEP_1) | instskip(NEXT) | instid1(VALU_DEP_1)
	v_sub_nc_u32_e32 v5, v5, v6
	v_mad_u64_u32 v[6:7], null, v5, s10, v[1:2]
	v_mad_u64_u32 v[7:8], null, v5, s11, v[4:5]
	v_mov_b32_e32 v5, v9
	s_delay_alu instid0(VALU_DEP_2)
	v_dual_mov_b32 v1, v6 :: v_dual_mov_b32 v4, v7
	s_cbranch_scc1 .LBB271_38
.LBB271_39:
	s_and_not1_b32 vcc_lo, exec_lo, s6
	s_cbranch_vccnz .LBB271_42
; %bb.40:
	s_clause 0x1
	s_load_b128 s[4:7], s[0:1], 0x4
	s_load_b64 s[2:3], s[0:1], 0xc4
	s_cmp_lt_u32 s22, 2
	s_waitcnt lgkmcnt(0)
	v_mul_hi_u32 v1, s5, v3
	s_delay_alu instid0(VALU_DEP_1) | instskip(NEXT) | instid1(VALU_DEP_1)
	v_add_nc_u32_e32 v1, v3, v1
	v_lshrrev_b32_e32 v5, s6, v1
	s_delay_alu instid0(VALU_DEP_1) | instskip(NEXT) | instid1(VALU_DEP_1)
	v_mul_lo_u32 v1, v5, s4
	v_sub_nc_u32_e32 v3, v3, v1
	s_delay_alu instid0(VALU_DEP_1)
	v_mul_lo_u32 v1, v3, s2
	v_mul_lo_u32 v4, v3, s3
	s_cbranch_scc1 .LBB271_42
; %bb.41:
	s_clause 0x1
	s_load_b128 s[4:7], s[0:1], 0x10
	s_load_b64 s[2:3], s[0:1], 0xcc
	s_waitcnt lgkmcnt(0)
	v_mul_hi_u32 v3, s5, v5
	s_delay_alu instid0(VALU_DEP_1) | instskip(NEXT) | instid1(VALU_DEP_1)
	v_add_nc_u32_e32 v3, v5, v3
	v_lshrrev_b32_e32 v3, s6, v3
	s_delay_alu instid0(VALU_DEP_1) | instskip(NEXT) | instid1(VALU_DEP_1)
	v_mul_lo_u32 v3, v3, s4
	v_sub_nc_u32_e32 v3, v5, v3
	s_delay_alu instid0(VALU_DEP_1) | instskip(NEXT) | instid1(VALU_DEP_1)
	v_mad_u64_u32 v[5:6], null, v3, s2, v[1:2]
	v_mad_u64_u32 v[6:7], null, v3, s3, v[4:5]
	s_delay_alu instid0(VALU_DEP_1)
	v_dual_mov_b32 v1, v5 :: v_dual_mov_b32 v4, v6
.LBB271_42:
	v_cmp_ne_u32_e32 vcc_lo, 1, v14
	v_add_nc_u32_e32 v6, 0x100, v12
	s_cbranch_vccnz .LBB271_48
; %bb.43:
	v_mov_b32_e32 v3, 0
	v_mov_b32_e32 v5, 0
	s_cmp_lg_u32 s22, 0
	s_mov_b32 s6, 0
	s_cbranch_scc0 .LBB271_52
; %bb.44:
	s_min_u32 s7, s23, 15
	v_mov_b32_e32 v3, 0
	s_add_i32 s7, s7, 1
	s_cmp_eq_u32 s23, 2
	s_mov_b32 s8, 0
	s_cbranch_scc1 .LBB271_49
; %bb.45:
	v_mov_b32_e32 v5, 0
	v_mov_b32_e32 v3, 0
	;; [unrolled: 1-line block ×3, first 2 shown]
	s_add_u32 s2, s0, 0xc4
	s_addc_u32 s3, s1, 0
	s_and_b32 s8, s7, 28
	s_mov_b32 s9, 0
	s_mov_b64 s[4:5], s[0:1]
.LBB271_46:                             ; =>This Inner Loop Header: Depth=1
	s_clause 0x1
	s_load_b256 s[12:19], s[4:5], 0x4
	s_load_b128 s[36:39], s[4:5], 0x24
	s_load_b256 s[24:31], s[2:3], 0x0
	s_add_u32 s4, s4, 48
	s_addc_u32 s5, s5, 0
	s_add_i32 s9, s9, 4
	s_add_u32 s2, s2, 32
	s_addc_u32 s3, s3, 0
	s_cmp_lg_u32 s8, s9
	s_waitcnt lgkmcnt(0)
	v_mul_hi_u32 v8, s13, v7
	s_delay_alu instid0(VALU_DEP_1) | instskip(NEXT) | instid1(VALU_DEP_1)
	v_add_nc_u32_e32 v8, v7, v8
	v_lshrrev_b32_e32 v8, s14, v8
	s_delay_alu instid0(VALU_DEP_1) | instskip(SKIP_1) | instid1(VALU_DEP_2)
	v_mul_hi_u32 v9, s16, v8
	v_mul_lo_u32 v11, v8, s12
	v_add_nc_u32_e32 v9, v8, v9
	s_delay_alu instid0(VALU_DEP_2) | instskip(NEXT) | instid1(VALU_DEP_2)
	v_sub_nc_u32_e32 v7, v7, v11
	v_lshrrev_b32_e32 v9, s17, v9
	s_delay_alu instid0(VALU_DEP_2) | instskip(SKIP_1) | instid1(VALU_DEP_3)
	v_mul_lo_u32 v11, v7, s24
	v_mul_lo_u32 v15, v7, s25
	v_mul_hi_u32 v10, s19, v9
	s_delay_alu instid0(VALU_DEP_1) | instskip(NEXT) | instid1(VALU_DEP_1)
	v_add_nc_u32_e32 v10, v9, v10
	v_lshrrev_b32_e32 v10, s36, v10
	s_delay_alu instid0(VALU_DEP_1) | instskip(SKIP_1) | instid1(VALU_DEP_2)
	v_mul_hi_u32 v13, s38, v10
	v_mul_lo_u32 v17, v10, s18
	v_add_nc_u32_e32 v7, v10, v13
	v_mul_lo_u32 v13, v9, s15
	s_delay_alu instid0(VALU_DEP_3) | instskip(NEXT) | instid1(VALU_DEP_3)
	v_sub_nc_u32_e32 v9, v9, v17
	v_lshrrev_b32_e32 v7, s39, v7
	s_delay_alu instid0(VALU_DEP_2) | instskip(SKIP_2) | instid1(VALU_DEP_4)
	v_mul_lo_u32 v17, v9, s28
	v_mul_lo_u32 v9, v9, s29
	v_sub_nc_u32_e32 v8, v8, v13
	v_mul_lo_u32 v18, v7, s37
	s_delay_alu instid0(VALU_DEP_2) | instskip(SKIP_1) | instid1(VALU_DEP_3)
	v_mul_lo_u32 v13, v8, s26
	v_mul_lo_u32 v8, v8, s27
	v_sub_nc_u32_e32 v10, v10, v18
	s_delay_alu instid0(VALU_DEP_3) | instskip(NEXT) | instid1(VALU_DEP_2)
	v_add3_u32 v3, v11, v3, v13
	v_mul_lo_u32 v18, v10, s30
	v_mul_lo_u32 v10, v10, s31
	v_add3_u32 v5, v15, v5, v8
	s_delay_alu instid0(VALU_DEP_3) | instskip(NEXT) | instid1(VALU_DEP_2)
	v_add3_u32 v3, v17, v3, v18
	v_add3_u32 v5, v9, v5, v10
	s_cbranch_scc1 .LBB271_46
; %bb.47:
	s_and_b32 s7, s7, 3
	s_delay_alu instid0(SALU_CYCLE_1)
	s_cmp_eq_u32 s7, 0
	s_cbranch_scc0 .LBB271_50
	s_branch .LBB271_52
.LBB271_48:
	s_mov_b32 s6, -1
                                        ; implicit-def: $vgpr3
                                        ; implicit-def: $vgpr5
	s_branch .LBB271_52
.LBB271_49:
	v_mov_b32_e32 v7, v6
	v_mov_b32_e32 v5, 0
	s_and_b32 s7, s7, 3
	s_delay_alu instid0(SALU_CYCLE_1)
	s_cmp_eq_u32 s7, 0
	s_cbranch_scc1 .LBB271_52
.LBB271_50:
	s_lshl_b32 s2, s8, 3
	s_mul_i32 s4, s8, 12
	s_add_u32 s2, s2, s0
	s_addc_u32 s3, 0, s1
	s_add_u32 s2, s2, 0xc4
	s_addc_u32 s3, s3, 0
	;; [unrolled: 2-line block ×3, first 2 shown]
	.p2align	6
.LBB271_51:                             ; =>This Inner Loop Header: Depth=1
	s_clause 0x1
	s_load_b64 s[8:9], s[4:5], 0x4
	s_load_b32 s12, s[4:5], 0xc
	s_load_b64 s[10:11], s[2:3], 0x0
	s_add_u32 s4, s4, 12
	s_addc_u32 s5, s5, 0
	s_add_u32 s2, s2, 8
	s_addc_u32 s3, s3, 0
	s_add_i32 s7, s7, -1
	s_delay_alu instid0(SALU_CYCLE_1) | instskip(SKIP_2) | instid1(VALU_DEP_1)
	s_cmp_lg_u32 s7, 0
	s_waitcnt lgkmcnt(0)
	v_mul_hi_u32 v8, s9, v7
	v_add_nc_u32_e32 v8, v7, v8
	s_delay_alu instid0(VALU_DEP_1) | instskip(NEXT) | instid1(VALU_DEP_1)
	v_lshrrev_b32_e32 v11, s12, v8
	v_mul_lo_u32 v8, v11, s8
	s_delay_alu instid0(VALU_DEP_1) | instskip(NEXT) | instid1(VALU_DEP_1)
	v_sub_nc_u32_e32 v7, v7, v8
	v_mad_u64_u32 v[8:9], null, v7, s10, v[3:4]
	v_mad_u64_u32 v[9:10], null, v7, s11, v[5:6]
	v_mov_b32_e32 v7, v11
	s_delay_alu instid0(VALU_DEP_3) | instskip(NEXT) | instid1(VALU_DEP_3)
	v_mov_b32_e32 v3, v8
	v_mov_b32_e32 v5, v9
	s_cbranch_scc1 .LBB271_51
.LBB271_52:
	s_and_not1_b32 vcc_lo, exec_lo, s6
	s_cbranch_vccnz .LBB271_55
; %bb.53:
	s_clause 0x1
	s_load_b128 s[4:7], s[0:1], 0x4
	s_load_b64 s[2:3], s[0:1], 0xc4
	s_cmp_lt_u32 s22, 2
	s_waitcnt lgkmcnt(0)
	v_mul_hi_u32 v3, s5, v6
	s_delay_alu instid0(VALU_DEP_1) | instskip(NEXT) | instid1(VALU_DEP_1)
	v_add_nc_u32_e32 v3, v6, v3
	v_lshrrev_b32_e32 v7, s6, v3
	s_delay_alu instid0(VALU_DEP_1) | instskip(NEXT) | instid1(VALU_DEP_1)
	v_mul_lo_u32 v3, v7, s4
	v_sub_nc_u32_e32 v5, v6, v3
	s_delay_alu instid0(VALU_DEP_1)
	v_mul_lo_u32 v3, v5, s2
	v_mul_lo_u32 v5, v5, s3
	s_cbranch_scc1 .LBB271_55
; %bb.54:
	s_clause 0x1
	s_load_b128 s[4:7], s[0:1], 0x10
	s_load_b64 s[2:3], s[0:1], 0xcc
	s_waitcnt lgkmcnt(0)
	v_mul_hi_u32 v6, s5, v7
	s_delay_alu instid0(VALU_DEP_1) | instskip(NEXT) | instid1(VALU_DEP_1)
	v_add_nc_u32_e32 v6, v7, v6
	v_lshrrev_b32_e32 v6, s6, v6
	s_delay_alu instid0(VALU_DEP_1) | instskip(NEXT) | instid1(VALU_DEP_1)
	v_mul_lo_u32 v6, v6, s4
	v_sub_nc_u32_e32 v9, v7, v6
	s_delay_alu instid0(VALU_DEP_1) | instskip(NEXT) | instid1(VALU_DEP_1)
	v_mad_u64_u32 v[6:7], null, v9, s2, v[3:4]
	v_mad_u64_u32 v[7:8], null, v9, s3, v[5:6]
	v_mov_b32_e32 v3, v6
	s_delay_alu instid0(VALU_DEP_2)
	v_mov_b32_e32 v5, v7
.LBB271_55:
	v_cmp_ne_u32_e32 vcc_lo, 1, v14
	v_add_nc_u32_e32 v8, 0x180, v12
	s_cbranch_vccnz .LBB271_61
; %bb.56:
	v_dual_mov_b32 v6, 0 :: v_dual_mov_b32 v7, 0
	s_cmp_lg_u32 s22, 0
	s_mov_b32 s6, 0
	s_cbranch_scc0 .LBB271_65
; %bb.57:
	s_min_u32 s7, s23, 15
	v_mov_b32_e32 v6, 0
	s_add_i32 s7, s7, 1
	s_cmp_eq_u32 s23, 2
	s_mov_b32 s8, 0
	s_cbranch_scc1 .LBB271_62
; %bb.58:
	v_dual_mov_b32 v7, 0 :: v_dual_mov_b32 v6, 0
	v_mov_b32_e32 v9, v8
	s_add_u32 s2, s0, 0xc4
	s_addc_u32 s3, s1, 0
	s_and_b32 s8, s7, 28
	s_mov_b32 s9, 0
	s_mov_b64 s[4:5], s[0:1]
.LBB271_59:                             ; =>This Inner Loop Header: Depth=1
	s_clause 0x1
	s_load_b256 s[12:19], s[4:5], 0x4
	s_load_b128 s[36:39], s[4:5], 0x24
	s_load_b256 s[24:31], s[2:3], 0x0
	s_add_u32 s4, s4, 48
	s_addc_u32 s5, s5, 0
	s_add_i32 s9, s9, 4
	s_add_u32 s2, s2, 32
	s_addc_u32 s3, s3, 0
	s_cmp_lg_u32 s8, s9
	s_waitcnt lgkmcnt(0)
	v_mul_hi_u32 v10, s13, v9
	s_delay_alu instid0(VALU_DEP_1) | instskip(NEXT) | instid1(VALU_DEP_1)
	v_add_nc_u32_e32 v10, v9, v10
	v_lshrrev_b32_e32 v10, s14, v10
	s_delay_alu instid0(VALU_DEP_1) | instskip(SKIP_1) | instid1(VALU_DEP_2)
	v_mul_hi_u32 v11, s16, v10
	v_mul_lo_u32 v15, v10, s12
	v_add_nc_u32_e32 v11, v10, v11
	s_delay_alu instid0(VALU_DEP_2) | instskip(NEXT) | instid1(VALU_DEP_2)
	v_sub_nc_u32_e32 v9, v9, v15
	v_lshrrev_b32_e32 v11, s17, v11
	s_delay_alu instid0(VALU_DEP_2) | instskip(SKIP_1) | instid1(VALU_DEP_3)
	v_mul_lo_u32 v15, v9, s24
	v_mul_lo_u32 v18, v9, s25
	v_mul_hi_u32 v13, s19, v11
	s_delay_alu instid0(VALU_DEP_1) | instskip(NEXT) | instid1(VALU_DEP_1)
	v_add_nc_u32_e32 v13, v11, v13
	v_lshrrev_b32_e32 v13, s36, v13
	s_delay_alu instid0(VALU_DEP_1) | instskip(SKIP_1) | instid1(VALU_DEP_2)
	v_mul_hi_u32 v17, s38, v13
	v_mul_lo_u32 v19, v13, s18
	v_add_nc_u32_e32 v9, v13, v17
	v_mul_lo_u32 v17, v11, s15
	s_delay_alu instid0(VALU_DEP_3) | instskip(NEXT) | instid1(VALU_DEP_3)
	v_sub_nc_u32_e32 v11, v11, v19
	v_lshrrev_b32_e32 v9, s39, v9
	s_delay_alu instid0(VALU_DEP_2) | instskip(SKIP_2) | instid1(VALU_DEP_4)
	v_mul_lo_u32 v19, v11, s28
	v_mul_lo_u32 v11, v11, s29
	v_sub_nc_u32_e32 v10, v10, v17
	v_mul_lo_u32 v20, v9, s37
	s_delay_alu instid0(VALU_DEP_2) | instskip(SKIP_1) | instid1(VALU_DEP_3)
	v_mul_lo_u32 v17, v10, s26
	v_mul_lo_u32 v10, v10, s27
	v_sub_nc_u32_e32 v13, v13, v20
	s_delay_alu instid0(VALU_DEP_3) | instskip(NEXT) | instid1(VALU_DEP_2)
	v_add3_u32 v6, v15, v6, v17
	v_mul_lo_u32 v20, v13, s30
	v_mul_lo_u32 v13, v13, s31
	v_add3_u32 v7, v18, v7, v10
	s_delay_alu instid0(VALU_DEP_3) | instskip(NEXT) | instid1(VALU_DEP_2)
	v_add3_u32 v6, v19, v6, v20
	v_add3_u32 v7, v11, v7, v13
	s_cbranch_scc1 .LBB271_59
; %bb.60:
	s_and_b32 s7, s7, 3
	s_delay_alu instid0(SALU_CYCLE_1)
	s_cmp_eq_u32 s7, 0
	s_cbranch_scc0 .LBB271_63
	s_branch .LBB271_65
.LBB271_61:
	s_mov_b32 s6, -1
                                        ; implicit-def: $vgpr6
                                        ; implicit-def: $vgpr7
	s_branch .LBB271_65
.LBB271_62:
	v_mov_b32_e32 v9, v8
	v_mov_b32_e32 v7, 0
	s_and_b32 s7, s7, 3
	s_delay_alu instid0(SALU_CYCLE_1)
	s_cmp_eq_u32 s7, 0
	s_cbranch_scc1 .LBB271_65
.LBB271_63:
	s_lshl_b32 s2, s8, 3
	s_mul_i32 s4, s8, 12
	s_add_u32 s2, s2, s0
	s_addc_u32 s3, 0, s1
	s_add_u32 s2, s2, 0xc4
	s_addc_u32 s3, s3, 0
	;; [unrolled: 2-line block ×3, first 2 shown]
	.p2align	6
.LBB271_64:                             ; =>This Inner Loop Header: Depth=1
	s_clause 0x1
	s_load_b64 s[8:9], s[4:5], 0x4
	s_load_b32 s12, s[4:5], 0xc
	s_load_b64 s[10:11], s[2:3], 0x0
	s_add_u32 s4, s4, 12
	s_addc_u32 s5, s5, 0
	s_add_u32 s2, s2, 8
	s_addc_u32 s3, s3, 0
	s_add_i32 s7, s7, -1
	s_delay_alu instid0(SALU_CYCLE_1) | instskip(SKIP_2) | instid1(VALU_DEP_1)
	s_cmp_lg_u32 s7, 0
	s_waitcnt lgkmcnt(0)
	v_mul_hi_u32 v10, s9, v9
	v_add_nc_u32_e32 v10, v9, v10
	s_delay_alu instid0(VALU_DEP_1) | instskip(NEXT) | instid1(VALU_DEP_1)
	v_lshrrev_b32_e32 v13, s12, v10
	v_mul_lo_u32 v10, v13, s8
	s_delay_alu instid0(VALU_DEP_1) | instskip(NEXT) | instid1(VALU_DEP_1)
	v_sub_nc_u32_e32 v9, v9, v10
	v_mad_u64_u32 v[10:11], null, v9, s10, v[6:7]
	v_mad_u64_u32 v[17:18], null, v9, s11, v[7:8]
	s_delay_alu instid0(VALU_DEP_2) | instskip(NEXT) | instid1(VALU_DEP_2)
	v_dual_mov_b32 v9, v13 :: v_dual_mov_b32 v6, v10
	v_mov_b32_e32 v7, v17
	s_cbranch_scc1 .LBB271_64
.LBB271_65:
	s_and_not1_b32 vcc_lo, exec_lo, s6
	s_cbranch_vccnz .LBB271_68
; %bb.66:
	s_clause 0x1
	s_load_b128 s[4:7], s[0:1], 0x4
	s_load_b64 s[2:3], s[0:1], 0xc4
	s_cmp_lt_u32 s22, 2
	s_waitcnt lgkmcnt(0)
	v_mul_hi_u32 v6, s5, v8
	s_delay_alu instid0(VALU_DEP_1) | instskip(NEXT) | instid1(VALU_DEP_1)
	v_add_nc_u32_e32 v6, v8, v6
	v_lshrrev_b32_e32 v9, s6, v6
	s_delay_alu instid0(VALU_DEP_1) | instskip(NEXT) | instid1(VALU_DEP_1)
	v_mul_lo_u32 v6, v9, s4
	v_sub_nc_u32_e32 v7, v8, v6
	s_delay_alu instid0(VALU_DEP_1)
	v_mul_lo_u32 v6, v7, s2
	v_mul_lo_u32 v7, v7, s3
	s_cbranch_scc1 .LBB271_68
; %bb.67:
	s_clause 0x1
	s_load_b128 s[4:7], s[0:1], 0x10
	s_load_b64 s[2:3], s[0:1], 0xcc
	s_waitcnt lgkmcnt(0)
	v_mul_hi_u32 v8, s5, v9
	s_delay_alu instid0(VALU_DEP_1) | instskip(NEXT) | instid1(VALU_DEP_1)
	v_add_nc_u32_e32 v8, v9, v8
	v_lshrrev_b32_e32 v8, s6, v8
	s_delay_alu instid0(VALU_DEP_1) | instskip(NEXT) | instid1(VALU_DEP_1)
	v_mul_lo_u32 v8, v8, s4
	v_sub_nc_u32_e32 v11, v9, v8
	s_delay_alu instid0(VALU_DEP_1) | instskip(NEXT) | instid1(VALU_DEP_1)
	v_mad_u64_u32 v[8:9], null, v11, s2, v[6:7]
	v_mad_u64_u32 v[9:10], null, v11, s3, v[7:8]
	s_delay_alu instid0(VALU_DEP_1)
	v_dual_mov_b32 v6, v8 :: v_dual_mov_b32 v7, v9
.LBB271_68:
	v_cmp_ne_u32_e32 vcc_lo, 1, v14
	v_add_nc_u32_e32 v10, 0x200, v12
	s_cbranch_vccnz .LBB271_74
; %bb.69:
	v_dual_mov_b32 v8, 0 :: v_dual_mov_b32 v9, 0
	s_cmp_lg_u32 s22, 0
	s_mov_b32 s6, 0
	s_cbranch_scc0 .LBB271_78
; %bb.70:
	s_min_u32 s7, s23, 15
	v_mov_b32_e32 v8, 0
	s_add_i32 s7, s7, 1
	s_cmp_eq_u32 s23, 2
	s_mov_b32 s8, 0
	s_cbranch_scc1 .LBB271_75
; %bb.71:
	v_dual_mov_b32 v9, 0 :: v_dual_mov_b32 v8, 0
	v_mov_b32_e32 v11, v10
	s_add_u32 s2, s0, 0xc4
	s_addc_u32 s3, s1, 0
	s_and_b32 s8, s7, 28
	s_mov_b32 s9, 0
	s_mov_b64 s[4:5], s[0:1]
.LBB271_72:                             ; =>This Inner Loop Header: Depth=1
	s_clause 0x1
	s_load_b256 s[12:19], s[4:5], 0x4
	s_load_b128 s[36:39], s[4:5], 0x24
	s_load_b256 s[24:31], s[2:3], 0x0
	s_add_u32 s4, s4, 48
	s_addc_u32 s5, s5, 0
	s_add_i32 s9, s9, 4
	s_add_u32 s2, s2, 32
	s_addc_u32 s3, s3, 0
	s_cmp_lg_u32 s8, s9
	s_waitcnt lgkmcnt(0)
	v_mul_hi_u32 v13, s13, v11
	s_delay_alu instid0(VALU_DEP_1) | instskip(NEXT) | instid1(VALU_DEP_1)
	v_add_nc_u32_e32 v13, v11, v13
	v_lshrrev_b32_e32 v13, s14, v13
	s_delay_alu instid0(VALU_DEP_1) | instskip(SKIP_1) | instid1(VALU_DEP_2)
	v_mul_hi_u32 v15, s16, v13
	v_mul_lo_u32 v18, v13, s12
	v_add_nc_u32_e32 v15, v13, v15
	s_delay_alu instid0(VALU_DEP_2) | instskip(NEXT) | instid1(VALU_DEP_2)
	v_sub_nc_u32_e32 v11, v11, v18
	v_lshrrev_b32_e32 v15, s17, v15
	s_delay_alu instid0(VALU_DEP_2) | instskip(SKIP_1) | instid1(VALU_DEP_3)
	v_mul_lo_u32 v18, v11, s24
	v_mul_lo_u32 v20, v11, s25
	v_mul_hi_u32 v17, s19, v15
	s_delay_alu instid0(VALU_DEP_1) | instskip(NEXT) | instid1(VALU_DEP_1)
	v_add_nc_u32_e32 v17, v15, v17
	v_lshrrev_b32_e32 v17, s36, v17
	s_delay_alu instid0(VALU_DEP_1) | instskip(SKIP_1) | instid1(VALU_DEP_2)
	v_mul_hi_u32 v19, s38, v17
	v_mul_lo_u32 v21, v17, s18
	v_add_nc_u32_e32 v11, v17, v19
	v_mul_lo_u32 v19, v15, s15
	s_delay_alu instid0(VALU_DEP_3) | instskip(NEXT) | instid1(VALU_DEP_3)
	v_sub_nc_u32_e32 v15, v15, v21
	v_lshrrev_b32_e32 v11, s39, v11
	s_delay_alu instid0(VALU_DEP_2) | instskip(SKIP_2) | instid1(VALU_DEP_4)
	v_mul_lo_u32 v21, v15, s28
	v_mul_lo_u32 v15, v15, s29
	v_sub_nc_u32_e32 v13, v13, v19
	v_mul_lo_u32 v22, v11, s37
	s_delay_alu instid0(VALU_DEP_2) | instskip(SKIP_1) | instid1(VALU_DEP_3)
	v_mul_lo_u32 v19, v13, s26
	v_mul_lo_u32 v13, v13, s27
	v_sub_nc_u32_e32 v17, v17, v22
	s_delay_alu instid0(VALU_DEP_3) | instskip(NEXT) | instid1(VALU_DEP_2)
	v_add3_u32 v8, v18, v8, v19
	v_mul_lo_u32 v22, v17, s30
	v_mul_lo_u32 v17, v17, s31
	v_add3_u32 v9, v20, v9, v13
	s_delay_alu instid0(VALU_DEP_3) | instskip(NEXT) | instid1(VALU_DEP_2)
	v_add3_u32 v8, v21, v8, v22
	v_add3_u32 v9, v15, v9, v17
	s_cbranch_scc1 .LBB271_72
; %bb.73:
	s_and_b32 s7, s7, 3
	s_delay_alu instid0(SALU_CYCLE_1)
	s_cmp_eq_u32 s7, 0
	s_cbranch_scc0 .LBB271_76
	s_branch .LBB271_78
.LBB271_74:
	s_mov_b32 s6, -1
                                        ; implicit-def: $vgpr8
                                        ; implicit-def: $vgpr9
	s_branch .LBB271_78
.LBB271_75:
	v_mov_b32_e32 v11, v10
	v_mov_b32_e32 v9, 0
	s_and_b32 s7, s7, 3
	s_delay_alu instid0(SALU_CYCLE_1)
	s_cmp_eq_u32 s7, 0
	s_cbranch_scc1 .LBB271_78
.LBB271_76:
	s_lshl_b32 s2, s8, 3
	s_mul_i32 s4, s8, 12
	s_add_u32 s2, s2, s0
	s_addc_u32 s3, 0, s1
	s_add_u32 s2, s2, 0xc4
	s_addc_u32 s3, s3, 0
	;; [unrolled: 2-line block ×3, first 2 shown]
	.p2align	6
.LBB271_77:                             ; =>This Inner Loop Header: Depth=1
	s_clause 0x1
	s_load_b64 s[8:9], s[4:5], 0x4
	s_load_b32 s12, s[4:5], 0xc
	s_load_b64 s[10:11], s[2:3], 0x0
	s_add_u32 s4, s4, 12
	s_addc_u32 s5, s5, 0
	s_add_u32 s2, s2, 8
	s_addc_u32 s3, s3, 0
	s_add_i32 s7, s7, -1
	s_delay_alu instid0(SALU_CYCLE_1) | instskip(SKIP_2) | instid1(VALU_DEP_1)
	s_cmp_lg_u32 s7, 0
	s_waitcnt lgkmcnt(0)
	v_mul_hi_u32 v13, s9, v11
	v_add_nc_u32_e32 v13, v11, v13
	s_delay_alu instid0(VALU_DEP_1) | instskip(NEXT) | instid1(VALU_DEP_1)
	v_lshrrev_b32_e32 v13, s12, v13
	v_mul_lo_u32 v15, v13, s8
	s_delay_alu instid0(VALU_DEP_1) | instskip(NEXT) | instid1(VALU_DEP_1)
	v_sub_nc_u32_e32 v11, v11, v15
	v_mad_u64_u32 v[17:18], null, v11, s10, v[8:9]
	v_mad_u64_u32 v[18:19], null, v11, s11, v[9:10]
	v_mov_b32_e32 v11, v13
	s_delay_alu instid0(VALU_DEP_2)
	v_dual_mov_b32 v8, v17 :: v_dual_mov_b32 v9, v18
	s_cbranch_scc1 .LBB271_77
.LBB271_78:
	s_and_not1_b32 vcc_lo, exec_lo, s6
	s_cbranch_vccnz .LBB271_81
; %bb.79:
	s_clause 0x1
	s_load_b128 s[4:7], s[0:1], 0x4
	s_load_b64 s[2:3], s[0:1], 0xc4
	s_cmp_lt_u32 s22, 2
	s_waitcnt lgkmcnt(0)
	v_mul_hi_u32 v8, s5, v10
	s_delay_alu instid0(VALU_DEP_1) | instskip(NEXT) | instid1(VALU_DEP_1)
	v_add_nc_u32_e32 v8, v10, v8
	v_lshrrev_b32_e32 v11, s6, v8
	s_delay_alu instid0(VALU_DEP_1) | instskip(NEXT) | instid1(VALU_DEP_1)
	v_mul_lo_u32 v8, v11, s4
	v_sub_nc_u32_e32 v9, v10, v8
	s_delay_alu instid0(VALU_DEP_1)
	v_mul_lo_u32 v8, v9, s2
	v_mul_lo_u32 v9, v9, s3
	s_cbranch_scc1 .LBB271_81
; %bb.80:
	s_clause 0x1
	s_load_b128 s[4:7], s[0:1], 0x10
	s_load_b64 s[2:3], s[0:1], 0xcc
	s_waitcnt lgkmcnt(0)
	v_mul_hi_u32 v10, s5, v11
	s_delay_alu instid0(VALU_DEP_1) | instskip(NEXT) | instid1(VALU_DEP_1)
	v_add_nc_u32_e32 v10, v11, v10
	v_lshrrev_b32_e32 v10, s6, v10
	s_delay_alu instid0(VALU_DEP_1) | instskip(NEXT) | instid1(VALU_DEP_1)
	v_mul_lo_u32 v10, v10, s4
	v_sub_nc_u32_e32 v13, v11, v10
	s_delay_alu instid0(VALU_DEP_1) | instskip(NEXT) | instid1(VALU_DEP_1)
	v_mad_u64_u32 v[10:11], null, v13, s2, v[8:9]
	v_mad_u64_u32 v[17:18], null, v13, s3, v[9:10]
	s_delay_alu instid0(VALU_DEP_1)
	v_dual_mov_b32 v8, v10 :: v_dual_mov_b32 v9, v17
.LBB271_81:
	v_cmp_ne_u32_e32 vcc_lo, 1, v14
	v_add_nc_u32_e32 v13, 0x280, v12
	s_cbranch_vccnz .LBB271_87
; %bb.82:
	v_dual_mov_b32 v10, 0 :: v_dual_mov_b32 v11, 0
	s_cmp_lg_u32 s22, 0
	s_mov_b32 s6, 0
	s_cbranch_scc0 .LBB271_91
; %bb.83:
	s_min_u32 s7, s23, 15
	v_mov_b32_e32 v10, 0
	s_add_i32 s7, s7, 1
	s_cmp_eq_u32 s23, 2
	s_mov_b32 s8, 0
	s_cbranch_scc1 .LBB271_88
; %bb.84:
	v_dual_mov_b32 v11, 0 :: v_dual_mov_b32 v10, 0
	v_mov_b32_e32 v15, v13
	s_add_u32 s2, s0, 0xc4
	s_addc_u32 s3, s1, 0
	s_and_b32 s8, s7, 28
	s_mov_b32 s9, 0
	s_mov_b64 s[4:5], s[0:1]
.LBB271_85:                             ; =>This Inner Loop Header: Depth=1
	s_clause 0x1
	s_load_b256 s[12:19], s[4:5], 0x4
	s_load_b128 s[36:39], s[4:5], 0x24
	s_load_b256 s[24:31], s[2:3], 0x0
	s_add_u32 s4, s4, 48
	s_addc_u32 s5, s5, 0
	s_add_i32 s9, s9, 4
	s_add_u32 s2, s2, 32
	s_addc_u32 s3, s3, 0
	s_cmp_lg_u32 s8, s9
	s_waitcnt lgkmcnt(0)
	v_mul_hi_u32 v17, s13, v15
	s_delay_alu instid0(VALU_DEP_1) | instskip(NEXT) | instid1(VALU_DEP_1)
	v_add_nc_u32_e32 v17, v15, v17
	v_lshrrev_b32_e32 v17, s14, v17
	s_delay_alu instid0(VALU_DEP_1) | instskip(SKIP_1) | instid1(VALU_DEP_2)
	v_mul_hi_u32 v18, s16, v17
	v_mul_lo_u32 v20, v17, s12
	v_add_nc_u32_e32 v18, v17, v18
	s_delay_alu instid0(VALU_DEP_2) | instskip(NEXT) | instid1(VALU_DEP_2)
	v_sub_nc_u32_e32 v15, v15, v20
	v_lshrrev_b32_e32 v18, s17, v18
	s_delay_alu instid0(VALU_DEP_2) | instskip(SKIP_1) | instid1(VALU_DEP_3)
	v_mul_lo_u32 v20, v15, s24
	v_mul_lo_u32 v22, v15, s25
	v_mul_hi_u32 v19, s19, v18
	s_delay_alu instid0(VALU_DEP_1) | instskip(NEXT) | instid1(VALU_DEP_1)
	v_add_nc_u32_e32 v19, v18, v19
	v_lshrrev_b32_e32 v19, s36, v19
	s_delay_alu instid0(VALU_DEP_1) | instskip(SKIP_1) | instid1(VALU_DEP_2)
	v_mul_hi_u32 v21, s38, v19
	v_mul_lo_u32 v23, v19, s18
	v_add_nc_u32_e32 v15, v19, v21
	v_mul_lo_u32 v21, v18, s15
	s_delay_alu instid0(VALU_DEP_3) | instskip(NEXT) | instid1(VALU_DEP_3)
	v_sub_nc_u32_e32 v18, v18, v23
	v_lshrrev_b32_e32 v15, s39, v15
	s_delay_alu instid0(VALU_DEP_2) | instskip(SKIP_2) | instid1(VALU_DEP_4)
	v_mul_lo_u32 v23, v18, s28
	v_mul_lo_u32 v18, v18, s29
	v_sub_nc_u32_e32 v17, v17, v21
	v_mul_lo_u32 v24, v15, s37
	s_delay_alu instid0(VALU_DEP_2) | instskip(SKIP_1) | instid1(VALU_DEP_3)
	v_mul_lo_u32 v21, v17, s26
	v_mul_lo_u32 v17, v17, s27
	v_sub_nc_u32_e32 v19, v19, v24
	s_delay_alu instid0(VALU_DEP_3) | instskip(NEXT) | instid1(VALU_DEP_2)
	v_add3_u32 v10, v20, v10, v21
	v_mul_lo_u32 v24, v19, s30
	v_mul_lo_u32 v19, v19, s31
	v_add3_u32 v11, v22, v11, v17
	s_delay_alu instid0(VALU_DEP_3) | instskip(NEXT) | instid1(VALU_DEP_2)
	v_add3_u32 v10, v23, v10, v24
	v_add3_u32 v11, v18, v11, v19
	s_cbranch_scc1 .LBB271_85
; %bb.86:
	s_and_b32 s7, s7, 3
	s_delay_alu instid0(SALU_CYCLE_1)
	s_cmp_eq_u32 s7, 0
	s_cbranch_scc0 .LBB271_89
	s_branch .LBB271_91
.LBB271_87:
	s_mov_b32 s6, -1
                                        ; implicit-def: $vgpr10
                                        ; implicit-def: $vgpr11
	s_branch .LBB271_91
.LBB271_88:
	v_mov_b32_e32 v15, v13
	v_mov_b32_e32 v11, 0
	s_and_b32 s7, s7, 3
	s_delay_alu instid0(SALU_CYCLE_1)
	s_cmp_eq_u32 s7, 0
	s_cbranch_scc1 .LBB271_91
.LBB271_89:
	s_lshl_b32 s2, s8, 3
	s_mul_i32 s4, s8, 12
	s_add_u32 s2, s2, s0
	s_addc_u32 s3, 0, s1
	s_add_u32 s2, s2, 0xc4
	s_addc_u32 s3, s3, 0
	;; [unrolled: 2-line block ×3, first 2 shown]
	.p2align	6
.LBB271_90:                             ; =>This Inner Loop Header: Depth=1
	s_clause 0x1
	s_load_b64 s[8:9], s[4:5], 0x4
	s_load_b32 s12, s[4:5], 0xc
	s_load_b64 s[10:11], s[2:3], 0x0
	s_add_u32 s4, s4, 12
	s_addc_u32 s5, s5, 0
	s_add_u32 s2, s2, 8
	s_addc_u32 s3, s3, 0
	s_add_i32 s7, s7, -1
	s_delay_alu instid0(SALU_CYCLE_1) | instskip(SKIP_2) | instid1(VALU_DEP_1)
	s_cmp_lg_u32 s7, 0
	s_waitcnt lgkmcnt(0)
	v_mul_hi_u32 v17, s9, v15
	v_add_nc_u32_e32 v17, v15, v17
	s_delay_alu instid0(VALU_DEP_1) | instskip(NEXT) | instid1(VALU_DEP_1)
	v_lshrrev_b32_e32 v20, s12, v17
	v_mul_lo_u32 v17, v20, s8
	s_delay_alu instid0(VALU_DEP_1) | instskip(NEXT) | instid1(VALU_DEP_1)
	v_sub_nc_u32_e32 v15, v15, v17
	v_mad_u64_u32 v[17:18], null, v15, s10, v[10:11]
	v_mad_u64_u32 v[18:19], null, v15, s11, v[11:12]
	s_delay_alu instid0(VALU_DEP_2) | instskip(NEXT) | instid1(VALU_DEP_2)
	v_dual_mov_b32 v15, v20 :: v_dual_mov_b32 v10, v17
	v_mov_b32_e32 v11, v18
	s_cbranch_scc1 .LBB271_90
.LBB271_91:
	s_and_not1_b32 vcc_lo, exec_lo, s6
	s_cbranch_vccnz .LBB271_94
; %bb.92:
	s_clause 0x1
	s_load_b128 s[4:7], s[0:1], 0x4
	s_load_b64 s[2:3], s[0:1], 0xc4
	s_cmp_lt_u32 s22, 2
	s_waitcnt lgkmcnt(0)
	v_mul_hi_u32 v10, s5, v13
	s_delay_alu instid0(VALU_DEP_1) | instskip(NEXT) | instid1(VALU_DEP_1)
	v_add_nc_u32_e32 v10, v13, v10
	v_lshrrev_b32_e32 v15, s6, v10
	s_delay_alu instid0(VALU_DEP_1) | instskip(NEXT) | instid1(VALU_DEP_1)
	v_mul_lo_u32 v10, v15, s4
	v_sub_nc_u32_e32 v11, v13, v10
	s_delay_alu instid0(VALU_DEP_1)
	v_mul_lo_u32 v10, v11, s2
	v_mul_lo_u32 v11, v11, s3
	s_cbranch_scc1 .LBB271_94
; %bb.93:
	s_clause 0x1
	s_load_b128 s[4:7], s[0:1], 0x10
	s_load_b64 s[2:3], s[0:1], 0xcc
	s_waitcnt lgkmcnt(0)
	v_mul_hi_u32 v13, s5, v15
	s_delay_alu instid0(VALU_DEP_1) | instskip(NEXT) | instid1(VALU_DEP_1)
	v_add_nc_u32_e32 v13, v15, v13
	v_lshrrev_b32_e32 v13, s6, v13
	s_delay_alu instid0(VALU_DEP_1) | instskip(NEXT) | instid1(VALU_DEP_1)
	v_mul_lo_u32 v13, v13, s4
	v_sub_nc_u32_e32 v13, v15, v13
	s_delay_alu instid0(VALU_DEP_1) | instskip(SKIP_1) | instid1(VALU_DEP_1)
	v_mad_u64_u32 v[17:18], null, v13, s2, v[10:11]
	v_mad_u64_u32 v[18:19], null, v13, s3, v[11:12]
	v_dual_mov_b32 v10, v17 :: v_dual_mov_b32 v11, v18
.LBB271_94:
	v_cmp_ne_u32_e32 vcc_lo, 1, v14
	v_add_nc_u32_e32 v15, 0x300, v12
	s_cbranch_vccnz .LBB271_100
; %bb.95:
	v_dual_mov_b32 v12, 0 :: v_dual_mov_b32 v13, 0
	s_cmp_lg_u32 s22, 0
	s_mov_b32 s6, 0
	s_cbranch_scc0 .LBB271_104
; %bb.96:
	s_min_u32 s7, s23, 15
	v_mov_b32_e32 v12, 0
	s_add_i32 s7, s7, 1
	s_cmp_eq_u32 s23, 2
	s_mov_b32 s8, 0
	s_cbranch_scc1 .LBB271_101
; %bb.97:
	v_dual_mov_b32 v13, 0 :: v_dual_mov_b32 v12, 0
	v_mov_b32_e32 v17, v15
	s_add_u32 s2, s0, 0xc4
	s_addc_u32 s3, s1, 0
	s_and_b32 s8, s7, 28
	s_mov_b32 s9, 0
	s_mov_b64 s[4:5], s[0:1]
.LBB271_98:                             ; =>This Inner Loop Header: Depth=1
	s_clause 0x1
	s_load_b256 s[12:19], s[4:5], 0x4
	s_load_b128 s[36:39], s[4:5], 0x24
	s_load_b256 s[24:31], s[2:3], 0x0
	s_add_u32 s4, s4, 48
	s_addc_u32 s5, s5, 0
	s_add_i32 s9, s9, 4
	s_add_u32 s2, s2, 32
	s_addc_u32 s3, s3, 0
	s_cmp_lg_u32 s8, s9
	s_waitcnt lgkmcnt(0)
	v_mul_hi_u32 v18, s13, v17
	s_delay_alu instid0(VALU_DEP_1) | instskip(NEXT) | instid1(VALU_DEP_1)
	v_add_nc_u32_e32 v18, v17, v18
	v_lshrrev_b32_e32 v18, s14, v18
	s_delay_alu instid0(VALU_DEP_1) | instskip(SKIP_1) | instid1(VALU_DEP_2)
	v_mul_hi_u32 v19, s16, v18
	v_mul_lo_u32 v21, v18, s12
	v_add_nc_u32_e32 v19, v18, v19
	s_delay_alu instid0(VALU_DEP_2) | instskip(NEXT) | instid1(VALU_DEP_2)
	v_sub_nc_u32_e32 v17, v17, v21
	v_lshrrev_b32_e32 v19, s17, v19
	s_delay_alu instid0(VALU_DEP_2) | instskip(SKIP_1) | instid1(VALU_DEP_3)
	v_mul_lo_u32 v21, v17, s24
	v_mul_lo_u32 v23, v17, s25
	v_mul_hi_u32 v20, s19, v19
	s_delay_alu instid0(VALU_DEP_1) | instskip(NEXT) | instid1(VALU_DEP_1)
	v_add_nc_u32_e32 v20, v19, v20
	v_lshrrev_b32_e32 v20, s36, v20
	s_delay_alu instid0(VALU_DEP_1) | instskip(SKIP_1) | instid1(VALU_DEP_2)
	v_mul_hi_u32 v22, s38, v20
	v_mul_lo_u32 v24, v20, s18
	v_add_nc_u32_e32 v17, v20, v22
	v_mul_lo_u32 v22, v19, s15
	s_delay_alu instid0(VALU_DEP_3) | instskip(NEXT) | instid1(VALU_DEP_3)
	v_sub_nc_u32_e32 v19, v19, v24
	v_lshrrev_b32_e32 v17, s39, v17
	s_delay_alu instid0(VALU_DEP_2) | instskip(SKIP_2) | instid1(VALU_DEP_4)
	v_mul_lo_u32 v24, v19, s28
	v_mul_lo_u32 v19, v19, s29
	v_sub_nc_u32_e32 v18, v18, v22
	v_mul_lo_u32 v25, v17, s37
	s_delay_alu instid0(VALU_DEP_2) | instskip(SKIP_1) | instid1(VALU_DEP_3)
	v_mul_lo_u32 v22, v18, s26
	v_mul_lo_u32 v18, v18, s27
	v_sub_nc_u32_e32 v20, v20, v25
	s_delay_alu instid0(VALU_DEP_3) | instskip(NEXT) | instid1(VALU_DEP_2)
	v_add3_u32 v12, v21, v12, v22
	v_mul_lo_u32 v25, v20, s30
	v_mul_lo_u32 v20, v20, s31
	v_add3_u32 v13, v23, v13, v18
	s_delay_alu instid0(VALU_DEP_3) | instskip(NEXT) | instid1(VALU_DEP_2)
	v_add3_u32 v12, v24, v12, v25
	v_add3_u32 v13, v19, v13, v20
	s_cbranch_scc1 .LBB271_98
; %bb.99:
	s_and_b32 s7, s7, 3
	s_delay_alu instid0(SALU_CYCLE_1)
	s_cmp_eq_u32 s7, 0
	s_cbranch_scc0 .LBB271_102
	s_branch .LBB271_104
.LBB271_100:
	s_mov_b32 s6, -1
                                        ; implicit-def: $vgpr12
                                        ; implicit-def: $vgpr13
	s_branch .LBB271_104
.LBB271_101:
	v_mov_b32_e32 v17, v15
	v_mov_b32_e32 v13, 0
	s_and_b32 s7, s7, 3
	s_delay_alu instid0(SALU_CYCLE_1)
	s_cmp_eq_u32 s7, 0
	s_cbranch_scc1 .LBB271_104
.LBB271_102:
	s_lshl_b32 s2, s8, 3
	s_mul_i32 s4, s8, 12
	s_add_u32 s2, s2, s0
	s_addc_u32 s3, 0, s1
	s_add_u32 s2, s2, 0xc4
	s_addc_u32 s3, s3, 0
	s_add_u32 s4, s0, s4
	s_addc_u32 s5, 0, s1
	.p2align	6
.LBB271_103:                            ; =>This Inner Loop Header: Depth=1
	s_clause 0x1
	s_load_b64 s[8:9], s[4:5], 0x4
	s_load_b32 s12, s[4:5], 0xc
	s_load_b64 s[10:11], s[2:3], 0x0
	s_add_u32 s4, s4, 12
	s_addc_u32 s5, s5, 0
	s_add_u32 s2, s2, 8
	s_addc_u32 s3, s3, 0
	s_add_i32 s7, s7, -1
	s_delay_alu instid0(SALU_CYCLE_1) | instskip(SKIP_2) | instid1(VALU_DEP_1)
	s_cmp_lg_u32 s7, 0
	s_waitcnt lgkmcnt(0)
	v_mul_hi_u32 v18, s9, v17
	v_add_nc_u32_e32 v18, v17, v18
	s_delay_alu instid0(VALU_DEP_1) | instskip(NEXT) | instid1(VALU_DEP_1)
	v_lshrrev_b32_e32 v21, s12, v18
	v_mul_lo_u32 v18, v21, s8
	s_delay_alu instid0(VALU_DEP_1) | instskip(NEXT) | instid1(VALU_DEP_1)
	v_sub_nc_u32_e32 v17, v17, v18
	v_mad_u64_u32 v[18:19], null, v17, s10, v[12:13]
	v_mad_u64_u32 v[19:20], null, v17, s11, v[13:14]
	s_delay_alu instid0(VALU_DEP_2) | instskip(NEXT) | instid1(VALU_DEP_2)
	v_dual_mov_b32 v17, v21 :: v_dual_mov_b32 v12, v18
	v_mov_b32_e32 v13, v19
	s_cbranch_scc1 .LBB271_103
.LBB271_104:
	s_and_not1_b32 vcc_lo, exec_lo, s6
	s_cbranch_vccnz .LBB271_107
; %bb.105:
	s_clause 0x1
	s_load_b128 s[4:7], s[0:1], 0x4
	s_load_b64 s[2:3], s[0:1], 0xc4
	s_cmp_lt_u32 s22, 2
	s_waitcnt lgkmcnt(0)
	v_mul_hi_u32 v12, s5, v15
	s_delay_alu instid0(VALU_DEP_1) | instskip(NEXT) | instid1(VALU_DEP_1)
	v_add_nc_u32_e32 v12, v15, v12
	v_lshrrev_b32_e32 v17, s6, v12
	s_delay_alu instid0(VALU_DEP_1) | instskip(NEXT) | instid1(VALU_DEP_1)
	v_mul_lo_u32 v12, v17, s4
	v_sub_nc_u32_e32 v13, v15, v12
	s_delay_alu instid0(VALU_DEP_1)
	v_mul_lo_u32 v12, v13, s2
	v_mul_lo_u32 v13, v13, s3
	s_cbranch_scc1 .LBB271_107
; %bb.106:
	s_clause 0x1
	s_load_b128 s[4:7], s[0:1], 0x10
	s_load_b64 s[2:3], s[0:1], 0xcc
	s_waitcnt lgkmcnt(0)
	v_mul_hi_u32 v15, s5, v17
	s_delay_alu instid0(VALU_DEP_1) | instskip(NEXT) | instid1(VALU_DEP_1)
	v_add_nc_u32_e32 v15, v17, v15
	v_lshrrev_b32_e32 v15, s6, v15
	s_delay_alu instid0(VALU_DEP_1) | instskip(NEXT) | instid1(VALU_DEP_1)
	v_mul_lo_u32 v15, v15, s4
	v_sub_nc_u32_e32 v15, v17, v15
	s_delay_alu instid0(VALU_DEP_1) | instskip(SKIP_1) | instid1(VALU_DEP_1)
	v_mad_u64_u32 v[17:18], null, v15, s2, v[12:13]
	v_mad_u64_u32 v[18:19], null, v15, s3, v[13:14]
	v_dual_mov_b32 v12, v17 :: v_dual_mov_b32 v13, v18
.LBB271_107:
	v_cmp_ne_u32_e32 vcc_lo, 1, v14
	s_cbranch_vccnz .LBB271_113
; %bb.108:
	v_dual_mov_b32 v14, 0 :: v_dual_mov_b32 v15, 0
	s_cmp_lg_u32 s22, 0
	s_mov_b32 s6, 0
	s_cbranch_scc0 .LBB271_117
; %bb.109:
	s_min_u32 s7, s23, 15
	v_mov_b32_e32 v14, 0
	s_add_i32 s7, s7, 1
	s_cmp_eq_u32 s23, 2
	s_mov_b32 s8, 0
	s_cbranch_scc1 .LBB271_114
; %bb.110:
	v_dual_mov_b32 v15, 0 :: v_dual_mov_b32 v14, 0
	v_mov_b32_e32 v17, v16
	s_add_u32 s2, s0, 0xc4
	s_addc_u32 s3, s1, 0
	s_and_b32 s8, s7, 28
	s_mov_b32 s9, 0
	s_mov_b64 s[4:5], s[0:1]
.LBB271_111:                            ; =>This Inner Loop Header: Depth=1
	s_clause 0x1
	s_load_b256 s[12:19], s[4:5], 0x4
	s_load_b128 s[36:39], s[4:5], 0x24
	s_load_b256 s[24:31], s[2:3], 0x0
	s_add_u32 s4, s4, 48
	s_addc_u32 s5, s5, 0
	s_add_i32 s9, s9, 4
	s_add_u32 s2, s2, 32
	s_addc_u32 s3, s3, 0
	s_cmp_lg_u32 s8, s9
	s_waitcnt lgkmcnt(0)
	v_mul_hi_u32 v18, s13, v17
	s_delay_alu instid0(VALU_DEP_1) | instskip(NEXT) | instid1(VALU_DEP_1)
	v_add_nc_u32_e32 v18, v17, v18
	v_lshrrev_b32_e32 v18, s14, v18
	s_delay_alu instid0(VALU_DEP_1) | instskip(SKIP_1) | instid1(VALU_DEP_2)
	v_mul_hi_u32 v19, s16, v18
	v_mul_lo_u32 v21, v18, s12
	v_add_nc_u32_e32 v19, v18, v19
	s_delay_alu instid0(VALU_DEP_2) | instskip(NEXT) | instid1(VALU_DEP_2)
	v_sub_nc_u32_e32 v17, v17, v21
	v_lshrrev_b32_e32 v19, s17, v19
	s_delay_alu instid0(VALU_DEP_2) | instskip(SKIP_1) | instid1(VALU_DEP_3)
	v_mul_lo_u32 v21, v17, s24
	v_mul_lo_u32 v23, v17, s25
	v_mul_hi_u32 v20, s19, v19
	s_delay_alu instid0(VALU_DEP_1) | instskip(NEXT) | instid1(VALU_DEP_1)
	v_add_nc_u32_e32 v20, v19, v20
	v_lshrrev_b32_e32 v20, s36, v20
	s_delay_alu instid0(VALU_DEP_1) | instskip(SKIP_1) | instid1(VALU_DEP_2)
	v_mul_hi_u32 v22, s38, v20
	v_mul_lo_u32 v24, v20, s18
	v_add_nc_u32_e32 v17, v20, v22
	v_mul_lo_u32 v22, v19, s15
	s_delay_alu instid0(VALU_DEP_3) | instskip(NEXT) | instid1(VALU_DEP_3)
	v_sub_nc_u32_e32 v19, v19, v24
	v_lshrrev_b32_e32 v17, s39, v17
	s_delay_alu instid0(VALU_DEP_2) | instskip(SKIP_2) | instid1(VALU_DEP_4)
	v_mul_lo_u32 v24, v19, s28
	v_mul_lo_u32 v19, v19, s29
	v_sub_nc_u32_e32 v18, v18, v22
	v_mul_lo_u32 v25, v17, s37
	s_delay_alu instid0(VALU_DEP_2) | instskip(SKIP_1) | instid1(VALU_DEP_3)
	v_mul_lo_u32 v22, v18, s26
	v_mul_lo_u32 v18, v18, s27
	v_sub_nc_u32_e32 v20, v20, v25
	s_delay_alu instid0(VALU_DEP_3) | instskip(NEXT) | instid1(VALU_DEP_2)
	v_add3_u32 v14, v21, v14, v22
	v_mul_lo_u32 v25, v20, s30
	v_mul_lo_u32 v20, v20, s31
	v_add3_u32 v15, v23, v15, v18
	s_delay_alu instid0(VALU_DEP_3) | instskip(NEXT) | instid1(VALU_DEP_2)
	v_add3_u32 v14, v24, v14, v25
	v_add3_u32 v15, v19, v15, v20
	s_cbranch_scc1 .LBB271_111
; %bb.112:
	s_and_b32 s7, s7, 3
	s_delay_alu instid0(SALU_CYCLE_1)
	s_cmp_eq_u32 s7, 0
	s_cbranch_scc0 .LBB271_115
	s_branch .LBB271_117
.LBB271_113:
	s_mov_b32 s6, -1
                                        ; implicit-def: $vgpr14
                                        ; implicit-def: $vgpr15
	s_branch .LBB271_117
.LBB271_114:
	v_mov_b32_e32 v17, v16
	v_mov_b32_e32 v15, 0
	s_and_b32 s7, s7, 3
	s_delay_alu instid0(SALU_CYCLE_1)
	s_cmp_eq_u32 s7, 0
	s_cbranch_scc1 .LBB271_117
.LBB271_115:
	s_lshl_b32 s2, s8, 3
	s_mul_i32 s4, s8, 12
	s_add_u32 s2, s2, s0
	s_addc_u32 s3, 0, s1
	s_add_u32 s2, s2, 0xc4
	s_addc_u32 s3, s3, 0
	;; [unrolled: 2-line block ×3, first 2 shown]
	.p2align	6
.LBB271_116:                            ; =>This Inner Loop Header: Depth=1
	s_clause 0x1
	s_load_b64 s[8:9], s[4:5], 0x4
	s_load_b32 s12, s[4:5], 0xc
	s_load_b64 s[10:11], s[2:3], 0x0
	s_add_u32 s4, s4, 12
	s_addc_u32 s5, s5, 0
	s_add_u32 s2, s2, 8
	s_addc_u32 s3, s3, 0
	s_add_i32 s7, s7, -1
	s_delay_alu instid0(SALU_CYCLE_1) | instskip(SKIP_2) | instid1(VALU_DEP_1)
	s_cmp_lg_u32 s7, 0
	s_waitcnt lgkmcnt(0)
	v_mul_hi_u32 v18, s9, v17
	v_add_nc_u32_e32 v18, v17, v18
	s_delay_alu instid0(VALU_DEP_1) | instskip(NEXT) | instid1(VALU_DEP_1)
	v_lshrrev_b32_e32 v21, s12, v18
	v_mul_lo_u32 v18, v21, s8
	s_delay_alu instid0(VALU_DEP_1) | instskip(NEXT) | instid1(VALU_DEP_1)
	v_sub_nc_u32_e32 v17, v17, v18
	v_mad_u64_u32 v[18:19], null, v17, s10, v[14:15]
	v_mad_u64_u32 v[19:20], null, v17, s11, v[15:16]
	s_delay_alu instid0(VALU_DEP_2) | instskip(NEXT) | instid1(VALU_DEP_2)
	v_dual_mov_b32 v17, v21 :: v_dual_mov_b32 v14, v18
	v_mov_b32_e32 v15, v19
	s_cbranch_scc1 .LBB271_116
.LBB271_117:
	s_and_not1_b32 vcc_lo, exec_lo, s6
	s_cbranch_vccnz .LBB271_120
; %bb.118:
	s_clause 0x1
	s_load_b128 s[4:7], s[0:1], 0x4
	s_load_b64 s[2:3], s[0:1], 0xc4
	s_cmp_lt_u32 s22, 2
	s_waitcnt lgkmcnt(0)
	v_mul_hi_u32 v14, s5, v16
	s_delay_alu instid0(VALU_DEP_1) | instskip(NEXT) | instid1(VALU_DEP_1)
	v_add_nc_u32_e32 v14, v16, v14
	v_lshrrev_b32_e32 v17, s6, v14
	s_delay_alu instid0(VALU_DEP_1) | instskip(NEXT) | instid1(VALU_DEP_1)
	v_mul_lo_u32 v14, v17, s4
	v_sub_nc_u32_e32 v15, v16, v14
	s_delay_alu instid0(VALU_DEP_1)
	v_mul_lo_u32 v14, v15, s2
	v_mul_lo_u32 v15, v15, s3
	s_cbranch_scc1 .LBB271_120
; %bb.119:
	s_clause 0x1
	s_load_b128 s[4:7], s[0:1], 0x10
	s_load_b64 s[2:3], s[0:1], 0xcc
	s_waitcnt lgkmcnt(0)
	v_mul_hi_u32 v16, s5, v17
	s_delay_alu instid0(VALU_DEP_1) | instskip(NEXT) | instid1(VALU_DEP_1)
	v_add_nc_u32_e32 v16, v17, v16
	v_lshrrev_b32_e32 v16, s6, v16
	s_delay_alu instid0(VALU_DEP_1) | instskip(NEXT) | instid1(VALU_DEP_1)
	v_mul_lo_u32 v16, v16, s4
	v_sub_nc_u32_e32 v19, v17, v16
	s_delay_alu instid0(VALU_DEP_1) | instskip(NEXT) | instid1(VALU_DEP_1)
	v_mad_u64_u32 v[16:17], null, v19, s2, v[14:15]
	v_mad_u64_u32 v[17:18], null, v19, s3, v[15:16]
	s_delay_alu instid0(VALU_DEP_1)
	v_dual_mov_b32 v14, v16 :: v_dual_mov_b32 v15, v17
.LBB271_120:
	s_load_b128 s[8:11], s[0:1], 0x148
	s_waitcnt lgkmcnt(0)
	s_clause 0x7
	global_load_u16 v2, v2, s[10:11]
	global_load_u16 v4, v4, s[10:11]
	;; [unrolled: 1-line block ×8, first 2 shown]
	s_waitcnt vmcnt(4)
	v_lshlrev_b32_e32 v7, 16, v7
	v_lshlrev_b32_e32 v4, 16, v4
	s_waitcnt vmcnt(1)
	v_lshlrev_b32_e32 v13, 16, v13
	s_waitcnt vmcnt(0)
	v_lshlrev_b32_e32 v15, 16, v15
	v_dual_mul_f32 v19, 0x4f800000, v7 :: v_dual_lshlrev_b32 v2, 16, v2
	v_mul_f32_e32 v17, 0x4f800000, v4
	v_lshlrev_b32_e32 v5, 16, v5
	v_cmp_gt_f32_e64 s0, 0xf800000, v4
	v_mul_f32_e32 v22, 0x4f800000, v13
	v_mul_f32_e32 v16, 0x4f800000, v2
	v_cmp_gt_f32_e32 vcc_lo, 0xf800000, v2
	v_lshlrev_b32_e32 v9, 16, v9
	v_mul_f32_e32 v18, 0x4f800000, v5
	v_cndmask_b32_e64 v4, v4, v17, s0
	v_cmp_gt_f32_e64 s1, 0xf800000, v5
	v_dual_cndmask_b32 v2, v2, v16 :: v_dual_lshlrev_b32 v11, 16, v11
	v_mul_f32_e32 v20, 0x4f800000, v9
	v_cmp_gt_f32_e64 s2, 0xf800000, v7
	s_delay_alu instid0(VALU_DEP_4) | instskip(NEXT) | instid1(VALU_DEP_4)
	v_cndmask_b32_e64 v5, v5, v18, s1
	v_sqrt_f32_e32 v16, v2
	v_sqrt_f32_e32 v17, v4
	v_mul_f32_e32 v21, 0x4f800000, v11
	v_cndmask_b32_e64 v7, v7, v19, s2
	v_cmp_gt_f32_e64 s3, 0xf800000, v9
	v_sqrt_f32_e32 v18, v5
	v_mul_f32_e32 v23, 0x4f800000, v15
	v_cmp_gt_f32_e64 s4, 0xf800000, v11
	v_sqrt_f32_e32 v19, v7
	v_cndmask_b32_e64 v9, v9, v20, s3
	v_add_nc_u32_e32 v24, -1, v16
	v_add_nc_u32_e32 v26, -1, v17
	v_cndmask_b32_e64 v11, v11, v21, s4
	v_cmp_gt_f32_e64 s5, 0xf800000, v13
	v_sqrt_f32_e32 v20, v9
	v_fma_f32 v40, -v24, v16, v2
	v_add_nc_u32_e32 v25, 1, v16
	v_add_nc_u32_e32 v28, -1, v18
	v_fma_f32 v42, -v26, v17, v4
	v_cndmask_b32_e64 v13, v13, v22, s5
	v_cmp_ge_f32_e64 s7, 0, v40
	v_cmp_gt_f32_e64 s6, 0xf800000, v15
	v_sqrt_f32_e32 v21, v11
	v_add_nc_u32_e32 v27, 1, v17
	v_add_nc_u32_e32 v30, -1, v19
	v_fma_f32 v41, -v25, v16, v2
	v_fma_f32 v44, -v28, v18, v5
	v_cndmask_b32_e64 v16, v16, v24, s7
	v_cmp_ge_f32_e64 s7, 0, v42
	v_cndmask_b32_e64 v15, v15, v23, s6
	v_sqrt_f32_e32 v22, v13
	v_add_nc_u32_e32 v29, 1, v18
	v_add_nc_u32_e32 v32, -1, v20
	v_fma_f32 v43, -v27, v17, v4
	v_fma_f32 v46, -v30, v19, v7
	v_cndmask_b32_e64 v17, v17, v26, s7
	v_cmp_ge_f32_e64 s7, 0, v44
	v_sqrt_f32_e32 v23, v15
	v_add_nc_u32_e32 v31, 1, v19
	v_add_nc_u32_e32 v34, -1, v21
	v_fma_f32 v45, -v29, v18, v5
	v_fma_f32 v48, -v32, v20, v9
	v_cndmask_b32_e64 v18, v18, v28, s7
	v_cmp_ge_f32_e64 s7, 0, v46
	v_add_nc_u32_e32 v33, 1, v20
	v_add_nc_u32_e32 v36, -1, v22
	v_fma_f32 v47, -v31, v19, v7
	v_fma_f32 v50, -v34, v21, v11
	v_cndmask_b32_e64 v19, v19, v30, s7
	v_cmp_ge_f32_e64 s7, 0, v48
	;; [unrolled: 6-line block ×3, first 2 shown]
	v_add_nc_u32_e32 v37, 1, v22
	v_fma_f32 v51, -v35, v21, v11
	v_fma_f32 v54, -v38, v23, v15
	v_add_nc_u32_e32 v39, 1, v23
	v_cndmask_b32_e64 v21, v21, v34, s7
	v_cmp_ge_f32_e64 s7, 0, v52
	v_fma_f32 v53, -v37, v22, v13
	s_delay_alu instid0(VALU_DEP_4) | instskip(NEXT) | instid1(VALU_DEP_3)
	v_fma_f32 v55, -v39, v23, v15
	v_cndmask_b32_e64 v22, v22, v36, s7
	v_cmp_ge_f32_e64 s7, 0, v54
	s_delay_alu instid0(VALU_DEP_1) | instskip(SKIP_1) | instid1(VALU_DEP_1)
	v_cndmask_b32_e64 v23, v23, v38, s7
	v_cmp_lt_f32_e64 s7, 0, v41
	v_cndmask_b32_e64 v16, v16, v25, s7
	v_cmp_lt_f32_e64 s7, 0, v43
	s_delay_alu instid0(VALU_DEP_2) | instskip(NEXT) | instid1(VALU_DEP_2)
	v_mul_f32_e32 v24, 0x37800000, v16
	v_cndmask_b32_e64 v17, v17, v27, s7
	v_cmp_lt_f32_e64 s7, 0, v45
	s_delay_alu instid0(VALU_DEP_2) | instskip(NEXT) | instid1(VALU_DEP_2)
	v_dual_cndmask_b32 v16, v16, v24 :: v_dual_mul_f32 v25, 0x37800000, v17
	v_cndmask_b32_e64 v18, v18, v29, s7
	v_cmp_lt_f32_e64 s7, 0, v47
	v_cmp_class_f32_e64 vcc_lo, v2, 0x260
	s_delay_alu instid0(VALU_DEP_4) | instskip(NEXT) | instid1(VALU_DEP_4)
	v_cndmask_b32_e64 v17, v17, v25, s0
	v_mul_f32_e32 v26, 0x37800000, v18
	s_delay_alu instid0(VALU_DEP_4)
	v_cndmask_b32_e64 v19, v19, v31, s7
	v_cmp_lt_f32_e64 s7, 0, v49
	v_cndmask_b32_e32 v2, v16, v2, vcc_lo
	v_cmp_class_f32_e64 vcc_lo, v4, 0x260
	v_cndmask_b32_e64 v18, v18, v26, s1
	v_mul_f32_e32 v27, 0x37800000, v19
	v_cndmask_b32_e64 v20, v20, v33, s7
	v_cmp_lt_f32_e64 s7, 0, v51
	v_cndmask_b32_e32 v4, v17, v4, vcc_lo
	v_cmp_class_f32_e64 vcc_lo, v5, 0x260
	v_cndmask_b32_e64 v19, v19, v27, s2
	v_mul_f32_e32 v28, 0x37800000, v20
	;; [unrolled: 6-line block ×4, first 2 shown]
	v_cndmask_b32_e64 v23, v23, v39, s7
	v_bfe_u32 v16, v2, 16, 1
	v_cndmask_b32_e32 v9, v20, v9, vcc_lo
	v_cmp_class_f32_e64 vcc_lo, v11, 0x260
	v_cndmask_b32_e64 v22, v22, v30, s5
	v_mul_f32_e32 v31, 0x37800000, v23
	v_bfe_u32 v17, v4, 16, 1
	v_add3_u32 v16, v2, v16, 0x7fff
	v_cndmask_b32_e32 v11, v21, v11, vcc_lo
	v_cmp_class_f32_e64 vcc_lo, v13, 0x260
	v_cndmask_b32_e64 v23, v23, v31, s6
	v_bfe_u32 v18, v5, 16, 1
	v_add3_u32 v17, v4, v17, 0x7fff
	v_lshrrev_b32_e32 v16, 16, v16
	v_cndmask_b32_e32 v13, v22, v13, vcc_lo
	v_cmp_class_f32_e64 vcc_lo, v15, 0x260
	v_bfe_u32 v19, v7, 16, 1
	v_add3_u32 v18, v5, v18, 0x7fff
	v_lshrrev_b32_e32 v17, 16, v17
	v_bfe_u32 v20, v9, 16, 1
	v_cndmask_b32_e32 v15, v23, v15, vcc_lo
	v_cmp_o_f32_e32 vcc_lo, v2, v2
	v_add3_u32 v19, v7, v19, 0x7fff
	v_lshrrev_b32_e32 v18, 16, v18
	v_bfe_u32 v21, v11, 16, 1
	v_add3_u32 v20, v9, v20, 0x7fff
	v_cndmask_b32_e32 v2, 0x7fc0, v16, vcc_lo
	v_cmp_o_f32_e32 vcc_lo, v4, v4
	v_lshrrev_b32_e32 v19, 16, v19
	v_bfe_u32 v22, v13, 16, 1
	v_add3_u32 v21, v11, v21, 0x7fff
	v_lshrrev_b32_e32 v20, 16, v20
	v_cndmask_b32_e32 v4, 0x7fc0, v17, vcc_lo
	v_cmp_o_f32_e32 vcc_lo, v5, v5
	v_bfe_u32 v23, v15, 16, 1
	v_add3_u32 v22, v13, v22, 0x7fff
	v_lshrrev_b32_e32 v21, 16, v21
	v_cndmask_b32_e32 v5, 0x7fc0, v18, vcc_lo
	v_cmp_o_f32_e32 vcc_lo, v7, v7
	v_add3_u32 v23, v15, v23, 0x7fff
	v_lshrrev_b32_e32 v22, 16, v22
	v_cndmask_b32_e32 v7, 0x7fc0, v19, vcc_lo
	v_cmp_o_f32_e32 vcc_lo, v9, v9
	s_delay_alu instid0(VALU_DEP_4)
	v_lshrrev_b32_e32 v23, 16, v23
	v_cndmask_b32_e32 v9, 0x7fc0, v20, vcc_lo
	v_cmp_o_f32_e32 vcc_lo, v11, v11
	v_cndmask_b32_e32 v11, 0x7fc0, v21, vcc_lo
	v_cmp_o_f32_e32 vcc_lo, v13, v13
	;; [unrolled: 2-line block ×3, first 2 shown]
	v_cndmask_b32_e32 v15, 0x7fc0, v23, vcc_lo
	s_clause 0x7
	global_store_b16 v0, v2, s[8:9]
	global_store_b16 v1, v4, s[8:9]
	;; [unrolled: 1-line block ×8, first 2 shown]
	s_nop 0
	s_sendmsg sendmsg(MSG_DEALLOC_VGPRS)
	s_endpgm
.LBB271_121:
	v_dual_mov_b32 v2, v12 :: v_dual_mov_b32 v1, 0
.LBB271_122:
	s_and_b32 s34, s34, 3
	s_delay_alu instid0(SALU_CYCLE_1)
	s_cmp_eq_u32 s34, 0
	s_cbranch_scc1 .LBB271_125
; %bb.123:
	s_lshl_b32 s2, s33, 3
	s_mul_i32 s20, s33, 12
	s_add_u32 s2, s2, s0
	s_addc_u32 s3, s1, 0
	s_add_u32 s2, s2, 0xc4
	s_addc_u32 s3, s3, 0
	;; [unrolled: 2-line block ×3, first 2 shown]
	.p2align	6
.LBB271_124:                            ; =>This Inner Loop Header: Depth=1
	s_clause 0x1
	s_load_b64 s[36:37], s[20:21], 0x4
	s_load_b32 s33, s[20:21], 0xc
	s_load_b64 s[38:39], s[2:3], 0x0
	s_add_u32 s20, s20, 12
	s_addc_u32 s21, s21, 0
	s_add_u32 s2, s2, 8
	s_addc_u32 s3, s3, 0
	s_add_i32 s34, s34, -1
	s_delay_alu instid0(SALU_CYCLE_1) | instskip(SKIP_2) | instid1(VALU_DEP_1)
	s_cmp_lg_u32 s34, 0
	s_waitcnt lgkmcnt(0)
	v_mul_hi_u32 v3, s37, v2
	v_add_nc_u32_e32 v3, v2, v3
	s_delay_alu instid0(VALU_DEP_1) | instskip(NEXT) | instid1(VALU_DEP_1)
	v_lshrrev_b32_e32 v6, s33, v3
	v_mul_lo_u32 v3, v6, s36
	s_delay_alu instid0(VALU_DEP_1) | instskip(NEXT) | instid1(VALU_DEP_1)
	v_sub_nc_u32_e32 v2, v2, v3
	v_mad_u64_u32 v[3:4], null, v2, s38, v[0:1]
	v_mad_u64_u32 v[4:5], null, v2, s39, v[1:2]
	v_mov_b32_e32 v2, v6
	s_delay_alu instid0(VALU_DEP_2)
	v_dual_mov_b32 v0, v3 :: v_dual_mov_b32 v1, v4
	s_cbranch_scc1 .LBB271_124
.LBB271_125:
	s_and_not1_b32 vcc_lo, exec_lo, s31
	s_cbranch_vccnz .LBB271_128
; %bb.126:
	s_waitcnt lgkmcnt(0)
	v_mul_hi_u32 v0, s13, v12
	s_and_not1_b32 vcc_lo, exec_lo, s26
	s_delay_alu instid0(VALU_DEP_1) | instskip(NEXT) | instid1(VALU_DEP_1)
	v_add_nc_u32_e32 v0, v12, v0
	v_lshrrev_b32_e32 v2, s14, v0
	s_delay_alu instid0(VALU_DEP_1) | instskip(NEXT) | instid1(VALU_DEP_1)
	v_mul_lo_u32 v0, v2, s12
	v_sub_nc_u32_e32 v1, v12, v0
	s_delay_alu instid0(VALU_DEP_1)
	v_mul_lo_u32 v0, v1, s8
	v_mul_lo_u32 v1, v1, s9
	s_cbranch_vccnz .LBB271_128
; %bb.127:
	v_mul_hi_u32 v3, s16, v2
	s_delay_alu instid0(VALU_DEP_1) | instskip(NEXT) | instid1(VALU_DEP_1)
	v_add_nc_u32_e32 v3, v2, v3
	v_lshrrev_b32_e32 v3, s17, v3
	s_delay_alu instid0(VALU_DEP_1) | instskip(NEXT) | instid1(VALU_DEP_1)
	v_mul_lo_u32 v3, v3, s15
	v_sub_nc_u32_e32 v5, v2, v3
	s_delay_alu instid0(VALU_DEP_1) | instskip(NEXT) | instid1(VALU_DEP_1)
	v_mad_u64_u32 v[2:3], null, v5, s10, v[0:1]
	v_mad_u64_u32 v[3:4], null, v5, s11, v[1:2]
	s_delay_alu instid0(VALU_DEP_1)
	v_dual_mov_b32 v0, v2 :: v_dual_mov_b32 v1, v3
.LBB271_128:
	s_waitcnt lgkmcnt(0)
	global_load_u16 v1, v1, s[6:7]
	v_add_nc_u32_e32 v12, 0x80, v12
	s_waitcnt vmcnt(0)
	v_lshlrev_b32_e32 v1, 16, v1
	s_delay_alu instid0(VALU_DEP_1) | instskip(SKIP_1) | instid1(VALU_DEP_2)
	v_mul_f32_e32 v2, 0x4f800000, v1
	v_cmp_gt_f32_e32 vcc_lo, 0xf800000, v1
	v_cndmask_b32_e32 v1, v1, v2, vcc_lo
	s_delay_alu instid0(VALU_DEP_1) | instskip(SKIP_3) | instid1(VALU_DEP_2)
	v_sqrt_f32_e32 v2, v1
	s_waitcnt_depctr 0xfff
	v_add_nc_u32_e32 v3, -1, v2
	v_add_nc_u32_e32 v4, 1, v2
	v_fma_f32 v5, -v3, v2, v1
	s_delay_alu instid0(VALU_DEP_2) | instskip(NEXT) | instid1(VALU_DEP_2)
	v_fma_f32 v6, -v4, v2, v1
	v_cmp_ge_f32_e64 s2, 0, v5
	s_delay_alu instid0(VALU_DEP_1) | instskip(NEXT) | instid1(VALU_DEP_3)
	v_cndmask_b32_e64 v2, v2, v3, s2
	v_cmp_lt_f32_e64 s2, 0, v6
	s_delay_alu instid0(VALU_DEP_1) | instskip(NEXT) | instid1(VALU_DEP_1)
	v_cndmask_b32_e64 v2, v2, v4, s2
	v_mul_f32_e32 v3, 0x37800000, v2
	s_delay_alu instid0(VALU_DEP_1) | instskip(SKIP_1) | instid1(VALU_DEP_2)
	v_cndmask_b32_e32 v2, v2, v3, vcc_lo
	v_cmp_class_f32_e64 vcc_lo, v1, 0x260
	v_cndmask_b32_e32 v1, v2, v1, vcc_lo
	s_delay_alu instid0(VALU_DEP_1) | instskip(SKIP_1) | instid1(VALU_DEP_2)
	v_bfe_u32 v2, v1, 16, 1
	v_cmp_o_f32_e32 vcc_lo, v1, v1
	v_add3_u32 v2, v1, v2, 0x7fff
	s_delay_alu instid0(VALU_DEP_1) | instskip(NEXT) | instid1(VALU_DEP_1)
	v_lshrrev_b32_e32 v2, 16, v2
	v_cndmask_b32_e32 v1, 0x7fc0, v2, vcc_lo
	global_store_b16 v0, v1, s[4:5]
	s_or_b32 exec_lo, exec_lo, s30
	s_delay_alu instid0(SALU_CYCLE_1)
	s_mov_b32 s30, exec_lo
	v_cmpx_gt_i32_e64 s27, v12
	s_cbranch_execnz .LBB271_15
.LBB271_129:
	s_or_b32 exec_lo, exec_lo, s30
	s_delay_alu instid0(SALU_CYCLE_1)
	s_mov_b32 s30, exec_lo
	v_cmpx_gt_i32_e64 s27, v12
	s_cbranch_execz .LBB271_144
.LBB271_130:
	s_and_not1_b32 vcc_lo, exec_lo, s24
	s_cbranch_vccnz .LBB271_135
; %bb.131:
	v_dual_mov_b32 v0, 0 :: v_dual_mov_b32 v1, 0
	s_and_not1_b32 vcc_lo, exec_lo, s29
	s_mov_b32 s31, 0
	s_cbranch_vccnz .LBB271_155
; %bb.132:
	v_mov_b32_e32 v0, 0
	s_add_i32 s34, s28, 1
	s_cmp_eq_u32 s23, 2
	s_mov_b32 s33, 0
	s_cbranch_scc1 .LBB271_151
; %bb.133:
	v_dual_mov_b32 v1, 0 :: v_dual_mov_b32 v0, 0
	v_mov_b32_e32 v2, v12
	s_and_b32 s33, s34, 28
	s_mov_b32 s35, 0
	s_mov_b64 s[2:3], s[18:19]
	s_mov_b64 s[20:21], s[0:1]
.LBB271_134:                            ; =>This Inner Loop Header: Depth=1
	s_clause 0x1
	s_load_b256 s[36:43], s[20:21], 0x4
	s_load_b128 s[52:55], s[20:21], 0x24
	s_load_b256 s[44:51], s[2:3], 0x0
	s_add_u32 s20, s20, 48
	s_addc_u32 s21, s21, 0
	s_add_i32 s35, s35, 4
	s_add_u32 s2, s2, 32
	s_addc_u32 s3, s3, 0
	s_cmp_eq_u32 s33, s35
	s_waitcnt lgkmcnt(0)
	v_mul_hi_u32 v3, s37, v2
	s_delay_alu instid0(VALU_DEP_1) | instskip(NEXT) | instid1(VALU_DEP_1)
	v_add_nc_u32_e32 v3, v2, v3
	v_lshrrev_b32_e32 v3, s38, v3
	s_delay_alu instid0(VALU_DEP_1) | instskip(SKIP_1) | instid1(VALU_DEP_2)
	v_mul_hi_u32 v4, s40, v3
	v_mul_lo_u32 v6, v3, s36
	v_add_nc_u32_e32 v4, v3, v4
	s_delay_alu instid0(VALU_DEP_2) | instskip(NEXT) | instid1(VALU_DEP_2)
	v_sub_nc_u32_e32 v2, v2, v6
	v_lshrrev_b32_e32 v4, s41, v4
	s_delay_alu instid0(VALU_DEP_2) | instskip(SKIP_1) | instid1(VALU_DEP_3)
	v_mul_lo_u32 v6, v2, s44
	v_mul_lo_u32 v8, v2, s45
	v_mul_hi_u32 v5, s43, v4
	s_delay_alu instid0(VALU_DEP_1) | instskip(NEXT) | instid1(VALU_DEP_1)
	v_add_nc_u32_e32 v5, v4, v5
	v_lshrrev_b32_e32 v5, s52, v5
	s_delay_alu instid0(VALU_DEP_1) | instskip(SKIP_1) | instid1(VALU_DEP_2)
	v_mul_hi_u32 v7, s54, v5
	v_mul_lo_u32 v9, v5, s42
	v_add_nc_u32_e32 v2, v5, v7
	v_mul_lo_u32 v7, v4, s39
	s_delay_alu instid0(VALU_DEP_3) | instskip(NEXT) | instid1(VALU_DEP_3)
	v_sub_nc_u32_e32 v4, v4, v9
	v_lshrrev_b32_e32 v2, s55, v2
	s_delay_alu instid0(VALU_DEP_2) | instskip(SKIP_2) | instid1(VALU_DEP_4)
	v_mul_lo_u32 v9, v4, s48
	v_mul_lo_u32 v4, v4, s49
	v_sub_nc_u32_e32 v3, v3, v7
	v_mul_lo_u32 v10, v2, s53
	s_delay_alu instid0(VALU_DEP_2) | instskip(SKIP_1) | instid1(VALU_DEP_3)
	v_mul_lo_u32 v7, v3, s46
	v_mul_lo_u32 v3, v3, s47
	v_sub_nc_u32_e32 v5, v5, v10
	s_delay_alu instid0(VALU_DEP_3) | instskip(NEXT) | instid1(VALU_DEP_2)
	v_add3_u32 v0, v6, v0, v7
	v_mul_lo_u32 v10, v5, s50
	v_mul_lo_u32 v5, v5, s51
	v_add3_u32 v1, v8, v1, v3
	s_delay_alu instid0(VALU_DEP_3) | instskip(NEXT) | instid1(VALU_DEP_2)
	v_add3_u32 v0, v9, v0, v10
	v_add3_u32 v1, v4, v1, v5
	s_cbranch_scc0 .LBB271_134
	s_branch .LBB271_152
.LBB271_135:
	s_mov_b32 s31, -1
                                        ; implicit-def: $vgpr0
                                        ; implicit-def: $vgpr1
	s_branch .LBB271_155
.LBB271_136:
	v_dual_mov_b32 v2, v12 :: v_dual_mov_b32 v1, 0
.LBB271_137:
	s_and_b32 s34, s34, 3
	s_delay_alu instid0(SALU_CYCLE_1)
	s_cmp_eq_u32 s34, 0
	s_cbranch_scc1 .LBB271_140
; %bb.138:
	s_lshl_b32 s2, s33, 3
	s_mul_i32 s20, s33, 12
	s_add_u32 s2, s2, s0
	s_addc_u32 s3, s1, 0
	s_add_u32 s2, s2, 0xc4
	s_addc_u32 s3, s3, 0
	;; [unrolled: 2-line block ×3, first 2 shown]
	.p2align	6
.LBB271_139:                            ; =>This Inner Loop Header: Depth=1
	s_clause 0x1
	s_load_b64 s[36:37], s[20:21], 0x4
	s_load_b32 s33, s[20:21], 0xc
	s_load_b64 s[38:39], s[2:3], 0x0
	s_add_u32 s20, s20, 12
	s_addc_u32 s21, s21, 0
	s_add_u32 s2, s2, 8
	s_addc_u32 s3, s3, 0
	s_add_i32 s34, s34, -1
	s_delay_alu instid0(SALU_CYCLE_1) | instskip(SKIP_2) | instid1(VALU_DEP_1)
	s_cmp_lg_u32 s34, 0
	s_waitcnt lgkmcnt(0)
	v_mul_hi_u32 v3, s37, v2
	v_add_nc_u32_e32 v3, v2, v3
	s_delay_alu instid0(VALU_DEP_1) | instskip(NEXT) | instid1(VALU_DEP_1)
	v_lshrrev_b32_e32 v6, s33, v3
	v_mul_lo_u32 v3, v6, s36
	s_delay_alu instid0(VALU_DEP_1) | instskip(NEXT) | instid1(VALU_DEP_1)
	v_sub_nc_u32_e32 v2, v2, v3
	v_mad_u64_u32 v[3:4], null, v2, s38, v[0:1]
	v_mad_u64_u32 v[4:5], null, v2, s39, v[1:2]
	v_mov_b32_e32 v2, v6
	s_delay_alu instid0(VALU_DEP_2)
	v_dual_mov_b32 v0, v3 :: v_dual_mov_b32 v1, v4
	s_cbranch_scc1 .LBB271_139
.LBB271_140:
	s_and_not1_b32 vcc_lo, exec_lo, s31
	s_cbranch_vccnz .LBB271_143
; %bb.141:
	s_waitcnt lgkmcnt(0)
	v_mul_hi_u32 v0, s13, v12
	s_and_not1_b32 vcc_lo, exec_lo, s26
	s_delay_alu instid0(VALU_DEP_1) | instskip(NEXT) | instid1(VALU_DEP_1)
	v_add_nc_u32_e32 v0, v12, v0
	v_lshrrev_b32_e32 v2, s14, v0
	s_delay_alu instid0(VALU_DEP_1) | instskip(NEXT) | instid1(VALU_DEP_1)
	v_mul_lo_u32 v0, v2, s12
	v_sub_nc_u32_e32 v1, v12, v0
	s_delay_alu instid0(VALU_DEP_1)
	v_mul_lo_u32 v0, v1, s8
	v_mul_lo_u32 v1, v1, s9
	s_cbranch_vccnz .LBB271_143
; %bb.142:
	v_mul_hi_u32 v3, s16, v2
	s_delay_alu instid0(VALU_DEP_1) | instskip(NEXT) | instid1(VALU_DEP_1)
	v_add_nc_u32_e32 v3, v2, v3
	v_lshrrev_b32_e32 v3, s17, v3
	s_delay_alu instid0(VALU_DEP_1) | instskip(NEXT) | instid1(VALU_DEP_1)
	v_mul_lo_u32 v3, v3, s15
	v_sub_nc_u32_e32 v5, v2, v3
	s_delay_alu instid0(VALU_DEP_1) | instskip(NEXT) | instid1(VALU_DEP_1)
	v_mad_u64_u32 v[2:3], null, v5, s10, v[0:1]
	v_mad_u64_u32 v[3:4], null, v5, s11, v[1:2]
	s_delay_alu instid0(VALU_DEP_1)
	v_dual_mov_b32 v0, v2 :: v_dual_mov_b32 v1, v3
.LBB271_143:
	s_waitcnt lgkmcnt(0)
	global_load_u16 v1, v1, s[6:7]
	v_add_nc_u32_e32 v12, 0x80, v12
	s_waitcnt vmcnt(0)
	v_lshlrev_b32_e32 v1, 16, v1
	s_delay_alu instid0(VALU_DEP_1) | instskip(SKIP_1) | instid1(VALU_DEP_2)
	v_mul_f32_e32 v2, 0x4f800000, v1
	v_cmp_gt_f32_e32 vcc_lo, 0xf800000, v1
	v_cndmask_b32_e32 v1, v1, v2, vcc_lo
	s_delay_alu instid0(VALU_DEP_1) | instskip(SKIP_3) | instid1(VALU_DEP_2)
	v_sqrt_f32_e32 v2, v1
	s_waitcnt_depctr 0xfff
	v_add_nc_u32_e32 v3, -1, v2
	v_add_nc_u32_e32 v4, 1, v2
	v_fma_f32 v5, -v3, v2, v1
	s_delay_alu instid0(VALU_DEP_2) | instskip(NEXT) | instid1(VALU_DEP_2)
	v_fma_f32 v6, -v4, v2, v1
	v_cmp_ge_f32_e64 s2, 0, v5
	s_delay_alu instid0(VALU_DEP_1) | instskip(NEXT) | instid1(VALU_DEP_3)
	v_cndmask_b32_e64 v2, v2, v3, s2
	v_cmp_lt_f32_e64 s2, 0, v6
	s_delay_alu instid0(VALU_DEP_1) | instskip(NEXT) | instid1(VALU_DEP_1)
	v_cndmask_b32_e64 v2, v2, v4, s2
	v_mul_f32_e32 v3, 0x37800000, v2
	s_delay_alu instid0(VALU_DEP_1) | instskip(SKIP_1) | instid1(VALU_DEP_2)
	v_cndmask_b32_e32 v2, v2, v3, vcc_lo
	v_cmp_class_f32_e64 vcc_lo, v1, 0x260
	v_cndmask_b32_e32 v1, v2, v1, vcc_lo
	s_delay_alu instid0(VALU_DEP_1) | instskip(SKIP_1) | instid1(VALU_DEP_2)
	v_bfe_u32 v2, v1, 16, 1
	v_cmp_o_f32_e32 vcc_lo, v1, v1
	v_add3_u32 v2, v1, v2, 0x7fff
	s_delay_alu instid0(VALU_DEP_1) | instskip(NEXT) | instid1(VALU_DEP_1)
	v_lshrrev_b32_e32 v2, 16, v2
	v_cndmask_b32_e32 v1, 0x7fc0, v2, vcc_lo
	global_store_b16 v0, v1, s[4:5]
	s_or_b32 exec_lo, exec_lo, s30
	s_delay_alu instid0(SALU_CYCLE_1)
	s_mov_b32 s30, exec_lo
	v_cmpx_gt_i32_e64 s27, v12
	s_cbranch_execnz .LBB271_130
.LBB271_144:
	s_or_b32 exec_lo, exec_lo, s30
	s_delay_alu instid0(SALU_CYCLE_1)
	s_mov_b32 s30, exec_lo
	v_cmpx_gt_i32_e64 s27, v12
	s_cbranch_execz .LBB271_159
.LBB271_145:
	s_and_not1_b32 vcc_lo, exec_lo, s24
	s_cbranch_vccnz .LBB271_150
; %bb.146:
	v_dual_mov_b32 v0, 0 :: v_dual_mov_b32 v1, 0
	s_and_not1_b32 vcc_lo, exec_lo, s29
	s_mov_b32 s31, 0
	s_cbranch_vccnz .LBB271_170
; %bb.147:
	v_mov_b32_e32 v0, 0
	s_add_i32 s34, s28, 1
	s_cmp_eq_u32 s23, 2
	s_mov_b32 s33, 0
	s_cbranch_scc1 .LBB271_166
; %bb.148:
	v_dual_mov_b32 v1, 0 :: v_dual_mov_b32 v0, 0
	v_mov_b32_e32 v2, v12
	s_and_b32 s33, s34, 28
	s_mov_b32 s35, 0
	s_mov_b64 s[2:3], s[18:19]
	s_mov_b64 s[20:21], s[0:1]
.LBB271_149:                            ; =>This Inner Loop Header: Depth=1
	s_clause 0x1
	s_load_b256 s[36:43], s[20:21], 0x4
	s_load_b128 s[52:55], s[20:21], 0x24
	s_load_b256 s[44:51], s[2:3], 0x0
	s_add_u32 s20, s20, 48
	s_addc_u32 s21, s21, 0
	s_add_i32 s35, s35, 4
	s_add_u32 s2, s2, 32
	s_addc_u32 s3, s3, 0
	s_cmp_eq_u32 s33, s35
	s_waitcnt lgkmcnt(0)
	v_mul_hi_u32 v3, s37, v2
	s_delay_alu instid0(VALU_DEP_1) | instskip(NEXT) | instid1(VALU_DEP_1)
	v_add_nc_u32_e32 v3, v2, v3
	v_lshrrev_b32_e32 v3, s38, v3
	s_delay_alu instid0(VALU_DEP_1) | instskip(SKIP_1) | instid1(VALU_DEP_2)
	v_mul_hi_u32 v4, s40, v3
	v_mul_lo_u32 v6, v3, s36
	v_add_nc_u32_e32 v4, v3, v4
	s_delay_alu instid0(VALU_DEP_2) | instskip(NEXT) | instid1(VALU_DEP_2)
	v_sub_nc_u32_e32 v2, v2, v6
	v_lshrrev_b32_e32 v4, s41, v4
	s_delay_alu instid0(VALU_DEP_2) | instskip(SKIP_1) | instid1(VALU_DEP_3)
	v_mul_lo_u32 v6, v2, s44
	v_mul_lo_u32 v8, v2, s45
	v_mul_hi_u32 v5, s43, v4
	s_delay_alu instid0(VALU_DEP_1) | instskip(NEXT) | instid1(VALU_DEP_1)
	v_add_nc_u32_e32 v5, v4, v5
	v_lshrrev_b32_e32 v5, s52, v5
	s_delay_alu instid0(VALU_DEP_1) | instskip(SKIP_1) | instid1(VALU_DEP_2)
	v_mul_hi_u32 v7, s54, v5
	v_mul_lo_u32 v9, v5, s42
	v_add_nc_u32_e32 v2, v5, v7
	v_mul_lo_u32 v7, v4, s39
	s_delay_alu instid0(VALU_DEP_3) | instskip(NEXT) | instid1(VALU_DEP_3)
	v_sub_nc_u32_e32 v4, v4, v9
	v_lshrrev_b32_e32 v2, s55, v2
	s_delay_alu instid0(VALU_DEP_2) | instskip(SKIP_2) | instid1(VALU_DEP_4)
	v_mul_lo_u32 v9, v4, s48
	v_mul_lo_u32 v4, v4, s49
	v_sub_nc_u32_e32 v3, v3, v7
	v_mul_lo_u32 v10, v2, s53
	s_delay_alu instid0(VALU_DEP_2) | instskip(SKIP_1) | instid1(VALU_DEP_3)
	v_mul_lo_u32 v7, v3, s46
	v_mul_lo_u32 v3, v3, s47
	v_sub_nc_u32_e32 v5, v5, v10
	s_delay_alu instid0(VALU_DEP_3) | instskip(NEXT) | instid1(VALU_DEP_2)
	v_add3_u32 v0, v6, v0, v7
	v_mul_lo_u32 v10, v5, s50
	v_mul_lo_u32 v5, v5, s51
	v_add3_u32 v1, v8, v1, v3
	s_delay_alu instid0(VALU_DEP_3) | instskip(NEXT) | instid1(VALU_DEP_2)
	v_add3_u32 v0, v9, v0, v10
	v_add3_u32 v1, v4, v1, v5
	s_cbranch_scc0 .LBB271_149
	s_branch .LBB271_167
.LBB271_150:
	s_mov_b32 s31, -1
                                        ; implicit-def: $vgpr0
                                        ; implicit-def: $vgpr1
	s_branch .LBB271_170
.LBB271_151:
	v_dual_mov_b32 v2, v12 :: v_dual_mov_b32 v1, 0
.LBB271_152:
	s_and_b32 s34, s34, 3
	s_delay_alu instid0(SALU_CYCLE_1)
	s_cmp_eq_u32 s34, 0
	s_cbranch_scc1 .LBB271_155
; %bb.153:
	s_lshl_b32 s2, s33, 3
	s_mul_i32 s20, s33, 12
	s_add_u32 s2, s2, s0
	s_addc_u32 s3, s1, 0
	s_add_u32 s2, s2, 0xc4
	s_addc_u32 s3, s3, 0
	s_add_u32 s20, s0, s20
	s_addc_u32 s21, s1, 0
	.p2align	6
.LBB271_154:                            ; =>This Inner Loop Header: Depth=1
	s_clause 0x1
	s_load_b64 s[36:37], s[20:21], 0x4
	s_load_b32 s33, s[20:21], 0xc
	s_load_b64 s[38:39], s[2:3], 0x0
	s_add_u32 s20, s20, 12
	s_addc_u32 s21, s21, 0
	s_add_u32 s2, s2, 8
	s_addc_u32 s3, s3, 0
	s_add_i32 s34, s34, -1
	s_delay_alu instid0(SALU_CYCLE_1) | instskip(SKIP_2) | instid1(VALU_DEP_1)
	s_cmp_lg_u32 s34, 0
	s_waitcnt lgkmcnt(0)
	v_mul_hi_u32 v3, s37, v2
	v_add_nc_u32_e32 v3, v2, v3
	s_delay_alu instid0(VALU_DEP_1) | instskip(NEXT) | instid1(VALU_DEP_1)
	v_lshrrev_b32_e32 v6, s33, v3
	v_mul_lo_u32 v3, v6, s36
	s_delay_alu instid0(VALU_DEP_1) | instskip(NEXT) | instid1(VALU_DEP_1)
	v_sub_nc_u32_e32 v2, v2, v3
	v_mad_u64_u32 v[3:4], null, v2, s38, v[0:1]
	v_mad_u64_u32 v[4:5], null, v2, s39, v[1:2]
	v_mov_b32_e32 v2, v6
	s_delay_alu instid0(VALU_DEP_2)
	v_dual_mov_b32 v0, v3 :: v_dual_mov_b32 v1, v4
	s_cbranch_scc1 .LBB271_154
.LBB271_155:
	s_and_not1_b32 vcc_lo, exec_lo, s31
	s_cbranch_vccnz .LBB271_158
; %bb.156:
	s_waitcnt lgkmcnt(0)
	v_mul_hi_u32 v0, s13, v12
	s_and_not1_b32 vcc_lo, exec_lo, s26
	s_delay_alu instid0(VALU_DEP_1) | instskip(NEXT) | instid1(VALU_DEP_1)
	v_add_nc_u32_e32 v0, v12, v0
	v_lshrrev_b32_e32 v2, s14, v0
	s_delay_alu instid0(VALU_DEP_1) | instskip(NEXT) | instid1(VALU_DEP_1)
	v_mul_lo_u32 v0, v2, s12
	v_sub_nc_u32_e32 v1, v12, v0
	s_delay_alu instid0(VALU_DEP_1)
	v_mul_lo_u32 v0, v1, s8
	v_mul_lo_u32 v1, v1, s9
	s_cbranch_vccnz .LBB271_158
; %bb.157:
	v_mul_hi_u32 v3, s16, v2
	s_delay_alu instid0(VALU_DEP_1) | instskip(NEXT) | instid1(VALU_DEP_1)
	v_add_nc_u32_e32 v3, v2, v3
	v_lshrrev_b32_e32 v3, s17, v3
	s_delay_alu instid0(VALU_DEP_1) | instskip(NEXT) | instid1(VALU_DEP_1)
	v_mul_lo_u32 v3, v3, s15
	v_sub_nc_u32_e32 v5, v2, v3
	s_delay_alu instid0(VALU_DEP_1) | instskip(NEXT) | instid1(VALU_DEP_1)
	v_mad_u64_u32 v[2:3], null, v5, s10, v[0:1]
	v_mad_u64_u32 v[3:4], null, v5, s11, v[1:2]
	s_delay_alu instid0(VALU_DEP_1)
	v_dual_mov_b32 v0, v2 :: v_dual_mov_b32 v1, v3
.LBB271_158:
	s_waitcnt lgkmcnt(0)
	global_load_u16 v1, v1, s[6:7]
	v_add_nc_u32_e32 v12, 0x80, v12
	s_waitcnt vmcnt(0)
	v_lshlrev_b32_e32 v1, 16, v1
	s_delay_alu instid0(VALU_DEP_1) | instskip(SKIP_1) | instid1(VALU_DEP_2)
	v_mul_f32_e32 v2, 0x4f800000, v1
	v_cmp_gt_f32_e32 vcc_lo, 0xf800000, v1
	v_cndmask_b32_e32 v1, v1, v2, vcc_lo
	s_delay_alu instid0(VALU_DEP_1) | instskip(SKIP_3) | instid1(VALU_DEP_2)
	v_sqrt_f32_e32 v2, v1
	s_waitcnt_depctr 0xfff
	v_add_nc_u32_e32 v3, -1, v2
	v_add_nc_u32_e32 v4, 1, v2
	v_fma_f32 v5, -v3, v2, v1
	s_delay_alu instid0(VALU_DEP_2) | instskip(NEXT) | instid1(VALU_DEP_2)
	v_fma_f32 v6, -v4, v2, v1
	v_cmp_ge_f32_e64 s2, 0, v5
	s_delay_alu instid0(VALU_DEP_1) | instskip(NEXT) | instid1(VALU_DEP_3)
	v_cndmask_b32_e64 v2, v2, v3, s2
	v_cmp_lt_f32_e64 s2, 0, v6
	s_delay_alu instid0(VALU_DEP_1) | instskip(NEXT) | instid1(VALU_DEP_1)
	v_cndmask_b32_e64 v2, v2, v4, s2
	v_mul_f32_e32 v3, 0x37800000, v2
	s_delay_alu instid0(VALU_DEP_1) | instskip(SKIP_1) | instid1(VALU_DEP_2)
	v_cndmask_b32_e32 v2, v2, v3, vcc_lo
	v_cmp_class_f32_e64 vcc_lo, v1, 0x260
	v_cndmask_b32_e32 v1, v2, v1, vcc_lo
	s_delay_alu instid0(VALU_DEP_1) | instskip(SKIP_1) | instid1(VALU_DEP_2)
	v_bfe_u32 v2, v1, 16, 1
	v_cmp_o_f32_e32 vcc_lo, v1, v1
	v_add3_u32 v2, v1, v2, 0x7fff
	s_delay_alu instid0(VALU_DEP_1) | instskip(NEXT) | instid1(VALU_DEP_1)
	v_lshrrev_b32_e32 v2, 16, v2
	v_cndmask_b32_e32 v1, 0x7fc0, v2, vcc_lo
	global_store_b16 v0, v1, s[4:5]
	s_or_b32 exec_lo, exec_lo, s30
	s_delay_alu instid0(SALU_CYCLE_1)
	s_mov_b32 s30, exec_lo
	v_cmpx_gt_i32_e64 s27, v12
	s_cbranch_execnz .LBB271_145
.LBB271_159:
	s_or_b32 exec_lo, exec_lo, s30
	s_delay_alu instid0(SALU_CYCLE_1)
	s_mov_b32 s30, exec_lo
	v_cmpx_gt_i32_e64 s27, v12
	s_cbranch_execz .LBB271_174
.LBB271_160:
	s_and_not1_b32 vcc_lo, exec_lo, s24
	s_cbranch_vccnz .LBB271_165
; %bb.161:
	v_dual_mov_b32 v0, 0 :: v_dual_mov_b32 v1, 0
	s_and_not1_b32 vcc_lo, exec_lo, s29
	s_mov_b32 s31, 0
	s_cbranch_vccnz .LBB271_185
; %bb.162:
	v_mov_b32_e32 v0, 0
	s_add_i32 s34, s28, 1
	s_cmp_eq_u32 s23, 2
	s_mov_b32 s33, 0
	s_cbranch_scc1 .LBB271_181
; %bb.163:
	v_dual_mov_b32 v1, 0 :: v_dual_mov_b32 v0, 0
	v_mov_b32_e32 v2, v12
	s_and_b32 s33, s34, 28
	s_mov_b32 s35, 0
	s_mov_b64 s[2:3], s[18:19]
	s_mov_b64 s[20:21], s[0:1]
.LBB271_164:                            ; =>This Inner Loop Header: Depth=1
	s_clause 0x1
	s_load_b256 s[36:43], s[20:21], 0x4
	s_load_b128 s[52:55], s[20:21], 0x24
	s_load_b256 s[44:51], s[2:3], 0x0
	s_add_u32 s20, s20, 48
	s_addc_u32 s21, s21, 0
	s_add_i32 s35, s35, 4
	s_add_u32 s2, s2, 32
	s_addc_u32 s3, s3, 0
	s_cmp_eq_u32 s33, s35
	s_waitcnt lgkmcnt(0)
	v_mul_hi_u32 v3, s37, v2
	s_delay_alu instid0(VALU_DEP_1) | instskip(NEXT) | instid1(VALU_DEP_1)
	v_add_nc_u32_e32 v3, v2, v3
	v_lshrrev_b32_e32 v3, s38, v3
	s_delay_alu instid0(VALU_DEP_1) | instskip(SKIP_1) | instid1(VALU_DEP_2)
	v_mul_hi_u32 v4, s40, v3
	v_mul_lo_u32 v6, v3, s36
	v_add_nc_u32_e32 v4, v3, v4
	s_delay_alu instid0(VALU_DEP_2) | instskip(NEXT) | instid1(VALU_DEP_2)
	v_sub_nc_u32_e32 v2, v2, v6
	v_lshrrev_b32_e32 v4, s41, v4
	s_delay_alu instid0(VALU_DEP_2) | instskip(SKIP_1) | instid1(VALU_DEP_3)
	v_mul_lo_u32 v6, v2, s44
	v_mul_lo_u32 v8, v2, s45
	v_mul_hi_u32 v5, s43, v4
	s_delay_alu instid0(VALU_DEP_1) | instskip(NEXT) | instid1(VALU_DEP_1)
	v_add_nc_u32_e32 v5, v4, v5
	v_lshrrev_b32_e32 v5, s52, v5
	s_delay_alu instid0(VALU_DEP_1) | instskip(SKIP_1) | instid1(VALU_DEP_2)
	v_mul_hi_u32 v7, s54, v5
	v_mul_lo_u32 v9, v5, s42
	v_add_nc_u32_e32 v2, v5, v7
	v_mul_lo_u32 v7, v4, s39
	s_delay_alu instid0(VALU_DEP_3) | instskip(NEXT) | instid1(VALU_DEP_3)
	v_sub_nc_u32_e32 v4, v4, v9
	v_lshrrev_b32_e32 v2, s55, v2
	s_delay_alu instid0(VALU_DEP_2) | instskip(SKIP_2) | instid1(VALU_DEP_4)
	v_mul_lo_u32 v9, v4, s48
	v_mul_lo_u32 v4, v4, s49
	v_sub_nc_u32_e32 v3, v3, v7
	v_mul_lo_u32 v10, v2, s53
	s_delay_alu instid0(VALU_DEP_2) | instskip(SKIP_1) | instid1(VALU_DEP_3)
	v_mul_lo_u32 v7, v3, s46
	v_mul_lo_u32 v3, v3, s47
	v_sub_nc_u32_e32 v5, v5, v10
	s_delay_alu instid0(VALU_DEP_3) | instskip(NEXT) | instid1(VALU_DEP_2)
	v_add3_u32 v0, v6, v0, v7
	v_mul_lo_u32 v10, v5, s50
	v_mul_lo_u32 v5, v5, s51
	v_add3_u32 v1, v8, v1, v3
	s_delay_alu instid0(VALU_DEP_3) | instskip(NEXT) | instid1(VALU_DEP_2)
	v_add3_u32 v0, v9, v0, v10
	v_add3_u32 v1, v4, v1, v5
	s_cbranch_scc0 .LBB271_164
	s_branch .LBB271_182
.LBB271_165:
	s_mov_b32 s31, -1
                                        ; implicit-def: $vgpr0
                                        ; implicit-def: $vgpr1
	s_branch .LBB271_185
.LBB271_166:
	v_dual_mov_b32 v2, v12 :: v_dual_mov_b32 v1, 0
.LBB271_167:
	s_and_b32 s34, s34, 3
	s_delay_alu instid0(SALU_CYCLE_1)
	s_cmp_eq_u32 s34, 0
	s_cbranch_scc1 .LBB271_170
; %bb.168:
	s_lshl_b32 s2, s33, 3
	s_mul_i32 s20, s33, 12
	s_add_u32 s2, s2, s0
	s_addc_u32 s3, s1, 0
	s_add_u32 s2, s2, 0xc4
	s_addc_u32 s3, s3, 0
	s_add_u32 s20, s0, s20
	s_addc_u32 s21, s1, 0
	.p2align	6
.LBB271_169:                            ; =>This Inner Loop Header: Depth=1
	s_clause 0x1
	s_load_b64 s[36:37], s[20:21], 0x4
	s_load_b32 s33, s[20:21], 0xc
	s_load_b64 s[38:39], s[2:3], 0x0
	s_add_u32 s20, s20, 12
	s_addc_u32 s21, s21, 0
	s_add_u32 s2, s2, 8
	s_addc_u32 s3, s3, 0
	s_add_i32 s34, s34, -1
	s_delay_alu instid0(SALU_CYCLE_1) | instskip(SKIP_2) | instid1(VALU_DEP_1)
	s_cmp_lg_u32 s34, 0
	s_waitcnt lgkmcnt(0)
	v_mul_hi_u32 v3, s37, v2
	v_add_nc_u32_e32 v3, v2, v3
	s_delay_alu instid0(VALU_DEP_1) | instskip(NEXT) | instid1(VALU_DEP_1)
	v_lshrrev_b32_e32 v6, s33, v3
	v_mul_lo_u32 v3, v6, s36
	s_delay_alu instid0(VALU_DEP_1) | instskip(NEXT) | instid1(VALU_DEP_1)
	v_sub_nc_u32_e32 v2, v2, v3
	v_mad_u64_u32 v[3:4], null, v2, s38, v[0:1]
	v_mad_u64_u32 v[4:5], null, v2, s39, v[1:2]
	v_mov_b32_e32 v2, v6
	s_delay_alu instid0(VALU_DEP_2)
	v_dual_mov_b32 v0, v3 :: v_dual_mov_b32 v1, v4
	s_cbranch_scc1 .LBB271_169
.LBB271_170:
	s_and_not1_b32 vcc_lo, exec_lo, s31
	s_cbranch_vccnz .LBB271_173
; %bb.171:
	s_waitcnt lgkmcnt(0)
	v_mul_hi_u32 v0, s13, v12
	s_and_not1_b32 vcc_lo, exec_lo, s26
	s_delay_alu instid0(VALU_DEP_1) | instskip(NEXT) | instid1(VALU_DEP_1)
	v_add_nc_u32_e32 v0, v12, v0
	v_lshrrev_b32_e32 v2, s14, v0
	s_delay_alu instid0(VALU_DEP_1) | instskip(NEXT) | instid1(VALU_DEP_1)
	v_mul_lo_u32 v0, v2, s12
	v_sub_nc_u32_e32 v1, v12, v0
	s_delay_alu instid0(VALU_DEP_1)
	v_mul_lo_u32 v0, v1, s8
	v_mul_lo_u32 v1, v1, s9
	s_cbranch_vccnz .LBB271_173
; %bb.172:
	v_mul_hi_u32 v3, s16, v2
	s_delay_alu instid0(VALU_DEP_1) | instskip(NEXT) | instid1(VALU_DEP_1)
	v_add_nc_u32_e32 v3, v2, v3
	v_lshrrev_b32_e32 v3, s17, v3
	s_delay_alu instid0(VALU_DEP_1) | instskip(NEXT) | instid1(VALU_DEP_1)
	v_mul_lo_u32 v3, v3, s15
	v_sub_nc_u32_e32 v5, v2, v3
	s_delay_alu instid0(VALU_DEP_1) | instskip(NEXT) | instid1(VALU_DEP_1)
	v_mad_u64_u32 v[2:3], null, v5, s10, v[0:1]
	v_mad_u64_u32 v[3:4], null, v5, s11, v[1:2]
	s_delay_alu instid0(VALU_DEP_1)
	v_dual_mov_b32 v0, v2 :: v_dual_mov_b32 v1, v3
.LBB271_173:
	s_waitcnt lgkmcnt(0)
	global_load_u16 v1, v1, s[6:7]
	v_add_nc_u32_e32 v12, 0x80, v12
	s_waitcnt vmcnt(0)
	v_lshlrev_b32_e32 v1, 16, v1
	s_delay_alu instid0(VALU_DEP_1) | instskip(SKIP_1) | instid1(VALU_DEP_2)
	v_mul_f32_e32 v2, 0x4f800000, v1
	v_cmp_gt_f32_e32 vcc_lo, 0xf800000, v1
	v_cndmask_b32_e32 v1, v1, v2, vcc_lo
	s_delay_alu instid0(VALU_DEP_1) | instskip(SKIP_3) | instid1(VALU_DEP_2)
	v_sqrt_f32_e32 v2, v1
	s_waitcnt_depctr 0xfff
	v_add_nc_u32_e32 v3, -1, v2
	v_add_nc_u32_e32 v4, 1, v2
	v_fma_f32 v5, -v3, v2, v1
	s_delay_alu instid0(VALU_DEP_2) | instskip(NEXT) | instid1(VALU_DEP_2)
	v_fma_f32 v6, -v4, v2, v1
	v_cmp_ge_f32_e64 s2, 0, v5
	s_delay_alu instid0(VALU_DEP_1) | instskip(NEXT) | instid1(VALU_DEP_3)
	v_cndmask_b32_e64 v2, v2, v3, s2
	v_cmp_lt_f32_e64 s2, 0, v6
	s_delay_alu instid0(VALU_DEP_1) | instskip(NEXT) | instid1(VALU_DEP_1)
	v_cndmask_b32_e64 v2, v2, v4, s2
	v_mul_f32_e32 v3, 0x37800000, v2
	s_delay_alu instid0(VALU_DEP_1) | instskip(SKIP_1) | instid1(VALU_DEP_2)
	v_cndmask_b32_e32 v2, v2, v3, vcc_lo
	v_cmp_class_f32_e64 vcc_lo, v1, 0x260
	v_cndmask_b32_e32 v1, v2, v1, vcc_lo
	s_delay_alu instid0(VALU_DEP_1) | instskip(SKIP_1) | instid1(VALU_DEP_2)
	v_bfe_u32 v2, v1, 16, 1
	v_cmp_o_f32_e32 vcc_lo, v1, v1
	v_add3_u32 v2, v1, v2, 0x7fff
	s_delay_alu instid0(VALU_DEP_1) | instskip(NEXT) | instid1(VALU_DEP_1)
	v_lshrrev_b32_e32 v2, 16, v2
	v_cndmask_b32_e32 v1, 0x7fc0, v2, vcc_lo
	global_store_b16 v0, v1, s[4:5]
	s_or_b32 exec_lo, exec_lo, s30
	s_delay_alu instid0(SALU_CYCLE_1)
	s_mov_b32 s30, exec_lo
	v_cmpx_gt_i32_e64 s27, v12
	s_cbranch_execnz .LBB271_160
.LBB271_174:
	s_or_b32 exec_lo, exec_lo, s30
	s_delay_alu instid0(SALU_CYCLE_1)
	s_mov_b32 s30, exec_lo
	v_cmpx_gt_i32_e64 s27, v12
	s_cbranch_execz .LBB271_189
.LBB271_175:
	s_and_not1_b32 vcc_lo, exec_lo, s24
	s_cbranch_vccnz .LBB271_180
; %bb.176:
	v_dual_mov_b32 v0, 0 :: v_dual_mov_b32 v1, 0
	s_and_not1_b32 vcc_lo, exec_lo, s29
	s_mov_b32 s31, 0
	s_cbranch_vccnz .LBB271_200
; %bb.177:
	v_mov_b32_e32 v0, 0
	s_add_i32 s34, s28, 1
	s_cmp_eq_u32 s23, 2
	s_mov_b32 s33, 0
	s_cbranch_scc1 .LBB271_196
; %bb.178:
	v_dual_mov_b32 v1, 0 :: v_dual_mov_b32 v0, 0
	v_mov_b32_e32 v2, v12
	s_and_b32 s33, s34, 28
	s_mov_b32 s35, 0
	s_mov_b64 s[2:3], s[18:19]
	s_mov_b64 s[20:21], s[0:1]
.LBB271_179:                            ; =>This Inner Loop Header: Depth=1
	s_clause 0x1
	s_load_b256 s[36:43], s[20:21], 0x4
	s_load_b128 s[52:55], s[20:21], 0x24
	s_load_b256 s[44:51], s[2:3], 0x0
	s_add_u32 s20, s20, 48
	s_addc_u32 s21, s21, 0
	s_add_i32 s35, s35, 4
	s_add_u32 s2, s2, 32
	s_addc_u32 s3, s3, 0
	s_cmp_eq_u32 s33, s35
	s_waitcnt lgkmcnt(0)
	v_mul_hi_u32 v3, s37, v2
	s_delay_alu instid0(VALU_DEP_1) | instskip(NEXT) | instid1(VALU_DEP_1)
	v_add_nc_u32_e32 v3, v2, v3
	v_lshrrev_b32_e32 v3, s38, v3
	s_delay_alu instid0(VALU_DEP_1) | instskip(SKIP_1) | instid1(VALU_DEP_2)
	v_mul_hi_u32 v4, s40, v3
	v_mul_lo_u32 v6, v3, s36
	v_add_nc_u32_e32 v4, v3, v4
	s_delay_alu instid0(VALU_DEP_2) | instskip(NEXT) | instid1(VALU_DEP_2)
	v_sub_nc_u32_e32 v2, v2, v6
	v_lshrrev_b32_e32 v4, s41, v4
	s_delay_alu instid0(VALU_DEP_2) | instskip(SKIP_1) | instid1(VALU_DEP_3)
	v_mul_lo_u32 v6, v2, s44
	v_mul_lo_u32 v8, v2, s45
	v_mul_hi_u32 v5, s43, v4
	s_delay_alu instid0(VALU_DEP_1) | instskip(NEXT) | instid1(VALU_DEP_1)
	v_add_nc_u32_e32 v5, v4, v5
	v_lshrrev_b32_e32 v5, s52, v5
	s_delay_alu instid0(VALU_DEP_1) | instskip(SKIP_1) | instid1(VALU_DEP_2)
	v_mul_hi_u32 v7, s54, v5
	v_mul_lo_u32 v9, v5, s42
	v_add_nc_u32_e32 v2, v5, v7
	v_mul_lo_u32 v7, v4, s39
	s_delay_alu instid0(VALU_DEP_3) | instskip(NEXT) | instid1(VALU_DEP_3)
	v_sub_nc_u32_e32 v4, v4, v9
	v_lshrrev_b32_e32 v2, s55, v2
	s_delay_alu instid0(VALU_DEP_2) | instskip(SKIP_2) | instid1(VALU_DEP_4)
	v_mul_lo_u32 v9, v4, s48
	v_mul_lo_u32 v4, v4, s49
	v_sub_nc_u32_e32 v3, v3, v7
	v_mul_lo_u32 v10, v2, s53
	s_delay_alu instid0(VALU_DEP_2) | instskip(SKIP_1) | instid1(VALU_DEP_3)
	v_mul_lo_u32 v7, v3, s46
	v_mul_lo_u32 v3, v3, s47
	v_sub_nc_u32_e32 v5, v5, v10
	s_delay_alu instid0(VALU_DEP_3) | instskip(NEXT) | instid1(VALU_DEP_2)
	v_add3_u32 v0, v6, v0, v7
	v_mul_lo_u32 v10, v5, s50
	v_mul_lo_u32 v5, v5, s51
	v_add3_u32 v1, v8, v1, v3
	s_delay_alu instid0(VALU_DEP_3) | instskip(NEXT) | instid1(VALU_DEP_2)
	v_add3_u32 v0, v9, v0, v10
	v_add3_u32 v1, v4, v1, v5
	s_cbranch_scc0 .LBB271_179
	s_branch .LBB271_197
.LBB271_180:
	s_mov_b32 s31, -1
                                        ; implicit-def: $vgpr0
                                        ; implicit-def: $vgpr1
	s_branch .LBB271_200
.LBB271_181:
	v_dual_mov_b32 v2, v12 :: v_dual_mov_b32 v1, 0
.LBB271_182:
	s_and_b32 s34, s34, 3
	s_delay_alu instid0(SALU_CYCLE_1)
	s_cmp_eq_u32 s34, 0
	s_cbranch_scc1 .LBB271_185
; %bb.183:
	s_lshl_b32 s2, s33, 3
	s_mul_i32 s20, s33, 12
	s_add_u32 s2, s2, s0
	s_addc_u32 s3, s1, 0
	s_add_u32 s2, s2, 0xc4
	s_addc_u32 s3, s3, 0
	s_add_u32 s20, s0, s20
	s_addc_u32 s21, s1, 0
	.p2align	6
.LBB271_184:                            ; =>This Inner Loop Header: Depth=1
	s_clause 0x1
	s_load_b64 s[36:37], s[20:21], 0x4
	s_load_b32 s33, s[20:21], 0xc
	s_load_b64 s[38:39], s[2:3], 0x0
	s_add_u32 s20, s20, 12
	s_addc_u32 s21, s21, 0
	s_add_u32 s2, s2, 8
	s_addc_u32 s3, s3, 0
	s_add_i32 s34, s34, -1
	s_delay_alu instid0(SALU_CYCLE_1) | instskip(SKIP_2) | instid1(VALU_DEP_1)
	s_cmp_lg_u32 s34, 0
	s_waitcnt lgkmcnt(0)
	v_mul_hi_u32 v3, s37, v2
	v_add_nc_u32_e32 v3, v2, v3
	s_delay_alu instid0(VALU_DEP_1) | instskip(NEXT) | instid1(VALU_DEP_1)
	v_lshrrev_b32_e32 v6, s33, v3
	v_mul_lo_u32 v3, v6, s36
	s_delay_alu instid0(VALU_DEP_1) | instskip(NEXT) | instid1(VALU_DEP_1)
	v_sub_nc_u32_e32 v2, v2, v3
	v_mad_u64_u32 v[3:4], null, v2, s38, v[0:1]
	v_mad_u64_u32 v[4:5], null, v2, s39, v[1:2]
	v_mov_b32_e32 v2, v6
	s_delay_alu instid0(VALU_DEP_2)
	v_dual_mov_b32 v0, v3 :: v_dual_mov_b32 v1, v4
	s_cbranch_scc1 .LBB271_184
.LBB271_185:
	s_and_not1_b32 vcc_lo, exec_lo, s31
	s_cbranch_vccnz .LBB271_188
; %bb.186:
	s_waitcnt lgkmcnt(0)
	v_mul_hi_u32 v0, s13, v12
	s_and_not1_b32 vcc_lo, exec_lo, s26
	s_delay_alu instid0(VALU_DEP_1) | instskip(NEXT) | instid1(VALU_DEP_1)
	v_add_nc_u32_e32 v0, v12, v0
	v_lshrrev_b32_e32 v2, s14, v0
	s_delay_alu instid0(VALU_DEP_1) | instskip(NEXT) | instid1(VALU_DEP_1)
	v_mul_lo_u32 v0, v2, s12
	v_sub_nc_u32_e32 v1, v12, v0
	s_delay_alu instid0(VALU_DEP_1)
	v_mul_lo_u32 v0, v1, s8
	v_mul_lo_u32 v1, v1, s9
	s_cbranch_vccnz .LBB271_188
; %bb.187:
	v_mul_hi_u32 v3, s16, v2
	s_delay_alu instid0(VALU_DEP_1) | instskip(NEXT) | instid1(VALU_DEP_1)
	v_add_nc_u32_e32 v3, v2, v3
	v_lshrrev_b32_e32 v3, s17, v3
	s_delay_alu instid0(VALU_DEP_1) | instskip(NEXT) | instid1(VALU_DEP_1)
	v_mul_lo_u32 v3, v3, s15
	v_sub_nc_u32_e32 v5, v2, v3
	s_delay_alu instid0(VALU_DEP_1) | instskip(NEXT) | instid1(VALU_DEP_1)
	v_mad_u64_u32 v[2:3], null, v5, s10, v[0:1]
	v_mad_u64_u32 v[3:4], null, v5, s11, v[1:2]
	s_delay_alu instid0(VALU_DEP_1)
	v_dual_mov_b32 v0, v2 :: v_dual_mov_b32 v1, v3
.LBB271_188:
	s_waitcnt lgkmcnt(0)
	global_load_u16 v1, v1, s[6:7]
	v_add_nc_u32_e32 v12, 0x80, v12
	s_waitcnt vmcnt(0)
	v_lshlrev_b32_e32 v1, 16, v1
	s_delay_alu instid0(VALU_DEP_1) | instskip(SKIP_1) | instid1(VALU_DEP_2)
	v_mul_f32_e32 v2, 0x4f800000, v1
	v_cmp_gt_f32_e32 vcc_lo, 0xf800000, v1
	v_cndmask_b32_e32 v1, v1, v2, vcc_lo
	s_delay_alu instid0(VALU_DEP_1) | instskip(SKIP_3) | instid1(VALU_DEP_2)
	v_sqrt_f32_e32 v2, v1
	s_waitcnt_depctr 0xfff
	v_add_nc_u32_e32 v3, -1, v2
	v_add_nc_u32_e32 v4, 1, v2
	v_fma_f32 v5, -v3, v2, v1
	s_delay_alu instid0(VALU_DEP_2) | instskip(NEXT) | instid1(VALU_DEP_2)
	v_fma_f32 v6, -v4, v2, v1
	v_cmp_ge_f32_e64 s2, 0, v5
	s_delay_alu instid0(VALU_DEP_1) | instskip(NEXT) | instid1(VALU_DEP_3)
	v_cndmask_b32_e64 v2, v2, v3, s2
	v_cmp_lt_f32_e64 s2, 0, v6
	s_delay_alu instid0(VALU_DEP_1) | instskip(NEXT) | instid1(VALU_DEP_1)
	v_cndmask_b32_e64 v2, v2, v4, s2
	v_mul_f32_e32 v3, 0x37800000, v2
	s_delay_alu instid0(VALU_DEP_1) | instskip(SKIP_1) | instid1(VALU_DEP_2)
	v_cndmask_b32_e32 v2, v2, v3, vcc_lo
	v_cmp_class_f32_e64 vcc_lo, v1, 0x260
	v_cndmask_b32_e32 v1, v2, v1, vcc_lo
	s_delay_alu instid0(VALU_DEP_1) | instskip(SKIP_1) | instid1(VALU_DEP_2)
	v_bfe_u32 v2, v1, 16, 1
	v_cmp_o_f32_e32 vcc_lo, v1, v1
	v_add3_u32 v2, v1, v2, 0x7fff
	s_delay_alu instid0(VALU_DEP_1) | instskip(NEXT) | instid1(VALU_DEP_1)
	v_lshrrev_b32_e32 v2, 16, v2
	v_cndmask_b32_e32 v1, 0x7fc0, v2, vcc_lo
	global_store_b16 v0, v1, s[4:5]
	s_or_b32 exec_lo, exec_lo, s30
	s_delay_alu instid0(SALU_CYCLE_1)
	s_mov_b32 s30, exec_lo
	v_cmpx_gt_i32_e64 s27, v12
	s_cbranch_execnz .LBB271_175
.LBB271_189:
	s_or_b32 exec_lo, exec_lo, s30
	s_delay_alu instid0(SALU_CYCLE_1)
	s_mov_b32 s30, exec_lo
	v_cmpx_gt_i32_e64 s27, v12
	s_cbranch_execz .LBB271_204
.LBB271_190:
	s_and_not1_b32 vcc_lo, exec_lo, s24
	s_cbranch_vccnz .LBB271_195
; %bb.191:
	v_dual_mov_b32 v0, 0 :: v_dual_mov_b32 v1, 0
	s_and_not1_b32 vcc_lo, exec_lo, s29
	s_mov_b32 s31, 0
	s_cbranch_vccnz .LBB271_211
; %bb.192:
	v_mov_b32_e32 v0, 0
	s_add_i32 s34, s28, 1
	s_cmp_eq_u32 s23, 2
	s_mov_b32 s33, 0
	s_cbranch_scc1 .LBB271_207
; %bb.193:
	v_dual_mov_b32 v1, 0 :: v_dual_mov_b32 v0, 0
	v_mov_b32_e32 v2, v12
	s_and_b32 s33, s34, 28
	s_mov_b32 s35, 0
	s_mov_b64 s[2:3], s[18:19]
	s_mov_b64 s[20:21], s[0:1]
.LBB271_194:                            ; =>This Inner Loop Header: Depth=1
	s_clause 0x1
	s_load_b256 s[36:43], s[20:21], 0x4
	s_load_b128 s[52:55], s[20:21], 0x24
	s_load_b256 s[44:51], s[2:3], 0x0
	s_add_u32 s20, s20, 48
	s_addc_u32 s21, s21, 0
	s_add_i32 s35, s35, 4
	s_add_u32 s2, s2, 32
	s_addc_u32 s3, s3, 0
	s_cmp_eq_u32 s33, s35
	s_waitcnt lgkmcnt(0)
	v_mul_hi_u32 v3, s37, v2
	s_delay_alu instid0(VALU_DEP_1) | instskip(NEXT) | instid1(VALU_DEP_1)
	v_add_nc_u32_e32 v3, v2, v3
	v_lshrrev_b32_e32 v3, s38, v3
	s_delay_alu instid0(VALU_DEP_1) | instskip(SKIP_1) | instid1(VALU_DEP_2)
	v_mul_hi_u32 v4, s40, v3
	v_mul_lo_u32 v6, v3, s36
	v_add_nc_u32_e32 v4, v3, v4
	s_delay_alu instid0(VALU_DEP_2) | instskip(NEXT) | instid1(VALU_DEP_2)
	v_sub_nc_u32_e32 v2, v2, v6
	v_lshrrev_b32_e32 v4, s41, v4
	s_delay_alu instid0(VALU_DEP_2) | instskip(SKIP_1) | instid1(VALU_DEP_3)
	v_mul_lo_u32 v6, v2, s44
	v_mul_lo_u32 v8, v2, s45
	v_mul_hi_u32 v5, s43, v4
	s_delay_alu instid0(VALU_DEP_1) | instskip(NEXT) | instid1(VALU_DEP_1)
	v_add_nc_u32_e32 v5, v4, v5
	v_lshrrev_b32_e32 v5, s52, v5
	s_delay_alu instid0(VALU_DEP_1) | instskip(SKIP_1) | instid1(VALU_DEP_2)
	v_mul_hi_u32 v7, s54, v5
	v_mul_lo_u32 v9, v5, s42
	v_add_nc_u32_e32 v2, v5, v7
	v_mul_lo_u32 v7, v4, s39
	s_delay_alu instid0(VALU_DEP_3) | instskip(NEXT) | instid1(VALU_DEP_3)
	v_sub_nc_u32_e32 v4, v4, v9
	v_lshrrev_b32_e32 v2, s55, v2
	s_delay_alu instid0(VALU_DEP_2) | instskip(SKIP_2) | instid1(VALU_DEP_4)
	v_mul_lo_u32 v9, v4, s48
	v_mul_lo_u32 v4, v4, s49
	v_sub_nc_u32_e32 v3, v3, v7
	v_mul_lo_u32 v10, v2, s53
	s_delay_alu instid0(VALU_DEP_2) | instskip(SKIP_1) | instid1(VALU_DEP_3)
	v_mul_lo_u32 v7, v3, s46
	v_mul_lo_u32 v3, v3, s47
	v_sub_nc_u32_e32 v5, v5, v10
	s_delay_alu instid0(VALU_DEP_3) | instskip(NEXT) | instid1(VALU_DEP_2)
	v_add3_u32 v0, v6, v0, v7
	v_mul_lo_u32 v10, v5, s50
	v_mul_lo_u32 v5, v5, s51
	v_add3_u32 v1, v8, v1, v3
	s_delay_alu instid0(VALU_DEP_3) | instskip(NEXT) | instid1(VALU_DEP_2)
	v_add3_u32 v0, v9, v0, v10
	v_add3_u32 v1, v4, v1, v5
	s_cbranch_scc0 .LBB271_194
	s_branch .LBB271_208
.LBB271_195:
	s_mov_b32 s31, -1
                                        ; implicit-def: $vgpr0
                                        ; implicit-def: $vgpr1
	s_branch .LBB271_211
.LBB271_196:
	v_dual_mov_b32 v2, v12 :: v_dual_mov_b32 v1, 0
.LBB271_197:
	s_and_b32 s34, s34, 3
	s_delay_alu instid0(SALU_CYCLE_1)
	s_cmp_eq_u32 s34, 0
	s_cbranch_scc1 .LBB271_200
; %bb.198:
	s_lshl_b32 s2, s33, 3
	s_mul_i32 s20, s33, 12
	s_add_u32 s2, s2, s0
	s_addc_u32 s3, s1, 0
	s_add_u32 s2, s2, 0xc4
	s_addc_u32 s3, s3, 0
	s_add_u32 s20, s0, s20
	s_addc_u32 s21, s1, 0
	.p2align	6
.LBB271_199:                            ; =>This Inner Loop Header: Depth=1
	s_clause 0x1
	s_load_b64 s[36:37], s[20:21], 0x4
	s_load_b32 s33, s[20:21], 0xc
	s_load_b64 s[38:39], s[2:3], 0x0
	s_add_u32 s20, s20, 12
	s_addc_u32 s21, s21, 0
	s_add_u32 s2, s2, 8
	s_addc_u32 s3, s3, 0
	s_add_i32 s34, s34, -1
	s_delay_alu instid0(SALU_CYCLE_1) | instskip(SKIP_2) | instid1(VALU_DEP_1)
	s_cmp_lg_u32 s34, 0
	s_waitcnt lgkmcnt(0)
	v_mul_hi_u32 v3, s37, v2
	v_add_nc_u32_e32 v3, v2, v3
	s_delay_alu instid0(VALU_DEP_1) | instskip(NEXT) | instid1(VALU_DEP_1)
	v_lshrrev_b32_e32 v6, s33, v3
	v_mul_lo_u32 v3, v6, s36
	s_delay_alu instid0(VALU_DEP_1) | instskip(NEXT) | instid1(VALU_DEP_1)
	v_sub_nc_u32_e32 v2, v2, v3
	v_mad_u64_u32 v[3:4], null, v2, s38, v[0:1]
	v_mad_u64_u32 v[4:5], null, v2, s39, v[1:2]
	v_mov_b32_e32 v2, v6
	s_delay_alu instid0(VALU_DEP_2)
	v_dual_mov_b32 v0, v3 :: v_dual_mov_b32 v1, v4
	s_cbranch_scc1 .LBB271_199
.LBB271_200:
	s_and_not1_b32 vcc_lo, exec_lo, s31
	s_cbranch_vccnz .LBB271_203
; %bb.201:
	s_waitcnt lgkmcnt(0)
	v_mul_hi_u32 v0, s13, v12
	s_and_not1_b32 vcc_lo, exec_lo, s26
	s_delay_alu instid0(VALU_DEP_1) | instskip(NEXT) | instid1(VALU_DEP_1)
	v_add_nc_u32_e32 v0, v12, v0
	v_lshrrev_b32_e32 v2, s14, v0
	s_delay_alu instid0(VALU_DEP_1) | instskip(NEXT) | instid1(VALU_DEP_1)
	v_mul_lo_u32 v0, v2, s12
	v_sub_nc_u32_e32 v1, v12, v0
	s_delay_alu instid0(VALU_DEP_1)
	v_mul_lo_u32 v0, v1, s8
	v_mul_lo_u32 v1, v1, s9
	s_cbranch_vccnz .LBB271_203
; %bb.202:
	v_mul_hi_u32 v3, s16, v2
	s_delay_alu instid0(VALU_DEP_1) | instskip(NEXT) | instid1(VALU_DEP_1)
	v_add_nc_u32_e32 v3, v2, v3
	v_lshrrev_b32_e32 v3, s17, v3
	s_delay_alu instid0(VALU_DEP_1) | instskip(NEXT) | instid1(VALU_DEP_1)
	v_mul_lo_u32 v3, v3, s15
	v_sub_nc_u32_e32 v5, v2, v3
	s_delay_alu instid0(VALU_DEP_1) | instskip(NEXT) | instid1(VALU_DEP_1)
	v_mad_u64_u32 v[2:3], null, v5, s10, v[0:1]
	v_mad_u64_u32 v[3:4], null, v5, s11, v[1:2]
	s_delay_alu instid0(VALU_DEP_1)
	v_dual_mov_b32 v0, v2 :: v_dual_mov_b32 v1, v3
.LBB271_203:
	s_waitcnt lgkmcnt(0)
	global_load_u16 v1, v1, s[6:7]
	v_add_nc_u32_e32 v12, 0x80, v12
	s_waitcnt vmcnt(0)
	v_lshlrev_b32_e32 v1, 16, v1
	s_delay_alu instid0(VALU_DEP_1) | instskip(SKIP_1) | instid1(VALU_DEP_2)
	v_mul_f32_e32 v2, 0x4f800000, v1
	v_cmp_gt_f32_e32 vcc_lo, 0xf800000, v1
	v_cndmask_b32_e32 v1, v1, v2, vcc_lo
	s_delay_alu instid0(VALU_DEP_1) | instskip(SKIP_3) | instid1(VALU_DEP_2)
	v_sqrt_f32_e32 v2, v1
	s_waitcnt_depctr 0xfff
	v_add_nc_u32_e32 v3, -1, v2
	v_add_nc_u32_e32 v4, 1, v2
	v_fma_f32 v5, -v3, v2, v1
	s_delay_alu instid0(VALU_DEP_2) | instskip(NEXT) | instid1(VALU_DEP_2)
	v_fma_f32 v6, -v4, v2, v1
	v_cmp_ge_f32_e64 s2, 0, v5
	s_delay_alu instid0(VALU_DEP_1) | instskip(NEXT) | instid1(VALU_DEP_3)
	v_cndmask_b32_e64 v2, v2, v3, s2
	v_cmp_lt_f32_e64 s2, 0, v6
	s_delay_alu instid0(VALU_DEP_1) | instskip(NEXT) | instid1(VALU_DEP_1)
	v_cndmask_b32_e64 v2, v2, v4, s2
	v_mul_f32_e32 v3, 0x37800000, v2
	s_delay_alu instid0(VALU_DEP_1) | instskip(SKIP_1) | instid1(VALU_DEP_2)
	v_cndmask_b32_e32 v2, v2, v3, vcc_lo
	v_cmp_class_f32_e64 vcc_lo, v1, 0x260
	v_cndmask_b32_e32 v1, v2, v1, vcc_lo
	s_delay_alu instid0(VALU_DEP_1) | instskip(SKIP_1) | instid1(VALU_DEP_2)
	v_bfe_u32 v2, v1, 16, 1
	v_cmp_o_f32_e32 vcc_lo, v1, v1
	v_add3_u32 v2, v1, v2, 0x7fff
	s_delay_alu instid0(VALU_DEP_1) | instskip(NEXT) | instid1(VALU_DEP_1)
	v_lshrrev_b32_e32 v2, 16, v2
	v_cndmask_b32_e32 v1, 0x7fc0, v2, vcc_lo
	global_store_b16 v0, v1, s[4:5]
	s_or_b32 exec_lo, exec_lo, s30
	s_delay_alu instid0(SALU_CYCLE_1)
	s_mov_b32 s30, exec_lo
	v_cmpx_gt_i32_e64 s27, v12
	s_cbranch_execnz .LBB271_190
.LBB271_204:
	s_or_b32 exec_lo, exec_lo, s30
	s_delay_alu instid0(SALU_CYCLE_1)
	s_mov_b32 s20, exec_lo
	v_cmpx_gt_i32_e64 s27, v12
	s_cbranch_execnz .LBB271_215
.LBB271_205:
	s_or_b32 exec_lo, exec_lo, s20
                                        ; implicit-def: $vgpr16
                                        ; implicit-def: $vgpr12
	s_and_not1_saveexec_b32 s2, s25
	s_cbranch_execnz .LBB271_8
.LBB271_206:
	s_nop 0
	s_sendmsg sendmsg(MSG_DEALLOC_VGPRS)
	s_endpgm
.LBB271_207:
	v_dual_mov_b32 v2, v12 :: v_dual_mov_b32 v1, 0
.LBB271_208:
	s_and_b32 s34, s34, 3
	s_delay_alu instid0(SALU_CYCLE_1)
	s_cmp_eq_u32 s34, 0
	s_cbranch_scc1 .LBB271_211
; %bb.209:
	s_lshl_b32 s2, s33, 3
	s_mul_i32 s20, s33, 12
	s_add_u32 s2, s2, s0
	s_addc_u32 s3, s1, 0
	s_add_u32 s2, s2, 0xc4
	s_addc_u32 s3, s3, 0
	;; [unrolled: 2-line block ×3, first 2 shown]
	.p2align	6
.LBB271_210:                            ; =>This Inner Loop Header: Depth=1
	s_clause 0x1
	s_load_b64 s[36:37], s[20:21], 0x4
	s_load_b32 s33, s[20:21], 0xc
	s_load_b64 s[38:39], s[2:3], 0x0
	s_add_u32 s20, s20, 12
	s_addc_u32 s21, s21, 0
	s_add_u32 s2, s2, 8
	s_addc_u32 s3, s3, 0
	s_add_i32 s34, s34, -1
	s_delay_alu instid0(SALU_CYCLE_1) | instskip(SKIP_2) | instid1(VALU_DEP_1)
	s_cmp_lg_u32 s34, 0
	s_waitcnt lgkmcnt(0)
	v_mul_hi_u32 v3, s37, v2
	v_add_nc_u32_e32 v3, v2, v3
	s_delay_alu instid0(VALU_DEP_1) | instskip(NEXT) | instid1(VALU_DEP_1)
	v_lshrrev_b32_e32 v6, s33, v3
	v_mul_lo_u32 v3, v6, s36
	s_delay_alu instid0(VALU_DEP_1) | instskip(NEXT) | instid1(VALU_DEP_1)
	v_sub_nc_u32_e32 v2, v2, v3
	v_mad_u64_u32 v[3:4], null, v2, s38, v[0:1]
	v_mad_u64_u32 v[4:5], null, v2, s39, v[1:2]
	v_mov_b32_e32 v2, v6
	s_delay_alu instid0(VALU_DEP_2)
	v_dual_mov_b32 v0, v3 :: v_dual_mov_b32 v1, v4
	s_cbranch_scc1 .LBB271_210
.LBB271_211:
	s_and_not1_b32 vcc_lo, exec_lo, s31
	s_cbranch_vccnz .LBB271_214
; %bb.212:
	s_waitcnt lgkmcnt(0)
	v_mul_hi_u32 v0, s13, v12
	s_and_not1_b32 vcc_lo, exec_lo, s26
	s_delay_alu instid0(VALU_DEP_1) | instskip(NEXT) | instid1(VALU_DEP_1)
	v_add_nc_u32_e32 v0, v12, v0
	v_lshrrev_b32_e32 v2, s14, v0
	s_delay_alu instid0(VALU_DEP_1) | instskip(NEXT) | instid1(VALU_DEP_1)
	v_mul_lo_u32 v0, v2, s12
	v_sub_nc_u32_e32 v1, v12, v0
	s_delay_alu instid0(VALU_DEP_1)
	v_mul_lo_u32 v0, v1, s8
	v_mul_lo_u32 v1, v1, s9
	s_cbranch_vccnz .LBB271_214
; %bb.213:
	v_mul_hi_u32 v3, s16, v2
	s_delay_alu instid0(VALU_DEP_1) | instskip(NEXT) | instid1(VALU_DEP_1)
	v_add_nc_u32_e32 v3, v2, v3
	v_lshrrev_b32_e32 v3, s17, v3
	s_delay_alu instid0(VALU_DEP_1) | instskip(NEXT) | instid1(VALU_DEP_1)
	v_mul_lo_u32 v3, v3, s15
	v_sub_nc_u32_e32 v5, v2, v3
	s_delay_alu instid0(VALU_DEP_1) | instskip(NEXT) | instid1(VALU_DEP_1)
	v_mad_u64_u32 v[2:3], null, v5, s10, v[0:1]
	v_mad_u64_u32 v[3:4], null, v5, s11, v[1:2]
	s_delay_alu instid0(VALU_DEP_1)
	v_dual_mov_b32 v0, v2 :: v_dual_mov_b32 v1, v3
.LBB271_214:
	s_waitcnt lgkmcnt(0)
	global_load_u16 v1, v1, s[6:7]
	v_add_nc_u32_e32 v12, 0x80, v12
	s_waitcnt vmcnt(0)
	v_lshlrev_b32_e32 v1, 16, v1
	s_delay_alu instid0(VALU_DEP_1) | instskip(SKIP_1) | instid1(VALU_DEP_2)
	v_mul_f32_e32 v2, 0x4f800000, v1
	v_cmp_gt_f32_e32 vcc_lo, 0xf800000, v1
	v_cndmask_b32_e32 v1, v1, v2, vcc_lo
	s_delay_alu instid0(VALU_DEP_1) | instskip(SKIP_3) | instid1(VALU_DEP_2)
	v_sqrt_f32_e32 v2, v1
	s_waitcnt_depctr 0xfff
	v_add_nc_u32_e32 v3, -1, v2
	v_add_nc_u32_e32 v4, 1, v2
	v_fma_f32 v5, -v3, v2, v1
	s_delay_alu instid0(VALU_DEP_2) | instskip(NEXT) | instid1(VALU_DEP_2)
	v_fma_f32 v6, -v4, v2, v1
	v_cmp_ge_f32_e64 s2, 0, v5
	s_delay_alu instid0(VALU_DEP_1) | instskip(NEXT) | instid1(VALU_DEP_3)
	v_cndmask_b32_e64 v2, v2, v3, s2
	v_cmp_lt_f32_e64 s2, 0, v6
	s_delay_alu instid0(VALU_DEP_1) | instskip(NEXT) | instid1(VALU_DEP_1)
	v_cndmask_b32_e64 v2, v2, v4, s2
	v_mul_f32_e32 v3, 0x37800000, v2
	s_delay_alu instid0(VALU_DEP_1) | instskip(SKIP_1) | instid1(VALU_DEP_2)
	v_cndmask_b32_e32 v2, v2, v3, vcc_lo
	v_cmp_class_f32_e64 vcc_lo, v1, 0x260
	v_cndmask_b32_e32 v1, v2, v1, vcc_lo
	s_delay_alu instid0(VALU_DEP_1) | instskip(SKIP_1) | instid1(VALU_DEP_2)
	v_bfe_u32 v2, v1, 16, 1
	v_cmp_o_f32_e32 vcc_lo, v1, v1
	v_add3_u32 v2, v1, v2, 0x7fff
	s_delay_alu instid0(VALU_DEP_1) | instskip(NEXT) | instid1(VALU_DEP_1)
	v_lshrrev_b32_e32 v2, 16, v2
	v_cndmask_b32_e32 v1, 0x7fc0, v2, vcc_lo
	global_store_b16 v0, v1, s[4:5]
	s_or_b32 exec_lo, exec_lo, s30
	s_delay_alu instid0(SALU_CYCLE_1)
	s_mov_b32 s20, exec_lo
	v_cmpx_gt_i32_e64 s27, v12
	s_cbranch_execz .LBB271_205
.LBB271_215:
	s_and_not1_b32 vcc_lo, exec_lo, s24
	s_cbranch_vccnz .LBB271_220
; %bb.216:
	v_dual_mov_b32 v0, 0 :: v_dual_mov_b32 v1, 0
	s_and_not1_b32 vcc_lo, exec_lo, s29
	s_mov_b32 s21, 0
	s_cbranch_vccnz .LBB271_225
; %bb.217:
	v_mov_b32_e32 v0, 0
	s_add_i32 s28, s28, 1
	s_cmp_eq_u32 s23, 2
	s_mov_b32 s27, 0
	s_cbranch_scc1 .LBB271_221
; %bb.218:
	v_dual_mov_b32 v1, 0 :: v_dual_mov_b32 v0, 0
	v_mov_b32_e32 v2, v12
	s_and_b32 s27, s28, 28
	s_mov_b32 s29, 0
	s_mov_b64 s[2:3], s[0:1]
.LBB271_219:                            ; =>This Inner Loop Header: Depth=1
	s_clause 0x1
	s_load_b256 s[36:43], s[2:3], 0x4
	s_load_b128 s[52:55], s[2:3], 0x24
	s_load_b256 s[44:51], s[18:19], 0x0
	s_add_u32 s2, s2, 48
	s_addc_u32 s3, s3, 0
	s_add_i32 s29, s29, 4
	s_add_u32 s18, s18, 32
	s_addc_u32 s19, s19, 0
	s_cmp_eq_u32 s27, s29
	s_waitcnt lgkmcnt(0)
	v_mul_hi_u32 v3, s37, v2
	s_delay_alu instid0(VALU_DEP_1) | instskip(NEXT) | instid1(VALU_DEP_1)
	v_add_nc_u32_e32 v3, v2, v3
	v_lshrrev_b32_e32 v3, s38, v3
	s_delay_alu instid0(VALU_DEP_1) | instskip(SKIP_1) | instid1(VALU_DEP_2)
	v_mul_hi_u32 v4, s40, v3
	v_mul_lo_u32 v6, v3, s36
	v_add_nc_u32_e32 v4, v3, v4
	s_delay_alu instid0(VALU_DEP_2) | instskip(NEXT) | instid1(VALU_DEP_2)
	v_sub_nc_u32_e32 v2, v2, v6
	v_lshrrev_b32_e32 v4, s41, v4
	s_delay_alu instid0(VALU_DEP_2) | instskip(SKIP_1) | instid1(VALU_DEP_3)
	v_mul_lo_u32 v6, v2, s44
	v_mul_lo_u32 v8, v2, s45
	v_mul_hi_u32 v5, s43, v4
	s_delay_alu instid0(VALU_DEP_1) | instskip(NEXT) | instid1(VALU_DEP_1)
	v_add_nc_u32_e32 v5, v4, v5
	v_lshrrev_b32_e32 v5, s52, v5
	s_delay_alu instid0(VALU_DEP_1) | instskip(SKIP_1) | instid1(VALU_DEP_2)
	v_mul_hi_u32 v7, s54, v5
	v_mul_lo_u32 v9, v5, s42
	v_add_nc_u32_e32 v2, v5, v7
	v_mul_lo_u32 v7, v4, s39
	s_delay_alu instid0(VALU_DEP_3) | instskip(NEXT) | instid1(VALU_DEP_3)
	v_sub_nc_u32_e32 v4, v4, v9
	v_lshrrev_b32_e32 v2, s55, v2
	s_delay_alu instid0(VALU_DEP_2) | instskip(SKIP_2) | instid1(VALU_DEP_4)
	v_mul_lo_u32 v9, v4, s48
	v_mul_lo_u32 v4, v4, s49
	v_sub_nc_u32_e32 v3, v3, v7
	v_mul_lo_u32 v10, v2, s53
	s_delay_alu instid0(VALU_DEP_2) | instskip(SKIP_1) | instid1(VALU_DEP_3)
	v_mul_lo_u32 v7, v3, s46
	v_mul_lo_u32 v3, v3, s47
	v_sub_nc_u32_e32 v5, v5, v10
	s_delay_alu instid0(VALU_DEP_3) | instskip(NEXT) | instid1(VALU_DEP_2)
	v_add3_u32 v0, v6, v0, v7
	v_mul_lo_u32 v10, v5, s50
	v_mul_lo_u32 v5, v5, s51
	v_add3_u32 v1, v8, v1, v3
	s_delay_alu instid0(VALU_DEP_3) | instskip(NEXT) | instid1(VALU_DEP_2)
	v_add3_u32 v0, v9, v0, v10
	v_add3_u32 v1, v4, v1, v5
	s_cbranch_scc0 .LBB271_219
	s_branch .LBB271_222
.LBB271_220:
	s_mov_b32 s21, -1
                                        ; implicit-def: $vgpr0
                                        ; implicit-def: $vgpr1
	s_branch .LBB271_225
.LBB271_221:
	v_dual_mov_b32 v2, v12 :: v_dual_mov_b32 v1, 0
.LBB271_222:
	s_and_b32 s28, s28, 3
	s_delay_alu instid0(SALU_CYCLE_1)
	s_cmp_eq_u32 s28, 0
	s_cbranch_scc1 .LBB271_225
; %bb.223:
	s_lshl_b32 s2, s27, 3
	s_mul_i32 s18, s27, 12
	s_add_u32 s2, s2, s0
	s_addc_u32 s3, s1, 0
	s_add_u32 s2, s2, 0xc4
	s_addc_u32 s3, s3, 0
	s_add_u32 s18, s0, s18
	s_addc_u32 s19, s1, 0
	.p2align	6
.LBB271_224:                            ; =>This Inner Loop Header: Depth=1
	s_clause 0x1
	s_load_b64 s[30:31], s[18:19], 0x4
	s_load_b32 s27, s[18:19], 0xc
	s_load_b64 s[34:35], s[2:3], 0x0
	s_add_u32 s18, s18, 12
	s_addc_u32 s19, s19, 0
	s_add_u32 s2, s2, 8
	s_addc_u32 s3, s3, 0
	s_add_i32 s28, s28, -1
	s_delay_alu instid0(SALU_CYCLE_1) | instskip(SKIP_2) | instid1(VALU_DEP_1)
	s_cmp_lg_u32 s28, 0
	s_waitcnt lgkmcnt(0)
	v_mul_hi_u32 v3, s31, v2
	v_add_nc_u32_e32 v3, v2, v3
	s_delay_alu instid0(VALU_DEP_1) | instskip(NEXT) | instid1(VALU_DEP_1)
	v_lshrrev_b32_e32 v6, s27, v3
	v_mul_lo_u32 v3, v6, s30
	s_delay_alu instid0(VALU_DEP_1) | instskip(NEXT) | instid1(VALU_DEP_1)
	v_sub_nc_u32_e32 v2, v2, v3
	v_mad_u64_u32 v[3:4], null, v2, s34, v[0:1]
	v_mad_u64_u32 v[4:5], null, v2, s35, v[1:2]
	v_mov_b32_e32 v2, v6
	s_delay_alu instid0(VALU_DEP_2)
	v_dual_mov_b32 v0, v3 :: v_dual_mov_b32 v1, v4
	s_cbranch_scc1 .LBB271_224
.LBB271_225:
	s_and_not1_b32 vcc_lo, exec_lo, s21
	s_cbranch_vccnz .LBB271_228
; %bb.226:
	s_waitcnt lgkmcnt(0)
	v_mul_hi_u32 v0, s13, v12
	s_and_not1_b32 vcc_lo, exec_lo, s26
	s_delay_alu instid0(VALU_DEP_1) | instskip(NEXT) | instid1(VALU_DEP_1)
	v_add_nc_u32_e32 v0, v12, v0
	v_lshrrev_b32_e32 v2, s14, v0
	s_delay_alu instid0(VALU_DEP_1) | instskip(NEXT) | instid1(VALU_DEP_1)
	v_mul_lo_u32 v0, v2, s12
	v_sub_nc_u32_e32 v1, v12, v0
	s_delay_alu instid0(VALU_DEP_1)
	v_mul_lo_u32 v0, v1, s8
	v_mul_lo_u32 v1, v1, s9
	s_cbranch_vccnz .LBB271_228
; %bb.227:
	v_mul_hi_u32 v3, s16, v2
	s_delay_alu instid0(VALU_DEP_1) | instskip(NEXT) | instid1(VALU_DEP_1)
	v_add_nc_u32_e32 v3, v2, v3
	v_lshrrev_b32_e32 v3, s17, v3
	s_delay_alu instid0(VALU_DEP_1) | instskip(NEXT) | instid1(VALU_DEP_1)
	v_mul_lo_u32 v3, v3, s15
	v_sub_nc_u32_e32 v5, v2, v3
	s_delay_alu instid0(VALU_DEP_1) | instskip(NEXT) | instid1(VALU_DEP_1)
	v_mad_u64_u32 v[2:3], null, v5, s10, v[0:1]
	v_mad_u64_u32 v[3:4], null, v5, s11, v[1:2]
	s_delay_alu instid0(VALU_DEP_1)
	v_dual_mov_b32 v0, v2 :: v_dual_mov_b32 v1, v3
.LBB271_228:
	s_waitcnt lgkmcnt(0)
	global_load_u16 v1, v1, s[6:7]
	s_waitcnt vmcnt(0)
	v_lshlrev_b32_e32 v1, 16, v1
	s_delay_alu instid0(VALU_DEP_1) | instskip(SKIP_1) | instid1(VALU_DEP_2)
	v_mul_f32_e32 v2, 0x4f800000, v1
	v_cmp_gt_f32_e32 vcc_lo, 0xf800000, v1
	v_cndmask_b32_e32 v1, v1, v2, vcc_lo
	s_delay_alu instid0(VALU_DEP_1) | instskip(SKIP_3) | instid1(VALU_DEP_2)
	v_sqrt_f32_e32 v2, v1
	s_waitcnt_depctr 0xfff
	v_add_nc_u32_e32 v3, -1, v2
	v_add_nc_u32_e32 v4, 1, v2
	v_fma_f32 v5, -v3, v2, v1
	s_delay_alu instid0(VALU_DEP_2) | instskip(NEXT) | instid1(VALU_DEP_2)
	v_fma_f32 v6, -v4, v2, v1
	v_cmp_ge_f32_e64 s2, 0, v5
	s_delay_alu instid0(VALU_DEP_1) | instskip(NEXT) | instid1(VALU_DEP_3)
	v_cndmask_b32_e64 v2, v2, v3, s2
	v_cmp_lt_f32_e64 s2, 0, v6
	s_delay_alu instid0(VALU_DEP_1) | instskip(NEXT) | instid1(VALU_DEP_1)
	v_cndmask_b32_e64 v2, v2, v4, s2
	v_mul_f32_e32 v3, 0x37800000, v2
	s_delay_alu instid0(VALU_DEP_1) | instskip(SKIP_1) | instid1(VALU_DEP_2)
	v_cndmask_b32_e32 v2, v2, v3, vcc_lo
	v_cmp_class_f32_e64 vcc_lo, v1, 0x260
	v_cndmask_b32_e32 v1, v2, v1, vcc_lo
	s_delay_alu instid0(VALU_DEP_1) | instskip(SKIP_1) | instid1(VALU_DEP_2)
	v_bfe_u32 v2, v1, 16, 1
	v_cmp_o_f32_e32 vcc_lo, v1, v1
	v_add3_u32 v2, v1, v2, 0x7fff
	s_delay_alu instid0(VALU_DEP_1) | instskip(NEXT) | instid1(VALU_DEP_1)
	v_lshrrev_b32_e32 v2, 16, v2
	v_cndmask_b32_e32 v1, 0x7fc0, v2, vcc_lo
	global_store_b16 v0, v1, s[4:5]
	s_or_b32 exec_lo, exec_lo, s20
                                        ; implicit-def: $vgpr16
                                        ; implicit-def: $vgpr12
	s_and_not1_saveexec_b32 s2, s25
	s_cbranch_execz .LBB271_206
	s_branch .LBB271_8
	.section	.rodata,"a",@progbits
	.p2align	6, 0x0
	.amdhsa_kernel _ZN2at6native32elementwise_kernel_manual_unrollILi128ELi8EZNS0_22gpu_kernel_impl_nocastIZZZNS0_16sqrt_kernel_cudaERNS_18TensorIteratorBaseEENKUlvE0_clEvENKUlvE2_clEvEUlN3c108BFloat16EE_EEvS4_RKT_EUlibE_EEviT1_
		.amdhsa_group_segment_fixed_size 0
		.amdhsa_private_segment_fixed_size 0
		.amdhsa_kernarg_size 360
		.amdhsa_user_sgpr_count 15
		.amdhsa_user_sgpr_dispatch_ptr 0
		.amdhsa_user_sgpr_queue_ptr 0
		.amdhsa_user_sgpr_kernarg_segment_ptr 1
		.amdhsa_user_sgpr_dispatch_id 0
		.amdhsa_user_sgpr_private_segment_size 0
		.amdhsa_wavefront_size32 1
		.amdhsa_uses_dynamic_stack 0
		.amdhsa_enable_private_segment 0
		.amdhsa_system_sgpr_workgroup_id_x 1
		.amdhsa_system_sgpr_workgroup_id_y 0
		.amdhsa_system_sgpr_workgroup_id_z 0
		.amdhsa_system_sgpr_workgroup_info 0
		.amdhsa_system_vgpr_workitem_id 0
		.amdhsa_next_free_vgpr 56
		.amdhsa_next_free_sgpr 56
		.amdhsa_reserve_vcc 1
		.amdhsa_float_round_mode_32 0
		.amdhsa_float_round_mode_16_64 0
		.amdhsa_float_denorm_mode_32 3
		.amdhsa_float_denorm_mode_16_64 3
		.amdhsa_dx10_clamp 1
		.amdhsa_ieee_mode 1
		.amdhsa_fp16_overflow 0
		.amdhsa_workgroup_processor_mode 1
		.amdhsa_memory_ordered 1
		.amdhsa_forward_progress 0
		.amdhsa_shared_vgpr_count 0
		.amdhsa_exception_fp_ieee_invalid_op 0
		.amdhsa_exception_fp_denorm_src 0
		.amdhsa_exception_fp_ieee_div_zero 0
		.amdhsa_exception_fp_ieee_overflow 0
		.amdhsa_exception_fp_ieee_underflow 0
		.amdhsa_exception_fp_ieee_inexact 0
		.amdhsa_exception_int_div_zero 0
	.end_amdhsa_kernel
	.section	.text._ZN2at6native32elementwise_kernel_manual_unrollILi128ELi8EZNS0_22gpu_kernel_impl_nocastIZZZNS0_16sqrt_kernel_cudaERNS_18TensorIteratorBaseEENKUlvE0_clEvENKUlvE2_clEvEUlN3c108BFloat16EE_EEvS4_RKT_EUlibE_EEviT1_,"axG",@progbits,_ZN2at6native32elementwise_kernel_manual_unrollILi128ELi8EZNS0_22gpu_kernel_impl_nocastIZZZNS0_16sqrt_kernel_cudaERNS_18TensorIteratorBaseEENKUlvE0_clEvENKUlvE2_clEvEUlN3c108BFloat16EE_EEvS4_RKT_EUlibE_EEviT1_,comdat
.Lfunc_end271:
	.size	_ZN2at6native32elementwise_kernel_manual_unrollILi128ELi8EZNS0_22gpu_kernel_impl_nocastIZZZNS0_16sqrt_kernel_cudaERNS_18TensorIteratorBaseEENKUlvE0_clEvENKUlvE2_clEvEUlN3c108BFloat16EE_EEvS4_RKT_EUlibE_EEviT1_, .Lfunc_end271-_ZN2at6native32elementwise_kernel_manual_unrollILi128ELi8EZNS0_22gpu_kernel_impl_nocastIZZZNS0_16sqrt_kernel_cudaERNS_18TensorIteratorBaseEENKUlvE0_clEvENKUlvE2_clEvEUlN3c108BFloat16EE_EEvS4_RKT_EUlibE_EEviT1_
                                        ; -- End function
	.section	.AMDGPU.csdata,"",@progbits
; Kernel info:
; codeLenInByte = 16144
; NumSgprs: 58
; NumVgprs: 56
; ScratchSize: 0
; MemoryBound: 0
; FloatMode: 240
; IeeeMode: 1
; LDSByteSize: 0 bytes/workgroup (compile time only)
; SGPRBlocks: 7
; VGPRBlocks: 6
; NumSGPRsForWavesPerEU: 58
; NumVGPRsForWavesPerEU: 56
; Occupancy: 16
; WaveLimiterHint : 1
; COMPUTE_PGM_RSRC2:SCRATCH_EN: 0
; COMPUTE_PGM_RSRC2:USER_SGPR: 15
; COMPUTE_PGM_RSRC2:TRAP_HANDLER: 0
; COMPUTE_PGM_RSRC2:TGID_X_EN: 1
; COMPUTE_PGM_RSRC2:TGID_Y_EN: 0
; COMPUTE_PGM_RSRC2:TGID_Z_EN: 0
; COMPUTE_PGM_RSRC2:TIDIG_COMP_CNT: 0
	.section	.text._ZN2at6native32elementwise_kernel_manual_unrollILi128ELi4EZNS0_15gpu_kernel_implIZZZNS0_16sqrt_kernel_cudaERNS_18TensorIteratorBaseEENKUlvE0_clEvENKUlvE2_clEvEUlN3c108BFloat16EE_EEvS4_RKT_EUlibE_EEviT1_,"axG",@progbits,_ZN2at6native32elementwise_kernel_manual_unrollILi128ELi4EZNS0_15gpu_kernel_implIZZZNS0_16sqrt_kernel_cudaERNS_18TensorIteratorBaseEENKUlvE0_clEvENKUlvE2_clEvEUlN3c108BFloat16EE_EEvS4_RKT_EUlibE_EEviT1_,comdat
	.globl	_ZN2at6native32elementwise_kernel_manual_unrollILi128ELi4EZNS0_15gpu_kernel_implIZZZNS0_16sqrt_kernel_cudaERNS_18TensorIteratorBaseEENKUlvE0_clEvENKUlvE2_clEvEUlN3c108BFloat16EE_EEvS4_RKT_EUlibE_EEviT1_ ; -- Begin function _ZN2at6native32elementwise_kernel_manual_unrollILi128ELi4EZNS0_15gpu_kernel_implIZZZNS0_16sqrt_kernel_cudaERNS_18TensorIteratorBaseEENKUlvE0_clEvENKUlvE2_clEvEUlN3c108BFloat16EE_EEvS4_RKT_EUlibE_EEviT1_
	.p2align	8
	.type	_ZN2at6native32elementwise_kernel_manual_unrollILi128ELi4EZNS0_15gpu_kernel_implIZZZNS0_16sqrt_kernel_cudaERNS_18TensorIteratorBaseEENKUlvE0_clEvENKUlvE2_clEvEUlN3c108BFloat16EE_EEvS4_RKT_EUlibE_EEviT1_,@function
_ZN2at6native32elementwise_kernel_manual_unrollILi128ELi4EZNS0_15gpu_kernel_implIZZZNS0_16sqrt_kernel_cudaERNS_18TensorIteratorBaseEENKUlvE0_clEvENKUlvE2_clEvEUlN3c108BFloat16EE_EEvS4_RKT_EUlibE_EEviT1_: ; @_ZN2at6native32elementwise_kernel_manual_unrollILi128ELi4EZNS0_15gpu_kernel_implIZZZNS0_16sqrt_kernel_cudaERNS_18TensorIteratorBaseEENKUlvE0_clEvENKUlvE2_clEvEUlN3c108BFloat16EE_EEvS4_RKT_EUlibE_EEviT1_
; %bb.0:
	v_mov_b32_e32 v1, 0
	s_clause 0x2
	s_load_b32 s10, s[0:1], 0x0
	s_load_b64 s[2:3], s[0:1], 0x18
	s_load_b128 s[4:7], s[0:1], 0x8
	v_lshl_or_b32 v3, s15, 9, v0
	s_mov_b32 s9, 0
	global_load_u16 v2, v1, s[0:1] offset:33
	s_mov_b32 s1, 0
	v_or_b32_e32 v0, 0x180, v3
	s_mov_b32 s0, exec_lo
	s_waitcnt vmcnt(0)
	v_lshrrev_b16 v4, 8, v2
	s_waitcnt lgkmcnt(0)
	v_cmpx_le_i32_e64 s10, v0
	s_xor_b32 s8, exec_lo, s0
	s_cbranch_execz .LBB272_1024
; %bb.1:
	s_mov_b32 s15, -1
	s_mov_b32 s13, 0
	s_mov_b32 s11, 0
	s_mov_b32 s12, exec_lo
	v_cmpx_gt_i32_e64 s10, v3
	s_cbranch_execz .LBB272_250
; %bb.2:
	v_mul_lo_u32 v0, v3, s3
	v_cmp_gt_i16_e32 vcc_lo, 11, v4
	s_delay_alu instid0(VALU_DEP_2) | instskip(SKIP_1) | instid1(VALU_DEP_1)
	v_ashrrev_i32_e32 v1, 31, v0
	v_add_co_u32 v0, s0, s6, v0
	v_add_co_ci_u32_e64 v1, s0, s7, v1, s0
	s_cbranch_vccnz .LBB272_9
; %bb.3:
	v_cmp_lt_i16_e32 vcc_lo, 25, v4
	s_cbranch_vccz .LBB272_128
; %bb.4:
	v_cmp_lt_i16_e32 vcc_lo, 28, v4
	s_cbranch_vccz .LBB272_129
	;; [unrolled: 3-line block ×4, first 2 shown]
; %bb.7:
	v_cmp_eq_u16_e32 vcc_lo, 46, v4
	s_cbranch_vccz .LBB272_132
; %bb.8:
	global_load_b32 v5, v[0:1], off
	s_mov_b32 s0, -1
	s_branch .LBB272_134
.LBB272_9:
	s_mov_b32 s0, 0
                                        ; implicit-def: $vgpr5
	s_cbranch_execnz .LBB272_200
.LBB272_10:
	s_and_not1_b32 vcc_lo, exec_lo, s0
	s_cbranch_vccnz .LBB272_247
.LBB272_11:
	s_waitcnt vmcnt(0)
	s_delay_alu instid0(VALU_DEP_1) | instskip(SKIP_2) | instid1(VALU_DEP_1)
	v_lshlrev_b32_e32 v0, 16, v5
	s_mov_b32 s14, -1
	s_mov_b32 s9, 0
	v_mul_f32_e32 v1, 0x4f800000, v0
	v_cmp_gt_f32_e32 vcc_lo, 0xf800000, v0
	s_delay_alu instid0(VALU_DEP_2) | instskip(NEXT) | instid1(VALU_DEP_1)
	v_cndmask_b32_e32 v0, v0, v1, vcc_lo
	v_sqrt_f32_e32 v1, v0
	s_waitcnt_depctr 0xfff
	v_add_nc_u32_e32 v5, -1, v1
	v_add_nc_u32_e32 v6, 1, v1
	s_delay_alu instid0(VALU_DEP_2) | instskip(NEXT) | instid1(VALU_DEP_2)
	v_fma_f32 v7, -v5, v1, v0
	v_fma_f32 v8, -v6, v1, v0
	s_delay_alu instid0(VALU_DEP_2) | instskip(NEXT) | instid1(VALU_DEP_1)
	v_cmp_ge_f32_e64 s0, 0, v7
	v_cndmask_b32_e64 v1, v1, v5, s0
	s_delay_alu instid0(VALU_DEP_3) | instskip(NEXT) | instid1(VALU_DEP_1)
	v_cmp_lt_f32_e64 s0, 0, v8
	v_cndmask_b32_e64 v1, v1, v6, s0
	s_delay_alu instid0(VALU_DEP_1) | instskip(NEXT) | instid1(VALU_DEP_1)
	v_mul_f32_e32 v5, 0x37800000, v1
	v_cndmask_b32_e32 v1, v1, v5, vcc_lo
	v_and_b32_e32 v5, 0xff, v2
	v_cmp_class_f32_e64 vcc_lo, v0, 0x260
	s_delay_alu instid0(VALU_DEP_3) | instskip(SKIP_1) | instid1(VALU_DEP_4)
	v_cndmask_b32_e32 v6, v1, v0, vcc_lo
	v_mul_lo_u32 v1, v3, s2
	v_cmp_gt_i16_e32 vcc_lo, 11, v5
	s_delay_alu instid0(VALU_DEP_3) | instskip(SKIP_1) | instid1(VALU_DEP_3)
	v_bfe_u32 v0, v6, 16, 1
	s_and_b32 vcc_lo, exec_lo, vcc_lo
	v_ashrrev_i32_e32 v7, 31, v1
	s_delay_alu instid0(VALU_DEP_2) | instskip(NEXT) | instid1(VALU_DEP_1)
	v_add3_u32 v0, v6, v0, 0x7fff
	v_lshrrev_b32_e32 v8, 16, v0
	v_add_co_u32 v0, s0, s4, v1
	s_delay_alu instid0(VALU_DEP_1) | instskip(SKIP_1) | instid1(VALU_DEP_1)
	v_add_co_ci_u32_e64 v1, s0, s5, v7, s0
	v_cmp_o_f32_e64 s0, v6, v6
	v_cndmask_b32_e64 v6, 0x7fc0, v8, s0
	s_mov_b32 s0, 0
	s_cbranch_vccnz .LBB272_88
; %bb.12:
	v_cmp_lt_i16_e32 vcc_lo, 25, v5
	s_cbranch_vccz .LBB272_45
; %bb.13:
	v_cmp_lt_i16_e32 vcc_lo, 28, v5
	s_cbranch_vccz .LBB272_28
	;; [unrolled: 3-line block ×4, first 2 shown]
; %bb.16:
	v_cmp_eq_u16_e32 vcc_lo, 46, v5
	s_mov_b32 s14, 0
	s_mov_b32 s9, -1
	s_cbranch_vccz .LBB272_18
; %bb.17:
	v_and_b32_e32 v7, 0xffff, v6
	s_mov_b32 s0, -1
	s_mov_b32 s9, 0
	global_store_b32 v[0:1], v7, off
.LBB272_18:
	s_and_b32 vcc_lo, exec_lo, s14
	s_cbranch_vccz .LBB272_23
; %bb.19:
	v_cmp_eq_u16_e32 vcc_lo, 44, v5
	s_mov_b32 s9, -1
	s_cbranch_vccz .LBB272_23
; %bb.20:
	v_and_b32_e32 v7, 0xffff, v6
	v_mov_b32_e32 v8, 0xff
	s_mov_b32 s9, exec_lo
	s_delay_alu instid0(VALU_DEP_2) | instskip(NEXT) | instid1(VALU_DEP_1)
	v_bfe_u32 v9, v7, 7, 8
	v_cmpx_ne_u32_e32 0xff, v9
; %bb.21:
	v_lshlrev_b32_e32 v8, 16, v7
	v_and_b32_e32 v10, 64, v7
	v_lshrrev_b32_e32 v7, 7, v7
	s_delay_alu instid0(VALU_DEP_3) | instskip(NEXT) | instid1(VALU_DEP_3)
	v_and_or_b32 v8, 0x3f0000, v8, v9
	v_cmp_ne_u32_e32 vcc_lo, 0, v10
	s_delay_alu instid0(VALU_DEP_2) | instskip(NEXT) | instid1(VALU_DEP_1)
	v_cmp_ne_u32_e64 s0, 0, v8
	s_and_b32 s0, vcc_lo, s0
	s_delay_alu instid0(SALU_CYCLE_1) | instskip(NEXT) | instid1(VALU_DEP_1)
	v_cndmask_b32_e64 v8, 0, 1, s0
	v_add_nc_u32_e32 v8, v7, v8
; %bb.22:
	s_or_b32 exec_lo, exec_lo, s9
	s_mov_b32 s0, -1
	s_mov_b32 s9, 0
	global_store_b8 v[0:1], v8, off
.LBB272_23:
	s_mov_b32 s14, 0
.LBB272_24:
	s_delay_alu instid0(SALU_CYCLE_1)
	s_and_b32 vcc_lo, exec_lo, s14
	s_cbranch_vccz .LBB272_27
; %bb.25:
	v_cmp_eq_u16_e32 vcc_lo, 29, v5
	s_mov_b32 s9, -1
	s_cbranch_vccz .LBB272_27
; %bb.26:
	v_lshlrev_b32_e32 v7, 16, v6
	s_mov_b32 s0, -1
	s_mov_b32 s9, 0
	s_delay_alu instid0(VALU_DEP_1) | instskip(NEXT) | instid1(VALU_DEP_1)
	v_trunc_f32_e32 v7, v7
	v_mul_f32_e32 v8, 0x2f800000, v7
	s_delay_alu instid0(VALU_DEP_1) | instskip(NEXT) | instid1(VALU_DEP_1)
	v_floor_f32_e32 v8, v8
	v_fmamk_f32 v7, v8, 0xcf800000, v7
	v_cvt_u32_f32_e32 v8, v8
	s_delay_alu instid0(VALU_DEP_2)
	v_cvt_u32_f32_e32 v7, v7
	global_store_b64 v[0:1], v[7:8], off
.LBB272_27:
	s_mov_b32 s14, 0
.LBB272_28:
	s_delay_alu instid0(SALU_CYCLE_1)
	s_and_b32 vcc_lo, exec_lo, s14
	s_cbranch_vccz .LBB272_44
; %bb.29:
	v_cmp_gt_i16_e32 vcc_lo, 27, v5
	s_mov_b32 s0, -1
	s_cbranch_vccnz .LBB272_35
; %bb.30:
	v_cmp_lt_i16_e32 vcc_lo, 27, v5
	s_cbranch_vccz .LBB272_32
; %bb.31:
	v_lshlrev_b32_e32 v7, 16, v6
	s_mov_b32 s0, 0
	s_delay_alu instid0(VALU_DEP_1)
	v_cvt_u32_f32_e32 v7, v7
	global_store_b32 v[0:1], v7, off
.LBB272_32:
	s_and_not1_b32 vcc_lo, exec_lo, s0
	s_cbranch_vccnz .LBB272_34
; %bb.33:
	v_lshlrev_b32_e32 v7, 16, v6
	s_delay_alu instid0(VALU_DEP_1)
	v_cvt_u32_f32_e32 v7, v7
	global_store_b16 v[0:1], v7, off
.LBB272_34:
	s_mov_b32 s0, 0
.LBB272_35:
	s_delay_alu instid0(SALU_CYCLE_1)
	s_and_not1_b32 vcc_lo, exec_lo, s0
	s_cbranch_vccnz .LBB272_43
; %bb.36:
	v_dual_mov_b32 v10, 0x80 :: v_dual_lshlrev_b32 v9, 16, v6
	s_mov_b32 s0, exec_lo
	s_delay_alu instid0(VALU_DEP_1) | instskip(NEXT) | instid1(VALU_DEP_1)
	v_and_b32_e32 v8, 0x7fffffff, v9
	v_cmpx_gt_u32_e32 0x43800000, v8
	s_cbranch_execz .LBB272_42
; %bb.37:
	v_and_b32_e32 v7, 0xffff, v6
	v_cmp_lt_u32_e32 vcc_lo, 0x3bffffff, v8
	s_mov_b32 s14, 0
                                        ; implicit-def: $vgpr8
	s_and_saveexec_b32 s15, vcc_lo
	s_delay_alu instid0(SALU_CYCLE_1)
	s_xor_b32 s15, exec_lo, s15
	s_cbranch_execz .LBB272_137
; %bb.38:
	v_bfe_u32 v8, v7, 4, 1
	s_mov_b32 s14, exec_lo
	s_delay_alu instid0(VALU_DEP_1) | instskip(NEXT) | instid1(VALU_DEP_1)
	v_add3_u32 v8, v9, v8, 0x487ffff
                                        ; implicit-def: $vgpr9
	v_lshrrev_b32_e32 v8, 20, v8
	s_or_saveexec_b32 s15, s15
                                        ; implicit-def: $sgpr16
	s_delay_alu instid0(SALU_CYCLE_1)
	s_xor_b32 exec_lo, exec_lo, s15
	s_cbranch_execnz .LBB272_138
.LBB272_39:
	s_or_b32 exec_lo, exec_lo, s15
	v_mov_b32_e32 v10, s16
	s_and_saveexec_b32 s15, s14
.LBB272_40:
	v_lshrrev_b32_e32 v7, 8, v7
	s_delay_alu instid0(VALU_DEP_1)
	v_and_or_b32 v10, 0x80, v7, v8
.LBB272_41:
	s_or_b32 exec_lo, exec_lo, s15
.LBB272_42:
	s_delay_alu instid0(SALU_CYCLE_1)
	s_or_b32 exec_lo, exec_lo, s0
	global_store_b8 v[0:1], v10, off
.LBB272_43:
	s_mov_b32 s0, -1
.LBB272_44:
	s_mov_b32 s14, 0
.LBB272_45:
	s_delay_alu instid0(SALU_CYCLE_1)
	s_and_b32 vcc_lo, exec_lo, s14
	s_cbranch_vccz .LBB272_86
; %bb.46:
	v_cmp_lt_i16_e32 vcc_lo, 22, v5
	s_mov_b32 s14, -1
	s_cbranch_vccz .LBB272_78
; %bb.47:
	v_cmp_gt_i16_e32 vcc_lo, 24, v5
	s_mov_b32 s0, -1
	s_cbranch_vccnz .LBB272_67
; %bb.48:
	v_cmp_lt_i16_e32 vcc_lo, 24, v5
	s_cbranch_vccz .LBB272_56
; %bb.49:
	v_dual_mov_b32 v10, 0x80 :: v_dual_lshlrev_b32 v9, 16, v6
	s_mov_b32 s0, exec_lo
	s_delay_alu instid0(VALU_DEP_1) | instskip(NEXT) | instid1(VALU_DEP_1)
	v_and_b32_e32 v8, 0x7fffffff, v9
	v_cmpx_gt_u32_e32 0x47800000, v8
	s_cbranch_execz .LBB272_55
; %bb.50:
	v_and_b32_e32 v7, 0xffff, v6
	v_cmp_lt_u32_e32 vcc_lo, 0x37ffffff, v8
	s_mov_b32 s14, 0
                                        ; implicit-def: $vgpr8
	s_and_saveexec_b32 s15, vcc_lo
	s_delay_alu instid0(SALU_CYCLE_1)
	s_xor_b32 s15, exec_lo, s15
	s_cbranch_execz .LBB272_315
; %bb.51:
	v_bfe_u32 v8, v7, 5, 1
	s_mov_b32 s14, exec_lo
	s_delay_alu instid0(VALU_DEP_1) | instskip(NEXT) | instid1(VALU_DEP_1)
	v_add3_u32 v8, v9, v8, 0x88fffff
                                        ; implicit-def: $vgpr9
	v_lshrrev_b32_e32 v8, 21, v8
	s_or_saveexec_b32 s15, s15
                                        ; implicit-def: $sgpr16
	s_delay_alu instid0(SALU_CYCLE_1)
	s_xor_b32 exec_lo, exec_lo, s15
	s_cbranch_execnz .LBB272_316
.LBB272_52:
	s_or_b32 exec_lo, exec_lo, s15
	v_mov_b32_e32 v10, s16
	s_and_saveexec_b32 s15, s14
.LBB272_53:
	v_lshrrev_b32_e32 v7, 8, v7
	s_delay_alu instid0(VALU_DEP_1)
	v_and_or_b32 v10, 0x80, v7, v8
.LBB272_54:
	s_or_b32 exec_lo, exec_lo, s15
.LBB272_55:
	s_delay_alu instid0(SALU_CYCLE_1)
	s_or_b32 exec_lo, exec_lo, s0
	s_mov_b32 s0, 0
	global_store_b8 v[0:1], v10, off
.LBB272_56:
	s_and_b32 vcc_lo, exec_lo, s0
	s_cbranch_vccz .LBB272_66
; %bb.57:
	v_lshlrev_b32_e32 v9, 16, v6
	v_and_b32_e32 v7, 0xffff, v6
	s_mov_b32 s0, exec_lo
                                        ; implicit-def: $vgpr8
	s_delay_alu instid0(VALU_DEP_2) | instskip(NEXT) | instid1(VALU_DEP_1)
	v_and_b32_e32 v10, 0x7fffffff, v9
	v_cmpx_gt_u32_e32 0x43f00000, v10
	s_xor_b32 s0, exec_lo, s0
	s_cbranch_execz .LBB272_63
; %bb.58:
	s_mov_b32 s14, exec_lo
                                        ; implicit-def: $vgpr8
	v_cmpx_lt_u32_e32 0x3c7fffff, v10
	s_xor_b32 s14, exec_lo, s14
; %bb.59:
	v_bfe_u32 v8, v7, 4, 1
	s_delay_alu instid0(VALU_DEP_1) | instskip(NEXT) | instid1(VALU_DEP_1)
	v_add3_u32 v8, v9, v8, 0x407ffff
	v_and_b32_e32 v9, 0xff00000, v8
	v_lshrrev_b32_e32 v8, 20, v8
	s_delay_alu instid0(VALU_DEP_2) | instskip(NEXT) | instid1(VALU_DEP_2)
	v_cmp_ne_u32_e32 vcc_lo, 0x7f00000, v9
                                        ; implicit-def: $vgpr9
	v_cndmask_b32_e32 v8, 0x7e, v8, vcc_lo
; %bb.60:
	s_and_not1_saveexec_b32 s14, s14
; %bb.61:
	v_add_f32_e64 v8, 0x46800000, |v9|
; %bb.62:
	s_or_b32 exec_lo, exec_lo, s14
                                        ; implicit-def: $vgpr10
.LBB272_63:
	s_and_not1_saveexec_b32 s0, s0
; %bb.64:
	v_mov_b32_e32 v8, 0x7f
	v_cmp_lt_u32_e32 vcc_lo, 0x7f800000, v10
	s_delay_alu instid0(VALU_DEP_2)
	v_cndmask_b32_e32 v8, 0x7e, v8, vcc_lo
; %bb.65:
	s_or_b32 exec_lo, exec_lo, s0
	v_lshrrev_b32_e32 v7, 8, v7
	s_delay_alu instid0(VALU_DEP_1)
	v_and_or_b32 v7, 0x80, v7, v8
	global_store_b8 v[0:1], v7, off
.LBB272_66:
	s_mov_b32 s0, 0
.LBB272_67:
	s_delay_alu instid0(SALU_CYCLE_1)
	s_and_not1_b32 vcc_lo, exec_lo, s0
	s_cbranch_vccnz .LBB272_77
; %bb.68:
	v_lshlrev_b32_e32 v9, 16, v6
	v_and_b32_e32 v7, 0xffff, v6
	s_mov_b32 s0, exec_lo
                                        ; implicit-def: $vgpr8
	s_delay_alu instid0(VALU_DEP_2) | instskip(NEXT) | instid1(VALU_DEP_1)
	v_and_b32_e32 v10, 0x7fffffff, v9
	v_cmpx_gt_u32_e32 0x47800000, v10
	s_xor_b32 s0, exec_lo, s0
	s_cbranch_execz .LBB272_74
; %bb.69:
	s_mov_b32 s14, exec_lo
                                        ; implicit-def: $vgpr8
	v_cmpx_lt_u32_e32 0x387fffff, v10
	s_xor_b32 s14, exec_lo, s14
; %bb.70:
	v_bfe_u32 v8, v7, 5, 1
	s_delay_alu instid0(VALU_DEP_1) | instskip(NEXT) | instid1(VALU_DEP_1)
	v_add3_u32 v8, v9, v8, 0x80fffff
                                        ; implicit-def: $vgpr9
	v_lshrrev_b32_e32 v8, 21, v8
; %bb.71:
	s_and_not1_saveexec_b32 s14, s14
; %bb.72:
	v_add_f32_e64 v8, 0x43000000, |v9|
; %bb.73:
	s_or_b32 exec_lo, exec_lo, s14
                                        ; implicit-def: $vgpr10
.LBB272_74:
	s_and_not1_saveexec_b32 s0, s0
; %bb.75:
	v_mov_b32_e32 v8, 0x7f
	v_cmp_lt_u32_e32 vcc_lo, 0x7f800000, v10
	s_delay_alu instid0(VALU_DEP_2)
	v_cndmask_b32_e32 v8, 0x7c, v8, vcc_lo
; %bb.76:
	s_or_b32 exec_lo, exec_lo, s0
	v_lshrrev_b32_e32 v7, 8, v7
	s_delay_alu instid0(VALU_DEP_1)
	v_and_or_b32 v7, 0x80, v7, v8
	global_store_b8 v[0:1], v7, off
.LBB272_77:
	s_mov_b32 s14, 0
	s_mov_b32 s0, -1
.LBB272_78:
	s_and_not1_b32 vcc_lo, exec_lo, s14
	s_cbranch_vccnz .LBB272_86
; %bb.79:
	v_cmp_lt_i16_e32 vcc_lo, 14, v5
	s_mov_b32 s14, -1
	s_cbranch_vccz .LBB272_83
; %bb.80:
	v_cmp_eq_u16_e32 vcc_lo, 15, v5
	s_mov_b32 s9, -1
	s_cbranch_vccz .LBB272_82
; %bb.81:
	s_mov_b32 s0, -1
	s_mov_b32 s9, 0
	global_store_b16 v[0:1], v6, off
.LBB272_82:
	s_mov_b32 s14, 0
.LBB272_83:
	s_delay_alu instid0(SALU_CYCLE_1)
	s_and_b32 vcc_lo, exec_lo, s14
	s_cbranch_vccz .LBB272_86
; %bb.84:
	v_cmp_eq_u16_e32 vcc_lo, 11, v5
	s_mov_b32 s9, -1
	s_cbranch_vccz .LBB272_86
; %bb.85:
	v_and_b32_e32 v7, 0x7fff, v6
	s_mov_b32 s9, 0
	s_mov_b32 s0, -1
	s_delay_alu instid0(VALU_DEP_1)
	v_cmp_ne_u16_e32 vcc_lo, 0, v7
	v_cndmask_b32_e64 v7, 0, 1, vcc_lo
	global_store_b8 v[0:1], v7, off
.LBB272_86:
.LBB272_87:
	s_and_not1_b32 vcc_lo, exec_lo, s0
	s_cbranch_vccnz .LBB272_248
	s_branch .LBB272_127
.LBB272_88:
	s_and_b32 vcc_lo, exec_lo, s14
	s_cbranch_vccz .LBB272_87
; %bb.89:
	v_cmp_gt_i16_e32 vcc_lo, 5, v5
	s_mov_b32 s0, -1
	s_cbranch_vccnz .LBB272_110
; %bb.90:
	v_cmp_gt_i16_e32 vcc_lo, 8, v5
	s_cbranch_vccnz .LBB272_100
; %bb.91:
	v_cmp_gt_i16_e32 vcc_lo, 9, v5
	s_cbranch_vccnz .LBB272_97
; %bb.92:
	v_cmp_lt_i16_e32 vcc_lo, 9, v5
	s_cbranch_vccz .LBB272_94
; %bb.93:
	v_mov_b32_e32 v9, 0
	v_lshlrev_b32_e32 v7, 16, v6
	s_mov_b32 s0, 0
	s_delay_alu instid0(VALU_DEP_2) | instskip(NEXT) | instid1(VALU_DEP_2)
	v_mov_b32_e32 v10, v9
	v_cvt_f64_f32_e32 v[7:8], v7
	global_store_b128 v[0:1], v[7:10], off
.LBB272_94:
	s_and_not1_b32 vcc_lo, exec_lo, s0
	s_cbranch_vccnz .LBB272_96
; %bb.95:
	v_dual_mov_b32 v8, 0 :: v_dual_lshlrev_b32 v7, 16, v6
	global_store_b64 v[0:1], v[7:8], off
.LBB272_96:
	s_mov_b32 s0, 0
.LBB272_97:
	s_delay_alu instid0(SALU_CYCLE_1)
	s_and_not1_b32 vcc_lo, exec_lo, s0
	s_cbranch_vccnz .LBB272_99
; %bb.98:
	v_lshlrev_b32_e32 v7, 16, v6
	s_delay_alu instid0(VALU_DEP_1) | instskip(NEXT) | instid1(VALU_DEP_1)
	v_cvt_f16_f32_e32 v7, v7
	v_and_b32_e32 v7, 0xffff, v7
	global_store_b32 v[0:1], v7, off
.LBB272_99:
	s_mov_b32 s0, 0
.LBB272_100:
	s_delay_alu instid0(SALU_CYCLE_1)
	s_and_not1_b32 vcc_lo, exec_lo, s0
	s_cbranch_vccnz .LBB272_109
; %bb.101:
	v_cmp_gt_i16_e32 vcc_lo, 6, v5
	s_mov_b32 s0, -1
	s_cbranch_vccnz .LBB272_107
; %bb.102:
	v_cmp_lt_i16_e32 vcc_lo, 6, v5
	s_cbranch_vccz .LBB272_104
; %bb.103:
	v_lshlrev_b32_e32 v7, 16, v6
	s_mov_b32 s0, 0
	s_delay_alu instid0(VALU_DEP_1)
	v_cvt_f64_f32_e32 v[7:8], v7
	global_store_b64 v[0:1], v[7:8], off
.LBB272_104:
	s_and_not1_b32 vcc_lo, exec_lo, s0
	s_cbranch_vccnz .LBB272_106
; %bb.105:
	v_lshlrev_b32_e32 v7, 16, v6
	global_store_b32 v[0:1], v7, off
.LBB272_106:
	s_mov_b32 s0, 0
.LBB272_107:
	s_delay_alu instid0(SALU_CYCLE_1)
	s_and_not1_b32 vcc_lo, exec_lo, s0
	s_cbranch_vccnz .LBB272_109
; %bb.108:
	v_lshlrev_b32_e32 v7, 16, v6
	s_delay_alu instid0(VALU_DEP_1)
	v_cvt_f16_f32_e32 v7, v7
	global_store_b16 v[0:1], v7, off
.LBB272_109:
	s_mov_b32 s0, 0
.LBB272_110:
	s_delay_alu instid0(SALU_CYCLE_1)
	s_and_not1_b32 vcc_lo, exec_lo, s0
	s_cbranch_vccnz .LBB272_126
; %bb.111:
	v_cmp_gt_i16_e32 vcc_lo, 2, v5
	s_mov_b32 s0, -1
	s_cbranch_vccnz .LBB272_121
; %bb.112:
	v_cmp_gt_i16_e32 vcc_lo, 3, v5
	s_cbranch_vccnz .LBB272_118
; %bb.113:
	v_cmp_lt_i16_e32 vcc_lo, 3, v5
	s_cbranch_vccz .LBB272_115
; %bb.114:
	v_lshlrev_b32_e32 v7, 16, v6
	s_mov_b32 s0, 0
	s_delay_alu instid0(VALU_DEP_1) | instskip(NEXT) | instid1(VALU_DEP_1)
	v_trunc_f32_e32 v7, v7
	v_mul_f32_e64 v8, 0x2f800000, |v7|
	v_ashrrev_i32_e32 v10, 31, v7
	s_delay_alu instid0(VALU_DEP_2) | instskip(NEXT) | instid1(VALU_DEP_1)
	v_floor_f32_e32 v8, v8
	v_fma_f32 v9, 0xcf800000, v8, |v7|
	v_cvt_u32_f32_e32 v8, v8
	s_delay_alu instid0(VALU_DEP_2) | instskip(NEXT) | instid1(VALU_DEP_2)
	v_cvt_u32_f32_e32 v7, v9
	v_xor_b32_e32 v8, v8, v10
	s_delay_alu instid0(VALU_DEP_2) | instskip(NEXT) | instid1(VALU_DEP_1)
	v_xor_b32_e32 v7, v7, v10
	v_sub_co_u32 v7, vcc_lo, v7, v10
	s_delay_alu instid0(VALU_DEP_3)
	v_sub_co_ci_u32_e32 v8, vcc_lo, v8, v10, vcc_lo
	global_store_b64 v[0:1], v[7:8], off
.LBB272_115:
	s_and_not1_b32 vcc_lo, exec_lo, s0
	s_cbranch_vccnz .LBB272_117
; %bb.116:
	v_lshlrev_b32_e32 v7, 16, v6
	s_delay_alu instid0(VALU_DEP_1)
	v_cvt_i32_f32_e32 v7, v7
	global_store_b32 v[0:1], v7, off
.LBB272_117:
	s_mov_b32 s0, 0
.LBB272_118:
	s_delay_alu instid0(SALU_CYCLE_1)
	s_and_not1_b32 vcc_lo, exec_lo, s0
	s_cbranch_vccnz .LBB272_120
; %bb.119:
	v_lshlrev_b32_e32 v7, 16, v6
	s_delay_alu instid0(VALU_DEP_1)
	v_cvt_i32_f32_e32 v7, v7
	global_store_b16 v[0:1], v7, off
.LBB272_120:
	s_mov_b32 s0, 0
.LBB272_121:
	s_delay_alu instid0(SALU_CYCLE_1)
	s_and_not1_b32 vcc_lo, exec_lo, s0
	s_cbranch_vccnz .LBB272_126
; %bb.122:
	v_cmp_lt_i16_e32 vcc_lo, 0, v5
	v_lshlrev_b32_e32 v5, 16, v6
	s_mov_b32 s0, -1
	s_cbranch_vccz .LBB272_124
; %bb.123:
	s_delay_alu instid0(VALU_DEP_1)
	v_cvt_i32_f32_e32 v6, v5
	s_mov_b32 s0, 0
	global_store_b8 v[0:1], v6, off
.LBB272_124:
	s_and_not1_b32 vcc_lo, exec_lo, s0
	s_cbranch_vccnz .LBB272_126
; %bb.125:
	v_trunc_f32_e32 v5, v5
	s_delay_alu instid0(VALU_DEP_1) | instskip(NEXT) | instid1(VALU_DEP_1)
	v_mul_f32_e64 v6, 0x2f800000, |v5|
	v_floor_f32_e32 v6, v6
	s_delay_alu instid0(VALU_DEP_1) | instskip(SKIP_1) | instid1(VALU_DEP_2)
	v_fma_f32 v6, 0xcf800000, v6, |v5|
	v_ashrrev_i32_e32 v5, 31, v5
	v_cvt_u32_f32_e32 v6, v6
	s_delay_alu instid0(VALU_DEP_1) | instskip(NEXT) | instid1(VALU_DEP_1)
	v_xor_b32_e32 v6, v6, v5
	v_sub_nc_u32_e32 v5, v6, v5
	global_store_b8 v[0:1], v5, off
.LBB272_126:
.LBB272_127:
	v_add_nc_u32_e32 v3, 0x80, v3
	s_mov_b32 s0, -1
	s_branch .LBB272_249
.LBB272_128:
	s_mov_b32 s0, 0
                                        ; implicit-def: $vgpr5
	s_cbranch_execnz .LBB272_165
	s_branch .LBB272_199
.LBB272_129:
	s_mov_b32 s9, -1
	s_mov_b32 s0, 0
                                        ; implicit-def: $vgpr5
	s_branch .LBB272_146
.LBB272_130:
	s_mov_b32 s9, -1
	s_mov_b32 s0, 0
                                        ; implicit-def: $vgpr5
	s_branch .LBB272_141
.LBB272_131:
	s_mov_b32 s9, -1
	s_branch .LBB272_133
.LBB272_132:
	s_mov_b32 s11, -1
.LBB272_133:
	s_mov_b32 s0, 0
                                        ; implicit-def: $vgpr5
.LBB272_134:
	s_and_b32 vcc_lo, exec_lo, s9
	s_cbranch_vccz .LBB272_140
; %bb.135:
	v_cmp_eq_u16_e32 vcc_lo, 44, v4
	s_cbranch_vccz .LBB272_139
; %bb.136:
	global_load_u8 v5, v[0:1], off
	s_mov_b32 s11, 0
	s_mov_b32 s0, -1
	s_waitcnt vmcnt(0)
	v_lshlrev_b32_e32 v6, 23, v5
	v_cmp_ne_u32_e32 vcc_lo, 0xff, v5
	s_delay_alu instid0(VALU_DEP_2) | instskip(SKIP_1) | instid1(VALU_DEP_2)
	v_cndmask_b32_e32 v6, 0x7f800001, v6, vcc_lo
	v_cmp_ne_u32_e32 vcc_lo, 0, v5
	v_cndmask_b32_e32 v5, 0x400000, v6, vcc_lo
	s_delay_alu instid0(VALU_DEP_1) | instskip(SKIP_1) | instid1(VALU_DEP_2)
	v_add_nc_u32_e32 v6, 0x7fff, v5
	v_cmp_o_f32_e32 vcc_lo, v5, v5
	v_lshrrev_b32_e32 v6, 16, v6
	s_delay_alu instid0(VALU_DEP_1)
	v_cndmask_b32_e32 v5, 0x7fc0, v6, vcc_lo
	s_branch .LBB272_140
.LBB272_137:
	s_or_saveexec_b32 s15, s15
                                        ; implicit-def: $sgpr16
	s_delay_alu instid0(SALU_CYCLE_1)
	s_xor_b32 exec_lo, exec_lo, s15
	s_cbranch_execz .LBB272_39
.LBB272_138:
	v_add_f32_e64 v8, 0x46000000, |v9|
	s_and_not1_b32 s14, s14, exec_lo
	s_mov_b32 s16, 0
	s_delay_alu instid0(VALU_DEP_1) | instskip(NEXT) | instid1(VALU_DEP_1)
	v_and_b32_e32 v8, 0xff, v8
	v_cmp_ne_u32_e32 vcc_lo, 0, v8
	s_and_b32 s17, vcc_lo, exec_lo
	s_delay_alu instid0(SALU_CYCLE_1)
	s_or_b32 s14, s14, s17
	s_or_b32 exec_lo, exec_lo, s15
	v_mov_b32_e32 v10, s16
	s_and_saveexec_b32 s15, s14
	s_cbranch_execnz .LBB272_40
	s_branch .LBB272_41
.LBB272_139:
	s_mov_b32 s11, -1
                                        ; implicit-def: $vgpr5
.LBB272_140:
	s_mov_b32 s9, 0
.LBB272_141:
	s_delay_alu instid0(SALU_CYCLE_1)
	s_and_b32 vcc_lo, exec_lo, s9
	s_cbranch_vccz .LBB272_145
; %bb.142:
	v_cmp_eq_u16_e32 vcc_lo, 29, v4
	s_cbranch_vccz .LBB272_144
; %bb.143:
	global_load_b64 v[5:6], v[0:1], off
	s_mov_b32 s0, -1
	s_mov_b32 s11, 0
	s_mov_b32 s9, 0
	s_waitcnt vmcnt(0)
	v_clz_i32_u32_e32 v7, v6
	s_delay_alu instid0(VALU_DEP_1) | instskip(NEXT) | instid1(VALU_DEP_1)
	v_min_u32_e32 v7, 32, v7
	v_lshlrev_b64 v[5:6], v7, v[5:6]
	s_delay_alu instid0(VALU_DEP_1) | instskip(NEXT) | instid1(VALU_DEP_1)
	v_min_u32_e32 v5, 1, v5
	v_or_b32_e32 v5, v6, v5
	v_sub_nc_u32_e32 v6, 32, v7
	s_delay_alu instid0(VALU_DEP_2) | instskip(NEXT) | instid1(VALU_DEP_1)
	v_cvt_f32_u32_e32 v5, v5
	v_ldexp_f32 v5, v5, v6
	s_delay_alu instid0(VALU_DEP_1) | instskip(NEXT) | instid1(VALU_DEP_1)
	v_bfe_u32 v6, v5, 16, 1
	v_add3_u32 v5, v5, v6, 0x7fff
	s_delay_alu instid0(VALU_DEP_1)
	v_lshrrev_b32_e32 v5, 16, v5
	s_branch .LBB272_146
.LBB272_144:
	s_mov_b32 s11, -1
                                        ; implicit-def: $vgpr5
.LBB272_145:
	s_mov_b32 s9, 0
.LBB272_146:
	s_delay_alu instid0(SALU_CYCLE_1)
	s_and_b32 vcc_lo, exec_lo, s9
	s_cbranch_vccz .LBB272_164
; %bb.147:
	v_cmp_gt_i16_e32 vcc_lo, 27, v4
	s_cbranch_vccnz .LBB272_150
; %bb.148:
	v_cmp_lt_i16_e32 vcc_lo, 27, v4
	s_cbranch_vccz .LBB272_151
; %bb.149:
	global_load_b32 v5, v[0:1], off
	s_mov_b32 s0, 0
	s_waitcnt vmcnt(0)
	v_cvt_f32_u32_e32 v5, v5
	s_delay_alu instid0(VALU_DEP_1) | instskip(NEXT) | instid1(VALU_DEP_1)
	v_bfe_u32 v6, v5, 16, 1
	v_add3_u32 v5, v5, v6, 0x7fff
	s_delay_alu instid0(VALU_DEP_1)
	v_lshrrev_b32_e32 v5, 16, v5
	s_branch .LBB272_152
.LBB272_150:
	s_mov_b32 s0, -1
                                        ; implicit-def: $vgpr5
	s_branch .LBB272_155
.LBB272_151:
	s_mov_b32 s0, -1
                                        ; implicit-def: $vgpr5
.LBB272_152:
	s_delay_alu instid0(SALU_CYCLE_1)
	s_and_not1_b32 vcc_lo, exec_lo, s0
	s_cbranch_vccnz .LBB272_154
; %bb.153:
	global_load_u16 v5, v[0:1], off
	s_waitcnt vmcnt(0)
	v_cvt_f32_u32_e32 v5, v5
	s_delay_alu instid0(VALU_DEP_1) | instskip(NEXT) | instid1(VALU_DEP_1)
	v_bfe_u32 v6, v5, 16, 1
	v_add3_u32 v5, v5, v6, 0x7fff
	s_delay_alu instid0(VALU_DEP_1)
	v_lshrrev_b32_e32 v5, 16, v5
.LBB272_154:
	s_mov_b32 s0, 0
.LBB272_155:
	s_delay_alu instid0(SALU_CYCLE_1)
	s_and_not1_b32 vcc_lo, exec_lo, s0
	s_cbranch_vccnz .LBB272_163
; %bb.156:
	global_load_u8 v5, v[0:1], off
	s_mov_b32 s0, 0
	s_mov_b32 s14, exec_lo
                                        ; implicit-def: $sgpr9
	s_waitcnt vmcnt(0)
	v_cmpx_lt_i16_e32 0x7f, v5
	s_xor_b32 s14, exec_lo, s14
	s_cbranch_execz .LBB272_176
; %bb.157:
	s_mov_b32 s0, -1
	s_mov_b32 s15, exec_lo
                                        ; implicit-def: $sgpr9
	v_cmpx_eq_u16_e32 0x80, v5
; %bb.158:
	s_mov_b32 s9, 0x7f800001
	s_xor_b32 s0, exec_lo, -1
; %bb.159:
	s_or_b32 exec_lo, exec_lo, s15
	s_delay_alu instid0(SALU_CYCLE_1)
	s_and_b32 s0, s0, exec_lo
	s_or_saveexec_b32 s14, s14
	v_mov_b32_e32 v6, s9
	s_xor_b32 exec_lo, exec_lo, s14
	s_cbranch_execnz .LBB272_177
.LBB272_160:
	s_or_b32 exec_lo, exec_lo, s14
	s_and_saveexec_b32 s9, s0
	s_cbranch_execz .LBB272_162
.LBB272_161:
	v_and_b32_e32 v6, 0xffff, v5
	v_lshlrev_b32_e32 v5, 24, v5
	s_delay_alu instid0(VALU_DEP_2) | instskip(NEXT) | instid1(VALU_DEP_2)
	v_and_b32_e32 v7, 7, v6
	v_and_b32_e32 v5, 0x80000000, v5
	s_delay_alu instid0(VALU_DEP_2) | instskip(NEXT) | instid1(VALU_DEP_1)
	v_clz_i32_u32_e32 v8, v7
	v_min_u32_e32 v8, 32, v8
	s_delay_alu instid0(VALU_DEP_1) | instskip(SKIP_1) | instid1(VALU_DEP_2)
	v_subrev_nc_u32_e32 v9, 28, v8
	v_sub_nc_u32_e32 v8, 29, v8
	v_lshlrev_b32_e32 v9, v9, v6
	v_bfe_u32 v6, v6, 3, 4
	s_delay_alu instid0(VALU_DEP_2) | instskip(NEXT) | instid1(VALU_DEP_2)
	v_and_b32_e32 v9, 7, v9
	v_cmp_eq_u32_e32 vcc_lo, 0, v6
	s_delay_alu instid0(VALU_DEP_2) | instskip(NEXT) | instid1(VALU_DEP_1)
	v_dual_cndmask_b32 v6, v6, v8 :: v_dual_cndmask_b32 v7, v7, v9
	v_lshl_add_u32 v6, v6, 23, 0x3b800000
	s_delay_alu instid0(VALU_DEP_2) | instskip(NEXT) | instid1(VALU_DEP_1)
	v_lshlrev_b32_e32 v7, 20, v7
	v_or3_b32 v6, v5, v6, v7
.LBB272_162:
	s_or_b32 exec_lo, exec_lo, s9
	s_delay_alu instid0(VALU_DEP_1) | instskip(SKIP_1) | instid1(VALU_DEP_2)
	v_bfe_u32 v5, v6, 16, 1
	v_cmp_o_f32_e32 vcc_lo, v6, v6
	v_add3_u32 v5, v6, v5, 0x7fff
	s_delay_alu instid0(VALU_DEP_1) | instskip(NEXT) | instid1(VALU_DEP_1)
	v_lshrrev_b32_e32 v5, 16, v5
	v_cndmask_b32_e32 v5, 0x7fc0, v5, vcc_lo
.LBB272_163:
	s_mov_b32 s0, -1
.LBB272_164:
	s_branch .LBB272_199
.LBB272_165:
	v_cmp_lt_i16_e32 vcc_lo, 22, v4
	s_cbranch_vccz .LBB272_175
; %bb.166:
	v_cmp_gt_i16_e32 vcc_lo, 24, v4
	s_cbranch_vccnz .LBB272_178
; %bb.167:
	v_cmp_lt_i16_e32 vcc_lo, 24, v4
	s_cbranch_vccz .LBB272_179
; %bb.168:
	global_load_u8 v5, v[0:1], off
	s_mov_b32 s0, 0
	s_mov_b32 s14, exec_lo
                                        ; implicit-def: $sgpr9
	s_waitcnt vmcnt(0)
	v_cmpx_lt_i16_e32 0x7f, v5
	s_xor_b32 s14, exec_lo, s14
	s_cbranch_execz .LBB272_191
; %bb.169:
	s_mov_b32 s0, -1
	s_mov_b32 s15, exec_lo
                                        ; implicit-def: $sgpr9
	v_cmpx_eq_u16_e32 0x80, v5
; %bb.170:
	s_mov_b32 s9, 0x7f800001
	s_xor_b32 s0, exec_lo, -1
; %bb.171:
	s_or_b32 exec_lo, exec_lo, s15
	s_delay_alu instid0(SALU_CYCLE_1)
	s_and_b32 s0, s0, exec_lo
	s_or_saveexec_b32 s14, s14
	v_mov_b32_e32 v6, s9
	s_xor_b32 exec_lo, exec_lo, s14
	s_cbranch_execnz .LBB272_192
.LBB272_172:
	s_or_b32 exec_lo, exec_lo, s14
	s_and_saveexec_b32 s9, s0
	s_cbranch_execz .LBB272_174
.LBB272_173:
	v_and_b32_e32 v6, 0xffff, v5
	v_lshlrev_b32_e32 v5, 24, v5
	s_delay_alu instid0(VALU_DEP_2) | instskip(NEXT) | instid1(VALU_DEP_2)
	v_and_b32_e32 v7, 3, v6
	v_and_b32_e32 v5, 0x80000000, v5
	s_delay_alu instid0(VALU_DEP_2) | instskip(NEXT) | instid1(VALU_DEP_1)
	v_clz_i32_u32_e32 v8, v7
	v_min_u32_e32 v8, 32, v8
	s_delay_alu instid0(VALU_DEP_1) | instskip(SKIP_1) | instid1(VALU_DEP_2)
	v_subrev_nc_u32_e32 v9, 29, v8
	v_sub_nc_u32_e32 v8, 30, v8
	v_lshlrev_b32_e32 v9, v9, v6
	v_bfe_u32 v6, v6, 2, 5
	s_delay_alu instid0(VALU_DEP_2) | instskip(NEXT) | instid1(VALU_DEP_2)
	v_and_b32_e32 v9, 3, v9
	v_cmp_eq_u32_e32 vcc_lo, 0, v6
	s_delay_alu instid0(VALU_DEP_2) | instskip(NEXT) | instid1(VALU_DEP_1)
	v_dual_cndmask_b32 v6, v6, v8 :: v_dual_cndmask_b32 v7, v7, v9
	v_lshl_add_u32 v6, v6, 23, 0x37800000
	s_delay_alu instid0(VALU_DEP_2) | instskip(NEXT) | instid1(VALU_DEP_1)
	v_lshlrev_b32_e32 v7, 21, v7
	v_or3_b32 v6, v5, v6, v7
.LBB272_174:
	s_or_b32 exec_lo, exec_lo, s9
	s_delay_alu instid0(VALU_DEP_1) | instskip(SKIP_2) | instid1(VALU_DEP_2)
	v_bfe_u32 v5, v6, 16, 1
	v_cmp_o_f32_e32 vcc_lo, v6, v6
	s_mov_b32 s0, 0
	v_add3_u32 v5, v6, v5, 0x7fff
	s_delay_alu instid0(VALU_DEP_1) | instskip(NEXT) | instid1(VALU_DEP_1)
	v_lshrrev_b32_e32 v5, 16, v5
	v_cndmask_b32_e32 v5, 0x7fc0, v5, vcc_lo
	s_branch .LBB272_180
.LBB272_175:
	s_mov_b32 s9, -1
                                        ; implicit-def: $vgpr5
	s_branch .LBB272_186
.LBB272_176:
	s_or_saveexec_b32 s14, s14
	v_mov_b32_e32 v6, s9
	s_xor_b32 exec_lo, exec_lo, s14
	s_cbranch_execz .LBB272_160
.LBB272_177:
	v_cmp_ne_u16_e32 vcc_lo, 0, v5
	v_mov_b32_e32 v6, 0
	s_and_not1_b32 s0, s0, exec_lo
	s_and_b32 s9, vcc_lo, exec_lo
	s_delay_alu instid0(SALU_CYCLE_1)
	s_or_b32 s0, s0, s9
	s_or_b32 exec_lo, exec_lo, s14
	s_and_saveexec_b32 s9, s0
	s_cbranch_execnz .LBB272_161
	s_branch .LBB272_162
.LBB272_178:
	s_mov_b32 s0, -1
                                        ; implicit-def: $vgpr5
	s_branch .LBB272_183
.LBB272_179:
	s_mov_b32 s0, -1
                                        ; implicit-def: $vgpr5
.LBB272_180:
	s_delay_alu instid0(SALU_CYCLE_1)
	s_and_b32 vcc_lo, exec_lo, s0
	s_cbranch_vccz .LBB272_182
; %bb.181:
	global_load_u8 v5, v[0:1], off
	s_waitcnt vmcnt(0)
	v_lshlrev_b32_e32 v5, 24, v5
	s_delay_alu instid0(VALU_DEP_1) | instskip(NEXT) | instid1(VALU_DEP_1)
	v_and_b32_e32 v6, 0x7f000000, v5
	v_clz_i32_u32_e32 v7, v6
	v_add_nc_u32_e32 v9, 0x1000000, v6
	v_cmp_ne_u32_e32 vcc_lo, 0, v6
	s_delay_alu instid0(VALU_DEP_3) | instskip(NEXT) | instid1(VALU_DEP_1)
	v_min_u32_e32 v7, 32, v7
	v_sub_nc_u32_e64 v7, v7, 4 clamp
	s_delay_alu instid0(VALU_DEP_1) | instskip(SKIP_1) | instid1(VALU_DEP_2)
	v_lshlrev_b32_e32 v8, v7, v6
	v_lshlrev_b32_e32 v7, 23, v7
	v_lshrrev_b32_e32 v8, 4, v8
	s_delay_alu instid0(VALU_DEP_1) | instskip(SKIP_1) | instid1(VALU_DEP_2)
	v_sub_nc_u32_e32 v7, v8, v7
	v_ashrrev_i32_e32 v8, 8, v9
	v_add_nc_u32_e32 v7, 0x3c000000, v7
	s_delay_alu instid0(VALU_DEP_1) | instskip(NEXT) | instid1(VALU_DEP_1)
	v_and_or_b32 v7, 0x7f800000, v8, v7
	v_cndmask_b32_e32 v6, 0, v7, vcc_lo
	s_delay_alu instid0(VALU_DEP_1) | instskip(SKIP_1) | instid1(VALU_DEP_2)
	v_and_or_b32 v5, 0x80000000, v5, v6
	v_bfe_u32 v6, v6, 16, 1
	v_cmp_o_f32_e32 vcc_lo, v5, v5
	s_delay_alu instid0(VALU_DEP_2) | instskip(NEXT) | instid1(VALU_DEP_1)
	v_add3_u32 v6, v5, v6, 0x7fff
	v_lshrrev_b32_e32 v6, 16, v6
	s_delay_alu instid0(VALU_DEP_1)
	v_cndmask_b32_e32 v5, 0x7fc0, v6, vcc_lo
.LBB272_182:
	s_mov_b32 s0, 0
.LBB272_183:
	s_delay_alu instid0(SALU_CYCLE_1)
	s_and_not1_b32 vcc_lo, exec_lo, s0
	s_cbranch_vccnz .LBB272_185
; %bb.184:
	global_load_u8 v5, v[0:1], off
	s_waitcnt vmcnt(0)
	v_lshlrev_b32_e32 v6, 25, v5
	v_lshlrev_b16 v5, 8, v5
	s_delay_alu instid0(VALU_DEP_2) | instskip(NEXT) | instid1(VALU_DEP_2)
	v_lshrrev_b32_e32 v7, 4, v6
	v_and_or_b32 v8, 0x7f00, v5, 0.5
	v_bfe_i32 v5, v5, 0, 16
	s_delay_alu instid0(VALU_DEP_3) | instskip(NEXT) | instid1(VALU_DEP_1)
	v_or_b32_e32 v7, 0x70000000, v7
	v_dual_add_f32 v8, -0.5, v8 :: v_dual_mul_f32 v7, 0x7800000, v7
	v_cmp_gt_u32_e32 vcc_lo, 0x8000000, v6
	s_delay_alu instid0(VALU_DEP_2) | instskip(NEXT) | instid1(VALU_DEP_1)
	v_cndmask_b32_e32 v6, v7, v8, vcc_lo
	v_and_or_b32 v5, 0x80000000, v5, v6
	v_bfe_u32 v6, v6, 16, 1
	s_delay_alu instid0(VALU_DEP_2) | instskip(NEXT) | instid1(VALU_DEP_2)
	v_cmp_o_f32_e32 vcc_lo, v5, v5
	v_add3_u32 v6, v5, v6, 0x7fff
	s_delay_alu instid0(VALU_DEP_1) | instskip(NEXT) | instid1(VALU_DEP_1)
	v_lshrrev_b32_e32 v6, 16, v6
	v_cndmask_b32_e32 v5, 0x7fc0, v6, vcc_lo
.LBB272_185:
	s_mov_b32 s9, 0
	s_mov_b32 s0, -1
.LBB272_186:
	s_and_not1_b32 vcc_lo, exec_lo, s9
	s_cbranch_vccnz .LBB272_199
; %bb.187:
	v_cmp_lt_i16_e32 vcc_lo, 14, v4
	s_cbranch_vccz .LBB272_190
; %bb.188:
	v_cmp_eq_u16_e32 vcc_lo, 15, v4
	s_cbranch_vccz .LBB272_193
; %bb.189:
	global_load_u16 v5, v[0:1], off
	s_mov_b32 s0, -1
	s_mov_b32 s11, 0
	s_branch .LBB272_194
.LBB272_190:
	s_mov_b32 s9, -1
                                        ; implicit-def: $vgpr5
	s_branch .LBB272_195
.LBB272_191:
	s_or_saveexec_b32 s14, s14
	v_mov_b32_e32 v6, s9
	s_xor_b32 exec_lo, exec_lo, s14
	s_cbranch_execz .LBB272_172
.LBB272_192:
	v_cmp_ne_u16_e32 vcc_lo, 0, v5
	v_mov_b32_e32 v6, 0
	s_and_not1_b32 s0, s0, exec_lo
	s_and_b32 s9, vcc_lo, exec_lo
	s_delay_alu instid0(SALU_CYCLE_1)
	s_or_b32 s0, s0, s9
	s_or_b32 exec_lo, exec_lo, s14
	s_and_saveexec_b32 s9, s0
	s_cbranch_execnz .LBB272_173
	s_branch .LBB272_174
.LBB272_193:
	s_mov_b32 s11, -1
                                        ; implicit-def: $vgpr5
.LBB272_194:
	s_mov_b32 s9, 0
.LBB272_195:
	s_delay_alu instid0(SALU_CYCLE_1)
	s_and_b32 vcc_lo, exec_lo, s9
	s_cbranch_vccz .LBB272_199
; %bb.196:
	v_cmp_eq_u16_e32 vcc_lo, 11, v4
	s_cbranch_vccz .LBB272_198
; %bb.197:
	global_load_u8 v5, v[0:1], off
	s_mov_b32 s11, 0
	s_mov_b32 s0, -1
	s_waitcnt vmcnt(0)
	v_cmp_ne_u16_e32 vcc_lo, 0, v5
	v_cndmask_b32_e64 v5, 0, 1.0, vcc_lo
	s_delay_alu instid0(VALU_DEP_1)
	v_lshrrev_b32_e32 v5, 16, v5
	s_branch .LBB272_199
.LBB272_198:
	s_mov_b32 s11, -1
                                        ; implicit-def: $vgpr5
.LBB272_199:
	s_branch .LBB272_10
.LBB272_200:
	v_cmp_gt_i16_e32 vcc_lo, 5, v4
	s_cbranch_vccnz .LBB272_205
; %bb.201:
	v_cmp_gt_i16_e32 vcc_lo, 8, v4
	s_cbranch_vccnz .LBB272_206
; %bb.202:
	;; [unrolled: 3-line block ×3, first 2 shown]
	v_cmp_lt_i16_e32 vcc_lo, 9, v4
	s_cbranch_vccz .LBB272_208
; %bb.204:
	global_load_b64 v[5:6], v[0:1], off
	s_mov_b32 s0, 0
	s_waitcnt vmcnt(0)
	v_cvt_f32_f64_e32 v5, v[5:6]
	s_delay_alu instid0(VALU_DEP_1) | instskip(SKIP_1) | instid1(VALU_DEP_2)
	v_bfe_u32 v6, v5, 16, 1
	v_cmp_o_f32_e32 vcc_lo, v5, v5
	v_add3_u32 v6, v5, v6, 0x7fff
	s_delay_alu instid0(VALU_DEP_1) | instskip(NEXT) | instid1(VALU_DEP_1)
	v_lshrrev_b32_e32 v6, 16, v6
	v_cndmask_b32_e32 v5, 0x7fc0, v6, vcc_lo
	s_branch .LBB272_209
.LBB272_205:
                                        ; implicit-def: $vgpr5
	s_branch .LBB272_227
.LBB272_206:
	s_mov_b32 s0, -1
                                        ; implicit-def: $vgpr5
	s_branch .LBB272_215
.LBB272_207:
	s_mov_b32 s0, -1
                                        ; implicit-def: $vgpr5
	s_branch .LBB272_212
.LBB272_208:
	s_mov_b32 s0, -1
                                        ; implicit-def: $vgpr5
.LBB272_209:
	s_delay_alu instid0(SALU_CYCLE_1)
	s_and_not1_b32 vcc_lo, exec_lo, s0
	s_cbranch_vccnz .LBB272_211
; %bb.210:
	global_load_b32 v5, v[0:1], off
	s_waitcnt vmcnt(0)
	v_bfe_u32 v6, v5, 16, 1
	v_cmp_o_f32_e32 vcc_lo, v5, v5
	s_delay_alu instid0(VALU_DEP_2) | instskip(NEXT) | instid1(VALU_DEP_1)
	v_add3_u32 v6, v5, v6, 0x7fff
	v_lshrrev_b32_e32 v6, 16, v6
	s_delay_alu instid0(VALU_DEP_1)
	v_cndmask_b32_e32 v5, 0x7fc0, v6, vcc_lo
.LBB272_211:
	s_mov_b32 s0, 0
.LBB272_212:
	s_delay_alu instid0(SALU_CYCLE_1)
	s_and_not1_b32 vcc_lo, exec_lo, s0
	s_cbranch_vccnz .LBB272_214
; %bb.213:
	global_load_b32 v5, v[0:1], off
	s_waitcnt vmcnt(0)
	v_cvt_f32_f16_e32 v6, v5
	v_cmp_o_f16_e32 vcc_lo, v5, v5
	s_delay_alu instid0(VALU_DEP_2) | instskip(NEXT) | instid1(VALU_DEP_1)
	v_bfe_u32 v7, v6, 16, 1
	v_add3_u32 v6, v6, v7, 0x7fff
	s_delay_alu instid0(VALU_DEP_1) | instskip(NEXT) | instid1(VALU_DEP_1)
	v_lshrrev_b32_e32 v6, 16, v6
	v_cndmask_b32_e32 v5, 0x7fc0, v6, vcc_lo
.LBB272_214:
	s_mov_b32 s0, 0
.LBB272_215:
	s_delay_alu instid0(SALU_CYCLE_1)
	s_and_not1_b32 vcc_lo, exec_lo, s0
	s_cbranch_vccnz .LBB272_226
; %bb.216:
	v_cmp_gt_i16_e32 vcc_lo, 6, v4
	s_cbranch_vccnz .LBB272_219
; %bb.217:
	v_cmp_lt_i16_e32 vcc_lo, 6, v4
	s_cbranch_vccz .LBB272_220
; %bb.218:
	global_load_b64 v[5:6], v[0:1], off
	s_mov_b32 s0, 0
	s_waitcnt vmcnt(0)
	v_cvt_f32_f64_e32 v5, v[5:6]
	s_delay_alu instid0(VALU_DEP_1) | instskip(SKIP_1) | instid1(VALU_DEP_2)
	v_bfe_u32 v6, v5, 16, 1
	v_cmp_o_f32_e32 vcc_lo, v5, v5
	v_add3_u32 v6, v5, v6, 0x7fff
	s_delay_alu instid0(VALU_DEP_1) | instskip(NEXT) | instid1(VALU_DEP_1)
	v_lshrrev_b32_e32 v6, 16, v6
	v_cndmask_b32_e32 v5, 0x7fc0, v6, vcc_lo
	s_branch .LBB272_221
.LBB272_219:
	s_mov_b32 s0, -1
                                        ; implicit-def: $vgpr5
	s_branch .LBB272_224
.LBB272_220:
	s_mov_b32 s0, -1
                                        ; implicit-def: $vgpr5
.LBB272_221:
	s_delay_alu instid0(SALU_CYCLE_1)
	s_and_not1_b32 vcc_lo, exec_lo, s0
	s_cbranch_vccnz .LBB272_223
; %bb.222:
	global_load_b32 v5, v[0:1], off
	s_waitcnt vmcnt(0)
	v_bfe_u32 v6, v5, 16, 1
	v_cmp_o_f32_e32 vcc_lo, v5, v5
	s_delay_alu instid0(VALU_DEP_2) | instskip(NEXT) | instid1(VALU_DEP_1)
	v_add3_u32 v6, v5, v6, 0x7fff
	v_lshrrev_b32_e32 v6, 16, v6
	s_delay_alu instid0(VALU_DEP_1)
	v_cndmask_b32_e32 v5, 0x7fc0, v6, vcc_lo
.LBB272_223:
	s_mov_b32 s0, 0
.LBB272_224:
	s_delay_alu instid0(SALU_CYCLE_1)
	s_and_not1_b32 vcc_lo, exec_lo, s0
	s_cbranch_vccnz .LBB272_226
; %bb.225:
	global_load_u16 v5, v[0:1], off
	s_waitcnt vmcnt(0)
	v_cvt_f32_f16_e32 v6, v5
	v_cmp_o_f16_e32 vcc_lo, v5, v5
	s_delay_alu instid0(VALU_DEP_2) | instskip(NEXT) | instid1(VALU_DEP_1)
	v_bfe_u32 v7, v6, 16, 1
	v_add3_u32 v6, v6, v7, 0x7fff
	s_delay_alu instid0(VALU_DEP_1) | instskip(NEXT) | instid1(VALU_DEP_1)
	v_lshrrev_b32_e32 v6, 16, v6
	v_cndmask_b32_e32 v5, 0x7fc0, v6, vcc_lo
.LBB272_226:
	s_cbranch_execnz .LBB272_246
.LBB272_227:
	v_cmp_gt_i16_e32 vcc_lo, 2, v4
	s_cbranch_vccnz .LBB272_231
; %bb.228:
	v_cmp_gt_i16_e32 vcc_lo, 3, v4
	s_cbranch_vccnz .LBB272_232
; %bb.229:
	v_cmp_lt_i16_e32 vcc_lo, 3, v4
	s_cbranch_vccz .LBB272_233
; %bb.230:
	global_load_b64 v[5:6], v[0:1], off
	s_mov_b32 s0, 0
	s_waitcnt vmcnt(0)
	v_xor_b32_e32 v7, v5, v6
	v_cls_i32_e32 v8, v6
	s_delay_alu instid0(VALU_DEP_2) | instskip(NEXT) | instid1(VALU_DEP_2)
	v_ashrrev_i32_e32 v7, 31, v7
	v_add_nc_u32_e32 v8, -1, v8
	s_delay_alu instid0(VALU_DEP_2) | instskip(NEXT) | instid1(VALU_DEP_1)
	v_add_nc_u32_e32 v7, 32, v7
	v_min_u32_e32 v7, v8, v7
	s_delay_alu instid0(VALU_DEP_1) | instskip(NEXT) | instid1(VALU_DEP_1)
	v_lshlrev_b64 v[5:6], v7, v[5:6]
	v_min_u32_e32 v5, 1, v5
	s_delay_alu instid0(VALU_DEP_1) | instskip(SKIP_1) | instid1(VALU_DEP_2)
	v_or_b32_e32 v5, v6, v5
	v_sub_nc_u32_e32 v6, 32, v7
	v_cvt_f32_i32_e32 v5, v5
	s_delay_alu instid0(VALU_DEP_1) | instskip(NEXT) | instid1(VALU_DEP_1)
	v_ldexp_f32 v5, v5, v6
	v_bfe_u32 v6, v5, 16, 1
	s_delay_alu instid0(VALU_DEP_1) | instskip(NEXT) | instid1(VALU_DEP_1)
	v_add3_u32 v5, v5, v6, 0x7fff
	v_lshrrev_b32_e32 v5, 16, v5
	s_branch .LBB272_234
.LBB272_231:
	s_mov_b32 s0, -1
                                        ; implicit-def: $vgpr5
	s_branch .LBB272_240
.LBB272_232:
	s_mov_b32 s0, -1
                                        ; implicit-def: $vgpr5
	s_branch .LBB272_237
.LBB272_233:
	s_mov_b32 s0, -1
                                        ; implicit-def: $vgpr5
.LBB272_234:
	s_delay_alu instid0(SALU_CYCLE_1)
	s_and_not1_b32 vcc_lo, exec_lo, s0
	s_cbranch_vccnz .LBB272_236
; %bb.235:
	global_load_b32 v5, v[0:1], off
	s_waitcnt vmcnt(0)
	v_cvt_f32_i32_e32 v5, v5
	s_delay_alu instid0(VALU_DEP_1) | instskip(NEXT) | instid1(VALU_DEP_1)
	v_bfe_u32 v6, v5, 16, 1
	v_add3_u32 v5, v5, v6, 0x7fff
	s_delay_alu instid0(VALU_DEP_1)
	v_lshrrev_b32_e32 v5, 16, v5
.LBB272_236:
	s_mov_b32 s0, 0
.LBB272_237:
	s_delay_alu instid0(SALU_CYCLE_1)
	s_and_not1_b32 vcc_lo, exec_lo, s0
	s_cbranch_vccnz .LBB272_239
; %bb.238:
	global_load_i16 v5, v[0:1], off
	s_waitcnt vmcnt(0)
	v_cvt_f32_i32_e32 v5, v5
	s_delay_alu instid0(VALU_DEP_1) | instskip(NEXT) | instid1(VALU_DEP_1)
	v_bfe_u32 v6, v5, 16, 1
	v_add3_u32 v5, v5, v6, 0x7fff
	s_delay_alu instid0(VALU_DEP_1)
	v_lshrrev_b32_e32 v5, 16, v5
.LBB272_239:
	s_mov_b32 s0, 0
.LBB272_240:
	s_delay_alu instid0(SALU_CYCLE_1)
	s_and_not1_b32 vcc_lo, exec_lo, s0
	s_cbranch_vccnz .LBB272_246
; %bb.241:
	v_cmp_lt_i16_e32 vcc_lo, 0, v4
	s_mov_b32 s0, 0
	s_cbranch_vccz .LBB272_243
; %bb.242:
	global_load_i8 v5, v[0:1], off
	s_waitcnt vmcnt(0)
	v_cvt_f32_i32_e32 v5, v5
	s_delay_alu instid0(VALU_DEP_1) | instskip(NEXT) | instid1(VALU_DEP_1)
	v_bfe_u32 v6, v5, 16, 1
	v_add3_u32 v5, v5, v6, 0x7fff
	s_delay_alu instid0(VALU_DEP_1)
	v_lshrrev_b32_e32 v5, 16, v5
	s_branch .LBB272_244
.LBB272_243:
	s_mov_b32 s0, -1
                                        ; implicit-def: $vgpr5
.LBB272_244:
	s_delay_alu instid0(SALU_CYCLE_1)
	s_and_not1_b32 vcc_lo, exec_lo, s0
	s_cbranch_vccnz .LBB272_246
; %bb.245:
	global_load_u8 v0, v[0:1], off
	s_waitcnt vmcnt(0)
	v_cvt_f32_ubyte0_e32 v0, v0
	s_delay_alu instid0(VALU_DEP_1) | instskip(NEXT) | instid1(VALU_DEP_1)
	v_bfe_u32 v1, v0, 16, 1
	v_add3_u32 v0, v0, v1, 0x7fff
	s_delay_alu instid0(VALU_DEP_1)
	v_lshrrev_b32_e32 v5, 16, v0
.LBB272_246:
	s_branch .LBB272_11
.LBB272_247:
	s_mov_b32 s9, 0
.LBB272_248:
	s_mov_b32 s0, 0
                                        ; implicit-def: $vgpr3
.LBB272_249:
	s_and_b32 s9, s9, exec_lo
	s_and_b32 s11, s11, exec_lo
	s_or_not1_b32 s15, s0, exec_lo
.LBB272_250:
	s_or_b32 exec_lo, exec_lo, s12
	s_mov_b32 s14, 0
	s_mov_b32 s0, 0
                                        ; implicit-def: $vgpr0_vgpr1
                                        ; implicit-def: $vgpr6
	s_and_saveexec_b32 s12, s15
	s_cbranch_execz .LBB272_854
; %bb.251:
	s_mov_b32 s17, -1
	s_mov_b32 s13, s11
	s_mov_b32 s14, s9
	s_mov_b32 s15, exec_lo
	v_cmpx_gt_i32_e64 s10, v3
	s_cbranch_execz .LBB272_507
; %bb.252:
	v_mul_lo_u32 v0, v3, s3
	v_cmp_gt_i16_e32 vcc_lo, 11, v4
	s_delay_alu instid0(VALU_DEP_2) | instskip(SKIP_1) | instid1(VALU_DEP_1)
	v_ashrrev_i32_e32 v1, 31, v0
	v_add_co_u32 v0, s0, s6, v0
	v_add_co_ci_u32_e64 v1, s0, s7, v1, s0
	s_cbranch_vccnz .LBB272_259
; %bb.253:
	v_cmp_lt_i16_e32 vcc_lo, 25, v4
	s_cbranch_vccz .LBB272_308
; %bb.254:
	v_cmp_lt_i16_e32 vcc_lo, 28, v4
	s_cbranch_vccz .LBB272_309
	;; [unrolled: 3-line block ×4, first 2 shown]
; %bb.257:
	v_cmp_eq_u16_e32 vcc_lo, 46, v4
	s_mov_b32 s14, 0
	s_cbranch_vccz .LBB272_317
; %bb.258:
	global_load_b32 v5, v[0:1], off
	s_mov_b32 s0, -1
	s_mov_b32 s13, 0
	s_branch .LBB272_319
.LBB272_259:
	s_mov_b32 s0, 0
	s_mov_b32 s13, s11
                                        ; implicit-def: $vgpr5
	s_cbranch_execnz .LBB272_456
.LBB272_260:
	s_and_not1_b32 vcc_lo, exec_lo, s0
	s_cbranch_vccnz .LBB272_504
.LBB272_261:
	s_waitcnt vmcnt(0)
	s_delay_alu instid0(VALU_DEP_1) | instskip(SKIP_2) | instid1(VALU_DEP_1)
	v_lshlrev_b32_e32 v0, 16, v5
	s_mov_b32 s16, -1
	s_mov_b32 s14, 0
	v_mul_f32_e32 v1, 0x4f800000, v0
	v_cmp_gt_f32_e32 vcc_lo, 0xf800000, v0
	s_delay_alu instid0(VALU_DEP_2) | instskip(NEXT) | instid1(VALU_DEP_1)
	v_cndmask_b32_e32 v0, v0, v1, vcc_lo
	v_sqrt_f32_e32 v1, v0
	s_waitcnt_depctr 0xfff
	v_add_nc_u32_e32 v5, -1, v1
	v_add_nc_u32_e32 v6, 1, v1
	s_delay_alu instid0(VALU_DEP_2) | instskip(NEXT) | instid1(VALU_DEP_2)
	v_fma_f32 v7, -v5, v1, v0
	v_fma_f32 v8, -v6, v1, v0
	s_delay_alu instid0(VALU_DEP_2) | instskip(NEXT) | instid1(VALU_DEP_1)
	v_cmp_ge_f32_e64 s0, 0, v7
	v_cndmask_b32_e64 v1, v1, v5, s0
	s_delay_alu instid0(VALU_DEP_3) | instskip(NEXT) | instid1(VALU_DEP_1)
	v_cmp_lt_f32_e64 s0, 0, v8
	v_cndmask_b32_e64 v1, v1, v6, s0
	v_and_b32_e32 v6, 0xff, v2
	s_delay_alu instid0(VALU_DEP_2) | instskip(NEXT) | instid1(VALU_DEP_1)
	v_mul_f32_e32 v5, 0x37800000, v1
	v_cndmask_b32_e32 v1, v1, v5, vcc_lo
	v_cmp_class_f32_e64 vcc_lo, v0, 0x260
	s_delay_alu instid0(VALU_DEP_2) | instskip(SKIP_2) | instid1(VALU_DEP_3)
	v_cndmask_b32_e32 v5, v1, v0, vcc_lo
	v_mul_lo_u32 v1, v3, s2
	v_cmp_gt_i16_e32 vcc_lo, 11, v6
	v_bfe_u32 v0, v5, 16, 1
	s_and_b32 vcc_lo, exec_lo, vcc_lo
	s_delay_alu instid0(VALU_DEP_3) | instskip(NEXT) | instid1(VALU_DEP_2)
	v_ashrrev_i32_e32 v7, 31, v1
	v_add3_u32 v0, v5, v0, 0x7fff
	s_delay_alu instid0(VALU_DEP_1) | instskip(SKIP_1) | instid1(VALU_DEP_1)
	v_lshrrev_b32_e32 v8, 16, v0
	v_add_co_u32 v0, s0, s4, v1
	v_add_co_ci_u32_e64 v1, s0, s5, v7, s0
	v_cmp_o_f32_e64 s0, v5, v5
	s_delay_alu instid0(VALU_DEP_1)
	v_cndmask_b32_e64 v5, 0x7fc0, v8, s0
	s_mov_b32 s0, s9
	s_cbranch_vccnz .LBB272_268
; %bb.262:
	v_cmp_lt_i16_e32 vcc_lo, 25, v6
	s_cbranch_vccz .LBB272_310
; %bb.263:
	v_cmp_lt_i16_e32 vcc_lo, 28, v6
	s_cbranch_vccz .LBB272_312
	;; [unrolled: 3-line block ×4, first 2 shown]
; %bb.266:
	v_cmp_eq_u16_e32 vcc_lo, 46, v6
	s_mov_b32 s16, 0
	s_mov_b32 s0, -1
	s_cbranch_vccz .LBB272_323
; %bb.267:
	v_and_b32_e32 v7, 0xffff, v5
	s_mov_b32 s14, -1
	s_mov_b32 s0, 0
	global_store_b32 v[0:1], v7, off
	s_branch .LBB272_323
.LBB272_268:
	s_and_b32 vcc_lo, exec_lo, s16
	s_cbranch_vccz .LBB272_392
; %bb.269:
	v_cmp_gt_i16_e32 vcc_lo, 5, v6
	s_mov_b32 s14, -1
	s_cbranch_vccnz .LBB272_290
; %bb.270:
	v_cmp_gt_i16_e32 vcc_lo, 8, v6
	s_cbranch_vccnz .LBB272_280
; %bb.271:
	v_cmp_gt_i16_e32 vcc_lo, 9, v6
	s_cbranch_vccnz .LBB272_277
; %bb.272:
	v_cmp_lt_i16_e32 vcc_lo, 9, v6
	s_cbranch_vccz .LBB272_274
; %bb.273:
	v_mov_b32_e32 v9, 0
	v_lshlrev_b32_e32 v7, 16, v5
	s_mov_b32 s14, 0
	s_delay_alu instid0(VALU_DEP_2) | instskip(NEXT) | instid1(VALU_DEP_2)
	v_mov_b32_e32 v10, v9
	v_cvt_f64_f32_e32 v[7:8], v7
	global_store_b128 v[0:1], v[7:10], off
.LBB272_274:
	s_and_not1_b32 vcc_lo, exec_lo, s14
	s_cbranch_vccnz .LBB272_276
; %bb.275:
	v_dual_mov_b32 v8, 0 :: v_dual_lshlrev_b32 v7, 16, v5
	global_store_b64 v[0:1], v[7:8], off
.LBB272_276:
	s_mov_b32 s14, 0
.LBB272_277:
	s_delay_alu instid0(SALU_CYCLE_1)
	s_and_not1_b32 vcc_lo, exec_lo, s14
	s_cbranch_vccnz .LBB272_279
; %bb.278:
	v_lshlrev_b32_e32 v7, 16, v5
	s_delay_alu instid0(VALU_DEP_1) | instskip(NEXT) | instid1(VALU_DEP_1)
	v_cvt_f16_f32_e32 v7, v7
	v_and_b32_e32 v7, 0xffff, v7
	global_store_b32 v[0:1], v7, off
.LBB272_279:
	s_mov_b32 s14, 0
.LBB272_280:
	s_delay_alu instid0(SALU_CYCLE_1)
	s_and_not1_b32 vcc_lo, exec_lo, s14
	s_cbranch_vccnz .LBB272_289
; %bb.281:
	v_cmp_gt_i16_e32 vcc_lo, 6, v6
	s_mov_b32 s14, -1
	s_cbranch_vccnz .LBB272_287
; %bb.282:
	v_cmp_lt_i16_e32 vcc_lo, 6, v6
	s_cbranch_vccz .LBB272_284
; %bb.283:
	v_lshlrev_b32_e32 v7, 16, v5
	s_mov_b32 s14, 0
	s_delay_alu instid0(VALU_DEP_1)
	v_cvt_f64_f32_e32 v[7:8], v7
	global_store_b64 v[0:1], v[7:8], off
.LBB272_284:
	s_and_not1_b32 vcc_lo, exec_lo, s14
	s_cbranch_vccnz .LBB272_286
; %bb.285:
	v_lshlrev_b32_e32 v7, 16, v5
	global_store_b32 v[0:1], v7, off
.LBB272_286:
	s_mov_b32 s14, 0
.LBB272_287:
	s_delay_alu instid0(SALU_CYCLE_1)
	s_and_not1_b32 vcc_lo, exec_lo, s14
	s_cbranch_vccnz .LBB272_289
; %bb.288:
	v_lshlrev_b32_e32 v7, 16, v5
	s_delay_alu instid0(VALU_DEP_1)
	v_cvt_f16_f32_e32 v7, v7
	global_store_b16 v[0:1], v7, off
.LBB272_289:
	s_mov_b32 s14, 0
.LBB272_290:
	s_delay_alu instid0(SALU_CYCLE_1)
	s_and_not1_b32 vcc_lo, exec_lo, s14
	s_cbranch_vccnz .LBB272_306
; %bb.291:
	v_cmp_gt_i16_e32 vcc_lo, 2, v6
	s_mov_b32 s14, -1
	s_cbranch_vccnz .LBB272_301
; %bb.292:
	v_cmp_gt_i16_e32 vcc_lo, 3, v6
	s_cbranch_vccnz .LBB272_298
; %bb.293:
	v_cmp_lt_i16_e32 vcc_lo, 3, v6
	s_cbranch_vccz .LBB272_295
; %bb.294:
	v_lshlrev_b32_e32 v7, 16, v5
	s_mov_b32 s14, 0
	s_delay_alu instid0(VALU_DEP_1) | instskip(NEXT) | instid1(VALU_DEP_1)
	v_trunc_f32_e32 v7, v7
	v_mul_f32_e64 v8, 0x2f800000, |v7|
	v_ashrrev_i32_e32 v10, 31, v7
	s_delay_alu instid0(VALU_DEP_2) | instskip(NEXT) | instid1(VALU_DEP_1)
	v_floor_f32_e32 v8, v8
	v_fma_f32 v9, 0xcf800000, v8, |v7|
	v_cvt_u32_f32_e32 v8, v8
	s_delay_alu instid0(VALU_DEP_2) | instskip(NEXT) | instid1(VALU_DEP_2)
	v_cvt_u32_f32_e32 v7, v9
	v_xor_b32_e32 v8, v8, v10
	s_delay_alu instid0(VALU_DEP_2) | instskip(NEXT) | instid1(VALU_DEP_1)
	v_xor_b32_e32 v7, v7, v10
	v_sub_co_u32 v7, vcc_lo, v7, v10
	s_delay_alu instid0(VALU_DEP_3)
	v_sub_co_ci_u32_e32 v8, vcc_lo, v8, v10, vcc_lo
	global_store_b64 v[0:1], v[7:8], off
.LBB272_295:
	s_and_not1_b32 vcc_lo, exec_lo, s14
	s_cbranch_vccnz .LBB272_297
; %bb.296:
	v_lshlrev_b32_e32 v7, 16, v5
	s_delay_alu instid0(VALU_DEP_1)
	v_cvt_i32_f32_e32 v7, v7
	global_store_b32 v[0:1], v7, off
.LBB272_297:
	s_mov_b32 s14, 0
.LBB272_298:
	s_delay_alu instid0(SALU_CYCLE_1)
	s_and_not1_b32 vcc_lo, exec_lo, s14
	s_cbranch_vccnz .LBB272_300
; %bb.299:
	v_lshlrev_b32_e32 v7, 16, v5
	s_delay_alu instid0(VALU_DEP_1)
	v_cvt_i32_f32_e32 v7, v7
	global_store_b16 v[0:1], v7, off
.LBB272_300:
	s_mov_b32 s14, 0
.LBB272_301:
	s_delay_alu instid0(SALU_CYCLE_1)
	s_and_not1_b32 vcc_lo, exec_lo, s14
	s_cbranch_vccnz .LBB272_306
; %bb.302:
	v_cmp_lt_i16_e32 vcc_lo, 0, v6
	s_mov_b32 s14, -1
	s_cbranch_vccz .LBB272_304
; %bb.303:
	v_lshlrev_b32_e32 v6, 16, v5
	s_mov_b32 s14, 0
	s_delay_alu instid0(VALU_DEP_1)
	v_cvt_i32_f32_e32 v6, v6
	global_store_b8 v[0:1], v6, off
.LBB272_304:
	s_and_not1_b32 vcc_lo, exec_lo, s14
	s_cbranch_vccnz .LBB272_306
; %bb.305:
	v_lshlrev_b32_e32 v5, 16, v5
	s_delay_alu instid0(VALU_DEP_1) | instskip(NEXT) | instid1(VALU_DEP_1)
	v_trunc_f32_e32 v5, v5
	v_mul_f32_e64 v6, 0x2f800000, |v5|
	s_delay_alu instid0(VALU_DEP_1) | instskip(NEXT) | instid1(VALU_DEP_1)
	v_floor_f32_e32 v6, v6
	v_fma_f32 v6, 0xcf800000, v6, |v5|
	v_ashrrev_i32_e32 v5, 31, v5
	s_delay_alu instid0(VALU_DEP_2) | instskip(NEXT) | instid1(VALU_DEP_1)
	v_cvt_u32_f32_e32 v6, v6
	v_xor_b32_e32 v6, v6, v5
	s_delay_alu instid0(VALU_DEP_1)
	v_sub_nc_u32_e32 v5, v6, v5
	global_store_b8 v[0:1], v5, off
.LBB272_306:
	s_branch .LBB272_393
.LBB272_307:
	s_mov_b32 s16, 0
	s_branch .LBB272_505
.LBB272_308:
	s_mov_b32 s14, -1
	s_mov_b32 s0, 0
	s_mov_b32 s13, s11
                                        ; implicit-def: $vgpr5
	s_branch .LBB272_420
.LBB272_309:
	s_mov_b32 s14, -1
	s_mov_b32 s0, 0
	s_mov_b32 s13, s11
                                        ; implicit-def: $vgpr5
	s_branch .LBB272_401
.LBB272_310:
	s_mov_b32 s0, s9
	s_branch .LBB272_350
.LBB272_311:
	s_mov_b32 s14, -1
	s_mov_b32 s0, 0
	s_mov_b32 s13, s11
                                        ; implicit-def: $vgpr5
	s_branch .LBB272_396
.LBB272_312:
	s_mov_b32 s0, s9
	s_branch .LBB272_333
.LBB272_313:
	s_mov_b32 s14, -1
	s_mov_b32 s0, 0
	s_mov_b32 s13, s11
	s_branch .LBB272_318
.LBB272_314:
	s_mov_b32 s0, s9
	s_branch .LBB272_329
.LBB272_315:
	s_or_saveexec_b32 s15, s15
                                        ; implicit-def: $sgpr16
	s_delay_alu instid0(SALU_CYCLE_1)
	s_xor_b32 exec_lo, exec_lo, s15
	s_cbranch_execz .LBB272_52
.LBB272_316:
	v_add_f32_e64 v8, 0x42800000, |v9|
	s_and_not1_b32 s14, s14, exec_lo
	s_mov_b32 s16, 0
	s_delay_alu instid0(VALU_DEP_1) | instskip(NEXT) | instid1(VALU_DEP_1)
	v_and_b32_e32 v8, 0xff, v8
	v_cmp_ne_u32_e32 vcc_lo, 0, v8
	s_and_b32 s17, vcc_lo, exec_lo
	s_delay_alu instid0(SALU_CYCLE_1)
	s_or_b32 s14, s14, s17
	s_or_b32 exec_lo, exec_lo, s15
	v_mov_b32_e32 v10, s16
	s_and_saveexec_b32 s15, s14
	s_cbranch_execnz .LBB272_53
	s_branch .LBB272_54
.LBB272_317:
	s_mov_b32 s13, -1
	s_mov_b32 s0, 0
.LBB272_318:
                                        ; implicit-def: $vgpr5
.LBB272_319:
	s_and_b32 vcc_lo, exec_lo, s14
	s_cbranch_vccz .LBB272_395
; %bb.320:
	v_cmp_eq_u16_e32 vcc_lo, 44, v4
	s_cbranch_vccz .LBB272_394
; %bb.321:
	global_load_u8 v5, v[0:1], off
	s_mov_b32 s13, 0
	s_mov_b32 s0, -1
	s_waitcnt vmcnt(0)
	v_lshlrev_b32_e32 v6, 23, v5
	v_cmp_ne_u32_e32 vcc_lo, 0xff, v5
	s_delay_alu instid0(VALU_DEP_2) | instskip(SKIP_1) | instid1(VALU_DEP_2)
	v_cndmask_b32_e32 v6, 0x7f800001, v6, vcc_lo
	v_cmp_ne_u32_e32 vcc_lo, 0, v5
	v_cndmask_b32_e32 v5, 0x400000, v6, vcc_lo
	s_delay_alu instid0(VALU_DEP_1) | instskip(SKIP_1) | instid1(VALU_DEP_2)
	v_add_nc_u32_e32 v6, 0x7fff, v5
	v_cmp_o_f32_e32 vcc_lo, v5, v5
	v_lshrrev_b32_e32 v6, 16, v6
	s_delay_alu instid0(VALU_DEP_1)
	v_cndmask_b32_e32 v5, 0x7fc0, v6, vcc_lo
	s_branch .LBB272_395
.LBB272_322:
	s_mov_b32 s0, s9
.LBB272_323:
	s_and_b32 vcc_lo, exec_lo, s16
	s_cbranch_vccz .LBB272_328
; %bb.324:
	v_cmp_eq_u16_e32 vcc_lo, 44, v6
	s_mov_b32 s0, -1
	s_cbranch_vccz .LBB272_328
; %bb.325:
	v_and_b32_e32 v7, 0xffff, v5
	v_mov_b32_e32 v8, 0xff
	s_mov_b32 s14, exec_lo
	s_delay_alu instid0(VALU_DEP_2) | instskip(NEXT) | instid1(VALU_DEP_1)
	v_bfe_u32 v9, v7, 7, 8
	v_cmpx_ne_u32_e32 0xff, v9
; %bb.326:
	v_lshlrev_b32_e32 v8, 16, v7
	v_and_b32_e32 v10, 64, v7
	v_lshrrev_b32_e32 v7, 7, v7
	s_delay_alu instid0(VALU_DEP_3) | instskip(NEXT) | instid1(VALU_DEP_3)
	v_and_or_b32 v8, 0x3f0000, v8, v9
	v_cmp_ne_u32_e32 vcc_lo, 0, v10
	s_delay_alu instid0(VALU_DEP_2) | instskip(NEXT) | instid1(VALU_DEP_1)
	v_cmp_ne_u32_e64 s0, 0, v8
	s_and_b32 s0, vcc_lo, s0
	s_delay_alu instid0(SALU_CYCLE_1) | instskip(NEXT) | instid1(VALU_DEP_1)
	v_cndmask_b32_e64 v8, 0, 1, s0
	v_add_nc_u32_e32 v8, v7, v8
; %bb.327:
	s_or_b32 exec_lo, exec_lo, s14
	s_mov_b32 s14, -1
	s_mov_b32 s0, 0
	global_store_b8 v[0:1], v8, off
.LBB272_328:
	s_mov_b32 s16, 0
.LBB272_329:
	s_delay_alu instid0(SALU_CYCLE_1)
	s_and_b32 vcc_lo, exec_lo, s16
	s_cbranch_vccz .LBB272_332
; %bb.330:
	v_cmp_eq_u16_e32 vcc_lo, 29, v6
	s_mov_b32 s0, -1
	s_cbranch_vccz .LBB272_332
; %bb.331:
	v_lshlrev_b32_e32 v7, 16, v5
	s_mov_b32 s14, -1
	s_mov_b32 s0, 0
	s_mov_b32 s16, 0
	s_delay_alu instid0(VALU_DEP_1) | instskip(NEXT) | instid1(VALU_DEP_1)
	v_trunc_f32_e32 v7, v7
	v_mul_f32_e32 v8, 0x2f800000, v7
	s_delay_alu instid0(VALU_DEP_1) | instskip(NEXT) | instid1(VALU_DEP_1)
	v_floor_f32_e32 v8, v8
	v_fmamk_f32 v7, v8, 0xcf800000, v7
	v_cvt_u32_f32_e32 v8, v8
	s_delay_alu instid0(VALU_DEP_2)
	v_cvt_u32_f32_e32 v7, v7
	global_store_b64 v[0:1], v[7:8], off
	s_branch .LBB272_333
.LBB272_332:
	s_mov_b32 s16, 0
.LBB272_333:
	s_delay_alu instid0(SALU_CYCLE_1)
	s_and_b32 vcc_lo, exec_lo, s16
	s_cbranch_vccz .LBB272_349
; %bb.334:
	v_cmp_gt_i16_e32 vcc_lo, 27, v6
	s_mov_b32 s14, -1
	s_cbranch_vccnz .LBB272_340
; %bb.335:
	v_cmp_lt_i16_e32 vcc_lo, 27, v6
	s_cbranch_vccz .LBB272_337
; %bb.336:
	v_lshlrev_b32_e32 v7, 16, v5
	s_mov_b32 s14, 0
	s_delay_alu instid0(VALU_DEP_1)
	v_cvt_u32_f32_e32 v7, v7
	global_store_b32 v[0:1], v7, off
.LBB272_337:
	s_and_not1_b32 vcc_lo, exec_lo, s14
	s_cbranch_vccnz .LBB272_339
; %bb.338:
	v_lshlrev_b32_e32 v7, 16, v5
	s_delay_alu instid0(VALU_DEP_1)
	v_cvt_u32_f32_e32 v7, v7
	global_store_b16 v[0:1], v7, off
.LBB272_339:
	s_mov_b32 s14, 0
.LBB272_340:
	s_delay_alu instid0(SALU_CYCLE_1)
	s_and_not1_b32 vcc_lo, exec_lo, s14
	s_cbranch_vccnz .LBB272_348
; %bb.341:
	v_dual_mov_b32 v10, 0x80 :: v_dual_lshlrev_b32 v9, 16, v5
	s_mov_b32 s14, exec_lo
	s_delay_alu instid0(VALU_DEP_1) | instskip(NEXT) | instid1(VALU_DEP_1)
	v_and_b32_e32 v8, 0x7fffffff, v9
	v_cmpx_gt_u32_e32 0x43800000, v8
	s_cbranch_execz .LBB272_347
; %bb.342:
	v_and_b32_e32 v7, 0xffff, v5
	v_cmp_lt_u32_e32 vcc_lo, 0x3bffffff, v8
	s_mov_b32 s16, 0
                                        ; implicit-def: $vgpr8
	s_and_saveexec_b32 s17, vcc_lo
	s_delay_alu instid0(SALU_CYCLE_1)
	s_xor_b32 s17, exec_lo, s17
	s_cbranch_execz .LBB272_520
; %bb.343:
	v_bfe_u32 v8, v7, 4, 1
	s_mov_b32 s16, exec_lo
	s_delay_alu instid0(VALU_DEP_1) | instskip(NEXT) | instid1(VALU_DEP_1)
	v_add3_u32 v8, v9, v8, 0x487ffff
                                        ; implicit-def: $vgpr9
	v_lshrrev_b32_e32 v8, 20, v8
	s_or_saveexec_b32 s17, s17
                                        ; implicit-def: $sgpr18
	s_delay_alu instid0(SALU_CYCLE_1)
	s_xor_b32 exec_lo, exec_lo, s17
	s_cbranch_execnz .LBB272_521
.LBB272_344:
	s_or_b32 exec_lo, exec_lo, s17
	v_mov_b32_e32 v10, s18
	s_and_saveexec_b32 s17, s16
.LBB272_345:
	v_lshrrev_b32_e32 v7, 8, v7
	s_delay_alu instid0(VALU_DEP_1)
	v_and_or_b32 v10, 0x80, v7, v8
.LBB272_346:
	s_or_b32 exec_lo, exec_lo, s17
.LBB272_347:
	s_delay_alu instid0(SALU_CYCLE_1)
	s_or_b32 exec_lo, exec_lo, s14
	global_store_b8 v[0:1], v10, off
.LBB272_348:
	s_mov_b32 s14, -1
.LBB272_349:
	s_mov_b32 s16, 0
.LBB272_350:
	s_delay_alu instid0(SALU_CYCLE_1)
	s_and_b32 vcc_lo, exec_lo, s16
	s_cbranch_vccz .LBB272_391
; %bb.351:
	v_cmp_lt_i16_e32 vcc_lo, 22, v6
	s_mov_b32 s16, -1
	s_cbranch_vccz .LBB272_383
; %bb.352:
	v_cmp_gt_i16_e32 vcc_lo, 24, v6
	s_mov_b32 s14, -1
	s_cbranch_vccnz .LBB272_372
; %bb.353:
	v_cmp_lt_i16_e32 vcc_lo, 24, v6
	s_cbranch_vccz .LBB272_361
; %bb.354:
	v_dual_mov_b32 v10, 0x80 :: v_dual_lshlrev_b32 v9, 16, v5
	s_mov_b32 s14, exec_lo
	s_delay_alu instid0(VALU_DEP_1) | instskip(NEXT) | instid1(VALU_DEP_1)
	v_and_b32_e32 v8, 0x7fffffff, v9
	v_cmpx_gt_u32_e32 0x47800000, v8
	s_cbranch_execz .LBB272_360
; %bb.355:
	v_and_b32_e32 v7, 0xffff, v5
	v_cmp_lt_u32_e32 vcc_lo, 0x37ffffff, v8
	s_mov_b32 s16, 0
                                        ; implicit-def: $vgpr8
	s_and_saveexec_b32 s17, vcc_lo
	s_delay_alu instid0(SALU_CYCLE_1)
	s_xor_b32 s17, exec_lo, s17
	s_cbranch_execz .LBB272_523
; %bb.356:
	v_bfe_u32 v8, v7, 5, 1
	s_mov_b32 s16, exec_lo
	s_delay_alu instid0(VALU_DEP_1) | instskip(NEXT) | instid1(VALU_DEP_1)
	v_add3_u32 v8, v9, v8, 0x88fffff
                                        ; implicit-def: $vgpr9
	v_lshrrev_b32_e32 v8, 21, v8
	s_or_saveexec_b32 s17, s17
                                        ; implicit-def: $sgpr18
	s_delay_alu instid0(SALU_CYCLE_1)
	s_xor_b32 exec_lo, exec_lo, s17
	s_cbranch_execnz .LBB272_524
.LBB272_357:
	s_or_b32 exec_lo, exec_lo, s17
	v_mov_b32_e32 v10, s18
	s_and_saveexec_b32 s17, s16
.LBB272_358:
	v_lshrrev_b32_e32 v7, 8, v7
	s_delay_alu instid0(VALU_DEP_1)
	v_and_or_b32 v10, 0x80, v7, v8
.LBB272_359:
	s_or_b32 exec_lo, exec_lo, s17
.LBB272_360:
	s_delay_alu instid0(SALU_CYCLE_1)
	s_or_b32 exec_lo, exec_lo, s14
	s_mov_b32 s14, 0
	global_store_b8 v[0:1], v10, off
.LBB272_361:
	s_and_b32 vcc_lo, exec_lo, s14
	s_cbranch_vccz .LBB272_371
; %bb.362:
	v_lshlrev_b32_e32 v9, 16, v5
	v_and_b32_e32 v7, 0xffff, v5
	s_mov_b32 s14, exec_lo
                                        ; implicit-def: $vgpr8
	s_delay_alu instid0(VALU_DEP_2) | instskip(NEXT) | instid1(VALU_DEP_1)
	v_and_b32_e32 v10, 0x7fffffff, v9
	v_cmpx_gt_u32_e32 0x43f00000, v10
	s_xor_b32 s14, exec_lo, s14
	s_cbranch_execz .LBB272_368
; %bb.363:
	s_mov_b32 s16, exec_lo
                                        ; implicit-def: $vgpr8
	v_cmpx_lt_u32_e32 0x3c7fffff, v10
	s_xor_b32 s16, exec_lo, s16
; %bb.364:
	v_bfe_u32 v8, v7, 4, 1
	s_delay_alu instid0(VALU_DEP_1) | instskip(NEXT) | instid1(VALU_DEP_1)
	v_add3_u32 v8, v9, v8, 0x407ffff
	v_and_b32_e32 v9, 0xff00000, v8
	v_lshrrev_b32_e32 v8, 20, v8
	s_delay_alu instid0(VALU_DEP_2) | instskip(NEXT) | instid1(VALU_DEP_2)
	v_cmp_ne_u32_e32 vcc_lo, 0x7f00000, v9
                                        ; implicit-def: $vgpr9
	v_cndmask_b32_e32 v8, 0x7e, v8, vcc_lo
; %bb.365:
	s_and_not1_saveexec_b32 s16, s16
; %bb.366:
	v_add_f32_e64 v8, 0x46800000, |v9|
; %bb.367:
	s_or_b32 exec_lo, exec_lo, s16
                                        ; implicit-def: $vgpr10
.LBB272_368:
	s_and_not1_saveexec_b32 s14, s14
; %bb.369:
	v_mov_b32_e32 v8, 0x7f
	v_cmp_lt_u32_e32 vcc_lo, 0x7f800000, v10
	s_delay_alu instid0(VALU_DEP_2)
	v_cndmask_b32_e32 v8, 0x7e, v8, vcc_lo
; %bb.370:
	s_or_b32 exec_lo, exec_lo, s14
	v_lshrrev_b32_e32 v7, 8, v7
	s_delay_alu instid0(VALU_DEP_1)
	v_and_or_b32 v7, 0x80, v7, v8
	global_store_b8 v[0:1], v7, off
.LBB272_371:
	s_mov_b32 s14, 0
.LBB272_372:
	s_delay_alu instid0(SALU_CYCLE_1)
	s_and_not1_b32 vcc_lo, exec_lo, s14
	s_cbranch_vccnz .LBB272_382
; %bb.373:
	v_lshlrev_b32_e32 v9, 16, v5
	v_and_b32_e32 v7, 0xffff, v5
	s_mov_b32 s14, exec_lo
                                        ; implicit-def: $vgpr8
	s_delay_alu instid0(VALU_DEP_2) | instskip(NEXT) | instid1(VALU_DEP_1)
	v_and_b32_e32 v10, 0x7fffffff, v9
	v_cmpx_gt_u32_e32 0x47800000, v10
	s_xor_b32 s14, exec_lo, s14
	s_cbranch_execz .LBB272_379
; %bb.374:
	s_mov_b32 s16, exec_lo
                                        ; implicit-def: $vgpr8
	v_cmpx_lt_u32_e32 0x387fffff, v10
	s_xor_b32 s16, exec_lo, s16
; %bb.375:
	v_bfe_u32 v8, v7, 5, 1
	s_delay_alu instid0(VALU_DEP_1) | instskip(NEXT) | instid1(VALU_DEP_1)
	v_add3_u32 v8, v9, v8, 0x80fffff
                                        ; implicit-def: $vgpr9
	v_lshrrev_b32_e32 v8, 21, v8
; %bb.376:
	s_and_not1_saveexec_b32 s16, s16
; %bb.377:
	v_add_f32_e64 v8, 0x43000000, |v9|
; %bb.378:
	s_or_b32 exec_lo, exec_lo, s16
                                        ; implicit-def: $vgpr10
.LBB272_379:
	s_and_not1_saveexec_b32 s14, s14
; %bb.380:
	v_mov_b32_e32 v8, 0x7f
	v_cmp_lt_u32_e32 vcc_lo, 0x7f800000, v10
	s_delay_alu instid0(VALU_DEP_2)
	v_cndmask_b32_e32 v8, 0x7c, v8, vcc_lo
; %bb.381:
	s_or_b32 exec_lo, exec_lo, s14
	v_lshrrev_b32_e32 v7, 8, v7
	s_delay_alu instid0(VALU_DEP_1)
	v_and_or_b32 v7, 0x80, v7, v8
	global_store_b8 v[0:1], v7, off
.LBB272_382:
	s_mov_b32 s16, 0
	s_mov_b32 s14, -1
.LBB272_383:
	s_and_not1_b32 vcc_lo, exec_lo, s16
	s_cbranch_vccnz .LBB272_391
; %bb.384:
	v_cmp_lt_i16_e32 vcc_lo, 14, v6
	s_mov_b32 s16, -1
	s_cbranch_vccz .LBB272_388
; %bb.385:
	v_cmp_eq_u16_e32 vcc_lo, 15, v6
	s_mov_b32 s0, -1
	s_cbranch_vccz .LBB272_387
; %bb.386:
	s_mov_b32 s14, -1
	s_mov_b32 s0, 0
	global_store_b16 v[0:1], v5, off
.LBB272_387:
	s_mov_b32 s16, 0
.LBB272_388:
	s_delay_alu instid0(SALU_CYCLE_1)
	s_and_b32 vcc_lo, exec_lo, s16
	s_cbranch_vccz .LBB272_391
; %bb.389:
	v_cmp_eq_u16_e32 vcc_lo, 11, v6
	s_mov_b32 s0, -1
	s_cbranch_vccz .LBB272_391
; %bb.390:
	v_and_b32_e32 v7, 0x7fff, v5
	s_mov_b32 s0, 0
	s_mov_b32 s14, -1
	s_delay_alu instid0(VALU_DEP_1)
	v_cmp_ne_u16_e32 vcc_lo, 0, v7
	v_cndmask_b32_e64 v7, 0, 1, vcc_lo
	global_store_b8 v[0:1], v7, off
.LBB272_391:
.LBB272_392:
	s_and_not1_b32 vcc_lo, exec_lo, s14
	s_cbranch_vccnz .LBB272_307
.LBB272_393:
	v_add_nc_u32_e32 v3, 0x80, v3
	s_mov_b32 s16, -1
	s_branch .LBB272_506
.LBB272_394:
	s_mov_b32 s13, -1
                                        ; implicit-def: $vgpr5
.LBB272_395:
	s_mov_b32 s14, 0
.LBB272_396:
	s_delay_alu instid0(SALU_CYCLE_1)
	s_and_b32 vcc_lo, exec_lo, s14
	s_cbranch_vccz .LBB272_400
; %bb.397:
	v_cmp_eq_u16_e32 vcc_lo, 29, v4
	s_cbranch_vccz .LBB272_399
; %bb.398:
	global_load_b64 v[5:6], v[0:1], off
	s_mov_b32 s0, -1
	s_mov_b32 s13, 0
	s_mov_b32 s14, 0
	s_waitcnt vmcnt(0)
	v_clz_i32_u32_e32 v7, v6
	s_delay_alu instid0(VALU_DEP_1) | instskip(NEXT) | instid1(VALU_DEP_1)
	v_min_u32_e32 v7, 32, v7
	v_lshlrev_b64 v[5:6], v7, v[5:6]
	s_delay_alu instid0(VALU_DEP_1) | instskip(NEXT) | instid1(VALU_DEP_1)
	v_min_u32_e32 v5, 1, v5
	v_or_b32_e32 v5, v6, v5
	v_sub_nc_u32_e32 v6, 32, v7
	s_delay_alu instid0(VALU_DEP_2) | instskip(NEXT) | instid1(VALU_DEP_1)
	v_cvt_f32_u32_e32 v5, v5
	v_ldexp_f32 v5, v5, v6
	s_delay_alu instid0(VALU_DEP_1) | instskip(NEXT) | instid1(VALU_DEP_1)
	v_bfe_u32 v6, v5, 16, 1
	v_add3_u32 v5, v5, v6, 0x7fff
	s_delay_alu instid0(VALU_DEP_1)
	v_lshrrev_b32_e32 v5, 16, v5
	s_branch .LBB272_401
.LBB272_399:
	s_mov_b32 s13, -1
                                        ; implicit-def: $vgpr5
.LBB272_400:
	s_mov_b32 s14, 0
.LBB272_401:
	s_delay_alu instid0(SALU_CYCLE_1)
	s_and_b32 vcc_lo, exec_lo, s14
	s_cbranch_vccz .LBB272_419
; %bb.402:
	v_cmp_gt_i16_e32 vcc_lo, 27, v4
	s_cbranch_vccnz .LBB272_405
; %bb.403:
	v_cmp_lt_i16_e32 vcc_lo, 27, v4
	s_cbranch_vccz .LBB272_406
; %bb.404:
	global_load_b32 v5, v[0:1], off
	s_mov_b32 s0, 0
	s_waitcnt vmcnt(0)
	v_cvt_f32_u32_e32 v5, v5
	s_delay_alu instid0(VALU_DEP_1) | instskip(NEXT) | instid1(VALU_DEP_1)
	v_bfe_u32 v6, v5, 16, 1
	v_add3_u32 v5, v5, v6, 0x7fff
	s_delay_alu instid0(VALU_DEP_1)
	v_lshrrev_b32_e32 v5, 16, v5
	s_branch .LBB272_407
.LBB272_405:
	s_mov_b32 s0, -1
                                        ; implicit-def: $vgpr5
	s_branch .LBB272_410
.LBB272_406:
	s_mov_b32 s0, -1
                                        ; implicit-def: $vgpr5
.LBB272_407:
	s_delay_alu instid0(SALU_CYCLE_1)
	s_and_not1_b32 vcc_lo, exec_lo, s0
	s_cbranch_vccnz .LBB272_409
; %bb.408:
	global_load_u16 v5, v[0:1], off
	s_waitcnt vmcnt(0)
	v_cvt_f32_u32_e32 v5, v5
	s_delay_alu instid0(VALU_DEP_1) | instskip(NEXT) | instid1(VALU_DEP_1)
	v_bfe_u32 v6, v5, 16, 1
	v_add3_u32 v5, v5, v6, 0x7fff
	s_delay_alu instid0(VALU_DEP_1)
	v_lshrrev_b32_e32 v5, 16, v5
.LBB272_409:
	s_mov_b32 s0, 0
.LBB272_410:
	s_delay_alu instid0(SALU_CYCLE_1)
	s_and_not1_b32 vcc_lo, exec_lo, s0
	s_cbranch_vccnz .LBB272_418
; %bb.411:
	global_load_u8 v5, v[0:1], off
	s_mov_b32 s0, 0
	s_mov_b32 s16, exec_lo
                                        ; implicit-def: $sgpr14
	s_waitcnt vmcnt(0)
	v_cmpx_lt_i16_e32 0x7f, v5
	s_xor_b32 s16, exec_lo, s16
	s_cbranch_execz .LBB272_432
; %bb.412:
	s_mov_b32 s0, -1
	s_mov_b32 s17, exec_lo
                                        ; implicit-def: $sgpr14
	v_cmpx_eq_u16_e32 0x80, v5
; %bb.413:
	s_mov_b32 s14, 0x7f800001
	s_xor_b32 s0, exec_lo, -1
; %bb.414:
	s_or_b32 exec_lo, exec_lo, s17
	s_delay_alu instid0(SALU_CYCLE_1)
	s_and_b32 s0, s0, exec_lo
	s_or_saveexec_b32 s16, s16
	v_mov_b32_e32 v6, s14
	s_xor_b32 exec_lo, exec_lo, s16
	s_cbranch_execnz .LBB272_433
.LBB272_415:
	s_or_b32 exec_lo, exec_lo, s16
	s_and_saveexec_b32 s14, s0
	s_cbranch_execz .LBB272_417
.LBB272_416:
	v_and_b32_e32 v6, 0xffff, v5
	v_lshlrev_b32_e32 v5, 24, v5
	s_delay_alu instid0(VALU_DEP_2) | instskip(NEXT) | instid1(VALU_DEP_2)
	v_and_b32_e32 v7, 7, v6
	v_and_b32_e32 v5, 0x80000000, v5
	s_delay_alu instid0(VALU_DEP_2) | instskip(NEXT) | instid1(VALU_DEP_1)
	v_clz_i32_u32_e32 v8, v7
	v_min_u32_e32 v8, 32, v8
	s_delay_alu instid0(VALU_DEP_1) | instskip(SKIP_1) | instid1(VALU_DEP_2)
	v_subrev_nc_u32_e32 v9, 28, v8
	v_sub_nc_u32_e32 v8, 29, v8
	v_lshlrev_b32_e32 v9, v9, v6
	v_bfe_u32 v6, v6, 3, 4
	s_delay_alu instid0(VALU_DEP_2) | instskip(NEXT) | instid1(VALU_DEP_2)
	v_and_b32_e32 v9, 7, v9
	v_cmp_eq_u32_e32 vcc_lo, 0, v6
	s_delay_alu instid0(VALU_DEP_2) | instskip(NEXT) | instid1(VALU_DEP_1)
	v_dual_cndmask_b32 v6, v6, v8 :: v_dual_cndmask_b32 v7, v7, v9
	v_lshl_add_u32 v6, v6, 23, 0x3b800000
	s_delay_alu instid0(VALU_DEP_2) | instskip(NEXT) | instid1(VALU_DEP_1)
	v_lshlrev_b32_e32 v7, 20, v7
	v_or3_b32 v6, v5, v6, v7
.LBB272_417:
	s_or_b32 exec_lo, exec_lo, s14
	s_delay_alu instid0(VALU_DEP_1) | instskip(SKIP_1) | instid1(VALU_DEP_2)
	v_bfe_u32 v5, v6, 16, 1
	v_cmp_o_f32_e32 vcc_lo, v6, v6
	v_add3_u32 v5, v6, v5, 0x7fff
	s_delay_alu instid0(VALU_DEP_1) | instskip(NEXT) | instid1(VALU_DEP_1)
	v_lshrrev_b32_e32 v5, 16, v5
	v_cndmask_b32_e32 v5, 0x7fc0, v5, vcc_lo
.LBB272_418:
	s_mov_b32 s0, -1
.LBB272_419:
	s_mov_b32 s14, 0
.LBB272_420:
	s_delay_alu instid0(SALU_CYCLE_1)
	s_and_b32 vcc_lo, exec_lo, s14
	s_cbranch_vccz .LBB272_455
; %bb.421:
	v_cmp_lt_i16_e32 vcc_lo, 22, v4
	s_cbranch_vccz .LBB272_431
; %bb.422:
	v_cmp_gt_i16_e32 vcc_lo, 24, v4
	s_cbranch_vccnz .LBB272_434
; %bb.423:
	v_cmp_lt_i16_e32 vcc_lo, 24, v4
	s_cbranch_vccz .LBB272_435
; %bb.424:
	global_load_u8 v5, v[0:1], off
	s_mov_b32 s0, 0
	s_mov_b32 s16, exec_lo
                                        ; implicit-def: $sgpr14
	s_waitcnt vmcnt(0)
	v_cmpx_lt_i16_e32 0x7f, v5
	s_xor_b32 s16, exec_lo, s16
	s_cbranch_execz .LBB272_447
; %bb.425:
	s_mov_b32 s0, -1
	s_mov_b32 s17, exec_lo
                                        ; implicit-def: $sgpr14
	v_cmpx_eq_u16_e32 0x80, v5
; %bb.426:
	s_mov_b32 s14, 0x7f800001
	s_xor_b32 s0, exec_lo, -1
; %bb.427:
	s_or_b32 exec_lo, exec_lo, s17
	s_delay_alu instid0(SALU_CYCLE_1)
	s_and_b32 s0, s0, exec_lo
	s_or_saveexec_b32 s16, s16
	v_mov_b32_e32 v6, s14
	s_xor_b32 exec_lo, exec_lo, s16
	s_cbranch_execnz .LBB272_448
.LBB272_428:
	s_or_b32 exec_lo, exec_lo, s16
	s_and_saveexec_b32 s14, s0
	s_cbranch_execz .LBB272_430
.LBB272_429:
	v_and_b32_e32 v6, 0xffff, v5
	v_lshlrev_b32_e32 v5, 24, v5
	s_delay_alu instid0(VALU_DEP_2) | instskip(NEXT) | instid1(VALU_DEP_2)
	v_and_b32_e32 v7, 3, v6
	v_and_b32_e32 v5, 0x80000000, v5
	s_delay_alu instid0(VALU_DEP_2) | instskip(NEXT) | instid1(VALU_DEP_1)
	v_clz_i32_u32_e32 v8, v7
	v_min_u32_e32 v8, 32, v8
	s_delay_alu instid0(VALU_DEP_1) | instskip(SKIP_1) | instid1(VALU_DEP_2)
	v_subrev_nc_u32_e32 v9, 29, v8
	v_sub_nc_u32_e32 v8, 30, v8
	v_lshlrev_b32_e32 v9, v9, v6
	v_bfe_u32 v6, v6, 2, 5
	s_delay_alu instid0(VALU_DEP_2) | instskip(NEXT) | instid1(VALU_DEP_2)
	v_and_b32_e32 v9, 3, v9
	v_cmp_eq_u32_e32 vcc_lo, 0, v6
	s_delay_alu instid0(VALU_DEP_2) | instskip(NEXT) | instid1(VALU_DEP_1)
	v_dual_cndmask_b32 v6, v6, v8 :: v_dual_cndmask_b32 v7, v7, v9
	v_lshl_add_u32 v6, v6, 23, 0x37800000
	s_delay_alu instid0(VALU_DEP_2) | instskip(NEXT) | instid1(VALU_DEP_1)
	v_lshlrev_b32_e32 v7, 21, v7
	v_or3_b32 v6, v5, v6, v7
.LBB272_430:
	s_or_b32 exec_lo, exec_lo, s14
	s_delay_alu instid0(VALU_DEP_1) | instskip(SKIP_2) | instid1(VALU_DEP_2)
	v_bfe_u32 v5, v6, 16, 1
	v_cmp_o_f32_e32 vcc_lo, v6, v6
	s_mov_b32 s0, 0
	v_add3_u32 v5, v6, v5, 0x7fff
	s_delay_alu instid0(VALU_DEP_1) | instskip(NEXT) | instid1(VALU_DEP_1)
	v_lshrrev_b32_e32 v5, 16, v5
	v_cndmask_b32_e32 v5, 0x7fc0, v5, vcc_lo
	s_branch .LBB272_436
.LBB272_431:
	s_mov_b32 s14, -1
                                        ; implicit-def: $vgpr5
	s_branch .LBB272_442
.LBB272_432:
	s_or_saveexec_b32 s16, s16
	v_mov_b32_e32 v6, s14
	s_xor_b32 exec_lo, exec_lo, s16
	s_cbranch_execz .LBB272_415
.LBB272_433:
	v_cmp_ne_u16_e32 vcc_lo, 0, v5
	v_mov_b32_e32 v6, 0
	s_and_not1_b32 s0, s0, exec_lo
	s_and_b32 s14, vcc_lo, exec_lo
	s_delay_alu instid0(SALU_CYCLE_1)
	s_or_b32 s0, s0, s14
	s_or_b32 exec_lo, exec_lo, s16
	s_and_saveexec_b32 s14, s0
	s_cbranch_execnz .LBB272_416
	s_branch .LBB272_417
.LBB272_434:
	s_mov_b32 s0, -1
                                        ; implicit-def: $vgpr5
	s_branch .LBB272_439
.LBB272_435:
	s_mov_b32 s0, -1
                                        ; implicit-def: $vgpr5
.LBB272_436:
	s_delay_alu instid0(SALU_CYCLE_1)
	s_and_b32 vcc_lo, exec_lo, s0
	s_cbranch_vccz .LBB272_438
; %bb.437:
	global_load_u8 v5, v[0:1], off
	s_waitcnt vmcnt(0)
	v_lshlrev_b32_e32 v5, 24, v5
	s_delay_alu instid0(VALU_DEP_1) | instskip(NEXT) | instid1(VALU_DEP_1)
	v_and_b32_e32 v6, 0x7f000000, v5
	v_clz_i32_u32_e32 v7, v6
	v_add_nc_u32_e32 v9, 0x1000000, v6
	v_cmp_ne_u32_e32 vcc_lo, 0, v6
	s_delay_alu instid0(VALU_DEP_3) | instskip(NEXT) | instid1(VALU_DEP_1)
	v_min_u32_e32 v7, 32, v7
	v_sub_nc_u32_e64 v7, v7, 4 clamp
	s_delay_alu instid0(VALU_DEP_1) | instskip(SKIP_1) | instid1(VALU_DEP_2)
	v_lshlrev_b32_e32 v8, v7, v6
	v_lshlrev_b32_e32 v7, 23, v7
	v_lshrrev_b32_e32 v8, 4, v8
	s_delay_alu instid0(VALU_DEP_1) | instskip(SKIP_1) | instid1(VALU_DEP_2)
	v_sub_nc_u32_e32 v7, v8, v7
	v_ashrrev_i32_e32 v8, 8, v9
	v_add_nc_u32_e32 v7, 0x3c000000, v7
	s_delay_alu instid0(VALU_DEP_1) | instskip(NEXT) | instid1(VALU_DEP_1)
	v_and_or_b32 v7, 0x7f800000, v8, v7
	v_cndmask_b32_e32 v6, 0, v7, vcc_lo
	s_delay_alu instid0(VALU_DEP_1) | instskip(SKIP_1) | instid1(VALU_DEP_2)
	v_and_or_b32 v5, 0x80000000, v5, v6
	v_bfe_u32 v6, v6, 16, 1
	v_cmp_o_f32_e32 vcc_lo, v5, v5
	s_delay_alu instid0(VALU_DEP_2) | instskip(NEXT) | instid1(VALU_DEP_1)
	v_add3_u32 v6, v5, v6, 0x7fff
	v_lshrrev_b32_e32 v6, 16, v6
	s_delay_alu instid0(VALU_DEP_1)
	v_cndmask_b32_e32 v5, 0x7fc0, v6, vcc_lo
.LBB272_438:
	s_mov_b32 s0, 0
.LBB272_439:
	s_delay_alu instid0(SALU_CYCLE_1)
	s_and_not1_b32 vcc_lo, exec_lo, s0
	s_cbranch_vccnz .LBB272_441
; %bb.440:
	global_load_u8 v5, v[0:1], off
	s_waitcnt vmcnt(0)
	v_lshlrev_b32_e32 v6, 25, v5
	v_lshlrev_b16 v5, 8, v5
	s_delay_alu instid0(VALU_DEP_2) | instskip(NEXT) | instid1(VALU_DEP_2)
	v_lshrrev_b32_e32 v7, 4, v6
	v_and_or_b32 v8, 0x7f00, v5, 0.5
	v_bfe_i32 v5, v5, 0, 16
	s_delay_alu instid0(VALU_DEP_3) | instskip(NEXT) | instid1(VALU_DEP_1)
	v_or_b32_e32 v7, 0x70000000, v7
	v_dual_add_f32 v8, -0.5, v8 :: v_dual_mul_f32 v7, 0x7800000, v7
	v_cmp_gt_u32_e32 vcc_lo, 0x8000000, v6
	s_delay_alu instid0(VALU_DEP_2) | instskip(NEXT) | instid1(VALU_DEP_1)
	v_cndmask_b32_e32 v6, v7, v8, vcc_lo
	v_and_or_b32 v5, 0x80000000, v5, v6
	v_bfe_u32 v6, v6, 16, 1
	s_delay_alu instid0(VALU_DEP_2) | instskip(NEXT) | instid1(VALU_DEP_2)
	v_cmp_o_f32_e32 vcc_lo, v5, v5
	v_add3_u32 v6, v5, v6, 0x7fff
	s_delay_alu instid0(VALU_DEP_1) | instskip(NEXT) | instid1(VALU_DEP_1)
	v_lshrrev_b32_e32 v6, 16, v6
	v_cndmask_b32_e32 v5, 0x7fc0, v6, vcc_lo
.LBB272_441:
	s_mov_b32 s14, 0
	s_mov_b32 s0, -1
.LBB272_442:
	s_and_not1_b32 vcc_lo, exec_lo, s14
	s_cbranch_vccnz .LBB272_455
; %bb.443:
	v_cmp_lt_i16_e32 vcc_lo, 14, v4
	s_cbranch_vccz .LBB272_446
; %bb.444:
	v_cmp_eq_u16_e32 vcc_lo, 15, v4
	s_cbranch_vccz .LBB272_449
; %bb.445:
	global_load_u16 v5, v[0:1], off
	s_mov_b32 s0, -1
	s_mov_b32 s13, 0
	s_branch .LBB272_450
.LBB272_446:
	s_mov_b32 s14, -1
                                        ; implicit-def: $vgpr5
	s_branch .LBB272_451
.LBB272_447:
	s_or_saveexec_b32 s16, s16
	v_mov_b32_e32 v6, s14
	s_xor_b32 exec_lo, exec_lo, s16
	s_cbranch_execz .LBB272_428
.LBB272_448:
	v_cmp_ne_u16_e32 vcc_lo, 0, v5
	v_mov_b32_e32 v6, 0
	s_and_not1_b32 s0, s0, exec_lo
	s_and_b32 s14, vcc_lo, exec_lo
	s_delay_alu instid0(SALU_CYCLE_1)
	s_or_b32 s0, s0, s14
	s_or_b32 exec_lo, exec_lo, s16
	s_and_saveexec_b32 s14, s0
	s_cbranch_execnz .LBB272_429
	s_branch .LBB272_430
.LBB272_449:
	s_mov_b32 s13, -1
                                        ; implicit-def: $vgpr5
.LBB272_450:
	s_mov_b32 s14, 0
.LBB272_451:
	s_delay_alu instid0(SALU_CYCLE_1)
	s_and_b32 vcc_lo, exec_lo, s14
	s_cbranch_vccz .LBB272_455
; %bb.452:
	v_cmp_eq_u16_e32 vcc_lo, 11, v4
	s_cbranch_vccz .LBB272_454
; %bb.453:
	global_load_u8 v5, v[0:1], off
	s_mov_b32 s13, 0
	s_mov_b32 s0, -1
	s_waitcnt vmcnt(0)
	v_cmp_ne_u16_e32 vcc_lo, 0, v5
	v_cndmask_b32_e64 v5, 0, 1.0, vcc_lo
	s_delay_alu instid0(VALU_DEP_1)
	v_lshrrev_b32_e32 v5, 16, v5
	s_branch .LBB272_455
.LBB272_454:
	s_mov_b32 s13, -1
                                        ; implicit-def: $vgpr5
.LBB272_455:
	s_branch .LBB272_260
.LBB272_456:
	v_cmp_gt_i16_e32 vcc_lo, 5, v4
	s_cbranch_vccnz .LBB272_461
; %bb.457:
	v_cmp_gt_i16_e32 vcc_lo, 8, v4
	s_cbranch_vccnz .LBB272_462
; %bb.458:
	;; [unrolled: 3-line block ×3, first 2 shown]
	v_cmp_lt_i16_e32 vcc_lo, 9, v4
	s_cbranch_vccz .LBB272_464
; %bb.460:
	global_load_b64 v[5:6], v[0:1], off
	s_mov_b32 s0, 0
	s_waitcnt vmcnt(0)
	v_cvt_f32_f64_e32 v5, v[5:6]
	s_delay_alu instid0(VALU_DEP_1) | instskip(SKIP_1) | instid1(VALU_DEP_2)
	v_bfe_u32 v6, v5, 16, 1
	v_cmp_o_f32_e32 vcc_lo, v5, v5
	v_add3_u32 v6, v5, v6, 0x7fff
	s_delay_alu instid0(VALU_DEP_1) | instskip(NEXT) | instid1(VALU_DEP_1)
	v_lshrrev_b32_e32 v6, 16, v6
	v_cndmask_b32_e32 v5, 0x7fc0, v6, vcc_lo
	s_branch .LBB272_465
.LBB272_461:
	s_mov_b32 s0, -1
                                        ; implicit-def: $vgpr5
	s_branch .LBB272_483
.LBB272_462:
	s_mov_b32 s0, -1
                                        ; implicit-def: $vgpr5
	s_branch .LBB272_471
.LBB272_463:
	s_mov_b32 s0, -1
                                        ; implicit-def: $vgpr5
	s_branch .LBB272_468
.LBB272_464:
	s_mov_b32 s0, -1
                                        ; implicit-def: $vgpr5
.LBB272_465:
	s_delay_alu instid0(SALU_CYCLE_1)
	s_and_not1_b32 vcc_lo, exec_lo, s0
	s_cbranch_vccnz .LBB272_467
; %bb.466:
	global_load_b32 v5, v[0:1], off
	s_waitcnt vmcnt(0)
	v_bfe_u32 v6, v5, 16, 1
	v_cmp_o_f32_e32 vcc_lo, v5, v5
	s_delay_alu instid0(VALU_DEP_2) | instskip(NEXT) | instid1(VALU_DEP_1)
	v_add3_u32 v6, v5, v6, 0x7fff
	v_lshrrev_b32_e32 v6, 16, v6
	s_delay_alu instid0(VALU_DEP_1)
	v_cndmask_b32_e32 v5, 0x7fc0, v6, vcc_lo
.LBB272_467:
	s_mov_b32 s0, 0
.LBB272_468:
	s_delay_alu instid0(SALU_CYCLE_1)
	s_and_not1_b32 vcc_lo, exec_lo, s0
	s_cbranch_vccnz .LBB272_470
; %bb.469:
	global_load_b32 v5, v[0:1], off
	s_waitcnt vmcnt(0)
	v_cvt_f32_f16_e32 v6, v5
	v_cmp_o_f16_e32 vcc_lo, v5, v5
	s_delay_alu instid0(VALU_DEP_2) | instskip(NEXT) | instid1(VALU_DEP_1)
	v_bfe_u32 v7, v6, 16, 1
	v_add3_u32 v6, v6, v7, 0x7fff
	s_delay_alu instid0(VALU_DEP_1) | instskip(NEXT) | instid1(VALU_DEP_1)
	v_lshrrev_b32_e32 v6, 16, v6
	v_cndmask_b32_e32 v5, 0x7fc0, v6, vcc_lo
.LBB272_470:
	s_mov_b32 s0, 0
.LBB272_471:
	s_delay_alu instid0(SALU_CYCLE_1)
	s_and_not1_b32 vcc_lo, exec_lo, s0
	s_cbranch_vccnz .LBB272_482
; %bb.472:
	v_cmp_gt_i16_e32 vcc_lo, 6, v4
	s_cbranch_vccnz .LBB272_475
; %bb.473:
	v_cmp_lt_i16_e32 vcc_lo, 6, v4
	s_cbranch_vccz .LBB272_476
; %bb.474:
	global_load_b64 v[5:6], v[0:1], off
	s_mov_b32 s0, 0
	s_waitcnt vmcnt(0)
	v_cvt_f32_f64_e32 v5, v[5:6]
	s_delay_alu instid0(VALU_DEP_1) | instskip(SKIP_1) | instid1(VALU_DEP_2)
	v_bfe_u32 v6, v5, 16, 1
	v_cmp_o_f32_e32 vcc_lo, v5, v5
	v_add3_u32 v6, v5, v6, 0x7fff
	s_delay_alu instid0(VALU_DEP_1) | instskip(NEXT) | instid1(VALU_DEP_1)
	v_lshrrev_b32_e32 v6, 16, v6
	v_cndmask_b32_e32 v5, 0x7fc0, v6, vcc_lo
	s_branch .LBB272_477
.LBB272_475:
	s_mov_b32 s0, -1
                                        ; implicit-def: $vgpr5
	s_branch .LBB272_480
.LBB272_476:
	s_mov_b32 s0, -1
                                        ; implicit-def: $vgpr5
.LBB272_477:
	s_delay_alu instid0(SALU_CYCLE_1)
	s_and_not1_b32 vcc_lo, exec_lo, s0
	s_cbranch_vccnz .LBB272_479
; %bb.478:
	global_load_b32 v5, v[0:1], off
	s_waitcnt vmcnt(0)
	v_bfe_u32 v6, v5, 16, 1
	v_cmp_o_f32_e32 vcc_lo, v5, v5
	s_delay_alu instid0(VALU_DEP_2) | instskip(NEXT) | instid1(VALU_DEP_1)
	v_add3_u32 v6, v5, v6, 0x7fff
	v_lshrrev_b32_e32 v6, 16, v6
	s_delay_alu instid0(VALU_DEP_1)
	v_cndmask_b32_e32 v5, 0x7fc0, v6, vcc_lo
.LBB272_479:
	s_mov_b32 s0, 0
.LBB272_480:
	s_delay_alu instid0(SALU_CYCLE_1)
	s_and_not1_b32 vcc_lo, exec_lo, s0
	s_cbranch_vccnz .LBB272_482
; %bb.481:
	global_load_u16 v5, v[0:1], off
	s_waitcnt vmcnt(0)
	v_cvt_f32_f16_e32 v6, v5
	v_cmp_o_f16_e32 vcc_lo, v5, v5
	s_delay_alu instid0(VALU_DEP_2) | instskip(NEXT) | instid1(VALU_DEP_1)
	v_bfe_u32 v7, v6, 16, 1
	v_add3_u32 v6, v6, v7, 0x7fff
	s_delay_alu instid0(VALU_DEP_1) | instskip(NEXT) | instid1(VALU_DEP_1)
	v_lshrrev_b32_e32 v6, 16, v6
	v_cndmask_b32_e32 v5, 0x7fc0, v6, vcc_lo
.LBB272_482:
	s_mov_b32 s0, 0
.LBB272_483:
	s_delay_alu instid0(SALU_CYCLE_1)
	s_and_not1_b32 vcc_lo, exec_lo, s0
	s_cbranch_vccnz .LBB272_503
; %bb.484:
	v_cmp_gt_i16_e32 vcc_lo, 2, v4
	s_cbranch_vccnz .LBB272_488
; %bb.485:
	v_cmp_gt_i16_e32 vcc_lo, 3, v4
	s_cbranch_vccnz .LBB272_489
; %bb.486:
	v_cmp_lt_i16_e32 vcc_lo, 3, v4
	s_cbranch_vccz .LBB272_490
; %bb.487:
	global_load_b64 v[5:6], v[0:1], off
	s_mov_b32 s0, 0
	s_waitcnt vmcnt(0)
	v_xor_b32_e32 v7, v5, v6
	v_cls_i32_e32 v8, v6
	s_delay_alu instid0(VALU_DEP_2) | instskip(NEXT) | instid1(VALU_DEP_2)
	v_ashrrev_i32_e32 v7, 31, v7
	v_add_nc_u32_e32 v8, -1, v8
	s_delay_alu instid0(VALU_DEP_2) | instskip(NEXT) | instid1(VALU_DEP_1)
	v_add_nc_u32_e32 v7, 32, v7
	v_min_u32_e32 v7, v8, v7
	s_delay_alu instid0(VALU_DEP_1) | instskip(NEXT) | instid1(VALU_DEP_1)
	v_lshlrev_b64 v[5:6], v7, v[5:6]
	v_min_u32_e32 v5, 1, v5
	s_delay_alu instid0(VALU_DEP_1) | instskip(SKIP_1) | instid1(VALU_DEP_2)
	v_or_b32_e32 v5, v6, v5
	v_sub_nc_u32_e32 v6, 32, v7
	v_cvt_f32_i32_e32 v5, v5
	s_delay_alu instid0(VALU_DEP_1) | instskip(NEXT) | instid1(VALU_DEP_1)
	v_ldexp_f32 v5, v5, v6
	v_bfe_u32 v6, v5, 16, 1
	s_delay_alu instid0(VALU_DEP_1) | instskip(NEXT) | instid1(VALU_DEP_1)
	v_add3_u32 v5, v5, v6, 0x7fff
	v_lshrrev_b32_e32 v5, 16, v5
	s_branch .LBB272_491
.LBB272_488:
	s_mov_b32 s0, -1
                                        ; implicit-def: $vgpr5
	s_branch .LBB272_497
.LBB272_489:
	s_mov_b32 s0, -1
                                        ; implicit-def: $vgpr5
	s_branch .LBB272_494
.LBB272_490:
	s_mov_b32 s0, -1
                                        ; implicit-def: $vgpr5
.LBB272_491:
	s_delay_alu instid0(SALU_CYCLE_1)
	s_and_not1_b32 vcc_lo, exec_lo, s0
	s_cbranch_vccnz .LBB272_493
; %bb.492:
	global_load_b32 v5, v[0:1], off
	s_waitcnt vmcnt(0)
	v_cvt_f32_i32_e32 v5, v5
	s_delay_alu instid0(VALU_DEP_1) | instskip(NEXT) | instid1(VALU_DEP_1)
	v_bfe_u32 v6, v5, 16, 1
	v_add3_u32 v5, v5, v6, 0x7fff
	s_delay_alu instid0(VALU_DEP_1)
	v_lshrrev_b32_e32 v5, 16, v5
.LBB272_493:
	s_mov_b32 s0, 0
.LBB272_494:
	s_delay_alu instid0(SALU_CYCLE_1)
	s_and_not1_b32 vcc_lo, exec_lo, s0
	s_cbranch_vccnz .LBB272_496
; %bb.495:
	global_load_i16 v5, v[0:1], off
	s_waitcnt vmcnt(0)
	v_cvt_f32_i32_e32 v5, v5
	s_delay_alu instid0(VALU_DEP_1) | instskip(NEXT) | instid1(VALU_DEP_1)
	v_bfe_u32 v6, v5, 16, 1
	v_add3_u32 v5, v5, v6, 0x7fff
	s_delay_alu instid0(VALU_DEP_1)
	v_lshrrev_b32_e32 v5, 16, v5
.LBB272_496:
	s_mov_b32 s0, 0
.LBB272_497:
	s_delay_alu instid0(SALU_CYCLE_1)
	s_and_not1_b32 vcc_lo, exec_lo, s0
	s_cbranch_vccnz .LBB272_503
; %bb.498:
	v_cmp_lt_i16_e32 vcc_lo, 0, v4
	s_mov_b32 s0, 0
	s_cbranch_vccz .LBB272_500
; %bb.499:
	global_load_i8 v5, v[0:1], off
	s_waitcnt vmcnt(0)
	v_cvt_f32_i32_e32 v5, v5
	s_delay_alu instid0(VALU_DEP_1) | instskip(NEXT) | instid1(VALU_DEP_1)
	v_bfe_u32 v6, v5, 16, 1
	v_add3_u32 v5, v5, v6, 0x7fff
	s_delay_alu instid0(VALU_DEP_1)
	v_lshrrev_b32_e32 v5, 16, v5
	s_branch .LBB272_501
.LBB272_500:
	s_mov_b32 s0, -1
                                        ; implicit-def: $vgpr5
.LBB272_501:
	s_delay_alu instid0(SALU_CYCLE_1)
	s_and_not1_b32 vcc_lo, exec_lo, s0
	s_cbranch_vccnz .LBB272_503
; %bb.502:
	global_load_u8 v0, v[0:1], off
	s_waitcnt vmcnt(0)
	v_cvt_f32_ubyte0_e32 v0, v0
	s_delay_alu instid0(VALU_DEP_1) | instskip(NEXT) | instid1(VALU_DEP_1)
	v_bfe_u32 v1, v0, 16, 1
	v_add3_u32 v0, v0, v1, 0x7fff
	s_delay_alu instid0(VALU_DEP_1)
	v_lshrrev_b32_e32 v5, 16, v0
.LBB272_503:
	s_branch .LBB272_261
.LBB272_504:
	s_mov_b32 s16, 0
	s_mov_b32 s0, s9
.LBB272_505:
                                        ; implicit-def: $vgpr3
.LBB272_506:
	s_and_not1_b32 s14, s9, exec_lo
	s_and_b32 s0, s0, exec_lo
	s_and_not1_b32 s17, s11, exec_lo
	s_and_b32 s13, s13, exec_lo
	s_or_b32 s14, s14, s0
	s_or_b32 s13, s17, s13
	s_or_not1_b32 s17, s16, exec_lo
.LBB272_507:
	s_or_b32 exec_lo, exec_lo, s15
	s_mov_b32 s16, 0
	s_mov_b32 s18, 0
	;; [unrolled: 1-line block ×3, first 2 shown]
                                        ; implicit-def: $vgpr0_vgpr1
                                        ; implicit-def: $vgpr6
	s_and_saveexec_b32 s15, s17
	s_cbranch_execz .LBB272_853
; %bb.508:
	s_mov_b32 s0, -1
	s_mov_b32 s17, s13
	s_mov_b32 s18, s14
	s_mov_b32 s16, exec_lo
	v_cmpx_gt_i32_e64 s10, v3
	s_cbranch_execz .LBB272_767
; %bb.509:
	v_mul_lo_u32 v0, v3, s3
	v_cmp_gt_i16_e32 vcc_lo, 11, v4
	s_delay_alu instid0(VALU_DEP_2) | instskip(SKIP_1) | instid1(VALU_DEP_1)
	v_ashrrev_i32_e32 v1, 31, v0
	v_add_co_u32 v0, s0, s6, v0
	v_add_co_ci_u32_e64 v1, s0, s7, v1, s0
	s_cbranch_vccnz .LBB272_516
; %bb.510:
	v_cmp_lt_i16_e32 vcc_lo, 25, v4
	s_cbranch_vccz .LBB272_517
; %bb.511:
	v_cmp_lt_i16_e32 vcc_lo, 28, v4
	s_cbranch_vccz .LBB272_518
	;; [unrolled: 3-line block ×4, first 2 shown]
; %bb.514:
	v_cmp_eq_u16_e32 vcc_lo, 46, v4
	s_mov_b32 s18, 0
	s_cbranch_vccz .LBB272_525
; %bb.515:
	global_load_b32 v5, v[0:1], off
	s_mov_b32 s0, -1
	s_mov_b32 s17, 0
	s_branch .LBB272_527
.LBB272_516:
	s_mov_b32 s18, -1
	s_mov_b32 s0, 0
	s_mov_b32 s17, s13
                                        ; implicit-def: $vgpr5
	s_branch .LBB272_592
.LBB272_517:
	s_mov_b32 s18, -1
	s_mov_b32 s0, 0
	s_mov_b32 s17, s13
                                        ; implicit-def: $vgpr5
	s_branch .LBB272_556
.LBB272_518:
	s_mov_b32 s18, -1
	s_mov_b32 s0, 0
	s_mov_b32 s17, s13
                                        ; implicit-def: $vgpr5
	s_branch .LBB272_537
.LBB272_519:
	s_mov_b32 s18, -1
	s_mov_b32 s0, 0
	s_mov_b32 s17, s13
                                        ; implicit-def: $vgpr5
	s_branch .LBB272_532
.LBB272_520:
	s_or_saveexec_b32 s17, s17
                                        ; implicit-def: $sgpr18
	s_delay_alu instid0(SALU_CYCLE_1)
	s_xor_b32 exec_lo, exec_lo, s17
	s_cbranch_execz .LBB272_344
.LBB272_521:
	v_add_f32_e64 v8, 0x46000000, |v9|
	s_and_not1_b32 s16, s16, exec_lo
	s_mov_b32 s18, 0
	s_delay_alu instid0(VALU_DEP_1) | instskip(NEXT) | instid1(VALU_DEP_1)
	v_and_b32_e32 v8, 0xff, v8
	v_cmp_ne_u32_e32 vcc_lo, 0, v8
	s_and_b32 s19, vcc_lo, exec_lo
	s_delay_alu instid0(SALU_CYCLE_1)
	s_or_b32 s16, s16, s19
	s_or_b32 exec_lo, exec_lo, s17
	v_mov_b32_e32 v10, s18
	s_and_saveexec_b32 s17, s16
	s_cbranch_execnz .LBB272_345
	s_branch .LBB272_346
.LBB272_522:
	s_mov_b32 s18, -1
	s_mov_b32 s0, 0
	s_mov_b32 s17, s13
	s_branch .LBB272_526
.LBB272_523:
	s_or_saveexec_b32 s17, s17
                                        ; implicit-def: $sgpr18
	s_delay_alu instid0(SALU_CYCLE_1)
	s_xor_b32 exec_lo, exec_lo, s17
	s_cbranch_execz .LBB272_357
.LBB272_524:
	v_add_f32_e64 v8, 0x42800000, |v9|
	s_and_not1_b32 s16, s16, exec_lo
	s_mov_b32 s18, 0
	s_delay_alu instid0(VALU_DEP_1) | instskip(NEXT) | instid1(VALU_DEP_1)
	v_and_b32_e32 v8, 0xff, v8
	v_cmp_ne_u32_e32 vcc_lo, 0, v8
	s_and_b32 s19, vcc_lo, exec_lo
	s_delay_alu instid0(SALU_CYCLE_1)
	s_or_b32 s16, s16, s19
	s_or_b32 exec_lo, exec_lo, s17
	v_mov_b32_e32 v10, s18
	s_and_saveexec_b32 s17, s16
	s_cbranch_execnz .LBB272_358
	s_branch .LBB272_359
.LBB272_525:
	s_mov_b32 s17, -1
	s_mov_b32 s0, 0
.LBB272_526:
                                        ; implicit-def: $vgpr5
.LBB272_527:
	s_and_b32 vcc_lo, exec_lo, s18
	s_cbranch_vccz .LBB272_531
; %bb.528:
	v_cmp_eq_u16_e32 vcc_lo, 44, v4
	s_cbranch_vccz .LBB272_530
; %bb.529:
	global_load_u8 v5, v[0:1], off
	s_mov_b32 s17, 0
	s_mov_b32 s0, -1
	s_waitcnt vmcnt(0)
	v_lshlrev_b32_e32 v6, 23, v5
	v_cmp_ne_u32_e32 vcc_lo, 0xff, v5
	s_delay_alu instid0(VALU_DEP_2) | instskip(SKIP_1) | instid1(VALU_DEP_2)
	v_cndmask_b32_e32 v6, 0x7f800001, v6, vcc_lo
	v_cmp_ne_u32_e32 vcc_lo, 0, v5
	v_cndmask_b32_e32 v5, 0x400000, v6, vcc_lo
	s_delay_alu instid0(VALU_DEP_1) | instskip(SKIP_1) | instid1(VALU_DEP_2)
	v_add_nc_u32_e32 v6, 0x7fff, v5
	v_cmp_o_f32_e32 vcc_lo, v5, v5
	v_lshrrev_b32_e32 v6, 16, v6
	s_delay_alu instid0(VALU_DEP_1)
	v_cndmask_b32_e32 v5, 0x7fc0, v6, vcc_lo
	s_branch .LBB272_531
.LBB272_530:
	s_mov_b32 s17, -1
                                        ; implicit-def: $vgpr5
.LBB272_531:
	s_mov_b32 s18, 0
.LBB272_532:
	s_delay_alu instid0(SALU_CYCLE_1)
	s_and_b32 vcc_lo, exec_lo, s18
	s_cbranch_vccz .LBB272_536
; %bb.533:
	v_cmp_eq_u16_e32 vcc_lo, 29, v4
	s_cbranch_vccz .LBB272_535
; %bb.534:
	global_load_b64 v[5:6], v[0:1], off
	s_mov_b32 s0, -1
	s_mov_b32 s17, 0
	s_mov_b32 s18, 0
	s_waitcnt vmcnt(0)
	v_clz_i32_u32_e32 v7, v6
	s_delay_alu instid0(VALU_DEP_1) | instskip(NEXT) | instid1(VALU_DEP_1)
	v_min_u32_e32 v7, 32, v7
	v_lshlrev_b64 v[5:6], v7, v[5:6]
	s_delay_alu instid0(VALU_DEP_1) | instskip(NEXT) | instid1(VALU_DEP_1)
	v_min_u32_e32 v5, 1, v5
	v_or_b32_e32 v5, v6, v5
	v_sub_nc_u32_e32 v6, 32, v7
	s_delay_alu instid0(VALU_DEP_2) | instskip(NEXT) | instid1(VALU_DEP_1)
	v_cvt_f32_u32_e32 v5, v5
	v_ldexp_f32 v5, v5, v6
	s_delay_alu instid0(VALU_DEP_1) | instskip(NEXT) | instid1(VALU_DEP_1)
	v_bfe_u32 v6, v5, 16, 1
	v_add3_u32 v5, v5, v6, 0x7fff
	s_delay_alu instid0(VALU_DEP_1)
	v_lshrrev_b32_e32 v5, 16, v5
	s_branch .LBB272_537
.LBB272_535:
	s_mov_b32 s17, -1
                                        ; implicit-def: $vgpr5
.LBB272_536:
	s_mov_b32 s18, 0
.LBB272_537:
	s_delay_alu instid0(SALU_CYCLE_1)
	s_and_b32 vcc_lo, exec_lo, s18
	s_cbranch_vccz .LBB272_555
; %bb.538:
	v_cmp_gt_i16_e32 vcc_lo, 27, v4
	s_cbranch_vccnz .LBB272_541
; %bb.539:
	v_cmp_lt_i16_e32 vcc_lo, 27, v4
	s_cbranch_vccz .LBB272_542
; %bb.540:
	global_load_b32 v5, v[0:1], off
	s_mov_b32 s0, 0
	s_waitcnt vmcnt(0)
	v_cvt_f32_u32_e32 v5, v5
	s_delay_alu instid0(VALU_DEP_1) | instskip(NEXT) | instid1(VALU_DEP_1)
	v_bfe_u32 v6, v5, 16, 1
	v_add3_u32 v5, v5, v6, 0x7fff
	s_delay_alu instid0(VALU_DEP_1)
	v_lshrrev_b32_e32 v5, 16, v5
	s_branch .LBB272_543
.LBB272_541:
	s_mov_b32 s0, -1
                                        ; implicit-def: $vgpr5
	s_branch .LBB272_546
.LBB272_542:
	s_mov_b32 s0, -1
                                        ; implicit-def: $vgpr5
.LBB272_543:
	s_delay_alu instid0(SALU_CYCLE_1)
	s_and_not1_b32 vcc_lo, exec_lo, s0
	s_cbranch_vccnz .LBB272_545
; %bb.544:
	global_load_u16 v5, v[0:1], off
	s_waitcnt vmcnt(0)
	v_cvt_f32_u32_e32 v5, v5
	s_delay_alu instid0(VALU_DEP_1) | instskip(NEXT) | instid1(VALU_DEP_1)
	v_bfe_u32 v6, v5, 16, 1
	v_add3_u32 v5, v5, v6, 0x7fff
	s_delay_alu instid0(VALU_DEP_1)
	v_lshrrev_b32_e32 v5, 16, v5
.LBB272_545:
	s_mov_b32 s0, 0
.LBB272_546:
	s_delay_alu instid0(SALU_CYCLE_1)
	s_and_not1_b32 vcc_lo, exec_lo, s0
	s_cbranch_vccnz .LBB272_554
; %bb.547:
	global_load_u8 v5, v[0:1], off
	s_mov_b32 s0, 0
	s_mov_b32 s19, exec_lo
                                        ; implicit-def: $sgpr18
	s_waitcnt vmcnt(0)
	v_cmpx_lt_i16_e32 0x7f, v5
	s_xor_b32 s19, exec_lo, s19
	s_cbranch_execz .LBB272_568
; %bb.548:
	s_mov_b32 s0, -1
	s_mov_b32 s20, exec_lo
                                        ; implicit-def: $sgpr18
	v_cmpx_eq_u16_e32 0x80, v5
; %bb.549:
	s_mov_b32 s18, 0x7f800001
	s_xor_b32 s0, exec_lo, -1
; %bb.550:
	s_or_b32 exec_lo, exec_lo, s20
	s_delay_alu instid0(SALU_CYCLE_1)
	s_and_b32 s0, s0, exec_lo
	s_or_saveexec_b32 s19, s19
	v_mov_b32_e32 v6, s18
	s_xor_b32 exec_lo, exec_lo, s19
	s_cbranch_execnz .LBB272_569
.LBB272_551:
	s_or_b32 exec_lo, exec_lo, s19
	s_and_saveexec_b32 s18, s0
	s_cbranch_execz .LBB272_553
.LBB272_552:
	v_and_b32_e32 v6, 0xffff, v5
	v_lshlrev_b32_e32 v5, 24, v5
	s_delay_alu instid0(VALU_DEP_2) | instskip(NEXT) | instid1(VALU_DEP_2)
	v_and_b32_e32 v7, 7, v6
	v_and_b32_e32 v5, 0x80000000, v5
	s_delay_alu instid0(VALU_DEP_2) | instskip(NEXT) | instid1(VALU_DEP_1)
	v_clz_i32_u32_e32 v8, v7
	v_min_u32_e32 v8, 32, v8
	s_delay_alu instid0(VALU_DEP_1) | instskip(SKIP_1) | instid1(VALU_DEP_2)
	v_subrev_nc_u32_e32 v9, 28, v8
	v_sub_nc_u32_e32 v8, 29, v8
	v_lshlrev_b32_e32 v9, v9, v6
	v_bfe_u32 v6, v6, 3, 4
	s_delay_alu instid0(VALU_DEP_2) | instskip(NEXT) | instid1(VALU_DEP_2)
	v_and_b32_e32 v9, 7, v9
	v_cmp_eq_u32_e32 vcc_lo, 0, v6
	s_delay_alu instid0(VALU_DEP_2) | instskip(NEXT) | instid1(VALU_DEP_1)
	v_dual_cndmask_b32 v6, v6, v8 :: v_dual_cndmask_b32 v7, v7, v9
	v_lshl_add_u32 v6, v6, 23, 0x3b800000
	s_delay_alu instid0(VALU_DEP_2) | instskip(NEXT) | instid1(VALU_DEP_1)
	v_lshlrev_b32_e32 v7, 20, v7
	v_or3_b32 v6, v5, v6, v7
.LBB272_553:
	s_or_b32 exec_lo, exec_lo, s18
	s_delay_alu instid0(VALU_DEP_1) | instskip(SKIP_1) | instid1(VALU_DEP_2)
	v_bfe_u32 v5, v6, 16, 1
	v_cmp_o_f32_e32 vcc_lo, v6, v6
	v_add3_u32 v5, v6, v5, 0x7fff
	s_delay_alu instid0(VALU_DEP_1) | instskip(NEXT) | instid1(VALU_DEP_1)
	v_lshrrev_b32_e32 v5, 16, v5
	v_cndmask_b32_e32 v5, 0x7fc0, v5, vcc_lo
.LBB272_554:
	s_mov_b32 s0, -1
.LBB272_555:
	s_mov_b32 s18, 0
.LBB272_556:
	s_delay_alu instid0(SALU_CYCLE_1)
	s_and_b32 vcc_lo, exec_lo, s18
	s_cbranch_vccz .LBB272_591
; %bb.557:
	v_cmp_lt_i16_e32 vcc_lo, 22, v4
	s_cbranch_vccz .LBB272_567
; %bb.558:
	v_cmp_gt_i16_e32 vcc_lo, 24, v4
	s_cbranch_vccnz .LBB272_570
; %bb.559:
	v_cmp_lt_i16_e32 vcc_lo, 24, v4
	s_cbranch_vccz .LBB272_571
; %bb.560:
	global_load_u8 v5, v[0:1], off
	s_mov_b32 s0, 0
	s_mov_b32 s19, exec_lo
                                        ; implicit-def: $sgpr18
	s_waitcnt vmcnt(0)
	v_cmpx_lt_i16_e32 0x7f, v5
	s_xor_b32 s19, exec_lo, s19
	s_cbranch_execz .LBB272_583
; %bb.561:
	s_mov_b32 s0, -1
	s_mov_b32 s20, exec_lo
                                        ; implicit-def: $sgpr18
	v_cmpx_eq_u16_e32 0x80, v5
; %bb.562:
	s_mov_b32 s18, 0x7f800001
	s_xor_b32 s0, exec_lo, -1
; %bb.563:
	s_or_b32 exec_lo, exec_lo, s20
	s_delay_alu instid0(SALU_CYCLE_1)
	s_and_b32 s0, s0, exec_lo
	s_or_saveexec_b32 s19, s19
	v_mov_b32_e32 v6, s18
	s_xor_b32 exec_lo, exec_lo, s19
	s_cbranch_execnz .LBB272_584
.LBB272_564:
	s_or_b32 exec_lo, exec_lo, s19
	s_and_saveexec_b32 s18, s0
	s_cbranch_execz .LBB272_566
.LBB272_565:
	v_and_b32_e32 v6, 0xffff, v5
	v_lshlrev_b32_e32 v5, 24, v5
	s_delay_alu instid0(VALU_DEP_2) | instskip(NEXT) | instid1(VALU_DEP_2)
	v_and_b32_e32 v7, 3, v6
	v_and_b32_e32 v5, 0x80000000, v5
	s_delay_alu instid0(VALU_DEP_2) | instskip(NEXT) | instid1(VALU_DEP_1)
	v_clz_i32_u32_e32 v8, v7
	v_min_u32_e32 v8, 32, v8
	s_delay_alu instid0(VALU_DEP_1) | instskip(SKIP_1) | instid1(VALU_DEP_2)
	v_subrev_nc_u32_e32 v9, 29, v8
	v_sub_nc_u32_e32 v8, 30, v8
	v_lshlrev_b32_e32 v9, v9, v6
	v_bfe_u32 v6, v6, 2, 5
	s_delay_alu instid0(VALU_DEP_2) | instskip(NEXT) | instid1(VALU_DEP_2)
	v_and_b32_e32 v9, 3, v9
	v_cmp_eq_u32_e32 vcc_lo, 0, v6
	s_delay_alu instid0(VALU_DEP_2) | instskip(NEXT) | instid1(VALU_DEP_1)
	v_dual_cndmask_b32 v6, v6, v8 :: v_dual_cndmask_b32 v7, v7, v9
	v_lshl_add_u32 v6, v6, 23, 0x37800000
	s_delay_alu instid0(VALU_DEP_2) | instskip(NEXT) | instid1(VALU_DEP_1)
	v_lshlrev_b32_e32 v7, 21, v7
	v_or3_b32 v6, v5, v6, v7
.LBB272_566:
	s_or_b32 exec_lo, exec_lo, s18
	s_delay_alu instid0(VALU_DEP_1) | instskip(SKIP_2) | instid1(VALU_DEP_2)
	v_bfe_u32 v5, v6, 16, 1
	v_cmp_o_f32_e32 vcc_lo, v6, v6
	s_mov_b32 s0, 0
	v_add3_u32 v5, v6, v5, 0x7fff
	s_delay_alu instid0(VALU_DEP_1) | instskip(NEXT) | instid1(VALU_DEP_1)
	v_lshrrev_b32_e32 v5, 16, v5
	v_cndmask_b32_e32 v5, 0x7fc0, v5, vcc_lo
	s_branch .LBB272_572
.LBB272_567:
	s_mov_b32 s18, -1
                                        ; implicit-def: $vgpr5
	s_branch .LBB272_578
.LBB272_568:
	s_or_saveexec_b32 s19, s19
	v_mov_b32_e32 v6, s18
	s_xor_b32 exec_lo, exec_lo, s19
	s_cbranch_execz .LBB272_551
.LBB272_569:
	v_cmp_ne_u16_e32 vcc_lo, 0, v5
	v_mov_b32_e32 v6, 0
	s_and_not1_b32 s0, s0, exec_lo
	s_and_b32 s18, vcc_lo, exec_lo
	s_delay_alu instid0(SALU_CYCLE_1)
	s_or_b32 s0, s0, s18
	s_or_b32 exec_lo, exec_lo, s19
	s_and_saveexec_b32 s18, s0
	s_cbranch_execnz .LBB272_552
	s_branch .LBB272_553
.LBB272_570:
	s_mov_b32 s0, -1
                                        ; implicit-def: $vgpr5
	s_branch .LBB272_575
.LBB272_571:
	s_mov_b32 s0, -1
                                        ; implicit-def: $vgpr5
.LBB272_572:
	s_delay_alu instid0(SALU_CYCLE_1)
	s_and_b32 vcc_lo, exec_lo, s0
	s_cbranch_vccz .LBB272_574
; %bb.573:
	global_load_u8 v5, v[0:1], off
	s_waitcnt vmcnt(0)
	v_lshlrev_b32_e32 v5, 24, v5
	s_delay_alu instid0(VALU_DEP_1) | instskip(NEXT) | instid1(VALU_DEP_1)
	v_and_b32_e32 v6, 0x7f000000, v5
	v_clz_i32_u32_e32 v7, v6
	v_add_nc_u32_e32 v9, 0x1000000, v6
	v_cmp_ne_u32_e32 vcc_lo, 0, v6
	s_delay_alu instid0(VALU_DEP_3) | instskip(NEXT) | instid1(VALU_DEP_1)
	v_min_u32_e32 v7, 32, v7
	v_sub_nc_u32_e64 v7, v7, 4 clamp
	s_delay_alu instid0(VALU_DEP_1) | instskip(SKIP_1) | instid1(VALU_DEP_2)
	v_lshlrev_b32_e32 v8, v7, v6
	v_lshlrev_b32_e32 v7, 23, v7
	v_lshrrev_b32_e32 v8, 4, v8
	s_delay_alu instid0(VALU_DEP_1) | instskip(SKIP_1) | instid1(VALU_DEP_2)
	v_sub_nc_u32_e32 v7, v8, v7
	v_ashrrev_i32_e32 v8, 8, v9
	v_add_nc_u32_e32 v7, 0x3c000000, v7
	s_delay_alu instid0(VALU_DEP_1) | instskip(NEXT) | instid1(VALU_DEP_1)
	v_and_or_b32 v7, 0x7f800000, v8, v7
	v_cndmask_b32_e32 v6, 0, v7, vcc_lo
	s_delay_alu instid0(VALU_DEP_1) | instskip(SKIP_1) | instid1(VALU_DEP_2)
	v_and_or_b32 v5, 0x80000000, v5, v6
	v_bfe_u32 v6, v6, 16, 1
	v_cmp_o_f32_e32 vcc_lo, v5, v5
	s_delay_alu instid0(VALU_DEP_2) | instskip(NEXT) | instid1(VALU_DEP_1)
	v_add3_u32 v6, v5, v6, 0x7fff
	v_lshrrev_b32_e32 v6, 16, v6
	s_delay_alu instid0(VALU_DEP_1)
	v_cndmask_b32_e32 v5, 0x7fc0, v6, vcc_lo
.LBB272_574:
	s_mov_b32 s0, 0
.LBB272_575:
	s_delay_alu instid0(SALU_CYCLE_1)
	s_and_not1_b32 vcc_lo, exec_lo, s0
	s_cbranch_vccnz .LBB272_577
; %bb.576:
	global_load_u8 v5, v[0:1], off
	s_waitcnt vmcnt(0)
	v_lshlrev_b32_e32 v6, 25, v5
	v_lshlrev_b16 v5, 8, v5
	s_delay_alu instid0(VALU_DEP_2) | instskip(NEXT) | instid1(VALU_DEP_2)
	v_lshrrev_b32_e32 v7, 4, v6
	v_and_or_b32 v8, 0x7f00, v5, 0.5
	v_bfe_i32 v5, v5, 0, 16
	s_delay_alu instid0(VALU_DEP_3) | instskip(NEXT) | instid1(VALU_DEP_1)
	v_or_b32_e32 v7, 0x70000000, v7
	v_dual_add_f32 v8, -0.5, v8 :: v_dual_mul_f32 v7, 0x7800000, v7
	v_cmp_gt_u32_e32 vcc_lo, 0x8000000, v6
	s_delay_alu instid0(VALU_DEP_2) | instskip(NEXT) | instid1(VALU_DEP_1)
	v_cndmask_b32_e32 v6, v7, v8, vcc_lo
	v_and_or_b32 v5, 0x80000000, v5, v6
	v_bfe_u32 v6, v6, 16, 1
	s_delay_alu instid0(VALU_DEP_2) | instskip(NEXT) | instid1(VALU_DEP_2)
	v_cmp_o_f32_e32 vcc_lo, v5, v5
	v_add3_u32 v6, v5, v6, 0x7fff
	s_delay_alu instid0(VALU_DEP_1) | instskip(NEXT) | instid1(VALU_DEP_1)
	v_lshrrev_b32_e32 v6, 16, v6
	v_cndmask_b32_e32 v5, 0x7fc0, v6, vcc_lo
.LBB272_577:
	s_mov_b32 s18, 0
	s_mov_b32 s0, -1
.LBB272_578:
	s_and_not1_b32 vcc_lo, exec_lo, s18
	s_cbranch_vccnz .LBB272_591
; %bb.579:
	v_cmp_lt_i16_e32 vcc_lo, 14, v4
	s_cbranch_vccz .LBB272_582
; %bb.580:
	v_cmp_eq_u16_e32 vcc_lo, 15, v4
	s_cbranch_vccz .LBB272_585
; %bb.581:
	global_load_u16 v5, v[0:1], off
	s_mov_b32 s0, -1
	s_mov_b32 s17, 0
	s_branch .LBB272_586
.LBB272_582:
	s_mov_b32 s18, -1
                                        ; implicit-def: $vgpr5
	s_branch .LBB272_587
.LBB272_583:
	s_or_saveexec_b32 s19, s19
	v_mov_b32_e32 v6, s18
	s_xor_b32 exec_lo, exec_lo, s19
	s_cbranch_execz .LBB272_564
.LBB272_584:
	v_cmp_ne_u16_e32 vcc_lo, 0, v5
	v_mov_b32_e32 v6, 0
	s_and_not1_b32 s0, s0, exec_lo
	s_and_b32 s18, vcc_lo, exec_lo
	s_delay_alu instid0(SALU_CYCLE_1)
	s_or_b32 s0, s0, s18
	s_or_b32 exec_lo, exec_lo, s19
	s_and_saveexec_b32 s18, s0
	s_cbranch_execnz .LBB272_565
	s_branch .LBB272_566
.LBB272_585:
	s_mov_b32 s17, -1
                                        ; implicit-def: $vgpr5
.LBB272_586:
	s_mov_b32 s18, 0
.LBB272_587:
	s_delay_alu instid0(SALU_CYCLE_1)
	s_and_b32 vcc_lo, exec_lo, s18
	s_cbranch_vccz .LBB272_591
; %bb.588:
	v_cmp_eq_u16_e32 vcc_lo, 11, v4
	s_cbranch_vccz .LBB272_590
; %bb.589:
	global_load_u8 v5, v[0:1], off
	s_mov_b32 s17, 0
	s_mov_b32 s0, -1
	s_waitcnt vmcnt(0)
	v_cmp_ne_u16_e32 vcc_lo, 0, v5
	v_cndmask_b32_e64 v5, 0, 1.0, vcc_lo
	s_delay_alu instid0(VALU_DEP_1)
	v_lshrrev_b32_e32 v5, 16, v5
	s_branch .LBB272_591
.LBB272_590:
	s_mov_b32 s17, -1
                                        ; implicit-def: $vgpr5
.LBB272_591:
	s_mov_b32 s18, 0
.LBB272_592:
	s_delay_alu instid0(SALU_CYCLE_1)
	s_and_b32 vcc_lo, exec_lo, s18
	s_cbranch_vccz .LBB272_641
; %bb.593:
	v_cmp_gt_i16_e32 vcc_lo, 5, v4
	s_cbranch_vccnz .LBB272_598
; %bb.594:
	v_cmp_gt_i16_e32 vcc_lo, 8, v4
	s_cbranch_vccnz .LBB272_599
	;; [unrolled: 3-line block ×3, first 2 shown]
; %bb.596:
	v_cmp_lt_i16_e32 vcc_lo, 9, v4
	s_cbranch_vccz .LBB272_601
; %bb.597:
	global_load_b64 v[5:6], v[0:1], off
	s_mov_b32 s0, 0
	s_waitcnt vmcnt(0)
	v_cvt_f32_f64_e32 v5, v[5:6]
	s_delay_alu instid0(VALU_DEP_1) | instskip(SKIP_1) | instid1(VALU_DEP_2)
	v_bfe_u32 v6, v5, 16, 1
	v_cmp_o_f32_e32 vcc_lo, v5, v5
	v_add3_u32 v6, v5, v6, 0x7fff
	s_delay_alu instid0(VALU_DEP_1) | instskip(NEXT) | instid1(VALU_DEP_1)
	v_lshrrev_b32_e32 v6, 16, v6
	v_cndmask_b32_e32 v5, 0x7fc0, v6, vcc_lo
	s_branch .LBB272_602
.LBB272_598:
	s_mov_b32 s0, -1
                                        ; implicit-def: $vgpr5
	s_branch .LBB272_620
.LBB272_599:
	s_mov_b32 s0, -1
                                        ; implicit-def: $vgpr5
	s_branch .LBB272_608
.LBB272_600:
	s_mov_b32 s0, -1
                                        ; implicit-def: $vgpr5
	s_branch .LBB272_605
.LBB272_601:
	s_mov_b32 s0, -1
                                        ; implicit-def: $vgpr5
.LBB272_602:
	s_delay_alu instid0(SALU_CYCLE_1)
	s_and_not1_b32 vcc_lo, exec_lo, s0
	s_cbranch_vccnz .LBB272_604
; %bb.603:
	global_load_b32 v5, v[0:1], off
	s_waitcnt vmcnt(0)
	v_bfe_u32 v6, v5, 16, 1
	v_cmp_o_f32_e32 vcc_lo, v5, v5
	s_delay_alu instid0(VALU_DEP_2) | instskip(NEXT) | instid1(VALU_DEP_1)
	v_add3_u32 v6, v5, v6, 0x7fff
	v_lshrrev_b32_e32 v6, 16, v6
	s_delay_alu instid0(VALU_DEP_1)
	v_cndmask_b32_e32 v5, 0x7fc0, v6, vcc_lo
.LBB272_604:
	s_mov_b32 s0, 0
.LBB272_605:
	s_delay_alu instid0(SALU_CYCLE_1)
	s_and_not1_b32 vcc_lo, exec_lo, s0
	s_cbranch_vccnz .LBB272_607
; %bb.606:
	global_load_b32 v5, v[0:1], off
	s_waitcnt vmcnt(0)
	v_cvt_f32_f16_e32 v6, v5
	v_cmp_o_f16_e32 vcc_lo, v5, v5
	s_delay_alu instid0(VALU_DEP_2) | instskip(NEXT) | instid1(VALU_DEP_1)
	v_bfe_u32 v7, v6, 16, 1
	v_add3_u32 v6, v6, v7, 0x7fff
	s_delay_alu instid0(VALU_DEP_1) | instskip(NEXT) | instid1(VALU_DEP_1)
	v_lshrrev_b32_e32 v6, 16, v6
	v_cndmask_b32_e32 v5, 0x7fc0, v6, vcc_lo
.LBB272_607:
	s_mov_b32 s0, 0
.LBB272_608:
	s_delay_alu instid0(SALU_CYCLE_1)
	s_and_not1_b32 vcc_lo, exec_lo, s0
	s_cbranch_vccnz .LBB272_619
; %bb.609:
	v_cmp_gt_i16_e32 vcc_lo, 6, v4
	s_cbranch_vccnz .LBB272_612
; %bb.610:
	v_cmp_lt_i16_e32 vcc_lo, 6, v4
	s_cbranch_vccz .LBB272_613
; %bb.611:
	global_load_b64 v[5:6], v[0:1], off
	s_mov_b32 s0, 0
	s_waitcnt vmcnt(0)
	v_cvt_f32_f64_e32 v5, v[5:6]
	s_delay_alu instid0(VALU_DEP_1) | instskip(SKIP_1) | instid1(VALU_DEP_2)
	v_bfe_u32 v6, v5, 16, 1
	v_cmp_o_f32_e32 vcc_lo, v5, v5
	v_add3_u32 v6, v5, v6, 0x7fff
	s_delay_alu instid0(VALU_DEP_1) | instskip(NEXT) | instid1(VALU_DEP_1)
	v_lshrrev_b32_e32 v6, 16, v6
	v_cndmask_b32_e32 v5, 0x7fc0, v6, vcc_lo
	s_branch .LBB272_614
.LBB272_612:
	s_mov_b32 s0, -1
                                        ; implicit-def: $vgpr5
	s_branch .LBB272_617
.LBB272_613:
	s_mov_b32 s0, -1
                                        ; implicit-def: $vgpr5
.LBB272_614:
	s_delay_alu instid0(SALU_CYCLE_1)
	s_and_not1_b32 vcc_lo, exec_lo, s0
	s_cbranch_vccnz .LBB272_616
; %bb.615:
	global_load_b32 v5, v[0:1], off
	s_waitcnt vmcnt(0)
	v_bfe_u32 v6, v5, 16, 1
	v_cmp_o_f32_e32 vcc_lo, v5, v5
	s_delay_alu instid0(VALU_DEP_2) | instskip(NEXT) | instid1(VALU_DEP_1)
	v_add3_u32 v6, v5, v6, 0x7fff
	v_lshrrev_b32_e32 v6, 16, v6
	s_delay_alu instid0(VALU_DEP_1)
	v_cndmask_b32_e32 v5, 0x7fc0, v6, vcc_lo
.LBB272_616:
	s_mov_b32 s0, 0
.LBB272_617:
	s_delay_alu instid0(SALU_CYCLE_1)
	s_and_not1_b32 vcc_lo, exec_lo, s0
	s_cbranch_vccnz .LBB272_619
; %bb.618:
	global_load_u16 v5, v[0:1], off
	s_waitcnt vmcnt(0)
	v_cvt_f32_f16_e32 v6, v5
	v_cmp_o_f16_e32 vcc_lo, v5, v5
	s_delay_alu instid0(VALU_DEP_2) | instskip(NEXT) | instid1(VALU_DEP_1)
	v_bfe_u32 v7, v6, 16, 1
	v_add3_u32 v6, v6, v7, 0x7fff
	s_delay_alu instid0(VALU_DEP_1) | instskip(NEXT) | instid1(VALU_DEP_1)
	v_lshrrev_b32_e32 v6, 16, v6
	v_cndmask_b32_e32 v5, 0x7fc0, v6, vcc_lo
.LBB272_619:
	s_mov_b32 s0, 0
.LBB272_620:
	s_delay_alu instid0(SALU_CYCLE_1)
	s_and_not1_b32 vcc_lo, exec_lo, s0
	s_cbranch_vccnz .LBB272_640
; %bb.621:
	v_cmp_gt_i16_e32 vcc_lo, 2, v4
	s_cbranch_vccnz .LBB272_625
; %bb.622:
	v_cmp_gt_i16_e32 vcc_lo, 3, v4
	s_cbranch_vccnz .LBB272_626
; %bb.623:
	v_cmp_lt_i16_e32 vcc_lo, 3, v4
	s_cbranch_vccz .LBB272_627
; %bb.624:
	global_load_b64 v[5:6], v[0:1], off
	s_mov_b32 s0, 0
	s_waitcnt vmcnt(0)
	v_xor_b32_e32 v7, v5, v6
	v_cls_i32_e32 v8, v6
	s_delay_alu instid0(VALU_DEP_2) | instskip(NEXT) | instid1(VALU_DEP_2)
	v_ashrrev_i32_e32 v7, 31, v7
	v_add_nc_u32_e32 v8, -1, v8
	s_delay_alu instid0(VALU_DEP_2) | instskip(NEXT) | instid1(VALU_DEP_1)
	v_add_nc_u32_e32 v7, 32, v7
	v_min_u32_e32 v7, v8, v7
	s_delay_alu instid0(VALU_DEP_1) | instskip(NEXT) | instid1(VALU_DEP_1)
	v_lshlrev_b64 v[5:6], v7, v[5:6]
	v_min_u32_e32 v5, 1, v5
	s_delay_alu instid0(VALU_DEP_1) | instskip(SKIP_1) | instid1(VALU_DEP_2)
	v_or_b32_e32 v5, v6, v5
	v_sub_nc_u32_e32 v6, 32, v7
	v_cvt_f32_i32_e32 v5, v5
	s_delay_alu instid0(VALU_DEP_1) | instskip(NEXT) | instid1(VALU_DEP_1)
	v_ldexp_f32 v5, v5, v6
	v_bfe_u32 v6, v5, 16, 1
	s_delay_alu instid0(VALU_DEP_1) | instskip(NEXT) | instid1(VALU_DEP_1)
	v_add3_u32 v5, v5, v6, 0x7fff
	v_lshrrev_b32_e32 v5, 16, v5
	s_branch .LBB272_628
.LBB272_625:
	s_mov_b32 s0, -1
                                        ; implicit-def: $vgpr5
	s_branch .LBB272_634
.LBB272_626:
	s_mov_b32 s0, -1
                                        ; implicit-def: $vgpr5
	s_branch .LBB272_631
.LBB272_627:
	s_mov_b32 s0, -1
                                        ; implicit-def: $vgpr5
.LBB272_628:
	s_delay_alu instid0(SALU_CYCLE_1)
	s_and_not1_b32 vcc_lo, exec_lo, s0
	s_cbranch_vccnz .LBB272_630
; %bb.629:
	global_load_b32 v5, v[0:1], off
	s_waitcnt vmcnt(0)
	v_cvt_f32_i32_e32 v5, v5
	s_delay_alu instid0(VALU_DEP_1) | instskip(NEXT) | instid1(VALU_DEP_1)
	v_bfe_u32 v6, v5, 16, 1
	v_add3_u32 v5, v5, v6, 0x7fff
	s_delay_alu instid0(VALU_DEP_1)
	v_lshrrev_b32_e32 v5, 16, v5
.LBB272_630:
	s_mov_b32 s0, 0
.LBB272_631:
	s_delay_alu instid0(SALU_CYCLE_1)
	s_and_not1_b32 vcc_lo, exec_lo, s0
	s_cbranch_vccnz .LBB272_633
; %bb.632:
	global_load_i16 v5, v[0:1], off
	s_waitcnt vmcnt(0)
	v_cvt_f32_i32_e32 v5, v5
	s_delay_alu instid0(VALU_DEP_1) | instskip(NEXT) | instid1(VALU_DEP_1)
	v_bfe_u32 v6, v5, 16, 1
	v_add3_u32 v5, v5, v6, 0x7fff
	s_delay_alu instid0(VALU_DEP_1)
	v_lshrrev_b32_e32 v5, 16, v5
.LBB272_633:
	s_mov_b32 s0, 0
.LBB272_634:
	s_delay_alu instid0(SALU_CYCLE_1)
	s_and_not1_b32 vcc_lo, exec_lo, s0
	s_cbranch_vccnz .LBB272_640
; %bb.635:
	v_cmp_lt_i16_e32 vcc_lo, 0, v4
	s_mov_b32 s0, 0
	s_cbranch_vccz .LBB272_637
; %bb.636:
	global_load_i8 v5, v[0:1], off
	s_waitcnt vmcnt(0)
	v_cvt_f32_i32_e32 v5, v5
	s_delay_alu instid0(VALU_DEP_1) | instskip(NEXT) | instid1(VALU_DEP_1)
	v_bfe_u32 v6, v5, 16, 1
	v_add3_u32 v5, v5, v6, 0x7fff
	s_delay_alu instid0(VALU_DEP_1)
	v_lshrrev_b32_e32 v5, 16, v5
	s_branch .LBB272_638
.LBB272_637:
	s_mov_b32 s0, -1
                                        ; implicit-def: $vgpr5
.LBB272_638:
	s_delay_alu instid0(SALU_CYCLE_1)
	s_and_not1_b32 vcc_lo, exec_lo, s0
	s_cbranch_vccnz .LBB272_640
; %bb.639:
	global_load_u8 v0, v[0:1], off
	s_waitcnt vmcnt(0)
	v_cvt_f32_ubyte0_e32 v0, v0
	s_delay_alu instid0(VALU_DEP_1) | instskip(NEXT) | instid1(VALU_DEP_1)
	v_bfe_u32 v1, v0, 16, 1
	v_add3_u32 v0, v0, v1, 0x7fff
	s_delay_alu instid0(VALU_DEP_1)
	v_lshrrev_b32_e32 v5, 16, v0
.LBB272_640:
	s_mov_b32 s0, -1
.LBB272_641:
	s_delay_alu instid0(SALU_CYCLE_1)
	s_and_not1_b32 vcc_lo, exec_lo, s0
	s_cbranch_vccnz .LBB272_649
; %bb.642:
	s_waitcnt vmcnt(0)
	v_lshlrev_b32_e32 v0, 16, v5
	s_mov_b32 s19, -1
	s_mov_b32 s18, 0
	s_delay_alu instid0(VALU_DEP_1) | instskip(SKIP_1) | instid1(VALU_DEP_2)
	v_mul_f32_e32 v1, 0x4f800000, v0
	v_cmp_gt_f32_e32 vcc_lo, 0xf800000, v0
	v_cndmask_b32_e32 v0, v0, v1, vcc_lo
	s_delay_alu instid0(VALU_DEP_1) | instskip(SKIP_3) | instid1(VALU_DEP_2)
	v_sqrt_f32_e32 v1, v0
	s_waitcnt_depctr 0xfff
	v_add_nc_u32_e32 v5, -1, v1
	v_add_nc_u32_e32 v6, 1, v1
	v_fma_f32 v7, -v5, v1, v0
	s_delay_alu instid0(VALU_DEP_2) | instskip(NEXT) | instid1(VALU_DEP_2)
	v_fma_f32 v8, -v6, v1, v0
	v_cmp_ge_f32_e64 s0, 0, v7
	s_delay_alu instid0(VALU_DEP_1) | instskip(NEXT) | instid1(VALU_DEP_3)
	v_cndmask_b32_e64 v1, v1, v5, s0
	v_cmp_lt_f32_e64 s0, 0, v8
	s_delay_alu instid0(VALU_DEP_1) | instskip(SKIP_1) | instid1(VALU_DEP_2)
	v_cndmask_b32_e64 v1, v1, v6, s0
	v_and_b32_e32 v6, 0xff, v2
	v_mul_f32_e32 v5, 0x37800000, v1
	s_delay_alu instid0(VALU_DEP_1) | instskip(SKIP_1) | instid1(VALU_DEP_2)
	v_cndmask_b32_e32 v1, v1, v5, vcc_lo
	v_cmp_class_f32_e64 vcc_lo, v0, 0x260
	v_cndmask_b32_e32 v5, v1, v0, vcc_lo
	v_mul_lo_u32 v1, v3, s2
	v_cmp_gt_i16_e32 vcc_lo, 11, v6
	s_delay_alu instid0(VALU_DEP_3) | instskip(SKIP_1) | instid1(VALU_DEP_3)
	v_bfe_u32 v0, v5, 16, 1
	s_and_b32 vcc_lo, exec_lo, vcc_lo
	v_ashrrev_i32_e32 v7, 31, v1
	s_delay_alu instid0(VALU_DEP_2) | instskip(NEXT) | instid1(VALU_DEP_1)
	v_add3_u32 v0, v5, v0, 0x7fff
	v_lshrrev_b32_e32 v8, 16, v0
	v_add_co_u32 v0, s0, s4, v1
	s_delay_alu instid0(VALU_DEP_1) | instskip(SKIP_1) | instid1(VALU_DEP_1)
	v_add_co_ci_u32_e64 v1, s0, s5, v7, s0
	v_cmp_o_f32_e64 s0, v5, v5
	v_cndmask_b32_e64 v5, 0x7fc0, v8, s0
	s_mov_b32 s0, s14
	s_cbranch_vccnz .LBB272_650
; %bb.643:
	v_cmp_lt_i16_e32 vcc_lo, 25, v6
	s_cbranch_vccz .LBB272_691
; %bb.644:
	v_cmp_lt_i16_e32 vcc_lo, 28, v6
	s_cbranch_vccz .LBB272_692
	;; [unrolled: 3-line block ×4, first 2 shown]
; %bb.647:
	v_cmp_eq_u16_e32 vcc_lo, 46, v6
	s_mov_b32 s19, 0
	s_mov_b32 s0, -1
	s_cbranch_vccz .LBB272_695
; %bb.648:
	v_and_b32_e32 v7, 0xffff, v5
	s_mov_b32 s18, -1
	s_mov_b32 s0, 0
	global_store_b32 v[0:1], v7, off
	s_branch .LBB272_695
.LBB272_649:
	s_mov_b32 s19, 0
	s_mov_b32 s0, s14
	s_branch .LBB272_690
.LBB272_650:
	s_and_b32 vcc_lo, exec_lo, s19
	s_cbranch_vccz .LBB272_764
; %bb.651:
	v_cmp_gt_i16_e32 vcc_lo, 5, v6
	s_mov_b32 s18, -1
	s_cbranch_vccnz .LBB272_672
; %bb.652:
	v_cmp_gt_i16_e32 vcc_lo, 8, v6
	s_cbranch_vccnz .LBB272_662
; %bb.653:
	v_cmp_gt_i16_e32 vcc_lo, 9, v6
	s_cbranch_vccnz .LBB272_659
; %bb.654:
	v_cmp_lt_i16_e32 vcc_lo, 9, v6
	s_cbranch_vccz .LBB272_656
; %bb.655:
	v_mov_b32_e32 v9, 0
	v_lshlrev_b32_e32 v7, 16, v5
	s_mov_b32 s18, 0
	s_delay_alu instid0(VALU_DEP_2) | instskip(NEXT) | instid1(VALU_DEP_2)
	v_mov_b32_e32 v10, v9
	v_cvt_f64_f32_e32 v[7:8], v7
	global_store_b128 v[0:1], v[7:10], off
.LBB272_656:
	s_and_not1_b32 vcc_lo, exec_lo, s18
	s_cbranch_vccnz .LBB272_658
; %bb.657:
	v_dual_mov_b32 v8, 0 :: v_dual_lshlrev_b32 v7, 16, v5
	global_store_b64 v[0:1], v[7:8], off
.LBB272_658:
	s_mov_b32 s18, 0
.LBB272_659:
	s_delay_alu instid0(SALU_CYCLE_1)
	s_and_not1_b32 vcc_lo, exec_lo, s18
	s_cbranch_vccnz .LBB272_661
; %bb.660:
	v_lshlrev_b32_e32 v7, 16, v5
	s_delay_alu instid0(VALU_DEP_1) | instskip(NEXT) | instid1(VALU_DEP_1)
	v_cvt_f16_f32_e32 v7, v7
	v_and_b32_e32 v7, 0xffff, v7
	global_store_b32 v[0:1], v7, off
.LBB272_661:
	s_mov_b32 s18, 0
.LBB272_662:
	s_delay_alu instid0(SALU_CYCLE_1)
	s_and_not1_b32 vcc_lo, exec_lo, s18
	s_cbranch_vccnz .LBB272_671
; %bb.663:
	v_cmp_gt_i16_e32 vcc_lo, 6, v6
	s_mov_b32 s18, -1
	s_cbranch_vccnz .LBB272_669
; %bb.664:
	v_cmp_lt_i16_e32 vcc_lo, 6, v6
	s_cbranch_vccz .LBB272_666
; %bb.665:
	v_lshlrev_b32_e32 v7, 16, v5
	s_mov_b32 s18, 0
	s_delay_alu instid0(VALU_DEP_1)
	v_cvt_f64_f32_e32 v[7:8], v7
	global_store_b64 v[0:1], v[7:8], off
.LBB272_666:
	s_and_not1_b32 vcc_lo, exec_lo, s18
	s_cbranch_vccnz .LBB272_668
; %bb.667:
	v_lshlrev_b32_e32 v7, 16, v5
	global_store_b32 v[0:1], v7, off
.LBB272_668:
	s_mov_b32 s18, 0
.LBB272_669:
	s_delay_alu instid0(SALU_CYCLE_1)
	s_and_not1_b32 vcc_lo, exec_lo, s18
	s_cbranch_vccnz .LBB272_671
; %bb.670:
	v_lshlrev_b32_e32 v7, 16, v5
	s_delay_alu instid0(VALU_DEP_1)
	v_cvt_f16_f32_e32 v7, v7
	global_store_b16 v[0:1], v7, off
.LBB272_671:
	s_mov_b32 s18, 0
.LBB272_672:
	s_delay_alu instid0(SALU_CYCLE_1)
	s_and_not1_b32 vcc_lo, exec_lo, s18
	s_cbranch_vccnz .LBB272_688
; %bb.673:
	v_cmp_gt_i16_e32 vcc_lo, 2, v6
	s_mov_b32 s18, -1
	s_cbranch_vccnz .LBB272_683
; %bb.674:
	v_cmp_gt_i16_e32 vcc_lo, 3, v6
	s_cbranch_vccnz .LBB272_680
; %bb.675:
	v_cmp_lt_i16_e32 vcc_lo, 3, v6
	s_cbranch_vccz .LBB272_677
; %bb.676:
	v_lshlrev_b32_e32 v7, 16, v5
	s_mov_b32 s18, 0
	s_delay_alu instid0(VALU_DEP_1) | instskip(NEXT) | instid1(VALU_DEP_1)
	v_trunc_f32_e32 v7, v7
	v_mul_f32_e64 v8, 0x2f800000, |v7|
	v_ashrrev_i32_e32 v10, 31, v7
	s_delay_alu instid0(VALU_DEP_2) | instskip(NEXT) | instid1(VALU_DEP_1)
	v_floor_f32_e32 v8, v8
	v_fma_f32 v9, 0xcf800000, v8, |v7|
	v_cvt_u32_f32_e32 v8, v8
	s_delay_alu instid0(VALU_DEP_2) | instskip(NEXT) | instid1(VALU_DEP_2)
	v_cvt_u32_f32_e32 v7, v9
	v_xor_b32_e32 v8, v8, v10
	s_delay_alu instid0(VALU_DEP_2) | instskip(NEXT) | instid1(VALU_DEP_1)
	v_xor_b32_e32 v7, v7, v10
	v_sub_co_u32 v7, vcc_lo, v7, v10
	s_delay_alu instid0(VALU_DEP_3)
	v_sub_co_ci_u32_e32 v8, vcc_lo, v8, v10, vcc_lo
	global_store_b64 v[0:1], v[7:8], off
.LBB272_677:
	s_and_not1_b32 vcc_lo, exec_lo, s18
	s_cbranch_vccnz .LBB272_679
; %bb.678:
	v_lshlrev_b32_e32 v7, 16, v5
	s_delay_alu instid0(VALU_DEP_1)
	v_cvt_i32_f32_e32 v7, v7
	global_store_b32 v[0:1], v7, off
.LBB272_679:
	s_mov_b32 s18, 0
.LBB272_680:
	s_delay_alu instid0(SALU_CYCLE_1)
	s_and_not1_b32 vcc_lo, exec_lo, s18
	s_cbranch_vccnz .LBB272_682
; %bb.681:
	v_lshlrev_b32_e32 v7, 16, v5
	s_delay_alu instid0(VALU_DEP_1)
	v_cvt_i32_f32_e32 v7, v7
	global_store_b16 v[0:1], v7, off
.LBB272_682:
	s_mov_b32 s18, 0
.LBB272_683:
	s_delay_alu instid0(SALU_CYCLE_1)
	s_and_not1_b32 vcc_lo, exec_lo, s18
	s_cbranch_vccnz .LBB272_688
; %bb.684:
	v_cmp_lt_i16_e32 vcc_lo, 0, v6
	s_mov_b32 s18, -1
	s_cbranch_vccz .LBB272_686
; %bb.685:
	v_lshlrev_b32_e32 v6, 16, v5
	s_mov_b32 s18, 0
	s_delay_alu instid0(VALU_DEP_1)
	v_cvt_i32_f32_e32 v6, v6
	global_store_b8 v[0:1], v6, off
.LBB272_686:
	s_and_not1_b32 vcc_lo, exec_lo, s18
	s_cbranch_vccnz .LBB272_688
; %bb.687:
	v_lshlrev_b32_e32 v5, 16, v5
	s_delay_alu instid0(VALU_DEP_1) | instskip(NEXT) | instid1(VALU_DEP_1)
	v_trunc_f32_e32 v5, v5
	v_mul_f32_e64 v6, 0x2f800000, |v5|
	s_delay_alu instid0(VALU_DEP_1) | instskip(NEXT) | instid1(VALU_DEP_1)
	v_floor_f32_e32 v6, v6
	v_fma_f32 v6, 0xcf800000, v6, |v5|
	v_ashrrev_i32_e32 v5, 31, v5
	s_delay_alu instid0(VALU_DEP_2) | instskip(NEXT) | instid1(VALU_DEP_1)
	v_cvt_u32_f32_e32 v6, v6
	v_xor_b32_e32 v6, v6, v5
	s_delay_alu instid0(VALU_DEP_1)
	v_sub_nc_u32_e32 v5, v6, v5
	global_store_b8 v[0:1], v5, off
.LBB272_688:
	s_branch .LBB272_765
.LBB272_689:
	s_mov_b32 s19, 0
.LBB272_690:
                                        ; implicit-def: $vgpr3
	s_branch .LBB272_766
.LBB272_691:
	s_mov_b32 s0, s14
	s_branch .LBB272_722
.LBB272_692:
	s_mov_b32 s0, s14
	s_branch .LBB272_705
.LBB272_693:
	s_mov_b32 s0, s14
	s_branch .LBB272_701
.LBB272_694:
	s_mov_b32 s0, s14
.LBB272_695:
	s_and_b32 vcc_lo, exec_lo, s19
	s_cbranch_vccz .LBB272_700
; %bb.696:
	v_cmp_eq_u16_e32 vcc_lo, 44, v6
	s_mov_b32 s0, -1
	s_cbranch_vccz .LBB272_700
; %bb.697:
	v_and_b32_e32 v7, 0xffff, v5
	v_mov_b32_e32 v8, 0xff
	s_mov_b32 s18, exec_lo
	s_delay_alu instid0(VALU_DEP_2) | instskip(NEXT) | instid1(VALU_DEP_1)
	v_bfe_u32 v9, v7, 7, 8
	v_cmpx_ne_u32_e32 0xff, v9
; %bb.698:
	v_lshlrev_b32_e32 v8, 16, v7
	v_and_b32_e32 v10, 64, v7
	v_lshrrev_b32_e32 v7, 7, v7
	s_delay_alu instid0(VALU_DEP_3) | instskip(NEXT) | instid1(VALU_DEP_3)
	v_and_or_b32 v8, 0x3f0000, v8, v9
	v_cmp_ne_u32_e32 vcc_lo, 0, v10
	s_delay_alu instid0(VALU_DEP_2) | instskip(NEXT) | instid1(VALU_DEP_1)
	v_cmp_ne_u32_e64 s0, 0, v8
	s_and_b32 s0, vcc_lo, s0
	s_delay_alu instid0(SALU_CYCLE_1) | instskip(NEXT) | instid1(VALU_DEP_1)
	v_cndmask_b32_e64 v8, 0, 1, s0
	v_add_nc_u32_e32 v8, v7, v8
; %bb.699:
	s_or_b32 exec_lo, exec_lo, s18
	s_mov_b32 s18, -1
	s_mov_b32 s0, 0
	global_store_b8 v[0:1], v8, off
.LBB272_700:
	s_mov_b32 s19, 0
.LBB272_701:
	s_delay_alu instid0(SALU_CYCLE_1)
	s_and_b32 vcc_lo, exec_lo, s19
	s_cbranch_vccz .LBB272_704
; %bb.702:
	v_cmp_eq_u16_e32 vcc_lo, 29, v6
	s_mov_b32 s0, -1
	s_cbranch_vccz .LBB272_704
; %bb.703:
	v_lshlrev_b32_e32 v7, 16, v5
	s_mov_b32 s18, -1
	s_mov_b32 s0, 0
	s_mov_b32 s19, 0
	s_delay_alu instid0(VALU_DEP_1) | instskip(NEXT) | instid1(VALU_DEP_1)
	v_trunc_f32_e32 v7, v7
	v_mul_f32_e32 v8, 0x2f800000, v7
	s_delay_alu instid0(VALU_DEP_1) | instskip(NEXT) | instid1(VALU_DEP_1)
	v_floor_f32_e32 v8, v8
	v_fmamk_f32 v7, v8, 0xcf800000, v7
	v_cvt_u32_f32_e32 v8, v8
	s_delay_alu instid0(VALU_DEP_2)
	v_cvt_u32_f32_e32 v7, v7
	global_store_b64 v[0:1], v[7:8], off
	s_branch .LBB272_705
.LBB272_704:
	s_mov_b32 s19, 0
.LBB272_705:
	s_delay_alu instid0(SALU_CYCLE_1)
	s_and_b32 vcc_lo, exec_lo, s19
	s_cbranch_vccz .LBB272_721
; %bb.706:
	v_cmp_gt_i16_e32 vcc_lo, 27, v6
	s_mov_b32 s18, -1
	s_cbranch_vccnz .LBB272_712
; %bb.707:
	v_cmp_lt_i16_e32 vcc_lo, 27, v6
	s_cbranch_vccz .LBB272_709
; %bb.708:
	v_lshlrev_b32_e32 v7, 16, v5
	s_mov_b32 s18, 0
	s_delay_alu instid0(VALU_DEP_1)
	v_cvt_u32_f32_e32 v7, v7
	global_store_b32 v[0:1], v7, off
.LBB272_709:
	s_and_not1_b32 vcc_lo, exec_lo, s18
	s_cbranch_vccnz .LBB272_711
; %bb.710:
	v_lshlrev_b32_e32 v7, 16, v5
	s_delay_alu instid0(VALU_DEP_1)
	v_cvt_u32_f32_e32 v7, v7
	global_store_b16 v[0:1], v7, off
.LBB272_711:
	s_mov_b32 s18, 0
.LBB272_712:
	s_delay_alu instid0(SALU_CYCLE_1)
	s_and_not1_b32 vcc_lo, exec_lo, s18
	s_cbranch_vccnz .LBB272_720
; %bb.713:
	v_dual_mov_b32 v10, 0x80 :: v_dual_lshlrev_b32 v9, 16, v5
	s_mov_b32 s18, exec_lo
	s_delay_alu instid0(VALU_DEP_1) | instskip(NEXT) | instid1(VALU_DEP_1)
	v_and_b32_e32 v8, 0x7fffffff, v9
	v_cmpx_gt_u32_e32 0x43800000, v8
	s_cbranch_execz .LBB272_719
; %bb.714:
	v_and_b32_e32 v7, 0xffff, v5
	v_cmp_lt_u32_e32 vcc_lo, 0x3bffffff, v8
	s_mov_b32 s19, 0
                                        ; implicit-def: $vgpr8
	s_and_saveexec_b32 s20, vcc_lo
	s_delay_alu instid0(SALU_CYCLE_1)
	s_xor_b32 s20, exec_lo, s20
	s_cbranch_execz .LBB272_780
; %bb.715:
	v_bfe_u32 v8, v7, 4, 1
	s_mov_b32 s19, exec_lo
	s_delay_alu instid0(VALU_DEP_1) | instskip(NEXT) | instid1(VALU_DEP_1)
	v_add3_u32 v8, v9, v8, 0x487ffff
                                        ; implicit-def: $vgpr9
	v_lshrrev_b32_e32 v8, 20, v8
	s_or_saveexec_b32 s20, s20
                                        ; implicit-def: $sgpr21
	s_delay_alu instid0(SALU_CYCLE_1)
	s_xor_b32 exec_lo, exec_lo, s20
	s_cbranch_execnz .LBB272_781
.LBB272_716:
	s_or_b32 exec_lo, exec_lo, s20
	v_mov_b32_e32 v10, s21
	s_and_saveexec_b32 s20, s19
.LBB272_717:
	v_lshrrev_b32_e32 v7, 8, v7
	s_delay_alu instid0(VALU_DEP_1)
	v_and_or_b32 v10, 0x80, v7, v8
.LBB272_718:
	s_or_b32 exec_lo, exec_lo, s20
.LBB272_719:
	s_delay_alu instid0(SALU_CYCLE_1)
	s_or_b32 exec_lo, exec_lo, s18
	global_store_b8 v[0:1], v10, off
.LBB272_720:
	s_mov_b32 s18, -1
.LBB272_721:
	s_mov_b32 s19, 0
.LBB272_722:
	s_delay_alu instid0(SALU_CYCLE_1)
	s_and_b32 vcc_lo, exec_lo, s19
	s_cbranch_vccz .LBB272_763
; %bb.723:
	v_cmp_lt_i16_e32 vcc_lo, 22, v6
	s_mov_b32 s19, -1
	s_cbranch_vccz .LBB272_755
; %bb.724:
	v_cmp_gt_i16_e32 vcc_lo, 24, v6
	s_mov_b32 s18, -1
	s_cbranch_vccnz .LBB272_744
; %bb.725:
	v_cmp_lt_i16_e32 vcc_lo, 24, v6
	s_cbranch_vccz .LBB272_733
; %bb.726:
	v_dual_mov_b32 v10, 0x80 :: v_dual_lshlrev_b32 v9, 16, v5
	s_mov_b32 s18, exec_lo
	s_delay_alu instid0(VALU_DEP_1) | instskip(NEXT) | instid1(VALU_DEP_1)
	v_and_b32_e32 v8, 0x7fffffff, v9
	v_cmpx_gt_u32_e32 0x47800000, v8
	s_cbranch_execz .LBB272_732
; %bb.727:
	v_and_b32_e32 v7, 0xffff, v5
	v_cmp_lt_u32_e32 vcc_lo, 0x37ffffff, v8
	s_mov_b32 s19, 0
                                        ; implicit-def: $vgpr8
	s_and_saveexec_b32 s20, vcc_lo
	s_delay_alu instid0(SALU_CYCLE_1)
	s_xor_b32 s20, exec_lo, s20
	s_cbranch_execz .LBB272_783
; %bb.728:
	v_bfe_u32 v8, v7, 5, 1
	s_mov_b32 s19, exec_lo
	s_delay_alu instid0(VALU_DEP_1) | instskip(NEXT) | instid1(VALU_DEP_1)
	v_add3_u32 v8, v9, v8, 0x88fffff
                                        ; implicit-def: $vgpr9
	v_lshrrev_b32_e32 v8, 21, v8
	s_or_saveexec_b32 s20, s20
                                        ; implicit-def: $sgpr21
	s_delay_alu instid0(SALU_CYCLE_1)
	s_xor_b32 exec_lo, exec_lo, s20
	s_cbranch_execnz .LBB272_784
.LBB272_729:
	s_or_b32 exec_lo, exec_lo, s20
	v_mov_b32_e32 v10, s21
	s_and_saveexec_b32 s20, s19
.LBB272_730:
	v_lshrrev_b32_e32 v7, 8, v7
	s_delay_alu instid0(VALU_DEP_1)
	v_and_or_b32 v10, 0x80, v7, v8
.LBB272_731:
	s_or_b32 exec_lo, exec_lo, s20
.LBB272_732:
	s_delay_alu instid0(SALU_CYCLE_1)
	s_or_b32 exec_lo, exec_lo, s18
	s_mov_b32 s18, 0
	global_store_b8 v[0:1], v10, off
.LBB272_733:
	s_and_b32 vcc_lo, exec_lo, s18
	s_cbranch_vccz .LBB272_743
; %bb.734:
	v_lshlrev_b32_e32 v9, 16, v5
	v_and_b32_e32 v7, 0xffff, v5
	s_mov_b32 s18, exec_lo
                                        ; implicit-def: $vgpr8
	s_delay_alu instid0(VALU_DEP_2) | instskip(NEXT) | instid1(VALU_DEP_1)
	v_and_b32_e32 v10, 0x7fffffff, v9
	v_cmpx_gt_u32_e32 0x43f00000, v10
	s_xor_b32 s18, exec_lo, s18
	s_cbranch_execz .LBB272_740
; %bb.735:
	s_mov_b32 s19, exec_lo
                                        ; implicit-def: $vgpr8
	v_cmpx_lt_u32_e32 0x3c7fffff, v10
	s_xor_b32 s19, exec_lo, s19
; %bb.736:
	v_bfe_u32 v8, v7, 4, 1
	s_delay_alu instid0(VALU_DEP_1) | instskip(NEXT) | instid1(VALU_DEP_1)
	v_add3_u32 v8, v9, v8, 0x407ffff
	v_and_b32_e32 v9, 0xff00000, v8
	v_lshrrev_b32_e32 v8, 20, v8
	s_delay_alu instid0(VALU_DEP_2) | instskip(NEXT) | instid1(VALU_DEP_2)
	v_cmp_ne_u32_e32 vcc_lo, 0x7f00000, v9
                                        ; implicit-def: $vgpr9
	v_cndmask_b32_e32 v8, 0x7e, v8, vcc_lo
; %bb.737:
	s_and_not1_saveexec_b32 s19, s19
; %bb.738:
	v_add_f32_e64 v8, 0x46800000, |v9|
; %bb.739:
	s_or_b32 exec_lo, exec_lo, s19
                                        ; implicit-def: $vgpr10
.LBB272_740:
	s_and_not1_saveexec_b32 s18, s18
; %bb.741:
	v_mov_b32_e32 v8, 0x7f
	v_cmp_lt_u32_e32 vcc_lo, 0x7f800000, v10
	s_delay_alu instid0(VALU_DEP_2)
	v_cndmask_b32_e32 v8, 0x7e, v8, vcc_lo
; %bb.742:
	s_or_b32 exec_lo, exec_lo, s18
	v_lshrrev_b32_e32 v7, 8, v7
	s_delay_alu instid0(VALU_DEP_1)
	v_and_or_b32 v7, 0x80, v7, v8
	global_store_b8 v[0:1], v7, off
.LBB272_743:
	s_mov_b32 s18, 0
.LBB272_744:
	s_delay_alu instid0(SALU_CYCLE_1)
	s_and_not1_b32 vcc_lo, exec_lo, s18
	s_cbranch_vccnz .LBB272_754
; %bb.745:
	v_lshlrev_b32_e32 v9, 16, v5
	v_and_b32_e32 v7, 0xffff, v5
	s_mov_b32 s18, exec_lo
                                        ; implicit-def: $vgpr8
	s_delay_alu instid0(VALU_DEP_2) | instskip(NEXT) | instid1(VALU_DEP_1)
	v_and_b32_e32 v10, 0x7fffffff, v9
	v_cmpx_gt_u32_e32 0x47800000, v10
	s_xor_b32 s18, exec_lo, s18
	s_cbranch_execz .LBB272_751
; %bb.746:
	s_mov_b32 s19, exec_lo
                                        ; implicit-def: $vgpr8
	v_cmpx_lt_u32_e32 0x387fffff, v10
	s_xor_b32 s19, exec_lo, s19
; %bb.747:
	v_bfe_u32 v8, v7, 5, 1
	s_delay_alu instid0(VALU_DEP_1) | instskip(NEXT) | instid1(VALU_DEP_1)
	v_add3_u32 v8, v9, v8, 0x80fffff
                                        ; implicit-def: $vgpr9
	v_lshrrev_b32_e32 v8, 21, v8
; %bb.748:
	s_and_not1_saveexec_b32 s19, s19
; %bb.749:
	v_add_f32_e64 v8, 0x43000000, |v9|
; %bb.750:
	s_or_b32 exec_lo, exec_lo, s19
                                        ; implicit-def: $vgpr10
.LBB272_751:
	s_and_not1_saveexec_b32 s18, s18
; %bb.752:
	v_mov_b32_e32 v8, 0x7f
	v_cmp_lt_u32_e32 vcc_lo, 0x7f800000, v10
	s_delay_alu instid0(VALU_DEP_2)
	v_cndmask_b32_e32 v8, 0x7c, v8, vcc_lo
; %bb.753:
	s_or_b32 exec_lo, exec_lo, s18
	v_lshrrev_b32_e32 v7, 8, v7
	s_delay_alu instid0(VALU_DEP_1)
	v_and_or_b32 v7, 0x80, v7, v8
	global_store_b8 v[0:1], v7, off
.LBB272_754:
	s_mov_b32 s19, 0
	s_mov_b32 s18, -1
.LBB272_755:
	s_and_not1_b32 vcc_lo, exec_lo, s19
	s_cbranch_vccnz .LBB272_763
; %bb.756:
	v_cmp_lt_i16_e32 vcc_lo, 14, v6
	s_mov_b32 s19, -1
	s_cbranch_vccz .LBB272_760
; %bb.757:
	v_cmp_eq_u16_e32 vcc_lo, 15, v6
	s_mov_b32 s0, -1
	s_cbranch_vccz .LBB272_759
; %bb.758:
	s_mov_b32 s18, -1
	s_mov_b32 s0, 0
	global_store_b16 v[0:1], v5, off
.LBB272_759:
	s_mov_b32 s19, 0
.LBB272_760:
	s_delay_alu instid0(SALU_CYCLE_1)
	s_and_b32 vcc_lo, exec_lo, s19
	s_cbranch_vccz .LBB272_763
; %bb.761:
	v_cmp_eq_u16_e32 vcc_lo, 11, v6
	s_mov_b32 s0, -1
	s_cbranch_vccz .LBB272_763
; %bb.762:
	v_and_b32_e32 v7, 0x7fff, v5
	s_mov_b32 s0, 0
	s_mov_b32 s18, -1
	s_delay_alu instid0(VALU_DEP_1)
	v_cmp_ne_u16_e32 vcc_lo, 0, v7
	v_cndmask_b32_e64 v7, 0, 1, vcc_lo
	global_store_b8 v[0:1], v7, off
.LBB272_763:
.LBB272_764:
	s_and_not1_b32 vcc_lo, exec_lo, s18
	s_cbranch_vccnz .LBB272_689
.LBB272_765:
	v_add_nc_u32_e32 v3, 0x80, v3
	s_mov_b32 s19, -1
.LBB272_766:
	s_and_not1_b32 s18, s14, exec_lo
	s_and_b32 s0, s0, exec_lo
	s_and_not1_b32 s20, s13, exec_lo
	s_and_b32 s17, s17, exec_lo
	s_or_b32 s18, s18, s0
	s_or_b32 s17, s20, s17
	s_or_not1_b32 s0, s19, exec_lo
.LBB272_767:
	s_or_b32 exec_lo, exec_lo, s16
	s_mov_b32 s19, 0
	s_mov_b32 s20, 0
	;; [unrolled: 1-line block ×3, first 2 shown]
                                        ; implicit-def: $vgpr0_vgpr1
                                        ; implicit-def: $vgpr6
	s_and_saveexec_b32 s16, s0
	s_cbranch_execz .LBB272_852
; %bb.768:
	v_cmp_gt_i32_e32 vcc_lo, s10, v3
	s_mov_b32 s0, 0
	s_mov_b32 s19, s17
                                        ; implicit-def: $vgpr0_vgpr1
                                        ; implicit-def: $vgpr6
	s_and_saveexec_b32 s10, vcc_lo
	s_cbranch_execz .LBB272_851
; %bb.769:
	v_mul_lo_u32 v0, v3, s3
	v_cmp_gt_i16_e32 vcc_lo, 11, v4
	s_delay_alu instid0(VALU_DEP_2) | instskip(SKIP_1) | instid1(VALU_DEP_1)
	v_ashrrev_i32_e32 v1, 31, v0
	v_add_co_u32 v0, s0, s6, v0
	v_add_co_ci_u32_e64 v1, s0, s7, v1, s0
	s_cbranch_vccnz .LBB272_776
; %bb.770:
	v_cmp_lt_i16_e32 vcc_lo, 25, v4
	s_mov_b32 s19, 0
	s_cbranch_vccz .LBB272_777
; %bb.771:
	v_cmp_lt_i16_e32 vcc_lo, 28, v4
	s_cbranch_vccz .LBB272_778
; %bb.772:
	v_cmp_lt_i16_e32 vcc_lo, 43, v4
	;; [unrolled: 3-line block ×3, first 2 shown]
	s_cbranch_vccz .LBB272_782
; %bb.774:
	v_cmp_eq_u16_e32 vcc_lo, 46, v4
	s_cbranch_vccz .LBB272_785
; %bb.775:
	global_load_b32 v6, v[0:1], off
	s_mov_b32 s0, 0
	s_mov_b32 s20, -1
	s_branch .LBB272_787
.LBB272_776:
	s_mov_b32 s22, -1
	s_mov_b32 s19, 0
	s_mov_b32 s0, s17
                                        ; implicit-def: $vgpr6
	s_branch .LBB272_850
.LBB272_777:
	s_mov_b32 s21, -1
	s_mov_b32 s0, s17
                                        ; implicit-def: $vgpr6
	s_branch .LBB272_816
.LBB272_778:
	s_mov_b32 s21, -1
	s_mov_b32 s0, s17
                                        ; implicit-def: $vgpr6
	s_branch .LBB272_797
.LBB272_779:
	s_mov_b32 s21, -1
	s_mov_b32 s0, s17
                                        ; implicit-def: $vgpr6
	s_branch .LBB272_792
.LBB272_780:
	s_or_saveexec_b32 s20, s20
                                        ; implicit-def: $sgpr21
	s_delay_alu instid0(SALU_CYCLE_1)
	s_xor_b32 exec_lo, exec_lo, s20
	s_cbranch_execz .LBB272_716
.LBB272_781:
	v_add_f32_e64 v8, 0x46000000, |v9|
	s_and_not1_b32 s19, s19, exec_lo
	s_mov_b32 s21, 0
	s_delay_alu instid0(VALU_DEP_1) | instskip(NEXT) | instid1(VALU_DEP_1)
	v_and_b32_e32 v8, 0xff, v8
	v_cmp_ne_u32_e32 vcc_lo, 0, v8
	s_and_b32 s22, vcc_lo, exec_lo
	s_delay_alu instid0(SALU_CYCLE_1)
	s_or_b32 s19, s19, s22
	s_or_b32 exec_lo, exec_lo, s20
	v_mov_b32_e32 v10, s21
	s_and_saveexec_b32 s20, s19
	s_cbranch_execnz .LBB272_717
	s_branch .LBB272_718
.LBB272_782:
	s_mov_b32 s21, -1
	s_mov_b32 s0, s17
	s_branch .LBB272_786
.LBB272_783:
	s_or_saveexec_b32 s20, s20
                                        ; implicit-def: $sgpr21
	s_delay_alu instid0(SALU_CYCLE_1)
	s_xor_b32 exec_lo, exec_lo, s20
	s_cbranch_execz .LBB272_729
.LBB272_784:
	v_add_f32_e64 v8, 0x42800000, |v9|
	s_and_not1_b32 s19, s19, exec_lo
	s_mov_b32 s21, 0
	s_delay_alu instid0(VALU_DEP_1) | instskip(NEXT) | instid1(VALU_DEP_1)
	v_and_b32_e32 v8, 0xff, v8
	v_cmp_ne_u32_e32 vcc_lo, 0, v8
	s_and_b32 s22, vcc_lo, exec_lo
	s_delay_alu instid0(SALU_CYCLE_1)
	s_or_b32 s19, s19, s22
	s_or_b32 exec_lo, exec_lo, s20
	v_mov_b32_e32 v10, s21
	s_and_saveexec_b32 s20, s19
	s_cbranch_execnz .LBB272_730
	s_branch .LBB272_731
.LBB272_785:
	s_mov_b32 s0, -1
.LBB272_786:
                                        ; implicit-def: $vgpr6
.LBB272_787:
	s_and_b32 vcc_lo, exec_lo, s21
	s_cbranch_vccz .LBB272_791
; %bb.788:
	v_cmp_eq_u16_e32 vcc_lo, 44, v4
	s_cbranch_vccz .LBB272_790
; %bb.789:
	global_load_u8 v5, v[0:1], off
	s_mov_b32 s0, 0
	s_mov_b32 s20, -1
	s_waitcnt vmcnt(0)
	v_lshlrev_b32_e32 v6, 23, v5
	v_cmp_ne_u32_e32 vcc_lo, 0xff, v5
	s_delay_alu instid0(VALU_DEP_2) | instskip(SKIP_1) | instid1(VALU_DEP_2)
	v_cndmask_b32_e32 v6, 0x7f800001, v6, vcc_lo
	v_cmp_ne_u32_e32 vcc_lo, 0, v5
	v_cndmask_b32_e32 v5, 0x400000, v6, vcc_lo
	s_delay_alu instid0(VALU_DEP_1) | instskip(SKIP_1) | instid1(VALU_DEP_2)
	v_add_nc_u32_e32 v6, 0x7fff, v5
	v_cmp_o_f32_e32 vcc_lo, v5, v5
	v_lshrrev_b32_e32 v6, 16, v6
	s_delay_alu instid0(VALU_DEP_1)
	v_cndmask_b32_e32 v6, 0x7fc0, v6, vcc_lo
	s_branch .LBB272_791
.LBB272_790:
	s_mov_b32 s0, -1
                                        ; implicit-def: $vgpr6
.LBB272_791:
	s_mov_b32 s21, 0
.LBB272_792:
	s_delay_alu instid0(SALU_CYCLE_1)
	s_and_b32 vcc_lo, exec_lo, s21
	s_cbranch_vccz .LBB272_796
; %bb.793:
	v_cmp_eq_u16_e32 vcc_lo, 29, v4
	s_cbranch_vccz .LBB272_795
; %bb.794:
	global_load_b64 v[5:6], v[0:1], off
	s_mov_b32 s0, 0
	s_mov_b32 s20, -1
	s_mov_b32 s21, 0
	s_waitcnt vmcnt(0)
	v_clz_i32_u32_e32 v7, v6
	s_delay_alu instid0(VALU_DEP_1) | instskip(NEXT) | instid1(VALU_DEP_1)
	v_min_u32_e32 v7, 32, v7
	v_lshlrev_b64 v[5:6], v7, v[5:6]
	s_delay_alu instid0(VALU_DEP_1) | instskip(NEXT) | instid1(VALU_DEP_1)
	v_min_u32_e32 v5, 1, v5
	v_or_b32_e32 v5, v6, v5
	v_sub_nc_u32_e32 v6, 32, v7
	s_delay_alu instid0(VALU_DEP_2) | instskip(NEXT) | instid1(VALU_DEP_1)
	v_cvt_f32_u32_e32 v5, v5
	v_ldexp_f32 v5, v5, v6
	s_delay_alu instid0(VALU_DEP_1) | instskip(NEXT) | instid1(VALU_DEP_1)
	v_bfe_u32 v6, v5, 16, 1
	v_add3_u32 v5, v5, v6, 0x7fff
	s_delay_alu instid0(VALU_DEP_1)
	v_lshrrev_b32_e32 v6, 16, v5
	s_branch .LBB272_797
.LBB272_795:
	s_mov_b32 s0, -1
                                        ; implicit-def: $vgpr6
.LBB272_796:
	s_mov_b32 s21, 0
.LBB272_797:
	s_delay_alu instid0(SALU_CYCLE_1)
	s_and_b32 vcc_lo, exec_lo, s21
	s_cbranch_vccz .LBB272_815
; %bb.798:
	v_cmp_gt_i16_e32 vcc_lo, 27, v4
	s_cbranch_vccnz .LBB272_801
; %bb.799:
	v_cmp_lt_i16_e32 vcc_lo, 27, v4
	s_cbranch_vccz .LBB272_802
; %bb.800:
	global_load_b32 v5, v[0:1], off
	s_mov_b32 s20, 0
	s_waitcnt vmcnt(0)
	v_cvt_f32_u32_e32 v5, v5
	s_delay_alu instid0(VALU_DEP_1) | instskip(NEXT) | instid1(VALU_DEP_1)
	v_bfe_u32 v6, v5, 16, 1
	v_add3_u32 v5, v5, v6, 0x7fff
	s_delay_alu instid0(VALU_DEP_1)
	v_lshrrev_b32_e32 v6, 16, v5
	s_branch .LBB272_803
.LBB272_801:
	s_mov_b32 s20, -1
                                        ; implicit-def: $vgpr6
	s_branch .LBB272_806
.LBB272_802:
	s_mov_b32 s20, -1
                                        ; implicit-def: $vgpr6
.LBB272_803:
	s_delay_alu instid0(SALU_CYCLE_1)
	s_and_not1_b32 vcc_lo, exec_lo, s20
	s_cbranch_vccnz .LBB272_805
; %bb.804:
	global_load_u16 v5, v[0:1], off
	s_waitcnt vmcnt(0)
	v_cvt_f32_u32_e32 v5, v5
	s_delay_alu instid0(VALU_DEP_1) | instskip(NEXT) | instid1(VALU_DEP_1)
	v_bfe_u32 v6, v5, 16, 1
	v_add3_u32 v5, v5, v6, 0x7fff
	s_delay_alu instid0(VALU_DEP_1)
	v_lshrrev_b32_e32 v6, 16, v5
.LBB272_805:
	s_mov_b32 s20, 0
.LBB272_806:
	s_delay_alu instid0(SALU_CYCLE_1)
	s_and_not1_b32 vcc_lo, exec_lo, s20
	s_cbranch_vccnz .LBB272_814
; %bb.807:
	global_load_u8 v5, v[0:1], off
	s_mov_b32 s20, 0
	s_mov_b32 s22, exec_lo
                                        ; implicit-def: $sgpr21
	s_waitcnt vmcnt(0)
	v_cmpx_lt_i16_e32 0x7f, v5
	s_xor_b32 s22, exec_lo, s22
	s_cbranch_execz .LBB272_828
; %bb.808:
	s_mov_b32 s20, -1
	s_mov_b32 s23, exec_lo
                                        ; implicit-def: $sgpr21
	v_cmpx_eq_u16_e32 0x80, v5
; %bb.809:
	s_mov_b32 s21, 0x7f800001
	s_xor_b32 s20, exec_lo, -1
; %bb.810:
	s_or_b32 exec_lo, exec_lo, s23
	s_delay_alu instid0(SALU_CYCLE_1)
	s_and_b32 s20, s20, exec_lo
	s_or_saveexec_b32 s22, s22
	v_mov_b32_e32 v6, s21
	s_xor_b32 exec_lo, exec_lo, s22
	s_cbranch_execnz .LBB272_829
.LBB272_811:
	s_or_b32 exec_lo, exec_lo, s22
	s_and_saveexec_b32 s21, s20
	s_cbranch_execz .LBB272_813
.LBB272_812:
	v_and_b32_e32 v6, 0xffff, v5
	v_lshlrev_b32_e32 v5, 24, v5
	s_delay_alu instid0(VALU_DEP_2) | instskip(NEXT) | instid1(VALU_DEP_2)
	v_and_b32_e32 v7, 7, v6
	v_and_b32_e32 v5, 0x80000000, v5
	s_delay_alu instid0(VALU_DEP_2) | instskip(NEXT) | instid1(VALU_DEP_1)
	v_clz_i32_u32_e32 v8, v7
	v_min_u32_e32 v8, 32, v8
	s_delay_alu instid0(VALU_DEP_1) | instskip(SKIP_1) | instid1(VALU_DEP_2)
	v_subrev_nc_u32_e32 v9, 28, v8
	v_sub_nc_u32_e32 v8, 29, v8
	v_lshlrev_b32_e32 v9, v9, v6
	v_bfe_u32 v6, v6, 3, 4
	s_delay_alu instid0(VALU_DEP_2) | instskip(NEXT) | instid1(VALU_DEP_2)
	v_and_b32_e32 v9, 7, v9
	v_cmp_eq_u32_e32 vcc_lo, 0, v6
	s_delay_alu instid0(VALU_DEP_2) | instskip(NEXT) | instid1(VALU_DEP_1)
	v_dual_cndmask_b32 v6, v6, v8 :: v_dual_cndmask_b32 v7, v7, v9
	v_lshl_add_u32 v6, v6, 23, 0x3b800000
	s_delay_alu instid0(VALU_DEP_2) | instskip(NEXT) | instid1(VALU_DEP_1)
	v_lshlrev_b32_e32 v7, 20, v7
	v_or3_b32 v6, v5, v6, v7
.LBB272_813:
	s_or_b32 exec_lo, exec_lo, s21
	s_delay_alu instid0(VALU_DEP_1) | instskip(SKIP_1) | instid1(VALU_DEP_2)
	v_bfe_u32 v5, v6, 16, 1
	v_cmp_o_f32_e32 vcc_lo, v6, v6
	v_add3_u32 v5, v6, v5, 0x7fff
	s_delay_alu instid0(VALU_DEP_1) | instskip(NEXT) | instid1(VALU_DEP_1)
	v_lshrrev_b32_e32 v5, 16, v5
	v_cndmask_b32_e32 v6, 0x7fc0, v5, vcc_lo
.LBB272_814:
	s_mov_b32 s20, -1
.LBB272_815:
	s_mov_b32 s21, 0
.LBB272_816:
	s_delay_alu instid0(SALU_CYCLE_1)
	s_and_b32 vcc_lo, exec_lo, s21
	s_cbranch_vccz .LBB272_849
; %bb.817:
	v_cmp_lt_i16_e32 vcc_lo, 22, v4
	s_cbranch_vccz .LBB272_827
; %bb.818:
	v_cmp_gt_i16_e32 vcc_lo, 24, v4
	s_cbranch_vccnz .LBB272_830
; %bb.819:
	v_cmp_lt_i16_e32 vcc_lo, 24, v4
	s_cbranch_vccz .LBB272_831
; %bb.820:
	global_load_u8 v5, v[0:1], off
	s_mov_b32 s21, exec_lo
                                        ; implicit-def: $sgpr20
	s_waitcnt vmcnt(0)
	v_cmpx_lt_i16_e32 0x7f, v5
	s_xor_b32 s21, exec_lo, s21
	s_cbranch_execz .LBB272_843
; %bb.821:
	s_mov_b32 s19, -1
	s_mov_b32 s22, exec_lo
                                        ; implicit-def: $sgpr20
	v_cmpx_eq_u16_e32 0x80, v5
; %bb.822:
	s_mov_b32 s20, 0x7f800001
	s_xor_b32 s19, exec_lo, -1
; %bb.823:
	s_or_b32 exec_lo, exec_lo, s22
	s_delay_alu instid0(SALU_CYCLE_1)
	s_and_b32 s19, s19, exec_lo
	s_or_saveexec_b32 s21, s21
	v_mov_b32_e32 v6, s20
	s_xor_b32 exec_lo, exec_lo, s21
	s_cbranch_execnz .LBB272_844
.LBB272_824:
	s_or_b32 exec_lo, exec_lo, s21
	s_and_saveexec_b32 s20, s19
	s_cbranch_execz .LBB272_826
.LBB272_825:
	v_and_b32_e32 v6, 0xffff, v5
	v_lshlrev_b32_e32 v5, 24, v5
	s_delay_alu instid0(VALU_DEP_2) | instskip(NEXT) | instid1(VALU_DEP_2)
	v_and_b32_e32 v7, 3, v6
	v_and_b32_e32 v5, 0x80000000, v5
	s_delay_alu instid0(VALU_DEP_2) | instskip(NEXT) | instid1(VALU_DEP_1)
	v_clz_i32_u32_e32 v8, v7
	v_min_u32_e32 v8, 32, v8
	s_delay_alu instid0(VALU_DEP_1) | instskip(SKIP_1) | instid1(VALU_DEP_2)
	v_subrev_nc_u32_e32 v9, 29, v8
	v_sub_nc_u32_e32 v8, 30, v8
	v_lshlrev_b32_e32 v9, v9, v6
	v_bfe_u32 v6, v6, 2, 5
	s_delay_alu instid0(VALU_DEP_2) | instskip(NEXT) | instid1(VALU_DEP_2)
	v_and_b32_e32 v9, 3, v9
	v_cmp_eq_u32_e32 vcc_lo, 0, v6
	s_delay_alu instid0(VALU_DEP_2) | instskip(NEXT) | instid1(VALU_DEP_1)
	v_dual_cndmask_b32 v6, v6, v8 :: v_dual_cndmask_b32 v7, v7, v9
	v_lshl_add_u32 v6, v6, 23, 0x37800000
	s_delay_alu instid0(VALU_DEP_2) | instskip(NEXT) | instid1(VALU_DEP_1)
	v_lshlrev_b32_e32 v7, 21, v7
	v_or3_b32 v6, v5, v6, v7
.LBB272_826:
	s_or_b32 exec_lo, exec_lo, s20
	s_delay_alu instid0(VALU_DEP_1) | instskip(SKIP_2) | instid1(VALU_DEP_2)
	v_bfe_u32 v5, v6, 16, 1
	v_cmp_o_f32_e32 vcc_lo, v6, v6
	s_mov_b32 s19, 0
	v_add3_u32 v5, v6, v5, 0x7fff
	s_delay_alu instid0(VALU_DEP_1) | instskip(NEXT) | instid1(VALU_DEP_1)
	v_lshrrev_b32_e32 v5, 16, v5
	v_cndmask_b32_e32 v6, 0x7fc0, v5, vcc_lo
	s_branch .LBB272_832
.LBB272_827:
	s_mov_b32 s19, -1
                                        ; implicit-def: $vgpr6
	s_branch .LBB272_838
.LBB272_828:
	s_or_saveexec_b32 s22, s22
	v_mov_b32_e32 v6, s21
	s_xor_b32 exec_lo, exec_lo, s22
	s_cbranch_execz .LBB272_811
.LBB272_829:
	v_cmp_ne_u16_e32 vcc_lo, 0, v5
	v_mov_b32_e32 v6, 0
	s_and_not1_b32 s20, s20, exec_lo
	s_and_b32 s21, vcc_lo, exec_lo
	s_delay_alu instid0(SALU_CYCLE_1)
	s_or_b32 s20, s20, s21
	s_or_b32 exec_lo, exec_lo, s22
	s_and_saveexec_b32 s21, s20
	s_cbranch_execnz .LBB272_812
	s_branch .LBB272_813
.LBB272_830:
	s_mov_b32 s19, -1
                                        ; implicit-def: $vgpr6
	s_branch .LBB272_835
.LBB272_831:
	s_mov_b32 s19, -1
                                        ; implicit-def: $vgpr6
.LBB272_832:
	s_delay_alu instid0(SALU_CYCLE_1)
	s_and_b32 vcc_lo, exec_lo, s19
	s_cbranch_vccz .LBB272_834
; %bb.833:
	global_load_u8 v5, v[0:1], off
	s_waitcnt vmcnt(0)
	v_lshlrev_b32_e32 v5, 24, v5
	s_delay_alu instid0(VALU_DEP_1) | instskip(NEXT) | instid1(VALU_DEP_1)
	v_and_b32_e32 v6, 0x7f000000, v5
	v_clz_i32_u32_e32 v7, v6
	v_add_nc_u32_e32 v9, 0x1000000, v6
	v_cmp_ne_u32_e32 vcc_lo, 0, v6
	s_delay_alu instid0(VALU_DEP_3) | instskip(NEXT) | instid1(VALU_DEP_1)
	v_min_u32_e32 v7, 32, v7
	v_sub_nc_u32_e64 v7, v7, 4 clamp
	s_delay_alu instid0(VALU_DEP_1) | instskip(SKIP_1) | instid1(VALU_DEP_2)
	v_lshlrev_b32_e32 v8, v7, v6
	v_lshlrev_b32_e32 v7, 23, v7
	v_lshrrev_b32_e32 v8, 4, v8
	s_delay_alu instid0(VALU_DEP_1) | instskip(SKIP_1) | instid1(VALU_DEP_2)
	v_sub_nc_u32_e32 v7, v8, v7
	v_ashrrev_i32_e32 v8, 8, v9
	v_add_nc_u32_e32 v7, 0x3c000000, v7
	s_delay_alu instid0(VALU_DEP_1) | instskip(NEXT) | instid1(VALU_DEP_1)
	v_and_or_b32 v7, 0x7f800000, v8, v7
	v_cndmask_b32_e32 v6, 0, v7, vcc_lo
	s_delay_alu instid0(VALU_DEP_1) | instskip(SKIP_1) | instid1(VALU_DEP_2)
	v_and_or_b32 v5, 0x80000000, v5, v6
	v_bfe_u32 v6, v6, 16, 1
	v_cmp_o_f32_e32 vcc_lo, v5, v5
	s_delay_alu instid0(VALU_DEP_2) | instskip(NEXT) | instid1(VALU_DEP_1)
	v_add3_u32 v6, v5, v6, 0x7fff
	v_lshrrev_b32_e32 v6, 16, v6
	s_delay_alu instid0(VALU_DEP_1)
	v_cndmask_b32_e32 v6, 0x7fc0, v6, vcc_lo
.LBB272_834:
	s_mov_b32 s19, 0
.LBB272_835:
	s_delay_alu instid0(SALU_CYCLE_1)
	s_and_not1_b32 vcc_lo, exec_lo, s19
	s_cbranch_vccnz .LBB272_837
; %bb.836:
	global_load_u8 v5, v[0:1], off
	s_waitcnt vmcnt(0)
	v_lshlrev_b32_e32 v6, 25, v5
	v_lshlrev_b16 v5, 8, v5
	s_delay_alu instid0(VALU_DEP_2) | instskip(NEXT) | instid1(VALU_DEP_2)
	v_lshrrev_b32_e32 v7, 4, v6
	v_and_or_b32 v8, 0x7f00, v5, 0.5
	v_bfe_i32 v5, v5, 0, 16
	s_delay_alu instid0(VALU_DEP_3) | instskip(NEXT) | instid1(VALU_DEP_1)
	v_or_b32_e32 v7, 0x70000000, v7
	v_dual_add_f32 v8, -0.5, v8 :: v_dual_mul_f32 v7, 0x7800000, v7
	v_cmp_gt_u32_e32 vcc_lo, 0x8000000, v6
	s_delay_alu instid0(VALU_DEP_2) | instskip(NEXT) | instid1(VALU_DEP_1)
	v_cndmask_b32_e32 v6, v7, v8, vcc_lo
	v_and_or_b32 v5, 0x80000000, v5, v6
	v_bfe_u32 v6, v6, 16, 1
	s_delay_alu instid0(VALU_DEP_2) | instskip(NEXT) | instid1(VALU_DEP_2)
	v_cmp_o_f32_e32 vcc_lo, v5, v5
	v_add3_u32 v6, v5, v6, 0x7fff
	s_delay_alu instid0(VALU_DEP_1) | instskip(NEXT) | instid1(VALU_DEP_1)
	v_lshrrev_b32_e32 v6, 16, v6
	v_cndmask_b32_e32 v6, 0x7fc0, v6, vcc_lo
.LBB272_837:
	s_mov_b32 s19, 0
	s_mov_b32 s20, -1
.LBB272_838:
	s_and_not1_b32 vcc_lo, exec_lo, s19
	s_mov_b32 s19, 0
	s_cbranch_vccnz .LBB272_849
; %bb.839:
	v_cmp_lt_i16_e32 vcc_lo, 14, v4
	s_cbranch_vccz .LBB272_842
; %bb.840:
	v_cmp_eq_u16_e32 vcc_lo, 15, v4
	s_cbranch_vccz .LBB272_845
; %bb.841:
	global_load_u16 v6, v[0:1], off
	s_mov_b32 s0, 0
	s_mov_b32 s20, -1
	s_branch .LBB272_847
.LBB272_842:
	s_mov_b32 s19, -1
	s_branch .LBB272_846
.LBB272_843:
	s_or_saveexec_b32 s21, s21
	v_mov_b32_e32 v6, s20
	s_xor_b32 exec_lo, exec_lo, s21
	s_cbranch_execz .LBB272_824
.LBB272_844:
	v_cmp_ne_u16_e32 vcc_lo, 0, v5
	v_mov_b32_e32 v6, 0
	s_and_not1_b32 s19, s19, exec_lo
	s_and_b32 s20, vcc_lo, exec_lo
	s_delay_alu instid0(SALU_CYCLE_1)
	s_or_b32 s19, s19, s20
	s_or_b32 exec_lo, exec_lo, s21
	s_and_saveexec_b32 s20, s19
	s_cbranch_execnz .LBB272_825
	s_branch .LBB272_826
.LBB272_845:
	s_mov_b32 s0, -1
.LBB272_846:
                                        ; implicit-def: $vgpr6
.LBB272_847:
	s_and_b32 vcc_lo, exec_lo, s19
	s_mov_b32 s19, 0
	s_cbranch_vccz .LBB272_849
; %bb.848:
	v_cmp_ne_u16_e32 vcc_lo, 11, v4
	s_and_not1_b32 s0, s0, exec_lo
	s_mov_b32 s19, -1
                                        ; implicit-def: $vgpr6
	s_and_b32 s21, vcc_lo, exec_lo
	s_delay_alu instid0(SALU_CYCLE_1)
	s_or_b32 s0, s0, s21
.LBB272_849:
	s_mov_b32 s22, 0
.LBB272_850:
	s_and_b32 s21, s20, exec_lo
	s_and_b32 s20, s22, exec_lo
	s_and_not1_b32 s22, s17, exec_lo
	s_and_b32 s23, s0, exec_lo
	s_and_b32 s0, s19, exec_lo
	s_or_b32 s19, s22, s23
.LBB272_851:
	s_or_b32 exec_lo, exec_lo, s10
	s_delay_alu instid0(SALU_CYCLE_1)
	s_and_not1_b32 s10, s17, exec_lo
	s_and_b32 s17, s19, exec_lo
	s_and_b32 s21, s21, exec_lo
	;; [unrolled: 1-line block ×4, first 2 shown]
	s_or_b32 s17, s10, s17
.LBB272_852:
	s_or_b32 exec_lo, exec_lo, s16
	s_delay_alu instid0(SALU_CYCLE_1)
	s_and_not1_b32 s0, s14, exec_lo
	s_and_b32 s10, s18, exec_lo
	s_and_b32 s18, s20, exec_lo
	s_or_b32 s14, s0, s10
	s_and_not1_b32 s10, s13, exec_lo
	s_and_b32 s13, s17, exec_lo
	s_and_b32 s0, s21, exec_lo
	;; [unrolled: 1-line block ×3, first 2 shown]
	s_or_b32 s13, s10, s13
.LBB272_853:
	s_or_b32 exec_lo, exec_lo, s15
	s_delay_alu instid0(SALU_CYCLE_1)
	s_and_not1_b32 s9, s9, exec_lo
	s_and_b32 s10, s14, exec_lo
	s_and_b32 s0, s0, exec_lo
	s_or_b32 s9, s9, s10
	s_and_not1_b32 s10, s11, exec_lo
	s_and_b32 s11, s13, exec_lo
	s_and_b32 s14, s18, exec_lo
	;; [unrolled: 1-line block ×3, first 2 shown]
	s_or_b32 s11, s10, s11
.LBB272_854:
	s_or_b32 exec_lo, exec_lo, s12
	s_mov_b32 s10, 0
	s_and_saveexec_b32 s12, s11
	s_cbranch_execnz .LBB272_866
; %bb.855:
	s_or_b32 exec_lo, exec_lo, s12
	s_and_saveexec_b32 s11, s13
	s_delay_alu instid0(SALU_CYCLE_1)
	s_xor_b32 s11, exec_lo, s11
	s_cbranch_execz .LBB272_857
.LBB272_856:
	global_load_u8 v5, v[0:1], off
	s_or_b32 s0, s0, exec_lo
	s_waitcnt vmcnt(0)
	v_cmp_ne_u16_e32 vcc_lo, 0, v5
	v_cndmask_b32_e64 v5, 0, 1.0, vcc_lo
	s_delay_alu instid0(VALU_DEP_1)
	v_lshrrev_b32_e32 v6, 16, v5
.LBB272_857:
	s_or_b32 exec_lo, exec_lo, s11
	s_and_saveexec_b32 s11, s14
	s_cbranch_execz .LBB272_905
; %bb.858:
	v_cmp_gt_i16_e32 vcc_lo, 5, v4
	s_cbranch_vccnz .LBB272_863
; %bb.859:
	v_cmp_gt_i16_e32 vcc_lo, 8, v4
	s_cbranch_vccnz .LBB272_864
	;; [unrolled: 3-line block ×3, first 2 shown]
; %bb.861:
	v_cmp_lt_i16_e32 vcc_lo, 9, v4
	s_cbranch_vccz .LBB272_868
; %bb.862:
	global_load_b64 v[5:6], v[0:1], off
	s_mov_b32 s12, 0
	s_waitcnt vmcnt(0)
	v_cvt_f32_f64_e32 v5, v[5:6]
	s_delay_alu instid0(VALU_DEP_1) | instskip(SKIP_1) | instid1(VALU_DEP_2)
	v_bfe_u32 v6, v5, 16, 1
	v_cmp_o_f32_e32 vcc_lo, v5, v5
	v_add3_u32 v6, v5, v6, 0x7fff
	s_delay_alu instid0(VALU_DEP_1) | instskip(NEXT) | instid1(VALU_DEP_1)
	v_lshrrev_b32_e32 v6, 16, v6
	v_cndmask_b32_e32 v6, 0x7fc0, v6, vcc_lo
	s_branch .LBB272_869
.LBB272_863:
                                        ; implicit-def: $vgpr6
	s_branch .LBB272_886
.LBB272_864:
                                        ; implicit-def: $vgpr6
	s_branch .LBB272_875
.LBB272_865:
	s_mov_b32 s12, -1
                                        ; implicit-def: $vgpr6
	s_branch .LBB272_872
.LBB272_866:
	s_cbranch_execnz .LBB272_1084
; %bb.867:
	s_mov_b32 s10, exec_lo
	s_and_not1_b32 s13, s13, exec_lo
                                        ; implicit-def: $vgpr6
	s_or_b32 exec_lo, exec_lo, s12
	s_and_saveexec_b32 s11, s13
	s_delay_alu instid0(SALU_CYCLE_1)
	s_xor_b32 s11, exec_lo, s11
	s_cbranch_execnz .LBB272_856
	s_branch .LBB272_857
.LBB272_868:
	s_mov_b32 s12, -1
                                        ; implicit-def: $vgpr6
.LBB272_869:
	s_delay_alu instid0(SALU_CYCLE_1)
	s_and_not1_b32 vcc_lo, exec_lo, s12
	s_cbranch_vccnz .LBB272_871
; %bb.870:
	global_load_b32 v5, v[0:1], off
	s_waitcnt vmcnt(0)
	v_bfe_u32 v6, v5, 16, 1
	v_cmp_o_f32_e32 vcc_lo, v5, v5
	s_delay_alu instid0(VALU_DEP_2) | instskip(NEXT) | instid1(VALU_DEP_1)
	v_add3_u32 v6, v5, v6, 0x7fff
	v_lshrrev_b32_e32 v6, 16, v6
	s_delay_alu instid0(VALU_DEP_1)
	v_cndmask_b32_e32 v6, 0x7fc0, v6, vcc_lo
.LBB272_871:
	s_mov_b32 s12, 0
.LBB272_872:
	s_delay_alu instid0(SALU_CYCLE_1)
	s_and_not1_b32 vcc_lo, exec_lo, s12
	s_cbranch_vccnz .LBB272_874
; %bb.873:
	global_load_b32 v5, v[0:1], off
	s_waitcnt vmcnt(0)
	v_cvt_f32_f16_e32 v6, v5
	v_cmp_o_f16_e32 vcc_lo, v5, v5
	s_delay_alu instid0(VALU_DEP_2) | instskip(NEXT) | instid1(VALU_DEP_1)
	v_bfe_u32 v7, v6, 16, 1
	v_add3_u32 v6, v6, v7, 0x7fff
	s_delay_alu instid0(VALU_DEP_1) | instskip(NEXT) | instid1(VALU_DEP_1)
	v_lshrrev_b32_e32 v6, 16, v6
	v_cndmask_b32_e32 v6, 0x7fc0, v6, vcc_lo
.LBB272_874:
	s_cbranch_execnz .LBB272_885
.LBB272_875:
	v_cmp_gt_i16_e32 vcc_lo, 6, v4
	s_cbranch_vccnz .LBB272_878
; %bb.876:
	v_cmp_lt_i16_e32 vcc_lo, 6, v4
	s_cbranch_vccz .LBB272_879
; %bb.877:
	global_load_b64 v[5:6], v[0:1], off
	s_mov_b32 s12, 0
	s_waitcnt vmcnt(0)
	v_cvt_f32_f64_e32 v5, v[5:6]
	s_delay_alu instid0(VALU_DEP_1) | instskip(SKIP_1) | instid1(VALU_DEP_2)
	v_bfe_u32 v6, v5, 16, 1
	v_cmp_o_f32_e32 vcc_lo, v5, v5
	v_add3_u32 v6, v5, v6, 0x7fff
	s_delay_alu instid0(VALU_DEP_1) | instskip(NEXT) | instid1(VALU_DEP_1)
	v_lshrrev_b32_e32 v6, 16, v6
	v_cndmask_b32_e32 v6, 0x7fc0, v6, vcc_lo
	s_branch .LBB272_880
.LBB272_878:
	s_mov_b32 s12, -1
                                        ; implicit-def: $vgpr6
	s_branch .LBB272_883
.LBB272_879:
	s_mov_b32 s12, -1
                                        ; implicit-def: $vgpr6
.LBB272_880:
	s_delay_alu instid0(SALU_CYCLE_1)
	s_and_not1_b32 vcc_lo, exec_lo, s12
	s_cbranch_vccnz .LBB272_882
; %bb.881:
	global_load_b32 v5, v[0:1], off
	s_waitcnt vmcnt(0)
	v_bfe_u32 v6, v5, 16, 1
	v_cmp_o_f32_e32 vcc_lo, v5, v5
	s_delay_alu instid0(VALU_DEP_2) | instskip(NEXT) | instid1(VALU_DEP_1)
	v_add3_u32 v6, v5, v6, 0x7fff
	v_lshrrev_b32_e32 v6, 16, v6
	s_delay_alu instid0(VALU_DEP_1)
	v_cndmask_b32_e32 v6, 0x7fc0, v6, vcc_lo
.LBB272_882:
	s_mov_b32 s12, 0
.LBB272_883:
	s_delay_alu instid0(SALU_CYCLE_1)
	s_and_not1_b32 vcc_lo, exec_lo, s12
	s_cbranch_vccnz .LBB272_885
; %bb.884:
	global_load_u16 v5, v[0:1], off
	s_waitcnt vmcnt(0)
	v_cvt_f32_f16_e32 v6, v5
	v_cmp_o_f16_e32 vcc_lo, v5, v5
	s_delay_alu instid0(VALU_DEP_2) | instskip(NEXT) | instid1(VALU_DEP_1)
	v_bfe_u32 v7, v6, 16, 1
	v_add3_u32 v6, v6, v7, 0x7fff
	s_delay_alu instid0(VALU_DEP_1) | instskip(NEXT) | instid1(VALU_DEP_1)
	v_lshrrev_b32_e32 v6, 16, v6
	v_cndmask_b32_e32 v6, 0x7fc0, v6, vcc_lo
.LBB272_885:
	s_cbranch_execnz .LBB272_904
.LBB272_886:
	v_cmp_gt_i16_e32 vcc_lo, 2, v4
	s_cbranch_vccnz .LBB272_890
; %bb.887:
	v_cmp_gt_i16_e32 vcc_lo, 3, v4
	s_cbranch_vccnz .LBB272_891
; %bb.888:
	v_cmp_lt_i16_e32 vcc_lo, 3, v4
	s_cbranch_vccz .LBB272_892
; %bb.889:
	global_load_b64 v[5:6], v[0:1], off
	s_mov_b32 s12, 0
	s_waitcnt vmcnt(0)
	v_xor_b32_e32 v7, v5, v6
	v_cls_i32_e32 v8, v6
	s_delay_alu instid0(VALU_DEP_2) | instskip(NEXT) | instid1(VALU_DEP_2)
	v_ashrrev_i32_e32 v7, 31, v7
	v_add_nc_u32_e32 v8, -1, v8
	s_delay_alu instid0(VALU_DEP_2) | instskip(NEXT) | instid1(VALU_DEP_1)
	v_add_nc_u32_e32 v7, 32, v7
	v_min_u32_e32 v7, v8, v7
	s_delay_alu instid0(VALU_DEP_1) | instskip(NEXT) | instid1(VALU_DEP_1)
	v_lshlrev_b64 v[5:6], v7, v[5:6]
	v_min_u32_e32 v5, 1, v5
	s_delay_alu instid0(VALU_DEP_1) | instskip(SKIP_1) | instid1(VALU_DEP_2)
	v_or_b32_e32 v5, v6, v5
	v_sub_nc_u32_e32 v6, 32, v7
	v_cvt_f32_i32_e32 v5, v5
	s_delay_alu instid0(VALU_DEP_1) | instskip(NEXT) | instid1(VALU_DEP_1)
	v_ldexp_f32 v5, v5, v6
	v_bfe_u32 v6, v5, 16, 1
	s_delay_alu instid0(VALU_DEP_1) | instskip(NEXT) | instid1(VALU_DEP_1)
	v_add3_u32 v5, v5, v6, 0x7fff
	v_lshrrev_b32_e32 v6, 16, v5
	s_branch .LBB272_893
.LBB272_890:
                                        ; implicit-def: $vgpr6
	s_branch .LBB272_899
.LBB272_891:
	s_mov_b32 s12, -1
                                        ; implicit-def: $vgpr6
	s_branch .LBB272_896
.LBB272_892:
	s_mov_b32 s12, -1
                                        ; implicit-def: $vgpr6
.LBB272_893:
	s_delay_alu instid0(SALU_CYCLE_1)
	s_and_not1_b32 vcc_lo, exec_lo, s12
	s_cbranch_vccnz .LBB272_895
; %bb.894:
	global_load_b32 v5, v[0:1], off
	s_waitcnt vmcnt(0)
	v_cvt_f32_i32_e32 v5, v5
	s_delay_alu instid0(VALU_DEP_1) | instskip(NEXT) | instid1(VALU_DEP_1)
	v_bfe_u32 v6, v5, 16, 1
	v_add3_u32 v5, v5, v6, 0x7fff
	s_delay_alu instid0(VALU_DEP_1)
	v_lshrrev_b32_e32 v6, 16, v5
.LBB272_895:
	s_mov_b32 s12, 0
.LBB272_896:
	s_delay_alu instid0(SALU_CYCLE_1)
	s_and_not1_b32 vcc_lo, exec_lo, s12
	s_cbranch_vccnz .LBB272_898
; %bb.897:
	global_load_i16 v5, v[0:1], off
	s_waitcnt vmcnt(0)
	v_cvt_f32_i32_e32 v5, v5
	s_delay_alu instid0(VALU_DEP_1) | instskip(NEXT) | instid1(VALU_DEP_1)
	v_bfe_u32 v6, v5, 16, 1
	v_add3_u32 v5, v5, v6, 0x7fff
	s_delay_alu instid0(VALU_DEP_1)
	v_lshrrev_b32_e32 v6, 16, v5
.LBB272_898:
	s_cbranch_execnz .LBB272_904
.LBB272_899:
	v_cmp_lt_i16_e32 vcc_lo, 0, v4
	s_mov_b32 s12, 0
	s_cbranch_vccz .LBB272_901
; %bb.900:
	global_load_i8 v4, v[0:1], off
	s_waitcnt vmcnt(0)
	v_cvt_f32_i32_e32 v4, v4
	s_delay_alu instid0(VALU_DEP_1) | instskip(NEXT) | instid1(VALU_DEP_1)
	v_bfe_u32 v5, v4, 16, 1
	v_add3_u32 v4, v4, v5, 0x7fff
	s_delay_alu instid0(VALU_DEP_1)
	v_lshrrev_b32_e32 v6, 16, v4
	s_branch .LBB272_902
.LBB272_901:
	s_mov_b32 s12, -1
                                        ; implicit-def: $vgpr6
.LBB272_902:
	s_delay_alu instid0(SALU_CYCLE_1)
	s_and_not1_b32 vcc_lo, exec_lo, s12
	s_cbranch_vccnz .LBB272_904
; %bb.903:
	global_load_u8 v0, v[0:1], off
	s_waitcnt vmcnt(0)
	v_cvt_f32_ubyte0_e32 v0, v0
	s_delay_alu instid0(VALU_DEP_1) | instskip(NEXT) | instid1(VALU_DEP_1)
	v_bfe_u32 v1, v0, 16, 1
	v_add3_u32 v0, v0, v1, 0x7fff
	s_delay_alu instid0(VALU_DEP_1)
	v_lshrrev_b32_e32 v6, 16, v0
.LBB272_904:
	s_or_b32 s0, s0, exec_lo
.LBB272_905:
	s_or_b32 exec_lo, exec_lo, s11
	s_mov_b32 s13, 0
	s_mov_b32 s12, 0
                                        ; implicit-def: $vgpr5
                                        ; implicit-def: $vgpr0_vgpr1
                                        ; implicit-def: $vgpr4
	s_and_saveexec_b32 s11, s0
	s_cbranch_execz .LBB272_982
; %bb.906:
	s_waitcnt vmcnt(0)
	v_lshlrev_b32_e32 v0, 16, v6
	s_mov_b32 s12, -1
	s_delay_alu instid0(VALU_DEP_1) | instskip(SKIP_1) | instid1(VALU_DEP_2)
	v_mul_f32_e32 v1, 0x4f800000, v0
	v_cmp_gt_f32_e32 vcc_lo, 0xf800000, v0
	v_cndmask_b32_e32 v0, v0, v1, vcc_lo
	s_delay_alu instid0(VALU_DEP_1) | instskip(SKIP_3) | instid1(VALU_DEP_2)
	v_sqrt_f32_e32 v1, v0
	s_waitcnt_depctr 0xfff
	v_add_nc_u32_e32 v4, -1, v1
	v_add_nc_u32_e32 v5, 1, v1
	v_fma_f32 v6, -v4, v1, v0
	s_delay_alu instid0(VALU_DEP_2) | instskip(NEXT) | instid1(VALU_DEP_2)
	v_fma_f32 v7, -v5, v1, v0
	v_cmp_ge_f32_e64 s0, 0, v6
	s_delay_alu instid0(VALU_DEP_1) | instskip(NEXT) | instid1(VALU_DEP_3)
	v_cndmask_b32_e64 v1, v1, v4, s0
	v_cmp_lt_f32_e64 s0, 0, v7
	s_delay_alu instid0(VALU_DEP_1) | instskip(SKIP_1) | instid1(VALU_DEP_2)
	v_cndmask_b32_e64 v1, v1, v5, s0
	v_and_b32_e32 v5, 0xff, v2
	v_mul_f32_e32 v4, 0x37800000, v1
	s_delay_alu instid0(VALU_DEP_1) | instskip(SKIP_1) | instid1(VALU_DEP_2)
	v_cndmask_b32_e32 v1, v1, v4, vcc_lo
	v_cmp_class_f32_e64 vcc_lo, v0, 0x260
	v_cndmask_b32_e32 v4, v1, v0, vcc_lo
	v_mul_lo_u32 v1, v3, s2
	v_cmp_gt_i16_e32 vcc_lo, 11, v5
	s_delay_alu instid0(VALU_DEP_3) | instskip(SKIP_1) | instid1(VALU_DEP_3)
	v_bfe_u32 v0, v4, 16, 1
	s_and_b32 vcc_lo, exec_lo, vcc_lo
	v_ashrrev_i32_e32 v2, 31, v1
	s_delay_alu instid0(VALU_DEP_2) | instskip(NEXT) | instid1(VALU_DEP_1)
	v_add3_u32 v0, v4, v0, 0x7fff
	v_lshrrev_b32_e32 v3, 16, v0
	v_add_co_u32 v0, s0, s4, v1
	s_delay_alu instid0(VALU_DEP_1) | instskip(SKIP_1) | instid1(VALU_DEP_1)
	v_add_co_ci_u32_e64 v1, s0, s5, v2, s0
	v_cmp_o_f32_e64 s0, v4, v4
	v_cndmask_b32_e64 v4, 0x7fc0, v3, s0
	s_mov_b32 s0, s9
	s_cbranch_vccnz .LBB272_981
; %bb.907:
	v_cmp_lt_i16_e32 vcc_lo, 25, v5
	s_mov_b32 s0, s9
	s_cbranch_vccz .LBB272_940
; %bb.908:
	v_cmp_lt_i16_e32 vcc_lo, 28, v5
	s_mov_b32 s0, s9
	s_cbranch_vccz .LBB272_924
	;; [unrolled: 4-line block ×4, first 2 shown]
; %bb.911:
	v_cmp_eq_u16_e32 vcc_lo, 46, v5
	s_mov_b32 s0, -1
	s_cbranch_vccz .LBB272_913
; %bb.912:
	v_and_b32_e32 v2, 0xffff, v4
	s_mov_b32 s0, 0
	global_store_b32 v[0:1], v2, off
.LBB272_913:
	s_mov_b32 s12, 0
.LBB272_914:
	s_delay_alu instid0(SALU_CYCLE_1)
	s_and_b32 vcc_lo, exec_lo, s12
	s_cbranch_vccz .LBB272_919
; %bb.915:
	v_cmp_eq_u16_e32 vcc_lo, 44, v5
	s_mov_b32 s0, -1
	s_cbranch_vccz .LBB272_919
; %bb.916:
	v_and_b32_e32 v2, 0xffff, v4
	v_mov_b32_e32 v3, 0xff
	s_mov_b32 s12, exec_lo
	s_delay_alu instid0(VALU_DEP_2) | instskip(NEXT) | instid1(VALU_DEP_1)
	v_bfe_u32 v6, v2, 7, 8
	v_cmpx_ne_u32_e32 0xff, v6
; %bb.917:
	v_lshlrev_b32_e32 v3, 16, v2
	v_and_b32_e32 v7, 64, v2
	v_lshrrev_b32_e32 v2, 7, v2
	s_delay_alu instid0(VALU_DEP_3) | instskip(NEXT) | instid1(VALU_DEP_3)
	v_and_or_b32 v3, 0x3f0000, v3, v6
	v_cmp_ne_u32_e32 vcc_lo, 0, v7
	s_delay_alu instid0(VALU_DEP_2) | instskip(NEXT) | instid1(VALU_DEP_1)
	v_cmp_ne_u32_e64 s0, 0, v3
	s_and_b32 s0, vcc_lo, s0
	s_delay_alu instid0(SALU_CYCLE_1) | instskip(NEXT) | instid1(VALU_DEP_1)
	v_cndmask_b32_e64 v3, 0, 1, s0
	v_add_nc_u32_e32 v3, v2, v3
; %bb.918:
	s_or_b32 exec_lo, exec_lo, s12
	s_mov_b32 s0, 0
	global_store_b8 v[0:1], v3, off
.LBB272_919:
	s_mov_b32 s12, 0
.LBB272_920:
	s_delay_alu instid0(SALU_CYCLE_1)
	s_and_b32 vcc_lo, exec_lo, s12
	s_cbranch_vccz .LBB272_923
; %bb.921:
	v_cmp_eq_u16_e32 vcc_lo, 29, v5
	s_mov_b32 s0, -1
	s_cbranch_vccz .LBB272_923
; %bb.922:
	v_lshlrev_b32_e32 v2, 16, v4
	s_mov_b32 s0, 0
	s_delay_alu instid0(VALU_DEP_1) | instskip(NEXT) | instid1(VALU_DEP_1)
	v_trunc_f32_e32 v2, v2
	v_mul_f32_e32 v3, 0x2f800000, v2
	s_delay_alu instid0(VALU_DEP_1) | instskip(NEXT) | instid1(VALU_DEP_1)
	v_floor_f32_e32 v3, v3
	v_fmamk_f32 v2, v3, 0xcf800000, v2
	v_cvt_u32_f32_e32 v3, v3
	s_delay_alu instid0(VALU_DEP_2)
	v_cvt_u32_f32_e32 v2, v2
	global_store_b64 v[0:1], v[2:3], off
.LBB272_923:
	s_mov_b32 s12, 0
.LBB272_924:
	s_delay_alu instid0(SALU_CYCLE_1)
	s_and_b32 vcc_lo, exec_lo, s12
	s_cbranch_vccz .LBB272_939
; %bb.925:
	v_cmp_gt_i16_e32 vcc_lo, 27, v5
	s_mov_b32 s12, -1
	s_cbranch_vccnz .LBB272_931
; %bb.926:
	v_cmp_lt_i16_e32 vcc_lo, 27, v5
	s_cbranch_vccz .LBB272_928
; %bb.927:
	v_lshlrev_b32_e32 v2, 16, v4
	s_mov_b32 s12, 0
	s_delay_alu instid0(VALU_DEP_1)
	v_cvt_u32_f32_e32 v2, v2
	global_store_b32 v[0:1], v2, off
.LBB272_928:
	s_and_not1_b32 vcc_lo, exec_lo, s12
	s_cbranch_vccnz .LBB272_930
; %bb.929:
	v_lshlrev_b32_e32 v2, 16, v4
	s_delay_alu instid0(VALU_DEP_1)
	v_cvt_u32_f32_e32 v2, v2
	global_store_b16 v[0:1], v2, off
.LBB272_930:
	s_mov_b32 s12, 0
.LBB272_931:
	s_delay_alu instid0(SALU_CYCLE_1)
	s_and_not1_b32 vcc_lo, exec_lo, s12
	s_cbranch_vccnz .LBB272_939
; %bb.932:
	v_dual_mov_b32 v7, 0x80 :: v_dual_lshlrev_b32 v6, 16, v4
	s_mov_b32 s12, exec_lo
	s_delay_alu instid0(VALU_DEP_1) | instskip(NEXT) | instid1(VALU_DEP_1)
	v_and_b32_e32 v3, 0x7fffffff, v6
	v_cmpx_gt_u32_e32 0x43800000, v3
	s_cbranch_execz .LBB272_938
; %bb.933:
	v_and_b32_e32 v2, 0xffff, v4
	v_cmp_lt_u32_e32 vcc_lo, 0x3bffffff, v3
                                        ; implicit-def: $vgpr3
	s_and_saveexec_b32 s14, vcc_lo
	s_delay_alu instid0(SALU_CYCLE_1)
	s_xor_b32 s14, exec_lo, s14
	s_cbranch_execz .LBB272_1175
; %bb.934:
	v_bfe_u32 v3, v2, 4, 1
	s_mov_b32 s13, exec_lo
	s_delay_alu instid0(VALU_DEP_1) | instskip(NEXT) | instid1(VALU_DEP_1)
	v_add3_u32 v3, v6, v3, 0x487ffff
                                        ; implicit-def: $vgpr6
	v_lshrrev_b32_e32 v3, 20, v3
	s_or_saveexec_b32 s14, s14
                                        ; implicit-def: $sgpr15
	s_delay_alu instid0(SALU_CYCLE_1)
	s_xor_b32 exec_lo, exec_lo, s14
	s_cbranch_execnz .LBB272_1176
.LBB272_935:
	s_or_b32 exec_lo, exec_lo, s14
	v_mov_b32_e32 v7, s15
	s_and_saveexec_b32 s14, s13
.LBB272_936:
	v_lshrrev_b32_e32 v2, 8, v2
	s_delay_alu instid0(VALU_DEP_1)
	v_and_or_b32 v7, 0x80, v2, v3
.LBB272_937:
	s_or_b32 exec_lo, exec_lo, s14
.LBB272_938:
	s_delay_alu instid0(SALU_CYCLE_1)
	s_or_b32 exec_lo, exec_lo, s12
	global_store_b8 v[0:1], v7, off
.LBB272_939:
	s_mov_b32 s12, 0
.LBB272_940:
	s_delay_alu instid0(SALU_CYCLE_1)
	s_and_b32 vcc_lo, exec_lo, s12
	s_mov_b32 s12, 0
	s_cbranch_vccz .LBB272_980
; %bb.941:
	v_cmp_lt_i16_e32 vcc_lo, 22, v5
	s_mov_b32 s13, -1
	s_cbranch_vccz .LBB272_973
; %bb.942:
	v_cmp_gt_i16_e32 vcc_lo, 24, v5
	s_cbranch_vccnz .LBB272_962
; %bb.943:
	v_cmp_lt_i16_e32 vcc_lo, 24, v5
	s_cbranch_vccz .LBB272_951
; %bb.944:
	v_dual_mov_b32 v7, 0x80 :: v_dual_lshlrev_b32 v6, 16, v4
	s_mov_b32 s13, exec_lo
	s_delay_alu instid0(VALU_DEP_1) | instskip(NEXT) | instid1(VALU_DEP_1)
	v_and_b32_e32 v3, 0x7fffffff, v6
	v_cmpx_gt_u32_e32 0x47800000, v3
	s_cbranch_execz .LBB272_950
; %bb.945:
	v_and_b32_e32 v2, 0xffff, v4
	v_cmp_lt_u32_e32 vcc_lo, 0x37ffffff, v3
	s_mov_b32 s14, 0
                                        ; implicit-def: $vgpr3
	s_and_saveexec_b32 s15, vcc_lo
	s_delay_alu instid0(SALU_CYCLE_1)
	s_xor_b32 s15, exec_lo, s15
	s_cbranch_execz .LBB272_1219
; %bb.946:
	v_bfe_u32 v3, v2, 5, 1
	s_mov_b32 s14, exec_lo
	s_delay_alu instid0(VALU_DEP_1) | instskip(NEXT) | instid1(VALU_DEP_1)
	v_add3_u32 v3, v6, v3, 0x88fffff
                                        ; implicit-def: $vgpr6
	v_lshrrev_b32_e32 v3, 21, v3
	s_or_saveexec_b32 s15, s15
                                        ; implicit-def: $sgpr16
	s_delay_alu instid0(SALU_CYCLE_1)
	s_xor_b32 exec_lo, exec_lo, s15
	s_cbranch_execnz .LBB272_1220
.LBB272_947:
	s_or_b32 exec_lo, exec_lo, s15
	v_mov_b32_e32 v7, s16
	s_and_saveexec_b32 s15, s14
.LBB272_948:
	v_lshrrev_b32_e32 v2, 8, v2
	s_delay_alu instid0(VALU_DEP_1)
	v_and_or_b32 v7, 0x80, v2, v3
.LBB272_949:
	s_or_b32 exec_lo, exec_lo, s15
.LBB272_950:
	s_delay_alu instid0(SALU_CYCLE_1)
	s_or_b32 exec_lo, exec_lo, s13
	s_mov_b32 s13, 0
	global_store_b8 v[0:1], v7, off
.LBB272_951:
	s_and_b32 vcc_lo, exec_lo, s13
	s_cbranch_vccz .LBB272_961
; %bb.952:
	v_lshlrev_b32_e32 v6, 16, v4
	v_and_b32_e32 v2, 0xffff, v4
	s_mov_b32 s13, exec_lo
                                        ; implicit-def: $vgpr3
	s_delay_alu instid0(VALU_DEP_2) | instskip(NEXT) | instid1(VALU_DEP_1)
	v_and_b32_e32 v7, 0x7fffffff, v6
	v_cmpx_gt_u32_e32 0x43f00000, v7
	s_xor_b32 s13, exec_lo, s13
	s_cbranch_execz .LBB272_958
; %bb.953:
	s_mov_b32 s14, exec_lo
                                        ; implicit-def: $vgpr3
	v_cmpx_lt_u32_e32 0x3c7fffff, v7
	s_xor_b32 s14, exec_lo, s14
; %bb.954:
	v_bfe_u32 v3, v2, 4, 1
	s_delay_alu instid0(VALU_DEP_1) | instskip(NEXT) | instid1(VALU_DEP_1)
	v_add3_u32 v3, v6, v3, 0x407ffff
	v_and_b32_e32 v6, 0xff00000, v3
	v_lshrrev_b32_e32 v3, 20, v3
	s_delay_alu instid0(VALU_DEP_2) | instskip(NEXT) | instid1(VALU_DEP_2)
	v_cmp_ne_u32_e32 vcc_lo, 0x7f00000, v6
                                        ; implicit-def: $vgpr6
	v_cndmask_b32_e32 v3, 0x7e, v3, vcc_lo
; %bb.955:
	s_and_not1_saveexec_b32 s14, s14
; %bb.956:
	v_add_f32_e64 v3, 0x46800000, |v6|
; %bb.957:
	s_or_b32 exec_lo, exec_lo, s14
                                        ; implicit-def: $vgpr7
.LBB272_958:
	s_and_not1_saveexec_b32 s13, s13
; %bb.959:
	v_mov_b32_e32 v3, 0x7f
	v_cmp_lt_u32_e32 vcc_lo, 0x7f800000, v7
	s_delay_alu instid0(VALU_DEP_2)
	v_cndmask_b32_e32 v3, 0x7e, v3, vcc_lo
; %bb.960:
	s_or_b32 exec_lo, exec_lo, s13
	v_lshrrev_b32_e32 v2, 8, v2
	s_delay_alu instid0(VALU_DEP_1)
	v_and_or_b32 v2, 0x80, v2, v3
	global_store_b8 v[0:1], v2, off
.LBB272_961:
	s_mov_b32 s13, 0
.LBB272_962:
	s_delay_alu instid0(SALU_CYCLE_1)
	s_and_not1_b32 vcc_lo, exec_lo, s13
	s_cbranch_vccnz .LBB272_972
; %bb.963:
	v_lshlrev_b32_e32 v6, 16, v4
	v_and_b32_e32 v2, 0xffff, v4
	s_mov_b32 s13, exec_lo
                                        ; implicit-def: $vgpr3
	s_delay_alu instid0(VALU_DEP_2) | instskip(NEXT) | instid1(VALU_DEP_1)
	v_and_b32_e32 v7, 0x7fffffff, v6
	v_cmpx_gt_u32_e32 0x47800000, v7
	s_xor_b32 s13, exec_lo, s13
	s_cbranch_execz .LBB272_969
; %bb.964:
	s_mov_b32 s14, exec_lo
                                        ; implicit-def: $vgpr3
	v_cmpx_lt_u32_e32 0x387fffff, v7
	s_xor_b32 s14, exec_lo, s14
; %bb.965:
	v_bfe_u32 v3, v2, 5, 1
	s_delay_alu instid0(VALU_DEP_1) | instskip(NEXT) | instid1(VALU_DEP_1)
	v_add3_u32 v3, v6, v3, 0x80fffff
                                        ; implicit-def: $vgpr6
	v_lshrrev_b32_e32 v3, 21, v3
; %bb.966:
	s_and_not1_saveexec_b32 s14, s14
; %bb.967:
	v_add_f32_e64 v3, 0x43000000, |v6|
; %bb.968:
	s_or_b32 exec_lo, exec_lo, s14
                                        ; implicit-def: $vgpr7
.LBB272_969:
	s_and_not1_saveexec_b32 s13, s13
; %bb.970:
	v_mov_b32_e32 v3, 0x7f
	v_cmp_lt_u32_e32 vcc_lo, 0x7f800000, v7
	s_delay_alu instid0(VALU_DEP_2)
	v_cndmask_b32_e32 v3, 0x7c, v3, vcc_lo
; %bb.971:
	s_or_b32 exec_lo, exec_lo, s13
	v_lshrrev_b32_e32 v2, 8, v2
	s_delay_alu instid0(VALU_DEP_1)
	v_and_or_b32 v2, 0x80, v2, v3
	global_store_b8 v[0:1], v2, off
.LBB272_972:
	s_mov_b32 s13, 0
.LBB272_973:
	s_delay_alu instid0(SALU_CYCLE_1)
	s_and_not1_b32 vcc_lo, exec_lo, s13
	s_mov_b32 s13, 0
	s_cbranch_vccnz .LBB272_981
; %bb.974:
	v_cmp_lt_i16_e32 vcc_lo, 14, v5
	s_mov_b32 s13, -1
	s_cbranch_vccz .LBB272_978
; %bb.975:
	v_cmp_eq_u16_e32 vcc_lo, 15, v5
	s_mov_b32 s0, -1
	s_cbranch_vccz .LBB272_977
; %bb.976:
	s_mov_b32 s0, 0
	global_store_b16 v[0:1], v4, off
.LBB272_977:
	s_mov_b32 s13, 0
.LBB272_978:
	s_delay_alu instid0(SALU_CYCLE_1)
	s_and_b32 vcc_lo, exec_lo, s13
	s_mov_b32 s13, 0
	s_cbranch_vccz .LBB272_981
; %bb.979:
	v_cmp_ne_u16_e32 vcc_lo, 11, v5
	s_and_not1_b32 s0, s0, exec_lo
	s_mov_b32 s13, -1
	s_and_b32 s14, vcc_lo, exec_lo
	s_delay_alu instid0(SALU_CYCLE_1)
	s_or_b32 s0, s0, s14
	s_branch .LBB272_981
.LBB272_980:
	s_mov_b32 s13, 0
.LBB272_981:
	s_and_not1_b32 s9, s9, exec_lo
	s_and_b32 s0, s0, exec_lo
	s_and_b32 s12, s12, exec_lo
	;; [unrolled: 1-line block ×3, first 2 shown]
	s_or_b32 s9, s9, s0
.LBB272_982:
	s_or_b32 exec_lo, exec_lo, s11
	s_and_saveexec_b32 s0, s9
	s_cbranch_execnz .LBB272_1044
; %bb.983:
	s_or_b32 exec_lo, exec_lo, s0
	s_and_saveexec_b32 s0, s13
	s_delay_alu instid0(SALU_CYCLE_1)
	s_xor_b32 s0, exec_lo, s0
	s_cbranch_execz .LBB272_985
.LBB272_984:
	v_and_b32_e32 v2, 0x7fff, v4
	s_delay_alu instid0(VALU_DEP_1)
	v_cmp_ne_u16_e32 vcc_lo, 0, v2
	v_cndmask_b32_e64 v2, 0, 1, vcc_lo
	global_store_b8 v[0:1], v2, off
.LBB272_985:
	s_or_b32 exec_lo, exec_lo, s0
	s_and_saveexec_b32 s0, s12
	s_delay_alu instid0(SALU_CYCLE_1)
	s_xor_b32 s0, exec_lo, s0
	s_cbranch_execz .LBB272_1023
; %bb.986:
	s_waitcnt vmcnt(0)
	v_cmp_gt_i16_e32 vcc_lo, 5, v5
	s_mov_b32 s9, -1
	s_cbranch_vccnz .LBB272_1007
; %bb.987:
	v_cmp_gt_i16_e32 vcc_lo, 8, v5
	s_cbranch_vccnz .LBB272_997
; %bb.988:
	v_cmp_gt_i16_e32 vcc_lo, 9, v5
	s_cbranch_vccnz .LBB272_994
; %bb.989:
	v_cmp_lt_i16_e32 vcc_lo, 9, v5
	s_cbranch_vccz .LBB272_991
; %bb.990:
	v_mov_b32_e32 v8, 0
	v_lshlrev_b32_e32 v2, 16, v4
	s_mov_b32 s9, 0
	s_delay_alu instid0(VALU_DEP_2) | instskip(NEXT) | instid1(VALU_DEP_2)
	v_mov_b32_e32 v9, v8
	v_cvt_f64_f32_e32 v[6:7], v2
	global_store_b128 v[0:1], v[6:9], off
.LBB272_991:
	s_and_not1_b32 vcc_lo, exec_lo, s9
	s_cbranch_vccnz .LBB272_993
; %bb.992:
	v_dual_mov_b32 v3, 0 :: v_dual_lshlrev_b32 v2, 16, v4
	global_store_b64 v[0:1], v[2:3], off
.LBB272_993:
	s_mov_b32 s9, 0
.LBB272_994:
	s_delay_alu instid0(SALU_CYCLE_1)
	s_and_not1_b32 vcc_lo, exec_lo, s9
	s_cbranch_vccnz .LBB272_996
; %bb.995:
	v_lshlrev_b32_e32 v2, 16, v4
	s_delay_alu instid0(VALU_DEP_1) | instskip(NEXT) | instid1(VALU_DEP_1)
	v_cvt_f16_f32_e32 v2, v2
	v_and_b32_e32 v2, 0xffff, v2
	global_store_b32 v[0:1], v2, off
.LBB272_996:
	s_mov_b32 s9, 0
.LBB272_997:
	s_delay_alu instid0(SALU_CYCLE_1)
	s_and_not1_b32 vcc_lo, exec_lo, s9
	s_cbranch_vccnz .LBB272_1006
; %bb.998:
	v_cmp_gt_i16_e32 vcc_lo, 6, v5
	s_mov_b32 s9, -1
	s_cbranch_vccnz .LBB272_1004
; %bb.999:
	v_cmp_lt_i16_e32 vcc_lo, 6, v5
	s_cbranch_vccz .LBB272_1001
; %bb.1000:
	v_lshlrev_b32_e32 v2, 16, v4
	s_mov_b32 s9, 0
	s_delay_alu instid0(VALU_DEP_1)
	v_cvt_f64_f32_e32 v[2:3], v2
	global_store_b64 v[0:1], v[2:3], off
.LBB272_1001:
	s_and_not1_b32 vcc_lo, exec_lo, s9
	s_cbranch_vccnz .LBB272_1003
; %bb.1002:
	v_lshlrev_b32_e32 v2, 16, v4
	global_store_b32 v[0:1], v2, off
.LBB272_1003:
	s_mov_b32 s9, 0
.LBB272_1004:
	s_delay_alu instid0(SALU_CYCLE_1)
	s_and_not1_b32 vcc_lo, exec_lo, s9
	s_cbranch_vccnz .LBB272_1006
; %bb.1005:
	v_lshlrev_b32_e32 v2, 16, v4
	s_delay_alu instid0(VALU_DEP_1)
	v_cvt_f16_f32_e32 v2, v2
	global_store_b16 v[0:1], v2, off
.LBB272_1006:
	s_mov_b32 s9, 0
.LBB272_1007:
	s_delay_alu instid0(SALU_CYCLE_1)
	s_and_not1_b32 vcc_lo, exec_lo, s9
	s_cbranch_vccnz .LBB272_1023
; %bb.1008:
	v_cmp_gt_i16_e32 vcc_lo, 2, v5
	s_mov_b32 s9, -1
	s_cbranch_vccnz .LBB272_1018
; %bb.1009:
	v_cmp_gt_i16_e32 vcc_lo, 3, v5
	s_cbranch_vccnz .LBB272_1015
; %bb.1010:
	v_cmp_lt_i16_e32 vcc_lo, 3, v5
	s_cbranch_vccz .LBB272_1012
; %bb.1011:
	v_lshlrev_b32_e32 v2, 16, v4
	s_mov_b32 s9, 0
	s_delay_alu instid0(VALU_DEP_1) | instskip(NEXT) | instid1(VALU_DEP_1)
	v_trunc_f32_e32 v2, v2
	v_mul_f32_e64 v3, 0x2f800000, |v2|
	v_ashrrev_i32_e32 v7, 31, v2
	s_delay_alu instid0(VALU_DEP_2) | instskip(NEXT) | instid1(VALU_DEP_1)
	v_floor_f32_e32 v3, v3
	v_fma_f32 v6, 0xcf800000, v3, |v2|
	v_cvt_u32_f32_e32 v3, v3
	s_delay_alu instid0(VALU_DEP_2) | instskip(NEXT) | instid1(VALU_DEP_2)
	v_cvt_u32_f32_e32 v2, v6
	v_xor_b32_e32 v3, v3, v7
	s_delay_alu instid0(VALU_DEP_2) | instskip(NEXT) | instid1(VALU_DEP_1)
	v_xor_b32_e32 v2, v2, v7
	v_sub_co_u32 v2, vcc_lo, v2, v7
	s_delay_alu instid0(VALU_DEP_3)
	v_sub_co_ci_u32_e32 v3, vcc_lo, v3, v7, vcc_lo
	global_store_b64 v[0:1], v[2:3], off
.LBB272_1012:
	s_and_not1_b32 vcc_lo, exec_lo, s9
	s_cbranch_vccnz .LBB272_1014
; %bb.1013:
	v_lshlrev_b32_e32 v2, 16, v4
	s_delay_alu instid0(VALU_DEP_1)
	v_cvt_i32_f32_e32 v2, v2
	global_store_b32 v[0:1], v2, off
.LBB272_1014:
	s_mov_b32 s9, 0
.LBB272_1015:
	s_delay_alu instid0(SALU_CYCLE_1)
	s_and_not1_b32 vcc_lo, exec_lo, s9
	s_cbranch_vccnz .LBB272_1017
; %bb.1016:
	v_lshlrev_b32_e32 v2, 16, v4
	s_delay_alu instid0(VALU_DEP_1)
	v_cvt_i32_f32_e32 v2, v2
	global_store_b16 v[0:1], v2, off
.LBB272_1017:
	s_mov_b32 s9, 0
.LBB272_1018:
	s_delay_alu instid0(SALU_CYCLE_1)
	s_and_not1_b32 vcc_lo, exec_lo, s9
	s_cbranch_vccnz .LBB272_1023
; %bb.1019:
	v_cmp_lt_i16_e32 vcc_lo, 0, v5
	s_mov_b32 s9, -1
	s_cbranch_vccz .LBB272_1021
; %bb.1020:
	v_lshlrev_b32_e32 v2, 16, v4
	s_mov_b32 s9, 0
	s_delay_alu instid0(VALU_DEP_1)
	v_cvt_i32_f32_e32 v2, v2
	global_store_b8 v[0:1], v2, off
.LBB272_1021:
	s_and_not1_b32 vcc_lo, exec_lo, s9
	s_cbranch_vccnz .LBB272_1023
; %bb.1022:
	v_lshlrev_b32_e32 v2, 16, v4
	s_delay_alu instid0(VALU_DEP_1) | instskip(NEXT) | instid1(VALU_DEP_1)
	v_trunc_f32_e32 v2, v2
	v_mul_f32_e64 v3, 0x2f800000, |v2|
	s_delay_alu instid0(VALU_DEP_1) | instskip(NEXT) | instid1(VALU_DEP_1)
	v_floor_f32_e32 v3, v3
	v_fma_f32 v3, 0xcf800000, v3, |v2|
	v_ashrrev_i32_e32 v2, 31, v2
	s_delay_alu instid0(VALU_DEP_2) | instskip(NEXT) | instid1(VALU_DEP_1)
	v_cvt_u32_f32_e32 v3, v3
	v_xor_b32_e32 v3, v3, v2
	s_delay_alu instid0(VALU_DEP_1)
	v_sub_nc_u32_e32 v2, v3, v2
	global_store_b8 v[0:1], v2, off
.LBB272_1023:
	s_or_b32 exec_lo, exec_lo, s0
	s_delay_alu instid0(SALU_CYCLE_1)
	s_and_b32 s9, s10, exec_lo
                                        ; implicit-def: $vgpr3
                                        ; implicit-def: $vgpr4
                                        ; implicit-def: $vgpr2
.LBB272_1024:
	s_or_saveexec_b32 s8, s8
	s_mov_b32 s0, 0
                                        ; implicit-def: $vgpr5
                                        ; implicit-def: $vgpr0_vgpr1
                                        ; implicit-def: $vgpr6
	s_xor_b32 exec_lo, exec_lo, s8
	s_cbranch_execz .LBB272_1988
; %bb.1025:
	s_waitcnt vmcnt(0)
	v_mul_lo_u32 v6, s3, v3
	v_cmp_gt_i16_e32 vcc_lo, 11, v4
	s_delay_alu instid0(VALU_DEP_2) | instskip(SKIP_1) | instid1(VALU_DEP_1)
	v_ashrrev_i32_e32 v1, 31, v6
	v_add_co_u32 v0, s0, s6, v6
	v_add_co_ci_u32_e64 v1, s0, s7, v1, s0
	s_cbranch_vccnz .LBB272_1032
; %bb.1026:
	v_cmp_lt_i16_e32 vcc_lo, 25, v4
	s_mov_b32 s10, 0
	s_cbranch_vccz .LBB272_1038
; %bb.1027:
	v_cmp_lt_i16_e32 vcc_lo, 28, v4
	s_cbranch_vccz .LBB272_1040
; %bb.1028:
	v_cmp_lt_i16_e32 vcc_lo, 43, v4
	;; [unrolled: 3-line block ×3, first 2 shown]
	s_cbranch_vccz .LBB272_1046
; %bb.1030:
	v_cmp_eq_u16_e32 vcc_lo, 46, v4
	s_cbranch_vccz .LBB272_1088
; %bb.1031:
	global_load_b32 v5, v[0:1], off
	s_mov_b32 s0, 0
	s_mov_b32 s11, -1
	s_branch .LBB272_1090
.LBB272_1032:
	s_mov_b32 s11, 0
	s_mov_b32 s1, s9
                                        ; implicit-def: $vgpr5
	s_cbranch_execz .LBB272_1153
; %bb.1033:
	v_cmp_gt_i16_e32 vcc_lo, 5, v4
	s_cbranch_vccnz .LBB272_1039
; %bb.1034:
	v_cmp_gt_i16_e32 vcc_lo, 8, v4
	s_cbranch_vccnz .LBB272_1041
	;; [unrolled: 3-line block ×3, first 2 shown]
; %bb.1036:
	v_cmp_lt_i16_e32 vcc_lo, 9, v4
	s_cbranch_vccz .LBB272_1047
; %bb.1037:
	global_load_b64 v[7:8], v[0:1], off
	s_mov_b32 s0, 0
	s_waitcnt vmcnt(0)
	v_cvt_f32_f64_e32 v5, v[7:8]
	s_delay_alu instid0(VALU_DEP_1) | instskip(SKIP_1) | instid1(VALU_DEP_2)
	v_bfe_u32 v7, v5, 16, 1
	v_cmp_o_f32_e32 vcc_lo, v5, v5
	v_add3_u32 v7, v5, v7, 0x7fff
	s_delay_alu instid0(VALU_DEP_1) | instskip(NEXT) | instid1(VALU_DEP_1)
	v_lshrrev_b32_e32 v7, 16, v7
	v_cndmask_b32_e32 v5, 0x7fc0, v7, vcc_lo
	s_branch .LBB272_1048
.LBB272_1038:
	s_mov_b32 s11, 0
	s_mov_b32 s0, 0
                                        ; implicit-def: $vgpr5
	s_cbranch_execnz .LBB272_1118
	s_branch .LBB272_1149
.LBB272_1039:
                                        ; implicit-def: $vgpr5
	s_branch .LBB272_1065
.LBB272_1040:
	s_mov_b32 s1, -1
	s_mov_b32 s11, 0
	s_mov_b32 s0, 0
                                        ; implicit-def: $vgpr5
	s_branch .LBB272_1099
.LBB272_1041:
                                        ; implicit-def: $vgpr5
	s_branch .LBB272_1054
.LBB272_1042:
	s_mov_b32 s11, 0
	s_mov_b32 s0, 0
                                        ; implicit-def: $vgpr5
	s_cbranch_execnz .LBB272_1095
	s_branch .LBB272_1098
.LBB272_1043:
	s_mov_b32 s0, -1
                                        ; implicit-def: $vgpr5
	s_branch .LBB272_1051
.LBB272_1044:
	s_cbranch_execnz .LBB272_1086
; %bb.1045:
	s_or_b32 s10, s10, exec_lo
	s_and_not1_b32 s13, s13, exec_lo
	s_or_b32 exec_lo, exec_lo, s0
	s_and_saveexec_b32 s0, s13
	s_delay_alu instid0(SALU_CYCLE_1)
	s_xor_b32 s0, exec_lo, s0
	s_cbranch_execnz .LBB272_984
	s_branch .LBB272_985
.LBB272_1046:
	s_mov_b32 s1, -1
	s_mov_b32 s11, 0
	s_mov_b32 s0, 0
	s_branch .LBB272_1089
.LBB272_1047:
	s_mov_b32 s0, -1
                                        ; implicit-def: $vgpr5
.LBB272_1048:
	s_delay_alu instid0(SALU_CYCLE_1)
	s_and_not1_b32 vcc_lo, exec_lo, s0
	s_cbranch_vccnz .LBB272_1050
; %bb.1049:
	global_load_b32 v5, v[0:1], off
	s_waitcnt vmcnt(0)
	v_bfe_u32 v7, v5, 16, 1
	v_cmp_o_f32_e32 vcc_lo, v5, v5
	s_delay_alu instid0(VALU_DEP_2) | instskip(NEXT) | instid1(VALU_DEP_1)
	v_add3_u32 v7, v5, v7, 0x7fff
	v_lshrrev_b32_e32 v7, 16, v7
	s_delay_alu instid0(VALU_DEP_1)
	v_cndmask_b32_e32 v5, 0x7fc0, v7, vcc_lo
.LBB272_1050:
	s_mov_b32 s0, 0
.LBB272_1051:
	s_delay_alu instid0(SALU_CYCLE_1)
	s_and_not1_b32 vcc_lo, exec_lo, s0
	s_cbranch_vccnz .LBB272_1053
; %bb.1052:
	global_load_b32 v5, v[0:1], off
	s_waitcnt vmcnt(0)
	v_cvt_f32_f16_e32 v7, v5
	v_cmp_o_f16_e32 vcc_lo, v5, v5
	s_delay_alu instid0(VALU_DEP_2) | instskip(NEXT) | instid1(VALU_DEP_1)
	v_bfe_u32 v8, v7, 16, 1
	v_add3_u32 v7, v7, v8, 0x7fff
	s_delay_alu instid0(VALU_DEP_1) | instskip(NEXT) | instid1(VALU_DEP_1)
	v_lshrrev_b32_e32 v7, 16, v7
	v_cndmask_b32_e32 v5, 0x7fc0, v7, vcc_lo
.LBB272_1053:
	s_cbranch_execnz .LBB272_1064
.LBB272_1054:
	v_cmp_gt_i16_e32 vcc_lo, 6, v4
	s_cbranch_vccnz .LBB272_1057
; %bb.1055:
	v_cmp_lt_i16_e32 vcc_lo, 6, v4
	s_cbranch_vccz .LBB272_1058
; %bb.1056:
	global_load_b64 v[7:8], v[0:1], off
	s_mov_b32 s0, 0
	s_waitcnt vmcnt(0)
	v_cvt_f32_f64_e32 v5, v[7:8]
	s_delay_alu instid0(VALU_DEP_1) | instskip(SKIP_1) | instid1(VALU_DEP_2)
	v_bfe_u32 v7, v5, 16, 1
	v_cmp_o_f32_e32 vcc_lo, v5, v5
	v_add3_u32 v7, v5, v7, 0x7fff
	s_delay_alu instid0(VALU_DEP_1) | instskip(NEXT) | instid1(VALU_DEP_1)
	v_lshrrev_b32_e32 v7, 16, v7
	v_cndmask_b32_e32 v5, 0x7fc0, v7, vcc_lo
	s_branch .LBB272_1059
.LBB272_1057:
	s_mov_b32 s0, -1
                                        ; implicit-def: $vgpr5
	s_branch .LBB272_1062
.LBB272_1058:
	s_mov_b32 s0, -1
                                        ; implicit-def: $vgpr5
.LBB272_1059:
	s_delay_alu instid0(SALU_CYCLE_1)
	s_and_not1_b32 vcc_lo, exec_lo, s0
	s_cbranch_vccnz .LBB272_1061
; %bb.1060:
	global_load_b32 v5, v[0:1], off
	s_waitcnt vmcnt(0)
	v_bfe_u32 v7, v5, 16, 1
	v_cmp_o_f32_e32 vcc_lo, v5, v5
	s_delay_alu instid0(VALU_DEP_2) | instskip(NEXT) | instid1(VALU_DEP_1)
	v_add3_u32 v7, v5, v7, 0x7fff
	v_lshrrev_b32_e32 v7, 16, v7
	s_delay_alu instid0(VALU_DEP_1)
	v_cndmask_b32_e32 v5, 0x7fc0, v7, vcc_lo
.LBB272_1061:
	s_mov_b32 s0, 0
.LBB272_1062:
	s_delay_alu instid0(SALU_CYCLE_1)
	s_and_not1_b32 vcc_lo, exec_lo, s0
	s_cbranch_vccnz .LBB272_1064
; %bb.1063:
	global_load_u16 v5, v[0:1], off
	s_waitcnt vmcnt(0)
	v_cvt_f32_f16_e32 v7, v5
	v_cmp_o_f16_e32 vcc_lo, v5, v5
	s_delay_alu instid0(VALU_DEP_2) | instskip(NEXT) | instid1(VALU_DEP_1)
	v_bfe_u32 v8, v7, 16, 1
	v_add3_u32 v7, v7, v8, 0x7fff
	s_delay_alu instid0(VALU_DEP_1) | instskip(NEXT) | instid1(VALU_DEP_1)
	v_lshrrev_b32_e32 v7, 16, v7
	v_cndmask_b32_e32 v5, 0x7fc0, v7, vcc_lo
.LBB272_1064:
	s_cbranch_execnz .LBB272_1083
.LBB272_1065:
	v_cmp_gt_i16_e32 vcc_lo, 2, v4
	s_cbranch_vccnz .LBB272_1069
; %bb.1066:
	v_cmp_gt_i16_e32 vcc_lo, 3, v4
	s_cbranch_vccnz .LBB272_1070
; %bb.1067:
	v_cmp_lt_i16_e32 vcc_lo, 3, v4
	s_cbranch_vccz .LBB272_1071
; %bb.1068:
	global_load_b64 v[7:8], v[0:1], off
	s_mov_b32 s0, 0
	s_waitcnt vmcnt(0)
	v_xor_b32_e32 v5, v7, v8
	v_cls_i32_e32 v9, v8
	s_delay_alu instid0(VALU_DEP_2) | instskip(NEXT) | instid1(VALU_DEP_2)
	v_ashrrev_i32_e32 v5, 31, v5
	v_add_nc_u32_e32 v9, -1, v9
	s_delay_alu instid0(VALU_DEP_2) | instskip(NEXT) | instid1(VALU_DEP_1)
	v_add_nc_u32_e32 v5, 32, v5
	v_min_u32_e32 v5, v9, v5
	s_delay_alu instid0(VALU_DEP_1) | instskip(SKIP_1) | instid1(VALU_DEP_2)
	v_lshlrev_b64 v[7:8], v5, v[7:8]
	v_sub_nc_u32_e32 v5, 32, v5
	v_min_u32_e32 v7, 1, v7
	s_delay_alu instid0(VALU_DEP_1) | instskip(NEXT) | instid1(VALU_DEP_1)
	v_or_b32_e32 v7, v8, v7
	v_cvt_f32_i32_e32 v7, v7
	s_delay_alu instid0(VALU_DEP_1) | instskip(NEXT) | instid1(VALU_DEP_1)
	v_ldexp_f32 v5, v7, v5
	v_bfe_u32 v7, v5, 16, 1
	s_delay_alu instid0(VALU_DEP_1) | instskip(NEXT) | instid1(VALU_DEP_1)
	v_add3_u32 v5, v5, v7, 0x7fff
	v_lshrrev_b32_e32 v5, 16, v5
	s_branch .LBB272_1072
.LBB272_1069:
                                        ; implicit-def: $vgpr5
	s_branch .LBB272_1078
.LBB272_1070:
	s_mov_b32 s0, -1
                                        ; implicit-def: $vgpr5
	s_branch .LBB272_1075
.LBB272_1071:
	s_mov_b32 s0, -1
                                        ; implicit-def: $vgpr5
.LBB272_1072:
	s_delay_alu instid0(SALU_CYCLE_1)
	s_and_not1_b32 vcc_lo, exec_lo, s0
	s_cbranch_vccnz .LBB272_1074
; %bb.1073:
	global_load_b32 v5, v[0:1], off
	s_waitcnt vmcnt(0)
	v_cvt_f32_i32_e32 v5, v5
	s_delay_alu instid0(VALU_DEP_1) | instskip(NEXT) | instid1(VALU_DEP_1)
	v_bfe_u32 v7, v5, 16, 1
	v_add3_u32 v5, v5, v7, 0x7fff
	s_delay_alu instid0(VALU_DEP_1)
	v_lshrrev_b32_e32 v5, 16, v5
.LBB272_1074:
	s_mov_b32 s0, 0
.LBB272_1075:
	s_delay_alu instid0(SALU_CYCLE_1)
	s_and_not1_b32 vcc_lo, exec_lo, s0
	s_cbranch_vccnz .LBB272_1077
; %bb.1076:
	global_load_i16 v5, v[0:1], off
	s_waitcnt vmcnt(0)
	v_cvt_f32_i32_e32 v5, v5
	s_delay_alu instid0(VALU_DEP_1) | instskip(NEXT) | instid1(VALU_DEP_1)
	v_bfe_u32 v7, v5, 16, 1
	v_add3_u32 v5, v5, v7, 0x7fff
	s_delay_alu instid0(VALU_DEP_1)
	v_lshrrev_b32_e32 v5, 16, v5
.LBB272_1077:
	s_cbranch_execnz .LBB272_1083
.LBB272_1078:
	v_cmp_lt_i16_e32 vcc_lo, 0, v4
	s_mov_b32 s0, 0
	s_cbranch_vccz .LBB272_1080
; %bb.1079:
	global_load_i8 v5, v[0:1], off
	s_waitcnt vmcnt(0)
	v_cvt_f32_i32_e32 v5, v5
	s_delay_alu instid0(VALU_DEP_1) | instskip(NEXT) | instid1(VALU_DEP_1)
	v_bfe_u32 v7, v5, 16, 1
	v_add3_u32 v5, v5, v7, 0x7fff
	s_delay_alu instid0(VALU_DEP_1)
	v_lshrrev_b32_e32 v5, 16, v5
	s_branch .LBB272_1081
.LBB272_1080:
	s_mov_b32 s0, -1
                                        ; implicit-def: $vgpr5
.LBB272_1081:
	s_delay_alu instid0(SALU_CYCLE_1)
	s_and_not1_b32 vcc_lo, exec_lo, s0
	s_cbranch_vccnz .LBB272_1083
; %bb.1082:
	global_load_u8 v0, v[0:1], off
	s_waitcnt vmcnt(0)
	v_cvt_f32_ubyte0_e32 v0, v0
	s_delay_alu instid0(VALU_DEP_1) | instskip(NEXT) | instid1(VALU_DEP_1)
	v_bfe_u32 v1, v0, 16, 1
	v_add3_u32 v0, v0, v1, 0x7fff
	s_delay_alu instid0(VALU_DEP_1)
	v_lshrrev_b32_e32 v5, 16, v0
.LBB272_1083:
	s_branch .LBB272_1154
.LBB272_1084:
	s_trap 2
	s_sendmsg_rtn_b32 s0, sendmsg(MSG_RTN_GET_DOORBELL)
	s_mov_b32 ttmp2, m0
	s_waitcnt lgkmcnt(0)
	s_and_b32 s0, s0, 0x3ff
	s_delay_alu instid0(SALU_CYCLE_1) | instskip(NEXT) | instid1(SALU_CYCLE_1)
	s_bitset1_b32 s0, 10
	s_mov_b32 m0, s0
	s_sendmsg sendmsg(MSG_INTERRUPT)
	s_mov_b32 m0, ttmp2
.LBB272_1085:                           ; =>This Inner Loop Header: Depth=1
	s_sethalt 5
	s_branch .LBB272_1085
.LBB272_1086:
	s_trap 2
	s_sendmsg_rtn_b32 s0, sendmsg(MSG_RTN_GET_DOORBELL)
	s_mov_b32 ttmp2, m0
	s_waitcnt lgkmcnt(0)
	s_and_b32 s0, s0, 0x3ff
	s_delay_alu instid0(SALU_CYCLE_1) | instskip(NEXT) | instid1(SALU_CYCLE_1)
	s_bitset1_b32 s0, 10
	s_mov_b32 m0, s0
	s_sendmsg sendmsg(MSG_INTERRUPT)
	s_mov_b32 m0, ttmp2
.LBB272_1087:                           ; =>This Inner Loop Header: Depth=1
	s_sethalt 5
	s_branch .LBB272_1087
.LBB272_1088:
	s_mov_b32 s0, -1
	s_mov_b32 s11, 0
.LBB272_1089:
                                        ; implicit-def: $vgpr5
.LBB272_1090:
	s_and_b32 vcc_lo, exec_lo, s1
	s_cbranch_vccz .LBB272_1093
; %bb.1091:
	v_cmp_eq_u16_e32 vcc_lo, 44, v4
	s_cbranch_vccz .LBB272_1094
; %bb.1092:
	global_load_u8 v5, v[0:1], off
	s_mov_b32 s0, 0
	s_mov_b32 s11, -1
	s_waitcnt vmcnt(0)
	v_lshlrev_b32_e32 v7, 23, v5
	v_cmp_ne_u32_e32 vcc_lo, 0xff, v5
	s_delay_alu instid0(VALU_DEP_2) | instskip(SKIP_1) | instid1(VALU_DEP_2)
	v_cndmask_b32_e32 v7, 0x7f800001, v7, vcc_lo
	v_cmp_ne_u32_e32 vcc_lo, 0, v5
	v_cndmask_b32_e32 v5, 0x400000, v7, vcc_lo
	s_delay_alu instid0(VALU_DEP_1) | instskip(SKIP_1) | instid1(VALU_DEP_2)
	v_add_nc_u32_e32 v7, 0x7fff, v5
	v_cmp_o_f32_e32 vcc_lo, v5, v5
	v_lshrrev_b32_e32 v7, 16, v7
	s_delay_alu instid0(VALU_DEP_1)
	v_cndmask_b32_e32 v5, 0x7fc0, v7, vcc_lo
.LBB272_1093:
	s_branch .LBB272_1098
.LBB272_1094:
	s_mov_b32 s0, -1
                                        ; implicit-def: $vgpr5
	s_branch .LBB272_1098
.LBB272_1095:
	v_cmp_eq_u16_e32 vcc_lo, 29, v4
	s_cbranch_vccz .LBB272_1097
; %bb.1096:
	global_load_b64 v[7:8], v[0:1], off
	s_mov_b32 s0, 0
	s_mov_b32 s11, -1
	s_mov_b32 s1, 0
	s_waitcnt vmcnt(0)
	v_clz_i32_u32_e32 v5, v8
	s_delay_alu instid0(VALU_DEP_1) | instskip(NEXT) | instid1(VALU_DEP_1)
	v_min_u32_e32 v5, 32, v5
	v_lshlrev_b64 v[7:8], v5, v[7:8]
	v_sub_nc_u32_e32 v5, 32, v5
	s_delay_alu instid0(VALU_DEP_2) | instskip(NEXT) | instid1(VALU_DEP_1)
	v_min_u32_e32 v7, 1, v7
	v_or_b32_e32 v7, v8, v7
	s_delay_alu instid0(VALU_DEP_1) | instskip(NEXT) | instid1(VALU_DEP_1)
	v_cvt_f32_u32_e32 v7, v7
	v_ldexp_f32 v5, v7, v5
	s_delay_alu instid0(VALU_DEP_1) | instskip(NEXT) | instid1(VALU_DEP_1)
	v_bfe_u32 v7, v5, 16, 1
	v_add3_u32 v5, v5, v7, 0x7fff
	s_delay_alu instid0(VALU_DEP_1)
	v_lshrrev_b32_e32 v5, 16, v5
	s_branch .LBB272_1099
.LBB272_1097:
	s_mov_b32 s0, -1
                                        ; implicit-def: $vgpr5
.LBB272_1098:
	s_mov_b32 s1, 0
.LBB272_1099:
	s_delay_alu instid0(SALU_CYCLE_1)
	s_and_b32 vcc_lo, exec_lo, s1
	s_cbranch_vccz .LBB272_1117
; %bb.1100:
	v_cmp_gt_i16_e32 vcc_lo, 27, v4
	s_cbranch_vccnz .LBB272_1103
; %bb.1101:
	v_cmp_lt_i16_e32 vcc_lo, 27, v4
	s_cbranch_vccz .LBB272_1104
; %bb.1102:
	global_load_b32 v5, v[0:1], off
	s_mov_b32 s1, 0
	s_waitcnt vmcnt(0)
	v_cvt_f32_u32_e32 v5, v5
	s_delay_alu instid0(VALU_DEP_1) | instskip(NEXT) | instid1(VALU_DEP_1)
	v_bfe_u32 v7, v5, 16, 1
	v_add3_u32 v5, v5, v7, 0x7fff
	s_delay_alu instid0(VALU_DEP_1)
	v_lshrrev_b32_e32 v5, 16, v5
	s_branch .LBB272_1105
.LBB272_1103:
	s_mov_b32 s1, -1
                                        ; implicit-def: $vgpr5
	s_branch .LBB272_1108
.LBB272_1104:
	s_mov_b32 s1, -1
                                        ; implicit-def: $vgpr5
.LBB272_1105:
	s_delay_alu instid0(SALU_CYCLE_1)
	s_and_not1_b32 vcc_lo, exec_lo, s1
	s_cbranch_vccnz .LBB272_1107
; %bb.1106:
	global_load_u16 v5, v[0:1], off
	s_waitcnt vmcnt(0)
	v_cvt_f32_u32_e32 v5, v5
	s_delay_alu instid0(VALU_DEP_1) | instskip(NEXT) | instid1(VALU_DEP_1)
	v_bfe_u32 v7, v5, 16, 1
	v_add3_u32 v5, v5, v7, 0x7fff
	s_delay_alu instid0(VALU_DEP_1)
	v_lshrrev_b32_e32 v5, 16, v5
.LBB272_1107:
	s_mov_b32 s1, 0
.LBB272_1108:
	s_delay_alu instid0(SALU_CYCLE_1)
	s_and_not1_b32 vcc_lo, exec_lo, s1
	s_cbranch_vccnz .LBB272_1116
; %bb.1109:
	global_load_u8 v5, v[0:1], off
	s_mov_b32 s1, 0
	s_mov_b32 s12, exec_lo
                                        ; implicit-def: $sgpr11
	s_waitcnt vmcnt(0)
	v_cmpx_lt_i16_e32 0x7f, v5
	s_xor_b32 s12, exec_lo, s12
	s_cbranch_execz .LBB272_1129
; %bb.1110:
	s_mov_b32 s1, -1
	s_mov_b32 s13, exec_lo
                                        ; implicit-def: $sgpr11
	v_cmpx_eq_u16_e32 0x80, v5
; %bb.1111:
	s_mov_b32 s11, 0x7f800001
	s_xor_b32 s1, exec_lo, -1
; %bb.1112:
	s_or_b32 exec_lo, exec_lo, s13
	s_delay_alu instid0(SALU_CYCLE_1)
	s_and_b32 s1, s1, exec_lo
	s_or_saveexec_b32 s12, s12
	v_mov_b32_e32 v7, s11
	s_xor_b32 exec_lo, exec_lo, s12
	s_cbranch_execnz .LBB272_1130
.LBB272_1113:
	s_or_b32 exec_lo, exec_lo, s12
	s_and_saveexec_b32 s11, s1
	s_cbranch_execz .LBB272_1115
.LBB272_1114:
	v_and_b32_e32 v7, 0xffff, v5
	v_lshlrev_b32_e32 v5, 24, v5
	s_delay_alu instid0(VALU_DEP_2) | instskip(NEXT) | instid1(VALU_DEP_2)
	v_and_b32_e32 v8, 7, v7
	v_and_b32_e32 v5, 0x80000000, v5
	s_delay_alu instid0(VALU_DEP_2) | instskip(NEXT) | instid1(VALU_DEP_1)
	v_clz_i32_u32_e32 v9, v8
	v_min_u32_e32 v9, 32, v9
	s_delay_alu instid0(VALU_DEP_1) | instskip(SKIP_1) | instid1(VALU_DEP_2)
	v_subrev_nc_u32_e32 v10, 28, v9
	v_sub_nc_u32_e32 v9, 29, v9
	v_lshlrev_b32_e32 v10, v10, v7
	v_bfe_u32 v7, v7, 3, 4
	s_delay_alu instid0(VALU_DEP_2) | instskip(NEXT) | instid1(VALU_DEP_2)
	v_and_b32_e32 v10, 7, v10
	v_cmp_eq_u32_e32 vcc_lo, 0, v7
	s_delay_alu instid0(VALU_DEP_2) | instskip(NEXT) | instid1(VALU_DEP_1)
	v_dual_cndmask_b32 v7, v7, v9 :: v_dual_cndmask_b32 v8, v8, v10
	v_lshl_add_u32 v7, v7, 23, 0x3b800000
	s_delay_alu instid0(VALU_DEP_2) | instskip(NEXT) | instid1(VALU_DEP_1)
	v_lshlrev_b32_e32 v8, 20, v8
	v_or3_b32 v7, v5, v7, v8
.LBB272_1115:
	s_or_b32 exec_lo, exec_lo, s11
	s_delay_alu instid0(VALU_DEP_1) | instskip(SKIP_1) | instid1(VALU_DEP_2)
	v_bfe_u32 v5, v7, 16, 1
	v_cmp_o_f32_e32 vcc_lo, v7, v7
	v_add3_u32 v5, v7, v5, 0x7fff
	s_delay_alu instid0(VALU_DEP_1) | instskip(NEXT) | instid1(VALU_DEP_1)
	v_lshrrev_b32_e32 v5, 16, v5
	v_cndmask_b32_e32 v5, 0x7fc0, v5, vcc_lo
.LBB272_1116:
	s_mov_b32 s11, -1
.LBB272_1117:
	s_branch .LBB272_1149
.LBB272_1118:
	v_cmp_lt_i16_e32 vcc_lo, 22, v4
	s_cbranch_vccz .LBB272_1128
; %bb.1119:
	v_cmp_gt_i16_e32 vcc_lo, 24, v4
	s_cbranch_vccnz .LBB272_1131
; %bb.1120:
	v_cmp_lt_i16_e32 vcc_lo, 24, v4
	s_cbranch_vccz .LBB272_1132
; %bb.1121:
	global_load_u8 v5, v[0:1], off
	s_mov_b32 s1, 0
	s_mov_b32 s11, exec_lo
                                        ; implicit-def: $sgpr10
	s_waitcnt vmcnt(0)
	v_cmpx_lt_i16_e32 0x7f, v5
	s_xor_b32 s11, exec_lo, s11
	s_cbranch_execz .LBB272_1143
; %bb.1122:
	s_mov_b32 s1, -1
	s_mov_b32 s12, exec_lo
                                        ; implicit-def: $sgpr10
	v_cmpx_eq_u16_e32 0x80, v5
; %bb.1123:
	s_mov_b32 s10, 0x7f800001
	s_xor_b32 s1, exec_lo, -1
; %bb.1124:
	s_or_b32 exec_lo, exec_lo, s12
	s_delay_alu instid0(SALU_CYCLE_1)
	s_and_b32 s1, s1, exec_lo
	s_or_saveexec_b32 s11, s11
	v_mov_b32_e32 v7, s10
	s_xor_b32 exec_lo, exec_lo, s11
	s_cbranch_execnz .LBB272_1144
.LBB272_1125:
	s_or_b32 exec_lo, exec_lo, s11
	s_and_saveexec_b32 s10, s1
	s_cbranch_execz .LBB272_1127
.LBB272_1126:
	v_and_b32_e32 v7, 0xffff, v5
	v_lshlrev_b32_e32 v5, 24, v5
	s_delay_alu instid0(VALU_DEP_2) | instskip(NEXT) | instid1(VALU_DEP_2)
	v_and_b32_e32 v8, 3, v7
	v_and_b32_e32 v5, 0x80000000, v5
	s_delay_alu instid0(VALU_DEP_2) | instskip(NEXT) | instid1(VALU_DEP_1)
	v_clz_i32_u32_e32 v9, v8
	v_min_u32_e32 v9, 32, v9
	s_delay_alu instid0(VALU_DEP_1) | instskip(SKIP_1) | instid1(VALU_DEP_2)
	v_subrev_nc_u32_e32 v10, 29, v9
	v_sub_nc_u32_e32 v9, 30, v9
	v_lshlrev_b32_e32 v10, v10, v7
	v_bfe_u32 v7, v7, 2, 5
	s_delay_alu instid0(VALU_DEP_2) | instskip(NEXT) | instid1(VALU_DEP_2)
	v_and_b32_e32 v10, 3, v10
	v_cmp_eq_u32_e32 vcc_lo, 0, v7
	s_delay_alu instid0(VALU_DEP_2) | instskip(NEXT) | instid1(VALU_DEP_1)
	v_dual_cndmask_b32 v7, v7, v9 :: v_dual_cndmask_b32 v8, v8, v10
	v_lshl_add_u32 v7, v7, 23, 0x37800000
	s_delay_alu instid0(VALU_DEP_2) | instskip(NEXT) | instid1(VALU_DEP_1)
	v_lshlrev_b32_e32 v8, 21, v8
	v_or3_b32 v7, v5, v7, v8
.LBB272_1127:
	s_or_b32 exec_lo, exec_lo, s10
	s_delay_alu instid0(VALU_DEP_1) | instskip(SKIP_2) | instid1(VALU_DEP_2)
	v_bfe_u32 v5, v7, 16, 1
	v_cmp_o_f32_e32 vcc_lo, v7, v7
	s_mov_b32 s1, 0
	v_add3_u32 v5, v7, v5, 0x7fff
	s_delay_alu instid0(VALU_DEP_1) | instskip(NEXT) | instid1(VALU_DEP_1)
	v_lshrrev_b32_e32 v5, 16, v5
	v_cndmask_b32_e32 v5, 0x7fc0, v5, vcc_lo
	s_branch .LBB272_1133
.LBB272_1128:
                                        ; implicit-def: $vgpr5
	s_mov_b32 s10, 0
	s_branch .LBB272_1139
.LBB272_1129:
	s_or_saveexec_b32 s12, s12
	v_mov_b32_e32 v7, s11
	s_xor_b32 exec_lo, exec_lo, s12
	s_cbranch_execz .LBB272_1113
.LBB272_1130:
	v_cmp_ne_u16_e32 vcc_lo, 0, v5
	v_mov_b32_e32 v7, 0
	s_and_not1_b32 s1, s1, exec_lo
	s_and_b32 s11, vcc_lo, exec_lo
	s_delay_alu instid0(SALU_CYCLE_1)
	s_or_b32 s1, s1, s11
	s_or_b32 exec_lo, exec_lo, s12
	s_and_saveexec_b32 s11, s1
	s_cbranch_execnz .LBB272_1114
	s_branch .LBB272_1115
.LBB272_1131:
	s_mov_b32 s1, -1
                                        ; implicit-def: $vgpr5
	s_branch .LBB272_1136
.LBB272_1132:
	s_mov_b32 s1, -1
                                        ; implicit-def: $vgpr5
.LBB272_1133:
	s_delay_alu instid0(SALU_CYCLE_1)
	s_and_b32 vcc_lo, exec_lo, s1
	s_cbranch_vccz .LBB272_1135
; %bb.1134:
	global_load_u8 v5, v[0:1], off
	s_waitcnt vmcnt(0)
	v_lshlrev_b32_e32 v5, 24, v5
	s_delay_alu instid0(VALU_DEP_1) | instskip(NEXT) | instid1(VALU_DEP_1)
	v_and_b32_e32 v7, 0x7f000000, v5
	v_clz_i32_u32_e32 v8, v7
	v_cmp_ne_u32_e32 vcc_lo, 0, v7
	v_add_nc_u32_e32 v10, 0x1000000, v7
	s_delay_alu instid0(VALU_DEP_3) | instskip(NEXT) | instid1(VALU_DEP_1)
	v_min_u32_e32 v8, 32, v8
	v_sub_nc_u32_e64 v8, v8, 4 clamp
	s_delay_alu instid0(VALU_DEP_1) | instskip(SKIP_1) | instid1(VALU_DEP_2)
	v_lshlrev_b32_e32 v9, v8, v7
	v_lshlrev_b32_e32 v8, 23, v8
	v_lshrrev_b32_e32 v9, 4, v9
	s_delay_alu instid0(VALU_DEP_1) | instskip(SKIP_1) | instid1(VALU_DEP_2)
	v_sub_nc_u32_e32 v8, v9, v8
	v_ashrrev_i32_e32 v9, 8, v10
	v_add_nc_u32_e32 v8, 0x3c000000, v8
	s_delay_alu instid0(VALU_DEP_1) | instskip(NEXT) | instid1(VALU_DEP_1)
	v_and_or_b32 v8, 0x7f800000, v9, v8
	v_cndmask_b32_e32 v7, 0, v8, vcc_lo
	s_delay_alu instid0(VALU_DEP_1) | instskip(SKIP_1) | instid1(VALU_DEP_2)
	v_and_or_b32 v5, 0x80000000, v5, v7
	v_bfe_u32 v7, v7, 16, 1
	v_cmp_o_f32_e32 vcc_lo, v5, v5
	s_delay_alu instid0(VALU_DEP_2) | instskip(NEXT) | instid1(VALU_DEP_1)
	v_add3_u32 v7, v5, v7, 0x7fff
	v_lshrrev_b32_e32 v7, 16, v7
	s_delay_alu instid0(VALU_DEP_1)
	v_cndmask_b32_e32 v5, 0x7fc0, v7, vcc_lo
.LBB272_1135:
	s_mov_b32 s1, 0
.LBB272_1136:
	s_delay_alu instid0(SALU_CYCLE_1)
	s_and_not1_b32 vcc_lo, exec_lo, s1
	s_cbranch_vccnz .LBB272_1138
; %bb.1137:
	global_load_u8 v5, v[0:1], off
	s_waitcnt vmcnt(0)
	v_lshlrev_b32_e32 v7, 25, v5
	v_lshlrev_b16 v5, 8, v5
	s_delay_alu instid0(VALU_DEP_2) | instskip(NEXT) | instid1(VALU_DEP_2)
	v_lshrrev_b32_e32 v8, 4, v7
	v_and_or_b32 v9, 0x7f00, v5, 0.5
	v_bfe_i32 v5, v5, 0, 16
	s_delay_alu instid0(VALU_DEP_3) | instskip(NEXT) | instid1(VALU_DEP_1)
	v_or_b32_e32 v8, 0x70000000, v8
	v_dual_add_f32 v9, -0.5, v9 :: v_dual_mul_f32 v8, 0x7800000, v8
	v_cmp_gt_u32_e32 vcc_lo, 0x8000000, v7
	s_delay_alu instid0(VALU_DEP_2) | instskip(NEXT) | instid1(VALU_DEP_1)
	v_cndmask_b32_e32 v7, v8, v9, vcc_lo
	v_and_or_b32 v5, 0x80000000, v5, v7
	v_bfe_u32 v7, v7, 16, 1
	s_delay_alu instid0(VALU_DEP_2) | instskip(NEXT) | instid1(VALU_DEP_2)
	v_cmp_o_f32_e32 vcc_lo, v5, v5
	v_add3_u32 v7, v5, v7, 0x7fff
	s_delay_alu instid0(VALU_DEP_1) | instskip(NEXT) | instid1(VALU_DEP_1)
	v_lshrrev_b32_e32 v7, 16, v7
	v_cndmask_b32_e32 v5, 0x7fc0, v7, vcc_lo
.LBB272_1138:
	s_mov_b32 s11, -1
	s_mov_b32 s10, 0
	s_cbranch_execnz .LBB272_1149
.LBB272_1139:
	v_cmp_lt_i16_e32 vcc_lo, 14, v4
	s_cbranch_vccz .LBB272_1142
; %bb.1140:
	v_cmp_eq_u16_e32 vcc_lo, 15, v4
	s_cbranch_vccz .LBB272_1145
; %bb.1141:
	global_load_u16 v5, v[0:1], off
	s_mov_b32 s0, 0
	s_mov_b32 s11, -1
	s_branch .LBB272_1146
.LBB272_1142:
	s_mov_b32 s1, -1
                                        ; implicit-def: $vgpr5
	s_branch .LBB272_1147
.LBB272_1143:
	s_or_saveexec_b32 s11, s11
	v_mov_b32_e32 v7, s10
	s_xor_b32 exec_lo, exec_lo, s11
	s_cbranch_execz .LBB272_1125
.LBB272_1144:
	v_cmp_ne_u16_e32 vcc_lo, 0, v5
	v_mov_b32_e32 v7, 0
	s_and_not1_b32 s1, s1, exec_lo
	s_and_b32 s10, vcc_lo, exec_lo
	s_delay_alu instid0(SALU_CYCLE_1)
	s_or_b32 s1, s1, s10
	s_or_b32 exec_lo, exec_lo, s11
	s_and_saveexec_b32 s10, s1
	s_cbranch_execnz .LBB272_1126
	s_branch .LBB272_1127
.LBB272_1145:
	s_mov_b32 s0, -1
                                        ; implicit-def: $vgpr5
.LBB272_1146:
	s_mov_b32 s1, 0
.LBB272_1147:
	s_delay_alu instid0(SALU_CYCLE_1)
	s_and_b32 vcc_lo, exec_lo, s1
	s_cbranch_vccz .LBB272_1149
; %bb.1148:
	v_cmp_ne_u16_e64 s0, 11, v4
	s_mov_b32 s10, -1
                                        ; implicit-def: $vgpr5
.LBB272_1149:
	s_delay_alu instid0(VALU_DEP_1)
	s_and_b32 vcc_lo, exec_lo, s0
	s_mov_b32 s1, s9
	s_cbranch_vccnz .LBB272_1173
; %bb.1150:
	s_and_not1_b32 vcc_lo, exec_lo, s10
	s_cbranch_vccnz .LBB272_1152
.LBB272_1151:
	global_load_u8 v5, v[0:1], off
	s_mov_b32 s11, -1
	s_waitcnt vmcnt(0)
	v_cmp_ne_u16_e32 vcc_lo, 0, v5
	v_cndmask_b32_e64 v5, 0, 1.0, vcc_lo
	s_delay_alu instid0(VALU_DEP_1)
	v_lshrrev_b32_e32 v5, 16, v5
.LBB272_1152:
.LBB272_1153:
	s_and_not1_b32 vcc_lo, exec_lo, s11
	s_cbranch_vccnz .LBB272_1986
.LBB272_1154:
	s_lshl_b32 s3, s3, 7
	v_cmp_gt_i16_e32 vcc_lo, 11, v4
	v_add_nc_u32_e32 v7, s3, v6
	s_delay_alu instid0(VALU_DEP_1) | instskip(SKIP_1) | instid1(VALU_DEP_1)
	v_ashrrev_i32_e32 v1, 31, v7
	v_add_co_u32 v0, s0, s6, v7
	v_add_co_ci_u32_e64 v1, s0, s7, v1, s0
	s_cbranch_vccnz .LBB272_1161
; %bb.1155:
	v_cmp_lt_i16_e32 vcc_lo, 25, v4
	s_mov_b32 s10, 0
	s_cbranch_vccz .LBB272_1167
; %bb.1156:
	v_cmp_lt_i16_e32 vcc_lo, 28, v4
	s_cbranch_vccz .LBB272_1169
; %bb.1157:
	v_cmp_lt_i16_e32 vcc_lo, 43, v4
	;; [unrolled: 3-line block ×3, first 2 shown]
	s_cbranch_vccz .LBB272_1177
; %bb.1159:
	v_cmp_eq_u16_e32 vcc_lo, 46, v4
	s_mov_b32 s12, 0
	s_cbranch_vccz .LBB272_1221
; %bb.1160:
	global_load_b32 v6, v[0:1], off
	s_mov_b32 s0, 0
	s_mov_b32 s11, -1
	s_branch .LBB272_1223
.LBB272_1161:
	s_mov_b32 s11, 0
                                        ; implicit-def: $vgpr6
	s_cbranch_execz .LBB272_1288
; %bb.1162:
	v_cmp_gt_i16_e32 vcc_lo, 5, v4
	s_cbranch_vccnz .LBB272_1168
; %bb.1163:
	v_cmp_gt_i16_e32 vcc_lo, 8, v4
	s_cbranch_vccnz .LBB272_1170
	;; [unrolled: 3-line block ×3, first 2 shown]
; %bb.1165:
	v_cmp_lt_i16_e32 vcc_lo, 9, v4
	s_cbranch_vccz .LBB272_1178
; %bb.1166:
	global_load_b64 v[8:9], v[0:1], off
	s_mov_b32 s0, 0
	s_waitcnt vmcnt(0)
	v_cvt_f32_f64_e32 v6, v[8:9]
	s_delay_alu instid0(VALU_DEP_1) | instskip(SKIP_1) | instid1(VALU_DEP_2)
	v_bfe_u32 v8, v6, 16, 1
	v_cmp_o_f32_e32 vcc_lo, v6, v6
	v_add3_u32 v8, v6, v8, 0x7fff
	s_delay_alu instid0(VALU_DEP_1) | instskip(NEXT) | instid1(VALU_DEP_1)
	v_lshrrev_b32_e32 v8, 16, v8
	v_cndmask_b32_e32 v6, 0x7fc0, v8, vcc_lo
	s_branch .LBB272_1179
.LBB272_1167:
	s_mov_b32 s11, 0
	s_mov_b32 s0, 0
                                        ; implicit-def: $vgpr6
	s_cbranch_execnz .LBB272_1252
	s_branch .LBB272_1284
.LBB272_1168:
                                        ; implicit-def: $vgpr6
	s_branch .LBB272_1197
.LBB272_1169:
	s_mov_b32 s12, -1
	s_mov_b32 s11, 0
	s_mov_b32 s0, 0
                                        ; implicit-def: $vgpr6
	s_branch .LBB272_1233
.LBB272_1170:
	s_mov_b32 s0, -1
                                        ; implicit-def: $vgpr6
	s_branch .LBB272_1185
.LBB272_1171:
	s_mov_b32 s12, -1
	s_mov_b32 s11, 0
	s_mov_b32 s0, 0
                                        ; implicit-def: $vgpr6
	s_branch .LBB272_1228
.LBB272_1172:
	s_mov_b32 s0, -1
                                        ; implicit-def: $vgpr6
	s_branch .LBB272_1182
.LBB272_1173:
	s_cbranch_execnz .LBB272_1217
; %bb.1174:
	s_or_b32 s1, s9, exec_lo
                                        ; implicit-def: $vgpr5
	s_cbranch_execz .LBB272_1151
	s_branch .LBB272_1152
.LBB272_1175:
	s_or_saveexec_b32 s14, s14
                                        ; implicit-def: $sgpr15
	s_delay_alu instid0(SALU_CYCLE_1)
	s_xor_b32 exec_lo, exec_lo, s14
	s_cbranch_execz .LBB272_935
.LBB272_1176:
	v_add_f32_e64 v3, 0x46000000, |v6|
	s_and_not1_b32 s13, s13, exec_lo
	s_mov_b32 s15, 0
	s_delay_alu instid0(VALU_DEP_1) | instskip(NEXT) | instid1(VALU_DEP_1)
	v_and_b32_e32 v3, 0xff, v3
	v_cmp_ne_u32_e32 vcc_lo, 0, v3
	s_and_b32 s16, vcc_lo, exec_lo
	s_delay_alu instid0(SALU_CYCLE_1)
	s_or_b32 s13, s13, s16
	s_or_b32 exec_lo, exec_lo, s14
	v_mov_b32_e32 v7, s15
	s_and_saveexec_b32 s14, s13
	s_cbranch_execnz .LBB272_936
	s_branch .LBB272_937
.LBB272_1177:
	s_mov_b32 s12, -1
	s_mov_b32 s11, 0
	s_mov_b32 s0, 0
	s_branch .LBB272_1222
.LBB272_1178:
	s_mov_b32 s0, -1
                                        ; implicit-def: $vgpr6
.LBB272_1179:
	s_delay_alu instid0(SALU_CYCLE_1)
	s_and_not1_b32 vcc_lo, exec_lo, s0
	s_cbranch_vccnz .LBB272_1181
; %bb.1180:
	global_load_b32 v6, v[0:1], off
	s_waitcnt vmcnt(0)
	v_bfe_u32 v8, v6, 16, 1
	v_cmp_o_f32_e32 vcc_lo, v6, v6
	s_delay_alu instid0(VALU_DEP_2) | instskip(NEXT) | instid1(VALU_DEP_1)
	v_add3_u32 v8, v6, v8, 0x7fff
	v_lshrrev_b32_e32 v8, 16, v8
	s_delay_alu instid0(VALU_DEP_1)
	v_cndmask_b32_e32 v6, 0x7fc0, v8, vcc_lo
.LBB272_1181:
	s_mov_b32 s0, 0
.LBB272_1182:
	s_delay_alu instid0(SALU_CYCLE_1)
	s_and_not1_b32 vcc_lo, exec_lo, s0
	s_cbranch_vccnz .LBB272_1184
; %bb.1183:
	global_load_b32 v6, v[0:1], off
	s_waitcnt vmcnt(0)
	v_cvt_f32_f16_e32 v8, v6
	v_cmp_o_f16_e32 vcc_lo, v6, v6
	s_delay_alu instid0(VALU_DEP_2) | instskip(NEXT) | instid1(VALU_DEP_1)
	v_bfe_u32 v9, v8, 16, 1
	v_add3_u32 v8, v8, v9, 0x7fff
	s_delay_alu instid0(VALU_DEP_1) | instskip(NEXT) | instid1(VALU_DEP_1)
	v_lshrrev_b32_e32 v8, 16, v8
	v_cndmask_b32_e32 v6, 0x7fc0, v8, vcc_lo
.LBB272_1184:
	s_mov_b32 s0, 0
.LBB272_1185:
	s_delay_alu instid0(SALU_CYCLE_1)
	s_and_not1_b32 vcc_lo, exec_lo, s0
	s_cbranch_vccnz .LBB272_1196
; %bb.1186:
	v_cmp_gt_i16_e32 vcc_lo, 6, v4
	s_cbranch_vccnz .LBB272_1189
; %bb.1187:
	v_cmp_lt_i16_e32 vcc_lo, 6, v4
	s_cbranch_vccz .LBB272_1190
; %bb.1188:
	global_load_b64 v[8:9], v[0:1], off
	s_mov_b32 s0, 0
	s_waitcnt vmcnt(0)
	v_cvt_f32_f64_e32 v6, v[8:9]
	s_delay_alu instid0(VALU_DEP_1) | instskip(SKIP_1) | instid1(VALU_DEP_2)
	v_bfe_u32 v8, v6, 16, 1
	v_cmp_o_f32_e32 vcc_lo, v6, v6
	v_add3_u32 v8, v6, v8, 0x7fff
	s_delay_alu instid0(VALU_DEP_1) | instskip(NEXT) | instid1(VALU_DEP_1)
	v_lshrrev_b32_e32 v8, 16, v8
	v_cndmask_b32_e32 v6, 0x7fc0, v8, vcc_lo
	s_branch .LBB272_1191
.LBB272_1189:
	s_mov_b32 s0, -1
                                        ; implicit-def: $vgpr6
	s_branch .LBB272_1194
.LBB272_1190:
	s_mov_b32 s0, -1
                                        ; implicit-def: $vgpr6
.LBB272_1191:
	s_delay_alu instid0(SALU_CYCLE_1)
	s_and_not1_b32 vcc_lo, exec_lo, s0
	s_cbranch_vccnz .LBB272_1193
; %bb.1192:
	global_load_b32 v6, v[0:1], off
	s_waitcnt vmcnt(0)
	v_bfe_u32 v8, v6, 16, 1
	v_cmp_o_f32_e32 vcc_lo, v6, v6
	s_delay_alu instid0(VALU_DEP_2) | instskip(NEXT) | instid1(VALU_DEP_1)
	v_add3_u32 v8, v6, v8, 0x7fff
	v_lshrrev_b32_e32 v8, 16, v8
	s_delay_alu instid0(VALU_DEP_1)
	v_cndmask_b32_e32 v6, 0x7fc0, v8, vcc_lo
.LBB272_1193:
	s_mov_b32 s0, 0
.LBB272_1194:
	s_delay_alu instid0(SALU_CYCLE_1)
	s_and_not1_b32 vcc_lo, exec_lo, s0
	s_cbranch_vccnz .LBB272_1196
; %bb.1195:
	global_load_u16 v6, v[0:1], off
	s_waitcnt vmcnt(0)
	v_cvt_f32_f16_e32 v8, v6
	v_cmp_o_f16_e32 vcc_lo, v6, v6
	s_delay_alu instid0(VALU_DEP_2) | instskip(NEXT) | instid1(VALU_DEP_1)
	v_bfe_u32 v9, v8, 16, 1
	v_add3_u32 v8, v8, v9, 0x7fff
	s_delay_alu instid0(VALU_DEP_1) | instskip(NEXT) | instid1(VALU_DEP_1)
	v_lshrrev_b32_e32 v8, 16, v8
	v_cndmask_b32_e32 v6, 0x7fc0, v8, vcc_lo
.LBB272_1196:
	s_cbranch_execnz .LBB272_1216
.LBB272_1197:
	v_cmp_gt_i16_e32 vcc_lo, 2, v4
	s_cbranch_vccnz .LBB272_1201
; %bb.1198:
	v_cmp_gt_i16_e32 vcc_lo, 3, v4
	s_cbranch_vccnz .LBB272_1202
; %bb.1199:
	v_cmp_lt_i16_e32 vcc_lo, 3, v4
	s_cbranch_vccz .LBB272_1203
; %bb.1200:
	global_load_b64 v[8:9], v[0:1], off
	s_mov_b32 s0, 0
	s_waitcnt vmcnt(0)
	v_xor_b32_e32 v6, v8, v9
	v_cls_i32_e32 v10, v9
	s_delay_alu instid0(VALU_DEP_2) | instskip(NEXT) | instid1(VALU_DEP_2)
	v_ashrrev_i32_e32 v6, 31, v6
	v_add_nc_u32_e32 v10, -1, v10
	s_delay_alu instid0(VALU_DEP_2) | instskip(NEXT) | instid1(VALU_DEP_1)
	v_add_nc_u32_e32 v6, 32, v6
	v_min_u32_e32 v6, v10, v6
	s_delay_alu instid0(VALU_DEP_1) | instskip(SKIP_1) | instid1(VALU_DEP_2)
	v_lshlrev_b64 v[8:9], v6, v[8:9]
	v_sub_nc_u32_e32 v6, 32, v6
	v_min_u32_e32 v8, 1, v8
	s_delay_alu instid0(VALU_DEP_1) | instskip(NEXT) | instid1(VALU_DEP_1)
	v_or_b32_e32 v8, v9, v8
	v_cvt_f32_i32_e32 v8, v8
	s_delay_alu instid0(VALU_DEP_1) | instskip(NEXT) | instid1(VALU_DEP_1)
	v_ldexp_f32 v6, v8, v6
	v_bfe_u32 v8, v6, 16, 1
	s_delay_alu instid0(VALU_DEP_1) | instskip(NEXT) | instid1(VALU_DEP_1)
	v_add3_u32 v6, v6, v8, 0x7fff
	v_lshrrev_b32_e32 v6, 16, v6
	s_branch .LBB272_1204
.LBB272_1201:
	s_mov_b32 s0, -1
                                        ; implicit-def: $vgpr6
	s_branch .LBB272_1210
.LBB272_1202:
	s_mov_b32 s0, -1
                                        ; implicit-def: $vgpr6
	s_branch .LBB272_1207
.LBB272_1203:
	s_mov_b32 s0, -1
                                        ; implicit-def: $vgpr6
.LBB272_1204:
	s_delay_alu instid0(SALU_CYCLE_1)
	s_and_not1_b32 vcc_lo, exec_lo, s0
	s_cbranch_vccnz .LBB272_1206
; %bb.1205:
	global_load_b32 v6, v[0:1], off
	s_waitcnt vmcnt(0)
	v_cvt_f32_i32_e32 v6, v6
	s_delay_alu instid0(VALU_DEP_1) | instskip(NEXT) | instid1(VALU_DEP_1)
	v_bfe_u32 v8, v6, 16, 1
	v_add3_u32 v6, v6, v8, 0x7fff
	s_delay_alu instid0(VALU_DEP_1)
	v_lshrrev_b32_e32 v6, 16, v6
.LBB272_1206:
	s_mov_b32 s0, 0
.LBB272_1207:
	s_delay_alu instid0(SALU_CYCLE_1)
	s_and_not1_b32 vcc_lo, exec_lo, s0
	s_cbranch_vccnz .LBB272_1209
; %bb.1208:
	global_load_i16 v6, v[0:1], off
	s_waitcnt vmcnt(0)
	v_cvt_f32_i32_e32 v6, v6
	s_delay_alu instid0(VALU_DEP_1) | instskip(NEXT) | instid1(VALU_DEP_1)
	v_bfe_u32 v8, v6, 16, 1
	v_add3_u32 v6, v6, v8, 0x7fff
	s_delay_alu instid0(VALU_DEP_1)
	v_lshrrev_b32_e32 v6, 16, v6
.LBB272_1209:
	s_mov_b32 s0, 0
.LBB272_1210:
	s_delay_alu instid0(SALU_CYCLE_1)
	s_and_not1_b32 vcc_lo, exec_lo, s0
	s_cbranch_vccnz .LBB272_1216
; %bb.1211:
	v_cmp_lt_i16_e32 vcc_lo, 0, v4
	s_mov_b32 s0, 0
	s_cbranch_vccz .LBB272_1213
; %bb.1212:
	global_load_i8 v6, v[0:1], off
	s_waitcnt vmcnt(0)
	v_cvt_f32_i32_e32 v6, v6
	s_delay_alu instid0(VALU_DEP_1) | instskip(NEXT) | instid1(VALU_DEP_1)
	v_bfe_u32 v8, v6, 16, 1
	v_add3_u32 v6, v6, v8, 0x7fff
	s_delay_alu instid0(VALU_DEP_1)
	v_lshrrev_b32_e32 v6, 16, v6
	s_branch .LBB272_1214
.LBB272_1213:
	s_mov_b32 s0, -1
                                        ; implicit-def: $vgpr6
.LBB272_1214:
	s_delay_alu instid0(SALU_CYCLE_1)
	s_and_not1_b32 vcc_lo, exec_lo, s0
	s_cbranch_vccnz .LBB272_1216
; %bb.1215:
	global_load_u8 v0, v[0:1], off
	s_waitcnt vmcnt(0)
	v_cvt_f32_ubyte0_e32 v0, v0
	s_delay_alu instid0(VALU_DEP_1) | instskip(NEXT) | instid1(VALU_DEP_1)
	v_bfe_u32 v1, v0, 16, 1
	v_add3_u32 v0, v0, v1, 0x7fff
	s_delay_alu instid0(VALU_DEP_1)
	v_lshrrev_b32_e32 v6, 16, v0
.LBB272_1216:
	s_branch .LBB272_1289
.LBB272_1217:
	s_trap 2
	s_sendmsg_rtn_b32 s0, sendmsg(MSG_RTN_GET_DOORBELL)
	s_mov_b32 ttmp2, m0
	s_waitcnt lgkmcnt(0)
	s_and_b32 s0, s0, 0x3ff
	s_delay_alu instid0(SALU_CYCLE_1) | instskip(NEXT) | instid1(SALU_CYCLE_1)
	s_bitset1_b32 s0, 10
	s_mov_b32 m0, s0
	s_sendmsg sendmsg(MSG_INTERRUPT)
	s_mov_b32 m0, ttmp2
.LBB272_1218:                           ; =>This Inner Loop Header: Depth=1
	s_sethalt 5
	s_branch .LBB272_1218
.LBB272_1219:
	s_or_saveexec_b32 s15, s15
                                        ; implicit-def: $sgpr16
	s_delay_alu instid0(SALU_CYCLE_1)
	s_xor_b32 exec_lo, exec_lo, s15
	s_cbranch_execz .LBB272_947
.LBB272_1220:
	v_add_f32_e64 v3, 0x42800000, |v6|
	s_and_not1_b32 s14, s14, exec_lo
	s_mov_b32 s16, 0
	s_delay_alu instid0(VALU_DEP_1) | instskip(NEXT) | instid1(VALU_DEP_1)
	v_and_b32_e32 v3, 0xff, v3
	v_cmp_ne_u32_e32 vcc_lo, 0, v3
	s_and_b32 s17, vcc_lo, exec_lo
	s_delay_alu instid0(SALU_CYCLE_1)
	s_or_b32 s14, s14, s17
	s_or_b32 exec_lo, exec_lo, s15
	v_mov_b32_e32 v7, s16
	s_and_saveexec_b32 s15, s14
	s_cbranch_execnz .LBB272_948
	s_branch .LBB272_949
.LBB272_1221:
	s_mov_b32 s0, -1
	s_mov_b32 s11, 0
.LBB272_1222:
                                        ; implicit-def: $vgpr6
.LBB272_1223:
	s_and_b32 vcc_lo, exec_lo, s12
	s_cbranch_vccz .LBB272_1227
; %bb.1224:
	v_cmp_eq_u16_e32 vcc_lo, 44, v4
	s_cbranch_vccz .LBB272_1226
; %bb.1225:
	global_load_u8 v6, v[0:1], off
	s_mov_b32 s0, 0
	s_mov_b32 s11, -1
	s_waitcnt vmcnt(0)
	v_lshlrev_b32_e32 v8, 23, v6
	v_cmp_ne_u32_e32 vcc_lo, 0xff, v6
	s_delay_alu instid0(VALU_DEP_2) | instskip(SKIP_1) | instid1(VALU_DEP_2)
	v_cndmask_b32_e32 v8, 0x7f800001, v8, vcc_lo
	v_cmp_ne_u32_e32 vcc_lo, 0, v6
	v_cndmask_b32_e32 v6, 0x400000, v8, vcc_lo
	s_delay_alu instid0(VALU_DEP_1) | instskip(SKIP_1) | instid1(VALU_DEP_2)
	v_add_nc_u32_e32 v8, 0x7fff, v6
	v_cmp_o_f32_e32 vcc_lo, v6, v6
	v_lshrrev_b32_e32 v8, 16, v8
	s_delay_alu instid0(VALU_DEP_1)
	v_cndmask_b32_e32 v6, 0x7fc0, v8, vcc_lo
	s_branch .LBB272_1227
.LBB272_1226:
	s_mov_b32 s0, -1
                                        ; implicit-def: $vgpr6
.LBB272_1227:
	s_mov_b32 s12, 0
.LBB272_1228:
	s_delay_alu instid0(SALU_CYCLE_1)
	s_and_b32 vcc_lo, exec_lo, s12
	s_cbranch_vccz .LBB272_1232
; %bb.1229:
	v_cmp_eq_u16_e32 vcc_lo, 29, v4
	s_cbranch_vccz .LBB272_1231
; %bb.1230:
	global_load_b64 v[8:9], v[0:1], off
	s_mov_b32 s0, 0
	s_mov_b32 s11, -1
	s_mov_b32 s12, 0
	s_waitcnt vmcnt(0)
	v_clz_i32_u32_e32 v6, v9
	s_delay_alu instid0(VALU_DEP_1) | instskip(NEXT) | instid1(VALU_DEP_1)
	v_min_u32_e32 v6, 32, v6
	v_lshlrev_b64 v[8:9], v6, v[8:9]
	v_sub_nc_u32_e32 v6, 32, v6
	s_delay_alu instid0(VALU_DEP_2) | instskip(NEXT) | instid1(VALU_DEP_1)
	v_min_u32_e32 v8, 1, v8
	v_or_b32_e32 v8, v9, v8
	s_delay_alu instid0(VALU_DEP_1) | instskip(NEXT) | instid1(VALU_DEP_1)
	v_cvt_f32_u32_e32 v8, v8
	v_ldexp_f32 v6, v8, v6
	s_delay_alu instid0(VALU_DEP_1) | instskip(NEXT) | instid1(VALU_DEP_1)
	v_bfe_u32 v8, v6, 16, 1
	v_add3_u32 v6, v6, v8, 0x7fff
	s_delay_alu instid0(VALU_DEP_1)
	v_lshrrev_b32_e32 v6, 16, v6
	s_branch .LBB272_1233
.LBB272_1231:
	s_mov_b32 s0, -1
                                        ; implicit-def: $vgpr6
.LBB272_1232:
	s_mov_b32 s12, 0
.LBB272_1233:
	s_delay_alu instid0(SALU_CYCLE_1)
	s_and_b32 vcc_lo, exec_lo, s12
	s_cbranch_vccz .LBB272_1251
; %bb.1234:
	v_cmp_gt_i16_e32 vcc_lo, 27, v4
	s_cbranch_vccnz .LBB272_1237
; %bb.1235:
	v_cmp_lt_i16_e32 vcc_lo, 27, v4
	s_cbranch_vccz .LBB272_1238
; %bb.1236:
	global_load_b32 v6, v[0:1], off
	s_mov_b32 s11, 0
	s_waitcnt vmcnt(0)
	v_cvt_f32_u32_e32 v6, v6
	s_delay_alu instid0(VALU_DEP_1) | instskip(NEXT) | instid1(VALU_DEP_1)
	v_bfe_u32 v8, v6, 16, 1
	v_add3_u32 v6, v6, v8, 0x7fff
	s_delay_alu instid0(VALU_DEP_1)
	v_lshrrev_b32_e32 v6, 16, v6
	s_branch .LBB272_1239
.LBB272_1237:
	s_mov_b32 s11, -1
                                        ; implicit-def: $vgpr6
	s_branch .LBB272_1242
.LBB272_1238:
	s_mov_b32 s11, -1
                                        ; implicit-def: $vgpr6
.LBB272_1239:
	s_delay_alu instid0(SALU_CYCLE_1)
	s_and_not1_b32 vcc_lo, exec_lo, s11
	s_cbranch_vccnz .LBB272_1241
; %bb.1240:
	global_load_u16 v6, v[0:1], off
	s_waitcnt vmcnt(0)
	v_cvt_f32_u32_e32 v6, v6
	s_delay_alu instid0(VALU_DEP_1) | instskip(NEXT) | instid1(VALU_DEP_1)
	v_bfe_u32 v8, v6, 16, 1
	v_add3_u32 v6, v6, v8, 0x7fff
	s_delay_alu instid0(VALU_DEP_1)
	v_lshrrev_b32_e32 v6, 16, v6
.LBB272_1241:
	s_mov_b32 s11, 0
.LBB272_1242:
	s_delay_alu instid0(SALU_CYCLE_1)
	s_and_not1_b32 vcc_lo, exec_lo, s11
	s_cbranch_vccnz .LBB272_1250
; %bb.1243:
	global_load_u8 v6, v[0:1], off
	s_mov_b32 s11, 0
	s_mov_b32 s13, exec_lo
                                        ; implicit-def: $sgpr12
	s_waitcnt vmcnt(0)
	v_cmpx_lt_i16_e32 0x7f, v6
	s_xor_b32 s13, exec_lo, s13
	s_cbranch_execz .LBB272_1263
; %bb.1244:
	s_mov_b32 s11, -1
	s_mov_b32 s14, exec_lo
                                        ; implicit-def: $sgpr12
	v_cmpx_eq_u16_e32 0x80, v6
; %bb.1245:
	s_mov_b32 s12, 0x7f800001
	s_xor_b32 s11, exec_lo, -1
; %bb.1246:
	s_or_b32 exec_lo, exec_lo, s14
	s_delay_alu instid0(SALU_CYCLE_1)
	s_and_b32 s11, s11, exec_lo
	s_or_saveexec_b32 s13, s13
	v_mov_b32_e32 v8, s12
	s_xor_b32 exec_lo, exec_lo, s13
	s_cbranch_execnz .LBB272_1264
.LBB272_1247:
	s_or_b32 exec_lo, exec_lo, s13
	s_and_saveexec_b32 s12, s11
	s_cbranch_execz .LBB272_1249
.LBB272_1248:
	v_and_b32_e32 v8, 0xffff, v6
	v_lshlrev_b32_e32 v6, 24, v6
	s_delay_alu instid0(VALU_DEP_2) | instskip(NEXT) | instid1(VALU_DEP_2)
	v_and_b32_e32 v9, 7, v8
	v_and_b32_e32 v6, 0x80000000, v6
	s_delay_alu instid0(VALU_DEP_2) | instskip(NEXT) | instid1(VALU_DEP_1)
	v_clz_i32_u32_e32 v10, v9
	v_min_u32_e32 v10, 32, v10
	s_delay_alu instid0(VALU_DEP_1) | instskip(SKIP_1) | instid1(VALU_DEP_2)
	v_subrev_nc_u32_e32 v11, 28, v10
	v_sub_nc_u32_e32 v10, 29, v10
	v_lshlrev_b32_e32 v11, v11, v8
	v_bfe_u32 v8, v8, 3, 4
	s_delay_alu instid0(VALU_DEP_2) | instskip(NEXT) | instid1(VALU_DEP_2)
	v_and_b32_e32 v11, 7, v11
	v_cmp_eq_u32_e32 vcc_lo, 0, v8
	s_delay_alu instid0(VALU_DEP_2) | instskip(NEXT) | instid1(VALU_DEP_1)
	v_dual_cndmask_b32 v8, v8, v10 :: v_dual_cndmask_b32 v9, v9, v11
	v_lshl_add_u32 v8, v8, 23, 0x3b800000
	s_delay_alu instid0(VALU_DEP_2) | instskip(NEXT) | instid1(VALU_DEP_1)
	v_lshlrev_b32_e32 v9, 20, v9
	v_or3_b32 v8, v6, v8, v9
.LBB272_1249:
	s_or_b32 exec_lo, exec_lo, s12
	s_delay_alu instid0(VALU_DEP_1) | instskip(SKIP_1) | instid1(VALU_DEP_2)
	v_bfe_u32 v6, v8, 16, 1
	v_cmp_o_f32_e32 vcc_lo, v8, v8
	v_add3_u32 v6, v8, v6, 0x7fff
	s_delay_alu instid0(VALU_DEP_1) | instskip(NEXT) | instid1(VALU_DEP_1)
	v_lshrrev_b32_e32 v6, 16, v6
	v_cndmask_b32_e32 v6, 0x7fc0, v6, vcc_lo
.LBB272_1250:
	s_mov_b32 s11, -1
.LBB272_1251:
	s_branch .LBB272_1284
.LBB272_1252:
	v_cmp_lt_i16_e32 vcc_lo, 22, v4
	s_cbranch_vccz .LBB272_1262
; %bb.1253:
	v_cmp_gt_i16_e32 vcc_lo, 24, v4
	s_cbranch_vccnz .LBB272_1265
; %bb.1254:
	v_cmp_lt_i16_e32 vcc_lo, 24, v4
	s_cbranch_vccz .LBB272_1266
; %bb.1255:
	global_load_u8 v6, v[0:1], off
	s_mov_b32 s12, exec_lo
                                        ; implicit-def: $sgpr11
	s_waitcnt vmcnt(0)
	v_cmpx_lt_i16_e32 0x7f, v6
	s_xor_b32 s12, exec_lo, s12
	s_cbranch_execz .LBB272_1278
; %bb.1256:
	s_mov_b32 s10, -1
	s_mov_b32 s13, exec_lo
                                        ; implicit-def: $sgpr11
	v_cmpx_eq_u16_e32 0x80, v6
; %bb.1257:
	s_mov_b32 s11, 0x7f800001
	s_xor_b32 s10, exec_lo, -1
; %bb.1258:
	s_or_b32 exec_lo, exec_lo, s13
	s_delay_alu instid0(SALU_CYCLE_1)
	s_and_b32 s10, s10, exec_lo
	s_or_saveexec_b32 s12, s12
	v_mov_b32_e32 v8, s11
	s_xor_b32 exec_lo, exec_lo, s12
	s_cbranch_execnz .LBB272_1279
.LBB272_1259:
	s_or_b32 exec_lo, exec_lo, s12
	s_and_saveexec_b32 s11, s10
	s_cbranch_execz .LBB272_1261
.LBB272_1260:
	v_and_b32_e32 v8, 0xffff, v6
	v_lshlrev_b32_e32 v6, 24, v6
	s_delay_alu instid0(VALU_DEP_2) | instskip(NEXT) | instid1(VALU_DEP_2)
	v_and_b32_e32 v9, 3, v8
	v_and_b32_e32 v6, 0x80000000, v6
	s_delay_alu instid0(VALU_DEP_2) | instskip(NEXT) | instid1(VALU_DEP_1)
	v_clz_i32_u32_e32 v10, v9
	v_min_u32_e32 v10, 32, v10
	s_delay_alu instid0(VALU_DEP_1) | instskip(SKIP_1) | instid1(VALU_DEP_2)
	v_subrev_nc_u32_e32 v11, 29, v10
	v_sub_nc_u32_e32 v10, 30, v10
	v_lshlrev_b32_e32 v11, v11, v8
	v_bfe_u32 v8, v8, 2, 5
	s_delay_alu instid0(VALU_DEP_2) | instskip(NEXT) | instid1(VALU_DEP_2)
	v_and_b32_e32 v11, 3, v11
	v_cmp_eq_u32_e32 vcc_lo, 0, v8
	s_delay_alu instid0(VALU_DEP_2) | instskip(NEXT) | instid1(VALU_DEP_1)
	v_dual_cndmask_b32 v8, v8, v10 :: v_dual_cndmask_b32 v9, v9, v11
	v_lshl_add_u32 v8, v8, 23, 0x37800000
	s_delay_alu instid0(VALU_DEP_2) | instskip(NEXT) | instid1(VALU_DEP_1)
	v_lshlrev_b32_e32 v9, 21, v9
	v_or3_b32 v8, v6, v8, v9
.LBB272_1261:
	s_or_b32 exec_lo, exec_lo, s11
	s_delay_alu instid0(VALU_DEP_1) | instskip(SKIP_2) | instid1(VALU_DEP_2)
	v_bfe_u32 v6, v8, 16, 1
	v_cmp_o_f32_e32 vcc_lo, v8, v8
	s_mov_b32 s10, 0
	v_add3_u32 v6, v8, v6, 0x7fff
	s_delay_alu instid0(VALU_DEP_1) | instskip(NEXT) | instid1(VALU_DEP_1)
	v_lshrrev_b32_e32 v6, 16, v6
	v_cndmask_b32_e32 v6, 0x7fc0, v6, vcc_lo
	s_branch .LBB272_1267
.LBB272_1262:
	s_mov_b32 s10, -1
                                        ; implicit-def: $vgpr6
	s_branch .LBB272_1273
.LBB272_1263:
	s_or_saveexec_b32 s13, s13
	v_mov_b32_e32 v8, s12
	s_xor_b32 exec_lo, exec_lo, s13
	s_cbranch_execz .LBB272_1247
.LBB272_1264:
	v_cmp_ne_u16_e32 vcc_lo, 0, v6
	v_mov_b32_e32 v8, 0
	s_and_not1_b32 s11, s11, exec_lo
	s_and_b32 s12, vcc_lo, exec_lo
	s_delay_alu instid0(SALU_CYCLE_1)
	s_or_b32 s11, s11, s12
	s_or_b32 exec_lo, exec_lo, s13
	s_and_saveexec_b32 s12, s11
	s_cbranch_execnz .LBB272_1248
	s_branch .LBB272_1249
.LBB272_1265:
	s_mov_b32 s10, -1
                                        ; implicit-def: $vgpr6
	s_branch .LBB272_1270
.LBB272_1266:
	s_mov_b32 s10, -1
                                        ; implicit-def: $vgpr6
.LBB272_1267:
	s_delay_alu instid0(SALU_CYCLE_1)
	s_and_b32 vcc_lo, exec_lo, s10
	s_cbranch_vccz .LBB272_1269
; %bb.1268:
	global_load_u8 v6, v[0:1], off
	s_waitcnt vmcnt(0)
	v_lshlrev_b32_e32 v6, 24, v6
	s_delay_alu instid0(VALU_DEP_1) | instskip(NEXT) | instid1(VALU_DEP_1)
	v_and_b32_e32 v8, 0x7f000000, v6
	v_clz_i32_u32_e32 v9, v8
	v_cmp_ne_u32_e32 vcc_lo, 0, v8
	v_add_nc_u32_e32 v11, 0x1000000, v8
	s_delay_alu instid0(VALU_DEP_3) | instskip(NEXT) | instid1(VALU_DEP_1)
	v_min_u32_e32 v9, 32, v9
	v_sub_nc_u32_e64 v9, v9, 4 clamp
	s_delay_alu instid0(VALU_DEP_1) | instskip(SKIP_1) | instid1(VALU_DEP_2)
	v_lshlrev_b32_e32 v10, v9, v8
	v_lshlrev_b32_e32 v9, 23, v9
	v_lshrrev_b32_e32 v10, 4, v10
	s_delay_alu instid0(VALU_DEP_1) | instskip(SKIP_1) | instid1(VALU_DEP_2)
	v_sub_nc_u32_e32 v9, v10, v9
	v_ashrrev_i32_e32 v10, 8, v11
	v_add_nc_u32_e32 v9, 0x3c000000, v9
	s_delay_alu instid0(VALU_DEP_1) | instskip(NEXT) | instid1(VALU_DEP_1)
	v_and_or_b32 v9, 0x7f800000, v10, v9
	v_cndmask_b32_e32 v8, 0, v9, vcc_lo
	s_delay_alu instid0(VALU_DEP_1) | instskip(SKIP_1) | instid1(VALU_DEP_2)
	v_and_or_b32 v6, 0x80000000, v6, v8
	v_bfe_u32 v8, v8, 16, 1
	v_cmp_o_f32_e32 vcc_lo, v6, v6
	s_delay_alu instid0(VALU_DEP_2) | instskip(NEXT) | instid1(VALU_DEP_1)
	v_add3_u32 v8, v6, v8, 0x7fff
	v_lshrrev_b32_e32 v8, 16, v8
	s_delay_alu instid0(VALU_DEP_1)
	v_cndmask_b32_e32 v6, 0x7fc0, v8, vcc_lo
.LBB272_1269:
	s_mov_b32 s10, 0
.LBB272_1270:
	s_delay_alu instid0(SALU_CYCLE_1)
	s_and_not1_b32 vcc_lo, exec_lo, s10
	s_cbranch_vccnz .LBB272_1272
; %bb.1271:
	global_load_u8 v6, v[0:1], off
	s_waitcnt vmcnt(0)
	v_lshlrev_b32_e32 v8, 25, v6
	v_lshlrev_b16 v6, 8, v6
	s_delay_alu instid0(VALU_DEP_2) | instskip(NEXT) | instid1(VALU_DEP_2)
	v_lshrrev_b32_e32 v9, 4, v8
	v_and_or_b32 v10, 0x7f00, v6, 0.5
	v_bfe_i32 v6, v6, 0, 16
	s_delay_alu instid0(VALU_DEP_3) | instskip(NEXT) | instid1(VALU_DEP_1)
	v_or_b32_e32 v9, 0x70000000, v9
	v_dual_add_f32 v10, -0.5, v10 :: v_dual_mul_f32 v9, 0x7800000, v9
	v_cmp_gt_u32_e32 vcc_lo, 0x8000000, v8
	s_delay_alu instid0(VALU_DEP_2) | instskip(NEXT) | instid1(VALU_DEP_1)
	v_cndmask_b32_e32 v8, v9, v10, vcc_lo
	v_and_or_b32 v6, 0x80000000, v6, v8
	v_bfe_u32 v8, v8, 16, 1
	s_delay_alu instid0(VALU_DEP_2) | instskip(NEXT) | instid1(VALU_DEP_2)
	v_cmp_o_f32_e32 vcc_lo, v6, v6
	v_add3_u32 v8, v6, v8, 0x7fff
	s_delay_alu instid0(VALU_DEP_1) | instskip(NEXT) | instid1(VALU_DEP_1)
	v_lshrrev_b32_e32 v8, 16, v8
	v_cndmask_b32_e32 v6, 0x7fc0, v8, vcc_lo
.LBB272_1272:
	s_mov_b32 s10, 0
	s_mov_b32 s11, -1
.LBB272_1273:
	s_and_not1_b32 vcc_lo, exec_lo, s10
	s_mov_b32 s10, 0
	s_cbranch_vccnz .LBB272_1284
; %bb.1274:
	v_cmp_lt_i16_e32 vcc_lo, 14, v4
	s_cbranch_vccz .LBB272_1277
; %bb.1275:
	v_cmp_eq_u16_e32 vcc_lo, 15, v4
	s_cbranch_vccz .LBB272_1280
; %bb.1276:
	global_load_u16 v6, v[0:1], off
	s_mov_b32 s0, 0
	s_mov_b32 s11, -1
	s_branch .LBB272_1282
.LBB272_1277:
	s_mov_b32 s10, -1
	s_branch .LBB272_1281
.LBB272_1278:
	s_or_saveexec_b32 s12, s12
	v_mov_b32_e32 v8, s11
	s_xor_b32 exec_lo, exec_lo, s12
	s_cbranch_execz .LBB272_1259
.LBB272_1279:
	v_cmp_ne_u16_e32 vcc_lo, 0, v6
	v_mov_b32_e32 v8, 0
	s_and_not1_b32 s10, s10, exec_lo
	s_and_b32 s11, vcc_lo, exec_lo
	s_delay_alu instid0(SALU_CYCLE_1)
	s_or_b32 s10, s10, s11
	s_or_b32 exec_lo, exec_lo, s12
	s_and_saveexec_b32 s11, s10
	s_cbranch_execnz .LBB272_1260
	s_branch .LBB272_1261
.LBB272_1280:
	s_mov_b32 s0, -1
.LBB272_1281:
                                        ; implicit-def: $vgpr6
.LBB272_1282:
	s_and_b32 vcc_lo, exec_lo, s10
	s_mov_b32 s10, 0
	s_cbranch_vccz .LBB272_1284
; %bb.1283:
	v_cmp_ne_u16_e64 s0, 11, v4
	s_mov_b32 s10, -1
                                        ; implicit-def: $vgpr6
.LBB272_1284:
	s_delay_alu instid0(VALU_DEP_1)
	s_and_b32 vcc_lo, exec_lo, s0
	s_cbranch_vccnz .LBB272_1308
; %bb.1285:
	s_and_not1_b32 vcc_lo, exec_lo, s10
	s_cbranch_vccnz .LBB272_1287
.LBB272_1286:
	global_load_u8 v6, v[0:1], off
	s_mov_b32 s11, -1
	s_waitcnt vmcnt(0)
	v_cmp_ne_u16_e32 vcc_lo, 0, v6
	v_cndmask_b32_e64 v6, 0, 1.0, vcc_lo
	s_delay_alu instid0(VALU_DEP_1)
	v_lshrrev_b32_e32 v6, 16, v6
.LBB272_1287:
.LBB272_1288:
	s_and_not1_b32 vcc_lo, exec_lo, s11
	s_cbranch_vccnz .LBB272_1986
.LBB272_1289:
	v_add_nc_u32_e32 v8, s3, v7
	v_cmp_gt_i16_e32 vcc_lo, 11, v4
	s_delay_alu instid0(VALU_DEP_2) | instskip(SKIP_1) | instid1(VALU_DEP_1)
	v_ashrrev_i32_e32 v1, 31, v8
	v_add_co_u32 v0, s0, s6, v8
	v_add_co_ci_u32_e64 v1, s0, s7, v1, s0
	s_cbranch_vccnz .LBB272_1296
; %bb.1290:
	v_cmp_lt_i16_e32 vcc_lo, 25, v4
	s_mov_b32 s10, 0
	s_cbranch_vccz .LBB272_1302
; %bb.1291:
	v_cmp_lt_i16_e32 vcc_lo, 28, v4
	s_cbranch_vccz .LBB272_1304
; %bb.1292:
	v_cmp_lt_i16_e32 vcc_lo, 43, v4
	;; [unrolled: 3-line block ×3, first 2 shown]
	s_cbranch_vccz .LBB272_1310
; %bb.1294:
	v_cmp_eq_u16_e32 vcc_lo, 46, v4
	s_mov_b32 s12, 0
	s_cbranch_vccz .LBB272_1353
; %bb.1295:
	global_load_b32 v7, v[0:1], off
	s_mov_b32 s0, 0
	s_mov_b32 s11, -1
	s_branch .LBB272_1355
.LBB272_1296:
	s_mov_b32 s11, 0
                                        ; implicit-def: $vgpr7
	s_cbranch_execz .LBB272_1421
; %bb.1297:
	v_cmp_gt_i16_e32 vcc_lo, 5, v4
	s_cbranch_vccnz .LBB272_1303
; %bb.1298:
	v_cmp_gt_i16_e32 vcc_lo, 8, v4
	s_cbranch_vccnz .LBB272_1305
	;; [unrolled: 3-line block ×3, first 2 shown]
; %bb.1300:
	v_cmp_lt_i16_e32 vcc_lo, 9, v4
	s_cbranch_vccz .LBB272_1311
; %bb.1301:
	global_load_b64 v[9:10], v[0:1], off
	s_mov_b32 s0, 0
	s_waitcnt vmcnt(0)
	v_cvt_f32_f64_e32 v7, v[9:10]
	s_delay_alu instid0(VALU_DEP_1) | instskip(SKIP_1) | instid1(VALU_DEP_2)
	v_bfe_u32 v9, v7, 16, 1
	v_cmp_o_f32_e32 vcc_lo, v7, v7
	v_add3_u32 v9, v7, v9, 0x7fff
	s_delay_alu instid0(VALU_DEP_1) | instskip(NEXT) | instid1(VALU_DEP_1)
	v_lshrrev_b32_e32 v9, 16, v9
	v_cndmask_b32_e32 v7, 0x7fc0, v9, vcc_lo
	s_branch .LBB272_1312
.LBB272_1302:
	s_mov_b32 s12, -1
	s_mov_b32 s11, 0
	s_mov_b32 s0, 0
                                        ; implicit-def: $vgpr7
	s_branch .LBB272_1384
.LBB272_1303:
	s_mov_b32 s0, -1
                                        ; implicit-def: $vgpr7
	s_branch .LBB272_1330
.LBB272_1304:
	s_mov_b32 s12, -1
	s_mov_b32 s11, 0
	s_mov_b32 s0, 0
                                        ; implicit-def: $vgpr7
	s_branch .LBB272_1365
.LBB272_1305:
	s_mov_b32 s0, -1
                                        ; implicit-def: $vgpr7
	s_branch .LBB272_1318
.LBB272_1306:
	s_mov_b32 s12, -1
	s_mov_b32 s11, 0
	s_mov_b32 s0, 0
                                        ; implicit-def: $vgpr7
	s_branch .LBB272_1360
.LBB272_1307:
	s_mov_b32 s0, -1
                                        ; implicit-def: $vgpr7
	s_branch .LBB272_1315
.LBB272_1308:
	s_cbranch_execnz .LBB272_1351
; %bb.1309:
	s_or_b32 s1, s1, exec_lo
                                        ; implicit-def: $vgpr6
	s_cbranch_execz .LBB272_1286
	s_branch .LBB272_1287
.LBB272_1310:
	s_mov_b32 s12, -1
	s_mov_b32 s11, 0
	s_mov_b32 s0, 0
	s_branch .LBB272_1354
.LBB272_1311:
	s_mov_b32 s0, -1
                                        ; implicit-def: $vgpr7
.LBB272_1312:
	s_delay_alu instid0(SALU_CYCLE_1)
	s_and_not1_b32 vcc_lo, exec_lo, s0
	s_cbranch_vccnz .LBB272_1314
; %bb.1313:
	global_load_b32 v7, v[0:1], off
	s_waitcnt vmcnt(0)
	v_bfe_u32 v9, v7, 16, 1
	v_cmp_o_f32_e32 vcc_lo, v7, v7
	s_delay_alu instid0(VALU_DEP_2) | instskip(NEXT) | instid1(VALU_DEP_1)
	v_add3_u32 v9, v7, v9, 0x7fff
	v_lshrrev_b32_e32 v9, 16, v9
	s_delay_alu instid0(VALU_DEP_1)
	v_cndmask_b32_e32 v7, 0x7fc0, v9, vcc_lo
.LBB272_1314:
	s_mov_b32 s0, 0
.LBB272_1315:
	s_delay_alu instid0(SALU_CYCLE_1)
	s_and_not1_b32 vcc_lo, exec_lo, s0
	s_cbranch_vccnz .LBB272_1317
; %bb.1316:
	global_load_b32 v7, v[0:1], off
	s_waitcnt vmcnt(0)
	v_cvt_f32_f16_e32 v9, v7
	v_cmp_o_f16_e32 vcc_lo, v7, v7
	s_delay_alu instid0(VALU_DEP_2) | instskip(NEXT) | instid1(VALU_DEP_1)
	v_bfe_u32 v10, v9, 16, 1
	v_add3_u32 v9, v9, v10, 0x7fff
	s_delay_alu instid0(VALU_DEP_1) | instskip(NEXT) | instid1(VALU_DEP_1)
	v_lshrrev_b32_e32 v9, 16, v9
	v_cndmask_b32_e32 v7, 0x7fc0, v9, vcc_lo
.LBB272_1317:
	s_mov_b32 s0, 0
.LBB272_1318:
	s_delay_alu instid0(SALU_CYCLE_1)
	s_and_not1_b32 vcc_lo, exec_lo, s0
	s_cbranch_vccnz .LBB272_1329
; %bb.1319:
	v_cmp_gt_i16_e32 vcc_lo, 6, v4
	s_cbranch_vccnz .LBB272_1322
; %bb.1320:
	v_cmp_lt_i16_e32 vcc_lo, 6, v4
	s_cbranch_vccz .LBB272_1323
; %bb.1321:
	global_load_b64 v[9:10], v[0:1], off
	s_mov_b32 s0, 0
	s_waitcnt vmcnt(0)
	v_cvt_f32_f64_e32 v7, v[9:10]
	s_delay_alu instid0(VALU_DEP_1) | instskip(SKIP_1) | instid1(VALU_DEP_2)
	v_bfe_u32 v9, v7, 16, 1
	v_cmp_o_f32_e32 vcc_lo, v7, v7
	v_add3_u32 v9, v7, v9, 0x7fff
	s_delay_alu instid0(VALU_DEP_1) | instskip(NEXT) | instid1(VALU_DEP_1)
	v_lshrrev_b32_e32 v9, 16, v9
	v_cndmask_b32_e32 v7, 0x7fc0, v9, vcc_lo
	s_branch .LBB272_1324
.LBB272_1322:
	s_mov_b32 s0, -1
                                        ; implicit-def: $vgpr7
	s_branch .LBB272_1327
.LBB272_1323:
	s_mov_b32 s0, -1
                                        ; implicit-def: $vgpr7
.LBB272_1324:
	s_delay_alu instid0(SALU_CYCLE_1)
	s_and_not1_b32 vcc_lo, exec_lo, s0
	s_cbranch_vccnz .LBB272_1326
; %bb.1325:
	global_load_b32 v7, v[0:1], off
	s_waitcnt vmcnt(0)
	v_bfe_u32 v9, v7, 16, 1
	v_cmp_o_f32_e32 vcc_lo, v7, v7
	s_delay_alu instid0(VALU_DEP_2) | instskip(NEXT) | instid1(VALU_DEP_1)
	v_add3_u32 v9, v7, v9, 0x7fff
	v_lshrrev_b32_e32 v9, 16, v9
	s_delay_alu instid0(VALU_DEP_1)
	v_cndmask_b32_e32 v7, 0x7fc0, v9, vcc_lo
.LBB272_1326:
	s_mov_b32 s0, 0
.LBB272_1327:
	s_delay_alu instid0(SALU_CYCLE_1)
	s_and_not1_b32 vcc_lo, exec_lo, s0
	s_cbranch_vccnz .LBB272_1329
; %bb.1328:
	global_load_u16 v7, v[0:1], off
	s_waitcnt vmcnt(0)
	v_cvt_f32_f16_e32 v9, v7
	v_cmp_o_f16_e32 vcc_lo, v7, v7
	s_delay_alu instid0(VALU_DEP_2) | instskip(NEXT) | instid1(VALU_DEP_1)
	v_bfe_u32 v10, v9, 16, 1
	v_add3_u32 v9, v9, v10, 0x7fff
	s_delay_alu instid0(VALU_DEP_1) | instskip(NEXT) | instid1(VALU_DEP_1)
	v_lshrrev_b32_e32 v9, 16, v9
	v_cndmask_b32_e32 v7, 0x7fc0, v9, vcc_lo
.LBB272_1329:
	s_mov_b32 s0, 0
.LBB272_1330:
	s_delay_alu instid0(SALU_CYCLE_1)
	s_and_not1_b32 vcc_lo, exec_lo, s0
	s_cbranch_vccnz .LBB272_1350
; %bb.1331:
	v_cmp_gt_i16_e32 vcc_lo, 2, v4
	s_cbranch_vccnz .LBB272_1335
; %bb.1332:
	v_cmp_gt_i16_e32 vcc_lo, 3, v4
	s_cbranch_vccnz .LBB272_1336
; %bb.1333:
	v_cmp_lt_i16_e32 vcc_lo, 3, v4
	s_cbranch_vccz .LBB272_1337
; %bb.1334:
	global_load_b64 v[9:10], v[0:1], off
	s_mov_b32 s0, 0
	s_waitcnt vmcnt(0)
	v_xor_b32_e32 v7, v9, v10
	v_cls_i32_e32 v11, v10
	s_delay_alu instid0(VALU_DEP_2) | instskip(NEXT) | instid1(VALU_DEP_2)
	v_ashrrev_i32_e32 v7, 31, v7
	v_add_nc_u32_e32 v11, -1, v11
	s_delay_alu instid0(VALU_DEP_2) | instskip(NEXT) | instid1(VALU_DEP_1)
	v_add_nc_u32_e32 v7, 32, v7
	v_min_u32_e32 v7, v11, v7
	s_delay_alu instid0(VALU_DEP_1) | instskip(SKIP_1) | instid1(VALU_DEP_2)
	v_lshlrev_b64 v[9:10], v7, v[9:10]
	v_sub_nc_u32_e32 v7, 32, v7
	v_min_u32_e32 v9, 1, v9
	s_delay_alu instid0(VALU_DEP_1) | instskip(NEXT) | instid1(VALU_DEP_1)
	v_or_b32_e32 v9, v10, v9
	v_cvt_f32_i32_e32 v9, v9
	s_delay_alu instid0(VALU_DEP_1) | instskip(NEXT) | instid1(VALU_DEP_1)
	v_ldexp_f32 v7, v9, v7
	v_bfe_u32 v9, v7, 16, 1
	s_delay_alu instid0(VALU_DEP_1) | instskip(NEXT) | instid1(VALU_DEP_1)
	v_add3_u32 v7, v7, v9, 0x7fff
	v_lshrrev_b32_e32 v7, 16, v7
	s_branch .LBB272_1338
.LBB272_1335:
	s_mov_b32 s0, -1
                                        ; implicit-def: $vgpr7
	s_branch .LBB272_1344
.LBB272_1336:
	s_mov_b32 s0, -1
                                        ; implicit-def: $vgpr7
	s_branch .LBB272_1341
.LBB272_1337:
	s_mov_b32 s0, -1
                                        ; implicit-def: $vgpr7
.LBB272_1338:
	s_delay_alu instid0(SALU_CYCLE_1)
	s_and_not1_b32 vcc_lo, exec_lo, s0
	s_cbranch_vccnz .LBB272_1340
; %bb.1339:
	global_load_b32 v7, v[0:1], off
	s_waitcnt vmcnt(0)
	v_cvt_f32_i32_e32 v7, v7
	s_delay_alu instid0(VALU_DEP_1) | instskip(NEXT) | instid1(VALU_DEP_1)
	v_bfe_u32 v9, v7, 16, 1
	v_add3_u32 v7, v7, v9, 0x7fff
	s_delay_alu instid0(VALU_DEP_1)
	v_lshrrev_b32_e32 v7, 16, v7
.LBB272_1340:
	s_mov_b32 s0, 0
.LBB272_1341:
	s_delay_alu instid0(SALU_CYCLE_1)
	s_and_not1_b32 vcc_lo, exec_lo, s0
	s_cbranch_vccnz .LBB272_1343
; %bb.1342:
	global_load_i16 v7, v[0:1], off
	s_waitcnt vmcnt(0)
	v_cvt_f32_i32_e32 v7, v7
	s_delay_alu instid0(VALU_DEP_1) | instskip(NEXT) | instid1(VALU_DEP_1)
	v_bfe_u32 v9, v7, 16, 1
	v_add3_u32 v7, v7, v9, 0x7fff
	s_delay_alu instid0(VALU_DEP_1)
	v_lshrrev_b32_e32 v7, 16, v7
.LBB272_1343:
	s_mov_b32 s0, 0
.LBB272_1344:
	s_delay_alu instid0(SALU_CYCLE_1)
	s_and_not1_b32 vcc_lo, exec_lo, s0
	s_cbranch_vccnz .LBB272_1350
; %bb.1345:
	v_cmp_lt_i16_e32 vcc_lo, 0, v4
	s_mov_b32 s0, 0
	s_cbranch_vccz .LBB272_1347
; %bb.1346:
	global_load_i8 v7, v[0:1], off
	s_waitcnt vmcnt(0)
	v_cvt_f32_i32_e32 v7, v7
	s_delay_alu instid0(VALU_DEP_1) | instskip(NEXT) | instid1(VALU_DEP_1)
	v_bfe_u32 v9, v7, 16, 1
	v_add3_u32 v7, v7, v9, 0x7fff
	s_delay_alu instid0(VALU_DEP_1)
	v_lshrrev_b32_e32 v7, 16, v7
	s_branch .LBB272_1348
.LBB272_1347:
	s_mov_b32 s0, -1
                                        ; implicit-def: $vgpr7
.LBB272_1348:
	s_delay_alu instid0(SALU_CYCLE_1)
	s_and_not1_b32 vcc_lo, exec_lo, s0
	s_cbranch_vccnz .LBB272_1350
; %bb.1349:
	global_load_u8 v0, v[0:1], off
	s_waitcnt vmcnt(0)
	v_cvt_f32_ubyte0_e32 v0, v0
	s_delay_alu instid0(VALU_DEP_1) | instskip(NEXT) | instid1(VALU_DEP_1)
	v_bfe_u32 v1, v0, 16, 1
	v_add3_u32 v0, v0, v1, 0x7fff
	s_delay_alu instid0(VALU_DEP_1)
	v_lshrrev_b32_e32 v7, 16, v0
.LBB272_1350:
	s_branch .LBB272_1422
.LBB272_1351:
	s_trap 2
	s_sendmsg_rtn_b32 s0, sendmsg(MSG_RTN_GET_DOORBELL)
	s_mov_b32 ttmp2, m0
	s_waitcnt lgkmcnt(0)
	s_and_b32 s0, s0, 0x3ff
	s_delay_alu instid0(SALU_CYCLE_1) | instskip(NEXT) | instid1(SALU_CYCLE_1)
	s_bitset1_b32 s0, 10
	s_mov_b32 m0, s0
	s_sendmsg sendmsg(MSG_INTERRUPT)
	s_mov_b32 m0, ttmp2
.LBB272_1352:                           ; =>This Inner Loop Header: Depth=1
	s_sethalt 5
	s_branch .LBB272_1352
.LBB272_1353:
	s_mov_b32 s0, -1
	s_mov_b32 s11, 0
.LBB272_1354:
                                        ; implicit-def: $vgpr7
.LBB272_1355:
	s_and_b32 vcc_lo, exec_lo, s12
	s_cbranch_vccz .LBB272_1359
; %bb.1356:
	v_cmp_eq_u16_e32 vcc_lo, 44, v4
	s_cbranch_vccz .LBB272_1358
; %bb.1357:
	global_load_u8 v7, v[0:1], off
	s_mov_b32 s0, 0
	s_mov_b32 s11, -1
	s_waitcnt vmcnt(0)
	v_lshlrev_b32_e32 v9, 23, v7
	v_cmp_ne_u32_e32 vcc_lo, 0xff, v7
	s_delay_alu instid0(VALU_DEP_2) | instskip(SKIP_1) | instid1(VALU_DEP_2)
	v_cndmask_b32_e32 v9, 0x7f800001, v9, vcc_lo
	v_cmp_ne_u32_e32 vcc_lo, 0, v7
	v_cndmask_b32_e32 v7, 0x400000, v9, vcc_lo
	s_delay_alu instid0(VALU_DEP_1) | instskip(SKIP_1) | instid1(VALU_DEP_2)
	v_add_nc_u32_e32 v9, 0x7fff, v7
	v_cmp_o_f32_e32 vcc_lo, v7, v7
	v_lshrrev_b32_e32 v9, 16, v9
	s_delay_alu instid0(VALU_DEP_1)
	v_cndmask_b32_e32 v7, 0x7fc0, v9, vcc_lo
	s_branch .LBB272_1359
.LBB272_1358:
	s_mov_b32 s0, -1
                                        ; implicit-def: $vgpr7
.LBB272_1359:
	s_mov_b32 s12, 0
.LBB272_1360:
	s_delay_alu instid0(SALU_CYCLE_1)
	s_and_b32 vcc_lo, exec_lo, s12
	s_cbranch_vccz .LBB272_1364
; %bb.1361:
	v_cmp_eq_u16_e32 vcc_lo, 29, v4
	s_cbranch_vccz .LBB272_1363
; %bb.1362:
	global_load_b64 v[9:10], v[0:1], off
	s_mov_b32 s0, 0
	s_mov_b32 s11, -1
	s_mov_b32 s12, 0
	s_waitcnt vmcnt(0)
	v_clz_i32_u32_e32 v7, v10
	s_delay_alu instid0(VALU_DEP_1) | instskip(NEXT) | instid1(VALU_DEP_1)
	v_min_u32_e32 v7, 32, v7
	v_lshlrev_b64 v[9:10], v7, v[9:10]
	v_sub_nc_u32_e32 v7, 32, v7
	s_delay_alu instid0(VALU_DEP_2) | instskip(NEXT) | instid1(VALU_DEP_1)
	v_min_u32_e32 v9, 1, v9
	v_or_b32_e32 v9, v10, v9
	s_delay_alu instid0(VALU_DEP_1) | instskip(NEXT) | instid1(VALU_DEP_1)
	v_cvt_f32_u32_e32 v9, v9
	v_ldexp_f32 v7, v9, v7
	s_delay_alu instid0(VALU_DEP_1) | instskip(NEXT) | instid1(VALU_DEP_1)
	v_bfe_u32 v9, v7, 16, 1
	v_add3_u32 v7, v7, v9, 0x7fff
	s_delay_alu instid0(VALU_DEP_1)
	v_lshrrev_b32_e32 v7, 16, v7
	s_branch .LBB272_1365
.LBB272_1363:
	s_mov_b32 s0, -1
                                        ; implicit-def: $vgpr7
.LBB272_1364:
	s_mov_b32 s12, 0
.LBB272_1365:
	s_delay_alu instid0(SALU_CYCLE_1)
	s_and_b32 vcc_lo, exec_lo, s12
	s_cbranch_vccz .LBB272_1383
; %bb.1366:
	v_cmp_gt_i16_e32 vcc_lo, 27, v4
	s_cbranch_vccnz .LBB272_1369
; %bb.1367:
	v_cmp_lt_i16_e32 vcc_lo, 27, v4
	s_cbranch_vccz .LBB272_1370
; %bb.1368:
	global_load_b32 v7, v[0:1], off
	s_mov_b32 s11, 0
	s_waitcnt vmcnt(0)
	v_cvt_f32_u32_e32 v7, v7
	s_delay_alu instid0(VALU_DEP_1) | instskip(NEXT) | instid1(VALU_DEP_1)
	v_bfe_u32 v9, v7, 16, 1
	v_add3_u32 v7, v7, v9, 0x7fff
	s_delay_alu instid0(VALU_DEP_1)
	v_lshrrev_b32_e32 v7, 16, v7
	s_branch .LBB272_1371
.LBB272_1369:
	s_mov_b32 s11, -1
                                        ; implicit-def: $vgpr7
	s_branch .LBB272_1374
.LBB272_1370:
	s_mov_b32 s11, -1
                                        ; implicit-def: $vgpr7
.LBB272_1371:
	s_delay_alu instid0(SALU_CYCLE_1)
	s_and_not1_b32 vcc_lo, exec_lo, s11
	s_cbranch_vccnz .LBB272_1373
; %bb.1372:
	global_load_u16 v7, v[0:1], off
	s_waitcnt vmcnt(0)
	v_cvt_f32_u32_e32 v7, v7
	s_delay_alu instid0(VALU_DEP_1) | instskip(NEXT) | instid1(VALU_DEP_1)
	v_bfe_u32 v9, v7, 16, 1
	v_add3_u32 v7, v7, v9, 0x7fff
	s_delay_alu instid0(VALU_DEP_1)
	v_lshrrev_b32_e32 v7, 16, v7
.LBB272_1373:
	s_mov_b32 s11, 0
.LBB272_1374:
	s_delay_alu instid0(SALU_CYCLE_1)
	s_and_not1_b32 vcc_lo, exec_lo, s11
	s_cbranch_vccnz .LBB272_1382
; %bb.1375:
	global_load_u8 v7, v[0:1], off
	s_mov_b32 s11, 0
	s_mov_b32 s13, exec_lo
                                        ; implicit-def: $sgpr12
	s_waitcnt vmcnt(0)
	v_cmpx_lt_i16_e32 0x7f, v7
	s_xor_b32 s13, exec_lo, s13
	s_cbranch_execz .LBB272_1396
; %bb.1376:
	s_mov_b32 s11, -1
	s_mov_b32 s14, exec_lo
                                        ; implicit-def: $sgpr12
	v_cmpx_eq_u16_e32 0x80, v7
; %bb.1377:
	s_mov_b32 s12, 0x7f800001
	s_xor_b32 s11, exec_lo, -1
; %bb.1378:
	s_or_b32 exec_lo, exec_lo, s14
	s_delay_alu instid0(SALU_CYCLE_1)
	s_and_b32 s11, s11, exec_lo
	s_or_saveexec_b32 s13, s13
	v_mov_b32_e32 v9, s12
	s_xor_b32 exec_lo, exec_lo, s13
	s_cbranch_execnz .LBB272_1397
.LBB272_1379:
	s_or_b32 exec_lo, exec_lo, s13
	s_and_saveexec_b32 s12, s11
	s_cbranch_execz .LBB272_1381
.LBB272_1380:
	v_and_b32_e32 v9, 0xffff, v7
	v_lshlrev_b32_e32 v7, 24, v7
	s_delay_alu instid0(VALU_DEP_2) | instskip(NEXT) | instid1(VALU_DEP_2)
	v_and_b32_e32 v10, 7, v9
	v_and_b32_e32 v7, 0x80000000, v7
	s_delay_alu instid0(VALU_DEP_2) | instskip(NEXT) | instid1(VALU_DEP_1)
	v_clz_i32_u32_e32 v11, v10
	v_min_u32_e32 v11, 32, v11
	s_delay_alu instid0(VALU_DEP_1) | instskip(SKIP_1) | instid1(VALU_DEP_2)
	v_subrev_nc_u32_e32 v12, 28, v11
	v_sub_nc_u32_e32 v11, 29, v11
	v_lshlrev_b32_e32 v12, v12, v9
	v_bfe_u32 v9, v9, 3, 4
	s_delay_alu instid0(VALU_DEP_2) | instskip(NEXT) | instid1(VALU_DEP_2)
	v_and_b32_e32 v12, 7, v12
	v_cmp_eq_u32_e32 vcc_lo, 0, v9
	s_delay_alu instid0(VALU_DEP_2) | instskip(NEXT) | instid1(VALU_DEP_1)
	v_dual_cndmask_b32 v9, v9, v11 :: v_dual_cndmask_b32 v10, v10, v12
	v_lshl_add_u32 v9, v9, 23, 0x3b800000
	s_delay_alu instid0(VALU_DEP_2) | instskip(NEXT) | instid1(VALU_DEP_1)
	v_lshlrev_b32_e32 v10, 20, v10
	v_or3_b32 v9, v7, v9, v10
.LBB272_1381:
	s_or_b32 exec_lo, exec_lo, s12
	s_delay_alu instid0(VALU_DEP_1) | instskip(SKIP_1) | instid1(VALU_DEP_2)
	v_bfe_u32 v7, v9, 16, 1
	v_cmp_o_f32_e32 vcc_lo, v9, v9
	v_add3_u32 v7, v9, v7, 0x7fff
	s_delay_alu instid0(VALU_DEP_1) | instskip(NEXT) | instid1(VALU_DEP_1)
	v_lshrrev_b32_e32 v7, 16, v7
	v_cndmask_b32_e32 v7, 0x7fc0, v7, vcc_lo
.LBB272_1382:
	s_mov_b32 s11, -1
.LBB272_1383:
	s_mov_b32 s12, 0
.LBB272_1384:
	s_delay_alu instid0(SALU_CYCLE_1)
	s_and_b32 vcc_lo, exec_lo, s12
	s_cbranch_vccz .LBB272_1417
; %bb.1385:
	v_cmp_lt_i16_e32 vcc_lo, 22, v4
	s_cbranch_vccz .LBB272_1395
; %bb.1386:
	v_cmp_gt_i16_e32 vcc_lo, 24, v4
	s_cbranch_vccnz .LBB272_1398
; %bb.1387:
	v_cmp_lt_i16_e32 vcc_lo, 24, v4
	s_cbranch_vccz .LBB272_1399
; %bb.1388:
	global_load_u8 v7, v[0:1], off
	s_mov_b32 s12, exec_lo
                                        ; implicit-def: $sgpr11
	s_waitcnt vmcnt(0)
	v_cmpx_lt_i16_e32 0x7f, v7
	s_xor_b32 s12, exec_lo, s12
	s_cbranch_execz .LBB272_1411
; %bb.1389:
	s_mov_b32 s10, -1
	s_mov_b32 s13, exec_lo
                                        ; implicit-def: $sgpr11
	v_cmpx_eq_u16_e32 0x80, v7
; %bb.1390:
	s_mov_b32 s11, 0x7f800001
	s_xor_b32 s10, exec_lo, -1
; %bb.1391:
	s_or_b32 exec_lo, exec_lo, s13
	s_delay_alu instid0(SALU_CYCLE_1)
	s_and_b32 s10, s10, exec_lo
	s_or_saveexec_b32 s12, s12
	v_mov_b32_e32 v9, s11
	s_xor_b32 exec_lo, exec_lo, s12
	s_cbranch_execnz .LBB272_1412
.LBB272_1392:
	s_or_b32 exec_lo, exec_lo, s12
	s_and_saveexec_b32 s11, s10
	s_cbranch_execz .LBB272_1394
.LBB272_1393:
	v_and_b32_e32 v9, 0xffff, v7
	v_lshlrev_b32_e32 v7, 24, v7
	s_delay_alu instid0(VALU_DEP_2) | instskip(NEXT) | instid1(VALU_DEP_2)
	v_and_b32_e32 v10, 3, v9
	v_and_b32_e32 v7, 0x80000000, v7
	s_delay_alu instid0(VALU_DEP_2) | instskip(NEXT) | instid1(VALU_DEP_1)
	v_clz_i32_u32_e32 v11, v10
	v_min_u32_e32 v11, 32, v11
	s_delay_alu instid0(VALU_DEP_1) | instskip(SKIP_1) | instid1(VALU_DEP_2)
	v_subrev_nc_u32_e32 v12, 29, v11
	v_sub_nc_u32_e32 v11, 30, v11
	v_lshlrev_b32_e32 v12, v12, v9
	v_bfe_u32 v9, v9, 2, 5
	s_delay_alu instid0(VALU_DEP_2) | instskip(NEXT) | instid1(VALU_DEP_2)
	v_and_b32_e32 v12, 3, v12
	v_cmp_eq_u32_e32 vcc_lo, 0, v9
	s_delay_alu instid0(VALU_DEP_2) | instskip(NEXT) | instid1(VALU_DEP_1)
	v_dual_cndmask_b32 v9, v9, v11 :: v_dual_cndmask_b32 v10, v10, v12
	v_lshl_add_u32 v9, v9, 23, 0x37800000
	s_delay_alu instid0(VALU_DEP_2) | instskip(NEXT) | instid1(VALU_DEP_1)
	v_lshlrev_b32_e32 v10, 21, v10
	v_or3_b32 v9, v7, v9, v10
.LBB272_1394:
	s_or_b32 exec_lo, exec_lo, s11
	s_delay_alu instid0(VALU_DEP_1) | instskip(SKIP_2) | instid1(VALU_DEP_2)
	v_bfe_u32 v7, v9, 16, 1
	v_cmp_o_f32_e32 vcc_lo, v9, v9
	s_mov_b32 s10, 0
	v_add3_u32 v7, v9, v7, 0x7fff
	s_delay_alu instid0(VALU_DEP_1) | instskip(NEXT) | instid1(VALU_DEP_1)
	v_lshrrev_b32_e32 v7, 16, v7
	v_cndmask_b32_e32 v7, 0x7fc0, v7, vcc_lo
	s_branch .LBB272_1400
.LBB272_1395:
	s_mov_b32 s10, -1
                                        ; implicit-def: $vgpr7
	s_branch .LBB272_1406
.LBB272_1396:
	s_or_saveexec_b32 s13, s13
	v_mov_b32_e32 v9, s12
	s_xor_b32 exec_lo, exec_lo, s13
	s_cbranch_execz .LBB272_1379
.LBB272_1397:
	v_cmp_ne_u16_e32 vcc_lo, 0, v7
	v_mov_b32_e32 v9, 0
	s_and_not1_b32 s11, s11, exec_lo
	s_and_b32 s12, vcc_lo, exec_lo
	s_delay_alu instid0(SALU_CYCLE_1)
	s_or_b32 s11, s11, s12
	s_or_b32 exec_lo, exec_lo, s13
	s_and_saveexec_b32 s12, s11
	s_cbranch_execnz .LBB272_1380
	s_branch .LBB272_1381
.LBB272_1398:
	s_mov_b32 s10, -1
                                        ; implicit-def: $vgpr7
	s_branch .LBB272_1403
.LBB272_1399:
	s_mov_b32 s10, -1
                                        ; implicit-def: $vgpr7
.LBB272_1400:
	s_delay_alu instid0(SALU_CYCLE_1)
	s_and_b32 vcc_lo, exec_lo, s10
	s_cbranch_vccz .LBB272_1402
; %bb.1401:
	global_load_u8 v7, v[0:1], off
	s_waitcnt vmcnt(0)
	v_lshlrev_b32_e32 v7, 24, v7
	s_delay_alu instid0(VALU_DEP_1) | instskip(NEXT) | instid1(VALU_DEP_1)
	v_and_b32_e32 v9, 0x7f000000, v7
	v_clz_i32_u32_e32 v10, v9
	v_cmp_ne_u32_e32 vcc_lo, 0, v9
	v_add_nc_u32_e32 v12, 0x1000000, v9
	s_delay_alu instid0(VALU_DEP_3) | instskip(NEXT) | instid1(VALU_DEP_1)
	v_min_u32_e32 v10, 32, v10
	v_sub_nc_u32_e64 v10, v10, 4 clamp
	s_delay_alu instid0(VALU_DEP_1) | instskip(SKIP_1) | instid1(VALU_DEP_2)
	v_lshlrev_b32_e32 v11, v10, v9
	v_lshlrev_b32_e32 v10, 23, v10
	v_lshrrev_b32_e32 v11, 4, v11
	s_delay_alu instid0(VALU_DEP_1) | instskip(SKIP_1) | instid1(VALU_DEP_2)
	v_sub_nc_u32_e32 v10, v11, v10
	v_ashrrev_i32_e32 v11, 8, v12
	v_add_nc_u32_e32 v10, 0x3c000000, v10
	s_delay_alu instid0(VALU_DEP_1) | instskip(NEXT) | instid1(VALU_DEP_1)
	v_and_or_b32 v10, 0x7f800000, v11, v10
	v_cndmask_b32_e32 v9, 0, v10, vcc_lo
	s_delay_alu instid0(VALU_DEP_1) | instskip(SKIP_1) | instid1(VALU_DEP_2)
	v_and_or_b32 v7, 0x80000000, v7, v9
	v_bfe_u32 v9, v9, 16, 1
	v_cmp_o_f32_e32 vcc_lo, v7, v7
	s_delay_alu instid0(VALU_DEP_2) | instskip(NEXT) | instid1(VALU_DEP_1)
	v_add3_u32 v9, v7, v9, 0x7fff
	v_lshrrev_b32_e32 v9, 16, v9
	s_delay_alu instid0(VALU_DEP_1)
	v_cndmask_b32_e32 v7, 0x7fc0, v9, vcc_lo
.LBB272_1402:
	s_mov_b32 s10, 0
.LBB272_1403:
	s_delay_alu instid0(SALU_CYCLE_1)
	s_and_not1_b32 vcc_lo, exec_lo, s10
	s_cbranch_vccnz .LBB272_1405
; %bb.1404:
	global_load_u8 v7, v[0:1], off
	s_waitcnt vmcnt(0)
	v_lshlrev_b32_e32 v9, 25, v7
	v_lshlrev_b16 v7, 8, v7
	s_delay_alu instid0(VALU_DEP_2) | instskip(NEXT) | instid1(VALU_DEP_2)
	v_lshrrev_b32_e32 v10, 4, v9
	v_and_or_b32 v11, 0x7f00, v7, 0.5
	v_bfe_i32 v7, v7, 0, 16
	s_delay_alu instid0(VALU_DEP_3) | instskip(NEXT) | instid1(VALU_DEP_1)
	v_or_b32_e32 v10, 0x70000000, v10
	v_dual_add_f32 v11, -0.5, v11 :: v_dual_mul_f32 v10, 0x7800000, v10
	v_cmp_gt_u32_e32 vcc_lo, 0x8000000, v9
	s_delay_alu instid0(VALU_DEP_2) | instskip(NEXT) | instid1(VALU_DEP_1)
	v_cndmask_b32_e32 v9, v10, v11, vcc_lo
	v_and_or_b32 v7, 0x80000000, v7, v9
	v_bfe_u32 v9, v9, 16, 1
	s_delay_alu instid0(VALU_DEP_2) | instskip(NEXT) | instid1(VALU_DEP_2)
	v_cmp_o_f32_e32 vcc_lo, v7, v7
	v_add3_u32 v9, v7, v9, 0x7fff
	s_delay_alu instid0(VALU_DEP_1) | instskip(NEXT) | instid1(VALU_DEP_1)
	v_lshrrev_b32_e32 v9, 16, v9
	v_cndmask_b32_e32 v7, 0x7fc0, v9, vcc_lo
.LBB272_1405:
	s_mov_b32 s10, 0
	s_mov_b32 s11, -1
.LBB272_1406:
	s_and_not1_b32 vcc_lo, exec_lo, s10
	s_mov_b32 s10, 0
	s_cbranch_vccnz .LBB272_1417
; %bb.1407:
	v_cmp_lt_i16_e32 vcc_lo, 14, v4
	s_cbranch_vccz .LBB272_1410
; %bb.1408:
	v_cmp_eq_u16_e32 vcc_lo, 15, v4
	s_cbranch_vccz .LBB272_1413
; %bb.1409:
	global_load_u16 v7, v[0:1], off
	s_mov_b32 s0, 0
	s_mov_b32 s11, -1
	s_branch .LBB272_1415
.LBB272_1410:
	s_mov_b32 s10, -1
	s_branch .LBB272_1414
.LBB272_1411:
	s_or_saveexec_b32 s12, s12
	v_mov_b32_e32 v9, s11
	s_xor_b32 exec_lo, exec_lo, s12
	s_cbranch_execz .LBB272_1392
.LBB272_1412:
	v_cmp_ne_u16_e32 vcc_lo, 0, v7
	v_mov_b32_e32 v9, 0
	s_and_not1_b32 s10, s10, exec_lo
	s_and_b32 s11, vcc_lo, exec_lo
	s_delay_alu instid0(SALU_CYCLE_1)
	s_or_b32 s10, s10, s11
	s_or_b32 exec_lo, exec_lo, s12
	s_and_saveexec_b32 s11, s10
	s_cbranch_execnz .LBB272_1393
	s_branch .LBB272_1394
.LBB272_1413:
	s_mov_b32 s0, -1
.LBB272_1414:
                                        ; implicit-def: $vgpr7
.LBB272_1415:
	s_and_b32 vcc_lo, exec_lo, s10
	s_mov_b32 s10, 0
	s_cbranch_vccz .LBB272_1417
; %bb.1416:
	v_cmp_ne_u16_e64 s0, 11, v4
	s_mov_b32 s10, -1
                                        ; implicit-def: $vgpr7
.LBB272_1417:
	s_delay_alu instid0(VALU_DEP_1)
	s_and_b32 vcc_lo, exec_lo, s0
	s_cbranch_vccnz .LBB272_1433
; %bb.1418:
	s_and_not1_b32 vcc_lo, exec_lo, s10
	s_cbranch_vccnz .LBB272_1420
.LBB272_1419:
	global_load_u8 v7, v[0:1], off
	s_mov_b32 s11, -1
	s_waitcnt vmcnt(0)
	v_cmp_ne_u16_e32 vcc_lo, 0, v7
	v_cndmask_b32_e64 v7, 0, 1.0, vcc_lo
	s_delay_alu instid0(VALU_DEP_1)
	v_lshrrev_b32_e32 v7, 16, v7
.LBB272_1420:
.LBB272_1421:
	s_and_not1_b32 vcc_lo, exec_lo, s11
	s_cbranch_vccnz .LBB272_1986
.LBB272_1422:
	v_add_nc_u32_e32 v0, s3, v8
	v_cmp_gt_i16_e32 vcc_lo, 11, v4
	s_delay_alu instid0(VALU_DEP_2) | instskip(SKIP_1) | instid1(VALU_DEP_1)
	v_ashrrev_i32_e32 v1, 31, v0
	v_add_co_u32 v0, s0, s6, v0
	v_add_co_ci_u32_e64 v1, s0, s7, v1, s0
	s_cbranch_vccnz .LBB272_1429
; %bb.1423:
	v_cmp_lt_i16_e32 vcc_lo, 25, v4
	s_mov_b32 s3, 0
	s_cbranch_vccz .LBB272_1430
; %bb.1424:
	v_cmp_lt_i16_e32 vcc_lo, 28, v4
	s_cbranch_vccz .LBB272_1431
; %bb.1425:
	v_cmp_lt_i16_e32 vcc_lo, 43, v4
	;; [unrolled: 3-line block ×3, first 2 shown]
	s_cbranch_vccz .LBB272_1435
; %bb.1427:
	v_cmp_eq_u16_e32 vcc_lo, 46, v4
	s_mov_b32 s7, 0
	s_cbranch_vccz .LBB272_1438
; %bb.1428:
	global_load_b32 v8, v[0:1], off
	s_mov_b32 s0, 0
	s_mov_b32 s6, -1
	s_branch .LBB272_1440
.LBB272_1429:
	s_mov_b32 s0, -1
	s_mov_b32 s6, 0
                                        ; implicit-def: $vgpr8
	s_branch .LBB272_1506
.LBB272_1430:
	s_mov_b32 s7, -1
	s_mov_b32 s6, 0
	s_mov_b32 s0, 0
                                        ; implicit-def: $vgpr8
	s_branch .LBB272_1469
.LBB272_1431:
	s_mov_b32 s7, -1
	s_mov_b32 s6, 0
	s_mov_b32 s0, 0
                                        ; implicit-def: $vgpr8
	s_branch .LBB272_1450
.LBB272_1432:
	s_mov_b32 s7, -1
	s_mov_b32 s6, 0
	s_mov_b32 s0, 0
                                        ; implicit-def: $vgpr8
	s_branch .LBB272_1445
.LBB272_1433:
	s_cbranch_execnz .LBB272_1436
; %bb.1434:
	s_or_b32 s1, s1, exec_lo
                                        ; implicit-def: $vgpr7
	s_cbranch_execz .LBB272_1419
	s_branch .LBB272_1420
.LBB272_1435:
	s_mov_b32 s7, -1
	s_mov_b32 s6, 0
	s_mov_b32 s0, 0
	s_branch .LBB272_1439
.LBB272_1436:
	s_trap 2
	s_sendmsg_rtn_b32 s0, sendmsg(MSG_RTN_GET_DOORBELL)
	s_mov_b32 ttmp2, m0
	s_waitcnt lgkmcnt(0)
	s_and_b32 s0, s0, 0x3ff
	s_delay_alu instid0(SALU_CYCLE_1) | instskip(NEXT) | instid1(SALU_CYCLE_1)
	s_bitset1_b32 s0, 10
	s_mov_b32 m0, s0
	s_sendmsg sendmsg(MSG_INTERRUPT)
	s_mov_b32 m0, ttmp2
.LBB272_1437:                           ; =>This Inner Loop Header: Depth=1
	s_sethalt 5
	s_branch .LBB272_1437
.LBB272_1438:
	s_mov_b32 s0, -1
	s_mov_b32 s6, 0
.LBB272_1439:
                                        ; implicit-def: $vgpr8
.LBB272_1440:
	s_and_b32 vcc_lo, exec_lo, s7
	s_cbranch_vccz .LBB272_1444
; %bb.1441:
	v_cmp_eq_u16_e32 vcc_lo, 44, v4
	s_cbranch_vccz .LBB272_1443
; %bb.1442:
	global_load_u8 v8, v[0:1], off
	s_mov_b32 s0, 0
	s_mov_b32 s6, -1
	s_waitcnt vmcnt(0)
	v_lshlrev_b32_e32 v9, 23, v8
	v_cmp_ne_u32_e32 vcc_lo, 0xff, v8
	s_delay_alu instid0(VALU_DEP_2) | instskip(SKIP_1) | instid1(VALU_DEP_2)
	v_cndmask_b32_e32 v9, 0x7f800001, v9, vcc_lo
	v_cmp_ne_u32_e32 vcc_lo, 0, v8
	v_cndmask_b32_e32 v8, 0x400000, v9, vcc_lo
	s_delay_alu instid0(VALU_DEP_1) | instskip(SKIP_1) | instid1(VALU_DEP_2)
	v_add_nc_u32_e32 v9, 0x7fff, v8
	v_cmp_o_f32_e32 vcc_lo, v8, v8
	v_lshrrev_b32_e32 v9, 16, v9
	s_delay_alu instid0(VALU_DEP_1)
	v_cndmask_b32_e32 v8, 0x7fc0, v9, vcc_lo
	s_branch .LBB272_1444
.LBB272_1443:
	s_mov_b32 s0, -1
                                        ; implicit-def: $vgpr8
.LBB272_1444:
	s_mov_b32 s7, 0
.LBB272_1445:
	s_delay_alu instid0(SALU_CYCLE_1)
	s_and_b32 vcc_lo, exec_lo, s7
	s_cbranch_vccz .LBB272_1449
; %bb.1446:
	v_cmp_eq_u16_e32 vcc_lo, 29, v4
	s_cbranch_vccz .LBB272_1448
; %bb.1447:
	global_load_b64 v[8:9], v[0:1], off
	s_mov_b32 s0, 0
	s_mov_b32 s6, -1
	s_mov_b32 s7, 0
	s_waitcnt vmcnt(0)
	v_clz_i32_u32_e32 v10, v9
	s_delay_alu instid0(VALU_DEP_1) | instskip(NEXT) | instid1(VALU_DEP_1)
	v_min_u32_e32 v10, 32, v10
	v_lshlrev_b64 v[8:9], v10, v[8:9]
	s_delay_alu instid0(VALU_DEP_1) | instskip(NEXT) | instid1(VALU_DEP_1)
	v_min_u32_e32 v8, 1, v8
	v_or_b32_e32 v8, v9, v8
	v_sub_nc_u32_e32 v9, 32, v10
	s_delay_alu instid0(VALU_DEP_2) | instskip(NEXT) | instid1(VALU_DEP_1)
	v_cvt_f32_u32_e32 v8, v8
	v_ldexp_f32 v8, v8, v9
	s_delay_alu instid0(VALU_DEP_1) | instskip(NEXT) | instid1(VALU_DEP_1)
	v_bfe_u32 v9, v8, 16, 1
	v_add3_u32 v8, v8, v9, 0x7fff
	s_delay_alu instid0(VALU_DEP_1)
	v_lshrrev_b32_e32 v8, 16, v8
	s_branch .LBB272_1450
.LBB272_1448:
	s_mov_b32 s0, -1
                                        ; implicit-def: $vgpr8
.LBB272_1449:
	s_mov_b32 s7, 0
.LBB272_1450:
	s_delay_alu instid0(SALU_CYCLE_1)
	s_and_b32 vcc_lo, exec_lo, s7
	s_cbranch_vccz .LBB272_1468
; %bb.1451:
	v_cmp_gt_i16_e32 vcc_lo, 27, v4
	s_cbranch_vccnz .LBB272_1454
; %bb.1452:
	v_cmp_lt_i16_e32 vcc_lo, 27, v4
	s_cbranch_vccz .LBB272_1455
; %bb.1453:
	global_load_b32 v8, v[0:1], off
	s_mov_b32 s6, 0
	s_waitcnt vmcnt(0)
	v_cvt_f32_u32_e32 v8, v8
	s_delay_alu instid0(VALU_DEP_1) | instskip(NEXT) | instid1(VALU_DEP_1)
	v_bfe_u32 v9, v8, 16, 1
	v_add3_u32 v8, v8, v9, 0x7fff
	s_delay_alu instid0(VALU_DEP_1)
	v_lshrrev_b32_e32 v8, 16, v8
	s_branch .LBB272_1456
.LBB272_1454:
	s_mov_b32 s6, -1
                                        ; implicit-def: $vgpr8
	s_branch .LBB272_1459
.LBB272_1455:
	s_mov_b32 s6, -1
                                        ; implicit-def: $vgpr8
.LBB272_1456:
	s_delay_alu instid0(SALU_CYCLE_1)
	s_and_not1_b32 vcc_lo, exec_lo, s6
	s_cbranch_vccnz .LBB272_1458
; %bb.1457:
	global_load_u16 v8, v[0:1], off
	s_waitcnt vmcnt(0)
	v_cvt_f32_u32_e32 v8, v8
	s_delay_alu instid0(VALU_DEP_1) | instskip(NEXT) | instid1(VALU_DEP_1)
	v_bfe_u32 v9, v8, 16, 1
	v_add3_u32 v8, v8, v9, 0x7fff
	s_delay_alu instid0(VALU_DEP_1)
	v_lshrrev_b32_e32 v8, 16, v8
.LBB272_1458:
	s_mov_b32 s6, 0
.LBB272_1459:
	s_delay_alu instid0(SALU_CYCLE_1)
	s_and_not1_b32 vcc_lo, exec_lo, s6
	s_cbranch_vccnz .LBB272_1467
; %bb.1460:
	global_load_u8 v8, v[0:1], off
	s_mov_b32 s6, 0
	s_mov_b32 s10, exec_lo
                                        ; implicit-def: $sgpr7
	s_waitcnt vmcnt(0)
	v_cmpx_lt_i16_e32 0x7f, v8
	s_xor_b32 s10, exec_lo, s10
	s_cbranch_execz .LBB272_1481
; %bb.1461:
	s_mov_b32 s6, -1
	s_mov_b32 s11, exec_lo
                                        ; implicit-def: $sgpr7
	v_cmpx_eq_u16_e32 0x80, v8
; %bb.1462:
	s_mov_b32 s7, 0x7f800001
	s_xor_b32 s6, exec_lo, -1
; %bb.1463:
	s_or_b32 exec_lo, exec_lo, s11
	s_delay_alu instid0(SALU_CYCLE_1)
	s_and_b32 s6, s6, exec_lo
	s_or_saveexec_b32 s10, s10
	v_mov_b32_e32 v9, s7
	s_xor_b32 exec_lo, exec_lo, s10
	s_cbranch_execnz .LBB272_1482
.LBB272_1464:
	s_or_b32 exec_lo, exec_lo, s10
	s_and_saveexec_b32 s7, s6
	s_cbranch_execz .LBB272_1466
.LBB272_1465:
	v_and_b32_e32 v9, 0xffff, v8
	v_lshlrev_b32_e32 v8, 24, v8
	s_delay_alu instid0(VALU_DEP_2) | instskip(NEXT) | instid1(VALU_DEP_2)
	v_and_b32_e32 v10, 7, v9
	v_and_b32_e32 v8, 0x80000000, v8
	s_delay_alu instid0(VALU_DEP_2) | instskip(NEXT) | instid1(VALU_DEP_1)
	v_clz_i32_u32_e32 v11, v10
	v_min_u32_e32 v11, 32, v11
	s_delay_alu instid0(VALU_DEP_1) | instskip(SKIP_1) | instid1(VALU_DEP_2)
	v_subrev_nc_u32_e32 v12, 28, v11
	v_sub_nc_u32_e32 v11, 29, v11
	v_lshlrev_b32_e32 v12, v12, v9
	v_bfe_u32 v9, v9, 3, 4
	s_delay_alu instid0(VALU_DEP_2) | instskip(NEXT) | instid1(VALU_DEP_2)
	v_and_b32_e32 v12, 7, v12
	v_cmp_eq_u32_e32 vcc_lo, 0, v9
	s_delay_alu instid0(VALU_DEP_2) | instskip(NEXT) | instid1(VALU_DEP_1)
	v_dual_cndmask_b32 v9, v9, v11 :: v_dual_cndmask_b32 v10, v10, v12
	v_lshl_add_u32 v9, v9, 23, 0x3b800000
	s_delay_alu instid0(VALU_DEP_2) | instskip(NEXT) | instid1(VALU_DEP_1)
	v_lshlrev_b32_e32 v10, 20, v10
	v_or3_b32 v9, v8, v9, v10
.LBB272_1466:
	s_or_b32 exec_lo, exec_lo, s7
	s_delay_alu instid0(VALU_DEP_1) | instskip(SKIP_1) | instid1(VALU_DEP_2)
	v_bfe_u32 v8, v9, 16, 1
	v_cmp_o_f32_e32 vcc_lo, v9, v9
	v_add3_u32 v8, v9, v8, 0x7fff
	s_delay_alu instid0(VALU_DEP_1) | instskip(NEXT) | instid1(VALU_DEP_1)
	v_lshrrev_b32_e32 v8, 16, v8
	v_cndmask_b32_e32 v8, 0x7fc0, v8, vcc_lo
.LBB272_1467:
	s_mov_b32 s6, -1
.LBB272_1468:
	s_mov_b32 s7, 0
.LBB272_1469:
	s_delay_alu instid0(SALU_CYCLE_1)
	s_and_b32 vcc_lo, exec_lo, s7
	s_cbranch_vccz .LBB272_1502
; %bb.1470:
	v_cmp_lt_i16_e32 vcc_lo, 22, v4
	s_cbranch_vccz .LBB272_1480
; %bb.1471:
	v_cmp_gt_i16_e32 vcc_lo, 24, v4
	s_cbranch_vccnz .LBB272_1483
; %bb.1472:
	v_cmp_lt_i16_e32 vcc_lo, 24, v4
	s_cbranch_vccz .LBB272_1484
; %bb.1473:
	global_load_u8 v8, v[0:1], off
	s_mov_b32 s7, exec_lo
                                        ; implicit-def: $sgpr6
	s_waitcnt vmcnt(0)
	v_cmpx_lt_i16_e32 0x7f, v8
	s_xor_b32 s7, exec_lo, s7
	s_cbranch_execz .LBB272_1496
; %bb.1474:
	s_mov_b32 s3, -1
	s_mov_b32 s10, exec_lo
                                        ; implicit-def: $sgpr6
	v_cmpx_eq_u16_e32 0x80, v8
; %bb.1475:
	s_mov_b32 s6, 0x7f800001
	s_xor_b32 s3, exec_lo, -1
; %bb.1476:
	s_or_b32 exec_lo, exec_lo, s10
	s_delay_alu instid0(SALU_CYCLE_1)
	s_and_b32 s3, s3, exec_lo
	s_or_saveexec_b32 s7, s7
	v_mov_b32_e32 v9, s6
	s_xor_b32 exec_lo, exec_lo, s7
	s_cbranch_execnz .LBB272_1497
.LBB272_1477:
	s_or_b32 exec_lo, exec_lo, s7
	s_and_saveexec_b32 s6, s3
	s_cbranch_execz .LBB272_1479
.LBB272_1478:
	v_and_b32_e32 v9, 0xffff, v8
	v_lshlrev_b32_e32 v8, 24, v8
	s_delay_alu instid0(VALU_DEP_2) | instskip(NEXT) | instid1(VALU_DEP_2)
	v_and_b32_e32 v10, 3, v9
	v_and_b32_e32 v8, 0x80000000, v8
	s_delay_alu instid0(VALU_DEP_2) | instskip(NEXT) | instid1(VALU_DEP_1)
	v_clz_i32_u32_e32 v11, v10
	v_min_u32_e32 v11, 32, v11
	s_delay_alu instid0(VALU_DEP_1) | instskip(SKIP_1) | instid1(VALU_DEP_2)
	v_subrev_nc_u32_e32 v12, 29, v11
	v_sub_nc_u32_e32 v11, 30, v11
	v_lshlrev_b32_e32 v12, v12, v9
	v_bfe_u32 v9, v9, 2, 5
	s_delay_alu instid0(VALU_DEP_2) | instskip(NEXT) | instid1(VALU_DEP_2)
	v_and_b32_e32 v12, 3, v12
	v_cmp_eq_u32_e32 vcc_lo, 0, v9
	s_delay_alu instid0(VALU_DEP_2) | instskip(NEXT) | instid1(VALU_DEP_1)
	v_dual_cndmask_b32 v9, v9, v11 :: v_dual_cndmask_b32 v10, v10, v12
	v_lshl_add_u32 v9, v9, 23, 0x37800000
	s_delay_alu instid0(VALU_DEP_2) | instskip(NEXT) | instid1(VALU_DEP_1)
	v_lshlrev_b32_e32 v10, 21, v10
	v_or3_b32 v9, v8, v9, v10
.LBB272_1479:
	s_or_b32 exec_lo, exec_lo, s6
	s_delay_alu instid0(VALU_DEP_1) | instskip(SKIP_2) | instid1(VALU_DEP_2)
	v_bfe_u32 v8, v9, 16, 1
	v_cmp_o_f32_e32 vcc_lo, v9, v9
	s_mov_b32 s3, 0
	v_add3_u32 v8, v9, v8, 0x7fff
	s_delay_alu instid0(VALU_DEP_1) | instskip(NEXT) | instid1(VALU_DEP_1)
	v_lshrrev_b32_e32 v8, 16, v8
	v_cndmask_b32_e32 v8, 0x7fc0, v8, vcc_lo
	s_branch .LBB272_1485
.LBB272_1480:
	s_mov_b32 s3, -1
                                        ; implicit-def: $vgpr8
	s_branch .LBB272_1491
.LBB272_1481:
	s_or_saveexec_b32 s10, s10
	v_mov_b32_e32 v9, s7
	s_xor_b32 exec_lo, exec_lo, s10
	s_cbranch_execz .LBB272_1464
.LBB272_1482:
	v_cmp_ne_u16_e32 vcc_lo, 0, v8
	v_mov_b32_e32 v9, 0
	s_and_not1_b32 s6, s6, exec_lo
	s_and_b32 s7, vcc_lo, exec_lo
	s_delay_alu instid0(SALU_CYCLE_1)
	s_or_b32 s6, s6, s7
	s_or_b32 exec_lo, exec_lo, s10
	s_and_saveexec_b32 s7, s6
	s_cbranch_execnz .LBB272_1465
	s_branch .LBB272_1466
.LBB272_1483:
	s_mov_b32 s3, -1
                                        ; implicit-def: $vgpr8
	s_branch .LBB272_1488
.LBB272_1484:
	s_mov_b32 s3, -1
                                        ; implicit-def: $vgpr8
.LBB272_1485:
	s_delay_alu instid0(SALU_CYCLE_1)
	s_and_b32 vcc_lo, exec_lo, s3
	s_cbranch_vccz .LBB272_1487
; %bb.1486:
	global_load_u8 v8, v[0:1], off
	s_waitcnt vmcnt(0)
	v_lshlrev_b32_e32 v8, 24, v8
	s_delay_alu instid0(VALU_DEP_1) | instskip(NEXT) | instid1(VALU_DEP_1)
	v_and_b32_e32 v9, 0x7f000000, v8
	v_clz_i32_u32_e32 v10, v9
	v_add_nc_u32_e32 v12, 0x1000000, v9
	v_cmp_ne_u32_e32 vcc_lo, 0, v9
	s_delay_alu instid0(VALU_DEP_3) | instskip(NEXT) | instid1(VALU_DEP_1)
	v_min_u32_e32 v10, 32, v10
	v_sub_nc_u32_e64 v10, v10, 4 clamp
	s_delay_alu instid0(VALU_DEP_1) | instskip(SKIP_1) | instid1(VALU_DEP_2)
	v_lshlrev_b32_e32 v11, v10, v9
	v_lshlrev_b32_e32 v10, 23, v10
	v_lshrrev_b32_e32 v11, 4, v11
	s_delay_alu instid0(VALU_DEP_1) | instskip(SKIP_1) | instid1(VALU_DEP_2)
	v_sub_nc_u32_e32 v10, v11, v10
	v_ashrrev_i32_e32 v11, 8, v12
	v_add_nc_u32_e32 v10, 0x3c000000, v10
	s_delay_alu instid0(VALU_DEP_1) | instskip(NEXT) | instid1(VALU_DEP_1)
	v_and_or_b32 v10, 0x7f800000, v11, v10
	v_cndmask_b32_e32 v9, 0, v10, vcc_lo
	s_delay_alu instid0(VALU_DEP_1) | instskip(SKIP_1) | instid1(VALU_DEP_2)
	v_and_or_b32 v8, 0x80000000, v8, v9
	v_bfe_u32 v9, v9, 16, 1
	v_cmp_o_f32_e32 vcc_lo, v8, v8
	s_delay_alu instid0(VALU_DEP_2) | instskip(NEXT) | instid1(VALU_DEP_1)
	v_add3_u32 v9, v8, v9, 0x7fff
	v_lshrrev_b32_e32 v9, 16, v9
	s_delay_alu instid0(VALU_DEP_1)
	v_cndmask_b32_e32 v8, 0x7fc0, v9, vcc_lo
.LBB272_1487:
	s_mov_b32 s3, 0
.LBB272_1488:
	s_delay_alu instid0(SALU_CYCLE_1)
	s_and_not1_b32 vcc_lo, exec_lo, s3
	s_cbranch_vccnz .LBB272_1490
; %bb.1489:
	global_load_u8 v8, v[0:1], off
	s_waitcnt vmcnt(0)
	v_lshlrev_b32_e32 v9, 25, v8
	v_lshlrev_b16 v8, 8, v8
	s_delay_alu instid0(VALU_DEP_2) | instskip(NEXT) | instid1(VALU_DEP_2)
	v_lshrrev_b32_e32 v10, 4, v9
	v_and_or_b32 v11, 0x7f00, v8, 0.5
	v_bfe_i32 v8, v8, 0, 16
	s_delay_alu instid0(VALU_DEP_3) | instskip(NEXT) | instid1(VALU_DEP_1)
	v_or_b32_e32 v10, 0x70000000, v10
	v_dual_add_f32 v11, -0.5, v11 :: v_dual_mul_f32 v10, 0x7800000, v10
	v_cmp_gt_u32_e32 vcc_lo, 0x8000000, v9
	s_delay_alu instid0(VALU_DEP_2) | instskip(NEXT) | instid1(VALU_DEP_1)
	v_cndmask_b32_e32 v9, v10, v11, vcc_lo
	v_and_or_b32 v8, 0x80000000, v8, v9
	v_bfe_u32 v9, v9, 16, 1
	s_delay_alu instid0(VALU_DEP_2) | instskip(NEXT) | instid1(VALU_DEP_2)
	v_cmp_o_f32_e32 vcc_lo, v8, v8
	v_add3_u32 v9, v8, v9, 0x7fff
	s_delay_alu instid0(VALU_DEP_1) | instskip(NEXT) | instid1(VALU_DEP_1)
	v_lshrrev_b32_e32 v9, 16, v9
	v_cndmask_b32_e32 v8, 0x7fc0, v9, vcc_lo
.LBB272_1490:
	s_mov_b32 s3, 0
	s_mov_b32 s6, -1
.LBB272_1491:
	s_and_not1_b32 vcc_lo, exec_lo, s3
	s_mov_b32 s3, 0
	s_cbranch_vccnz .LBB272_1502
; %bb.1492:
	v_cmp_lt_i16_e32 vcc_lo, 14, v4
	s_cbranch_vccz .LBB272_1495
; %bb.1493:
	v_cmp_eq_u16_e32 vcc_lo, 15, v4
	s_cbranch_vccz .LBB272_1498
; %bb.1494:
	global_load_u16 v8, v[0:1], off
	s_mov_b32 s0, 0
	s_mov_b32 s6, -1
	s_branch .LBB272_1500
.LBB272_1495:
	s_mov_b32 s3, -1
	s_branch .LBB272_1499
.LBB272_1496:
	s_or_saveexec_b32 s7, s7
	v_mov_b32_e32 v9, s6
	s_xor_b32 exec_lo, exec_lo, s7
	s_cbranch_execz .LBB272_1477
.LBB272_1497:
	v_cmp_ne_u16_e32 vcc_lo, 0, v8
	v_mov_b32_e32 v9, 0
	s_and_not1_b32 s3, s3, exec_lo
	s_and_b32 s6, vcc_lo, exec_lo
	s_delay_alu instid0(SALU_CYCLE_1)
	s_or_b32 s3, s3, s6
	s_or_b32 exec_lo, exec_lo, s7
	s_and_saveexec_b32 s6, s3
	s_cbranch_execnz .LBB272_1478
	s_branch .LBB272_1479
.LBB272_1498:
	s_mov_b32 s0, -1
.LBB272_1499:
                                        ; implicit-def: $vgpr8
.LBB272_1500:
	s_and_b32 vcc_lo, exec_lo, s3
	s_mov_b32 s3, 0
	s_cbranch_vccz .LBB272_1502
; %bb.1501:
	v_cmp_ne_u16_e64 s0, 11, v4
	s_mov_b32 s3, -1
                                        ; implicit-def: $vgpr8
.LBB272_1502:
	s_delay_alu instid0(VALU_DEP_1)
	s_and_b32 vcc_lo, exec_lo, s0
	s_cbranch_vccnz .LBB272_2031
; %bb.1503:
	s_and_not1_b32 vcc_lo, exec_lo, s3
	s_cbranch_vccnz .LBB272_1505
.LBB272_1504:
	global_load_u8 v8, v[0:1], off
	s_mov_b32 s6, -1
	s_waitcnt vmcnt(0)
	v_cmp_ne_u16_e32 vcc_lo, 0, v8
	v_cndmask_b32_e64 v8, 0, 1.0, vcc_lo
	s_delay_alu instid0(VALU_DEP_1)
	v_lshrrev_b32_e32 v8, 16, v8
.LBB272_1505:
	s_mov_b32 s0, 0
.LBB272_1506:
	s_delay_alu instid0(SALU_CYCLE_1)
	s_and_b32 vcc_lo, exec_lo, s0
	s_cbranch_vccz .LBB272_1555
; %bb.1507:
	v_cmp_gt_i16_e32 vcc_lo, 5, v4
	s_cbranch_vccnz .LBB272_1512
; %bb.1508:
	v_cmp_gt_i16_e32 vcc_lo, 8, v4
	s_cbranch_vccnz .LBB272_1513
	;; [unrolled: 3-line block ×3, first 2 shown]
; %bb.1510:
	v_cmp_lt_i16_e32 vcc_lo, 9, v4
	s_cbranch_vccz .LBB272_1515
; %bb.1511:
	global_load_b64 v[8:9], v[0:1], off
	s_mov_b32 s0, 0
	s_waitcnt vmcnt(0)
	v_cvt_f32_f64_e32 v8, v[8:9]
	s_delay_alu instid0(VALU_DEP_1) | instskip(SKIP_1) | instid1(VALU_DEP_2)
	v_bfe_u32 v9, v8, 16, 1
	v_cmp_o_f32_e32 vcc_lo, v8, v8
	v_add3_u32 v9, v8, v9, 0x7fff
	s_delay_alu instid0(VALU_DEP_1) | instskip(NEXT) | instid1(VALU_DEP_1)
	v_lshrrev_b32_e32 v9, 16, v9
	v_cndmask_b32_e32 v8, 0x7fc0, v9, vcc_lo
	s_branch .LBB272_1516
.LBB272_1512:
	s_mov_b32 s0, -1
                                        ; implicit-def: $vgpr8
	s_branch .LBB272_1534
.LBB272_1513:
	s_mov_b32 s0, -1
                                        ; implicit-def: $vgpr8
	s_branch .LBB272_1522
.LBB272_1514:
	s_mov_b32 s0, -1
                                        ; implicit-def: $vgpr8
	s_branch .LBB272_1519
.LBB272_1515:
	s_mov_b32 s0, -1
                                        ; implicit-def: $vgpr8
.LBB272_1516:
	s_delay_alu instid0(SALU_CYCLE_1)
	s_and_not1_b32 vcc_lo, exec_lo, s0
	s_cbranch_vccnz .LBB272_1518
; %bb.1517:
	global_load_b32 v8, v[0:1], off
	s_waitcnt vmcnt(0)
	v_bfe_u32 v9, v8, 16, 1
	v_cmp_o_f32_e32 vcc_lo, v8, v8
	s_delay_alu instid0(VALU_DEP_2) | instskip(NEXT) | instid1(VALU_DEP_1)
	v_add3_u32 v9, v8, v9, 0x7fff
	v_lshrrev_b32_e32 v9, 16, v9
	s_delay_alu instid0(VALU_DEP_1)
	v_cndmask_b32_e32 v8, 0x7fc0, v9, vcc_lo
.LBB272_1518:
	s_mov_b32 s0, 0
.LBB272_1519:
	s_delay_alu instid0(SALU_CYCLE_1)
	s_and_not1_b32 vcc_lo, exec_lo, s0
	s_cbranch_vccnz .LBB272_1521
; %bb.1520:
	global_load_b32 v8, v[0:1], off
	s_waitcnt vmcnt(0)
	v_cvt_f32_f16_e32 v9, v8
	v_cmp_o_f16_e32 vcc_lo, v8, v8
	s_delay_alu instid0(VALU_DEP_2) | instskip(NEXT) | instid1(VALU_DEP_1)
	v_bfe_u32 v10, v9, 16, 1
	v_add3_u32 v9, v9, v10, 0x7fff
	s_delay_alu instid0(VALU_DEP_1) | instskip(NEXT) | instid1(VALU_DEP_1)
	v_lshrrev_b32_e32 v9, 16, v9
	v_cndmask_b32_e32 v8, 0x7fc0, v9, vcc_lo
.LBB272_1521:
	s_mov_b32 s0, 0
.LBB272_1522:
	s_delay_alu instid0(SALU_CYCLE_1)
	s_and_not1_b32 vcc_lo, exec_lo, s0
	s_cbranch_vccnz .LBB272_1533
; %bb.1523:
	v_cmp_gt_i16_e32 vcc_lo, 6, v4
	s_cbranch_vccnz .LBB272_1526
; %bb.1524:
	v_cmp_lt_i16_e32 vcc_lo, 6, v4
	s_cbranch_vccz .LBB272_1527
; %bb.1525:
	global_load_b64 v[8:9], v[0:1], off
	s_mov_b32 s0, 0
	s_waitcnt vmcnt(0)
	v_cvt_f32_f64_e32 v8, v[8:9]
	s_delay_alu instid0(VALU_DEP_1) | instskip(SKIP_1) | instid1(VALU_DEP_2)
	v_bfe_u32 v9, v8, 16, 1
	v_cmp_o_f32_e32 vcc_lo, v8, v8
	v_add3_u32 v9, v8, v9, 0x7fff
	s_delay_alu instid0(VALU_DEP_1) | instskip(NEXT) | instid1(VALU_DEP_1)
	v_lshrrev_b32_e32 v9, 16, v9
	v_cndmask_b32_e32 v8, 0x7fc0, v9, vcc_lo
	s_branch .LBB272_1528
.LBB272_1526:
	s_mov_b32 s0, -1
                                        ; implicit-def: $vgpr8
	s_branch .LBB272_1531
.LBB272_1527:
	s_mov_b32 s0, -1
                                        ; implicit-def: $vgpr8
.LBB272_1528:
	s_delay_alu instid0(SALU_CYCLE_1)
	s_and_not1_b32 vcc_lo, exec_lo, s0
	s_cbranch_vccnz .LBB272_1530
; %bb.1529:
	global_load_b32 v8, v[0:1], off
	s_waitcnt vmcnt(0)
	v_bfe_u32 v9, v8, 16, 1
	v_cmp_o_f32_e32 vcc_lo, v8, v8
	s_delay_alu instid0(VALU_DEP_2) | instskip(NEXT) | instid1(VALU_DEP_1)
	v_add3_u32 v9, v8, v9, 0x7fff
	v_lshrrev_b32_e32 v9, 16, v9
	s_delay_alu instid0(VALU_DEP_1)
	v_cndmask_b32_e32 v8, 0x7fc0, v9, vcc_lo
.LBB272_1530:
	s_mov_b32 s0, 0
.LBB272_1531:
	s_delay_alu instid0(SALU_CYCLE_1)
	s_and_not1_b32 vcc_lo, exec_lo, s0
	s_cbranch_vccnz .LBB272_1533
; %bb.1532:
	global_load_u16 v8, v[0:1], off
	s_waitcnt vmcnt(0)
	v_cvt_f32_f16_e32 v9, v8
	v_cmp_o_f16_e32 vcc_lo, v8, v8
	s_delay_alu instid0(VALU_DEP_2) | instskip(NEXT) | instid1(VALU_DEP_1)
	v_bfe_u32 v10, v9, 16, 1
	v_add3_u32 v9, v9, v10, 0x7fff
	s_delay_alu instid0(VALU_DEP_1) | instskip(NEXT) | instid1(VALU_DEP_1)
	v_lshrrev_b32_e32 v9, 16, v9
	v_cndmask_b32_e32 v8, 0x7fc0, v9, vcc_lo
.LBB272_1533:
	s_mov_b32 s0, 0
.LBB272_1534:
	s_delay_alu instid0(SALU_CYCLE_1)
	s_and_not1_b32 vcc_lo, exec_lo, s0
	s_cbranch_vccnz .LBB272_1554
; %bb.1535:
	v_cmp_gt_i16_e32 vcc_lo, 2, v4
	s_cbranch_vccnz .LBB272_1539
; %bb.1536:
	v_cmp_gt_i16_e32 vcc_lo, 3, v4
	s_cbranch_vccnz .LBB272_1540
; %bb.1537:
	v_cmp_lt_i16_e32 vcc_lo, 3, v4
	s_cbranch_vccz .LBB272_1541
; %bb.1538:
	global_load_b64 v[8:9], v[0:1], off
	s_mov_b32 s0, 0
	s_waitcnt vmcnt(0)
	v_xor_b32_e32 v10, v8, v9
	v_cls_i32_e32 v11, v9
	s_delay_alu instid0(VALU_DEP_2) | instskip(NEXT) | instid1(VALU_DEP_2)
	v_ashrrev_i32_e32 v10, 31, v10
	v_add_nc_u32_e32 v11, -1, v11
	s_delay_alu instid0(VALU_DEP_2) | instskip(NEXT) | instid1(VALU_DEP_1)
	v_add_nc_u32_e32 v10, 32, v10
	v_min_u32_e32 v10, v11, v10
	s_delay_alu instid0(VALU_DEP_1) | instskip(NEXT) | instid1(VALU_DEP_1)
	v_lshlrev_b64 v[8:9], v10, v[8:9]
	v_min_u32_e32 v8, 1, v8
	s_delay_alu instid0(VALU_DEP_1) | instskip(SKIP_1) | instid1(VALU_DEP_2)
	v_or_b32_e32 v8, v9, v8
	v_sub_nc_u32_e32 v9, 32, v10
	v_cvt_f32_i32_e32 v8, v8
	s_delay_alu instid0(VALU_DEP_1) | instskip(NEXT) | instid1(VALU_DEP_1)
	v_ldexp_f32 v8, v8, v9
	v_bfe_u32 v9, v8, 16, 1
	s_delay_alu instid0(VALU_DEP_1) | instskip(NEXT) | instid1(VALU_DEP_1)
	v_add3_u32 v8, v8, v9, 0x7fff
	v_lshrrev_b32_e32 v8, 16, v8
	s_branch .LBB272_1542
.LBB272_1539:
	s_mov_b32 s0, -1
                                        ; implicit-def: $vgpr8
	s_branch .LBB272_1548
.LBB272_1540:
	s_mov_b32 s0, -1
                                        ; implicit-def: $vgpr8
	s_branch .LBB272_1545
.LBB272_1541:
	s_mov_b32 s0, -1
                                        ; implicit-def: $vgpr8
.LBB272_1542:
	s_delay_alu instid0(SALU_CYCLE_1)
	s_and_not1_b32 vcc_lo, exec_lo, s0
	s_cbranch_vccnz .LBB272_1544
; %bb.1543:
	global_load_b32 v8, v[0:1], off
	s_waitcnt vmcnt(0)
	v_cvt_f32_i32_e32 v8, v8
	s_delay_alu instid0(VALU_DEP_1) | instskip(NEXT) | instid1(VALU_DEP_1)
	v_bfe_u32 v9, v8, 16, 1
	v_add3_u32 v8, v8, v9, 0x7fff
	s_delay_alu instid0(VALU_DEP_1)
	v_lshrrev_b32_e32 v8, 16, v8
.LBB272_1544:
	s_mov_b32 s0, 0
.LBB272_1545:
	s_delay_alu instid0(SALU_CYCLE_1)
	s_and_not1_b32 vcc_lo, exec_lo, s0
	s_cbranch_vccnz .LBB272_1547
; %bb.1546:
	global_load_i16 v8, v[0:1], off
	s_waitcnt vmcnt(0)
	v_cvt_f32_i32_e32 v8, v8
	s_delay_alu instid0(VALU_DEP_1) | instskip(NEXT) | instid1(VALU_DEP_1)
	v_bfe_u32 v9, v8, 16, 1
	v_add3_u32 v8, v8, v9, 0x7fff
	s_delay_alu instid0(VALU_DEP_1)
	v_lshrrev_b32_e32 v8, 16, v8
.LBB272_1547:
	s_mov_b32 s0, 0
.LBB272_1548:
	s_delay_alu instid0(SALU_CYCLE_1)
	s_and_not1_b32 vcc_lo, exec_lo, s0
	s_cbranch_vccnz .LBB272_1554
; %bb.1549:
	v_cmp_lt_i16_e32 vcc_lo, 0, v4
	s_mov_b32 s0, 0
	s_cbranch_vccz .LBB272_1551
; %bb.1550:
	global_load_i8 v4, v[0:1], off
	s_waitcnt vmcnt(0)
	v_cvt_f32_i32_e32 v4, v4
	s_delay_alu instid0(VALU_DEP_1) | instskip(NEXT) | instid1(VALU_DEP_1)
	v_bfe_u32 v8, v4, 16, 1
	v_add3_u32 v4, v4, v8, 0x7fff
	s_delay_alu instid0(VALU_DEP_1)
	v_lshrrev_b32_e32 v8, 16, v4
	s_branch .LBB272_1552
.LBB272_1551:
	s_mov_b32 s0, -1
                                        ; implicit-def: $vgpr8
.LBB272_1552:
	s_delay_alu instid0(SALU_CYCLE_1)
	s_and_not1_b32 vcc_lo, exec_lo, s0
	s_cbranch_vccnz .LBB272_1554
; %bb.1553:
	global_load_u8 v0, v[0:1], off
	s_waitcnt vmcnt(0)
	v_cvt_f32_ubyte0_e32 v0, v0
	s_delay_alu instid0(VALU_DEP_1) | instskip(NEXT) | instid1(VALU_DEP_1)
	v_bfe_u32 v1, v0, 16, 1
	v_add3_u32 v0, v0, v1, 0x7fff
	s_delay_alu instid0(VALU_DEP_1)
	v_lshrrev_b32_e32 v8, 16, v0
.LBB272_1554:
	s_mov_b32 s6, -1
.LBB272_1555:
	s_delay_alu instid0(SALU_CYCLE_1)
	s_and_not1_b32 vcc_lo, exec_lo, s6
	s_cbranch_vccnz .LBB272_1986
; %bb.1556:
	s_waitcnt vmcnt(0)
	v_lshlrev_b32_e32 v0, 16, v5
	v_mul_lo_u32 v3, s2, v3
	s_mov_b32 s3, -1
	s_mov_b32 s6, 0
	s_delay_alu instid0(VALU_DEP_2) | instskip(SKIP_1) | instid1(VALU_DEP_2)
	v_mul_f32_e32 v1, 0x4f800000, v0
	v_cmp_gt_f32_e32 vcc_lo, 0xf800000, v0
	v_cndmask_b32_e32 v0, v0, v1, vcc_lo
	s_delay_alu instid0(VALU_DEP_1) | instskip(SKIP_3) | instid1(VALU_DEP_2)
	v_sqrt_f32_e32 v1, v0
	s_waitcnt_depctr 0xfff
	v_add_nc_u32_e32 v4, -1, v1
	v_add_nc_u32_e32 v5, 1, v1
	v_fma_f32 v9, -v4, v1, v0
	s_delay_alu instid0(VALU_DEP_2) | instskip(NEXT) | instid1(VALU_DEP_2)
	v_fma_f32 v10, -v5, v1, v0
	v_cmp_ge_f32_e64 s0, 0, v9
	s_delay_alu instid0(VALU_DEP_1) | instskip(NEXT) | instid1(VALU_DEP_3)
	v_cndmask_b32_e64 v1, v1, v4, s0
	v_cmp_lt_f32_e64 s0, 0, v10
	s_delay_alu instid0(VALU_DEP_1) | instskip(SKIP_1) | instid1(VALU_DEP_2)
	v_cndmask_b32_e64 v1, v1, v5, s0
	v_and_b32_e32 v5, 0xff, v2
	v_mul_f32_e32 v4, 0x37800000, v1
	s_delay_alu instid0(VALU_DEP_1) | instskip(SKIP_1) | instid1(VALU_DEP_2)
	v_cndmask_b32_e32 v1, v1, v4, vcc_lo
	v_cmp_class_f32_e64 vcc_lo, v0, 0x260
	v_cndmask_b32_e32 v4, v1, v0, vcc_lo
	v_ashrrev_i32_e32 v1, 31, v3
	v_cmp_gt_i16_e32 vcc_lo, 11, v5
	s_delay_alu instid0(VALU_DEP_3) | instskip(SKIP_1) | instid1(VALU_DEP_1)
	v_bfe_u32 v0, v4, 16, 1
	s_and_b32 vcc_lo, exec_lo, vcc_lo
	v_add3_u32 v0, v4, v0, 0x7fff
	s_delay_alu instid0(VALU_DEP_1) | instskip(SKIP_1) | instid1(VALU_DEP_1)
	v_lshrrev_b32_e32 v2, 16, v0
	v_add_co_u32 v0, s0, s4, v3
	v_add_co_ci_u32_e64 v1, s0, s5, v1, s0
	v_cmp_o_f32_e64 s0, v4, v4
	s_delay_alu instid0(VALU_DEP_1)
	v_cndmask_b32_e64 v2, 0x7fc0, v2, s0
	s_cbranch_vccnz .LBB272_1634
; %bb.1557:
	v_cmp_lt_i16_e32 vcc_lo, 25, v5
	s_mov_b32 s7, -1
	s_mov_b32 s3, 0
	s_mov_b32 s0, 0
	s_cbranch_vccz .LBB272_1590
; %bb.1558:
	v_cmp_lt_i16_e32 vcc_lo, 28, v5
	s_cbranch_vccz .LBB272_1573
; %bb.1559:
	v_cmp_lt_i16_e32 vcc_lo, 43, v5
	;; [unrolled: 3-line block ×3, first 2 shown]
	s_cbranch_vccz .LBB272_1563
; %bb.1561:
	v_cmp_eq_u16_e32 vcc_lo, 46, v5
	s_mov_b32 s0, -1
	s_mov_b32 s7, 0
	s_cbranch_vccz .LBB272_1563
; %bb.1562:
	v_and_b32_e32 v4, 0xffff, v2
	s_mov_b32 s0, 0
	s_mov_b32 s6, -1
	global_store_b32 v[0:1], v4, off
.LBB272_1563:
	s_and_b32 vcc_lo, exec_lo, s7
	s_cbranch_vccz .LBB272_1568
; %bb.1564:
	v_cmp_eq_u16_e32 vcc_lo, 44, v5
	s_mov_b32 s0, -1
	s_cbranch_vccz .LBB272_1568
; %bb.1565:
	v_and_b32_e32 v4, 0xffff, v2
	v_mov_b32_e32 v9, 0xff
	s_mov_b32 s6, exec_lo
	s_delay_alu instid0(VALU_DEP_2) | instskip(NEXT) | instid1(VALU_DEP_1)
	v_bfe_u32 v10, v4, 7, 8
	v_cmpx_ne_u32_e32 0xff, v10
; %bb.1566:
	v_lshlrev_b32_e32 v9, 16, v4
	v_and_b32_e32 v11, 64, v4
	v_lshrrev_b32_e32 v4, 7, v4
	s_delay_alu instid0(VALU_DEP_3) | instskip(NEXT) | instid1(VALU_DEP_3)
	v_and_or_b32 v9, 0x3f0000, v9, v10
	v_cmp_ne_u32_e32 vcc_lo, 0, v11
	s_delay_alu instid0(VALU_DEP_2) | instskip(NEXT) | instid1(VALU_DEP_1)
	v_cmp_ne_u32_e64 s0, 0, v9
	s_and_b32 s0, vcc_lo, s0
	s_delay_alu instid0(SALU_CYCLE_1) | instskip(NEXT) | instid1(VALU_DEP_1)
	v_cndmask_b32_e64 v9, 0, 1, s0
	v_add_nc_u32_e32 v9, v4, v9
; %bb.1567:
	s_or_b32 exec_lo, exec_lo, s6
	s_mov_b32 s0, 0
	s_mov_b32 s6, -1
	global_store_b8 v[0:1], v9, off
.LBB272_1568:
	s_mov_b32 s7, 0
.LBB272_1569:
	s_delay_alu instid0(SALU_CYCLE_1)
	s_and_b32 vcc_lo, exec_lo, s7
	s_cbranch_vccz .LBB272_1572
; %bb.1570:
	v_cmp_eq_u16_e32 vcc_lo, 29, v5
	s_mov_b32 s0, -1
	s_cbranch_vccz .LBB272_1572
; %bb.1571:
	v_lshlrev_b32_e32 v4, 16, v2
	s_mov_b32 s0, 0
	s_mov_b32 s6, -1
	s_delay_alu instid0(VALU_DEP_1) | instskip(NEXT) | instid1(VALU_DEP_1)
	v_trunc_f32_e32 v4, v4
	v_mul_f32_e32 v9, 0x2f800000, v4
	s_delay_alu instid0(VALU_DEP_1) | instskip(NEXT) | instid1(VALU_DEP_1)
	v_floor_f32_e32 v9, v9
	v_fmamk_f32 v4, v9, 0xcf800000, v4
	v_cvt_u32_f32_e32 v10, v9
	s_delay_alu instid0(VALU_DEP_2)
	v_cvt_u32_f32_e32 v9, v4
	global_store_b64 v[0:1], v[9:10], off
.LBB272_1572:
	s_mov_b32 s7, 0
.LBB272_1573:
	s_delay_alu instid0(SALU_CYCLE_1)
	s_and_b32 vcc_lo, exec_lo, s7
	s_cbranch_vccz .LBB272_1589
; %bb.1574:
	v_cmp_gt_i16_e32 vcc_lo, 27, v5
	s_mov_b32 s6, -1
	s_cbranch_vccnz .LBB272_1580
; %bb.1575:
	v_cmp_lt_i16_e32 vcc_lo, 27, v5
	s_cbranch_vccz .LBB272_1577
; %bb.1576:
	v_lshlrev_b32_e32 v4, 16, v2
	s_mov_b32 s6, 0
	s_delay_alu instid0(VALU_DEP_1)
	v_cvt_u32_f32_e32 v4, v4
	global_store_b32 v[0:1], v4, off
.LBB272_1577:
	s_and_not1_b32 vcc_lo, exec_lo, s6
	s_cbranch_vccnz .LBB272_1579
; %bb.1578:
	v_lshlrev_b32_e32 v4, 16, v2
	s_delay_alu instid0(VALU_DEP_1)
	v_cvt_u32_f32_e32 v4, v4
	global_store_b16 v[0:1], v4, off
.LBB272_1579:
	s_mov_b32 s6, 0
.LBB272_1580:
	s_delay_alu instid0(SALU_CYCLE_1)
	s_and_not1_b32 vcc_lo, exec_lo, s6
	s_cbranch_vccnz .LBB272_1588
; %bb.1581:
	v_dual_mov_b32 v11, 0x80 :: v_dual_lshlrev_b32 v10, 16, v2
	s_mov_b32 s6, exec_lo
	s_delay_alu instid0(VALU_DEP_1) | instskip(NEXT) | instid1(VALU_DEP_1)
	v_and_b32_e32 v9, 0x7fffffff, v10
	v_cmpx_gt_u32_e32 0x43800000, v9
	s_cbranch_execz .LBB272_1587
; %bb.1582:
	v_and_b32_e32 v4, 0xffff, v2
	v_cmp_lt_u32_e32 vcc_lo, 0x3bffffff, v9
	s_mov_b32 s7, 0
                                        ; implicit-def: $vgpr9
	s_and_saveexec_b32 s10, vcc_lo
	s_delay_alu instid0(SALU_CYCLE_1)
	s_xor_b32 s10, exec_lo, s10
	s_cbranch_execz .LBB272_2033
; %bb.1583:
	v_bfe_u32 v9, v4, 4, 1
	s_mov_b32 s7, exec_lo
	s_delay_alu instid0(VALU_DEP_1) | instskip(NEXT) | instid1(VALU_DEP_1)
	v_add3_u32 v9, v10, v9, 0x487ffff
                                        ; implicit-def: $vgpr10
	v_lshrrev_b32_e32 v9, 20, v9
	s_or_saveexec_b32 s10, s10
                                        ; implicit-def: $sgpr11
	s_delay_alu instid0(SALU_CYCLE_1)
	s_xor_b32 exec_lo, exec_lo, s10
	s_cbranch_execnz .LBB272_2034
.LBB272_1584:
	s_or_b32 exec_lo, exec_lo, s10
	v_mov_b32_e32 v11, s11
	s_and_saveexec_b32 s10, s7
.LBB272_1585:
	v_lshrrev_b32_e32 v4, 8, v4
	s_delay_alu instid0(VALU_DEP_1)
	v_and_or_b32 v11, 0x80, v4, v9
.LBB272_1586:
	s_or_b32 exec_lo, exec_lo, s10
.LBB272_1587:
	s_delay_alu instid0(SALU_CYCLE_1)
	s_or_b32 exec_lo, exec_lo, s6
	global_store_b8 v[0:1], v11, off
.LBB272_1588:
	s_mov_b32 s6, -1
.LBB272_1589:
	s_mov_b32 s7, 0
.LBB272_1590:
	s_delay_alu instid0(SALU_CYCLE_1)
	s_and_b32 vcc_lo, exec_lo, s7
	s_cbranch_vccz .LBB272_1630
; %bb.1591:
	v_cmp_lt_i16_e32 vcc_lo, 22, v5
	s_mov_b32 s3, -1
	s_cbranch_vccz .LBB272_1623
; %bb.1592:
	v_cmp_gt_i16_e32 vcc_lo, 24, v5
	s_cbranch_vccnz .LBB272_1612
; %bb.1593:
	v_cmp_lt_i16_e32 vcc_lo, 24, v5
	s_cbranch_vccz .LBB272_1601
; %bb.1594:
	v_dual_mov_b32 v11, 0x80 :: v_dual_lshlrev_b32 v10, 16, v2
	s_mov_b32 s3, exec_lo
	s_delay_alu instid0(VALU_DEP_1) | instskip(NEXT) | instid1(VALU_DEP_1)
	v_and_b32_e32 v9, 0x7fffffff, v10
	v_cmpx_gt_u32_e32 0x47800000, v9
	s_cbranch_execz .LBB272_1600
; %bb.1595:
	v_and_b32_e32 v4, 0xffff, v2
	v_cmp_lt_u32_e32 vcc_lo, 0x37ffffff, v9
	s_mov_b32 s6, 0
                                        ; implicit-def: $vgpr9
	s_and_saveexec_b32 s7, vcc_lo
	s_delay_alu instid0(SALU_CYCLE_1)
	s_xor_b32 s7, exec_lo, s7
	s_cbranch_execz .LBB272_2039
; %bb.1596:
	v_bfe_u32 v9, v4, 5, 1
	s_mov_b32 s6, exec_lo
	s_delay_alu instid0(VALU_DEP_1) | instskip(NEXT) | instid1(VALU_DEP_1)
	v_add3_u32 v9, v10, v9, 0x88fffff
                                        ; implicit-def: $vgpr10
	v_lshrrev_b32_e32 v9, 21, v9
	s_or_saveexec_b32 s7, s7
                                        ; implicit-def: $sgpr10
	s_delay_alu instid0(SALU_CYCLE_1)
	s_xor_b32 exec_lo, exec_lo, s7
	s_cbranch_execnz .LBB272_2040
.LBB272_1597:
	s_or_b32 exec_lo, exec_lo, s7
	v_mov_b32_e32 v11, s10
	s_and_saveexec_b32 s7, s6
.LBB272_1598:
	v_lshrrev_b32_e32 v4, 8, v4
	s_delay_alu instid0(VALU_DEP_1)
	v_and_or_b32 v11, 0x80, v4, v9
.LBB272_1599:
	s_or_b32 exec_lo, exec_lo, s7
.LBB272_1600:
	s_delay_alu instid0(SALU_CYCLE_1)
	s_or_b32 exec_lo, exec_lo, s3
	s_mov_b32 s3, 0
	global_store_b8 v[0:1], v11, off
.LBB272_1601:
	s_and_b32 vcc_lo, exec_lo, s3
	s_cbranch_vccz .LBB272_1611
; %bb.1602:
	v_lshlrev_b32_e32 v10, 16, v2
	v_and_b32_e32 v4, 0xffff, v2
	s_mov_b32 s3, exec_lo
                                        ; implicit-def: $vgpr9
	s_delay_alu instid0(VALU_DEP_2) | instskip(NEXT) | instid1(VALU_DEP_1)
	v_and_b32_e32 v11, 0x7fffffff, v10
	v_cmpx_gt_u32_e32 0x43f00000, v11
	s_xor_b32 s3, exec_lo, s3
	s_cbranch_execz .LBB272_1608
; %bb.1603:
	s_mov_b32 s6, exec_lo
                                        ; implicit-def: $vgpr9
	v_cmpx_lt_u32_e32 0x3c7fffff, v11
	s_xor_b32 s6, exec_lo, s6
; %bb.1604:
	v_bfe_u32 v9, v4, 4, 1
	s_delay_alu instid0(VALU_DEP_1) | instskip(NEXT) | instid1(VALU_DEP_1)
	v_add3_u32 v9, v10, v9, 0x407ffff
	v_and_b32_e32 v10, 0xff00000, v9
	v_lshrrev_b32_e32 v9, 20, v9
	s_delay_alu instid0(VALU_DEP_2) | instskip(NEXT) | instid1(VALU_DEP_2)
	v_cmp_ne_u32_e32 vcc_lo, 0x7f00000, v10
                                        ; implicit-def: $vgpr10
	v_cndmask_b32_e32 v9, 0x7e, v9, vcc_lo
; %bb.1605:
	s_and_not1_saveexec_b32 s6, s6
; %bb.1606:
	v_add_f32_e64 v9, 0x46800000, |v10|
; %bb.1607:
	s_or_b32 exec_lo, exec_lo, s6
                                        ; implicit-def: $vgpr11
.LBB272_1608:
	s_and_not1_saveexec_b32 s3, s3
; %bb.1609:
	v_mov_b32_e32 v9, 0x7f
	v_cmp_lt_u32_e32 vcc_lo, 0x7f800000, v11
	s_delay_alu instid0(VALU_DEP_2)
	v_cndmask_b32_e32 v9, 0x7e, v9, vcc_lo
; %bb.1610:
	s_or_b32 exec_lo, exec_lo, s3
	v_lshrrev_b32_e32 v4, 8, v4
	s_delay_alu instid0(VALU_DEP_1)
	v_and_or_b32 v4, 0x80, v4, v9
	global_store_b8 v[0:1], v4, off
.LBB272_1611:
	s_mov_b32 s3, 0
.LBB272_1612:
	s_delay_alu instid0(SALU_CYCLE_1)
	s_and_not1_b32 vcc_lo, exec_lo, s3
	s_cbranch_vccnz .LBB272_1622
; %bb.1613:
	v_lshlrev_b32_e32 v10, 16, v2
	v_and_b32_e32 v4, 0xffff, v2
	s_mov_b32 s3, exec_lo
                                        ; implicit-def: $vgpr9
	s_delay_alu instid0(VALU_DEP_2) | instskip(NEXT) | instid1(VALU_DEP_1)
	v_and_b32_e32 v11, 0x7fffffff, v10
	v_cmpx_gt_u32_e32 0x47800000, v11
	s_xor_b32 s3, exec_lo, s3
	s_cbranch_execz .LBB272_1619
; %bb.1614:
	s_mov_b32 s6, exec_lo
                                        ; implicit-def: $vgpr9
	v_cmpx_lt_u32_e32 0x387fffff, v11
	s_xor_b32 s6, exec_lo, s6
; %bb.1615:
	v_bfe_u32 v9, v4, 5, 1
	s_delay_alu instid0(VALU_DEP_1) | instskip(NEXT) | instid1(VALU_DEP_1)
	v_add3_u32 v9, v10, v9, 0x80fffff
                                        ; implicit-def: $vgpr10
	v_lshrrev_b32_e32 v9, 21, v9
; %bb.1616:
	s_and_not1_saveexec_b32 s6, s6
; %bb.1617:
	v_add_f32_e64 v9, 0x43000000, |v10|
; %bb.1618:
	s_or_b32 exec_lo, exec_lo, s6
                                        ; implicit-def: $vgpr11
.LBB272_1619:
	s_and_not1_saveexec_b32 s3, s3
; %bb.1620:
	v_mov_b32_e32 v9, 0x7f
	v_cmp_lt_u32_e32 vcc_lo, 0x7f800000, v11
	s_delay_alu instid0(VALU_DEP_2)
	v_cndmask_b32_e32 v9, 0x7c, v9, vcc_lo
; %bb.1621:
	s_or_b32 exec_lo, exec_lo, s3
	v_lshrrev_b32_e32 v4, 8, v4
	s_delay_alu instid0(VALU_DEP_1)
	v_and_or_b32 v4, 0x80, v4, v9
	global_store_b8 v[0:1], v4, off
.LBB272_1622:
	s_mov_b32 s3, 0
	s_mov_b32 s6, -1
.LBB272_1623:
	s_and_not1_b32 vcc_lo, exec_lo, s3
	s_mov_b32 s3, 0
	s_cbranch_vccnz .LBB272_1630
; %bb.1624:
	v_cmp_lt_i16_e32 vcc_lo, 14, v5
	s_mov_b32 s3, -1
	s_cbranch_vccz .LBB272_1628
; %bb.1625:
	v_cmp_eq_u16_e32 vcc_lo, 15, v5
	s_mov_b32 s0, -1
	s_cbranch_vccz .LBB272_1627
; %bb.1626:
	s_mov_b32 s0, 0
	s_mov_b32 s6, -1
	global_store_b16 v[0:1], v2, off
.LBB272_1627:
	s_mov_b32 s3, 0
.LBB272_1628:
	s_delay_alu instid0(SALU_CYCLE_1)
	s_and_b32 vcc_lo, exec_lo, s3
	s_mov_b32 s3, 0
	s_cbranch_vccz .LBB272_1630
; %bb.1629:
	v_cmp_ne_u16_e64 s0, 11, v5
	s_mov_b32 s3, -1
.LBB272_1630:
	s_delay_alu instid0(VALU_DEP_1)
	s_and_b32 vcc_lo, exec_lo, s0
	s_cbranch_vccnz .LBB272_2037
; %bb.1631:
	s_and_not1_b32 vcc_lo, exec_lo, s3
	s_cbranch_vccnz .LBB272_1633
.LBB272_1632:
	v_and_b32_e32 v4, 0x7fff, v2
	s_mov_b32 s6, -1
	s_delay_alu instid0(VALU_DEP_1)
	v_cmp_ne_u16_e32 vcc_lo, 0, v4
	v_cndmask_b32_e64 v4, 0, 1, vcc_lo
	global_store_b8 v[0:1], v4, off
.LBB272_1633:
	s_mov_b32 s3, 0
.LBB272_1634:
	s_delay_alu instid0(SALU_CYCLE_1)
	s_and_b32 vcc_lo, exec_lo, s3
	s_cbranch_vccz .LBB272_1673
; %bb.1635:
	v_cmp_gt_i16_e32 vcc_lo, 5, v5
	s_mov_b32 s0, -1
	s_cbranch_vccnz .LBB272_1656
; %bb.1636:
	v_cmp_gt_i16_e32 vcc_lo, 8, v5
	s_cbranch_vccnz .LBB272_1646
; %bb.1637:
	v_cmp_gt_i16_e32 vcc_lo, 9, v5
	s_cbranch_vccnz .LBB272_1643
; %bb.1638:
	v_cmp_lt_i16_e32 vcc_lo, 9, v5
	s_cbranch_vccz .LBB272_1640
; %bb.1639:
	v_dual_mov_b32 v11, 0 :: v_dual_lshlrev_b32 v4, 16, v2
	s_mov_b32 s0, 0
	s_delay_alu instid0(VALU_DEP_1) | instskip(NEXT) | instid1(VALU_DEP_2)
	v_cvt_f64_f32_e32 v[9:10], v4
	v_mov_b32_e32 v12, v11
	global_store_b128 v[0:1], v[9:12], off
.LBB272_1640:
	s_and_not1_b32 vcc_lo, exec_lo, s0
	s_cbranch_vccnz .LBB272_1642
; %bb.1641:
	v_dual_mov_b32 v10, 0 :: v_dual_lshlrev_b32 v9, 16, v2
	global_store_b64 v[0:1], v[9:10], off
.LBB272_1642:
	s_mov_b32 s0, 0
.LBB272_1643:
	s_delay_alu instid0(SALU_CYCLE_1)
	s_and_not1_b32 vcc_lo, exec_lo, s0
	s_cbranch_vccnz .LBB272_1645
; %bb.1644:
	v_lshlrev_b32_e32 v4, 16, v2
	s_delay_alu instid0(VALU_DEP_1) | instskip(NEXT) | instid1(VALU_DEP_1)
	v_cvt_f16_f32_e32 v4, v4
	v_and_b32_e32 v4, 0xffff, v4
	global_store_b32 v[0:1], v4, off
.LBB272_1645:
	s_mov_b32 s0, 0
.LBB272_1646:
	s_delay_alu instid0(SALU_CYCLE_1)
	s_and_not1_b32 vcc_lo, exec_lo, s0
	s_cbranch_vccnz .LBB272_1655
; %bb.1647:
	v_cmp_gt_i16_e32 vcc_lo, 6, v5
	s_mov_b32 s0, -1
	s_cbranch_vccnz .LBB272_1653
; %bb.1648:
	v_cmp_lt_i16_e32 vcc_lo, 6, v5
	s_cbranch_vccz .LBB272_1650
; %bb.1649:
	v_lshlrev_b32_e32 v4, 16, v2
	s_mov_b32 s0, 0
	s_delay_alu instid0(VALU_DEP_1)
	v_cvt_f64_f32_e32 v[9:10], v4
	global_store_b64 v[0:1], v[9:10], off
.LBB272_1650:
	s_and_not1_b32 vcc_lo, exec_lo, s0
	s_cbranch_vccnz .LBB272_1652
; %bb.1651:
	v_lshlrev_b32_e32 v4, 16, v2
	global_store_b32 v[0:1], v4, off
.LBB272_1652:
	s_mov_b32 s0, 0
.LBB272_1653:
	s_delay_alu instid0(SALU_CYCLE_1)
	s_and_not1_b32 vcc_lo, exec_lo, s0
	s_cbranch_vccnz .LBB272_1655
; %bb.1654:
	v_lshlrev_b32_e32 v4, 16, v2
	s_delay_alu instid0(VALU_DEP_1)
	v_cvt_f16_f32_e32 v4, v4
	global_store_b16 v[0:1], v4, off
.LBB272_1655:
	s_mov_b32 s0, 0
.LBB272_1656:
	s_delay_alu instid0(SALU_CYCLE_1)
	s_and_not1_b32 vcc_lo, exec_lo, s0
	s_cbranch_vccnz .LBB272_1672
; %bb.1657:
	v_cmp_gt_i16_e32 vcc_lo, 2, v5
	s_mov_b32 s0, -1
	s_cbranch_vccnz .LBB272_1667
; %bb.1658:
	v_cmp_gt_i16_e32 vcc_lo, 3, v5
	s_cbranch_vccnz .LBB272_1664
; %bb.1659:
	v_cmp_lt_i16_e32 vcc_lo, 3, v5
	s_cbranch_vccz .LBB272_1661
; %bb.1660:
	v_lshlrev_b32_e32 v4, 16, v2
	s_mov_b32 s0, 0
	s_delay_alu instid0(VALU_DEP_1) | instskip(NEXT) | instid1(VALU_DEP_1)
	v_trunc_f32_e32 v4, v4
	v_mul_f32_e64 v9, 0x2f800000, |v4|
	s_delay_alu instid0(VALU_DEP_1) | instskip(NEXT) | instid1(VALU_DEP_1)
	v_floor_f32_e32 v9, v9
	v_fma_f32 v10, 0xcf800000, v9, |v4|
	v_ashrrev_i32_e32 v4, 31, v4
	v_cvt_u32_f32_e32 v9, v9
	s_delay_alu instid0(VALU_DEP_3) | instskip(NEXT) | instid1(VALU_DEP_2)
	v_cvt_u32_f32_e32 v10, v10
	v_xor_b32_e32 v11, v9, v4
	s_delay_alu instid0(VALU_DEP_2) | instskip(NEXT) | instid1(VALU_DEP_1)
	v_xor_b32_e32 v10, v10, v4
	v_sub_co_u32 v9, vcc_lo, v10, v4
	s_delay_alu instid0(VALU_DEP_3)
	v_sub_co_ci_u32_e32 v10, vcc_lo, v11, v4, vcc_lo
	global_store_b64 v[0:1], v[9:10], off
.LBB272_1661:
	s_and_not1_b32 vcc_lo, exec_lo, s0
	s_cbranch_vccnz .LBB272_1663
; %bb.1662:
	v_lshlrev_b32_e32 v4, 16, v2
	s_delay_alu instid0(VALU_DEP_1)
	v_cvt_i32_f32_e32 v4, v4
	global_store_b32 v[0:1], v4, off
.LBB272_1663:
	s_mov_b32 s0, 0
.LBB272_1664:
	s_delay_alu instid0(SALU_CYCLE_1)
	s_and_not1_b32 vcc_lo, exec_lo, s0
	s_cbranch_vccnz .LBB272_1666
; %bb.1665:
	v_lshlrev_b32_e32 v4, 16, v2
	s_delay_alu instid0(VALU_DEP_1)
	v_cvt_i32_f32_e32 v4, v4
	global_store_b16 v[0:1], v4, off
.LBB272_1666:
	s_mov_b32 s0, 0
.LBB272_1667:
	s_delay_alu instid0(SALU_CYCLE_1)
	s_and_not1_b32 vcc_lo, exec_lo, s0
	s_cbranch_vccnz .LBB272_1672
; %bb.1668:
	v_cmp_lt_i16_e32 vcc_lo, 0, v5
	s_mov_b32 s0, -1
	s_cbranch_vccz .LBB272_1670
; %bb.1669:
	v_lshlrev_b32_e32 v4, 16, v2
	s_mov_b32 s0, 0
	s_delay_alu instid0(VALU_DEP_1)
	v_cvt_i32_f32_e32 v4, v4
	global_store_b8 v[0:1], v4, off
.LBB272_1670:
	s_and_not1_b32 vcc_lo, exec_lo, s0
	s_cbranch_vccnz .LBB272_1672
; %bb.1671:
	v_lshlrev_b32_e32 v2, 16, v2
	s_delay_alu instid0(VALU_DEP_1) | instskip(NEXT) | instid1(VALU_DEP_1)
	v_trunc_f32_e32 v2, v2
	v_mul_f32_e64 v4, 0x2f800000, |v2|
	s_delay_alu instid0(VALU_DEP_1) | instskip(NEXT) | instid1(VALU_DEP_1)
	v_floor_f32_e32 v4, v4
	v_fma_f32 v4, 0xcf800000, v4, |v2|
	v_ashrrev_i32_e32 v2, 31, v2
	s_delay_alu instid0(VALU_DEP_2) | instskip(NEXT) | instid1(VALU_DEP_1)
	v_cvt_u32_f32_e32 v4, v4
	v_xor_b32_e32 v4, v4, v2
	s_delay_alu instid0(VALU_DEP_1)
	v_sub_nc_u32_e32 v2, v4, v2
	global_store_b8 v[0:1], v2, off
.LBB272_1672:
	s_mov_b32 s6, -1
.LBB272_1673:
	s_delay_alu instid0(SALU_CYCLE_1)
	s_and_not1_b32 vcc_lo, exec_lo, s6
	s_cbranch_vccnz .LBB272_1986
; %bb.1674:
	v_lshlrev_b32_e32 v0, 16, v6
	s_lshl_b32 s2, s2, 7
	s_mov_b32 s3, -1
	s_mov_b32 s6, 0
	s_delay_alu instid0(VALU_DEP_1) | instskip(SKIP_1) | instid1(VALU_DEP_2)
	v_mul_f32_e32 v1, 0x4f800000, v0
	v_cmp_gt_f32_e32 vcc_lo, 0xf800000, v0
	v_cndmask_b32_e32 v0, v0, v1, vcc_lo
	s_delay_alu instid0(VALU_DEP_1) | instskip(SKIP_3) | instid1(VALU_DEP_2)
	v_sqrt_f32_e32 v1, v0
	s_waitcnt_depctr 0xfff
	v_add_nc_u32_e32 v2, -1, v1
	v_add_nc_u32_e32 v4, 1, v1
	v_fma_f32 v6, -v2, v1, v0
	s_delay_alu instid0(VALU_DEP_2) | instskip(NEXT) | instid1(VALU_DEP_2)
	v_fma_f32 v9, -v4, v1, v0
	v_cmp_ge_f32_e64 s0, 0, v6
	s_delay_alu instid0(VALU_DEP_1) | instskip(NEXT) | instid1(VALU_DEP_3)
	v_cndmask_b32_e64 v1, v1, v2, s0
	v_cmp_lt_f32_e64 s0, 0, v9
	s_delay_alu instid0(VALU_DEP_1) | instskip(NEXT) | instid1(VALU_DEP_1)
	v_cndmask_b32_e64 v1, v1, v4, s0
	v_mul_f32_e32 v2, 0x37800000, v1
	s_delay_alu instid0(VALU_DEP_1) | instskip(SKIP_2) | instid1(VALU_DEP_3)
	v_cndmask_b32_e32 v1, v1, v2, vcc_lo
	v_cmp_class_f32_e64 vcc_lo, v0, 0x260
	v_add_nc_u32_e32 v2, s2, v3
	v_cndmask_b32_e32 v4, v1, v0, vcc_lo
	s_delay_alu instid0(VALU_DEP_2) | instskip(SKIP_1) | instid1(VALU_DEP_3)
	v_ashrrev_i32_e32 v1, 31, v2
	v_cmp_gt_i16_e32 vcc_lo, 11, v5
	v_bfe_u32 v0, v4, 16, 1
	s_and_b32 vcc_lo, exec_lo, vcc_lo
	s_delay_alu instid0(VALU_DEP_1) | instskip(NEXT) | instid1(VALU_DEP_1)
	v_add3_u32 v0, v4, v0, 0x7fff
	v_lshrrev_b32_e32 v3, 16, v0
	v_add_co_u32 v0, s0, s4, v2
	s_delay_alu instid0(VALU_DEP_1) | instskip(SKIP_1) | instid1(VALU_DEP_1)
	v_add_co_ci_u32_e64 v1, s0, s5, v1, s0
	v_cmp_o_f32_e64 s0, v4, v4
	v_cndmask_b32_e64 v3, 0x7fc0, v3, s0
	s_cbranch_vccnz .LBB272_1752
; %bb.1675:
	v_cmp_lt_i16_e32 vcc_lo, 25, v5
	s_mov_b32 s7, -1
	s_mov_b32 s3, 0
	s_mov_b32 s0, 0
	s_cbranch_vccz .LBB272_1708
; %bb.1676:
	v_cmp_lt_i16_e32 vcc_lo, 28, v5
	s_cbranch_vccz .LBB272_1691
; %bb.1677:
	v_cmp_lt_i16_e32 vcc_lo, 43, v5
	;; [unrolled: 3-line block ×3, first 2 shown]
	s_cbranch_vccz .LBB272_1681
; %bb.1679:
	v_cmp_eq_u16_e32 vcc_lo, 46, v5
	s_mov_b32 s0, -1
	s_mov_b32 s7, 0
	s_cbranch_vccz .LBB272_1681
; %bb.1680:
	v_and_b32_e32 v4, 0xffff, v3
	s_mov_b32 s0, 0
	s_mov_b32 s6, -1
	global_store_b32 v[0:1], v4, off
.LBB272_1681:
	s_and_b32 vcc_lo, exec_lo, s7
	s_cbranch_vccz .LBB272_1686
; %bb.1682:
	v_cmp_eq_u16_e32 vcc_lo, 44, v5
	s_mov_b32 s0, -1
	s_cbranch_vccz .LBB272_1686
; %bb.1683:
	v_and_b32_e32 v4, 0xffff, v3
	v_mov_b32_e32 v6, 0xff
	s_mov_b32 s6, exec_lo
	s_delay_alu instid0(VALU_DEP_2) | instskip(NEXT) | instid1(VALU_DEP_1)
	v_bfe_u32 v9, v4, 7, 8
	v_cmpx_ne_u32_e32 0xff, v9
; %bb.1684:
	v_lshlrev_b32_e32 v6, 16, v4
	v_and_b32_e32 v10, 64, v4
	v_lshrrev_b32_e32 v4, 7, v4
	s_delay_alu instid0(VALU_DEP_3) | instskip(NEXT) | instid1(VALU_DEP_3)
	v_and_or_b32 v6, 0x3f0000, v6, v9
	v_cmp_ne_u32_e32 vcc_lo, 0, v10
	s_delay_alu instid0(VALU_DEP_2) | instskip(NEXT) | instid1(VALU_DEP_1)
	v_cmp_ne_u32_e64 s0, 0, v6
	s_and_b32 s0, vcc_lo, s0
	s_delay_alu instid0(SALU_CYCLE_1) | instskip(NEXT) | instid1(VALU_DEP_1)
	v_cndmask_b32_e64 v6, 0, 1, s0
	v_add_nc_u32_e32 v6, v4, v6
; %bb.1685:
	s_or_b32 exec_lo, exec_lo, s6
	s_mov_b32 s0, 0
	s_mov_b32 s6, -1
	global_store_b8 v[0:1], v6, off
.LBB272_1686:
	s_mov_b32 s7, 0
.LBB272_1687:
	s_delay_alu instid0(SALU_CYCLE_1)
	s_and_b32 vcc_lo, exec_lo, s7
	s_cbranch_vccz .LBB272_1690
; %bb.1688:
	v_cmp_eq_u16_e32 vcc_lo, 29, v5
	s_mov_b32 s0, -1
	s_cbranch_vccz .LBB272_1690
; %bb.1689:
	v_lshlrev_b32_e32 v4, 16, v3
	s_mov_b32 s0, 0
	s_mov_b32 s6, -1
	s_delay_alu instid0(VALU_DEP_1) | instskip(NEXT) | instid1(VALU_DEP_1)
	v_trunc_f32_e32 v4, v4
	v_mul_f32_e32 v6, 0x2f800000, v4
	s_delay_alu instid0(VALU_DEP_1) | instskip(NEXT) | instid1(VALU_DEP_1)
	v_floor_f32_e32 v6, v6
	v_fmamk_f32 v4, v6, 0xcf800000, v4
	v_cvt_u32_f32_e32 v10, v6
	s_delay_alu instid0(VALU_DEP_2)
	v_cvt_u32_f32_e32 v9, v4
	global_store_b64 v[0:1], v[9:10], off
.LBB272_1690:
	s_mov_b32 s7, 0
.LBB272_1691:
	s_delay_alu instid0(SALU_CYCLE_1)
	s_and_b32 vcc_lo, exec_lo, s7
	s_cbranch_vccz .LBB272_1707
; %bb.1692:
	v_cmp_gt_i16_e32 vcc_lo, 27, v5
	s_mov_b32 s6, -1
	s_cbranch_vccnz .LBB272_1698
; %bb.1693:
	v_cmp_lt_i16_e32 vcc_lo, 27, v5
	s_cbranch_vccz .LBB272_1695
; %bb.1694:
	v_lshlrev_b32_e32 v4, 16, v3
	s_mov_b32 s6, 0
	s_delay_alu instid0(VALU_DEP_1)
	v_cvt_u32_f32_e32 v4, v4
	global_store_b32 v[0:1], v4, off
.LBB272_1695:
	s_and_not1_b32 vcc_lo, exec_lo, s6
	s_cbranch_vccnz .LBB272_1697
; %bb.1696:
	v_lshlrev_b32_e32 v4, 16, v3
	s_delay_alu instid0(VALU_DEP_1)
	v_cvt_u32_f32_e32 v4, v4
	global_store_b16 v[0:1], v4, off
.LBB272_1697:
	s_mov_b32 s6, 0
.LBB272_1698:
	s_delay_alu instid0(SALU_CYCLE_1)
	s_and_not1_b32 vcc_lo, exec_lo, s6
	s_cbranch_vccnz .LBB272_1706
; %bb.1699:
	v_dual_mov_b32 v10, 0x80 :: v_dual_lshlrev_b32 v9, 16, v3
	s_mov_b32 s6, exec_lo
	s_delay_alu instid0(VALU_DEP_1) | instskip(NEXT) | instid1(VALU_DEP_1)
	v_and_b32_e32 v6, 0x7fffffff, v9
	v_cmpx_gt_u32_e32 0x43800000, v6
	s_cbranch_execz .LBB272_1705
; %bb.1700:
	v_and_b32_e32 v4, 0xffff, v3
	v_cmp_lt_u32_e32 vcc_lo, 0x3bffffff, v6
	s_mov_b32 s7, 0
                                        ; implicit-def: $vgpr6
	s_and_saveexec_b32 s10, vcc_lo
	s_delay_alu instid0(SALU_CYCLE_1)
	s_xor_b32 s10, exec_lo, s10
	s_cbranch_execz .LBB272_2041
; %bb.1701:
	v_bfe_u32 v6, v4, 4, 1
	s_mov_b32 s7, exec_lo
	s_delay_alu instid0(VALU_DEP_1) | instskip(NEXT) | instid1(VALU_DEP_1)
	v_add3_u32 v6, v9, v6, 0x487ffff
                                        ; implicit-def: $vgpr9
	v_lshrrev_b32_e32 v6, 20, v6
	s_or_saveexec_b32 s10, s10
                                        ; implicit-def: $sgpr11
	s_delay_alu instid0(SALU_CYCLE_1)
	s_xor_b32 exec_lo, exec_lo, s10
	s_cbranch_execnz .LBB272_2042
.LBB272_1702:
	s_or_b32 exec_lo, exec_lo, s10
	v_mov_b32_e32 v10, s11
	s_and_saveexec_b32 s10, s7
.LBB272_1703:
	v_lshrrev_b32_e32 v4, 8, v4
	s_delay_alu instid0(VALU_DEP_1)
	v_and_or_b32 v10, 0x80, v4, v6
.LBB272_1704:
	s_or_b32 exec_lo, exec_lo, s10
.LBB272_1705:
	s_delay_alu instid0(SALU_CYCLE_1)
	s_or_b32 exec_lo, exec_lo, s6
	global_store_b8 v[0:1], v10, off
.LBB272_1706:
	s_mov_b32 s6, -1
.LBB272_1707:
	s_mov_b32 s7, 0
.LBB272_1708:
	s_delay_alu instid0(SALU_CYCLE_1)
	s_and_b32 vcc_lo, exec_lo, s7
	s_cbranch_vccz .LBB272_1748
; %bb.1709:
	v_cmp_lt_i16_e32 vcc_lo, 22, v5
	s_mov_b32 s3, -1
	s_cbranch_vccz .LBB272_1741
; %bb.1710:
	v_cmp_gt_i16_e32 vcc_lo, 24, v5
	s_cbranch_vccnz .LBB272_1730
; %bb.1711:
	v_cmp_lt_i16_e32 vcc_lo, 24, v5
	s_cbranch_vccz .LBB272_1719
; %bb.1712:
	v_dual_mov_b32 v10, 0x80 :: v_dual_lshlrev_b32 v9, 16, v3
	s_mov_b32 s3, exec_lo
	s_delay_alu instid0(VALU_DEP_1) | instskip(NEXT) | instid1(VALU_DEP_1)
	v_and_b32_e32 v6, 0x7fffffff, v9
	v_cmpx_gt_u32_e32 0x47800000, v6
	s_cbranch_execz .LBB272_1718
; %bb.1713:
	v_and_b32_e32 v4, 0xffff, v3
	v_cmp_lt_u32_e32 vcc_lo, 0x37ffffff, v6
	s_mov_b32 s6, 0
                                        ; implicit-def: $vgpr6
	s_and_saveexec_b32 s7, vcc_lo
	s_delay_alu instid0(SALU_CYCLE_1)
	s_xor_b32 s7, exec_lo, s7
	s_cbranch_execz .LBB272_2047
; %bb.1714:
	v_bfe_u32 v6, v4, 5, 1
	s_mov_b32 s6, exec_lo
	s_delay_alu instid0(VALU_DEP_1) | instskip(NEXT) | instid1(VALU_DEP_1)
	v_add3_u32 v6, v9, v6, 0x88fffff
                                        ; implicit-def: $vgpr9
	v_lshrrev_b32_e32 v6, 21, v6
	s_or_saveexec_b32 s7, s7
                                        ; implicit-def: $sgpr10
	s_delay_alu instid0(SALU_CYCLE_1)
	s_xor_b32 exec_lo, exec_lo, s7
	s_cbranch_execnz .LBB272_2048
.LBB272_1715:
	s_or_b32 exec_lo, exec_lo, s7
	v_mov_b32_e32 v10, s10
	s_and_saveexec_b32 s7, s6
.LBB272_1716:
	v_lshrrev_b32_e32 v4, 8, v4
	s_delay_alu instid0(VALU_DEP_1)
	v_and_or_b32 v10, 0x80, v4, v6
.LBB272_1717:
	s_or_b32 exec_lo, exec_lo, s7
.LBB272_1718:
	s_delay_alu instid0(SALU_CYCLE_1)
	s_or_b32 exec_lo, exec_lo, s3
	s_mov_b32 s3, 0
	global_store_b8 v[0:1], v10, off
.LBB272_1719:
	s_and_b32 vcc_lo, exec_lo, s3
	s_cbranch_vccz .LBB272_1729
; %bb.1720:
	v_lshlrev_b32_e32 v9, 16, v3
	v_and_b32_e32 v4, 0xffff, v3
	s_mov_b32 s3, exec_lo
                                        ; implicit-def: $vgpr6
	s_delay_alu instid0(VALU_DEP_2) | instskip(NEXT) | instid1(VALU_DEP_1)
	v_and_b32_e32 v10, 0x7fffffff, v9
	v_cmpx_gt_u32_e32 0x43f00000, v10
	s_xor_b32 s3, exec_lo, s3
	s_cbranch_execz .LBB272_1726
; %bb.1721:
	s_mov_b32 s6, exec_lo
                                        ; implicit-def: $vgpr6
	v_cmpx_lt_u32_e32 0x3c7fffff, v10
	s_xor_b32 s6, exec_lo, s6
; %bb.1722:
	v_bfe_u32 v6, v4, 4, 1
	s_delay_alu instid0(VALU_DEP_1) | instskip(NEXT) | instid1(VALU_DEP_1)
	v_add3_u32 v6, v9, v6, 0x407ffff
	v_and_b32_e32 v9, 0xff00000, v6
	v_lshrrev_b32_e32 v6, 20, v6
	s_delay_alu instid0(VALU_DEP_2) | instskip(NEXT) | instid1(VALU_DEP_2)
	v_cmp_ne_u32_e32 vcc_lo, 0x7f00000, v9
                                        ; implicit-def: $vgpr9
	v_cndmask_b32_e32 v6, 0x7e, v6, vcc_lo
; %bb.1723:
	s_and_not1_saveexec_b32 s6, s6
; %bb.1724:
	v_add_f32_e64 v6, 0x46800000, |v9|
; %bb.1725:
	s_or_b32 exec_lo, exec_lo, s6
                                        ; implicit-def: $vgpr10
.LBB272_1726:
	s_and_not1_saveexec_b32 s3, s3
; %bb.1727:
	v_mov_b32_e32 v6, 0x7f
	v_cmp_lt_u32_e32 vcc_lo, 0x7f800000, v10
	s_delay_alu instid0(VALU_DEP_2)
	v_cndmask_b32_e32 v6, 0x7e, v6, vcc_lo
; %bb.1728:
	s_or_b32 exec_lo, exec_lo, s3
	v_lshrrev_b32_e32 v4, 8, v4
	s_delay_alu instid0(VALU_DEP_1)
	v_and_or_b32 v4, 0x80, v4, v6
	global_store_b8 v[0:1], v4, off
.LBB272_1729:
	s_mov_b32 s3, 0
.LBB272_1730:
	s_delay_alu instid0(SALU_CYCLE_1)
	s_and_not1_b32 vcc_lo, exec_lo, s3
	s_cbranch_vccnz .LBB272_1740
; %bb.1731:
	v_lshlrev_b32_e32 v9, 16, v3
	v_and_b32_e32 v4, 0xffff, v3
	s_mov_b32 s3, exec_lo
                                        ; implicit-def: $vgpr6
	s_delay_alu instid0(VALU_DEP_2) | instskip(NEXT) | instid1(VALU_DEP_1)
	v_and_b32_e32 v10, 0x7fffffff, v9
	v_cmpx_gt_u32_e32 0x47800000, v10
	s_xor_b32 s3, exec_lo, s3
	s_cbranch_execz .LBB272_1737
; %bb.1732:
	s_mov_b32 s6, exec_lo
                                        ; implicit-def: $vgpr6
	v_cmpx_lt_u32_e32 0x387fffff, v10
	s_xor_b32 s6, exec_lo, s6
; %bb.1733:
	v_bfe_u32 v6, v4, 5, 1
	s_delay_alu instid0(VALU_DEP_1) | instskip(NEXT) | instid1(VALU_DEP_1)
	v_add3_u32 v6, v9, v6, 0x80fffff
                                        ; implicit-def: $vgpr9
	v_lshrrev_b32_e32 v6, 21, v6
; %bb.1734:
	s_and_not1_saveexec_b32 s6, s6
; %bb.1735:
	v_add_f32_e64 v6, 0x43000000, |v9|
; %bb.1736:
	s_or_b32 exec_lo, exec_lo, s6
                                        ; implicit-def: $vgpr10
.LBB272_1737:
	s_and_not1_saveexec_b32 s3, s3
; %bb.1738:
	v_mov_b32_e32 v6, 0x7f
	v_cmp_lt_u32_e32 vcc_lo, 0x7f800000, v10
	s_delay_alu instid0(VALU_DEP_2)
	v_cndmask_b32_e32 v6, 0x7c, v6, vcc_lo
; %bb.1739:
	s_or_b32 exec_lo, exec_lo, s3
	v_lshrrev_b32_e32 v4, 8, v4
	s_delay_alu instid0(VALU_DEP_1)
	v_and_or_b32 v4, 0x80, v4, v6
	global_store_b8 v[0:1], v4, off
.LBB272_1740:
	s_mov_b32 s3, 0
	s_mov_b32 s6, -1
.LBB272_1741:
	s_and_not1_b32 vcc_lo, exec_lo, s3
	s_mov_b32 s3, 0
	s_cbranch_vccnz .LBB272_1748
; %bb.1742:
	v_cmp_lt_i16_e32 vcc_lo, 14, v5
	s_mov_b32 s3, -1
	s_cbranch_vccz .LBB272_1746
; %bb.1743:
	v_cmp_eq_u16_e32 vcc_lo, 15, v5
	s_mov_b32 s0, -1
	s_cbranch_vccz .LBB272_1745
; %bb.1744:
	s_mov_b32 s0, 0
	s_mov_b32 s6, -1
	global_store_b16 v[0:1], v3, off
.LBB272_1745:
	s_mov_b32 s3, 0
.LBB272_1746:
	s_delay_alu instid0(SALU_CYCLE_1)
	s_and_b32 vcc_lo, exec_lo, s3
	s_mov_b32 s3, 0
	s_cbranch_vccz .LBB272_1748
; %bb.1747:
	v_cmp_ne_u16_e64 s0, 11, v5
	s_mov_b32 s3, -1
.LBB272_1748:
	s_delay_alu instid0(VALU_DEP_1)
	s_and_b32 vcc_lo, exec_lo, s0
	s_cbranch_vccnz .LBB272_2045
; %bb.1749:
	s_and_not1_b32 vcc_lo, exec_lo, s3
	s_cbranch_vccnz .LBB272_1751
.LBB272_1750:
	v_and_b32_e32 v4, 0x7fff, v3
	s_mov_b32 s6, -1
	s_delay_alu instid0(VALU_DEP_1)
	v_cmp_ne_u16_e32 vcc_lo, 0, v4
	v_cndmask_b32_e64 v4, 0, 1, vcc_lo
	global_store_b8 v[0:1], v4, off
.LBB272_1751:
	s_mov_b32 s3, 0
.LBB272_1752:
	s_delay_alu instid0(SALU_CYCLE_1)
	s_and_b32 vcc_lo, exec_lo, s3
	s_cbranch_vccz .LBB272_1791
; %bb.1753:
	v_cmp_gt_i16_e32 vcc_lo, 5, v5
	s_mov_b32 s0, -1
	s_cbranch_vccnz .LBB272_1774
; %bb.1754:
	v_cmp_gt_i16_e32 vcc_lo, 8, v5
	s_cbranch_vccnz .LBB272_1764
; %bb.1755:
	v_cmp_gt_i16_e32 vcc_lo, 9, v5
	s_cbranch_vccnz .LBB272_1761
; %bb.1756:
	v_cmp_lt_i16_e32 vcc_lo, 9, v5
	s_cbranch_vccz .LBB272_1758
; %bb.1757:
	v_dual_mov_b32 v11, 0 :: v_dual_lshlrev_b32 v4, 16, v3
	s_mov_b32 s0, 0
	s_delay_alu instid0(VALU_DEP_1) | instskip(NEXT) | instid1(VALU_DEP_2)
	v_cvt_f64_f32_e32 v[9:10], v4
	v_mov_b32_e32 v12, v11
	global_store_b128 v[0:1], v[9:12], off
.LBB272_1758:
	s_and_not1_b32 vcc_lo, exec_lo, s0
	s_cbranch_vccnz .LBB272_1760
; %bb.1759:
	v_dual_mov_b32 v10, 0 :: v_dual_lshlrev_b32 v9, 16, v3
	global_store_b64 v[0:1], v[9:10], off
.LBB272_1760:
	s_mov_b32 s0, 0
.LBB272_1761:
	s_delay_alu instid0(SALU_CYCLE_1)
	s_and_not1_b32 vcc_lo, exec_lo, s0
	s_cbranch_vccnz .LBB272_1763
; %bb.1762:
	v_lshlrev_b32_e32 v4, 16, v3
	s_delay_alu instid0(VALU_DEP_1) | instskip(NEXT) | instid1(VALU_DEP_1)
	v_cvt_f16_f32_e32 v4, v4
	v_and_b32_e32 v4, 0xffff, v4
	global_store_b32 v[0:1], v4, off
.LBB272_1763:
	s_mov_b32 s0, 0
.LBB272_1764:
	s_delay_alu instid0(SALU_CYCLE_1)
	s_and_not1_b32 vcc_lo, exec_lo, s0
	s_cbranch_vccnz .LBB272_1773
; %bb.1765:
	v_cmp_gt_i16_e32 vcc_lo, 6, v5
	s_mov_b32 s0, -1
	s_cbranch_vccnz .LBB272_1771
; %bb.1766:
	v_cmp_lt_i16_e32 vcc_lo, 6, v5
	s_cbranch_vccz .LBB272_1768
; %bb.1767:
	v_lshlrev_b32_e32 v4, 16, v3
	s_mov_b32 s0, 0
	s_delay_alu instid0(VALU_DEP_1)
	v_cvt_f64_f32_e32 v[9:10], v4
	global_store_b64 v[0:1], v[9:10], off
.LBB272_1768:
	s_and_not1_b32 vcc_lo, exec_lo, s0
	s_cbranch_vccnz .LBB272_1770
; %bb.1769:
	v_lshlrev_b32_e32 v4, 16, v3
	global_store_b32 v[0:1], v4, off
.LBB272_1770:
	s_mov_b32 s0, 0
.LBB272_1771:
	s_delay_alu instid0(SALU_CYCLE_1)
	s_and_not1_b32 vcc_lo, exec_lo, s0
	s_cbranch_vccnz .LBB272_1773
; %bb.1772:
	v_lshlrev_b32_e32 v4, 16, v3
	s_delay_alu instid0(VALU_DEP_1)
	v_cvt_f16_f32_e32 v4, v4
	global_store_b16 v[0:1], v4, off
.LBB272_1773:
	s_mov_b32 s0, 0
.LBB272_1774:
	s_delay_alu instid0(SALU_CYCLE_1)
	s_and_not1_b32 vcc_lo, exec_lo, s0
	s_cbranch_vccnz .LBB272_1790
; %bb.1775:
	v_cmp_gt_i16_e32 vcc_lo, 2, v5
	s_mov_b32 s0, -1
	s_cbranch_vccnz .LBB272_1785
; %bb.1776:
	v_cmp_gt_i16_e32 vcc_lo, 3, v5
	s_cbranch_vccnz .LBB272_1782
; %bb.1777:
	v_cmp_lt_i16_e32 vcc_lo, 3, v5
	s_cbranch_vccz .LBB272_1779
; %bb.1778:
	v_lshlrev_b32_e32 v4, 16, v3
	s_mov_b32 s0, 0
	s_delay_alu instid0(VALU_DEP_1) | instskip(NEXT) | instid1(VALU_DEP_1)
	v_trunc_f32_e32 v4, v4
	v_mul_f32_e64 v6, 0x2f800000, |v4|
	s_delay_alu instid0(VALU_DEP_1) | instskip(NEXT) | instid1(VALU_DEP_1)
	v_floor_f32_e32 v6, v6
	v_fma_f32 v9, 0xcf800000, v6, |v4|
	v_ashrrev_i32_e32 v4, 31, v4
	v_cvt_u32_f32_e32 v6, v6
	s_delay_alu instid0(VALU_DEP_3) | instskip(NEXT) | instid1(VALU_DEP_2)
	v_cvt_u32_f32_e32 v9, v9
	v_xor_b32_e32 v6, v6, v4
	s_delay_alu instid0(VALU_DEP_2) | instskip(NEXT) | instid1(VALU_DEP_1)
	v_xor_b32_e32 v9, v9, v4
	v_sub_co_u32 v9, vcc_lo, v9, v4
	s_delay_alu instid0(VALU_DEP_3)
	v_sub_co_ci_u32_e32 v10, vcc_lo, v6, v4, vcc_lo
	global_store_b64 v[0:1], v[9:10], off
.LBB272_1779:
	s_and_not1_b32 vcc_lo, exec_lo, s0
	s_cbranch_vccnz .LBB272_1781
; %bb.1780:
	v_lshlrev_b32_e32 v4, 16, v3
	s_delay_alu instid0(VALU_DEP_1)
	v_cvt_i32_f32_e32 v4, v4
	global_store_b32 v[0:1], v4, off
.LBB272_1781:
	s_mov_b32 s0, 0
.LBB272_1782:
	s_delay_alu instid0(SALU_CYCLE_1)
	s_and_not1_b32 vcc_lo, exec_lo, s0
	s_cbranch_vccnz .LBB272_1784
; %bb.1783:
	v_lshlrev_b32_e32 v4, 16, v3
	s_delay_alu instid0(VALU_DEP_1)
	v_cvt_i32_f32_e32 v4, v4
	global_store_b16 v[0:1], v4, off
.LBB272_1784:
	s_mov_b32 s0, 0
.LBB272_1785:
	s_delay_alu instid0(SALU_CYCLE_1)
	s_and_not1_b32 vcc_lo, exec_lo, s0
	s_cbranch_vccnz .LBB272_1790
; %bb.1786:
	v_cmp_lt_i16_e32 vcc_lo, 0, v5
	v_lshlrev_b32_e32 v3, 16, v3
	s_mov_b32 s0, -1
	s_cbranch_vccz .LBB272_1788
; %bb.1787:
	s_delay_alu instid0(VALU_DEP_1)
	v_cvt_i32_f32_e32 v4, v3
	s_mov_b32 s0, 0
	global_store_b8 v[0:1], v4, off
.LBB272_1788:
	s_and_not1_b32 vcc_lo, exec_lo, s0
	s_cbranch_vccnz .LBB272_1790
; %bb.1789:
	v_trunc_f32_e32 v3, v3
	s_delay_alu instid0(VALU_DEP_1) | instskip(NEXT) | instid1(VALU_DEP_1)
	v_mul_f32_e64 v4, 0x2f800000, |v3|
	v_floor_f32_e32 v4, v4
	s_delay_alu instid0(VALU_DEP_1) | instskip(SKIP_1) | instid1(VALU_DEP_2)
	v_fma_f32 v4, 0xcf800000, v4, |v3|
	v_ashrrev_i32_e32 v3, 31, v3
	v_cvt_u32_f32_e32 v4, v4
	s_delay_alu instid0(VALU_DEP_1) | instskip(NEXT) | instid1(VALU_DEP_1)
	v_xor_b32_e32 v4, v4, v3
	v_sub_nc_u32_e32 v3, v4, v3
	global_store_b8 v[0:1], v3, off
.LBB272_1790:
	s_mov_b32 s6, -1
.LBB272_1791:
	s_delay_alu instid0(SALU_CYCLE_1)
	s_and_not1_b32 vcc_lo, exec_lo, s6
	s_cbranch_vccnz .LBB272_1986
; %bb.1792:
	v_lshlrev_b32_e32 v0, 16, v7
	s_mov_b32 s3, -1
	s_mov_b32 s6, 0
	s_delay_alu instid0(VALU_DEP_1) | instskip(SKIP_1) | instid1(VALU_DEP_2)
	v_dual_mul_f32 v1, 0x4f800000, v0 :: v_dual_add_nc_u32 v2, s2, v2
	v_cmp_gt_f32_e32 vcc_lo, 0xf800000, v0
	v_cndmask_b32_e32 v0, v0, v1, vcc_lo
	s_delay_alu instid0(VALU_DEP_1) | instskip(SKIP_3) | instid1(VALU_DEP_2)
	v_sqrt_f32_e32 v1, v0
	s_waitcnt_depctr 0xfff
	v_add_nc_u32_e32 v3, -1, v1
	v_add_nc_u32_e32 v4, 1, v1
	v_fma_f32 v6, -v3, v1, v0
	s_delay_alu instid0(VALU_DEP_2) | instskip(NEXT) | instid1(VALU_DEP_2)
	v_fma_f32 v7, -v4, v1, v0
	v_cmp_ge_f32_e64 s0, 0, v6
	s_delay_alu instid0(VALU_DEP_1) | instskip(NEXT) | instid1(VALU_DEP_3)
	v_cndmask_b32_e64 v1, v1, v3, s0
	v_cmp_lt_f32_e64 s0, 0, v7
	s_delay_alu instid0(VALU_DEP_1) | instskip(NEXT) | instid1(VALU_DEP_1)
	v_cndmask_b32_e64 v1, v1, v4, s0
	v_mul_f32_e32 v3, 0x37800000, v1
	s_delay_alu instid0(VALU_DEP_1) | instskip(SKIP_1) | instid1(VALU_DEP_2)
	v_cndmask_b32_e32 v1, v1, v3, vcc_lo
	v_cmp_class_f32_e64 vcc_lo, v0, 0x260
	v_cndmask_b32_e32 v3, v1, v0, vcc_lo
	v_ashrrev_i32_e32 v1, 31, v2
	v_cmp_gt_i16_e32 vcc_lo, 11, v5
	s_delay_alu instid0(VALU_DEP_3) | instskip(SKIP_1) | instid1(VALU_DEP_1)
	v_bfe_u32 v0, v3, 16, 1
	s_and_b32 vcc_lo, exec_lo, vcc_lo
	v_add3_u32 v0, v3, v0, 0x7fff
	s_delay_alu instid0(VALU_DEP_1) | instskip(SKIP_1) | instid1(VALU_DEP_1)
	v_lshrrev_b32_e32 v4, 16, v0
	v_add_co_u32 v0, s0, s4, v2
	v_add_co_ci_u32_e64 v1, s0, s5, v1, s0
	v_cmp_o_f32_e64 s0, v3, v3
	s_delay_alu instid0(VALU_DEP_1)
	v_cndmask_b32_e64 v3, 0x7fc0, v4, s0
	s_cbranch_vccnz .LBB272_1870
; %bb.1793:
	v_cmp_lt_i16_e32 vcc_lo, 25, v5
	s_mov_b32 s7, -1
	s_mov_b32 s3, 0
	s_mov_b32 s0, 0
	s_cbranch_vccz .LBB272_1826
; %bb.1794:
	v_cmp_lt_i16_e32 vcc_lo, 28, v5
	s_cbranch_vccz .LBB272_1809
; %bb.1795:
	v_cmp_lt_i16_e32 vcc_lo, 43, v5
	;; [unrolled: 3-line block ×3, first 2 shown]
	s_cbranch_vccz .LBB272_1799
; %bb.1797:
	v_cmp_eq_u16_e32 vcc_lo, 46, v5
	s_mov_b32 s0, -1
	s_mov_b32 s7, 0
	s_cbranch_vccz .LBB272_1799
; %bb.1798:
	v_and_b32_e32 v4, 0xffff, v3
	s_mov_b32 s0, 0
	s_mov_b32 s6, -1
	global_store_b32 v[0:1], v4, off
.LBB272_1799:
	s_and_b32 vcc_lo, exec_lo, s7
	s_cbranch_vccz .LBB272_1804
; %bb.1800:
	v_cmp_eq_u16_e32 vcc_lo, 44, v5
	s_mov_b32 s0, -1
	s_cbranch_vccz .LBB272_1804
; %bb.1801:
	v_and_b32_e32 v4, 0xffff, v3
	v_mov_b32_e32 v6, 0xff
	s_mov_b32 s6, exec_lo
	s_delay_alu instid0(VALU_DEP_2) | instskip(NEXT) | instid1(VALU_DEP_1)
	v_bfe_u32 v7, v4, 7, 8
	v_cmpx_ne_u32_e32 0xff, v7
; %bb.1802:
	v_lshlrev_b32_e32 v6, 16, v4
	v_and_b32_e32 v9, 64, v4
	v_lshrrev_b32_e32 v4, 7, v4
	s_delay_alu instid0(VALU_DEP_3) | instskip(NEXT) | instid1(VALU_DEP_3)
	v_and_or_b32 v6, 0x3f0000, v6, v7
	v_cmp_ne_u32_e32 vcc_lo, 0, v9
	s_delay_alu instid0(VALU_DEP_2) | instskip(NEXT) | instid1(VALU_DEP_1)
	v_cmp_ne_u32_e64 s0, 0, v6
	s_and_b32 s0, vcc_lo, s0
	s_delay_alu instid0(SALU_CYCLE_1) | instskip(NEXT) | instid1(VALU_DEP_1)
	v_cndmask_b32_e64 v6, 0, 1, s0
	v_add_nc_u32_e32 v6, v4, v6
; %bb.1803:
	s_or_b32 exec_lo, exec_lo, s6
	s_mov_b32 s0, 0
	s_mov_b32 s6, -1
	global_store_b8 v[0:1], v6, off
.LBB272_1804:
	s_mov_b32 s7, 0
.LBB272_1805:
	s_delay_alu instid0(SALU_CYCLE_1)
	s_and_b32 vcc_lo, exec_lo, s7
	s_cbranch_vccz .LBB272_1808
; %bb.1806:
	v_cmp_eq_u16_e32 vcc_lo, 29, v5
	s_mov_b32 s0, -1
	s_cbranch_vccz .LBB272_1808
; %bb.1807:
	v_lshlrev_b32_e32 v4, 16, v3
	s_mov_b32 s0, 0
	s_mov_b32 s6, -1
	s_delay_alu instid0(VALU_DEP_1) | instskip(NEXT) | instid1(VALU_DEP_1)
	v_trunc_f32_e32 v4, v4
	v_mul_f32_e32 v6, 0x2f800000, v4
	s_delay_alu instid0(VALU_DEP_1) | instskip(NEXT) | instid1(VALU_DEP_1)
	v_floor_f32_e32 v6, v6
	v_fmamk_f32 v4, v6, 0xcf800000, v4
	v_cvt_u32_f32_e32 v7, v6
	s_delay_alu instid0(VALU_DEP_2)
	v_cvt_u32_f32_e32 v6, v4
	global_store_b64 v[0:1], v[6:7], off
.LBB272_1808:
	s_mov_b32 s7, 0
.LBB272_1809:
	s_delay_alu instid0(SALU_CYCLE_1)
	s_and_b32 vcc_lo, exec_lo, s7
	s_cbranch_vccz .LBB272_1825
; %bb.1810:
	v_cmp_gt_i16_e32 vcc_lo, 27, v5
	s_mov_b32 s6, -1
	s_cbranch_vccnz .LBB272_1816
; %bb.1811:
	v_cmp_lt_i16_e32 vcc_lo, 27, v5
	s_cbranch_vccz .LBB272_1813
; %bb.1812:
	v_lshlrev_b32_e32 v4, 16, v3
	s_mov_b32 s6, 0
	s_delay_alu instid0(VALU_DEP_1)
	v_cvt_u32_f32_e32 v4, v4
	global_store_b32 v[0:1], v4, off
.LBB272_1813:
	s_and_not1_b32 vcc_lo, exec_lo, s6
	s_cbranch_vccnz .LBB272_1815
; %bb.1814:
	v_lshlrev_b32_e32 v4, 16, v3
	s_delay_alu instid0(VALU_DEP_1)
	v_cvt_u32_f32_e32 v4, v4
	global_store_b16 v[0:1], v4, off
.LBB272_1815:
	s_mov_b32 s6, 0
.LBB272_1816:
	s_delay_alu instid0(SALU_CYCLE_1)
	s_and_not1_b32 vcc_lo, exec_lo, s6
	s_cbranch_vccnz .LBB272_1824
; %bb.1817:
	v_lshlrev_b32_e32 v7, 16, v3
	v_mov_b32_e32 v9, 0x80
	s_mov_b32 s6, exec_lo
	s_delay_alu instid0(VALU_DEP_2) | instskip(NEXT) | instid1(VALU_DEP_1)
	v_and_b32_e32 v6, 0x7fffffff, v7
	v_cmpx_gt_u32_e32 0x43800000, v6
	s_cbranch_execz .LBB272_1823
; %bb.1818:
	v_and_b32_e32 v4, 0xffff, v3
	v_cmp_lt_u32_e32 vcc_lo, 0x3bffffff, v6
	s_mov_b32 s7, 0
                                        ; implicit-def: $vgpr6
	s_and_saveexec_b32 s10, vcc_lo
	s_delay_alu instid0(SALU_CYCLE_1)
	s_xor_b32 s10, exec_lo, s10
	s_cbranch_execz .LBB272_2049
; %bb.1819:
	v_bfe_u32 v6, v4, 4, 1
	s_mov_b32 s7, exec_lo
	s_delay_alu instid0(VALU_DEP_1) | instskip(NEXT) | instid1(VALU_DEP_1)
	v_add3_u32 v6, v7, v6, 0x487ffff
                                        ; implicit-def: $vgpr7
	v_lshrrev_b32_e32 v6, 20, v6
	s_or_saveexec_b32 s10, s10
                                        ; implicit-def: $sgpr11
	s_delay_alu instid0(SALU_CYCLE_1)
	s_xor_b32 exec_lo, exec_lo, s10
	s_cbranch_execnz .LBB272_2050
.LBB272_1820:
	s_or_b32 exec_lo, exec_lo, s10
	v_mov_b32_e32 v9, s11
	s_and_saveexec_b32 s10, s7
.LBB272_1821:
	v_lshrrev_b32_e32 v4, 8, v4
	s_delay_alu instid0(VALU_DEP_1)
	v_and_or_b32 v9, 0x80, v4, v6
.LBB272_1822:
	s_or_b32 exec_lo, exec_lo, s10
.LBB272_1823:
	s_delay_alu instid0(SALU_CYCLE_1)
	s_or_b32 exec_lo, exec_lo, s6
	global_store_b8 v[0:1], v9, off
.LBB272_1824:
	s_mov_b32 s6, -1
.LBB272_1825:
	s_mov_b32 s7, 0
.LBB272_1826:
	s_delay_alu instid0(SALU_CYCLE_1)
	s_and_b32 vcc_lo, exec_lo, s7
	s_cbranch_vccz .LBB272_1866
; %bb.1827:
	v_cmp_lt_i16_e32 vcc_lo, 22, v5
	s_mov_b32 s3, -1
	s_cbranch_vccz .LBB272_1859
; %bb.1828:
	v_cmp_gt_i16_e32 vcc_lo, 24, v5
	s_cbranch_vccnz .LBB272_1848
; %bb.1829:
	v_cmp_lt_i16_e32 vcc_lo, 24, v5
	s_cbranch_vccz .LBB272_1837
; %bb.1830:
	v_lshlrev_b32_e32 v7, 16, v3
	v_mov_b32_e32 v9, 0x80
	s_mov_b32 s3, exec_lo
	s_delay_alu instid0(VALU_DEP_2) | instskip(NEXT) | instid1(VALU_DEP_1)
	v_and_b32_e32 v6, 0x7fffffff, v7
	v_cmpx_gt_u32_e32 0x47800000, v6
	s_cbranch_execz .LBB272_1836
; %bb.1831:
	v_and_b32_e32 v4, 0xffff, v3
	v_cmp_lt_u32_e32 vcc_lo, 0x37ffffff, v6
	s_mov_b32 s6, 0
                                        ; implicit-def: $vgpr6
	s_and_saveexec_b32 s7, vcc_lo
	s_delay_alu instid0(SALU_CYCLE_1)
	s_xor_b32 s7, exec_lo, s7
	s_cbranch_execz .LBB272_2055
; %bb.1832:
	v_bfe_u32 v6, v4, 5, 1
	s_mov_b32 s6, exec_lo
	s_delay_alu instid0(VALU_DEP_1) | instskip(NEXT) | instid1(VALU_DEP_1)
	v_add3_u32 v6, v7, v6, 0x88fffff
                                        ; implicit-def: $vgpr7
	v_lshrrev_b32_e32 v6, 21, v6
	s_or_saveexec_b32 s7, s7
                                        ; implicit-def: $sgpr10
	s_delay_alu instid0(SALU_CYCLE_1)
	s_xor_b32 exec_lo, exec_lo, s7
	s_cbranch_execnz .LBB272_2056
.LBB272_1833:
	s_or_b32 exec_lo, exec_lo, s7
	v_mov_b32_e32 v9, s10
	s_and_saveexec_b32 s7, s6
.LBB272_1834:
	v_lshrrev_b32_e32 v4, 8, v4
	s_delay_alu instid0(VALU_DEP_1)
	v_and_or_b32 v9, 0x80, v4, v6
.LBB272_1835:
	s_or_b32 exec_lo, exec_lo, s7
.LBB272_1836:
	s_delay_alu instid0(SALU_CYCLE_1)
	s_or_b32 exec_lo, exec_lo, s3
	s_mov_b32 s3, 0
	global_store_b8 v[0:1], v9, off
.LBB272_1837:
	s_and_b32 vcc_lo, exec_lo, s3
	s_cbranch_vccz .LBB272_1847
; %bb.1838:
	v_lshlrev_b32_e32 v7, 16, v3
	v_and_b32_e32 v4, 0xffff, v3
	s_mov_b32 s3, exec_lo
                                        ; implicit-def: $vgpr6
	s_delay_alu instid0(VALU_DEP_2) | instskip(NEXT) | instid1(VALU_DEP_1)
	v_and_b32_e32 v9, 0x7fffffff, v7
	v_cmpx_gt_u32_e32 0x43f00000, v9
	s_xor_b32 s3, exec_lo, s3
	s_cbranch_execz .LBB272_1844
; %bb.1839:
	s_mov_b32 s6, exec_lo
                                        ; implicit-def: $vgpr6
	v_cmpx_lt_u32_e32 0x3c7fffff, v9
	s_xor_b32 s6, exec_lo, s6
; %bb.1840:
	v_bfe_u32 v6, v4, 4, 1
	s_delay_alu instid0(VALU_DEP_1) | instskip(NEXT) | instid1(VALU_DEP_1)
	v_add3_u32 v6, v7, v6, 0x407ffff
	v_and_b32_e32 v7, 0xff00000, v6
	v_lshrrev_b32_e32 v6, 20, v6
	s_delay_alu instid0(VALU_DEP_2) | instskip(NEXT) | instid1(VALU_DEP_2)
	v_cmp_ne_u32_e32 vcc_lo, 0x7f00000, v7
                                        ; implicit-def: $vgpr7
	v_cndmask_b32_e32 v6, 0x7e, v6, vcc_lo
; %bb.1841:
	s_and_not1_saveexec_b32 s6, s6
; %bb.1842:
	v_add_f32_e64 v6, 0x46800000, |v7|
; %bb.1843:
	s_or_b32 exec_lo, exec_lo, s6
                                        ; implicit-def: $vgpr9
.LBB272_1844:
	s_and_not1_saveexec_b32 s3, s3
; %bb.1845:
	v_mov_b32_e32 v6, 0x7f
	v_cmp_lt_u32_e32 vcc_lo, 0x7f800000, v9
	s_delay_alu instid0(VALU_DEP_2)
	v_cndmask_b32_e32 v6, 0x7e, v6, vcc_lo
; %bb.1846:
	s_or_b32 exec_lo, exec_lo, s3
	v_lshrrev_b32_e32 v4, 8, v4
	s_delay_alu instid0(VALU_DEP_1)
	v_and_or_b32 v4, 0x80, v4, v6
	global_store_b8 v[0:1], v4, off
.LBB272_1847:
	s_mov_b32 s3, 0
.LBB272_1848:
	s_delay_alu instid0(SALU_CYCLE_1)
	s_and_not1_b32 vcc_lo, exec_lo, s3
	s_cbranch_vccnz .LBB272_1858
; %bb.1849:
	v_lshlrev_b32_e32 v7, 16, v3
	v_and_b32_e32 v4, 0xffff, v3
	s_mov_b32 s3, exec_lo
                                        ; implicit-def: $vgpr6
	s_delay_alu instid0(VALU_DEP_2) | instskip(NEXT) | instid1(VALU_DEP_1)
	v_and_b32_e32 v9, 0x7fffffff, v7
	v_cmpx_gt_u32_e32 0x47800000, v9
	s_xor_b32 s3, exec_lo, s3
	s_cbranch_execz .LBB272_1855
; %bb.1850:
	s_mov_b32 s6, exec_lo
                                        ; implicit-def: $vgpr6
	v_cmpx_lt_u32_e32 0x387fffff, v9
	s_xor_b32 s6, exec_lo, s6
; %bb.1851:
	v_bfe_u32 v6, v4, 5, 1
	s_delay_alu instid0(VALU_DEP_1) | instskip(NEXT) | instid1(VALU_DEP_1)
	v_add3_u32 v6, v7, v6, 0x80fffff
                                        ; implicit-def: $vgpr7
	v_lshrrev_b32_e32 v6, 21, v6
; %bb.1852:
	s_and_not1_saveexec_b32 s6, s6
; %bb.1853:
	v_add_f32_e64 v6, 0x43000000, |v7|
; %bb.1854:
	s_or_b32 exec_lo, exec_lo, s6
                                        ; implicit-def: $vgpr9
.LBB272_1855:
	s_and_not1_saveexec_b32 s3, s3
; %bb.1856:
	v_mov_b32_e32 v6, 0x7f
	v_cmp_lt_u32_e32 vcc_lo, 0x7f800000, v9
	s_delay_alu instid0(VALU_DEP_2)
	v_cndmask_b32_e32 v6, 0x7c, v6, vcc_lo
; %bb.1857:
	s_or_b32 exec_lo, exec_lo, s3
	v_lshrrev_b32_e32 v4, 8, v4
	s_delay_alu instid0(VALU_DEP_1)
	v_and_or_b32 v4, 0x80, v4, v6
	global_store_b8 v[0:1], v4, off
.LBB272_1858:
	s_mov_b32 s3, 0
	s_mov_b32 s6, -1
.LBB272_1859:
	s_and_not1_b32 vcc_lo, exec_lo, s3
	s_mov_b32 s3, 0
	s_cbranch_vccnz .LBB272_1866
; %bb.1860:
	v_cmp_lt_i16_e32 vcc_lo, 14, v5
	s_mov_b32 s3, -1
	s_cbranch_vccz .LBB272_1864
; %bb.1861:
	v_cmp_eq_u16_e32 vcc_lo, 15, v5
	s_mov_b32 s0, -1
	s_cbranch_vccz .LBB272_1863
; %bb.1862:
	s_mov_b32 s0, 0
	s_mov_b32 s6, -1
	global_store_b16 v[0:1], v3, off
.LBB272_1863:
	s_mov_b32 s3, 0
.LBB272_1864:
	s_delay_alu instid0(SALU_CYCLE_1)
	s_and_b32 vcc_lo, exec_lo, s3
	s_mov_b32 s3, 0
	s_cbranch_vccz .LBB272_1866
; %bb.1865:
	v_cmp_ne_u16_e64 s0, 11, v5
	s_mov_b32 s3, -1
.LBB272_1866:
	s_delay_alu instid0(VALU_DEP_1)
	s_and_b32 vcc_lo, exec_lo, s0
	s_cbranch_vccnz .LBB272_2053
; %bb.1867:
	s_and_not1_b32 vcc_lo, exec_lo, s3
	s_cbranch_vccnz .LBB272_1869
.LBB272_1868:
	v_and_b32_e32 v4, 0x7fff, v3
	s_mov_b32 s6, -1
	s_delay_alu instid0(VALU_DEP_1)
	v_cmp_ne_u16_e32 vcc_lo, 0, v4
	v_cndmask_b32_e64 v4, 0, 1, vcc_lo
	global_store_b8 v[0:1], v4, off
.LBB272_1869:
	s_mov_b32 s3, 0
.LBB272_1870:
	s_delay_alu instid0(SALU_CYCLE_1)
	s_and_b32 vcc_lo, exec_lo, s3
	s_cbranch_vccz .LBB272_1909
; %bb.1871:
	v_cmp_gt_i16_e32 vcc_lo, 5, v5
	s_mov_b32 s0, -1
	s_cbranch_vccnz .LBB272_1892
; %bb.1872:
	v_cmp_gt_i16_e32 vcc_lo, 8, v5
	s_cbranch_vccnz .LBB272_1882
; %bb.1873:
	v_cmp_gt_i16_e32 vcc_lo, 9, v5
	s_cbranch_vccnz .LBB272_1879
; %bb.1874:
	v_cmp_lt_i16_e32 vcc_lo, 9, v5
	s_cbranch_vccz .LBB272_1876
; %bb.1875:
	v_dual_mov_b32 v11, 0 :: v_dual_lshlrev_b32 v4, 16, v3
	s_mov_b32 s0, 0
	s_delay_alu instid0(VALU_DEP_1) | instskip(NEXT) | instid1(VALU_DEP_2)
	v_cvt_f64_f32_e32 v[9:10], v4
	v_mov_b32_e32 v12, v11
	global_store_b128 v[0:1], v[9:12], off
.LBB272_1876:
	s_and_not1_b32 vcc_lo, exec_lo, s0
	s_cbranch_vccnz .LBB272_1878
; %bb.1877:
	v_dual_mov_b32 v7, 0 :: v_dual_lshlrev_b32 v6, 16, v3
	global_store_b64 v[0:1], v[6:7], off
.LBB272_1878:
	s_mov_b32 s0, 0
.LBB272_1879:
	s_delay_alu instid0(SALU_CYCLE_1)
	s_and_not1_b32 vcc_lo, exec_lo, s0
	s_cbranch_vccnz .LBB272_1881
; %bb.1880:
	v_lshlrev_b32_e32 v4, 16, v3
	s_delay_alu instid0(VALU_DEP_1) | instskip(NEXT) | instid1(VALU_DEP_1)
	v_cvt_f16_f32_e32 v4, v4
	v_and_b32_e32 v4, 0xffff, v4
	global_store_b32 v[0:1], v4, off
.LBB272_1881:
	s_mov_b32 s0, 0
.LBB272_1882:
	s_delay_alu instid0(SALU_CYCLE_1)
	s_and_not1_b32 vcc_lo, exec_lo, s0
	s_cbranch_vccnz .LBB272_1891
; %bb.1883:
	v_cmp_gt_i16_e32 vcc_lo, 6, v5
	s_mov_b32 s0, -1
	s_cbranch_vccnz .LBB272_1889
; %bb.1884:
	v_cmp_lt_i16_e32 vcc_lo, 6, v5
	s_cbranch_vccz .LBB272_1886
; %bb.1885:
	v_lshlrev_b32_e32 v4, 16, v3
	s_mov_b32 s0, 0
	s_delay_alu instid0(VALU_DEP_1)
	v_cvt_f64_f32_e32 v[6:7], v4
	global_store_b64 v[0:1], v[6:7], off
.LBB272_1886:
	s_and_not1_b32 vcc_lo, exec_lo, s0
	s_cbranch_vccnz .LBB272_1888
; %bb.1887:
	v_lshlrev_b32_e32 v4, 16, v3
	global_store_b32 v[0:1], v4, off
.LBB272_1888:
	s_mov_b32 s0, 0
.LBB272_1889:
	s_delay_alu instid0(SALU_CYCLE_1)
	s_and_not1_b32 vcc_lo, exec_lo, s0
	s_cbranch_vccnz .LBB272_1891
; %bb.1890:
	v_lshlrev_b32_e32 v4, 16, v3
	s_delay_alu instid0(VALU_DEP_1)
	v_cvt_f16_f32_e32 v4, v4
	global_store_b16 v[0:1], v4, off
.LBB272_1891:
	s_mov_b32 s0, 0
.LBB272_1892:
	s_delay_alu instid0(SALU_CYCLE_1)
	s_and_not1_b32 vcc_lo, exec_lo, s0
	s_cbranch_vccnz .LBB272_1908
; %bb.1893:
	v_cmp_gt_i16_e32 vcc_lo, 2, v5
	s_mov_b32 s0, -1
	s_cbranch_vccnz .LBB272_1903
; %bb.1894:
	v_cmp_gt_i16_e32 vcc_lo, 3, v5
	s_cbranch_vccnz .LBB272_1900
; %bb.1895:
	v_cmp_lt_i16_e32 vcc_lo, 3, v5
	s_cbranch_vccz .LBB272_1897
; %bb.1896:
	v_lshlrev_b32_e32 v4, 16, v3
	s_mov_b32 s0, 0
	s_delay_alu instid0(VALU_DEP_1) | instskip(NEXT) | instid1(VALU_DEP_1)
	v_trunc_f32_e32 v4, v4
	v_mul_f32_e64 v6, 0x2f800000, |v4|
	s_delay_alu instid0(VALU_DEP_1) | instskip(NEXT) | instid1(VALU_DEP_1)
	v_floor_f32_e32 v6, v6
	v_fma_f32 v7, 0xcf800000, v6, |v4|
	v_ashrrev_i32_e32 v4, 31, v4
	v_cvt_u32_f32_e32 v6, v6
	s_delay_alu instid0(VALU_DEP_3) | instskip(NEXT) | instid1(VALU_DEP_2)
	v_cvt_u32_f32_e32 v7, v7
	v_xor_b32_e32 v9, v6, v4
	s_delay_alu instid0(VALU_DEP_2) | instskip(NEXT) | instid1(VALU_DEP_1)
	v_xor_b32_e32 v7, v7, v4
	v_sub_co_u32 v6, vcc_lo, v7, v4
	s_delay_alu instid0(VALU_DEP_3)
	v_sub_co_ci_u32_e32 v7, vcc_lo, v9, v4, vcc_lo
	global_store_b64 v[0:1], v[6:7], off
.LBB272_1897:
	s_and_not1_b32 vcc_lo, exec_lo, s0
	s_cbranch_vccnz .LBB272_1899
; %bb.1898:
	v_lshlrev_b32_e32 v4, 16, v3
	s_delay_alu instid0(VALU_DEP_1)
	v_cvt_i32_f32_e32 v4, v4
	global_store_b32 v[0:1], v4, off
.LBB272_1899:
	s_mov_b32 s0, 0
.LBB272_1900:
	s_delay_alu instid0(SALU_CYCLE_1)
	s_and_not1_b32 vcc_lo, exec_lo, s0
	s_cbranch_vccnz .LBB272_1902
; %bb.1901:
	v_lshlrev_b32_e32 v4, 16, v3
	s_delay_alu instid0(VALU_DEP_1)
	v_cvt_i32_f32_e32 v4, v4
	global_store_b16 v[0:1], v4, off
.LBB272_1902:
	s_mov_b32 s0, 0
.LBB272_1903:
	s_delay_alu instid0(SALU_CYCLE_1)
	s_and_not1_b32 vcc_lo, exec_lo, s0
	s_cbranch_vccnz .LBB272_1908
; %bb.1904:
	v_cmp_lt_i16_e32 vcc_lo, 0, v5
	v_lshlrev_b32_e32 v3, 16, v3
	s_mov_b32 s0, -1
	s_cbranch_vccz .LBB272_1906
; %bb.1905:
	s_delay_alu instid0(VALU_DEP_1)
	v_cvt_i32_f32_e32 v4, v3
	s_mov_b32 s0, 0
	global_store_b8 v[0:1], v4, off
.LBB272_1906:
	s_and_not1_b32 vcc_lo, exec_lo, s0
	s_cbranch_vccnz .LBB272_1908
; %bb.1907:
	v_trunc_f32_e32 v3, v3
	s_delay_alu instid0(VALU_DEP_1) | instskip(NEXT) | instid1(VALU_DEP_1)
	v_mul_f32_e64 v4, 0x2f800000, |v3|
	v_floor_f32_e32 v4, v4
	s_delay_alu instid0(VALU_DEP_1) | instskip(SKIP_1) | instid1(VALU_DEP_2)
	v_fma_f32 v4, 0xcf800000, v4, |v3|
	v_ashrrev_i32_e32 v3, 31, v3
	v_cvt_u32_f32_e32 v4, v4
	s_delay_alu instid0(VALU_DEP_1) | instskip(NEXT) | instid1(VALU_DEP_1)
	v_xor_b32_e32 v4, v4, v3
	v_sub_nc_u32_e32 v3, v4, v3
	global_store_b8 v[0:1], v3, off
.LBB272_1908:
	s_mov_b32 s6, -1
.LBB272_1909:
	s_delay_alu instid0(SALU_CYCLE_1)
	s_and_not1_b32 vcc_lo, exec_lo, s6
	s_cbranch_vccnz .LBB272_1986
; %bb.1910:
	v_lshlrev_b32_e32 v0, 16, v8
	s_mov_b32 s3, -1
	s_delay_alu instid0(VALU_DEP_1) | instskip(SKIP_1) | instid1(VALU_DEP_2)
	v_mul_f32_e32 v1, 0x4f800000, v0
	v_cmp_gt_f32_e32 vcc_lo, 0xf800000, v0
	v_cndmask_b32_e32 v0, v0, v1, vcc_lo
	s_delay_alu instid0(VALU_DEP_1) | instskip(SKIP_3) | instid1(VALU_DEP_2)
	v_sqrt_f32_e32 v1, v0
	s_waitcnt_depctr 0xfff
	v_add_nc_u32_e32 v3, -1, v1
	v_add_nc_u32_e32 v4, 1, v1
	v_fma_f32 v6, -v3, v1, v0
	s_delay_alu instid0(VALU_DEP_2) | instskip(NEXT) | instid1(VALU_DEP_2)
	v_fma_f32 v7, -v4, v1, v0
	v_cmp_ge_f32_e64 s0, 0, v6
	s_delay_alu instid0(VALU_DEP_1) | instskip(NEXT) | instid1(VALU_DEP_3)
	v_cndmask_b32_e64 v1, v1, v3, s0
	v_cmp_lt_f32_e64 s0, 0, v7
	s_delay_alu instid0(VALU_DEP_1) | instskip(NEXT) | instid1(VALU_DEP_1)
	v_cndmask_b32_e64 v1, v1, v4, s0
	v_mul_f32_e32 v3, 0x37800000, v1
	s_delay_alu instid0(VALU_DEP_1) | instskip(SKIP_1) | instid1(VALU_DEP_2)
	v_cndmask_b32_e32 v1, v1, v3, vcc_lo
	v_cmp_class_f32_e64 vcc_lo, v0, 0x260
	v_cndmask_b32_e32 v3, v1, v0, vcc_lo
	v_add_nc_u32_e32 v1, s2, v2
	v_cmp_gt_i16_e32 vcc_lo, 11, v5
	s_mov_b32 s2, 0
	s_delay_alu instid0(VALU_DEP_3) | instskip(NEXT) | instid1(VALU_DEP_3)
	v_bfe_u32 v0, v3, 16, 1
	v_ashrrev_i32_e32 v2, 31, v1
	s_and_b32 vcc_lo, exec_lo, vcc_lo
	s_delay_alu instid0(VALU_DEP_2) | instskip(NEXT) | instid1(VALU_DEP_1)
	v_add3_u32 v0, v3, v0, 0x7fff
	v_lshrrev_b32_e32 v4, 16, v0
	v_add_co_u32 v0, s0, s4, v1
	s_delay_alu instid0(VALU_DEP_1) | instskip(SKIP_1) | instid1(VALU_DEP_1)
	v_add_co_ci_u32_e64 v1, s0, s5, v2, s0
	v_cmp_o_f32_e64 s0, v3, v3
	v_cndmask_b32_e64 v6, 0x7fc0, v4, s0
	s_cbranch_vccnz .LBB272_1987
; %bb.1911:
	v_cmp_lt_i16_e32 vcc_lo, 25, v5
	s_mov_b32 s0, 0
	s_cbranch_vccz .LBB272_1944
; %bb.1912:
	v_cmp_lt_i16_e32 vcc_lo, 28, v5
	s_cbranch_vccz .LBB272_1928
; %bb.1913:
	v_cmp_lt_i16_e32 vcc_lo, 43, v5
	;; [unrolled: 3-line block ×3, first 2 shown]
	s_cbranch_vccz .LBB272_1918
; %bb.1915:
	v_cmp_eq_u16_e32 vcc_lo, 46, v5
	s_mov_b32 s0, -1
	s_cbranch_vccz .LBB272_1917
; %bb.1916:
	v_and_b32_e32 v2, 0xffff, v6
	s_mov_b32 s0, 0
	global_store_b32 v[0:1], v2, off
.LBB272_1917:
	s_mov_b32 s3, 0
.LBB272_1918:
	s_delay_alu instid0(SALU_CYCLE_1)
	s_and_b32 vcc_lo, exec_lo, s3
	s_cbranch_vccz .LBB272_1923
; %bb.1919:
	v_cmp_eq_u16_e32 vcc_lo, 44, v5
	s_mov_b32 s0, -1
	s_cbranch_vccz .LBB272_1923
; %bb.1920:
	v_and_b32_e32 v2, 0xffff, v6
	v_mov_b32_e32 v3, 0xff
	s_mov_b32 s3, exec_lo
	s_delay_alu instid0(VALU_DEP_2) | instskip(NEXT) | instid1(VALU_DEP_1)
	v_bfe_u32 v4, v2, 7, 8
	v_cmpx_ne_u32_e32 0xff, v4
; %bb.1921:
	v_lshlrev_b32_e32 v3, 16, v2
	v_and_b32_e32 v7, 64, v2
	v_lshrrev_b32_e32 v2, 7, v2
	s_delay_alu instid0(VALU_DEP_3) | instskip(NEXT) | instid1(VALU_DEP_3)
	v_and_or_b32 v3, 0x3f0000, v3, v4
	v_cmp_ne_u32_e32 vcc_lo, 0, v7
	s_delay_alu instid0(VALU_DEP_2) | instskip(NEXT) | instid1(VALU_DEP_1)
	v_cmp_ne_u32_e64 s0, 0, v3
	s_and_b32 s0, vcc_lo, s0
	s_delay_alu instid0(SALU_CYCLE_1) | instskip(NEXT) | instid1(VALU_DEP_1)
	v_cndmask_b32_e64 v3, 0, 1, s0
	v_add_nc_u32_e32 v3, v2, v3
; %bb.1922:
	s_or_b32 exec_lo, exec_lo, s3
	s_mov_b32 s0, 0
	global_store_b8 v[0:1], v3, off
.LBB272_1923:
	s_mov_b32 s3, 0
.LBB272_1924:
	s_delay_alu instid0(SALU_CYCLE_1)
	s_and_b32 vcc_lo, exec_lo, s3
	s_cbranch_vccz .LBB272_1927
; %bb.1925:
	v_cmp_eq_u16_e32 vcc_lo, 29, v5
	s_mov_b32 s0, -1
	s_cbranch_vccz .LBB272_1927
; %bb.1926:
	v_lshlrev_b32_e32 v2, 16, v6
	s_mov_b32 s0, 0
	s_delay_alu instid0(VALU_DEP_1) | instskip(NEXT) | instid1(VALU_DEP_1)
	v_trunc_f32_e32 v2, v2
	v_mul_f32_e32 v3, 0x2f800000, v2
	s_delay_alu instid0(VALU_DEP_1) | instskip(NEXT) | instid1(VALU_DEP_1)
	v_floor_f32_e32 v3, v3
	v_fmamk_f32 v2, v3, 0xcf800000, v2
	v_cvt_u32_f32_e32 v3, v3
	s_delay_alu instid0(VALU_DEP_2)
	v_cvt_u32_f32_e32 v2, v2
	global_store_b64 v[0:1], v[2:3], off
.LBB272_1927:
	s_mov_b32 s3, 0
.LBB272_1928:
	s_delay_alu instid0(SALU_CYCLE_1)
	s_and_b32 vcc_lo, exec_lo, s3
	s_cbranch_vccz .LBB272_1943
; %bb.1929:
	v_cmp_gt_i16_e32 vcc_lo, 27, v5
	s_mov_b32 s3, -1
	s_cbranch_vccnz .LBB272_1935
; %bb.1930:
	v_cmp_lt_i16_e32 vcc_lo, 27, v5
	s_cbranch_vccz .LBB272_1932
; %bb.1931:
	v_lshlrev_b32_e32 v2, 16, v6
	s_mov_b32 s3, 0
	s_delay_alu instid0(VALU_DEP_1)
	v_cvt_u32_f32_e32 v2, v2
	global_store_b32 v[0:1], v2, off
.LBB272_1932:
	s_and_not1_b32 vcc_lo, exec_lo, s3
	s_cbranch_vccnz .LBB272_1934
; %bb.1933:
	v_lshlrev_b32_e32 v2, 16, v6
	s_delay_alu instid0(VALU_DEP_1)
	v_cvt_u32_f32_e32 v2, v2
	global_store_b16 v[0:1], v2, off
.LBB272_1934:
	s_mov_b32 s3, 0
.LBB272_1935:
	s_delay_alu instid0(SALU_CYCLE_1)
	s_and_not1_b32 vcc_lo, exec_lo, s3
	s_cbranch_vccnz .LBB272_1943
; %bb.1936:
	v_dual_mov_b32 v7, 0x80 :: v_dual_lshlrev_b32 v4, 16, v6
	s_mov_b32 s3, exec_lo
	s_delay_alu instid0(VALU_DEP_1) | instskip(NEXT) | instid1(VALU_DEP_1)
	v_and_b32_e32 v3, 0x7fffffff, v4
	v_cmpx_gt_u32_e32 0x43800000, v3
	s_cbranch_execz .LBB272_1942
; %bb.1937:
	v_and_b32_e32 v2, 0xffff, v6
	v_cmp_lt_u32_e32 vcc_lo, 0x3bffffff, v3
	s_mov_b32 s4, 0
                                        ; implicit-def: $vgpr3
	s_and_saveexec_b32 s5, vcc_lo
	s_delay_alu instid0(SALU_CYCLE_1)
	s_xor_b32 s5, exec_lo, s5
	s_cbranch_execz .LBB272_2057
; %bb.1938:
	v_bfe_u32 v3, v2, 4, 1
	s_mov_b32 s4, exec_lo
	s_delay_alu instid0(VALU_DEP_1) | instskip(NEXT) | instid1(VALU_DEP_1)
	v_add3_u32 v3, v4, v3, 0x487ffff
                                        ; implicit-def: $vgpr4
	v_lshrrev_b32_e32 v3, 20, v3
	s_or_saveexec_b32 s5, s5
                                        ; implicit-def: $sgpr6
	s_delay_alu instid0(SALU_CYCLE_1)
	s_xor_b32 exec_lo, exec_lo, s5
	s_cbranch_execnz .LBB272_2058
.LBB272_1939:
	s_or_b32 exec_lo, exec_lo, s5
	v_mov_b32_e32 v7, s6
	s_and_saveexec_b32 s5, s4
.LBB272_1940:
	v_lshrrev_b32_e32 v2, 8, v2
	s_delay_alu instid0(VALU_DEP_1)
	v_and_or_b32 v7, 0x80, v2, v3
.LBB272_1941:
	s_or_b32 exec_lo, exec_lo, s5
.LBB272_1942:
	s_delay_alu instid0(SALU_CYCLE_1)
	s_or_b32 exec_lo, exec_lo, s3
	global_store_b8 v[0:1], v7, off
.LBB272_1943:
	s_mov_b32 s3, 0
.LBB272_1944:
	s_delay_alu instid0(SALU_CYCLE_1)
	s_and_b32 vcc_lo, exec_lo, s3
	s_cbranch_vccz .LBB272_1984
; %bb.1945:
	v_cmp_lt_i16_e32 vcc_lo, 22, v5
	s_mov_b32 s2, -1
	s_cbranch_vccz .LBB272_1977
; %bb.1946:
	v_cmp_gt_i16_e32 vcc_lo, 24, v5
	s_cbranch_vccnz .LBB272_1966
; %bb.1947:
	v_cmp_lt_i16_e32 vcc_lo, 24, v5
	s_cbranch_vccz .LBB272_1955
; %bb.1948:
	v_dual_mov_b32 v7, 0x80 :: v_dual_lshlrev_b32 v4, 16, v6
	s_mov_b32 s2, exec_lo
	s_delay_alu instid0(VALU_DEP_1) | instskip(NEXT) | instid1(VALU_DEP_1)
	v_and_b32_e32 v3, 0x7fffffff, v4
	v_cmpx_gt_u32_e32 0x47800000, v3
	s_cbranch_execz .LBB272_1954
; %bb.1949:
	v_and_b32_e32 v2, 0xffff, v6
	v_cmp_lt_u32_e32 vcc_lo, 0x37ffffff, v3
	s_mov_b32 s3, 0
                                        ; implicit-def: $vgpr3
	s_and_saveexec_b32 s4, vcc_lo
	s_delay_alu instid0(SALU_CYCLE_1)
	s_xor_b32 s4, exec_lo, s4
	s_cbranch_execz .LBB272_2063
; %bb.1950:
	v_bfe_u32 v3, v2, 5, 1
	s_mov_b32 s3, exec_lo
	s_delay_alu instid0(VALU_DEP_1) | instskip(NEXT) | instid1(VALU_DEP_1)
	v_add3_u32 v3, v4, v3, 0x88fffff
                                        ; implicit-def: $vgpr4
	v_lshrrev_b32_e32 v3, 21, v3
	s_or_saveexec_b32 s4, s4
                                        ; implicit-def: $sgpr5
	s_delay_alu instid0(SALU_CYCLE_1)
	s_xor_b32 exec_lo, exec_lo, s4
	s_cbranch_execnz .LBB272_2064
.LBB272_1951:
	s_or_b32 exec_lo, exec_lo, s4
	v_mov_b32_e32 v7, s5
	s_and_saveexec_b32 s4, s3
.LBB272_1952:
	v_lshrrev_b32_e32 v2, 8, v2
	s_delay_alu instid0(VALU_DEP_1)
	v_and_or_b32 v7, 0x80, v2, v3
.LBB272_1953:
	s_or_b32 exec_lo, exec_lo, s4
.LBB272_1954:
	s_delay_alu instid0(SALU_CYCLE_1)
	s_or_b32 exec_lo, exec_lo, s2
	s_mov_b32 s2, 0
	global_store_b8 v[0:1], v7, off
.LBB272_1955:
	s_and_b32 vcc_lo, exec_lo, s2
	s_cbranch_vccz .LBB272_1965
; %bb.1956:
	v_lshlrev_b32_e32 v4, 16, v6
	v_and_b32_e32 v2, 0xffff, v6
	s_mov_b32 s2, exec_lo
                                        ; implicit-def: $vgpr3
	s_delay_alu instid0(VALU_DEP_2) | instskip(NEXT) | instid1(VALU_DEP_1)
	v_and_b32_e32 v7, 0x7fffffff, v4
	v_cmpx_gt_u32_e32 0x43f00000, v7
	s_xor_b32 s2, exec_lo, s2
	s_cbranch_execz .LBB272_1962
; %bb.1957:
	s_mov_b32 s3, exec_lo
                                        ; implicit-def: $vgpr3
	v_cmpx_lt_u32_e32 0x3c7fffff, v7
	s_xor_b32 s3, exec_lo, s3
; %bb.1958:
	v_bfe_u32 v3, v2, 4, 1
	s_delay_alu instid0(VALU_DEP_1) | instskip(NEXT) | instid1(VALU_DEP_1)
	v_add3_u32 v3, v4, v3, 0x407ffff
	v_and_b32_e32 v4, 0xff00000, v3
	v_lshrrev_b32_e32 v3, 20, v3
	s_delay_alu instid0(VALU_DEP_2) | instskip(NEXT) | instid1(VALU_DEP_2)
	v_cmp_ne_u32_e32 vcc_lo, 0x7f00000, v4
                                        ; implicit-def: $vgpr4
	v_cndmask_b32_e32 v3, 0x7e, v3, vcc_lo
; %bb.1959:
	s_and_not1_saveexec_b32 s3, s3
; %bb.1960:
	v_add_f32_e64 v3, 0x46800000, |v4|
; %bb.1961:
	s_or_b32 exec_lo, exec_lo, s3
                                        ; implicit-def: $vgpr7
.LBB272_1962:
	s_and_not1_saveexec_b32 s2, s2
; %bb.1963:
	v_mov_b32_e32 v3, 0x7f
	v_cmp_lt_u32_e32 vcc_lo, 0x7f800000, v7
	s_delay_alu instid0(VALU_DEP_2)
	v_cndmask_b32_e32 v3, 0x7e, v3, vcc_lo
; %bb.1964:
	s_or_b32 exec_lo, exec_lo, s2
	v_lshrrev_b32_e32 v2, 8, v2
	s_delay_alu instid0(VALU_DEP_1)
	v_and_or_b32 v2, 0x80, v2, v3
	global_store_b8 v[0:1], v2, off
.LBB272_1965:
	s_mov_b32 s2, 0
.LBB272_1966:
	s_delay_alu instid0(SALU_CYCLE_1)
	s_and_not1_b32 vcc_lo, exec_lo, s2
	s_cbranch_vccnz .LBB272_1976
; %bb.1967:
	v_lshlrev_b32_e32 v4, 16, v6
	v_and_b32_e32 v2, 0xffff, v6
	s_mov_b32 s2, exec_lo
                                        ; implicit-def: $vgpr3
	s_delay_alu instid0(VALU_DEP_2) | instskip(NEXT) | instid1(VALU_DEP_1)
	v_and_b32_e32 v7, 0x7fffffff, v4
	v_cmpx_gt_u32_e32 0x47800000, v7
	s_xor_b32 s2, exec_lo, s2
	s_cbranch_execz .LBB272_1973
; %bb.1968:
	s_mov_b32 s3, exec_lo
                                        ; implicit-def: $vgpr3
	v_cmpx_lt_u32_e32 0x387fffff, v7
	s_xor_b32 s3, exec_lo, s3
; %bb.1969:
	v_bfe_u32 v3, v2, 5, 1
	s_delay_alu instid0(VALU_DEP_1) | instskip(NEXT) | instid1(VALU_DEP_1)
	v_add3_u32 v3, v4, v3, 0x80fffff
                                        ; implicit-def: $vgpr4
	v_lshrrev_b32_e32 v3, 21, v3
; %bb.1970:
	s_and_not1_saveexec_b32 s3, s3
; %bb.1971:
	v_add_f32_e64 v3, 0x43000000, |v4|
; %bb.1972:
	s_or_b32 exec_lo, exec_lo, s3
                                        ; implicit-def: $vgpr7
.LBB272_1973:
	s_and_not1_saveexec_b32 s2, s2
; %bb.1974:
	v_mov_b32_e32 v3, 0x7f
	v_cmp_lt_u32_e32 vcc_lo, 0x7f800000, v7
	s_delay_alu instid0(VALU_DEP_2)
	v_cndmask_b32_e32 v3, 0x7c, v3, vcc_lo
; %bb.1975:
	s_or_b32 exec_lo, exec_lo, s2
	v_lshrrev_b32_e32 v2, 8, v2
	s_delay_alu instid0(VALU_DEP_1)
	v_and_or_b32 v2, 0x80, v2, v3
	global_store_b8 v[0:1], v2, off
.LBB272_1976:
	s_mov_b32 s2, 0
.LBB272_1977:
	s_delay_alu instid0(SALU_CYCLE_1)
	s_and_not1_b32 vcc_lo, exec_lo, s2
	s_mov_b32 s2, 0
	s_cbranch_vccnz .LBB272_1984
; %bb.1978:
	v_cmp_lt_i16_e32 vcc_lo, 14, v5
	s_mov_b32 s2, -1
	s_cbranch_vccz .LBB272_1982
; %bb.1979:
	v_cmp_eq_u16_e32 vcc_lo, 15, v5
	s_mov_b32 s0, -1
	s_cbranch_vccz .LBB272_1981
; %bb.1980:
	s_mov_b32 s0, 0
	global_store_b16 v[0:1], v6, off
.LBB272_1981:
	s_mov_b32 s2, 0
.LBB272_1982:
	s_delay_alu instid0(SALU_CYCLE_1)
	s_and_b32 vcc_lo, exec_lo, s2
	s_mov_b32 s2, 0
	s_cbranch_vccz .LBB272_1984
; %bb.1983:
	v_cmp_ne_u16_e64 s0, 11, v5
	s_mov_b32 s2, -1
.LBB272_1984:
	s_delay_alu instid0(VALU_DEP_1)
	s_and_b32 vcc_lo, exec_lo, s0
	s_cbranch_vccnz .LBB272_2061
.LBB272_1985:
	s_mov_b32 s3, 0
	s_branch .LBB272_1987
.LBB272_1986:
	s_mov_b32 s3, 0
	s_mov_b32 s2, 0
                                        ; implicit-def: $vgpr5
                                        ; implicit-def: $vgpr0_vgpr1
                                        ; implicit-def: $vgpr6
.LBB272_1987:
	s_and_b32 s0, s3, exec_lo
	s_and_not1_b32 s3, s9, exec_lo
	s_and_b32 s4, s1, exec_lo
	s_and_b32 s1, s2, exec_lo
	s_or_b32 s9, s3, s4
.LBB272_1988:
	s_or_b32 exec_lo, exec_lo, s8
	s_and_saveexec_b32 s2, s9
	s_cbranch_execz .LBB272_1991
; %bb.1989:
	; divergent unreachable
	s_or_b32 exec_lo, exec_lo, s2
	s_and_saveexec_b32 s2, s1
	s_delay_alu instid0(SALU_CYCLE_1)
	s_xor_b32 s1, exec_lo, s2
	s_cbranch_execnz .LBB272_1992
.LBB272_1990:
	s_or_b32 exec_lo, exec_lo, s1
	s_and_saveexec_b32 s1, s0
	s_cbranch_execnz .LBB272_1993
	s_branch .LBB272_2030
.LBB272_1991:
	s_or_b32 exec_lo, exec_lo, s2
	s_and_saveexec_b32 s2, s1
	s_delay_alu instid0(SALU_CYCLE_1)
	s_xor_b32 s1, exec_lo, s2
	s_cbranch_execz .LBB272_1990
.LBB272_1992:
	s_waitcnt vmcnt(0)
	v_and_b32_e32 v2, 0x7fff, v6
	s_delay_alu instid0(VALU_DEP_1)
	v_cmp_ne_u16_e32 vcc_lo, 0, v2
	v_cndmask_b32_e64 v2, 0, 1, vcc_lo
	global_store_b8 v[0:1], v2, off
	s_or_b32 exec_lo, exec_lo, s1
	s_and_saveexec_b32 s1, s0
	s_cbranch_execz .LBB272_2030
.LBB272_1993:
	s_waitcnt vmcnt(0)
	v_cmp_gt_i16_e32 vcc_lo, 5, v5
	s_mov_b32 s0, -1
	s_cbranch_vccnz .LBB272_2014
; %bb.1994:
	v_cmp_gt_i16_e32 vcc_lo, 8, v5
	s_cbranch_vccnz .LBB272_2004
; %bb.1995:
	v_cmp_gt_i16_e32 vcc_lo, 9, v5
	s_cbranch_vccnz .LBB272_2001
; %bb.1996:
	v_cmp_lt_i16_e32 vcc_lo, 9, v5
	s_cbranch_vccz .LBB272_1998
; %bb.1997:
	v_dual_mov_b32 v9, 0 :: v_dual_lshlrev_b32 v2, 16, v6
	s_mov_b32 s0, 0
	s_delay_alu instid0(VALU_DEP_1) | instskip(NEXT) | instid1(VALU_DEP_2)
	v_cvt_f64_f32_e32 v[7:8], v2
	v_mov_b32_e32 v10, v9
	global_store_b128 v[0:1], v[7:10], off
.LBB272_1998:
	s_and_not1_b32 vcc_lo, exec_lo, s0
	s_cbranch_vccnz .LBB272_2000
; %bb.1999:
	v_dual_mov_b32 v3, 0 :: v_dual_lshlrev_b32 v2, 16, v6
	global_store_b64 v[0:1], v[2:3], off
.LBB272_2000:
	s_mov_b32 s0, 0
.LBB272_2001:
	s_delay_alu instid0(SALU_CYCLE_1)
	s_and_not1_b32 vcc_lo, exec_lo, s0
	s_cbranch_vccnz .LBB272_2003
; %bb.2002:
	v_lshlrev_b32_e32 v2, 16, v6
	s_delay_alu instid0(VALU_DEP_1) | instskip(NEXT) | instid1(VALU_DEP_1)
	v_cvt_f16_f32_e32 v2, v2
	v_and_b32_e32 v2, 0xffff, v2
	global_store_b32 v[0:1], v2, off
.LBB272_2003:
	s_mov_b32 s0, 0
.LBB272_2004:
	s_delay_alu instid0(SALU_CYCLE_1)
	s_and_not1_b32 vcc_lo, exec_lo, s0
	s_cbranch_vccnz .LBB272_2013
; %bb.2005:
	v_cmp_gt_i16_e32 vcc_lo, 6, v5
	s_mov_b32 s0, -1
	s_cbranch_vccnz .LBB272_2011
; %bb.2006:
	v_cmp_lt_i16_e32 vcc_lo, 6, v5
	s_cbranch_vccz .LBB272_2008
; %bb.2007:
	v_lshlrev_b32_e32 v2, 16, v6
	s_mov_b32 s0, 0
	s_delay_alu instid0(VALU_DEP_1)
	v_cvt_f64_f32_e32 v[2:3], v2
	global_store_b64 v[0:1], v[2:3], off
.LBB272_2008:
	s_and_not1_b32 vcc_lo, exec_lo, s0
	s_cbranch_vccnz .LBB272_2010
; %bb.2009:
	v_lshlrev_b32_e32 v2, 16, v6
	global_store_b32 v[0:1], v2, off
.LBB272_2010:
	s_mov_b32 s0, 0
.LBB272_2011:
	s_delay_alu instid0(SALU_CYCLE_1)
	s_and_not1_b32 vcc_lo, exec_lo, s0
	s_cbranch_vccnz .LBB272_2013
; %bb.2012:
	v_lshlrev_b32_e32 v2, 16, v6
	s_delay_alu instid0(VALU_DEP_1)
	v_cvt_f16_f32_e32 v2, v2
	global_store_b16 v[0:1], v2, off
.LBB272_2013:
	s_mov_b32 s0, 0
.LBB272_2014:
	s_delay_alu instid0(SALU_CYCLE_1)
	s_and_not1_b32 vcc_lo, exec_lo, s0
	s_cbranch_vccnz .LBB272_2030
; %bb.2015:
	v_cmp_gt_i16_e32 vcc_lo, 2, v5
	s_mov_b32 s0, -1
	s_cbranch_vccnz .LBB272_2025
; %bb.2016:
	v_cmp_gt_i16_e32 vcc_lo, 3, v5
	s_cbranch_vccnz .LBB272_2022
; %bb.2017:
	v_cmp_lt_i16_e32 vcc_lo, 3, v5
	s_cbranch_vccz .LBB272_2019
; %bb.2018:
	v_lshlrev_b32_e32 v2, 16, v6
	s_mov_b32 s0, 0
	s_delay_alu instid0(VALU_DEP_1) | instskip(NEXT) | instid1(VALU_DEP_1)
	v_trunc_f32_e32 v2, v2
	v_mul_f32_e64 v3, 0x2f800000, |v2|
	v_ashrrev_i32_e32 v7, 31, v2
	s_delay_alu instid0(VALU_DEP_2) | instskip(NEXT) | instid1(VALU_DEP_1)
	v_floor_f32_e32 v3, v3
	v_fma_f32 v4, 0xcf800000, v3, |v2|
	v_cvt_u32_f32_e32 v3, v3
	s_delay_alu instid0(VALU_DEP_2) | instskip(NEXT) | instid1(VALU_DEP_2)
	v_cvt_u32_f32_e32 v2, v4
	v_xor_b32_e32 v3, v3, v7
	s_delay_alu instid0(VALU_DEP_2) | instskip(NEXT) | instid1(VALU_DEP_1)
	v_xor_b32_e32 v2, v2, v7
	v_sub_co_u32 v2, vcc_lo, v2, v7
	s_delay_alu instid0(VALU_DEP_3)
	v_sub_co_ci_u32_e32 v3, vcc_lo, v3, v7, vcc_lo
	global_store_b64 v[0:1], v[2:3], off
.LBB272_2019:
	s_and_not1_b32 vcc_lo, exec_lo, s0
	s_cbranch_vccnz .LBB272_2021
; %bb.2020:
	v_lshlrev_b32_e32 v2, 16, v6
	s_delay_alu instid0(VALU_DEP_1)
	v_cvt_i32_f32_e32 v2, v2
	global_store_b32 v[0:1], v2, off
.LBB272_2021:
	s_mov_b32 s0, 0
.LBB272_2022:
	s_delay_alu instid0(SALU_CYCLE_1)
	s_and_not1_b32 vcc_lo, exec_lo, s0
	s_cbranch_vccnz .LBB272_2024
; %bb.2023:
	v_lshlrev_b32_e32 v2, 16, v6
	s_delay_alu instid0(VALU_DEP_1)
	v_cvt_i32_f32_e32 v2, v2
	global_store_b16 v[0:1], v2, off
.LBB272_2024:
	s_mov_b32 s0, 0
.LBB272_2025:
	s_delay_alu instid0(SALU_CYCLE_1)
	s_and_not1_b32 vcc_lo, exec_lo, s0
	s_cbranch_vccnz .LBB272_2030
; %bb.2026:
	v_cmp_lt_i16_e32 vcc_lo, 0, v5
	v_lshlrev_b32_e32 v2, 16, v6
	s_mov_b32 s0, -1
	s_cbranch_vccz .LBB272_2028
; %bb.2027:
	s_delay_alu instid0(VALU_DEP_1)
	v_cvt_i32_f32_e32 v3, v2
	s_mov_b32 s0, 0
	global_store_b8 v[0:1], v3, off
.LBB272_2028:
	s_and_not1_b32 vcc_lo, exec_lo, s0
	s_cbranch_vccnz .LBB272_2030
; %bb.2029:
	v_trunc_f32_e32 v2, v2
	s_delay_alu instid0(VALU_DEP_1) | instskip(NEXT) | instid1(VALU_DEP_1)
	v_mul_f32_e64 v3, 0x2f800000, |v2|
	v_floor_f32_e32 v3, v3
	s_delay_alu instid0(VALU_DEP_1) | instskip(SKIP_1) | instid1(VALU_DEP_2)
	v_fma_f32 v3, 0xcf800000, v3, |v2|
	v_ashrrev_i32_e32 v2, 31, v2
	v_cvt_u32_f32_e32 v3, v3
	s_delay_alu instid0(VALU_DEP_1) | instskip(NEXT) | instid1(VALU_DEP_1)
	v_xor_b32_e32 v3, v3, v2
	v_sub_nc_u32_e32 v2, v3, v2
	global_store_b8 v[0:1], v2, off
	s_nop 0
	s_sendmsg sendmsg(MSG_DEALLOC_VGPRS)
	s_endpgm
.LBB272_2030:
	s_nop 0
	s_sendmsg sendmsg(MSG_DEALLOC_VGPRS)
	s_endpgm
.LBB272_2031:
	s_cbranch_execnz .LBB272_2035
; %bb.2032:
	s_or_b32 s1, s1, exec_lo
                                        ; implicit-def: $vgpr8
	s_cbranch_execz .LBB272_1504
	s_branch .LBB272_1505
.LBB272_2033:
	s_or_saveexec_b32 s10, s10
                                        ; implicit-def: $sgpr11
	s_delay_alu instid0(SALU_CYCLE_1)
	s_xor_b32 exec_lo, exec_lo, s10
	s_cbranch_execz .LBB272_1584
.LBB272_2034:
	v_add_f32_e64 v9, 0x46000000, |v10|
	s_and_not1_b32 s7, s7, exec_lo
	s_mov_b32 s11, 0
	s_delay_alu instid0(VALU_DEP_1) | instskip(NEXT) | instid1(VALU_DEP_1)
	v_and_b32_e32 v9, 0xff, v9
	v_cmp_ne_u32_e32 vcc_lo, 0, v9
	s_and_b32 s12, vcc_lo, exec_lo
	s_delay_alu instid0(SALU_CYCLE_1)
	s_or_b32 s7, s7, s12
	s_or_b32 exec_lo, exec_lo, s10
	v_mov_b32_e32 v11, s11
	s_and_saveexec_b32 s10, s7
	s_cbranch_execnz .LBB272_1585
	s_branch .LBB272_1586
.LBB272_2035:
	s_trap 2
	s_sendmsg_rtn_b32 s0, sendmsg(MSG_RTN_GET_DOORBELL)
	s_mov_b32 ttmp2, m0
	s_waitcnt lgkmcnt(0)
	s_and_b32 s0, s0, 0x3ff
	s_delay_alu instid0(SALU_CYCLE_1) | instskip(NEXT) | instid1(SALU_CYCLE_1)
	s_bitset1_b32 s0, 10
	s_mov_b32 m0, s0
	s_sendmsg sendmsg(MSG_INTERRUPT)
	s_mov_b32 m0, ttmp2
.LBB272_2036:                           ; =>This Inner Loop Header: Depth=1
	s_sethalt 5
	s_branch .LBB272_2036
.LBB272_2037:
	s_cbranch_execnz .LBB272_2043
; %bb.2038:
	s_or_b32 s1, s1, exec_lo
	s_cbranch_execz .LBB272_1632
	s_branch .LBB272_1633
.LBB272_2039:
	s_or_saveexec_b32 s7, s7
                                        ; implicit-def: $sgpr10
	s_delay_alu instid0(SALU_CYCLE_1)
	s_xor_b32 exec_lo, exec_lo, s7
	s_cbranch_execz .LBB272_1597
.LBB272_2040:
	v_add_f32_e64 v9, 0x42800000, |v10|
	s_and_not1_b32 s6, s6, exec_lo
	s_mov_b32 s10, 0
	s_delay_alu instid0(VALU_DEP_1) | instskip(NEXT) | instid1(VALU_DEP_1)
	v_and_b32_e32 v9, 0xff, v9
	v_cmp_ne_u32_e32 vcc_lo, 0, v9
	s_and_b32 s11, vcc_lo, exec_lo
	s_delay_alu instid0(SALU_CYCLE_1)
	s_or_b32 s6, s6, s11
	s_or_b32 exec_lo, exec_lo, s7
	v_mov_b32_e32 v11, s10
	s_and_saveexec_b32 s7, s6
	s_cbranch_execnz .LBB272_1598
	s_branch .LBB272_1599
.LBB272_2041:
	s_or_saveexec_b32 s10, s10
                                        ; implicit-def: $sgpr11
	s_delay_alu instid0(SALU_CYCLE_1)
	s_xor_b32 exec_lo, exec_lo, s10
	s_cbranch_execz .LBB272_1702
.LBB272_2042:
	v_add_f32_e64 v6, 0x46000000, |v9|
	s_and_not1_b32 s7, s7, exec_lo
	s_mov_b32 s11, 0
	s_delay_alu instid0(VALU_DEP_1) | instskip(NEXT) | instid1(VALU_DEP_1)
	v_and_b32_e32 v6, 0xff, v6
	v_cmp_ne_u32_e32 vcc_lo, 0, v6
	s_and_b32 s12, vcc_lo, exec_lo
	s_delay_alu instid0(SALU_CYCLE_1)
	s_or_b32 s7, s7, s12
	s_or_b32 exec_lo, exec_lo, s10
	v_mov_b32_e32 v10, s11
	s_and_saveexec_b32 s10, s7
	s_cbranch_execnz .LBB272_1703
	s_branch .LBB272_1704
.LBB272_2043:
	s_trap 2
	s_sendmsg_rtn_b32 s0, sendmsg(MSG_RTN_GET_DOORBELL)
	s_mov_b32 ttmp2, m0
	s_waitcnt lgkmcnt(0)
	s_and_b32 s0, s0, 0x3ff
	s_delay_alu instid0(SALU_CYCLE_1) | instskip(NEXT) | instid1(SALU_CYCLE_1)
	s_bitset1_b32 s0, 10
	s_mov_b32 m0, s0
	s_sendmsg sendmsg(MSG_INTERRUPT)
	s_mov_b32 m0, ttmp2
.LBB272_2044:                           ; =>This Inner Loop Header: Depth=1
	s_sethalt 5
	s_branch .LBB272_2044
.LBB272_2045:
	s_cbranch_execnz .LBB272_2051
; %bb.2046:
	s_or_b32 s1, s1, exec_lo
	s_cbranch_execz .LBB272_1750
	s_branch .LBB272_1751
.LBB272_2047:
	s_or_saveexec_b32 s7, s7
                                        ; implicit-def: $sgpr10
	s_delay_alu instid0(SALU_CYCLE_1)
	s_xor_b32 exec_lo, exec_lo, s7
	s_cbranch_execz .LBB272_1715
.LBB272_2048:
	v_add_f32_e64 v6, 0x42800000, |v9|
	s_and_not1_b32 s6, s6, exec_lo
	s_mov_b32 s10, 0
	s_delay_alu instid0(VALU_DEP_1) | instskip(NEXT) | instid1(VALU_DEP_1)
	v_and_b32_e32 v6, 0xff, v6
	v_cmp_ne_u32_e32 vcc_lo, 0, v6
	s_and_b32 s11, vcc_lo, exec_lo
	s_delay_alu instid0(SALU_CYCLE_1)
	s_or_b32 s6, s6, s11
	s_or_b32 exec_lo, exec_lo, s7
	v_mov_b32_e32 v10, s10
	s_and_saveexec_b32 s7, s6
	s_cbranch_execnz .LBB272_1716
	s_branch .LBB272_1717
.LBB272_2049:
	s_or_saveexec_b32 s10, s10
                                        ; implicit-def: $sgpr11
	s_delay_alu instid0(SALU_CYCLE_1)
	s_xor_b32 exec_lo, exec_lo, s10
	s_cbranch_execz .LBB272_1820
.LBB272_2050:
	v_add_f32_e64 v6, 0x46000000, |v7|
	s_and_not1_b32 s7, s7, exec_lo
	s_mov_b32 s11, 0
	s_delay_alu instid0(VALU_DEP_1) | instskip(NEXT) | instid1(VALU_DEP_1)
	v_and_b32_e32 v6, 0xff, v6
	v_cmp_ne_u32_e32 vcc_lo, 0, v6
	s_and_b32 s12, vcc_lo, exec_lo
	s_delay_alu instid0(SALU_CYCLE_1)
	s_or_b32 s7, s7, s12
	s_or_b32 exec_lo, exec_lo, s10
	v_mov_b32_e32 v9, s11
	s_and_saveexec_b32 s10, s7
	s_cbranch_execnz .LBB272_1821
	s_branch .LBB272_1822
.LBB272_2051:
	s_trap 2
	s_sendmsg_rtn_b32 s0, sendmsg(MSG_RTN_GET_DOORBELL)
	s_mov_b32 ttmp2, m0
	s_waitcnt lgkmcnt(0)
	s_and_b32 s0, s0, 0x3ff
	s_delay_alu instid0(SALU_CYCLE_1) | instskip(NEXT) | instid1(SALU_CYCLE_1)
	s_bitset1_b32 s0, 10
	s_mov_b32 m0, s0
	s_sendmsg sendmsg(MSG_INTERRUPT)
	s_mov_b32 m0, ttmp2
.LBB272_2052:                           ; =>This Inner Loop Header: Depth=1
	s_sethalt 5
	s_branch .LBB272_2052
.LBB272_2053:
	s_cbranch_execnz .LBB272_2059
; %bb.2054:
	s_or_b32 s1, s1, exec_lo
	s_cbranch_execz .LBB272_1868
	s_branch .LBB272_1869
.LBB272_2055:
	s_or_saveexec_b32 s7, s7
                                        ; implicit-def: $sgpr10
	s_delay_alu instid0(SALU_CYCLE_1)
	s_xor_b32 exec_lo, exec_lo, s7
	s_cbranch_execz .LBB272_1833
.LBB272_2056:
	v_add_f32_e64 v6, 0x42800000, |v7|
	s_and_not1_b32 s6, s6, exec_lo
	s_mov_b32 s10, 0
	s_delay_alu instid0(VALU_DEP_1) | instskip(NEXT) | instid1(VALU_DEP_1)
	v_and_b32_e32 v6, 0xff, v6
	v_cmp_ne_u32_e32 vcc_lo, 0, v6
	s_and_b32 s11, vcc_lo, exec_lo
	s_delay_alu instid0(SALU_CYCLE_1)
	s_or_b32 s6, s6, s11
	s_or_b32 exec_lo, exec_lo, s7
	v_mov_b32_e32 v9, s10
	s_and_saveexec_b32 s7, s6
	s_cbranch_execnz .LBB272_1834
	s_branch .LBB272_1835
.LBB272_2057:
	s_or_saveexec_b32 s5, s5
                                        ; implicit-def: $sgpr6
	s_delay_alu instid0(SALU_CYCLE_1)
	s_xor_b32 exec_lo, exec_lo, s5
	s_cbranch_execz .LBB272_1939
.LBB272_2058:
	v_add_f32_e64 v3, 0x46000000, |v4|
	s_and_not1_b32 s4, s4, exec_lo
	s_mov_b32 s6, 0
	s_delay_alu instid0(VALU_DEP_1) | instskip(NEXT) | instid1(VALU_DEP_1)
	v_and_b32_e32 v3, 0xff, v3
	v_cmp_ne_u32_e32 vcc_lo, 0, v3
	s_and_b32 s7, vcc_lo, exec_lo
	s_delay_alu instid0(SALU_CYCLE_1)
	s_or_b32 s4, s4, s7
	s_or_b32 exec_lo, exec_lo, s5
	v_mov_b32_e32 v7, s6
	s_and_saveexec_b32 s5, s4
	s_cbranch_execnz .LBB272_1940
	s_branch .LBB272_1941
.LBB272_2059:
	s_trap 2
	s_sendmsg_rtn_b32 s0, sendmsg(MSG_RTN_GET_DOORBELL)
	s_mov_b32 ttmp2, m0
	s_waitcnt lgkmcnt(0)
	s_and_b32 s0, s0, 0x3ff
	s_delay_alu instid0(SALU_CYCLE_1) | instskip(NEXT) | instid1(SALU_CYCLE_1)
	s_bitset1_b32 s0, 10
	s_mov_b32 m0, s0
	s_sendmsg sendmsg(MSG_INTERRUPT)
	s_mov_b32 m0, ttmp2
.LBB272_2060:                           ; =>This Inner Loop Header: Depth=1
	s_sethalt 5
	s_branch .LBB272_2060
.LBB272_2061:
	s_cbranch_execnz .LBB272_2065
; %bb.2062:
	s_mov_b32 s2, 0
	s_or_b32 s1, s1, exec_lo
	s_branch .LBB272_1985
.LBB272_2063:
	s_or_saveexec_b32 s4, s4
                                        ; implicit-def: $sgpr5
	s_delay_alu instid0(SALU_CYCLE_1)
	s_xor_b32 exec_lo, exec_lo, s4
	s_cbranch_execz .LBB272_1951
.LBB272_2064:
	v_add_f32_e64 v3, 0x42800000, |v4|
	s_and_not1_b32 s3, s3, exec_lo
	s_mov_b32 s5, 0
	s_delay_alu instid0(VALU_DEP_1) | instskip(NEXT) | instid1(VALU_DEP_1)
	v_and_b32_e32 v3, 0xff, v3
	v_cmp_ne_u32_e32 vcc_lo, 0, v3
	s_and_b32 s6, vcc_lo, exec_lo
	s_delay_alu instid0(SALU_CYCLE_1)
	s_or_b32 s3, s3, s6
	s_or_b32 exec_lo, exec_lo, s4
	v_mov_b32_e32 v7, s5
	s_and_saveexec_b32 s4, s3
	s_cbranch_execnz .LBB272_1952
	s_branch .LBB272_1953
.LBB272_2065:
	s_trap 2
	s_sendmsg_rtn_b32 s0, sendmsg(MSG_RTN_GET_DOORBELL)
	s_mov_b32 ttmp2, m0
	s_waitcnt lgkmcnt(0)
	s_and_b32 s0, s0, 0x3ff
	s_delay_alu instid0(SALU_CYCLE_1) | instskip(NEXT) | instid1(SALU_CYCLE_1)
	s_bitset1_b32 s0, 10
	s_mov_b32 m0, s0
	s_sendmsg sendmsg(MSG_INTERRUPT)
	s_mov_b32 m0, ttmp2
.LBB272_2066:                           ; =>This Inner Loop Header: Depth=1
	s_sethalt 5
	s_branch .LBB272_2066
	.section	.rodata,"a",@progbits
	.p2align	6, 0x0
	.amdhsa_kernel _ZN2at6native32elementwise_kernel_manual_unrollILi128ELi4EZNS0_15gpu_kernel_implIZZZNS0_16sqrt_kernel_cudaERNS_18TensorIteratorBaseEENKUlvE0_clEvENKUlvE2_clEvEUlN3c108BFloat16EE_EEvS4_RKT_EUlibE_EEviT1_
		.amdhsa_group_segment_fixed_size 0
		.amdhsa_private_segment_fixed_size 0
		.amdhsa_kernarg_size 40
		.amdhsa_user_sgpr_count 15
		.amdhsa_user_sgpr_dispatch_ptr 0
		.amdhsa_user_sgpr_queue_ptr 0
		.amdhsa_user_sgpr_kernarg_segment_ptr 1
		.amdhsa_user_sgpr_dispatch_id 0
		.amdhsa_user_sgpr_private_segment_size 0
		.amdhsa_wavefront_size32 1
		.amdhsa_uses_dynamic_stack 0
		.amdhsa_enable_private_segment 0
		.amdhsa_system_sgpr_workgroup_id_x 1
		.amdhsa_system_sgpr_workgroup_id_y 0
		.amdhsa_system_sgpr_workgroup_id_z 0
		.amdhsa_system_sgpr_workgroup_info 0
		.amdhsa_system_vgpr_workitem_id 0
		.amdhsa_next_free_vgpr 13
		.amdhsa_next_free_sgpr 24
		.amdhsa_reserve_vcc 1
		.amdhsa_float_round_mode_32 0
		.amdhsa_float_round_mode_16_64 0
		.amdhsa_float_denorm_mode_32 3
		.amdhsa_float_denorm_mode_16_64 3
		.amdhsa_dx10_clamp 1
		.amdhsa_ieee_mode 1
		.amdhsa_fp16_overflow 0
		.amdhsa_workgroup_processor_mode 1
		.amdhsa_memory_ordered 1
		.amdhsa_forward_progress 0
		.amdhsa_shared_vgpr_count 0
		.amdhsa_exception_fp_ieee_invalid_op 0
		.amdhsa_exception_fp_denorm_src 0
		.amdhsa_exception_fp_ieee_div_zero 0
		.amdhsa_exception_fp_ieee_overflow 0
		.amdhsa_exception_fp_ieee_underflow 0
		.amdhsa_exception_fp_ieee_inexact 0
		.amdhsa_exception_int_div_zero 0
	.end_amdhsa_kernel
	.section	.text._ZN2at6native32elementwise_kernel_manual_unrollILi128ELi4EZNS0_15gpu_kernel_implIZZZNS0_16sqrt_kernel_cudaERNS_18TensorIteratorBaseEENKUlvE0_clEvENKUlvE2_clEvEUlN3c108BFloat16EE_EEvS4_RKT_EUlibE_EEviT1_,"axG",@progbits,_ZN2at6native32elementwise_kernel_manual_unrollILi128ELi4EZNS0_15gpu_kernel_implIZZZNS0_16sqrt_kernel_cudaERNS_18TensorIteratorBaseEENKUlvE0_clEvENKUlvE2_clEvEUlN3c108BFloat16EE_EEvS4_RKT_EUlibE_EEviT1_,comdat
.Lfunc_end272:
	.size	_ZN2at6native32elementwise_kernel_manual_unrollILi128ELi4EZNS0_15gpu_kernel_implIZZZNS0_16sqrt_kernel_cudaERNS_18TensorIteratorBaseEENKUlvE0_clEvENKUlvE2_clEvEUlN3c108BFloat16EE_EEvS4_RKT_EUlibE_EEviT1_, .Lfunc_end272-_ZN2at6native32elementwise_kernel_manual_unrollILi128ELi4EZNS0_15gpu_kernel_implIZZZNS0_16sqrt_kernel_cudaERNS_18TensorIteratorBaseEENKUlvE0_clEvENKUlvE2_clEvEUlN3c108BFloat16EE_EEvS4_RKT_EUlibE_EEviT1_
                                        ; -- End function
	.section	.AMDGPU.csdata,"",@progbits
; Kernel info:
; codeLenInByte = 43168
; NumSgprs: 26
; NumVgprs: 13
; ScratchSize: 0
; MemoryBound: 0
; FloatMode: 240
; IeeeMode: 1
; LDSByteSize: 0 bytes/workgroup (compile time only)
; SGPRBlocks: 3
; VGPRBlocks: 1
; NumSGPRsForWavesPerEU: 26
; NumVGPRsForWavesPerEU: 13
; Occupancy: 16
; WaveLimiterHint : 0
; COMPUTE_PGM_RSRC2:SCRATCH_EN: 0
; COMPUTE_PGM_RSRC2:USER_SGPR: 15
; COMPUTE_PGM_RSRC2:TRAP_HANDLER: 0
; COMPUTE_PGM_RSRC2:TGID_X_EN: 1
; COMPUTE_PGM_RSRC2:TGID_Y_EN: 0
; COMPUTE_PGM_RSRC2:TGID_Z_EN: 0
; COMPUTE_PGM_RSRC2:TIDIG_COMP_CNT: 0
	.section	.text._ZN2at6native32elementwise_kernel_manual_unrollILi128ELi4EZNS0_15gpu_kernel_implIZZZNS0_16sqrt_kernel_cudaERNS_18TensorIteratorBaseEENKUlvE0_clEvENKUlvE2_clEvEUlN3c108BFloat16EE_EEvS4_RKT_EUlibE0_EEviT1_,"axG",@progbits,_ZN2at6native32elementwise_kernel_manual_unrollILi128ELi4EZNS0_15gpu_kernel_implIZZZNS0_16sqrt_kernel_cudaERNS_18TensorIteratorBaseEENKUlvE0_clEvENKUlvE2_clEvEUlN3c108BFloat16EE_EEvS4_RKT_EUlibE0_EEviT1_,comdat
	.globl	_ZN2at6native32elementwise_kernel_manual_unrollILi128ELi4EZNS0_15gpu_kernel_implIZZZNS0_16sqrt_kernel_cudaERNS_18TensorIteratorBaseEENKUlvE0_clEvENKUlvE2_clEvEUlN3c108BFloat16EE_EEvS4_RKT_EUlibE0_EEviT1_ ; -- Begin function _ZN2at6native32elementwise_kernel_manual_unrollILi128ELi4EZNS0_15gpu_kernel_implIZZZNS0_16sqrt_kernel_cudaERNS_18TensorIteratorBaseEENKUlvE0_clEvENKUlvE2_clEvEUlN3c108BFloat16EE_EEvS4_RKT_EUlibE0_EEviT1_
	.p2align	8
	.type	_ZN2at6native32elementwise_kernel_manual_unrollILi128ELi4EZNS0_15gpu_kernel_implIZZZNS0_16sqrt_kernel_cudaERNS_18TensorIteratorBaseEENKUlvE0_clEvENKUlvE2_clEvEUlN3c108BFloat16EE_EEvS4_RKT_EUlibE0_EEviT1_,@function
_ZN2at6native32elementwise_kernel_manual_unrollILi128ELi4EZNS0_15gpu_kernel_implIZZZNS0_16sqrt_kernel_cudaERNS_18TensorIteratorBaseEENKUlvE0_clEvENKUlvE2_clEvEUlN3c108BFloat16EE_EEvS4_RKT_EUlibE0_EEviT1_: ; @_ZN2at6native32elementwise_kernel_manual_unrollILi128ELi4EZNS0_15gpu_kernel_implIZZZNS0_16sqrt_kernel_cudaERNS_18TensorIteratorBaseEENKUlvE0_clEvENKUlvE2_clEvEUlN3c108BFloat16EE_EEvS4_RKT_EUlibE0_EEviT1_
; %bb.0:
	s_clause 0x1
	s_load_b32 s24, s[0:1], 0x8
	s_load_b32 s30, s[0:1], 0x0
	v_lshl_or_b32 v5, s15, 9, v0
	s_or_b32 s16, s0, 8
	s_mov_b32 s3, -1
	s_mov_b32 s26, 0
	s_mov_b32 s17, s1
	v_or_b32_e32 v8, 0x180, v5
	s_mov_b32 s8, 0
	s_mov_b32 s2, exec_lo
	s_waitcnt lgkmcnt(0)
	s_add_i32 s25, s24, -1
	s_delay_alu instid0(SALU_CYCLE_1)
	s_cmp_gt_u32 s25, 1
	s_cselect_b32 s27, -1, 0
	v_cmpx_le_i32_e64 s30, v8
	s_xor_b32 s28, exec_lo, s2
	s_cbranch_execz .LBB273_1076
; %bb.1:
	v_mov_b32_e32 v0, 0
	s_clause 0x3
	s_load_b128 s[12:15], s[16:17], 0x4
	s_load_b64 s[18:19], s[16:17], 0x14
	s_load_b128 s[8:11], s[16:17], 0xc4
	s_load_b128 s[4:7], s[16:17], 0x148
	s_cmp_lg_u32 s24, 0
	s_mov_b32 s37, 0
	s_cselect_b32 s33, -1, 0
	global_load_u16 v3, v0, s[16:17] offset:345
	s_add_u32 s20, s16, 0xc4
	s_addc_u32 s21, s17, 0
	s_min_u32 s31, s25, 15
	s_cmp_gt_u32 s24, 1
	s_mov_b32 s35, 0
	s_cselect_b32 s29, -1, 0
	s_mov_b32 s34, 0
	s_mov_b32 s36, exec_lo
	s_waitcnt vmcnt(0)
	v_lshrrev_b16 v4, 8, v3
	v_cmpx_gt_i32_e64 s30, v5
	s_cbranch_execz .LBB273_263
; %bb.2:
	s_and_not1_b32 vcc_lo, exec_lo, s27
	s_cbranch_vccnz .LBB273_7
; %bb.3:
	v_dual_mov_b32 v0, 0 :: v_dual_mov_b32 v1, 0
	s_and_not1_b32 vcc_lo, exec_lo, s33
	s_cbranch_vccnz .LBB273_12
; %bb.4:
	v_mov_b32_e32 v0, 0
	s_add_i32 s38, s31, 1
	s_cmp_eq_u32 s25, 2
	s_cbranch_scc1 .LBB273_8
; %bb.5:
	v_dual_mov_b32 v1, 0 :: v_dual_mov_b32 v0, 0
	v_mov_b32_e32 v2, v5
	s_and_b32 s35, s38, 28
	s_mov_b32 s39, 0
	s_mov_b64 s[2:3], s[20:21]
	s_mov_b64 s[22:23], s[16:17]
.LBB273_6:                              ; =>This Inner Loop Header: Depth=1
	s_clause 0x1
	s_load_b256 s[40:47], s[22:23], 0x4
	s_load_b128 s[56:59], s[22:23], 0x24
	s_load_b256 s[48:55], s[2:3], 0x0
	s_add_u32 s22, s22, 48
	s_addc_u32 s23, s23, 0
	s_add_i32 s39, s39, 4
	s_add_u32 s2, s2, 32
	s_addc_u32 s3, s3, 0
	s_cmp_lg_u32 s35, s39
	s_waitcnt lgkmcnt(0)
	v_mul_hi_u32 v6, s41, v2
	s_delay_alu instid0(VALU_DEP_1) | instskip(NEXT) | instid1(VALU_DEP_1)
	v_add_nc_u32_e32 v6, v2, v6
	v_lshrrev_b32_e32 v6, s42, v6
	s_delay_alu instid0(VALU_DEP_1) | instskip(SKIP_1) | instid1(VALU_DEP_2)
	v_mul_hi_u32 v7, s44, v6
	v_mul_lo_u32 v9, v6, s40
	v_add_nc_u32_e32 v7, v6, v7
	s_delay_alu instid0(VALU_DEP_2) | instskip(NEXT) | instid1(VALU_DEP_2)
	v_sub_nc_u32_e32 v2, v2, v9
	v_lshrrev_b32_e32 v7, s45, v7
	s_delay_alu instid0(VALU_DEP_2) | instskip(SKIP_1) | instid1(VALU_DEP_3)
	v_mul_lo_u32 v9, v2, s48
	v_mul_lo_u32 v11, v2, s49
	v_mul_hi_u32 v8, s47, v7
	s_delay_alu instid0(VALU_DEP_1) | instskip(NEXT) | instid1(VALU_DEP_1)
	v_add_nc_u32_e32 v8, v7, v8
	v_lshrrev_b32_e32 v8, s56, v8
	s_delay_alu instid0(VALU_DEP_1) | instskip(SKIP_1) | instid1(VALU_DEP_2)
	v_mul_hi_u32 v10, s58, v8
	v_mul_lo_u32 v12, v8, s46
	v_add_nc_u32_e32 v2, v8, v10
	v_mul_lo_u32 v10, v7, s43
	s_delay_alu instid0(VALU_DEP_3) | instskip(NEXT) | instid1(VALU_DEP_3)
	v_sub_nc_u32_e32 v7, v7, v12
	v_lshrrev_b32_e32 v2, s59, v2
	s_delay_alu instid0(VALU_DEP_2) | instskip(SKIP_2) | instid1(VALU_DEP_4)
	v_mul_lo_u32 v12, v7, s52
	v_mul_lo_u32 v7, v7, s53
	v_sub_nc_u32_e32 v6, v6, v10
	v_mul_lo_u32 v13, v2, s57
	s_delay_alu instid0(VALU_DEP_2) | instskip(SKIP_1) | instid1(VALU_DEP_3)
	v_mul_lo_u32 v10, v6, s50
	v_mul_lo_u32 v6, v6, s51
	v_sub_nc_u32_e32 v8, v8, v13
	s_delay_alu instid0(VALU_DEP_3) | instskip(NEXT) | instid1(VALU_DEP_2)
	v_add3_u32 v0, v9, v0, v10
	v_mul_lo_u32 v13, v8, s54
	v_mul_lo_u32 v8, v8, s55
	v_add3_u32 v1, v11, v1, v6
	s_delay_alu instid0(VALU_DEP_3) | instskip(NEXT) | instid1(VALU_DEP_2)
	v_add3_u32 v0, v12, v0, v13
	v_add3_u32 v1, v7, v1, v8
	s_cbranch_scc1 .LBB273_6
	s_branch .LBB273_9
.LBB273_7:
	s_mov_b32 s34, -1
                                        ; implicit-def: $vgpr0
                                        ; implicit-def: $vgpr1
	s_branch .LBB273_12
.LBB273_8:
	v_dual_mov_b32 v2, v5 :: v_dual_mov_b32 v1, 0
.LBB273_9:
	s_and_b32 s38, s38, 3
	s_delay_alu instid0(SALU_CYCLE_1)
	s_cmp_eq_u32 s38, 0
	s_cbranch_scc1 .LBB273_12
; %bb.10:
	s_lshl_b32 s2, s35, 3
	s_mul_i32 s22, s35, 12
	s_add_u32 s2, s2, s16
	s_addc_u32 s3, s17, 0
	s_add_u32 s2, s2, 0xc4
	s_addc_u32 s3, s3, 0
	s_add_u32 s22, s16, s22
	s_addc_u32 s23, s17, 0
	.p2align	6
.LBB273_11:                             ; =>This Inner Loop Header: Depth=1
	s_clause 0x1
	s_load_b64 s[40:41], s[22:23], 0x4
	s_load_b32 s35, s[22:23], 0xc
	s_load_b64 s[42:43], s[2:3], 0x0
	s_add_u32 s22, s22, 12
	s_addc_u32 s23, s23, 0
	s_add_u32 s2, s2, 8
	s_addc_u32 s3, s3, 0
	s_add_i32 s38, s38, -1
	s_delay_alu instid0(SALU_CYCLE_1) | instskip(SKIP_2) | instid1(VALU_DEP_1)
	s_cmp_lg_u32 s38, 0
	s_waitcnt lgkmcnt(0)
	v_mul_hi_u32 v6, s41, v2
	v_add_nc_u32_e32 v6, v2, v6
	s_delay_alu instid0(VALU_DEP_1) | instskip(NEXT) | instid1(VALU_DEP_1)
	v_lshrrev_b32_e32 v9, s35, v6
	v_mul_lo_u32 v6, v9, s40
	s_delay_alu instid0(VALU_DEP_1) | instskip(NEXT) | instid1(VALU_DEP_1)
	v_sub_nc_u32_e32 v2, v2, v6
	v_mad_u64_u32 v[6:7], null, v2, s42, v[0:1]
	v_mad_u64_u32 v[7:8], null, v2, s43, v[1:2]
	v_mov_b32_e32 v2, v9
	s_delay_alu instid0(VALU_DEP_2)
	v_dual_mov_b32 v0, v6 :: v_dual_mov_b32 v1, v7
	s_cbranch_scc1 .LBB273_11
.LBB273_12:
	s_and_not1_b32 vcc_lo, exec_lo, s34
	s_cbranch_vccnz .LBB273_15
; %bb.13:
	s_waitcnt lgkmcnt(0)
	v_mul_hi_u32 v0, s13, v5
	s_and_not1_b32 vcc_lo, exec_lo, s29
	s_delay_alu instid0(VALU_DEP_1) | instskip(NEXT) | instid1(VALU_DEP_1)
	v_add_nc_u32_e32 v0, v5, v0
	v_lshrrev_b32_e32 v2, s14, v0
	s_delay_alu instid0(VALU_DEP_1) | instskip(NEXT) | instid1(VALU_DEP_1)
	v_mul_lo_u32 v0, v2, s12
	v_sub_nc_u32_e32 v1, v5, v0
	s_delay_alu instid0(VALU_DEP_1)
	v_mul_lo_u32 v0, v1, s8
	v_mul_lo_u32 v1, v1, s9
	s_cbranch_vccnz .LBB273_15
; %bb.14:
	v_mul_hi_u32 v6, s18, v2
	s_delay_alu instid0(VALU_DEP_1) | instskip(NEXT) | instid1(VALU_DEP_1)
	v_add_nc_u32_e32 v6, v2, v6
	v_lshrrev_b32_e32 v6, s19, v6
	s_delay_alu instid0(VALU_DEP_1) | instskip(NEXT) | instid1(VALU_DEP_1)
	v_mul_lo_u32 v6, v6, s15
	v_sub_nc_u32_e32 v2, v2, v6
	s_delay_alu instid0(VALU_DEP_1) | instskip(SKIP_1) | instid1(VALU_DEP_1)
	v_mad_u64_u32 v[6:7], null, v2, s10, v[0:1]
	v_mad_u64_u32 v[7:8], null, v2, s11, v[1:2]
	v_dual_mov_b32 v0, v6 :: v_dual_mov_b32 v1, v7
.LBB273_15:
	v_cmp_gt_i16_e32 vcc_lo, 11, v4
	s_waitcnt lgkmcnt(0)
	s_delay_alu instid0(VALU_DEP_2) | instskip(NEXT) | instid1(VALU_DEP_1)
	v_add_co_u32 v1, s2, s6, v1
	v_add_co_ci_u32_e64 v2, null, s7, 0, s2
	s_mov_b32 s3, 0
	s_cbranch_vccnz .LBB273_22
; %bb.16:
	v_cmp_lt_i16_e32 vcc_lo, 25, v4
	s_cbranch_vccz .LBB273_141
; %bb.17:
	v_cmp_lt_i16_e32 vcc_lo, 28, v4
	s_cbranch_vccz .LBB273_142
	;; [unrolled: 3-line block ×4, first 2 shown]
; %bb.20:
	v_cmp_eq_u16_e32 vcc_lo, 46, v4
	s_mov_b32 s22, 0
	s_cbranch_vccz .LBB273_145
; %bb.21:
	global_load_b32 v6, v[1:2], off
	s_mov_b32 s2, -1
	s_branch .LBB273_147
.LBB273_22:
	s_mov_b32 s2, 0
                                        ; implicit-def: $vgpr6
	s_cbranch_execnz .LBB273_213
.LBB273_23:
	s_and_not1_b32 vcc_lo, exec_lo, s2
	s_cbranch_vccnz .LBB273_260
.LBB273_24:
	s_waitcnt vmcnt(0)
	s_delay_alu instid0(VALU_DEP_1) | instskip(SKIP_2) | instid1(VALU_DEP_1)
	v_lshlrev_b32_e32 v1, 16, v6
	s_mov_b32 s23, -1
	s_mov_b32 s22, 0
	v_mul_f32_e32 v2, 0x4f800000, v1
	v_cmp_gt_f32_e32 vcc_lo, 0xf800000, v1
	s_delay_alu instid0(VALU_DEP_2) | instskip(NEXT) | instid1(VALU_DEP_1)
	v_cndmask_b32_e32 v1, v1, v2, vcc_lo
	v_sqrt_f32_e32 v2, v1
	s_waitcnt_depctr 0xfff
	v_add_nc_u32_e32 v6, -1, v2
	v_add_nc_u32_e32 v7, 1, v2
	s_delay_alu instid0(VALU_DEP_2) | instskip(NEXT) | instid1(VALU_DEP_2)
	v_fma_f32 v8, -v6, v2, v1
	v_fma_f32 v9, -v7, v2, v1
	s_delay_alu instid0(VALU_DEP_2) | instskip(NEXT) | instid1(VALU_DEP_1)
	v_cmp_ge_f32_e64 s2, 0, v8
	v_cndmask_b32_e64 v2, v2, v6, s2
	s_delay_alu instid0(VALU_DEP_3) | instskip(NEXT) | instid1(VALU_DEP_1)
	v_cmp_lt_f32_e64 s2, 0, v9
	v_cndmask_b32_e64 v2, v2, v7, s2
	v_add_co_u32 v0, s2, s4, v0
	s_delay_alu instid0(VALU_DEP_2) | instskip(NEXT) | instid1(VALU_DEP_1)
	v_mul_f32_e32 v6, 0x37800000, v2
	v_cndmask_b32_e32 v2, v2, v6, vcc_lo
	v_cmp_class_f32_e64 vcc_lo, v1, 0x260
	s_delay_alu instid0(VALU_DEP_2) | instskip(SKIP_1) | instid1(VALU_DEP_2)
	v_cndmask_b32_e32 v6, v2, v1, vcc_lo
	v_and_b32_e32 v2, 0xff, v3
	v_bfe_u32 v1, v6, 16, 1
	s_delay_alu instid0(VALU_DEP_2) | instskip(NEXT) | instid1(VALU_DEP_2)
	v_cmp_gt_i16_e32 vcc_lo, 11, v2
	v_add3_u32 v1, v6, v1, 0x7fff
	s_and_b32 vcc_lo, exec_lo, vcc_lo
	s_delay_alu instid0(VALU_DEP_1) | instskip(SKIP_2) | instid1(VALU_DEP_1)
	v_lshrrev_b32_e32 v7, 16, v1
	v_add_co_ci_u32_e64 v1, null, s5, 0, s2
	v_cmp_o_f32_e64 s2, v6, v6
	v_cndmask_b32_e64 v6, 0x7fc0, v7, s2
	s_mov_b32 s2, 0
	s_cbranch_vccnz .LBB273_101
; %bb.25:
	v_cmp_lt_i16_e32 vcc_lo, 25, v2
	s_cbranch_vccz .LBB273_58
; %bb.26:
	v_cmp_lt_i16_e32 vcc_lo, 28, v2
	s_cbranch_vccz .LBB273_41
	;; [unrolled: 3-line block ×4, first 2 shown]
; %bb.29:
	v_cmp_eq_u16_e32 vcc_lo, 46, v2
	s_mov_b32 s23, 0
	s_mov_b32 s22, -1
	s_cbranch_vccz .LBB273_31
; %bb.30:
	v_and_b32_e32 v7, 0xffff, v6
	s_mov_b32 s2, -1
	s_mov_b32 s22, 0
	global_store_b32 v[0:1], v7, off
.LBB273_31:
	s_and_b32 vcc_lo, exec_lo, s23
	s_cbranch_vccz .LBB273_36
; %bb.32:
	v_cmp_eq_u16_e32 vcc_lo, 44, v2
	s_mov_b32 s22, -1
	s_cbranch_vccz .LBB273_36
; %bb.33:
	v_and_b32_e32 v7, 0xffff, v6
	v_mov_b32_e32 v8, 0xff
	s_mov_b32 s22, exec_lo
	s_delay_alu instid0(VALU_DEP_2) | instskip(NEXT) | instid1(VALU_DEP_1)
	v_bfe_u32 v9, v7, 7, 8
	v_cmpx_ne_u32_e32 0xff, v9
; %bb.34:
	v_lshlrev_b32_e32 v8, 16, v7
	v_and_b32_e32 v10, 64, v7
	v_lshrrev_b32_e32 v7, 7, v7
	s_delay_alu instid0(VALU_DEP_3) | instskip(NEXT) | instid1(VALU_DEP_3)
	v_and_or_b32 v8, 0x3f0000, v8, v9
	v_cmp_ne_u32_e32 vcc_lo, 0, v10
	s_delay_alu instid0(VALU_DEP_2) | instskip(NEXT) | instid1(VALU_DEP_1)
	v_cmp_ne_u32_e64 s2, 0, v8
	s_and_b32 s2, vcc_lo, s2
	s_delay_alu instid0(SALU_CYCLE_1) | instskip(NEXT) | instid1(VALU_DEP_1)
	v_cndmask_b32_e64 v8, 0, 1, s2
	v_add_nc_u32_e32 v8, v7, v8
; %bb.35:
	s_or_b32 exec_lo, exec_lo, s22
	s_mov_b32 s2, -1
	s_mov_b32 s22, 0
	global_store_b8 v[0:1], v8, off
.LBB273_36:
	s_mov_b32 s23, 0
.LBB273_37:
	s_delay_alu instid0(SALU_CYCLE_1)
	s_and_b32 vcc_lo, exec_lo, s23
	s_cbranch_vccz .LBB273_40
; %bb.38:
	v_cmp_eq_u16_e32 vcc_lo, 29, v2
	s_mov_b32 s22, -1
	s_cbranch_vccz .LBB273_40
; %bb.39:
	v_lshlrev_b32_e32 v7, 16, v6
	s_mov_b32 s2, -1
	s_mov_b32 s22, 0
	s_delay_alu instid0(VALU_DEP_1) | instskip(NEXT) | instid1(VALU_DEP_1)
	v_trunc_f32_e32 v7, v7
	v_mul_f32_e32 v8, 0x2f800000, v7
	s_delay_alu instid0(VALU_DEP_1) | instskip(NEXT) | instid1(VALU_DEP_1)
	v_floor_f32_e32 v8, v8
	v_fmamk_f32 v7, v8, 0xcf800000, v7
	v_cvt_u32_f32_e32 v8, v8
	s_delay_alu instid0(VALU_DEP_2)
	v_cvt_u32_f32_e32 v7, v7
	global_store_b64 v[0:1], v[7:8], off
.LBB273_40:
	s_mov_b32 s23, 0
.LBB273_41:
	s_delay_alu instid0(SALU_CYCLE_1)
	s_and_b32 vcc_lo, exec_lo, s23
	s_cbranch_vccz .LBB273_57
; %bb.42:
	v_cmp_gt_i16_e32 vcc_lo, 27, v2
	s_mov_b32 s2, -1
	s_cbranch_vccnz .LBB273_48
; %bb.43:
	v_cmp_lt_i16_e32 vcc_lo, 27, v2
	s_cbranch_vccz .LBB273_45
; %bb.44:
	v_lshlrev_b32_e32 v7, 16, v6
	s_mov_b32 s2, 0
	s_delay_alu instid0(VALU_DEP_1)
	v_cvt_u32_f32_e32 v7, v7
	global_store_b32 v[0:1], v7, off
.LBB273_45:
	s_and_not1_b32 vcc_lo, exec_lo, s2
	s_cbranch_vccnz .LBB273_47
; %bb.46:
	v_lshlrev_b32_e32 v7, 16, v6
	s_delay_alu instid0(VALU_DEP_1)
	v_cvt_u32_f32_e32 v7, v7
	global_store_b16 v[0:1], v7, off
.LBB273_47:
	s_mov_b32 s2, 0
.LBB273_48:
	s_delay_alu instid0(SALU_CYCLE_1)
	s_and_not1_b32 vcc_lo, exec_lo, s2
	s_cbranch_vccnz .LBB273_56
; %bb.49:
	v_dual_mov_b32 v10, 0x80 :: v_dual_lshlrev_b32 v9, 16, v6
	s_mov_b32 s2, exec_lo
	s_delay_alu instid0(VALU_DEP_1) | instskip(NEXT) | instid1(VALU_DEP_1)
	v_and_b32_e32 v8, 0x7fffffff, v9
	v_cmpx_gt_u32_e32 0x43800000, v8
	s_cbranch_execz .LBB273_55
; %bb.50:
	v_and_b32_e32 v7, 0xffff, v6
	v_cmp_lt_u32_e32 vcc_lo, 0x3bffffff, v8
	s_mov_b32 s23, 0
                                        ; implicit-def: $vgpr8
	s_and_saveexec_b32 s34, vcc_lo
	s_delay_alu instid0(SALU_CYCLE_1)
	s_xor_b32 s34, exec_lo, s34
	s_cbranch_execz .LBB273_150
; %bb.51:
	v_bfe_u32 v8, v7, 4, 1
	s_mov_b32 s23, exec_lo
	s_delay_alu instid0(VALU_DEP_1) | instskip(NEXT) | instid1(VALU_DEP_1)
	v_add3_u32 v8, v9, v8, 0x487ffff
                                        ; implicit-def: $vgpr9
	v_lshrrev_b32_e32 v8, 20, v8
	s_or_saveexec_b32 s34, s34
                                        ; implicit-def: $sgpr35
	s_delay_alu instid0(SALU_CYCLE_1)
	s_xor_b32 exec_lo, exec_lo, s34
	s_cbranch_execnz .LBB273_151
.LBB273_52:
	s_or_b32 exec_lo, exec_lo, s34
	v_mov_b32_e32 v10, s35
	s_and_saveexec_b32 s34, s23
.LBB273_53:
	v_lshrrev_b32_e32 v7, 8, v7
	s_delay_alu instid0(VALU_DEP_1)
	v_and_or_b32 v10, 0x80, v7, v8
.LBB273_54:
	s_or_b32 exec_lo, exec_lo, s34
.LBB273_55:
	s_delay_alu instid0(SALU_CYCLE_1)
	s_or_b32 exec_lo, exec_lo, s2
	global_store_b8 v[0:1], v10, off
.LBB273_56:
	s_mov_b32 s2, -1
.LBB273_57:
	s_mov_b32 s23, 0
.LBB273_58:
	s_delay_alu instid0(SALU_CYCLE_1)
	s_and_b32 vcc_lo, exec_lo, s23
	s_cbranch_vccz .LBB273_99
; %bb.59:
	v_cmp_lt_i16_e32 vcc_lo, 22, v2
	s_mov_b32 s23, -1
	s_cbranch_vccz .LBB273_91
; %bb.60:
	v_cmp_gt_i16_e32 vcc_lo, 24, v2
	s_mov_b32 s2, -1
	s_cbranch_vccnz .LBB273_80
; %bb.61:
	v_cmp_lt_i16_e32 vcc_lo, 24, v2
	s_cbranch_vccz .LBB273_69
; %bb.62:
	v_dual_mov_b32 v10, 0x80 :: v_dual_lshlrev_b32 v9, 16, v6
	s_mov_b32 s2, exec_lo
	s_delay_alu instid0(VALU_DEP_1) | instskip(NEXT) | instid1(VALU_DEP_1)
	v_and_b32_e32 v8, 0x7fffffff, v9
	v_cmpx_gt_u32_e32 0x47800000, v8
	s_cbranch_execz .LBB273_68
; %bb.63:
	v_and_b32_e32 v7, 0xffff, v6
	v_cmp_lt_u32_e32 vcc_lo, 0x37ffffff, v8
	s_mov_b32 s23, 0
                                        ; implicit-def: $vgpr8
	s_and_saveexec_b32 s34, vcc_lo
	s_delay_alu instid0(SALU_CYCLE_1)
	s_xor_b32 s34, exec_lo, s34
	s_cbranch_execz .LBB273_341
; %bb.64:
	v_bfe_u32 v8, v7, 5, 1
	s_mov_b32 s23, exec_lo
	s_delay_alu instid0(VALU_DEP_1) | instskip(NEXT) | instid1(VALU_DEP_1)
	v_add3_u32 v8, v9, v8, 0x88fffff
                                        ; implicit-def: $vgpr9
	v_lshrrev_b32_e32 v8, 21, v8
	s_or_saveexec_b32 s34, s34
                                        ; implicit-def: $sgpr35
	s_delay_alu instid0(SALU_CYCLE_1)
	s_xor_b32 exec_lo, exec_lo, s34
	s_cbranch_execnz .LBB273_342
.LBB273_65:
	s_or_b32 exec_lo, exec_lo, s34
	v_mov_b32_e32 v10, s35
	s_and_saveexec_b32 s34, s23
.LBB273_66:
	v_lshrrev_b32_e32 v7, 8, v7
	s_delay_alu instid0(VALU_DEP_1)
	v_and_or_b32 v10, 0x80, v7, v8
.LBB273_67:
	s_or_b32 exec_lo, exec_lo, s34
.LBB273_68:
	s_delay_alu instid0(SALU_CYCLE_1)
	s_or_b32 exec_lo, exec_lo, s2
	s_mov_b32 s2, 0
	global_store_b8 v[0:1], v10, off
.LBB273_69:
	s_and_b32 vcc_lo, exec_lo, s2
	s_cbranch_vccz .LBB273_79
; %bb.70:
	v_lshlrev_b32_e32 v9, 16, v6
	v_and_b32_e32 v7, 0xffff, v6
	s_mov_b32 s2, exec_lo
                                        ; implicit-def: $vgpr8
	s_delay_alu instid0(VALU_DEP_2) | instskip(NEXT) | instid1(VALU_DEP_1)
	v_and_b32_e32 v10, 0x7fffffff, v9
	v_cmpx_gt_u32_e32 0x43f00000, v10
	s_xor_b32 s2, exec_lo, s2
	s_cbranch_execz .LBB273_76
; %bb.71:
	s_mov_b32 s23, exec_lo
                                        ; implicit-def: $vgpr8
	v_cmpx_lt_u32_e32 0x3c7fffff, v10
	s_xor_b32 s23, exec_lo, s23
; %bb.72:
	v_bfe_u32 v8, v7, 4, 1
	s_delay_alu instid0(VALU_DEP_1) | instskip(NEXT) | instid1(VALU_DEP_1)
	v_add3_u32 v8, v9, v8, 0x407ffff
	v_and_b32_e32 v9, 0xff00000, v8
	v_lshrrev_b32_e32 v8, 20, v8
	s_delay_alu instid0(VALU_DEP_2) | instskip(NEXT) | instid1(VALU_DEP_2)
	v_cmp_ne_u32_e32 vcc_lo, 0x7f00000, v9
                                        ; implicit-def: $vgpr9
	v_cndmask_b32_e32 v8, 0x7e, v8, vcc_lo
; %bb.73:
	s_and_not1_saveexec_b32 s23, s23
; %bb.74:
	v_add_f32_e64 v8, 0x46800000, |v9|
; %bb.75:
	s_or_b32 exec_lo, exec_lo, s23
                                        ; implicit-def: $vgpr10
.LBB273_76:
	s_and_not1_saveexec_b32 s2, s2
; %bb.77:
	v_mov_b32_e32 v8, 0x7f
	v_cmp_lt_u32_e32 vcc_lo, 0x7f800000, v10
	s_delay_alu instid0(VALU_DEP_2)
	v_cndmask_b32_e32 v8, 0x7e, v8, vcc_lo
; %bb.78:
	s_or_b32 exec_lo, exec_lo, s2
	v_lshrrev_b32_e32 v7, 8, v7
	s_delay_alu instid0(VALU_DEP_1)
	v_and_or_b32 v7, 0x80, v7, v8
	global_store_b8 v[0:1], v7, off
.LBB273_79:
	s_mov_b32 s2, 0
.LBB273_80:
	s_delay_alu instid0(SALU_CYCLE_1)
	s_and_not1_b32 vcc_lo, exec_lo, s2
	s_cbranch_vccnz .LBB273_90
; %bb.81:
	v_lshlrev_b32_e32 v9, 16, v6
	v_and_b32_e32 v7, 0xffff, v6
	s_mov_b32 s2, exec_lo
                                        ; implicit-def: $vgpr8
	s_delay_alu instid0(VALU_DEP_2) | instskip(NEXT) | instid1(VALU_DEP_1)
	v_and_b32_e32 v10, 0x7fffffff, v9
	v_cmpx_gt_u32_e32 0x47800000, v10
	s_xor_b32 s2, exec_lo, s2
	s_cbranch_execz .LBB273_87
; %bb.82:
	s_mov_b32 s23, exec_lo
                                        ; implicit-def: $vgpr8
	v_cmpx_lt_u32_e32 0x387fffff, v10
	s_xor_b32 s23, exec_lo, s23
; %bb.83:
	v_bfe_u32 v8, v7, 5, 1
	s_delay_alu instid0(VALU_DEP_1) | instskip(NEXT) | instid1(VALU_DEP_1)
	v_add3_u32 v8, v9, v8, 0x80fffff
                                        ; implicit-def: $vgpr9
	v_lshrrev_b32_e32 v8, 21, v8
; %bb.84:
	s_and_not1_saveexec_b32 s23, s23
; %bb.85:
	v_add_f32_e64 v8, 0x43000000, |v9|
; %bb.86:
	s_or_b32 exec_lo, exec_lo, s23
                                        ; implicit-def: $vgpr10
.LBB273_87:
	s_and_not1_saveexec_b32 s2, s2
; %bb.88:
	v_mov_b32_e32 v8, 0x7f
	v_cmp_lt_u32_e32 vcc_lo, 0x7f800000, v10
	s_delay_alu instid0(VALU_DEP_2)
	v_cndmask_b32_e32 v8, 0x7c, v8, vcc_lo
; %bb.89:
	s_or_b32 exec_lo, exec_lo, s2
	v_lshrrev_b32_e32 v7, 8, v7
	s_delay_alu instid0(VALU_DEP_1)
	v_and_or_b32 v7, 0x80, v7, v8
	global_store_b8 v[0:1], v7, off
.LBB273_90:
	s_mov_b32 s23, 0
	s_mov_b32 s2, -1
.LBB273_91:
	s_and_not1_b32 vcc_lo, exec_lo, s23
	s_cbranch_vccnz .LBB273_99
; %bb.92:
	v_cmp_lt_i16_e32 vcc_lo, 14, v2
	s_mov_b32 s23, -1
	s_cbranch_vccz .LBB273_96
; %bb.93:
	v_cmp_eq_u16_e32 vcc_lo, 15, v2
	s_mov_b32 s22, -1
	s_cbranch_vccz .LBB273_95
; %bb.94:
	s_mov_b32 s2, -1
	s_mov_b32 s22, 0
	global_store_b16 v[0:1], v6, off
.LBB273_95:
	s_mov_b32 s23, 0
.LBB273_96:
	s_delay_alu instid0(SALU_CYCLE_1)
	s_and_b32 vcc_lo, exec_lo, s23
	s_cbranch_vccz .LBB273_99
; %bb.97:
	v_cmp_eq_u16_e32 vcc_lo, 11, v2
	s_mov_b32 s22, -1
	s_cbranch_vccz .LBB273_99
; %bb.98:
	v_and_b32_e32 v7, 0x7fff, v6
	s_mov_b32 s22, 0
	s_mov_b32 s2, -1
	s_delay_alu instid0(VALU_DEP_1)
	v_cmp_ne_u16_e32 vcc_lo, 0, v7
	v_cndmask_b32_e64 v7, 0, 1, vcc_lo
	global_store_b8 v[0:1], v7, off
.LBB273_99:
.LBB273_100:
	s_and_not1_b32 vcc_lo, exec_lo, s2
	s_cbranch_vccz .LBB273_140
	s_branch .LBB273_261
.LBB273_101:
	s_and_b32 vcc_lo, exec_lo, s23
	s_cbranch_vccz .LBB273_100
; %bb.102:
	v_cmp_gt_i16_e32 vcc_lo, 5, v2
	s_mov_b32 s2, -1
	s_cbranch_vccnz .LBB273_123
; %bb.103:
	v_cmp_gt_i16_e32 vcc_lo, 8, v2
	s_cbranch_vccnz .LBB273_113
; %bb.104:
	v_cmp_gt_i16_e32 vcc_lo, 9, v2
	s_cbranch_vccnz .LBB273_110
; %bb.105:
	v_cmp_lt_i16_e32 vcc_lo, 9, v2
	s_cbranch_vccz .LBB273_107
; %bb.106:
	v_mov_b32_e32 v9, 0
	v_lshlrev_b32_e32 v7, 16, v6
	s_mov_b32 s2, 0
	s_delay_alu instid0(VALU_DEP_2) | instskip(NEXT) | instid1(VALU_DEP_2)
	v_mov_b32_e32 v10, v9
	v_cvt_f64_f32_e32 v[7:8], v7
	global_store_b128 v[0:1], v[7:10], off
.LBB273_107:
	s_and_not1_b32 vcc_lo, exec_lo, s2
	s_cbranch_vccnz .LBB273_109
; %bb.108:
	v_dual_mov_b32 v8, 0 :: v_dual_lshlrev_b32 v7, 16, v6
	global_store_b64 v[0:1], v[7:8], off
.LBB273_109:
	s_mov_b32 s2, 0
.LBB273_110:
	s_delay_alu instid0(SALU_CYCLE_1)
	s_and_not1_b32 vcc_lo, exec_lo, s2
	s_cbranch_vccnz .LBB273_112
; %bb.111:
	v_lshlrev_b32_e32 v7, 16, v6
	s_delay_alu instid0(VALU_DEP_1) | instskip(NEXT) | instid1(VALU_DEP_1)
	v_cvt_f16_f32_e32 v7, v7
	v_and_b32_e32 v7, 0xffff, v7
	global_store_b32 v[0:1], v7, off
.LBB273_112:
	s_mov_b32 s2, 0
.LBB273_113:
	s_delay_alu instid0(SALU_CYCLE_1)
	s_and_not1_b32 vcc_lo, exec_lo, s2
	s_cbranch_vccnz .LBB273_122
; %bb.114:
	v_cmp_gt_i16_e32 vcc_lo, 6, v2
	s_mov_b32 s2, -1
	s_cbranch_vccnz .LBB273_120
; %bb.115:
	v_cmp_lt_i16_e32 vcc_lo, 6, v2
	s_cbranch_vccz .LBB273_117
; %bb.116:
	v_lshlrev_b32_e32 v7, 16, v6
	s_mov_b32 s2, 0
	s_delay_alu instid0(VALU_DEP_1)
	v_cvt_f64_f32_e32 v[7:8], v7
	global_store_b64 v[0:1], v[7:8], off
.LBB273_117:
	s_and_not1_b32 vcc_lo, exec_lo, s2
	s_cbranch_vccnz .LBB273_119
; %bb.118:
	v_lshlrev_b32_e32 v7, 16, v6
	global_store_b32 v[0:1], v7, off
.LBB273_119:
	s_mov_b32 s2, 0
.LBB273_120:
	s_delay_alu instid0(SALU_CYCLE_1)
	s_and_not1_b32 vcc_lo, exec_lo, s2
	s_cbranch_vccnz .LBB273_122
; %bb.121:
	v_lshlrev_b32_e32 v7, 16, v6
	s_delay_alu instid0(VALU_DEP_1)
	v_cvt_f16_f32_e32 v7, v7
	global_store_b16 v[0:1], v7, off
.LBB273_122:
	s_mov_b32 s2, 0
.LBB273_123:
	s_delay_alu instid0(SALU_CYCLE_1)
	s_and_not1_b32 vcc_lo, exec_lo, s2
	s_cbranch_vccnz .LBB273_139
; %bb.124:
	v_cmp_gt_i16_e32 vcc_lo, 2, v2
	s_mov_b32 s2, -1
	s_cbranch_vccnz .LBB273_134
; %bb.125:
	v_cmp_gt_i16_e32 vcc_lo, 3, v2
	s_cbranch_vccnz .LBB273_131
; %bb.126:
	v_cmp_lt_i16_e32 vcc_lo, 3, v2
	s_cbranch_vccz .LBB273_128
; %bb.127:
	v_lshlrev_b32_e32 v7, 16, v6
	s_mov_b32 s2, 0
	s_delay_alu instid0(VALU_DEP_1) | instskip(NEXT) | instid1(VALU_DEP_1)
	v_trunc_f32_e32 v7, v7
	v_mul_f32_e64 v8, 0x2f800000, |v7|
	v_ashrrev_i32_e32 v10, 31, v7
	s_delay_alu instid0(VALU_DEP_2) | instskip(NEXT) | instid1(VALU_DEP_1)
	v_floor_f32_e32 v8, v8
	v_fma_f32 v9, 0xcf800000, v8, |v7|
	v_cvt_u32_f32_e32 v8, v8
	s_delay_alu instid0(VALU_DEP_2) | instskip(NEXT) | instid1(VALU_DEP_2)
	v_cvt_u32_f32_e32 v7, v9
	v_xor_b32_e32 v8, v8, v10
	s_delay_alu instid0(VALU_DEP_2) | instskip(NEXT) | instid1(VALU_DEP_1)
	v_xor_b32_e32 v7, v7, v10
	v_sub_co_u32 v7, vcc_lo, v7, v10
	s_delay_alu instid0(VALU_DEP_3)
	v_sub_co_ci_u32_e32 v8, vcc_lo, v8, v10, vcc_lo
	global_store_b64 v[0:1], v[7:8], off
.LBB273_128:
	s_and_not1_b32 vcc_lo, exec_lo, s2
	s_cbranch_vccnz .LBB273_130
; %bb.129:
	v_lshlrev_b32_e32 v7, 16, v6
	s_delay_alu instid0(VALU_DEP_1)
	v_cvt_i32_f32_e32 v7, v7
	global_store_b32 v[0:1], v7, off
.LBB273_130:
	s_mov_b32 s2, 0
.LBB273_131:
	s_delay_alu instid0(SALU_CYCLE_1)
	s_and_not1_b32 vcc_lo, exec_lo, s2
	s_cbranch_vccnz .LBB273_133
; %bb.132:
	v_lshlrev_b32_e32 v7, 16, v6
	s_delay_alu instid0(VALU_DEP_1)
	v_cvt_i32_f32_e32 v7, v7
	global_store_b16 v[0:1], v7, off
.LBB273_133:
	s_mov_b32 s2, 0
.LBB273_134:
	s_delay_alu instid0(SALU_CYCLE_1)
	s_and_not1_b32 vcc_lo, exec_lo, s2
	s_cbranch_vccnz .LBB273_139
; %bb.135:
	v_cmp_lt_i16_e32 vcc_lo, 0, v2
	v_lshlrev_b32_e32 v2, 16, v6
	s_mov_b32 s2, -1
	s_cbranch_vccz .LBB273_137
; %bb.136:
	s_delay_alu instid0(VALU_DEP_1)
	v_cvt_i32_f32_e32 v6, v2
	s_mov_b32 s2, 0
	global_store_b8 v[0:1], v6, off
.LBB273_137:
	s_and_not1_b32 vcc_lo, exec_lo, s2
	s_cbranch_vccnz .LBB273_139
; %bb.138:
	v_trunc_f32_e32 v2, v2
	s_delay_alu instid0(VALU_DEP_1) | instskip(NEXT) | instid1(VALU_DEP_1)
	v_mul_f32_e64 v6, 0x2f800000, |v2|
	v_floor_f32_e32 v6, v6
	s_delay_alu instid0(VALU_DEP_1) | instskip(SKIP_1) | instid1(VALU_DEP_2)
	v_fma_f32 v6, 0xcf800000, v6, |v2|
	v_ashrrev_i32_e32 v2, 31, v2
	v_cvt_u32_f32_e32 v6, v6
	s_delay_alu instid0(VALU_DEP_1) | instskip(NEXT) | instid1(VALU_DEP_1)
	v_xor_b32_e32 v6, v6, v2
	v_sub_nc_u32_e32 v2, v6, v2
	global_store_b8 v[0:1], v2, off
.LBB273_139:
.LBB273_140:
	v_add_nc_u32_e32 v5, 0x80, v5
	s_mov_b32 s2, -1
	s_branch .LBB273_262
.LBB273_141:
	s_mov_b32 s2, 0
                                        ; implicit-def: $vgpr6
	s_cbranch_execnz .LBB273_178
	s_branch .LBB273_212
.LBB273_142:
	s_mov_b32 s22, -1
	s_mov_b32 s2, 0
                                        ; implicit-def: $vgpr6
	s_branch .LBB273_159
.LBB273_143:
	s_mov_b32 s22, -1
	s_mov_b32 s2, 0
                                        ; implicit-def: $vgpr6
	s_branch .LBB273_154
.LBB273_144:
	s_mov_b32 s22, -1
	s_branch .LBB273_146
.LBB273_145:
	s_mov_b32 s3, -1
.LBB273_146:
	s_mov_b32 s2, 0
                                        ; implicit-def: $vgpr6
.LBB273_147:
	s_and_b32 vcc_lo, exec_lo, s22
	s_cbranch_vccz .LBB273_153
; %bb.148:
	v_cmp_eq_u16_e32 vcc_lo, 44, v4
	s_cbranch_vccz .LBB273_152
; %bb.149:
	global_load_u8 v6, v[1:2], off
	s_mov_b32 s3, 0
	s_mov_b32 s2, -1
	s_waitcnt vmcnt(0)
	v_lshlrev_b32_e32 v7, 23, v6
	v_cmp_ne_u32_e32 vcc_lo, 0xff, v6
	s_delay_alu instid0(VALU_DEP_2) | instskip(SKIP_1) | instid1(VALU_DEP_2)
	v_cndmask_b32_e32 v7, 0x7f800001, v7, vcc_lo
	v_cmp_ne_u32_e32 vcc_lo, 0, v6
	v_cndmask_b32_e32 v6, 0x400000, v7, vcc_lo
	s_delay_alu instid0(VALU_DEP_1) | instskip(SKIP_1) | instid1(VALU_DEP_2)
	v_add_nc_u32_e32 v7, 0x7fff, v6
	v_cmp_o_f32_e32 vcc_lo, v6, v6
	v_lshrrev_b32_e32 v7, 16, v7
	s_delay_alu instid0(VALU_DEP_1)
	v_cndmask_b32_e32 v6, 0x7fc0, v7, vcc_lo
	s_branch .LBB273_153
.LBB273_150:
	s_or_saveexec_b32 s34, s34
                                        ; implicit-def: $sgpr35
	s_delay_alu instid0(SALU_CYCLE_1)
	s_xor_b32 exec_lo, exec_lo, s34
	s_cbranch_execz .LBB273_52
.LBB273_151:
	v_add_f32_e64 v8, 0x46000000, |v9|
	s_and_not1_b32 s23, s23, exec_lo
	s_mov_b32 s35, 0
	s_delay_alu instid0(VALU_DEP_1) | instskip(NEXT) | instid1(VALU_DEP_1)
	v_and_b32_e32 v8, 0xff, v8
	v_cmp_ne_u32_e32 vcc_lo, 0, v8
	s_and_b32 s38, vcc_lo, exec_lo
	s_delay_alu instid0(SALU_CYCLE_1)
	s_or_b32 s23, s23, s38
	s_or_b32 exec_lo, exec_lo, s34
	v_mov_b32_e32 v10, s35
	s_and_saveexec_b32 s34, s23
	s_cbranch_execnz .LBB273_53
	s_branch .LBB273_54
.LBB273_152:
	s_mov_b32 s3, -1
                                        ; implicit-def: $vgpr6
.LBB273_153:
	s_mov_b32 s22, 0
.LBB273_154:
	s_delay_alu instid0(SALU_CYCLE_1)
	s_and_b32 vcc_lo, exec_lo, s22
	s_cbranch_vccz .LBB273_158
; %bb.155:
	v_cmp_eq_u16_e32 vcc_lo, 29, v4
	s_cbranch_vccz .LBB273_157
; %bb.156:
	global_load_b64 v[6:7], v[1:2], off
	s_mov_b32 s2, -1
	s_mov_b32 s3, 0
	s_mov_b32 s22, 0
	s_waitcnt vmcnt(0)
	v_clz_i32_u32_e32 v8, v7
	s_delay_alu instid0(VALU_DEP_1) | instskip(NEXT) | instid1(VALU_DEP_1)
	v_min_u32_e32 v8, 32, v8
	v_lshlrev_b64 v[6:7], v8, v[6:7]
	s_delay_alu instid0(VALU_DEP_1) | instskip(NEXT) | instid1(VALU_DEP_1)
	v_min_u32_e32 v6, 1, v6
	v_or_b32_e32 v6, v7, v6
	v_sub_nc_u32_e32 v7, 32, v8
	s_delay_alu instid0(VALU_DEP_2) | instskip(NEXT) | instid1(VALU_DEP_1)
	v_cvt_f32_u32_e32 v6, v6
	v_ldexp_f32 v6, v6, v7
	s_delay_alu instid0(VALU_DEP_1) | instskip(NEXT) | instid1(VALU_DEP_1)
	v_bfe_u32 v7, v6, 16, 1
	v_add3_u32 v6, v6, v7, 0x7fff
	s_delay_alu instid0(VALU_DEP_1)
	v_lshrrev_b32_e32 v6, 16, v6
	s_branch .LBB273_159
.LBB273_157:
	s_mov_b32 s3, -1
                                        ; implicit-def: $vgpr6
.LBB273_158:
	s_mov_b32 s22, 0
.LBB273_159:
	s_delay_alu instid0(SALU_CYCLE_1)
	s_and_b32 vcc_lo, exec_lo, s22
	s_cbranch_vccz .LBB273_177
; %bb.160:
	v_cmp_gt_i16_e32 vcc_lo, 27, v4
	s_cbranch_vccnz .LBB273_163
; %bb.161:
	v_cmp_lt_i16_e32 vcc_lo, 27, v4
	s_cbranch_vccz .LBB273_164
; %bb.162:
	global_load_b32 v6, v[1:2], off
	s_mov_b32 s2, 0
	s_waitcnt vmcnt(0)
	v_cvt_f32_u32_e32 v6, v6
	s_delay_alu instid0(VALU_DEP_1) | instskip(NEXT) | instid1(VALU_DEP_1)
	v_bfe_u32 v7, v6, 16, 1
	v_add3_u32 v6, v6, v7, 0x7fff
	s_delay_alu instid0(VALU_DEP_1)
	v_lshrrev_b32_e32 v6, 16, v6
	s_branch .LBB273_165
.LBB273_163:
	s_mov_b32 s2, -1
                                        ; implicit-def: $vgpr6
	s_branch .LBB273_168
.LBB273_164:
	s_mov_b32 s2, -1
                                        ; implicit-def: $vgpr6
.LBB273_165:
	s_delay_alu instid0(SALU_CYCLE_1)
	s_and_not1_b32 vcc_lo, exec_lo, s2
	s_cbranch_vccnz .LBB273_167
; %bb.166:
	global_load_u16 v6, v[1:2], off
	s_waitcnt vmcnt(0)
	v_cvt_f32_u32_e32 v6, v6
	s_delay_alu instid0(VALU_DEP_1) | instskip(NEXT) | instid1(VALU_DEP_1)
	v_bfe_u32 v7, v6, 16, 1
	v_add3_u32 v6, v6, v7, 0x7fff
	s_delay_alu instid0(VALU_DEP_1)
	v_lshrrev_b32_e32 v6, 16, v6
.LBB273_167:
	s_mov_b32 s2, 0
.LBB273_168:
	s_delay_alu instid0(SALU_CYCLE_1)
	s_and_not1_b32 vcc_lo, exec_lo, s2
	s_cbranch_vccnz .LBB273_176
; %bb.169:
	global_load_u8 v6, v[1:2], off
	s_mov_b32 s2, 0
	s_mov_b32 s23, exec_lo
                                        ; implicit-def: $sgpr22
	s_waitcnt vmcnt(0)
	v_cmpx_lt_i16_e32 0x7f, v6
	s_xor_b32 s23, exec_lo, s23
	s_cbranch_execz .LBB273_189
; %bb.170:
	s_mov_b32 s2, -1
	s_mov_b32 s34, exec_lo
                                        ; implicit-def: $sgpr22
	v_cmpx_eq_u16_e32 0x80, v6
; %bb.171:
	s_mov_b32 s22, 0x7f800001
	s_xor_b32 s2, exec_lo, -1
; %bb.172:
	s_or_b32 exec_lo, exec_lo, s34
	s_delay_alu instid0(SALU_CYCLE_1)
	s_and_b32 s2, s2, exec_lo
	s_or_saveexec_b32 s23, s23
	v_mov_b32_e32 v7, s22
	s_xor_b32 exec_lo, exec_lo, s23
	s_cbranch_execnz .LBB273_190
.LBB273_173:
	s_or_b32 exec_lo, exec_lo, s23
	s_and_saveexec_b32 s22, s2
	s_cbranch_execz .LBB273_175
.LBB273_174:
	v_and_b32_e32 v7, 0xffff, v6
	v_lshlrev_b32_e32 v6, 24, v6
	s_delay_alu instid0(VALU_DEP_2) | instskip(NEXT) | instid1(VALU_DEP_2)
	v_and_b32_e32 v8, 7, v7
	v_and_b32_e32 v6, 0x80000000, v6
	s_delay_alu instid0(VALU_DEP_2) | instskip(NEXT) | instid1(VALU_DEP_1)
	v_clz_i32_u32_e32 v9, v8
	v_min_u32_e32 v9, 32, v9
	s_delay_alu instid0(VALU_DEP_1) | instskip(SKIP_1) | instid1(VALU_DEP_2)
	v_subrev_nc_u32_e32 v10, 28, v9
	v_sub_nc_u32_e32 v9, 29, v9
	v_lshlrev_b32_e32 v10, v10, v7
	v_bfe_u32 v7, v7, 3, 4
	s_delay_alu instid0(VALU_DEP_2) | instskip(NEXT) | instid1(VALU_DEP_2)
	v_and_b32_e32 v10, 7, v10
	v_cmp_eq_u32_e32 vcc_lo, 0, v7
	s_delay_alu instid0(VALU_DEP_2) | instskip(NEXT) | instid1(VALU_DEP_1)
	v_dual_cndmask_b32 v7, v7, v9 :: v_dual_cndmask_b32 v8, v8, v10
	v_lshl_add_u32 v7, v7, 23, 0x3b800000
	s_delay_alu instid0(VALU_DEP_2) | instskip(NEXT) | instid1(VALU_DEP_1)
	v_lshlrev_b32_e32 v8, 20, v8
	v_or3_b32 v7, v6, v7, v8
.LBB273_175:
	s_or_b32 exec_lo, exec_lo, s22
	s_delay_alu instid0(VALU_DEP_1) | instskip(SKIP_1) | instid1(VALU_DEP_2)
	v_bfe_u32 v6, v7, 16, 1
	v_cmp_o_f32_e32 vcc_lo, v7, v7
	v_add3_u32 v6, v7, v6, 0x7fff
	s_delay_alu instid0(VALU_DEP_1) | instskip(NEXT) | instid1(VALU_DEP_1)
	v_lshrrev_b32_e32 v6, 16, v6
	v_cndmask_b32_e32 v6, 0x7fc0, v6, vcc_lo
.LBB273_176:
	s_mov_b32 s2, -1
.LBB273_177:
	s_branch .LBB273_212
.LBB273_178:
	v_cmp_lt_i16_e32 vcc_lo, 22, v4
	s_cbranch_vccz .LBB273_188
; %bb.179:
	v_cmp_gt_i16_e32 vcc_lo, 24, v4
	s_cbranch_vccnz .LBB273_191
; %bb.180:
	v_cmp_lt_i16_e32 vcc_lo, 24, v4
	s_cbranch_vccz .LBB273_192
; %bb.181:
	global_load_u8 v6, v[1:2], off
	s_mov_b32 s2, 0
	s_mov_b32 s23, exec_lo
                                        ; implicit-def: $sgpr22
	s_waitcnt vmcnt(0)
	v_cmpx_lt_i16_e32 0x7f, v6
	s_xor_b32 s23, exec_lo, s23
	s_cbranch_execz .LBB273_204
; %bb.182:
	s_mov_b32 s2, -1
	s_mov_b32 s34, exec_lo
                                        ; implicit-def: $sgpr22
	v_cmpx_eq_u16_e32 0x80, v6
; %bb.183:
	s_mov_b32 s22, 0x7f800001
	s_xor_b32 s2, exec_lo, -1
; %bb.184:
	s_or_b32 exec_lo, exec_lo, s34
	s_delay_alu instid0(SALU_CYCLE_1)
	s_and_b32 s2, s2, exec_lo
	s_or_saveexec_b32 s23, s23
	v_mov_b32_e32 v7, s22
	s_xor_b32 exec_lo, exec_lo, s23
	s_cbranch_execnz .LBB273_205
.LBB273_185:
	s_or_b32 exec_lo, exec_lo, s23
	s_and_saveexec_b32 s22, s2
	s_cbranch_execz .LBB273_187
.LBB273_186:
	v_and_b32_e32 v7, 0xffff, v6
	v_lshlrev_b32_e32 v6, 24, v6
	s_delay_alu instid0(VALU_DEP_2) | instskip(NEXT) | instid1(VALU_DEP_2)
	v_and_b32_e32 v8, 3, v7
	v_and_b32_e32 v6, 0x80000000, v6
	s_delay_alu instid0(VALU_DEP_2) | instskip(NEXT) | instid1(VALU_DEP_1)
	v_clz_i32_u32_e32 v9, v8
	v_min_u32_e32 v9, 32, v9
	s_delay_alu instid0(VALU_DEP_1) | instskip(SKIP_1) | instid1(VALU_DEP_2)
	v_subrev_nc_u32_e32 v10, 29, v9
	v_sub_nc_u32_e32 v9, 30, v9
	v_lshlrev_b32_e32 v10, v10, v7
	v_bfe_u32 v7, v7, 2, 5
	s_delay_alu instid0(VALU_DEP_2) | instskip(NEXT) | instid1(VALU_DEP_2)
	v_and_b32_e32 v10, 3, v10
	v_cmp_eq_u32_e32 vcc_lo, 0, v7
	s_delay_alu instid0(VALU_DEP_2) | instskip(NEXT) | instid1(VALU_DEP_1)
	v_dual_cndmask_b32 v7, v7, v9 :: v_dual_cndmask_b32 v8, v8, v10
	v_lshl_add_u32 v7, v7, 23, 0x37800000
	s_delay_alu instid0(VALU_DEP_2) | instskip(NEXT) | instid1(VALU_DEP_1)
	v_lshlrev_b32_e32 v8, 21, v8
	v_or3_b32 v7, v6, v7, v8
.LBB273_187:
	s_or_b32 exec_lo, exec_lo, s22
	s_delay_alu instid0(VALU_DEP_1) | instskip(SKIP_2) | instid1(VALU_DEP_2)
	v_bfe_u32 v6, v7, 16, 1
	v_cmp_o_f32_e32 vcc_lo, v7, v7
	s_mov_b32 s2, 0
	v_add3_u32 v6, v7, v6, 0x7fff
	s_delay_alu instid0(VALU_DEP_1) | instskip(NEXT) | instid1(VALU_DEP_1)
	v_lshrrev_b32_e32 v6, 16, v6
	v_cndmask_b32_e32 v6, 0x7fc0, v6, vcc_lo
	s_branch .LBB273_193
.LBB273_188:
	s_mov_b32 s22, -1
                                        ; implicit-def: $vgpr6
	s_branch .LBB273_199
.LBB273_189:
	s_or_saveexec_b32 s23, s23
	v_mov_b32_e32 v7, s22
	s_xor_b32 exec_lo, exec_lo, s23
	s_cbranch_execz .LBB273_173
.LBB273_190:
	v_cmp_ne_u16_e32 vcc_lo, 0, v6
	v_mov_b32_e32 v7, 0
	s_and_not1_b32 s2, s2, exec_lo
	s_and_b32 s22, vcc_lo, exec_lo
	s_delay_alu instid0(SALU_CYCLE_1)
	s_or_b32 s2, s2, s22
	s_or_b32 exec_lo, exec_lo, s23
	s_and_saveexec_b32 s22, s2
	s_cbranch_execnz .LBB273_174
	s_branch .LBB273_175
.LBB273_191:
	s_mov_b32 s2, -1
                                        ; implicit-def: $vgpr6
	s_branch .LBB273_196
.LBB273_192:
	s_mov_b32 s2, -1
                                        ; implicit-def: $vgpr6
.LBB273_193:
	s_delay_alu instid0(SALU_CYCLE_1)
	s_and_b32 vcc_lo, exec_lo, s2
	s_cbranch_vccz .LBB273_195
; %bb.194:
	global_load_u8 v6, v[1:2], off
	s_waitcnt vmcnt(0)
	v_lshlrev_b32_e32 v6, 24, v6
	s_delay_alu instid0(VALU_DEP_1) | instskip(NEXT) | instid1(VALU_DEP_1)
	v_and_b32_e32 v7, 0x7f000000, v6
	v_clz_i32_u32_e32 v8, v7
	v_add_nc_u32_e32 v10, 0x1000000, v7
	v_cmp_ne_u32_e32 vcc_lo, 0, v7
	s_delay_alu instid0(VALU_DEP_3) | instskip(NEXT) | instid1(VALU_DEP_1)
	v_min_u32_e32 v8, 32, v8
	v_sub_nc_u32_e64 v8, v8, 4 clamp
	s_delay_alu instid0(VALU_DEP_1) | instskip(SKIP_1) | instid1(VALU_DEP_2)
	v_lshlrev_b32_e32 v9, v8, v7
	v_lshlrev_b32_e32 v8, 23, v8
	v_lshrrev_b32_e32 v9, 4, v9
	s_delay_alu instid0(VALU_DEP_1) | instskip(SKIP_1) | instid1(VALU_DEP_2)
	v_sub_nc_u32_e32 v8, v9, v8
	v_ashrrev_i32_e32 v9, 8, v10
	v_add_nc_u32_e32 v8, 0x3c000000, v8
	s_delay_alu instid0(VALU_DEP_1) | instskip(NEXT) | instid1(VALU_DEP_1)
	v_and_or_b32 v8, 0x7f800000, v9, v8
	v_cndmask_b32_e32 v7, 0, v8, vcc_lo
	s_delay_alu instid0(VALU_DEP_1) | instskip(SKIP_1) | instid1(VALU_DEP_2)
	v_and_or_b32 v6, 0x80000000, v6, v7
	v_bfe_u32 v7, v7, 16, 1
	v_cmp_o_f32_e32 vcc_lo, v6, v6
	s_delay_alu instid0(VALU_DEP_2) | instskip(NEXT) | instid1(VALU_DEP_1)
	v_add3_u32 v7, v6, v7, 0x7fff
	v_lshrrev_b32_e32 v7, 16, v7
	s_delay_alu instid0(VALU_DEP_1)
	v_cndmask_b32_e32 v6, 0x7fc0, v7, vcc_lo
.LBB273_195:
	s_mov_b32 s2, 0
.LBB273_196:
	s_delay_alu instid0(SALU_CYCLE_1)
	s_and_not1_b32 vcc_lo, exec_lo, s2
	s_cbranch_vccnz .LBB273_198
; %bb.197:
	global_load_u8 v6, v[1:2], off
	s_waitcnt vmcnt(0)
	v_lshlrev_b32_e32 v7, 25, v6
	v_lshlrev_b16 v6, 8, v6
	s_delay_alu instid0(VALU_DEP_2) | instskip(NEXT) | instid1(VALU_DEP_2)
	v_lshrrev_b32_e32 v8, 4, v7
	v_and_or_b32 v9, 0x7f00, v6, 0.5
	v_bfe_i32 v6, v6, 0, 16
	s_delay_alu instid0(VALU_DEP_3) | instskip(NEXT) | instid1(VALU_DEP_1)
	v_or_b32_e32 v8, 0x70000000, v8
	v_dual_add_f32 v9, -0.5, v9 :: v_dual_mul_f32 v8, 0x7800000, v8
	v_cmp_gt_u32_e32 vcc_lo, 0x8000000, v7
	s_delay_alu instid0(VALU_DEP_2) | instskip(NEXT) | instid1(VALU_DEP_1)
	v_cndmask_b32_e32 v7, v8, v9, vcc_lo
	v_and_or_b32 v6, 0x80000000, v6, v7
	v_bfe_u32 v7, v7, 16, 1
	s_delay_alu instid0(VALU_DEP_2) | instskip(NEXT) | instid1(VALU_DEP_2)
	v_cmp_o_f32_e32 vcc_lo, v6, v6
	v_add3_u32 v7, v6, v7, 0x7fff
	s_delay_alu instid0(VALU_DEP_1) | instskip(NEXT) | instid1(VALU_DEP_1)
	v_lshrrev_b32_e32 v7, 16, v7
	v_cndmask_b32_e32 v6, 0x7fc0, v7, vcc_lo
.LBB273_198:
	s_mov_b32 s22, 0
	s_mov_b32 s2, -1
.LBB273_199:
	s_and_not1_b32 vcc_lo, exec_lo, s22
	s_cbranch_vccnz .LBB273_212
; %bb.200:
	v_cmp_lt_i16_e32 vcc_lo, 14, v4
	s_cbranch_vccz .LBB273_203
; %bb.201:
	v_cmp_eq_u16_e32 vcc_lo, 15, v4
	s_cbranch_vccz .LBB273_206
; %bb.202:
	global_load_u16 v6, v[1:2], off
	s_mov_b32 s2, -1
	s_mov_b32 s3, 0
	s_branch .LBB273_207
.LBB273_203:
	s_mov_b32 s22, -1
                                        ; implicit-def: $vgpr6
	s_branch .LBB273_208
.LBB273_204:
	s_or_saveexec_b32 s23, s23
	v_mov_b32_e32 v7, s22
	s_xor_b32 exec_lo, exec_lo, s23
	s_cbranch_execz .LBB273_185
.LBB273_205:
	v_cmp_ne_u16_e32 vcc_lo, 0, v6
	v_mov_b32_e32 v7, 0
	s_and_not1_b32 s2, s2, exec_lo
	s_and_b32 s22, vcc_lo, exec_lo
	s_delay_alu instid0(SALU_CYCLE_1)
	s_or_b32 s2, s2, s22
	s_or_b32 exec_lo, exec_lo, s23
	s_and_saveexec_b32 s22, s2
	s_cbranch_execnz .LBB273_186
	s_branch .LBB273_187
.LBB273_206:
	s_mov_b32 s3, -1
                                        ; implicit-def: $vgpr6
.LBB273_207:
	s_mov_b32 s22, 0
.LBB273_208:
	s_delay_alu instid0(SALU_CYCLE_1)
	s_and_b32 vcc_lo, exec_lo, s22
	s_cbranch_vccz .LBB273_212
; %bb.209:
	v_cmp_eq_u16_e32 vcc_lo, 11, v4
	s_cbranch_vccz .LBB273_211
; %bb.210:
	global_load_u8 v6, v[1:2], off
	s_mov_b32 s3, 0
	s_mov_b32 s2, -1
	s_waitcnt vmcnt(0)
	v_cmp_ne_u16_e32 vcc_lo, 0, v6
	v_cndmask_b32_e64 v6, 0, 1.0, vcc_lo
	s_delay_alu instid0(VALU_DEP_1)
	v_lshrrev_b32_e32 v6, 16, v6
	s_branch .LBB273_212
.LBB273_211:
	s_mov_b32 s3, -1
                                        ; implicit-def: $vgpr6
.LBB273_212:
	s_branch .LBB273_23
.LBB273_213:
	v_cmp_gt_i16_e32 vcc_lo, 5, v4
	s_cbranch_vccnz .LBB273_218
; %bb.214:
	v_cmp_gt_i16_e32 vcc_lo, 8, v4
	s_cbranch_vccnz .LBB273_219
; %bb.215:
	;; [unrolled: 3-line block ×3, first 2 shown]
	v_cmp_lt_i16_e32 vcc_lo, 9, v4
	s_cbranch_vccz .LBB273_221
; %bb.217:
	global_load_b64 v[6:7], v[1:2], off
	s_mov_b32 s2, 0
	s_waitcnt vmcnt(0)
	v_cvt_f32_f64_e32 v6, v[6:7]
	s_delay_alu instid0(VALU_DEP_1) | instskip(SKIP_1) | instid1(VALU_DEP_2)
	v_bfe_u32 v7, v6, 16, 1
	v_cmp_o_f32_e32 vcc_lo, v6, v6
	v_add3_u32 v7, v6, v7, 0x7fff
	s_delay_alu instid0(VALU_DEP_1) | instskip(NEXT) | instid1(VALU_DEP_1)
	v_lshrrev_b32_e32 v7, 16, v7
	v_cndmask_b32_e32 v6, 0x7fc0, v7, vcc_lo
	s_branch .LBB273_222
.LBB273_218:
                                        ; implicit-def: $vgpr6
	s_branch .LBB273_240
.LBB273_219:
	s_mov_b32 s2, -1
                                        ; implicit-def: $vgpr6
	s_branch .LBB273_228
.LBB273_220:
	s_mov_b32 s2, -1
                                        ; implicit-def: $vgpr6
	s_branch .LBB273_225
.LBB273_221:
	s_mov_b32 s2, -1
                                        ; implicit-def: $vgpr6
.LBB273_222:
	s_delay_alu instid0(SALU_CYCLE_1)
	s_and_not1_b32 vcc_lo, exec_lo, s2
	s_cbranch_vccnz .LBB273_224
; %bb.223:
	global_load_b32 v6, v[1:2], off
	s_waitcnt vmcnt(0)
	v_bfe_u32 v7, v6, 16, 1
	v_cmp_o_f32_e32 vcc_lo, v6, v6
	s_delay_alu instid0(VALU_DEP_2) | instskip(NEXT) | instid1(VALU_DEP_1)
	v_add3_u32 v7, v6, v7, 0x7fff
	v_lshrrev_b32_e32 v7, 16, v7
	s_delay_alu instid0(VALU_DEP_1)
	v_cndmask_b32_e32 v6, 0x7fc0, v7, vcc_lo
.LBB273_224:
	s_mov_b32 s2, 0
.LBB273_225:
	s_delay_alu instid0(SALU_CYCLE_1)
	s_and_not1_b32 vcc_lo, exec_lo, s2
	s_cbranch_vccnz .LBB273_227
; %bb.226:
	global_load_b32 v6, v[1:2], off
	s_waitcnt vmcnt(0)
	v_cvt_f32_f16_e32 v7, v6
	v_cmp_o_f16_e32 vcc_lo, v6, v6
	s_delay_alu instid0(VALU_DEP_2) | instskip(NEXT) | instid1(VALU_DEP_1)
	v_bfe_u32 v8, v7, 16, 1
	v_add3_u32 v7, v7, v8, 0x7fff
	s_delay_alu instid0(VALU_DEP_1) | instskip(NEXT) | instid1(VALU_DEP_1)
	v_lshrrev_b32_e32 v7, 16, v7
	v_cndmask_b32_e32 v6, 0x7fc0, v7, vcc_lo
.LBB273_227:
	s_mov_b32 s2, 0
.LBB273_228:
	s_delay_alu instid0(SALU_CYCLE_1)
	s_and_not1_b32 vcc_lo, exec_lo, s2
	s_cbranch_vccnz .LBB273_239
; %bb.229:
	v_cmp_gt_i16_e32 vcc_lo, 6, v4
	s_cbranch_vccnz .LBB273_232
; %bb.230:
	v_cmp_lt_i16_e32 vcc_lo, 6, v4
	s_cbranch_vccz .LBB273_233
; %bb.231:
	global_load_b64 v[6:7], v[1:2], off
	s_mov_b32 s2, 0
	s_waitcnt vmcnt(0)
	v_cvt_f32_f64_e32 v6, v[6:7]
	s_delay_alu instid0(VALU_DEP_1) | instskip(SKIP_1) | instid1(VALU_DEP_2)
	v_bfe_u32 v7, v6, 16, 1
	v_cmp_o_f32_e32 vcc_lo, v6, v6
	v_add3_u32 v7, v6, v7, 0x7fff
	s_delay_alu instid0(VALU_DEP_1) | instskip(NEXT) | instid1(VALU_DEP_1)
	v_lshrrev_b32_e32 v7, 16, v7
	v_cndmask_b32_e32 v6, 0x7fc0, v7, vcc_lo
	s_branch .LBB273_234
.LBB273_232:
	s_mov_b32 s2, -1
                                        ; implicit-def: $vgpr6
	s_branch .LBB273_237
.LBB273_233:
	s_mov_b32 s2, -1
                                        ; implicit-def: $vgpr6
.LBB273_234:
	s_delay_alu instid0(SALU_CYCLE_1)
	s_and_not1_b32 vcc_lo, exec_lo, s2
	s_cbranch_vccnz .LBB273_236
; %bb.235:
	global_load_b32 v6, v[1:2], off
	s_waitcnt vmcnt(0)
	v_bfe_u32 v7, v6, 16, 1
	v_cmp_o_f32_e32 vcc_lo, v6, v6
	s_delay_alu instid0(VALU_DEP_2) | instskip(NEXT) | instid1(VALU_DEP_1)
	v_add3_u32 v7, v6, v7, 0x7fff
	v_lshrrev_b32_e32 v7, 16, v7
	s_delay_alu instid0(VALU_DEP_1)
	v_cndmask_b32_e32 v6, 0x7fc0, v7, vcc_lo
.LBB273_236:
	s_mov_b32 s2, 0
.LBB273_237:
	s_delay_alu instid0(SALU_CYCLE_1)
	s_and_not1_b32 vcc_lo, exec_lo, s2
	s_cbranch_vccnz .LBB273_239
; %bb.238:
	global_load_u16 v6, v[1:2], off
	s_waitcnt vmcnt(0)
	v_cvt_f32_f16_e32 v7, v6
	v_cmp_o_f16_e32 vcc_lo, v6, v6
	s_delay_alu instid0(VALU_DEP_2) | instskip(NEXT) | instid1(VALU_DEP_1)
	v_bfe_u32 v8, v7, 16, 1
	v_add3_u32 v7, v7, v8, 0x7fff
	s_delay_alu instid0(VALU_DEP_1) | instskip(NEXT) | instid1(VALU_DEP_1)
	v_lshrrev_b32_e32 v7, 16, v7
	v_cndmask_b32_e32 v6, 0x7fc0, v7, vcc_lo
.LBB273_239:
	s_cbranch_execnz .LBB273_259
.LBB273_240:
	v_cmp_gt_i16_e32 vcc_lo, 2, v4
	s_cbranch_vccnz .LBB273_244
; %bb.241:
	v_cmp_gt_i16_e32 vcc_lo, 3, v4
	s_cbranch_vccnz .LBB273_245
; %bb.242:
	v_cmp_lt_i16_e32 vcc_lo, 3, v4
	s_cbranch_vccz .LBB273_246
; %bb.243:
	global_load_b64 v[6:7], v[1:2], off
	s_mov_b32 s2, 0
	s_waitcnt vmcnt(0)
	v_xor_b32_e32 v8, v6, v7
	v_cls_i32_e32 v9, v7
	s_delay_alu instid0(VALU_DEP_2) | instskip(NEXT) | instid1(VALU_DEP_2)
	v_ashrrev_i32_e32 v8, 31, v8
	v_add_nc_u32_e32 v9, -1, v9
	s_delay_alu instid0(VALU_DEP_2) | instskip(NEXT) | instid1(VALU_DEP_1)
	v_add_nc_u32_e32 v8, 32, v8
	v_min_u32_e32 v8, v9, v8
	s_delay_alu instid0(VALU_DEP_1) | instskip(NEXT) | instid1(VALU_DEP_1)
	v_lshlrev_b64 v[6:7], v8, v[6:7]
	v_min_u32_e32 v6, 1, v6
	s_delay_alu instid0(VALU_DEP_1) | instskip(SKIP_1) | instid1(VALU_DEP_2)
	v_or_b32_e32 v6, v7, v6
	v_sub_nc_u32_e32 v7, 32, v8
	v_cvt_f32_i32_e32 v6, v6
	s_delay_alu instid0(VALU_DEP_1) | instskip(NEXT) | instid1(VALU_DEP_1)
	v_ldexp_f32 v6, v6, v7
	v_bfe_u32 v7, v6, 16, 1
	s_delay_alu instid0(VALU_DEP_1) | instskip(NEXT) | instid1(VALU_DEP_1)
	v_add3_u32 v6, v6, v7, 0x7fff
	v_lshrrev_b32_e32 v6, 16, v6
	s_branch .LBB273_247
.LBB273_244:
	s_mov_b32 s2, -1
                                        ; implicit-def: $vgpr6
	s_branch .LBB273_253
.LBB273_245:
	s_mov_b32 s2, -1
                                        ; implicit-def: $vgpr6
	s_branch .LBB273_250
.LBB273_246:
	s_mov_b32 s2, -1
                                        ; implicit-def: $vgpr6
.LBB273_247:
	s_delay_alu instid0(SALU_CYCLE_1)
	s_and_not1_b32 vcc_lo, exec_lo, s2
	s_cbranch_vccnz .LBB273_249
; %bb.248:
	global_load_b32 v6, v[1:2], off
	s_waitcnt vmcnt(0)
	v_cvt_f32_i32_e32 v6, v6
	s_delay_alu instid0(VALU_DEP_1) | instskip(NEXT) | instid1(VALU_DEP_1)
	v_bfe_u32 v7, v6, 16, 1
	v_add3_u32 v6, v6, v7, 0x7fff
	s_delay_alu instid0(VALU_DEP_1)
	v_lshrrev_b32_e32 v6, 16, v6
.LBB273_249:
	s_mov_b32 s2, 0
.LBB273_250:
	s_delay_alu instid0(SALU_CYCLE_1)
	s_and_not1_b32 vcc_lo, exec_lo, s2
	s_cbranch_vccnz .LBB273_252
; %bb.251:
	global_load_i16 v6, v[1:2], off
	s_waitcnt vmcnt(0)
	v_cvt_f32_i32_e32 v6, v6
	s_delay_alu instid0(VALU_DEP_1) | instskip(NEXT) | instid1(VALU_DEP_1)
	v_bfe_u32 v7, v6, 16, 1
	v_add3_u32 v6, v6, v7, 0x7fff
	s_delay_alu instid0(VALU_DEP_1)
	v_lshrrev_b32_e32 v6, 16, v6
.LBB273_252:
	s_mov_b32 s2, 0
.LBB273_253:
	s_delay_alu instid0(SALU_CYCLE_1)
	s_and_not1_b32 vcc_lo, exec_lo, s2
	s_cbranch_vccnz .LBB273_259
; %bb.254:
	v_cmp_lt_i16_e32 vcc_lo, 0, v4
	s_mov_b32 s2, 0
	s_cbranch_vccz .LBB273_256
; %bb.255:
	global_load_i8 v6, v[1:2], off
	s_waitcnt vmcnt(0)
	v_cvt_f32_i32_e32 v6, v6
	s_delay_alu instid0(VALU_DEP_1) | instskip(NEXT) | instid1(VALU_DEP_1)
	v_bfe_u32 v7, v6, 16, 1
	v_add3_u32 v6, v6, v7, 0x7fff
	s_delay_alu instid0(VALU_DEP_1)
	v_lshrrev_b32_e32 v6, 16, v6
	s_branch .LBB273_257
.LBB273_256:
	s_mov_b32 s2, -1
                                        ; implicit-def: $vgpr6
.LBB273_257:
	s_delay_alu instid0(SALU_CYCLE_1)
	s_and_not1_b32 vcc_lo, exec_lo, s2
	s_cbranch_vccnz .LBB273_259
; %bb.258:
	global_load_u8 v1, v[1:2], off
	s_waitcnt vmcnt(0)
	v_cvt_f32_ubyte0_e32 v1, v1
	s_delay_alu instid0(VALU_DEP_1) | instskip(NEXT) | instid1(VALU_DEP_1)
	v_bfe_u32 v2, v1, 16, 1
	v_add3_u32 v1, v1, v2, 0x7fff
	s_delay_alu instid0(VALU_DEP_1)
	v_lshrrev_b32_e32 v6, 16, v1
.LBB273_259:
	s_branch .LBB273_24
.LBB273_260:
	s_mov_b32 s22, 0
.LBB273_261:
	s_mov_b32 s2, 0
                                        ; implicit-def: $vgpr5
.LBB273_262:
	s_and_b32 s34, s22, exec_lo
	s_and_b32 s35, s3, exec_lo
	s_or_not1_b32 s3, s2, exec_lo
.LBB273_263:
	s_or_b32 exec_lo, exec_lo, s36
	s_mov_b32 s22, 0
	s_mov_b32 s2, 0
                                        ; implicit-def: $vgpr1_vgpr2
                                        ; implicit-def: $vgpr0
                                        ; implicit-def: $vgpr6
	s_and_saveexec_b32 s36, s3
	s_cbranch_execz .LBB273_906
; %bb.264:
	s_mov_b32 s2, -1
	s_mov_b32 s37, s35
	s_mov_b32 s38, s34
	s_mov_b32 s39, exec_lo
	v_cmpx_gt_i32_e64 s30, v5
	s_cbranch_execz .LBB273_533
; %bb.265:
	s_and_not1_b32 vcc_lo, exec_lo, s27
	s_cbranch_vccnz .LBB273_270
; %bb.266:
	v_dual_mov_b32 v0, 0 :: v_dual_mov_b32 v1, 0
	s_and_not1_b32 vcc_lo, exec_lo, s33
	s_mov_b32 s37, 0
	s_cbranch_vccnz .LBB273_275
; %bb.267:
	v_mov_b32_e32 v0, 0
	s_add_i32 s40, s31, 1
	s_cmp_eq_u32 s25, 2
	s_mov_b32 s38, 0
	s_cbranch_scc1 .LBB273_271
; %bb.268:
	v_dual_mov_b32 v1, 0 :: v_dual_mov_b32 v0, 0
	v_mov_b32_e32 v2, v5
	s_and_b32 s38, s40, 28
	s_mov_b32 s41, 0
	s_mov_b64 s[2:3], s[20:21]
	s_mov_b64 s[22:23], s[16:17]
.LBB273_269:                            ; =>This Inner Loop Header: Depth=1
	s_clause 0x1
	s_load_b256 s[44:51], s[22:23], 0x4
	s_load_b128 s[60:63], s[22:23], 0x24
	s_load_b256 s[52:59], s[2:3], 0x0
	s_add_u32 s22, s22, 48
	s_addc_u32 s23, s23, 0
	s_add_i32 s41, s41, 4
	s_add_u32 s2, s2, 32
	s_addc_u32 s3, s3, 0
	s_cmp_eq_u32 s38, s41
	s_waitcnt vmcnt(0) lgkmcnt(0)
	v_mul_hi_u32 v6, s45, v2
	s_delay_alu instid0(VALU_DEP_1) | instskip(NEXT) | instid1(VALU_DEP_1)
	v_add_nc_u32_e32 v6, v2, v6
	v_lshrrev_b32_e32 v6, s46, v6
	s_delay_alu instid0(VALU_DEP_1) | instskip(SKIP_1) | instid1(VALU_DEP_2)
	v_mul_hi_u32 v7, s48, v6
	v_mul_lo_u32 v9, v6, s44
	v_add_nc_u32_e32 v7, v6, v7
	s_delay_alu instid0(VALU_DEP_2) | instskip(NEXT) | instid1(VALU_DEP_2)
	v_sub_nc_u32_e32 v2, v2, v9
	v_lshrrev_b32_e32 v7, s49, v7
	s_delay_alu instid0(VALU_DEP_2) | instskip(SKIP_1) | instid1(VALU_DEP_3)
	v_mul_lo_u32 v9, v2, s52
	v_mul_lo_u32 v11, v2, s53
	v_mul_hi_u32 v8, s51, v7
	s_delay_alu instid0(VALU_DEP_1) | instskip(NEXT) | instid1(VALU_DEP_1)
	v_add_nc_u32_e32 v8, v7, v8
	v_lshrrev_b32_e32 v8, s60, v8
	s_delay_alu instid0(VALU_DEP_1) | instskip(SKIP_1) | instid1(VALU_DEP_2)
	v_mul_hi_u32 v10, s62, v8
	v_mul_lo_u32 v12, v8, s50
	v_add_nc_u32_e32 v2, v8, v10
	v_mul_lo_u32 v10, v7, s47
	s_delay_alu instid0(VALU_DEP_3) | instskip(NEXT) | instid1(VALU_DEP_3)
	v_sub_nc_u32_e32 v7, v7, v12
	v_lshrrev_b32_e32 v2, s63, v2
	s_delay_alu instid0(VALU_DEP_2) | instskip(SKIP_2) | instid1(VALU_DEP_4)
	v_mul_lo_u32 v12, v7, s56
	v_mul_lo_u32 v7, v7, s57
	v_sub_nc_u32_e32 v6, v6, v10
	v_mul_lo_u32 v13, v2, s61
	s_delay_alu instid0(VALU_DEP_2) | instskip(SKIP_1) | instid1(VALU_DEP_3)
	v_mul_lo_u32 v10, v6, s54
	v_mul_lo_u32 v6, v6, s55
	v_sub_nc_u32_e32 v8, v8, v13
	s_delay_alu instid0(VALU_DEP_3) | instskip(NEXT) | instid1(VALU_DEP_2)
	v_add3_u32 v0, v9, v0, v10
	v_mul_lo_u32 v13, v8, s58
	v_mul_lo_u32 v8, v8, s59
	v_add3_u32 v1, v11, v1, v6
	s_delay_alu instid0(VALU_DEP_3) | instskip(NEXT) | instid1(VALU_DEP_2)
	v_add3_u32 v0, v12, v0, v13
	v_add3_u32 v1, v7, v1, v8
	s_cbranch_scc0 .LBB273_269
	s_branch .LBB273_272
.LBB273_270:
	s_mov_b32 s37, -1
                                        ; implicit-def: $vgpr0
                                        ; implicit-def: $vgpr1
	s_branch .LBB273_275
.LBB273_271:
	v_dual_mov_b32 v2, v5 :: v_dual_mov_b32 v1, 0
.LBB273_272:
	s_and_b32 s40, s40, 3
	s_delay_alu instid0(SALU_CYCLE_1)
	s_cmp_eq_u32 s40, 0
	s_cbranch_scc1 .LBB273_275
; %bb.273:
	s_lshl_b32 s2, s38, 3
	s_mul_i32 s22, s38, 12
	s_add_u32 s2, s2, s16
	s_addc_u32 s3, s17, 0
	s_add_u32 s2, s2, 0xc4
	s_addc_u32 s3, s3, 0
	;; [unrolled: 2-line block ×3, first 2 shown]
	.p2align	6
.LBB273_274:                            ; =>This Inner Loop Header: Depth=1
	s_clause 0x1
	s_load_b64 s[42:43], s[22:23], 0x4
	s_load_b32 s38, s[22:23], 0xc
	s_load_b64 s[44:45], s[2:3], 0x0
	s_add_u32 s22, s22, 12
	s_addc_u32 s23, s23, 0
	s_add_u32 s2, s2, 8
	s_addc_u32 s3, s3, 0
	s_add_i32 s40, s40, -1
	s_delay_alu instid0(SALU_CYCLE_1) | instskip(SKIP_2) | instid1(VALU_DEP_1)
	s_cmp_lg_u32 s40, 0
	s_waitcnt vmcnt(0) lgkmcnt(0)
	v_mul_hi_u32 v6, s43, v2
	v_add_nc_u32_e32 v6, v2, v6
	s_delay_alu instid0(VALU_DEP_1) | instskip(NEXT) | instid1(VALU_DEP_1)
	v_lshrrev_b32_e32 v9, s38, v6
	v_mul_lo_u32 v6, v9, s42
	s_delay_alu instid0(VALU_DEP_1) | instskip(NEXT) | instid1(VALU_DEP_1)
	v_sub_nc_u32_e32 v2, v2, v6
	v_mad_u64_u32 v[6:7], null, v2, s44, v[0:1]
	v_mad_u64_u32 v[7:8], null, v2, s45, v[1:2]
	v_mov_b32_e32 v2, v9
	s_delay_alu instid0(VALU_DEP_2)
	v_dual_mov_b32 v0, v6 :: v_dual_mov_b32 v1, v7
	s_cbranch_scc1 .LBB273_274
.LBB273_275:
	s_and_not1_b32 vcc_lo, exec_lo, s37
	s_cbranch_vccnz .LBB273_278
; %bb.276:
	s_waitcnt lgkmcnt(0)
	v_mul_hi_u32 v0, s13, v5
	s_and_not1_b32 vcc_lo, exec_lo, s29
	s_delay_alu instid0(VALU_DEP_1) | instskip(NEXT) | instid1(VALU_DEP_1)
	v_add_nc_u32_e32 v0, v5, v0
	v_lshrrev_b32_e32 v2, s14, v0
	s_delay_alu instid0(VALU_DEP_1) | instskip(NEXT) | instid1(VALU_DEP_1)
	v_mul_lo_u32 v0, v2, s12
	v_sub_nc_u32_e32 v1, v5, v0
	s_delay_alu instid0(VALU_DEP_1)
	v_mul_lo_u32 v0, v1, s8
	v_mul_lo_u32 v1, v1, s9
	s_cbranch_vccnz .LBB273_278
; %bb.277:
	s_waitcnt vmcnt(0)
	v_mul_hi_u32 v6, s18, v2
	s_delay_alu instid0(VALU_DEP_1) | instskip(NEXT) | instid1(VALU_DEP_1)
	v_add_nc_u32_e32 v6, v2, v6
	v_lshrrev_b32_e32 v6, s19, v6
	s_delay_alu instid0(VALU_DEP_1) | instskip(NEXT) | instid1(VALU_DEP_1)
	v_mul_lo_u32 v6, v6, s15
	v_sub_nc_u32_e32 v2, v2, v6
	s_delay_alu instid0(VALU_DEP_1) | instskip(SKIP_1) | instid1(VALU_DEP_1)
	v_mad_u64_u32 v[6:7], null, v2, s10, v[0:1]
	v_mad_u64_u32 v[7:8], null, v2, s11, v[1:2]
	v_dual_mov_b32 v0, v6 :: v_dual_mov_b32 v1, v7
.LBB273_278:
	v_cmp_gt_i16_e32 vcc_lo, 11, v4
	s_waitcnt lgkmcnt(0)
	s_delay_alu instid0(VALU_DEP_2) | instskip(NEXT) | instid1(VALU_DEP_1)
	v_add_co_u32 v1, s2, s6, v1
	v_add_co_ci_u32_e64 v2, null, s7, 0, s2
	s_mov_b32 s2, 0
	s_cbranch_vccnz .LBB273_285
; %bb.279:
	v_cmp_lt_i16_e32 vcc_lo, 25, v4
	s_cbranch_vccz .LBB273_334
; %bb.280:
	v_cmp_lt_i16_e32 vcc_lo, 28, v4
	s_cbranch_vccz .LBB273_335
	;; [unrolled: 3-line block ×4, first 2 shown]
; %bb.283:
	v_cmp_eq_u16_e32 vcc_lo, 46, v4
	s_mov_b32 s22, 0
	s_cbranch_vccz .LBB273_343
; %bb.284:
	global_load_b32 v6, v[1:2], off
	s_mov_b32 s2, -1
	s_mov_b32 s3, 0
	s_branch .LBB273_345
.LBB273_285:
	s_mov_b32 s3, s35
                                        ; implicit-def: $vgpr6
	s_cbranch_execnz .LBB273_482
.LBB273_286:
	s_and_not1_b32 vcc_lo, exec_lo, s2
	s_cbranch_vccnz .LBB273_530
.LBB273_287:
	s_waitcnt vmcnt(0)
	s_delay_alu instid0(VALU_DEP_1) | instskip(SKIP_2) | instid1(VALU_DEP_1)
	v_lshlrev_b32_e32 v1, 16, v6
	s_mov_b32 s23, -1
	s_mov_b32 s22, 0
	v_mul_f32_e32 v2, 0x4f800000, v1
	v_cmp_gt_f32_e32 vcc_lo, 0xf800000, v1
	s_delay_alu instid0(VALU_DEP_2) | instskip(NEXT) | instid1(VALU_DEP_1)
	v_cndmask_b32_e32 v1, v1, v2, vcc_lo
	v_sqrt_f32_e32 v2, v1
	s_waitcnt_depctr 0xfff
	v_add_nc_u32_e32 v6, -1, v2
	v_add_nc_u32_e32 v7, 1, v2
	s_delay_alu instid0(VALU_DEP_2) | instskip(NEXT) | instid1(VALU_DEP_2)
	v_fma_f32 v8, -v6, v2, v1
	v_fma_f32 v9, -v7, v2, v1
	s_delay_alu instid0(VALU_DEP_2) | instskip(NEXT) | instid1(VALU_DEP_1)
	v_cmp_ge_f32_e64 s2, 0, v8
	v_cndmask_b32_e64 v2, v2, v6, s2
	s_delay_alu instid0(VALU_DEP_3) | instskip(NEXT) | instid1(VALU_DEP_1)
	v_cmp_lt_f32_e64 s2, 0, v9
	v_cndmask_b32_e64 v2, v2, v7, s2
	v_add_co_u32 v0, s2, s4, v0
	s_delay_alu instid0(VALU_DEP_2) | instskip(NEXT) | instid1(VALU_DEP_1)
	v_mul_f32_e32 v6, 0x37800000, v2
	v_cndmask_b32_e32 v2, v2, v6, vcc_lo
	v_and_b32_e32 v6, 0xff, v3
	v_cmp_class_f32_e64 vcc_lo, v1, 0x260
	s_delay_alu instid0(VALU_DEP_3) | instskip(NEXT) | instid1(VALU_DEP_3)
	v_cndmask_b32_e32 v2, v2, v1, vcc_lo
	v_cmp_gt_i16_e32 vcc_lo, 11, v6
	s_delay_alu instid0(VALU_DEP_2) | instskip(NEXT) | instid1(VALU_DEP_4)
	v_bfe_u32 v1, v2, 16, 1
	s_and_b32 vcc_lo, exec_lo, vcc_lo
	s_delay_alu instid0(VALU_DEP_1) | instskip(NEXT) | instid1(VALU_DEP_1)
	v_add3_u32 v1, v2, v1, 0x7fff
	v_lshrrev_b32_e32 v7, 16, v1
	v_add_co_ci_u32_e64 v1, null, s5, 0, s2
	v_cmp_o_f32_e64 s2, v2, v2
	s_delay_alu instid0(VALU_DEP_1)
	v_cndmask_b32_e64 v2, 0x7fc0, v7, s2
	s_mov_b32 s2, s34
	s_cbranch_vccnz .LBB273_294
; %bb.288:
	v_cmp_lt_i16_e32 vcc_lo, 25, v6
	s_cbranch_vccz .LBB273_336
; %bb.289:
	v_cmp_lt_i16_e32 vcc_lo, 28, v6
	s_cbranch_vccz .LBB273_338
	;; [unrolled: 3-line block ×4, first 2 shown]
; %bb.292:
	v_cmp_eq_u16_e32 vcc_lo, 46, v6
	s_mov_b32 s23, 0
	s_mov_b32 s2, -1
	s_cbranch_vccz .LBB273_349
; %bb.293:
	v_and_b32_e32 v7, 0xffff, v2
	s_mov_b32 s22, -1
	s_mov_b32 s2, 0
	global_store_b32 v[0:1], v7, off
	s_branch .LBB273_349
.LBB273_294:
	s_and_b32 vcc_lo, exec_lo, s23
	s_cbranch_vccz .LBB273_418
; %bb.295:
	v_cmp_gt_i16_e32 vcc_lo, 5, v6
	s_mov_b32 s22, -1
	s_cbranch_vccnz .LBB273_316
; %bb.296:
	v_cmp_gt_i16_e32 vcc_lo, 8, v6
	s_cbranch_vccnz .LBB273_306
; %bb.297:
	v_cmp_gt_i16_e32 vcc_lo, 9, v6
	s_cbranch_vccnz .LBB273_303
; %bb.298:
	v_cmp_lt_i16_e32 vcc_lo, 9, v6
	s_cbranch_vccz .LBB273_300
; %bb.299:
	v_mov_b32_e32 v9, 0
	v_lshlrev_b32_e32 v7, 16, v2
	s_mov_b32 s22, 0
	s_delay_alu instid0(VALU_DEP_2) | instskip(NEXT) | instid1(VALU_DEP_2)
	v_mov_b32_e32 v10, v9
	v_cvt_f64_f32_e32 v[7:8], v7
	global_store_b128 v[0:1], v[7:10], off
.LBB273_300:
	s_and_not1_b32 vcc_lo, exec_lo, s22
	s_cbranch_vccnz .LBB273_302
; %bb.301:
	v_dual_mov_b32 v8, 0 :: v_dual_lshlrev_b32 v7, 16, v2
	global_store_b64 v[0:1], v[7:8], off
.LBB273_302:
	s_mov_b32 s22, 0
.LBB273_303:
	s_delay_alu instid0(SALU_CYCLE_1)
	s_and_not1_b32 vcc_lo, exec_lo, s22
	s_cbranch_vccnz .LBB273_305
; %bb.304:
	v_lshlrev_b32_e32 v7, 16, v2
	s_delay_alu instid0(VALU_DEP_1) | instskip(NEXT) | instid1(VALU_DEP_1)
	v_cvt_f16_f32_e32 v7, v7
	v_and_b32_e32 v7, 0xffff, v7
	global_store_b32 v[0:1], v7, off
.LBB273_305:
	s_mov_b32 s22, 0
.LBB273_306:
	s_delay_alu instid0(SALU_CYCLE_1)
	s_and_not1_b32 vcc_lo, exec_lo, s22
	s_cbranch_vccnz .LBB273_315
; %bb.307:
	v_cmp_gt_i16_e32 vcc_lo, 6, v6
	s_mov_b32 s22, -1
	s_cbranch_vccnz .LBB273_313
; %bb.308:
	v_cmp_lt_i16_e32 vcc_lo, 6, v6
	s_cbranch_vccz .LBB273_310
; %bb.309:
	v_lshlrev_b32_e32 v7, 16, v2
	s_mov_b32 s22, 0
	s_delay_alu instid0(VALU_DEP_1)
	v_cvt_f64_f32_e32 v[7:8], v7
	global_store_b64 v[0:1], v[7:8], off
.LBB273_310:
	s_and_not1_b32 vcc_lo, exec_lo, s22
	s_cbranch_vccnz .LBB273_312
; %bb.311:
	v_lshlrev_b32_e32 v7, 16, v2
	global_store_b32 v[0:1], v7, off
.LBB273_312:
	s_mov_b32 s22, 0
.LBB273_313:
	s_delay_alu instid0(SALU_CYCLE_1)
	s_and_not1_b32 vcc_lo, exec_lo, s22
	s_cbranch_vccnz .LBB273_315
; %bb.314:
	v_lshlrev_b32_e32 v7, 16, v2
	s_delay_alu instid0(VALU_DEP_1)
	v_cvt_f16_f32_e32 v7, v7
	global_store_b16 v[0:1], v7, off
.LBB273_315:
	s_mov_b32 s22, 0
.LBB273_316:
	s_delay_alu instid0(SALU_CYCLE_1)
	s_and_not1_b32 vcc_lo, exec_lo, s22
	s_cbranch_vccnz .LBB273_332
; %bb.317:
	v_cmp_gt_i16_e32 vcc_lo, 2, v6
	s_mov_b32 s22, -1
	s_cbranch_vccnz .LBB273_327
; %bb.318:
	v_cmp_gt_i16_e32 vcc_lo, 3, v6
	s_cbranch_vccnz .LBB273_324
; %bb.319:
	v_cmp_lt_i16_e32 vcc_lo, 3, v6
	s_cbranch_vccz .LBB273_321
; %bb.320:
	v_lshlrev_b32_e32 v7, 16, v2
	s_mov_b32 s22, 0
	s_delay_alu instid0(VALU_DEP_1) | instskip(NEXT) | instid1(VALU_DEP_1)
	v_trunc_f32_e32 v7, v7
	v_mul_f32_e64 v8, 0x2f800000, |v7|
	v_ashrrev_i32_e32 v10, 31, v7
	s_delay_alu instid0(VALU_DEP_2) | instskip(NEXT) | instid1(VALU_DEP_1)
	v_floor_f32_e32 v8, v8
	v_fma_f32 v9, 0xcf800000, v8, |v7|
	v_cvt_u32_f32_e32 v8, v8
	s_delay_alu instid0(VALU_DEP_2) | instskip(NEXT) | instid1(VALU_DEP_2)
	v_cvt_u32_f32_e32 v7, v9
	v_xor_b32_e32 v8, v8, v10
	s_delay_alu instid0(VALU_DEP_2) | instskip(NEXT) | instid1(VALU_DEP_1)
	v_xor_b32_e32 v7, v7, v10
	v_sub_co_u32 v7, vcc_lo, v7, v10
	s_delay_alu instid0(VALU_DEP_3)
	v_sub_co_ci_u32_e32 v8, vcc_lo, v8, v10, vcc_lo
	global_store_b64 v[0:1], v[7:8], off
.LBB273_321:
	s_and_not1_b32 vcc_lo, exec_lo, s22
	s_cbranch_vccnz .LBB273_323
; %bb.322:
	v_lshlrev_b32_e32 v7, 16, v2
	s_delay_alu instid0(VALU_DEP_1)
	v_cvt_i32_f32_e32 v7, v7
	global_store_b32 v[0:1], v7, off
.LBB273_323:
	s_mov_b32 s22, 0
.LBB273_324:
	s_delay_alu instid0(SALU_CYCLE_1)
	s_and_not1_b32 vcc_lo, exec_lo, s22
	s_cbranch_vccnz .LBB273_326
; %bb.325:
	v_lshlrev_b32_e32 v7, 16, v2
	s_delay_alu instid0(VALU_DEP_1)
	v_cvt_i32_f32_e32 v7, v7
	global_store_b16 v[0:1], v7, off
.LBB273_326:
	s_mov_b32 s22, 0
.LBB273_327:
	s_delay_alu instid0(SALU_CYCLE_1)
	s_and_not1_b32 vcc_lo, exec_lo, s22
	s_cbranch_vccnz .LBB273_332
; %bb.328:
	v_cmp_lt_i16_e32 vcc_lo, 0, v6
	s_mov_b32 s22, -1
	s_cbranch_vccz .LBB273_330
; %bb.329:
	v_lshlrev_b32_e32 v6, 16, v2
	s_mov_b32 s22, 0
	s_delay_alu instid0(VALU_DEP_1)
	v_cvt_i32_f32_e32 v6, v6
	global_store_b8 v[0:1], v6, off
.LBB273_330:
	s_and_not1_b32 vcc_lo, exec_lo, s22
	s_cbranch_vccnz .LBB273_332
; %bb.331:
	v_lshlrev_b32_e32 v2, 16, v2
	s_delay_alu instid0(VALU_DEP_1) | instskip(NEXT) | instid1(VALU_DEP_1)
	v_trunc_f32_e32 v2, v2
	v_mul_f32_e64 v6, 0x2f800000, |v2|
	s_delay_alu instid0(VALU_DEP_1) | instskip(NEXT) | instid1(VALU_DEP_1)
	v_floor_f32_e32 v6, v6
	v_fma_f32 v6, 0xcf800000, v6, |v2|
	v_ashrrev_i32_e32 v2, 31, v2
	s_delay_alu instid0(VALU_DEP_2) | instskip(NEXT) | instid1(VALU_DEP_1)
	v_cvt_u32_f32_e32 v6, v6
	v_xor_b32_e32 v6, v6, v2
	s_delay_alu instid0(VALU_DEP_1)
	v_sub_nc_u32_e32 v2, v6, v2
	global_store_b8 v[0:1], v2, off
.LBB273_332:
	s_branch .LBB273_419
.LBB273_333:
	s_mov_b32 s22, 0
	s_branch .LBB273_531
.LBB273_334:
	s_mov_b32 s22, -1
	s_mov_b32 s3, s35
                                        ; implicit-def: $vgpr6
	s_branch .LBB273_446
.LBB273_335:
	s_mov_b32 s22, -1
	s_mov_b32 s3, s35
                                        ; implicit-def: $vgpr6
	s_branch .LBB273_427
.LBB273_336:
	s_mov_b32 s2, s34
	s_branch .LBB273_376
.LBB273_337:
	s_mov_b32 s22, -1
	s_mov_b32 s3, s35
                                        ; implicit-def: $vgpr6
	s_branch .LBB273_422
.LBB273_338:
	s_mov_b32 s2, s34
	s_branch .LBB273_359
.LBB273_339:
	s_mov_b32 s22, -1
	s_mov_b32 s3, s35
	s_branch .LBB273_344
.LBB273_340:
	s_mov_b32 s2, s34
	s_branch .LBB273_355
.LBB273_341:
	s_or_saveexec_b32 s34, s34
                                        ; implicit-def: $sgpr35
	s_delay_alu instid0(SALU_CYCLE_1)
	s_xor_b32 exec_lo, exec_lo, s34
	s_cbranch_execz .LBB273_65
.LBB273_342:
	v_add_f32_e64 v8, 0x42800000, |v9|
	s_and_not1_b32 s23, s23, exec_lo
	s_mov_b32 s35, 0
	s_delay_alu instid0(VALU_DEP_1) | instskip(NEXT) | instid1(VALU_DEP_1)
	v_and_b32_e32 v8, 0xff, v8
	v_cmp_ne_u32_e32 vcc_lo, 0, v8
	s_and_b32 s38, vcc_lo, exec_lo
	s_delay_alu instid0(SALU_CYCLE_1)
	s_or_b32 s23, s23, s38
	s_or_b32 exec_lo, exec_lo, s34
	v_mov_b32_e32 v10, s35
	s_and_saveexec_b32 s34, s23
	s_cbranch_execnz .LBB273_66
	s_branch .LBB273_67
.LBB273_343:
	s_mov_b32 s3, -1
.LBB273_344:
                                        ; implicit-def: $vgpr6
.LBB273_345:
	s_and_b32 vcc_lo, exec_lo, s22
	s_cbranch_vccz .LBB273_421
; %bb.346:
	v_cmp_eq_u16_e32 vcc_lo, 44, v4
	s_cbranch_vccz .LBB273_420
; %bb.347:
	global_load_u8 v6, v[1:2], off
	s_mov_b32 s3, 0
	s_mov_b32 s2, -1
	s_waitcnt vmcnt(0)
	v_lshlrev_b32_e32 v7, 23, v6
	v_cmp_ne_u32_e32 vcc_lo, 0xff, v6
	s_delay_alu instid0(VALU_DEP_2) | instskip(SKIP_1) | instid1(VALU_DEP_2)
	v_cndmask_b32_e32 v7, 0x7f800001, v7, vcc_lo
	v_cmp_ne_u32_e32 vcc_lo, 0, v6
	v_cndmask_b32_e32 v6, 0x400000, v7, vcc_lo
	s_delay_alu instid0(VALU_DEP_1) | instskip(SKIP_1) | instid1(VALU_DEP_2)
	v_add_nc_u32_e32 v7, 0x7fff, v6
	v_cmp_o_f32_e32 vcc_lo, v6, v6
	v_lshrrev_b32_e32 v7, 16, v7
	s_delay_alu instid0(VALU_DEP_1)
	v_cndmask_b32_e32 v6, 0x7fc0, v7, vcc_lo
	s_branch .LBB273_421
.LBB273_348:
	s_mov_b32 s2, s34
.LBB273_349:
	s_and_b32 vcc_lo, exec_lo, s23
	s_cbranch_vccz .LBB273_354
; %bb.350:
	v_cmp_eq_u16_e32 vcc_lo, 44, v6
	s_mov_b32 s2, -1
	s_cbranch_vccz .LBB273_354
; %bb.351:
	v_and_b32_e32 v7, 0xffff, v2
	v_mov_b32_e32 v8, 0xff
	s_mov_b32 s22, exec_lo
	s_delay_alu instid0(VALU_DEP_2) | instskip(NEXT) | instid1(VALU_DEP_1)
	v_bfe_u32 v9, v7, 7, 8
	v_cmpx_ne_u32_e32 0xff, v9
; %bb.352:
	v_lshlrev_b32_e32 v8, 16, v7
	v_and_b32_e32 v10, 64, v7
	v_lshrrev_b32_e32 v7, 7, v7
	s_delay_alu instid0(VALU_DEP_3) | instskip(NEXT) | instid1(VALU_DEP_3)
	v_and_or_b32 v8, 0x3f0000, v8, v9
	v_cmp_ne_u32_e32 vcc_lo, 0, v10
	s_delay_alu instid0(VALU_DEP_2) | instskip(NEXT) | instid1(VALU_DEP_1)
	v_cmp_ne_u32_e64 s2, 0, v8
	s_and_b32 s2, vcc_lo, s2
	s_delay_alu instid0(SALU_CYCLE_1) | instskip(NEXT) | instid1(VALU_DEP_1)
	v_cndmask_b32_e64 v8, 0, 1, s2
	v_add_nc_u32_e32 v8, v7, v8
; %bb.353:
	s_or_b32 exec_lo, exec_lo, s22
	s_mov_b32 s22, -1
	s_mov_b32 s2, 0
	global_store_b8 v[0:1], v8, off
.LBB273_354:
	s_mov_b32 s23, 0
.LBB273_355:
	s_delay_alu instid0(SALU_CYCLE_1)
	s_and_b32 vcc_lo, exec_lo, s23
	s_cbranch_vccz .LBB273_358
; %bb.356:
	v_cmp_eq_u16_e32 vcc_lo, 29, v6
	s_mov_b32 s2, -1
	s_cbranch_vccz .LBB273_358
; %bb.357:
	v_lshlrev_b32_e32 v7, 16, v2
	s_mov_b32 s22, -1
	s_mov_b32 s2, 0
	s_mov_b32 s23, 0
	s_delay_alu instid0(VALU_DEP_1) | instskip(NEXT) | instid1(VALU_DEP_1)
	v_trunc_f32_e32 v7, v7
	v_mul_f32_e32 v8, 0x2f800000, v7
	s_delay_alu instid0(VALU_DEP_1) | instskip(NEXT) | instid1(VALU_DEP_1)
	v_floor_f32_e32 v8, v8
	v_fmamk_f32 v7, v8, 0xcf800000, v7
	v_cvt_u32_f32_e32 v8, v8
	s_delay_alu instid0(VALU_DEP_2)
	v_cvt_u32_f32_e32 v7, v7
	global_store_b64 v[0:1], v[7:8], off
	s_branch .LBB273_359
.LBB273_358:
	s_mov_b32 s23, 0
.LBB273_359:
	s_delay_alu instid0(SALU_CYCLE_1)
	s_and_b32 vcc_lo, exec_lo, s23
	s_cbranch_vccz .LBB273_375
; %bb.360:
	v_cmp_gt_i16_e32 vcc_lo, 27, v6
	s_mov_b32 s22, -1
	s_cbranch_vccnz .LBB273_366
; %bb.361:
	v_cmp_lt_i16_e32 vcc_lo, 27, v6
	s_cbranch_vccz .LBB273_363
; %bb.362:
	v_lshlrev_b32_e32 v7, 16, v2
	s_mov_b32 s22, 0
	s_delay_alu instid0(VALU_DEP_1)
	v_cvt_u32_f32_e32 v7, v7
	global_store_b32 v[0:1], v7, off
.LBB273_363:
	s_and_not1_b32 vcc_lo, exec_lo, s22
	s_cbranch_vccnz .LBB273_365
; %bb.364:
	v_lshlrev_b32_e32 v7, 16, v2
	s_delay_alu instid0(VALU_DEP_1)
	v_cvt_u32_f32_e32 v7, v7
	global_store_b16 v[0:1], v7, off
.LBB273_365:
	s_mov_b32 s22, 0
.LBB273_366:
	s_delay_alu instid0(SALU_CYCLE_1)
	s_and_not1_b32 vcc_lo, exec_lo, s22
	s_cbranch_vccnz .LBB273_374
; %bb.367:
	v_dual_mov_b32 v10, 0x80 :: v_dual_lshlrev_b32 v9, 16, v2
	s_mov_b32 s22, exec_lo
	s_delay_alu instid0(VALU_DEP_1) | instskip(NEXT) | instid1(VALU_DEP_1)
	v_and_b32_e32 v8, 0x7fffffff, v9
	v_cmpx_gt_u32_e32 0x43800000, v8
	s_cbranch_execz .LBB273_373
; %bb.368:
	v_and_b32_e32 v7, 0xffff, v2
	v_cmp_lt_u32_e32 vcc_lo, 0x3bffffff, v8
	s_mov_b32 s23, 0
                                        ; implicit-def: $vgpr8
	s_and_saveexec_b32 s37, vcc_lo
	s_delay_alu instid0(SALU_CYCLE_1)
	s_xor_b32 s37, exec_lo, s37
	s_cbranch_execz .LBB273_559
; %bb.369:
	v_bfe_u32 v8, v7, 4, 1
	s_mov_b32 s23, exec_lo
	s_delay_alu instid0(VALU_DEP_1) | instskip(NEXT) | instid1(VALU_DEP_1)
	v_add3_u32 v8, v9, v8, 0x487ffff
                                        ; implicit-def: $vgpr9
	v_lshrrev_b32_e32 v8, 20, v8
	s_or_saveexec_b32 s37, s37
                                        ; implicit-def: $sgpr38
	s_delay_alu instid0(SALU_CYCLE_1)
	s_xor_b32 exec_lo, exec_lo, s37
	s_cbranch_execnz .LBB273_560
.LBB273_370:
	s_or_b32 exec_lo, exec_lo, s37
	v_mov_b32_e32 v10, s38
	s_and_saveexec_b32 s37, s23
.LBB273_371:
	v_lshrrev_b32_e32 v7, 8, v7
	s_delay_alu instid0(VALU_DEP_1)
	v_and_or_b32 v10, 0x80, v7, v8
.LBB273_372:
	s_or_b32 exec_lo, exec_lo, s37
.LBB273_373:
	s_delay_alu instid0(SALU_CYCLE_1)
	s_or_b32 exec_lo, exec_lo, s22
	global_store_b8 v[0:1], v10, off
.LBB273_374:
	s_mov_b32 s22, -1
.LBB273_375:
	s_mov_b32 s23, 0
.LBB273_376:
	s_delay_alu instid0(SALU_CYCLE_1)
	s_and_b32 vcc_lo, exec_lo, s23
	s_cbranch_vccz .LBB273_417
; %bb.377:
	v_cmp_lt_i16_e32 vcc_lo, 22, v6
	s_mov_b32 s23, -1
	s_cbranch_vccz .LBB273_409
; %bb.378:
	v_cmp_gt_i16_e32 vcc_lo, 24, v6
	s_mov_b32 s22, -1
	s_cbranch_vccnz .LBB273_398
; %bb.379:
	v_cmp_lt_i16_e32 vcc_lo, 24, v6
	s_cbranch_vccz .LBB273_387
; %bb.380:
	v_dual_mov_b32 v10, 0x80 :: v_dual_lshlrev_b32 v9, 16, v2
	s_mov_b32 s22, exec_lo
	s_delay_alu instid0(VALU_DEP_1) | instskip(NEXT) | instid1(VALU_DEP_1)
	v_and_b32_e32 v8, 0x7fffffff, v9
	v_cmpx_gt_u32_e32 0x47800000, v8
	s_cbranch_execz .LBB273_386
; %bb.381:
	v_and_b32_e32 v7, 0xffff, v2
	v_cmp_lt_u32_e32 vcc_lo, 0x37ffffff, v8
	s_mov_b32 s23, 0
                                        ; implicit-def: $vgpr8
	s_and_saveexec_b32 s37, vcc_lo
	s_delay_alu instid0(SALU_CYCLE_1)
	s_xor_b32 s37, exec_lo, s37
	s_cbranch_execz .LBB273_562
; %bb.382:
	v_bfe_u32 v8, v7, 5, 1
	s_mov_b32 s23, exec_lo
	s_delay_alu instid0(VALU_DEP_1) | instskip(NEXT) | instid1(VALU_DEP_1)
	v_add3_u32 v8, v9, v8, 0x88fffff
                                        ; implicit-def: $vgpr9
	v_lshrrev_b32_e32 v8, 21, v8
	s_or_saveexec_b32 s37, s37
                                        ; implicit-def: $sgpr38
	s_delay_alu instid0(SALU_CYCLE_1)
	s_xor_b32 exec_lo, exec_lo, s37
	s_cbranch_execnz .LBB273_563
.LBB273_383:
	s_or_b32 exec_lo, exec_lo, s37
	v_mov_b32_e32 v10, s38
	s_and_saveexec_b32 s37, s23
.LBB273_384:
	v_lshrrev_b32_e32 v7, 8, v7
	s_delay_alu instid0(VALU_DEP_1)
	v_and_or_b32 v10, 0x80, v7, v8
.LBB273_385:
	s_or_b32 exec_lo, exec_lo, s37
.LBB273_386:
	s_delay_alu instid0(SALU_CYCLE_1)
	s_or_b32 exec_lo, exec_lo, s22
	s_mov_b32 s22, 0
	global_store_b8 v[0:1], v10, off
.LBB273_387:
	s_and_b32 vcc_lo, exec_lo, s22
	s_cbranch_vccz .LBB273_397
; %bb.388:
	v_lshlrev_b32_e32 v9, 16, v2
	v_and_b32_e32 v7, 0xffff, v2
	s_mov_b32 s22, exec_lo
                                        ; implicit-def: $vgpr8
	s_delay_alu instid0(VALU_DEP_2) | instskip(NEXT) | instid1(VALU_DEP_1)
	v_and_b32_e32 v10, 0x7fffffff, v9
	v_cmpx_gt_u32_e32 0x43f00000, v10
	s_xor_b32 s22, exec_lo, s22
	s_cbranch_execz .LBB273_394
; %bb.389:
	s_mov_b32 s23, exec_lo
                                        ; implicit-def: $vgpr8
	v_cmpx_lt_u32_e32 0x3c7fffff, v10
	s_xor_b32 s23, exec_lo, s23
; %bb.390:
	v_bfe_u32 v8, v7, 4, 1
	s_delay_alu instid0(VALU_DEP_1) | instskip(NEXT) | instid1(VALU_DEP_1)
	v_add3_u32 v8, v9, v8, 0x407ffff
	v_and_b32_e32 v9, 0xff00000, v8
	v_lshrrev_b32_e32 v8, 20, v8
	s_delay_alu instid0(VALU_DEP_2) | instskip(NEXT) | instid1(VALU_DEP_2)
	v_cmp_ne_u32_e32 vcc_lo, 0x7f00000, v9
                                        ; implicit-def: $vgpr9
	v_cndmask_b32_e32 v8, 0x7e, v8, vcc_lo
; %bb.391:
	s_and_not1_saveexec_b32 s23, s23
; %bb.392:
	v_add_f32_e64 v8, 0x46800000, |v9|
; %bb.393:
	s_or_b32 exec_lo, exec_lo, s23
                                        ; implicit-def: $vgpr10
.LBB273_394:
	s_and_not1_saveexec_b32 s22, s22
; %bb.395:
	v_mov_b32_e32 v8, 0x7f
	v_cmp_lt_u32_e32 vcc_lo, 0x7f800000, v10
	s_delay_alu instid0(VALU_DEP_2)
	v_cndmask_b32_e32 v8, 0x7e, v8, vcc_lo
; %bb.396:
	s_or_b32 exec_lo, exec_lo, s22
	v_lshrrev_b32_e32 v7, 8, v7
	s_delay_alu instid0(VALU_DEP_1)
	v_and_or_b32 v7, 0x80, v7, v8
	global_store_b8 v[0:1], v7, off
.LBB273_397:
	s_mov_b32 s22, 0
.LBB273_398:
	s_delay_alu instid0(SALU_CYCLE_1)
	s_and_not1_b32 vcc_lo, exec_lo, s22
	s_cbranch_vccnz .LBB273_408
; %bb.399:
	v_lshlrev_b32_e32 v9, 16, v2
	v_and_b32_e32 v7, 0xffff, v2
	s_mov_b32 s22, exec_lo
                                        ; implicit-def: $vgpr8
	s_delay_alu instid0(VALU_DEP_2) | instskip(NEXT) | instid1(VALU_DEP_1)
	v_and_b32_e32 v10, 0x7fffffff, v9
	v_cmpx_gt_u32_e32 0x47800000, v10
	s_xor_b32 s22, exec_lo, s22
	s_cbranch_execz .LBB273_405
; %bb.400:
	s_mov_b32 s23, exec_lo
                                        ; implicit-def: $vgpr8
	v_cmpx_lt_u32_e32 0x387fffff, v10
	s_xor_b32 s23, exec_lo, s23
; %bb.401:
	v_bfe_u32 v8, v7, 5, 1
	s_delay_alu instid0(VALU_DEP_1) | instskip(NEXT) | instid1(VALU_DEP_1)
	v_add3_u32 v8, v9, v8, 0x80fffff
                                        ; implicit-def: $vgpr9
	v_lshrrev_b32_e32 v8, 21, v8
; %bb.402:
	s_and_not1_saveexec_b32 s23, s23
; %bb.403:
	v_add_f32_e64 v8, 0x43000000, |v9|
; %bb.404:
	s_or_b32 exec_lo, exec_lo, s23
                                        ; implicit-def: $vgpr10
.LBB273_405:
	s_and_not1_saveexec_b32 s22, s22
; %bb.406:
	v_mov_b32_e32 v8, 0x7f
	v_cmp_lt_u32_e32 vcc_lo, 0x7f800000, v10
	s_delay_alu instid0(VALU_DEP_2)
	v_cndmask_b32_e32 v8, 0x7c, v8, vcc_lo
; %bb.407:
	s_or_b32 exec_lo, exec_lo, s22
	v_lshrrev_b32_e32 v7, 8, v7
	s_delay_alu instid0(VALU_DEP_1)
	v_and_or_b32 v7, 0x80, v7, v8
	global_store_b8 v[0:1], v7, off
.LBB273_408:
	s_mov_b32 s23, 0
	s_mov_b32 s22, -1
.LBB273_409:
	s_and_not1_b32 vcc_lo, exec_lo, s23
	s_cbranch_vccnz .LBB273_417
; %bb.410:
	v_cmp_lt_i16_e32 vcc_lo, 14, v6
	s_mov_b32 s23, -1
	s_cbranch_vccz .LBB273_414
; %bb.411:
	v_cmp_eq_u16_e32 vcc_lo, 15, v6
	s_mov_b32 s2, -1
	s_cbranch_vccz .LBB273_413
; %bb.412:
	s_mov_b32 s22, -1
	s_mov_b32 s2, 0
	global_store_b16 v[0:1], v2, off
.LBB273_413:
	s_mov_b32 s23, 0
.LBB273_414:
	s_delay_alu instid0(SALU_CYCLE_1)
	s_and_b32 vcc_lo, exec_lo, s23
	s_cbranch_vccz .LBB273_417
; %bb.415:
	v_cmp_eq_u16_e32 vcc_lo, 11, v6
	s_mov_b32 s2, -1
	s_cbranch_vccz .LBB273_417
; %bb.416:
	v_and_b32_e32 v7, 0x7fff, v2
	s_mov_b32 s2, 0
	s_mov_b32 s22, -1
	s_delay_alu instid0(VALU_DEP_1)
	v_cmp_ne_u16_e32 vcc_lo, 0, v7
	v_cndmask_b32_e64 v7, 0, 1, vcc_lo
	global_store_b8 v[0:1], v7, off
.LBB273_417:
.LBB273_418:
	s_and_not1_b32 vcc_lo, exec_lo, s22
	s_cbranch_vccnz .LBB273_333
.LBB273_419:
	v_add_nc_u32_e32 v5, 0x80, v5
	s_mov_b32 s22, -1
	s_branch .LBB273_532
.LBB273_420:
	s_mov_b32 s3, -1
                                        ; implicit-def: $vgpr6
.LBB273_421:
	s_mov_b32 s22, 0
.LBB273_422:
	s_delay_alu instid0(SALU_CYCLE_1)
	s_and_b32 vcc_lo, exec_lo, s22
	s_cbranch_vccz .LBB273_426
; %bb.423:
	v_cmp_eq_u16_e32 vcc_lo, 29, v4
	s_cbranch_vccz .LBB273_425
; %bb.424:
	global_load_b64 v[6:7], v[1:2], off
	s_mov_b32 s2, -1
	s_mov_b32 s3, 0
	s_mov_b32 s22, 0
	s_waitcnt vmcnt(0)
	v_clz_i32_u32_e32 v8, v7
	s_delay_alu instid0(VALU_DEP_1) | instskip(NEXT) | instid1(VALU_DEP_1)
	v_min_u32_e32 v8, 32, v8
	v_lshlrev_b64 v[6:7], v8, v[6:7]
	s_delay_alu instid0(VALU_DEP_1) | instskip(NEXT) | instid1(VALU_DEP_1)
	v_min_u32_e32 v6, 1, v6
	v_or_b32_e32 v6, v7, v6
	v_sub_nc_u32_e32 v7, 32, v8
	s_delay_alu instid0(VALU_DEP_2) | instskip(NEXT) | instid1(VALU_DEP_1)
	v_cvt_f32_u32_e32 v6, v6
	v_ldexp_f32 v6, v6, v7
	s_delay_alu instid0(VALU_DEP_1) | instskip(NEXT) | instid1(VALU_DEP_1)
	v_bfe_u32 v7, v6, 16, 1
	v_add3_u32 v6, v6, v7, 0x7fff
	s_delay_alu instid0(VALU_DEP_1)
	v_lshrrev_b32_e32 v6, 16, v6
	s_branch .LBB273_427
.LBB273_425:
	s_mov_b32 s3, -1
                                        ; implicit-def: $vgpr6
.LBB273_426:
	s_mov_b32 s22, 0
.LBB273_427:
	s_delay_alu instid0(SALU_CYCLE_1)
	s_and_b32 vcc_lo, exec_lo, s22
	s_cbranch_vccz .LBB273_445
; %bb.428:
	v_cmp_gt_i16_e32 vcc_lo, 27, v4
	s_cbranch_vccnz .LBB273_431
; %bb.429:
	v_cmp_lt_i16_e32 vcc_lo, 27, v4
	s_cbranch_vccz .LBB273_432
; %bb.430:
	global_load_b32 v6, v[1:2], off
	s_mov_b32 s2, 0
	s_waitcnt vmcnt(0)
	v_cvt_f32_u32_e32 v6, v6
	s_delay_alu instid0(VALU_DEP_1) | instskip(NEXT) | instid1(VALU_DEP_1)
	v_bfe_u32 v7, v6, 16, 1
	v_add3_u32 v6, v6, v7, 0x7fff
	s_delay_alu instid0(VALU_DEP_1)
	v_lshrrev_b32_e32 v6, 16, v6
	s_branch .LBB273_433
.LBB273_431:
	s_mov_b32 s2, -1
                                        ; implicit-def: $vgpr6
	s_branch .LBB273_436
.LBB273_432:
	s_mov_b32 s2, -1
                                        ; implicit-def: $vgpr6
.LBB273_433:
	s_delay_alu instid0(SALU_CYCLE_1)
	s_and_not1_b32 vcc_lo, exec_lo, s2
	s_cbranch_vccnz .LBB273_435
; %bb.434:
	global_load_u16 v6, v[1:2], off
	s_waitcnt vmcnt(0)
	v_cvt_f32_u32_e32 v6, v6
	s_delay_alu instid0(VALU_DEP_1) | instskip(NEXT) | instid1(VALU_DEP_1)
	v_bfe_u32 v7, v6, 16, 1
	v_add3_u32 v6, v6, v7, 0x7fff
	s_delay_alu instid0(VALU_DEP_1)
	v_lshrrev_b32_e32 v6, 16, v6
.LBB273_435:
	s_mov_b32 s2, 0
.LBB273_436:
	s_delay_alu instid0(SALU_CYCLE_1)
	s_and_not1_b32 vcc_lo, exec_lo, s2
	s_cbranch_vccnz .LBB273_444
; %bb.437:
	global_load_u8 v6, v[1:2], off
	s_mov_b32 s2, 0
	s_mov_b32 s23, exec_lo
                                        ; implicit-def: $sgpr22
	s_waitcnt vmcnt(0)
	v_cmpx_lt_i16_e32 0x7f, v6
	s_xor_b32 s23, exec_lo, s23
	s_cbranch_execz .LBB273_458
; %bb.438:
	s_mov_b32 s2, -1
	s_mov_b32 s37, exec_lo
                                        ; implicit-def: $sgpr22
	v_cmpx_eq_u16_e32 0x80, v6
; %bb.439:
	s_mov_b32 s22, 0x7f800001
	s_xor_b32 s2, exec_lo, -1
; %bb.440:
	s_or_b32 exec_lo, exec_lo, s37
	s_delay_alu instid0(SALU_CYCLE_1)
	s_and_b32 s2, s2, exec_lo
	s_or_saveexec_b32 s23, s23
	v_mov_b32_e32 v7, s22
	s_xor_b32 exec_lo, exec_lo, s23
	s_cbranch_execnz .LBB273_459
.LBB273_441:
	s_or_b32 exec_lo, exec_lo, s23
	s_and_saveexec_b32 s22, s2
	s_cbranch_execz .LBB273_443
.LBB273_442:
	v_and_b32_e32 v7, 0xffff, v6
	v_lshlrev_b32_e32 v6, 24, v6
	s_delay_alu instid0(VALU_DEP_2) | instskip(NEXT) | instid1(VALU_DEP_2)
	v_and_b32_e32 v8, 7, v7
	v_and_b32_e32 v6, 0x80000000, v6
	s_delay_alu instid0(VALU_DEP_2) | instskip(NEXT) | instid1(VALU_DEP_1)
	v_clz_i32_u32_e32 v9, v8
	v_min_u32_e32 v9, 32, v9
	s_delay_alu instid0(VALU_DEP_1) | instskip(SKIP_1) | instid1(VALU_DEP_2)
	v_subrev_nc_u32_e32 v10, 28, v9
	v_sub_nc_u32_e32 v9, 29, v9
	v_lshlrev_b32_e32 v10, v10, v7
	v_bfe_u32 v7, v7, 3, 4
	s_delay_alu instid0(VALU_DEP_2) | instskip(NEXT) | instid1(VALU_DEP_2)
	v_and_b32_e32 v10, 7, v10
	v_cmp_eq_u32_e32 vcc_lo, 0, v7
	s_delay_alu instid0(VALU_DEP_2) | instskip(NEXT) | instid1(VALU_DEP_1)
	v_dual_cndmask_b32 v7, v7, v9 :: v_dual_cndmask_b32 v8, v8, v10
	v_lshl_add_u32 v7, v7, 23, 0x3b800000
	s_delay_alu instid0(VALU_DEP_2) | instskip(NEXT) | instid1(VALU_DEP_1)
	v_lshlrev_b32_e32 v8, 20, v8
	v_or3_b32 v7, v6, v7, v8
.LBB273_443:
	s_or_b32 exec_lo, exec_lo, s22
	s_delay_alu instid0(VALU_DEP_1) | instskip(SKIP_1) | instid1(VALU_DEP_2)
	v_bfe_u32 v6, v7, 16, 1
	v_cmp_o_f32_e32 vcc_lo, v7, v7
	v_add3_u32 v6, v7, v6, 0x7fff
	s_delay_alu instid0(VALU_DEP_1) | instskip(NEXT) | instid1(VALU_DEP_1)
	v_lshrrev_b32_e32 v6, 16, v6
	v_cndmask_b32_e32 v6, 0x7fc0, v6, vcc_lo
.LBB273_444:
	s_mov_b32 s2, -1
.LBB273_445:
	s_mov_b32 s22, 0
.LBB273_446:
	s_delay_alu instid0(SALU_CYCLE_1)
	s_and_b32 vcc_lo, exec_lo, s22
	s_cbranch_vccz .LBB273_481
; %bb.447:
	v_cmp_lt_i16_e32 vcc_lo, 22, v4
	s_cbranch_vccz .LBB273_457
; %bb.448:
	v_cmp_gt_i16_e32 vcc_lo, 24, v4
	s_cbranch_vccnz .LBB273_460
; %bb.449:
	v_cmp_lt_i16_e32 vcc_lo, 24, v4
	s_cbranch_vccz .LBB273_461
; %bb.450:
	global_load_u8 v6, v[1:2], off
	s_mov_b32 s2, 0
	s_mov_b32 s23, exec_lo
                                        ; implicit-def: $sgpr22
	s_waitcnt vmcnt(0)
	v_cmpx_lt_i16_e32 0x7f, v6
	s_xor_b32 s23, exec_lo, s23
	s_cbranch_execz .LBB273_473
; %bb.451:
	s_mov_b32 s2, -1
	s_mov_b32 s37, exec_lo
                                        ; implicit-def: $sgpr22
	v_cmpx_eq_u16_e32 0x80, v6
; %bb.452:
	s_mov_b32 s22, 0x7f800001
	s_xor_b32 s2, exec_lo, -1
; %bb.453:
	s_or_b32 exec_lo, exec_lo, s37
	s_delay_alu instid0(SALU_CYCLE_1)
	s_and_b32 s2, s2, exec_lo
	s_or_saveexec_b32 s23, s23
	v_mov_b32_e32 v7, s22
	s_xor_b32 exec_lo, exec_lo, s23
	s_cbranch_execnz .LBB273_474
.LBB273_454:
	s_or_b32 exec_lo, exec_lo, s23
	s_and_saveexec_b32 s22, s2
	s_cbranch_execz .LBB273_456
.LBB273_455:
	v_and_b32_e32 v7, 0xffff, v6
	v_lshlrev_b32_e32 v6, 24, v6
	s_delay_alu instid0(VALU_DEP_2) | instskip(NEXT) | instid1(VALU_DEP_2)
	v_and_b32_e32 v8, 3, v7
	v_and_b32_e32 v6, 0x80000000, v6
	s_delay_alu instid0(VALU_DEP_2) | instskip(NEXT) | instid1(VALU_DEP_1)
	v_clz_i32_u32_e32 v9, v8
	v_min_u32_e32 v9, 32, v9
	s_delay_alu instid0(VALU_DEP_1) | instskip(SKIP_1) | instid1(VALU_DEP_2)
	v_subrev_nc_u32_e32 v10, 29, v9
	v_sub_nc_u32_e32 v9, 30, v9
	v_lshlrev_b32_e32 v10, v10, v7
	v_bfe_u32 v7, v7, 2, 5
	s_delay_alu instid0(VALU_DEP_2) | instskip(NEXT) | instid1(VALU_DEP_2)
	v_and_b32_e32 v10, 3, v10
	v_cmp_eq_u32_e32 vcc_lo, 0, v7
	s_delay_alu instid0(VALU_DEP_2) | instskip(NEXT) | instid1(VALU_DEP_1)
	v_dual_cndmask_b32 v7, v7, v9 :: v_dual_cndmask_b32 v8, v8, v10
	v_lshl_add_u32 v7, v7, 23, 0x37800000
	s_delay_alu instid0(VALU_DEP_2) | instskip(NEXT) | instid1(VALU_DEP_1)
	v_lshlrev_b32_e32 v8, 21, v8
	v_or3_b32 v7, v6, v7, v8
.LBB273_456:
	s_or_b32 exec_lo, exec_lo, s22
	s_delay_alu instid0(VALU_DEP_1) | instskip(SKIP_2) | instid1(VALU_DEP_2)
	v_bfe_u32 v6, v7, 16, 1
	v_cmp_o_f32_e32 vcc_lo, v7, v7
	s_mov_b32 s2, 0
	v_add3_u32 v6, v7, v6, 0x7fff
	s_delay_alu instid0(VALU_DEP_1) | instskip(NEXT) | instid1(VALU_DEP_1)
	v_lshrrev_b32_e32 v6, 16, v6
	v_cndmask_b32_e32 v6, 0x7fc0, v6, vcc_lo
	s_branch .LBB273_462
.LBB273_457:
	s_mov_b32 s22, -1
                                        ; implicit-def: $vgpr6
	s_branch .LBB273_468
.LBB273_458:
	s_or_saveexec_b32 s23, s23
	v_mov_b32_e32 v7, s22
	s_xor_b32 exec_lo, exec_lo, s23
	s_cbranch_execz .LBB273_441
.LBB273_459:
	v_cmp_ne_u16_e32 vcc_lo, 0, v6
	v_mov_b32_e32 v7, 0
	s_and_not1_b32 s2, s2, exec_lo
	s_and_b32 s22, vcc_lo, exec_lo
	s_delay_alu instid0(SALU_CYCLE_1)
	s_or_b32 s2, s2, s22
	s_or_b32 exec_lo, exec_lo, s23
	s_and_saveexec_b32 s22, s2
	s_cbranch_execnz .LBB273_442
	s_branch .LBB273_443
.LBB273_460:
	s_mov_b32 s2, -1
                                        ; implicit-def: $vgpr6
	s_branch .LBB273_465
.LBB273_461:
	s_mov_b32 s2, -1
                                        ; implicit-def: $vgpr6
.LBB273_462:
	s_delay_alu instid0(SALU_CYCLE_1)
	s_and_b32 vcc_lo, exec_lo, s2
	s_cbranch_vccz .LBB273_464
; %bb.463:
	global_load_u8 v6, v[1:2], off
	s_waitcnt vmcnt(0)
	v_lshlrev_b32_e32 v6, 24, v6
	s_delay_alu instid0(VALU_DEP_1) | instskip(NEXT) | instid1(VALU_DEP_1)
	v_and_b32_e32 v7, 0x7f000000, v6
	v_clz_i32_u32_e32 v8, v7
	v_add_nc_u32_e32 v10, 0x1000000, v7
	v_cmp_ne_u32_e32 vcc_lo, 0, v7
	s_delay_alu instid0(VALU_DEP_3) | instskip(NEXT) | instid1(VALU_DEP_1)
	v_min_u32_e32 v8, 32, v8
	v_sub_nc_u32_e64 v8, v8, 4 clamp
	s_delay_alu instid0(VALU_DEP_1) | instskip(SKIP_1) | instid1(VALU_DEP_2)
	v_lshlrev_b32_e32 v9, v8, v7
	v_lshlrev_b32_e32 v8, 23, v8
	v_lshrrev_b32_e32 v9, 4, v9
	s_delay_alu instid0(VALU_DEP_1) | instskip(SKIP_1) | instid1(VALU_DEP_2)
	v_sub_nc_u32_e32 v8, v9, v8
	v_ashrrev_i32_e32 v9, 8, v10
	v_add_nc_u32_e32 v8, 0x3c000000, v8
	s_delay_alu instid0(VALU_DEP_1) | instskip(NEXT) | instid1(VALU_DEP_1)
	v_and_or_b32 v8, 0x7f800000, v9, v8
	v_cndmask_b32_e32 v7, 0, v8, vcc_lo
	s_delay_alu instid0(VALU_DEP_1) | instskip(SKIP_1) | instid1(VALU_DEP_2)
	v_and_or_b32 v6, 0x80000000, v6, v7
	v_bfe_u32 v7, v7, 16, 1
	v_cmp_o_f32_e32 vcc_lo, v6, v6
	s_delay_alu instid0(VALU_DEP_2) | instskip(NEXT) | instid1(VALU_DEP_1)
	v_add3_u32 v7, v6, v7, 0x7fff
	v_lshrrev_b32_e32 v7, 16, v7
	s_delay_alu instid0(VALU_DEP_1)
	v_cndmask_b32_e32 v6, 0x7fc0, v7, vcc_lo
.LBB273_464:
	s_mov_b32 s2, 0
.LBB273_465:
	s_delay_alu instid0(SALU_CYCLE_1)
	s_and_not1_b32 vcc_lo, exec_lo, s2
	s_cbranch_vccnz .LBB273_467
; %bb.466:
	global_load_u8 v6, v[1:2], off
	s_waitcnt vmcnt(0)
	v_lshlrev_b32_e32 v7, 25, v6
	v_lshlrev_b16 v6, 8, v6
	s_delay_alu instid0(VALU_DEP_2) | instskip(NEXT) | instid1(VALU_DEP_2)
	v_lshrrev_b32_e32 v8, 4, v7
	v_and_or_b32 v9, 0x7f00, v6, 0.5
	v_bfe_i32 v6, v6, 0, 16
	s_delay_alu instid0(VALU_DEP_3) | instskip(NEXT) | instid1(VALU_DEP_1)
	v_or_b32_e32 v8, 0x70000000, v8
	v_dual_add_f32 v9, -0.5, v9 :: v_dual_mul_f32 v8, 0x7800000, v8
	v_cmp_gt_u32_e32 vcc_lo, 0x8000000, v7
	s_delay_alu instid0(VALU_DEP_2) | instskip(NEXT) | instid1(VALU_DEP_1)
	v_cndmask_b32_e32 v7, v8, v9, vcc_lo
	v_and_or_b32 v6, 0x80000000, v6, v7
	v_bfe_u32 v7, v7, 16, 1
	s_delay_alu instid0(VALU_DEP_2) | instskip(NEXT) | instid1(VALU_DEP_2)
	v_cmp_o_f32_e32 vcc_lo, v6, v6
	v_add3_u32 v7, v6, v7, 0x7fff
	s_delay_alu instid0(VALU_DEP_1) | instskip(NEXT) | instid1(VALU_DEP_1)
	v_lshrrev_b32_e32 v7, 16, v7
	v_cndmask_b32_e32 v6, 0x7fc0, v7, vcc_lo
.LBB273_467:
	s_mov_b32 s22, 0
	s_mov_b32 s2, -1
.LBB273_468:
	s_and_not1_b32 vcc_lo, exec_lo, s22
	s_cbranch_vccnz .LBB273_481
; %bb.469:
	v_cmp_lt_i16_e32 vcc_lo, 14, v4
	s_cbranch_vccz .LBB273_472
; %bb.470:
	v_cmp_eq_u16_e32 vcc_lo, 15, v4
	s_cbranch_vccz .LBB273_475
; %bb.471:
	global_load_u16 v6, v[1:2], off
	s_mov_b32 s2, -1
	s_mov_b32 s3, 0
	s_branch .LBB273_476
.LBB273_472:
	s_mov_b32 s22, -1
                                        ; implicit-def: $vgpr6
	s_branch .LBB273_477
.LBB273_473:
	s_or_saveexec_b32 s23, s23
	v_mov_b32_e32 v7, s22
	s_xor_b32 exec_lo, exec_lo, s23
	s_cbranch_execz .LBB273_454
.LBB273_474:
	v_cmp_ne_u16_e32 vcc_lo, 0, v6
	v_mov_b32_e32 v7, 0
	s_and_not1_b32 s2, s2, exec_lo
	s_and_b32 s22, vcc_lo, exec_lo
	s_delay_alu instid0(SALU_CYCLE_1)
	s_or_b32 s2, s2, s22
	s_or_b32 exec_lo, exec_lo, s23
	s_and_saveexec_b32 s22, s2
	s_cbranch_execnz .LBB273_455
	s_branch .LBB273_456
.LBB273_475:
	s_mov_b32 s3, -1
                                        ; implicit-def: $vgpr6
.LBB273_476:
	s_mov_b32 s22, 0
.LBB273_477:
	s_delay_alu instid0(SALU_CYCLE_1)
	s_and_b32 vcc_lo, exec_lo, s22
	s_cbranch_vccz .LBB273_481
; %bb.478:
	v_cmp_eq_u16_e32 vcc_lo, 11, v4
	s_cbranch_vccz .LBB273_480
; %bb.479:
	global_load_u8 v6, v[1:2], off
	s_mov_b32 s3, 0
	s_mov_b32 s2, -1
	s_waitcnt vmcnt(0)
	v_cmp_ne_u16_e32 vcc_lo, 0, v6
	v_cndmask_b32_e64 v6, 0, 1.0, vcc_lo
	s_delay_alu instid0(VALU_DEP_1)
	v_lshrrev_b32_e32 v6, 16, v6
	s_branch .LBB273_481
.LBB273_480:
	s_mov_b32 s3, -1
                                        ; implicit-def: $vgpr6
.LBB273_481:
	s_branch .LBB273_286
.LBB273_482:
	v_cmp_gt_i16_e32 vcc_lo, 5, v4
	s_cbranch_vccnz .LBB273_487
; %bb.483:
	v_cmp_gt_i16_e32 vcc_lo, 8, v4
	s_cbranch_vccnz .LBB273_488
; %bb.484:
	;; [unrolled: 3-line block ×3, first 2 shown]
	v_cmp_lt_i16_e32 vcc_lo, 9, v4
	s_cbranch_vccz .LBB273_490
; %bb.486:
	global_load_b64 v[6:7], v[1:2], off
	s_mov_b32 s2, 0
	s_waitcnt vmcnt(0)
	v_cvt_f32_f64_e32 v6, v[6:7]
	s_delay_alu instid0(VALU_DEP_1) | instskip(SKIP_1) | instid1(VALU_DEP_2)
	v_bfe_u32 v7, v6, 16, 1
	v_cmp_o_f32_e32 vcc_lo, v6, v6
	v_add3_u32 v7, v6, v7, 0x7fff
	s_delay_alu instid0(VALU_DEP_1) | instskip(NEXT) | instid1(VALU_DEP_1)
	v_lshrrev_b32_e32 v7, 16, v7
	v_cndmask_b32_e32 v6, 0x7fc0, v7, vcc_lo
	s_branch .LBB273_491
.LBB273_487:
	s_mov_b32 s2, -1
                                        ; implicit-def: $vgpr6
	s_branch .LBB273_509
.LBB273_488:
	s_mov_b32 s2, -1
                                        ; implicit-def: $vgpr6
	s_branch .LBB273_497
.LBB273_489:
	s_mov_b32 s2, -1
                                        ; implicit-def: $vgpr6
	s_branch .LBB273_494
.LBB273_490:
	s_mov_b32 s2, -1
                                        ; implicit-def: $vgpr6
.LBB273_491:
	s_delay_alu instid0(SALU_CYCLE_1)
	s_and_not1_b32 vcc_lo, exec_lo, s2
	s_cbranch_vccnz .LBB273_493
; %bb.492:
	global_load_b32 v6, v[1:2], off
	s_waitcnt vmcnt(0)
	v_bfe_u32 v7, v6, 16, 1
	v_cmp_o_f32_e32 vcc_lo, v6, v6
	s_delay_alu instid0(VALU_DEP_2) | instskip(NEXT) | instid1(VALU_DEP_1)
	v_add3_u32 v7, v6, v7, 0x7fff
	v_lshrrev_b32_e32 v7, 16, v7
	s_delay_alu instid0(VALU_DEP_1)
	v_cndmask_b32_e32 v6, 0x7fc0, v7, vcc_lo
.LBB273_493:
	s_mov_b32 s2, 0
.LBB273_494:
	s_delay_alu instid0(SALU_CYCLE_1)
	s_and_not1_b32 vcc_lo, exec_lo, s2
	s_cbranch_vccnz .LBB273_496
; %bb.495:
	global_load_b32 v6, v[1:2], off
	s_waitcnt vmcnt(0)
	v_cvt_f32_f16_e32 v7, v6
	v_cmp_o_f16_e32 vcc_lo, v6, v6
	s_delay_alu instid0(VALU_DEP_2) | instskip(NEXT) | instid1(VALU_DEP_1)
	v_bfe_u32 v8, v7, 16, 1
	v_add3_u32 v7, v7, v8, 0x7fff
	s_delay_alu instid0(VALU_DEP_1) | instskip(NEXT) | instid1(VALU_DEP_1)
	v_lshrrev_b32_e32 v7, 16, v7
	v_cndmask_b32_e32 v6, 0x7fc0, v7, vcc_lo
.LBB273_496:
	s_mov_b32 s2, 0
.LBB273_497:
	s_delay_alu instid0(SALU_CYCLE_1)
	s_and_not1_b32 vcc_lo, exec_lo, s2
	s_cbranch_vccnz .LBB273_508
; %bb.498:
	v_cmp_gt_i16_e32 vcc_lo, 6, v4
	s_cbranch_vccnz .LBB273_501
; %bb.499:
	v_cmp_lt_i16_e32 vcc_lo, 6, v4
	s_cbranch_vccz .LBB273_502
; %bb.500:
	global_load_b64 v[6:7], v[1:2], off
	s_mov_b32 s2, 0
	s_waitcnt vmcnt(0)
	v_cvt_f32_f64_e32 v6, v[6:7]
	s_delay_alu instid0(VALU_DEP_1) | instskip(SKIP_1) | instid1(VALU_DEP_2)
	v_bfe_u32 v7, v6, 16, 1
	v_cmp_o_f32_e32 vcc_lo, v6, v6
	v_add3_u32 v7, v6, v7, 0x7fff
	s_delay_alu instid0(VALU_DEP_1) | instskip(NEXT) | instid1(VALU_DEP_1)
	v_lshrrev_b32_e32 v7, 16, v7
	v_cndmask_b32_e32 v6, 0x7fc0, v7, vcc_lo
	s_branch .LBB273_503
.LBB273_501:
	s_mov_b32 s2, -1
                                        ; implicit-def: $vgpr6
	s_branch .LBB273_506
.LBB273_502:
	s_mov_b32 s2, -1
                                        ; implicit-def: $vgpr6
.LBB273_503:
	s_delay_alu instid0(SALU_CYCLE_1)
	s_and_not1_b32 vcc_lo, exec_lo, s2
	s_cbranch_vccnz .LBB273_505
; %bb.504:
	global_load_b32 v6, v[1:2], off
	s_waitcnt vmcnt(0)
	v_bfe_u32 v7, v6, 16, 1
	v_cmp_o_f32_e32 vcc_lo, v6, v6
	s_delay_alu instid0(VALU_DEP_2) | instskip(NEXT) | instid1(VALU_DEP_1)
	v_add3_u32 v7, v6, v7, 0x7fff
	v_lshrrev_b32_e32 v7, 16, v7
	s_delay_alu instid0(VALU_DEP_1)
	v_cndmask_b32_e32 v6, 0x7fc0, v7, vcc_lo
.LBB273_505:
	s_mov_b32 s2, 0
.LBB273_506:
	s_delay_alu instid0(SALU_CYCLE_1)
	s_and_not1_b32 vcc_lo, exec_lo, s2
	s_cbranch_vccnz .LBB273_508
; %bb.507:
	global_load_u16 v6, v[1:2], off
	s_waitcnt vmcnt(0)
	v_cvt_f32_f16_e32 v7, v6
	v_cmp_o_f16_e32 vcc_lo, v6, v6
	s_delay_alu instid0(VALU_DEP_2) | instskip(NEXT) | instid1(VALU_DEP_1)
	v_bfe_u32 v8, v7, 16, 1
	v_add3_u32 v7, v7, v8, 0x7fff
	s_delay_alu instid0(VALU_DEP_1) | instskip(NEXT) | instid1(VALU_DEP_1)
	v_lshrrev_b32_e32 v7, 16, v7
	v_cndmask_b32_e32 v6, 0x7fc0, v7, vcc_lo
.LBB273_508:
	s_mov_b32 s2, 0
.LBB273_509:
	s_delay_alu instid0(SALU_CYCLE_1)
	s_and_not1_b32 vcc_lo, exec_lo, s2
	s_cbranch_vccnz .LBB273_529
; %bb.510:
	v_cmp_gt_i16_e32 vcc_lo, 2, v4
	s_cbranch_vccnz .LBB273_514
; %bb.511:
	v_cmp_gt_i16_e32 vcc_lo, 3, v4
	s_cbranch_vccnz .LBB273_515
; %bb.512:
	v_cmp_lt_i16_e32 vcc_lo, 3, v4
	s_cbranch_vccz .LBB273_516
; %bb.513:
	global_load_b64 v[6:7], v[1:2], off
	s_mov_b32 s2, 0
	s_waitcnt vmcnt(0)
	v_xor_b32_e32 v8, v6, v7
	v_cls_i32_e32 v9, v7
	s_delay_alu instid0(VALU_DEP_2) | instskip(NEXT) | instid1(VALU_DEP_2)
	v_ashrrev_i32_e32 v8, 31, v8
	v_add_nc_u32_e32 v9, -1, v9
	s_delay_alu instid0(VALU_DEP_2) | instskip(NEXT) | instid1(VALU_DEP_1)
	v_add_nc_u32_e32 v8, 32, v8
	v_min_u32_e32 v8, v9, v8
	s_delay_alu instid0(VALU_DEP_1) | instskip(NEXT) | instid1(VALU_DEP_1)
	v_lshlrev_b64 v[6:7], v8, v[6:7]
	v_min_u32_e32 v6, 1, v6
	s_delay_alu instid0(VALU_DEP_1) | instskip(SKIP_1) | instid1(VALU_DEP_2)
	v_or_b32_e32 v6, v7, v6
	v_sub_nc_u32_e32 v7, 32, v8
	v_cvt_f32_i32_e32 v6, v6
	s_delay_alu instid0(VALU_DEP_1) | instskip(NEXT) | instid1(VALU_DEP_1)
	v_ldexp_f32 v6, v6, v7
	v_bfe_u32 v7, v6, 16, 1
	s_delay_alu instid0(VALU_DEP_1) | instskip(NEXT) | instid1(VALU_DEP_1)
	v_add3_u32 v6, v6, v7, 0x7fff
	v_lshrrev_b32_e32 v6, 16, v6
	s_branch .LBB273_517
.LBB273_514:
	s_mov_b32 s2, -1
                                        ; implicit-def: $vgpr6
	s_branch .LBB273_523
.LBB273_515:
	s_mov_b32 s2, -1
                                        ; implicit-def: $vgpr6
	s_branch .LBB273_520
.LBB273_516:
	s_mov_b32 s2, -1
                                        ; implicit-def: $vgpr6
.LBB273_517:
	s_delay_alu instid0(SALU_CYCLE_1)
	s_and_not1_b32 vcc_lo, exec_lo, s2
	s_cbranch_vccnz .LBB273_519
; %bb.518:
	global_load_b32 v6, v[1:2], off
	s_waitcnt vmcnt(0)
	v_cvt_f32_i32_e32 v6, v6
	s_delay_alu instid0(VALU_DEP_1) | instskip(NEXT) | instid1(VALU_DEP_1)
	v_bfe_u32 v7, v6, 16, 1
	v_add3_u32 v6, v6, v7, 0x7fff
	s_delay_alu instid0(VALU_DEP_1)
	v_lshrrev_b32_e32 v6, 16, v6
.LBB273_519:
	s_mov_b32 s2, 0
.LBB273_520:
	s_delay_alu instid0(SALU_CYCLE_1)
	s_and_not1_b32 vcc_lo, exec_lo, s2
	s_cbranch_vccnz .LBB273_522
; %bb.521:
	global_load_i16 v6, v[1:2], off
	s_waitcnt vmcnt(0)
	v_cvt_f32_i32_e32 v6, v6
	s_delay_alu instid0(VALU_DEP_1) | instskip(NEXT) | instid1(VALU_DEP_1)
	v_bfe_u32 v7, v6, 16, 1
	v_add3_u32 v6, v6, v7, 0x7fff
	s_delay_alu instid0(VALU_DEP_1)
	v_lshrrev_b32_e32 v6, 16, v6
.LBB273_522:
	s_mov_b32 s2, 0
.LBB273_523:
	s_delay_alu instid0(SALU_CYCLE_1)
	s_and_not1_b32 vcc_lo, exec_lo, s2
	s_cbranch_vccnz .LBB273_529
; %bb.524:
	v_cmp_lt_i16_e32 vcc_lo, 0, v4
	s_mov_b32 s2, 0
	s_cbranch_vccz .LBB273_526
; %bb.525:
	global_load_i8 v6, v[1:2], off
	s_waitcnt vmcnt(0)
	v_cvt_f32_i32_e32 v6, v6
	s_delay_alu instid0(VALU_DEP_1) | instskip(NEXT) | instid1(VALU_DEP_1)
	v_bfe_u32 v7, v6, 16, 1
	v_add3_u32 v6, v6, v7, 0x7fff
	s_delay_alu instid0(VALU_DEP_1)
	v_lshrrev_b32_e32 v6, 16, v6
	s_branch .LBB273_527
.LBB273_526:
	s_mov_b32 s2, -1
                                        ; implicit-def: $vgpr6
.LBB273_527:
	s_delay_alu instid0(SALU_CYCLE_1)
	s_and_not1_b32 vcc_lo, exec_lo, s2
	s_cbranch_vccnz .LBB273_529
; %bb.528:
	global_load_u8 v1, v[1:2], off
	s_waitcnt vmcnt(0)
	v_cvt_f32_ubyte0_e32 v1, v1
	s_delay_alu instid0(VALU_DEP_1) | instskip(NEXT) | instid1(VALU_DEP_1)
	v_bfe_u32 v2, v1, 16, 1
	v_add3_u32 v1, v1, v2, 0x7fff
	s_delay_alu instid0(VALU_DEP_1)
	v_lshrrev_b32_e32 v6, 16, v1
.LBB273_529:
	s_branch .LBB273_287
.LBB273_530:
	s_mov_b32 s22, 0
	s_mov_b32 s2, s34
.LBB273_531:
                                        ; implicit-def: $vgpr5
.LBB273_532:
	s_and_not1_b32 s23, s34, exec_lo
	s_and_b32 s2, s2, exec_lo
	s_and_not1_b32 s37, s35, exec_lo
	s_and_b32 s3, s3, exec_lo
	s_or_b32 s38, s23, s2
	s_or_b32 s37, s37, s3
	s_or_not1_b32 s2, s22, exec_lo
.LBB273_533:
	s_or_b32 exec_lo, exec_lo, s39
	s_mov_b32 s3, 0
	s_mov_b32 s23, 0
	;; [unrolled: 1-line block ×3, first 2 shown]
                                        ; implicit-def: $vgpr1_vgpr2
                                        ; implicit-def: $vgpr0
                                        ; implicit-def: $vgpr6
	s_and_saveexec_b32 s39, s2
	s_cbranch_execz .LBB273_905
; %bb.534:
	s_mov_b32 s42, -1
	s_mov_b32 s22, s37
	s_mov_b32 s23, s38
	s_mov_b32 s40, exec_lo
	v_cmpx_gt_i32_e64 s30, v5
	s_cbranch_execz .LBB273_806
; %bb.535:
	s_and_not1_b32 vcc_lo, exec_lo, s27
	s_cbranch_vccnz .LBB273_540
; %bb.536:
	v_dual_mov_b32 v0, 0 :: v_dual_mov_b32 v1, 0
	s_and_not1_b32 vcc_lo, exec_lo, s33
	s_mov_b32 s41, 0
	s_cbranch_vccnz .LBB273_545
; %bb.537:
	v_mov_b32_e32 v0, 0
	s_add_i32 s43, s31, 1
	s_cmp_eq_u32 s25, 2
	s_mov_b32 s42, 0
	s_cbranch_scc1 .LBB273_541
; %bb.538:
	v_dual_mov_b32 v1, 0 :: v_dual_mov_b32 v0, 0
	v_mov_b32_e32 v2, v5
	s_and_b32 s42, s43, 28
	s_mov_b32 s44, 0
	s_mov_b64 s[2:3], s[20:21]
	s_mov_b64 s[22:23], s[16:17]
.LBB273_539:                            ; =>This Inner Loop Header: Depth=1
	s_clause 0x1
	s_load_b256 s[48:55], s[22:23], 0x4
	s_load_b128 s[64:67], s[22:23], 0x24
	s_load_b256 s[56:63], s[2:3], 0x0
	s_add_u32 s22, s22, 48
	s_addc_u32 s23, s23, 0
	s_add_i32 s44, s44, 4
	s_add_u32 s2, s2, 32
	s_addc_u32 s3, s3, 0
	s_cmp_eq_u32 s42, s44
	s_waitcnt vmcnt(0) lgkmcnt(0)
	v_mul_hi_u32 v6, s49, v2
	s_delay_alu instid0(VALU_DEP_1) | instskip(NEXT) | instid1(VALU_DEP_1)
	v_add_nc_u32_e32 v6, v2, v6
	v_lshrrev_b32_e32 v6, s50, v6
	s_delay_alu instid0(VALU_DEP_1) | instskip(SKIP_1) | instid1(VALU_DEP_2)
	v_mul_hi_u32 v7, s52, v6
	v_mul_lo_u32 v9, v6, s48
	v_add_nc_u32_e32 v7, v6, v7
	s_delay_alu instid0(VALU_DEP_2) | instskip(NEXT) | instid1(VALU_DEP_2)
	v_sub_nc_u32_e32 v2, v2, v9
	v_lshrrev_b32_e32 v7, s53, v7
	s_delay_alu instid0(VALU_DEP_2) | instskip(SKIP_1) | instid1(VALU_DEP_3)
	v_mul_lo_u32 v9, v2, s56
	v_mul_lo_u32 v11, v2, s57
	v_mul_hi_u32 v8, s55, v7
	s_delay_alu instid0(VALU_DEP_1) | instskip(NEXT) | instid1(VALU_DEP_1)
	v_add_nc_u32_e32 v8, v7, v8
	v_lshrrev_b32_e32 v8, s64, v8
	s_delay_alu instid0(VALU_DEP_1) | instskip(SKIP_1) | instid1(VALU_DEP_2)
	v_mul_hi_u32 v10, s66, v8
	v_mul_lo_u32 v12, v8, s54
	v_add_nc_u32_e32 v2, v8, v10
	v_mul_lo_u32 v10, v7, s51
	s_delay_alu instid0(VALU_DEP_3) | instskip(NEXT) | instid1(VALU_DEP_3)
	v_sub_nc_u32_e32 v7, v7, v12
	v_lshrrev_b32_e32 v2, s67, v2
	s_delay_alu instid0(VALU_DEP_2) | instskip(SKIP_2) | instid1(VALU_DEP_4)
	v_mul_lo_u32 v12, v7, s60
	v_mul_lo_u32 v7, v7, s61
	v_sub_nc_u32_e32 v6, v6, v10
	v_mul_lo_u32 v13, v2, s65
	s_delay_alu instid0(VALU_DEP_2) | instskip(SKIP_1) | instid1(VALU_DEP_3)
	v_mul_lo_u32 v10, v6, s58
	v_mul_lo_u32 v6, v6, s59
	v_sub_nc_u32_e32 v8, v8, v13
	s_delay_alu instid0(VALU_DEP_3) | instskip(NEXT) | instid1(VALU_DEP_2)
	v_add3_u32 v0, v9, v0, v10
	v_mul_lo_u32 v13, v8, s62
	v_mul_lo_u32 v8, v8, s63
	v_add3_u32 v1, v11, v1, v6
	s_delay_alu instid0(VALU_DEP_3) | instskip(NEXT) | instid1(VALU_DEP_2)
	v_add3_u32 v0, v12, v0, v13
	v_add3_u32 v1, v7, v1, v8
	s_cbranch_scc0 .LBB273_539
	s_branch .LBB273_542
.LBB273_540:
	s_mov_b32 s41, -1
                                        ; implicit-def: $vgpr0
                                        ; implicit-def: $vgpr1
	s_branch .LBB273_545
.LBB273_541:
	v_dual_mov_b32 v2, v5 :: v_dual_mov_b32 v1, 0
.LBB273_542:
	s_and_b32 s43, s43, 3
	s_delay_alu instid0(SALU_CYCLE_1)
	s_cmp_eq_u32 s43, 0
	s_cbranch_scc1 .LBB273_545
; %bb.543:
	s_lshl_b32 s2, s42, 3
	s_mul_i32 s22, s42, 12
	s_add_u32 s2, s2, s16
	s_addc_u32 s3, s17, 0
	s_add_u32 s2, s2, 0xc4
	s_addc_u32 s3, s3, 0
	;; [unrolled: 2-line block ×3, first 2 shown]
	.p2align	6
.LBB273_544:                            ; =>This Inner Loop Header: Depth=1
	s_clause 0x1
	s_load_b64 s[44:45], s[22:23], 0x4
	s_load_b32 s42, s[22:23], 0xc
	s_load_b64 s[46:47], s[2:3], 0x0
	s_add_u32 s22, s22, 12
	s_addc_u32 s23, s23, 0
	s_add_u32 s2, s2, 8
	s_addc_u32 s3, s3, 0
	s_add_i32 s43, s43, -1
	s_delay_alu instid0(SALU_CYCLE_1) | instskip(SKIP_2) | instid1(VALU_DEP_1)
	s_cmp_lg_u32 s43, 0
	s_waitcnt vmcnt(0) lgkmcnt(0)
	v_mul_hi_u32 v6, s45, v2
	v_add_nc_u32_e32 v6, v2, v6
	s_delay_alu instid0(VALU_DEP_1) | instskip(NEXT) | instid1(VALU_DEP_1)
	v_lshrrev_b32_e32 v9, s42, v6
	v_mul_lo_u32 v6, v9, s44
	s_delay_alu instid0(VALU_DEP_1) | instskip(NEXT) | instid1(VALU_DEP_1)
	v_sub_nc_u32_e32 v2, v2, v6
	v_mad_u64_u32 v[6:7], null, v2, s46, v[0:1]
	v_mad_u64_u32 v[7:8], null, v2, s47, v[1:2]
	v_mov_b32_e32 v2, v9
	s_delay_alu instid0(VALU_DEP_2)
	v_dual_mov_b32 v0, v6 :: v_dual_mov_b32 v1, v7
	s_cbranch_scc1 .LBB273_544
.LBB273_545:
	s_and_not1_b32 vcc_lo, exec_lo, s41
	s_cbranch_vccnz .LBB273_548
; %bb.546:
	s_waitcnt lgkmcnt(0)
	v_mul_hi_u32 v0, s13, v5
	s_and_not1_b32 vcc_lo, exec_lo, s29
	s_delay_alu instid0(VALU_DEP_1) | instskip(NEXT) | instid1(VALU_DEP_1)
	v_add_nc_u32_e32 v0, v5, v0
	v_lshrrev_b32_e32 v2, s14, v0
	s_delay_alu instid0(VALU_DEP_1) | instskip(NEXT) | instid1(VALU_DEP_1)
	v_mul_lo_u32 v0, v2, s12
	v_sub_nc_u32_e32 v1, v5, v0
	s_delay_alu instid0(VALU_DEP_1)
	v_mul_lo_u32 v0, v1, s8
	v_mul_lo_u32 v1, v1, s9
	s_cbranch_vccnz .LBB273_548
; %bb.547:
	s_waitcnt vmcnt(0)
	v_mul_hi_u32 v6, s18, v2
	s_delay_alu instid0(VALU_DEP_1) | instskip(NEXT) | instid1(VALU_DEP_1)
	v_add_nc_u32_e32 v6, v2, v6
	v_lshrrev_b32_e32 v6, s19, v6
	s_delay_alu instid0(VALU_DEP_1) | instskip(NEXT) | instid1(VALU_DEP_1)
	v_mul_lo_u32 v6, v6, s15
	v_sub_nc_u32_e32 v2, v2, v6
	s_delay_alu instid0(VALU_DEP_1) | instskip(SKIP_1) | instid1(VALU_DEP_1)
	v_mad_u64_u32 v[6:7], null, v2, s10, v[0:1]
	v_mad_u64_u32 v[7:8], null, v2, s11, v[1:2]
	v_dual_mov_b32 v0, v6 :: v_dual_mov_b32 v1, v7
.LBB273_548:
	v_cmp_gt_i16_e32 vcc_lo, 11, v4
	s_waitcnt lgkmcnt(0)
	s_delay_alu instid0(VALU_DEP_2) | instskip(NEXT) | instid1(VALU_DEP_1)
	v_add_co_u32 v1, s2, s6, v1
	v_add_co_ci_u32_e64 v2, null, s7, 0, s2
	s_mov_b32 s2, 0
	s_cbranch_vccnz .LBB273_555
; %bb.549:
	v_cmp_lt_i16_e32 vcc_lo, 25, v4
	s_cbranch_vccz .LBB273_556
; %bb.550:
	v_cmp_lt_i16_e32 vcc_lo, 28, v4
	s_cbranch_vccz .LBB273_557
; %bb.551:
	v_cmp_lt_i16_e32 vcc_lo, 43, v4
	s_cbranch_vccz .LBB273_558
; %bb.552:
	v_cmp_lt_i16_e32 vcc_lo, 45, v4
	s_cbranch_vccz .LBB273_561
; %bb.553:
	v_cmp_eq_u16_e32 vcc_lo, 46, v4
	s_mov_b32 s22, 0
	s_cbranch_vccz .LBB273_564
; %bb.554:
	global_load_b32 v6, v[1:2], off
	s_mov_b32 s2, -1
	s_mov_b32 s3, 0
	s_branch .LBB273_566
.LBB273_555:
	s_mov_b32 s22, -1
	s_mov_b32 s3, s37
                                        ; implicit-def: $vgpr6
	s_branch .LBB273_631
.LBB273_556:
	s_mov_b32 s22, -1
	s_mov_b32 s3, s37
                                        ; implicit-def: $vgpr6
	s_branch .LBB273_595
.LBB273_557:
	s_mov_b32 s22, -1
	s_mov_b32 s3, s37
                                        ; implicit-def: $vgpr6
	s_branch .LBB273_576
.LBB273_558:
	s_mov_b32 s22, -1
	s_mov_b32 s3, s37
                                        ; implicit-def: $vgpr6
	s_branch .LBB273_571
.LBB273_559:
	s_or_saveexec_b32 s37, s37
                                        ; implicit-def: $sgpr38
	s_delay_alu instid0(SALU_CYCLE_1)
	s_xor_b32 exec_lo, exec_lo, s37
	s_cbranch_execz .LBB273_370
.LBB273_560:
	v_add_f32_e64 v8, 0x46000000, |v9|
	s_and_not1_b32 s23, s23, exec_lo
	s_mov_b32 s38, 0
	s_delay_alu instid0(VALU_DEP_1) | instskip(NEXT) | instid1(VALU_DEP_1)
	v_and_b32_e32 v8, 0xff, v8
	v_cmp_ne_u32_e32 vcc_lo, 0, v8
	s_and_b32 s40, vcc_lo, exec_lo
	s_delay_alu instid0(SALU_CYCLE_1)
	s_or_b32 s23, s23, s40
	s_or_b32 exec_lo, exec_lo, s37
	v_mov_b32_e32 v10, s38
	s_and_saveexec_b32 s37, s23
	s_cbranch_execnz .LBB273_371
	s_branch .LBB273_372
.LBB273_561:
	s_mov_b32 s22, -1
	s_mov_b32 s3, s37
	s_branch .LBB273_565
.LBB273_562:
	s_or_saveexec_b32 s37, s37
                                        ; implicit-def: $sgpr38
	s_delay_alu instid0(SALU_CYCLE_1)
	s_xor_b32 exec_lo, exec_lo, s37
	s_cbranch_execz .LBB273_383
.LBB273_563:
	v_add_f32_e64 v8, 0x42800000, |v9|
	s_and_not1_b32 s23, s23, exec_lo
	s_mov_b32 s38, 0
	s_delay_alu instid0(VALU_DEP_1) | instskip(NEXT) | instid1(VALU_DEP_1)
	v_and_b32_e32 v8, 0xff, v8
	v_cmp_ne_u32_e32 vcc_lo, 0, v8
	s_and_b32 s40, vcc_lo, exec_lo
	s_delay_alu instid0(SALU_CYCLE_1)
	s_or_b32 s23, s23, s40
	s_or_b32 exec_lo, exec_lo, s37
	v_mov_b32_e32 v10, s38
	s_and_saveexec_b32 s37, s23
	s_cbranch_execnz .LBB273_384
	s_branch .LBB273_385
.LBB273_564:
	s_mov_b32 s3, -1
.LBB273_565:
                                        ; implicit-def: $vgpr6
.LBB273_566:
	s_and_b32 vcc_lo, exec_lo, s22
	s_cbranch_vccz .LBB273_570
; %bb.567:
	v_cmp_eq_u16_e32 vcc_lo, 44, v4
	s_cbranch_vccz .LBB273_569
; %bb.568:
	global_load_u8 v6, v[1:2], off
	s_mov_b32 s3, 0
	s_mov_b32 s2, -1
	s_waitcnt vmcnt(0)
	v_lshlrev_b32_e32 v7, 23, v6
	v_cmp_ne_u32_e32 vcc_lo, 0xff, v6
	s_delay_alu instid0(VALU_DEP_2) | instskip(SKIP_1) | instid1(VALU_DEP_2)
	v_cndmask_b32_e32 v7, 0x7f800001, v7, vcc_lo
	v_cmp_ne_u32_e32 vcc_lo, 0, v6
	v_cndmask_b32_e32 v6, 0x400000, v7, vcc_lo
	s_delay_alu instid0(VALU_DEP_1) | instskip(SKIP_1) | instid1(VALU_DEP_2)
	v_add_nc_u32_e32 v7, 0x7fff, v6
	v_cmp_o_f32_e32 vcc_lo, v6, v6
	v_lshrrev_b32_e32 v7, 16, v7
	s_delay_alu instid0(VALU_DEP_1)
	v_cndmask_b32_e32 v6, 0x7fc0, v7, vcc_lo
	s_branch .LBB273_570
.LBB273_569:
	s_mov_b32 s3, -1
                                        ; implicit-def: $vgpr6
.LBB273_570:
	s_mov_b32 s22, 0
.LBB273_571:
	s_delay_alu instid0(SALU_CYCLE_1)
	s_and_b32 vcc_lo, exec_lo, s22
	s_cbranch_vccz .LBB273_575
; %bb.572:
	v_cmp_eq_u16_e32 vcc_lo, 29, v4
	s_cbranch_vccz .LBB273_574
; %bb.573:
	global_load_b64 v[6:7], v[1:2], off
	s_mov_b32 s2, -1
	s_mov_b32 s3, 0
	s_mov_b32 s22, 0
	s_waitcnt vmcnt(0)
	v_clz_i32_u32_e32 v8, v7
	s_delay_alu instid0(VALU_DEP_1) | instskip(NEXT) | instid1(VALU_DEP_1)
	v_min_u32_e32 v8, 32, v8
	v_lshlrev_b64 v[6:7], v8, v[6:7]
	s_delay_alu instid0(VALU_DEP_1) | instskip(NEXT) | instid1(VALU_DEP_1)
	v_min_u32_e32 v6, 1, v6
	v_or_b32_e32 v6, v7, v6
	v_sub_nc_u32_e32 v7, 32, v8
	s_delay_alu instid0(VALU_DEP_2) | instskip(NEXT) | instid1(VALU_DEP_1)
	v_cvt_f32_u32_e32 v6, v6
	v_ldexp_f32 v6, v6, v7
	s_delay_alu instid0(VALU_DEP_1) | instskip(NEXT) | instid1(VALU_DEP_1)
	v_bfe_u32 v7, v6, 16, 1
	v_add3_u32 v6, v6, v7, 0x7fff
	s_delay_alu instid0(VALU_DEP_1)
	v_lshrrev_b32_e32 v6, 16, v6
	s_branch .LBB273_576
.LBB273_574:
	s_mov_b32 s3, -1
                                        ; implicit-def: $vgpr6
.LBB273_575:
	s_mov_b32 s22, 0
.LBB273_576:
	s_delay_alu instid0(SALU_CYCLE_1)
	s_and_b32 vcc_lo, exec_lo, s22
	s_cbranch_vccz .LBB273_594
; %bb.577:
	v_cmp_gt_i16_e32 vcc_lo, 27, v4
	s_cbranch_vccnz .LBB273_580
; %bb.578:
	v_cmp_lt_i16_e32 vcc_lo, 27, v4
	s_cbranch_vccz .LBB273_581
; %bb.579:
	global_load_b32 v6, v[1:2], off
	s_mov_b32 s2, 0
	s_waitcnt vmcnt(0)
	v_cvt_f32_u32_e32 v6, v6
	s_delay_alu instid0(VALU_DEP_1) | instskip(NEXT) | instid1(VALU_DEP_1)
	v_bfe_u32 v7, v6, 16, 1
	v_add3_u32 v6, v6, v7, 0x7fff
	s_delay_alu instid0(VALU_DEP_1)
	v_lshrrev_b32_e32 v6, 16, v6
	s_branch .LBB273_582
.LBB273_580:
	s_mov_b32 s2, -1
                                        ; implicit-def: $vgpr6
	s_branch .LBB273_585
.LBB273_581:
	s_mov_b32 s2, -1
                                        ; implicit-def: $vgpr6
.LBB273_582:
	s_delay_alu instid0(SALU_CYCLE_1)
	s_and_not1_b32 vcc_lo, exec_lo, s2
	s_cbranch_vccnz .LBB273_584
; %bb.583:
	global_load_u16 v6, v[1:2], off
	s_waitcnt vmcnt(0)
	v_cvt_f32_u32_e32 v6, v6
	s_delay_alu instid0(VALU_DEP_1) | instskip(NEXT) | instid1(VALU_DEP_1)
	v_bfe_u32 v7, v6, 16, 1
	v_add3_u32 v6, v6, v7, 0x7fff
	s_delay_alu instid0(VALU_DEP_1)
	v_lshrrev_b32_e32 v6, 16, v6
.LBB273_584:
	s_mov_b32 s2, 0
.LBB273_585:
	s_delay_alu instid0(SALU_CYCLE_1)
	s_and_not1_b32 vcc_lo, exec_lo, s2
	s_cbranch_vccnz .LBB273_593
; %bb.586:
	global_load_u8 v6, v[1:2], off
	s_mov_b32 s2, 0
	s_mov_b32 s23, exec_lo
                                        ; implicit-def: $sgpr22
	s_waitcnt vmcnt(0)
	v_cmpx_lt_i16_e32 0x7f, v6
	s_xor_b32 s23, exec_lo, s23
	s_cbranch_execz .LBB273_607
; %bb.587:
	s_mov_b32 s2, -1
	s_mov_b32 s41, exec_lo
                                        ; implicit-def: $sgpr22
	v_cmpx_eq_u16_e32 0x80, v6
; %bb.588:
	s_mov_b32 s22, 0x7f800001
	s_xor_b32 s2, exec_lo, -1
; %bb.589:
	s_or_b32 exec_lo, exec_lo, s41
	s_delay_alu instid0(SALU_CYCLE_1)
	s_and_b32 s2, s2, exec_lo
	s_or_saveexec_b32 s23, s23
	v_mov_b32_e32 v7, s22
	s_xor_b32 exec_lo, exec_lo, s23
	s_cbranch_execnz .LBB273_608
.LBB273_590:
	s_or_b32 exec_lo, exec_lo, s23
	s_and_saveexec_b32 s22, s2
	s_cbranch_execz .LBB273_592
.LBB273_591:
	v_and_b32_e32 v7, 0xffff, v6
	v_lshlrev_b32_e32 v6, 24, v6
	s_delay_alu instid0(VALU_DEP_2) | instskip(NEXT) | instid1(VALU_DEP_2)
	v_and_b32_e32 v8, 7, v7
	v_and_b32_e32 v6, 0x80000000, v6
	s_delay_alu instid0(VALU_DEP_2) | instskip(NEXT) | instid1(VALU_DEP_1)
	v_clz_i32_u32_e32 v9, v8
	v_min_u32_e32 v9, 32, v9
	s_delay_alu instid0(VALU_DEP_1) | instskip(SKIP_1) | instid1(VALU_DEP_2)
	v_subrev_nc_u32_e32 v10, 28, v9
	v_sub_nc_u32_e32 v9, 29, v9
	v_lshlrev_b32_e32 v10, v10, v7
	v_bfe_u32 v7, v7, 3, 4
	s_delay_alu instid0(VALU_DEP_2) | instskip(NEXT) | instid1(VALU_DEP_2)
	v_and_b32_e32 v10, 7, v10
	v_cmp_eq_u32_e32 vcc_lo, 0, v7
	s_delay_alu instid0(VALU_DEP_2) | instskip(NEXT) | instid1(VALU_DEP_1)
	v_dual_cndmask_b32 v7, v7, v9 :: v_dual_cndmask_b32 v8, v8, v10
	v_lshl_add_u32 v7, v7, 23, 0x3b800000
	s_delay_alu instid0(VALU_DEP_2) | instskip(NEXT) | instid1(VALU_DEP_1)
	v_lshlrev_b32_e32 v8, 20, v8
	v_or3_b32 v7, v6, v7, v8
.LBB273_592:
	s_or_b32 exec_lo, exec_lo, s22
	s_delay_alu instid0(VALU_DEP_1) | instskip(SKIP_1) | instid1(VALU_DEP_2)
	v_bfe_u32 v6, v7, 16, 1
	v_cmp_o_f32_e32 vcc_lo, v7, v7
	v_add3_u32 v6, v7, v6, 0x7fff
	s_delay_alu instid0(VALU_DEP_1) | instskip(NEXT) | instid1(VALU_DEP_1)
	v_lshrrev_b32_e32 v6, 16, v6
	v_cndmask_b32_e32 v6, 0x7fc0, v6, vcc_lo
.LBB273_593:
	s_mov_b32 s2, -1
.LBB273_594:
	s_mov_b32 s22, 0
.LBB273_595:
	s_delay_alu instid0(SALU_CYCLE_1)
	s_and_b32 vcc_lo, exec_lo, s22
	s_cbranch_vccz .LBB273_630
; %bb.596:
	v_cmp_lt_i16_e32 vcc_lo, 22, v4
	s_cbranch_vccz .LBB273_606
; %bb.597:
	v_cmp_gt_i16_e32 vcc_lo, 24, v4
	s_cbranch_vccnz .LBB273_609
; %bb.598:
	v_cmp_lt_i16_e32 vcc_lo, 24, v4
	s_cbranch_vccz .LBB273_610
; %bb.599:
	global_load_u8 v6, v[1:2], off
	s_mov_b32 s2, 0
	s_mov_b32 s23, exec_lo
                                        ; implicit-def: $sgpr22
	s_waitcnt vmcnt(0)
	v_cmpx_lt_i16_e32 0x7f, v6
	s_xor_b32 s23, exec_lo, s23
	s_cbranch_execz .LBB273_622
; %bb.600:
	s_mov_b32 s2, -1
	s_mov_b32 s41, exec_lo
                                        ; implicit-def: $sgpr22
	v_cmpx_eq_u16_e32 0x80, v6
; %bb.601:
	s_mov_b32 s22, 0x7f800001
	s_xor_b32 s2, exec_lo, -1
; %bb.602:
	s_or_b32 exec_lo, exec_lo, s41
	s_delay_alu instid0(SALU_CYCLE_1)
	s_and_b32 s2, s2, exec_lo
	s_or_saveexec_b32 s23, s23
	v_mov_b32_e32 v7, s22
	s_xor_b32 exec_lo, exec_lo, s23
	s_cbranch_execnz .LBB273_623
.LBB273_603:
	s_or_b32 exec_lo, exec_lo, s23
	s_and_saveexec_b32 s22, s2
	s_cbranch_execz .LBB273_605
.LBB273_604:
	v_and_b32_e32 v7, 0xffff, v6
	v_lshlrev_b32_e32 v6, 24, v6
	s_delay_alu instid0(VALU_DEP_2) | instskip(NEXT) | instid1(VALU_DEP_2)
	v_and_b32_e32 v8, 3, v7
	v_and_b32_e32 v6, 0x80000000, v6
	s_delay_alu instid0(VALU_DEP_2) | instskip(NEXT) | instid1(VALU_DEP_1)
	v_clz_i32_u32_e32 v9, v8
	v_min_u32_e32 v9, 32, v9
	s_delay_alu instid0(VALU_DEP_1) | instskip(SKIP_1) | instid1(VALU_DEP_2)
	v_subrev_nc_u32_e32 v10, 29, v9
	v_sub_nc_u32_e32 v9, 30, v9
	v_lshlrev_b32_e32 v10, v10, v7
	v_bfe_u32 v7, v7, 2, 5
	s_delay_alu instid0(VALU_DEP_2) | instskip(NEXT) | instid1(VALU_DEP_2)
	v_and_b32_e32 v10, 3, v10
	v_cmp_eq_u32_e32 vcc_lo, 0, v7
	s_delay_alu instid0(VALU_DEP_2) | instskip(NEXT) | instid1(VALU_DEP_1)
	v_dual_cndmask_b32 v7, v7, v9 :: v_dual_cndmask_b32 v8, v8, v10
	v_lshl_add_u32 v7, v7, 23, 0x37800000
	s_delay_alu instid0(VALU_DEP_2) | instskip(NEXT) | instid1(VALU_DEP_1)
	v_lshlrev_b32_e32 v8, 21, v8
	v_or3_b32 v7, v6, v7, v8
.LBB273_605:
	s_or_b32 exec_lo, exec_lo, s22
	s_delay_alu instid0(VALU_DEP_1) | instskip(SKIP_2) | instid1(VALU_DEP_2)
	v_bfe_u32 v6, v7, 16, 1
	v_cmp_o_f32_e32 vcc_lo, v7, v7
	s_mov_b32 s2, 0
	v_add3_u32 v6, v7, v6, 0x7fff
	s_delay_alu instid0(VALU_DEP_1) | instskip(NEXT) | instid1(VALU_DEP_1)
	v_lshrrev_b32_e32 v6, 16, v6
	v_cndmask_b32_e32 v6, 0x7fc0, v6, vcc_lo
	s_branch .LBB273_611
.LBB273_606:
	s_mov_b32 s22, -1
                                        ; implicit-def: $vgpr6
	s_branch .LBB273_617
.LBB273_607:
	s_or_saveexec_b32 s23, s23
	v_mov_b32_e32 v7, s22
	s_xor_b32 exec_lo, exec_lo, s23
	s_cbranch_execz .LBB273_590
.LBB273_608:
	v_cmp_ne_u16_e32 vcc_lo, 0, v6
	v_mov_b32_e32 v7, 0
	s_and_not1_b32 s2, s2, exec_lo
	s_and_b32 s22, vcc_lo, exec_lo
	s_delay_alu instid0(SALU_CYCLE_1)
	s_or_b32 s2, s2, s22
	s_or_b32 exec_lo, exec_lo, s23
	s_and_saveexec_b32 s22, s2
	s_cbranch_execnz .LBB273_591
	s_branch .LBB273_592
.LBB273_609:
	s_mov_b32 s2, -1
                                        ; implicit-def: $vgpr6
	s_branch .LBB273_614
.LBB273_610:
	s_mov_b32 s2, -1
                                        ; implicit-def: $vgpr6
.LBB273_611:
	s_delay_alu instid0(SALU_CYCLE_1)
	s_and_b32 vcc_lo, exec_lo, s2
	s_cbranch_vccz .LBB273_613
; %bb.612:
	global_load_u8 v6, v[1:2], off
	s_waitcnt vmcnt(0)
	v_lshlrev_b32_e32 v6, 24, v6
	s_delay_alu instid0(VALU_DEP_1) | instskip(NEXT) | instid1(VALU_DEP_1)
	v_and_b32_e32 v7, 0x7f000000, v6
	v_clz_i32_u32_e32 v8, v7
	v_add_nc_u32_e32 v10, 0x1000000, v7
	v_cmp_ne_u32_e32 vcc_lo, 0, v7
	s_delay_alu instid0(VALU_DEP_3) | instskip(NEXT) | instid1(VALU_DEP_1)
	v_min_u32_e32 v8, 32, v8
	v_sub_nc_u32_e64 v8, v8, 4 clamp
	s_delay_alu instid0(VALU_DEP_1) | instskip(SKIP_1) | instid1(VALU_DEP_2)
	v_lshlrev_b32_e32 v9, v8, v7
	v_lshlrev_b32_e32 v8, 23, v8
	v_lshrrev_b32_e32 v9, 4, v9
	s_delay_alu instid0(VALU_DEP_1) | instskip(SKIP_1) | instid1(VALU_DEP_2)
	v_sub_nc_u32_e32 v8, v9, v8
	v_ashrrev_i32_e32 v9, 8, v10
	v_add_nc_u32_e32 v8, 0x3c000000, v8
	s_delay_alu instid0(VALU_DEP_1) | instskip(NEXT) | instid1(VALU_DEP_1)
	v_and_or_b32 v8, 0x7f800000, v9, v8
	v_cndmask_b32_e32 v7, 0, v8, vcc_lo
	s_delay_alu instid0(VALU_DEP_1) | instskip(SKIP_1) | instid1(VALU_DEP_2)
	v_and_or_b32 v6, 0x80000000, v6, v7
	v_bfe_u32 v7, v7, 16, 1
	v_cmp_o_f32_e32 vcc_lo, v6, v6
	s_delay_alu instid0(VALU_DEP_2) | instskip(NEXT) | instid1(VALU_DEP_1)
	v_add3_u32 v7, v6, v7, 0x7fff
	v_lshrrev_b32_e32 v7, 16, v7
	s_delay_alu instid0(VALU_DEP_1)
	v_cndmask_b32_e32 v6, 0x7fc0, v7, vcc_lo
.LBB273_613:
	s_mov_b32 s2, 0
.LBB273_614:
	s_delay_alu instid0(SALU_CYCLE_1)
	s_and_not1_b32 vcc_lo, exec_lo, s2
	s_cbranch_vccnz .LBB273_616
; %bb.615:
	global_load_u8 v6, v[1:2], off
	s_waitcnt vmcnt(0)
	v_lshlrev_b32_e32 v7, 25, v6
	v_lshlrev_b16 v6, 8, v6
	s_delay_alu instid0(VALU_DEP_2) | instskip(NEXT) | instid1(VALU_DEP_2)
	v_lshrrev_b32_e32 v8, 4, v7
	v_and_or_b32 v9, 0x7f00, v6, 0.5
	v_bfe_i32 v6, v6, 0, 16
	s_delay_alu instid0(VALU_DEP_3) | instskip(NEXT) | instid1(VALU_DEP_1)
	v_or_b32_e32 v8, 0x70000000, v8
	v_dual_add_f32 v9, -0.5, v9 :: v_dual_mul_f32 v8, 0x7800000, v8
	v_cmp_gt_u32_e32 vcc_lo, 0x8000000, v7
	s_delay_alu instid0(VALU_DEP_2) | instskip(NEXT) | instid1(VALU_DEP_1)
	v_cndmask_b32_e32 v7, v8, v9, vcc_lo
	v_and_or_b32 v6, 0x80000000, v6, v7
	v_bfe_u32 v7, v7, 16, 1
	s_delay_alu instid0(VALU_DEP_2) | instskip(NEXT) | instid1(VALU_DEP_2)
	v_cmp_o_f32_e32 vcc_lo, v6, v6
	v_add3_u32 v7, v6, v7, 0x7fff
	s_delay_alu instid0(VALU_DEP_1) | instskip(NEXT) | instid1(VALU_DEP_1)
	v_lshrrev_b32_e32 v7, 16, v7
	v_cndmask_b32_e32 v6, 0x7fc0, v7, vcc_lo
.LBB273_616:
	s_mov_b32 s22, 0
	s_mov_b32 s2, -1
.LBB273_617:
	s_and_not1_b32 vcc_lo, exec_lo, s22
	s_cbranch_vccnz .LBB273_630
; %bb.618:
	v_cmp_lt_i16_e32 vcc_lo, 14, v4
	s_cbranch_vccz .LBB273_621
; %bb.619:
	v_cmp_eq_u16_e32 vcc_lo, 15, v4
	s_cbranch_vccz .LBB273_624
; %bb.620:
	global_load_u16 v6, v[1:2], off
	s_mov_b32 s2, -1
	s_mov_b32 s3, 0
	s_branch .LBB273_625
.LBB273_621:
	s_mov_b32 s22, -1
                                        ; implicit-def: $vgpr6
	s_branch .LBB273_626
.LBB273_622:
	s_or_saveexec_b32 s23, s23
	v_mov_b32_e32 v7, s22
	s_xor_b32 exec_lo, exec_lo, s23
	s_cbranch_execz .LBB273_603
.LBB273_623:
	v_cmp_ne_u16_e32 vcc_lo, 0, v6
	v_mov_b32_e32 v7, 0
	s_and_not1_b32 s2, s2, exec_lo
	s_and_b32 s22, vcc_lo, exec_lo
	s_delay_alu instid0(SALU_CYCLE_1)
	s_or_b32 s2, s2, s22
	s_or_b32 exec_lo, exec_lo, s23
	s_and_saveexec_b32 s22, s2
	s_cbranch_execnz .LBB273_604
	s_branch .LBB273_605
.LBB273_624:
	s_mov_b32 s3, -1
                                        ; implicit-def: $vgpr6
.LBB273_625:
	s_mov_b32 s22, 0
.LBB273_626:
	s_delay_alu instid0(SALU_CYCLE_1)
	s_and_b32 vcc_lo, exec_lo, s22
	s_cbranch_vccz .LBB273_630
; %bb.627:
	v_cmp_eq_u16_e32 vcc_lo, 11, v4
	s_cbranch_vccz .LBB273_629
; %bb.628:
	global_load_u8 v6, v[1:2], off
	s_mov_b32 s3, 0
	s_mov_b32 s2, -1
	s_waitcnt vmcnt(0)
	v_cmp_ne_u16_e32 vcc_lo, 0, v6
	v_cndmask_b32_e64 v6, 0, 1.0, vcc_lo
	s_delay_alu instid0(VALU_DEP_1)
	v_lshrrev_b32_e32 v6, 16, v6
	s_branch .LBB273_630
.LBB273_629:
	s_mov_b32 s3, -1
                                        ; implicit-def: $vgpr6
.LBB273_630:
	s_mov_b32 s22, 0
.LBB273_631:
	s_delay_alu instid0(SALU_CYCLE_1)
	s_and_b32 vcc_lo, exec_lo, s22
	s_cbranch_vccz .LBB273_680
; %bb.632:
	v_cmp_gt_i16_e32 vcc_lo, 5, v4
	s_cbranch_vccnz .LBB273_637
; %bb.633:
	v_cmp_gt_i16_e32 vcc_lo, 8, v4
	s_cbranch_vccnz .LBB273_638
	;; [unrolled: 3-line block ×3, first 2 shown]
; %bb.635:
	v_cmp_lt_i16_e32 vcc_lo, 9, v4
	s_cbranch_vccz .LBB273_640
; %bb.636:
	global_load_b64 v[6:7], v[1:2], off
	s_mov_b32 s2, 0
	s_waitcnt vmcnt(0)
	v_cvt_f32_f64_e32 v6, v[6:7]
	s_delay_alu instid0(VALU_DEP_1) | instskip(SKIP_1) | instid1(VALU_DEP_2)
	v_bfe_u32 v7, v6, 16, 1
	v_cmp_o_f32_e32 vcc_lo, v6, v6
	v_add3_u32 v7, v6, v7, 0x7fff
	s_delay_alu instid0(VALU_DEP_1) | instskip(NEXT) | instid1(VALU_DEP_1)
	v_lshrrev_b32_e32 v7, 16, v7
	v_cndmask_b32_e32 v6, 0x7fc0, v7, vcc_lo
	s_branch .LBB273_641
.LBB273_637:
	s_mov_b32 s2, -1
                                        ; implicit-def: $vgpr6
	s_branch .LBB273_659
.LBB273_638:
	s_mov_b32 s2, -1
                                        ; implicit-def: $vgpr6
	s_branch .LBB273_647
.LBB273_639:
	s_mov_b32 s2, -1
                                        ; implicit-def: $vgpr6
	s_branch .LBB273_644
.LBB273_640:
	s_mov_b32 s2, -1
                                        ; implicit-def: $vgpr6
.LBB273_641:
	s_delay_alu instid0(SALU_CYCLE_1)
	s_and_not1_b32 vcc_lo, exec_lo, s2
	s_cbranch_vccnz .LBB273_643
; %bb.642:
	global_load_b32 v6, v[1:2], off
	s_waitcnt vmcnt(0)
	v_bfe_u32 v7, v6, 16, 1
	v_cmp_o_f32_e32 vcc_lo, v6, v6
	s_delay_alu instid0(VALU_DEP_2) | instskip(NEXT) | instid1(VALU_DEP_1)
	v_add3_u32 v7, v6, v7, 0x7fff
	v_lshrrev_b32_e32 v7, 16, v7
	s_delay_alu instid0(VALU_DEP_1)
	v_cndmask_b32_e32 v6, 0x7fc0, v7, vcc_lo
.LBB273_643:
	s_mov_b32 s2, 0
.LBB273_644:
	s_delay_alu instid0(SALU_CYCLE_1)
	s_and_not1_b32 vcc_lo, exec_lo, s2
	s_cbranch_vccnz .LBB273_646
; %bb.645:
	global_load_b32 v6, v[1:2], off
	s_waitcnt vmcnt(0)
	v_cvt_f32_f16_e32 v7, v6
	v_cmp_o_f16_e32 vcc_lo, v6, v6
	s_delay_alu instid0(VALU_DEP_2) | instskip(NEXT) | instid1(VALU_DEP_1)
	v_bfe_u32 v8, v7, 16, 1
	v_add3_u32 v7, v7, v8, 0x7fff
	s_delay_alu instid0(VALU_DEP_1) | instskip(NEXT) | instid1(VALU_DEP_1)
	v_lshrrev_b32_e32 v7, 16, v7
	v_cndmask_b32_e32 v6, 0x7fc0, v7, vcc_lo
.LBB273_646:
	s_mov_b32 s2, 0
.LBB273_647:
	s_delay_alu instid0(SALU_CYCLE_1)
	s_and_not1_b32 vcc_lo, exec_lo, s2
	s_cbranch_vccnz .LBB273_658
; %bb.648:
	v_cmp_gt_i16_e32 vcc_lo, 6, v4
	s_cbranch_vccnz .LBB273_651
; %bb.649:
	v_cmp_lt_i16_e32 vcc_lo, 6, v4
	s_cbranch_vccz .LBB273_652
; %bb.650:
	global_load_b64 v[6:7], v[1:2], off
	s_mov_b32 s2, 0
	s_waitcnt vmcnt(0)
	v_cvt_f32_f64_e32 v6, v[6:7]
	s_delay_alu instid0(VALU_DEP_1) | instskip(SKIP_1) | instid1(VALU_DEP_2)
	v_bfe_u32 v7, v6, 16, 1
	v_cmp_o_f32_e32 vcc_lo, v6, v6
	v_add3_u32 v7, v6, v7, 0x7fff
	s_delay_alu instid0(VALU_DEP_1) | instskip(NEXT) | instid1(VALU_DEP_1)
	v_lshrrev_b32_e32 v7, 16, v7
	v_cndmask_b32_e32 v6, 0x7fc0, v7, vcc_lo
	s_branch .LBB273_653
.LBB273_651:
	s_mov_b32 s2, -1
                                        ; implicit-def: $vgpr6
	s_branch .LBB273_656
.LBB273_652:
	s_mov_b32 s2, -1
                                        ; implicit-def: $vgpr6
.LBB273_653:
	s_delay_alu instid0(SALU_CYCLE_1)
	s_and_not1_b32 vcc_lo, exec_lo, s2
	s_cbranch_vccnz .LBB273_655
; %bb.654:
	global_load_b32 v6, v[1:2], off
	s_waitcnt vmcnt(0)
	v_bfe_u32 v7, v6, 16, 1
	v_cmp_o_f32_e32 vcc_lo, v6, v6
	s_delay_alu instid0(VALU_DEP_2) | instskip(NEXT) | instid1(VALU_DEP_1)
	v_add3_u32 v7, v6, v7, 0x7fff
	v_lshrrev_b32_e32 v7, 16, v7
	s_delay_alu instid0(VALU_DEP_1)
	v_cndmask_b32_e32 v6, 0x7fc0, v7, vcc_lo
.LBB273_655:
	s_mov_b32 s2, 0
.LBB273_656:
	s_delay_alu instid0(SALU_CYCLE_1)
	s_and_not1_b32 vcc_lo, exec_lo, s2
	s_cbranch_vccnz .LBB273_658
; %bb.657:
	global_load_u16 v6, v[1:2], off
	s_waitcnt vmcnt(0)
	v_cvt_f32_f16_e32 v7, v6
	v_cmp_o_f16_e32 vcc_lo, v6, v6
	s_delay_alu instid0(VALU_DEP_2) | instskip(NEXT) | instid1(VALU_DEP_1)
	v_bfe_u32 v8, v7, 16, 1
	v_add3_u32 v7, v7, v8, 0x7fff
	s_delay_alu instid0(VALU_DEP_1) | instskip(NEXT) | instid1(VALU_DEP_1)
	v_lshrrev_b32_e32 v7, 16, v7
	v_cndmask_b32_e32 v6, 0x7fc0, v7, vcc_lo
.LBB273_658:
	s_mov_b32 s2, 0
.LBB273_659:
	s_delay_alu instid0(SALU_CYCLE_1)
	s_and_not1_b32 vcc_lo, exec_lo, s2
	s_cbranch_vccnz .LBB273_679
; %bb.660:
	v_cmp_gt_i16_e32 vcc_lo, 2, v4
	s_cbranch_vccnz .LBB273_664
; %bb.661:
	v_cmp_gt_i16_e32 vcc_lo, 3, v4
	s_cbranch_vccnz .LBB273_665
; %bb.662:
	v_cmp_lt_i16_e32 vcc_lo, 3, v4
	s_cbranch_vccz .LBB273_666
; %bb.663:
	global_load_b64 v[6:7], v[1:2], off
	s_mov_b32 s2, 0
	s_waitcnt vmcnt(0)
	v_xor_b32_e32 v8, v6, v7
	v_cls_i32_e32 v9, v7
	s_delay_alu instid0(VALU_DEP_2) | instskip(NEXT) | instid1(VALU_DEP_2)
	v_ashrrev_i32_e32 v8, 31, v8
	v_add_nc_u32_e32 v9, -1, v9
	s_delay_alu instid0(VALU_DEP_2) | instskip(NEXT) | instid1(VALU_DEP_1)
	v_add_nc_u32_e32 v8, 32, v8
	v_min_u32_e32 v8, v9, v8
	s_delay_alu instid0(VALU_DEP_1) | instskip(NEXT) | instid1(VALU_DEP_1)
	v_lshlrev_b64 v[6:7], v8, v[6:7]
	v_min_u32_e32 v6, 1, v6
	s_delay_alu instid0(VALU_DEP_1) | instskip(SKIP_1) | instid1(VALU_DEP_2)
	v_or_b32_e32 v6, v7, v6
	v_sub_nc_u32_e32 v7, 32, v8
	v_cvt_f32_i32_e32 v6, v6
	s_delay_alu instid0(VALU_DEP_1) | instskip(NEXT) | instid1(VALU_DEP_1)
	v_ldexp_f32 v6, v6, v7
	v_bfe_u32 v7, v6, 16, 1
	s_delay_alu instid0(VALU_DEP_1) | instskip(NEXT) | instid1(VALU_DEP_1)
	v_add3_u32 v6, v6, v7, 0x7fff
	v_lshrrev_b32_e32 v6, 16, v6
	s_branch .LBB273_667
.LBB273_664:
	s_mov_b32 s2, -1
                                        ; implicit-def: $vgpr6
	s_branch .LBB273_673
.LBB273_665:
	s_mov_b32 s2, -1
                                        ; implicit-def: $vgpr6
	s_branch .LBB273_670
.LBB273_666:
	s_mov_b32 s2, -1
                                        ; implicit-def: $vgpr6
.LBB273_667:
	s_delay_alu instid0(SALU_CYCLE_1)
	s_and_not1_b32 vcc_lo, exec_lo, s2
	s_cbranch_vccnz .LBB273_669
; %bb.668:
	global_load_b32 v6, v[1:2], off
	s_waitcnt vmcnt(0)
	v_cvt_f32_i32_e32 v6, v6
	s_delay_alu instid0(VALU_DEP_1) | instskip(NEXT) | instid1(VALU_DEP_1)
	v_bfe_u32 v7, v6, 16, 1
	v_add3_u32 v6, v6, v7, 0x7fff
	s_delay_alu instid0(VALU_DEP_1)
	v_lshrrev_b32_e32 v6, 16, v6
.LBB273_669:
	s_mov_b32 s2, 0
.LBB273_670:
	s_delay_alu instid0(SALU_CYCLE_1)
	s_and_not1_b32 vcc_lo, exec_lo, s2
	s_cbranch_vccnz .LBB273_672
; %bb.671:
	global_load_i16 v6, v[1:2], off
	s_waitcnt vmcnt(0)
	v_cvt_f32_i32_e32 v6, v6
	s_delay_alu instid0(VALU_DEP_1) | instskip(NEXT) | instid1(VALU_DEP_1)
	v_bfe_u32 v7, v6, 16, 1
	v_add3_u32 v6, v6, v7, 0x7fff
	s_delay_alu instid0(VALU_DEP_1)
	v_lshrrev_b32_e32 v6, 16, v6
.LBB273_672:
	s_mov_b32 s2, 0
.LBB273_673:
	s_delay_alu instid0(SALU_CYCLE_1)
	s_and_not1_b32 vcc_lo, exec_lo, s2
	s_cbranch_vccnz .LBB273_679
; %bb.674:
	v_cmp_lt_i16_e32 vcc_lo, 0, v4
	s_mov_b32 s2, 0
	s_cbranch_vccz .LBB273_676
; %bb.675:
	global_load_i8 v6, v[1:2], off
	s_waitcnt vmcnt(0)
	v_cvt_f32_i32_e32 v6, v6
	s_delay_alu instid0(VALU_DEP_1) | instskip(NEXT) | instid1(VALU_DEP_1)
	v_bfe_u32 v7, v6, 16, 1
	v_add3_u32 v6, v6, v7, 0x7fff
	s_delay_alu instid0(VALU_DEP_1)
	v_lshrrev_b32_e32 v6, 16, v6
	s_branch .LBB273_677
.LBB273_676:
	s_mov_b32 s2, -1
                                        ; implicit-def: $vgpr6
.LBB273_677:
	s_delay_alu instid0(SALU_CYCLE_1)
	s_and_not1_b32 vcc_lo, exec_lo, s2
	s_cbranch_vccnz .LBB273_679
; %bb.678:
	global_load_u8 v1, v[1:2], off
	s_waitcnt vmcnt(0)
	v_cvt_f32_ubyte0_e32 v1, v1
	s_delay_alu instid0(VALU_DEP_1) | instskip(NEXT) | instid1(VALU_DEP_1)
	v_bfe_u32 v2, v1, 16, 1
	v_add3_u32 v1, v1, v2, 0x7fff
	s_delay_alu instid0(VALU_DEP_1)
	v_lshrrev_b32_e32 v6, 16, v1
.LBB273_679:
	s_mov_b32 s2, -1
.LBB273_680:
	s_delay_alu instid0(SALU_CYCLE_1)
	s_and_not1_b32 vcc_lo, exec_lo, s2
	s_cbranch_vccnz .LBB273_688
; %bb.681:
	s_waitcnt vmcnt(0)
	v_lshlrev_b32_e32 v1, 16, v6
	s_mov_b32 s23, -1
	s_mov_b32 s22, 0
	s_delay_alu instid0(VALU_DEP_1) | instskip(SKIP_1) | instid1(VALU_DEP_2)
	v_mul_f32_e32 v2, 0x4f800000, v1
	v_cmp_gt_f32_e32 vcc_lo, 0xf800000, v1
	v_cndmask_b32_e32 v1, v1, v2, vcc_lo
	s_delay_alu instid0(VALU_DEP_1) | instskip(SKIP_3) | instid1(VALU_DEP_2)
	v_sqrt_f32_e32 v2, v1
	s_waitcnt_depctr 0xfff
	v_add_nc_u32_e32 v6, -1, v2
	v_add_nc_u32_e32 v7, 1, v2
	v_fma_f32 v8, -v6, v2, v1
	s_delay_alu instid0(VALU_DEP_2) | instskip(NEXT) | instid1(VALU_DEP_2)
	v_fma_f32 v9, -v7, v2, v1
	v_cmp_ge_f32_e64 s2, 0, v8
	s_delay_alu instid0(VALU_DEP_1) | instskip(NEXT) | instid1(VALU_DEP_3)
	v_cndmask_b32_e64 v2, v2, v6, s2
	v_cmp_lt_f32_e64 s2, 0, v9
	s_delay_alu instid0(VALU_DEP_1) | instskip(SKIP_1) | instid1(VALU_DEP_2)
	v_cndmask_b32_e64 v2, v2, v7, s2
	v_add_co_u32 v0, s2, s4, v0
	v_mul_f32_e32 v6, 0x37800000, v2
	s_delay_alu instid0(VALU_DEP_1) | instskip(SKIP_2) | instid1(VALU_DEP_3)
	v_cndmask_b32_e32 v2, v2, v6, vcc_lo
	v_and_b32_e32 v6, 0xff, v3
	v_cmp_class_f32_e64 vcc_lo, v1, 0x260
	v_cndmask_b32_e32 v2, v2, v1, vcc_lo
	s_delay_alu instid0(VALU_DEP_3) | instskip(NEXT) | instid1(VALU_DEP_2)
	v_cmp_gt_i16_e32 vcc_lo, 11, v6
	v_bfe_u32 v1, v2, 16, 1
	s_delay_alu instid0(VALU_DEP_4) | instskip(NEXT) | instid1(VALU_DEP_1)
	s_and_b32 vcc_lo, exec_lo, vcc_lo
	v_add3_u32 v1, v2, v1, 0x7fff
	s_delay_alu instid0(VALU_DEP_1) | instskip(SKIP_2) | instid1(VALU_DEP_1)
	v_lshrrev_b32_e32 v7, 16, v1
	v_add_co_ci_u32_e64 v1, null, s5, 0, s2
	v_cmp_o_f32_e64 s2, v2, v2
	v_cndmask_b32_e64 v2, 0x7fc0, v7, s2
	s_mov_b32 s2, s38
	s_cbranch_vccnz .LBB273_689
; %bb.682:
	v_cmp_lt_i16_e32 vcc_lo, 25, v6
	s_cbranch_vccz .LBB273_730
; %bb.683:
	v_cmp_lt_i16_e32 vcc_lo, 28, v6
	s_cbranch_vccz .LBB273_731
	;; [unrolled: 3-line block ×4, first 2 shown]
; %bb.686:
	v_cmp_eq_u16_e32 vcc_lo, 46, v6
	s_mov_b32 s23, 0
	s_mov_b32 s2, -1
	s_cbranch_vccz .LBB273_734
; %bb.687:
	v_and_b32_e32 v7, 0xffff, v2
	s_mov_b32 s22, -1
	s_mov_b32 s2, 0
	global_store_b32 v[0:1], v7, off
	s_branch .LBB273_734
.LBB273_688:
	s_mov_b32 s41, 0
	s_mov_b32 s2, s38
	s_branch .LBB273_729
.LBB273_689:
	s_and_b32 vcc_lo, exec_lo, s23
	s_cbranch_vccz .LBB273_803
; %bb.690:
	v_cmp_gt_i16_e32 vcc_lo, 5, v6
	s_mov_b32 s22, -1
	s_cbranch_vccnz .LBB273_711
; %bb.691:
	v_cmp_gt_i16_e32 vcc_lo, 8, v6
	s_cbranch_vccnz .LBB273_701
; %bb.692:
	v_cmp_gt_i16_e32 vcc_lo, 9, v6
	s_cbranch_vccnz .LBB273_698
; %bb.693:
	v_cmp_lt_i16_e32 vcc_lo, 9, v6
	s_cbranch_vccz .LBB273_695
; %bb.694:
	v_mov_b32_e32 v9, 0
	v_lshlrev_b32_e32 v7, 16, v2
	s_mov_b32 s22, 0
	s_delay_alu instid0(VALU_DEP_2) | instskip(NEXT) | instid1(VALU_DEP_2)
	v_mov_b32_e32 v10, v9
	v_cvt_f64_f32_e32 v[7:8], v7
	global_store_b128 v[0:1], v[7:10], off
.LBB273_695:
	s_and_not1_b32 vcc_lo, exec_lo, s22
	s_cbranch_vccnz .LBB273_697
; %bb.696:
	v_dual_mov_b32 v8, 0 :: v_dual_lshlrev_b32 v7, 16, v2
	global_store_b64 v[0:1], v[7:8], off
.LBB273_697:
	s_mov_b32 s22, 0
.LBB273_698:
	s_delay_alu instid0(SALU_CYCLE_1)
	s_and_not1_b32 vcc_lo, exec_lo, s22
	s_cbranch_vccnz .LBB273_700
; %bb.699:
	v_lshlrev_b32_e32 v7, 16, v2
	s_delay_alu instid0(VALU_DEP_1) | instskip(NEXT) | instid1(VALU_DEP_1)
	v_cvt_f16_f32_e32 v7, v7
	v_and_b32_e32 v7, 0xffff, v7
	global_store_b32 v[0:1], v7, off
.LBB273_700:
	s_mov_b32 s22, 0
.LBB273_701:
	s_delay_alu instid0(SALU_CYCLE_1)
	s_and_not1_b32 vcc_lo, exec_lo, s22
	s_cbranch_vccnz .LBB273_710
; %bb.702:
	v_cmp_gt_i16_e32 vcc_lo, 6, v6
	s_mov_b32 s22, -1
	s_cbranch_vccnz .LBB273_708
; %bb.703:
	v_cmp_lt_i16_e32 vcc_lo, 6, v6
	s_cbranch_vccz .LBB273_705
; %bb.704:
	v_lshlrev_b32_e32 v7, 16, v2
	s_mov_b32 s22, 0
	s_delay_alu instid0(VALU_DEP_1)
	v_cvt_f64_f32_e32 v[7:8], v7
	global_store_b64 v[0:1], v[7:8], off
.LBB273_705:
	s_and_not1_b32 vcc_lo, exec_lo, s22
	s_cbranch_vccnz .LBB273_707
; %bb.706:
	v_lshlrev_b32_e32 v7, 16, v2
	global_store_b32 v[0:1], v7, off
.LBB273_707:
	s_mov_b32 s22, 0
.LBB273_708:
	s_delay_alu instid0(SALU_CYCLE_1)
	s_and_not1_b32 vcc_lo, exec_lo, s22
	s_cbranch_vccnz .LBB273_710
; %bb.709:
	v_lshlrev_b32_e32 v7, 16, v2
	s_delay_alu instid0(VALU_DEP_1)
	v_cvt_f16_f32_e32 v7, v7
	global_store_b16 v[0:1], v7, off
.LBB273_710:
	s_mov_b32 s22, 0
.LBB273_711:
	s_delay_alu instid0(SALU_CYCLE_1)
	s_and_not1_b32 vcc_lo, exec_lo, s22
	s_cbranch_vccnz .LBB273_727
; %bb.712:
	v_cmp_gt_i16_e32 vcc_lo, 2, v6
	s_mov_b32 s22, -1
	s_cbranch_vccnz .LBB273_722
; %bb.713:
	v_cmp_gt_i16_e32 vcc_lo, 3, v6
	s_cbranch_vccnz .LBB273_719
; %bb.714:
	v_cmp_lt_i16_e32 vcc_lo, 3, v6
	s_cbranch_vccz .LBB273_716
; %bb.715:
	v_lshlrev_b32_e32 v7, 16, v2
	s_mov_b32 s22, 0
	s_delay_alu instid0(VALU_DEP_1) | instskip(NEXT) | instid1(VALU_DEP_1)
	v_trunc_f32_e32 v7, v7
	v_mul_f32_e64 v8, 0x2f800000, |v7|
	v_ashrrev_i32_e32 v10, 31, v7
	s_delay_alu instid0(VALU_DEP_2) | instskip(NEXT) | instid1(VALU_DEP_1)
	v_floor_f32_e32 v8, v8
	v_fma_f32 v9, 0xcf800000, v8, |v7|
	v_cvt_u32_f32_e32 v8, v8
	s_delay_alu instid0(VALU_DEP_2) | instskip(NEXT) | instid1(VALU_DEP_2)
	v_cvt_u32_f32_e32 v7, v9
	v_xor_b32_e32 v8, v8, v10
	s_delay_alu instid0(VALU_DEP_2) | instskip(NEXT) | instid1(VALU_DEP_1)
	v_xor_b32_e32 v7, v7, v10
	v_sub_co_u32 v7, vcc_lo, v7, v10
	s_delay_alu instid0(VALU_DEP_3)
	v_sub_co_ci_u32_e32 v8, vcc_lo, v8, v10, vcc_lo
	global_store_b64 v[0:1], v[7:8], off
.LBB273_716:
	s_and_not1_b32 vcc_lo, exec_lo, s22
	s_cbranch_vccnz .LBB273_718
; %bb.717:
	v_lshlrev_b32_e32 v7, 16, v2
	s_delay_alu instid0(VALU_DEP_1)
	v_cvt_i32_f32_e32 v7, v7
	global_store_b32 v[0:1], v7, off
.LBB273_718:
	s_mov_b32 s22, 0
.LBB273_719:
	s_delay_alu instid0(SALU_CYCLE_1)
	s_and_not1_b32 vcc_lo, exec_lo, s22
	s_cbranch_vccnz .LBB273_721
; %bb.720:
	v_lshlrev_b32_e32 v7, 16, v2
	s_delay_alu instid0(VALU_DEP_1)
	v_cvt_i32_f32_e32 v7, v7
	global_store_b16 v[0:1], v7, off
.LBB273_721:
	s_mov_b32 s22, 0
.LBB273_722:
	s_delay_alu instid0(SALU_CYCLE_1)
	s_and_not1_b32 vcc_lo, exec_lo, s22
	s_cbranch_vccnz .LBB273_727
; %bb.723:
	v_cmp_lt_i16_e32 vcc_lo, 0, v6
	s_mov_b32 s22, -1
	s_cbranch_vccz .LBB273_725
; %bb.724:
	v_lshlrev_b32_e32 v6, 16, v2
	s_mov_b32 s22, 0
	s_delay_alu instid0(VALU_DEP_1)
	v_cvt_i32_f32_e32 v6, v6
	global_store_b8 v[0:1], v6, off
.LBB273_725:
	s_and_not1_b32 vcc_lo, exec_lo, s22
	s_cbranch_vccnz .LBB273_727
; %bb.726:
	v_lshlrev_b32_e32 v2, 16, v2
	s_delay_alu instid0(VALU_DEP_1) | instskip(NEXT) | instid1(VALU_DEP_1)
	v_trunc_f32_e32 v2, v2
	v_mul_f32_e64 v6, 0x2f800000, |v2|
	s_delay_alu instid0(VALU_DEP_1) | instskip(NEXT) | instid1(VALU_DEP_1)
	v_floor_f32_e32 v6, v6
	v_fma_f32 v6, 0xcf800000, v6, |v2|
	v_ashrrev_i32_e32 v2, 31, v2
	s_delay_alu instid0(VALU_DEP_2) | instskip(NEXT) | instid1(VALU_DEP_1)
	v_cvt_u32_f32_e32 v6, v6
	v_xor_b32_e32 v6, v6, v2
	s_delay_alu instid0(VALU_DEP_1)
	v_sub_nc_u32_e32 v2, v6, v2
	global_store_b8 v[0:1], v2, off
.LBB273_727:
	s_branch .LBB273_804
.LBB273_728:
	s_mov_b32 s41, 0
.LBB273_729:
                                        ; implicit-def: $vgpr5
	s_branch .LBB273_805
.LBB273_730:
	s_mov_b32 s2, s38
	s_branch .LBB273_761
.LBB273_731:
	s_mov_b32 s2, s38
	s_branch .LBB273_744
.LBB273_732:
	s_mov_b32 s2, s38
	s_branch .LBB273_740
.LBB273_733:
	s_mov_b32 s2, s38
.LBB273_734:
	s_and_b32 vcc_lo, exec_lo, s23
	s_cbranch_vccz .LBB273_739
; %bb.735:
	v_cmp_eq_u16_e32 vcc_lo, 44, v6
	s_mov_b32 s2, -1
	s_cbranch_vccz .LBB273_739
; %bb.736:
	v_and_b32_e32 v7, 0xffff, v2
	v_mov_b32_e32 v8, 0xff
	s_mov_b32 s22, exec_lo
	s_delay_alu instid0(VALU_DEP_2) | instskip(NEXT) | instid1(VALU_DEP_1)
	v_bfe_u32 v9, v7, 7, 8
	v_cmpx_ne_u32_e32 0xff, v9
; %bb.737:
	v_lshlrev_b32_e32 v8, 16, v7
	v_and_b32_e32 v10, 64, v7
	v_lshrrev_b32_e32 v7, 7, v7
	s_delay_alu instid0(VALU_DEP_3) | instskip(NEXT) | instid1(VALU_DEP_3)
	v_and_or_b32 v8, 0x3f0000, v8, v9
	v_cmp_ne_u32_e32 vcc_lo, 0, v10
	s_delay_alu instid0(VALU_DEP_2) | instskip(NEXT) | instid1(VALU_DEP_1)
	v_cmp_ne_u32_e64 s2, 0, v8
	s_and_b32 s2, vcc_lo, s2
	s_delay_alu instid0(SALU_CYCLE_1) | instskip(NEXT) | instid1(VALU_DEP_1)
	v_cndmask_b32_e64 v8, 0, 1, s2
	v_add_nc_u32_e32 v8, v7, v8
; %bb.738:
	s_or_b32 exec_lo, exec_lo, s22
	s_mov_b32 s22, -1
	s_mov_b32 s2, 0
	global_store_b8 v[0:1], v8, off
.LBB273_739:
	s_mov_b32 s23, 0
.LBB273_740:
	s_delay_alu instid0(SALU_CYCLE_1)
	s_and_b32 vcc_lo, exec_lo, s23
	s_cbranch_vccz .LBB273_743
; %bb.741:
	v_cmp_eq_u16_e32 vcc_lo, 29, v6
	s_mov_b32 s2, -1
	s_cbranch_vccz .LBB273_743
; %bb.742:
	v_lshlrev_b32_e32 v7, 16, v2
	s_mov_b32 s22, -1
	s_mov_b32 s2, 0
	s_mov_b32 s23, 0
	s_delay_alu instid0(VALU_DEP_1) | instskip(NEXT) | instid1(VALU_DEP_1)
	v_trunc_f32_e32 v7, v7
	v_mul_f32_e32 v8, 0x2f800000, v7
	s_delay_alu instid0(VALU_DEP_1) | instskip(NEXT) | instid1(VALU_DEP_1)
	v_floor_f32_e32 v8, v8
	v_fmamk_f32 v7, v8, 0xcf800000, v7
	v_cvt_u32_f32_e32 v8, v8
	s_delay_alu instid0(VALU_DEP_2)
	v_cvt_u32_f32_e32 v7, v7
	global_store_b64 v[0:1], v[7:8], off
	s_branch .LBB273_744
.LBB273_743:
	s_mov_b32 s23, 0
.LBB273_744:
	s_delay_alu instid0(SALU_CYCLE_1)
	s_and_b32 vcc_lo, exec_lo, s23
	s_cbranch_vccz .LBB273_760
; %bb.745:
	v_cmp_gt_i16_e32 vcc_lo, 27, v6
	s_mov_b32 s22, -1
	s_cbranch_vccnz .LBB273_751
; %bb.746:
	v_cmp_lt_i16_e32 vcc_lo, 27, v6
	s_cbranch_vccz .LBB273_748
; %bb.747:
	v_lshlrev_b32_e32 v7, 16, v2
	s_mov_b32 s22, 0
	s_delay_alu instid0(VALU_DEP_1)
	v_cvt_u32_f32_e32 v7, v7
	global_store_b32 v[0:1], v7, off
.LBB273_748:
	s_and_not1_b32 vcc_lo, exec_lo, s22
	s_cbranch_vccnz .LBB273_750
; %bb.749:
	v_lshlrev_b32_e32 v7, 16, v2
	s_delay_alu instid0(VALU_DEP_1)
	v_cvt_u32_f32_e32 v7, v7
	global_store_b16 v[0:1], v7, off
.LBB273_750:
	s_mov_b32 s22, 0
.LBB273_751:
	s_delay_alu instid0(SALU_CYCLE_1)
	s_and_not1_b32 vcc_lo, exec_lo, s22
	s_cbranch_vccnz .LBB273_759
; %bb.752:
	v_dual_mov_b32 v10, 0x80 :: v_dual_lshlrev_b32 v9, 16, v2
	s_mov_b32 s22, exec_lo
	s_delay_alu instid0(VALU_DEP_1) | instskip(NEXT) | instid1(VALU_DEP_1)
	v_and_b32_e32 v8, 0x7fffffff, v9
	v_cmpx_gt_u32_e32 0x43800000, v8
	s_cbranch_execz .LBB273_758
; %bb.753:
	v_and_b32_e32 v7, 0xffff, v2
	v_cmp_lt_u32_e32 vcc_lo, 0x3bffffff, v8
	s_mov_b32 s23, 0
                                        ; implicit-def: $vgpr8
	s_and_saveexec_b32 s41, vcc_lo
	s_delay_alu instid0(SALU_CYCLE_1)
	s_xor_b32 s41, exec_lo, s41
	s_cbranch_execz .LBB273_832
; %bb.754:
	v_bfe_u32 v8, v7, 4, 1
	s_mov_b32 s23, exec_lo
	s_delay_alu instid0(VALU_DEP_1) | instskip(NEXT) | instid1(VALU_DEP_1)
	v_add3_u32 v8, v9, v8, 0x487ffff
                                        ; implicit-def: $vgpr9
	v_lshrrev_b32_e32 v8, 20, v8
	s_or_saveexec_b32 s41, s41
                                        ; implicit-def: $sgpr42
	s_delay_alu instid0(SALU_CYCLE_1)
	s_xor_b32 exec_lo, exec_lo, s41
	s_cbranch_execnz .LBB273_833
.LBB273_755:
	s_or_b32 exec_lo, exec_lo, s41
	v_mov_b32_e32 v10, s42
	s_and_saveexec_b32 s41, s23
.LBB273_756:
	v_lshrrev_b32_e32 v7, 8, v7
	s_delay_alu instid0(VALU_DEP_1)
	v_and_or_b32 v10, 0x80, v7, v8
.LBB273_757:
	s_or_b32 exec_lo, exec_lo, s41
.LBB273_758:
	s_delay_alu instid0(SALU_CYCLE_1)
	s_or_b32 exec_lo, exec_lo, s22
	global_store_b8 v[0:1], v10, off
.LBB273_759:
	s_mov_b32 s22, -1
.LBB273_760:
	s_mov_b32 s23, 0
.LBB273_761:
	s_delay_alu instid0(SALU_CYCLE_1)
	s_and_b32 vcc_lo, exec_lo, s23
	s_cbranch_vccz .LBB273_802
; %bb.762:
	v_cmp_lt_i16_e32 vcc_lo, 22, v6
	s_mov_b32 s23, -1
	s_cbranch_vccz .LBB273_794
; %bb.763:
	v_cmp_gt_i16_e32 vcc_lo, 24, v6
	s_mov_b32 s22, -1
	s_cbranch_vccnz .LBB273_783
; %bb.764:
	v_cmp_lt_i16_e32 vcc_lo, 24, v6
	s_cbranch_vccz .LBB273_772
; %bb.765:
	v_dual_mov_b32 v10, 0x80 :: v_dual_lshlrev_b32 v9, 16, v2
	s_mov_b32 s22, exec_lo
	s_delay_alu instid0(VALU_DEP_1) | instskip(NEXT) | instid1(VALU_DEP_1)
	v_and_b32_e32 v8, 0x7fffffff, v9
	v_cmpx_gt_u32_e32 0x47800000, v8
	s_cbranch_execz .LBB273_771
; %bb.766:
	v_and_b32_e32 v7, 0xffff, v2
	v_cmp_lt_u32_e32 vcc_lo, 0x37ffffff, v8
	s_mov_b32 s23, 0
                                        ; implicit-def: $vgpr8
	s_and_saveexec_b32 s41, vcc_lo
	s_delay_alu instid0(SALU_CYCLE_1)
	s_xor_b32 s41, exec_lo, s41
	s_cbranch_execz .LBB273_835
; %bb.767:
	v_bfe_u32 v8, v7, 5, 1
	s_mov_b32 s23, exec_lo
	s_delay_alu instid0(VALU_DEP_1) | instskip(NEXT) | instid1(VALU_DEP_1)
	v_add3_u32 v8, v9, v8, 0x88fffff
                                        ; implicit-def: $vgpr9
	v_lshrrev_b32_e32 v8, 21, v8
	s_or_saveexec_b32 s41, s41
                                        ; implicit-def: $sgpr42
	s_delay_alu instid0(SALU_CYCLE_1)
	s_xor_b32 exec_lo, exec_lo, s41
	s_cbranch_execnz .LBB273_836
.LBB273_768:
	s_or_b32 exec_lo, exec_lo, s41
	v_mov_b32_e32 v10, s42
	s_and_saveexec_b32 s41, s23
.LBB273_769:
	v_lshrrev_b32_e32 v7, 8, v7
	s_delay_alu instid0(VALU_DEP_1)
	v_and_or_b32 v10, 0x80, v7, v8
.LBB273_770:
	s_or_b32 exec_lo, exec_lo, s41
.LBB273_771:
	s_delay_alu instid0(SALU_CYCLE_1)
	s_or_b32 exec_lo, exec_lo, s22
	s_mov_b32 s22, 0
	global_store_b8 v[0:1], v10, off
.LBB273_772:
	s_and_b32 vcc_lo, exec_lo, s22
	s_cbranch_vccz .LBB273_782
; %bb.773:
	v_lshlrev_b32_e32 v9, 16, v2
	v_and_b32_e32 v7, 0xffff, v2
	s_mov_b32 s22, exec_lo
                                        ; implicit-def: $vgpr8
	s_delay_alu instid0(VALU_DEP_2) | instskip(NEXT) | instid1(VALU_DEP_1)
	v_and_b32_e32 v10, 0x7fffffff, v9
	v_cmpx_gt_u32_e32 0x43f00000, v10
	s_xor_b32 s22, exec_lo, s22
	s_cbranch_execz .LBB273_779
; %bb.774:
	s_mov_b32 s23, exec_lo
                                        ; implicit-def: $vgpr8
	v_cmpx_lt_u32_e32 0x3c7fffff, v10
	s_xor_b32 s23, exec_lo, s23
; %bb.775:
	v_bfe_u32 v8, v7, 4, 1
	s_delay_alu instid0(VALU_DEP_1) | instskip(NEXT) | instid1(VALU_DEP_1)
	v_add3_u32 v8, v9, v8, 0x407ffff
	v_and_b32_e32 v9, 0xff00000, v8
	v_lshrrev_b32_e32 v8, 20, v8
	s_delay_alu instid0(VALU_DEP_2) | instskip(NEXT) | instid1(VALU_DEP_2)
	v_cmp_ne_u32_e32 vcc_lo, 0x7f00000, v9
                                        ; implicit-def: $vgpr9
	v_cndmask_b32_e32 v8, 0x7e, v8, vcc_lo
; %bb.776:
	s_and_not1_saveexec_b32 s23, s23
; %bb.777:
	v_add_f32_e64 v8, 0x46800000, |v9|
; %bb.778:
	s_or_b32 exec_lo, exec_lo, s23
                                        ; implicit-def: $vgpr10
.LBB273_779:
	s_and_not1_saveexec_b32 s22, s22
; %bb.780:
	v_mov_b32_e32 v8, 0x7f
	v_cmp_lt_u32_e32 vcc_lo, 0x7f800000, v10
	s_delay_alu instid0(VALU_DEP_2)
	v_cndmask_b32_e32 v8, 0x7e, v8, vcc_lo
; %bb.781:
	s_or_b32 exec_lo, exec_lo, s22
	v_lshrrev_b32_e32 v7, 8, v7
	s_delay_alu instid0(VALU_DEP_1)
	v_and_or_b32 v7, 0x80, v7, v8
	global_store_b8 v[0:1], v7, off
.LBB273_782:
	s_mov_b32 s22, 0
.LBB273_783:
	s_delay_alu instid0(SALU_CYCLE_1)
	s_and_not1_b32 vcc_lo, exec_lo, s22
	s_cbranch_vccnz .LBB273_793
; %bb.784:
	v_lshlrev_b32_e32 v9, 16, v2
	v_and_b32_e32 v7, 0xffff, v2
	s_mov_b32 s22, exec_lo
                                        ; implicit-def: $vgpr8
	s_delay_alu instid0(VALU_DEP_2) | instskip(NEXT) | instid1(VALU_DEP_1)
	v_and_b32_e32 v10, 0x7fffffff, v9
	v_cmpx_gt_u32_e32 0x47800000, v10
	s_xor_b32 s22, exec_lo, s22
	s_cbranch_execz .LBB273_790
; %bb.785:
	s_mov_b32 s23, exec_lo
                                        ; implicit-def: $vgpr8
	v_cmpx_lt_u32_e32 0x387fffff, v10
	s_xor_b32 s23, exec_lo, s23
; %bb.786:
	v_bfe_u32 v8, v7, 5, 1
	s_delay_alu instid0(VALU_DEP_1) | instskip(NEXT) | instid1(VALU_DEP_1)
	v_add3_u32 v8, v9, v8, 0x80fffff
                                        ; implicit-def: $vgpr9
	v_lshrrev_b32_e32 v8, 21, v8
; %bb.787:
	s_and_not1_saveexec_b32 s23, s23
; %bb.788:
	v_add_f32_e64 v8, 0x43000000, |v9|
; %bb.789:
	s_or_b32 exec_lo, exec_lo, s23
                                        ; implicit-def: $vgpr10
.LBB273_790:
	s_and_not1_saveexec_b32 s22, s22
; %bb.791:
	v_mov_b32_e32 v8, 0x7f
	v_cmp_lt_u32_e32 vcc_lo, 0x7f800000, v10
	s_delay_alu instid0(VALU_DEP_2)
	v_cndmask_b32_e32 v8, 0x7c, v8, vcc_lo
; %bb.792:
	s_or_b32 exec_lo, exec_lo, s22
	v_lshrrev_b32_e32 v7, 8, v7
	s_delay_alu instid0(VALU_DEP_1)
	v_and_or_b32 v7, 0x80, v7, v8
	global_store_b8 v[0:1], v7, off
.LBB273_793:
	s_mov_b32 s23, 0
	s_mov_b32 s22, -1
.LBB273_794:
	s_and_not1_b32 vcc_lo, exec_lo, s23
	s_cbranch_vccnz .LBB273_802
; %bb.795:
	v_cmp_lt_i16_e32 vcc_lo, 14, v6
	s_mov_b32 s23, -1
	s_cbranch_vccz .LBB273_799
; %bb.796:
	v_cmp_eq_u16_e32 vcc_lo, 15, v6
	s_mov_b32 s2, -1
	s_cbranch_vccz .LBB273_798
; %bb.797:
	s_mov_b32 s22, -1
	s_mov_b32 s2, 0
	global_store_b16 v[0:1], v2, off
.LBB273_798:
	s_mov_b32 s23, 0
.LBB273_799:
	s_delay_alu instid0(SALU_CYCLE_1)
	s_and_b32 vcc_lo, exec_lo, s23
	s_cbranch_vccz .LBB273_802
; %bb.800:
	v_cmp_eq_u16_e32 vcc_lo, 11, v6
	s_mov_b32 s2, -1
	s_cbranch_vccz .LBB273_802
; %bb.801:
	v_and_b32_e32 v7, 0x7fff, v2
	s_mov_b32 s2, 0
	s_mov_b32 s22, -1
	s_delay_alu instid0(VALU_DEP_1)
	v_cmp_ne_u16_e32 vcc_lo, 0, v7
	v_cndmask_b32_e64 v7, 0, 1, vcc_lo
	global_store_b8 v[0:1], v7, off
.LBB273_802:
.LBB273_803:
	s_and_not1_b32 vcc_lo, exec_lo, s22
	s_cbranch_vccnz .LBB273_728
.LBB273_804:
	v_add_nc_u32_e32 v5, 0x80, v5
	s_mov_b32 s41, -1
.LBB273_805:
	s_and_not1_b32 s22, s38, exec_lo
	s_and_b32 s2, s2, exec_lo
	s_and_not1_b32 s42, s37, exec_lo
	s_and_b32 s3, s3, exec_lo
	s_or_b32 s23, s22, s2
	s_or_b32 s22, s42, s3
	s_or_not1_b32 s42, s41, exec_lo
.LBB273_806:
	s_or_b32 exec_lo, exec_lo, s40
	s_mov_b32 s2, 0
	s_mov_b32 s3, 0
	;; [unrolled: 1-line block ×3, first 2 shown]
                                        ; implicit-def: $vgpr1_vgpr2
                                        ; implicit-def: $vgpr0
                                        ; implicit-def: $vgpr6
	s_and_saveexec_b32 s40, s42
	s_cbranch_execz .LBB273_904
; %bb.807:
	v_cmp_gt_i32_e32 vcc_lo, s30, v5
	s_mov_b32 s43, s22
	s_mov_b32 s42, 0
                                        ; implicit-def: $vgpr1_vgpr2
                                        ; implicit-def: $vgpr0
                                        ; implicit-def: $vgpr6
	s_and_saveexec_b32 s30, vcc_lo
	s_cbranch_execz .LBB273_903
; %bb.808:
	s_and_not1_b32 vcc_lo, exec_lo, s27
	s_cbranch_vccnz .LBB273_813
; %bb.809:
	v_dual_mov_b32 v0, 0 :: v_dual_mov_b32 v1, 0
	s_and_not1_b32 vcc_lo, exec_lo, s33
	s_mov_b32 s33, 0
	s_cbranch_vccnz .LBB273_818
; %bb.810:
	v_mov_b32_e32 v0, 0
	s_add_i32 s41, s31, 1
	s_cmp_eq_u32 s25, 2
	s_mov_b32 s31, 0
	s_cbranch_scc1 .LBB273_814
; %bb.811:
	v_dual_mov_b32 v1, 0 :: v_dual_mov_b32 v0, 0
	v_mov_b32_e32 v2, v5
	s_and_b32 s31, s41, 28
	s_mov_b64 s[2:3], s[16:17]
.LBB273_812:                            ; =>This Inner Loop Header: Depth=1
	s_clause 0x1
	s_load_b256 s[44:51], s[2:3], 0x4
	s_load_b128 s[60:63], s[2:3], 0x24
	s_load_b256 s[52:59], s[20:21], 0x0
	s_add_u32 s2, s2, 48
	s_addc_u32 s3, s3, 0
	s_add_i32 s42, s42, 4
	s_add_u32 s20, s20, 32
	s_addc_u32 s21, s21, 0
	s_cmp_eq_u32 s31, s42
	s_waitcnt vmcnt(0) lgkmcnt(0)
	v_mul_hi_u32 v6, s45, v2
	s_delay_alu instid0(VALU_DEP_1) | instskip(NEXT) | instid1(VALU_DEP_1)
	v_add_nc_u32_e32 v6, v2, v6
	v_lshrrev_b32_e32 v6, s46, v6
	s_delay_alu instid0(VALU_DEP_1) | instskip(SKIP_1) | instid1(VALU_DEP_2)
	v_mul_hi_u32 v7, s48, v6
	v_mul_lo_u32 v9, v6, s44
	v_add_nc_u32_e32 v7, v6, v7
	s_delay_alu instid0(VALU_DEP_2) | instskip(NEXT) | instid1(VALU_DEP_2)
	v_sub_nc_u32_e32 v2, v2, v9
	v_lshrrev_b32_e32 v7, s49, v7
	s_delay_alu instid0(VALU_DEP_2) | instskip(SKIP_1) | instid1(VALU_DEP_3)
	v_mul_lo_u32 v9, v2, s52
	v_mul_lo_u32 v11, v2, s53
	v_mul_hi_u32 v8, s51, v7
	s_delay_alu instid0(VALU_DEP_1) | instskip(NEXT) | instid1(VALU_DEP_1)
	v_add_nc_u32_e32 v8, v7, v8
	v_lshrrev_b32_e32 v8, s60, v8
	s_delay_alu instid0(VALU_DEP_1) | instskip(SKIP_1) | instid1(VALU_DEP_2)
	v_mul_hi_u32 v10, s62, v8
	v_mul_lo_u32 v12, v8, s50
	v_add_nc_u32_e32 v2, v8, v10
	v_mul_lo_u32 v10, v7, s47
	s_delay_alu instid0(VALU_DEP_3) | instskip(NEXT) | instid1(VALU_DEP_3)
	v_sub_nc_u32_e32 v7, v7, v12
	v_lshrrev_b32_e32 v2, s63, v2
	s_delay_alu instid0(VALU_DEP_2) | instskip(SKIP_2) | instid1(VALU_DEP_4)
	v_mul_lo_u32 v12, v7, s56
	v_mul_lo_u32 v7, v7, s57
	v_sub_nc_u32_e32 v6, v6, v10
	v_mul_lo_u32 v13, v2, s61
	s_delay_alu instid0(VALU_DEP_2) | instskip(SKIP_1) | instid1(VALU_DEP_3)
	v_mul_lo_u32 v10, v6, s54
	v_mul_lo_u32 v6, v6, s55
	v_sub_nc_u32_e32 v8, v8, v13
	s_delay_alu instid0(VALU_DEP_3) | instskip(NEXT) | instid1(VALU_DEP_2)
	v_add3_u32 v0, v9, v0, v10
	v_mul_lo_u32 v13, v8, s58
	v_mul_lo_u32 v8, v8, s59
	v_add3_u32 v1, v11, v1, v6
	s_delay_alu instid0(VALU_DEP_3) | instskip(NEXT) | instid1(VALU_DEP_2)
	v_add3_u32 v0, v12, v0, v13
	v_add3_u32 v1, v7, v1, v8
	s_cbranch_scc0 .LBB273_812
	s_branch .LBB273_815
.LBB273_813:
	s_mov_b32 s33, -1
                                        ; implicit-def: $vgpr0
                                        ; implicit-def: $vgpr1
	s_branch .LBB273_818
.LBB273_814:
	v_dual_mov_b32 v2, v5 :: v_dual_mov_b32 v1, 0
.LBB273_815:
	s_and_b32 s41, s41, 3
	s_delay_alu instid0(SALU_CYCLE_1)
	s_cmp_eq_u32 s41, 0
	s_cbranch_scc1 .LBB273_818
; %bb.816:
	s_lshl_b32 s2, s31, 3
	s_mul_i32 s20, s31, 12
	s_add_u32 s2, s2, s16
	s_addc_u32 s3, s17, 0
	s_add_u32 s2, s2, 0xc4
	s_addc_u32 s3, s3, 0
	;; [unrolled: 2-line block ×3, first 2 shown]
.LBB273_817:                            ; =>This Inner Loop Header: Depth=1
	s_clause 0x1
	s_load_b64 s[42:43], s[20:21], 0x4
	s_load_b32 s31, s[20:21], 0xc
	s_load_b64 s[44:45], s[2:3], 0x0
	s_add_u32 s20, s20, 12
	s_addc_u32 s21, s21, 0
	s_add_u32 s2, s2, 8
	s_addc_u32 s3, s3, 0
	s_add_i32 s41, s41, -1
	s_delay_alu instid0(SALU_CYCLE_1) | instskip(SKIP_2) | instid1(VALU_DEP_1)
	s_cmp_lg_u32 s41, 0
	s_waitcnt vmcnt(0) lgkmcnt(0)
	v_mul_hi_u32 v6, s43, v2
	v_add_nc_u32_e32 v6, v2, v6
	s_delay_alu instid0(VALU_DEP_1) | instskip(NEXT) | instid1(VALU_DEP_1)
	v_lshrrev_b32_e32 v9, s31, v6
	v_mul_lo_u32 v6, v9, s42
	s_delay_alu instid0(VALU_DEP_1) | instskip(NEXT) | instid1(VALU_DEP_1)
	v_sub_nc_u32_e32 v2, v2, v6
	v_mad_u64_u32 v[6:7], null, v2, s44, v[0:1]
	v_mad_u64_u32 v[7:8], null, v2, s45, v[1:2]
	v_mov_b32_e32 v2, v9
	s_delay_alu instid0(VALU_DEP_2)
	v_dual_mov_b32 v0, v6 :: v_dual_mov_b32 v1, v7
	s_cbranch_scc1 .LBB273_817
.LBB273_818:
	s_and_not1_b32 vcc_lo, exec_lo, s33
	s_cbranch_vccnz .LBB273_821
; %bb.819:
	s_waitcnt lgkmcnt(0)
	v_mul_hi_u32 v0, s13, v5
	s_and_not1_b32 vcc_lo, exec_lo, s29
	s_delay_alu instid0(VALU_DEP_1) | instskip(NEXT) | instid1(VALU_DEP_1)
	v_add_nc_u32_e32 v0, v5, v0
	v_lshrrev_b32_e32 v2, s14, v0
	s_delay_alu instid0(VALU_DEP_1) | instskip(NEXT) | instid1(VALU_DEP_1)
	v_mul_lo_u32 v0, v2, s12
	v_sub_nc_u32_e32 v1, v5, v0
	s_delay_alu instid0(VALU_DEP_1)
	v_mul_lo_u32 v0, v1, s8
	v_mul_lo_u32 v1, v1, s9
	s_cbranch_vccnz .LBB273_821
; %bb.820:
	v_mul_hi_u32 v5, s18, v2
	s_delay_alu instid0(VALU_DEP_1) | instskip(NEXT) | instid1(VALU_DEP_1)
	v_add_nc_u32_e32 v5, v2, v5
	v_lshrrev_b32_e32 v5, s19, v5
	s_delay_alu instid0(VALU_DEP_1) | instskip(NEXT) | instid1(VALU_DEP_1)
	v_mul_lo_u32 v5, v5, s15
	v_sub_nc_u32_e32 v2, v2, v5
	s_waitcnt vmcnt(0)
	s_delay_alu instid0(VALU_DEP_1) | instskip(SKIP_1) | instid1(VALU_DEP_1)
	v_mad_u64_u32 v[5:6], null, v2, s10, v[0:1]
	v_mad_u64_u32 v[6:7], null, v2, s11, v[1:2]
	v_dual_mov_b32 v0, v5 :: v_dual_mov_b32 v1, v6
.LBB273_821:
	v_cmp_gt_i16_e32 vcc_lo, 11, v4
	s_waitcnt lgkmcnt(0)
	s_delay_alu instid0(VALU_DEP_2) | instskip(NEXT) | instid1(VALU_DEP_1)
	v_add_co_u32 v1, s2, s6, v1
	v_add_co_ci_u32_e64 v2, null, s7, 0, s2
	s_mov_b32 s6, 0
	s_cbranch_vccnz .LBB273_828
; %bb.822:
	v_cmp_lt_i16_e32 vcc_lo, 25, v4
	s_mov_b32 s3, 0
	s_cbranch_vccz .LBB273_829
; %bb.823:
	v_cmp_lt_i16_e32 vcc_lo, 28, v4
	s_cbranch_vccz .LBB273_830
; %bb.824:
	v_cmp_lt_i16_e32 vcc_lo, 43, v4
	;; [unrolled: 3-line block ×3, first 2 shown]
	s_cbranch_vccz .LBB273_834
; %bb.826:
	v_cmp_eq_u16_e32 vcc_lo, 46, v4
	s_mov_b32 s7, 0
	s_cbranch_vccz .LBB273_837
; %bb.827:
	global_load_b32 v6, v[1:2], off
	s_mov_b32 s2, 0
	s_mov_b32 s6, -1
	s_branch .LBB273_839
.LBB273_828:
	s_mov_b32 s7, -1
	s_mov_b32 s3, 0
	s_mov_b32 s2, s22
                                        ; implicit-def: $vgpr6
	s_branch .LBB273_902
.LBB273_829:
	s_mov_b32 s7, -1
	s_mov_b32 s2, s22
                                        ; implicit-def: $vgpr6
	s_branch .LBB273_868
.LBB273_830:
	s_mov_b32 s7, -1
	s_mov_b32 s2, s22
                                        ; implicit-def: $vgpr6
	s_branch .LBB273_849
.LBB273_831:
	s_mov_b32 s7, -1
	s_mov_b32 s2, s22
                                        ; implicit-def: $vgpr6
	s_branch .LBB273_844
.LBB273_832:
	s_or_saveexec_b32 s41, s41
                                        ; implicit-def: $sgpr42
	s_delay_alu instid0(SALU_CYCLE_1)
	s_xor_b32 exec_lo, exec_lo, s41
	s_cbranch_execz .LBB273_755
.LBB273_833:
	v_add_f32_e64 v8, 0x46000000, |v9|
	s_and_not1_b32 s23, s23, exec_lo
	s_mov_b32 s42, 0
	s_delay_alu instid0(VALU_DEP_1) | instskip(NEXT) | instid1(VALU_DEP_1)
	v_and_b32_e32 v8, 0xff, v8
	v_cmp_ne_u32_e32 vcc_lo, 0, v8
	s_and_b32 s43, vcc_lo, exec_lo
	s_delay_alu instid0(SALU_CYCLE_1)
	s_or_b32 s23, s23, s43
	s_or_b32 exec_lo, exec_lo, s41
	v_mov_b32_e32 v10, s42
	s_and_saveexec_b32 s41, s23
	s_cbranch_execnz .LBB273_756
	s_branch .LBB273_757
.LBB273_834:
	s_mov_b32 s7, -1
	s_mov_b32 s2, s22
	s_branch .LBB273_838
.LBB273_835:
	s_or_saveexec_b32 s41, s41
                                        ; implicit-def: $sgpr42
	s_delay_alu instid0(SALU_CYCLE_1)
	s_xor_b32 exec_lo, exec_lo, s41
	s_cbranch_execz .LBB273_768
.LBB273_836:
	v_add_f32_e64 v8, 0x42800000, |v9|
	s_and_not1_b32 s23, s23, exec_lo
	s_mov_b32 s42, 0
	s_delay_alu instid0(VALU_DEP_1) | instskip(NEXT) | instid1(VALU_DEP_1)
	v_and_b32_e32 v8, 0xff, v8
	v_cmp_ne_u32_e32 vcc_lo, 0, v8
	s_and_b32 s43, vcc_lo, exec_lo
	s_delay_alu instid0(SALU_CYCLE_1)
	s_or_b32 s23, s23, s43
	s_or_b32 exec_lo, exec_lo, s41
	v_mov_b32_e32 v10, s42
	s_and_saveexec_b32 s41, s23
	s_cbranch_execnz .LBB273_769
	s_branch .LBB273_770
.LBB273_837:
	s_mov_b32 s2, -1
.LBB273_838:
                                        ; implicit-def: $vgpr6
.LBB273_839:
	s_and_b32 vcc_lo, exec_lo, s7
	s_cbranch_vccz .LBB273_843
; %bb.840:
	v_cmp_eq_u16_e32 vcc_lo, 44, v4
	s_cbranch_vccz .LBB273_842
; %bb.841:
	global_load_u8 v5, v[1:2], off
	s_mov_b32 s2, 0
	s_mov_b32 s6, -1
	s_waitcnt vmcnt(0)
	v_lshlrev_b32_e32 v6, 23, v5
	v_cmp_ne_u32_e32 vcc_lo, 0xff, v5
	s_delay_alu instid0(VALU_DEP_2) | instskip(SKIP_1) | instid1(VALU_DEP_2)
	v_cndmask_b32_e32 v6, 0x7f800001, v6, vcc_lo
	v_cmp_ne_u32_e32 vcc_lo, 0, v5
	v_cndmask_b32_e32 v5, 0x400000, v6, vcc_lo
	s_delay_alu instid0(VALU_DEP_1) | instskip(SKIP_1) | instid1(VALU_DEP_2)
	v_add_nc_u32_e32 v6, 0x7fff, v5
	v_cmp_o_f32_e32 vcc_lo, v5, v5
	v_lshrrev_b32_e32 v6, 16, v6
	s_delay_alu instid0(VALU_DEP_1)
	v_cndmask_b32_e32 v6, 0x7fc0, v6, vcc_lo
	s_branch .LBB273_843
.LBB273_842:
	s_mov_b32 s2, -1
                                        ; implicit-def: $vgpr6
.LBB273_843:
	s_mov_b32 s7, 0
.LBB273_844:
	s_delay_alu instid0(SALU_CYCLE_1)
	s_and_b32 vcc_lo, exec_lo, s7
	s_cbranch_vccz .LBB273_848
; %bb.845:
	v_cmp_eq_u16_e32 vcc_lo, 29, v4
	s_cbranch_vccz .LBB273_847
; %bb.846:
	global_load_b64 v[5:6], v[1:2], off
	s_mov_b32 s2, 0
	s_mov_b32 s6, -1
	s_mov_b32 s7, 0
	s_waitcnt vmcnt(0)
	v_clz_i32_u32_e32 v7, v6
	s_delay_alu instid0(VALU_DEP_1) | instskip(NEXT) | instid1(VALU_DEP_1)
	v_min_u32_e32 v7, 32, v7
	v_lshlrev_b64 v[5:6], v7, v[5:6]
	s_delay_alu instid0(VALU_DEP_1) | instskip(NEXT) | instid1(VALU_DEP_1)
	v_min_u32_e32 v5, 1, v5
	v_or_b32_e32 v5, v6, v5
	v_sub_nc_u32_e32 v6, 32, v7
	s_delay_alu instid0(VALU_DEP_2) | instskip(NEXT) | instid1(VALU_DEP_1)
	v_cvt_f32_u32_e32 v5, v5
	v_ldexp_f32 v5, v5, v6
	s_delay_alu instid0(VALU_DEP_1) | instskip(NEXT) | instid1(VALU_DEP_1)
	v_bfe_u32 v6, v5, 16, 1
	v_add3_u32 v5, v5, v6, 0x7fff
	s_delay_alu instid0(VALU_DEP_1)
	v_lshrrev_b32_e32 v6, 16, v5
	s_branch .LBB273_849
.LBB273_847:
	s_mov_b32 s2, -1
                                        ; implicit-def: $vgpr6
.LBB273_848:
	s_mov_b32 s7, 0
.LBB273_849:
	s_delay_alu instid0(SALU_CYCLE_1)
	s_and_b32 vcc_lo, exec_lo, s7
	s_cbranch_vccz .LBB273_867
; %bb.850:
	v_cmp_gt_i16_e32 vcc_lo, 27, v4
	s_cbranch_vccnz .LBB273_853
; %bb.851:
	v_cmp_lt_i16_e32 vcc_lo, 27, v4
	s_cbranch_vccz .LBB273_854
; %bb.852:
	global_load_b32 v5, v[1:2], off
	s_mov_b32 s6, 0
	s_waitcnt vmcnt(0)
	v_cvt_f32_u32_e32 v5, v5
	s_delay_alu instid0(VALU_DEP_1) | instskip(NEXT) | instid1(VALU_DEP_1)
	v_bfe_u32 v6, v5, 16, 1
	v_add3_u32 v5, v5, v6, 0x7fff
	s_delay_alu instid0(VALU_DEP_1)
	v_lshrrev_b32_e32 v6, 16, v5
	s_branch .LBB273_855
.LBB273_853:
	s_mov_b32 s6, -1
                                        ; implicit-def: $vgpr6
	s_branch .LBB273_858
.LBB273_854:
	s_mov_b32 s6, -1
                                        ; implicit-def: $vgpr6
.LBB273_855:
	s_delay_alu instid0(SALU_CYCLE_1)
	s_and_not1_b32 vcc_lo, exec_lo, s6
	s_cbranch_vccnz .LBB273_857
; %bb.856:
	global_load_u16 v5, v[1:2], off
	s_waitcnt vmcnt(0)
	v_cvt_f32_u32_e32 v5, v5
	s_delay_alu instid0(VALU_DEP_1) | instskip(NEXT) | instid1(VALU_DEP_1)
	v_bfe_u32 v6, v5, 16, 1
	v_add3_u32 v5, v5, v6, 0x7fff
	s_delay_alu instid0(VALU_DEP_1)
	v_lshrrev_b32_e32 v6, 16, v5
.LBB273_857:
	s_mov_b32 s6, 0
.LBB273_858:
	s_delay_alu instid0(SALU_CYCLE_1)
	s_and_not1_b32 vcc_lo, exec_lo, s6
	s_cbranch_vccnz .LBB273_866
; %bb.859:
	global_load_u8 v5, v[1:2], off
	s_mov_b32 s6, 0
	s_mov_b32 s8, exec_lo
                                        ; implicit-def: $sgpr7
	s_waitcnt vmcnt(0)
	v_cmpx_lt_i16_e32 0x7f, v5
	s_xor_b32 s8, exec_lo, s8
	s_cbranch_execz .LBB273_880
; %bb.860:
	s_mov_b32 s6, -1
	s_mov_b32 s9, exec_lo
                                        ; implicit-def: $sgpr7
	v_cmpx_eq_u16_e32 0x80, v5
; %bb.861:
	s_mov_b32 s7, 0x7f800001
	s_xor_b32 s6, exec_lo, -1
; %bb.862:
	s_or_b32 exec_lo, exec_lo, s9
	s_delay_alu instid0(SALU_CYCLE_1)
	s_and_b32 s6, s6, exec_lo
	s_or_saveexec_b32 s8, s8
	v_mov_b32_e32 v6, s7
	s_xor_b32 exec_lo, exec_lo, s8
	s_cbranch_execnz .LBB273_881
.LBB273_863:
	s_or_b32 exec_lo, exec_lo, s8
	s_and_saveexec_b32 s7, s6
	s_cbranch_execz .LBB273_865
.LBB273_864:
	v_and_b32_e32 v6, 0xffff, v5
	v_lshlrev_b32_e32 v5, 24, v5
	s_delay_alu instid0(VALU_DEP_2) | instskip(NEXT) | instid1(VALU_DEP_2)
	v_and_b32_e32 v7, 7, v6
	v_and_b32_e32 v5, 0x80000000, v5
	s_delay_alu instid0(VALU_DEP_2) | instskip(NEXT) | instid1(VALU_DEP_1)
	v_clz_i32_u32_e32 v8, v7
	v_min_u32_e32 v8, 32, v8
	s_delay_alu instid0(VALU_DEP_1) | instskip(SKIP_1) | instid1(VALU_DEP_2)
	v_subrev_nc_u32_e32 v9, 28, v8
	v_sub_nc_u32_e32 v8, 29, v8
	v_lshlrev_b32_e32 v9, v9, v6
	v_bfe_u32 v6, v6, 3, 4
	s_delay_alu instid0(VALU_DEP_2) | instskip(NEXT) | instid1(VALU_DEP_2)
	v_and_b32_e32 v9, 7, v9
	v_cmp_eq_u32_e32 vcc_lo, 0, v6
	s_delay_alu instid0(VALU_DEP_2) | instskip(NEXT) | instid1(VALU_DEP_1)
	v_dual_cndmask_b32 v6, v6, v8 :: v_dual_cndmask_b32 v7, v7, v9
	v_lshl_add_u32 v6, v6, 23, 0x3b800000
	s_delay_alu instid0(VALU_DEP_2) | instskip(NEXT) | instid1(VALU_DEP_1)
	v_lshlrev_b32_e32 v7, 20, v7
	v_or3_b32 v6, v5, v6, v7
.LBB273_865:
	s_or_b32 exec_lo, exec_lo, s7
	s_delay_alu instid0(VALU_DEP_1) | instskip(SKIP_1) | instid1(VALU_DEP_2)
	v_bfe_u32 v5, v6, 16, 1
	v_cmp_o_f32_e32 vcc_lo, v6, v6
	v_add3_u32 v5, v6, v5, 0x7fff
	s_delay_alu instid0(VALU_DEP_1) | instskip(NEXT) | instid1(VALU_DEP_1)
	v_lshrrev_b32_e32 v5, 16, v5
	v_cndmask_b32_e32 v6, 0x7fc0, v5, vcc_lo
.LBB273_866:
	s_mov_b32 s6, -1
.LBB273_867:
	s_mov_b32 s7, 0
.LBB273_868:
	s_delay_alu instid0(SALU_CYCLE_1)
	s_and_b32 vcc_lo, exec_lo, s7
	s_cbranch_vccz .LBB273_901
; %bb.869:
	v_cmp_lt_i16_e32 vcc_lo, 22, v4
	s_cbranch_vccz .LBB273_879
; %bb.870:
	v_cmp_gt_i16_e32 vcc_lo, 24, v4
	s_cbranch_vccnz .LBB273_882
; %bb.871:
	v_cmp_lt_i16_e32 vcc_lo, 24, v4
	s_cbranch_vccz .LBB273_883
; %bb.872:
	global_load_u8 v5, v[1:2], off
	s_mov_b32 s7, exec_lo
                                        ; implicit-def: $sgpr6
	s_waitcnt vmcnt(0)
	v_cmpx_lt_i16_e32 0x7f, v5
	s_xor_b32 s7, exec_lo, s7
	s_cbranch_execz .LBB273_895
; %bb.873:
	s_mov_b32 s3, -1
	s_mov_b32 s8, exec_lo
                                        ; implicit-def: $sgpr6
	v_cmpx_eq_u16_e32 0x80, v5
; %bb.874:
	s_mov_b32 s6, 0x7f800001
	s_xor_b32 s3, exec_lo, -1
; %bb.875:
	s_or_b32 exec_lo, exec_lo, s8
	s_delay_alu instid0(SALU_CYCLE_1)
	s_and_b32 s3, s3, exec_lo
	s_or_saveexec_b32 s7, s7
	v_mov_b32_e32 v6, s6
	s_xor_b32 exec_lo, exec_lo, s7
	s_cbranch_execnz .LBB273_896
.LBB273_876:
	s_or_b32 exec_lo, exec_lo, s7
	s_and_saveexec_b32 s6, s3
	s_cbranch_execz .LBB273_878
.LBB273_877:
	v_and_b32_e32 v6, 0xffff, v5
	v_lshlrev_b32_e32 v5, 24, v5
	s_delay_alu instid0(VALU_DEP_2) | instskip(NEXT) | instid1(VALU_DEP_2)
	v_and_b32_e32 v7, 3, v6
	v_and_b32_e32 v5, 0x80000000, v5
	s_delay_alu instid0(VALU_DEP_2) | instskip(NEXT) | instid1(VALU_DEP_1)
	v_clz_i32_u32_e32 v8, v7
	v_min_u32_e32 v8, 32, v8
	s_delay_alu instid0(VALU_DEP_1) | instskip(SKIP_1) | instid1(VALU_DEP_2)
	v_subrev_nc_u32_e32 v9, 29, v8
	v_sub_nc_u32_e32 v8, 30, v8
	v_lshlrev_b32_e32 v9, v9, v6
	v_bfe_u32 v6, v6, 2, 5
	s_delay_alu instid0(VALU_DEP_2) | instskip(NEXT) | instid1(VALU_DEP_2)
	v_and_b32_e32 v9, 3, v9
	v_cmp_eq_u32_e32 vcc_lo, 0, v6
	s_delay_alu instid0(VALU_DEP_2) | instskip(NEXT) | instid1(VALU_DEP_1)
	v_dual_cndmask_b32 v6, v6, v8 :: v_dual_cndmask_b32 v7, v7, v9
	v_lshl_add_u32 v6, v6, 23, 0x37800000
	s_delay_alu instid0(VALU_DEP_2) | instskip(NEXT) | instid1(VALU_DEP_1)
	v_lshlrev_b32_e32 v7, 21, v7
	v_or3_b32 v6, v5, v6, v7
.LBB273_878:
	s_or_b32 exec_lo, exec_lo, s6
	s_delay_alu instid0(VALU_DEP_1) | instskip(SKIP_2) | instid1(VALU_DEP_2)
	v_bfe_u32 v5, v6, 16, 1
	v_cmp_o_f32_e32 vcc_lo, v6, v6
	s_mov_b32 s3, 0
	v_add3_u32 v5, v6, v5, 0x7fff
	s_delay_alu instid0(VALU_DEP_1) | instskip(NEXT) | instid1(VALU_DEP_1)
	v_lshrrev_b32_e32 v5, 16, v5
	v_cndmask_b32_e32 v6, 0x7fc0, v5, vcc_lo
	s_branch .LBB273_884
.LBB273_879:
	s_mov_b32 s3, -1
                                        ; implicit-def: $vgpr6
	s_branch .LBB273_890
.LBB273_880:
	s_or_saveexec_b32 s8, s8
	v_mov_b32_e32 v6, s7
	s_xor_b32 exec_lo, exec_lo, s8
	s_cbranch_execz .LBB273_863
.LBB273_881:
	v_cmp_ne_u16_e32 vcc_lo, 0, v5
	v_mov_b32_e32 v6, 0
	s_and_not1_b32 s6, s6, exec_lo
	s_and_b32 s7, vcc_lo, exec_lo
	s_delay_alu instid0(SALU_CYCLE_1)
	s_or_b32 s6, s6, s7
	s_or_b32 exec_lo, exec_lo, s8
	s_and_saveexec_b32 s7, s6
	s_cbranch_execnz .LBB273_864
	s_branch .LBB273_865
.LBB273_882:
	s_mov_b32 s3, -1
                                        ; implicit-def: $vgpr6
	s_branch .LBB273_887
.LBB273_883:
	s_mov_b32 s3, -1
                                        ; implicit-def: $vgpr6
.LBB273_884:
	s_delay_alu instid0(SALU_CYCLE_1)
	s_and_b32 vcc_lo, exec_lo, s3
	s_cbranch_vccz .LBB273_886
; %bb.885:
	global_load_u8 v5, v[1:2], off
	s_waitcnt vmcnt(0)
	v_lshlrev_b32_e32 v5, 24, v5
	s_delay_alu instid0(VALU_DEP_1) | instskip(NEXT) | instid1(VALU_DEP_1)
	v_and_b32_e32 v6, 0x7f000000, v5
	v_clz_i32_u32_e32 v7, v6
	v_add_nc_u32_e32 v9, 0x1000000, v6
	v_cmp_ne_u32_e32 vcc_lo, 0, v6
	s_delay_alu instid0(VALU_DEP_3) | instskip(NEXT) | instid1(VALU_DEP_1)
	v_min_u32_e32 v7, 32, v7
	v_sub_nc_u32_e64 v7, v7, 4 clamp
	s_delay_alu instid0(VALU_DEP_1) | instskip(SKIP_1) | instid1(VALU_DEP_2)
	v_lshlrev_b32_e32 v8, v7, v6
	v_lshlrev_b32_e32 v7, 23, v7
	v_lshrrev_b32_e32 v8, 4, v8
	s_delay_alu instid0(VALU_DEP_1) | instskip(SKIP_1) | instid1(VALU_DEP_2)
	v_sub_nc_u32_e32 v7, v8, v7
	v_ashrrev_i32_e32 v8, 8, v9
	v_add_nc_u32_e32 v7, 0x3c000000, v7
	s_delay_alu instid0(VALU_DEP_1) | instskip(NEXT) | instid1(VALU_DEP_1)
	v_and_or_b32 v7, 0x7f800000, v8, v7
	v_cndmask_b32_e32 v6, 0, v7, vcc_lo
	s_delay_alu instid0(VALU_DEP_1) | instskip(SKIP_1) | instid1(VALU_DEP_2)
	v_and_or_b32 v5, 0x80000000, v5, v6
	v_bfe_u32 v6, v6, 16, 1
	v_cmp_o_f32_e32 vcc_lo, v5, v5
	s_delay_alu instid0(VALU_DEP_2) | instskip(NEXT) | instid1(VALU_DEP_1)
	v_add3_u32 v6, v5, v6, 0x7fff
	v_lshrrev_b32_e32 v6, 16, v6
	s_delay_alu instid0(VALU_DEP_1)
	v_cndmask_b32_e32 v6, 0x7fc0, v6, vcc_lo
.LBB273_886:
	s_mov_b32 s3, 0
.LBB273_887:
	s_delay_alu instid0(SALU_CYCLE_1)
	s_and_not1_b32 vcc_lo, exec_lo, s3
	s_cbranch_vccnz .LBB273_889
; %bb.888:
	global_load_u8 v5, v[1:2], off
	s_waitcnt vmcnt(0)
	v_lshlrev_b32_e32 v6, 25, v5
	v_lshlrev_b16 v5, 8, v5
	s_delay_alu instid0(VALU_DEP_2) | instskip(NEXT) | instid1(VALU_DEP_2)
	v_lshrrev_b32_e32 v7, 4, v6
	v_and_or_b32 v8, 0x7f00, v5, 0.5
	v_bfe_i32 v5, v5, 0, 16
	s_delay_alu instid0(VALU_DEP_3) | instskip(NEXT) | instid1(VALU_DEP_1)
	v_or_b32_e32 v7, 0x70000000, v7
	v_dual_add_f32 v8, -0.5, v8 :: v_dual_mul_f32 v7, 0x7800000, v7
	v_cmp_gt_u32_e32 vcc_lo, 0x8000000, v6
	s_delay_alu instid0(VALU_DEP_2) | instskip(NEXT) | instid1(VALU_DEP_1)
	v_cndmask_b32_e32 v6, v7, v8, vcc_lo
	v_and_or_b32 v5, 0x80000000, v5, v6
	v_bfe_u32 v6, v6, 16, 1
	s_delay_alu instid0(VALU_DEP_2) | instskip(NEXT) | instid1(VALU_DEP_2)
	v_cmp_o_f32_e32 vcc_lo, v5, v5
	v_add3_u32 v6, v5, v6, 0x7fff
	s_delay_alu instid0(VALU_DEP_1) | instskip(NEXT) | instid1(VALU_DEP_1)
	v_lshrrev_b32_e32 v6, 16, v6
	v_cndmask_b32_e32 v6, 0x7fc0, v6, vcc_lo
.LBB273_889:
	s_mov_b32 s3, 0
	s_mov_b32 s6, -1
.LBB273_890:
	s_and_not1_b32 vcc_lo, exec_lo, s3
	s_mov_b32 s3, 0
	s_cbranch_vccnz .LBB273_901
; %bb.891:
	v_cmp_lt_i16_e32 vcc_lo, 14, v4
	s_cbranch_vccz .LBB273_894
; %bb.892:
	v_cmp_eq_u16_e32 vcc_lo, 15, v4
	s_cbranch_vccz .LBB273_897
; %bb.893:
	global_load_u16 v6, v[1:2], off
	s_mov_b32 s2, 0
	s_mov_b32 s6, -1
	s_branch .LBB273_899
.LBB273_894:
	s_mov_b32 s3, -1
	s_branch .LBB273_898
.LBB273_895:
	s_or_saveexec_b32 s7, s7
	v_mov_b32_e32 v6, s6
	s_xor_b32 exec_lo, exec_lo, s7
	s_cbranch_execz .LBB273_876
.LBB273_896:
	v_cmp_ne_u16_e32 vcc_lo, 0, v5
	v_mov_b32_e32 v6, 0
	s_and_not1_b32 s3, s3, exec_lo
	s_and_b32 s6, vcc_lo, exec_lo
	s_delay_alu instid0(SALU_CYCLE_1)
	s_or_b32 s3, s3, s6
	s_or_b32 exec_lo, exec_lo, s7
	s_and_saveexec_b32 s6, s3
	s_cbranch_execnz .LBB273_877
	s_branch .LBB273_878
.LBB273_897:
	s_mov_b32 s2, -1
.LBB273_898:
                                        ; implicit-def: $vgpr6
.LBB273_899:
	s_and_b32 vcc_lo, exec_lo, s3
	s_mov_b32 s3, 0
	s_cbranch_vccz .LBB273_901
; %bb.900:
	v_cmp_ne_u16_e32 vcc_lo, 11, v4
	s_and_not1_b32 s2, s2, exec_lo
	s_mov_b32 s3, -1
                                        ; implicit-def: $vgpr6
	s_and_b32 s7, vcc_lo, exec_lo
	s_delay_alu instid0(SALU_CYCLE_1)
	s_or_b32 s2, s2, s7
.LBB273_901:
	s_mov_b32 s7, 0
.LBB273_902:
	s_and_b32 s41, s6, exec_lo
	s_and_b32 s42, s7, exec_lo
	s_and_not1_b32 s6, s22, exec_lo
	s_and_b32 s7, s2, exec_lo
	s_and_b32 s2, s3, exec_lo
	s_or_b32 s43, s6, s7
.LBB273_903:
	s_or_b32 exec_lo, exec_lo, s30
	s_waitcnt lgkmcnt(0)
	s_and_not1_b32 s6, s22, exec_lo
	s_and_b32 s7, s43, exec_lo
	s_and_b32 s41, s41, exec_lo
	;; [unrolled: 1-line block ×4, first 2 shown]
	s_or_b32 s22, s6, s7
.LBB273_904:
	s_or_b32 exec_lo, exec_lo, s40
	s_waitcnt lgkmcnt(0)
	s_and_not1_b32 s6, s38, exec_lo
	s_and_b32 s7, s23, exec_lo
	s_and_b32 s40, s41, exec_lo
	s_or_b32 s38, s6, s7
	s_and_not1_b32 s6, s37, exec_lo
	s_and_b32 s7, s22, exec_lo
	s_and_b32 s23, s3, exec_lo
	;; [unrolled: 1-line block ×3, first 2 shown]
	s_or_b32 s37, s6, s7
.LBB273_905:
	s_or_b32 exec_lo, exec_lo, s39
	s_delay_alu instid0(SALU_CYCLE_1)
	s_and_not1_b32 s2, s34, exec_lo
	s_waitcnt lgkmcnt(0)
	s_and_b32 s6, s38, exec_lo
	s_and_b32 s7, s37, exec_lo
	s_or_b32 s34, s2, s6
	s_and_not1_b32 s6, s35, exec_lo
	s_and_b32 s2, s40, exec_lo
	s_and_b32 s22, s23, exec_lo
	;; [unrolled: 1-line block ×3, first 2 shown]
	s_or_b32 s35, s6, s7
.LBB273_906:
	s_or_b32 exec_lo, exec_lo, s36
	s_mov_b32 s3, 0
	s_waitcnt lgkmcnt(0)
	s_and_saveexec_b32 s6, s35
	s_cbranch_execnz .LBB273_918
; %bb.907:
	s_or_b32 exec_lo, exec_lo, s6
	s_and_saveexec_b32 s6, s37
	s_delay_alu instid0(SALU_CYCLE_1)
	s_xor_b32 s6, exec_lo, s6
	s_cbranch_execz .LBB273_909
.LBB273_908:
	global_load_u8 v5, v[1:2], off
	s_or_b32 s2, s2, exec_lo
	s_waitcnt vmcnt(0)
	v_cmp_ne_u16_e32 vcc_lo, 0, v5
	v_cndmask_b32_e64 v5, 0, 1.0, vcc_lo
	s_delay_alu instid0(VALU_DEP_1)
	v_lshrrev_b32_e32 v6, 16, v5
.LBB273_909:
	s_or_b32 exec_lo, exec_lo, s6
	s_and_saveexec_b32 s6, s22
	s_cbranch_execz .LBB273_957
; %bb.910:
	v_cmp_gt_i16_e32 vcc_lo, 5, v4
	s_cbranch_vccnz .LBB273_915
; %bb.911:
	v_cmp_gt_i16_e32 vcc_lo, 8, v4
	s_cbranch_vccnz .LBB273_916
	;; [unrolled: 3-line block ×3, first 2 shown]
; %bb.913:
	v_cmp_lt_i16_e32 vcc_lo, 9, v4
	s_cbranch_vccz .LBB273_920
; %bb.914:
	global_load_b64 v[5:6], v[1:2], off
	s_mov_b32 s7, 0
	s_waitcnt vmcnt(0)
	v_cvt_f32_f64_e32 v5, v[5:6]
	s_delay_alu instid0(VALU_DEP_1) | instskip(SKIP_1) | instid1(VALU_DEP_2)
	v_bfe_u32 v6, v5, 16, 1
	v_cmp_o_f32_e32 vcc_lo, v5, v5
	v_add3_u32 v6, v5, v6, 0x7fff
	s_delay_alu instid0(VALU_DEP_1) | instskip(NEXT) | instid1(VALU_DEP_1)
	v_lshrrev_b32_e32 v6, 16, v6
	v_cndmask_b32_e32 v6, 0x7fc0, v6, vcc_lo
	s_branch .LBB273_921
.LBB273_915:
                                        ; implicit-def: $vgpr6
	s_branch .LBB273_938
.LBB273_916:
                                        ; implicit-def: $vgpr6
	s_branch .LBB273_927
.LBB273_917:
	s_mov_b32 s7, -1
                                        ; implicit-def: $vgpr6
	s_branch .LBB273_924
.LBB273_918:
	s_cbranch_execnz .LBB273_1188
; %bb.919:
	s_mov_b32 s3, exec_lo
	s_and_not1_b32 s37, s37, exec_lo
                                        ; implicit-def: $vgpr6
	s_or_b32 exec_lo, exec_lo, s6
	s_and_saveexec_b32 s6, s37
	s_delay_alu instid0(SALU_CYCLE_1)
	s_xor_b32 s6, exec_lo, s6
	s_cbranch_execnz .LBB273_908
	s_branch .LBB273_909
.LBB273_920:
	s_mov_b32 s7, -1
                                        ; implicit-def: $vgpr6
.LBB273_921:
	s_delay_alu instid0(SALU_CYCLE_1)
	s_and_not1_b32 vcc_lo, exec_lo, s7
	s_cbranch_vccnz .LBB273_923
; %bb.922:
	global_load_b32 v5, v[1:2], off
	s_waitcnt vmcnt(0)
	v_bfe_u32 v6, v5, 16, 1
	v_cmp_o_f32_e32 vcc_lo, v5, v5
	s_delay_alu instid0(VALU_DEP_2) | instskip(NEXT) | instid1(VALU_DEP_1)
	v_add3_u32 v6, v5, v6, 0x7fff
	v_lshrrev_b32_e32 v6, 16, v6
	s_delay_alu instid0(VALU_DEP_1)
	v_cndmask_b32_e32 v6, 0x7fc0, v6, vcc_lo
.LBB273_923:
	s_mov_b32 s7, 0
.LBB273_924:
	s_delay_alu instid0(SALU_CYCLE_1)
	s_and_not1_b32 vcc_lo, exec_lo, s7
	s_cbranch_vccnz .LBB273_926
; %bb.925:
	global_load_b32 v5, v[1:2], off
	s_waitcnt vmcnt(0)
	v_cvt_f32_f16_e32 v6, v5
	v_cmp_o_f16_e32 vcc_lo, v5, v5
	s_delay_alu instid0(VALU_DEP_2) | instskip(NEXT) | instid1(VALU_DEP_1)
	v_bfe_u32 v7, v6, 16, 1
	v_add3_u32 v6, v6, v7, 0x7fff
	s_delay_alu instid0(VALU_DEP_1) | instskip(NEXT) | instid1(VALU_DEP_1)
	v_lshrrev_b32_e32 v6, 16, v6
	v_cndmask_b32_e32 v6, 0x7fc0, v6, vcc_lo
.LBB273_926:
	s_cbranch_execnz .LBB273_937
.LBB273_927:
	v_cmp_gt_i16_e32 vcc_lo, 6, v4
	s_cbranch_vccnz .LBB273_930
; %bb.928:
	v_cmp_lt_i16_e32 vcc_lo, 6, v4
	s_cbranch_vccz .LBB273_931
; %bb.929:
	global_load_b64 v[5:6], v[1:2], off
	s_mov_b32 s7, 0
	s_waitcnt vmcnt(0)
	v_cvt_f32_f64_e32 v5, v[5:6]
	s_delay_alu instid0(VALU_DEP_1) | instskip(SKIP_1) | instid1(VALU_DEP_2)
	v_bfe_u32 v6, v5, 16, 1
	v_cmp_o_f32_e32 vcc_lo, v5, v5
	v_add3_u32 v6, v5, v6, 0x7fff
	s_delay_alu instid0(VALU_DEP_1) | instskip(NEXT) | instid1(VALU_DEP_1)
	v_lshrrev_b32_e32 v6, 16, v6
	v_cndmask_b32_e32 v6, 0x7fc0, v6, vcc_lo
	s_branch .LBB273_932
.LBB273_930:
	s_mov_b32 s7, -1
                                        ; implicit-def: $vgpr6
	s_branch .LBB273_935
.LBB273_931:
	s_mov_b32 s7, -1
                                        ; implicit-def: $vgpr6
.LBB273_932:
	s_delay_alu instid0(SALU_CYCLE_1)
	s_and_not1_b32 vcc_lo, exec_lo, s7
	s_cbranch_vccnz .LBB273_934
; %bb.933:
	global_load_b32 v5, v[1:2], off
	s_waitcnt vmcnt(0)
	v_bfe_u32 v6, v5, 16, 1
	v_cmp_o_f32_e32 vcc_lo, v5, v5
	s_delay_alu instid0(VALU_DEP_2) | instskip(NEXT) | instid1(VALU_DEP_1)
	v_add3_u32 v6, v5, v6, 0x7fff
	v_lshrrev_b32_e32 v6, 16, v6
	s_delay_alu instid0(VALU_DEP_1)
	v_cndmask_b32_e32 v6, 0x7fc0, v6, vcc_lo
.LBB273_934:
	s_mov_b32 s7, 0
.LBB273_935:
	s_delay_alu instid0(SALU_CYCLE_1)
	s_and_not1_b32 vcc_lo, exec_lo, s7
	s_cbranch_vccnz .LBB273_937
; %bb.936:
	global_load_u16 v5, v[1:2], off
	s_waitcnt vmcnt(0)
	v_cvt_f32_f16_e32 v6, v5
	v_cmp_o_f16_e32 vcc_lo, v5, v5
	s_delay_alu instid0(VALU_DEP_2) | instskip(NEXT) | instid1(VALU_DEP_1)
	v_bfe_u32 v7, v6, 16, 1
	v_add3_u32 v6, v6, v7, 0x7fff
	s_delay_alu instid0(VALU_DEP_1) | instskip(NEXT) | instid1(VALU_DEP_1)
	v_lshrrev_b32_e32 v6, 16, v6
	v_cndmask_b32_e32 v6, 0x7fc0, v6, vcc_lo
.LBB273_937:
	s_cbranch_execnz .LBB273_956
.LBB273_938:
	v_cmp_gt_i16_e32 vcc_lo, 2, v4
	s_cbranch_vccnz .LBB273_942
; %bb.939:
	v_cmp_gt_i16_e32 vcc_lo, 3, v4
	s_cbranch_vccnz .LBB273_943
; %bb.940:
	v_cmp_lt_i16_e32 vcc_lo, 3, v4
	s_cbranch_vccz .LBB273_944
; %bb.941:
	global_load_b64 v[5:6], v[1:2], off
	s_mov_b32 s7, 0
	s_waitcnt vmcnt(0)
	v_xor_b32_e32 v7, v5, v6
	v_cls_i32_e32 v8, v6
	s_delay_alu instid0(VALU_DEP_2) | instskip(NEXT) | instid1(VALU_DEP_2)
	v_ashrrev_i32_e32 v7, 31, v7
	v_add_nc_u32_e32 v8, -1, v8
	s_delay_alu instid0(VALU_DEP_2) | instskip(NEXT) | instid1(VALU_DEP_1)
	v_add_nc_u32_e32 v7, 32, v7
	v_min_u32_e32 v7, v8, v7
	s_delay_alu instid0(VALU_DEP_1) | instskip(NEXT) | instid1(VALU_DEP_1)
	v_lshlrev_b64 v[5:6], v7, v[5:6]
	v_min_u32_e32 v5, 1, v5
	s_delay_alu instid0(VALU_DEP_1) | instskip(SKIP_1) | instid1(VALU_DEP_2)
	v_or_b32_e32 v5, v6, v5
	v_sub_nc_u32_e32 v6, 32, v7
	v_cvt_f32_i32_e32 v5, v5
	s_delay_alu instid0(VALU_DEP_1) | instskip(NEXT) | instid1(VALU_DEP_1)
	v_ldexp_f32 v5, v5, v6
	v_bfe_u32 v6, v5, 16, 1
	s_delay_alu instid0(VALU_DEP_1) | instskip(NEXT) | instid1(VALU_DEP_1)
	v_add3_u32 v5, v5, v6, 0x7fff
	v_lshrrev_b32_e32 v6, 16, v5
	s_branch .LBB273_945
.LBB273_942:
                                        ; implicit-def: $vgpr6
	s_branch .LBB273_951
.LBB273_943:
	s_mov_b32 s7, -1
                                        ; implicit-def: $vgpr6
	s_branch .LBB273_948
.LBB273_944:
	s_mov_b32 s7, -1
                                        ; implicit-def: $vgpr6
.LBB273_945:
	s_delay_alu instid0(SALU_CYCLE_1)
	s_and_not1_b32 vcc_lo, exec_lo, s7
	s_cbranch_vccnz .LBB273_947
; %bb.946:
	global_load_b32 v5, v[1:2], off
	s_waitcnt vmcnt(0)
	v_cvt_f32_i32_e32 v5, v5
	s_delay_alu instid0(VALU_DEP_1) | instskip(NEXT) | instid1(VALU_DEP_1)
	v_bfe_u32 v6, v5, 16, 1
	v_add3_u32 v5, v5, v6, 0x7fff
	s_delay_alu instid0(VALU_DEP_1)
	v_lshrrev_b32_e32 v6, 16, v5
.LBB273_947:
	s_mov_b32 s7, 0
.LBB273_948:
	s_delay_alu instid0(SALU_CYCLE_1)
	s_and_not1_b32 vcc_lo, exec_lo, s7
	s_cbranch_vccnz .LBB273_950
; %bb.949:
	global_load_i16 v5, v[1:2], off
	s_waitcnt vmcnt(0)
	v_cvt_f32_i32_e32 v5, v5
	s_delay_alu instid0(VALU_DEP_1) | instskip(NEXT) | instid1(VALU_DEP_1)
	v_bfe_u32 v6, v5, 16, 1
	v_add3_u32 v5, v5, v6, 0x7fff
	s_delay_alu instid0(VALU_DEP_1)
	v_lshrrev_b32_e32 v6, 16, v5
.LBB273_950:
	s_cbranch_execnz .LBB273_956
.LBB273_951:
	v_cmp_lt_i16_e32 vcc_lo, 0, v4
	s_mov_b32 s7, 0
	s_cbranch_vccz .LBB273_953
; %bb.952:
	global_load_i8 v4, v[1:2], off
	s_waitcnt vmcnt(0)
	v_cvt_f32_i32_e32 v4, v4
	s_delay_alu instid0(VALU_DEP_1) | instskip(NEXT) | instid1(VALU_DEP_1)
	v_bfe_u32 v5, v4, 16, 1
	v_add3_u32 v4, v4, v5, 0x7fff
	s_delay_alu instid0(VALU_DEP_1)
	v_lshrrev_b32_e32 v6, 16, v4
	s_branch .LBB273_954
.LBB273_953:
	s_mov_b32 s7, -1
                                        ; implicit-def: $vgpr6
.LBB273_954:
	s_delay_alu instid0(SALU_CYCLE_1)
	s_and_not1_b32 vcc_lo, exec_lo, s7
	s_cbranch_vccnz .LBB273_956
; %bb.955:
	global_load_u8 v1, v[1:2], off
	s_waitcnt vmcnt(0)
	v_cvt_f32_ubyte0_e32 v1, v1
	s_delay_alu instid0(VALU_DEP_1) | instskip(NEXT) | instid1(VALU_DEP_1)
	v_bfe_u32 v2, v1, 16, 1
	v_add3_u32 v1, v1, v2, 0x7fff
	s_delay_alu instid0(VALU_DEP_1)
	v_lshrrev_b32_e32 v6, 16, v1
.LBB273_956:
	s_or_b32 s2, s2, exec_lo
.LBB273_957:
	s_or_b32 exec_lo, exec_lo, s6
	s_mov_b32 s8, 0
	s_mov_b32 s7, 0
                                        ; implicit-def: $vgpr5
                                        ; implicit-def: $vgpr1_vgpr2
                                        ; implicit-def: $vgpr4
	s_and_saveexec_b32 s6, s2
	s_cbranch_execz .LBB273_1034
; %bb.958:
	s_waitcnt vmcnt(0)
	v_lshlrev_b32_e32 v1, 16, v6
	s_mov_b32 s7, -1
	s_delay_alu instid0(VALU_DEP_1) | instskip(SKIP_1) | instid1(VALU_DEP_2)
	v_mul_f32_e32 v2, 0x4f800000, v1
	v_cmp_gt_f32_e32 vcc_lo, 0xf800000, v1
	v_cndmask_b32_e32 v1, v1, v2, vcc_lo
	s_delay_alu instid0(VALU_DEP_1) | instskip(SKIP_3) | instid1(VALU_DEP_2)
	v_sqrt_f32_e32 v2, v1
	s_waitcnt_depctr 0xfff
	v_add_nc_u32_e32 v4, -1, v2
	v_add_nc_u32_e32 v5, 1, v2
	v_fma_f32 v6, -v4, v2, v1
	s_delay_alu instid0(VALU_DEP_2) | instskip(NEXT) | instid1(VALU_DEP_2)
	v_fma_f32 v7, -v5, v2, v1
	v_cmp_ge_f32_e64 s2, 0, v6
	s_delay_alu instid0(VALU_DEP_1) | instskip(NEXT) | instid1(VALU_DEP_3)
	v_cndmask_b32_e64 v2, v2, v4, s2
	v_cmp_lt_f32_e64 s2, 0, v7
	s_delay_alu instid0(VALU_DEP_1) | instskip(SKIP_1) | instid1(VALU_DEP_2)
	v_cndmask_b32_e64 v2, v2, v5, s2
	v_and_b32_e32 v5, 0xff, v3
	v_mul_f32_e32 v4, 0x37800000, v2
	s_delay_alu instid0(VALU_DEP_1) | instskip(SKIP_1) | instid1(VALU_DEP_2)
	v_cndmask_b32_e32 v2, v2, v4, vcc_lo
	v_cmp_class_f32_e64 vcc_lo, v1, 0x260
	v_cndmask_b32_e32 v4, v2, v1, vcc_lo
	v_cmp_gt_i16_e32 vcc_lo, 11, v5
	s_delay_alu instid0(VALU_DEP_2) | instskip(NEXT) | instid1(VALU_DEP_4)
	v_bfe_u32 v1, v4, 16, 1
	s_and_b32 vcc_lo, exec_lo, vcc_lo
	s_delay_alu instid0(VALU_DEP_1) | instskip(NEXT) | instid1(VALU_DEP_1)
	v_add3_u32 v1, v4, v1, 0x7fff
	v_lshrrev_b32_e32 v3, 16, v1
	v_add_co_u32 v1, s2, s4, v0
	s_delay_alu instid0(VALU_DEP_1) | instskip(SKIP_1) | instid1(VALU_DEP_1)
	v_add_co_ci_u32_e64 v2, null, s5, 0, s2
	v_cmp_o_f32_e64 s2, v4, v4
	v_cndmask_b32_e64 v4, 0x7fc0, v3, s2
	s_mov_b32 s2, s34
	s_cbranch_vccnz .LBB273_1033
; %bb.959:
	v_cmp_lt_i16_e32 vcc_lo, 25, v5
	s_mov_b32 s4, -1
	s_mov_b32 s2, s34
	s_cbranch_vccz .LBB273_992
; %bb.960:
	v_cmp_lt_i16_e32 vcc_lo, 28, v5
	s_mov_b32 s2, s34
	s_cbranch_vccz .LBB273_976
; %bb.961:
	v_cmp_lt_i16_e32 vcc_lo, 43, v5
	;; [unrolled: 4-line block ×3, first 2 shown]
	s_mov_b32 s2, s34
	s_cbranch_vccz .LBB273_966
; %bb.963:
	v_cmp_eq_u16_e32 vcc_lo, 46, v5
	s_mov_b32 s2, -1
	s_cbranch_vccz .LBB273_965
; %bb.964:
	v_and_b32_e32 v0, 0xffff, v4
	s_mov_b32 s2, 0
	global_store_b32 v[1:2], v0, off
.LBB273_965:
	s_mov_b32 s4, 0
.LBB273_966:
	s_delay_alu instid0(SALU_CYCLE_1)
	s_and_b32 vcc_lo, exec_lo, s4
	s_cbranch_vccz .LBB273_971
; %bb.967:
	v_cmp_eq_u16_e32 vcc_lo, 44, v5
	s_mov_b32 s2, -1
	s_cbranch_vccz .LBB273_971
; %bb.968:
	v_and_b32_e32 v0, 0xffff, v4
	v_mov_b32_e32 v3, 0xff
	s_mov_b32 s4, exec_lo
	s_delay_alu instid0(VALU_DEP_2) | instskip(NEXT) | instid1(VALU_DEP_1)
	v_bfe_u32 v6, v0, 7, 8
	v_cmpx_ne_u32_e32 0xff, v6
; %bb.969:
	v_lshlrev_b32_e32 v3, 16, v0
	v_and_b32_e32 v7, 64, v0
	v_lshrrev_b32_e32 v0, 7, v0
	s_delay_alu instid0(VALU_DEP_3) | instskip(NEXT) | instid1(VALU_DEP_3)
	v_and_or_b32 v3, 0x3f0000, v3, v6
	v_cmp_ne_u32_e32 vcc_lo, 0, v7
	s_delay_alu instid0(VALU_DEP_2) | instskip(NEXT) | instid1(VALU_DEP_1)
	v_cmp_ne_u32_e64 s2, 0, v3
	s_and_b32 s2, vcc_lo, s2
	s_delay_alu instid0(SALU_CYCLE_1) | instskip(NEXT) | instid1(VALU_DEP_1)
	v_cndmask_b32_e64 v3, 0, 1, s2
	v_add_nc_u32_e32 v3, v0, v3
; %bb.970:
	s_or_b32 exec_lo, exec_lo, s4
	s_mov_b32 s2, 0
	global_store_b8 v[1:2], v3, off
.LBB273_971:
	s_mov_b32 s4, 0
.LBB273_972:
	s_delay_alu instid0(SALU_CYCLE_1)
	s_and_b32 vcc_lo, exec_lo, s4
	s_cbranch_vccz .LBB273_975
; %bb.973:
	v_cmp_eq_u16_e32 vcc_lo, 29, v5
	s_mov_b32 s2, -1
	s_cbranch_vccz .LBB273_975
; %bb.974:
	v_lshlrev_b32_e32 v0, 16, v4
	s_mov_b32 s2, 0
	s_delay_alu instid0(VALU_DEP_1) | instskip(NEXT) | instid1(VALU_DEP_1)
	v_trunc_f32_e32 v0, v0
	v_mul_f32_e32 v3, 0x2f800000, v0
	s_delay_alu instid0(VALU_DEP_1) | instskip(NEXT) | instid1(VALU_DEP_1)
	v_floor_f32_e32 v3, v3
	v_fmamk_f32 v0, v3, 0xcf800000, v0
	v_cvt_u32_f32_e32 v7, v3
	s_delay_alu instid0(VALU_DEP_2)
	v_cvt_u32_f32_e32 v6, v0
	global_store_b64 v[1:2], v[6:7], off
.LBB273_975:
	s_mov_b32 s4, 0
.LBB273_976:
	s_delay_alu instid0(SALU_CYCLE_1)
	s_and_b32 vcc_lo, exec_lo, s4
	s_cbranch_vccz .LBB273_991
; %bb.977:
	v_cmp_gt_i16_e32 vcc_lo, 27, v5
	s_mov_b32 s4, -1
	s_cbranch_vccnz .LBB273_983
; %bb.978:
	v_cmp_lt_i16_e32 vcc_lo, 27, v5
	s_cbranch_vccz .LBB273_980
; %bb.979:
	v_lshlrev_b32_e32 v0, 16, v4
	s_mov_b32 s4, 0
	s_delay_alu instid0(VALU_DEP_1)
	v_cvt_u32_f32_e32 v0, v0
	global_store_b32 v[1:2], v0, off
.LBB273_980:
	s_and_not1_b32 vcc_lo, exec_lo, s4
	s_cbranch_vccnz .LBB273_982
; %bb.981:
	v_lshlrev_b32_e32 v0, 16, v4
	s_delay_alu instid0(VALU_DEP_1)
	v_cvt_u32_f32_e32 v0, v0
	global_store_b16 v[1:2], v0, off
.LBB273_982:
	s_mov_b32 s4, 0
.LBB273_983:
	s_delay_alu instid0(SALU_CYCLE_1)
	s_and_not1_b32 vcc_lo, exec_lo, s4
	s_cbranch_vccnz .LBB273_991
; %bb.984:
	v_dual_mov_b32 v7, 0x80 :: v_dual_lshlrev_b32 v6, 16, v4
	s_mov_b32 s4, exec_lo
	s_delay_alu instid0(VALU_DEP_1) | instskip(NEXT) | instid1(VALU_DEP_1)
	v_and_b32_e32 v3, 0x7fffffff, v6
	v_cmpx_gt_u32_e32 0x43800000, v3
	s_cbranch_execz .LBB273_990
; %bb.985:
	v_and_b32_e32 v0, 0xffff, v4
	v_cmp_lt_u32_e32 vcc_lo, 0x3bffffff, v3
	s_mov_b32 s5, 0
                                        ; implicit-def: $vgpr3
	s_and_saveexec_b32 s7, vcc_lo
	s_delay_alu instid0(SALU_CYCLE_1)
	s_xor_b32 s7, exec_lo, s7
	s_cbranch_execz .LBB273_1279
; %bb.986:
	v_bfe_u32 v3, v0, 4, 1
	s_mov_b32 s5, exec_lo
	s_delay_alu instid0(VALU_DEP_1) | instskip(NEXT) | instid1(VALU_DEP_1)
	v_add3_u32 v3, v6, v3, 0x487ffff
                                        ; implicit-def: $vgpr6
	v_lshrrev_b32_e32 v3, 20, v3
	s_or_saveexec_b32 s7, s7
                                        ; implicit-def: $sgpr8
	s_delay_alu instid0(SALU_CYCLE_1)
	s_xor_b32 exec_lo, exec_lo, s7
	s_cbranch_execnz .LBB273_1280
.LBB273_987:
	s_or_b32 exec_lo, exec_lo, s7
	v_mov_b32_e32 v7, s8
	s_and_saveexec_b32 s7, s5
.LBB273_988:
	v_lshrrev_b32_e32 v0, 8, v0
	s_delay_alu instid0(VALU_DEP_1)
	v_and_or_b32 v7, 0x80, v0, v3
.LBB273_989:
	s_or_b32 exec_lo, exec_lo, s7
.LBB273_990:
	s_delay_alu instid0(SALU_CYCLE_1)
	s_or_b32 exec_lo, exec_lo, s4
	global_store_b8 v[1:2], v7, off
.LBB273_991:
	s_mov_b32 s4, 0
.LBB273_992:
	s_delay_alu instid0(SALU_CYCLE_1)
	s_and_b32 vcc_lo, exec_lo, s4
	s_mov_b32 s7, 0
	s_cbranch_vccz .LBB273_1032
; %bb.993:
	v_cmp_lt_i16_e32 vcc_lo, 22, v5
	s_mov_b32 s4, -1
	s_cbranch_vccz .LBB273_1025
; %bb.994:
	v_cmp_gt_i16_e32 vcc_lo, 24, v5
	s_cbranch_vccnz .LBB273_1014
; %bb.995:
	v_cmp_lt_i16_e32 vcc_lo, 24, v5
	s_cbranch_vccz .LBB273_1003
; %bb.996:
	v_dual_mov_b32 v7, 0x80 :: v_dual_lshlrev_b32 v6, 16, v4
	s_mov_b32 s4, exec_lo
	s_delay_alu instid0(VALU_DEP_1) | instskip(NEXT) | instid1(VALU_DEP_1)
	v_and_b32_e32 v3, 0x7fffffff, v6
	v_cmpx_gt_u32_e32 0x47800000, v3
	s_cbranch_execz .LBB273_1002
; %bb.997:
	v_and_b32_e32 v0, 0xffff, v4
	v_cmp_lt_u32_e32 vcc_lo, 0x37ffffff, v3
	s_mov_b32 s5, 0
                                        ; implicit-def: $vgpr3
	s_and_saveexec_b32 s8, vcc_lo
	s_delay_alu instid0(SALU_CYCLE_1)
	s_xor_b32 s8, exec_lo, s8
	s_cbranch_execz .LBB273_1323
; %bb.998:
	v_bfe_u32 v3, v0, 5, 1
	s_mov_b32 s5, exec_lo
	s_delay_alu instid0(VALU_DEP_1) | instskip(NEXT) | instid1(VALU_DEP_1)
	v_add3_u32 v3, v6, v3, 0x88fffff
                                        ; implicit-def: $vgpr6
	v_lshrrev_b32_e32 v3, 21, v3
	s_or_saveexec_b32 s8, s8
                                        ; implicit-def: $sgpr9
	s_delay_alu instid0(SALU_CYCLE_1)
	s_xor_b32 exec_lo, exec_lo, s8
	s_cbranch_execnz .LBB273_1324
.LBB273_999:
	s_or_b32 exec_lo, exec_lo, s8
	v_mov_b32_e32 v7, s9
	s_and_saveexec_b32 s8, s5
.LBB273_1000:
	v_lshrrev_b32_e32 v0, 8, v0
	s_delay_alu instid0(VALU_DEP_1)
	v_and_or_b32 v7, 0x80, v0, v3
.LBB273_1001:
	s_or_b32 exec_lo, exec_lo, s8
.LBB273_1002:
	s_delay_alu instid0(SALU_CYCLE_1)
	s_or_b32 exec_lo, exec_lo, s4
	s_mov_b32 s4, 0
	global_store_b8 v[1:2], v7, off
.LBB273_1003:
	s_and_b32 vcc_lo, exec_lo, s4
	s_cbranch_vccz .LBB273_1013
; %bb.1004:
	v_lshlrev_b32_e32 v6, 16, v4
	v_and_b32_e32 v0, 0xffff, v4
	s_mov_b32 s4, exec_lo
                                        ; implicit-def: $vgpr3
	s_delay_alu instid0(VALU_DEP_2) | instskip(NEXT) | instid1(VALU_DEP_1)
	v_and_b32_e32 v7, 0x7fffffff, v6
	v_cmpx_gt_u32_e32 0x43f00000, v7
	s_xor_b32 s4, exec_lo, s4
	s_cbranch_execz .LBB273_1010
; %bb.1005:
	s_mov_b32 s5, exec_lo
                                        ; implicit-def: $vgpr3
	v_cmpx_lt_u32_e32 0x3c7fffff, v7
	s_xor_b32 s5, exec_lo, s5
; %bb.1006:
	v_bfe_u32 v3, v0, 4, 1
	s_delay_alu instid0(VALU_DEP_1) | instskip(NEXT) | instid1(VALU_DEP_1)
	v_add3_u32 v3, v6, v3, 0x407ffff
	v_and_b32_e32 v6, 0xff00000, v3
	v_lshrrev_b32_e32 v3, 20, v3
	s_delay_alu instid0(VALU_DEP_2) | instskip(NEXT) | instid1(VALU_DEP_2)
	v_cmp_ne_u32_e32 vcc_lo, 0x7f00000, v6
                                        ; implicit-def: $vgpr6
	v_cndmask_b32_e32 v3, 0x7e, v3, vcc_lo
; %bb.1007:
	s_and_not1_saveexec_b32 s5, s5
; %bb.1008:
	v_add_f32_e64 v3, 0x46800000, |v6|
; %bb.1009:
	s_or_b32 exec_lo, exec_lo, s5
                                        ; implicit-def: $vgpr7
.LBB273_1010:
	s_and_not1_saveexec_b32 s4, s4
; %bb.1011:
	v_mov_b32_e32 v3, 0x7f
	v_cmp_lt_u32_e32 vcc_lo, 0x7f800000, v7
	s_delay_alu instid0(VALU_DEP_2)
	v_cndmask_b32_e32 v3, 0x7e, v3, vcc_lo
; %bb.1012:
	s_or_b32 exec_lo, exec_lo, s4
	v_lshrrev_b32_e32 v0, 8, v0
	s_delay_alu instid0(VALU_DEP_1)
	v_and_or_b32 v0, 0x80, v0, v3
	global_store_b8 v[1:2], v0, off
.LBB273_1013:
	s_mov_b32 s4, 0
.LBB273_1014:
	s_delay_alu instid0(SALU_CYCLE_1)
	s_and_not1_b32 vcc_lo, exec_lo, s4
	s_cbranch_vccnz .LBB273_1024
; %bb.1015:
	v_lshlrev_b32_e32 v6, 16, v4
	v_and_b32_e32 v0, 0xffff, v4
	s_mov_b32 s4, exec_lo
                                        ; implicit-def: $vgpr3
	s_delay_alu instid0(VALU_DEP_2) | instskip(NEXT) | instid1(VALU_DEP_1)
	v_and_b32_e32 v7, 0x7fffffff, v6
	v_cmpx_gt_u32_e32 0x47800000, v7
	s_xor_b32 s4, exec_lo, s4
	s_cbranch_execz .LBB273_1021
; %bb.1016:
	s_mov_b32 s5, exec_lo
                                        ; implicit-def: $vgpr3
	v_cmpx_lt_u32_e32 0x387fffff, v7
	s_xor_b32 s5, exec_lo, s5
; %bb.1017:
	v_bfe_u32 v3, v0, 5, 1
	s_delay_alu instid0(VALU_DEP_1) | instskip(NEXT) | instid1(VALU_DEP_1)
	v_add3_u32 v3, v6, v3, 0x80fffff
                                        ; implicit-def: $vgpr6
	v_lshrrev_b32_e32 v3, 21, v3
; %bb.1018:
	s_and_not1_saveexec_b32 s5, s5
; %bb.1019:
	v_add_f32_e64 v3, 0x43000000, |v6|
; %bb.1020:
	s_or_b32 exec_lo, exec_lo, s5
                                        ; implicit-def: $vgpr7
.LBB273_1021:
	s_and_not1_saveexec_b32 s4, s4
; %bb.1022:
	v_mov_b32_e32 v3, 0x7f
	v_cmp_lt_u32_e32 vcc_lo, 0x7f800000, v7
	s_delay_alu instid0(VALU_DEP_2)
	v_cndmask_b32_e32 v3, 0x7c, v3, vcc_lo
; %bb.1023:
	s_or_b32 exec_lo, exec_lo, s4
	v_lshrrev_b32_e32 v0, 8, v0
	s_delay_alu instid0(VALU_DEP_1)
	v_and_or_b32 v0, 0x80, v0, v3
	global_store_b8 v[1:2], v0, off
.LBB273_1024:
	s_mov_b32 s4, 0
.LBB273_1025:
	s_delay_alu instid0(SALU_CYCLE_1)
	s_and_not1_b32 vcc_lo, exec_lo, s4
	s_mov_b32 s8, 0
	s_cbranch_vccnz .LBB273_1033
; %bb.1026:
	v_cmp_lt_i16_e32 vcc_lo, 14, v5
	s_mov_b32 s4, -1
	s_cbranch_vccz .LBB273_1030
; %bb.1027:
	v_cmp_eq_u16_e32 vcc_lo, 15, v5
	s_mov_b32 s2, -1
	s_cbranch_vccz .LBB273_1029
; %bb.1028:
	s_mov_b32 s2, 0
	global_store_b16 v[1:2], v4, off
.LBB273_1029:
	s_mov_b32 s4, 0
.LBB273_1030:
	s_delay_alu instid0(SALU_CYCLE_1)
	s_and_b32 vcc_lo, exec_lo, s4
	s_cbranch_vccz .LBB273_1033
; %bb.1031:
	v_cmp_ne_u16_e32 vcc_lo, 11, v5
	s_and_not1_b32 s2, s2, exec_lo
	s_mov_b32 s8, -1
	s_and_b32 s4, vcc_lo, exec_lo
	s_delay_alu instid0(SALU_CYCLE_1)
	s_or_b32 s2, s2, s4
	s_branch .LBB273_1033
.LBB273_1032:
	s_mov_b32 s8, 0
.LBB273_1033:
	s_and_not1_b32 s4, s34, exec_lo
	s_and_b32 s2, s2, exec_lo
	s_and_b32 s7, s7, exec_lo
	;; [unrolled: 1-line block ×3, first 2 shown]
	s_or_b32 s34, s4, s2
.LBB273_1034:
	s_or_b32 exec_lo, exec_lo, s6
	s_and_saveexec_b32 s2, s34
	s_cbranch_execnz .LBB273_1148
; %bb.1035:
	s_or_b32 exec_lo, exec_lo, s2
	s_and_saveexec_b32 s2, s8
	s_delay_alu instid0(SALU_CYCLE_1)
	s_xor_b32 s2, exec_lo, s2
	s_cbranch_execz .LBB273_1037
.LBB273_1036:
	v_and_b32_e32 v0, 0x7fff, v4
	s_delay_alu instid0(VALU_DEP_1)
	v_cmp_ne_u16_e32 vcc_lo, 0, v0
	v_cndmask_b32_e64 v0, 0, 1, vcc_lo
	global_store_b8 v[1:2], v0, off
.LBB273_1037:
	s_or_b32 exec_lo, exec_lo, s2
	s_and_saveexec_b32 s2, s7
	s_delay_alu instid0(SALU_CYCLE_1)
	s_xor_b32 s2, exec_lo, s2
	s_cbranch_execz .LBB273_1075
; %bb.1038:
	v_cmp_gt_i16_e32 vcc_lo, 5, v5
	s_mov_b32 s4, -1
	s_cbranch_vccnz .LBB273_1059
; %bb.1039:
	v_cmp_gt_i16_e32 vcc_lo, 8, v5
	s_cbranch_vccnz .LBB273_1049
; %bb.1040:
	v_cmp_gt_i16_e32 vcc_lo, 9, v5
	s_cbranch_vccnz .LBB273_1046
; %bb.1041:
	v_cmp_lt_i16_e32 vcc_lo, 9, v5
	s_cbranch_vccz .LBB273_1043
; %bb.1042:
	v_mov_b32_e32 v8, 0
	v_lshlrev_b32_e32 v0, 16, v4
	s_mov_b32 s4, 0
	s_delay_alu instid0(VALU_DEP_2) | instskip(SKIP_1) | instid1(VALU_DEP_2)
	v_mov_b32_e32 v9, v8
	s_waitcnt vmcnt(0)
	v_cvt_f64_f32_e32 v[6:7], v0
	global_store_b128 v[1:2], v[6:9], off
.LBB273_1043:
	s_and_not1_b32 vcc_lo, exec_lo, s4
	s_cbranch_vccnz .LBB273_1045
; %bb.1044:
	s_waitcnt vmcnt(0)
	v_dual_mov_b32 v7, 0 :: v_dual_lshlrev_b32 v6, 16, v4
	global_store_b64 v[1:2], v[6:7], off
.LBB273_1045:
	s_mov_b32 s4, 0
.LBB273_1046:
	s_delay_alu instid0(SALU_CYCLE_1)
	s_and_not1_b32 vcc_lo, exec_lo, s4
	s_cbranch_vccnz .LBB273_1048
; %bb.1047:
	v_lshlrev_b32_e32 v0, 16, v4
	s_delay_alu instid0(VALU_DEP_1) | instskip(NEXT) | instid1(VALU_DEP_1)
	v_cvt_f16_f32_e32 v0, v0
	v_and_b32_e32 v0, 0xffff, v0
	global_store_b32 v[1:2], v0, off
.LBB273_1048:
	s_mov_b32 s4, 0
.LBB273_1049:
	s_delay_alu instid0(SALU_CYCLE_1)
	s_and_not1_b32 vcc_lo, exec_lo, s4
	s_cbranch_vccnz .LBB273_1058
; %bb.1050:
	v_cmp_gt_i16_e32 vcc_lo, 6, v5
	s_mov_b32 s4, -1
	s_cbranch_vccnz .LBB273_1056
; %bb.1051:
	v_cmp_lt_i16_e32 vcc_lo, 6, v5
	s_cbranch_vccz .LBB273_1053
; %bb.1052:
	v_lshlrev_b32_e32 v0, 16, v4
	s_mov_b32 s4, 0
	s_waitcnt vmcnt(0)
	s_delay_alu instid0(VALU_DEP_1)
	v_cvt_f64_f32_e32 v[6:7], v0
	global_store_b64 v[1:2], v[6:7], off
.LBB273_1053:
	s_and_not1_b32 vcc_lo, exec_lo, s4
	s_cbranch_vccnz .LBB273_1055
; %bb.1054:
	v_lshlrev_b32_e32 v0, 16, v4
	global_store_b32 v[1:2], v0, off
.LBB273_1055:
	s_mov_b32 s4, 0
.LBB273_1056:
	s_delay_alu instid0(SALU_CYCLE_1)
	s_and_not1_b32 vcc_lo, exec_lo, s4
	s_cbranch_vccnz .LBB273_1058
; %bb.1057:
	v_lshlrev_b32_e32 v0, 16, v4
	s_delay_alu instid0(VALU_DEP_1)
	v_cvt_f16_f32_e32 v0, v0
	global_store_b16 v[1:2], v0, off
.LBB273_1058:
	s_mov_b32 s4, 0
.LBB273_1059:
	s_delay_alu instid0(SALU_CYCLE_1)
	s_and_not1_b32 vcc_lo, exec_lo, s4
	s_cbranch_vccnz .LBB273_1075
; %bb.1060:
	v_cmp_gt_i16_e32 vcc_lo, 2, v5
	s_mov_b32 s4, -1
	s_cbranch_vccnz .LBB273_1070
; %bb.1061:
	v_cmp_gt_i16_e32 vcc_lo, 3, v5
	s_cbranch_vccnz .LBB273_1067
; %bb.1062:
	v_cmp_lt_i16_e32 vcc_lo, 3, v5
	s_cbranch_vccz .LBB273_1064
; %bb.1063:
	v_lshlrev_b32_e32 v0, 16, v4
	s_mov_b32 s4, 0
	s_delay_alu instid0(VALU_DEP_1) | instskip(NEXT) | instid1(VALU_DEP_1)
	v_trunc_f32_e32 v0, v0
	v_mul_f32_e64 v3, 0x2f800000, |v0|
	s_delay_alu instid0(VALU_DEP_1) | instskip(SKIP_1) | instid1(VALU_DEP_1)
	v_floor_f32_e32 v3, v3
	s_waitcnt vmcnt(0)
	v_fma_f32 v6, 0xcf800000, v3, |v0|
	v_ashrrev_i32_e32 v0, 31, v0
	v_cvt_u32_f32_e32 v3, v3
	s_delay_alu instid0(VALU_DEP_3) | instskip(NEXT) | instid1(VALU_DEP_2)
	v_cvt_u32_f32_e32 v6, v6
	v_xor_b32_e32 v3, v3, v0
	s_delay_alu instid0(VALU_DEP_2) | instskip(NEXT) | instid1(VALU_DEP_1)
	v_xor_b32_e32 v6, v6, v0
	v_sub_co_u32 v6, vcc_lo, v6, v0
	s_delay_alu instid0(VALU_DEP_3)
	v_sub_co_ci_u32_e32 v7, vcc_lo, v3, v0, vcc_lo
	global_store_b64 v[1:2], v[6:7], off
.LBB273_1064:
	s_and_not1_b32 vcc_lo, exec_lo, s4
	s_cbranch_vccnz .LBB273_1066
; %bb.1065:
	v_lshlrev_b32_e32 v0, 16, v4
	s_delay_alu instid0(VALU_DEP_1)
	v_cvt_i32_f32_e32 v0, v0
	global_store_b32 v[1:2], v0, off
.LBB273_1066:
	s_mov_b32 s4, 0
.LBB273_1067:
	s_delay_alu instid0(SALU_CYCLE_1)
	s_and_not1_b32 vcc_lo, exec_lo, s4
	s_cbranch_vccnz .LBB273_1069
; %bb.1068:
	v_lshlrev_b32_e32 v0, 16, v4
	s_delay_alu instid0(VALU_DEP_1)
	v_cvt_i32_f32_e32 v0, v0
	global_store_b16 v[1:2], v0, off
.LBB273_1069:
	s_mov_b32 s4, 0
.LBB273_1070:
	s_delay_alu instid0(SALU_CYCLE_1)
	s_and_not1_b32 vcc_lo, exec_lo, s4
	s_cbranch_vccnz .LBB273_1075
; %bb.1071:
	v_cmp_lt_i16_e32 vcc_lo, 0, v5
	s_mov_b32 s4, -1
	s_cbranch_vccz .LBB273_1073
; %bb.1072:
	v_lshlrev_b32_e32 v0, 16, v4
	s_mov_b32 s4, 0
	s_delay_alu instid0(VALU_DEP_1)
	v_cvt_i32_f32_e32 v0, v0
	global_store_b8 v[1:2], v0, off
.LBB273_1073:
	s_and_not1_b32 vcc_lo, exec_lo, s4
	s_cbranch_vccnz .LBB273_1075
; %bb.1074:
	v_lshlrev_b32_e32 v0, 16, v4
	s_delay_alu instid0(VALU_DEP_1) | instskip(NEXT) | instid1(VALU_DEP_1)
	v_trunc_f32_e32 v0, v0
	v_mul_f32_e64 v3, 0x2f800000, |v0|
	s_delay_alu instid0(VALU_DEP_1) | instskip(NEXT) | instid1(VALU_DEP_1)
	v_floor_f32_e32 v3, v3
	v_fma_f32 v3, 0xcf800000, v3, |v0|
	v_ashrrev_i32_e32 v0, 31, v0
	s_delay_alu instid0(VALU_DEP_2) | instskip(NEXT) | instid1(VALU_DEP_1)
	v_cvt_u32_f32_e32 v3, v3
	v_xor_b32_e32 v3, v3, v0
	s_delay_alu instid0(VALU_DEP_1)
	v_sub_nc_u32_e32 v0, v3, v0
	global_store_b8 v[1:2], v0, off
.LBB273_1075:
	s_or_b32 exec_lo, exec_lo, s2
	s_delay_alu instid0(SALU_CYCLE_1)
	s_and_b32 s8, s3, exec_lo
                                        ; implicit-def: $vgpr8
                                        ; implicit-def: $vgpr5
.LBB273_1076:
	s_or_saveexec_b32 s9, s28
	s_mov_b32 s3, 0
                                        ; implicit-def: $vgpr0_vgpr1
                                        ; implicit-def: $vgpr6
                                        ; implicit-def: $vgpr2
	s_xor_b32 exec_lo, exec_lo, s9
	s_cbranch_execz .LBB273_2092
; %bb.1077:
	v_cndmask_b32_e64 v0, 0, 1, s27
	s_and_not1_b32 vcc_lo, exec_lo, s27
	s_cbranch_vccnz .LBB273_1083
; %bb.1078:
	v_mov_b32_e32 v3, 0
	v_mov_b32_e32 v7, 0
	s_cmp_lg_u32 s24, 0
	s_mov_b32 s6, 0
	s_cbranch_scc0 .LBB273_1087
; %bb.1079:
	s_min_u32 s7, s25, 15
	v_mov_b32_e32 v3, 0
	s_add_i32 s7, s7, 1
	s_cmp_eq_u32 s25, 2
	s_mov_b32 s10, 0
	s_cbranch_scc1 .LBB273_1084
; %bb.1080:
	v_mov_b32_e32 v7, 0
	v_mov_b32_e32 v3, 0
	;; [unrolled: 1-line block ×3, first 2 shown]
	s_add_u32 s2, s16, 0xc4
	s_addc_u32 s3, s17, 0
	s_and_b32 s10, s7, 28
	s_mov_b32 s11, 0
	s_mov_b64 s[4:5], s[16:17]
.LBB273_1081:                           ; =>This Inner Loop Header: Depth=1
	s_clause 0x1
	s_load_b256 s[36:43], s[4:5], 0x4
	s_load_b128 s[12:15], s[4:5], 0x24
	s_load_b256 s[44:51], s[2:3], 0x0
	s_add_u32 s4, s4, 48
	s_addc_u32 s5, s5, 0
	s_add_i32 s11, s11, 4
	s_add_u32 s2, s2, 32
	s_addc_u32 s3, s3, 0
	s_cmp_lg_u32 s10, s11
	s_waitcnt lgkmcnt(0)
	v_mul_hi_u32 v2, s37, v1
	s_delay_alu instid0(VALU_DEP_1) | instskip(NEXT) | instid1(VALU_DEP_1)
	v_add_nc_u32_e32 v2, v1, v2
	v_lshrrev_b32_e32 v2, s38, v2
	s_delay_alu instid0(VALU_DEP_1) | instskip(SKIP_1) | instid1(VALU_DEP_2)
	v_mul_hi_u32 v4, s40, v2
	v_mul_lo_u32 v9, v2, s36
	v_add_nc_u32_e32 v4, v2, v4
	s_delay_alu instid0(VALU_DEP_2) | instskip(NEXT) | instid1(VALU_DEP_2)
	v_sub_nc_u32_e32 v1, v1, v9
	v_lshrrev_b32_e32 v4, s41, v4
	s_delay_alu instid0(VALU_DEP_2) | instskip(SKIP_2) | instid1(VALU_DEP_3)
	v_mul_lo_u32 v9, v1, s44
	v_mul_lo_u32 v11, v1, s45
	s_waitcnt vmcnt(0)
	v_mul_hi_u32 v6, s43, v4
	s_delay_alu instid0(VALU_DEP_1) | instskip(NEXT) | instid1(VALU_DEP_1)
	v_add_nc_u32_e32 v6, v4, v6
	v_lshrrev_b32_e32 v6, s12, v6
	s_delay_alu instid0(VALU_DEP_1) | instskip(SKIP_1) | instid1(VALU_DEP_2)
	v_mul_hi_u32 v10, s14, v6
	v_mul_lo_u32 v12, v6, s42
	v_add_nc_u32_e32 v1, v6, v10
	v_mul_lo_u32 v10, v4, s39
	s_delay_alu instid0(VALU_DEP_3) | instskip(NEXT) | instid1(VALU_DEP_3)
	v_sub_nc_u32_e32 v4, v4, v12
	v_lshrrev_b32_e32 v1, s15, v1
	s_delay_alu instid0(VALU_DEP_2) | instskip(SKIP_2) | instid1(VALU_DEP_4)
	v_mul_lo_u32 v12, v4, s48
	v_mul_lo_u32 v4, v4, s49
	v_sub_nc_u32_e32 v2, v2, v10
	v_mul_lo_u32 v13, v1, s13
	s_delay_alu instid0(VALU_DEP_2) | instskip(SKIP_1) | instid1(VALU_DEP_3)
	v_mul_lo_u32 v10, v2, s46
	v_mul_lo_u32 v2, v2, s47
	v_sub_nc_u32_e32 v6, v6, v13
	s_delay_alu instid0(VALU_DEP_3) | instskip(NEXT) | instid1(VALU_DEP_2)
	v_add3_u32 v3, v9, v3, v10
	v_mul_lo_u32 v13, v6, s50
	v_mul_lo_u32 v6, v6, s51
	v_add3_u32 v2, v11, v7, v2
	s_delay_alu instid0(VALU_DEP_3) | instskip(NEXT) | instid1(VALU_DEP_2)
	v_add3_u32 v3, v12, v3, v13
	v_add3_u32 v7, v4, v2, v6
	s_cbranch_scc1 .LBB273_1081
; %bb.1082:
	s_and_b32 s7, s7, 3
	s_delay_alu instid0(SALU_CYCLE_1)
	s_cmp_eq_u32 s7, 0
	s_cbranch_scc0 .LBB273_1085
	s_branch .LBB273_1087
.LBB273_1083:
	s_mov_b32 s6, -1
                                        ; implicit-def: $vgpr3
                                        ; implicit-def: $vgpr7
	s_branch .LBB273_1087
.LBB273_1084:
	v_mov_b32_e32 v1, v5
	v_mov_b32_e32 v7, 0
	s_and_b32 s7, s7, 3
	s_delay_alu instid0(SALU_CYCLE_1)
	s_cmp_eq_u32 s7, 0
	s_cbranch_scc1 .LBB273_1087
.LBB273_1085:
	s_lshl_b32 s2, s10, 3
	s_mul_i32 s4, s10, 12
	s_add_u32 s2, s2, s16
	s_addc_u32 s3, 0, s17
	s_add_u32 s2, s2, 0xc4
	s_addc_u32 s3, s3, 0
	;; [unrolled: 2-line block ×3, first 2 shown]
	.p2align	6
.LBB273_1086:                           ; =>This Inner Loop Header: Depth=1
	s_clause 0x1
	s_load_b64 s[10:11], s[4:5], 0x4
	s_load_b32 s14, s[4:5], 0xc
	s_load_b64 s[12:13], s[2:3], 0x0
	s_add_u32 s4, s4, 12
	s_addc_u32 s5, s5, 0
	s_add_u32 s2, s2, 8
	s_addc_u32 s3, s3, 0
	s_add_i32 s7, s7, -1
	s_delay_alu instid0(SALU_CYCLE_1) | instskip(SKIP_2) | instid1(VALU_DEP_1)
	s_cmp_lg_u32 s7, 0
	s_waitcnt lgkmcnt(0)
	v_mul_hi_u32 v2, s11, v1
	v_add_nc_u32_e32 v2, v1, v2
	s_delay_alu instid0(VALU_DEP_1) | instskip(NEXT) | instid1(VALU_DEP_1)
	v_lshrrev_b32_e32 v4, s14, v2
	v_mul_lo_u32 v2, v4, s10
	s_delay_alu instid0(VALU_DEP_1) | instskip(NEXT) | instid1(VALU_DEP_1)
	v_sub_nc_u32_e32 v1, v1, v2
	v_mad_u64_u32 v[9:10], null, v1, s12, v[3:4]
	v_mad_u64_u32 v[2:3], null, v1, s13, v[7:8]
	v_mov_b32_e32 v1, v4
	s_delay_alu instid0(VALU_DEP_3) | instskip(NEXT) | instid1(VALU_DEP_3)
	v_mov_b32_e32 v3, v9
	v_mov_b32_e32 v7, v2
	s_cbranch_scc1 .LBB273_1086
.LBB273_1087:
	s_and_not1_b32 vcc_lo, exec_lo, s6
	s_cbranch_vccnz .LBB273_1090
; %bb.1088:
	s_clause 0x1
	s_load_b128 s[4:7], s[16:17], 0x4
	s_load_b64 s[2:3], s[16:17], 0xc4
	s_cmp_lt_u32 s24, 2
	s_waitcnt lgkmcnt(0)
	v_mul_hi_u32 v1, s5, v5
	s_delay_alu instid0(VALU_DEP_1) | instskip(NEXT) | instid1(VALU_DEP_1)
	v_add_nc_u32_e32 v1, v5, v1
	v_lshrrev_b32_e32 v1, s6, v1
	s_delay_alu instid0(VALU_DEP_1) | instskip(NEXT) | instid1(VALU_DEP_1)
	v_mul_lo_u32 v2, v1, s4
	v_sub_nc_u32_e32 v2, v5, v2
	s_delay_alu instid0(VALU_DEP_1)
	v_mul_lo_u32 v3, v2, s2
	v_mul_lo_u32 v7, v2, s3
	s_cbranch_scc1 .LBB273_1090
; %bb.1089:
	s_clause 0x1
	s_load_b128 s[4:7], s[16:17], 0x10
	s_load_b64 s[2:3], s[16:17], 0xcc
	s_waitcnt lgkmcnt(0)
	v_mul_hi_u32 v2, s5, v1
	s_delay_alu instid0(VALU_DEP_1) | instskip(NEXT) | instid1(VALU_DEP_1)
	v_add_nc_u32_e32 v2, v1, v2
	v_lshrrev_b32_e32 v2, s6, v2
	s_delay_alu instid0(VALU_DEP_1) | instskip(NEXT) | instid1(VALU_DEP_1)
	v_mul_lo_u32 v2, v2, s4
	v_sub_nc_u32_e32 v4, v1, v2
	s_delay_alu instid0(VALU_DEP_1) | instskip(SKIP_1) | instid1(VALU_DEP_2)
	v_mad_u64_u32 v[1:2], null, v4, s2, v[3:4]
	v_mad_u64_u32 v[2:3], null, v4, s3, v[7:8]
	v_mov_b32_e32 v3, v1
	s_delay_alu instid0(VALU_DEP_2)
	v_mov_b32_e32 v7, v2
.LBB273_1090:
	v_cmp_ne_u32_e32 vcc_lo, 1, v0
	v_add_nc_u32_e32 v1, 0x80, v5
	s_cbranch_vccnz .LBB273_1096
; %bb.1091:
	v_mov_b32_e32 v2, 0
	s_waitcnt vmcnt(0)
	v_mov_b32_e32 v6, 0
	s_cmp_lg_u32 s24, 0
	s_mov_b32 s6, 0
	s_cbranch_scc0 .LBB273_1100
; %bb.1092:
	s_min_u32 s7, s25, 15
	v_mov_b32_e32 v2, 0
	s_add_i32 s7, s7, 1
	s_cmp_eq_u32 s25, 2
	s_mov_b32 s10, 0
	s_cbranch_scc1 .LBB273_1097
; %bb.1093:
	v_mov_b32_e32 v6, 0
	v_mov_b32_e32 v2, 0
	;; [unrolled: 1-line block ×3, first 2 shown]
	s_add_u32 s2, s16, 0xc4
	s_addc_u32 s3, s17, 0
	s_and_b32 s10, s7, 28
	s_mov_b32 s11, 0
	s_mov_b64 s[4:5], s[16:17]
.LBB273_1094:                           ; =>This Inner Loop Header: Depth=1
	s_clause 0x1
	s_load_b256 s[36:43], s[4:5], 0x4
	s_load_b128 s[12:15], s[4:5], 0x24
	s_load_b256 s[44:51], s[2:3], 0x0
	s_add_u32 s4, s4, 48
	s_addc_u32 s5, s5, 0
	s_add_i32 s11, s11, 4
	s_add_u32 s2, s2, 32
	s_addc_u32 s3, s3, 0
	s_cmp_lg_u32 s10, s11
	s_waitcnt lgkmcnt(0)
	v_mul_hi_u32 v9, s37, v4
	s_delay_alu instid0(VALU_DEP_1) | instskip(NEXT) | instid1(VALU_DEP_1)
	v_add_nc_u32_e32 v9, v4, v9
	v_lshrrev_b32_e32 v9, s38, v9
	s_delay_alu instid0(VALU_DEP_1) | instskip(SKIP_1) | instid1(VALU_DEP_2)
	v_mul_hi_u32 v10, s40, v9
	v_mul_lo_u32 v12, v9, s36
	v_add_nc_u32_e32 v10, v9, v10
	s_delay_alu instid0(VALU_DEP_2) | instskip(NEXT) | instid1(VALU_DEP_2)
	v_sub_nc_u32_e32 v4, v4, v12
	v_lshrrev_b32_e32 v10, s41, v10
	s_delay_alu instid0(VALU_DEP_2) | instskip(SKIP_1) | instid1(VALU_DEP_3)
	v_mul_lo_u32 v12, v4, s44
	v_mul_lo_u32 v14, v4, s45
	v_mul_hi_u32 v11, s43, v10
	s_delay_alu instid0(VALU_DEP_1) | instskip(NEXT) | instid1(VALU_DEP_1)
	v_add_nc_u32_e32 v11, v10, v11
	v_lshrrev_b32_e32 v11, s12, v11
	s_delay_alu instid0(VALU_DEP_1) | instskip(SKIP_1) | instid1(VALU_DEP_2)
	v_mul_hi_u32 v13, s14, v11
	v_mul_lo_u32 v15, v11, s42
	v_add_nc_u32_e32 v4, v11, v13
	v_mul_lo_u32 v13, v10, s39
	s_delay_alu instid0(VALU_DEP_3) | instskip(NEXT) | instid1(VALU_DEP_3)
	v_sub_nc_u32_e32 v10, v10, v15
	v_lshrrev_b32_e32 v4, s15, v4
	s_delay_alu instid0(VALU_DEP_2) | instskip(SKIP_2) | instid1(VALU_DEP_4)
	v_mul_lo_u32 v15, v10, s48
	v_mul_lo_u32 v10, v10, s49
	v_sub_nc_u32_e32 v9, v9, v13
	v_mul_lo_u32 v16, v4, s13
	s_delay_alu instid0(VALU_DEP_2) | instskip(SKIP_1) | instid1(VALU_DEP_3)
	v_mul_lo_u32 v13, v9, s46
	v_mul_lo_u32 v9, v9, s47
	v_sub_nc_u32_e32 v11, v11, v16
	s_delay_alu instid0(VALU_DEP_3) | instskip(NEXT) | instid1(VALU_DEP_2)
	v_add3_u32 v2, v12, v2, v13
	v_mul_lo_u32 v16, v11, s50
	v_mul_lo_u32 v11, v11, s51
	v_add3_u32 v6, v14, v6, v9
	s_delay_alu instid0(VALU_DEP_3) | instskip(NEXT) | instid1(VALU_DEP_2)
	v_add3_u32 v2, v15, v2, v16
	v_add3_u32 v6, v10, v6, v11
	s_cbranch_scc1 .LBB273_1094
; %bb.1095:
	s_and_b32 s7, s7, 3
	s_delay_alu instid0(SALU_CYCLE_1)
	s_cmp_eq_u32 s7, 0
	s_cbranch_scc0 .LBB273_1098
	s_branch .LBB273_1100
.LBB273_1096:
	s_mov_b32 s6, -1
                                        ; implicit-def: $vgpr2
                                        ; implicit-def: $vgpr6
	s_branch .LBB273_1100
.LBB273_1097:
	v_mov_b32_e32 v4, v1
	v_mov_b32_e32 v6, 0
	s_and_b32 s7, s7, 3
	s_delay_alu instid0(SALU_CYCLE_1)
	s_cmp_eq_u32 s7, 0
	s_cbranch_scc1 .LBB273_1100
.LBB273_1098:
	s_lshl_b32 s2, s10, 3
	s_mul_i32 s4, s10, 12
	s_add_u32 s2, s2, s16
	s_addc_u32 s3, 0, s17
	s_add_u32 s2, s2, 0xc4
	s_addc_u32 s3, s3, 0
	;; [unrolled: 2-line block ×3, first 2 shown]
	.p2align	6
.LBB273_1099:                           ; =>This Inner Loop Header: Depth=1
	s_clause 0x1
	s_load_b64 s[10:11], s[4:5], 0x4
	s_load_b32 s14, s[4:5], 0xc
	s_load_b64 s[12:13], s[2:3], 0x0
	s_add_u32 s4, s4, 12
	s_addc_u32 s5, s5, 0
	s_add_u32 s2, s2, 8
	s_addc_u32 s3, s3, 0
	s_add_i32 s7, s7, -1
	s_delay_alu instid0(SALU_CYCLE_1) | instskip(SKIP_2) | instid1(VALU_DEP_1)
	s_cmp_lg_u32 s7, 0
	s_waitcnt lgkmcnt(0)
	v_mul_hi_u32 v9, s11, v4
	v_add_nc_u32_e32 v9, v4, v9
	s_delay_alu instid0(VALU_DEP_1) | instskip(NEXT) | instid1(VALU_DEP_1)
	v_lshrrev_b32_e32 v12, s14, v9
	v_mul_lo_u32 v9, v12, s10
	s_delay_alu instid0(VALU_DEP_1) | instskip(NEXT) | instid1(VALU_DEP_1)
	v_sub_nc_u32_e32 v4, v4, v9
	v_mad_u64_u32 v[9:10], null, v4, s12, v[2:3]
	v_mad_u64_u32 v[10:11], null, v4, s13, v[6:7]
	v_mov_b32_e32 v4, v12
	s_delay_alu instid0(VALU_DEP_3) | instskip(NEXT) | instid1(VALU_DEP_3)
	v_mov_b32_e32 v2, v9
	v_mov_b32_e32 v6, v10
	s_cbranch_scc1 .LBB273_1099
.LBB273_1100:
	s_and_not1_b32 vcc_lo, exec_lo, s6
	s_cbranch_vccnz .LBB273_1103
; %bb.1101:
	s_clause 0x1
	s_load_b128 s[4:7], s[16:17], 0x4
	s_load_b64 s[2:3], s[16:17], 0xc4
	s_cmp_lt_u32 s24, 2
	s_waitcnt lgkmcnt(0)
	v_mul_hi_u32 v2, s5, v1
	s_delay_alu instid0(VALU_DEP_1) | instskip(NEXT) | instid1(VALU_DEP_1)
	v_add_nc_u32_e32 v2, v1, v2
	v_lshrrev_b32_e32 v4, s6, v2
	s_delay_alu instid0(VALU_DEP_1) | instskip(NEXT) | instid1(VALU_DEP_1)
	v_mul_lo_u32 v2, v4, s4
	v_sub_nc_u32_e32 v1, v1, v2
	s_delay_alu instid0(VALU_DEP_1)
	v_mul_lo_u32 v2, v1, s2
	s_waitcnt vmcnt(0)
	v_mul_lo_u32 v6, v1, s3
	s_cbranch_scc1 .LBB273_1103
; %bb.1102:
	s_clause 0x1
	s_load_b128 s[4:7], s[16:17], 0x10
	s_load_b64 s[2:3], s[16:17], 0xcc
	s_waitcnt lgkmcnt(0)
	v_mul_hi_u32 v1, s5, v4
	s_delay_alu instid0(VALU_DEP_1) | instskip(NEXT) | instid1(VALU_DEP_1)
	v_add_nc_u32_e32 v1, v4, v1
	v_lshrrev_b32_e32 v1, s6, v1
	s_delay_alu instid0(VALU_DEP_1) | instskip(NEXT) | instid1(VALU_DEP_1)
	v_mul_lo_u32 v1, v1, s4
	v_sub_nc_u32_e32 v4, v4, v1
	s_delay_alu instid0(VALU_DEP_1) | instskip(SKIP_1) | instid1(VALU_DEP_2)
	v_mad_u64_u32 v[9:10], null, v4, s2, v[2:3]
	v_mad_u64_u32 v[1:2], null, v4, s3, v[6:7]
	v_mov_b32_e32 v2, v9
	s_delay_alu instid0(VALU_DEP_2)
	v_mov_b32_e32 v6, v1
.LBB273_1103:
	v_cmp_ne_u32_e32 vcc_lo, 1, v0
	v_add_nc_u32_e32 v4, 0x100, v5
	s_cbranch_vccnz .LBB273_1109
; %bb.1104:
	v_mov_b32_e32 v1, 0
	v_mov_b32_e32 v5, 0
	s_cmp_lg_u32 s24, 0
	s_mov_b32 s6, 0
	s_cbranch_scc0 .LBB273_1113
; %bb.1105:
	s_min_u32 s7, s25, 15
	v_mov_b32_e32 v1, 0
	s_add_i32 s7, s7, 1
	s_cmp_eq_u32 s25, 2
	s_mov_b32 s10, 0
	s_cbranch_scc1 .LBB273_1110
; %bb.1106:
	v_mov_b32_e32 v5, 0
	v_mov_b32_e32 v1, 0
	;; [unrolled: 1-line block ×3, first 2 shown]
	s_add_u32 s2, s16, 0xc4
	s_addc_u32 s3, s17, 0
	s_and_b32 s10, s7, 28
	s_mov_b32 s11, 0
	s_mov_b64 s[4:5], s[16:17]
.LBB273_1107:                           ; =>This Inner Loop Header: Depth=1
	s_clause 0x1
	s_load_b256 s[36:43], s[4:5], 0x4
	s_load_b128 s[12:15], s[4:5], 0x24
	s_load_b256 s[44:51], s[2:3], 0x0
	s_add_u32 s4, s4, 48
	s_addc_u32 s5, s5, 0
	s_add_i32 s11, s11, 4
	s_add_u32 s2, s2, 32
	s_addc_u32 s3, s3, 0
	s_cmp_lg_u32 s10, s11
	s_waitcnt lgkmcnt(0)
	v_mul_hi_u32 v10, s37, v9
	s_delay_alu instid0(VALU_DEP_1) | instskip(NEXT) | instid1(VALU_DEP_1)
	v_add_nc_u32_e32 v10, v9, v10
	v_lshrrev_b32_e32 v10, s38, v10
	s_delay_alu instid0(VALU_DEP_1) | instskip(SKIP_1) | instid1(VALU_DEP_2)
	v_mul_hi_u32 v11, s40, v10
	v_mul_lo_u32 v13, v10, s36
	v_add_nc_u32_e32 v11, v10, v11
	s_delay_alu instid0(VALU_DEP_2) | instskip(NEXT) | instid1(VALU_DEP_2)
	v_sub_nc_u32_e32 v9, v9, v13
	v_lshrrev_b32_e32 v11, s41, v11
	s_delay_alu instid0(VALU_DEP_2) | instskip(SKIP_1) | instid1(VALU_DEP_3)
	v_mul_lo_u32 v13, v9, s44
	v_mul_lo_u32 v15, v9, s45
	v_mul_hi_u32 v12, s43, v11
	s_delay_alu instid0(VALU_DEP_1) | instskip(NEXT) | instid1(VALU_DEP_1)
	v_add_nc_u32_e32 v12, v11, v12
	v_lshrrev_b32_e32 v12, s12, v12
	s_delay_alu instid0(VALU_DEP_1) | instskip(SKIP_1) | instid1(VALU_DEP_2)
	v_mul_hi_u32 v14, s14, v12
	v_mul_lo_u32 v16, v12, s42
	v_add_nc_u32_e32 v9, v12, v14
	v_mul_lo_u32 v14, v11, s39
	s_delay_alu instid0(VALU_DEP_3) | instskip(NEXT) | instid1(VALU_DEP_3)
	v_sub_nc_u32_e32 v11, v11, v16
	v_lshrrev_b32_e32 v9, s15, v9
	s_delay_alu instid0(VALU_DEP_2) | instskip(SKIP_2) | instid1(VALU_DEP_4)
	v_mul_lo_u32 v16, v11, s48
	v_mul_lo_u32 v11, v11, s49
	v_sub_nc_u32_e32 v10, v10, v14
	v_mul_lo_u32 v17, v9, s13
	s_delay_alu instid0(VALU_DEP_2) | instskip(SKIP_1) | instid1(VALU_DEP_3)
	v_mul_lo_u32 v14, v10, s46
	v_mul_lo_u32 v10, v10, s47
	v_sub_nc_u32_e32 v12, v12, v17
	s_delay_alu instid0(VALU_DEP_3) | instskip(NEXT) | instid1(VALU_DEP_2)
	v_add3_u32 v1, v13, v1, v14
	v_mul_lo_u32 v17, v12, s50
	v_mul_lo_u32 v12, v12, s51
	v_add3_u32 v5, v15, v5, v10
	s_delay_alu instid0(VALU_DEP_3) | instskip(NEXT) | instid1(VALU_DEP_2)
	v_add3_u32 v1, v16, v1, v17
	v_add3_u32 v5, v11, v5, v12
	s_cbranch_scc1 .LBB273_1107
; %bb.1108:
	s_and_b32 s7, s7, 3
	s_delay_alu instid0(SALU_CYCLE_1)
	s_cmp_eq_u32 s7, 0
	s_cbranch_scc0 .LBB273_1111
	s_branch .LBB273_1113
.LBB273_1109:
	s_mov_b32 s6, -1
                                        ; implicit-def: $vgpr1
                                        ; implicit-def: $vgpr5
	s_branch .LBB273_1113
.LBB273_1110:
	v_mov_b32_e32 v9, v4
	v_mov_b32_e32 v5, 0
	s_and_b32 s7, s7, 3
	s_delay_alu instid0(SALU_CYCLE_1)
	s_cmp_eq_u32 s7, 0
	s_cbranch_scc1 .LBB273_1113
.LBB273_1111:
	s_lshl_b32 s2, s10, 3
	s_mul_i32 s4, s10, 12
	s_add_u32 s2, s2, s16
	s_addc_u32 s3, 0, s17
	s_add_u32 s2, s2, 0xc4
	s_addc_u32 s3, s3, 0
	;; [unrolled: 2-line block ×3, first 2 shown]
	.p2align	6
.LBB273_1112:                           ; =>This Inner Loop Header: Depth=1
	s_clause 0x1
	s_load_b64 s[10:11], s[4:5], 0x4
	s_load_b32 s14, s[4:5], 0xc
	s_load_b64 s[12:13], s[2:3], 0x0
	s_add_u32 s4, s4, 12
	s_addc_u32 s5, s5, 0
	s_add_u32 s2, s2, 8
	s_addc_u32 s3, s3, 0
	s_add_i32 s7, s7, -1
	s_delay_alu instid0(SALU_CYCLE_1) | instskip(SKIP_2) | instid1(VALU_DEP_1)
	s_cmp_lg_u32 s7, 0
	s_waitcnt lgkmcnt(0)
	v_mul_hi_u32 v10, s11, v9
	v_add_nc_u32_e32 v10, v9, v10
	s_delay_alu instid0(VALU_DEP_1) | instskip(NEXT) | instid1(VALU_DEP_1)
	v_lshrrev_b32_e32 v13, s14, v10
	v_mul_lo_u32 v10, v13, s10
	s_delay_alu instid0(VALU_DEP_1) | instskip(NEXT) | instid1(VALU_DEP_1)
	v_sub_nc_u32_e32 v9, v9, v10
	v_mad_u64_u32 v[10:11], null, v9, s12, v[1:2]
	s_waitcnt vmcnt(0)
	v_mad_u64_u32 v[11:12], null, v9, s13, v[5:6]
	v_mov_b32_e32 v9, v13
	s_delay_alu instid0(VALU_DEP_3) | instskip(NEXT) | instid1(VALU_DEP_3)
	v_mov_b32_e32 v1, v10
	v_mov_b32_e32 v5, v11
	s_cbranch_scc1 .LBB273_1112
.LBB273_1113:
	s_and_not1_b32 vcc_lo, exec_lo, s6
	s_cbranch_vccnz .LBB273_1116
; %bb.1114:
	s_clause 0x1
	s_load_b128 s[4:7], s[16:17], 0x4
	s_load_b64 s[2:3], s[16:17], 0xc4
	s_cmp_lt_u32 s24, 2
	s_waitcnt lgkmcnt(0)
	v_mul_hi_u32 v1, s5, v4
	s_delay_alu instid0(VALU_DEP_1) | instskip(NEXT) | instid1(VALU_DEP_1)
	v_add_nc_u32_e32 v1, v4, v1
	v_lshrrev_b32_e32 v9, s6, v1
	s_delay_alu instid0(VALU_DEP_1) | instskip(NEXT) | instid1(VALU_DEP_1)
	v_mul_lo_u32 v1, v9, s4
	v_sub_nc_u32_e32 v4, v4, v1
	s_delay_alu instid0(VALU_DEP_1)
	v_mul_lo_u32 v1, v4, s2
	v_mul_lo_u32 v5, v4, s3
	s_cbranch_scc1 .LBB273_1116
; %bb.1115:
	s_clause 0x1
	s_load_b128 s[4:7], s[16:17], 0x10
	s_load_b64 s[2:3], s[16:17], 0xcc
	s_waitcnt lgkmcnt(0)
	v_mul_hi_u32 v4, s5, v9
	s_delay_alu instid0(VALU_DEP_1) | instskip(NEXT) | instid1(VALU_DEP_1)
	v_add_nc_u32_e32 v4, v9, v4
	v_lshrrev_b32_e32 v4, s6, v4
	s_delay_alu instid0(VALU_DEP_1) | instskip(NEXT) | instid1(VALU_DEP_1)
	v_mul_lo_u32 v4, v4, s4
	v_sub_nc_u32_e32 v4, v9, v4
	s_delay_alu instid0(VALU_DEP_1) | instskip(SKIP_2) | instid1(VALU_DEP_2)
	v_mad_u64_u32 v[9:10], null, v4, s2, v[1:2]
	s_waitcnt vmcnt(0)
	v_mad_u64_u32 v[10:11], null, v4, s3, v[5:6]
	v_mov_b32_e32 v1, v9
	s_delay_alu instid0(VALU_DEP_2)
	v_mov_b32_e32 v5, v10
.LBB273_1116:
	v_cmp_ne_u32_e32 vcc_lo, 1, v0
	s_cbranch_vccnz .LBB273_1122
; %bb.1117:
	v_mov_b32_e32 v0, 0
	v_mov_b32_e32 v4, 0
	s_cmp_lg_u32 s24, 0
	s_mov_b32 s6, 0
	s_cbranch_scc0 .LBB273_1126
; %bb.1118:
	s_min_u32 s7, s25, 15
	v_mov_b32_e32 v0, 0
	s_add_i32 s7, s7, 1
	s_cmp_eq_u32 s25, 2
	s_mov_b32 s10, 0
	s_cbranch_scc1 .LBB273_1123
; %bb.1119:
	v_dual_mov_b32 v4, 0 :: v_dual_mov_b32 v9, v8
	v_mov_b32_e32 v0, 0
	s_add_u32 s2, s16, 0xc4
	s_addc_u32 s3, s17, 0
	s_and_b32 s10, s7, 28
	s_mov_b32 s11, 0
	s_mov_b64 s[4:5], s[16:17]
.LBB273_1120:                           ; =>This Inner Loop Header: Depth=1
	s_clause 0x1
	s_load_b256 s[36:43], s[4:5], 0x4
	s_load_b128 s[12:15], s[4:5], 0x24
	s_load_b256 s[44:51], s[2:3], 0x0
	s_add_u32 s4, s4, 48
	s_addc_u32 s5, s5, 0
	s_add_i32 s11, s11, 4
	s_add_u32 s2, s2, 32
	s_addc_u32 s3, s3, 0
	s_cmp_lg_u32 s10, s11
	s_waitcnt lgkmcnt(0)
	v_mul_hi_u32 v10, s37, v9
	s_delay_alu instid0(VALU_DEP_1) | instskip(NEXT) | instid1(VALU_DEP_1)
	v_add_nc_u32_e32 v10, v9, v10
	v_lshrrev_b32_e32 v10, s38, v10
	s_delay_alu instid0(VALU_DEP_1) | instskip(SKIP_1) | instid1(VALU_DEP_2)
	v_mul_hi_u32 v11, s40, v10
	v_mul_lo_u32 v13, v10, s36
	v_add_nc_u32_e32 v11, v10, v11
	s_delay_alu instid0(VALU_DEP_2) | instskip(NEXT) | instid1(VALU_DEP_2)
	v_sub_nc_u32_e32 v9, v9, v13
	v_lshrrev_b32_e32 v11, s41, v11
	s_delay_alu instid0(VALU_DEP_2) | instskip(SKIP_1) | instid1(VALU_DEP_3)
	v_mul_lo_u32 v13, v9, s44
	v_mul_lo_u32 v15, v9, s45
	v_mul_hi_u32 v12, s43, v11
	s_delay_alu instid0(VALU_DEP_1) | instskip(NEXT) | instid1(VALU_DEP_1)
	v_add_nc_u32_e32 v12, v11, v12
	v_lshrrev_b32_e32 v12, s12, v12
	s_delay_alu instid0(VALU_DEP_1) | instskip(SKIP_1) | instid1(VALU_DEP_2)
	v_mul_hi_u32 v14, s14, v12
	v_mul_lo_u32 v16, v12, s42
	v_add_nc_u32_e32 v9, v12, v14
	v_mul_lo_u32 v14, v11, s39
	s_delay_alu instid0(VALU_DEP_3) | instskip(NEXT) | instid1(VALU_DEP_3)
	v_sub_nc_u32_e32 v11, v11, v16
	v_lshrrev_b32_e32 v9, s15, v9
	s_delay_alu instid0(VALU_DEP_2) | instskip(SKIP_2) | instid1(VALU_DEP_4)
	v_mul_lo_u32 v16, v11, s48
	v_mul_lo_u32 v11, v11, s49
	v_sub_nc_u32_e32 v10, v10, v14
	v_mul_lo_u32 v17, v9, s13
	s_delay_alu instid0(VALU_DEP_2) | instskip(SKIP_1) | instid1(VALU_DEP_3)
	v_mul_lo_u32 v14, v10, s46
	v_mul_lo_u32 v10, v10, s47
	v_sub_nc_u32_e32 v12, v12, v17
	s_delay_alu instid0(VALU_DEP_3) | instskip(NEXT) | instid1(VALU_DEP_2)
	v_add3_u32 v0, v13, v0, v14
	v_mul_lo_u32 v17, v12, s50
	v_mul_lo_u32 v12, v12, s51
	v_add3_u32 v4, v15, v4, v10
	s_delay_alu instid0(VALU_DEP_3) | instskip(NEXT) | instid1(VALU_DEP_2)
	v_add3_u32 v0, v16, v0, v17
	v_add3_u32 v4, v11, v4, v12
	s_cbranch_scc1 .LBB273_1120
; %bb.1121:
	s_and_b32 s7, s7, 3
	s_delay_alu instid0(SALU_CYCLE_1)
	s_cmp_eq_u32 s7, 0
	s_cbranch_scc0 .LBB273_1124
	s_branch .LBB273_1126
.LBB273_1122:
	s_mov_b32 s6, -1
                                        ; implicit-def: $vgpr0
                                        ; implicit-def: $vgpr4
	s_branch .LBB273_1126
.LBB273_1123:
	v_dual_mov_b32 v9, v8 :: v_dual_mov_b32 v4, 0
	s_and_b32 s7, s7, 3
	s_delay_alu instid0(SALU_CYCLE_1)
	s_cmp_eq_u32 s7, 0
	s_cbranch_scc1 .LBB273_1126
.LBB273_1124:
	s_lshl_b32 s2, s10, 3
	s_mul_i32 s4, s10, 12
	s_add_u32 s2, s2, s16
	s_addc_u32 s3, 0, s17
	s_add_u32 s2, s2, 0xc4
	s_addc_u32 s3, s3, 0
	;; [unrolled: 2-line block ×3, first 2 shown]
	.p2align	6
.LBB273_1125:                           ; =>This Inner Loop Header: Depth=1
	s_clause 0x1
	s_load_b64 s[10:11], s[4:5], 0x4
	s_load_b32 s14, s[4:5], 0xc
	s_load_b64 s[12:13], s[2:3], 0x0
	s_add_u32 s4, s4, 12
	s_addc_u32 s5, s5, 0
	s_add_u32 s2, s2, 8
	s_addc_u32 s3, s3, 0
	s_add_i32 s7, s7, -1
	s_delay_alu instid0(SALU_CYCLE_1) | instskip(SKIP_2) | instid1(VALU_DEP_1)
	s_cmp_lg_u32 s7, 0
	s_waitcnt lgkmcnt(0)
	v_mul_hi_u32 v10, s11, v9
	v_add_nc_u32_e32 v10, v9, v10
	s_delay_alu instid0(VALU_DEP_1) | instskip(NEXT) | instid1(VALU_DEP_1)
	v_lshrrev_b32_e32 v13, s14, v10
	v_mul_lo_u32 v10, v13, s10
	s_delay_alu instid0(VALU_DEP_1) | instskip(NEXT) | instid1(VALU_DEP_1)
	v_sub_nc_u32_e32 v9, v9, v10
	v_mad_u64_u32 v[10:11], null, v9, s12, v[0:1]
	v_mad_u64_u32 v[11:12], null, v9, s13, v[4:5]
	s_delay_alu instid0(VALU_DEP_2) | instskip(NEXT) | instid1(VALU_DEP_2)
	v_dual_mov_b32 v9, v13 :: v_dual_mov_b32 v0, v10
	v_mov_b32_e32 v4, v11
	s_cbranch_scc1 .LBB273_1125
.LBB273_1126:
	s_and_not1_b32 vcc_lo, exec_lo, s6
	s_cbranch_vccnz .LBB273_1129
; %bb.1127:
	s_clause 0x1
	s_load_b128 s[4:7], s[16:17], 0x4
	s_load_b64 s[2:3], s[16:17], 0xc4
	s_cmp_lt_u32 s24, 2
	s_waitcnt lgkmcnt(0)
	v_mul_hi_u32 v0, s5, v8
	s_delay_alu instid0(VALU_DEP_1) | instskip(NEXT) | instid1(VALU_DEP_1)
	v_add_nc_u32_e32 v0, v8, v0
	v_lshrrev_b32_e32 v9, s6, v0
	s_delay_alu instid0(VALU_DEP_1) | instskip(NEXT) | instid1(VALU_DEP_1)
	v_mul_lo_u32 v0, v9, s4
	v_sub_nc_u32_e32 v4, v8, v0
	s_delay_alu instid0(VALU_DEP_1)
	v_mul_lo_u32 v0, v4, s2
	v_mul_lo_u32 v4, v4, s3
	s_cbranch_scc1 .LBB273_1129
; %bb.1128:
	s_clause 0x1
	s_load_b128 s[4:7], s[16:17], 0x10
	s_load_b64 s[2:3], s[16:17], 0xcc
	s_waitcnt lgkmcnt(0)
	v_mul_hi_u32 v8, s5, v9
	s_delay_alu instid0(VALU_DEP_1) | instskip(NEXT) | instid1(VALU_DEP_1)
	v_add_nc_u32_e32 v8, v9, v8
	v_lshrrev_b32_e32 v8, s6, v8
	s_delay_alu instid0(VALU_DEP_1) | instskip(NEXT) | instid1(VALU_DEP_1)
	v_mul_lo_u32 v8, v8, s4
	v_sub_nc_u32_e32 v11, v9, v8
	s_delay_alu instid0(VALU_DEP_1) | instskip(SKIP_1) | instid1(VALU_DEP_2)
	v_mad_u64_u32 v[8:9], null, v11, s2, v[0:1]
	v_mad_u64_u32 v[9:10], null, v11, s3, v[4:5]
	v_mov_b32_e32 v0, v8
	s_delay_alu instid0(VALU_DEP_2)
	v_mov_b32_e32 v4, v9
.LBB273_1129:
	s_clause 0x1
	s_load_b32 s2, s[0:1], 0x160
	s_load_b128 s[4:7], s[16:17], 0x148
	s_mov_b32 s10, 0
	s_waitcnt lgkmcnt(0)
	s_lshr_b32 s0, s2, 16
	s_delay_alu instid0(SALU_CYCLE_1) | instskip(SKIP_1) | instid1(VALU_DEP_1)
	v_and_b32_e64 v9, 0xff, s0
	v_add_co_u32 v7, s0, s6, v7
	v_add_co_ci_u32_e64 v8, null, s7, 0, s0
	s_delay_alu instid0(VALU_DEP_3)
	v_cmp_gt_i16_e32 vcc_lo, 11, v9
	s_cbranch_vccnz .LBB273_1136
; %bb.1130:
	v_cmp_lt_i16_e32 vcc_lo, 25, v9
	s_mov_b32 s3, 0
	s_cbranch_vccz .LBB273_1142
; %bb.1131:
	v_cmp_lt_i16_e32 vcc_lo, 28, v9
	s_cbranch_vccz .LBB273_1144
; %bb.1132:
	v_cmp_lt_i16_e32 vcc_lo, 43, v9
	;; [unrolled: 3-line block ×3, first 2 shown]
	s_cbranch_vccz .LBB273_1150
; %bb.1134:
	v_cmp_eq_u16_e32 vcc_lo, 46, v9
	s_mov_b32 s1, 0
	s_cbranch_vccz .LBB273_1192
; %bb.1135:
	global_load_b32 v10, v[7:8], off
	s_mov_b32 s0, 0
	s_mov_b32 s10, -1
	s_branch .LBB273_1194
.LBB273_1136:
	s_mov_b32 s1, s8
                                        ; implicit-def: $vgpr10
	s_cbranch_execz .LBB273_1257
; %bb.1137:
	v_cmp_gt_i16_e32 vcc_lo, 5, v9
	s_cbranch_vccnz .LBB273_1143
; %bb.1138:
	v_cmp_gt_i16_e32 vcc_lo, 8, v9
	s_cbranch_vccnz .LBB273_1145
	;; [unrolled: 3-line block ×3, first 2 shown]
; %bb.1140:
	v_cmp_lt_i16_e32 vcc_lo, 9, v9
	s_cbranch_vccz .LBB273_1151
; %bb.1141:
	global_load_b64 v[10:11], v[7:8], off
	s_mov_b32 s0, 0
	s_waitcnt vmcnt(0)
	v_cvt_f32_f64_e32 v10, v[10:11]
	s_delay_alu instid0(VALU_DEP_1) | instskip(SKIP_1) | instid1(VALU_DEP_2)
	v_bfe_u32 v11, v10, 16, 1
	v_cmp_o_f32_e32 vcc_lo, v10, v10
	v_add3_u32 v11, v10, v11, 0x7fff
	s_delay_alu instid0(VALU_DEP_1) | instskip(NEXT) | instid1(VALU_DEP_1)
	v_lshrrev_b32_e32 v11, 16, v11
	v_cndmask_b32_e32 v10, 0x7fc0, v11, vcc_lo
	s_branch .LBB273_1152
.LBB273_1142:
	s_mov_b32 s0, 0
                                        ; implicit-def: $vgpr10
	s_cbranch_execnz .LBB273_1222
	s_branch .LBB273_1253
.LBB273_1143:
                                        ; implicit-def: $vgpr10
	s_branch .LBB273_1169
.LBB273_1144:
	s_mov_b32 s1, -1
	s_mov_b32 s0, 0
                                        ; implicit-def: $vgpr10
	s_branch .LBB273_1203
.LBB273_1145:
                                        ; implicit-def: $vgpr10
	s_branch .LBB273_1158
.LBB273_1146:
	s_mov_b32 s0, 0
                                        ; implicit-def: $vgpr10
	s_cbranch_execnz .LBB273_1199
	s_branch .LBB273_1202
.LBB273_1147:
	s_mov_b32 s0, -1
                                        ; implicit-def: $vgpr10
	s_branch .LBB273_1155
.LBB273_1148:
	s_cbranch_execnz .LBB273_1190
; %bb.1149:
	s_or_b32 s3, s3, exec_lo
	s_and_not1_b32 s8, s8, exec_lo
	s_or_b32 exec_lo, exec_lo, s2
	s_and_saveexec_b32 s2, s8
	s_delay_alu instid0(SALU_CYCLE_1)
	s_xor_b32 s2, exec_lo, s2
	s_cbranch_execnz .LBB273_1036
	s_branch .LBB273_1037
.LBB273_1150:
	s_mov_b32 s1, -1
	s_mov_b32 s0, 0
	s_branch .LBB273_1193
.LBB273_1151:
	s_mov_b32 s0, -1
                                        ; implicit-def: $vgpr10
.LBB273_1152:
	s_delay_alu instid0(SALU_CYCLE_1)
	s_and_not1_b32 vcc_lo, exec_lo, s0
	s_cbranch_vccnz .LBB273_1154
; %bb.1153:
	global_load_b32 v10, v[7:8], off
	s_waitcnt vmcnt(0)
	v_bfe_u32 v11, v10, 16, 1
	v_cmp_o_f32_e32 vcc_lo, v10, v10
	s_delay_alu instid0(VALU_DEP_2) | instskip(NEXT) | instid1(VALU_DEP_1)
	v_add3_u32 v11, v10, v11, 0x7fff
	v_lshrrev_b32_e32 v11, 16, v11
	s_delay_alu instid0(VALU_DEP_1)
	v_cndmask_b32_e32 v10, 0x7fc0, v11, vcc_lo
.LBB273_1154:
	s_mov_b32 s0, 0
.LBB273_1155:
	s_delay_alu instid0(SALU_CYCLE_1)
	s_and_not1_b32 vcc_lo, exec_lo, s0
	s_cbranch_vccnz .LBB273_1157
; %bb.1156:
	global_load_b32 v10, v[7:8], off
	s_waitcnt vmcnt(0)
	v_cvt_f32_f16_e32 v11, v10
	v_cmp_o_f16_e32 vcc_lo, v10, v10
	s_delay_alu instid0(VALU_DEP_2) | instskip(NEXT) | instid1(VALU_DEP_1)
	v_bfe_u32 v12, v11, 16, 1
	v_add3_u32 v11, v11, v12, 0x7fff
	s_delay_alu instid0(VALU_DEP_1) | instskip(NEXT) | instid1(VALU_DEP_1)
	v_lshrrev_b32_e32 v11, 16, v11
	v_cndmask_b32_e32 v10, 0x7fc0, v11, vcc_lo
.LBB273_1157:
	s_cbranch_execnz .LBB273_1168
.LBB273_1158:
	v_cmp_gt_i16_e32 vcc_lo, 6, v9
	s_cbranch_vccnz .LBB273_1161
; %bb.1159:
	v_cmp_lt_i16_e32 vcc_lo, 6, v9
	s_cbranch_vccz .LBB273_1162
; %bb.1160:
	global_load_b64 v[10:11], v[7:8], off
	s_mov_b32 s0, 0
	s_waitcnt vmcnt(0)
	v_cvt_f32_f64_e32 v10, v[10:11]
	s_delay_alu instid0(VALU_DEP_1) | instskip(SKIP_1) | instid1(VALU_DEP_2)
	v_bfe_u32 v11, v10, 16, 1
	v_cmp_o_f32_e32 vcc_lo, v10, v10
	v_add3_u32 v11, v10, v11, 0x7fff
	s_delay_alu instid0(VALU_DEP_1) | instskip(NEXT) | instid1(VALU_DEP_1)
	v_lshrrev_b32_e32 v11, 16, v11
	v_cndmask_b32_e32 v10, 0x7fc0, v11, vcc_lo
	s_branch .LBB273_1163
.LBB273_1161:
	s_mov_b32 s0, -1
                                        ; implicit-def: $vgpr10
	s_branch .LBB273_1166
.LBB273_1162:
	s_mov_b32 s0, -1
                                        ; implicit-def: $vgpr10
.LBB273_1163:
	s_delay_alu instid0(SALU_CYCLE_1)
	s_and_not1_b32 vcc_lo, exec_lo, s0
	s_cbranch_vccnz .LBB273_1165
; %bb.1164:
	global_load_b32 v10, v[7:8], off
	s_waitcnt vmcnt(0)
	v_bfe_u32 v11, v10, 16, 1
	v_cmp_o_f32_e32 vcc_lo, v10, v10
	s_delay_alu instid0(VALU_DEP_2) | instskip(NEXT) | instid1(VALU_DEP_1)
	v_add3_u32 v11, v10, v11, 0x7fff
	v_lshrrev_b32_e32 v11, 16, v11
	s_delay_alu instid0(VALU_DEP_1)
	v_cndmask_b32_e32 v10, 0x7fc0, v11, vcc_lo
.LBB273_1165:
	s_mov_b32 s0, 0
.LBB273_1166:
	s_delay_alu instid0(SALU_CYCLE_1)
	s_and_not1_b32 vcc_lo, exec_lo, s0
	s_cbranch_vccnz .LBB273_1168
; %bb.1167:
	global_load_u16 v10, v[7:8], off
	s_waitcnt vmcnt(0)
	v_cvt_f32_f16_e32 v11, v10
	v_cmp_o_f16_e32 vcc_lo, v10, v10
	s_delay_alu instid0(VALU_DEP_2) | instskip(NEXT) | instid1(VALU_DEP_1)
	v_bfe_u32 v12, v11, 16, 1
	v_add3_u32 v11, v11, v12, 0x7fff
	s_delay_alu instid0(VALU_DEP_1) | instskip(NEXT) | instid1(VALU_DEP_1)
	v_lshrrev_b32_e32 v11, 16, v11
	v_cndmask_b32_e32 v10, 0x7fc0, v11, vcc_lo
.LBB273_1168:
	s_cbranch_execnz .LBB273_1187
.LBB273_1169:
	v_cmp_gt_i16_e32 vcc_lo, 2, v9
	s_cbranch_vccnz .LBB273_1173
; %bb.1170:
	v_cmp_gt_i16_e32 vcc_lo, 3, v9
	s_cbranch_vccnz .LBB273_1174
; %bb.1171:
	v_cmp_lt_i16_e32 vcc_lo, 3, v9
	s_cbranch_vccz .LBB273_1175
; %bb.1172:
	global_load_b64 v[10:11], v[7:8], off
	s_mov_b32 s0, 0
	s_waitcnt vmcnt(0)
	v_xor_b32_e32 v12, v10, v11
	v_cls_i32_e32 v13, v11
	s_delay_alu instid0(VALU_DEP_2) | instskip(NEXT) | instid1(VALU_DEP_2)
	v_ashrrev_i32_e32 v12, 31, v12
	v_add_nc_u32_e32 v13, -1, v13
	s_delay_alu instid0(VALU_DEP_2) | instskip(NEXT) | instid1(VALU_DEP_1)
	v_add_nc_u32_e32 v12, 32, v12
	v_min_u32_e32 v12, v13, v12
	s_delay_alu instid0(VALU_DEP_1) | instskip(NEXT) | instid1(VALU_DEP_1)
	v_lshlrev_b64 v[10:11], v12, v[10:11]
	v_min_u32_e32 v10, 1, v10
	s_delay_alu instid0(VALU_DEP_1) | instskip(SKIP_1) | instid1(VALU_DEP_2)
	v_or_b32_e32 v10, v11, v10
	v_sub_nc_u32_e32 v11, 32, v12
	v_cvt_f32_i32_e32 v10, v10
	s_delay_alu instid0(VALU_DEP_1) | instskip(NEXT) | instid1(VALU_DEP_1)
	v_ldexp_f32 v10, v10, v11
	v_bfe_u32 v11, v10, 16, 1
	s_delay_alu instid0(VALU_DEP_1) | instskip(NEXT) | instid1(VALU_DEP_1)
	v_add3_u32 v10, v10, v11, 0x7fff
	v_lshrrev_b32_e32 v10, 16, v10
	s_branch .LBB273_1176
.LBB273_1173:
                                        ; implicit-def: $vgpr10
	s_branch .LBB273_1182
.LBB273_1174:
	s_mov_b32 s0, -1
                                        ; implicit-def: $vgpr10
	s_branch .LBB273_1179
.LBB273_1175:
	s_mov_b32 s0, -1
                                        ; implicit-def: $vgpr10
.LBB273_1176:
	s_delay_alu instid0(SALU_CYCLE_1)
	s_and_not1_b32 vcc_lo, exec_lo, s0
	s_cbranch_vccnz .LBB273_1178
; %bb.1177:
	global_load_b32 v10, v[7:8], off
	s_waitcnt vmcnt(0)
	v_cvt_f32_i32_e32 v10, v10
	s_delay_alu instid0(VALU_DEP_1) | instskip(NEXT) | instid1(VALU_DEP_1)
	v_bfe_u32 v11, v10, 16, 1
	v_add3_u32 v10, v10, v11, 0x7fff
	s_delay_alu instid0(VALU_DEP_1)
	v_lshrrev_b32_e32 v10, 16, v10
.LBB273_1178:
	s_mov_b32 s0, 0
.LBB273_1179:
	s_delay_alu instid0(SALU_CYCLE_1)
	s_and_not1_b32 vcc_lo, exec_lo, s0
	s_cbranch_vccnz .LBB273_1181
; %bb.1180:
	global_load_i16 v10, v[7:8], off
	s_waitcnt vmcnt(0)
	v_cvt_f32_i32_e32 v10, v10
	s_delay_alu instid0(VALU_DEP_1) | instskip(NEXT) | instid1(VALU_DEP_1)
	v_bfe_u32 v11, v10, 16, 1
	v_add3_u32 v10, v10, v11, 0x7fff
	s_delay_alu instid0(VALU_DEP_1)
	v_lshrrev_b32_e32 v10, 16, v10
.LBB273_1181:
	s_cbranch_execnz .LBB273_1187
.LBB273_1182:
	v_cmp_lt_i16_e32 vcc_lo, 0, v9
	s_mov_b32 s0, 0
	s_cbranch_vccz .LBB273_1184
; %bb.1183:
	global_load_i8 v10, v[7:8], off
	s_waitcnt vmcnt(0)
	v_cvt_f32_i32_e32 v10, v10
	s_delay_alu instid0(VALU_DEP_1) | instskip(NEXT) | instid1(VALU_DEP_1)
	v_bfe_u32 v11, v10, 16, 1
	v_add3_u32 v10, v10, v11, 0x7fff
	s_delay_alu instid0(VALU_DEP_1)
	v_lshrrev_b32_e32 v10, 16, v10
	s_branch .LBB273_1185
.LBB273_1184:
	s_mov_b32 s0, -1
                                        ; implicit-def: $vgpr10
.LBB273_1185:
	s_delay_alu instid0(SALU_CYCLE_1)
	s_and_not1_b32 vcc_lo, exec_lo, s0
	s_cbranch_vccnz .LBB273_1187
; %bb.1186:
	global_load_u8 v7, v[7:8], off
	s_waitcnt vmcnt(0)
	v_cvt_f32_ubyte0_e32 v7, v7
	s_delay_alu instid0(VALU_DEP_1) | instskip(NEXT) | instid1(VALU_DEP_1)
	v_bfe_u32 v8, v7, 16, 1
	v_add3_u32 v7, v7, v8, 0x7fff
	s_delay_alu instid0(VALU_DEP_1)
	v_lshrrev_b32_e32 v10, 16, v7
.LBB273_1187:
	s_branch .LBB273_1258
.LBB273_1188:
	s_trap 2
	s_sendmsg_rtn_b32 s0, sendmsg(MSG_RTN_GET_DOORBELL)
	s_mov_b32 ttmp2, m0
	s_waitcnt lgkmcnt(0)
	s_and_b32 s0, s0, 0x3ff
	s_delay_alu instid0(SALU_CYCLE_1) | instskip(NEXT) | instid1(SALU_CYCLE_1)
	s_bitset1_b32 s0, 10
	s_mov_b32 m0, s0
	s_sendmsg sendmsg(MSG_INTERRUPT)
	s_mov_b32 m0, ttmp2
.LBB273_1189:                           ; =>This Inner Loop Header: Depth=1
	s_sethalt 5
	s_branch .LBB273_1189
.LBB273_1190:
	s_trap 2
	s_sendmsg_rtn_b32 s0, sendmsg(MSG_RTN_GET_DOORBELL)
	s_mov_b32 ttmp2, m0
	s_waitcnt lgkmcnt(0)
	s_and_b32 s0, s0, 0x3ff
	s_delay_alu instid0(SALU_CYCLE_1) | instskip(NEXT) | instid1(SALU_CYCLE_1)
	s_bitset1_b32 s0, 10
	s_mov_b32 m0, s0
	s_sendmsg sendmsg(MSG_INTERRUPT)
	s_mov_b32 m0, ttmp2
.LBB273_1191:                           ; =>This Inner Loop Header: Depth=1
	s_sethalt 5
	s_branch .LBB273_1191
.LBB273_1192:
	s_mov_b32 s0, -1
.LBB273_1193:
                                        ; implicit-def: $vgpr10
.LBB273_1194:
	s_and_b32 vcc_lo, exec_lo, s1
	s_cbranch_vccz .LBB273_1197
; %bb.1195:
	v_cmp_eq_u16_e32 vcc_lo, 44, v9
	s_cbranch_vccz .LBB273_1198
; %bb.1196:
	global_load_u8 v10, v[7:8], off
	s_mov_b32 s0, 0
	s_mov_b32 s10, -1
	s_waitcnt vmcnt(0)
	v_lshlrev_b32_e32 v11, 23, v10
	v_cmp_ne_u32_e32 vcc_lo, 0xff, v10
	s_delay_alu instid0(VALU_DEP_2) | instskip(SKIP_1) | instid1(VALU_DEP_2)
	v_cndmask_b32_e32 v11, 0x7f800001, v11, vcc_lo
	v_cmp_ne_u32_e32 vcc_lo, 0, v10
	v_cndmask_b32_e32 v10, 0x400000, v11, vcc_lo
	s_delay_alu instid0(VALU_DEP_1) | instskip(SKIP_1) | instid1(VALU_DEP_2)
	v_add_nc_u32_e32 v11, 0x7fff, v10
	v_cmp_o_f32_e32 vcc_lo, v10, v10
	v_lshrrev_b32_e32 v11, 16, v11
	s_delay_alu instid0(VALU_DEP_1)
	v_cndmask_b32_e32 v10, 0x7fc0, v11, vcc_lo
.LBB273_1197:
	s_branch .LBB273_1202
.LBB273_1198:
	s_mov_b32 s0, -1
                                        ; implicit-def: $vgpr10
	s_branch .LBB273_1202
.LBB273_1199:
	v_cmp_eq_u16_e32 vcc_lo, 29, v9
	s_cbranch_vccz .LBB273_1201
; %bb.1200:
	global_load_b64 v[10:11], v[7:8], off
	s_mov_b32 s0, 0
	s_mov_b32 s10, -1
	s_mov_b32 s1, 0
	s_waitcnt vmcnt(0)
	v_clz_i32_u32_e32 v12, v11
	s_delay_alu instid0(VALU_DEP_1) | instskip(NEXT) | instid1(VALU_DEP_1)
	v_min_u32_e32 v12, 32, v12
	v_lshlrev_b64 v[10:11], v12, v[10:11]
	s_delay_alu instid0(VALU_DEP_1) | instskip(NEXT) | instid1(VALU_DEP_1)
	v_min_u32_e32 v10, 1, v10
	v_or_b32_e32 v10, v11, v10
	v_sub_nc_u32_e32 v11, 32, v12
	s_delay_alu instid0(VALU_DEP_2) | instskip(NEXT) | instid1(VALU_DEP_1)
	v_cvt_f32_u32_e32 v10, v10
	v_ldexp_f32 v10, v10, v11
	s_delay_alu instid0(VALU_DEP_1) | instskip(NEXT) | instid1(VALU_DEP_1)
	v_bfe_u32 v11, v10, 16, 1
	v_add3_u32 v10, v10, v11, 0x7fff
	s_delay_alu instid0(VALU_DEP_1)
	v_lshrrev_b32_e32 v10, 16, v10
	s_branch .LBB273_1203
.LBB273_1201:
	s_mov_b32 s0, -1
                                        ; implicit-def: $vgpr10
.LBB273_1202:
	s_mov_b32 s1, 0
.LBB273_1203:
	s_delay_alu instid0(SALU_CYCLE_1)
	s_and_b32 vcc_lo, exec_lo, s1
	s_cbranch_vccz .LBB273_1221
; %bb.1204:
	v_cmp_gt_i16_e32 vcc_lo, 27, v9
	s_cbranch_vccnz .LBB273_1207
; %bb.1205:
	v_cmp_lt_i16_e32 vcc_lo, 27, v9
	s_cbranch_vccz .LBB273_1208
; %bb.1206:
	global_load_b32 v10, v[7:8], off
	s_mov_b32 s1, 0
	s_waitcnt vmcnt(0)
	v_cvt_f32_u32_e32 v10, v10
	s_delay_alu instid0(VALU_DEP_1) | instskip(NEXT) | instid1(VALU_DEP_1)
	v_bfe_u32 v11, v10, 16, 1
	v_add3_u32 v10, v10, v11, 0x7fff
	s_delay_alu instid0(VALU_DEP_1)
	v_lshrrev_b32_e32 v10, 16, v10
	s_branch .LBB273_1209
.LBB273_1207:
	s_mov_b32 s1, -1
                                        ; implicit-def: $vgpr10
	s_branch .LBB273_1212
.LBB273_1208:
	s_mov_b32 s1, -1
                                        ; implicit-def: $vgpr10
.LBB273_1209:
	s_delay_alu instid0(SALU_CYCLE_1)
	s_and_not1_b32 vcc_lo, exec_lo, s1
	s_cbranch_vccnz .LBB273_1211
; %bb.1210:
	global_load_u16 v10, v[7:8], off
	s_waitcnt vmcnt(0)
	v_cvt_f32_u32_e32 v10, v10
	s_delay_alu instid0(VALU_DEP_1) | instskip(NEXT) | instid1(VALU_DEP_1)
	v_bfe_u32 v11, v10, 16, 1
	v_add3_u32 v10, v10, v11, 0x7fff
	s_delay_alu instid0(VALU_DEP_1)
	v_lshrrev_b32_e32 v10, 16, v10
.LBB273_1211:
	s_mov_b32 s1, 0
.LBB273_1212:
	s_delay_alu instid0(SALU_CYCLE_1)
	s_and_not1_b32 vcc_lo, exec_lo, s1
	s_cbranch_vccnz .LBB273_1220
; %bb.1213:
	global_load_u8 v10, v[7:8], off
	s_mov_b32 s1, 0
	s_mov_b32 s11, exec_lo
                                        ; implicit-def: $sgpr10
	s_waitcnt vmcnt(0)
	v_cmpx_lt_i16_e32 0x7f, v10
	s_xor_b32 s11, exec_lo, s11
	s_cbranch_execz .LBB273_1233
; %bb.1214:
	s_mov_b32 s1, -1
	s_mov_b32 s12, exec_lo
                                        ; implicit-def: $sgpr10
	v_cmpx_eq_u16_e32 0x80, v10
; %bb.1215:
	s_mov_b32 s10, 0x7f800001
	s_xor_b32 s1, exec_lo, -1
; %bb.1216:
	s_or_b32 exec_lo, exec_lo, s12
	s_delay_alu instid0(SALU_CYCLE_1)
	s_and_b32 s1, s1, exec_lo
	s_or_saveexec_b32 s11, s11
	v_mov_b32_e32 v11, s10
	s_xor_b32 exec_lo, exec_lo, s11
	s_cbranch_execnz .LBB273_1234
.LBB273_1217:
	s_or_b32 exec_lo, exec_lo, s11
	s_and_saveexec_b32 s10, s1
	s_cbranch_execz .LBB273_1219
.LBB273_1218:
	v_and_b32_e32 v11, 0xffff, v10
	v_lshlrev_b32_e32 v10, 24, v10
	s_delay_alu instid0(VALU_DEP_2) | instskip(NEXT) | instid1(VALU_DEP_2)
	v_and_b32_e32 v12, 7, v11
	v_and_b32_e32 v10, 0x80000000, v10
	s_delay_alu instid0(VALU_DEP_2) | instskip(NEXT) | instid1(VALU_DEP_1)
	v_clz_i32_u32_e32 v13, v12
	v_min_u32_e32 v13, 32, v13
	s_delay_alu instid0(VALU_DEP_1) | instskip(SKIP_1) | instid1(VALU_DEP_2)
	v_subrev_nc_u32_e32 v14, 28, v13
	v_sub_nc_u32_e32 v13, 29, v13
	v_lshlrev_b32_e32 v14, v14, v11
	v_bfe_u32 v11, v11, 3, 4
	s_delay_alu instid0(VALU_DEP_2) | instskip(NEXT) | instid1(VALU_DEP_2)
	v_and_b32_e32 v14, 7, v14
	v_cmp_eq_u32_e32 vcc_lo, 0, v11
	s_delay_alu instid0(VALU_DEP_2) | instskip(NEXT) | instid1(VALU_DEP_1)
	v_dual_cndmask_b32 v11, v11, v13 :: v_dual_cndmask_b32 v12, v12, v14
	v_lshl_add_u32 v11, v11, 23, 0x3b800000
	s_delay_alu instid0(VALU_DEP_2) | instskip(NEXT) | instid1(VALU_DEP_1)
	v_lshlrev_b32_e32 v12, 20, v12
	v_or3_b32 v11, v10, v11, v12
.LBB273_1219:
	s_or_b32 exec_lo, exec_lo, s10
	s_delay_alu instid0(VALU_DEP_1) | instskip(SKIP_1) | instid1(VALU_DEP_2)
	v_bfe_u32 v10, v11, 16, 1
	v_cmp_o_f32_e32 vcc_lo, v11, v11
	v_add3_u32 v10, v11, v10, 0x7fff
	s_delay_alu instid0(VALU_DEP_1) | instskip(NEXT) | instid1(VALU_DEP_1)
	v_lshrrev_b32_e32 v10, 16, v10
	v_cndmask_b32_e32 v10, 0x7fc0, v10, vcc_lo
.LBB273_1220:
	s_mov_b32 s10, -1
.LBB273_1221:
	s_branch .LBB273_1253
.LBB273_1222:
	v_cmp_lt_i16_e32 vcc_lo, 22, v9
	s_cbranch_vccz .LBB273_1232
; %bb.1223:
	v_cmp_gt_i16_e32 vcc_lo, 24, v9
	s_cbranch_vccnz .LBB273_1235
; %bb.1224:
	v_cmp_lt_i16_e32 vcc_lo, 24, v9
	s_cbranch_vccz .LBB273_1236
; %bb.1225:
	global_load_u8 v10, v[7:8], off
	s_mov_b32 s1, 0
	s_mov_b32 s10, exec_lo
                                        ; implicit-def: $sgpr3
	s_waitcnt vmcnt(0)
	v_cmpx_lt_i16_e32 0x7f, v10
	s_xor_b32 s10, exec_lo, s10
	s_cbranch_execz .LBB273_1247
; %bb.1226:
	s_mov_b32 s1, -1
	s_mov_b32 s11, exec_lo
                                        ; implicit-def: $sgpr3
	v_cmpx_eq_u16_e32 0x80, v10
; %bb.1227:
	s_mov_b32 s3, 0x7f800001
	s_xor_b32 s1, exec_lo, -1
; %bb.1228:
	s_or_b32 exec_lo, exec_lo, s11
	s_delay_alu instid0(SALU_CYCLE_1)
	s_and_b32 s1, s1, exec_lo
	s_or_saveexec_b32 s10, s10
	v_mov_b32_e32 v11, s3
	s_xor_b32 exec_lo, exec_lo, s10
	s_cbranch_execnz .LBB273_1248
.LBB273_1229:
	s_or_b32 exec_lo, exec_lo, s10
	s_and_saveexec_b32 s3, s1
	s_cbranch_execz .LBB273_1231
.LBB273_1230:
	v_and_b32_e32 v11, 0xffff, v10
	v_lshlrev_b32_e32 v10, 24, v10
	s_delay_alu instid0(VALU_DEP_2) | instskip(NEXT) | instid1(VALU_DEP_2)
	v_and_b32_e32 v12, 3, v11
	v_and_b32_e32 v10, 0x80000000, v10
	s_delay_alu instid0(VALU_DEP_2) | instskip(NEXT) | instid1(VALU_DEP_1)
	v_clz_i32_u32_e32 v13, v12
	v_min_u32_e32 v13, 32, v13
	s_delay_alu instid0(VALU_DEP_1) | instskip(SKIP_1) | instid1(VALU_DEP_2)
	v_subrev_nc_u32_e32 v14, 29, v13
	v_sub_nc_u32_e32 v13, 30, v13
	v_lshlrev_b32_e32 v14, v14, v11
	v_bfe_u32 v11, v11, 2, 5
	s_delay_alu instid0(VALU_DEP_2) | instskip(NEXT) | instid1(VALU_DEP_2)
	v_and_b32_e32 v14, 3, v14
	v_cmp_eq_u32_e32 vcc_lo, 0, v11
	s_delay_alu instid0(VALU_DEP_2) | instskip(NEXT) | instid1(VALU_DEP_1)
	v_dual_cndmask_b32 v11, v11, v13 :: v_dual_cndmask_b32 v12, v12, v14
	v_lshl_add_u32 v11, v11, 23, 0x37800000
	s_delay_alu instid0(VALU_DEP_2) | instskip(NEXT) | instid1(VALU_DEP_1)
	v_lshlrev_b32_e32 v12, 21, v12
	v_or3_b32 v11, v10, v11, v12
.LBB273_1231:
	s_or_b32 exec_lo, exec_lo, s3
	s_delay_alu instid0(VALU_DEP_1) | instskip(SKIP_2) | instid1(VALU_DEP_2)
	v_bfe_u32 v10, v11, 16, 1
	v_cmp_o_f32_e32 vcc_lo, v11, v11
	s_mov_b32 s1, 0
	v_add3_u32 v10, v11, v10, 0x7fff
	s_delay_alu instid0(VALU_DEP_1) | instskip(NEXT) | instid1(VALU_DEP_1)
	v_lshrrev_b32_e32 v10, 16, v10
	v_cndmask_b32_e32 v10, 0x7fc0, v10, vcc_lo
	s_branch .LBB273_1237
.LBB273_1232:
                                        ; implicit-def: $vgpr10
	s_mov_b32 s3, 0
	s_branch .LBB273_1243
.LBB273_1233:
	s_or_saveexec_b32 s11, s11
	v_mov_b32_e32 v11, s10
	s_xor_b32 exec_lo, exec_lo, s11
	s_cbranch_execz .LBB273_1217
.LBB273_1234:
	v_cmp_ne_u16_e32 vcc_lo, 0, v10
	v_mov_b32_e32 v11, 0
	s_and_not1_b32 s1, s1, exec_lo
	s_and_b32 s10, vcc_lo, exec_lo
	s_delay_alu instid0(SALU_CYCLE_1)
	s_or_b32 s1, s1, s10
	s_or_b32 exec_lo, exec_lo, s11
	s_and_saveexec_b32 s10, s1
	s_cbranch_execnz .LBB273_1218
	s_branch .LBB273_1219
.LBB273_1235:
	s_mov_b32 s1, -1
                                        ; implicit-def: $vgpr10
	s_branch .LBB273_1240
.LBB273_1236:
	s_mov_b32 s1, -1
                                        ; implicit-def: $vgpr10
.LBB273_1237:
	s_delay_alu instid0(SALU_CYCLE_1)
	s_and_b32 vcc_lo, exec_lo, s1
	s_cbranch_vccz .LBB273_1239
; %bb.1238:
	global_load_u8 v10, v[7:8], off
	s_waitcnt vmcnt(0)
	v_lshlrev_b32_e32 v10, 24, v10
	s_delay_alu instid0(VALU_DEP_1) | instskip(NEXT) | instid1(VALU_DEP_1)
	v_and_b32_e32 v11, 0x7f000000, v10
	v_clz_i32_u32_e32 v12, v11
	v_add_nc_u32_e32 v14, 0x1000000, v11
	v_cmp_ne_u32_e32 vcc_lo, 0, v11
	s_delay_alu instid0(VALU_DEP_3) | instskip(NEXT) | instid1(VALU_DEP_1)
	v_min_u32_e32 v12, 32, v12
	v_sub_nc_u32_e64 v12, v12, 4 clamp
	s_delay_alu instid0(VALU_DEP_1) | instskip(SKIP_1) | instid1(VALU_DEP_2)
	v_lshlrev_b32_e32 v13, v12, v11
	v_lshlrev_b32_e32 v12, 23, v12
	v_lshrrev_b32_e32 v13, 4, v13
	s_delay_alu instid0(VALU_DEP_1) | instskip(SKIP_1) | instid1(VALU_DEP_2)
	v_sub_nc_u32_e32 v12, v13, v12
	v_ashrrev_i32_e32 v13, 8, v14
	v_add_nc_u32_e32 v12, 0x3c000000, v12
	s_delay_alu instid0(VALU_DEP_1) | instskip(NEXT) | instid1(VALU_DEP_1)
	v_and_or_b32 v12, 0x7f800000, v13, v12
	v_cndmask_b32_e32 v11, 0, v12, vcc_lo
	s_delay_alu instid0(VALU_DEP_1) | instskip(SKIP_1) | instid1(VALU_DEP_2)
	v_and_or_b32 v10, 0x80000000, v10, v11
	v_bfe_u32 v11, v11, 16, 1
	v_cmp_o_f32_e32 vcc_lo, v10, v10
	s_delay_alu instid0(VALU_DEP_2) | instskip(NEXT) | instid1(VALU_DEP_1)
	v_add3_u32 v11, v10, v11, 0x7fff
	v_lshrrev_b32_e32 v11, 16, v11
	s_delay_alu instid0(VALU_DEP_1)
	v_cndmask_b32_e32 v10, 0x7fc0, v11, vcc_lo
.LBB273_1239:
	s_mov_b32 s1, 0
.LBB273_1240:
	s_delay_alu instid0(SALU_CYCLE_1)
	s_and_not1_b32 vcc_lo, exec_lo, s1
	s_cbranch_vccnz .LBB273_1242
; %bb.1241:
	global_load_u8 v10, v[7:8], off
	s_waitcnt vmcnt(0)
	v_lshlrev_b32_e32 v11, 25, v10
	v_lshlrev_b16 v10, 8, v10
	s_delay_alu instid0(VALU_DEP_2) | instskip(NEXT) | instid1(VALU_DEP_2)
	v_lshrrev_b32_e32 v12, 4, v11
	v_and_or_b32 v13, 0x7f00, v10, 0.5
	v_bfe_i32 v10, v10, 0, 16
	s_delay_alu instid0(VALU_DEP_3) | instskip(NEXT) | instid1(VALU_DEP_1)
	v_or_b32_e32 v12, 0x70000000, v12
	v_dual_add_f32 v13, -0.5, v13 :: v_dual_mul_f32 v12, 0x7800000, v12
	v_cmp_gt_u32_e32 vcc_lo, 0x8000000, v11
	s_delay_alu instid0(VALU_DEP_2) | instskip(NEXT) | instid1(VALU_DEP_1)
	v_cndmask_b32_e32 v11, v12, v13, vcc_lo
	v_and_or_b32 v10, 0x80000000, v10, v11
	v_bfe_u32 v11, v11, 16, 1
	s_delay_alu instid0(VALU_DEP_2) | instskip(NEXT) | instid1(VALU_DEP_2)
	v_cmp_o_f32_e32 vcc_lo, v10, v10
	v_add3_u32 v11, v10, v11, 0x7fff
	s_delay_alu instid0(VALU_DEP_1) | instskip(NEXT) | instid1(VALU_DEP_1)
	v_lshrrev_b32_e32 v11, 16, v11
	v_cndmask_b32_e32 v10, 0x7fc0, v11, vcc_lo
.LBB273_1242:
	s_mov_b32 s10, -1
	s_mov_b32 s3, 0
	s_cbranch_execnz .LBB273_1253
.LBB273_1243:
	v_cmp_lt_i16_e32 vcc_lo, 14, v9
	s_cbranch_vccz .LBB273_1246
; %bb.1244:
	v_cmp_eq_u16_e32 vcc_lo, 15, v9
	s_cbranch_vccz .LBB273_1249
; %bb.1245:
	global_load_u16 v10, v[7:8], off
	s_mov_b32 s0, 0
	s_mov_b32 s10, -1
	s_branch .LBB273_1250
.LBB273_1246:
	s_mov_b32 s1, -1
                                        ; implicit-def: $vgpr10
	s_branch .LBB273_1251
.LBB273_1247:
	s_or_saveexec_b32 s10, s10
	v_mov_b32_e32 v11, s3
	s_xor_b32 exec_lo, exec_lo, s10
	s_cbranch_execz .LBB273_1229
.LBB273_1248:
	v_cmp_ne_u16_e32 vcc_lo, 0, v10
	v_mov_b32_e32 v11, 0
	s_and_not1_b32 s1, s1, exec_lo
	s_and_b32 s3, vcc_lo, exec_lo
	s_delay_alu instid0(SALU_CYCLE_1)
	s_or_b32 s1, s1, s3
	s_or_b32 exec_lo, exec_lo, s10
	s_and_saveexec_b32 s3, s1
	s_cbranch_execnz .LBB273_1230
	s_branch .LBB273_1231
.LBB273_1249:
	s_mov_b32 s0, -1
                                        ; implicit-def: $vgpr10
.LBB273_1250:
	s_mov_b32 s1, 0
.LBB273_1251:
	s_delay_alu instid0(SALU_CYCLE_1)
	s_and_b32 vcc_lo, exec_lo, s1
	s_cbranch_vccz .LBB273_1253
; %bb.1252:
	v_cmp_ne_u16_e64 s0, 11, v9
	s_mov_b32 s3, -1
                                        ; implicit-def: $vgpr10
.LBB273_1253:
	s_delay_alu instid0(VALU_DEP_1)
	s_and_b32 vcc_lo, exec_lo, s0
	s_mov_b32 s1, s8
	s_cbranch_vccnz .LBB273_1277
; %bb.1254:
	s_and_not1_b32 vcc_lo, exec_lo, s3
	s_cbranch_vccnz .LBB273_1256
.LBB273_1255:
	global_load_u8 v10, v[7:8], off
	s_mov_b32 s10, -1
	s_waitcnt vmcnt(0)
	v_cmp_ne_u16_e32 vcc_lo, 0, v10
	v_cndmask_b32_e64 v10, 0, 1.0, vcc_lo
	s_delay_alu instid0(VALU_DEP_1)
	v_lshrrev_b32_e32 v10, 16, v10
.LBB273_1256:
.LBB273_1257:
	s_and_not1_b32 vcc_lo, exec_lo, s10
	s_cbranch_vccnz .LBB273_2090
.LBB273_1258:
	v_cmp_gt_i16_e32 vcc_lo, 11, v9
	s_waitcnt vmcnt(0)
	v_add_co_u32 v6, s0, s6, v6
	s_delay_alu instid0(VALU_DEP_1)
	v_add_co_ci_u32_e64 v7, null, s7, 0, s0
	s_mov_b32 s10, 0
	s_cbranch_vccnz .LBB273_1265
; %bb.1259:
	v_cmp_lt_i16_e32 vcc_lo, 25, v9
	s_mov_b32 s3, 0
	s_cbranch_vccz .LBB273_1271
; %bb.1260:
	v_cmp_lt_i16_e32 vcc_lo, 28, v9
	s_cbranch_vccz .LBB273_1273
; %bb.1261:
	v_cmp_lt_i16_e32 vcc_lo, 43, v9
	;; [unrolled: 3-line block ×3, first 2 shown]
	s_cbranch_vccz .LBB273_1281
; %bb.1263:
	v_cmp_eq_u16_e32 vcc_lo, 46, v9
	s_mov_b32 s11, 0
	s_cbranch_vccz .LBB273_1325
; %bb.1264:
	global_load_b32 v8, v[6:7], off
	s_mov_b32 s0, 0
	s_mov_b32 s10, -1
	s_branch .LBB273_1327
.LBB273_1265:
                                        ; implicit-def: $vgpr8
	s_cbranch_execz .LBB273_1392
; %bb.1266:
	v_cmp_gt_i16_e32 vcc_lo, 5, v9
	s_cbranch_vccnz .LBB273_1272
; %bb.1267:
	v_cmp_gt_i16_e32 vcc_lo, 8, v9
	s_cbranch_vccnz .LBB273_1274
	;; [unrolled: 3-line block ×3, first 2 shown]
; %bb.1269:
	v_cmp_lt_i16_e32 vcc_lo, 9, v9
	s_cbranch_vccz .LBB273_1282
; %bb.1270:
	global_load_b64 v[11:12], v[6:7], off
	s_mov_b32 s0, 0
	s_waitcnt vmcnt(0)
	v_cvt_f32_f64_e32 v8, v[11:12]
	s_delay_alu instid0(VALU_DEP_1) | instskip(SKIP_1) | instid1(VALU_DEP_2)
	v_bfe_u32 v11, v8, 16, 1
	v_cmp_o_f32_e32 vcc_lo, v8, v8
	v_add3_u32 v11, v8, v11, 0x7fff
	s_delay_alu instid0(VALU_DEP_1) | instskip(NEXT) | instid1(VALU_DEP_1)
	v_lshrrev_b32_e32 v11, 16, v11
	v_cndmask_b32_e32 v8, 0x7fc0, v11, vcc_lo
	s_branch .LBB273_1283
.LBB273_1271:
	s_mov_b32 s0, 0
                                        ; implicit-def: $vgpr8
	s_cbranch_execnz .LBB273_1356
	s_branch .LBB273_1388
.LBB273_1272:
                                        ; implicit-def: $vgpr8
	s_branch .LBB273_1301
.LBB273_1273:
	s_mov_b32 s11, -1
	s_mov_b32 s0, 0
                                        ; implicit-def: $vgpr8
	s_branch .LBB273_1337
.LBB273_1274:
	s_mov_b32 s0, -1
                                        ; implicit-def: $vgpr8
	s_branch .LBB273_1289
.LBB273_1275:
	s_mov_b32 s11, -1
	s_mov_b32 s0, 0
                                        ; implicit-def: $vgpr8
	s_branch .LBB273_1332
.LBB273_1276:
	s_mov_b32 s0, -1
                                        ; implicit-def: $vgpr8
	s_branch .LBB273_1286
.LBB273_1277:
	s_cbranch_execnz .LBB273_1321
; %bb.1278:
	s_or_b32 s1, s8, exec_lo
                                        ; implicit-def: $vgpr10
	s_cbranch_execz .LBB273_1255
	s_branch .LBB273_1256
.LBB273_1279:
	s_or_saveexec_b32 s7, s7
                                        ; implicit-def: $sgpr8
	s_delay_alu instid0(SALU_CYCLE_1)
	s_xor_b32 exec_lo, exec_lo, s7
	s_cbranch_execz .LBB273_987
.LBB273_1280:
	v_add_f32_e64 v3, 0x46000000, |v6|
	s_and_not1_b32 s5, s5, exec_lo
	s_mov_b32 s8, 0
	s_delay_alu instid0(VALU_DEP_1) | instskip(NEXT) | instid1(VALU_DEP_1)
	v_and_b32_e32 v3, 0xff, v3
	v_cmp_ne_u32_e32 vcc_lo, 0, v3
	s_and_b32 s9, vcc_lo, exec_lo
	s_delay_alu instid0(SALU_CYCLE_1)
	s_or_b32 s5, s5, s9
	s_or_b32 exec_lo, exec_lo, s7
	v_mov_b32_e32 v7, s8
	s_and_saveexec_b32 s7, s5
	s_cbranch_execnz .LBB273_988
	s_branch .LBB273_989
.LBB273_1281:
	s_mov_b32 s11, -1
	s_mov_b32 s0, 0
	s_branch .LBB273_1326
.LBB273_1282:
	s_mov_b32 s0, -1
                                        ; implicit-def: $vgpr8
.LBB273_1283:
	s_delay_alu instid0(SALU_CYCLE_1)
	s_and_not1_b32 vcc_lo, exec_lo, s0
	s_cbranch_vccnz .LBB273_1285
; %bb.1284:
	global_load_b32 v8, v[6:7], off
	s_waitcnt vmcnt(0)
	v_bfe_u32 v11, v8, 16, 1
	v_cmp_o_f32_e32 vcc_lo, v8, v8
	s_delay_alu instid0(VALU_DEP_2) | instskip(NEXT) | instid1(VALU_DEP_1)
	v_add3_u32 v11, v8, v11, 0x7fff
	v_lshrrev_b32_e32 v11, 16, v11
	s_delay_alu instid0(VALU_DEP_1)
	v_cndmask_b32_e32 v8, 0x7fc0, v11, vcc_lo
.LBB273_1285:
	s_mov_b32 s0, 0
.LBB273_1286:
	s_delay_alu instid0(SALU_CYCLE_1)
	s_and_not1_b32 vcc_lo, exec_lo, s0
	s_cbranch_vccnz .LBB273_1288
; %bb.1287:
	global_load_b32 v8, v[6:7], off
	s_waitcnt vmcnt(0)
	v_cvt_f32_f16_e32 v11, v8
	v_cmp_o_f16_e32 vcc_lo, v8, v8
	s_delay_alu instid0(VALU_DEP_2) | instskip(NEXT) | instid1(VALU_DEP_1)
	v_bfe_u32 v12, v11, 16, 1
	v_add3_u32 v11, v11, v12, 0x7fff
	s_delay_alu instid0(VALU_DEP_1) | instskip(NEXT) | instid1(VALU_DEP_1)
	v_lshrrev_b32_e32 v11, 16, v11
	v_cndmask_b32_e32 v8, 0x7fc0, v11, vcc_lo
.LBB273_1288:
	s_mov_b32 s0, 0
.LBB273_1289:
	s_delay_alu instid0(SALU_CYCLE_1)
	s_and_not1_b32 vcc_lo, exec_lo, s0
	s_cbranch_vccnz .LBB273_1300
; %bb.1290:
	v_cmp_gt_i16_e32 vcc_lo, 6, v9
	s_cbranch_vccnz .LBB273_1293
; %bb.1291:
	v_cmp_lt_i16_e32 vcc_lo, 6, v9
	s_cbranch_vccz .LBB273_1294
; %bb.1292:
	global_load_b64 v[11:12], v[6:7], off
	s_mov_b32 s0, 0
	s_waitcnt vmcnt(0)
	v_cvt_f32_f64_e32 v8, v[11:12]
	s_delay_alu instid0(VALU_DEP_1) | instskip(SKIP_1) | instid1(VALU_DEP_2)
	v_bfe_u32 v11, v8, 16, 1
	v_cmp_o_f32_e32 vcc_lo, v8, v8
	v_add3_u32 v11, v8, v11, 0x7fff
	s_delay_alu instid0(VALU_DEP_1) | instskip(NEXT) | instid1(VALU_DEP_1)
	v_lshrrev_b32_e32 v11, 16, v11
	v_cndmask_b32_e32 v8, 0x7fc0, v11, vcc_lo
	s_branch .LBB273_1295
.LBB273_1293:
	s_mov_b32 s0, -1
                                        ; implicit-def: $vgpr8
	s_branch .LBB273_1298
.LBB273_1294:
	s_mov_b32 s0, -1
                                        ; implicit-def: $vgpr8
.LBB273_1295:
	s_delay_alu instid0(SALU_CYCLE_1)
	s_and_not1_b32 vcc_lo, exec_lo, s0
	s_cbranch_vccnz .LBB273_1297
; %bb.1296:
	global_load_b32 v8, v[6:7], off
	s_waitcnt vmcnt(0)
	v_bfe_u32 v11, v8, 16, 1
	v_cmp_o_f32_e32 vcc_lo, v8, v8
	s_delay_alu instid0(VALU_DEP_2) | instskip(NEXT) | instid1(VALU_DEP_1)
	v_add3_u32 v11, v8, v11, 0x7fff
	v_lshrrev_b32_e32 v11, 16, v11
	s_delay_alu instid0(VALU_DEP_1)
	v_cndmask_b32_e32 v8, 0x7fc0, v11, vcc_lo
.LBB273_1297:
	s_mov_b32 s0, 0
.LBB273_1298:
	s_delay_alu instid0(SALU_CYCLE_1)
	s_and_not1_b32 vcc_lo, exec_lo, s0
	s_cbranch_vccnz .LBB273_1300
; %bb.1299:
	global_load_u16 v8, v[6:7], off
	s_waitcnt vmcnt(0)
	v_cvt_f32_f16_e32 v11, v8
	v_cmp_o_f16_e32 vcc_lo, v8, v8
	s_delay_alu instid0(VALU_DEP_2) | instskip(NEXT) | instid1(VALU_DEP_1)
	v_bfe_u32 v12, v11, 16, 1
	v_add3_u32 v11, v11, v12, 0x7fff
	s_delay_alu instid0(VALU_DEP_1) | instskip(NEXT) | instid1(VALU_DEP_1)
	v_lshrrev_b32_e32 v11, 16, v11
	v_cndmask_b32_e32 v8, 0x7fc0, v11, vcc_lo
.LBB273_1300:
	s_cbranch_execnz .LBB273_1320
.LBB273_1301:
	v_cmp_gt_i16_e32 vcc_lo, 2, v9
	s_cbranch_vccnz .LBB273_1305
; %bb.1302:
	v_cmp_gt_i16_e32 vcc_lo, 3, v9
	s_cbranch_vccnz .LBB273_1306
; %bb.1303:
	v_cmp_lt_i16_e32 vcc_lo, 3, v9
	s_cbranch_vccz .LBB273_1307
; %bb.1304:
	global_load_b64 v[11:12], v[6:7], off
	s_mov_b32 s0, 0
	s_waitcnt vmcnt(0)
	v_xor_b32_e32 v8, v11, v12
	v_cls_i32_e32 v13, v12
	s_delay_alu instid0(VALU_DEP_2) | instskip(NEXT) | instid1(VALU_DEP_2)
	v_ashrrev_i32_e32 v8, 31, v8
	v_add_nc_u32_e32 v13, -1, v13
	s_delay_alu instid0(VALU_DEP_2) | instskip(NEXT) | instid1(VALU_DEP_1)
	v_add_nc_u32_e32 v8, 32, v8
	v_min_u32_e32 v8, v13, v8
	s_delay_alu instid0(VALU_DEP_1) | instskip(SKIP_1) | instid1(VALU_DEP_2)
	v_lshlrev_b64 v[11:12], v8, v[11:12]
	v_sub_nc_u32_e32 v8, 32, v8
	v_min_u32_e32 v11, 1, v11
	s_delay_alu instid0(VALU_DEP_1) | instskip(NEXT) | instid1(VALU_DEP_1)
	v_or_b32_e32 v11, v12, v11
	v_cvt_f32_i32_e32 v11, v11
	s_delay_alu instid0(VALU_DEP_1) | instskip(NEXT) | instid1(VALU_DEP_1)
	v_ldexp_f32 v8, v11, v8
	v_bfe_u32 v11, v8, 16, 1
	s_delay_alu instid0(VALU_DEP_1) | instskip(NEXT) | instid1(VALU_DEP_1)
	v_add3_u32 v8, v8, v11, 0x7fff
	v_lshrrev_b32_e32 v8, 16, v8
	s_branch .LBB273_1308
.LBB273_1305:
	s_mov_b32 s0, -1
                                        ; implicit-def: $vgpr8
	s_branch .LBB273_1314
.LBB273_1306:
	s_mov_b32 s0, -1
                                        ; implicit-def: $vgpr8
	s_branch .LBB273_1311
.LBB273_1307:
	s_mov_b32 s0, -1
                                        ; implicit-def: $vgpr8
.LBB273_1308:
	s_delay_alu instid0(SALU_CYCLE_1)
	s_and_not1_b32 vcc_lo, exec_lo, s0
	s_cbranch_vccnz .LBB273_1310
; %bb.1309:
	global_load_b32 v8, v[6:7], off
	s_waitcnt vmcnt(0)
	v_cvt_f32_i32_e32 v8, v8
	s_delay_alu instid0(VALU_DEP_1) | instskip(NEXT) | instid1(VALU_DEP_1)
	v_bfe_u32 v11, v8, 16, 1
	v_add3_u32 v8, v8, v11, 0x7fff
	s_delay_alu instid0(VALU_DEP_1)
	v_lshrrev_b32_e32 v8, 16, v8
.LBB273_1310:
	s_mov_b32 s0, 0
.LBB273_1311:
	s_delay_alu instid0(SALU_CYCLE_1)
	s_and_not1_b32 vcc_lo, exec_lo, s0
	s_cbranch_vccnz .LBB273_1313
; %bb.1312:
	global_load_i16 v8, v[6:7], off
	s_waitcnt vmcnt(0)
	v_cvt_f32_i32_e32 v8, v8
	s_delay_alu instid0(VALU_DEP_1) | instskip(NEXT) | instid1(VALU_DEP_1)
	v_bfe_u32 v11, v8, 16, 1
	v_add3_u32 v8, v8, v11, 0x7fff
	s_delay_alu instid0(VALU_DEP_1)
	v_lshrrev_b32_e32 v8, 16, v8
.LBB273_1313:
	s_mov_b32 s0, 0
.LBB273_1314:
	s_delay_alu instid0(SALU_CYCLE_1)
	s_and_not1_b32 vcc_lo, exec_lo, s0
	s_cbranch_vccnz .LBB273_1320
; %bb.1315:
	v_cmp_lt_i16_e32 vcc_lo, 0, v9
	s_mov_b32 s0, 0
	s_cbranch_vccz .LBB273_1317
; %bb.1316:
	global_load_i8 v8, v[6:7], off
	s_waitcnt vmcnt(0)
	v_cvt_f32_i32_e32 v8, v8
	s_delay_alu instid0(VALU_DEP_1) | instskip(NEXT) | instid1(VALU_DEP_1)
	v_bfe_u32 v11, v8, 16, 1
	v_add3_u32 v8, v8, v11, 0x7fff
	s_delay_alu instid0(VALU_DEP_1)
	v_lshrrev_b32_e32 v8, 16, v8
	s_branch .LBB273_1318
.LBB273_1317:
	s_mov_b32 s0, -1
                                        ; implicit-def: $vgpr8
.LBB273_1318:
	s_delay_alu instid0(SALU_CYCLE_1)
	s_and_not1_b32 vcc_lo, exec_lo, s0
	s_cbranch_vccnz .LBB273_1320
; %bb.1319:
	global_load_u8 v6, v[6:7], off
	s_waitcnt vmcnt(0)
	v_cvt_f32_ubyte0_e32 v6, v6
	s_delay_alu instid0(VALU_DEP_1) | instskip(NEXT) | instid1(VALU_DEP_1)
	v_bfe_u32 v7, v6, 16, 1
	v_add3_u32 v6, v6, v7, 0x7fff
	s_delay_alu instid0(VALU_DEP_1)
	v_lshrrev_b32_e32 v8, 16, v6
.LBB273_1320:
	s_branch .LBB273_1393
.LBB273_1321:
	s_trap 2
	s_sendmsg_rtn_b32 s0, sendmsg(MSG_RTN_GET_DOORBELL)
	s_mov_b32 ttmp2, m0
	s_waitcnt lgkmcnt(0)
	s_and_b32 s0, s0, 0x3ff
	s_delay_alu instid0(SALU_CYCLE_1) | instskip(NEXT) | instid1(SALU_CYCLE_1)
	s_bitset1_b32 s0, 10
	s_mov_b32 m0, s0
	s_sendmsg sendmsg(MSG_INTERRUPT)
	s_mov_b32 m0, ttmp2
.LBB273_1322:                           ; =>This Inner Loop Header: Depth=1
	s_sethalt 5
	s_branch .LBB273_1322
.LBB273_1323:
	s_or_saveexec_b32 s8, s8
                                        ; implicit-def: $sgpr9
	s_delay_alu instid0(SALU_CYCLE_1)
	s_xor_b32 exec_lo, exec_lo, s8
	s_cbranch_execz .LBB273_999
.LBB273_1324:
	v_add_f32_e64 v3, 0x42800000, |v6|
	s_and_not1_b32 s5, s5, exec_lo
	s_mov_b32 s9, 0
	s_delay_alu instid0(VALU_DEP_1) | instskip(NEXT) | instid1(VALU_DEP_1)
	v_and_b32_e32 v3, 0xff, v3
	v_cmp_ne_u32_e32 vcc_lo, 0, v3
	s_and_b32 s10, vcc_lo, exec_lo
	s_delay_alu instid0(SALU_CYCLE_1)
	s_or_b32 s5, s5, s10
	s_or_b32 exec_lo, exec_lo, s8
	v_mov_b32_e32 v7, s9
	s_and_saveexec_b32 s8, s5
	s_cbranch_execnz .LBB273_1000
	s_branch .LBB273_1001
.LBB273_1325:
	s_mov_b32 s0, -1
.LBB273_1326:
                                        ; implicit-def: $vgpr8
.LBB273_1327:
	s_and_b32 vcc_lo, exec_lo, s11
	s_cbranch_vccz .LBB273_1331
; %bb.1328:
	v_cmp_eq_u16_e32 vcc_lo, 44, v9
	s_cbranch_vccz .LBB273_1330
; %bb.1329:
	global_load_u8 v8, v[6:7], off
	s_mov_b32 s0, 0
	s_mov_b32 s10, -1
	s_waitcnt vmcnt(0)
	v_lshlrev_b32_e32 v11, 23, v8
	v_cmp_ne_u32_e32 vcc_lo, 0xff, v8
	s_delay_alu instid0(VALU_DEP_2) | instskip(SKIP_1) | instid1(VALU_DEP_2)
	v_cndmask_b32_e32 v11, 0x7f800001, v11, vcc_lo
	v_cmp_ne_u32_e32 vcc_lo, 0, v8
	v_cndmask_b32_e32 v8, 0x400000, v11, vcc_lo
	s_delay_alu instid0(VALU_DEP_1) | instskip(SKIP_1) | instid1(VALU_DEP_2)
	v_add_nc_u32_e32 v11, 0x7fff, v8
	v_cmp_o_f32_e32 vcc_lo, v8, v8
	v_lshrrev_b32_e32 v11, 16, v11
	s_delay_alu instid0(VALU_DEP_1)
	v_cndmask_b32_e32 v8, 0x7fc0, v11, vcc_lo
	s_branch .LBB273_1331
.LBB273_1330:
	s_mov_b32 s0, -1
                                        ; implicit-def: $vgpr8
.LBB273_1331:
	s_mov_b32 s11, 0
.LBB273_1332:
	s_delay_alu instid0(SALU_CYCLE_1)
	s_and_b32 vcc_lo, exec_lo, s11
	s_cbranch_vccz .LBB273_1336
; %bb.1333:
	v_cmp_eq_u16_e32 vcc_lo, 29, v9
	s_cbranch_vccz .LBB273_1335
; %bb.1334:
	global_load_b64 v[11:12], v[6:7], off
	s_mov_b32 s0, 0
	s_mov_b32 s10, -1
	s_mov_b32 s11, 0
	s_waitcnt vmcnt(0)
	v_clz_i32_u32_e32 v8, v12
	s_delay_alu instid0(VALU_DEP_1) | instskip(NEXT) | instid1(VALU_DEP_1)
	v_min_u32_e32 v8, 32, v8
	v_lshlrev_b64 v[11:12], v8, v[11:12]
	v_sub_nc_u32_e32 v8, 32, v8
	s_delay_alu instid0(VALU_DEP_2) | instskip(NEXT) | instid1(VALU_DEP_1)
	v_min_u32_e32 v11, 1, v11
	v_or_b32_e32 v11, v12, v11
	s_delay_alu instid0(VALU_DEP_1) | instskip(NEXT) | instid1(VALU_DEP_1)
	v_cvt_f32_u32_e32 v11, v11
	v_ldexp_f32 v8, v11, v8
	s_delay_alu instid0(VALU_DEP_1) | instskip(NEXT) | instid1(VALU_DEP_1)
	v_bfe_u32 v11, v8, 16, 1
	v_add3_u32 v8, v8, v11, 0x7fff
	s_delay_alu instid0(VALU_DEP_1)
	v_lshrrev_b32_e32 v8, 16, v8
	s_branch .LBB273_1337
.LBB273_1335:
	s_mov_b32 s0, -1
                                        ; implicit-def: $vgpr8
.LBB273_1336:
	s_mov_b32 s11, 0
.LBB273_1337:
	s_delay_alu instid0(SALU_CYCLE_1)
	s_and_b32 vcc_lo, exec_lo, s11
	s_cbranch_vccz .LBB273_1355
; %bb.1338:
	v_cmp_gt_i16_e32 vcc_lo, 27, v9
	s_cbranch_vccnz .LBB273_1341
; %bb.1339:
	v_cmp_lt_i16_e32 vcc_lo, 27, v9
	s_cbranch_vccz .LBB273_1342
; %bb.1340:
	global_load_b32 v8, v[6:7], off
	s_mov_b32 s10, 0
	s_waitcnt vmcnt(0)
	v_cvt_f32_u32_e32 v8, v8
	s_delay_alu instid0(VALU_DEP_1) | instskip(NEXT) | instid1(VALU_DEP_1)
	v_bfe_u32 v11, v8, 16, 1
	v_add3_u32 v8, v8, v11, 0x7fff
	s_delay_alu instid0(VALU_DEP_1)
	v_lshrrev_b32_e32 v8, 16, v8
	s_branch .LBB273_1343
.LBB273_1341:
	s_mov_b32 s10, -1
                                        ; implicit-def: $vgpr8
	s_branch .LBB273_1346
.LBB273_1342:
	s_mov_b32 s10, -1
                                        ; implicit-def: $vgpr8
.LBB273_1343:
	s_delay_alu instid0(SALU_CYCLE_1)
	s_and_not1_b32 vcc_lo, exec_lo, s10
	s_cbranch_vccnz .LBB273_1345
; %bb.1344:
	global_load_u16 v8, v[6:7], off
	s_waitcnt vmcnt(0)
	v_cvt_f32_u32_e32 v8, v8
	s_delay_alu instid0(VALU_DEP_1) | instskip(NEXT) | instid1(VALU_DEP_1)
	v_bfe_u32 v11, v8, 16, 1
	v_add3_u32 v8, v8, v11, 0x7fff
	s_delay_alu instid0(VALU_DEP_1)
	v_lshrrev_b32_e32 v8, 16, v8
.LBB273_1345:
	s_mov_b32 s10, 0
.LBB273_1346:
	s_delay_alu instid0(SALU_CYCLE_1)
	s_and_not1_b32 vcc_lo, exec_lo, s10
	s_cbranch_vccnz .LBB273_1354
; %bb.1347:
	global_load_u8 v8, v[6:7], off
	s_mov_b32 s10, 0
	s_mov_b32 s12, exec_lo
                                        ; implicit-def: $sgpr11
	s_waitcnt vmcnt(0)
	v_cmpx_lt_i16_e32 0x7f, v8
	s_xor_b32 s12, exec_lo, s12
	s_cbranch_execz .LBB273_1367
; %bb.1348:
	s_mov_b32 s10, -1
	s_mov_b32 s13, exec_lo
                                        ; implicit-def: $sgpr11
	v_cmpx_eq_u16_e32 0x80, v8
; %bb.1349:
	s_mov_b32 s11, 0x7f800001
	s_xor_b32 s10, exec_lo, -1
; %bb.1350:
	s_or_b32 exec_lo, exec_lo, s13
	s_delay_alu instid0(SALU_CYCLE_1)
	s_and_b32 s10, s10, exec_lo
	s_or_saveexec_b32 s12, s12
	v_mov_b32_e32 v11, s11
	s_xor_b32 exec_lo, exec_lo, s12
	s_cbranch_execnz .LBB273_1368
.LBB273_1351:
	s_or_b32 exec_lo, exec_lo, s12
	s_and_saveexec_b32 s11, s10
	s_cbranch_execz .LBB273_1353
.LBB273_1352:
	v_and_b32_e32 v11, 0xffff, v8
	v_lshlrev_b32_e32 v8, 24, v8
	s_delay_alu instid0(VALU_DEP_2) | instskip(NEXT) | instid1(VALU_DEP_2)
	v_and_b32_e32 v12, 7, v11
	v_and_b32_e32 v8, 0x80000000, v8
	s_delay_alu instid0(VALU_DEP_2) | instskip(NEXT) | instid1(VALU_DEP_1)
	v_clz_i32_u32_e32 v13, v12
	v_min_u32_e32 v13, 32, v13
	s_delay_alu instid0(VALU_DEP_1) | instskip(SKIP_1) | instid1(VALU_DEP_2)
	v_subrev_nc_u32_e32 v14, 28, v13
	v_sub_nc_u32_e32 v13, 29, v13
	v_lshlrev_b32_e32 v14, v14, v11
	v_bfe_u32 v11, v11, 3, 4
	s_delay_alu instid0(VALU_DEP_2) | instskip(NEXT) | instid1(VALU_DEP_2)
	v_and_b32_e32 v14, 7, v14
	v_cmp_eq_u32_e32 vcc_lo, 0, v11
	s_delay_alu instid0(VALU_DEP_2) | instskip(NEXT) | instid1(VALU_DEP_1)
	v_dual_cndmask_b32 v11, v11, v13 :: v_dual_cndmask_b32 v12, v12, v14
	v_lshl_add_u32 v11, v11, 23, 0x3b800000
	s_delay_alu instid0(VALU_DEP_2) | instskip(NEXT) | instid1(VALU_DEP_1)
	v_lshlrev_b32_e32 v12, 20, v12
	v_or3_b32 v11, v8, v11, v12
.LBB273_1353:
	s_or_b32 exec_lo, exec_lo, s11
	s_delay_alu instid0(VALU_DEP_1) | instskip(SKIP_1) | instid1(VALU_DEP_2)
	v_bfe_u32 v8, v11, 16, 1
	v_cmp_o_f32_e32 vcc_lo, v11, v11
	v_add3_u32 v8, v11, v8, 0x7fff
	s_delay_alu instid0(VALU_DEP_1) | instskip(NEXT) | instid1(VALU_DEP_1)
	v_lshrrev_b32_e32 v8, 16, v8
	v_cndmask_b32_e32 v8, 0x7fc0, v8, vcc_lo
.LBB273_1354:
	s_mov_b32 s10, -1
.LBB273_1355:
	s_branch .LBB273_1388
.LBB273_1356:
	v_cmp_lt_i16_e32 vcc_lo, 22, v9
	s_cbranch_vccz .LBB273_1366
; %bb.1357:
	v_cmp_gt_i16_e32 vcc_lo, 24, v9
	s_cbranch_vccnz .LBB273_1369
; %bb.1358:
	v_cmp_lt_i16_e32 vcc_lo, 24, v9
	s_cbranch_vccz .LBB273_1370
; %bb.1359:
	global_load_u8 v8, v[6:7], off
	s_mov_b32 s11, exec_lo
                                        ; implicit-def: $sgpr10
	s_waitcnt vmcnt(0)
	v_cmpx_lt_i16_e32 0x7f, v8
	s_xor_b32 s11, exec_lo, s11
	s_cbranch_execz .LBB273_1382
; %bb.1360:
	s_mov_b32 s3, -1
	s_mov_b32 s12, exec_lo
                                        ; implicit-def: $sgpr10
	v_cmpx_eq_u16_e32 0x80, v8
; %bb.1361:
	s_mov_b32 s10, 0x7f800001
	s_xor_b32 s3, exec_lo, -1
; %bb.1362:
	s_or_b32 exec_lo, exec_lo, s12
	s_delay_alu instid0(SALU_CYCLE_1)
	s_and_b32 s3, s3, exec_lo
	s_or_saveexec_b32 s11, s11
	v_mov_b32_e32 v11, s10
	s_xor_b32 exec_lo, exec_lo, s11
	s_cbranch_execnz .LBB273_1383
.LBB273_1363:
	s_or_b32 exec_lo, exec_lo, s11
	s_and_saveexec_b32 s10, s3
	s_cbranch_execz .LBB273_1365
.LBB273_1364:
	v_and_b32_e32 v11, 0xffff, v8
	v_lshlrev_b32_e32 v8, 24, v8
	s_delay_alu instid0(VALU_DEP_2) | instskip(NEXT) | instid1(VALU_DEP_2)
	v_and_b32_e32 v12, 3, v11
	v_and_b32_e32 v8, 0x80000000, v8
	s_delay_alu instid0(VALU_DEP_2) | instskip(NEXT) | instid1(VALU_DEP_1)
	v_clz_i32_u32_e32 v13, v12
	v_min_u32_e32 v13, 32, v13
	s_delay_alu instid0(VALU_DEP_1) | instskip(SKIP_1) | instid1(VALU_DEP_2)
	v_subrev_nc_u32_e32 v14, 29, v13
	v_sub_nc_u32_e32 v13, 30, v13
	v_lshlrev_b32_e32 v14, v14, v11
	v_bfe_u32 v11, v11, 2, 5
	s_delay_alu instid0(VALU_DEP_2) | instskip(NEXT) | instid1(VALU_DEP_2)
	v_and_b32_e32 v14, 3, v14
	v_cmp_eq_u32_e32 vcc_lo, 0, v11
	s_delay_alu instid0(VALU_DEP_2) | instskip(NEXT) | instid1(VALU_DEP_1)
	v_dual_cndmask_b32 v11, v11, v13 :: v_dual_cndmask_b32 v12, v12, v14
	v_lshl_add_u32 v11, v11, 23, 0x37800000
	s_delay_alu instid0(VALU_DEP_2) | instskip(NEXT) | instid1(VALU_DEP_1)
	v_lshlrev_b32_e32 v12, 21, v12
	v_or3_b32 v11, v8, v11, v12
.LBB273_1365:
	s_or_b32 exec_lo, exec_lo, s10
	s_delay_alu instid0(VALU_DEP_1) | instskip(SKIP_2) | instid1(VALU_DEP_2)
	v_bfe_u32 v8, v11, 16, 1
	v_cmp_o_f32_e32 vcc_lo, v11, v11
	s_mov_b32 s3, 0
	v_add3_u32 v8, v11, v8, 0x7fff
	s_delay_alu instid0(VALU_DEP_1) | instskip(NEXT) | instid1(VALU_DEP_1)
	v_lshrrev_b32_e32 v8, 16, v8
	v_cndmask_b32_e32 v8, 0x7fc0, v8, vcc_lo
	s_branch .LBB273_1371
.LBB273_1366:
	s_mov_b32 s3, -1
                                        ; implicit-def: $vgpr8
	s_branch .LBB273_1377
.LBB273_1367:
	s_or_saveexec_b32 s12, s12
	v_mov_b32_e32 v11, s11
	s_xor_b32 exec_lo, exec_lo, s12
	s_cbranch_execz .LBB273_1351
.LBB273_1368:
	v_cmp_ne_u16_e32 vcc_lo, 0, v8
	v_mov_b32_e32 v11, 0
	s_and_not1_b32 s10, s10, exec_lo
	s_and_b32 s11, vcc_lo, exec_lo
	s_delay_alu instid0(SALU_CYCLE_1)
	s_or_b32 s10, s10, s11
	s_or_b32 exec_lo, exec_lo, s12
	s_and_saveexec_b32 s11, s10
	s_cbranch_execnz .LBB273_1352
	s_branch .LBB273_1353
.LBB273_1369:
	s_mov_b32 s3, -1
                                        ; implicit-def: $vgpr8
	s_branch .LBB273_1374
.LBB273_1370:
	s_mov_b32 s3, -1
                                        ; implicit-def: $vgpr8
.LBB273_1371:
	s_delay_alu instid0(SALU_CYCLE_1)
	s_and_b32 vcc_lo, exec_lo, s3
	s_cbranch_vccz .LBB273_1373
; %bb.1372:
	global_load_u8 v8, v[6:7], off
	s_waitcnt vmcnt(0)
	v_lshlrev_b32_e32 v8, 24, v8
	s_delay_alu instid0(VALU_DEP_1) | instskip(NEXT) | instid1(VALU_DEP_1)
	v_and_b32_e32 v11, 0x7f000000, v8
	v_clz_i32_u32_e32 v12, v11
	v_cmp_ne_u32_e32 vcc_lo, 0, v11
	v_add_nc_u32_e32 v14, 0x1000000, v11
	s_delay_alu instid0(VALU_DEP_3) | instskip(NEXT) | instid1(VALU_DEP_1)
	v_min_u32_e32 v12, 32, v12
	v_sub_nc_u32_e64 v12, v12, 4 clamp
	s_delay_alu instid0(VALU_DEP_1) | instskip(SKIP_1) | instid1(VALU_DEP_2)
	v_lshlrev_b32_e32 v13, v12, v11
	v_lshlrev_b32_e32 v12, 23, v12
	v_lshrrev_b32_e32 v13, 4, v13
	s_delay_alu instid0(VALU_DEP_1) | instskip(SKIP_1) | instid1(VALU_DEP_2)
	v_sub_nc_u32_e32 v12, v13, v12
	v_ashrrev_i32_e32 v13, 8, v14
	v_add_nc_u32_e32 v12, 0x3c000000, v12
	s_delay_alu instid0(VALU_DEP_1) | instskip(NEXT) | instid1(VALU_DEP_1)
	v_and_or_b32 v12, 0x7f800000, v13, v12
	v_cndmask_b32_e32 v11, 0, v12, vcc_lo
	s_delay_alu instid0(VALU_DEP_1) | instskip(SKIP_1) | instid1(VALU_DEP_2)
	v_and_or_b32 v8, 0x80000000, v8, v11
	v_bfe_u32 v11, v11, 16, 1
	v_cmp_o_f32_e32 vcc_lo, v8, v8
	s_delay_alu instid0(VALU_DEP_2) | instskip(NEXT) | instid1(VALU_DEP_1)
	v_add3_u32 v11, v8, v11, 0x7fff
	v_lshrrev_b32_e32 v11, 16, v11
	s_delay_alu instid0(VALU_DEP_1)
	v_cndmask_b32_e32 v8, 0x7fc0, v11, vcc_lo
.LBB273_1373:
	s_mov_b32 s3, 0
.LBB273_1374:
	s_delay_alu instid0(SALU_CYCLE_1)
	s_and_not1_b32 vcc_lo, exec_lo, s3
	s_cbranch_vccnz .LBB273_1376
; %bb.1375:
	global_load_u8 v8, v[6:7], off
	s_waitcnt vmcnt(0)
	v_lshlrev_b32_e32 v11, 25, v8
	v_lshlrev_b16 v8, 8, v8
	s_delay_alu instid0(VALU_DEP_2) | instskip(NEXT) | instid1(VALU_DEP_2)
	v_lshrrev_b32_e32 v12, 4, v11
	v_and_or_b32 v13, 0x7f00, v8, 0.5
	v_cmp_gt_u32_e32 vcc_lo, 0x8000000, v11
	v_bfe_i32 v8, v8, 0, 16
	s_delay_alu instid0(VALU_DEP_4) | instskip(NEXT) | instid1(VALU_DEP_1)
	v_or_b32_e32 v12, 0x70000000, v12
	v_dual_add_f32 v13, -0.5, v13 :: v_dual_mul_f32 v12, 0x7800000, v12
	s_delay_alu instid0(VALU_DEP_1) | instskip(NEXT) | instid1(VALU_DEP_1)
	v_cndmask_b32_e32 v11, v12, v13, vcc_lo
	v_and_or_b32 v8, 0x80000000, v8, v11
	v_bfe_u32 v11, v11, 16, 1
	s_delay_alu instid0(VALU_DEP_2) | instskip(NEXT) | instid1(VALU_DEP_2)
	v_cmp_o_f32_e32 vcc_lo, v8, v8
	v_add3_u32 v11, v8, v11, 0x7fff
	s_delay_alu instid0(VALU_DEP_1) | instskip(NEXT) | instid1(VALU_DEP_1)
	v_lshrrev_b32_e32 v11, 16, v11
	v_cndmask_b32_e32 v8, 0x7fc0, v11, vcc_lo
.LBB273_1376:
	s_mov_b32 s3, 0
	s_mov_b32 s10, -1
.LBB273_1377:
	s_and_not1_b32 vcc_lo, exec_lo, s3
	s_mov_b32 s3, 0
	s_cbranch_vccnz .LBB273_1388
; %bb.1378:
	v_cmp_lt_i16_e32 vcc_lo, 14, v9
	s_cbranch_vccz .LBB273_1381
; %bb.1379:
	v_cmp_eq_u16_e32 vcc_lo, 15, v9
	s_cbranch_vccz .LBB273_1384
; %bb.1380:
	global_load_u16 v8, v[6:7], off
	s_mov_b32 s0, 0
	s_mov_b32 s10, -1
	s_branch .LBB273_1386
.LBB273_1381:
	s_mov_b32 s3, -1
	s_branch .LBB273_1385
.LBB273_1382:
	s_or_saveexec_b32 s11, s11
	v_mov_b32_e32 v11, s10
	s_xor_b32 exec_lo, exec_lo, s11
	s_cbranch_execz .LBB273_1363
.LBB273_1383:
	v_cmp_ne_u16_e32 vcc_lo, 0, v8
	v_mov_b32_e32 v11, 0
	s_and_not1_b32 s3, s3, exec_lo
	s_and_b32 s10, vcc_lo, exec_lo
	s_delay_alu instid0(SALU_CYCLE_1)
	s_or_b32 s3, s3, s10
	s_or_b32 exec_lo, exec_lo, s11
	s_and_saveexec_b32 s10, s3
	s_cbranch_execnz .LBB273_1364
	s_branch .LBB273_1365
.LBB273_1384:
	s_mov_b32 s0, -1
.LBB273_1385:
                                        ; implicit-def: $vgpr8
.LBB273_1386:
	s_and_b32 vcc_lo, exec_lo, s3
	s_mov_b32 s3, 0
	s_cbranch_vccz .LBB273_1388
; %bb.1387:
	v_cmp_ne_u16_e64 s0, 11, v9
	s_mov_b32 s3, -1
                                        ; implicit-def: $vgpr8
.LBB273_1388:
	s_delay_alu instid0(VALU_DEP_1)
	s_and_b32 vcc_lo, exec_lo, s0
	s_cbranch_vccnz .LBB273_1412
; %bb.1389:
	s_and_not1_b32 vcc_lo, exec_lo, s3
	s_cbranch_vccnz .LBB273_1391
.LBB273_1390:
	global_load_u8 v8, v[6:7], off
	s_mov_b32 s10, -1
	s_waitcnt vmcnt(0)
	v_cmp_ne_u16_e32 vcc_lo, 0, v8
	v_cndmask_b32_e64 v8, 0, 1.0, vcc_lo
	s_delay_alu instid0(VALU_DEP_1)
	v_lshrrev_b32_e32 v8, 16, v8
.LBB273_1391:
.LBB273_1392:
	s_and_not1_b32 vcc_lo, exec_lo, s10
	s_cbranch_vccnz .LBB273_2090
.LBB273_1393:
	v_cmp_gt_i16_e32 vcc_lo, 11, v9
	v_add_co_u32 v5, s0, s6, v5
	s_delay_alu instid0(VALU_DEP_1)
	v_add_co_ci_u32_e64 v6, null, s7, 0, s0
	s_mov_b32 s10, 0
	s_cbranch_vccnz .LBB273_1400
; %bb.1394:
	v_cmp_lt_i16_e32 vcc_lo, 25, v9
	s_mov_b32 s3, 0
	s_cbranch_vccz .LBB273_1406
; %bb.1395:
	v_cmp_lt_i16_e32 vcc_lo, 28, v9
	s_cbranch_vccz .LBB273_1408
; %bb.1396:
	v_cmp_lt_i16_e32 vcc_lo, 43, v9
	s_cbranch_vccz .LBB273_1410
; %bb.1397:
	v_cmp_lt_i16_e32 vcc_lo, 45, v9
	s_cbranch_vccz .LBB273_1414
; %bb.1398:
	v_cmp_eq_u16_e32 vcc_lo, 46, v9
	s_mov_b32 s11, 0
	s_cbranch_vccz .LBB273_1457
; %bb.1399:
	global_load_b32 v7, v[5:6], off
	s_mov_b32 s0, 0
	s_mov_b32 s10, -1
	s_branch .LBB273_1459
.LBB273_1400:
                                        ; implicit-def: $vgpr7
	s_cbranch_execz .LBB273_1525
; %bb.1401:
	v_cmp_gt_i16_e32 vcc_lo, 5, v9
	s_cbranch_vccnz .LBB273_1407
; %bb.1402:
	v_cmp_gt_i16_e32 vcc_lo, 8, v9
	s_cbranch_vccnz .LBB273_1409
	;; [unrolled: 3-line block ×3, first 2 shown]
; %bb.1404:
	v_cmp_lt_i16_e32 vcc_lo, 9, v9
	s_cbranch_vccz .LBB273_1415
; %bb.1405:
	global_load_b64 v[11:12], v[5:6], off
	s_mov_b32 s0, 0
	s_waitcnt vmcnt(0)
	v_cvt_f32_f64_e32 v7, v[11:12]
	s_delay_alu instid0(VALU_DEP_1) | instskip(SKIP_1) | instid1(VALU_DEP_2)
	v_bfe_u32 v11, v7, 16, 1
	v_cmp_o_f32_e32 vcc_lo, v7, v7
	v_add3_u32 v11, v7, v11, 0x7fff
	s_delay_alu instid0(VALU_DEP_1) | instskip(NEXT) | instid1(VALU_DEP_1)
	v_lshrrev_b32_e32 v11, 16, v11
	v_cndmask_b32_e32 v7, 0x7fc0, v11, vcc_lo
	s_branch .LBB273_1416
.LBB273_1406:
	s_mov_b32 s11, -1
	s_mov_b32 s0, 0
                                        ; implicit-def: $vgpr7
	s_branch .LBB273_1488
.LBB273_1407:
	s_mov_b32 s0, -1
                                        ; implicit-def: $vgpr7
	s_branch .LBB273_1434
.LBB273_1408:
	s_mov_b32 s11, -1
	s_mov_b32 s0, 0
                                        ; implicit-def: $vgpr7
	s_branch .LBB273_1469
.LBB273_1409:
	s_mov_b32 s0, -1
                                        ; implicit-def: $vgpr7
	s_branch .LBB273_1422
.LBB273_1410:
	s_mov_b32 s11, -1
	s_mov_b32 s0, 0
                                        ; implicit-def: $vgpr7
	s_branch .LBB273_1464
.LBB273_1411:
	s_mov_b32 s0, -1
                                        ; implicit-def: $vgpr7
	s_branch .LBB273_1419
.LBB273_1412:
	s_cbranch_execnz .LBB273_1455
; %bb.1413:
	s_or_b32 s1, s1, exec_lo
                                        ; implicit-def: $vgpr8
	s_cbranch_execz .LBB273_1390
	s_branch .LBB273_1391
.LBB273_1414:
	s_mov_b32 s11, -1
	s_mov_b32 s0, 0
	s_branch .LBB273_1458
.LBB273_1415:
	s_mov_b32 s0, -1
                                        ; implicit-def: $vgpr7
.LBB273_1416:
	s_delay_alu instid0(SALU_CYCLE_1)
	s_and_not1_b32 vcc_lo, exec_lo, s0
	s_cbranch_vccnz .LBB273_1418
; %bb.1417:
	global_load_b32 v7, v[5:6], off
	s_waitcnt vmcnt(0)
	v_bfe_u32 v11, v7, 16, 1
	v_cmp_o_f32_e32 vcc_lo, v7, v7
	s_delay_alu instid0(VALU_DEP_2) | instskip(NEXT) | instid1(VALU_DEP_1)
	v_add3_u32 v11, v7, v11, 0x7fff
	v_lshrrev_b32_e32 v11, 16, v11
	s_delay_alu instid0(VALU_DEP_1)
	v_cndmask_b32_e32 v7, 0x7fc0, v11, vcc_lo
.LBB273_1418:
	s_mov_b32 s0, 0
.LBB273_1419:
	s_delay_alu instid0(SALU_CYCLE_1)
	s_and_not1_b32 vcc_lo, exec_lo, s0
	s_cbranch_vccnz .LBB273_1421
; %bb.1420:
	global_load_b32 v7, v[5:6], off
	s_waitcnt vmcnt(0)
	v_cvt_f32_f16_e32 v11, v7
	v_cmp_o_f16_e32 vcc_lo, v7, v7
	s_delay_alu instid0(VALU_DEP_2) | instskip(NEXT) | instid1(VALU_DEP_1)
	v_bfe_u32 v12, v11, 16, 1
	v_add3_u32 v11, v11, v12, 0x7fff
	s_delay_alu instid0(VALU_DEP_1) | instskip(NEXT) | instid1(VALU_DEP_1)
	v_lshrrev_b32_e32 v11, 16, v11
	v_cndmask_b32_e32 v7, 0x7fc0, v11, vcc_lo
.LBB273_1421:
	s_mov_b32 s0, 0
.LBB273_1422:
	s_delay_alu instid0(SALU_CYCLE_1)
	s_and_not1_b32 vcc_lo, exec_lo, s0
	s_cbranch_vccnz .LBB273_1433
; %bb.1423:
	v_cmp_gt_i16_e32 vcc_lo, 6, v9
	s_cbranch_vccnz .LBB273_1426
; %bb.1424:
	v_cmp_lt_i16_e32 vcc_lo, 6, v9
	s_cbranch_vccz .LBB273_1427
; %bb.1425:
	global_load_b64 v[11:12], v[5:6], off
	s_mov_b32 s0, 0
	s_waitcnt vmcnt(0)
	v_cvt_f32_f64_e32 v7, v[11:12]
	s_delay_alu instid0(VALU_DEP_1) | instskip(SKIP_1) | instid1(VALU_DEP_2)
	v_bfe_u32 v11, v7, 16, 1
	v_cmp_o_f32_e32 vcc_lo, v7, v7
	v_add3_u32 v11, v7, v11, 0x7fff
	s_delay_alu instid0(VALU_DEP_1) | instskip(NEXT) | instid1(VALU_DEP_1)
	v_lshrrev_b32_e32 v11, 16, v11
	v_cndmask_b32_e32 v7, 0x7fc0, v11, vcc_lo
	s_branch .LBB273_1428
.LBB273_1426:
	s_mov_b32 s0, -1
                                        ; implicit-def: $vgpr7
	s_branch .LBB273_1431
.LBB273_1427:
	s_mov_b32 s0, -1
                                        ; implicit-def: $vgpr7
.LBB273_1428:
	s_delay_alu instid0(SALU_CYCLE_1)
	s_and_not1_b32 vcc_lo, exec_lo, s0
	s_cbranch_vccnz .LBB273_1430
; %bb.1429:
	global_load_b32 v7, v[5:6], off
	s_waitcnt vmcnt(0)
	v_bfe_u32 v11, v7, 16, 1
	v_cmp_o_f32_e32 vcc_lo, v7, v7
	s_delay_alu instid0(VALU_DEP_2) | instskip(NEXT) | instid1(VALU_DEP_1)
	v_add3_u32 v11, v7, v11, 0x7fff
	v_lshrrev_b32_e32 v11, 16, v11
	s_delay_alu instid0(VALU_DEP_1)
	v_cndmask_b32_e32 v7, 0x7fc0, v11, vcc_lo
.LBB273_1430:
	s_mov_b32 s0, 0
.LBB273_1431:
	s_delay_alu instid0(SALU_CYCLE_1)
	s_and_not1_b32 vcc_lo, exec_lo, s0
	s_cbranch_vccnz .LBB273_1433
; %bb.1432:
	global_load_u16 v7, v[5:6], off
	s_waitcnt vmcnt(0)
	v_cvt_f32_f16_e32 v11, v7
	v_cmp_o_f16_e32 vcc_lo, v7, v7
	s_delay_alu instid0(VALU_DEP_2) | instskip(NEXT) | instid1(VALU_DEP_1)
	v_bfe_u32 v12, v11, 16, 1
	v_add3_u32 v11, v11, v12, 0x7fff
	s_delay_alu instid0(VALU_DEP_1) | instskip(NEXT) | instid1(VALU_DEP_1)
	v_lshrrev_b32_e32 v11, 16, v11
	v_cndmask_b32_e32 v7, 0x7fc0, v11, vcc_lo
.LBB273_1433:
	s_mov_b32 s0, 0
.LBB273_1434:
	s_delay_alu instid0(SALU_CYCLE_1)
	s_and_not1_b32 vcc_lo, exec_lo, s0
	s_cbranch_vccnz .LBB273_1454
; %bb.1435:
	v_cmp_gt_i16_e32 vcc_lo, 2, v9
	s_cbranch_vccnz .LBB273_1439
; %bb.1436:
	v_cmp_gt_i16_e32 vcc_lo, 3, v9
	s_cbranch_vccnz .LBB273_1440
; %bb.1437:
	v_cmp_lt_i16_e32 vcc_lo, 3, v9
	s_cbranch_vccz .LBB273_1441
; %bb.1438:
	global_load_b64 v[11:12], v[5:6], off
	s_mov_b32 s0, 0
	s_waitcnt vmcnt(0)
	v_xor_b32_e32 v7, v11, v12
	v_cls_i32_e32 v13, v12
	s_delay_alu instid0(VALU_DEP_2) | instskip(NEXT) | instid1(VALU_DEP_2)
	v_ashrrev_i32_e32 v7, 31, v7
	v_add_nc_u32_e32 v13, -1, v13
	s_delay_alu instid0(VALU_DEP_2) | instskip(NEXT) | instid1(VALU_DEP_1)
	v_add_nc_u32_e32 v7, 32, v7
	v_min_u32_e32 v7, v13, v7
	s_delay_alu instid0(VALU_DEP_1) | instskip(SKIP_1) | instid1(VALU_DEP_2)
	v_lshlrev_b64 v[11:12], v7, v[11:12]
	v_sub_nc_u32_e32 v7, 32, v7
	v_min_u32_e32 v11, 1, v11
	s_delay_alu instid0(VALU_DEP_1) | instskip(NEXT) | instid1(VALU_DEP_1)
	v_or_b32_e32 v11, v12, v11
	v_cvt_f32_i32_e32 v11, v11
	s_delay_alu instid0(VALU_DEP_1) | instskip(NEXT) | instid1(VALU_DEP_1)
	v_ldexp_f32 v7, v11, v7
	v_bfe_u32 v11, v7, 16, 1
	s_delay_alu instid0(VALU_DEP_1) | instskip(NEXT) | instid1(VALU_DEP_1)
	v_add3_u32 v7, v7, v11, 0x7fff
	v_lshrrev_b32_e32 v7, 16, v7
	s_branch .LBB273_1442
.LBB273_1439:
	s_mov_b32 s0, -1
                                        ; implicit-def: $vgpr7
	s_branch .LBB273_1448
.LBB273_1440:
	s_mov_b32 s0, -1
                                        ; implicit-def: $vgpr7
	s_branch .LBB273_1445
.LBB273_1441:
	s_mov_b32 s0, -1
                                        ; implicit-def: $vgpr7
.LBB273_1442:
	s_delay_alu instid0(SALU_CYCLE_1)
	s_and_not1_b32 vcc_lo, exec_lo, s0
	s_cbranch_vccnz .LBB273_1444
; %bb.1443:
	global_load_b32 v7, v[5:6], off
	s_waitcnt vmcnt(0)
	v_cvt_f32_i32_e32 v7, v7
	s_delay_alu instid0(VALU_DEP_1) | instskip(NEXT) | instid1(VALU_DEP_1)
	v_bfe_u32 v11, v7, 16, 1
	v_add3_u32 v7, v7, v11, 0x7fff
	s_delay_alu instid0(VALU_DEP_1)
	v_lshrrev_b32_e32 v7, 16, v7
.LBB273_1444:
	s_mov_b32 s0, 0
.LBB273_1445:
	s_delay_alu instid0(SALU_CYCLE_1)
	s_and_not1_b32 vcc_lo, exec_lo, s0
	s_cbranch_vccnz .LBB273_1447
; %bb.1446:
	global_load_i16 v7, v[5:6], off
	s_waitcnt vmcnt(0)
	v_cvt_f32_i32_e32 v7, v7
	s_delay_alu instid0(VALU_DEP_1) | instskip(NEXT) | instid1(VALU_DEP_1)
	v_bfe_u32 v11, v7, 16, 1
	v_add3_u32 v7, v7, v11, 0x7fff
	s_delay_alu instid0(VALU_DEP_1)
	v_lshrrev_b32_e32 v7, 16, v7
.LBB273_1447:
	s_mov_b32 s0, 0
.LBB273_1448:
	s_delay_alu instid0(SALU_CYCLE_1)
	s_and_not1_b32 vcc_lo, exec_lo, s0
	s_cbranch_vccnz .LBB273_1454
; %bb.1449:
	v_cmp_lt_i16_e32 vcc_lo, 0, v9
	s_mov_b32 s0, 0
	s_cbranch_vccz .LBB273_1451
; %bb.1450:
	global_load_i8 v7, v[5:6], off
	s_waitcnt vmcnt(0)
	v_cvt_f32_i32_e32 v7, v7
	s_delay_alu instid0(VALU_DEP_1) | instskip(NEXT) | instid1(VALU_DEP_1)
	v_bfe_u32 v11, v7, 16, 1
	v_add3_u32 v7, v7, v11, 0x7fff
	s_delay_alu instid0(VALU_DEP_1)
	v_lshrrev_b32_e32 v7, 16, v7
	s_branch .LBB273_1452
.LBB273_1451:
	s_mov_b32 s0, -1
                                        ; implicit-def: $vgpr7
.LBB273_1452:
	s_delay_alu instid0(SALU_CYCLE_1)
	s_and_not1_b32 vcc_lo, exec_lo, s0
	s_cbranch_vccnz .LBB273_1454
; %bb.1453:
	global_load_u8 v5, v[5:6], off
	s_waitcnt vmcnt(0)
	v_cvt_f32_ubyte0_e32 v5, v5
	s_delay_alu instid0(VALU_DEP_1) | instskip(NEXT) | instid1(VALU_DEP_1)
	v_bfe_u32 v6, v5, 16, 1
	v_add3_u32 v5, v5, v6, 0x7fff
	s_delay_alu instid0(VALU_DEP_1)
	v_lshrrev_b32_e32 v7, 16, v5
.LBB273_1454:
	s_branch .LBB273_1526
.LBB273_1455:
	s_trap 2
	s_sendmsg_rtn_b32 s0, sendmsg(MSG_RTN_GET_DOORBELL)
	s_mov_b32 ttmp2, m0
	s_waitcnt lgkmcnt(0)
	s_and_b32 s0, s0, 0x3ff
	s_delay_alu instid0(SALU_CYCLE_1) | instskip(NEXT) | instid1(SALU_CYCLE_1)
	s_bitset1_b32 s0, 10
	s_mov_b32 m0, s0
	s_sendmsg sendmsg(MSG_INTERRUPT)
	s_mov_b32 m0, ttmp2
.LBB273_1456:                           ; =>This Inner Loop Header: Depth=1
	s_sethalt 5
	s_branch .LBB273_1456
.LBB273_1457:
	s_mov_b32 s0, -1
.LBB273_1458:
                                        ; implicit-def: $vgpr7
.LBB273_1459:
	s_and_b32 vcc_lo, exec_lo, s11
	s_cbranch_vccz .LBB273_1463
; %bb.1460:
	v_cmp_eq_u16_e32 vcc_lo, 44, v9
	s_cbranch_vccz .LBB273_1462
; %bb.1461:
	global_load_u8 v7, v[5:6], off
	s_mov_b32 s0, 0
	s_mov_b32 s10, -1
	s_waitcnt vmcnt(0)
	v_lshlrev_b32_e32 v11, 23, v7
	v_cmp_ne_u32_e32 vcc_lo, 0xff, v7
	s_delay_alu instid0(VALU_DEP_2) | instskip(SKIP_1) | instid1(VALU_DEP_2)
	v_cndmask_b32_e32 v11, 0x7f800001, v11, vcc_lo
	v_cmp_ne_u32_e32 vcc_lo, 0, v7
	v_cndmask_b32_e32 v7, 0x400000, v11, vcc_lo
	s_delay_alu instid0(VALU_DEP_1) | instskip(SKIP_1) | instid1(VALU_DEP_2)
	v_add_nc_u32_e32 v11, 0x7fff, v7
	v_cmp_o_f32_e32 vcc_lo, v7, v7
	v_lshrrev_b32_e32 v11, 16, v11
	s_delay_alu instid0(VALU_DEP_1)
	v_cndmask_b32_e32 v7, 0x7fc0, v11, vcc_lo
	s_branch .LBB273_1463
.LBB273_1462:
	s_mov_b32 s0, -1
                                        ; implicit-def: $vgpr7
.LBB273_1463:
	s_mov_b32 s11, 0
.LBB273_1464:
	s_delay_alu instid0(SALU_CYCLE_1)
	s_and_b32 vcc_lo, exec_lo, s11
	s_cbranch_vccz .LBB273_1468
; %bb.1465:
	v_cmp_eq_u16_e32 vcc_lo, 29, v9
	s_cbranch_vccz .LBB273_1467
; %bb.1466:
	global_load_b64 v[11:12], v[5:6], off
	s_mov_b32 s0, 0
	s_mov_b32 s10, -1
	s_mov_b32 s11, 0
	s_waitcnt vmcnt(0)
	v_clz_i32_u32_e32 v7, v12
	s_delay_alu instid0(VALU_DEP_1) | instskip(NEXT) | instid1(VALU_DEP_1)
	v_min_u32_e32 v7, 32, v7
	v_lshlrev_b64 v[11:12], v7, v[11:12]
	v_sub_nc_u32_e32 v7, 32, v7
	s_delay_alu instid0(VALU_DEP_2) | instskip(NEXT) | instid1(VALU_DEP_1)
	v_min_u32_e32 v11, 1, v11
	v_or_b32_e32 v11, v12, v11
	s_delay_alu instid0(VALU_DEP_1) | instskip(NEXT) | instid1(VALU_DEP_1)
	v_cvt_f32_u32_e32 v11, v11
	v_ldexp_f32 v7, v11, v7
	s_delay_alu instid0(VALU_DEP_1) | instskip(NEXT) | instid1(VALU_DEP_1)
	v_bfe_u32 v11, v7, 16, 1
	v_add3_u32 v7, v7, v11, 0x7fff
	s_delay_alu instid0(VALU_DEP_1)
	v_lshrrev_b32_e32 v7, 16, v7
	s_branch .LBB273_1469
.LBB273_1467:
	s_mov_b32 s0, -1
                                        ; implicit-def: $vgpr7
.LBB273_1468:
	s_mov_b32 s11, 0
.LBB273_1469:
	s_delay_alu instid0(SALU_CYCLE_1)
	s_and_b32 vcc_lo, exec_lo, s11
	s_cbranch_vccz .LBB273_1487
; %bb.1470:
	v_cmp_gt_i16_e32 vcc_lo, 27, v9
	s_cbranch_vccnz .LBB273_1473
; %bb.1471:
	v_cmp_lt_i16_e32 vcc_lo, 27, v9
	s_cbranch_vccz .LBB273_1474
; %bb.1472:
	global_load_b32 v7, v[5:6], off
	s_mov_b32 s10, 0
	s_waitcnt vmcnt(0)
	v_cvt_f32_u32_e32 v7, v7
	s_delay_alu instid0(VALU_DEP_1) | instskip(NEXT) | instid1(VALU_DEP_1)
	v_bfe_u32 v11, v7, 16, 1
	v_add3_u32 v7, v7, v11, 0x7fff
	s_delay_alu instid0(VALU_DEP_1)
	v_lshrrev_b32_e32 v7, 16, v7
	s_branch .LBB273_1475
.LBB273_1473:
	s_mov_b32 s10, -1
                                        ; implicit-def: $vgpr7
	s_branch .LBB273_1478
.LBB273_1474:
	s_mov_b32 s10, -1
                                        ; implicit-def: $vgpr7
.LBB273_1475:
	s_delay_alu instid0(SALU_CYCLE_1)
	s_and_not1_b32 vcc_lo, exec_lo, s10
	s_cbranch_vccnz .LBB273_1477
; %bb.1476:
	global_load_u16 v7, v[5:6], off
	s_waitcnt vmcnt(0)
	v_cvt_f32_u32_e32 v7, v7
	s_delay_alu instid0(VALU_DEP_1) | instskip(NEXT) | instid1(VALU_DEP_1)
	v_bfe_u32 v11, v7, 16, 1
	v_add3_u32 v7, v7, v11, 0x7fff
	s_delay_alu instid0(VALU_DEP_1)
	v_lshrrev_b32_e32 v7, 16, v7
.LBB273_1477:
	s_mov_b32 s10, 0
.LBB273_1478:
	s_delay_alu instid0(SALU_CYCLE_1)
	s_and_not1_b32 vcc_lo, exec_lo, s10
	s_cbranch_vccnz .LBB273_1486
; %bb.1479:
	global_load_u8 v7, v[5:6], off
	s_mov_b32 s10, 0
	s_mov_b32 s12, exec_lo
                                        ; implicit-def: $sgpr11
	s_waitcnt vmcnt(0)
	v_cmpx_lt_i16_e32 0x7f, v7
	s_xor_b32 s12, exec_lo, s12
	s_cbranch_execz .LBB273_1500
; %bb.1480:
	s_mov_b32 s10, -1
	s_mov_b32 s13, exec_lo
                                        ; implicit-def: $sgpr11
	v_cmpx_eq_u16_e32 0x80, v7
; %bb.1481:
	s_mov_b32 s11, 0x7f800001
	s_xor_b32 s10, exec_lo, -1
; %bb.1482:
	s_or_b32 exec_lo, exec_lo, s13
	s_delay_alu instid0(SALU_CYCLE_1)
	s_and_b32 s10, s10, exec_lo
	s_or_saveexec_b32 s12, s12
	v_mov_b32_e32 v11, s11
	s_xor_b32 exec_lo, exec_lo, s12
	s_cbranch_execnz .LBB273_1501
.LBB273_1483:
	s_or_b32 exec_lo, exec_lo, s12
	s_and_saveexec_b32 s11, s10
	s_cbranch_execz .LBB273_1485
.LBB273_1484:
	v_and_b32_e32 v11, 0xffff, v7
	v_lshlrev_b32_e32 v7, 24, v7
	s_delay_alu instid0(VALU_DEP_2) | instskip(NEXT) | instid1(VALU_DEP_2)
	v_and_b32_e32 v12, 7, v11
	v_and_b32_e32 v7, 0x80000000, v7
	s_delay_alu instid0(VALU_DEP_2) | instskip(NEXT) | instid1(VALU_DEP_1)
	v_clz_i32_u32_e32 v13, v12
	v_min_u32_e32 v13, 32, v13
	s_delay_alu instid0(VALU_DEP_1) | instskip(SKIP_1) | instid1(VALU_DEP_2)
	v_subrev_nc_u32_e32 v14, 28, v13
	v_sub_nc_u32_e32 v13, 29, v13
	v_lshlrev_b32_e32 v14, v14, v11
	v_bfe_u32 v11, v11, 3, 4
	s_delay_alu instid0(VALU_DEP_2) | instskip(NEXT) | instid1(VALU_DEP_2)
	v_and_b32_e32 v14, 7, v14
	v_cmp_eq_u32_e32 vcc_lo, 0, v11
	s_delay_alu instid0(VALU_DEP_2) | instskip(NEXT) | instid1(VALU_DEP_1)
	v_dual_cndmask_b32 v11, v11, v13 :: v_dual_cndmask_b32 v12, v12, v14
	v_lshl_add_u32 v11, v11, 23, 0x3b800000
	s_delay_alu instid0(VALU_DEP_2) | instskip(NEXT) | instid1(VALU_DEP_1)
	v_lshlrev_b32_e32 v12, 20, v12
	v_or3_b32 v11, v7, v11, v12
.LBB273_1485:
	s_or_b32 exec_lo, exec_lo, s11
	s_delay_alu instid0(VALU_DEP_1) | instskip(SKIP_1) | instid1(VALU_DEP_2)
	v_bfe_u32 v7, v11, 16, 1
	v_cmp_o_f32_e32 vcc_lo, v11, v11
	v_add3_u32 v7, v11, v7, 0x7fff
	s_delay_alu instid0(VALU_DEP_1) | instskip(NEXT) | instid1(VALU_DEP_1)
	v_lshrrev_b32_e32 v7, 16, v7
	v_cndmask_b32_e32 v7, 0x7fc0, v7, vcc_lo
.LBB273_1486:
	s_mov_b32 s10, -1
.LBB273_1487:
	s_mov_b32 s11, 0
.LBB273_1488:
	s_delay_alu instid0(SALU_CYCLE_1)
	s_and_b32 vcc_lo, exec_lo, s11
	s_cbranch_vccz .LBB273_1521
; %bb.1489:
	v_cmp_lt_i16_e32 vcc_lo, 22, v9
	s_cbranch_vccz .LBB273_1499
; %bb.1490:
	v_cmp_gt_i16_e32 vcc_lo, 24, v9
	s_cbranch_vccnz .LBB273_1502
; %bb.1491:
	v_cmp_lt_i16_e32 vcc_lo, 24, v9
	s_cbranch_vccz .LBB273_1503
; %bb.1492:
	global_load_u8 v7, v[5:6], off
	s_mov_b32 s11, exec_lo
                                        ; implicit-def: $sgpr10
	s_waitcnt vmcnt(0)
	v_cmpx_lt_i16_e32 0x7f, v7
	s_xor_b32 s11, exec_lo, s11
	s_cbranch_execz .LBB273_1515
; %bb.1493:
	s_mov_b32 s3, -1
	s_mov_b32 s12, exec_lo
                                        ; implicit-def: $sgpr10
	v_cmpx_eq_u16_e32 0x80, v7
; %bb.1494:
	s_mov_b32 s10, 0x7f800001
	s_xor_b32 s3, exec_lo, -1
; %bb.1495:
	s_or_b32 exec_lo, exec_lo, s12
	s_delay_alu instid0(SALU_CYCLE_1)
	s_and_b32 s3, s3, exec_lo
	s_or_saveexec_b32 s11, s11
	v_mov_b32_e32 v11, s10
	s_xor_b32 exec_lo, exec_lo, s11
	s_cbranch_execnz .LBB273_1516
.LBB273_1496:
	s_or_b32 exec_lo, exec_lo, s11
	s_and_saveexec_b32 s10, s3
	s_cbranch_execz .LBB273_1498
.LBB273_1497:
	v_and_b32_e32 v11, 0xffff, v7
	v_lshlrev_b32_e32 v7, 24, v7
	s_delay_alu instid0(VALU_DEP_2) | instskip(NEXT) | instid1(VALU_DEP_2)
	v_and_b32_e32 v12, 3, v11
	v_and_b32_e32 v7, 0x80000000, v7
	s_delay_alu instid0(VALU_DEP_2) | instskip(NEXT) | instid1(VALU_DEP_1)
	v_clz_i32_u32_e32 v13, v12
	v_min_u32_e32 v13, 32, v13
	s_delay_alu instid0(VALU_DEP_1) | instskip(SKIP_1) | instid1(VALU_DEP_2)
	v_subrev_nc_u32_e32 v14, 29, v13
	v_sub_nc_u32_e32 v13, 30, v13
	v_lshlrev_b32_e32 v14, v14, v11
	v_bfe_u32 v11, v11, 2, 5
	s_delay_alu instid0(VALU_DEP_2) | instskip(NEXT) | instid1(VALU_DEP_2)
	v_and_b32_e32 v14, 3, v14
	v_cmp_eq_u32_e32 vcc_lo, 0, v11
	s_delay_alu instid0(VALU_DEP_2) | instskip(NEXT) | instid1(VALU_DEP_1)
	v_dual_cndmask_b32 v11, v11, v13 :: v_dual_cndmask_b32 v12, v12, v14
	v_lshl_add_u32 v11, v11, 23, 0x37800000
	s_delay_alu instid0(VALU_DEP_2) | instskip(NEXT) | instid1(VALU_DEP_1)
	v_lshlrev_b32_e32 v12, 21, v12
	v_or3_b32 v11, v7, v11, v12
.LBB273_1498:
	s_or_b32 exec_lo, exec_lo, s10
	s_delay_alu instid0(VALU_DEP_1) | instskip(SKIP_2) | instid1(VALU_DEP_2)
	v_bfe_u32 v7, v11, 16, 1
	v_cmp_o_f32_e32 vcc_lo, v11, v11
	s_mov_b32 s3, 0
	v_add3_u32 v7, v11, v7, 0x7fff
	s_delay_alu instid0(VALU_DEP_1) | instskip(NEXT) | instid1(VALU_DEP_1)
	v_lshrrev_b32_e32 v7, 16, v7
	v_cndmask_b32_e32 v7, 0x7fc0, v7, vcc_lo
	s_branch .LBB273_1504
.LBB273_1499:
	s_mov_b32 s3, -1
                                        ; implicit-def: $vgpr7
	s_branch .LBB273_1510
.LBB273_1500:
	s_or_saveexec_b32 s12, s12
	v_mov_b32_e32 v11, s11
	s_xor_b32 exec_lo, exec_lo, s12
	s_cbranch_execz .LBB273_1483
.LBB273_1501:
	v_cmp_ne_u16_e32 vcc_lo, 0, v7
	v_mov_b32_e32 v11, 0
	s_and_not1_b32 s10, s10, exec_lo
	s_and_b32 s11, vcc_lo, exec_lo
	s_delay_alu instid0(SALU_CYCLE_1)
	s_or_b32 s10, s10, s11
	s_or_b32 exec_lo, exec_lo, s12
	s_and_saveexec_b32 s11, s10
	s_cbranch_execnz .LBB273_1484
	s_branch .LBB273_1485
.LBB273_1502:
	s_mov_b32 s3, -1
                                        ; implicit-def: $vgpr7
	s_branch .LBB273_1507
.LBB273_1503:
	s_mov_b32 s3, -1
                                        ; implicit-def: $vgpr7
.LBB273_1504:
	s_delay_alu instid0(SALU_CYCLE_1)
	s_and_b32 vcc_lo, exec_lo, s3
	s_cbranch_vccz .LBB273_1506
; %bb.1505:
	global_load_u8 v7, v[5:6], off
	s_waitcnt vmcnt(0)
	v_lshlrev_b32_e32 v7, 24, v7
	s_delay_alu instid0(VALU_DEP_1) | instskip(NEXT) | instid1(VALU_DEP_1)
	v_and_b32_e32 v11, 0x7f000000, v7
	v_clz_i32_u32_e32 v12, v11
	v_cmp_ne_u32_e32 vcc_lo, 0, v11
	v_add_nc_u32_e32 v14, 0x1000000, v11
	s_delay_alu instid0(VALU_DEP_3) | instskip(NEXT) | instid1(VALU_DEP_1)
	v_min_u32_e32 v12, 32, v12
	v_sub_nc_u32_e64 v12, v12, 4 clamp
	s_delay_alu instid0(VALU_DEP_1) | instskip(SKIP_1) | instid1(VALU_DEP_2)
	v_lshlrev_b32_e32 v13, v12, v11
	v_lshlrev_b32_e32 v12, 23, v12
	v_lshrrev_b32_e32 v13, 4, v13
	s_delay_alu instid0(VALU_DEP_1) | instskip(SKIP_1) | instid1(VALU_DEP_2)
	v_sub_nc_u32_e32 v12, v13, v12
	v_ashrrev_i32_e32 v13, 8, v14
	v_add_nc_u32_e32 v12, 0x3c000000, v12
	s_delay_alu instid0(VALU_DEP_1) | instskip(NEXT) | instid1(VALU_DEP_1)
	v_and_or_b32 v12, 0x7f800000, v13, v12
	v_cndmask_b32_e32 v11, 0, v12, vcc_lo
	s_delay_alu instid0(VALU_DEP_1) | instskip(SKIP_1) | instid1(VALU_DEP_2)
	v_and_or_b32 v7, 0x80000000, v7, v11
	v_bfe_u32 v11, v11, 16, 1
	v_cmp_o_f32_e32 vcc_lo, v7, v7
	s_delay_alu instid0(VALU_DEP_2) | instskip(NEXT) | instid1(VALU_DEP_1)
	v_add3_u32 v11, v7, v11, 0x7fff
	v_lshrrev_b32_e32 v11, 16, v11
	s_delay_alu instid0(VALU_DEP_1)
	v_cndmask_b32_e32 v7, 0x7fc0, v11, vcc_lo
.LBB273_1506:
	s_mov_b32 s3, 0
.LBB273_1507:
	s_delay_alu instid0(SALU_CYCLE_1)
	s_and_not1_b32 vcc_lo, exec_lo, s3
	s_cbranch_vccnz .LBB273_1509
; %bb.1508:
	global_load_u8 v7, v[5:6], off
	s_waitcnt vmcnt(0)
	v_lshlrev_b32_e32 v11, 25, v7
	v_lshlrev_b16 v7, 8, v7
	s_delay_alu instid0(VALU_DEP_2) | instskip(NEXT) | instid1(VALU_DEP_2)
	v_lshrrev_b32_e32 v12, 4, v11
	v_and_or_b32 v13, 0x7f00, v7, 0.5
	v_bfe_i32 v7, v7, 0, 16
	s_delay_alu instid0(VALU_DEP_3) | instskip(NEXT) | instid1(VALU_DEP_1)
	v_or_b32_e32 v12, 0x70000000, v12
	v_dual_add_f32 v13, -0.5, v13 :: v_dual_mul_f32 v12, 0x7800000, v12
	v_cmp_gt_u32_e32 vcc_lo, 0x8000000, v11
	s_delay_alu instid0(VALU_DEP_2) | instskip(NEXT) | instid1(VALU_DEP_1)
	v_cndmask_b32_e32 v11, v12, v13, vcc_lo
	v_and_or_b32 v7, 0x80000000, v7, v11
	v_bfe_u32 v11, v11, 16, 1
	s_delay_alu instid0(VALU_DEP_2) | instskip(NEXT) | instid1(VALU_DEP_2)
	v_cmp_o_f32_e32 vcc_lo, v7, v7
	v_add3_u32 v11, v7, v11, 0x7fff
	s_delay_alu instid0(VALU_DEP_1) | instskip(NEXT) | instid1(VALU_DEP_1)
	v_lshrrev_b32_e32 v11, 16, v11
	v_cndmask_b32_e32 v7, 0x7fc0, v11, vcc_lo
.LBB273_1509:
	s_mov_b32 s3, 0
	s_mov_b32 s10, -1
.LBB273_1510:
	s_and_not1_b32 vcc_lo, exec_lo, s3
	s_mov_b32 s3, 0
	s_cbranch_vccnz .LBB273_1521
; %bb.1511:
	v_cmp_lt_i16_e32 vcc_lo, 14, v9
	s_cbranch_vccz .LBB273_1514
; %bb.1512:
	v_cmp_eq_u16_e32 vcc_lo, 15, v9
	s_cbranch_vccz .LBB273_1517
; %bb.1513:
	global_load_u16 v7, v[5:6], off
	s_mov_b32 s0, 0
	s_mov_b32 s10, -1
	s_branch .LBB273_1519
.LBB273_1514:
	s_mov_b32 s3, -1
	s_branch .LBB273_1518
.LBB273_1515:
	s_or_saveexec_b32 s11, s11
	v_mov_b32_e32 v11, s10
	s_xor_b32 exec_lo, exec_lo, s11
	s_cbranch_execz .LBB273_1496
.LBB273_1516:
	v_cmp_ne_u16_e32 vcc_lo, 0, v7
	v_mov_b32_e32 v11, 0
	s_and_not1_b32 s3, s3, exec_lo
	s_and_b32 s10, vcc_lo, exec_lo
	s_delay_alu instid0(SALU_CYCLE_1)
	s_or_b32 s3, s3, s10
	s_or_b32 exec_lo, exec_lo, s11
	s_and_saveexec_b32 s10, s3
	s_cbranch_execnz .LBB273_1497
	s_branch .LBB273_1498
.LBB273_1517:
	s_mov_b32 s0, -1
.LBB273_1518:
                                        ; implicit-def: $vgpr7
.LBB273_1519:
	s_and_b32 vcc_lo, exec_lo, s3
	s_mov_b32 s3, 0
	s_cbranch_vccz .LBB273_1521
; %bb.1520:
	v_cmp_ne_u16_e64 s0, 11, v9
	s_mov_b32 s3, -1
                                        ; implicit-def: $vgpr7
.LBB273_1521:
	s_delay_alu instid0(VALU_DEP_1)
	s_and_b32 vcc_lo, exec_lo, s0
	s_cbranch_vccnz .LBB273_1537
; %bb.1522:
	s_and_not1_b32 vcc_lo, exec_lo, s3
	s_cbranch_vccnz .LBB273_1524
.LBB273_1523:
	global_load_u8 v7, v[5:6], off
	s_mov_b32 s10, -1
	s_waitcnt vmcnt(0)
	v_cmp_ne_u16_e32 vcc_lo, 0, v7
	v_cndmask_b32_e64 v7, 0, 1.0, vcc_lo
	s_delay_alu instid0(VALU_DEP_1)
	v_lshrrev_b32_e32 v7, 16, v7
.LBB273_1524:
.LBB273_1525:
	s_and_not1_b32 vcc_lo, exec_lo, s10
	s_cbranch_vccnz .LBB273_2090
.LBB273_1526:
	v_cmp_gt_i16_e32 vcc_lo, 11, v9
	v_add_co_u32 v4, s0, s6, v4
	s_delay_alu instid0(VALU_DEP_1)
	v_add_co_ci_u32_e64 v5, null, s7, 0, s0
	s_mov_b32 s6, 0
	s_cbranch_vccnz .LBB273_1533
; %bb.1527:
	v_cmp_lt_i16_e32 vcc_lo, 25, v9
	s_mov_b32 s3, 0
	s_cbranch_vccz .LBB273_1534
; %bb.1528:
	v_cmp_lt_i16_e32 vcc_lo, 28, v9
	s_cbranch_vccz .LBB273_1535
; %bb.1529:
	v_cmp_lt_i16_e32 vcc_lo, 43, v9
	;; [unrolled: 3-line block ×3, first 2 shown]
	s_cbranch_vccz .LBB273_1539
; %bb.1531:
	v_cmp_eq_u16_e32 vcc_lo, 46, v9
	s_mov_b32 s7, 0
	s_cbranch_vccz .LBB273_1542
; %bb.1532:
	global_load_b32 v11, v[4:5], off
	s_mov_b32 s0, 0
	s_mov_b32 s6, -1
	s_branch .LBB273_1544
.LBB273_1533:
	s_mov_b32 s0, -1
                                        ; implicit-def: $vgpr11
	s_branch .LBB273_1610
.LBB273_1534:
	s_mov_b32 s7, -1
	s_mov_b32 s0, 0
                                        ; implicit-def: $vgpr11
	s_branch .LBB273_1573
.LBB273_1535:
	s_mov_b32 s7, -1
	s_mov_b32 s0, 0
                                        ; implicit-def: $vgpr11
	s_branch .LBB273_1554
.LBB273_1536:
	s_mov_b32 s7, -1
	s_mov_b32 s0, 0
                                        ; implicit-def: $vgpr11
	s_branch .LBB273_1549
.LBB273_1537:
	s_cbranch_execnz .LBB273_1540
; %bb.1538:
	s_or_b32 s1, s1, exec_lo
                                        ; implicit-def: $vgpr7
	s_cbranch_execz .LBB273_1523
	s_branch .LBB273_1524
.LBB273_1539:
	s_mov_b32 s7, -1
	s_mov_b32 s0, 0
	s_branch .LBB273_1543
.LBB273_1540:
	s_trap 2
	s_sendmsg_rtn_b32 s0, sendmsg(MSG_RTN_GET_DOORBELL)
	s_mov_b32 ttmp2, m0
	s_waitcnt lgkmcnt(0)
	s_and_b32 s0, s0, 0x3ff
	s_delay_alu instid0(SALU_CYCLE_1) | instskip(NEXT) | instid1(SALU_CYCLE_1)
	s_bitset1_b32 s0, 10
	s_mov_b32 m0, s0
	s_sendmsg sendmsg(MSG_INTERRUPT)
	s_mov_b32 m0, ttmp2
.LBB273_1541:                           ; =>This Inner Loop Header: Depth=1
	s_sethalt 5
	s_branch .LBB273_1541
.LBB273_1542:
	s_mov_b32 s0, -1
.LBB273_1543:
                                        ; implicit-def: $vgpr11
.LBB273_1544:
	s_and_b32 vcc_lo, exec_lo, s7
	s_cbranch_vccz .LBB273_1548
; %bb.1545:
	v_cmp_eq_u16_e32 vcc_lo, 44, v9
	s_cbranch_vccz .LBB273_1547
; %bb.1546:
	global_load_u8 v6, v[4:5], off
	s_mov_b32 s0, 0
	s_mov_b32 s6, -1
	s_waitcnt vmcnt(0)
	v_lshlrev_b32_e32 v11, 23, v6
	v_cmp_ne_u32_e32 vcc_lo, 0xff, v6
	s_delay_alu instid0(VALU_DEP_2) | instskip(SKIP_1) | instid1(VALU_DEP_2)
	v_cndmask_b32_e32 v11, 0x7f800001, v11, vcc_lo
	v_cmp_ne_u32_e32 vcc_lo, 0, v6
	v_cndmask_b32_e32 v6, 0x400000, v11, vcc_lo
	s_delay_alu instid0(VALU_DEP_1) | instskip(SKIP_1) | instid1(VALU_DEP_2)
	v_add_nc_u32_e32 v11, 0x7fff, v6
	v_cmp_o_f32_e32 vcc_lo, v6, v6
	v_lshrrev_b32_e32 v11, 16, v11
	s_delay_alu instid0(VALU_DEP_1)
	v_cndmask_b32_e32 v11, 0x7fc0, v11, vcc_lo
	s_branch .LBB273_1548
.LBB273_1547:
	s_mov_b32 s0, -1
                                        ; implicit-def: $vgpr11
.LBB273_1548:
	s_mov_b32 s7, 0
.LBB273_1549:
	s_delay_alu instid0(SALU_CYCLE_1)
	s_and_b32 vcc_lo, exec_lo, s7
	s_cbranch_vccz .LBB273_1553
; %bb.1550:
	v_cmp_eq_u16_e32 vcc_lo, 29, v9
	s_cbranch_vccz .LBB273_1552
; %bb.1551:
	global_load_b64 v[11:12], v[4:5], off
	s_mov_b32 s0, 0
	s_mov_b32 s6, -1
	s_mov_b32 s7, 0
	s_waitcnt vmcnt(0)
	v_clz_i32_u32_e32 v6, v12
	s_delay_alu instid0(VALU_DEP_1) | instskip(NEXT) | instid1(VALU_DEP_1)
	v_min_u32_e32 v6, 32, v6
	v_lshlrev_b64 v[11:12], v6, v[11:12]
	v_sub_nc_u32_e32 v6, 32, v6
	s_delay_alu instid0(VALU_DEP_2) | instskip(NEXT) | instid1(VALU_DEP_1)
	v_min_u32_e32 v11, 1, v11
	v_or_b32_e32 v11, v12, v11
	s_delay_alu instid0(VALU_DEP_1) | instskip(NEXT) | instid1(VALU_DEP_1)
	v_cvt_f32_u32_e32 v11, v11
	v_ldexp_f32 v6, v11, v6
	s_delay_alu instid0(VALU_DEP_1) | instskip(NEXT) | instid1(VALU_DEP_1)
	v_bfe_u32 v11, v6, 16, 1
	v_add3_u32 v6, v6, v11, 0x7fff
	s_delay_alu instid0(VALU_DEP_1)
	v_lshrrev_b32_e32 v11, 16, v6
	s_branch .LBB273_1554
.LBB273_1552:
	s_mov_b32 s0, -1
                                        ; implicit-def: $vgpr11
.LBB273_1553:
	s_mov_b32 s7, 0
.LBB273_1554:
	s_delay_alu instid0(SALU_CYCLE_1)
	s_and_b32 vcc_lo, exec_lo, s7
	s_cbranch_vccz .LBB273_1572
; %bb.1555:
	v_cmp_gt_i16_e32 vcc_lo, 27, v9
	s_cbranch_vccnz .LBB273_1558
; %bb.1556:
	v_cmp_lt_i16_e32 vcc_lo, 27, v9
	s_cbranch_vccz .LBB273_1559
; %bb.1557:
	global_load_b32 v6, v[4:5], off
	s_mov_b32 s6, 0
	s_waitcnt vmcnt(0)
	v_cvt_f32_u32_e32 v6, v6
	s_delay_alu instid0(VALU_DEP_1) | instskip(NEXT) | instid1(VALU_DEP_1)
	v_bfe_u32 v11, v6, 16, 1
	v_add3_u32 v6, v6, v11, 0x7fff
	s_delay_alu instid0(VALU_DEP_1)
	v_lshrrev_b32_e32 v11, 16, v6
	s_branch .LBB273_1560
.LBB273_1558:
	s_mov_b32 s6, -1
                                        ; implicit-def: $vgpr11
	s_branch .LBB273_1563
.LBB273_1559:
	s_mov_b32 s6, -1
                                        ; implicit-def: $vgpr11
.LBB273_1560:
	s_delay_alu instid0(SALU_CYCLE_1)
	s_and_not1_b32 vcc_lo, exec_lo, s6
	s_cbranch_vccnz .LBB273_1562
; %bb.1561:
	global_load_u16 v6, v[4:5], off
	s_waitcnt vmcnt(0)
	v_cvt_f32_u32_e32 v6, v6
	s_delay_alu instid0(VALU_DEP_1) | instskip(NEXT) | instid1(VALU_DEP_1)
	v_bfe_u32 v11, v6, 16, 1
	v_add3_u32 v6, v6, v11, 0x7fff
	s_delay_alu instid0(VALU_DEP_1)
	v_lshrrev_b32_e32 v11, 16, v6
.LBB273_1562:
	s_mov_b32 s6, 0
.LBB273_1563:
	s_delay_alu instid0(SALU_CYCLE_1)
	s_and_not1_b32 vcc_lo, exec_lo, s6
	s_cbranch_vccnz .LBB273_1571
; %bb.1564:
	global_load_u8 v6, v[4:5], off
	s_mov_b32 s6, 0
	s_mov_b32 s10, exec_lo
                                        ; implicit-def: $sgpr7
	s_waitcnt vmcnt(0)
	v_cmpx_lt_i16_e32 0x7f, v6
	s_xor_b32 s10, exec_lo, s10
	s_cbranch_execz .LBB273_1585
; %bb.1565:
	s_mov_b32 s6, -1
	s_mov_b32 s11, exec_lo
                                        ; implicit-def: $sgpr7
	v_cmpx_eq_u16_e32 0x80, v6
; %bb.1566:
	s_mov_b32 s7, 0x7f800001
	s_xor_b32 s6, exec_lo, -1
; %bb.1567:
	s_or_b32 exec_lo, exec_lo, s11
	s_delay_alu instid0(SALU_CYCLE_1)
	s_and_b32 s6, s6, exec_lo
	s_or_saveexec_b32 s10, s10
	v_mov_b32_e32 v11, s7
	s_xor_b32 exec_lo, exec_lo, s10
	s_cbranch_execnz .LBB273_1586
.LBB273_1568:
	s_or_b32 exec_lo, exec_lo, s10
	s_and_saveexec_b32 s7, s6
	s_cbranch_execz .LBB273_1570
.LBB273_1569:
	v_and_b32_e32 v11, 0xffff, v6
	v_lshlrev_b32_e32 v6, 24, v6
	s_delay_alu instid0(VALU_DEP_2) | instskip(NEXT) | instid1(VALU_DEP_2)
	v_and_b32_e32 v12, 7, v11
	v_and_b32_e32 v6, 0x80000000, v6
	s_delay_alu instid0(VALU_DEP_2) | instskip(NEXT) | instid1(VALU_DEP_1)
	v_clz_i32_u32_e32 v13, v12
	v_min_u32_e32 v13, 32, v13
	s_delay_alu instid0(VALU_DEP_1) | instskip(SKIP_1) | instid1(VALU_DEP_2)
	v_subrev_nc_u32_e32 v14, 28, v13
	v_sub_nc_u32_e32 v13, 29, v13
	v_lshlrev_b32_e32 v14, v14, v11
	v_bfe_u32 v11, v11, 3, 4
	s_delay_alu instid0(VALU_DEP_2) | instskip(NEXT) | instid1(VALU_DEP_2)
	v_and_b32_e32 v14, 7, v14
	v_cmp_eq_u32_e32 vcc_lo, 0, v11
	s_delay_alu instid0(VALU_DEP_2) | instskip(NEXT) | instid1(VALU_DEP_1)
	v_dual_cndmask_b32 v11, v11, v13 :: v_dual_cndmask_b32 v12, v12, v14
	v_lshl_add_u32 v11, v11, 23, 0x3b800000
	s_delay_alu instid0(VALU_DEP_2) | instskip(NEXT) | instid1(VALU_DEP_1)
	v_lshlrev_b32_e32 v12, 20, v12
	v_or3_b32 v11, v6, v11, v12
.LBB273_1570:
	s_or_b32 exec_lo, exec_lo, s7
	s_delay_alu instid0(VALU_DEP_1) | instskip(SKIP_1) | instid1(VALU_DEP_2)
	v_bfe_u32 v6, v11, 16, 1
	v_cmp_o_f32_e32 vcc_lo, v11, v11
	v_add3_u32 v6, v11, v6, 0x7fff
	s_delay_alu instid0(VALU_DEP_1) | instskip(NEXT) | instid1(VALU_DEP_1)
	v_lshrrev_b32_e32 v6, 16, v6
	v_cndmask_b32_e32 v11, 0x7fc0, v6, vcc_lo
.LBB273_1571:
	s_mov_b32 s6, -1
.LBB273_1572:
	s_mov_b32 s7, 0
.LBB273_1573:
	s_delay_alu instid0(SALU_CYCLE_1)
	s_and_b32 vcc_lo, exec_lo, s7
	s_cbranch_vccz .LBB273_1606
; %bb.1574:
	v_cmp_lt_i16_e32 vcc_lo, 22, v9
	s_cbranch_vccz .LBB273_1584
; %bb.1575:
	v_cmp_gt_i16_e32 vcc_lo, 24, v9
	s_cbranch_vccnz .LBB273_1587
; %bb.1576:
	v_cmp_lt_i16_e32 vcc_lo, 24, v9
	s_cbranch_vccz .LBB273_1588
; %bb.1577:
	global_load_u8 v6, v[4:5], off
	s_mov_b32 s7, exec_lo
                                        ; implicit-def: $sgpr6
	s_waitcnt vmcnt(0)
	v_cmpx_lt_i16_e32 0x7f, v6
	s_xor_b32 s7, exec_lo, s7
	s_cbranch_execz .LBB273_1600
; %bb.1578:
	s_mov_b32 s3, -1
	s_mov_b32 s10, exec_lo
                                        ; implicit-def: $sgpr6
	v_cmpx_eq_u16_e32 0x80, v6
; %bb.1579:
	s_mov_b32 s6, 0x7f800001
	s_xor_b32 s3, exec_lo, -1
; %bb.1580:
	s_or_b32 exec_lo, exec_lo, s10
	s_delay_alu instid0(SALU_CYCLE_1)
	s_and_b32 s3, s3, exec_lo
	s_or_saveexec_b32 s7, s7
	v_mov_b32_e32 v11, s6
	s_xor_b32 exec_lo, exec_lo, s7
	s_cbranch_execnz .LBB273_1601
.LBB273_1581:
	s_or_b32 exec_lo, exec_lo, s7
	s_and_saveexec_b32 s6, s3
	s_cbranch_execz .LBB273_1583
.LBB273_1582:
	v_and_b32_e32 v11, 0xffff, v6
	v_lshlrev_b32_e32 v6, 24, v6
	s_delay_alu instid0(VALU_DEP_2) | instskip(NEXT) | instid1(VALU_DEP_2)
	v_and_b32_e32 v12, 3, v11
	v_and_b32_e32 v6, 0x80000000, v6
	s_delay_alu instid0(VALU_DEP_2) | instskip(NEXT) | instid1(VALU_DEP_1)
	v_clz_i32_u32_e32 v13, v12
	v_min_u32_e32 v13, 32, v13
	s_delay_alu instid0(VALU_DEP_1) | instskip(SKIP_1) | instid1(VALU_DEP_2)
	v_subrev_nc_u32_e32 v14, 29, v13
	v_sub_nc_u32_e32 v13, 30, v13
	v_lshlrev_b32_e32 v14, v14, v11
	v_bfe_u32 v11, v11, 2, 5
	s_delay_alu instid0(VALU_DEP_2) | instskip(NEXT) | instid1(VALU_DEP_2)
	v_and_b32_e32 v14, 3, v14
	v_cmp_eq_u32_e32 vcc_lo, 0, v11
	s_delay_alu instid0(VALU_DEP_2) | instskip(NEXT) | instid1(VALU_DEP_1)
	v_dual_cndmask_b32 v11, v11, v13 :: v_dual_cndmask_b32 v12, v12, v14
	v_lshl_add_u32 v11, v11, 23, 0x37800000
	s_delay_alu instid0(VALU_DEP_2) | instskip(NEXT) | instid1(VALU_DEP_1)
	v_lshlrev_b32_e32 v12, 21, v12
	v_or3_b32 v11, v6, v11, v12
.LBB273_1583:
	s_or_b32 exec_lo, exec_lo, s6
	s_delay_alu instid0(VALU_DEP_1) | instskip(SKIP_2) | instid1(VALU_DEP_2)
	v_bfe_u32 v6, v11, 16, 1
	v_cmp_o_f32_e32 vcc_lo, v11, v11
	s_mov_b32 s3, 0
	v_add3_u32 v6, v11, v6, 0x7fff
	s_delay_alu instid0(VALU_DEP_1) | instskip(NEXT) | instid1(VALU_DEP_1)
	v_lshrrev_b32_e32 v6, 16, v6
	v_cndmask_b32_e32 v11, 0x7fc0, v6, vcc_lo
	s_branch .LBB273_1589
.LBB273_1584:
	s_mov_b32 s3, -1
                                        ; implicit-def: $vgpr11
	s_branch .LBB273_1595
.LBB273_1585:
	s_or_saveexec_b32 s10, s10
	v_mov_b32_e32 v11, s7
	s_xor_b32 exec_lo, exec_lo, s10
	s_cbranch_execz .LBB273_1568
.LBB273_1586:
	v_cmp_ne_u16_e32 vcc_lo, 0, v6
	v_mov_b32_e32 v11, 0
	s_and_not1_b32 s6, s6, exec_lo
	s_and_b32 s7, vcc_lo, exec_lo
	s_delay_alu instid0(SALU_CYCLE_1)
	s_or_b32 s6, s6, s7
	s_or_b32 exec_lo, exec_lo, s10
	s_and_saveexec_b32 s7, s6
	s_cbranch_execnz .LBB273_1569
	s_branch .LBB273_1570
.LBB273_1587:
	s_mov_b32 s3, -1
                                        ; implicit-def: $vgpr11
	s_branch .LBB273_1592
.LBB273_1588:
	s_mov_b32 s3, -1
                                        ; implicit-def: $vgpr11
.LBB273_1589:
	s_delay_alu instid0(SALU_CYCLE_1)
	s_and_b32 vcc_lo, exec_lo, s3
	s_cbranch_vccz .LBB273_1591
; %bb.1590:
	global_load_u8 v6, v[4:5], off
	s_waitcnt vmcnt(0)
	v_lshlrev_b32_e32 v6, 24, v6
	s_delay_alu instid0(VALU_DEP_1) | instskip(NEXT) | instid1(VALU_DEP_1)
	v_and_b32_e32 v11, 0x7f000000, v6
	v_clz_i32_u32_e32 v12, v11
	v_add_nc_u32_e32 v14, 0x1000000, v11
	v_cmp_ne_u32_e32 vcc_lo, 0, v11
	s_delay_alu instid0(VALU_DEP_3) | instskip(NEXT) | instid1(VALU_DEP_1)
	v_min_u32_e32 v12, 32, v12
	v_sub_nc_u32_e64 v12, v12, 4 clamp
	s_delay_alu instid0(VALU_DEP_1) | instskip(SKIP_1) | instid1(VALU_DEP_2)
	v_lshlrev_b32_e32 v13, v12, v11
	v_lshlrev_b32_e32 v12, 23, v12
	v_lshrrev_b32_e32 v13, 4, v13
	s_delay_alu instid0(VALU_DEP_1) | instskip(SKIP_1) | instid1(VALU_DEP_2)
	v_sub_nc_u32_e32 v12, v13, v12
	v_ashrrev_i32_e32 v13, 8, v14
	v_add_nc_u32_e32 v12, 0x3c000000, v12
	s_delay_alu instid0(VALU_DEP_1) | instskip(NEXT) | instid1(VALU_DEP_1)
	v_and_or_b32 v12, 0x7f800000, v13, v12
	v_cndmask_b32_e32 v11, 0, v12, vcc_lo
	s_delay_alu instid0(VALU_DEP_1) | instskip(SKIP_1) | instid1(VALU_DEP_2)
	v_and_or_b32 v6, 0x80000000, v6, v11
	v_bfe_u32 v11, v11, 16, 1
	v_cmp_o_f32_e32 vcc_lo, v6, v6
	s_delay_alu instid0(VALU_DEP_2) | instskip(NEXT) | instid1(VALU_DEP_1)
	v_add3_u32 v11, v6, v11, 0x7fff
	v_lshrrev_b32_e32 v11, 16, v11
	s_delay_alu instid0(VALU_DEP_1)
	v_cndmask_b32_e32 v11, 0x7fc0, v11, vcc_lo
.LBB273_1591:
	s_mov_b32 s3, 0
.LBB273_1592:
	s_delay_alu instid0(SALU_CYCLE_1)
	s_and_not1_b32 vcc_lo, exec_lo, s3
	s_cbranch_vccnz .LBB273_1594
; %bb.1593:
	global_load_u8 v6, v[4:5], off
	s_waitcnt vmcnt(0)
	v_lshlrev_b32_e32 v11, 25, v6
	v_lshlrev_b16 v6, 8, v6
	s_delay_alu instid0(VALU_DEP_2) | instskip(NEXT) | instid1(VALU_DEP_2)
	v_lshrrev_b32_e32 v12, 4, v11
	v_and_or_b32 v13, 0x7f00, v6, 0.5
	v_bfe_i32 v6, v6, 0, 16
	s_delay_alu instid0(VALU_DEP_3) | instskip(NEXT) | instid1(VALU_DEP_1)
	v_or_b32_e32 v12, 0x70000000, v12
	v_dual_add_f32 v13, -0.5, v13 :: v_dual_mul_f32 v12, 0x7800000, v12
	v_cmp_gt_u32_e32 vcc_lo, 0x8000000, v11
	s_delay_alu instid0(VALU_DEP_2) | instskip(NEXT) | instid1(VALU_DEP_1)
	v_cndmask_b32_e32 v11, v12, v13, vcc_lo
	v_and_or_b32 v6, 0x80000000, v6, v11
	v_bfe_u32 v11, v11, 16, 1
	s_delay_alu instid0(VALU_DEP_2) | instskip(NEXT) | instid1(VALU_DEP_2)
	v_cmp_o_f32_e32 vcc_lo, v6, v6
	v_add3_u32 v11, v6, v11, 0x7fff
	s_delay_alu instid0(VALU_DEP_1) | instskip(NEXT) | instid1(VALU_DEP_1)
	v_lshrrev_b32_e32 v11, 16, v11
	v_cndmask_b32_e32 v11, 0x7fc0, v11, vcc_lo
.LBB273_1594:
	s_mov_b32 s3, 0
	s_mov_b32 s6, -1
.LBB273_1595:
	s_and_not1_b32 vcc_lo, exec_lo, s3
	s_mov_b32 s3, 0
	s_cbranch_vccnz .LBB273_1606
; %bb.1596:
	v_cmp_lt_i16_e32 vcc_lo, 14, v9
	s_cbranch_vccz .LBB273_1599
; %bb.1597:
	v_cmp_eq_u16_e32 vcc_lo, 15, v9
	s_cbranch_vccz .LBB273_1602
; %bb.1598:
	global_load_u16 v11, v[4:5], off
	s_mov_b32 s0, 0
	s_mov_b32 s6, -1
	s_branch .LBB273_1604
.LBB273_1599:
	s_mov_b32 s3, -1
	s_branch .LBB273_1603
.LBB273_1600:
	s_or_saveexec_b32 s7, s7
	v_mov_b32_e32 v11, s6
	s_xor_b32 exec_lo, exec_lo, s7
	s_cbranch_execz .LBB273_1581
.LBB273_1601:
	v_cmp_ne_u16_e32 vcc_lo, 0, v6
	v_mov_b32_e32 v11, 0
	s_and_not1_b32 s3, s3, exec_lo
	s_and_b32 s6, vcc_lo, exec_lo
	s_delay_alu instid0(SALU_CYCLE_1)
	s_or_b32 s3, s3, s6
	s_or_b32 exec_lo, exec_lo, s7
	s_and_saveexec_b32 s6, s3
	s_cbranch_execnz .LBB273_1582
	s_branch .LBB273_1583
.LBB273_1602:
	s_mov_b32 s0, -1
.LBB273_1603:
                                        ; implicit-def: $vgpr11
.LBB273_1604:
	s_and_b32 vcc_lo, exec_lo, s3
	s_mov_b32 s3, 0
	s_cbranch_vccz .LBB273_1606
; %bb.1605:
	v_cmp_ne_u16_e64 s0, 11, v9
	s_mov_b32 s3, -1
                                        ; implicit-def: $vgpr11
.LBB273_1606:
	s_delay_alu instid0(VALU_DEP_1)
	s_and_b32 vcc_lo, exec_lo, s0
	s_cbranch_vccnz .LBB273_2135
; %bb.1607:
	s_and_not1_b32 vcc_lo, exec_lo, s3
	s_cbranch_vccnz .LBB273_1609
.LBB273_1608:
	global_load_u8 v6, v[4:5], off
	s_mov_b32 s6, -1
	s_waitcnt vmcnt(0)
	v_cmp_ne_u16_e32 vcc_lo, 0, v6
	v_cndmask_b32_e64 v6, 0, 1.0, vcc_lo
	s_delay_alu instid0(VALU_DEP_1)
	v_lshrrev_b32_e32 v11, 16, v6
.LBB273_1609:
	s_mov_b32 s0, 0
.LBB273_1610:
	s_delay_alu instid0(SALU_CYCLE_1)
	s_and_b32 vcc_lo, exec_lo, s0
	s_cbranch_vccz .LBB273_1659
; %bb.1611:
	v_cmp_gt_i16_e32 vcc_lo, 5, v9
	s_cbranch_vccnz .LBB273_1616
; %bb.1612:
	v_cmp_gt_i16_e32 vcc_lo, 8, v9
	s_cbranch_vccnz .LBB273_1617
	;; [unrolled: 3-line block ×3, first 2 shown]
; %bb.1614:
	v_cmp_lt_i16_e32 vcc_lo, 9, v9
	s_cbranch_vccz .LBB273_1619
; %bb.1615:
	global_load_b64 v[11:12], v[4:5], off
	s_mov_b32 s0, 0
	s_waitcnt vmcnt(0)
	v_cvt_f32_f64_e32 v6, v[11:12]
	s_delay_alu instid0(VALU_DEP_1) | instskip(SKIP_1) | instid1(VALU_DEP_2)
	v_bfe_u32 v11, v6, 16, 1
	v_cmp_o_f32_e32 vcc_lo, v6, v6
	v_add3_u32 v11, v6, v11, 0x7fff
	s_delay_alu instid0(VALU_DEP_1) | instskip(NEXT) | instid1(VALU_DEP_1)
	v_lshrrev_b32_e32 v11, 16, v11
	v_cndmask_b32_e32 v11, 0x7fc0, v11, vcc_lo
	s_branch .LBB273_1620
.LBB273_1616:
	s_mov_b32 s0, -1
                                        ; implicit-def: $vgpr11
	s_branch .LBB273_1638
.LBB273_1617:
	s_mov_b32 s0, -1
                                        ; implicit-def: $vgpr11
	s_branch .LBB273_1626
.LBB273_1618:
	s_mov_b32 s0, -1
                                        ; implicit-def: $vgpr11
	s_branch .LBB273_1623
.LBB273_1619:
	s_mov_b32 s0, -1
                                        ; implicit-def: $vgpr11
.LBB273_1620:
	s_delay_alu instid0(SALU_CYCLE_1)
	s_and_not1_b32 vcc_lo, exec_lo, s0
	s_cbranch_vccnz .LBB273_1622
; %bb.1621:
	global_load_b32 v6, v[4:5], off
	s_waitcnt vmcnt(0)
	v_bfe_u32 v11, v6, 16, 1
	v_cmp_o_f32_e32 vcc_lo, v6, v6
	s_delay_alu instid0(VALU_DEP_2) | instskip(NEXT) | instid1(VALU_DEP_1)
	v_add3_u32 v11, v6, v11, 0x7fff
	v_lshrrev_b32_e32 v11, 16, v11
	s_delay_alu instid0(VALU_DEP_1)
	v_cndmask_b32_e32 v11, 0x7fc0, v11, vcc_lo
.LBB273_1622:
	s_mov_b32 s0, 0
.LBB273_1623:
	s_delay_alu instid0(SALU_CYCLE_1)
	s_and_not1_b32 vcc_lo, exec_lo, s0
	s_cbranch_vccnz .LBB273_1625
; %bb.1624:
	global_load_b32 v6, v[4:5], off
	s_waitcnt vmcnt(0)
	v_cvt_f32_f16_e32 v11, v6
	v_cmp_o_f16_e32 vcc_lo, v6, v6
	s_delay_alu instid0(VALU_DEP_2) | instskip(NEXT) | instid1(VALU_DEP_1)
	v_bfe_u32 v12, v11, 16, 1
	v_add3_u32 v11, v11, v12, 0x7fff
	s_delay_alu instid0(VALU_DEP_1) | instskip(NEXT) | instid1(VALU_DEP_1)
	v_lshrrev_b32_e32 v11, 16, v11
	v_cndmask_b32_e32 v11, 0x7fc0, v11, vcc_lo
.LBB273_1625:
	s_mov_b32 s0, 0
.LBB273_1626:
	s_delay_alu instid0(SALU_CYCLE_1)
	s_and_not1_b32 vcc_lo, exec_lo, s0
	s_cbranch_vccnz .LBB273_1637
; %bb.1627:
	v_cmp_gt_i16_e32 vcc_lo, 6, v9
	s_cbranch_vccnz .LBB273_1630
; %bb.1628:
	v_cmp_lt_i16_e32 vcc_lo, 6, v9
	s_cbranch_vccz .LBB273_1631
; %bb.1629:
	global_load_b64 v[11:12], v[4:5], off
	s_mov_b32 s0, 0
	s_waitcnt vmcnt(0)
	v_cvt_f32_f64_e32 v6, v[11:12]
	s_delay_alu instid0(VALU_DEP_1) | instskip(SKIP_1) | instid1(VALU_DEP_2)
	v_bfe_u32 v11, v6, 16, 1
	v_cmp_o_f32_e32 vcc_lo, v6, v6
	v_add3_u32 v11, v6, v11, 0x7fff
	s_delay_alu instid0(VALU_DEP_1) | instskip(NEXT) | instid1(VALU_DEP_1)
	v_lshrrev_b32_e32 v11, 16, v11
	v_cndmask_b32_e32 v11, 0x7fc0, v11, vcc_lo
	s_branch .LBB273_1632
.LBB273_1630:
	s_mov_b32 s0, -1
                                        ; implicit-def: $vgpr11
	s_branch .LBB273_1635
.LBB273_1631:
	s_mov_b32 s0, -1
                                        ; implicit-def: $vgpr11
.LBB273_1632:
	s_delay_alu instid0(SALU_CYCLE_1)
	s_and_not1_b32 vcc_lo, exec_lo, s0
	s_cbranch_vccnz .LBB273_1634
; %bb.1633:
	global_load_b32 v6, v[4:5], off
	s_waitcnt vmcnt(0)
	v_bfe_u32 v11, v6, 16, 1
	v_cmp_o_f32_e32 vcc_lo, v6, v6
	s_delay_alu instid0(VALU_DEP_2) | instskip(NEXT) | instid1(VALU_DEP_1)
	v_add3_u32 v11, v6, v11, 0x7fff
	v_lshrrev_b32_e32 v11, 16, v11
	s_delay_alu instid0(VALU_DEP_1)
	v_cndmask_b32_e32 v11, 0x7fc0, v11, vcc_lo
.LBB273_1634:
	s_mov_b32 s0, 0
.LBB273_1635:
	s_delay_alu instid0(SALU_CYCLE_1)
	s_and_not1_b32 vcc_lo, exec_lo, s0
	s_cbranch_vccnz .LBB273_1637
; %bb.1636:
	global_load_u16 v6, v[4:5], off
	s_waitcnt vmcnt(0)
	v_cvt_f32_f16_e32 v11, v6
	v_cmp_o_f16_e32 vcc_lo, v6, v6
	s_delay_alu instid0(VALU_DEP_2) | instskip(NEXT) | instid1(VALU_DEP_1)
	v_bfe_u32 v12, v11, 16, 1
	v_add3_u32 v11, v11, v12, 0x7fff
	s_delay_alu instid0(VALU_DEP_1) | instskip(NEXT) | instid1(VALU_DEP_1)
	v_lshrrev_b32_e32 v11, 16, v11
	v_cndmask_b32_e32 v11, 0x7fc0, v11, vcc_lo
.LBB273_1637:
	s_mov_b32 s0, 0
.LBB273_1638:
	s_delay_alu instid0(SALU_CYCLE_1)
	s_and_not1_b32 vcc_lo, exec_lo, s0
	s_cbranch_vccnz .LBB273_1658
; %bb.1639:
	v_cmp_gt_i16_e32 vcc_lo, 2, v9
	s_cbranch_vccnz .LBB273_1643
; %bb.1640:
	v_cmp_gt_i16_e32 vcc_lo, 3, v9
	s_cbranch_vccnz .LBB273_1644
; %bb.1641:
	v_cmp_lt_i16_e32 vcc_lo, 3, v9
	s_cbranch_vccz .LBB273_1645
; %bb.1642:
	global_load_b64 v[11:12], v[4:5], off
	s_mov_b32 s0, 0
	s_waitcnt vmcnt(0)
	v_xor_b32_e32 v6, v11, v12
	v_cls_i32_e32 v13, v12
	s_delay_alu instid0(VALU_DEP_2) | instskip(NEXT) | instid1(VALU_DEP_2)
	v_ashrrev_i32_e32 v6, 31, v6
	v_add_nc_u32_e32 v13, -1, v13
	s_delay_alu instid0(VALU_DEP_2) | instskip(NEXT) | instid1(VALU_DEP_1)
	v_add_nc_u32_e32 v6, 32, v6
	v_min_u32_e32 v6, v13, v6
	s_delay_alu instid0(VALU_DEP_1) | instskip(SKIP_1) | instid1(VALU_DEP_2)
	v_lshlrev_b64 v[11:12], v6, v[11:12]
	v_sub_nc_u32_e32 v6, 32, v6
	v_min_u32_e32 v11, 1, v11
	s_delay_alu instid0(VALU_DEP_1) | instskip(NEXT) | instid1(VALU_DEP_1)
	v_or_b32_e32 v11, v12, v11
	v_cvt_f32_i32_e32 v11, v11
	s_delay_alu instid0(VALU_DEP_1) | instskip(NEXT) | instid1(VALU_DEP_1)
	v_ldexp_f32 v6, v11, v6
	v_bfe_u32 v11, v6, 16, 1
	s_delay_alu instid0(VALU_DEP_1) | instskip(NEXT) | instid1(VALU_DEP_1)
	v_add3_u32 v6, v6, v11, 0x7fff
	v_lshrrev_b32_e32 v11, 16, v6
	s_branch .LBB273_1646
.LBB273_1643:
	s_mov_b32 s0, -1
                                        ; implicit-def: $vgpr11
	s_branch .LBB273_1652
.LBB273_1644:
	s_mov_b32 s0, -1
                                        ; implicit-def: $vgpr11
	s_branch .LBB273_1649
.LBB273_1645:
	s_mov_b32 s0, -1
                                        ; implicit-def: $vgpr11
.LBB273_1646:
	s_delay_alu instid0(SALU_CYCLE_1)
	s_and_not1_b32 vcc_lo, exec_lo, s0
	s_cbranch_vccnz .LBB273_1648
; %bb.1647:
	global_load_b32 v6, v[4:5], off
	s_waitcnt vmcnt(0)
	v_cvt_f32_i32_e32 v6, v6
	s_delay_alu instid0(VALU_DEP_1) | instskip(NEXT) | instid1(VALU_DEP_1)
	v_bfe_u32 v11, v6, 16, 1
	v_add3_u32 v6, v6, v11, 0x7fff
	s_delay_alu instid0(VALU_DEP_1)
	v_lshrrev_b32_e32 v11, 16, v6
.LBB273_1648:
	s_mov_b32 s0, 0
.LBB273_1649:
	s_delay_alu instid0(SALU_CYCLE_1)
	s_and_not1_b32 vcc_lo, exec_lo, s0
	s_cbranch_vccnz .LBB273_1651
; %bb.1650:
	global_load_i16 v6, v[4:5], off
	s_waitcnt vmcnt(0)
	v_cvt_f32_i32_e32 v6, v6
	s_delay_alu instid0(VALU_DEP_1) | instskip(NEXT) | instid1(VALU_DEP_1)
	v_bfe_u32 v11, v6, 16, 1
	v_add3_u32 v6, v6, v11, 0x7fff
	s_delay_alu instid0(VALU_DEP_1)
	v_lshrrev_b32_e32 v11, 16, v6
.LBB273_1651:
	s_mov_b32 s0, 0
.LBB273_1652:
	s_delay_alu instid0(SALU_CYCLE_1)
	s_and_not1_b32 vcc_lo, exec_lo, s0
	s_cbranch_vccnz .LBB273_1658
; %bb.1653:
	v_cmp_lt_i16_e32 vcc_lo, 0, v9
	s_mov_b32 s0, 0
	s_cbranch_vccz .LBB273_1655
; %bb.1654:
	global_load_i8 v6, v[4:5], off
	s_waitcnt vmcnt(0)
	v_cvt_f32_i32_e32 v6, v6
	s_delay_alu instid0(VALU_DEP_1) | instskip(NEXT) | instid1(VALU_DEP_1)
	v_bfe_u32 v9, v6, 16, 1
	v_add3_u32 v6, v6, v9, 0x7fff
	s_delay_alu instid0(VALU_DEP_1)
	v_lshrrev_b32_e32 v11, 16, v6
	s_branch .LBB273_1656
.LBB273_1655:
	s_mov_b32 s0, -1
                                        ; implicit-def: $vgpr11
.LBB273_1656:
	s_delay_alu instid0(SALU_CYCLE_1)
	s_and_not1_b32 vcc_lo, exec_lo, s0
	s_cbranch_vccnz .LBB273_1658
; %bb.1657:
	global_load_u8 v4, v[4:5], off
	s_waitcnt vmcnt(0)
	v_cvt_f32_ubyte0_e32 v4, v4
	s_delay_alu instid0(VALU_DEP_1) | instskip(NEXT) | instid1(VALU_DEP_1)
	v_bfe_u32 v5, v4, 16, 1
	v_add3_u32 v4, v4, v5, 0x7fff
	s_delay_alu instid0(VALU_DEP_1)
	v_lshrrev_b32_e32 v11, 16, v4
.LBB273_1658:
	s_mov_b32 s6, -1
.LBB273_1659:
	s_delay_alu instid0(SALU_CYCLE_1)
	s_and_not1_b32 vcc_lo, exec_lo, s6
	s_cbranch_vccnz .LBB273_2090
; %bb.1660:
	v_lshlrev_b32_e32 v4, 16, v10
	s_mov_b32 s3, 0
	s_delay_alu instid0(VALU_DEP_1) | instskip(SKIP_1) | instid1(VALU_DEP_2)
	v_mul_f32_e32 v5, 0x4f800000, v4
	v_cmp_gt_f32_e32 vcc_lo, 0xf800000, v4
	v_cndmask_b32_e32 v4, v4, v5, vcc_lo
	s_delay_alu instid0(VALU_DEP_1) | instskip(SKIP_3) | instid1(VALU_DEP_2)
	v_sqrt_f32_e32 v5, v4
	s_waitcnt_depctr 0xfff
	v_add_nc_u32_e32 v6, -1, v5
	v_add_nc_u32_e32 v9, 1, v5
	v_fma_f32 v10, -v6, v5, v4
	s_delay_alu instid0(VALU_DEP_2) | instskip(NEXT) | instid1(VALU_DEP_2)
	v_fma_f32 v12, -v9, v5, v4
	v_cmp_ge_f32_e64 s0, 0, v10
	s_delay_alu instid0(VALU_DEP_1) | instskip(NEXT) | instid1(VALU_DEP_3)
	v_cndmask_b32_e64 v5, v5, v6, s0
	v_cmp_lt_f32_e64 s0, 0, v12
	s_delay_alu instid0(VALU_DEP_1) | instskip(SKIP_2) | instid1(VALU_DEP_1)
	v_cndmask_b32_e64 v5, v5, v9, s0
	s_lshr_b32 s0, s2, 8
	s_mov_b32 s2, -1
	v_mul_f32_e32 v6, 0x37800000, v5
	s_delay_alu instid0(VALU_DEP_1) | instskip(SKIP_3) | instid1(VALU_DEP_4)
	v_cndmask_b32_e32 v5, v5, v6, vcc_lo
	v_cmp_class_f32_e64 vcc_lo, v4, 0x260
	v_and_b32_e64 v6, 0xff, s0
	v_add_co_u32 v3, s0, s4, v3
	v_cndmask_b32_e32 v5, v5, v4, vcc_lo
	s_delay_alu instid0(VALU_DEP_3) | instskip(NEXT) | instid1(VALU_DEP_2)
	v_cmp_gt_i16_e32 vcc_lo, 11, v6
	v_bfe_u32 v4, v5, 16, 1
	s_and_b32 vcc_lo, exec_lo, vcc_lo
	s_delay_alu instid0(VALU_DEP_1) | instskip(NEXT) | instid1(VALU_DEP_1)
	v_add3_u32 v4, v5, v4, 0x7fff
	v_lshrrev_b32_e32 v9, 16, v4
	v_add_co_ci_u32_e64 v4, null, s5, 0, s0
	v_cmp_o_f32_e64 s0, v5, v5
	s_delay_alu instid0(VALU_DEP_1)
	v_cndmask_b32_e64 v5, 0x7fc0, v9, s0
	s_cbranch_vccnz .LBB273_1738
; %bb.1661:
	v_cmp_lt_i16_e32 vcc_lo, 25, v6
	s_mov_b32 s6, -1
	s_mov_b32 s2, 0
	s_mov_b32 s0, 0
	s_cbranch_vccz .LBB273_1694
; %bb.1662:
	v_cmp_lt_i16_e32 vcc_lo, 28, v6
	s_cbranch_vccz .LBB273_1677
; %bb.1663:
	v_cmp_lt_i16_e32 vcc_lo, 43, v6
	;; [unrolled: 3-line block ×3, first 2 shown]
	s_cbranch_vccz .LBB273_1667
; %bb.1665:
	v_cmp_eq_u16_e32 vcc_lo, 46, v6
	s_mov_b32 s0, -1
	s_mov_b32 s6, 0
	s_cbranch_vccz .LBB273_1667
; %bb.1666:
	v_and_b32_e32 v9, 0xffff, v5
	s_mov_b32 s0, 0
	s_mov_b32 s3, -1
	global_store_b32 v[3:4], v9, off
.LBB273_1667:
	s_and_b32 vcc_lo, exec_lo, s6
	s_cbranch_vccz .LBB273_1672
; %bb.1668:
	v_cmp_eq_u16_e32 vcc_lo, 44, v6
	s_mov_b32 s0, -1
	s_cbranch_vccz .LBB273_1672
; %bb.1669:
	v_and_b32_e32 v9, 0xffff, v5
	v_mov_b32_e32 v10, 0xff
	s_mov_b32 s3, exec_lo
	s_delay_alu instid0(VALU_DEP_2) | instskip(NEXT) | instid1(VALU_DEP_1)
	v_bfe_u32 v12, v9, 7, 8
	v_cmpx_ne_u32_e32 0xff, v12
; %bb.1670:
	v_lshlrev_b32_e32 v10, 16, v9
	v_and_b32_e32 v13, 64, v9
	v_lshrrev_b32_e32 v9, 7, v9
	s_delay_alu instid0(VALU_DEP_3) | instskip(NEXT) | instid1(VALU_DEP_3)
	v_and_or_b32 v10, 0x3f0000, v10, v12
	v_cmp_ne_u32_e32 vcc_lo, 0, v13
	s_delay_alu instid0(VALU_DEP_2) | instskip(NEXT) | instid1(VALU_DEP_1)
	v_cmp_ne_u32_e64 s0, 0, v10
	s_and_b32 s0, vcc_lo, s0
	s_delay_alu instid0(SALU_CYCLE_1) | instskip(NEXT) | instid1(VALU_DEP_1)
	v_cndmask_b32_e64 v10, 0, 1, s0
	v_add_nc_u32_e32 v10, v9, v10
; %bb.1671:
	s_or_b32 exec_lo, exec_lo, s3
	s_mov_b32 s0, 0
	s_mov_b32 s3, -1
	global_store_b8 v[3:4], v10, off
.LBB273_1672:
	s_mov_b32 s6, 0
.LBB273_1673:
	s_delay_alu instid0(SALU_CYCLE_1)
	s_and_b32 vcc_lo, exec_lo, s6
	s_cbranch_vccz .LBB273_1676
; %bb.1674:
	v_cmp_eq_u16_e32 vcc_lo, 29, v6
	s_mov_b32 s0, -1
	s_cbranch_vccz .LBB273_1676
; %bb.1675:
	v_lshlrev_b32_e32 v9, 16, v5
	s_mov_b32 s0, 0
	s_mov_b32 s3, -1
	s_delay_alu instid0(VALU_DEP_1) | instskip(NEXT) | instid1(VALU_DEP_1)
	v_trunc_f32_e32 v9, v9
	v_mul_f32_e32 v10, 0x2f800000, v9
	s_delay_alu instid0(VALU_DEP_1) | instskip(NEXT) | instid1(VALU_DEP_1)
	v_floor_f32_e32 v10, v10
	v_fmamk_f32 v9, v10, 0xcf800000, v9
	v_cvt_u32_f32_e32 v10, v10
	s_delay_alu instid0(VALU_DEP_2)
	v_cvt_u32_f32_e32 v9, v9
	global_store_b64 v[3:4], v[9:10], off
.LBB273_1676:
	s_mov_b32 s6, 0
.LBB273_1677:
	s_delay_alu instid0(SALU_CYCLE_1)
	s_and_b32 vcc_lo, exec_lo, s6
	s_cbranch_vccz .LBB273_1693
; %bb.1678:
	v_cmp_gt_i16_e32 vcc_lo, 27, v6
	s_mov_b32 s3, -1
	s_cbranch_vccnz .LBB273_1684
; %bb.1679:
	v_cmp_lt_i16_e32 vcc_lo, 27, v6
	s_cbranch_vccz .LBB273_1681
; %bb.1680:
	v_lshlrev_b32_e32 v9, 16, v5
	s_mov_b32 s3, 0
	s_delay_alu instid0(VALU_DEP_1)
	v_cvt_u32_f32_e32 v9, v9
	global_store_b32 v[3:4], v9, off
.LBB273_1681:
	s_and_not1_b32 vcc_lo, exec_lo, s3
	s_cbranch_vccnz .LBB273_1683
; %bb.1682:
	v_lshlrev_b32_e32 v9, 16, v5
	s_delay_alu instid0(VALU_DEP_1)
	v_cvt_u32_f32_e32 v9, v9
	global_store_b16 v[3:4], v9, off
.LBB273_1683:
	s_mov_b32 s3, 0
.LBB273_1684:
	s_delay_alu instid0(SALU_CYCLE_1)
	s_and_not1_b32 vcc_lo, exec_lo, s3
	s_cbranch_vccnz .LBB273_1692
; %bb.1685:
	v_dual_mov_b32 v13, 0x80 :: v_dual_lshlrev_b32 v12, 16, v5
	s_mov_b32 s3, exec_lo
	s_delay_alu instid0(VALU_DEP_1) | instskip(NEXT) | instid1(VALU_DEP_1)
	v_and_b32_e32 v10, 0x7fffffff, v12
	v_cmpx_gt_u32_e32 0x43800000, v10
	s_cbranch_execz .LBB273_1691
; %bb.1686:
	v_and_b32_e32 v9, 0xffff, v5
	v_cmp_lt_u32_e32 vcc_lo, 0x3bffffff, v10
	s_mov_b32 s6, 0
                                        ; implicit-def: $vgpr10
	s_and_saveexec_b32 s7, vcc_lo
	s_delay_alu instid0(SALU_CYCLE_1)
	s_xor_b32 s7, exec_lo, s7
	s_cbranch_execz .LBB273_2137
; %bb.1687:
	v_bfe_u32 v10, v9, 4, 1
	s_mov_b32 s6, exec_lo
	s_delay_alu instid0(VALU_DEP_1) | instskip(NEXT) | instid1(VALU_DEP_1)
	v_add3_u32 v10, v12, v10, 0x487ffff
                                        ; implicit-def: $vgpr12
	v_lshrrev_b32_e32 v10, 20, v10
	s_or_saveexec_b32 s7, s7
                                        ; implicit-def: $sgpr10
	s_delay_alu instid0(SALU_CYCLE_1)
	s_xor_b32 exec_lo, exec_lo, s7
	s_cbranch_execnz .LBB273_2138
.LBB273_1688:
	s_or_b32 exec_lo, exec_lo, s7
	v_mov_b32_e32 v13, s10
	s_and_saveexec_b32 s7, s6
.LBB273_1689:
	v_lshrrev_b32_e32 v9, 8, v9
	s_delay_alu instid0(VALU_DEP_1)
	v_and_or_b32 v13, 0x80, v9, v10
.LBB273_1690:
	s_or_b32 exec_lo, exec_lo, s7
.LBB273_1691:
	s_delay_alu instid0(SALU_CYCLE_1)
	s_or_b32 exec_lo, exec_lo, s3
	global_store_b8 v[3:4], v13, off
.LBB273_1692:
	s_mov_b32 s3, -1
.LBB273_1693:
	s_mov_b32 s6, 0
.LBB273_1694:
	s_delay_alu instid0(SALU_CYCLE_1)
	s_and_b32 vcc_lo, exec_lo, s6
	s_cbranch_vccz .LBB273_1734
; %bb.1695:
	v_cmp_lt_i16_e32 vcc_lo, 22, v6
	s_mov_b32 s2, -1
	s_cbranch_vccz .LBB273_1727
; %bb.1696:
	v_cmp_gt_i16_e32 vcc_lo, 24, v6
	s_cbranch_vccnz .LBB273_1716
; %bb.1697:
	v_cmp_lt_i16_e32 vcc_lo, 24, v6
	s_cbranch_vccz .LBB273_1705
; %bb.1698:
	v_dual_mov_b32 v13, 0x80 :: v_dual_lshlrev_b32 v12, 16, v5
	s_mov_b32 s2, exec_lo
	s_delay_alu instid0(VALU_DEP_1) | instskip(NEXT) | instid1(VALU_DEP_1)
	v_and_b32_e32 v10, 0x7fffffff, v12
	v_cmpx_gt_u32_e32 0x47800000, v10
	s_cbranch_execz .LBB273_1704
; %bb.1699:
	v_and_b32_e32 v9, 0xffff, v5
	v_cmp_lt_u32_e32 vcc_lo, 0x37ffffff, v10
	s_mov_b32 s3, 0
                                        ; implicit-def: $vgpr10
	s_and_saveexec_b32 s6, vcc_lo
	s_delay_alu instid0(SALU_CYCLE_1)
	s_xor_b32 s6, exec_lo, s6
	s_cbranch_execz .LBB273_2143
; %bb.1700:
	v_bfe_u32 v10, v9, 5, 1
	s_mov_b32 s3, exec_lo
	s_delay_alu instid0(VALU_DEP_1) | instskip(NEXT) | instid1(VALU_DEP_1)
	v_add3_u32 v10, v12, v10, 0x88fffff
                                        ; implicit-def: $vgpr12
	v_lshrrev_b32_e32 v10, 21, v10
	s_or_saveexec_b32 s6, s6
                                        ; implicit-def: $sgpr7
	s_delay_alu instid0(SALU_CYCLE_1)
	s_xor_b32 exec_lo, exec_lo, s6
	s_cbranch_execnz .LBB273_2144
.LBB273_1701:
	s_or_b32 exec_lo, exec_lo, s6
	v_mov_b32_e32 v13, s7
	s_and_saveexec_b32 s6, s3
.LBB273_1702:
	v_lshrrev_b32_e32 v9, 8, v9
	s_delay_alu instid0(VALU_DEP_1)
	v_and_or_b32 v13, 0x80, v9, v10
.LBB273_1703:
	s_or_b32 exec_lo, exec_lo, s6
.LBB273_1704:
	s_delay_alu instid0(SALU_CYCLE_1)
	s_or_b32 exec_lo, exec_lo, s2
	s_mov_b32 s2, 0
	global_store_b8 v[3:4], v13, off
.LBB273_1705:
	s_and_b32 vcc_lo, exec_lo, s2
	s_cbranch_vccz .LBB273_1715
; %bb.1706:
	v_lshlrev_b32_e32 v12, 16, v5
	v_and_b32_e32 v9, 0xffff, v5
	s_mov_b32 s2, exec_lo
                                        ; implicit-def: $vgpr10
	s_delay_alu instid0(VALU_DEP_2) | instskip(NEXT) | instid1(VALU_DEP_1)
	v_and_b32_e32 v13, 0x7fffffff, v12
	v_cmpx_gt_u32_e32 0x43f00000, v13
	s_xor_b32 s2, exec_lo, s2
	s_cbranch_execz .LBB273_1712
; %bb.1707:
	s_mov_b32 s3, exec_lo
                                        ; implicit-def: $vgpr10
	v_cmpx_lt_u32_e32 0x3c7fffff, v13
	s_xor_b32 s3, exec_lo, s3
; %bb.1708:
	v_bfe_u32 v10, v9, 4, 1
	s_delay_alu instid0(VALU_DEP_1) | instskip(NEXT) | instid1(VALU_DEP_1)
	v_add3_u32 v10, v12, v10, 0x407ffff
	v_and_b32_e32 v12, 0xff00000, v10
	v_lshrrev_b32_e32 v10, 20, v10
	s_delay_alu instid0(VALU_DEP_2) | instskip(NEXT) | instid1(VALU_DEP_2)
	v_cmp_ne_u32_e32 vcc_lo, 0x7f00000, v12
                                        ; implicit-def: $vgpr12
	v_cndmask_b32_e32 v10, 0x7e, v10, vcc_lo
; %bb.1709:
	s_and_not1_saveexec_b32 s3, s3
; %bb.1710:
	v_add_f32_e64 v10, 0x46800000, |v12|
; %bb.1711:
	s_or_b32 exec_lo, exec_lo, s3
                                        ; implicit-def: $vgpr13
.LBB273_1712:
	s_and_not1_saveexec_b32 s2, s2
; %bb.1713:
	v_mov_b32_e32 v10, 0x7f
	v_cmp_lt_u32_e32 vcc_lo, 0x7f800000, v13
	s_delay_alu instid0(VALU_DEP_2)
	v_cndmask_b32_e32 v10, 0x7e, v10, vcc_lo
; %bb.1714:
	s_or_b32 exec_lo, exec_lo, s2
	v_lshrrev_b32_e32 v9, 8, v9
	s_delay_alu instid0(VALU_DEP_1)
	v_and_or_b32 v9, 0x80, v9, v10
	global_store_b8 v[3:4], v9, off
.LBB273_1715:
	s_mov_b32 s2, 0
.LBB273_1716:
	s_delay_alu instid0(SALU_CYCLE_1)
	s_and_not1_b32 vcc_lo, exec_lo, s2
	s_cbranch_vccnz .LBB273_1726
; %bb.1717:
	v_lshlrev_b32_e32 v12, 16, v5
	v_and_b32_e32 v9, 0xffff, v5
	s_mov_b32 s2, exec_lo
                                        ; implicit-def: $vgpr10
	s_delay_alu instid0(VALU_DEP_2) | instskip(NEXT) | instid1(VALU_DEP_1)
	v_and_b32_e32 v13, 0x7fffffff, v12
	v_cmpx_gt_u32_e32 0x47800000, v13
	s_xor_b32 s2, exec_lo, s2
	s_cbranch_execz .LBB273_1723
; %bb.1718:
	s_mov_b32 s3, exec_lo
                                        ; implicit-def: $vgpr10
	v_cmpx_lt_u32_e32 0x387fffff, v13
	s_xor_b32 s3, exec_lo, s3
; %bb.1719:
	v_bfe_u32 v10, v9, 5, 1
	s_delay_alu instid0(VALU_DEP_1) | instskip(NEXT) | instid1(VALU_DEP_1)
	v_add3_u32 v10, v12, v10, 0x80fffff
                                        ; implicit-def: $vgpr12
	v_lshrrev_b32_e32 v10, 21, v10
; %bb.1720:
	s_and_not1_saveexec_b32 s3, s3
; %bb.1721:
	v_add_f32_e64 v10, 0x43000000, |v12|
; %bb.1722:
	s_or_b32 exec_lo, exec_lo, s3
                                        ; implicit-def: $vgpr13
.LBB273_1723:
	s_and_not1_saveexec_b32 s2, s2
; %bb.1724:
	v_mov_b32_e32 v10, 0x7f
	v_cmp_lt_u32_e32 vcc_lo, 0x7f800000, v13
	s_delay_alu instid0(VALU_DEP_2)
	v_cndmask_b32_e32 v10, 0x7c, v10, vcc_lo
; %bb.1725:
	s_or_b32 exec_lo, exec_lo, s2
	v_lshrrev_b32_e32 v9, 8, v9
	s_delay_alu instid0(VALU_DEP_1)
	v_and_or_b32 v9, 0x80, v9, v10
	global_store_b8 v[3:4], v9, off
.LBB273_1726:
	s_mov_b32 s2, 0
	s_mov_b32 s3, -1
.LBB273_1727:
	s_and_not1_b32 vcc_lo, exec_lo, s2
	s_mov_b32 s2, 0
	s_cbranch_vccnz .LBB273_1734
; %bb.1728:
	v_cmp_lt_i16_e32 vcc_lo, 14, v6
	s_mov_b32 s2, -1
	s_cbranch_vccz .LBB273_1732
; %bb.1729:
	v_cmp_eq_u16_e32 vcc_lo, 15, v6
	s_mov_b32 s0, -1
	s_cbranch_vccz .LBB273_1731
; %bb.1730:
	s_mov_b32 s0, 0
	s_mov_b32 s3, -1
	global_store_b16 v[3:4], v5, off
.LBB273_1731:
	s_mov_b32 s2, 0
.LBB273_1732:
	s_delay_alu instid0(SALU_CYCLE_1)
	s_and_b32 vcc_lo, exec_lo, s2
	s_mov_b32 s2, 0
	s_cbranch_vccz .LBB273_1734
; %bb.1733:
	v_cmp_ne_u16_e64 s0, 11, v6
	s_mov_b32 s2, -1
.LBB273_1734:
	s_delay_alu instid0(VALU_DEP_1)
	s_and_b32 vcc_lo, exec_lo, s0
	s_cbranch_vccnz .LBB273_2141
; %bb.1735:
	s_and_not1_b32 vcc_lo, exec_lo, s2
	s_cbranch_vccnz .LBB273_1737
.LBB273_1736:
	v_and_b32_e32 v9, 0x7fff, v5
	s_mov_b32 s3, -1
	s_delay_alu instid0(VALU_DEP_1)
	v_cmp_ne_u16_e32 vcc_lo, 0, v9
	v_cndmask_b32_e64 v9, 0, 1, vcc_lo
	global_store_b8 v[3:4], v9, off
.LBB273_1737:
	s_mov_b32 s2, 0
.LBB273_1738:
	s_delay_alu instid0(SALU_CYCLE_1)
	s_and_b32 vcc_lo, exec_lo, s2
	s_cbranch_vccz .LBB273_1777
; %bb.1739:
	v_cmp_gt_i16_e32 vcc_lo, 5, v6
	s_mov_b32 s0, -1
	s_cbranch_vccnz .LBB273_1760
; %bb.1740:
	v_cmp_gt_i16_e32 vcc_lo, 8, v6
	s_cbranch_vccnz .LBB273_1750
; %bb.1741:
	v_cmp_gt_i16_e32 vcc_lo, 9, v6
	s_cbranch_vccnz .LBB273_1747
; %bb.1742:
	v_cmp_lt_i16_e32 vcc_lo, 9, v6
	s_cbranch_vccz .LBB273_1744
; %bb.1743:
	v_dual_mov_b32 v14, 0 :: v_dual_lshlrev_b32 v9, 16, v5
	s_mov_b32 s0, 0
	s_delay_alu instid0(VALU_DEP_1) | instskip(NEXT) | instid1(VALU_DEP_2)
	v_cvt_f64_f32_e32 v[12:13], v9
	v_mov_b32_e32 v15, v14
	global_store_b128 v[3:4], v[12:15], off
.LBB273_1744:
	s_and_not1_b32 vcc_lo, exec_lo, s0
	s_cbranch_vccnz .LBB273_1746
; %bb.1745:
	v_dual_mov_b32 v10, 0 :: v_dual_lshlrev_b32 v9, 16, v5
	global_store_b64 v[3:4], v[9:10], off
.LBB273_1746:
	s_mov_b32 s0, 0
.LBB273_1747:
	s_delay_alu instid0(SALU_CYCLE_1)
	s_and_not1_b32 vcc_lo, exec_lo, s0
	s_cbranch_vccnz .LBB273_1749
; %bb.1748:
	v_lshlrev_b32_e32 v9, 16, v5
	s_delay_alu instid0(VALU_DEP_1) | instskip(NEXT) | instid1(VALU_DEP_1)
	v_cvt_f16_f32_e32 v9, v9
	v_and_b32_e32 v9, 0xffff, v9
	global_store_b32 v[3:4], v9, off
.LBB273_1749:
	s_mov_b32 s0, 0
.LBB273_1750:
	s_delay_alu instid0(SALU_CYCLE_1)
	s_and_not1_b32 vcc_lo, exec_lo, s0
	s_cbranch_vccnz .LBB273_1759
; %bb.1751:
	v_cmp_gt_i16_e32 vcc_lo, 6, v6
	s_mov_b32 s0, -1
	s_cbranch_vccnz .LBB273_1757
; %bb.1752:
	v_cmp_lt_i16_e32 vcc_lo, 6, v6
	s_cbranch_vccz .LBB273_1754
; %bb.1753:
	v_lshlrev_b32_e32 v9, 16, v5
	s_mov_b32 s0, 0
	s_delay_alu instid0(VALU_DEP_1)
	v_cvt_f64_f32_e32 v[9:10], v9
	global_store_b64 v[3:4], v[9:10], off
.LBB273_1754:
	s_and_not1_b32 vcc_lo, exec_lo, s0
	s_cbranch_vccnz .LBB273_1756
; %bb.1755:
	v_lshlrev_b32_e32 v9, 16, v5
	global_store_b32 v[3:4], v9, off
.LBB273_1756:
	s_mov_b32 s0, 0
.LBB273_1757:
	s_delay_alu instid0(SALU_CYCLE_1)
	s_and_not1_b32 vcc_lo, exec_lo, s0
	s_cbranch_vccnz .LBB273_1759
; %bb.1758:
	v_lshlrev_b32_e32 v9, 16, v5
	s_delay_alu instid0(VALU_DEP_1)
	v_cvt_f16_f32_e32 v9, v9
	global_store_b16 v[3:4], v9, off
.LBB273_1759:
	s_mov_b32 s0, 0
.LBB273_1760:
	s_delay_alu instid0(SALU_CYCLE_1)
	s_and_not1_b32 vcc_lo, exec_lo, s0
	s_cbranch_vccnz .LBB273_1776
; %bb.1761:
	v_cmp_gt_i16_e32 vcc_lo, 2, v6
	s_mov_b32 s0, -1
	s_cbranch_vccnz .LBB273_1771
; %bb.1762:
	v_cmp_gt_i16_e32 vcc_lo, 3, v6
	s_cbranch_vccnz .LBB273_1768
; %bb.1763:
	v_cmp_lt_i16_e32 vcc_lo, 3, v6
	s_cbranch_vccz .LBB273_1765
; %bb.1764:
	v_lshlrev_b32_e32 v9, 16, v5
	s_mov_b32 s0, 0
	s_delay_alu instid0(VALU_DEP_1) | instskip(NEXT) | instid1(VALU_DEP_1)
	v_trunc_f32_e32 v9, v9
	v_mul_f32_e64 v10, 0x2f800000, |v9|
	v_ashrrev_i32_e32 v13, 31, v9
	s_delay_alu instid0(VALU_DEP_2) | instskip(NEXT) | instid1(VALU_DEP_1)
	v_floor_f32_e32 v10, v10
	v_fma_f32 v12, 0xcf800000, v10, |v9|
	v_cvt_u32_f32_e32 v10, v10
	s_delay_alu instid0(VALU_DEP_2) | instskip(NEXT) | instid1(VALU_DEP_2)
	v_cvt_u32_f32_e32 v9, v12
	v_xor_b32_e32 v10, v10, v13
	s_delay_alu instid0(VALU_DEP_2) | instskip(NEXT) | instid1(VALU_DEP_1)
	v_xor_b32_e32 v9, v9, v13
	v_sub_co_u32 v9, vcc_lo, v9, v13
	s_delay_alu instid0(VALU_DEP_3)
	v_sub_co_ci_u32_e32 v10, vcc_lo, v10, v13, vcc_lo
	global_store_b64 v[3:4], v[9:10], off
.LBB273_1765:
	s_and_not1_b32 vcc_lo, exec_lo, s0
	s_cbranch_vccnz .LBB273_1767
; %bb.1766:
	v_lshlrev_b32_e32 v9, 16, v5
	s_delay_alu instid0(VALU_DEP_1)
	v_cvt_i32_f32_e32 v9, v9
	global_store_b32 v[3:4], v9, off
.LBB273_1767:
	s_mov_b32 s0, 0
.LBB273_1768:
	s_delay_alu instid0(SALU_CYCLE_1)
	s_and_not1_b32 vcc_lo, exec_lo, s0
	s_cbranch_vccnz .LBB273_1770
; %bb.1769:
	v_lshlrev_b32_e32 v9, 16, v5
	s_delay_alu instid0(VALU_DEP_1)
	v_cvt_i32_f32_e32 v9, v9
	global_store_b16 v[3:4], v9, off
.LBB273_1770:
	s_mov_b32 s0, 0
.LBB273_1771:
	s_delay_alu instid0(SALU_CYCLE_1)
	s_and_not1_b32 vcc_lo, exec_lo, s0
	s_cbranch_vccnz .LBB273_1776
; %bb.1772:
	v_cmp_lt_i16_e32 vcc_lo, 0, v6
	s_mov_b32 s0, -1
	s_cbranch_vccz .LBB273_1774
; %bb.1773:
	v_lshlrev_b32_e32 v9, 16, v5
	s_mov_b32 s0, 0
	s_delay_alu instid0(VALU_DEP_1)
	v_cvt_i32_f32_e32 v9, v9
	global_store_b8 v[3:4], v9, off
.LBB273_1774:
	s_and_not1_b32 vcc_lo, exec_lo, s0
	s_cbranch_vccnz .LBB273_1776
; %bb.1775:
	v_lshlrev_b32_e32 v5, 16, v5
	s_delay_alu instid0(VALU_DEP_1) | instskip(NEXT) | instid1(VALU_DEP_1)
	v_trunc_f32_e32 v5, v5
	v_mul_f32_e64 v9, 0x2f800000, |v5|
	s_delay_alu instid0(VALU_DEP_1) | instskip(NEXT) | instid1(VALU_DEP_1)
	v_floor_f32_e32 v9, v9
	v_fma_f32 v9, 0xcf800000, v9, |v5|
	v_ashrrev_i32_e32 v5, 31, v5
	s_delay_alu instid0(VALU_DEP_2) | instskip(NEXT) | instid1(VALU_DEP_1)
	v_cvt_u32_f32_e32 v9, v9
	v_xor_b32_e32 v9, v9, v5
	s_delay_alu instid0(VALU_DEP_1)
	v_sub_nc_u32_e32 v5, v9, v5
	global_store_b8 v[3:4], v5, off
.LBB273_1776:
	s_mov_b32 s3, -1
.LBB273_1777:
	s_delay_alu instid0(SALU_CYCLE_1)
	s_and_not1_b32 vcc_lo, exec_lo, s3
	s_cbranch_vccnz .LBB273_2090
; %bb.1778:
	s_waitcnt vmcnt(0)
	v_lshlrev_b32_e32 v3, 16, v8
	s_mov_b32 s2, -1
	s_mov_b32 s3, 0
	s_delay_alu instid0(VALU_DEP_1) | instskip(SKIP_1) | instid1(VALU_DEP_2)
	v_mul_f32_e32 v4, 0x4f800000, v3
	v_cmp_gt_f32_e32 vcc_lo, 0xf800000, v3
	v_cndmask_b32_e32 v3, v3, v4, vcc_lo
	s_delay_alu instid0(VALU_DEP_1) | instskip(SKIP_3) | instid1(VALU_DEP_2)
	v_sqrt_f32_e32 v4, v3
	s_waitcnt_depctr 0xfff
	v_add_nc_u32_e32 v5, -1, v4
	v_add_nc_u32_e32 v8, 1, v4
	v_fma_f32 v9, -v5, v4, v3
	s_delay_alu instid0(VALU_DEP_2) | instskip(NEXT) | instid1(VALU_DEP_2)
	v_fma_f32 v10, -v8, v4, v3
	v_cmp_ge_f32_e64 s0, 0, v9
	s_delay_alu instid0(VALU_DEP_1) | instskip(NEXT) | instid1(VALU_DEP_3)
	v_cndmask_b32_e64 v4, v4, v5, s0
	v_cmp_lt_f32_e64 s0, 0, v10
	s_delay_alu instid0(VALU_DEP_1) | instskip(SKIP_1) | instid1(VALU_DEP_2)
	v_cndmask_b32_e64 v4, v4, v8, s0
	v_add_co_u32 v2, s0, s4, v2
	v_mul_f32_e32 v5, 0x37800000, v4
	s_delay_alu instid0(VALU_DEP_1) | instskip(SKIP_1) | instid1(VALU_DEP_2)
	v_cndmask_b32_e32 v4, v4, v5, vcc_lo
	v_cmp_class_f32_e64 vcc_lo, v3, 0x260
	v_cndmask_b32_e32 v4, v4, v3, vcc_lo
	v_cmp_gt_i16_e32 vcc_lo, 11, v6
	s_delay_alu instid0(VALU_DEP_2) | instskip(NEXT) | instid1(VALU_DEP_4)
	v_bfe_u32 v3, v4, 16, 1
	s_and_b32 vcc_lo, exec_lo, vcc_lo
	s_delay_alu instid0(VALU_DEP_1) | instskip(NEXT) | instid1(VALU_DEP_1)
	v_add3_u32 v3, v4, v3, 0x7fff
	v_lshrrev_b32_e32 v5, 16, v3
	v_add_co_ci_u32_e64 v3, null, s5, 0, s0
	v_cmp_o_f32_e64 s0, v4, v4
	s_delay_alu instid0(VALU_DEP_1)
	v_cndmask_b32_e64 v4, 0x7fc0, v5, s0
	s_cbranch_vccnz .LBB273_1856
; %bb.1779:
	v_cmp_lt_i16_e32 vcc_lo, 25, v6
	s_mov_b32 s6, -1
	s_mov_b32 s2, 0
	s_mov_b32 s0, 0
	s_cbranch_vccz .LBB273_1812
; %bb.1780:
	v_cmp_lt_i16_e32 vcc_lo, 28, v6
	s_cbranch_vccz .LBB273_1795
; %bb.1781:
	v_cmp_lt_i16_e32 vcc_lo, 43, v6
	s_cbranch_vccz .LBB273_1791
; %bb.1782:
	v_cmp_lt_i16_e32 vcc_lo, 45, v6
	s_cbranch_vccz .LBB273_1785
; %bb.1783:
	v_cmp_eq_u16_e32 vcc_lo, 46, v6
	s_mov_b32 s0, -1
	s_mov_b32 s6, 0
	s_cbranch_vccz .LBB273_1785
; %bb.1784:
	v_and_b32_e32 v5, 0xffff, v4
	s_mov_b32 s0, 0
	s_mov_b32 s3, -1
	global_store_b32 v[2:3], v5, off
.LBB273_1785:
	s_and_b32 vcc_lo, exec_lo, s6
	s_cbranch_vccz .LBB273_1790
; %bb.1786:
	v_cmp_eq_u16_e32 vcc_lo, 44, v6
	s_mov_b32 s0, -1
	s_cbranch_vccz .LBB273_1790
; %bb.1787:
	v_and_b32_e32 v5, 0xffff, v4
	v_mov_b32_e32 v8, 0xff
	s_mov_b32 s3, exec_lo
	s_delay_alu instid0(VALU_DEP_2) | instskip(NEXT) | instid1(VALU_DEP_1)
	v_bfe_u32 v9, v5, 7, 8
	v_cmpx_ne_u32_e32 0xff, v9
; %bb.1788:
	v_lshlrev_b32_e32 v8, 16, v5
	v_and_b32_e32 v10, 64, v5
	v_lshrrev_b32_e32 v5, 7, v5
	s_delay_alu instid0(VALU_DEP_3) | instskip(NEXT) | instid1(VALU_DEP_3)
	v_and_or_b32 v8, 0x3f0000, v8, v9
	v_cmp_ne_u32_e32 vcc_lo, 0, v10
	s_delay_alu instid0(VALU_DEP_2) | instskip(NEXT) | instid1(VALU_DEP_1)
	v_cmp_ne_u32_e64 s0, 0, v8
	s_and_b32 s0, vcc_lo, s0
	s_delay_alu instid0(SALU_CYCLE_1) | instskip(NEXT) | instid1(VALU_DEP_1)
	v_cndmask_b32_e64 v8, 0, 1, s0
	v_add_nc_u32_e32 v8, v5, v8
; %bb.1789:
	s_or_b32 exec_lo, exec_lo, s3
	s_mov_b32 s0, 0
	s_mov_b32 s3, -1
	global_store_b8 v[2:3], v8, off
.LBB273_1790:
	s_mov_b32 s6, 0
.LBB273_1791:
	s_delay_alu instid0(SALU_CYCLE_1)
	s_and_b32 vcc_lo, exec_lo, s6
	s_cbranch_vccz .LBB273_1794
; %bb.1792:
	v_cmp_eq_u16_e32 vcc_lo, 29, v6
	s_mov_b32 s0, -1
	s_cbranch_vccz .LBB273_1794
; %bb.1793:
	v_lshlrev_b32_e32 v5, 16, v4
	s_mov_b32 s0, 0
	s_mov_b32 s3, -1
	s_delay_alu instid0(VALU_DEP_1) | instskip(NEXT) | instid1(VALU_DEP_1)
	v_trunc_f32_e32 v5, v5
	v_mul_f32_e32 v8, 0x2f800000, v5
	s_delay_alu instid0(VALU_DEP_1) | instskip(NEXT) | instid1(VALU_DEP_1)
	v_floor_f32_e32 v8, v8
	v_fmamk_f32 v5, v8, 0xcf800000, v5
	v_cvt_u32_f32_e32 v9, v8
	s_delay_alu instid0(VALU_DEP_2)
	v_cvt_u32_f32_e32 v8, v5
	global_store_b64 v[2:3], v[8:9], off
.LBB273_1794:
	s_mov_b32 s6, 0
.LBB273_1795:
	s_delay_alu instid0(SALU_CYCLE_1)
	s_and_b32 vcc_lo, exec_lo, s6
	s_cbranch_vccz .LBB273_1811
; %bb.1796:
	v_cmp_gt_i16_e32 vcc_lo, 27, v6
	s_mov_b32 s3, -1
	s_cbranch_vccnz .LBB273_1802
; %bb.1797:
	v_cmp_lt_i16_e32 vcc_lo, 27, v6
	s_cbranch_vccz .LBB273_1799
; %bb.1798:
	v_lshlrev_b32_e32 v5, 16, v4
	s_mov_b32 s3, 0
	s_delay_alu instid0(VALU_DEP_1)
	v_cvt_u32_f32_e32 v5, v5
	global_store_b32 v[2:3], v5, off
.LBB273_1799:
	s_and_not1_b32 vcc_lo, exec_lo, s3
	s_cbranch_vccnz .LBB273_1801
; %bb.1800:
	v_lshlrev_b32_e32 v5, 16, v4
	s_delay_alu instid0(VALU_DEP_1)
	v_cvt_u32_f32_e32 v5, v5
	global_store_b16 v[2:3], v5, off
.LBB273_1801:
	s_mov_b32 s3, 0
.LBB273_1802:
	s_delay_alu instid0(SALU_CYCLE_1)
	s_and_not1_b32 vcc_lo, exec_lo, s3
	s_cbranch_vccnz .LBB273_1810
; %bb.1803:
	v_dual_mov_b32 v10, 0x80 :: v_dual_lshlrev_b32 v9, 16, v4
	s_mov_b32 s3, exec_lo
	s_delay_alu instid0(VALU_DEP_1) | instskip(NEXT) | instid1(VALU_DEP_1)
	v_and_b32_e32 v8, 0x7fffffff, v9
	v_cmpx_gt_u32_e32 0x43800000, v8
	s_cbranch_execz .LBB273_1809
; %bb.1804:
	v_and_b32_e32 v5, 0xffff, v4
	v_cmp_lt_u32_e32 vcc_lo, 0x3bffffff, v8
	s_mov_b32 s6, 0
                                        ; implicit-def: $vgpr8
	s_and_saveexec_b32 s7, vcc_lo
	s_delay_alu instid0(SALU_CYCLE_1)
	s_xor_b32 s7, exec_lo, s7
	s_cbranch_execz .LBB273_2145
; %bb.1805:
	v_bfe_u32 v8, v5, 4, 1
	s_mov_b32 s6, exec_lo
	s_delay_alu instid0(VALU_DEP_1) | instskip(NEXT) | instid1(VALU_DEP_1)
	v_add3_u32 v8, v9, v8, 0x487ffff
                                        ; implicit-def: $vgpr9
	v_lshrrev_b32_e32 v8, 20, v8
	s_or_saveexec_b32 s7, s7
                                        ; implicit-def: $sgpr10
	s_delay_alu instid0(SALU_CYCLE_1)
	s_xor_b32 exec_lo, exec_lo, s7
	s_cbranch_execnz .LBB273_2146
.LBB273_1806:
	s_or_b32 exec_lo, exec_lo, s7
	v_mov_b32_e32 v10, s10
	s_and_saveexec_b32 s7, s6
.LBB273_1807:
	v_lshrrev_b32_e32 v5, 8, v5
	s_delay_alu instid0(VALU_DEP_1)
	v_and_or_b32 v10, 0x80, v5, v8
.LBB273_1808:
	s_or_b32 exec_lo, exec_lo, s7
.LBB273_1809:
	s_delay_alu instid0(SALU_CYCLE_1)
	s_or_b32 exec_lo, exec_lo, s3
	global_store_b8 v[2:3], v10, off
.LBB273_1810:
	s_mov_b32 s3, -1
.LBB273_1811:
	s_mov_b32 s6, 0
.LBB273_1812:
	s_delay_alu instid0(SALU_CYCLE_1)
	s_and_b32 vcc_lo, exec_lo, s6
	s_cbranch_vccz .LBB273_1852
; %bb.1813:
	v_cmp_lt_i16_e32 vcc_lo, 22, v6
	s_mov_b32 s2, -1
	s_cbranch_vccz .LBB273_1845
; %bb.1814:
	v_cmp_gt_i16_e32 vcc_lo, 24, v6
	s_cbranch_vccnz .LBB273_1834
; %bb.1815:
	v_cmp_lt_i16_e32 vcc_lo, 24, v6
	s_cbranch_vccz .LBB273_1823
; %bb.1816:
	v_dual_mov_b32 v10, 0x80 :: v_dual_lshlrev_b32 v9, 16, v4
	s_mov_b32 s2, exec_lo
	s_delay_alu instid0(VALU_DEP_1) | instskip(NEXT) | instid1(VALU_DEP_1)
	v_and_b32_e32 v8, 0x7fffffff, v9
	v_cmpx_gt_u32_e32 0x47800000, v8
	s_cbranch_execz .LBB273_1822
; %bb.1817:
	v_and_b32_e32 v5, 0xffff, v4
	v_cmp_lt_u32_e32 vcc_lo, 0x37ffffff, v8
	s_mov_b32 s3, 0
                                        ; implicit-def: $vgpr8
	s_and_saveexec_b32 s6, vcc_lo
	s_delay_alu instid0(SALU_CYCLE_1)
	s_xor_b32 s6, exec_lo, s6
	s_cbranch_execz .LBB273_2151
; %bb.1818:
	v_bfe_u32 v8, v5, 5, 1
	s_mov_b32 s3, exec_lo
	s_delay_alu instid0(VALU_DEP_1) | instskip(NEXT) | instid1(VALU_DEP_1)
	v_add3_u32 v8, v9, v8, 0x88fffff
                                        ; implicit-def: $vgpr9
	v_lshrrev_b32_e32 v8, 21, v8
	s_or_saveexec_b32 s6, s6
                                        ; implicit-def: $sgpr7
	s_delay_alu instid0(SALU_CYCLE_1)
	s_xor_b32 exec_lo, exec_lo, s6
	s_cbranch_execnz .LBB273_2152
.LBB273_1819:
	s_or_b32 exec_lo, exec_lo, s6
	v_mov_b32_e32 v10, s7
	s_and_saveexec_b32 s6, s3
.LBB273_1820:
	v_lshrrev_b32_e32 v5, 8, v5
	s_delay_alu instid0(VALU_DEP_1)
	v_and_or_b32 v10, 0x80, v5, v8
.LBB273_1821:
	s_or_b32 exec_lo, exec_lo, s6
.LBB273_1822:
	s_delay_alu instid0(SALU_CYCLE_1)
	s_or_b32 exec_lo, exec_lo, s2
	s_mov_b32 s2, 0
	global_store_b8 v[2:3], v10, off
.LBB273_1823:
	s_and_b32 vcc_lo, exec_lo, s2
	s_cbranch_vccz .LBB273_1833
; %bb.1824:
	v_lshlrev_b32_e32 v9, 16, v4
	v_and_b32_e32 v5, 0xffff, v4
	s_mov_b32 s2, exec_lo
                                        ; implicit-def: $vgpr8
	s_delay_alu instid0(VALU_DEP_2) | instskip(NEXT) | instid1(VALU_DEP_1)
	v_and_b32_e32 v10, 0x7fffffff, v9
	v_cmpx_gt_u32_e32 0x43f00000, v10
	s_xor_b32 s2, exec_lo, s2
	s_cbranch_execz .LBB273_1830
; %bb.1825:
	s_mov_b32 s3, exec_lo
                                        ; implicit-def: $vgpr8
	v_cmpx_lt_u32_e32 0x3c7fffff, v10
	s_xor_b32 s3, exec_lo, s3
; %bb.1826:
	v_bfe_u32 v8, v5, 4, 1
	s_delay_alu instid0(VALU_DEP_1) | instskip(NEXT) | instid1(VALU_DEP_1)
	v_add3_u32 v8, v9, v8, 0x407ffff
	v_and_b32_e32 v9, 0xff00000, v8
	v_lshrrev_b32_e32 v8, 20, v8
	s_delay_alu instid0(VALU_DEP_2) | instskip(NEXT) | instid1(VALU_DEP_2)
	v_cmp_ne_u32_e32 vcc_lo, 0x7f00000, v9
                                        ; implicit-def: $vgpr9
	v_cndmask_b32_e32 v8, 0x7e, v8, vcc_lo
; %bb.1827:
	s_and_not1_saveexec_b32 s3, s3
; %bb.1828:
	v_add_f32_e64 v8, 0x46800000, |v9|
; %bb.1829:
	s_or_b32 exec_lo, exec_lo, s3
                                        ; implicit-def: $vgpr10
.LBB273_1830:
	s_and_not1_saveexec_b32 s2, s2
; %bb.1831:
	v_mov_b32_e32 v8, 0x7f
	v_cmp_lt_u32_e32 vcc_lo, 0x7f800000, v10
	s_delay_alu instid0(VALU_DEP_2)
	v_cndmask_b32_e32 v8, 0x7e, v8, vcc_lo
; %bb.1832:
	s_or_b32 exec_lo, exec_lo, s2
	v_lshrrev_b32_e32 v5, 8, v5
	s_delay_alu instid0(VALU_DEP_1)
	v_and_or_b32 v5, 0x80, v5, v8
	global_store_b8 v[2:3], v5, off
.LBB273_1833:
	s_mov_b32 s2, 0
.LBB273_1834:
	s_delay_alu instid0(SALU_CYCLE_1)
	s_and_not1_b32 vcc_lo, exec_lo, s2
	s_cbranch_vccnz .LBB273_1844
; %bb.1835:
	v_lshlrev_b32_e32 v9, 16, v4
	v_and_b32_e32 v5, 0xffff, v4
	s_mov_b32 s2, exec_lo
                                        ; implicit-def: $vgpr8
	s_delay_alu instid0(VALU_DEP_2) | instskip(NEXT) | instid1(VALU_DEP_1)
	v_and_b32_e32 v10, 0x7fffffff, v9
	v_cmpx_gt_u32_e32 0x47800000, v10
	s_xor_b32 s2, exec_lo, s2
	s_cbranch_execz .LBB273_1841
; %bb.1836:
	s_mov_b32 s3, exec_lo
                                        ; implicit-def: $vgpr8
	v_cmpx_lt_u32_e32 0x387fffff, v10
	s_xor_b32 s3, exec_lo, s3
; %bb.1837:
	v_bfe_u32 v8, v5, 5, 1
	s_delay_alu instid0(VALU_DEP_1) | instskip(NEXT) | instid1(VALU_DEP_1)
	v_add3_u32 v8, v9, v8, 0x80fffff
                                        ; implicit-def: $vgpr9
	v_lshrrev_b32_e32 v8, 21, v8
; %bb.1838:
	s_and_not1_saveexec_b32 s3, s3
; %bb.1839:
	v_add_f32_e64 v8, 0x43000000, |v9|
; %bb.1840:
	s_or_b32 exec_lo, exec_lo, s3
                                        ; implicit-def: $vgpr10
.LBB273_1841:
	s_and_not1_saveexec_b32 s2, s2
; %bb.1842:
	v_mov_b32_e32 v8, 0x7f
	v_cmp_lt_u32_e32 vcc_lo, 0x7f800000, v10
	s_delay_alu instid0(VALU_DEP_2)
	v_cndmask_b32_e32 v8, 0x7c, v8, vcc_lo
; %bb.1843:
	s_or_b32 exec_lo, exec_lo, s2
	v_lshrrev_b32_e32 v5, 8, v5
	s_delay_alu instid0(VALU_DEP_1)
	v_and_or_b32 v5, 0x80, v5, v8
	global_store_b8 v[2:3], v5, off
.LBB273_1844:
	s_mov_b32 s2, 0
	s_mov_b32 s3, -1
.LBB273_1845:
	s_and_not1_b32 vcc_lo, exec_lo, s2
	s_mov_b32 s2, 0
	s_cbranch_vccnz .LBB273_1852
; %bb.1846:
	v_cmp_lt_i16_e32 vcc_lo, 14, v6
	s_mov_b32 s2, -1
	s_cbranch_vccz .LBB273_1850
; %bb.1847:
	v_cmp_eq_u16_e32 vcc_lo, 15, v6
	s_mov_b32 s0, -1
	s_cbranch_vccz .LBB273_1849
; %bb.1848:
	s_mov_b32 s0, 0
	s_mov_b32 s3, -1
	global_store_b16 v[2:3], v4, off
.LBB273_1849:
	s_mov_b32 s2, 0
.LBB273_1850:
	s_delay_alu instid0(SALU_CYCLE_1)
	s_and_b32 vcc_lo, exec_lo, s2
	s_mov_b32 s2, 0
	s_cbranch_vccz .LBB273_1852
; %bb.1851:
	v_cmp_ne_u16_e64 s0, 11, v6
	s_mov_b32 s2, -1
.LBB273_1852:
	s_delay_alu instid0(VALU_DEP_1)
	s_and_b32 vcc_lo, exec_lo, s0
	s_cbranch_vccnz .LBB273_2149
; %bb.1853:
	s_and_not1_b32 vcc_lo, exec_lo, s2
	s_cbranch_vccnz .LBB273_1855
.LBB273_1854:
	v_and_b32_e32 v5, 0x7fff, v4
	s_mov_b32 s3, -1
	s_delay_alu instid0(VALU_DEP_1)
	v_cmp_ne_u16_e32 vcc_lo, 0, v5
	v_cndmask_b32_e64 v5, 0, 1, vcc_lo
	global_store_b8 v[2:3], v5, off
.LBB273_1855:
	s_mov_b32 s2, 0
.LBB273_1856:
	s_delay_alu instid0(SALU_CYCLE_1)
	s_and_b32 vcc_lo, exec_lo, s2
	s_cbranch_vccz .LBB273_1895
; %bb.1857:
	v_cmp_gt_i16_e32 vcc_lo, 5, v6
	s_mov_b32 s0, -1
	s_cbranch_vccnz .LBB273_1878
; %bb.1858:
	v_cmp_gt_i16_e32 vcc_lo, 8, v6
	s_cbranch_vccnz .LBB273_1868
; %bb.1859:
	v_cmp_gt_i16_e32 vcc_lo, 9, v6
	s_cbranch_vccnz .LBB273_1865
; %bb.1860:
	v_cmp_lt_i16_e32 vcc_lo, 9, v6
	s_cbranch_vccz .LBB273_1862
; %bb.1861:
	v_dual_mov_b32 v14, 0 :: v_dual_lshlrev_b32 v5, 16, v4
	s_mov_b32 s0, 0
	s_delay_alu instid0(VALU_DEP_1) | instskip(NEXT) | instid1(VALU_DEP_2)
	v_cvt_f64_f32_e32 v[12:13], v5
	v_mov_b32_e32 v15, v14
	global_store_b128 v[2:3], v[12:15], off
.LBB273_1862:
	s_and_not1_b32 vcc_lo, exec_lo, s0
	s_cbranch_vccnz .LBB273_1864
; %bb.1863:
	v_dual_mov_b32 v9, 0 :: v_dual_lshlrev_b32 v8, 16, v4
	global_store_b64 v[2:3], v[8:9], off
.LBB273_1864:
	s_mov_b32 s0, 0
.LBB273_1865:
	s_delay_alu instid0(SALU_CYCLE_1)
	s_and_not1_b32 vcc_lo, exec_lo, s0
	s_cbranch_vccnz .LBB273_1867
; %bb.1866:
	v_lshlrev_b32_e32 v5, 16, v4
	s_delay_alu instid0(VALU_DEP_1) | instskip(NEXT) | instid1(VALU_DEP_1)
	v_cvt_f16_f32_e32 v5, v5
	v_and_b32_e32 v5, 0xffff, v5
	global_store_b32 v[2:3], v5, off
.LBB273_1867:
	s_mov_b32 s0, 0
.LBB273_1868:
	s_delay_alu instid0(SALU_CYCLE_1)
	s_and_not1_b32 vcc_lo, exec_lo, s0
	s_cbranch_vccnz .LBB273_1877
; %bb.1869:
	v_cmp_gt_i16_e32 vcc_lo, 6, v6
	s_mov_b32 s0, -1
	s_cbranch_vccnz .LBB273_1875
; %bb.1870:
	v_cmp_lt_i16_e32 vcc_lo, 6, v6
	s_cbranch_vccz .LBB273_1872
; %bb.1871:
	v_lshlrev_b32_e32 v5, 16, v4
	s_mov_b32 s0, 0
	s_delay_alu instid0(VALU_DEP_1)
	v_cvt_f64_f32_e32 v[8:9], v5
	global_store_b64 v[2:3], v[8:9], off
.LBB273_1872:
	s_and_not1_b32 vcc_lo, exec_lo, s0
	s_cbranch_vccnz .LBB273_1874
; %bb.1873:
	v_lshlrev_b32_e32 v5, 16, v4
	global_store_b32 v[2:3], v5, off
.LBB273_1874:
	s_mov_b32 s0, 0
.LBB273_1875:
	s_delay_alu instid0(SALU_CYCLE_1)
	s_and_not1_b32 vcc_lo, exec_lo, s0
	s_cbranch_vccnz .LBB273_1877
; %bb.1876:
	v_lshlrev_b32_e32 v5, 16, v4
	s_delay_alu instid0(VALU_DEP_1)
	v_cvt_f16_f32_e32 v5, v5
	global_store_b16 v[2:3], v5, off
.LBB273_1877:
	s_mov_b32 s0, 0
.LBB273_1878:
	s_delay_alu instid0(SALU_CYCLE_1)
	s_and_not1_b32 vcc_lo, exec_lo, s0
	s_cbranch_vccnz .LBB273_1894
; %bb.1879:
	v_cmp_gt_i16_e32 vcc_lo, 2, v6
	s_mov_b32 s0, -1
	s_cbranch_vccnz .LBB273_1889
; %bb.1880:
	v_cmp_gt_i16_e32 vcc_lo, 3, v6
	s_cbranch_vccnz .LBB273_1886
; %bb.1881:
	v_cmp_lt_i16_e32 vcc_lo, 3, v6
	s_cbranch_vccz .LBB273_1883
; %bb.1882:
	v_lshlrev_b32_e32 v5, 16, v4
	s_mov_b32 s0, 0
	s_delay_alu instid0(VALU_DEP_1) | instskip(NEXT) | instid1(VALU_DEP_1)
	v_trunc_f32_e32 v5, v5
	v_mul_f32_e64 v8, 0x2f800000, |v5|
	s_delay_alu instid0(VALU_DEP_1) | instskip(NEXT) | instid1(VALU_DEP_1)
	v_floor_f32_e32 v8, v8
	v_fma_f32 v9, 0xcf800000, v8, |v5|
	v_ashrrev_i32_e32 v5, 31, v5
	v_cvt_u32_f32_e32 v8, v8
	s_delay_alu instid0(VALU_DEP_3) | instskip(NEXT) | instid1(VALU_DEP_2)
	v_cvt_u32_f32_e32 v9, v9
	v_xor_b32_e32 v10, v8, v5
	s_delay_alu instid0(VALU_DEP_2) | instskip(NEXT) | instid1(VALU_DEP_1)
	v_xor_b32_e32 v9, v9, v5
	v_sub_co_u32 v8, vcc_lo, v9, v5
	s_delay_alu instid0(VALU_DEP_3)
	v_sub_co_ci_u32_e32 v9, vcc_lo, v10, v5, vcc_lo
	global_store_b64 v[2:3], v[8:9], off
.LBB273_1883:
	s_and_not1_b32 vcc_lo, exec_lo, s0
	s_cbranch_vccnz .LBB273_1885
; %bb.1884:
	v_lshlrev_b32_e32 v5, 16, v4
	s_delay_alu instid0(VALU_DEP_1)
	v_cvt_i32_f32_e32 v5, v5
	global_store_b32 v[2:3], v5, off
.LBB273_1885:
	s_mov_b32 s0, 0
.LBB273_1886:
	s_delay_alu instid0(SALU_CYCLE_1)
	s_and_not1_b32 vcc_lo, exec_lo, s0
	s_cbranch_vccnz .LBB273_1888
; %bb.1887:
	v_lshlrev_b32_e32 v5, 16, v4
	s_delay_alu instid0(VALU_DEP_1)
	v_cvt_i32_f32_e32 v5, v5
	global_store_b16 v[2:3], v5, off
.LBB273_1888:
	s_mov_b32 s0, 0
.LBB273_1889:
	s_delay_alu instid0(SALU_CYCLE_1)
	s_and_not1_b32 vcc_lo, exec_lo, s0
	s_cbranch_vccnz .LBB273_1894
; %bb.1890:
	v_cmp_lt_i16_e32 vcc_lo, 0, v6
	v_lshlrev_b32_e32 v4, 16, v4
	s_mov_b32 s0, -1
	s_cbranch_vccz .LBB273_1892
; %bb.1891:
	s_delay_alu instid0(VALU_DEP_1)
	v_cvt_i32_f32_e32 v5, v4
	s_mov_b32 s0, 0
	global_store_b8 v[2:3], v5, off
.LBB273_1892:
	s_and_not1_b32 vcc_lo, exec_lo, s0
	s_cbranch_vccnz .LBB273_1894
; %bb.1893:
	v_trunc_f32_e32 v4, v4
	s_delay_alu instid0(VALU_DEP_1) | instskip(NEXT) | instid1(VALU_DEP_1)
	v_mul_f32_e64 v5, 0x2f800000, |v4|
	v_floor_f32_e32 v5, v5
	s_delay_alu instid0(VALU_DEP_1) | instskip(SKIP_1) | instid1(VALU_DEP_2)
	v_fma_f32 v5, 0xcf800000, v5, |v4|
	v_ashrrev_i32_e32 v4, 31, v4
	v_cvt_u32_f32_e32 v5, v5
	s_delay_alu instid0(VALU_DEP_1) | instskip(NEXT) | instid1(VALU_DEP_1)
	v_xor_b32_e32 v5, v5, v4
	v_sub_nc_u32_e32 v4, v5, v4
	global_store_b8 v[2:3], v4, off
.LBB273_1894:
	s_mov_b32 s3, -1
.LBB273_1895:
	s_delay_alu instid0(SALU_CYCLE_1)
	s_and_not1_b32 vcc_lo, exec_lo, s3
	s_cbranch_vccnz .LBB273_2090
; %bb.1896:
	v_lshlrev_b32_e32 v2, 16, v7
	s_mov_b32 s2, -1
	s_mov_b32 s3, 0
	s_delay_alu instid0(VALU_DEP_1) | instskip(SKIP_1) | instid1(VALU_DEP_2)
	v_mul_f32_e32 v3, 0x4f800000, v2
	v_cmp_gt_f32_e32 vcc_lo, 0xf800000, v2
	v_cndmask_b32_e32 v2, v2, v3, vcc_lo
	s_delay_alu instid0(VALU_DEP_1) | instskip(SKIP_3) | instid1(VALU_DEP_2)
	v_sqrt_f32_e32 v3, v2
	s_waitcnt_depctr 0xfff
	v_add_nc_u32_e32 v4, -1, v3
	v_add_nc_u32_e32 v5, 1, v3
	v_fma_f32 v7, -v4, v3, v2
	s_delay_alu instid0(VALU_DEP_2) | instskip(NEXT) | instid1(VALU_DEP_2)
	v_fma_f32 v8, -v5, v3, v2
	v_cmp_ge_f32_e64 s0, 0, v7
	s_delay_alu instid0(VALU_DEP_1) | instskip(NEXT) | instid1(VALU_DEP_3)
	v_cndmask_b32_e64 v3, v3, v4, s0
	v_cmp_lt_f32_e64 s0, 0, v8
	s_delay_alu instid0(VALU_DEP_1) | instskip(SKIP_1) | instid1(VALU_DEP_2)
	v_cndmask_b32_e64 v3, v3, v5, s0
	v_add_co_u32 v1, s0, s4, v1
	v_mul_f32_e32 v4, 0x37800000, v3
	s_delay_alu instid0(VALU_DEP_1) | instskip(SKIP_1) | instid1(VALU_DEP_2)
	v_cndmask_b32_e32 v3, v3, v4, vcc_lo
	v_cmp_class_f32_e64 vcc_lo, v2, 0x260
	v_cndmask_b32_e32 v3, v3, v2, vcc_lo
	v_cmp_gt_i16_e32 vcc_lo, 11, v6
	s_delay_alu instid0(VALU_DEP_2) | instskip(NEXT) | instid1(VALU_DEP_4)
	v_bfe_u32 v2, v3, 16, 1
	s_and_b32 vcc_lo, exec_lo, vcc_lo
	s_delay_alu instid0(VALU_DEP_1) | instskip(NEXT) | instid1(VALU_DEP_1)
	v_add3_u32 v2, v3, v2, 0x7fff
	v_lshrrev_b32_e32 v4, 16, v2
	v_add_co_ci_u32_e64 v2, null, s5, 0, s0
	v_cmp_o_f32_e64 s0, v3, v3
	s_delay_alu instid0(VALU_DEP_1)
	v_cndmask_b32_e64 v3, 0x7fc0, v4, s0
	s_cbranch_vccnz .LBB273_1974
; %bb.1897:
	v_cmp_lt_i16_e32 vcc_lo, 25, v6
	s_mov_b32 s6, -1
	s_mov_b32 s2, 0
	s_mov_b32 s0, 0
	s_cbranch_vccz .LBB273_1930
; %bb.1898:
	v_cmp_lt_i16_e32 vcc_lo, 28, v6
	s_cbranch_vccz .LBB273_1913
; %bb.1899:
	v_cmp_lt_i16_e32 vcc_lo, 43, v6
	;; [unrolled: 3-line block ×3, first 2 shown]
	s_cbranch_vccz .LBB273_1903
; %bb.1901:
	v_cmp_eq_u16_e32 vcc_lo, 46, v6
	s_mov_b32 s0, -1
	s_mov_b32 s6, 0
	s_cbranch_vccz .LBB273_1903
; %bb.1902:
	v_and_b32_e32 v4, 0xffff, v3
	s_mov_b32 s0, 0
	s_mov_b32 s3, -1
	global_store_b32 v[1:2], v4, off
.LBB273_1903:
	s_and_b32 vcc_lo, exec_lo, s6
	s_cbranch_vccz .LBB273_1908
; %bb.1904:
	v_cmp_eq_u16_e32 vcc_lo, 44, v6
	s_mov_b32 s0, -1
	s_cbranch_vccz .LBB273_1908
; %bb.1905:
	v_and_b32_e32 v4, 0xffff, v3
	v_mov_b32_e32 v5, 0xff
	s_mov_b32 s3, exec_lo
	s_delay_alu instid0(VALU_DEP_2) | instskip(NEXT) | instid1(VALU_DEP_1)
	v_bfe_u32 v7, v4, 7, 8
	v_cmpx_ne_u32_e32 0xff, v7
; %bb.1906:
	v_lshlrev_b32_e32 v5, 16, v4
	v_and_b32_e32 v8, 64, v4
	v_lshrrev_b32_e32 v4, 7, v4
	s_delay_alu instid0(VALU_DEP_3) | instskip(NEXT) | instid1(VALU_DEP_3)
	v_and_or_b32 v5, 0x3f0000, v5, v7
	v_cmp_ne_u32_e32 vcc_lo, 0, v8
	s_delay_alu instid0(VALU_DEP_2) | instskip(NEXT) | instid1(VALU_DEP_1)
	v_cmp_ne_u32_e64 s0, 0, v5
	s_and_b32 s0, vcc_lo, s0
	s_delay_alu instid0(SALU_CYCLE_1) | instskip(NEXT) | instid1(VALU_DEP_1)
	v_cndmask_b32_e64 v5, 0, 1, s0
	v_add_nc_u32_e32 v5, v4, v5
; %bb.1907:
	s_or_b32 exec_lo, exec_lo, s3
	s_mov_b32 s0, 0
	s_mov_b32 s3, -1
	global_store_b8 v[1:2], v5, off
.LBB273_1908:
	s_mov_b32 s6, 0
.LBB273_1909:
	s_delay_alu instid0(SALU_CYCLE_1)
	s_and_b32 vcc_lo, exec_lo, s6
	s_cbranch_vccz .LBB273_1912
; %bb.1910:
	v_cmp_eq_u16_e32 vcc_lo, 29, v6
	s_mov_b32 s0, -1
	s_cbranch_vccz .LBB273_1912
; %bb.1911:
	v_lshlrev_b32_e32 v4, 16, v3
	s_mov_b32 s0, 0
	s_mov_b32 s3, -1
	s_delay_alu instid0(VALU_DEP_1) | instskip(NEXT) | instid1(VALU_DEP_1)
	v_trunc_f32_e32 v4, v4
	v_mul_f32_e32 v5, 0x2f800000, v4
	s_delay_alu instid0(VALU_DEP_1) | instskip(NEXT) | instid1(VALU_DEP_1)
	v_floor_f32_e32 v5, v5
	v_fmamk_f32 v4, v5, 0xcf800000, v4
	v_cvt_u32_f32_e32 v5, v5
	s_delay_alu instid0(VALU_DEP_2)
	v_cvt_u32_f32_e32 v4, v4
	global_store_b64 v[1:2], v[4:5], off
.LBB273_1912:
	s_mov_b32 s6, 0
.LBB273_1913:
	s_delay_alu instid0(SALU_CYCLE_1)
	s_and_b32 vcc_lo, exec_lo, s6
	s_cbranch_vccz .LBB273_1929
; %bb.1914:
	v_cmp_gt_i16_e32 vcc_lo, 27, v6
	s_mov_b32 s3, -1
	s_cbranch_vccnz .LBB273_1920
; %bb.1915:
	v_cmp_lt_i16_e32 vcc_lo, 27, v6
	s_cbranch_vccz .LBB273_1917
; %bb.1916:
	v_lshlrev_b32_e32 v4, 16, v3
	s_mov_b32 s3, 0
	s_delay_alu instid0(VALU_DEP_1)
	v_cvt_u32_f32_e32 v4, v4
	global_store_b32 v[1:2], v4, off
.LBB273_1917:
	s_and_not1_b32 vcc_lo, exec_lo, s3
	s_cbranch_vccnz .LBB273_1919
; %bb.1918:
	v_lshlrev_b32_e32 v4, 16, v3
	s_delay_alu instid0(VALU_DEP_1)
	v_cvt_u32_f32_e32 v4, v4
	global_store_b16 v[1:2], v4, off
.LBB273_1919:
	s_mov_b32 s3, 0
.LBB273_1920:
	s_delay_alu instid0(SALU_CYCLE_1)
	s_and_not1_b32 vcc_lo, exec_lo, s3
	s_cbranch_vccnz .LBB273_1928
; %bb.1921:
	v_dual_mov_b32 v8, 0x80 :: v_dual_lshlrev_b32 v7, 16, v3
	s_mov_b32 s3, exec_lo
	s_delay_alu instid0(VALU_DEP_1) | instskip(NEXT) | instid1(VALU_DEP_1)
	v_and_b32_e32 v5, 0x7fffffff, v7
	v_cmpx_gt_u32_e32 0x43800000, v5
	s_cbranch_execz .LBB273_1927
; %bb.1922:
	v_and_b32_e32 v4, 0xffff, v3
	v_cmp_lt_u32_e32 vcc_lo, 0x3bffffff, v5
	s_mov_b32 s6, 0
                                        ; implicit-def: $vgpr5
	s_and_saveexec_b32 s7, vcc_lo
	s_delay_alu instid0(SALU_CYCLE_1)
	s_xor_b32 s7, exec_lo, s7
	s_cbranch_execz .LBB273_2153
; %bb.1923:
	v_bfe_u32 v5, v4, 4, 1
	s_mov_b32 s6, exec_lo
	s_delay_alu instid0(VALU_DEP_1) | instskip(NEXT) | instid1(VALU_DEP_1)
	v_add3_u32 v5, v7, v5, 0x487ffff
                                        ; implicit-def: $vgpr7
	v_lshrrev_b32_e32 v5, 20, v5
	s_or_saveexec_b32 s7, s7
                                        ; implicit-def: $sgpr10
	s_delay_alu instid0(SALU_CYCLE_1)
	s_xor_b32 exec_lo, exec_lo, s7
	s_cbranch_execnz .LBB273_2154
.LBB273_1924:
	s_or_b32 exec_lo, exec_lo, s7
	v_mov_b32_e32 v8, s10
	s_and_saveexec_b32 s7, s6
.LBB273_1925:
	v_lshrrev_b32_e32 v4, 8, v4
	s_delay_alu instid0(VALU_DEP_1)
	v_and_or_b32 v8, 0x80, v4, v5
.LBB273_1926:
	s_or_b32 exec_lo, exec_lo, s7
.LBB273_1927:
	s_delay_alu instid0(SALU_CYCLE_1)
	s_or_b32 exec_lo, exec_lo, s3
	global_store_b8 v[1:2], v8, off
.LBB273_1928:
	s_mov_b32 s3, -1
.LBB273_1929:
	s_mov_b32 s6, 0
.LBB273_1930:
	s_delay_alu instid0(SALU_CYCLE_1)
	s_and_b32 vcc_lo, exec_lo, s6
	s_cbranch_vccz .LBB273_1970
; %bb.1931:
	v_cmp_lt_i16_e32 vcc_lo, 22, v6
	s_mov_b32 s2, -1
	s_cbranch_vccz .LBB273_1963
; %bb.1932:
	v_cmp_gt_i16_e32 vcc_lo, 24, v6
	s_cbranch_vccnz .LBB273_1952
; %bb.1933:
	v_cmp_lt_i16_e32 vcc_lo, 24, v6
	s_cbranch_vccz .LBB273_1941
; %bb.1934:
	v_dual_mov_b32 v8, 0x80 :: v_dual_lshlrev_b32 v7, 16, v3
	s_mov_b32 s2, exec_lo
	s_delay_alu instid0(VALU_DEP_1) | instskip(NEXT) | instid1(VALU_DEP_1)
	v_and_b32_e32 v5, 0x7fffffff, v7
	v_cmpx_gt_u32_e32 0x47800000, v5
	s_cbranch_execz .LBB273_1940
; %bb.1935:
	v_and_b32_e32 v4, 0xffff, v3
	v_cmp_lt_u32_e32 vcc_lo, 0x37ffffff, v5
	s_mov_b32 s3, 0
                                        ; implicit-def: $vgpr5
	s_and_saveexec_b32 s6, vcc_lo
	s_delay_alu instid0(SALU_CYCLE_1)
	s_xor_b32 s6, exec_lo, s6
	s_cbranch_execz .LBB273_2159
; %bb.1936:
	v_bfe_u32 v5, v4, 5, 1
	s_mov_b32 s3, exec_lo
	s_delay_alu instid0(VALU_DEP_1) | instskip(NEXT) | instid1(VALU_DEP_1)
	v_add3_u32 v5, v7, v5, 0x88fffff
                                        ; implicit-def: $vgpr7
	v_lshrrev_b32_e32 v5, 21, v5
	s_or_saveexec_b32 s6, s6
                                        ; implicit-def: $sgpr7
	s_delay_alu instid0(SALU_CYCLE_1)
	s_xor_b32 exec_lo, exec_lo, s6
	s_cbranch_execnz .LBB273_2160
.LBB273_1937:
	s_or_b32 exec_lo, exec_lo, s6
	v_mov_b32_e32 v8, s7
	s_and_saveexec_b32 s6, s3
.LBB273_1938:
	v_lshrrev_b32_e32 v4, 8, v4
	s_delay_alu instid0(VALU_DEP_1)
	v_and_or_b32 v8, 0x80, v4, v5
.LBB273_1939:
	s_or_b32 exec_lo, exec_lo, s6
.LBB273_1940:
	s_delay_alu instid0(SALU_CYCLE_1)
	s_or_b32 exec_lo, exec_lo, s2
	s_mov_b32 s2, 0
	global_store_b8 v[1:2], v8, off
.LBB273_1941:
	s_and_b32 vcc_lo, exec_lo, s2
	s_cbranch_vccz .LBB273_1951
; %bb.1942:
	v_lshlrev_b32_e32 v7, 16, v3
	v_and_b32_e32 v4, 0xffff, v3
	s_mov_b32 s2, exec_lo
                                        ; implicit-def: $vgpr5
	s_delay_alu instid0(VALU_DEP_2) | instskip(NEXT) | instid1(VALU_DEP_1)
	v_and_b32_e32 v8, 0x7fffffff, v7
	v_cmpx_gt_u32_e32 0x43f00000, v8
	s_xor_b32 s2, exec_lo, s2
	s_cbranch_execz .LBB273_1948
; %bb.1943:
	s_mov_b32 s3, exec_lo
                                        ; implicit-def: $vgpr5
	v_cmpx_lt_u32_e32 0x3c7fffff, v8
	s_xor_b32 s3, exec_lo, s3
; %bb.1944:
	v_bfe_u32 v5, v4, 4, 1
	s_delay_alu instid0(VALU_DEP_1) | instskip(NEXT) | instid1(VALU_DEP_1)
	v_add3_u32 v5, v7, v5, 0x407ffff
	v_and_b32_e32 v7, 0xff00000, v5
	v_lshrrev_b32_e32 v5, 20, v5
	s_delay_alu instid0(VALU_DEP_2) | instskip(NEXT) | instid1(VALU_DEP_2)
	v_cmp_ne_u32_e32 vcc_lo, 0x7f00000, v7
                                        ; implicit-def: $vgpr7
	v_cndmask_b32_e32 v5, 0x7e, v5, vcc_lo
; %bb.1945:
	s_and_not1_saveexec_b32 s3, s3
; %bb.1946:
	v_add_f32_e64 v5, 0x46800000, |v7|
; %bb.1947:
	s_or_b32 exec_lo, exec_lo, s3
                                        ; implicit-def: $vgpr8
.LBB273_1948:
	s_and_not1_saveexec_b32 s2, s2
; %bb.1949:
	v_mov_b32_e32 v5, 0x7f
	v_cmp_lt_u32_e32 vcc_lo, 0x7f800000, v8
	s_delay_alu instid0(VALU_DEP_2)
	v_cndmask_b32_e32 v5, 0x7e, v5, vcc_lo
; %bb.1950:
	s_or_b32 exec_lo, exec_lo, s2
	v_lshrrev_b32_e32 v4, 8, v4
	s_delay_alu instid0(VALU_DEP_1)
	v_and_or_b32 v4, 0x80, v4, v5
	global_store_b8 v[1:2], v4, off
.LBB273_1951:
	s_mov_b32 s2, 0
.LBB273_1952:
	s_delay_alu instid0(SALU_CYCLE_1)
	s_and_not1_b32 vcc_lo, exec_lo, s2
	s_cbranch_vccnz .LBB273_1962
; %bb.1953:
	v_lshlrev_b32_e32 v7, 16, v3
	v_and_b32_e32 v4, 0xffff, v3
	s_mov_b32 s2, exec_lo
                                        ; implicit-def: $vgpr5
	s_delay_alu instid0(VALU_DEP_2) | instskip(NEXT) | instid1(VALU_DEP_1)
	v_and_b32_e32 v8, 0x7fffffff, v7
	v_cmpx_gt_u32_e32 0x47800000, v8
	s_xor_b32 s2, exec_lo, s2
	s_cbranch_execz .LBB273_1959
; %bb.1954:
	s_mov_b32 s3, exec_lo
                                        ; implicit-def: $vgpr5
	v_cmpx_lt_u32_e32 0x387fffff, v8
	s_xor_b32 s3, exec_lo, s3
; %bb.1955:
	v_bfe_u32 v5, v4, 5, 1
	s_delay_alu instid0(VALU_DEP_1) | instskip(NEXT) | instid1(VALU_DEP_1)
	v_add3_u32 v5, v7, v5, 0x80fffff
                                        ; implicit-def: $vgpr7
	v_lshrrev_b32_e32 v5, 21, v5
; %bb.1956:
	s_and_not1_saveexec_b32 s3, s3
; %bb.1957:
	v_add_f32_e64 v5, 0x43000000, |v7|
; %bb.1958:
	s_or_b32 exec_lo, exec_lo, s3
                                        ; implicit-def: $vgpr8
.LBB273_1959:
	s_and_not1_saveexec_b32 s2, s2
; %bb.1960:
	v_mov_b32_e32 v5, 0x7f
	v_cmp_lt_u32_e32 vcc_lo, 0x7f800000, v8
	s_delay_alu instid0(VALU_DEP_2)
	v_cndmask_b32_e32 v5, 0x7c, v5, vcc_lo
; %bb.1961:
	s_or_b32 exec_lo, exec_lo, s2
	v_lshrrev_b32_e32 v4, 8, v4
	s_delay_alu instid0(VALU_DEP_1)
	v_and_or_b32 v4, 0x80, v4, v5
	global_store_b8 v[1:2], v4, off
.LBB273_1962:
	s_mov_b32 s2, 0
	s_mov_b32 s3, -1
.LBB273_1963:
	s_and_not1_b32 vcc_lo, exec_lo, s2
	s_mov_b32 s2, 0
	s_cbranch_vccnz .LBB273_1970
; %bb.1964:
	v_cmp_lt_i16_e32 vcc_lo, 14, v6
	s_mov_b32 s2, -1
	s_cbranch_vccz .LBB273_1968
; %bb.1965:
	v_cmp_eq_u16_e32 vcc_lo, 15, v6
	s_mov_b32 s0, -1
	s_cbranch_vccz .LBB273_1967
; %bb.1966:
	s_mov_b32 s0, 0
	s_mov_b32 s3, -1
	global_store_b16 v[1:2], v3, off
.LBB273_1967:
	s_mov_b32 s2, 0
.LBB273_1968:
	s_delay_alu instid0(SALU_CYCLE_1)
	s_and_b32 vcc_lo, exec_lo, s2
	s_mov_b32 s2, 0
	s_cbranch_vccz .LBB273_1970
; %bb.1969:
	v_cmp_ne_u16_e64 s0, 11, v6
	s_mov_b32 s2, -1
.LBB273_1970:
	s_delay_alu instid0(VALU_DEP_1)
	s_and_b32 vcc_lo, exec_lo, s0
	s_cbranch_vccnz .LBB273_2157
; %bb.1971:
	s_and_not1_b32 vcc_lo, exec_lo, s2
	s_cbranch_vccnz .LBB273_1973
.LBB273_1972:
	v_and_b32_e32 v4, 0x7fff, v3
	s_mov_b32 s3, -1
	s_delay_alu instid0(VALU_DEP_1)
	v_cmp_ne_u16_e32 vcc_lo, 0, v4
	v_cndmask_b32_e64 v4, 0, 1, vcc_lo
	global_store_b8 v[1:2], v4, off
.LBB273_1973:
	s_mov_b32 s2, 0
.LBB273_1974:
	s_delay_alu instid0(SALU_CYCLE_1)
	s_and_b32 vcc_lo, exec_lo, s2
	s_cbranch_vccz .LBB273_2013
; %bb.1975:
	v_cmp_gt_i16_e32 vcc_lo, 5, v6
	s_mov_b32 s0, -1
	s_cbranch_vccnz .LBB273_1996
; %bb.1976:
	v_cmp_gt_i16_e32 vcc_lo, 8, v6
	s_cbranch_vccnz .LBB273_1986
; %bb.1977:
	v_cmp_gt_i16_e32 vcc_lo, 9, v6
	s_cbranch_vccnz .LBB273_1983
; %bb.1978:
	v_cmp_lt_i16_e32 vcc_lo, 9, v6
	s_cbranch_vccz .LBB273_1980
; %bb.1979:
	v_dual_mov_b32 v9, 0 :: v_dual_lshlrev_b32 v4, 16, v3
	s_mov_b32 s0, 0
	s_delay_alu instid0(VALU_DEP_1) | instskip(NEXT) | instid1(VALU_DEP_2)
	v_cvt_f64_f32_e32 v[7:8], v4
	v_mov_b32_e32 v10, v9
	global_store_b128 v[1:2], v[7:10], off
.LBB273_1980:
	s_and_not1_b32 vcc_lo, exec_lo, s0
	s_cbranch_vccnz .LBB273_1982
; %bb.1981:
	v_dual_mov_b32 v5, 0 :: v_dual_lshlrev_b32 v4, 16, v3
	global_store_b64 v[1:2], v[4:5], off
.LBB273_1982:
	s_mov_b32 s0, 0
.LBB273_1983:
	s_delay_alu instid0(SALU_CYCLE_1)
	s_and_not1_b32 vcc_lo, exec_lo, s0
	s_cbranch_vccnz .LBB273_1985
; %bb.1984:
	v_lshlrev_b32_e32 v4, 16, v3
	s_delay_alu instid0(VALU_DEP_1) | instskip(NEXT) | instid1(VALU_DEP_1)
	v_cvt_f16_f32_e32 v4, v4
	v_and_b32_e32 v4, 0xffff, v4
	global_store_b32 v[1:2], v4, off
.LBB273_1985:
	s_mov_b32 s0, 0
.LBB273_1986:
	s_delay_alu instid0(SALU_CYCLE_1)
	s_and_not1_b32 vcc_lo, exec_lo, s0
	s_cbranch_vccnz .LBB273_1995
; %bb.1987:
	v_cmp_gt_i16_e32 vcc_lo, 6, v6
	s_mov_b32 s0, -1
	s_cbranch_vccnz .LBB273_1993
; %bb.1988:
	v_cmp_lt_i16_e32 vcc_lo, 6, v6
	s_cbranch_vccz .LBB273_1990
; %bb.1989:
	v_lshlrev_b32_e32 v4, 16, v3
	s_mov_b32 s0, 0
	s_delay_alu instid0(VALU_DEP_1)
	v_cvt_f64_f32_e32 v[4:5], v4
	global_store_b64 v[1:2], v[4:5], off
.LBB273_1990:
	s_and_not1_b32 vcc_lo, exec_lo, s0
	s_cbranch_vccnz .LBB273_1992
; %bb.1991:
	v_lshlrev_b32_e32 v4, 16, v3
	global_store_b32 v[1:2], v4, off
.LBB273_1992:
	s_mov_b32 s0, 0
.LBB273_1993:
	s_delay_alu instid0(SALU_CYCLE_1)
	s_and_not1_b32 vcc_lo, exec_lo, s0
	s_cbranch_vccnz .LBB273_1995
; %bb.1994:
	v_lshlrev_b32_e32 v4, 16, v3
	s_delay_alu instid0(VALU_DEP_1)
	v_cvt_f16_f32_e32 v4, v4
	global_store_b16 v[1:2], v4, off
.LBB273_1995:
	s_mov_b32 s0, 0
.LBB273_1996:
	s_delay_alu instid0(SALU_CYCLE_1)
	s_and_not1_b32 vcc_lo, exec_lo, s0
	s_cbranch_vccnz .LBB273_2012
; %bb.1997:
	v_cmp_gt_i16_e32 vcc_lo, 2, v6
	s_mov_b32 s0, -1
	s_cbranch_vccnz .LBB273_2007
; %bb.1998:
	v_cmp_gt_i16_e32 vcc_lo, 3, v6
	s_cbranch_vccnz .LBB273_2004
; %bb.1999:
	v_cmp_lt_i16_e32 vcc_lo, 3, v6
	s_cbranch_vccz .LBB273_2001
; %bb.2000:
	v_lshlrev_b32_e32 v4, 16, v3
	s_mov_b32 s0, 0
	s_delay_alu instid0(VALU_DEP_1) | instskip(NEXT) | instid1(VALU_DEP_1)
	v_trunc_f32_e32 v4, v4
	v_mul_f32_e64 v5, 0x2f800000, |v4|
	v_ashrrev_i32_e32 v8, 31, v4
	s_delay_alu instid0(VALU_DEP_2) | instskip(NEXT) | instid1(VALU_DEP_1)
	v_floor_f32_e32 v5, v5
	v_fma_f32 v7, 0xcf800000, v5, |v4|
	v_cvt_u32_f32_e32 v5, v5
	s_delay_alu instid0(VALU_DEP_2) | instskip(NEXT) | instid1(VALU_DEP_2)
	v_cvt_u32_f32_e32 v4, v7
	v_xor_b32_e32 v5, v5, v8
	s_delay_alu instid0(VALU_DEP_2) | instskip(NEXT) | instid1(VALU_DEP_1)
	v_xor_b32_e32 v4, v4, v8
	v_sub_co_u32 v4, vcc_lo, v4, v8
	s_delay_alu instid0(VALU_DEP_3)
	v_sub_co_ci_u32_e32 v5, vcc_lo, v5, v8, vcc_lo
	global_store_b64 v[1:2], v[4:5], off
.LBB273_2001:
	s_and_not1_b32 vcc_lo, exec_lo, s0
	s_cbranch_vccnz .LBB273_2003
; %bb.2002:
	v_lshlrev_b32_e32 v4, 16, v3
	s_delay_alu instid0(VALU_DEP_1)
	v_cvt_i32_f32_e32 v4, v4
	global_store_b32 v[1:2], v4, off
.LBB273_2003:
	s_mov_b32 s0, 0
.LBB273_2004:
	s_delay_alu instid0(SALU_CYCLE_1)
	s_and_not1_b32 vcc_lo, exec_lo, s0
	s_cbranch_vccnz .LBB273_2006
; %bb.2005:
	v_lshlrev_b32_e32 v4, 16, v3
	s_delay_alu instid0(VALU_DEP_1)
	v_cvt_i32_f32_e32 v4, v4
	global_store_b16 v[1:2], v4, off
.LBB273_2006:
	s_mov_b32 s0, 0
.LBB273_2007:
	s_delay_alu instid0(SALU_CYCLE_1)
	s_and_not1_b32 vcc_lo, exec_lo, s0
	s_cbranch_vccnz .LBB273_2012
; %bb.2008:
	v_cmp_lt_i16_e32 vcc_lo, 0, v6
	v_lshlrev_b32_e32 v3, 16, v3
	s_mov_b32 s0, -1
	s_cbranch_vccz .LBB273_2010
; %bb.2009:
	s_delay_alu instid0(VALU_DEP_1)
	v_cvt_i32_f32_e32 v4, v3
	s_mov_b32 s0, 0
	global_store_b8 v[1:2], v4, off
.LBB273_2010:
	s_and_not1_b32 vcc_lo, exec_lo, s0
	s_cbranch_vccnz .LBB273_2012
; %bb.2011:
	v_trunc_f32_e32 v3, v3
	s_delay_alu instid0(VALU_DEP_1) | instskip(NEXT) | instid1(VALU_DEP_1)
	v_mul_f32_e64 v4, 0x2f800000, |v3|
	v_floor_f32_e32 v4, v4
	s_delay_alu instid0(VALU_DEP_1) | instskip(SKIP_1) | instid1(VALU_DEP_2)
	v_fma_f32 v4, 0xcf800000, v4, |v3|
	v_ashrrev_i32_e32 v3, 31, v3
	v_cvt_u32_f32_e32 v4, v4
	s_delay_alu instid0(VALU_DEP_1) | instskip(NEXT) | instid1(VALU_DEP_1)
	v_xor_b32_e32 v4, v4, v3
	v_sub_nc_u32_e32 v3, v4, v3
	global_store_b8 v[1:2], v3, off
.LBB273_2012:
	s_mov_b32 s3, -1
.LBB273_2013:
	s_delay_alu instid0(SALU_CYCLE_1)
	s_and_not1_b32 vcc_lo, exec_lo, s3
	s_cbranch_vccnz .LBB273_2090
; %bb.2014:
	v_lshlrev_b32_e32 v1, 16, v11
	s_mov_b32 s3, -1
	s_mov_b32 s2, 0
	s_delay_alu instid0(VALU_DEP_1) | instskip(SKIP_1) | instid1(VALU_DEP_2)
	v_mul_f32_e32 v2, 0x4f800000, v1
	v_cmp_gt_f32_e32 vcc_lo, 0xf800000, v1
	v_cndmask_b32_e32 v1, v1, v2, vcc_lo
	s_delay_alu instid0(VALU_DEP_1) | instskip(SKIP_3) | instid1(VALU_DEP_2)
	v_sqrt_f32_e32 v2, v1
	s_waitcnt_depctr 0xfff
	v_add_nc_u32_e32 v3, -1, v2
	v_add_nc_u32_e32 v4, 1, v2
	v_fma_f32 v5, -v3, v2, v1
	s_delay_alu instid0(VALU_DEP_2) | instskip(NEXT) | instid1(VALU_DEP_2)
	v_fma_f32 v7, -v4, v2, v1
	v_cmp_ge_f32_e64 s0, 0, v5
	s_delay_alu instid0(VALU_DEP_1) | instskip(NEXT) | instid1(VALU_DEP_3)
	v_cndmask_b32_e64 v2, v2, v3, s0
	v_cmp_lt_f32_e64 s0, 0, v7
	s_delay_alu instid0(VALU_DEP_1) | instskip(SKIP_1) | instid1(VALU_DEP_2)
	v_cndmask_b32_e64 v2, v2, v4, s0
	v_add_co_u32 v0, s0, s4, v0
	v_mul_f32_e32 v3, 0x37800000, v2
	s_delay_alu instid0(VALU_DEP_1) | instskip(SKIP_1) | instid1(VALU_DEP_2)
	v_cndmask_b32_e32 v2, v2, v3, vcc_lo
	v_cmp_class_f32_e64 vcc_lo, v1, 0x260
	v_cndmask_b32_e32 v2, v2, v1, vcc_lo
	v_cmp_gt_i16_e32 vcc_lo, 11, v6
	s_delay_alu instid0(VALU_DEP_2) | instskip(NEXT) | instid1(VALU_DEP_4)
	v_bfe_u32 v1, v2, 16, 1
	s_and_b32 vcc_lo, exec_lo, vcc_lo
	s_delay_alu instid0(VALU_DEP_1) | instskip(NEXT) | instid1(VALU_DEP_1)
	v_add3_u32 v1, v2, v1, 0x7fff
	v_lshrrev_b32_e32 v3, 16, v1
	v_add_co_ci_u32_e64 v1, null, s5, 0, s0
	v_cmp_o_f32_e64 s0, v2, v2
	s_delay_alu instid0(VALU_DEP_1)
	v_cndmask_b32_e64 v2, 0x7fc0, v3, s0
	s_cbranch_vccnz .LBB273_2091
; %bb.2015:
	v_cmp_lt_i16_e32 vcc_lo, 25, v6
	s_mov_b32 s0, 0
	s_cbranch_vccz .LBB273_2048
; %bb.2016:
	v_cmp_lt_i16_e32 vcc_lo, 28, v6
	s_cbranch_vccz .LBB273_2032
; %bb.2017:
	v_cmp_lt_i16_e32 vcc_lo, 43, v6
	;; [unrolled: 3-line block ×3, first 2 shown]
	s_cbranch_vccz .LBB273_2022
; %bb.2019:
	v_cmp_eq_u16_e32 vcc_lo, 46, v6
	s_mov_b32 s0, -1
	s_cbranch_vccz .LBB273_2021
; %bb.2020:
	v_and_b32_e32 v3, 0xffff, v2
	s_mov_b32 s0, 0
	global_store_b32 v[0:1], v3, off
.LBB273_2021:
	s_mov_b32 s3, 0
.LBB273_2022:
	s_delay_alu instid0(SALU_CYCLE_1)
	s_and_b32 vcc_lo, exec_lo, s3
	s_cbranch_vccz .LBB273_2027
; %bb.2023:
	v_cmp_eq_u16_e32 vcc_lo, 44, v6
	s_mov_b32 s0, -1
	s_cbranch_vccz .LBB273_2027
; %bb.2024:
	v_and_b32_e32 v3, 0xffff, v2
	v_mov_b32_e32 v4, 0xff
	s_mov_b32 s3, exec_lo
	s_delay_alu instid0(VALU_DEP_2) | instskip(NEXT) | instid1(VALU_DEP_1)
	v_bfe_u32 v5, v3, 7, 8
	v_cmpx_ne_u32_e32 0xff, v5
; %bb.2025:
	v_lshlrev_b32_e32 v4, 16, v3
	v_and_b32_e32 v7, 64, v3
	v_lshrrev_b32_e32 v3, 7, v3
	s_delay_alu instid0(VALU_DEP_3) | instskip(NEXT) | instid1(VALU_DEP_3)
	v_and_or_b32 v4, 0x3f0000, v4, v5
	v_cmp_ne_u32_e32 vcc_lo, 0, v7
	s_delay_alu instid0(VALU_DEP_2) | instskip(NEXT) | instid1(VALU_DEP_1)
	v_cmp_ne_u32_e64 s0, 0, v4
	s_and_b32 s0, vcc_lo, s0
	s_delay_alu instid0(SALU_CYCLE_1) | instskip(NEXT) | instid1(VALU_DEP_1)
	v_cndmask_b32_e64 v4, 0, 1, s0
	v_add_nc_u32_e32 v4, v3, v4
; %bb.2026:
	s_or_b32 exec_lo, exec_lo, s3
	s_mov_b32 s0, 0
	global_store_b8 v[0:1], v4, off
.LBB273_2027:
	s_mov_b32 s3, 0
.LBB273_2028:
	s_delay_alu instid0(SALU_CYCLE_1)
	s_and_b32 vcc_lo, exec_lo, s3
	s_cbranch_vccz .LBB273_2031
; %bb.2029:
	v_cmp_eq_u16_e32 vcc_lo, 29, v6
	s_mov_b32 s0, -1
	s_cbranch_vccz .LBB273_2031
; %bb.2030:
	v_lshlrev_b32_e32 v3, 16, v2
	s_mov_b32 s0, 0
	s_delay_alu instid0(VALU_DEP_1) | instskip(NEXT) | instid1(VALU_DEP_1)
	v_trunc_f32_e32 v3, v3
	v_mul_f32_e32 v4, 0x2f800000, v3
	s_delay_alu instid0(VALU_DEP_1) | instskip(NEXT) | instid1(VALU_DEP_1)
	v_floor_f32_e32 v4, v4
	v_fmamk_f32 v3, v4, 0xcf800000, v3
	v_cvt_u32_f32_e32 v4, v4
	s_delay_alu instid0(VALU_DEP_2)
	v_cvt_u32_f32_e32 v3, v3
	global_store_b64 v[0:1], v[3:4], off
.LBB273_2031:
	s_mov_b32 s3, 0
.LBB273_2032:
	s_delay_alu instid0(SALU_CYCLE_1)
	s_and_b32 vcc_lo, exec_lo, s3
	s_cbranch_vccz .LBB273_2047
; %bb.2033:
	v_cmp_gt_i16_e32 vcc_lo, 27, v6
	s_mov_b32 s3, -1
	s_cbranch_vccnz .LBB273_2039
; %bb.2034:
	v_cmp_lt_i16_e32 vcc_lo, 27, v6
	s_cbranch_vccz .LBB273_2036
; %bb.2035:
	v_lshlrev_b32_e32 v3, 16, v2
	s_mov_b32 s3, 0
	s_delay_alu instid0(VALU_DEP_1)
	v_cvt_u32_f32_e32 v3, v3
	global_store_b32 v[0:1], v3, off
.LBB273_2036:
	s_and_not1_b32 vcc_lo, exec_lo, s3
	s_cbranch_vccnz .LBB273_2038
; %bb.2037:
	v_lshlrev_b32_e32 v3, 16, v2
	s_delay_alu instid0(VALU_DEP_1)
	v_cvt_u32_f32_e32 v3, v3
	global_store_b16 v[0:1], v3, off
.LBB273_2038:
	s_mov_b32 s3, 0
.LBB273_2039:
	s_delay_alu instid0(SALU_CYCLE_1)
	s_and_not1_b32 vcc_lo, exec_lo, s3
	s_cbranch_vccnz .LBB273_2047
; %bb.2040:
	v_lshlrev_b32_e32 v5, 16, v2
	v_mov_b32_e32 v7, 0x80
	s_mov_b32 s3, exec_lo
	s_delay_alu instid0(VALU_DEP_2) | instskip(NEXT) | instid1(VALU_DEP_1)
	v_and_b32_e32 v4, 0x7fffffff, v5
	v_cmpx_gt_u32_e32 0x43800000, v4
	s_cbranch_execz .LBB273_2046
; %bb.2041:
	v_and_b32_e32 v3, 0xffff, v2
	v_cmp_lt_u32_e32 vcc_lo, 0x3bffffff, v4
	s_mov_b32 s4, 0
                                        ; implicit-def: $vgpr4
	s_and_saveexec_b32 s5, vcc_lo
	s_delay_alu instid0(SALU_CYCLE_1)
	s_xor_b32 s5, exec_lo, s5
	s_cbranch_execz .LBB273_2161
; %bb.2042:
	v_bfe_u32 v4, v3, 4, 1
	s_mov_b32 s4, exec_lo
	s_delay_alu instid0(VALU_DEP_1) | instskip(NEXT) | instid1(VALU_DEP_1)
	v_add3_u32 v4, v5, v4, 0x487ffff
                                        ; implicit-def: $vgpr5
	v_lshrrev_b32_e32 v4, 20, v4
	s_or_saveexec_b32 s5, s5
                                        ; implicit-def: $sgpr6
	s_delay_alu instid0(SALU_CYCLE_1)
	s_xor_b32 exec_lo, exec_lo, s5
	s_cbranch_execnz .LBB273_2162
.LBB273_2043:
	s_or_b32 exec_lo, exec_lo, s5
	v_mov_b32_e32 v7, s6
	s_and_saveexec_b32 s5, s4
.LBB273_2044:
	v_lshrrev_b32_e32 v3, 8, v3
	s_delay_alu instid0(VALU_DEP_1)
	v_and_or_b32 v7, 0x80, v3, v4
.LBB273_2045:
	s_or_b32 exec_lo, exec_lo, s5
.LBB273_2046:
	s_delay_alu instid0(SALU_CYCLE_1)
	s_or_b32 exec_lo, exec_lo, s3
	global_store_b8 v[0:1], v7, off
.LBB273_2047:
	s_mov_b32 s3, 0
.LBB273_2048:
	s_delay_alu instid0(SALU_CYCLE_1)
	s_and_b32 vcc_lo, exec_lo, s3
	s_cbranch_vccz .LBB273_2088
; %bb.2049:
	v_cmp_lt_i16_e32 vcc_lo, 22, v6
	s_mov_b32 s2, -1
	s_cbranch_vccz .LBB273_2081
; %bb.2050:
	v_cmp_gt_i16_e32 vcc_lo, 24, v6
	s_cbranch_vccnz .LBB273_2070
; %bb.2051:
	v_cmp_lt_i16_e32 vcc_lo, 24, v6
	s_cbranch_vccz .LBB273_2059
; %bb.2052:
	v_lshlrev_b32_e32 v5, 16, v2
	v_mov_b32_e32 v7, 0x80
	s_mov_b32 s2, exec_lo
	s_delay_alu instid0(VALU_DEP_2) | instskip(NEXT) | instid1(VALU_DEP_1)
	v_and_b32_e32 v4, 0x7fffffff, v5
	v_cmpx_gt_u32_e32 0x47800000, v4
	s_cbranch_execz .LBB273_2058
; %bb.2053:
	v_and_b32_e32 v3, 0xffff, v2
	v_cmp_lt_u32_e32 vcc_lo, 0x37ffffff, v4
	s_mov_b32 s3, 0
                                        ; implicit-def: $vgpr4
	s_and_saveexec_b32 s4, vcc_lo
	s_delay_alu instid0(SALU_CYCLE_1)
	s_xor_b32 s4, exec_lo, s4
	s_cbranch_execz .LBB273_2167
; %bb.2054:
	v_bfe_u32 v4, v3, 5, 1
	s_mov_b32 s3, exec_lo
	s_delay_alu instid0(VALU_DEP_1) | instskip(NEXT) | instid1(VALU_DEP_1)
	v_add3_u32 v4, v5, v4, 0x88fffff
                                        ; implicit-def: $vgpr5
	v_lshrrev_b32_e32 v4, 21, v4
	s_or_saveexec_b32 s4, s4
                                        ; implicit-def: $sgpr5
	s_delay_alu instid0(SALU_CYCLE_1)
	s_xor_b32 exec_lo, exec_lo, s4
	s_cbranch_execnz .LBB273_2168
.LBB273_2055:
	s_or_b32 exec_lo, exec_lo, s4
	v_mov_b32_e32 v7, s5
	s_and_saveexec_b32 s4, s3
.LBB273_2056:
	v_lshrrev_b32_e32 v3, 8, v3
	s_delay_alu instid0(VALU_DEP_1)
	v_and_or_b32 v7, 0x80, v3, v4
.LBB273_2057:
	s_or_b32 exec_lo, exec_lo, s4
.LBB273_2058:
	s_delay_alu instid0(SALU_CYCLE_1)
	s_or_b32 exec_lo, exec_lo, s2
	s_mov_b32 s2, 0
	global_store_b8 v[0:1], v7, off
.LBB273_2059:
	s_and_b32 vcc_lo, exec_lo, s2
	s_cbranch_vccz .LBB273_2069
; %bb.2060:
	v_lshlrev_b32_e32 v5, 16, v2
	v_and_b32_e32 v3, 0xffff, v2
	s_mov_b32 s2, exec_lo
                                        ; implicit-def: $vgpr4
	s_delay_alu instid0(VALU_DEP_2) | instskip(NEXT) | instid1(VALU_DEP_1)
	v_and_b32_e32 v7, 0x7fffffff, v5
	v_cmpx_gt_u32_e32 0x43f00000, v7
	s_xor_b32 s2, exec_lo, s2
	s_cbranch_execz .LBB273_2066
; %bb.2061:
	s_mov_b32 s3, exec_lo
                                        ; implicit-def: $vgpr4
	v_cmpx_lt_u32_e32 0x3c7fffff, v7
	s_xor_b32 s3, exec_lo, s3
; %bb.2062:
	v_bfe_u32 v4, v3, 4, 1
	s_delay_alu instid0(VALU_DEP_1) | instskip(NEXT) | instid1(VALU_DEP_1)
	v_add3_u32 v4, v5, v4, 0x407ffff
	v_and_b32_e32 v5, 0xff00000, v4
	v_lshrrev_b32_e32 v4, 20, v4
	s_delay_alu instid0(VALU_DEP_2) | instskip(NEXT) | instid1(VALU_DEP_2)
	v_cmp_ne_u32_e32 vcc_lo, 0x7f00000, v5
                                        ; implicit-def: $vgpr5
	v_cndmask_b32_e32 v4, 0x7e, v4, vcc_lo
; %bb.2063:
	s_and_not1_saveexec_b32 s3, s3
; %bb.2064:
	v_add_f32_e64 v4, 0x46800000, |v5|
; %bb.2065:
	s_or_b32 exec_lo, exec_lo, s3
                                        ; implicit-def: $vgpr7
.LBB273_2066:
	s_and_not1_saveexec_b32 s2, s2
; %bb.2067:
	v_mov_b32_e32 v4, 0x7f
	v_cmp_lt_u32_e32 vcc_lo, 0x7f800000, v7
	s_delay_alu instid0(VALU_DEP_2)
	v_cndmask_b32_e32 v4, 0x7e, v4, vcc_lo
; %bb.2068:
	s_or_b32 exec_lo, exec_lo, s2
	v_lshrrev_b32_e32 v3, 8, v3
	s_delay_alu instid0(VALU_DEP_1)
	v_and_or_b32 v3, 0x80, v3, v4
	global_store_b8 v[0:1], v3, off
.LBB273_2069:
	s_mov_b32 s2, 0
.LBB273_2070:
	s_delay_alu instid0(SALU_CYCLE_1)
	s_and_not1_b32 vcc_lo, exec_lo, s2
	s_cbranch_vccnz .LBB273_2080
; %bb.2071:
	v_lshlrev_b32_e32 v5, 16, v2
	v_and_b32_e32 v3, 0xffff, v2
	s_mov_b32 s2, exec_lo
                                        ; implicit-def: $vgpr4
	s_delay_alu instid0(VALU_DEP_2) | instskip(NEXT) | instid1(VALU_DEP_1)
	v_and_b32_e32 v7, 0x7fffffff, v5
	v_cmpx_gt_u32_e32 0x47800000, v7
	s_xor_b32 s2, exec_lo, s2
	s_cbranch_execz .LBB273_2077
; %bb.2072:
	s_mov_b32 s3, exec_lo
                                        ; implicit-def: $vgpr4
	v_cmpx_lt_u32_e32 0x387fffff, v7
	s_xor_b32 s3, exec_lo, s3
; %bb.2073:
	v_bfe_u32 v4, v3, 5, 1
	s_delay_alu instid0(VALU_DEP_1) | instskip(NEXT) | instid1(VALU_DEP_1)
	v_add3_u32 v4, v5, v4, 0x80fffff
                                        ; implicit-def: $vgpr5
	v_lshrrev_b32_e32 v4, 21, v4
; %bb.2074:
	s_and_not1_saveexec_b32 s3, s3
; %bb.2075:
	v_add_f32_e64 v4, 0x43000000, |v5|
; %bb.2076:
	s_or_b32 exec_lo, exec_lo, s3
                                        ; implicit-def: $vgpr7
.LBB273_2077:
	s_and_not1_saveexec_b32 s2, s2
; %bb.2078:
	v_mov_b32_e32 v4, 0x7f
	v_cmp_lt_u32_e32 vcc_lo, 0x7f800000, v7
	s_delay_alu instid0(VALU_DEP_2)
	v_cndmask_b32_e32 v4, 0x7c, v4, vcc_lo
; %bb.2079:
	s_or_b32 exec_lo, exec_lo, s2
	v_lshrrev_b32_e32 v3, 8, v3
	s_delay_alu instid0(VALU_DEP_1)
	v_and_or_b32 v3, 0x80, v3, v4
	global_store_b8 v[0:1], v3, off
.LBB273_2080:
	s_mov_b32 s2, 0
.LBB273_2081:
	s_delay_alu instid0(SALU_CYCLE_1)
	s_and_not1_b32 vcc_lo, exec_lo, s2
	s_mov_b32 s2, 0
	s_cbranch_vccnz .LBB273_2088
; %bb.2082:
	v_cmp_lt_i16_e32 vcc_lo, 14, v6
	s_mov_b32 s2, -1
	s_cbranch_vccz .LBB273_2086
; %bb.2083:
	v_cmp_eq_u16_e32 vcc_lo, 15, v6
	s_mov_b32 s0, -1
	s_cbranch_vccz .LBB273_2085
; %bb.2084:
	s_mov_b32 s0, 0
	global_store_b16 v[0:1], v2, off
.LBB273_2085:
	s_mov_b32 s2, 0
.LBB273_2086:
	s_delay_alu instid0(SALU_CYCLE_1)
	s_and_b32 vcc_lo, exec_lo, s2
	s_mov_b32 s2, 0
	s_cbranch_vccz .LBB273_2088
; %bb.2087:
	v_cmp_ne_u16_e64 s0, 11, v6
	s_mov_b32 s2, -1
.LBB273_2088:
	s_delay_alu instid0(VALU_DEP_1)
	s_and_b32 vcc_lo, exec_lo, s0
	s_cbranch_vccnz .LBB273_2165
.LBB273_2089:
	s_mov_b32 s3, 0
	s_branch .LBB273_2091
.LBB273_2090:
	s_mov_b32 s3, 0
	s_mov_b32 s2, 0
                                        ; implicit-def: $vgpr0_vgpr1
                                        ; implicit-def: $vgpr6
                                        ; implicit-def: $vgpr2
.LBB273_2091:
	s_and_not1_b32 s0, s8, exec_lo
	s_and_b32 s1, s1, exec_lo
	s_and_b32 s3, s3, exec_lo
	;; [unrolled: 1-line block ×3, first 2 shown]
	s_or_b32 s8, s0, s1
.LBB273_2092:
	s_or_b32 exec_lo, exec_lo, s9
	s_and_saveexec_b32 s0, s8
	s_cbranch_execz .LBB273_2095
; %bb.2093:
	; divergent unreachable
	s_or_b32 exec_lo, exec_lo, s0
	s_and_saveexec_b32 s0, s26
	s_delay_alu instid0(SALU_CYCLE_1)
	s_xor_b32 s0, exec_lo, s0
	s_cbranch_execnz .LBB273_2096
.LBB273_2094:
	s_or_b32 exec_lo, exec_lo, s0
	s_and_saveexec_b32 s0, s3
	s_cbranch_execnz .LBB273_2097
	s_branch .LBB273_2134
.LBB273_2095:
	s_or_b32 exec_lo, exec_lo, s0
	s_and_saveexec_b32 s0, s26
	s_delay_alu instid0(SALU_CYCLE_1)
	s_xor_b32 s0, exec_lo, s0
	s_cbranch_execz .LBB273_2094
.LBB273_2096:
	v_and_b32_e32 v3, 0x7fff, v2
	s_delay_alu instid0(VALU_DEP_1)
	v_cmp_ne_u16_e32 vcc_lo, 0, v3
	v_cndmask_b32_e64 v3, 0, 1, vcc_lo
	global_store_b8 v[0:1], v3, off
	s_or_b32 exec_lo, exec_lo, s0
	s_and_saveexec_b32 s0, s3
	s_cbranch_execz .LBB273_2134
.LBB273_2097:
	s_waitcnt vmcnt(0)
	v_cmp_gt_i16_e32 vcc_lo, 5, v6
	s_mov_b32 s0, -1
	s_cbranch_vccnz .LBB273_2118
; %bb.2098:
	v_cmp_gt_i16_e32 vcc_lo, 8, v6
	s_cbranch_vccnz .LBB273_2108
; %bb.2099:
	v_cmp_gt_i16_e32 vcc_lo, 9, v6
	s_cbranch_vccnz .LBB273_2105
; %bb.2100:
	v_cmp_lt_i16_e32 vcc_lo, 9, v6
	s_cbranch_vccz .LBB273_2102
; %bb.2101:
	v_mov_b32_e32 v9, 0
	v_lshlrev_b32_e32 v3, 16, v2
	s_mov_b32 s0, 0
	s_delay_alu instid0(VALU_DEP_2) | instskip(NEXT) | instid1(VALU_DEP_2)
	v_mov_b32_e32 v10, v9
	v_cvt_f64_f32_e32 v[7:8], v3
	global_store_b128 v[0:1], v[7:10], off
.LBB273_2102:
	s_and_not1_b32 vcc_lo, exec_lo, s0
	s_cbranch_vccnz .LBB273_2104
; %bb.2103:
	v_dual_mov_b32 v4, 0 :: v_dual_lshlrev_b32 v3, 16, v2
	global_store_b64 v[0:1], v[3:4], off
.LBB273_2104:
	s_mov_b32 s0, 0
.LBB273_2105:
	s_delay_alu instid0(SALU_CYCLE_1)
	s_and_not1_b32 vcc_lo, exec_lo, s0
	s_cbranch_vccnz .LBB273_2107
; %bb.2106:
	v_lshlrev_b32_e32 v3, 16, v2
	s_delay_alu instid0(VALU_DEP_1) | instskip(NEXT) | instid1(VALU_DEP_1)
	v_cvt_f16_f32_e32 v3, v3
	v_and_b32_e32 v3, 0xffff, v3
	global_store_b32 v[0:1], v3, off
.LBB273_2107:
	s_mov_b32 s0, 0
.LBB273_2108:
	s_delay_alu instid0(SALU_CYCLE_1)
	s_and_not1_b32 vcc_lo, exec_lo, s0
	s_cbranch_vccnz .LBB273_2117
; %bb.2109:
	v_cmp_gt_i16_e32 vcc_lo, 6, v6
	s_mov_b32 s0, -1
	s_cbranch_vccnz .LBB273_2115
; %bb.2110:
	v_cmp_lt_i16_e32 vcc_lo, 6, v6
	s_cbranch_vccz .LBB273_2112
; %bb.2111:
	v_lshlrev_b32_e32 v3, 16, v2
	s_mov_b32 s0, 0
	s_delay_alu instid0(VALU_DEP_1)
	v_cvt_f64_f32_e32 v[3:4], v3
	global_store_b64 v[0:1], v[3:4], off
.LBB273_2112:
	s_and_not1_b32 vcc_lo, exec_lo, s0
	s_cbranch_vccnz .LBB273_2114
; %bb.2113:
	v_lshlrev_b32_e32 v3, 16, v2
	global_store_b32 v[0:1], v3, off
.LBB273_2114:
	s_mov_b32 s0, 0
.LBB273_2115:
	s_delay_alu instid0(SALU_CYCLE_1)
	s_and_not1_b32 vcc_lo, exec_lo, s0
	s_cbranch_vccnz .LBB273_2117
; %bb.2116:
	v_lshlrev_b32_e32 v3, 16, v2
	s_delay_alu instid0(VALU_DEP_1)
	v_cvt_f16_f32_e32 v3, v3
	global_store_b16 v[0:1], v3, off
.LBB273_2117:
	s_mov_b32 s0, 0
.LBB273_2118:
	s_delay_alu instid0(SALU_CYCLE_1)
	s_and_not1_b32 vcc_lo, exec_lo, s0
	s_cbranch_vccnz .LBB273_2134
; %bb.2119:
	v_cmp_gt_i16_e32 vcc_lo, 2, v6
	s_mov_b32 s0, -1
	s_cbranch_vccnz .LBB273_2129
; %bb.2120:
	v_cmp_gt_i16_e32 vcc_lo, 3, v6
	s_cbranch_vccnz .LBB273_2126
; %bb.2121:
	v_cmp_lt_i16_e32 vcc_lo, 3, v6
	s_cbranch_vccz .LBB273_2123
; %bb.2122:
	v_lshlrev_b32_e32 v3, 16, v2
	s_mov_b32 s0, 0
	s_delay_alu instid0(VALU_DEP_1) | instskip(NEXT) | instid1(VALU_DEP_1)
	v_trunc_f32_e32 v3, v3
	v_mul_f32_e64 v4, 0x2f800000, |v3|
	v_ashrrev_i32_e32 v7, 31, v3
	s_delay_alu instid0(VALU_DEP_2) | instskip(NEXT) | instid1(VALU_DEP_1)
	v_floor_f32_e32 v4, v4
	v_fma_f32 v5, 0xcf800000, v4, |v3|
	v_cvt_u32_f32_e32 v4, v4
	s_delay_alu instid0(VALU_DEP_2) | instskip(NEXT) | instid1(VALU_DEP_2)
	v_cvt_u32_f32_e32 v3, v5
	v_xor_b32_e32 v4, v4, v7
	s_delay_alu instid0(VALU_DEP_2) | instskip(NEXT) | instid1(VALU_DEP_1)
	v_xor_b32_e32 v3, v3, v7
	v_sub_co_u32 v3, vcc_lo, v3, v7
	s_delay_alu instid0(VALU_DEP_3)
	v_sub_co_ci_u32_e32 v4, vcc_lo, v4, v7, vcc_lo
	global_store_b64 v[0:1], v[3:4], off
.LBB273_2123:
	s_and_not1_b32 vcc_lo, exec_lo, s0
	s_cbranch_vccnz .LBB273_2125
; %bb.2124:
	v_lshlrev_b32_e32 v3, 16, v2
	s_delay_alu instid0(VALU_DEP_1)
	v_cvt_i32_f32_e32 v3, v3
	global_store_b32 v[0:1], v3, off
.LBB273_2125:
	s_mov_b32 s0, 0
.LBB273_2126:
	s_delay_alu instid0(SALU_CYCLE_1)
	s_and_not1_b32 vcc_lo, exec_lo, s0
	s_cbranch_vccnz .LBB273_2128
; %bb.2127:
	v_lshlrev_b32_e32 v3, 16, v2
	s_delay_alu instid0(VALU_DEP_1)
	v_cvt_i32_f32_e32 v3, v3
	global_store_b16 v[0:1], v3, off
.LBB273_2128:
	s_mov_b32 s0, 0
.LBB273_2129:
	s_delay_alu instid0(SALU_CYCLE_1)
	s_and_not1_b32 vcc_lo, exec_lo, s0
	s_cbranch_vccnz .LBB273_2134
; %bb.2130:
	v_cmp_lt_i16_e32 vcc_lo, 0, v6
	v_lshlrev_b32_e32 v2, 16, v2
	s_mov_b32 s0, -1
	s_cbranch_vccz .LBB273_2132
; %bb.2131:
	s_delay_alu instid0(VALU_DEP_1)
	v_cvt_i32_f32_e32 v3, v2
	s_mov_b32 s0, 0
	global_store_b8 v[0:1], v3, off
.LBB273_2132:
	s_and_not1_b32 vcc_lo, exec_lo, s0
	s_cbranch_vccnz .LBB273_2134
; %bb.2133:
	v_trunc_f32_e32 v2, v2
	s_delay_alu instid0(VALU_DEP_1) | instskip(NEXT) | instid1(VALU_DEP_1)
	v_mul_f32_e64 v3, 0x2f800000, |v2|
	v_floor_f32_e32 v3, v3
	s_delay_alu instid0(VALU_DEP_1) | instskip(SKIP_1) | instid1(VALU_DEP_2)
	v_fma_f32 v3, 0xcf800000, v3, |v2|
	v_ashrrev_i32_e32 v2, 31, v2
	v_cvt_u32_f32_e32 v3, v3
	s_delay_alu instid0(VALU_DEP_1) | instskip(NEXT) | instid1(VALU_DEP_1)
	v_xor_b32_e32 v3, v3, v2
	v_sub_nc_u32_e32 v2, v3, v2
	global_store_b8 v[0:1], v2, off
	s_nop 0
	s_sendmsg sendmsg(MSG_DEALLOC_VGPRS)
	s_endpgm
.LBB273_2134:
	s_nop 0
	s_sendmsg sendmsg(MSG_DEALLOC_VGPRS)
	s_endpgm
.LBB273_2135:
	s_cbranch_execnz .LBB273_2139
; %bb.2136:
	s_or_b32 s1, s1, exec_lo
                                        ; implicit-def: $vgpr11
	s_cbranch_execz .LBB273_1608
	s_branch .LBB273_1609
.LBB273_2137:
	s_or_saveexec_b32 s7, s7
                                        ; implicit-def: $sgpr10
	s_delay_alu instid0(SALU_CYCLE_1)
	s_xor_b32 exec_lo, exec_lo, s7
	s_cbranch_execz .LBB273_1688
.LBB273_2138:
	v_add_f32_e64 v10, 0x46000000, |v12|
	s_and_not1_b32 s6, s6, exec_lo
	s_mov_b32 s10, 0
	s_delay_alu instid0(VALU_DEP_1) | instskip(NEXT) | instid1(VALU_DEP_1)
	v_and_b32_e32 v10, 0xff, v10
	v_cmp_ne_u32_e32 vcc_lo, 0, v10
	s_and_b32 s11, vcc_lo, exec_lo
	s_delay_alu instid0(SALU_CYCLE_1)
	s_or_b32 s6, s6, s11
	s_or_b32 exec_lo, exec_lo, s7
	v_mov_b32_e32 v13, s10
	s_and_saveexec_b32 s7, s6
	s_cbranch_execnz .LBB273_1689
	s_branch .LBB273_1690
.LBB273_2139:
	s_trap 2
	s_sendmsg_rtn_b32 s0, sendmsg(MSG_RTN_GET_DOORBELL)
	s_mov_b32 ttmp2, m0
	s_waitcnt lgkmcnt(0)
	s_and_b32 s0, s0, 0x3ff
	s_delay_alu instid0(SALU_CYCLE_1) | instskip(NEXT) | instid1(SALU_CYCLE_1)
	s_bitset1_b32 s0, 10
	s_mov_b32 m0, s0
	s_sendmsg sendmsg(MSG_INTERRUPT)
	s_mov_b32 m0, ttmp2
.LBB273_2140:                           ; =>This Inner Loop Header: Depth=1
	s_sethalt 5
	s_branch .LBB273_2140
.LBB273_2141:
	s_cbranch_execnz .LBB273_2147
; %bb.2142:
	s_or_b32 s1, s1, exec_lo
	s_cbranch_execz .LBB273_1736
	s_branch .LBB273_1737
.LBB273_2143:
	s_or_saveexec_b32 s6, s6
                                        ; implicit-def: $sgpr7
	s_delay_alu instid0(SALU_CYCLE_1)
	s_xor_b32 exec_lo, exec_lo, s6
	s_cbranch_execz .LBB273_1701
.LBB273_2144:
	v_add_f32_e64 v10, 0x42800000, |v12|
	s_and_not1_b32 s3, s3, exec_lo
	s_mov_b32 s7, 0
	s_delay_alu instid0(VALU_DEP_1) | instskip(NEXT) | instid1(VALU_DEP_1)
	v_and_b32_e32 v10, 0xff, v10
	v_cmp_ne_u32_e32 vcc_lo, 0, v10
	s_and_b32 s10, vcc_lo, exec_lo
	s_delay_alu instid0(SALU_CYCLE_1)
	s_or_b32 s3, s3, s10
	s_or_b32 exec_lo, exec_lo, s6
	v_mov_b32_e32 v13, s7
	s_and_saveexec_b32 s6, s3
	s_cbranch_execnz .LBB273_1702
	s_branch .LBB273_1703
.LBB273_2145:
	s_or_saveexec_b32 s7, s7
                                        ; implicit-def: $sgpr10
	s_delay_alu instid0(SALU_CYCLE_1)
	s_xor_b32 exec_lo, exec_lo, s7
	s_cbranch_execz .LBB273_1806
.LBB273_2146:
	v_add_f32_e64 v8, 0x46000000, |v9|
	s_and_not1_b32 s6, s6, exec_lo
	s_mov_b32 s10, 0
	s_delay_alu instid0(VALU_DEP_1) | instskip(NEXT) | instid1(VALU_DEP_1)
	v_and_b32_e32 v8, 0xff, v8
	v_cmp_ne_u32_e32 vcc_lo, 0, v8
	s_and_b32 s11, vcc_lo, exec_lo
	s_delay_alu instid0(SALU_CYCLE_1)
	s_or_b32 s6, s6, s11
	s_or_b32 exec_lo, exec_lo, s7
	v_mov_b32_e32 v10, s10
	s_and_saveexec_b32 s7, s6
	s_cbranch_execnz .LBB273_1807
	s_branch .LBB273_1808
.LBB273_2147:
	s_trap 2
	s_sendmsg_rtn_b32 s0, sendmsg(MSG_RTN_GET_DOORBELL)
	s_mov_b32 ttmp2, m0
	s_waitcnt lgkmcnt(0)
	s_and_b32 s0, s0, 0x3ff
	s_delay_alu instid0(SALU_CYCLE_1) | instskip(NEXT) | instid1(SALU_CYCLE_1)
	s_bitset1_b32 s0, 10
	s_mov_b32 m0, s0
	s_sendmsg sendmsg(MSG_INTERRUPT)
	s_mov_b32 m0, ttmp2
.LBB273_2148:                           ; =>This Inner Loop Header: Depth=1
	s_sethalt 5
	s_branch .LBB273_2148
.LBB273_2149:
	s_cbranch_execnz .LBB273_2155
; %bb.2150:
	s_or_b32 s1, s1, exec_lo
	s_cbranch_execz .LBB273_1854
	s_branch .LBB273_1855
.LBB273_2151:
	s_or_saveexec_b32 s6, s6
                                        ; implicit-def: $sgpr7
	s_delay_alu instid0(SALU_CYCLE_1)
	s_xor_b32 exec_lo, exec_lo, s6
	s_cbranch_execz .LBB273_1819
.LBB273_2152:
	v_add_f32_e64 v8, 0x42800000, |v9|
	s_and_not1_b32 s3, s3, exec_lo
	s_mov_b32 s7, 0
	s_delay_alu instid0(VALU_DEP_1) | instskip(NEXT) | instid1(VALU_DEP_1)
	v_and_b32_e32 v8, 0xff, v8
	v_cmp_ne_u32_e32 vcc_lo, 0, v8
	s_and_b32 s10, vcc_lo, exec_lo
	s_delay_alu instid0(SALU_CYCLE_1)
	s_or_b32 s3, s3, s10
	s_or_b32 exec_lo, exec_lo, s6
	v_mov_b32_e32 v10, s7
	s_and_saveexec_b32 s6, s3
	s_cbranch_execnz .LBB273_1820
	s_branch .LBB273_1821
.LBB273_2153:
	s_or_saveexec_b32 s7, s7
                                        ; implicit-def: $sgpr10
	s_delay_alu instid0(SALU_CYCLE_1)
	s_xor_b32 exec_lo, exec_lo, s7
	s_cbranch_execz .LBB273_1924
.LBB273_2154:
	v_add_f32_e64 v5, 0x46000000, |v7|
	s_and_not1_b32 s6, s6, exec_lo
	s_mov_b32 s10, 0
	s_delay_alu instid0(VALU_DEP_1) | instskip(NEXT) | instid1(VALU_DEP_1)
	v_and_b32_e32 v5, 0xff, v5
	v_cmp_ne_u32_e32 vcc_lo, 0, v5
	s_and_b32 s11, vcc_lo, exec_lo
	s_delay_alu instid0(SALU_CYCLE_1)
	s_or_b32 s6, s6, s11
	s_or_b32 exec_lo, exec_lo, s7
	v_mov_b32_e32 v8, s10
	s_and_saveexec_b32 s7, s6
	s_cbranch_execnz .LBB273_1925
	s_branch .LBB273_1926
.LBB273_2155:
	s_trap 2
	s_sendmsg_rtn_b32 s0, sendmsg(MSG_RTN_GET_DOORBELL)
	s_mov_b32 ttmp2, m0
	s_waitcnt lgkmcnt(0)
	s_and_b32 s0, s0, 0x3ff
	s_delay_alu instid0(SALU_CYCLE_1) | instskip(NEXT) | instid1(SALU_CYCLE_1)
	s_bitset1_b32 s0, 10
	s_mov_b32 m0, s0
	s_sendmsg sendmsg(MSG_INTERRUPT)
	s_mov_b32 m0, ttmp2
.LBB273_2156:                           ; =>This Inner Loop Header: Depth=1
	s_sethalt 5
	s_branch .LBB273_2156
.LBB273_2157:
	s_cbranch_execnz .LBB273_2163
; %bb.2158:
	s_or_b32 s1, s1, exec_lo
	s_cbranch_execz .LBB273_1972
	s_branch .LBB273_1973
.LBB273_2159:
	s_or_saveexec_b32 s6, s6
                                        ; implicit-def: $sgpr7
	s_delay_alu instid0(SALU_CYCLE_1)
	s_xor_b32 exec_lo, exec_lo, s6
	s_cbranch_execz .LBB273_1937
.LBB273_2160:
	v_add_f32_e64 v5, 0x42800000, |v7|
	s_and_not1_b32 s3, s3, exec_lo
	s_mov_b32 s7, 0
	s_delay_alu instid0(VALU_DEP_1) | instskip(NEXT) | instid1(VALU_DEP_1)
	v_and_b32_e32 v5, 0xff, v5
	v_cmp_ne_u32_e32 vcc_lo, 0, v5
	s_and_b32 s10, vcc_lo, exec_lo
	s_delay_alu instid0(SALU_CYCLE_1)
	s_or_b32 s3, s3, s10
	s_or_b32 exec_lo, exec_lo, s6
	v_mov_b32_e32 v8, s7
	s_and_saveexec_b32 s6, s3
	s_cbranch_execnz .LBB273_1938
	s_branch .LBB273_1939
.LBB273_2161:
	s_or_saveexec_b32 s5, s5
                                        ; implicit-def: $sgpr6
	s_delay_alu instid0(SALU_CYCLE_1)
	s_xor_b32 exec_lo, exec_lo, s5
	s_cbranch_execz .LBB273_2043
.LBB273_2162:
	v_add_f32_e64 v4, 0x46000000, |v5|
	s_and_not1_b32 s4, s4, exec_lo
	s_mov_b32 s6, 0
	s_delay_alu instid0(VALU_DEP_1) | instskip(NEXT) | instid1(VALU_DEP_1)
	v_and_b32_e32 v4, 0xff, v4
	v_cmp_ne_u32_e32 vcc_lo, 0, v4
	s_and_b32 s7, vcc_lo, exec_lo
	s_delay_alu instid0(SALU_CYCLE_1)
	s_or_b32 s4, s4, s7
	s_or_b32 exec_lo, exec_lo, s5
	v_mov_b32_e32 v7, s6
	s_and_saveexec_b32 s5, s4
	s_cbranch_execnz .LBB273_2044
	s_branch .LBB273_2045
.LBB273_2163:
	s_trap 2
	s_sendmsg_rtn_b32 s0, sendmsg(MSG_RTN_GET_DOORBELL)
	s_mov_b32 ttmp2, m0
	s_waitcnt lgkmcnt(0)
	s_and_b32 s0, s0, 0x3ff
	s_delay_alu instid0(SALU_CYCLE_1) | instskip(NEXT) | instid1(SALU_CYCLE_1)
	s_bitset1_b32 s0, 10
	s_mov_b32 m0, s0
	s_sendmsg sendmsg(MSG_INTERRUPT)
	s_mov_b32 m0, ttmp2
.LBB273_2164:                           ; =>This Inner Loop Header: Depth=1
	s_sethalt 5
	s_branch .LBB273_2164
.LBB273_2165:
	s_cbranch_execnz .LBB273_2169
; %bb.2166:
	s_mov_b32 s2, 0
	s_or_b32 s1, s1, exec_lo
	s_branch .LBB273_2089
.LBB273_2167:
	s_or_saveexec_b32 s4, s4
                                        ; implicit-def: $sgpr5
	s_delay_alu instid0(SALU_CYCLE_1)
	s_xor_b32 exec_lo, exec_lo, s4
	s_cbranch_execz .LBB273_2055
.LBB273_2168:
	v_add_f32_e64 v4, 0x42800000, |v5|
	s_and_not1_b32 s3, s3, exec_lo
	s_mov_b32 s5, 0
	s_delay_alu instid0(VALU_DEP_1) | instskip(NEXT) | instid1(VALU_DEP_1)
	v_and_b32_e32 v4, 0xff, v4
	v_cmp_ne_u32_e32 vcc_lo, 0, v4
	s_and_b32 s6, vcc_lo, exec_lo
	s_delay_alu instid0(SALU_CYCLE_1)
	s_or_b32 s3, s3, s6
	s_or_b32 exec_lo, exec_lo, s4
	v_mov_b32_e32 v7, s5
	s_and_saveexec_b32 s4, s3
	s_cbranch_execnz .LBB273_2056
	s_branch .LBB273_2057
.LBB273_2169:
	s_trap 2
	s_sendmsg_rtn_b32 s0, sendmsg(MSG_RTN_GET_DOORBELL)
	s_mov_b32 ttmp2, m0
	s_waitcnt lgkmcnt(0)
	s_and_b32 s0, s0, 0x3ff
	s_delay_alu instid0(SALU_CYCLE_1) | instskip(NEXT) | instid1(SALU_CYCLE_1)
	s_bitset1_b32 s0, 10
	s_mov_b32 m0, s0
	s_sendmsg sendmsg(MSG_INTERRUPT)
	s_mov_b32 m0, ttmp2
.LBB273_2170:                           ; =>This Inner Loop Header: Depth=1
	s_sethalt 5
	s_branch .LBB273_2170
	.section	.rodata,"a",@progbits
	.p2align	6, 0x0
	.amdhsa_kernel _ZN2at6native32elementwise_kernel_manual_unrollILi128ELi4EZNS0_15gpu_kernel_implIZZZNS0_16sqrt_kernel_cudaERNS_18TensorIteratorBaseEENKUlvE0_clEvENKUlvE2_clEvEUlN3c108BFloat16EE_EEvS4_RKT_EUlibE0_EEviT1_
		.amdhsa_group_segment_fixed_size 0
		.amdhsa_private_segment_fixed_size 0
		.amdhsa_kernarg_size 360
		.amdhsa_user_sgpr_count 15
		.amdhsa_user_sgpr_dispatch_ptr 0
		.amdhsa_user_sgpr_queue_ptr 0
		.amdhsa_user_sgpr_kernarg_segment_ptr 1
		.amdhsa_user_sgpr_dispatch_id 0
		.amdhsa_user_sgpr_private_segment_size 0
		.amdhsa_wavefront_size32 1
		.amdhsa_uses_dynamic_stack 0
		.amdhsa_enable_private_segment 0
		.amdhsa_system_sgpr_workgroup_id_x 1
		.amdhsa_system_sgpr_workgroup_id_y 0
		.amdhsa_system_sgpr_workgroup_id_z 0
		.amdhsa_system_sgpr_workgroup_info 0
		.amdhsa_system_vgpr_workitem_id 0
		.amdhsa_next_free_vgpr 18
		.amdhsa_next_free_sgpr 68
		.amdhsa_reserve_vcc 1
		.amdhsa_float_round_mode_32 0
		.amdhsa_float_round_mode_16_64 0
		.amdhsa_float_denorm_mode_32 3
		.amdhsa_float_denorm_mode_16_64 3
		.amdhsa_dx10_clamp 1
		.amdhsa_ieee_mode 1
		.amdhsa_fp16_overflow 0
		.amdhsa_workgroup_processor_mode 1
		.amdhsa_memory_ordered 1
		.amdhsa_forward_progress 0
		.amdhsa_shared_vgpr_count 0
		.amdhsa_exception_fp_ieee_invalid_op 0
		.amdhsa_exception_fp_denorm_src 0
		.amdhsa_exception_fp_ieee_div_zero 0
		.amdhsa_exception_fp_ieee_overflow 0
		.amdhsa_exception_fp_ieee_underflow 0
		.amdhsa_exception_fp_ieee_inexact 0
		.amdhsa_exception_int_div_zero 0
	.end_amdhsa_kernel
	.section	.text._ZN2at6native32elementwise_kernel_manual_unrollILi128ELi4EZNS0_15gpu_kernel_implIZZZNS0_16sqrt_kernel_cudaERNS_18TensorIteratorBaseEENKUlvE0_clEvENKUlvE2_clEvEUlN3c108BFloat16EE_EEvS4_RKT_EUlibE0_EEviT1_,"axG",@progbits,_ZN2at6native32elementwise_kernel_manual_unrollILi128ELi4EZNS0_15gpu_kernel_implIZZZNS0_16sqrt_kernel_cudaERNS_18TensorIteratorBaseEENKUlvE0_clEvENKUlvE2_clEvEUlN3c108BFloat16EE_EEvS4_RKT_EUlibE0_EEviT1_,comdat
.Lfunc_end273:
	.size	_ZN2at6native32elementwise_kernel_manual_unrollILi128ELi4EZNS0_15gpu_kernel_implIZZZNS0_16sqrt_kernel_cudaERNS_18TensorIteratorBaseEENKUlvE0_clEvENKUlvE2_clEvEUlN3c108BFloat16EE_EEvS4_RKT_EUlibE0_EEviT1_, .Lfunc_end273-_ZN2at6native32elementwise_kernel_manual_unrollILi128ELi4EZNS0_15gpu_kernel_implIZZZNS0_16sqrt_kernel_cudaERNS_18TensorIteratorBaseEENKUlvE0_clEvENKUlvE2_clEvEUlN3c108BFloat16EE_EEvS4_RKT_EUlibE0_EEviT1_
                                        ; -- End function
	.section	.AMDGPU.csdata,"",@progbits
; Kernel info:
; codeLenInByte = 49264
; NumSgprs: 70
; NumVgprs: 18
; ScratchSize: 0
; MemoryBound: 0
; FloatMode: 240
; IeeeMode: 1
; LDSByteSize: 0 bytes/workgroup (compile time only)
; SGPRBlocks: 8
; VGPRBlocks: 2
; NumSGPRsForWavesPerEU: 70
; NumVGPRsForWavesPerEU: 18
; Occupancy: 16
; WaveLimiterHint : 1
; COMPUTE_PGM_RSRC2:SCRATCH_EN: 0
; COMPUTE_PGM_RSRC2:USER_SGPR: 15
; COMPUTE_PGM_RSRC2:TRAP_HANDLER: 0
; COMPUTE_PGM_RSRC2:TGID_X_EN: 1
; COMPUTE_PGM_RSRC2:TGID_Y_EN: 0
; COMPUTE_PGM_RSRC2:TGID_Z_EN: 0
; COMPUTE_PGM_RSRC2:TIDIG_COMP_CNT: 0
	.section	.text._ZN2at6native29vectorized_elementwise_kernelILi16EZZZNS0_17clamp_kernel_cudaERNS_18TensorIteratorBaseERKN3c106ScalarES7_ENKUlvE_clEvENKUlvE_clEvEUlhE_St5arrayIPcLm2EEEEviT0_T1_,"axG",@progbits,_ZN2at6native29vectorized_elementwise_kernelILi16EZZZNS0_17clamp_kernel_cudaERNS_18TensorIteratorBaseERKN3c106ScalarES7_ENKUlvE_clEvENKUlvE_clEvEUlhE_St5arrayIPcLm2EEEEviT0_T1_,comdat
	.globl	_ZN2at6native29vectorized_elementwise_kernelILi16EZZZNS0_17clamp_kernel_cudaERNS_18TensorIteratorBaseERKN3c106ScalarES7_ENKUlvE_clEvENKUlvE_clEvEUlhE_St5arrayIPcLm2EEEEviT0_T1_ ; -- Begin function _ZN2at6native29vectorized_elementwise_kernelILi16EZZZNS0_17clamp_kernel_cudaERNS_18TensorIteratorBaseERKN3c106ScalarES7_ENKUlvE_clEvENKUlvE_clEvEUlhE_St5arrayIPcLm2EEEEviT0_T1_
	.p2align	8
	.type	_ZN2at6native29vectorized_elementwise_kernelILi16EZZZNS0_17clamp_kernel_cudaERNS_18TensorIteratorBaseERKN3c106ScalarES7_ENKUlvE_clEvENKUlvE_clEvEUlhE_St5arrayIPcLm2EEEEviT0_T1_,@function
_ZN2at6native29vectorized_elementwise_kernelILi16EZZZNS0_17clamp_kernel_cudaERNS_18TensorIteratorBaseERKN3c106ScalarES7_ENKUlvE_clEvENKUlvE_clEvEUlhE_St5arrayIPcLm2EEEEviT0_T1_: ; @_ZN2at6native29vectorized_elementwise_kernelILi16EZZZNS0_17clamp_kernel_cudaERNS_18TensorIteratorBaseERKN3c106ScalarES7_ENKUlvE_clEvENKUlvE_clEvEUlhE_St5arrayIPcLm2EEEEviT0_T1_
; %bb.0:
	v_mov_b32_e32 v1, 0
	s_clause 0x1
	s_load_b32 s2, s[0:1], 0x0
	s_load_b128 s[4:7], s[0:1], 0x8
	global_load_u16 v2, v1, s[0:1] offset:4
	s_lshl_b32 s1, s15, 12
	s_mov_b32 s0, -1
	s_waitcnt lgkmcnt(0)
	s_sub_i32 s2, s2, s1
	s_delay_alu instid0(SALU_CYCLE_1) | instskip(SKIP_3) | instid1(VALU_DEP_2)
	s_cmpk_gt_i32 s2, 0xfff
	s_waitcnt vmcnt(0)
	v_and_b32_e32 v1, 0xffff, v2
	v_and_b32_e32 v2, 0xff, v2
	v_lshrrev_b32_e32 v1, 8, v1
	s_cbranch_scc0 .LBB274_2
; %bb.1:
	v_lshlrev_b32_e32 v7, 4, v0
	s_ashr_i32 s0, s1, 31
	s_add_u32 s8, s6, s1
	s_addc_u32 s9, s7, s0
	global_load_b128 v[3:6], v7, s[8:9]
	s_add_u32 s8, s4, s1
	s_addc_u32 s9, s5, s0
	s_mov_b32 s0, 0
	s_waitcnt vmcnt(0)
	v_lshrrev_b32_e32 v9, 8, v3
	v_lshrrev_b32_e32 v12, 8, v4
	;; [unrolled: 1-line block ×4, first 2 shown]
	v_and_b32_e32 v8, 0xff, v3
	v_lshrrev_b32_e32 v10, 16, v3
	v_lshrrev_b32_e32 v3, 24, v3
	v_and_b32_e32 v11, 0xff, v4
	v_lshrrev_b32_e32 v13, 16, v4
	v_lshrrev_b32_e32 v4, 24, v4
	v_and_b32_e32 v14, 0xff, v5
	v_lshrrev_b32_e32 v16, 16, v5
	v_lshrrev_b32_e32 v5, 24, v5
	v_and_b32_e32 v17, 0xff, v6
	v_lshrrev_b32_e32 v19, 16, v6
	v_lshrrev_b32_e32 v6, 24, v6
	v_and_b32_e32 v9, 0xff, v9
	v_and_b32_e32 v12, 0xff, v12
	;; [unrolled: 1-line block ×8, first 2 shown]
	v_max_u16 v3, v3, v2
	v_max_u16 v4, v4, v2
	;; [unrolled: 1-line block ×13, first 2 shown]
	v_min_u16 v3, v3, v1
	v_max_u16 v13, v13, v2
	v_min_u16 v4, v4, v1
	v_max_u16 v16, v16, v2
	v_min_u16 v5, v5, v1
	v_max_u16 v19, v19, v2
	v_min_u16 v6, v6, v1
	v_min_u16 v9, v9, v1
	;; [unrolled: 1-line block ×13, first 2 shown]
	v_lshlrev_b16 v6, 8, v6
	v_lshlrev_b16 v5, 8, v5
	;; [unrolled: 1-line block ×8, first 2 shown]
	v_or_b32_e32 v6, v19, v6
	v_or_b32_e32 v5, v16, v5
	v_or_b32_e32 v4, v13, v4
	v_or_b32_e32 v3, v10, v3
	v_or_b32_e32 v10, v17, v18
	v_or_b32_e32 v13, v14, v15
	v_or_b32_e32 v11, v11, v12
	v_or_b32_e32 v8, v8, v9
	v_lshlrev_b32_e32 v6, 16, v6
	v_lshlrev_b32_e32 v5, 16, v5
	;; [unrolled: 1-line block ×4, first 2 shown]
	v_and_b32_e32 v9, 0xffff, v10
	v_and_b32_e32 v10, 0xffff, v13
	v_and_b32_e32 v11, 0xffff, v11
	v_and_b32_e32 v8, 0xffff, v8
	s_delay_alu instid0(VALU_DEP_4) | instskip(NEXT) | instid1(VALU_DEP_4)
	v_or_b32_e32 v6, v9, v6
	v_or_b32_e32 v5, v10, v5
	s_delay_alu instid0(VALU_DEP_4) | instskip(NEXT) | instid1(VALU_DEP_4)
	v_or_b32_e32 v4, v11, v4
	v_or_b32_e32 v3, v8, v3
	global_store_b128 v7, v[3:6], s[8:9]
.LBB274_2:
	s_and_not1_b32 vcc_lo, exec_lo, s0
	s_cbranch_vccnz .LBB274_52
; %bb.3:
	v_cmp_gt_i32_e32 vcc_lo, s2, v0
	v_dual_mov_b32 v5, 0 :: v_dual_mov_b32 v6, 0
	v_or_b32_e32 v3, s1, v0
	v_or_b32_e32 v4, 0x100, v0
	v_mov_b32_e32 v13, v0
	s_and_saveexec_b32 s0, vcc_lo
	s_cbranch_execz .LBB274_5
; %bb.4:
	global_load_u8 v6, v3, s[6:7]
	v_or_b32_e32 v13, 0x100, v0
.LBB274_5:
	s_or_b32 exec_lo, exec_lo, s0
	s_delay_alu instid0(SALU_CYCLE_1) | instskip(NEXT) | instid1(VALU_DEP_1)
	s_mov_b32 s3, exec_lo
	v_cmpx_gt_i32_e64 s2, v13
	s_cbranch_execz .LBB274_7
; %bb.6:
	v_add_nc_u32_e32 v5, s1, v13
	v_add_nc_u32_e32 v13, 0x100, v13
	global_load_u8 v5, v5, s[6:7]
.LBB274_7:
	s_or_b32 exec_lo, exec_lo, s3
	v_dual_mov_b32 v10, 0 :: v_dual_mov_b32 v11, 0
	s_mov_b32 s3, exec_lo
	v_cmpx_gt_i32_e64 s2, v13
	s_cbranch_execz .LBB274_9
; %bb.8:
	v_add_nc_u32_e32 v7, s1, v13
	v_add_nc_u32_e32 v13, 0x100, v13
	global_load_u8 v11, v7, s[6:7]
.LBB274_9:
	s_or_b32 exec_lo, exec_lo, s3
	s_delay_alu instid0(SALU_CYCLE_1)
	s_mov_b32 s3, exec_lo
	v_cmpx_gt_i32_e64 s2, v13
	s_cbranch_execz .LBB274_11
; %bb.10:
	v_add_nc_u32_e32 v7, s1, v13
	v_add_nc_u32_e32 v13, 0x100, v13
	global_load_u8 v10, v7, s[6:7]
.LBB274_11:
	s_or_b32 exec_lo, exec_lo, s3
	v_mov_b32_e32 v14, 0
	v_mov_b32_e32 v16, 0
	s_mov_b32 s3, exec_lo
	v_cmpx_gt_i32_e64 s2, v13
	s_cbranch_execz .LBB274_13
; %bb.12:
	v_add_nc_u32_e32 v7, s1, v13
	v_add_nc_u32_e32 v13, 0x100, v13
	global_load_u8 v16, v7, s[6:7]
.LBB274_13:
	s_or_b32 exec_lo, exec_lo, s3
	s_delay_alu instid0(SALU_CYCLE_1)
	s_mov_b32 s3, exec_lo
	v_cmpx_gt_i32_e64 s2, v13
	s_cbranch_execz .LBB274_15
; %bb.14:
	v_add_nc_u32_e32 v7, s1, v13
	v_add_nc_u32_e32 v13, 0x100, v13
	global_load_u8 v14, v7, s[6:7]
.LBB274_15:
	s_or_b32 exec_lo, exec_lo, s3
	v_dual_mov_b32 v15, 0 :: v_dual_mov_b32 v18, 0
	s_mov_b32 s3, exec_lo
	v_cmpx_gt_i32_e64 s2, v13
	s_cbranch_execz .LBB274_17
; %bb.16:
	v_add_nc_u32_e32 v7, s1, v13
	v_add_nc_u32_e32 v13, 0x100, v13
	global_load_u8 v18, v7, s[6:7]
.LBB274_17:
	s_or_b32 exec_lo, exec_lo, s3
	s_delay_alu instid0(SALU_CYCLE_1)
	s_mov_b32 s3, exec_lo
	v_cmpx_gt_i32_e64 s2, v13
	s_cbranch_execz .LBB274_19
; %bb.18:
	v_add_nc_u32_e32 v7, s1, v13
	v_add_nc_u32_e32 v13, 0x100, v13
	global_load_u8 v15, v7, s[6:7]
.LBB274_19:
	s_or_b32 exec_lo, exec_lo, s3
	v_dual_mov_b32 v8, 0 :: v_dual_mov_b32 v9, 0
	;; [unrolled: 20-line block ×4, first 2 shown]
	s_mov_b32 s3, exec_lo
	v_cmpx_gt_i32_e64 s2, v13
	s_cbranch_execz .LBB274_29
; %bb.28:
	v_add_nc_u32_e32 v17, s1, v13
	v_add_nc_u32_e32 v13, 0x100, v13
	global_load_u8 v21, v17, s[6:7]
.LBB274_29:
	s_or_b32 exec_lo, exec_lo, s3
	s_delay_alu instid0(SALU_CYCLE_1)
	s_mov_b32 s3, exec_lo
	v_cmpx_gt_i32_e64 s2, v13
	s_cbranch_execz .LBB274_31
; %bb.30:
	v_add_nc_u32_e32 v17, s1, v13
	v_add_nc_u32_e32 v13, 0x100, v13
	global_load_u8 v20, v17, s[6:7]
.LBB274_31:
	s_or_b32 exec_lo, exec_lo, s3
	v_mov_b32_e32 v17, 0
	v_mov_b32_e32 v19, 0
	s_mov_b32 s3, exec_lo
	v_cmpx_gt_i32_e64 s2, v13
	s_cbranch_execz .LBB274_33
; %bb.32:
	v_add_nc_u32_e32 v19, s1, v13
	v_add_nc_u32_e32 v13, 0x100, v13
	global_load_u8 v19, v19, s[6:7]
.LBB274_33:
	s_or_b32 exec_lo, exec_lo, s3
	s_delay_alu instid0(SALU_CYCLE_1)
	s_mov_b32 s3, exec_lo
	v_cmpx_gt_i32_e64 s2, v13
	s_cbranch_execz .LBB274_35
; %bb.34:
	v_add_nc_u32_e32 v13, s1, v13
	global_load_u8 v17, v13, s[6:7]
.LBB274_35:
	s_or_b32 exec_lo, exec_lo, s3
	s_waitcnt vmcnt(0)
	v_and_b32_e32 v13, 0xff, v16
	v_or_b32_e32 v22, 0x400, v0
	v_and_b32_e32 v14, 0xff, v14
	v_and_b32_e32 v5, 0xff, v5
	;; [unrolled: 1-line block ×3, first 2 shown]
	v_max_u16 v13, v13, v2
	v_cmp_gt_i32_e64 s0, s2, v22
	v_max_u16 v14, v14, v2
	v_max_u16 v5, v5, v2
	;; [unrolled: 1-line block ×3, first 2 shown]
	v_min_u16 v13, v13, v1
	v_and_b32_e32 v11, 0xff, v11
	v_min_u16 v14, v14, v1
	v_min_u16 v5, v5, v1
	v_or_b32_e32 v23, 0x500, v0
	v_and_b32_e32 v13, 0xffff, v13
	v_min_u16 v6, v6, v1
	v_lshlrev_b16 v14, 8, v14
	v_lshlrev_b16 v5, 8, v5
	v_max_u16 v11, v11, v2
	v_cndmask_b32_e64 v13, 0, v13, s0
	v_cmp_gt_i32_e64 s0, s2, v23
	v_and_b32_e32 v18, 0xff, v18
	v_or_b32_e32 v5, v6, v5
	v_and_b32_e32 v21, 0xff, v21
	v_and_b32_e32 v25, 0xff, v13
	v_min_u16 v11, v11, v1
	v_and_b32_e32 v6, 0xffff, v6
	v_and_b32_e32 v5, 0xffff, v5
	v_or_b32_e32 v16, 0x200, v0
	v_or_b32_e32 v14, v25, v14
	v_and_b32_e32 v20, 0xff, v20
	v_max_u16 v18, v18, v2
	v_max_u16 v21, v21, v2
	v_lshlrev_b32_e32 v11, 16, v11
	v_and_b32_e32 v14, 0xffff, v14
	v_or_b32_e32 v22, 0xc00, v0
	v_min_u16 v18, v18, v1
	v_or_b32_e32 v24, 0x600, v0
	v_and_b32_e32 v8, 0xff, v8
	v_cndmask_b32_e64 v13, v13, v14, s0
	v_cmp_gt_i32_e64 s0, s2, v4
	v_and_b32_e32 v9, 0xff, v9
	v_and_b32_e32 v10, 0xff, v10
	v_max_u16 v8, v8, v2
	v_lshrrev_b32_e32 v14, 16, v13
	v_cndmask_b32_e64 v5, v6, v5, s0
	v_max_u16 v6, v20, v2
	v_min_u16 v20, v21, v1
	v_cmp_gt_i32_e64 s0, s2, v16
	v_and_b32_e32 v14, 0xffffff00, v14
	v_or_b32_e32 v11, v5, v11
	v_min_u16 v6, v6, v1
	v_and_b32_e32 v20, 0xffff, v20
	v_max_u16 v9, v9, v2
	v_min_u16 v8, v8, v1
	v_cndmask_b32_e64 v5, v5, v11, s0
	v_or_b32_e32 v11, v18, v14
	v_cmp_gt_i32_e64 s0, s2, v22
	v_lshlrev_b16 v6, 8, v6
	v_max_u16 v10, v10, v2
	v_min_u16 v9, v9, v1
	v_lshlrev_b32_e32 v11, 16, v11
	v_cndmask_b32_e64 v14, 0, v20, s0
	v_cmp_gt_i32_e64 s0, s2, v24
	v_lshlrev_b16 v8, 8, v8
	v_and_b32_e32 v12, 0xff, v12
	v_and_or_b32 v11, 0xffff, v13, v11
	v_and_b32_e32 v18, 0xff, v14
	v_and_b32_e32 v15, 0xff, v15
	v_min_u16 v10, v10, v1
	v_lshrrev_b32_e32 v16, 16, v5
	v_cndmask_b32_e64 v11, v13, v11, s0
	v_or_b32_e32 v6, v18, v6
	v_or_b32_e32 v13, 0xd00, v0
	v_and_b32_e32 v18, 0xffff, v9
	v_or_b32_e32 v8, v9, v8
	v_max_u16 v9, v12, v2
	v_and_b32_e32 v6, 0xffff, v6
	v_cmp_gt_i32_e64 s0, s2, v13
	v_and_b32_e32 v13, 0xff, v19
	v_lshlrev_b16 v10, 8, v10
	v_and_b32_e32 v16, 0xff, v16
	v_and_b32_e32 v8, 0xffff, v8
	v_cndmask_b32_e64 v6, v14, v6, s0
	v_max_u16 v13, v13, v2
	v_min_u16 v9, v9, v1
	v_max_u16 v15, v15, v2
	v_or_b32_e32 v10, v16, v10
	v_lshrrev_b32_e32 v14, 16, v6
	v_min_u16 v13, v13, v1
	v_lshrrev_b32_e32 v16, 16, v11
	v_lshlrev_b32_e32 v9, 16, v9
	v_and_b32_e32 v7, 0xff, v7
	v_and_b32_e32 v12, 0xffffff00, v14
	v_or_b32_e32 v14, 0x900, v0
	v_and_b32_e32 v17, 0xff, v17
	v_lshlrev_b32_e32 v10, 16, v10
	v_max_u16 v7, v7, v2
	v_or_b32_e32 v12, v13, v12
	v_cmp_gt_i32_e64 s0, s2, v14
	v_min_u16 v14, v15, v1
	v_or_b32_e32 v15, 0xa00, v0
	v_and_b32_e32 v13, 0xff, v16
	v_lshlrev_b32_e32 v12, 16, v12
	v_cndmask_b32_e64 v8, v18, v8, s0
	v_or_b32_e32 v16, 0xe00, v0
	v_cmp_gt_i32_e64 s0, s2, v15
	v_max_u16 v2, v17, v2
	v_and_or_b32 v12, 0xffff, v6, v12
	v_or_b32_e32 v9, v8, v9
	v_min_u16 v7, v7, v1
	v_and_or_b32 v10, 0xffff, v5, v10
	v_min_u16 v1, v2, v1
	s_delay_alu instid0(VALU_DEP_4) | instskip(SKIP_2) | instid1(VALU_DEP_4)
	v_cndmask_b32_e64 v8, v8, v9, s0
	v_cmp_gt_i32_e64 s0, s2, v16
	v_lshlrev_b16 v7, 8, v7
	v_lshlrev_b16 v1, 8, v1
	s_delay_alu instid0(VALU_DEP_3) | instskip(SKIP_2) | instid1(VALU_DEP_3)
	v_cndmask_b32_e64 v9, v6, v12, s0
	v_lshlrev_b16 v6, 8, v14
	v_lshrrev_b32_e32 v12, 16, v8
	v_lshrrev_b32_e32 v14, 16, v9
	s_delay_alu instid0(VALU_DEP_3) | instskip(NEXT) | instid1(VALU_DEP_3)
	v_or_b32_e32 v2, v13, v6
	v_and_b32_e32 v6, 0xff, v12
	v_or_b32_e32 v13, 0x300, v0
	s_delay_alu instid0(VALU_DEP_4) | instskip(NEXT) | instid1(VALU_DEP_4)
	v_and_b32_e32 v12, 0xff, v14
	v_lshlrev_b32_e32 v2, 16, v2
	s_delay_alu instid0(VALU_DEP_4) | instskip(NEXT) | instid1(VALU_DEP_4)
	v_or_b32_e32 v7, v6, v7
	v_cmp_gt_i32_e64 s0, s2, v13
	v_or_b32_e32 v13, 0xf00, v0
	v_or_b32_e32 v1, v12, v1
	v_and_or_b32 v2, 0xffff, v11, v2
	s_delay_alu instid0(VALU_DEP_4) | instskip(SKIP_4) | instid1(VALU_DEP_4)
	v_cndmask_b32_e64 v6, v5, v10, s0
	v_lshlrev_b32_e32 v5, 16, v7
	v_or_b32_e32 v7, 0x700, v0
	v_or_b32_e32 v10, 0xb00, v0
	v_lshlrev_b32_e32 v1, 16, v1
	v_and_or_b32 v12, 0xffff, v8, v5
	s_delay_alu instid0(VALU_DEP_4) | instskip(NEXT) | instid1(VALU_DEP_3)
	v_cmp_gt_i32_e64 s0, s2, v7
	v_and_or_b32 v1, 0xffff, v9, v1
	s_delay_alu instid0(VALU_DEP_2) | instskip(SKIP_1) | instid1(VALU_DEP_1)
	v_cndmask_b32_e64 v5, v11, v2, s0
	v_cmp_gt_i32_e64 s0, s2, v10
	v_cndmask_b32_e64 v2, v8, v12, s0
	v_cmp_gt_i32_e64 s0, s2, v13
	s_delay_alu instid0(VALU_DEP_1)
	v_cndmask_b32_e64 v1, v9, v1, s0
	s_and_saveexec_b32 s0, vcc_lo
	s_cbranch_execnz .LBB274_53
; %bb.36:
	s_or_b32 exec_lo, exec_lo, s0
	s_delay_alu instid0(SALU_CYCLE_1)
	s_mov_b32 s0, exec_lo
	v_cmpx_gt_i32_e64 s2, v0
	s_cbranch_execnz .LBB274_54
.LBB274_37:
	s_or_b32 exec_lo, exec_lo, s0
	s_delay_alu instid0(SALU_CYCLE_1)
	s_mov_b32 s0, exec_lo
	v_cmpx_gt_i32_e64 s2, v0
	s_cbranch_execnz .LBB274_55
.LBB274_38:
	s_or_b32 exec_lo, exec_lo, s0
	s_delay_alu instid0(SALU_CYCLE_1)
	s_mov_b32 s0, exec_lo
	v_cmpx_gt_i32_e64 s2, v0
	s_cbranch_execnz .LBB274_56
.LBB274_39:
	s_or_b32 exec_lo, exec_lo, s0
	s_delay_alu instid0(SALU_CYCLE_1)
	s_mov_b32 s0, exec_lo
	v_cmpx_gt_i32_e64 s2, v0
	s_cbranch_execnz .LBB274_57
.LBB274_40:
	s_or_b32 exec_lo, exec_lo, s0
	s_delay_alu instid0(SALU_CYCLE_1)
	s_mov_b32 s0, exec_lo
	v_cmpx_gt_i32_e64 s2, v0
	s_cbranch_execnz .LBB274_58
.LBB274_41:
	s_or_b32 exec_lo, exec_lo, s0
	s_delay_alu instid0(SALU_CYCLE_1)
	s_mov_b32 s0, exec_lo
	v_cmpx_gt_i32_e64 s2, v0
	s_cbranch_execnz .LBB274_59
.LBB274_42:
	s_or_b32 exec_lo, exec_lo, s0
	s_delay_alu instid0(SALU_CYCLE_1)
	s_mov_b32 s0, exec_lo
	v_cmpx_gt_i32_e64 s2, v0
	s_cbranch_execnz .LBB274_60
.LBB274_43:
	s_or_b32 exec_lo, exec_lo, s0
	s_delay_alu instid0(SALU_CYCLE_1)
	s_mov_b32 s0, exec_lo
	v_cmpx_gt_i32_e64 s2, v0
	s_cbranch_execnz .LBB274_61
.LBB274_44:
	s_or_b32 exec_lo, exec_lo, s0
	s_delay_alu instid0(SALU_CYCLE_1)
	s_mov_b32 s0, exec_lo
	v_cmpx_gt_i32_e64 s2, v0
	s_cbranch_execnz .LBB274_62
.LBB274_45:
	s_or_b32 exec_lo, exec_lo, s0
	s_delay_alu instid0(SALU_CYCLE_1)
	s_mov_b32 s0, exec_lo
	v_cmpx_gt_i32_e64 s2, v0
	s_cbranch_execnz .LBB274_63
.LBB274_46:
	s_or_b32 exec_lo, exec_lo, s0
	s_delay_alu instid0(SALU_CYCLE_1)
	s_mov_b32 s0, exec_lo
	v_cmpx_gt_i32_e64 s2, v0
	s_cbranch_execnz .LBB274_64
.LBB274_47:
	s_or_b32 exec_lo, exec_lo, s0
	s_delay_alu instid0(SALU_CYCLE_1)
	s_mov_b32 s0, exec_lo
	v_cmpx_gt_i32_e64 s2, v0
	s_cbranch_execnz .LBB274_65
.LBB274_48:
	s_or_b32 exec_lo, exec_lo, s0
	s_delay_alu instid0(SALU_CYCLE_1)
	s_mov_b32 s0, exec_lo
	v_cmpx_gt_i32_e64 s2, v0
	s_cbranch_execnz .LBB274_66
.LBB274_49:
	s_or_b32 exec_lo, exec_lo, s0
	s_delay_alu instid0(SALU_CYCLE_1)
	s_mov_b32 s0, exec_lo
	v_cmpx_gt_i32_e64 s2, v0
	s_cbranch_execnz .LBB274_67
.LBB274_50:
	s_or_b32 exec_lo, exec_lo, s0
	s_delay_alu instid0(SALU_CYCLE_1)
	s_mov_b32 s0, exec_lo
	v_cmpx_gt_i32_e64 s2, v0
	s_cbranch_execz .LBB274_52
.LBB274_51:
	v_add_nc_u32_e32 v0, s1, v0
	v_lshrrev_b32_e32 v1, 24, v1
	global_store_b8 v0, v1, s[4:5]
.LBB274_52:
	s_nop 0
	s_sendmsg sendmsg(MSG_DEALLOC_VGPRS)
	s_endpgm
.LBB274_53:
	v_mov_b32_e32 v0, v4
	global_store_b8 v3, v6, s[4:5]
	s_or_b32 exec_lo, exec_lo, s0
	s_delay_alu instid0(SALU_CYCLE_1)
	s_mov_b32 s0, exec_lo
	v_cmpx_gt_i32_e64 s2, v0
	s_cbranch_execz .LBB274_37
.LBB274_54:
	v_add_nc_u32_e32 v3, s1, v0
	v_lshrrev_b32_e32 v4, 8, v6
	v_add_nc_u32_e32 v0, 0x100, v0
	global_store_b8 v3, v4, s[4:5]
	s_or_b32 exec_lo, exec_lo, s0
	s_delay_alu instid0(SALU_CYCLE_1)
	s_mov_b32 s0, exec_lo
	v_cmpx_gt_i32_e64 s2, v0
	s_cbranch_execz .LBB274_38
.LBB274_55:
	v_add_nc_u32_e32 v3, s1, v0
	v_add_nc_u32_e32 v0, 0x100, v0
	global_store_d16_hi_b8 v3, v6, s[4:5]
	s_or_b32 exec_lo, exec_lo, s0
	s_delay_alu instid0(SALU_CYCLE_1)
	s_mov_b32 s0, exec_lo
	v_cmpx_gt_i32_e64 s2, v0
	s_cbranch_execz .LBB274_39
.LBB274_56:
	v_add_nc_u32_e32 v3, s1, v0
	v_lshrrev_b32_e32 v4, 24, v6
	v_add_nc_u32_e32 v0, 0x100, v0
	global_store_b8 v3, v4, s[4:5]
	s_or_b32 exec_lo, exec_lo, s0
	s_delay_alu instid0(SALU_CYCLE_1)
	s_mov_b32 s0, exec_lo
	v_cmpx_gt_i32_e64 s2, v0
	s_cbranch_execz .LBB274_40
.LBB274_57:
	v_add_nc_u32_e32 v3, s1, v0
	v_add_nc_u32_e32 v0, 0x100, v0
	global_store_b8 v3, v5, s[4:5]
	s_or_b32 exec_lo, exec_lo, s0
	s_delay_alu instid0(SALU_CYCLE_1)
	s_mov_b32 s0, exec_lo
	v_cmpx_gt_i32_e64 s2, v0
	s_cbranch_execz .LBB274_41
.LBB274_58:
	v_add_nc_u32_e32 v3, s1, v0
	v_lshrrev_b32_e32 v4, 8, v5
	v_add_nc_u32_e32 v0, 0x100, v0
	global_store_b8 v3, v4, s[4:5]
	s_or_b32 exec_lo, exec_lo, s0
	s_delay_alu instid0(SALU_CYCLE_1)
	s_mov_b32 s0, exec_lo
	v_cmpx_gt_i32_e64 s2, v0
	s_cbranch_execz .LBB274_42
.LBB274_59:
	v_add_nc_u32_e32 v3, s1, v0
	v_add_nc_u32_e32 v0, 0x100, v0
	global_store_d16_hi_b8 v3, v5, s[4:5]
	s_or_b32 exec_lo, exec_lo, s0
	s_delay_alu instid0(SALU_CYCLE_1)
	s_mov_b32 s0, exec_lo
	v_cmpx_gt_i32_e64 s2, v0
	s_cbranch_execz .LBB274_43
.LBB274_60:
	v_add_nc_u32_e32 v3, s1, v0
	v_lshrrev_b32_e32 v4, 24, v5
	v_add_nc_u32_e32 v0, 0x100, v0
	global_store_b8 v3, v4, s[4:5]
	s_or_b32 exec_lo, exec_lo, s0
	s_delay_alu instid0(SALU_CYCLE_1)
	s_mov_b32 s0, exec_lo
	v_cmpx_gt_i32_e64 s2, v0
	s_cbranch_execz .LBB274_44
.LBB274_61:
	v_add_nc_u32_e32 v3, s1, v0
	v_add_nc_u32_e32 v0, 0x100, v0
	global_store_b8 v3, v2, s[4:5]
	s_or_b32 exec_lo, exec_lo, s0
	s_delay_alu instid0(SALU_CYCLE_1)
	s_mov_b32 s0, exec_lo
	v_cmpx_gt_i32_e64 s2, v0
	s_cbranch_execz .LBB274_45
.LBB274_62:
	v_add_nc_u32_e32 v3, s1, v0
	v_lshrrev_b32_e32 v4, 8, v2
	v_add_nc_u32_e32 v0, 0x100, v0
	global_store_b8 v3, v4, s[4:5]
	s_or_b32 exec_lo, exec_lo, s0
	s_delay_alu instid0(SALU_CYCLE_1)
	s_mov_b32 s0, exec_lo
	v_cmpx_gt_i32_e64 s2, v0
	s_cbranch_execz .LBB274_46
.LBB274_63:
	v_add_nc_u32_e32 v3, s1, v0
	v_add_nc_u32_e32 v0, 0x100, v0
	global_store_d16_hi_b8 v3, v2, s[4:5]
	s_or_b32 exec_lo, exec_lo, s0
	s_delay_alu instid0(SALU_CYCLE_1)
	s_mov_b32 s0, exec_lo
	v_cmpx_gt_i32_e64 s2, v0
	s_cbranch_execz .LBB274_47
.LBB274_64:
	v_add_nc_u32_e32 v3, s1, v0
	v_lshrrev_b32_e32 v2, 24, v2
	v_add_nc_u32_e32 v0, 0x100, v0
	global_store_b8 v3, v2, s[4:5]
	s_or_b32 exec_lo, exec_lo, s0
	s_delay_alu instid0(SALU_CYCLE_1)
	s_mov_b32 s0, exec_lo
	v_cmpx_gt_i32_e64 s2, v0
	s_cbranch_execz .LBB274_48
.LBB274_65:
	v_add_nc_u32_e32 v2, s1, v0
	v_add_nc_u32_e32 v0, 0x100, v0
	global_store_b8 v2, v1, s[4:5]
	s_or_b32 exec_lo, exec_lo, s0
	s_delay_alu instid0(SALU_CYCLE_1)
	s_mov_b32 s0, exec_lo
	v_cmpx_gt_i32_e64 s2, v0
	s_cbranch_execz .LBB274_49
.LBB274_66:
	v_add_nc_u32_e32 v2, s1, v0
	v_lshrrev_b32_e32 v3, 8, v1
	v_add_nc_u32_e32 v0, 0x100, v0
	global_store_b8 v2, v3, s[4:5]
	s_or_b32 exec_lo, exec_lo, s0
	s_delay_alu instid0(SALU_CYCLE_1)
	s_mov_b32 s0, exec_lo
	v_cmpx_gt_i32_e64 s2, v0
	s_cbranch_execz .LBB274_50
.LBB274_67:
	v_add_nc_u32_e32 v2, s1, v0
	v_add_nc_u32_e32 v0, 0x100, v0
	global_store_d16_hi_b8 v2, v1, s[4:5]
	s_or_b32 exec_lo, exec_lo, s0
	s_delay_alu instid0(SALU_CYCLE_1)
	s_mov_b32 s0, exec_lo
	v_cmpx_gt_i32_e64 s2, v0
	s_cbranch_execnz .LBB274_51
	s_branch .LBB274_52
	.section	.rodata,"a",@progbits
	.p2align	6, 0x0
	.amdhsa_kernel _ZN2at6native29vectorized_elementwise_kernelILi16EZZZNS0_17clamp_kernel_cudaERNS_18TensorIteratorBaseERKN3c106ScalarES7_ENKUlvE_clEvENKUlvE_clEvEUlhE_St5arrayIPcLm2EEEEviT0_T1_
		.amdhsa_group_segment_fixed_size 0
		.amdhsa_private_segment_fixed_size 0
		.amdhsa_kernarg_size 24
		.amdhsa_user_sgpr_count 15
		.amdhsa_user_sgpr_dispatch_ptr 0
		.amdhsa_user_sgpr_queue_ptr 0
		.amdhsa_user_sgpr_kernarg_segment_ptr 1
		.amdhsa_user_sgpr_dispatch_id 0
		.amdhsa_user_sgpr_private_segment_size 0
		.amdhsa_wavefront_size32 1
		.amdhsa_uses_dynamic_stack 0
		.amdhsa_enable_private_segment 0
		.amdhsa_system_sgpr_workgroup_id_x 1
		.amdhsa_system_sgpr_workgroup_id_y 0
		.amdhsa_system_sgpr_workgroup_id_z 0
		.amdhsa_system_sgpr_workgroup_info 0
		.amdhsa_system_vgpr_workitem_id 0
		.amdhsa_next_free_vgpr 26
		.amdhsa_next_free_sgpr 16
		.amdhsa_reserve_vcc 1
		.amdhsa_float_round_mode_32 0
		.amdhsa_float_round_mode_16_64 0
		.amdhsa_float_denorm_mode_32 3
		.amdhsa_float_denorm_mode_16_64 3
		.amdhsa_dx10_clamp 1
		.amdhsa_ieee_mode 1
		.amdhsa_fp16_overflow 0
		.amdhsa_workgroup_processor_mode 1
		.amdhsa_memory_ordered 1
		.amdhsa_forward_progress 0
		.amdhsa_shared_vgpr_count 0
		.amdhsa_exception_fp_ieee_invalid_op 0
		.amdhsa_exception_fp_denorm_src 0
		.amdhsa_exception_fp_ieee_div_zero 0
		.amdhsa_exception_fp_ieee_overflow 0
		.amdhsa_exception_fp_ieee_underflow 0
		.amdhsa_exception_fp_ieee_inexact 0
		.amdhsa_exception_int_div_zero 0
	.end_amdhsa_kernel
	.section	.text._ZN2at6native29vectorized_elementwise_kernelILi16EZZZNS0_17clamp_kernel_cudaERNS_18TensorIteratorBaseERKN3c106ScalarES7_ENKUlvE_clEvENKUlvE_clEvEUlhE_St5arrayIPcLm2EEEEviT0_T1_,"axG",@progbits,_ZN2at6native29vectorized_elementwise_kernelILi16EZZZNS0_17clamp_kernel_cudaERNS_18TensorIteratorBaseERKN3c106ScalarES7_ENKUlvE_clEvENKUlvE_clEvEUlhE_St5arrayIPcLm2EEEEviT0_T1_,comdat
.Lfunc_end274:
	.size	_ZN2at6native29vectorized_elementwise_kernelILi16EZZZNS0_17clamp_kernel_cudaERNS_18TensorIteratorBaseERKN3c106ScalarES7_ENKUlvE_clEvENKUlvE_clEvEUlhE_St5arrayIPcLm2EEEEviT0_T1_, .Lfunc_end274-_ZN2at6native29vectorized_elementwise_kernelILi16EZZZNS0_17clamp_kernel_cudaERNS_18TensorIteratorBaseERKN3c106ScalarES7_ENKUlvE_clEvENKUlvE_clEvEUlhE_St5arrayIPcLm2EEEEviT0_T1_
                                        ; -- End function
	.section	.AMDGPU.csdata,"",@progbits
; Kernel info:
; codeLenInByte = 3644
; NumSgprs: 18
; NumVgprs: 26
; ScratchSize: 0
; MemoryBound: 0
; FloatMode: 240
; IeeeMode: 1
; LDSByteSize: 0 bytes/workgroup (compile time only)
; SGPRBlocks: 2
; VGPRBlocks: 3
; NumSGPRsForWavesPerEU: 18
; NumVGPRsForWavesPerEU: 26
; Occupancy: 16
; WaveLimiterHint : 0
; COMPUTE_PGM_RSRC2:SCRATCH_EN: 0
; COMPUTE_PGM_RSRC2:USER_SGPR: 15
; COMPUTE_PGM_RSRC2:TRAP_HANDLER: 0
; COMPUTE_PGM_RSRC2:TGID_X_EN: 1
; COMPUTE_PGM_RSRC2:TGID_Y_EN: 0
; COMPUTE_PGM_RSRC2:TGID_Z_EN: 0
; COMPUTE_PGM_RSRC2:TIDIG_COMP_CNT: 0
	.section	.text._ZN2at6native29vectorized_elementwise_kernelILi8EZZZNS0_17clamp_kernel_cudaERNS_18TensorIteratorBaseERKN3c106ScalarES7_ENKUlvE_clEvENKUlvE_clEvEUlhE_St5arrayIPcLm2EEEEviT0_T1_,"axG",@progbits,_ZN2at6native29vectorized_elementwise_kernelILi8EZZZNS0_17clamp_kernel_cudaERNS_18TensorIteratorBaseERKN3c106ScalarES7_ENKUlvE_clEvENKUlvE_clEvEUlhE_St5arrayIPcLm2EEEEviT0_T1_,comdat
	.globl	_ZN2at6native29vectorized_elementwise_kernelILi8EZZZNS0_17clamp_kernel_cudaERNS_18TensorIteratorBaseERKN3c106ScalarES7_ENKUlvE_clEvENKUlvE_clEvEUlhE_St5arrayIPcLm2EEEEviT0_T1_ ; -- Begin function _ZN2at6native29vectorized_elementwise_kernelILi8EZZZNS0_17clamp_kernel_cudaERNS_18TensorIteratorBaseERKN3c106ScalarES7_ENKUlvE_clEvENKUlvE_clEvEUlhE_St5arrayIPcLm2EEEEviT0_T1_
	.p2align	8
	.type	_ZN2at6native29vectorized_elementwise_kernelILi8EZZZNS0_17clamp_kernel_cudaERNS_18TensorIteratorBaseERKN3c106ScalarES7_ENKUlvE_clEvENKUlvE_clEvEUlhE_St5arrayIPcLm2EEEEviT0_T1_,@function
_ZN2at6native29vectorized_elementwise_kernelILi8EZZZNS0_17clamp_kernel_cudaERNS_18TensorIteratorBaseERKN3c106ScalarES7_ENKUlvE_clEvENKUlvE_clEvEUlhE_St5arrayIPcLm2EEEEviT0_T1_: ; @_ZN2at6native29vectorized_elementwise_kernelILi8EZZZNS0_17clamp_kernel_cudaERNS_18TensorIteratorBaseERKN3c106ScalarES7_ENKUlvE_clEvENKUlvE_clEvEUlhE_St5arrayIPcLm2EEEEviT0_T1_
; %bb.0:
	v_mov_b32_e32 v1, 0
	s_clause 0x1
	s_load_b32 s2, s[0:1], 0x0
	s_load_b128 s[4:7], s[0:1], 0x8
	global_load_u16 v2, v1, s[0:1] offset:4
	s_lshl_b32 s1, s15, 12
	s_mov_b32 s0, -1
	s_waitcnt lgkmcnt(0)
	s_sub_i32 s2, s2, s1
	s_delay_alu instid0(SALU_CYCLE_1) | instskip(SKIP_3) | instid1(VALU_DEP_2)
	s_cmpk_gt_i32 s2, 0xfff
	s_waitcnt vmcnt(0)
	v_and_b32_e32 v1, 0xffff, v2
	v_and_b32_e32 v2, 0xff, v2
	v_lshrrev_b32_e32 v1, 8, v1
	s_cbranch_scc0 .LBB275_2
; %bb.1:
	v_lshlrev_b32_e32 v7, 3, v0
	s_ashr_i32 s0, s1, 31
	s_add_u32 s8, s6, s1
	s_addc_u32 s9, s7, s0
	s_clause 0x1
	global_load_b64 v[3:4], v7, s[8:9]
	global_load_b64 v[5:6], v7, s[8:9] offset:2048
	s_add_u32 s8, s4, s1
	s_addc_u32 s9, s5, s0
	s_mov_b32 s0, 0
	s_waitcnt vmcnt(1)
	v_lshrrev_b32_e32 v9, 8, v3
	v_lshrrev_b32_e32 v13, 16, v4
	s_waitcnt vmcnt(0)
	v_lshrrev_b32_e32 v15, 8, v5
	v_lshrrev_b32_e32 v10, 16, v3
	;; [unrolled: 1-line block ×3, first 2 shown]
	v_and_b32_e32 v9, 0xff, v9
	v_and_b32_e32 v11, 0xff, v4
	v_lshrrev_b32_e32 v4, 24, v4
	v_lshrrev_b32_e32 v16, 16, v5
	;; [unrolled: 1-line block ×4, first 2 shown]
	v_and_b32_e32 v13, 0xff, v13
	v_and_b32_e32 v15, 0xff, v15
	;; [unrolled: 1-line block ×3, first 2 shown]
	v_lshrrev_b32_e32 v3, 24, v3
	v_and_b32_e32 v10, 0xff, v10
	v_and_b32_e32 v12, 0xff, v12
	v_max_u16 v9, v9, v2
	v_and_b32_e32 v14, 0xff, v5
	v_lshrrev_b32_e32 v5, 24, v5
	v_and_b32_e32 v17, 0xff, v6
	v_lshrrev_b32_e32 v6, 24, v6
	v_and_b32_e32 v16, 0xff, v16
	v_and_b32_e32 v18, 0xff, v18
	;; [unrolled: 1-line block ×3, first 2 shown]
	v_max_u16 v4, v4, v2
	v_max_u16 v13, v13, v2
	;; [unrolled: 1-line block ×6, first 2 shown]
	v_min_u16 v9, v9, v1
	v_max_u16 v5, v5, v2
	v_max_u16 v6, v6, v2
	v_min_u16 v4, v4, v1
	v_max_u16 v16, v16, v2
	v_max_u16 v18, v18, v2
	;; [unrolled: 1-line block ×3, first 2 shown]
	v_min_u16 v13, v13, v1
	v_min_u16 v15, v15, v1
	v_max_u16 v8, v8, v2
	v_max_u16 v11, v11, v2
	v_min_u16 v3, v3, v1
	v_min_u16 v10, v10, v1
	v_min_u16 v12, v12, v1
	v_and_b32_e32 v9, 0xffff, v9
	v_max_u16 v14, v14, v2
	v_max_u16 v17, v17, v2
	v_min_u16 v5, v5, v1
	v_min_u16 v6, v6, v1
	;; [unrolled: 1-line block ×5, first 2 shown]
	v_lshlrev_b32_e32 v4, 24, v4
	v_lshlrev_b32_e32 v13, 16, v13
	v_and_b32_e32 v15, 0xffff, v15
	v_min_u16 v8, v8, v1
	v_min_u16 v11, v11, v1
	v_lshlrev_b32_e32 v3, 24, v3
	v_and_b32_e32 v12, 0xffff, v12
	v_lshlrev_b32_e32 v10, 16, v10
	v_lshlrev_b32_e32 v9, 8, v9
	v_min_u16 v14, v14, v1
	v_min_u16 v17, v17, v1
	v_lshlrev_b32_e32 v6, 24, v6
	v_lshlrev_b32_e32 v5, 24, v5
	;; [unrolled: 1-line block ×3, first 2 shown]
	v_and_b32_e32 v18, 0xffff, v18
	v_lshlrev_b32_e32 v16, 16, v16
	v_or_b32_e32 v4, v4, v13
	v_lshlrev_b32_e32 v13, 8, v15
	v_and_b32_e32 v11, 0xffff, v11
	v_and_b32_e32 v8, 0xffff, v8
	v_lshlrev_b32_e32 v12, 8, v12
	v_or3_b32 v3, v3, v10, v9
	v_and_b32_e32 v17, 0xffff, v17
	v_and_b32_e32 v14, 0xffff, v14
	v_or_b32_e32 v6, v6, v19
	v_lshlrev_b32_e32 v15, 8, v18
	v_or3_b32 v5, v5, v16, v13
	v_or3_b32 v4, v4, v12, v11
	v_or_b32_e32 v3, v3, v8
	s_delay_alu instid0(VALU_DEP_4) | instskip(NEXT) | instid1(VALU_DEP_4)
	v_or3_b32 v6, v6, v15, v17
	v_or_b32_e32 v5, v5, v14
	s_clause 0x1
	global_store_b64 v7, v[3:4], s[8:9]
	global_store_b64 v7, v[5:6], s[8:9] offset:2048
.LBB275_2:
	s_and_not1_b32 vcc_lo, exec_lo, s0
	s_cbranch_vccnz .LBB275_52
; %bb.3:
	v_cmp_gt_i32_e32 vcc_lo, s2, v0
	v_dual_mov_b32 v5, 0 :: v_dual_mov_b32 v6, 0
	v_or_b32_e32 v3, s1, v0
	v_or_b32_e32 v4, 0x100, v0
	v_mov_b32_e32 v13, v0
	s_and_saveexec_b32 s0, vcc_lo
	s_cbranch_execz .LBB275_5
; %bb.4:
	global_load_u8 v6, v3, s[6:7]
	v_or_b32_e32 v13, 0x100, v0
.LBB275_5:
	s_or_b32 exec_lo, exec_lo, s0
	s_delay_alu instid0(SALU_CYCLE_1) | instskip(NEXT) | instid1(VALU_DEP_1)
	s_mov_b32 s3, exec_lo
	v_cmpx_gt_i32_e64 s2, v13
	s_cbranch_execz .LBB275_7
; %bb.6:
	v_add_nc_u32_e32 v5, s1, v13
	v_add_nc_u32_e32 v13, 0x100, v13
	global_load_u8 v5, v5, s[6:7]
.LBB275_7:
	s_or_b32 exec_lo, exec_lo, s3
	v_dual_mov_b32 v10, 0 :: v_dual_mov_b32 v11, 0
	s_mov_b32 s3, exec_lo
	v_cmpx_gt_i32_e64 s2, v13
	s_cbranch_execz .LBB275_9
; %bb.8:
	v_add_nc_u32_e32 v7, s1, v13
	v_add_nc_u32_e32 v13, 0x100, v13
	global_load_u8 v11, v7, s[6:7]
.LBB275_9:
	s_or_b32 exec_lo, exec_lo, s3
	s_delay_alu instid0(SALU_CYCLE_1)
	s_mov_b32 s3, exec_lo
	v_cmpx_gt_i32_e64 s2, v13
	s_cbranch_execz .LBB275_11
; %bb.10:
	v_add_nc_u32_e32 v7, s1, v13
	v_add_nc_u32_e32 v13, 0x100, v13
	global_load_u8 v10, v7, s[6:7]
.LBB275_11:
	s_or_b32 exec_lo, exec_lo, s3
	v_mov_b32_e32 v14, 0
	v_mov_b32_e32 v16, 0
	s_mov_b32 s3, exec_lo
	v_cmpx_gt_i32_e64 s2, v13
	s_cbranch_execz .LBB275_13
; %bb.12:
	v_add_nc_u32_e32 v7, s1, v13
	v_add_nc_u32_e32 v13, 0x100, v13
	global_load_u8 v16, v7, s[6:7]
.LBB275_13:
	s_or_b32 exec_lo, exec_lo, s3
	s_delay_alu instid0(SALU_CYCLE_1)
	s_mov_b32 s3, exec_lo
	v_cmpx_gt_i32_e64 s2, v13
	s_cbranch_execz .LBB275_15
; %bb.14:
	v_add_nc_u32_e32 v7, s1, v13
	v_add_nc_u32_e32 v13, 0x100, v13
	global_load_u8 v14, v7, s[6:7]
.LBB275_15:
	s_or_b32 exec_lo, exec_lo, s3
	v_dual_mov_b32 v15, 0 :: v_dual_mov_b32 v18, 0
	s_mov_b32 s3, exec_lo
	v_cmpx_gt_i32_e64 s2, v13
	s_cbranch_execz .LBB275_17
; %bb.16:
	v_add_nc_u32_e32 v7, s1, v13
	v_add_nc_u32_e32 v13, 0x100, v13
	global_load_u8 v18, v7, s[6:7]
.LBB275_17:
	s_or_b32 exec_lo, exec_lo, s3
	s_delay_alu instid0(SALU_CYCLE_1)
	s_mov_b32 s3, exec_lo
	v_cmpx_gt_i32_e64 s2, v13
	s_cbranch_execz .LBB275_19
; %bb.18:
	v_add_nc_u32_e32 v7, s1, v13
	v_add_nc_u32_e32 v13, 0x100, v13
	global_load_u8 v15, v7, s[6:7]
.LBB275_19:
	s_or_b32 exec_lo, exec_lo, s3
	v_dual_mov_b32 v8, 0 :: v_dual_mov_b32 v9, 0
	;; [unrolled: 20-line block ×4, first 2 shown]
	s_mov_b32 s3, exec_lo
	v_cmpx_gt_i32_e64 s2, v13
	s_cbranch_execz .LBB275_29
; %bb.28:
	v_add_nc_u32_e32 v17, s1, v13
	v_add_nc_u32_e32 v13, 0x100, v13
	global_load_u8 v21, v17, s[6:7]
.LBB275_29:
	s_or_b32 exec_lo, exec_lo, s3
	s_delay_alu instid0(SALU_CYCLE_1)
	s_mov_b32 s3, exec_lo
	v_cmpx_gt_i32_e64 s2, v13
	s_cbranch_execz .LBB275_31
; %bb.30:
	v_add_nc_u32_e32 v17, s1, v13
	v_add_nc_u32_e32 v13, 0x100, v13
	global_load_u8 v20, v17, s[6:7]
.LBB275_31:
	s_or_b32 exec_lo, exec_lo, s3
	v_mov_b32_e32 v17, 0
	v_mov_b32_e32 v19, 0
	s_mov_b32 s3, exec_lo
	v_cmpx_gt_i32_e64 s2, v13
	s_cbranch_execz .LBB275_33
; %bb.32:
	v_add_nc_u32_e32 v19, s1, v13
	v_add_nc_u32_e32 v13, 0x100, v13
	global_load_u8 v19, v19, s[6:7]
.LBB275_33:
	s_or_b32 exec_lo, exec_lo, s3
	s_delay_alu instid0(SALU_CYCLE_1)
	s_mov_b32 s3, exec_lo
	v_cmpx_gt_i32_e64 s2, v13
	s_cbranch_execz .LBB275_35
; %bb.34:
	v_add_nc_u32_e32 v13, s1, v13
	global_load_u8 v17, v13, s[6:7]
.LBB275_35:
	s_or_b32 exec_lo, exec_lo, s3
	s_waitcnt vmcnt(0)
	v_and_b32_e32 v13, 0xff, v16
	v_or_b32_e32 v22, 0x400, v0
	v_and_b32_e32 v14, 0xff, v14
	v_and_b32_e32 v5, 0xff, v5
	;; [unrolled: 1-line block ×3, first 2 shown]
	v_max_u16 v13, v13, v2
	v_cmp_gt_i32_e64 s0, s2, v22
	v_max_u16 v14, v14, v2
	v_max_u16 v5, v5, v2
	;; [unrolled: 1-line block ×3, first 2 shown]
	v_min_u16 v13, v13, v1
	v_and_b32_e32 v11, 0xff, v11
	v_min_u16 v14, v14, v1
	v_min_u16 v5, v5, v1
	v_or_b32_e32 v23, 0x500, v0
	v_and_b32_e32 v13, 0xffff, v13
	v_min_u16 v6, v6, v1
	v_lshlrev_b16 v14, 8, v14
	v_lshlrev_b16 v5, 8, v5
	v_max_u16 v11, v11, v2
	v_cndmask_b32_e64 v13, 0, v13, s0
	v_cmp_gt_i32_e64 s0, s2, v23
	v_and_b32_e32 v18, 0xff, v18
	v_or_b32_e32 v5, v6, v5
	v_and_b32_e32 v21, 0xff, v21
	v_and_b32_e32 v25, 0xff, v13
	v_min_u16 v11, v11, v1
	v_and_b32_e32 v6, 0xffff, v6
	v_and_b32_e32 v5, 0xffff, v5
	v_or_b32_e32 v16, 0x200, v0
	v_or_b32_e32 v14, v25, v14
	v_and_b32_e32 v20, 0xff, v20
	v_max_u16 v18, v18, v2
	v_max_u16 v21, v21, v2
	v_lshlrev_b32_e32 v11, 16, v11
	v_and_b32_e32 v14, 0xffff, v14
	v_or_b32_e32 v22, 0xc00, v0
	v_min_u16 v18, v18, v1
	v_or_b32_e32 v24, 0x600, v0
	v_and_b32_e32 v8, 0xff, v8
	v_cndmask_b32_e64 v13, v13, v14, s0
	v_cmp_gt_i32_e64 s0, s2, v4
	v_and_b32_e32 v9, 0xff, v9
	v_and_b32_e32 v10, 0xff, v10
	v_max_u16 v8, v8, v2
	v_lshrrev_b32_e32 v14, 16, v13
	v_cndmask_b32_e64 v5, v6, v5, s0
	v_max_u16 v6, v20, v2
	v_min_u16 v20, v21, v1
	v_cmp_gt_i32_e64 s0, s2, v16
	v_and_b32_e32 v14, 0xffffff00, v14
	v_or_b32_e32 v11, v5, v11
	v_min_u16 v6, v6, v1
	v_and_b32_e32 v20, 0xffff, v20
	v_max_u16 v9, v9, v2
	v_min_u16 v8, v8, v1
	v_cndmask_b32_e64 v5, v5, v11, s0
	v_or_b32_e32 v11, v18, v14
	v_cmp_gt_i32_e64 s0, s2, v22
	v_lshlrev_b16 v6, 8, v6
	v_max_u16 v10, v10, v2
	v_min_u16 v9, v9, v1
	v_lshlrev_b32_e32 v11, 16, v11
	v_cndmask_b32_e64 v14, 0, v20, s0
	v_cmp_gt_i32_e64 s0, s2, v24
	v_lshlrev_b16 v8, 8, v8
	v_and_b32_e32 v12, 0xff, v12
	v_and_or_b32 v11, 0xffff, v13, v11
	v_and_b32_e32 v18, 0xff, v14
	v_and_b32_e32 v15, 0xff, v15
	v_min_u16 v10, v10, v1
	v_lshrrev_b32_e32 v16, 16, v5
	v_cndmask_b32_e64 v11, v13, v11, s0
	v_or_b32_e32 v6, v18, v6
	v_or_b32_e32 v13, 0xd00, v0
	v_and_b32_e32 v18, 0xffff, v9
	v_or_b32_e32 v8, v9, v8
	v_max_u16 v9, v12, v2
	v_and_b32_e32 v6, 0xffff, v6
	v_cmp_gt_i32_e64 s0, s2, v13
	v_and_b32_e32 v13, 0xff, v19
	v_lshlrev_b16 v10, 8, v10
	v_and_b32_e32 v16, 0xff, v16
	v_and_b32_e32 v8, 0xffff, v8
	v_cndmask_b32_e64 v6, v14, v6, s0
	v_max_u16 v13, v13, v2
	v_min_u16 v9, v9, v1
	v_max_u16 v15, v15, v2
	v_or_b32_e32 v10, v16, v10
	v_lshrrev_b32_e32 v14, 16, v6
	v_min_u16 v13, v13, v1
	v_lshrrev_b32_e32 v16, 16, v11
	v_lshlrev_b32_e32 v9, 16, v9
	v_and_b32_e32 v7, 0xff, v7
	v_and_b32_e32 v12, 0xffffff00, v14
	v_or_b32_e32 v14, 0x900, v0
	v_and_b32_e32 v17, 0xff, v17
	v_lshlrev_b32_e32 v10, 16, v10
	v_max_u16 v7, v7, v2
	v_or_b32_e32 v12, v13, v12
	v_cmp_gt_i32_e64 s0, s2, v14
	v_min_u16 v14, v15, v1
	v_or_b32_e32 v15, 0xa00, v0
	v_and_b32_e32 v13, 0xff, v16
	v_lshlrev_b32_e32 v12, 16, v12
	v_cndmask_b32_e64 v8, v18, v8, s0
	v_or_b32_e32 v16, 0xe00, v0
	v_cmp_gt_i32_e64 s0, s2, v15
	v_max_u16 v2, v17, v2
	v_and_or_b32 v12, 0xffff, v6, v12
	v_or_b32_e32 v9, v8, v9
	v_min_u16 v7, v7, v1
	v_and_or_b32 v10, 0xffff, v5, v10
	v_min_u16 v1, v2, v1
	s_delay_alu instid0(VALU_DEP_4) | instskip(SKIP_2) | instid1(VALU_DEP_4)
	v_cndmask_b32_e64 v8, v8, v9, s0
	v_cmp_gt_i32_e64 s0, s2, v16
	v_lshlrev_b16 v7, 8, v7
	v_lshlrev_b16 v1, 8, v1
	s_delay_alu instid0(VALU_DEP_3) | instskip(SKIP_2) | instid1(VALU_DEP_3)
	v_cndmask_b32_e64 v9, v6, v12, s0
	v_lshlrev_b16 v6, 8, v14
	v_lshrrev_b32_e32 v12, 16, v8
	v_lshrrev_b32_e32 v14, 16, v9
	s_delay_alu instid0(VALU_DEP_3) | instskip(NEXT) | instid1(VALU_DEP_3)
	v_or_b32_e32 v2, v13, v6
	v_and_b32_e32 v6, 0xff, v12
	v_or_b32_e32 v13, 0x300, v0
	s_delay_alu instid0(VALU_DEP_4) | instskip(NEXT) | instid1(VALU_DEP_4)
	v_and_b32_e32 v12, 0xff, v14
	v_lshlrev_b32_e32 v2, 16, v2
	s_delay_alu instid0(VALU_DEP_4) | instskip(NEXT) | instid1(VALU_DEP_4)
	v_or_b32_e32 v7, v6, v7
	v_cmp_gt_i32_e64 s0, s2, v13
	v_or_b32_e32 v13, 0xf00, v0
	v_or_b32_e32 v1, v12, v1
	v_and_or_b32 v2, 0xffff, v11, v2
	s_delay_alu instid0(VALU_DEP_4) | instskip(SKIP_4) | instid1(VALU_DEP_4)
	v_cndmask_b32_e64 v6, v5, v10, s0
	v_lshlrev_b32_e32 v5, 16, v7
	v_or_b32_e32 v7, 0x700, v0
	v_or_b32_e32 v10, 0xb00, v0
	v_lshlrev_b32_e32 v1, 16, v1
	v_and_or_b32 v12, 0xffff, v8, v5
	s_delay_alu instid0(VALU_DEP_4) | instskip(NEXT) | instid1(VALU_DEP_3)
	v_cmp_gt_i32_e64 s0, s2, v7
	v_and_or_b32 v1, 0xffff, v9, v1
	s_delay_alu instid0(VALU_DEP_2) | instskip(SKIP_1) | instid1(VALU_DEP_1)
	v_cndmask_b32_e64 v5, v11, v2, s0
	v_cmp_gt_i32_e64 s0, s2, v10
	v_cndmask_b32_e64 v2, v8, v12, s0
	v_cmp_gt_i32_e64 s0, s2, v13
	s_delay_alu instid0(VALU_DEP_1)
	v_cndmask_b32_e64 v1, v9, v1, s0
	s_and_saveexec_b32 s0, vcc_lo
	s_cbranch_execnz .LBB275_53
; %bb.36:
	s_or_b32 exec_lo, exec_lo, s0
	s_delay_alu instid0(SALU_CYCLE_1)
	s_mov_b32 s0, exec_lo
	v_cmpx_gt_i32_e64 s2, v0
	s_cbranch_execnz .LBB275_54
.LBB275_37:
	s_or_b32 exec_lo, exec_lo, s0
	s_delay_alu instid0(SALU_CYCLE_1)
	s_mov_b32 s0, exec_lo
	v_cmpx_gt_i32_e64 s2, v0
	s_cbranch_execnz .LBB275_55
.LBB275_38:
	s_or_b32 exec_lo, exec_lo, s0
	s_delay_alu instid0(SALU_CYCLE_1)
	s_mov_b32 s0, exec_lo
	v_cmpx_gt_i32_e64 s2, v0
	s_cbranch_execnz .LBB275_56
.LBB275_39:
	s_or_b32 exec_lo, exec_lo, s0
	s_delay_alu instid0(SALU_CYCLE_1)
	s_mov_b32 s0, exec_lo
	v_cmpx_gt_i32_e64 s2, v0
	s_cbranch_execnz .LBB275_57
.LBB275_40:
	s_or_b32 exec_lo, exec_lo, s0
	s_delay_alu instid0(SALU_CYCLE_1)
	s_mov_b32 s0, exec_lo
	v_cmpx_gt_i32_e64 s2, v0
	s_cbranch_execnz .LBB275_58
.LBB275_41:
	s_or_b32 exec_lo, exec_lo, s0
	s_delay_alu instid0(SALU_CYCLE_1)
	s_mov_b32 s0, exec_lo
	v_cmpx_gt_i32_e64 s2, v0
	s_cbranch_execnz .LBB275_59
.LBB275_42:
	s_or_b32 exec_lo, exec_lo, s0
	s_delay_alu instid0(SALU_CYCLE_1)
	s_mov_b32 s0, exec_lo
	v_cmpx_gt_i32_e64 s2, v0
	s_cbranch_execnz .LBB275_60
.LBB275_43:
	s_or_b32 exec_lo, exec_lo, s0
	s_delay_alu instid0(SALU_CYCLE_1)
	s_mov_b32 s0, exec_lo
	v_cmpx_gt_i32_e64 s2, v0
	s_cbranch_execnz .LBB275_61
.LBB275_44:
	s_or_b32 exec_lo, exec_lo, s0
	s_delay_alu instid0(SALU_CYCLE_1)
	s_mov_b32 s0, exec_lo
	v_cmpx_gt_i32_e64 s2, v0
	s_cbranch_execnz .LBB275_62
.LBB275_45:
	s_or_b32 exec_lo, exec_lo, s0
	s_delay_alu instid0(SALU_CYCLE_1)
	s_mov_b32 s0, exec_lo
	v_cmpx_gt_i32_e64 s2, v0
	s_cbranch_execnz .LBB275_63
.LBB275_46:
	s_or_b32 exec_lo, exec_lo, s0
	s_delay_alu instid0(SALU_CYCLE_1)
	s_mov_b32 s0, exec_lo
	v_cmpx_gt_i32_e64 s2, v0
	s_cbranch_execnz .LBB275_64
.LBB275_47:
	s_or_b32 exec_lo, exec_lo, s0
	s_delay_alu instid0(SALU_CYCLE_1)
	s_mov_b32 s0, exec_lo
	v_cmpx_gt_i32_e64 s2, v0
	s_cbranch_execnz .LBB275_65
.LBB275_48:
	s_or_b32 exec_lo, exec_lo, s0
	s_delay_alu instid0(SALU_CYCLE_1)
	s_mov_b32 s0, exec_lo
	v_cmpx_gt_i32_e64 s2, v0
	s_cbranch_execnz .LBB275_66
.LBB275_49:
	s_or_b32 exec_lo, exec_lo, s0
	s_delay_alu instid0(SALU_CYCLE_1)
	s_mov_b32 s0, exec_lo
	v_cmpx_gt_i32_e64 s2, v0
	s_cbranch_execnz .LBB275_67
.LBB275_50:
	s_or_b32 exec_lo, exec_lo, s0
	s_delay_alu instid0(SALU_CYCLE_1)
	s_mov_b32 s0, exec_lo
	v_cmpx_gt_i32_e64 s2, v0
	s_cbranch_execz .LBB275_52
.LBB275_51:
	v_add_nc_u32_e32 v0, s1, v0
	v_lshrrev_b32_e32 v1, 24, v1
	global_store_b8 v0, v1, s[4:5]
.LBB275_52:
	s_nop 0
	s_sendmsg sendmsg(MSG_DEALLOC_VGPRS)
	s_endpgm
.LBB275_53:
	v_mov_b32_e32 v0, v4
	global_store_b8 v3, v6, s[4:5]
	s_or_b32 exec_lo, exec_lo, s0
	s_delay_alu instid0(SALU_CYCLE_1)
	s_mov_b32 s0, exec_lo
	v_cmpx_gt_i32_e64 s2, v0
	s_cbranch_execz .LBB275_37
.LBB275_54:
	v_add_nc_u32_e32 v3, s1, v0
	v_lshrrev_b32_e32 v4, 8, v6
	v_add_nc_u32_e32 v0, 0x100, v0
	global_store_b8 v3, v4, s[4:5]
	s_or_b32 exec_lo, exec_lo, s0
	s_delay_alu instid0(SALU_CYCLE_1)
	s_mov_b32 s0, exec_lo
	v_cmpx_gt_i32_e64 s2, v0
	s_cbranch_execz .LBB275_38
.LBB275_55:
	v_add_nc_u32_e32 v3, s1, v0
	v_add_nc_u32_e32 v0, 0x100, v0
	global_store_d16_hi_b8 v3, v6, s[4:5]
	s_or_b32 exec_lo, exec_lo, s0
	s_delay_alu instid0(SALU_CYCLE_1)
	s_mov_b32 s0, exec_lo
	v_cmpx_gt_i32_e64 s2, v0
	s_cbranch_execz .LBB275_39
.LBB275_56:
	v_add_nc_u32_e32 v3, s1, v0
	v_lshrrev_b32_e32 v4, 24, v6
	v_add_nc_u32_e32 v0, 0x100, v0
	global_store_b8 v3, v4, s[4:5]
	s_or_b32 exec_lo, exec_lo, s0
	s_delay_alu instid0(SALU_CYCLE_1)
	s_mov_b32 s0, exec_lo
	v_cmpx_gt_i32_e64 s2, v0
	s_cbranch_execz .LBB275_40
.LBB275_57:
	v_add_nc_u32_e32 v3, s1, v0
	v_add_nc_u32_e32 v0, 0x100, v0
	global_store_b8 v3, v5, s[4:5]
	s_or_b32 exec_lo, exec_lo, s0
	s_delay_alu instid0(SALU_CYCLE_1)
	s_mov_b32 s0, exec_lo
	v_cmpx_gt_i32_e64 s2, v0
	s_cbranch_execz .LBB275_41
.LBB275_58:
	v_add_nc_u32_e32 v3, s1, v0
	v_lshrrev_b32_e32 v4, 8, v5
	v_add_nc_u32_e32 v0, 0x100, v0
	global_store_b8 v3, v4, s[4:5]
	s_or_b32 exec_lo, exec_lo, s0
	s_delay_alu instid0(SALU_CYCLE_1)
	s_mov_b32 s0, exec_lo
	v_cmpx_gt_i32_e64 s2, v0
	s_cbranch_execz .LBB275_42
.LBB275_59:
	v_add_nc_u32_e32 v3, s1, v0
	v_add_nc_u32_e32 v0, 0x100, v0
	global_store_d16_hi_b8 v3, v5, s[4:5]
	s_or_b32 exec_lo, exec_lo, s0
	s_delay_alu instid0(SALU_CYCLE_1)
	s_mov_b32 s0, exec_lo
	v_cmpx_gt_i32_e64 s2, v0
	s_cbranch_execz .LBB275_43
.LBB275_60:
	v_add_nc_u32_e32 v3, s1, v0
	v_lshrrev_b32_e32 v4, 24, v5
	v_add_nc_u32_e32 v0, 0x100, v0
	global_store_b8 v3, v4, s[4:5]
	s_or_b32 exec_lo, exec_lo, s0
	s_delay_alu instid0(SALU_CYCLE_1)
	s_mov_b32 s0, exec_lo
	v_cmpx_gt_i32_e64 s2, v0
	s_cbranch_execz .LBB275_44
.LBB275_61:
	v_add_nc_u32_e32 v3, s1, v0
	v_add_nc_u32_e32 v0, 0x100, v0
	global_store_b8 v3, v2, s[4:5]
	s_or_b32 exec_lo, exec_lo, s0
	s_delay_alu instid0(SALU_CYCLE_1)
	s_mov_b32 s0, exec_lo
	v_cmpx_gt_i32_e64 s2, v0
	s_cbranch_execz .LBB275_45
.LBB275_62:
	v_add_nc_u32_e32 v3, s1, v0
	v_lshrrev_b32_e32 v4, 8, v2
	v_add_nc_u32_e32 v0, 0x100, v0
	global_store_b8 v3, v4, s[4:5]
	s_or_b32 exec_lo, exec_lo, s0
	s_delay_alu instid0(SALU_CYCLE_1)
	s_mov_b32 s0, exec_lo
	v_cmpx_gt_i32_e64 s2, v0
	s_cbranch_execz .LBB275_46
.LBB275_63:
	v_add_nc_u32_e32 v3, s1, v0
	v_add_nc_u32_e32 v0, 0x100, v0
	global_store_d16_hi_b8 v3, v2, s[4:5]
	s_or_b32 exec_lo, exec_lo, s0
	s_delay_alu instid0(SALU_CYCLE_1)
	s_mov_b32 s0, exec_lo
	v_cmpx_gt_i32_e64 s2, v0
	s_cbranch_execz .LBB275_47
.LBB275_64:
	v_add_nc_u32_e32 v3, s1, v0
	v_lshrrev_b32_e32 v2, 24, v2
	v_add_nc_u32_e32 v0, 0x100, v0
	global_store_b8 v3, v2, s[4:5]
	s_or_b32 exec_lo, exec_lo, s0
	s_delay_alu instid0(SALU_CYCLE_1)
	s_mov_b32 s0, exec_lo
	v_cmpx_gt_i32_e64 s2, v0
	s_cbranch_execz .LBB275_48
.LBB275_65:
	v_add_nc_u32_e32 v2, s1, v0
	v_add_nc_u32_e32 v0, 0x100, v0
	global_store_b8 v2, v1, s[4:5]
	s_or_b32 exec_lo, exec_lo, s0
	s_delay_alu instid0(SALU_CYCLE_1)
	s_mov_b32 s0, exec_lo
	v_cmpx_gt_i32_e64 s2, v0
	s_cbranch_execz .LBB275_49
.LBB275_66:
	v_add_nc_u32_e32 v2, s1, v0
	v_lshrrev_b32_e32 v3, 8, v1
	v_add_nc_u32_e32 v0, 0x100, v0
	global_store_b8 v2, v3, s[4:5]
	s_or_b32 exec_lo, exec_lo, s0
	s_delay_alu instid0(SALU_CYCLE_1)
	s_mov_b32 s0, exec_lo
	v_cmpx_gt_i32_e64 s2, v0
	s_cbranch_execz .LBB275_50
.LBB275_67:
	v_add_nc_u32_e32 v2, s1, v0
	v_add_nc_u32_e32 v0, 0x100, v0
	global_store_d16_hi_b8 v2, v1, s[4:5]
	s_or_b32 exec_lo, exec_lo, s0
	s_delay_alu instid0(SALU_CYCLE_1)
	s_mov_b32 s0, exec_lo
	v_cmpx_gt_i32_e64 s2, v0
	s_cbranch_execnz .LBB275_51
	s_branch .LBB275_52
	.section	.rodata,"a",@progbits
	.p2align	6, 0x0
	.amdhsa_kernel _ZN2at6native29vectorized_elementwise_kernelILi8EZZZNS0_17clamp_kernel_cudaERNS_18TensorIteratorBaseERKN3c106ScalarES7_ENKUlvE_clEvENKUlvE_clEvEUlhE_St5arrayIPcLm2EEEEviT0_T1_
		.amdhsa_group_segment_fixed_size 0
		.amdhsa_private_segment_fixed_size 0
		.amdhsa_kernarg_size 24
		.amdhsa_user_sgpr_count 15
		.amdhsa_user_sgpr_dispatch_ptr 0
		.amdhsa_user_sgpr_queue_ptr 0
		.amdhsa_user_sgpr_kernarg_segment_ptr 1
		.amdhsa_user_sgpr_dispatch_id 0
		.amdhsa_user_sgpr_private_segment_size 0
		.amdhsa_wavefront_size32 1
		.amdhsa_uses_dynamic_stack 0
		.amdhsa_enable_private_segment 0
		.amdhsa_system_sgpr_workgroup_id_x 1
		.amdhsa_system_sgpr_workgroup_id_y 0
		.amdhsa_system_sgpr_workgroup_id_z 0
		.amdhsa_system_sgpr_workgroup_info 0
		.amdhsa_system_vgpr_workitem_id 0
		.amdhsa_next_free_vgpr 26
		.amdhsa_next_free_sgpr 16
		.amdhsa_reserve_vcc 1
		.amdhsa_float_round_mode_32 0
		.amdhsa_float_round_mode_16_64 0
		.amdhsa_float_denorm_mode_32 3
		.amdhsa_float_denorm_mode_16_64 3
		.amdhsa_dx10_clamp 1
		.amdhsa_ieee_mode 1
		.amdhsa_fp16_overflow 0
		.amdhsa_workgroup_processor_mode 1
		.amdhsa_memory_ordered 1
		.amdhsa_forward_progress 0
		.amdhsa_shared_vgpr_count 0
		.amdhsa_exception_fp_ieee_invalid_op 0
		.amdhsa_exception_fp_denorm_src 0
		.amdhsa_exception_fp_ieee_div_zero 0
		.amdhsa_exception_fp_ieee_overflow 0
		.amdhsa_exception_fp_ieee_underflow 0
		.amdhsa_exception_fp_ieee_inexact 0
		.amdhsa_exception_int_div_zero 0
	.end_amdhsa_kernel
	.section	.text._ZN2at6native29vectorized_elementwise_kernelILi8EZZZNS0_17clamp_kernel_cudaERNS_18TensorIteratorBaseERKN3c106ScalarES7_ENKUlvE_clEvENKUlvE_clEvEUlhE_St5arrayIPcLm2EEEEviT0_T1_,"axG",@progbits,_ZN2at6native29vectorized_elementwise_kernelILi8EZZZNS0_17clamp_kernel_cudaERNS_18TensorIteratorBaseERKN3c106ScalarES7_ENKUlvE_clEvENKUlvE_clEvEUlhE_St5arrayIPcLm2EEEEviT0_T1_,comdat
.Lfunc_end275:
	.size	_ZN2at6native29vectorized_elementwise_kernelILi8EZZZNS0_17clamp_kernel_cudaERNS_18TensorIteratorBaseERKN3c106ScalarES7_ENKUlvE_clEvENKUlvE_clEvEUlhE_St5arrayIPcLm2EEEEviT0_T1_, .Lfunc_end275-_ZN2at6native29vectorized_elementwise_kernelILi8EZZZNS0_17clamp_kernel_cudaERNS_18TensorIteratorBaseERKN3c106ScalarES7_ENKUlvE_clEvENKUlvE_clEvEUlhE_St5arrayIPcLm2EEEEviT0_T1_
                                        ; -- End function
	.section	.AMDGPU.csdata,"",@progbits
; Kernel info:
; codeLenInByte = 3668
; NumSgprs: 18
; NumVgprs: 26
; ScratchSize: 0
; MemoryBound: 0
; FloatMode: 240
; IeeeMode: 1
; LDSByteSize: 0 bytes/workgroup (compile time only)
; SGPRBlocks: 2
; VGPRBlocks: 3
; NumSGPRsForWavesPerEU: 18
; NumVGPRsForWavesPerEU: 26
; Occupancy: 16
; WaveLimiterHint : 1
; COMPUTE_PGM_RSRC2:SCRATCH_EN: 0
; COMPUTE_PGM_RSRC2:USER_SGPR: 15
; COMPUTE_PGM_RSRC2:TRAP_HANDLER: 0
; COMPUTE_PGM_RSRC2:TGID_X_EN: 1
; COMPUTE_PGM_RSRC2:TGID_Y_EN: 0
; COMPUTE_PGM_RSRC2:TGID_Z_EN: 0
; COMPUTE_PGM_RSRC2:TIDIG_COMP_CNT: 0
	.section	.text._ZN2at6native29vectorized_elementwise_kernelILi4EZZZNS0_17clamp_kernel_cudaERNS_18TensorIteratorBaseERKN3c106ScalarES7_ENKUlvE_clEvENKUlvE_clEvEUlhE_St5arrayIPcLm2EEEEviT0_T1_,"axG",@progbits,_ZN2at6native29vectorized_elementwise_kernelILi4EZZZNS0_17clamp_kernel_cudaERNS_18TensorIteratorBaseERKN3c106ScalarES7_ENKUlvE_clEvENKUlvE_clEvEUlhE_St5arrayIPcLm2EEEEviT0_T1_,comdat
	.globl	_ZN2at6native29vectorized_elementwise_kernelILi4EZZZNS0_17clamp_kernel_cudaERNS_18TensorIteratorBaseERKN3c106ScalarES7_ENKUlvE_clEvENKUlvE_clEvEUlhE_St5arrayIPcLm2EEEEviT0_T1_ ; -- Begin function _ZN2at6native29vectorized_elementwise_kernelILi4EZZZNS0_17clamp_kernel_cudaERNS_18TensorIteratorBaseERKN3c106ScalarES7_ENKUlvE_clEvENKUlvE_clEvEUlhE_St5arrayIPcLm2EEEEviT0_T1_
	.p2align	8
	.type	_ZN2at6native29vectorized_elementwise_kernelILi4EZZZNS0_17clamp_kernel_cudaERNS_18TensorIteratorBaseERKN3c106ScalarES7_ENKUlvE_clEvENKUlvE_clEvEUlhE_St5arrayIPcLm2EEEEviT0_T1_,@function
_ZN2at6native29vectorized_elementwise_kernelILi4EZZZNS0_17clamp_kernel_cudaERNS_18TensorIteratorBaseERKN3c106ScalarES7_ENKUlvE_clEvENKUlvE_clEvEUlhE_St5arrayIPcLm2EEEEviT0_T1_: ; @_ZN2at6native29vectorized_elementwise_kernelILi4EZZZNS0_17clamp_kernel_cudaERNS_18TensorIteratorBaseERKN3c106ScalarES7_ENKUlvE_clEvENKUlvE_clEvEUlhE_St5arrayIPcLm2EEEEviT0_T1_
; %bb.0:
	v_mov_b32_e32 v1, 0
	s_clause 0x1
	s_load_b32 s3, s[0:1], 0x0
	s_load_b128 s[4:7], s[0:1], 0x8
	s_lshl_b32 s2, s15, 12
	s_mov_b32 s8, -1
	global_load_u16 v2, v1, s[0:1] offset:4
	s_waitcnt lgkmcnt(0)
	s_sub_i32 s3, s3, s2
	s_delay_alu instid0(SALU_CYCLE_1) | instskip(SKIP_3) | instid1(VALU_DEP_2)
	s_cmpk_gt_i32 s3, 0xfff
	s_waitcnt vmcnt(0)
	v_and_b32_e32 v1, 0xffff, v2
	v_and_b32_e32 v2, 0xff, v2
	v_lshrrev_b32_e32 v1, 8, v1
	s_cbranch_scc0 .LBB276_2
; %bb.1:
	v_lshlrev_b32_e32 v3, 2, v0
	s_ashr_i32 s8, s2, 31
	s_add_u32 s0, s6, s2
	s_addc_u32 s1, s7, s8
	s_clause 0x3
	global_load_b32 v4, v3, s[0:1]
	global_load_b32 v5, v3, s[0:1] offset:1024
	global_load_b32 v6, v3, s[0:1] offset:2048
	;; [unrolled: 1-line block ×3, first 2 shown]
	s_add_u32 s0, s4, s2
	s_addc_u32 s1, s5, s8
	s_mov_b32 s8, 0
	s_waitcnt vmcnt(3)
	v_lshrrev_b32_e32 v9, 8, v4
	v_lshrrev_b32_e32 v10, 16, v4
	s_waitcnt vmcnt(2)
	v_lshrrev_b32_e32 v12, 8, v5
	v_lshrrev_b32_e32 v13, 16, v5
	;; [unrolled: 3-line block ×4, first 2 shown]
	v_and_b32_e32 v9, 0xff, v9
	v_and_b32_e32 v10, 0xff, v10
	;; [unrolled: 1-line block ×9, first 2 shown]
	v_lshrrev_b32_e32 v4, 24, v4
	v_max_u16 v9, v9, v2
	v_max_u16 v10, v10, v2
	v_and_b32_e32 v11, 0xff, v5
	v_lshrrev_b32_e32 v5, 24, v5
	v_max_u16 v12, v12, v2
	v_max_u16 v13, v13, v2
	v_and_b32_e32 v14, 0xff, v6
	;; [unrolled: 4-line block ×3, first 2 shown]
	v_lshrrev_b32_e32 v7, 24, v7
	v_max_u16 v18, v18, v2
	v_max_u16 v19, v19, v2
	;; [unrolled: 1-line block ×4, first 2 shown]
	v_min_u16 v9, v9, v1
	v_min_u16 v10, v10, v1
	v_max_u16 v11, v11, v2
	v_max_u16 v5, v5, v2
	v_min_u16 v12, v12, v1
	v_min_u16 v13, v13, v1
	v_max_u16 v14, v14, v2
	v_max_u16 v6, v6, v2
	;; [unrolled: 4-line block ×3, first 2 shown]
	v_min_u16 v18, v18, v1
	v_min_u16 v19, v19, v1
	;; [unrolled: 1-line block ×4, first 2 shown]
	v_lshlrev_b32_e32 v10, 16, v10
	v_and_b32_e32 v9, 0xffff, v9
	v_min_u16 v11, v11, v1
	v_min_u16 v5, v5, v1
	v_lshlrev_b32_e32 v13, 16, v13
	v_and_b32_e32 v12, 0xffff, v12
	v_min_u16 v14, v14, v1
	v_min_u16 v6, v6, v1
	;; [unrolled: 4-line block ×3, first 2 shown]
	v_lshlrev_b32_e32 v19, 16, v19
	v_and_b32_e32 v18, 0xffff, v18
	v_and_b32_e32 v8, 0xffff, v8
	v_lshl_or_b32 v4, v4, 24, v10
	v_lshlrev_b32_e32 v9, 8, v9
	v_and_b32_e32 v11, 0xffff, v11
	v_lshl_or_b32 v5, v5, 24, v13
	v_lshlrev_b32_e32 v10, 8, v12
	;; [unrolled: 3-line block ×4, first 2 shown]
	v_or3_b32 v4, v4, v9, v8
	v_or3_b32 v5, v5, v10, v11
	v_or3_b32 v6, v6, v12, v14
	s_delay_alu instid0(VALU_DEP_4)
	v_or3_b32 v7, v7, v13, v17
	s_clause 0x3
	global_store_b32 v3, v4, s[0:1]
	global_store_b32 v3, v5, s[0:1] offset:1024
	global_store_b32 v3, v6, s[0:1] offset:2048
	;; [unrolled: 1-line block ×3, first 2 shown]
.LBB276_2:
	s_and_not1_b32 vcc_lo, exec_lo, s8
	s_cbranch_vccnz .LBB276_52
; %bb.3:
	v_cmp_gt_i32_e32 vcc_lo, s3, v0
	v_dual_mov_b32 v5, 0 :: v_dual_mov_b32 v6, 0
	v_or_b32_e32 v3, s2, v0
	v_or_b32_e32 v4, 0x100, v0
	v_mov_b32_e32 v13, v0
	s_and_saveexec_b32 s0, vcc_lo
	s_cbranch_execz .LBB276_5
; %bb.4:
	global_load_u8 v6, v3, s[6:7]
	v_or_b32_e32 v13, 0x100, v0
.LBB276_5:
	s_or_b32 exec_lo, exec_lo, s0
	s_delay_alu instid0(SALU_CYCLE_1) | instskip(NEXT) | instid1(VALU_DEP_1)
	s_mov_b32 s1, exec_lo
	v_cmpx_gt_i32_e64 s3, v13
	s_cbranch_execz .LBB276_7
; %bb.6:
	v_add_nc_u32_e32 v5, s2, v13
	v_add_nc_u32_e32 v13, 0x100, v13
	global_load_u8 v5, v5, s[6:7]
.LBB276_7:
	s_or_b32 exec_lo, exec_lo, s1
	v_dual_mov_b32 v10, 0 :: v_dual_mov_b32 v11, 0
	s_mov_b32 s1, exec_lo
	v_cmpx_gt_i32_e64 s3, v13
	s_cbranch_execz .LBB276_9
; %bb.8:
	v_add_nc_u32_e32 v7, s2, v13
	v_add_nc_u32_e32 v13, 0x100, v13
	global_load_u8 v11, v7, s[6:7]
.LBB276_9:
	s_or_b32 exec_lo, exec_lo, s1
	s_delay_alu instid0(SALU_CYCLE_1)
	s_mov_b32 s1, exec_lo
	v_cmpx_gt_i32_e64 s3, v13
	s_cbranch_execz .LBB276_11
; %bb.10:
	v_add_nc_u32_e32 v7, s2, v13
	v_add_nc_u32_e32 v13, 0x100, v13
	global_load_u8 v10, v7, s[6:7]
.LBB276_11:
	s_or_b32 exec_lo, exec_lo, s1
	v_mov_b32_e32 v14, 0
	v_mov_b32_e32 v16, 0
	s_mov_b32 s1, exec_lo
	v_cmpx_gt_i32_e64 s3, v13
	s_cbranch_execz .LBB276_13
; %bb.12:
	v_add_nc_u32_e32 v7, s2, v13
	v_add_nc_u32_e32 v13, 0x100, v13
	global_load_u8 v16, v7, s[6:7]
.LBB276_13:
	s_or_b32 exec_lo, exec_lo, s1
	s_delay_alu instid0(SALU_CYCLE_1)
	s_mov_b32 s1, exec_lo
	v_cmpx_gt_i32_e64 s3, v13
	s_cbranch_execz .LBB276_15
; %bb.14:
	v_add_nc_u32_e32 v7, s2, v13
	v_add_nc_u32_e32 v13, 0x100, v13
	global_load_u8 v14, v7, s[6:7]
.LBB276_15:
	s_or_b32 exec_lo, exec_lo, s1
	v_dual_mov_b32 v15, 0 :: v_dual_mov_b32 v18, 0
	s_mov_b32 s1, exec_lo
	v_cmpx_gt_i32_e64 s3, v13
	s_cbranch_execz .LBB276_17
; %bb.16:
	v_add_nc_u32_e32 v7, s2, v13
	v_add_nc_u32_e32 v13, 0x100, v13
	global_load_u8 v18, v7, s[6:7]
.LBB276_17:
	s_or_b32 exec_lo, exec_lo, s1
	s_delay_alu instid0(SALU_CYCLE_1)
	s_mov_b32 s1, exec_lo
	v_cmpx_gt_i32_e64 s3, v13
	s_cbranch_execz .LBB276_19
; %bb.18:
	v_add_nc_u32_e32 v7, s2, v13
	v_add_nc_u32_e32 v13, 0x100, v13
	global_load_u8 v15, v7, s[6:7]
.LBB276_19:
	s_or_b32 exec_lo, exec_lo, s1
	v_dual_mov_b32 v8, 0 :: v_dual_mov_b32 v9, 0
	;; [unrolled: 20-line block ×4, first 2 shown]
	s_mov_b32 s1, exec_lo
	v_cmpx_gt_i32_e64 s3, v13
	s_cbranch_execz .LBB276_29
; %bb.28:
	v_add_nc_u32_e32 v17, s2, v13
	v_add_nc_u32_e32 v13, 0x100, v13
	global_load_u8 v21, v17, s[6:7]
.LBB276_29:
	s_or_b32 exec_lo, exec_lo, s1
	s_delay_alu instid0(SALU_CYCLE_1)
	s_mov_b32 s1, exec_lo
	v_cmpx_gt_i32_e64 s3, v13
	s_cbranch_execz .LBB276_31
; %bb.30:
	v_add_nc_u32_e32 v17, s2, v13
	v_add_nc_u32_e32 v13, 0x100, v13
	global_load_u8 v20, v17, s[6:7]
.LBB276_31:
	s_or_b32 exec_lo, exec_lo, s1
	v_mov_b32_e32 v17, 0
	v_mov_b32_e32 v19, 0
	s_mov_b32 s1, exec_lo
	v_cmpx_gt_i32_e64 s3, v13
	s_cbranch_execz .LBB276_33
; %bb.32:
	v_add_nc_u32_e32 v19, s2, v13
	v_add_nc_u32_e32 v13, 0x100, v13
	global_load_u8 v19, v19, s[6:7]
.LBB276_33:
	s_or_b32 exec_lo, exec_lo, s1
	s_delay_alu instid0(SALU_CYCLE_1)
	s_mov_b32 s1, exec_lo
	v_cmpx_gt_i32_e64 s3, v13
	s_cbranch_execz .LBB276_35
; %bb.34:
	v_add_nc_u32_e32 v13, s2, v13
	global_load_u8 v17, v13, s[6:7]
.LBB276_35:
	s_or_b32 exec_lo, exec_lo, s1
	s_waitcnt vmcnt(0)
	v_and_b32_e32 v13, 0xff, v16
	v_or_b32_e32 v22, 0x400, v0
	v_and_b32_e32 v14, 0xff, v14
	v_and_b32_e32 v5, 0xff, v5
	;; [unrolled: 1-line block ×3, first 2 shown]
	v_max_u16 v13, v13, v2
	v_cmp_gt_i32_e64 s0, s3, v22
	v_max_u16 v14, v14, v2
	v_max_u16 v5, v5, v2
	;; [unrolled: 1-line block ×3, first 2 shown]
	v_min_u16 v13, v13, v1
	v_and_b32_e32 v11, 0xff, v11
	v_min_u16 v14, v14, v1
	v_min_u16 v5, v5, v1
	v_or_b32_e32 v23, 0x500, v0
	v_and_b32_e32 v13, 0xffff, v13
	v_min_u16 v6, v6, v1
	v_lshlrev_b16 v14, 8, v14
	v_lshlrev_b16 v5, 8, v5
	v_max_u16 v11, v11, v2
	v_cndmask_b32_e64 v13, 0, v13, s0
	v_cmp_gt_i32_e64 s0, s3, v23
	v_and_b32_e32 v18, 0xff, v18
	v_or_b32_e32 v5, v6, v5
	v_and_b32_e32 v21, 0xff, v21
	v_and_b32_e32 v25, 0xff, v13
	v_min_u16 v11, v11, v1
	v_and_b32_e32 v6, 0xffff, v6
	v_and_b32_e32 v5, 0xffff, v5
	v_or_b32_e32 v16, 0x200, v0
	v_or_b32_e32 v14, v25, v14
	v_and_b32_e32 v20, 0xff, v20
	v_max_u16 v18, v18, v2
	v_max_u16 v21, v21, v2
	v_lshlrev_b32_e32 v11, 16, v11
	v_and_b32_e32 v14, 0xffff, v14
	v_or_b32_e32 v22, 0xc00, v0
	v_min_u16 v18, v18, v1
	v_or_b32_e32 v24, 0x600, v0
	v_and_b32_e32 v8, 0xff, v8
	v_cndmask_b32_e64 v13, v13, v14, s0
	v_cmp_gt_i32_e64 s0, s3, v4
	v_and_b32_e32 v9, 0xff, v9
	v_and_b32_e32 v10, 0xff, v10
	v_max_u16 v8, v8, v2
	v_lshrrev_b32_e32 v14, 16, v13
	v_cndmask_b32_e64 v5, v6, v5, s0
	v_max_u16 v6, v20, v2
	v_min_u16 v20, v21, v1
	v_cmp_gt_i32_e64 s0, s3, v16
	v_and_b32_e32 v14, 0xffffff00, v14
	v_or_b32_e32 v11, v5, v11
	v_min_u16 v6, v6, v1
	v_and_b32_e32 v20, 0xffff, v20
	v_max_u16 v9, v9, v2
	v_min_u16 v8, v8, v1
	v_cndmask_b32_e64 v5, v5, v11, s0
	v_or_b32_e32 v11, v18, v14
	v_cmp_gt_i32_e64 s0, s3, v22
	v_lshlrev_b16 v6, 8, v6
	v_max_u16 v10, v10, v2
	v_min_u16 v9, v9, v1
	v_lshlrev_b32_e32 v11, 16, v11
	v_cndmask_b32_e64 v14, 0, v20, s0
	v_cmp_gt_i32_e64 s0, s3, v24
	v_lshlrev_b16 v8, 8, v8
	v_and_b32_e32 v12, 0xff, v12
	v_and_or_b32 v11, 0xffff, v13, v11
	v_and_b32_e32 v18, 0xff, v14
	v_and_b32_e32 v15, 0xff, v15
	v_min_u16 v10, v10, v1
	v_lshrrev_b32_e32 v16, 16, v5
	v_cndmask_b32_e64 v11, v13, v11, s0
	v_or_b32_e32 v6, v18, v6
	v_or_b32_e32 v13, 0xd00, v0
	v_and_b32_e32 v18, 0xffff, v9
	v_or_b32_e32 v8, v9, v8
	v_max_u16 v9, v12, v2
	v_and_b32_e32 v6, 0xffff, v6
	v_cmp_gt_i32_e64 s0, s3, v13
	v_and_b32_e32 v13, 0xff, v19
	v_lshlrev_b16 v10, 8, v10
	v_and_b32_e32 v16, 0xff, v16
	v_and_b32_e32 v8, 0xffff, v8
	v_cndmask_b32_e64 v6, v14, v6, s0
	v_max_u16 v13, v13, v2
	v_min_u16 v9, v9, v1
	v_max_u16 v15, v15, v2
	v_or_b32_e32 v10, v16, v10
	v_lshrrev_b32_e32 v14, 16, v6
	v_min_u16 v13, v13, v1
	v_lshrrev_b32_e32 v16, 16, v11
	v_lshlrev_b32_e32 v9, 16, v9
	v_and_b32_e32 v7, 0xff, v7
	v_and_b32_e32 v12, 0xffffff00, v14
	v_or_b32_e32 v14, 0x900, v0
	v_and_b32_e32 v17, 0xff, v17
	v_lshlrev_b32_e32 v10, 16, v10
	v_max_u16 v7, v7, v2
	v_or_b32_e32 v12, v13, v12
	v_cmp_gt_i32_e64 s0, s3, v14
	v_min_u16 v14, v15, v1
	v_or_b32_e32 v15, 0xa00, v0
	v_and_b32_e32 v13, 0xff, v16
	v_lshlrev_b32_e32 v12, 16, v12
	v_cndmask_b32_e64 v8, v18, v8, s0
	v_or_b32_e32 v16, 0xe00, v0
	v_cmp_gt_i32_e64 s0, s3, v15
	v_max_u16 v2, v17, v2
	v_and_or_b32 v12, 0xffff, v6, v12
	v_or_b32_e32 v9, v8, v9
	v_min_u16 v7, v7, v1
	v_and_or_b32 v10, 0xffff, v5, v10
	v_min_u16 v1, v2, v1
	s_delay_alu instid0(VALU_DEP_4) | instskip(SKIP_2) | instid1(VALU_DEP_4)
	v_cndmask_b32_e64 v8, v8, v9, s0
	v_cmp_gt_i32_e64 s0, s3, v16
	v_lshlrev_b16 v7, 8, v7
	v_lshlrev_b16 v1, 8, v1
	s_delay_alu instid0(VALU_DEP_3) | instskip(SKIP_2) | instid1(VALU_DEP_3)
	v_cndmask_b32_e64 v9, v6, v12, s0
	v_lshlrev_b16 v6, 8, v14
	v_lshrrev_b32_e32 v12, 16, v8
	v_lshrrev_b32_e32 v14, 16, v9
	s_delay_alu instid0(VALU_DEP_3) | instskip(NEXT) | instid1(VALU_DEP_3)
	v_or_b32_e32 v2, v13, v6
	v_and_b32_e32 v6, 0xff, v12
	v_or_b32_e32 v13, 0x300, v0
	s_delay_alu instid0(VALU_DEP_4) | instskip(NEXT) | instid1(VALU_DEP_4)
	v_and_b32_e32 v12, 0xff, v14
	v_lshlrev_b32_e32 v2, 16, v2
	s_delay_alu instid0(VALU_DEP_4) | instskip(NEXT) | instid1(VALU_DEP_4)
	v_or_b32_e32 v7, v6, v7
	v_cmp_gt_i32_e64 s0, s3, v13
	v_or_b32_e32 v13, 0xf00, v0
	v_or_b32_e32 v1, v12, v1
	v_and_or_b32 v2, 0xffff, v11, v2
	s_delay_alu instid0(VALU_DEP_4) | instskip(SKIP_4) | instid1(VALU_DEP_4)
	v_cndmask_b32_e64 v6, v5, v10, s0
	v_lshlrev_b32_e32 v5, 16, v7
	v_or_b32_e32 v7, 0x700, v0
	v_or_b32_e32 v10, 0xb00, v0
	v_lshlrev_b32_e32 v1, 16, v1
	v_and_or_b32 v12, 0xffff, v8, v5
	s_delay_alu instid0(VALU_DEP_4) | instskip(NEXT) | instid1(VALU_DEP_3)
	v_cmp_gt_i32_e64 s0, s3, v7
	v_and_or_b32 v1, 0xffff, v9, v1
	s_delay_alu instid0(VALU_DEP_2) | instskip(SKIP_1) | instid1(VALU_DEP_1)
	v_cndmask_b32_e64 v5, v11, v2, s0
	v_cmp_gt_i32_e64 s0, s3, v10
	v_cndmask_b32_e64 v2, v8, v12, s0
	v_cmp_gt_i32_e64 s0, s3, v13
	s_delay_alu instid0(VALU_DEP_1)
	v_cndmask_b32_e64 v1, v9, v1, s0
	s_and_saveexec_b32 s0, vcc_lo
	s_cbranch_execnz .LBB276_53
; %bb.36:
	s_or_b32 exec_lo, exec_lo, s0
	s_delay_alu instid0(SALU_CYCLE_1)
	s_mov_b32 s0, exec_lo
	v_cmpx_gt_i32_e64 s3, v0
	s_cbranch_execnz .LBB276_54
.LBB276_37:
	s_or_b32 exec_lo, exec_lo, s0
	s_delay_alu instid0(SALU_CYCLE_1)
	s_mov_b32 s0, exec_lo
	v_cmpx_gt_i32_e64 s3, v0
	s_cbranch_execnz .LBB276_55
.LBB276_38:
	s_or_b32 exec_lo, exec_lo, s0
	s_delay_alu instid0(SALU_CYCLE_1)
	s_mov_b32 s0, exec_lo
	v_cmpx_gt_i32_e64 s3, v0
	s_cbranch_execnz .LBB276_56
.LBB276_39:
	s_or_b32 exec_lo, exec_lo, s0
	s_delay_alu instid0(SALU_CYCLE_1)
	s_mov_b32 s0, exec_lo
	v_cmpx_gt_i32_e64 s3, v0
	s_cbranch_execnz .LBB276_57
.LBB276_40:
	s_or_b32 exec_lo, exec_lo, s0
	s_delay_alu instid0(SALU_CYCLE_1)
	s_mov_b32 s0, exec_lo
	v_cmpx_gt_i32_e64 s3, v0
	s_cbranch_execnz .LBB276_58
.LBB276_41:
	s_or_b32 exec_lo, exec_lo, s0
	s_delay_alu instid0(SALU_CYCLE_1)
	s_mov_b32 s0, exec_lo
	v_cmpx_gt_i32_e64 s3, v0
	s_cbranch_execnz .LBB276_59
.LBB276_42:
	s_or_b32 exec_lo, exec_lo, s0
	s_delay_alu instid0(SALU_CYCLE_1)
	s_mov_b32 s0, exec_lo
	v_cmpx_gt_i32_e64 s3, v0
	s_cbranch_execnz .LBB276_60
.LBB276_43:
	s_or_b32 exec_lo, exec_lo, s0
	s_delay_alu instid0(SALU_CYCLE_1)
	s_mov_b32 s0, exec_lo
	v_cmpx_gt_i32_e64 s3, v0
	s_cbranch_execnz .LBB276_61
.LBB276_44:
	s_or_b32 exec_lo, exec_lo, s0
	s_delay_alu instid0(SALU_CYCLE_1)
	s_mov_b32 s0, exec_lo
	v_cmpx_gt_i32_e64 s3, v0
	s_cbranch_execnz .LBB276_62
.LBB276_45:
	s_or_b32 exec_lo, exec_lo, s0
	s_delay_alu instid0(SALU_CYCLE_1)
	s_mov_b32 s0, exec_lo
	v_cmpx_gt_i32_e64 s3, v0
	s_cbranch_execnz .LBB276_63
.LBB276_46:
	s_or_b32 exec_lo, exec_lo, s0
	s_delay_alu instid0(SALU_CYCLE_1)
	s_mov_b32 s0, exec_lo
	v_cmpx_gt_i32_e64 s3, v0
	s_cbranch_execnz .LBB276_64
.LBB276_47:
	s_or_b32 exec_lo, exec_lo, s0
	s_delay_alu instid0(SALU_CYCLE_1)
	s_mov_b32 s0, exec_lo
	v_cmpx_gt_i32_e64 s3, v0
	s_cbranch_execnz .LBB276_65
.LBB276_48:
	s_or_b32 exec_lo, exec_lo, s0
	s_delay_alu instid0(SALU_CYCLE_1)
	s_mov_b32 s0, exec_lo
	v_cmpx_gt_i32_e64 s3, v0
	s_cbranch_execnz .LBB276_66
.LBB276_49:
	s_or_b32 exec_lo, exec_lo, s0
	s_delay_alu instid0(SALU_CYCLE_1)
	s_mov_b32 s0, exec_lo
	v_cmpx_gt_i32_e64 s3, v0
	s_cbranch_execnz .LBB276_67
.LBB276_50:
	s_or_b32 exec_lo, exec_lo, s0
	s_delay_alu instid0(SALU_CYCLE_1)
	s_mov_b32 s0, exec_lo
	v_cmpx_gt_i32_e64 s3, v0
	s_cbranch_execz .LBB276_52
.LBB276_51:
	v_add_nc_u32_e32 v0, s2, v0
	v_lshrrev_b32_e32 v1, 24, v1
	global_store_b8 v0, v1, s[4:5]
.LBB276_52:
	s_nop 0
	s_sendmsg sendmsg(MSG_DEALLOC_VGPRS)
	s_endpgm
.LBB276_53:
	v_mov_b32_e32 v0, v4
	global_store_b8 v3, v6, s[4:5]
	s_or_b32 exec_lo, exec_lo, s0
	s_delay_alu instid0(SALU_CYCLE_1)
	s_mov_b32 s0, exec_lo
	v_cmpx_gt_i32_e64 s3, v0
	s_cbranch_execz .LBB276_37
.LBB276_54:
	v_add_nc_u32_e32 v3, s2, v0
	v_lshrrev_b32_e32 v4, 8, v6
	v_add_nc_u32_e32 v0, 0x100, v0
	global_store_b8 v3, v4, s[4:5]
	s_or_b32 exec_lo, exec_lo, s0
	s_delay_alu instid0(SALU_CYCLE_1)
	s_mov_b32 s0, exec_lo
	v_cmpx_gt_i32_e64 s3, v0
	s_cbranch_execz .LBB276_38
.LBB276_55:
	v_add_nc_u32_e32 v3, s2, v0
	v_add_nc_u32_e32 v0, 0x100, v0
	global_store_d16_hi_b8 v3, v6, s[4:5]
	s_or_b32 exec_lo, exec_lo, s0
	s_delay_alu instid0(SALU_CYCLE_1)
	s_mov_b32 s0, exec_lo
	v_cmpx_gt_i32_e64 s3, v0
	s_cbranch_execz .LBB276_39
.LBB276_56:
	v_add_nc_u32_e32 v3, s2, v0
	v_lshrrev_b32_e32 v4, 24, v6
	v_add_nc_u32_e32 v0, 0x100, v0
	global_store_b8 v3, v4, s[4:5]
	s_or_b32 exec_lo, exec_lo, s0
	s_delay_alu instid0(SALU_CYCLE_1)
	s_mov_b32 s0, exec_lo
	v_cmpx_gt_i32_e64 s3, v0
	s_cbranch_execz .LBB276_40
.LBB276_57:
	v_add_nc_u32_e32 v3, s2, v0
	v_add_nc_u32_e32 v0, 0x100, v0
	global_store_b8 v3, v5, s[4:5]
	s_or_b32 exec_lo, exec_lo, s0
	s_delay_alu instid0(SALU_CYCLE_1)
	s_mov_b32 s0, exec_lo
	v_cmpx_gt_i32_e64 s3, v0
	s_cbranch_execz .LBB276_41
.LBB276_58:
	v_add_nc_u32_e32 v3, s2, v0
	v_lshrrev_b32_e32 v4, 8, v5
	v_add_nc_u32_e32 v0, 0x100, v0
	global_store_b8 v3, v4, s[4:5]
	s_or_b32 exec_lo, exec_lo, s0
	s_delay_alu instid0(SALU_CYCLE_1)
	s_mov_b32 s0, exec_lo
	v_cmpx_gt_i32_e64 s3, v0
	s_cbranch_execz .LBB276_42
.LBB276_59:
	v_add_nc_u32_e32 v3, s2, v0
	v_add_nc_u32_e32 v0, 0x100, v0
	global_store_d16_hi_b8 v3, v5, s[4:5]
	s_or_b32 exec_lo, exec_lo, s0
	s_delay_alu instid0(SALU_CYCLE_1)
	s_mov_b32 s0, exec_lo
	v_cmpx_gt_i32_e64 s3, v0
	s_cbranch_execz .LBB276_43
.LBB276_60:
	v_add_nc_u32_e32 v3, s2, v0
	v_lshrrev_b32_e32 v4, 24, v5
	v_add_nc_u32_e32 v0, 0x100, v0
	global_store_b8 v3, v4, s[4:5]
	s_or_b32 exec_lo, exec_lo, s0
	s_delay_alu instid0(SALU_CYCLE_1)
	s_mov_b32 s0, exec_lo
	v_cmpx_gt_i32_e64 s3, v0
	s_cbranch_execz .LBB276_44
.LBB276_61:
	v_add_nc_u32_e32 v3, s2, v0
	v_add_nc_u32_e32 v0, 0x100, v0
	global_store_b8 v3, v2, s[4:5]
	s_or_b32 exec_lo, exec_lo, s0
	s_delay_alu instid0(SALU_CYCLE_1)
	s_mov_b32 s0, exec_lo
	v_cmpx_gt_i32_e64 s3, v0
	s_cbranch_execz .LBB276_45
.LBB276_62:
	v_add_nc_u32_e32 v3, s2, v0
	v_lshrrev_b32_e32 v4, 8, v2
	v_add_nc_u32_e32 v0, 0x100, v0
	global_store_b8 v3, v4, s[4:5]
	s_or_b32 exec_lo, exec_lo, s0
	s_delay_alu instid0(SALU_CYCLE_1)
	s_mov_b32 s0, exec_lo
	v_cmpx_gt_i32_e64 s3, v0
	s_cbranch_execz .LBB276_46
.LBB276_63:
	v_add_nc_u32_e32 v3, s2, v0
	v_add_nc_u32_e32 v0, 0x100, v0
	global_store_d16_hi_b8 v3, v2, s[4:5]
	s_or_b32 exec_lo, exec_lo, s0
	s_delay_alu instid0(SALU_CYCLE_1)
	s_mov_b32 s0, exec_lo
	v_cmpx_gt_i32_e64 s3, v0
	s_cbranch_execz .LBB276_47
.LBB276_64:
	v_add_nc_u32_e32 v3, s2, v0
	v_lshrrev_b32_e32 v2, 24, v2
	v_add_nc_u32_e32 v0, 0x100, v0
	global_store_b8 v3, v2, s[4:5]
	s_or_b32 exec_lo, exec_lo, s0
	s_delay_alu instid0(SALU_CYCLE_1)
	s_mov_b32 s0, exec_lo
	v_cmpx_gt_i32_e64 s3, v0
	s_cbranch_execz .LBB276_48
.LBB276_65:
	v_add_nc_u32_e32 v2, s2, v0
	v_add_nc_u32_e32 v0, 0x100, v0
	global_store_b8 v2, v1, s[4:5]
	s_or_b32 exec_lo, exec_lo, s0
	s_delay_alu instid0(SALU_CYCLE_1)
	s_mov_b32 s0, exec_lo
	v_cmpx_gt_i32_e64 s3, v0
	s_cbranch_execz .LBB276_49
.LBB276_66:
	v_add_nc_u32_e32 v2, s2, v0
	v_lshrrev_b32_e32 v3, 8, v1
	v_add_nc_u32_e32 v0, 0x100, v0
	global_store_b8 v2, v3, s[4:5]
	s_or_b32 exec_lo, exec_lo, s0
	s_delay_alu instid0(SALU_CYCLE_1)
	s_mov_b32 s0, exec_lo
	v_cmpx_gt_i32_e64 s3, v0
	s_cbranch_execz .LBB276_50
.LBB276_67:
	v_add_nc_u32_e32 v2, s2, v0
	v_add_nc_u32_e32 v0, 0x100, v0
	global_store_d16_hi_b8 v2, v1, s[4:5]
	s_or_b32 exec_lo, exec_lo, s0
	s_delay_alu instid0(SALU_CYCLE_1)
	s_mov_b32 s0, exec_lo
	v_cmpx_gt_i32_e64 s3, v0
	s_cbranch_execnz .LBB276_51
	s_branch .LBB276_52
	.section	.rodata,"a",@progbits
	.p2align	6, 0x0
	.amdhsa_kernel _ZN2at6native29vectorized_elementwise_kernelILi4EZZZNS0_17clamp_kernel_cudaERNS_18TensorIteratorBaseERKN3c106ScalarES7_ENKUlvE_clEvENKUlvE_clEvEUlhE_St5arrayIPcLm2EEEEviT0_T1_
		.amdhsa_group_segment_fixed_size 0
		.amdhsa_private_segment_fixed_size 0
		.amdhsa_kernarg_size 24
		.amdhsa_user_sgpr_count 15
		.amdhsa_user_sgpr_dispatch_ptr 0
		.amdhsa_user_sgpr_queue_ptr 0
		.amdhsa_user_sgpr_kernarg_segment_ptr 1
		.amdhsa_user_sgpr_dispatch_id 0
		.amdhsa_user_sgpr_private_segment_size 0
		.amdhsa_wavefront_size32 1
		.amdhsa_uses_dynamic_stack 0
		.amdhsa_enable_private_segment 0
		.amdhsa_system_sgpr_workgroup_id_x 1
		.amdhsa_system_sgpr_workgroup_id_y 0
		.amdhsa_system_sgpr_workgroup_id_z 0
		.amdhsa_system_sgpr_workgroup_info 0
		.amdhsa_system_vgpr_workitem_id 0
		.amdhsa_next_free_vgpr 26
		.amdhsa_next_free_sgpr 16
		.amdhsa_reserve_vcc 1
		.amdhsa_float_round_mode_32 0
		.amdhsa_float_round_mode_16_64 0
		.amdhsa_float_denorm_mode_32 3
		.amdhsa_float_denorm_mode_16_64 3
		.amdhsa_dx10_clamp 1
		.amdhsa_ieee_mode 1
		.amdhsa_fp16_overflow 0
		.amdhsa_workgroup_processor_mode 1
		.amdhsa_memory_ordered 1
		.amdhsa_forward_progress 0
		.amdhsa_shared_vgpr_count 0
		.amdhsa_exception_fp_ieee_invalid_op 0
		.amdhsa_exception_fp_denorm_src 0
		.amdhsa_exception_fp_ieee_div_zero 0
		.amdhsa_exception_fp_ieee_overflow 0
		.amdhsa_exception_fp_ieee_underflow 0
		.amdhsa_exception_fp_ieee_inexact 0
		.amdhsa_exception_int_div_zero 0
	.end_amdhsa_kernel
	.section	.text._ZN2at6native29vectorized_elementwise_kernelILi4EZZZNS0_17clamp_kernel_cudaERNS_18TensorIteratorBaseERKN3c106ScalarES7_ENKUlvE_clEvENKUlvE_clEvEUlhE_St5arrayIPcLm2EEEEviT0_T1_,"axG",@progbits,_ZN2at6native29vectorized_elementwise_kernelILi4EZZZNS0_17clamp_kernel_cudaERNS_18TensorIteratorBaseERKN3c106ScalarES7_ENKUlvE_clEvENKUlvE_clEvEUlhE_St5arrayIPcLm2EEEEviT0_T1_,comdat
.Lfunc_end276:
	.size	_ZN2at6native29vectorized_elementwise_kernelILi4EZZZNS0_17clamp_kernel_cudaERNS_18TensorIteratorBaseERKN3c106ScalarES7_ENKUlvE_clEvENKUlvE_clEvEUlhE_St5arrayIPcLm2EEEEviT0_T1_, .Lfunc_end276-_ZN2at6native29vectorized_elementwise_kernelILi4EZZZNS0_17clamp_kernel_cudaERNS_18TensorIteratorBaseERKN3c106ScalarES7_ENKUlvE_clEvENKUlvE_clEvEUlhE_St5arrayIPcLm2EEEEviT0_T1_
                                        ; -- End function
	.section	.AMDGPU.csdata,"",@progbits
; Kernel info:
; codeLenInByte = 3708
; NumSgprs: 18
; NumVgprs: 26
; ScratchSize: 0
; MemoryBound: 0
; FloatMode: 240
; IeeeMode: 1
; LDSByteSize: 0 bytes/workgroup (compile time only)
; SGPRBlocks: 2
; VGPRBlocks: 3
; NumSGPRsForWavesPerEU: 18
; NumVGPRsForWavesPerEU: 26
; Occupancy: 16
; WaveLimiterHint : 1
; COMPUTE_PGM_RSRC2:SCRATCH_EN: 0
; COMPUTE_PGM_RSRC2:USER_SGPR: 15
; COMPUTE_PGM_RSRC2:TRAP_HANDLER: 0
; COMPUTE_PGM_RSRC2:TGID_X_EN: 1
; COMPUTE_PGM_RSRC2:TGID_Y_EN: 0
; COMPUTE_PGM_RSRC2:TGID_Z_EN: 0
; COMPUTE_PGM_RSRC2:TIDIG_COMP_CNT: 0
	.section	.text._ZN2at6native29vectorized_elementwise_kernelILi2EZZZNS0_17clamp_kernel_cudaERNS_18TensorIteratorBaseERKN3c106ScalarES7_ENKUlvE_clEvENKUlvE_clEvEUlhE_St5arrayIPcLm2EEEEviT0_T1_,"axG",@progbits,_ZN2at6native29vectorized_elementwise_kernelILi2EZZZNS0_17clamp_kernel_cudaERNS_18TensorIteratorBaseERKN3c106ScalarES7_ENKUlvE_clEvENKUlvE_clEvEUlhE_St5arrayIPcLm2EEEEviT0_T1_,comdat
	.globl	_ZN2at6native29vectorized_elementwise_kernelILi2EZZZNS0_17clamp_kernel_cudaERNS_18TensorIteratorBaseERKN3c106ScalarES7_ENKUlvE_clEvENKUlvE_clEvEUlhE_St5arrayIPcLm2EEEEviT0_T1_ ; -- Begin function _ZN2at6native29vectorized_elementwise_kernelILi2EZZZNS0_17clamp_kernel_cudaERNS_18TensorIteratorBaseERKN3c106ScalarES7_ENKUlvE_clEvENKUlvE_clEvEUlhE_St5arrayIPcLm2EEEEviT0_T1_
	.p2align	8
	.type	_ZN2at6native29vectorized_elementwise_kernelILi2EZZZNS0_17clamp_kernel_cudaERNS_18TensorIteratorBaseERKN3c106ScalarES7_ENKUlvE_clEvENKUlvE_clEvEUlhE_St5arrayIPcLm2EEEEviT0_T1_,@function
_ZN2at6native29vectorized_elementwise_kernelILi2EZZZNS0_17clamp_kernel_cudaERNS_18TensorIteratorBaseERKN3c106ScalarES7_ENKUlvE_clEvENKUlvE_clEvEUlhE_St5arrayIPcLm2EEEEviT0_T1_: ; @_ZN2at6native29vectorized_elementwise_kernelILi2EZZZNS0_17clamp_kernel_cudaERNS_18TensorIteratorBaseERKN3c106ScalarES7_ENKUlvE_clEvENKUlvE_clEvEUlhE_St5arrayIPcLm2EEEEviT0_T1_
; %bb.0:
	v_mov_b32_e32 v1, 0
	s_clause 0x1
	s_load_b32 s2, s[0:1], 0x0
	s_load_b128 s[4:7], s[0:1], 0x8
	global_load_u16 v2, v1, s[0:1] offset:4
	s_lshl_b32 s1, s15, 12
	s_mov_b32 s0, -1
	s_waitcnt lgkmcnt(0)
	s_sub_i32 s2, s2, s1
	s_delay_alu instid0(SALU_CYCLE_1) | instskip(SKIP_3) | instid1(VALU_DEP_2)
	s_cmpk_gt_i32 s2, 0xfff
	s_waitcnt vmcnt(0)
	v_and_b32_e32 v1, 0xffff, v2
	v_and_b32_e32 v2, 0xff, v2
	v_lshrrev_b32_e32 v1, 8, v1
	s_cbranch_scc0 .LBB277_2
; %bb.1:
	v_lshlrev_b32_e32 v3, 1, v0
	s_ashr_i32 s3, s1, 31
	s_add_u32 s8, s6, s1
	s_addc_u32 s9, s7, s3
	s_mov_b32 s0, 0
	s_clause 0x7
	global_load_u16 v4, v3, s[8:9]
	global_load_u16 v5, v3, s[8:9] offset:512
	global_load_u16 v6, v3, s[8:9] offset:1024
	;; [unrolled: 1-line block ×7, first 2 shown]
	s_add_u32 s8, s4, s1
	s_addc_u32 s9, s5, s3
	s_waitcnt vmcnt(7)
	v_and_b32_e32 v12, 0xff, v4
	v_lshrrev_b16 v4, 8, v4
	s_waitcnt vmcnt(6)
	v_and_b32_e32 v13, 0xff, v5
	v_lshrrev_b16 v5, 8, v5
	;; [unrolled: 3-line block ×8, first 2 shown]
	v_max_u16 v4, v4, v2
	v_max_u16 v5, v5, v2
	;; [unrolled: 1-line block ×9, first 2 shown]
	v_min_u16 v4, v4, v1
	v_max_u16 v13, v13, v2
	v_min_u16 v5, v5, v1
	v_max_u16 v14, v14, v2
	;; [unrolled: 2-line block ×5, first 2 shown]
	v_max_u16 v18, v18, v2
	v_max_u16 v19, v19, v2
	v_min_u16 v12, v12, v1
	v_min_u16 v9, v9, v1
	;; [unrolled: 1-line block ×4, first 2 shown]
	v_lshlrev_b16 v4, 8, v4
	v_min_u16 v13, v13, v1
	v_lshlrev_b16 v5, 8, v5
	v_min_u16 v14, v14, v1
	;; [unrolled: 2-line block ×5, first 2 shown]
	v_min_u16 v18, v18, v1
	v_min_u16 v19, v19, v1
	v_lshlrev_b16 v9, 8, v9
	v_lshlrev_b16 v10, 8, v10
	;; [unrolled: 1-line block ×3, first 2 shown]
	v_or_b32_e32 v4, v4, v12
	v_or_b32_e32 v5, v5, v13
	v_or_b32_e32 v6, v6, v14
	v_or_b32_e32 v7, v7, v15
	v_or_b32_e32 v8, v8, v16
	v_or_b32_e32 v9, v9, v17
	v_or_b32_e32 v10, v10, v18
	v_or_b32_e32 v11, v11, v19
	s_clause 0x7
	global_store_b16 v3, v4, s[8:9]
	global_store_b16 v3, v5, s[8:9] offset:512
	global_store_b16 v3, v6, s[8:9] offset:1024
	;; [unrolled: 1-line block ×7, first 2 shown]
.LBB277_2:
	s_and_not1_b32 vcc_lo, exec_lo, s0
	s_cbranch_vccnz .LBB277_52
; %bb.3:
	v_cmp_gt_i32_e32 vcc_lo, s2, v0
	v_dual_mov_b32 v5, 0 :: v_dual_mov_b32 v6, 0
	v_or_b32_e32 v3, s1, v0
	v_or_b32_e32 v4, 0x100, v0
	v_mov_b32_e32 v13, v0
	s_and_saveexec_b32 s0, vcc_lo
	s_cbranch_execz .LBB277_5
; %bb.4:
	global_load_u8 v6, v3, s[6:7]
	v_or_b32_e32 v13, 0x100, v0
.LBB277_5:
	s_or_b32 exec_lo, exec_lo, s0
	s_delay_alu instid0(SALU_CYCLE_1) | instskip(NEXT) | instid1(VALU_DEP_1)
	s_mov_b32 s3, exec_lo
	v_cmpx_gt_i32_e64 s2, v13
	s_cbranch_execz .LBB277_7
; %bb.6:
	v_add_nc_u32_e32 v5, s1, v13
	v_add_nc_u32_e32 v13, 0x100, v13
	global_load_u8 v5, v5, s[6:7]
.LBB277_7:
	s_or_b32 exec_lo, exec_lo, s3
	v_dual_mov_b32 v10, 0 :: v_dual_mov_b32 v11, 0
	s_mov_b32 s3, exec_lo
	v_cmpx_gt_i32_e64 s2, v13
	s_cbranch_execz .LBB277_9
; %bb.8:
	v_add_nc_u32_e32 v7, s1, v13
	v_add_nc_u32_e32 v13, 0x100, v13
	global_load_u8 v11, v7, s[6:7]
.LBB277_9:
	s_or_b32 exec_lo, exec_lo, s3
	s_delay_alu instid0(SALU_CYCLE_1)
	s_mov_b32 s3, exec_lo
	v_cmpx_gt_i32_e64 s2, v13
	s_cbranch_execz .LBB277_11
; %bb.10:
	v_add_nc_u32_e32 v7, s1, v13
	v_add_nc_u32_e32 v13, 0x100, v13
	global_load_u8 v10, v7, s[6:7]
.LBB277_11:
	s_or_b32 exec_lo, exec_lo, s3
	v_mov_b32_e32 v14, 0
	v_mov_b32_e32 v16, 0
	s_mov_b32 s3, exec_lo
	v_cmpx_gt_i32_e64 s2, v13
	s_cbranch_execz .LBB277_13
; %bb.12:
	v_add_nc_u32_e32 v7, s1, v13
	v_add_nc_u32_e32 v13, 0x100, v13
	global_load_u8 v16, v7, s[6:7]
.LBB277_13:
	s_or_b32 exec_lo, exec_lo, s3
	s_delay_alu instid0(SALU_CYCLE_1)
	s_mov_b32 s3, exec_lo
	v_cmpx_gt_i32_e64 s2, v13
	s_cbranch_execz .LBB277_15
; %bb.14:
	v_add_nc_u32_e32 v7, s1, v13
	v_add_nc_u32_e32 v13, 0x100, v13
	global_load_u8 v14, v7, s[6:7]
.LBB277_15:
	s_or_b32 exec_lo, exec_lo, s3
	v_dual_mov_b32 v15, 0 :: v_dual_mov_b32 v18, 0
	s_mov_b32 s3, exec_lo
	v_cmpx_gt_i32_e64 s2, v13
	s_cbranch_execz .LBB277_17
; %bb.16:
	v_add_nc_u32_e32 v7, s1, v13
	v_add_nc_u32_e32 v13, 0x100, v13
	global_load_u8 v18, v7, s[6:7]
.LBB277_17:
	s_or_b32 exec_lo, exec_lo, s3
	s_delay_alu instid0(SALU_CYCLE_1)
	s_mov_b32 s3, exec_lo
	v_cmpx_gt_i32_e64 s2, v13
	s_cbranch_execz .LBB277_19
; %bb.18:
	v_add_nc_u32_e32 v7, s1, v13
	v_add_nc_u32_e32 v13, 0x100, v13
	global_load_u8 v15, v7, s[6:7]
.LBB277_19:
	s_or_b32 exec_lo, exec_lo, s3
	v_dual_mov_b32 v8, 0 :: v_dual_mov_b32 v9, 0
	;; [unrolled: 20-line block ×4, first 2 shown]
	s_mov_b32 s3, exec_lo
	v_cmpx_gt_i32_e64 s2, v13
	s_cbranch_execz .LBB277_29
; %bb.28:
	v_add_nc_u32_e32 v17, s1, v13
	v_add_nc_u32_e32 v13, 0x100, v13
	global_load_u8 v21, v17, s[6:7]
.LBB277_29:
	s_or_b32 exec_lo, exec_lo, s3
	s_delay_alu instid0(SALU_CYCLE_1)
	s_mov_b32 s3, exec_lo
	v_cmpx_gt_i32_e64 s2, v13
	s_cbranch_execz .LBB277_31
; %bb.30:
	v_add_nc_u32_e32 v17, s1, v13
	v_add_nc_u32_e32 v13, 0x100, v13
	global_load_u8 v20, v17, s[6:7]
.LBB277_31:
	s_or_b32 exec_lo, exec_lo, s3
	v_mov_b32_e32 v17, 0
	v_mov_b32_e32 v19, 0
	s_mov_b32 s3, exec_lo
	v_cmpx_gt_i32_e64 s2, v13
	s_cbranch_execz .LBB277_33
; %bb.32:
	v_add_nc_u32_e32 v19, s1, v13
	v_add_nc_u32_e32 v13, 0x100, v13
	global_load_u8 v19, v19, s[6:7]
.LBB277_33:
	s_or_b32 exec_lo, exec_lo, s3
	s_delay_alu instid0(SALU_CYCLE_1)
	s_mov_b32 s3, exec_lo
	v_cmpx_gt_i32_e64 s2, v13
	s_cbranch_execz .LBB277_35
; %bb.34:
	v_add_nc_u32_e32 v13, s1, v13
	global_load_u8 v17, v13, s[6:7]
.LBB277_35:
	s_or_b32 exec_lo, exec_lo, s3
	s_waitcnt vmcnt(0)
	v_and_b32_e32 v13, 0xff, v16
	v_or_b32_e32 v22, 0x400, v0
	v_and_b32_e32 v14, 0xff, v14
	v_and_b32_e32 v5, 0xff, v5
	v_and_b32_e32 v6, 0xff, v6
	v_max_u16 v13, v13, v2
	v_cmp_gt_i32_e64 s0, s2, v22
	v_max_u16 v14, v14, v2
	v_max_u16 v5, v5, v2
	;; [unrolled: 1-line block ×3, first 2 shown]
	v_min_u16 v13, v13, v1
	v_and_b32_e32 v11, 0xff, v11
	v_min_u16 v14, v14, v1
	v_min_u16 v5, v5, v1
	v_or_b32_e32 v23, 0x500, v0
	v_and_b32_e32 v13, 0xffff, v13
	v_min_u16 v6, v6, v1
	v_lshlrev_b16 v14, 8, v14
	v_lshlrev_b16 v5, 8, v5
	v_max_u16 v11, v11, v2
	v_cndmask_b32_e64 v13, 0, v13, s0
	v_cmp_gt_i32_e64 s0, s2, v23
	v_and_b32_e32 v18, 0xff, v18
	v_or_b32_e32 v5, v6, v5
	v_and_b32_e32 v21, 0xff, v21
	v_and_b32_e32 v25, 0xff, v13
	v_min_u16 v11, v11, v1
	v_and_b32_e32 v6, 0xffff, v6
	v_and_b32_e32 v5, 0xffff, v5
	v_or_b32_e32 v16, 0x200, v0
	v_or_b32_e32 v14, v25, v14
	v_and_b32_e32 v20, 0xff, v20
	v_max_u16 v18, v18, v2
	v_max_u16 v21, v21, v2
	v_lshlrev_b32_e32 v11, 16, v11
	v_and_b32_e32 v14, 0xffff, v14
	v_or_b32_e32 v22, 0xc00, v0
	v_min_u16 v18, v18, v1
	v_or_b32_e32 v24, 0x600, v0
	v_and_b32_e32 v8, 0xff, v8
	v_cndmask_b32_e64 v13, v13, v14, s0
	v_cmp_gt_i32_e64 s0, s2, v4
	v_and_b32_e32 v9, 0xff, v9
	v_and_b32_e32 v10, 0xff, v10
	v_max_u16 v8, v8, v2
	v_lshrrev_b32_e32 v14, 16, v13
	v_cndmask_b32_e64 v5, v6, v5, s0
	v_max_u16 v6, v20, v2
	v_min_u16 v20, v21, v1
	v_cmp_gt_i32_e64 s0, s2, v16
	v_and_b32_e32 v14, 0xffffff00, v14
	v_or_b32_e32 v11, v5, v11
	v_min_u16 v6, v6, v1
	v_and_b32_e32 v20, 0xffff, v20
	v_max_u16 v9, v9, v2
	v_min_u16 v8, v8, v1
	v_cndmask_b32_e64 v5, v5, v11, s0
	v_or_b32_e32 v11, v18, v14
	v_cmp_gt_i32_e64 s0, s2, v22
	v_lshlrev_b16 v6, 8, v6
	v_max_u16 v10, v10, v2
	v_min_u16 v9, v9, v1
	v_lshlrev_b32_e32 v11, 16, v11
	v_cndmask_b32_e64 v14, 0, v20, s0
	v_cmp_gt_i32_e64 s0, s2, v24
	v_lshlrev_b16 v8, 8, v8
	v_and_b32_e32 v12, 0xff, v12
	v_and_or_b32 v11, 0xffff, v13, v11
	v_and_b32_e32 v18, 0xff, v14
	v_and_b32_e32 v15, 0xff, v15
	v_min_u16 v10, v10, v1
	v_lshrrev_b32_e32 v16, 16, v5
	v_cndmask_b32_e64 v11, v13, v11, s0
	v_or_b32_e32 v6, v18, v6
	v_or_b32_e32 v13, 0xd00, v0
	v_and_b32_e32 v18, 0xffff, v9
	v_or_b32_e32 v8, v9, v8
	v_max_u16 v9, v12, v2
	v_and_b32_e32 v6, 0xffff, v6
	v_cmp_gt_i32_e64 s0, s2, v13
	v_and_b32_e32 v13, 0xff, v19
	v_lshlrev_b16 v10, 8, v10
	v_and_b32_e32 v16, 0xff, v16
	v_and_b32_e32 v8, 0xffff, v8
	v_cndmask_b32_e64 v6, v14, v6, s0
	v_max_u16 v13, v13, v2
	v_min_u16 v9, v9, v1
	v_max_u16 v15, v15, v2
	v_or_b32_e32 v10, v16, v10
	v_lshrrev_b32_e32 v14, 16, v6
	v_min_u16 v13, v13, v1
	v_lshrrev_b32_e32 v16, 16, v11
	v_lshlrev_b32_e32 v9, 16, v9
	v_and_b32_e32 v7, 0xff, v7
	v_and_b32_e32 v12, 0xffffff00, v14
	v_or_b32_e32 v14, 0x900, v0
	v_and_b32_e32 v17, 0xff, v17
	v_lshlrev_b32_e32 v10, 16, v10
	v_max_u16 v7, v7, v2
	v_or_b32_e32 v12, v13, v12
	v_cmp_gt_i32_e64 s0, s2, v14
	v_min_u16 v14, v15, v1
	v_or_b32_e32 v15, 0xa00, v0
	v_and_b32_e32 v13, 0xff, v16
	v_lshlrev_b32_e32 v12, 16, v12
	v_cndmask_b32_e64 v8, v18, v8, s0
	v_or_b32_e32 v16, 0xe00, v0
	v_cmp_gt_i32_e64 s0, s2, v15
	v_max_u16 v2, v17, v2
	v_and_or_b32 v12, 0xffff, v6, v12
	v_or_b32_e32 v9, v8, v9
	v_min_u16 v7, v7, v1
	v_and_or_b32 v10, 0xffff, v5, v10
	v_min_u16 v1, v2, v1
	s_delay_alu instid0(VALU_DEP_4) | instskip(SKIP_2) | instid1(VALU_DEP_4)
	v_cndmask_b32_e64 v8, v8, v9, s0
	v_cmp_gt_i32_e64 s0, s2, v16
	v_lshlrev_b16 v7, 8, v7
	v_lshlrev_b16 v1, 8, v1
	s_delay_alu instid0(VALU_DEP_3) | instskip(SKIP_2) | instid1(VALU_DEP_3)
	v_cndmask_b32_e64 v9, v6, v12, s0
	v_lshlrev_b16 v6, 8, v14
	v_lshrrev_b32_e32 v12, 16, v8
	v_lshrrev_b32_e32 v14, 16, v9
	s_delay_alu instid0(VALU_DEP_3) | instskip(NEXT) | instid1(VALU_DEP_3)
	v_or_b32_e32 v2, v13, v6
	v_and_b32_e32 v6, 0xff, v12
	v_or_b32_e32 v13, 0x300, v0
	s_delay_alu instid0(VALU_DEP_4) | instskip(NEXT) | instid1(VALU_DEP_4)
	v_and_b32_e32 v12, 0xff, v14
	v_lshlrev_b32_e32 v2, 16, v2
	s_delay_alu instid0(VALU_DEP_4) | instskip(NEXT) | instid1(VALU_DEP_4)
	v_or_b32_e32 v7, v6, v7
	v_cmp_gt_i32_e64 s0, s2, v13
	v_or_b32_e32 v13, 0xf00, v0
	v_or_b32_e32 v1, v12, v1
	v_and_or_b32 v2, 0xffff, v11, v2
	s_delay_alu instid0(VALU_DEP_4) | instskip(SKIP_4) | instid1(VALU_DEP_4)
	v_cndmask_b32_e64 v6, v5, v10, s0
	v_lshlrev_b32_e32 v5, 16, v7
	v_or_b32_e32 v7, 0x700, v0
	v_or_b32_e32 v10, 0xb00, v0
	v_lshlrev_b32_e32 v1, 16, v1
	v_and_or_b32 v12, 0xffff, v8, v5
	s_delay_alu instid0(VALU_DEP_4) | instskip(NEXT) | instid1(VALU_DEP_3)
	v_cmp_gt_i32_e64 s0, s2, v7
	v_and_or_b32 v1, 0xffff, v9, v1
	s_delay_alu instid0(VALU_DEP_2) | instskip(SKIP_1) | instid1(VALU_DEP_1)
	v_cndmask_b32_e64 v5, v11, v2, s0
	v_cmp_gt_i32_e64 s0, s2, v10
	v_cndmask_b32_e64 v2, v8, v12, s0
	v_cmp_gt_i32_e64 s0, s2, v13
	s_delay_alu instid0(VALU_DEP_1)
	v_cndmask_b32_e64 v1, v9, v1, s0
	s_and_saveexec_b32 s0, vcc_lo
	s_cbranch_execnz .LBB277_53
; %bb.36:
	s_or_b32 exec_lo, exec_lo, s0
	s_delay_alu instid0(SALU_CYCLE_1)
	s_mov_b32 s0, exec_lo
	v_cmpx_gt_i32_e64 s2, v0
	s_cbranch_execnz .LBB277_54
.LBB277_37:
	s_or_b32 exec_lo, exec_lo, s0
	s_delay_alu instid0(SALU_CYCLE_1)
	s_mov_b32 s0, exec_lo
	v_cmpx_gt_i32_e64 s2, v0
	s_cbranch_execnz .LBB277_55
.LBB277_38:
	s_or_b32 exec_lo, exec_lo, s0
	s_delay_alu instid0(SALU_CYCLE_1)
	s_mov_b32 s0, exec_lo
	v_cmpx_gt_i32_e64 s2, v0
	s_cbranch_execnz .LBB277_56
.LBB277_39:
	s_or_b32 exec_lo, exec_lo, s0
	s_delay_alu instid0(SALU_CYCLE_1)
	s_mov_b32 s0, exec_lo
	v_cmpx_gt_i32_e64 s2, v0
	s_cbranch_execnz .LBB277_57
.LBB277_40:
	s_or_b32 exec_lo, exec_lo, s0
	s_delay_alu instid0(SALU_CYCLE_1)
	s_mov_b32 s0, exec_lo
	v_cmpx_gt_i32_e64 s2, v0
	s_cbranch_execnz .LBB277_58
.LBB277_41:
	s_or_b32 exec_lo, exec_lo, s0
	s_delay_alu instid0(SALU_CYCLE_1)
	s_mov_b32 s0, exec_lo
	v_cmpx_gt_i32_e64 s2, v0
	s_cbranch_execnz .LBB277_59
.LBB277_42:
	s_or_b32 exec_lo, exec_lo, s0
	s_delay_alu instid0(SALU_CYCLE_1)
	s_mov_b32 s0, exec_lo
	v_cmpx_gt_i32_e64 s2, v0
	s_cbranch_execnz .LBB277_60
.LBB277_43:
	s_or_b32 exec_lo, exec_lo, s0
	s_delay_alu instid0(SALU_CYCLE_1)
	s_mov_b32 s0, exec_lo
	v_cmpx_gt_i32_e64 s2, v0
	s_cbranch_execnz .LBB277_61
.LBB277_44:
	s_or_b32 exec_lo, exec_lo, s0
	s_delay_alu instid0(SALU_CYCLE_1)
	s_mov_b32 s0, exec_lo
	v_cmpx_gt_i32_e64 s2, v0
	s_cbranch_execnz .LBB277_62
.LBB277_45:
	s_or_b32 exec_lo, exec_lo, s0
	s_delay_alu instid0(SALU_CYCLE_1)
	s_mov_b32 s0, exec_lo
	v_cmpx_gt_i32_e64 s2, v0
	s_cbranch_execnz .LBB277_63
.LBB277_46:
	s_or_b32 exec_lo, exec_lo, s0
	s_delay_alu instid0(SALU_CYCLE_1)
	s_mov_b32 s0, exec_lo
	v_cmpx_gt_i32_e64 s2, v0
	s_cbranch_execnz .LBB277_64
.LBB277_47:
	s_or_b32 exec_lo, exec_lo, s0
	s_delay_alu instid0(SALU_CYCLE_1)
	s_mov_b32 s0, exec_lo
	v_cmpx_gt_i32_e64 s2, v0
	s_cbranch_execnz .LBB277_65
.LBB277_48:
	s_or_b32 exec_lo, exec_lo, s0
	s_delay_alu instid0(SALU_CYCLE_1)
	s_mov_b32 s0, exec_lo
	v_cmpx_gt_i32_e64 s2, v0
	s_cbranch_execnz .LBB277_66
.LBB277_49:
	s_or_b32 exec_lo, exec_lo, s0
	s_delay_alu instid0(SALU_CYCLE_1)
	s_mov_b32 s0, exec_lo
	v_cmpx_gt_i32_e64 s2, v0
	s_cbranch_execnz .LBB277_67
.LBB277_50:
	s_or_b32 exec_lo, exec_lo, s0
	s_delay_alu instid0(SALU_CYCLE_1)
	s_mov_b32 s0, exec_lo
	v_cmpx_gt_i32_e64 s2, v0
	s_cbranch_execz .LBB277_52
.LBB277_51:
	v_add_nc_u32_e32 v0, s1, v0
	v_lshrrev_b32_e32 v1, 24, v1
	global_store_b8 v0, v1, s[4:5]
.LBB277_52:
	s_nop 0
	s_sendmsg sendmsg(MSG_DEALLOC_VGPRS)
	s_endpgm
.LBB277_53:
	v_mov_b32_e32 v0, v4
	global_store_b8 v3, v6, s[4:5]
	s_or_b32 exec_lo, exec_lo, s0
	s_delay_alu instid0(SALU_CYCLE_1)
	s_mov_b32 s0, exec_lo
	v_cmpx_gt_i32_e64 s2, v0
	s_cbranch_execz .LBB277_37
.LBB277_54:
	v_add_nc_u32_e32 v3, s1, v0
	v_lshrrev_b32_e32 v4, 8, v6
	v_add_nc_u32_e32 v0, 0x100, v0
	global_store_b8 v3, v4, s[4:5]
	s_or_b32 exec_lo, exec_lo, s0
	s_delay_alu instid0(SALU_CYCLE_1)
	s_mov_b32 s0, exec_lo
	v_cmpx_gt_i32_e64 s2, v0
	s_cbranch_execz .LBB277_38
.LBB277_55:
	v_add_nc_u32_e32 v3, s1, v0
	v_add_nc_u32_e32 v0, 0x100, v0
	global_store_d16_hi_b8 v3, v6, s[4:5]
	s_or_b32 exec_lo, exec_lo, s0
	s_delay_alu instid0(SALU_CYCLE_1)
	s_mov_b32 s0, exec_lo
	v_cmpx_gt_i32_e64 s2, v0
	s_cbranch_execz .LBB277_39
.LBB277_56:
	v_add_nc_u32_e32 v3, s1, v0
	v_lshrrev_b32_e32 v4, 24, v6
	v_add_nc_u32_e32 v0, 0x100, v0
	global_store_b8 v3, v4, s[4:5]
	s_or_b32 exec_lo, exec_lo, s0
	s_delay_alu instid0(SALU_CYCLE_1)
	s_mov_b32 s0, exec_lo
	v_cmpx_gt_i32_e64 s2, v0
	s_cbranch_execz .LBB277_40
.LBB277_57:
	v_add_nc_u32_e32 v3, s1, v0
	v_add_nc_u32_e32 v0, 0x100, v0
	global_store_b8 v3, v5, s[4:5]
	s_or_b32 exec_lo, exec_lo, s0
	s_delay_alu instid0(SALU_CYCLE_1)
	s_mov_b32 s0, exec_lo
	v_cmpx_gt_i32_e64 s2, v0
	s_cbranch_execz .LBB277_41
.LBB277_58:
	v_add_nc_u32_e32 v3, s1, v0
	v_lshrrev_b32_e32 v4, 8, v5
	v_add_nc_u32_e32 v0, 0x100, v0
	global_store_b8 v3, v4, s[4:5]
	s_or_b32 exec_lo, exec_lo, s0
	s_delay_alu instid0(SALU_CYCLE_1)
	s_mov_b32 s0, exec_lo
	v_cmpx_gt_i32_e64 s2, v0
	s_cbranch_execz .LBB277_42
.LBB277_59:
	v_add_nc_u32_e32 v3, s1, v0
	v_add_nc_u32_e32 v0, 0x100, v0
	global_store_d16_hi_b8 v3, v5, s[4:5]
	s_or_b32 exec_lo, exec_lo, s0
	s_delay_alu instid0(SALU_CYCLE_1)
	s_mov_b32 s0, exec_lo
	v_cmpx_gt_i32_e64 s2, v0
	s_cbranch_execz .LBB277_43
.LBB277_60:
	v_add_nc_u32_e32 v3, s1, v0
	v_lshrrev_b32_e32 v4, 24, v5
	v_add_nc_u32_e32 v0, 0x100, v0
	global_store_b8 v3, v4, s[4:5]
	s_or_b32 exec_lo, exec_lo, s0
	s_delay_alu instid0(SALU_CYCLE_1)
	s_mov_b32 s0, exec_lo
	v_cmpx_gt_i32_e64 s2, v0
	s_cbranch_execz .LBB277_44
.LBB277_61:
	v_add_nc_u32_e32 v3, s1, v0
	v_add_nc_u32_e32 v0, 0x100, v0
	global_store_b8 v3, v2, s[4:5]
	s_or_b32 exec_lo, exec_lo, s0
	s_delay_alu instid0(SALU_CYCLE_1)
	s_mov_b32 s0, exec_lo
	v_cmpx_gt_i32_e64 s2, v0
	s_cbranch_execz .LBB277_45
.LBB277_62:
	v_add_nc_u32_e32 v3, s1, v0
	v_lshrrev_b32_e32 v4, 8, v2
	v_add_nc_u32_e32 v0, 0x100, v0
	global_store_b8 v3, v4, s[4:5]
	s_or_b32 exec_lo, exec_lo, s0
	s_delay_alu instid0(SALU_CYCLE_1)
	s_mov_b32 s0, exec_lo
	v_cmpx_gt_i32_e64 s2, v0
	s_cbranch_execz .LBB277_46
.LBB277_63:
	v_add_nc_u32_e32 v3, s1, v0
	v_add_nc_u32_e32 v0, 0x100, v0
	global_store_d16_hi_b8 v3, v2, s[4:5]
	s_or_b32 exec_lo, exec_lo, s0
	s_delay_alu instid0(SALU_CYCLE_1)
	s_mov_b32 s0, exec_lo
	v_cmpx_gt_i32_e64 s2, v0
	s_cbranch_execz .LBB277_47
.LBB277_64:
	v_add_nc_u32_e32 v3, s1, v0
	v_lshrrev_b32_e32 v2, 24, v2
	v_add_nc_u32_e32 v0, 0x100, v0
	global_store_b8 v3, v2, s[4:5]
	s_or_b32 exec_lo, exec_lo, s0
	s_delay_alu instid0(SALU_CYCLE_1)
	s_mov_b32 s0, exec_lo
	v_cmpx_gt_i32_e64 s2, v0
	s_cbranch_execz .LBB277_48
.LBB277_65:
	v_add_nc_u32_e32 v2, s1, v0
	v_add_nc_u32_e32 v0, 0x100, v0
	global_store_b8 v2, v1, s[4:5]
	s_or_b32 exec_lo, exec_lo, s0
	s_delay_alu instid0(SALU_CYCLE_1)
	s_mov_b32 s0, exec_lo
	v_cmpx_gt_i32_e64 s2, v0
	s_cbranch_execz .LBB277_49
.LBB277_66:
	v_add_nc_u32_e32 v2, s1, v0
	v_lshrrev_b32_e32 v3, 8, v1
	v_add_nc_u32_e32 v0, 0x100, v0
	global_store_b8 v2, v3, s[4:5]
	s_or_b32 exec_lo, exec_lo, s0
	s_delay_alu instid0(SALU_CYCLE_1)
	s_mov_b32 s0, exec_lo
	v_cmpx_gt_i32_e64 s2, v0
	s_cbranch_execz .LBB277_50
.LBB277_67:
	v_add_nc_u32_e32 v2, s1, v0
	v_add_nc_u32_e32 v0, 0x100, v0
	global_store_d16_hi_b8 v2, v1, s[4:5]
	s_or_b32 exec_lo, exec_lo, s0
	s_delay_alu instid0(SALU_CYCLE_1)
	s_mov_b32 s0, exec_lo
	v_cmpx_gt_i32_e64 s2, v0
	s_cbranch_execnz .LBB277_51
	s_branch .LBB277_52
	.section	.rodata,"a",@progbits
	.p2align	6, 0x0
	.amdhsa_kernel _ZN2at6native29vectorized_elementwise_kernelILi2EZZZNS0_17clamp_kernel_cudaERNS_18TensorIteratorBaseERKN3c106ScalarES7_ENKUlvE_clEvENKUlvE_clEvEUlhE_St5arrayIPcLm2EEEEviT0_T1_
		.amdhsa_group_segment_fixed_size 0
		.amdhsa_private_segment_fixed_size 0
		.amdhsa_kernarg_size 24
		.amdhsa_user_sgpr_count 15
		.amdhsa_user_sgpr_dispatch_ptr 0
		.amdhsa_user_sgpr_queue_ptr 0
		.amdhsa_user_sgpr_kernarg_segment_ptr 1
		.amdhsa_user_sgpr_dispatch_id 0
		.amdhsa_user_sgpr_private_segment_size 0
		.amdhsa_wavefront_size32 1
		.amdhsa_uses_dynamic_stack 0
		.amdhsa_enable_private_segment 0
		.amdhsa_system_sgpr_workgroup_id_x 1
		.amdhsa_system_sgpr_workgroup_id_y 0
		.amdhsa_system_sgpr_workgroup_id_z 0
		.amdhsa_system_sgpr_workgroup_info 0
		.amdhsa_system_vgpr_workitem_id 0
		.amdhsa_next_free_vgpr 26
		.amdhsa_next_free_sgpr 16
		.amdhsa_reserve_vcc 1
		.amdhsa_float_round_mode_32 0
		.amdhsa_float_round_mode_16_64 0
		.amdhsa_float_denorm_mode_32 3
		.amdhsa_float_denorm_mode_16_64 3
		.amdhsa_dx10_clamp 1
		.amdhsa_ieee_mode 1
		.amdhsa_fp16_overflow 0
		.amdhsa_workgroup_processor_mode 1
		.amdhsa_memory_ordered 1
		.amdhsa_forward_progress 0
		.amdhsa_shared_vgpr_count 0
		.amdhsa_exception_fp_ieee_invalid_op 0
		.amdhsa_exception_fp_denorm_src 0
		.amdhsa_exception_fp_ieee_div_zero 0
		.amdhsa_exception_fp_ieee_overflow 0
		.amdhsa_exception_fp_ieee_underflow 0
		.amdhsa_exception_fp_ieee_inexact 0
		.amdhsa_exception_int_div_zero 0
	.end_amdhsa_kernel
	.section	.text._ZN2at6native29vectorized_elementwise_kernelILi2EZZZNS0_17clamp_kernel_cudaERNS_18TensorIteratorBaseERKN3c106ScalarES7_ENKUlvE_clEvENKUlvE_clEvEUlhE_St5arrayIPcLm2EEEEviT0_T1_,"axG",@progbits,_ZN2at6native29vectorized_elementwise_kernelILi2EZZZNS0_17clamp_kernel_cudaERNS_18TensorIteratorBaseERKN3c106ScalarES7_ENKUlvE_clEvENKUlvE_clEvEUlhE_St5arrayIPcLm2EEEEviT0_T1_,comdat
.Lfunc_end277:
	.size	_ZN2at6native29vectorized_elementwise_kernelILi2EZZZNS0_17clamp_kernel_cudaERNS_18TensorIteratorBaseERKN3c106ScalarES7_ENKUlvE_clEvENKUlvE_clEvEUlhE_St5arrayIPcLm2EEEEviT0_T1_, .Lfunc_end277-_ZN2at6native29vectorized_elementwise_kernelILi2EZZZNS0_17clamp_kernel_cudaERNS_18TensorIteratorBaseERKN3c106ScalarES7_ENKUlvE_clEvENKUlvE_clEvEUlhE_St5arrayIPcLm2EEEEviT0_T1_
                                        ; -- End function
	.section	.AMDGPU.csdata,"",@progbits
; Kernel info:
; codeLenInByte = 3704
; NumSgprs: 18
; NumVgprs: 26
; ScratchSize: 0
; MemoryBound: 0
; FloatMode: 240
; IeeeMode: 1
; LDSByteSize: 0 bytes/workgroup (compile time only)
; SGPRBlocks: 2
; VGPRBlocks: 3
; NumSGPRsForWavesPerEU: 18
; NumVGPRsForWavesPerEU: 26
; Occupancy: 16
; WaveLimiterHint : 1
; COMPUTE_PGM_RSRC2:SCRATCH_EN: 0
; COMPUTE_PGM_RSRC2:USER_SGPR: 15
; COMPUTE_PGM_RSRC2:TRAP_HANDLER: 0
; COMPUTE_PGM_RSRC2:TGID_X_EN: 1
; COMPUTE_PGM_RSRC2:TGID_Y_EN: 0
; COMPUTE_PGM_RSRC2:TGID_Z_EN: 0
; COMPUTE_PGM_RSRC2:TIDIG_COMP_CNT: 0
	.section	.text._ZN2at6native27unrolled_elementwise_kernelIZZZNS0_17clamp_kernel_cudaERNS_18TensorIteratorBaseERKN3c106ScalarES7_ENKUlvE_clEvENKUlvE_clEvEUlhE_St5arrayIPcLm2EELi4E23TrivialOffsetCalculatorILi1EjESF_NS0_6memory15LoadWithoutCastENSG_16StoreWithoutCastEEEviT_T0_T2_T3_T4_T5_,"axG",@progbits,_ZN2at6native27unrolled_elementwise_kernelIZZZNS0_17clamp_kernel_cudaERNS_18TensorIteratorBaseERKN3c106ScalarES7_ENKUlvE_clEvENKUlvE_clEvEUlhE_St5arrayIPcLm2EELi4E23TrivialOffsetCalculatorILi1EjESF_NS0_6memory15LoadWithoutCastENSG_16StoreWithoutCastEEEviT_T0_T2_T3_T4_T5_,comdat
	.globl	_ZN2at6native27unrolled_elementwise_kernelIZZZNS0_17clamp_kernel_cudaERNS_18TensorIteratorBaseERKN3c106ScalarES7_ENKUlvE_clEvENKUlvE_clEvEUlhE_St5arrayIPcLm2EELi4E23TrivialOffsetCalculatorILi1EjESF_NS0_6memory15LoadWithoutCastENSG_16StoreWithoutCastEEEviT_T0_T2_T3_T4_T5_ ; -- Begin function _ZN2at6native27unrolled_elementwise_kernelIZZZNS0_17clamp_kernel_cudaERNS_18TensorIteratorBaseERKN3c106ScalarES7_ENKUlvE_clEvENKUlvE_clEvEUlhE_St5arrayIPcLm2EELi4E23TrivialOffsetCalculatorILi1EjESF_NS0_6memory15LoadWithoutCastENSG_16StoreWithoutCastEEEviT_T0_T2_T3_T4_T5_
	.p2align	8
	.type	_ZN2at6native27unrolled_elementwise_kernelIZZZNS0_17clamp_kernel_cudaERNS_18TensorIteratorBaseERKN3c106ScalarES7_ENKUlvE_clEvENKUlvE_clEvEUlhE_St5arrayIPcLm2EELi4E23TrivialOffsetCalculatorILi1EjESF_NS0_6memory15LoadWithoutCastENSG_16StoreWithoutCastEEEviT_T0_T2_T3_T4_T5_,@function
_ZN2at6native27unrolled_elementwise_kernelIZZZNS0_17clamp_kernel_cudaERNS_18TensorIteratorBaseERKN3c106ScalarES7_ENKUlvE_clEvENKUlvE_clEvEUlhE_St5arrayIPcLm2EELi4E23TrivialOffsetCalculatorILi1EjESF_NS0_6memory15LoadWithoutCastENSG_16StoreWithoutCastEEEviT_T0_T2_T3_T4_T5_: ; @_ZN2at6native27unrolled_elementwise_kernelIZZZNS0_17clamp_kernel_cudaERNS_18TensorIteratorBaseERKN3c106ScalarES7_ENKUlvE_clEvENKUlvE_clEvEUlhE_St5arrayIPcLm2EELi4E23TrivialOffsetCalculatorILi1EjESF_NS0_6memory15LoadWithoutCastENSG_16StoreWithoutCastEEEviT_T0_T2_T3_T4_T5_
; %bb.0:
	v_dual_mov_b32 v4, 0 :: v_dual_mov_b32 v5, 0
	s_clause 0x1
	s_load_b32 s2, s[0:1], 0x0
	s_load_b128 s[4:7], s[0:1], 0x8
	v_or_b32_e32 v2, 0x100, v0
	v_mov_b32_e32 v7, v0
	global_load_u16 v3, v4, s[0:1] offset:4
	s_lshl_b32 s1, s15, 10
	s_delay_alu instid0(SALU_CYCLE_1) | instskip(SKIP_2) | instid1(SALU_CYCLE_1)
	v_or_b32_e32 v1, s1, v0
	s_waitcnt lgkmcnt(0)
	s_sub_i32 s2, s2, s1
	v_cmp_gt_i32_e32 vcc_lo, s2, v0
	s_and_saveexec_b32 s0, vcc_lo
	s_cbranch_execz .LBB278_2
; %bb.1:
	global_load_u8 v5, v1, s[6:7]
	v_or_b32_e32 v7, 0x100, v0
.LBB278_2:
	s_or_b32 exec_lo, exec_lo, s0
	s_delay_alu instid0(SALU_CYCLE_1) | instskip(NEXT) | instid1(VALU_DEP_1)
	s_mov_b32 s3, exec_lo
	v_cmpx_gt_i32_e64 s2, v7
	s_cbranch_execz .LBB278_4
; %bb.3:
	v_add_nc_u32_e32 v4, s1, v7
	v_add_nc_u32_e32 v7, 0x100, v7
	global_load_u8 v4, v4, s[6:7]
.LBB278_4:
	s_or_b32 exec_lo, exec_lo, s3
	v_mov_b32_e32 v6, 0
	v_mov_b32_e32 v8, 0
	s_mov_b32 s3, exec_lo
	v_cmpx_gt_i32_e64 s2, v7
	s_cbranch_execz .LBB278_6
; %bb.5:
	v_add_nc_u32_e32 v8, s1, v7
	v_add_nc_u32_e32 v7, 0x100, v7
	global_load_u8 v8, v8, s[6:7]
.LBB278_6:
	s_or_b32 exec_lo, exec_lo, s3
	s_delay_alu instid0(SALU_CYCLE_1)
	s_mov_b32 s3, exec_lo
	v_cmpx_gt_i32_e64 s2, v7
	s_cbranch_execz .LBB278_8
; %bb.7:
	v_add_nc_u32_e32 v6, s1, v7
	global_load_u8 v6, v6, s[6:7]
.LBB278_8:
	s_or_b32 exec_lo, exec_lo, s3
	s_waitcnt vmcnt(0)
	v_and_b32_e32 v7, 0xff, v3
	v_and_b32_e32 v4, 0xff, v4
	v_lshrrev_b16 v3, 8, v3
	v_and_b32_e32 v5, 0xff, v5
	v_and_b32_e32 v8, 0xff, v8
	v_cmp_gt_i32_e64 s0, s2, v2
	v_max_u16 v4, v4, v7
	v_and_b32_e32 v6, 0xff, v6
	v_max_u16 v5, v5, v7
	v_max_u16 v8, v8, v7
	s_delay_alu instid0(VALU_DEP_4) | instskip(NEXT) | instid1(VALU_DEP_3)
	v_min_u16 v4, v4, v3
	v_min_u16 v5, v5, v3
	s_delay_alu instid0(VALU_DEP_3) | instskip(NEXT) | instid1(VALU_DEP_3)
	v_min_u16 v8, v8, v3
	v_lshlrev_b16 v4, 8, v4
	s_delay_alu instid0(VALU_DEP_2) | instskip(NEXT) | instid1(VALU_DEP_2)
	v_lshlrev_b32_e32 v8, 16, v8
	v_or_b32_e32 v4, v5, v4
	v_and_b32_e32 v5, 0xffff, v5
	s_delay_alu instid0(VALU_DEP_2) | instskip(NEXT) | instid1(VALU_DEP_1)
	v_and_b32_e32 v4, 0xffff, v4
	v_cndmask_b32_e64 v4, v5, v4, s0
	v_or_b32_e32 v5, 0x200, v0
	s_delay_alu instid0(VALU_DEP_2) | instskip(NEXT) | instid1(VALU_DEP_2)
	v_or_b32_e32 v8, v4, v8
	v_cmp_gt_i32_e64 s0, s2, v5
	v_max_u16 v5, v6, v7
	s_delay_alu instid0(VALU_DEP_2) | instskip(NEXT) | instid1(VALU_DEP_2)
	v_cndmask_b32_e64 v4, v4, v8, s0
	v_min_u16 v3, v5, v3
	s_delay_alu instid0(VALU_DEP_2) | instskip(NEXT) | instid1(VALU_DEP_2)
	v_lshrrev_b32_e32 v6, 16, v4
	v_lshlrev_b16 v3, 8, v3
	s_delay_alu instid0(VALU_DEP_2) | instskip(NEXT) | instid1(VALU_DEP_1)
	v_and_b32_e32 v5, 0xff, v6
	v_or_b32_e32 v3, v5, v3
	v_or_b32_e32 v5, 0x300, v0
	s_delay_alu instid0(VALU_DEP_2) | instskip(NEXT) | instid1(VALU_DEP_2)
	v_lshlrev_b32_e32 v3, 16, v3
	v_cmp_gt_i32_e64 s0, s2, v5
	s_delay_alu instid0(VALU_DEP_2) | instskip(NEXT) | instid1(VALU_DEP_1)
	v_and_or_b32 v3, 0xffff, v4, v3
	v_cndmask_b32_e64 v3, v4, v3, s0
	s_and_saveexec_b32 s0, vcc_lo
	s_cbranch_execnz .LBB278_13
; %bb.9:
	s_or_b32 exec_lo, exec_lo, s0
	s_delay_alu instid0(SALU_CYCLE_1)
	s_mov_b32 s0, exec_lo
	v_cmpx_gt_i32_e64 s2, v0
	s_cbranch_execnz .LBB278_14
.LBB278_10:
	s_or_b32 exec_lo, exec_lo, s0
	s_delay_alu instid0(SALU_CYCLE_1)
	s_mov_b32 s0, exec_lo
	v_cmpx_gt_i32_e64 s2, v0
	s_cbranch_execnz .LBB278_15
.LBB278_11:
	s_or_b32 exec_lo, exec_lo, s0
	s_delay_alu instid0(SALU_CYCLE_1)
	s_mov_b32 s0, exec_lo
	v_cmpx_gt_i32_e64 s2, v0
	s_cbranch_execnz .LBB278_16
.LBB278_12:
	s_nop 0
	s_sendmsg sendmsg(MSG_DEALLOC_VGPRS)
	s_endpgm
.LBB278_13:
	v_mov_b32_e32 v0, v2
	global_store_b8 v1, v3, s[4:5]
	s_or_b32 exec_lo, exec_lo, s0
	s_delay_alu instid0(SALU_CYCLE_1)
	s_mov_b32 s0, exec_lo
	v_cmpx_gt_i32_e64 s2, v0
	s_cbranch_execz .LBB278_10
.LBB278_14:
	v_add_nc_u32_e32 v1, 0x100, v0
	v_lshrrev_b32_e32 v2, 8, v3
	v_add_nc_u32_e32 v4, s1, v0
	s_delay_alu instid0(VALU_DEP_3) | instskip(SKIP_2) | instid1(SALU_CYCLE_1)
	v_mov_b32_e32 v0, v1
	global_store_b8 v4, v2, s[4:5]
	s_or_b32 exec_lo, exec_lo, s0
	s_mov_b32 s0, exec_lo
	v_cmpx_gt_i32_e64 s2, v0
	s_cbranch_execz .LBB278_11
.LBB278_15:
	v_add_nc_u32_e32 v1, 0x100, v0
	v_add_nc_u32_e32 v2, s1, v0
	s_delay_alu instid0(VALU_DEP_2) | instskip(SKIP_2) | instid1(SALU_CYCLE_1)
	v_mov_b32_e32 v0, v1
	global_store_d16_hi_b8 v2, v3, s[4:5]
	s_or_b32 exec_lo, exec_lo, s0
	s_mov_b32 s0, exec_lo
	v_cmpx_gt_i32_e64 s2, v0
	s_cbranch_execz .LBB278_12
.LBB278_16:
	v_lshrrev_b32_e32 v1, 24, v3
	v_add_nc_u32_e32 v0, s1, v0
	global_store_b8 v0, v1, s[4:5]
	s_nop 0
	s_sendmsg sendmsg(MSG_DEALLOC_VGPRS)
	s_endpgm
	.section	.rodata,"a",@progbits
	.p2align	6, 0x0
	.amdhsa_kernel _ZN2at6native27unrolled_elementwise_kernelIZZZNS0_17clamp_kernel_cudaERNS_18TensorIteratorBaseERKN3c106ScalarES7_ENKUlvE_clEvENKUlvE_clEvEUlhE_St5arrayIPcLm2EELi4E23TrivialOffsetCalculatorILi1EjESF_NS0_6memory15LoadWithoutCastENSG_16StoreWithoutCastEEEviT_T0_T2_T3_T4_T5_
		.amdhsa_group_segment_fixed_size 0
		.amdhsa_private_segment_fixed_size 0
		.amdhsa_kernarg_size 28
		.amdhsa_user_sgpr_count 15
		.amdhsa_user_sgpr_dispatch_ptr 0
		.amdhsa_user_sgpr_queue_ptr 0
		.amdhsa_user_sgpr_kernarg_segment_ptr 1
		.amdhsa_user_sgpr_dispatch_id 0
		.amdhsa_user_sgpr_private_segment_size 0
		.amdhsa_wavefront_size32 1
		.amdhsa_uses_dynamic_stack 0
		.amdhsa_enable_private_segment 0
		.amdhsa_system_sgpr_workgroup_id_x 1
		.amdhsa_system_sgpr_workgroup_id_y 0
		.amdhsa_system_sgpr_workgroup_id_z 0
		.amdhsa_system_sgpr_workgroup_info 0
		.amdhsa_system_vgpr_workitem_id 0
		.amdhsa_next_free_vgpr 9
		.amdhsa_next_free_sgpr 16
		.amdhsa_reserve_vcc 1
		.amdhsa_float_round_mode_32 0
		.amdhsa_float_round_mode_16_64 0
		.amdhsa_float_denorm_mode_32 3
		.amdhsa_float_denorm_mode_16_64 3
		.amdhsa_dx10_clamp 1
		.amdhsa_ieee_mode 1
		.amdhsa_fp16_overflow 0
		.amdhsa_workgroup_processor_mode 1
		.amdhsa_memory_ordered 1
		.amdhsa_forward_progress 0
		.amdhsa_shared_vgpr_count 0
		.amdhsa_exception_fp_ieee_invalid_op 0
		.amdhsa_exception_fp_denorm_src 0
		.amdhsa_exception_fp_ieee_div_zero 0
		.amdhsa_exception_fp_ieee_overflow 0
		.amdhsa_exception_fp_ieee_underflow 0
		.amdhsa_exception_fp_ieee_inexact 0
		.amdhsa_exception_int_div_zero 0
	.end_amdhsa_kernel
	.section	.text._ZN2at6native27unrolled_elementwise_kernelIZZZNS0_17clamp_kernel_cudaERNS_18TensorIteratorBaseERKN3c106ScalarES7_ENKUlvE_clEvENKUlvE_clEvEUlhE_St5arrayIPcLm2EELi4E23TrivialOffsetCalculatorILi1EjESF_NS0_6memory15LoadWithoutCastENSG_16StoreWithoutCastEEEviT_T0_T2_T3_T4_T5_,"axG",@progbits,_ZN2at6native27unrolled_elementwise_kernelIZZZNS0_17clamp_kernel_cudaERNS_18TensorIteratorBaseERKN3c106ScalarES7_ENKUlvE_clEvENKUlvE_clEvEUlhE_St5arrayIPcLm2EELi4E23TrivialOffsetCalculatorILi1EjESF_NS0_6memory15LoadWithoutCastENSG_16StoreWithoutCastEEEviT_T0_T2_T3_T4_T5_,comdat
.Lfunc_end278:
	.size	_ZN2at6native27unrolled_elementwise_kernelIZZZNS0_17clamp_kernel_cudaERNS_18TensorIteratorBaseERKN3c106ScalarES7_ENKUlvE_clEvENKUlvE_clEvEUlhE_St5arrayIPcLm2EELi4E23TrivialOffsetCalculatorILi1EjESF_NS0_6memory15LoadWithoutCastENSG_16StoreWithoutCastEEEviT_T0_T2_T3_T4_T5_, .Lfunc_end278-_ZN2at6native27unrolled_elementwise_kernelIZZZNS0_17clamp_kernel_cudaERNS_18TensorIteratorBaseERKN3c106ScalarES7_ENKUlvE_clEvENKUlvE_clEvEUlhE_St5arrayIPcLm2EELi4E23TrivialOffsetCalculatorILi1EjESF_NS0_6memory15LoadWithoutCastENSG_16StoreWithoutCastEEEviT_T0_T2_T3_T4_T5_
                                        ; -- End function
	.section	.AMDGPU.csdata,"",@progbits
; Kernel info:
; codeLenInByte = 780
; NumSgprs: 18
; NumVgprs: 9
; ScratchSize: 0
; MemoryBound: 0
; FloatMode: 240
; IeeeMode: 1
; LDSByteSize: 0 bytes/workgroup (compile time only)
; SGPRBlocks: 2
; VGPRBlocks: 1
; NumSGPRsForWavesPerEU: 18
; NumVGPRsForWavesPerEU: 9
; Occupancy: 16
; WaveLimiterHint : 0
; COMPUTE_PGM_RSRC2:SCRATCH_EN: 0
; COMPUTE_PGM_RSRC2:USER_SGPR: 15
; COMPUTE_PGM_RSRC2:TRAP_HANDLER: 0
; COMPUTE_PGM_RSRC2:TGID_X_EN: 1
; COMPUTE_PGM_RSRC2:TGID_Y_EN: 0
; COMPUTE_PGM_RSRC2:TGID_Z_EN: 0
; COMPUTE_PGM_RSRC2:TIDIG_COMP_CNT: 0
	.section	.text._ZN2at6native32elementwise_kernel_manual_unrollILi128ELi8EZNS0_22gpu_kernel_impl_nocastIZZZNS0_17clamp_kernel_cudaERNS_18TensorIteratorBaseERKN3c106ScalarES8_ENKUlvE_clEvENKUlvE_clEvEUlhE_EEvS4_RKT_EUlibE_EEviT1_,"axG",@progbits,_ZN2at6native32elementwise_kernel_manual_unrollILi128ELi8EZNS0_22gpu_kernel_impl_nocastIZZZNS0_17clamp_kernel_cudaERNS_18TensorIteratorBaseERKN3c106ScalarES8_ENKUlvE_clEvENKUlvE_clEvEUlhE_EEvS4_RKT_EUlibE_EEviT1_,comdat
	.globl	_ZN2at6native32elementwise_kernel_manual_unrollILi128ELi8EZNS0_22gpu_kernel_impl_nocastIZZZNS0_17clamp_kernel_cudaERNS_18TensorIteratorBaseERKN3c106ScalarES8_ENKUlvE_clEvENKUlvE_clEvEUlhE_EEvS4_RKT_EUlibE_EEviT1_ ; -- Begin function _ZN2at6native32elementwise_kernel_manual_unrollILi128ELi8EZNS0_22gpu_kernel_impl_nocastIZZZNS0_17clamp_kernel_cudaERNS_18TensorIteratorBaseERKN3c106ScalarES8_ENKUlvE_clEvENKUlvE_clEvEUlhE_EEvS4_RKT_EUlibE_EEviT1_
	.p2align	8
	.type	_ZN2at6native32elementwise_kernel_manual_unrollILi128ELi8EZNS0_22gpu_kernel_impl_nocastIZZZNS0_17clamp_kernel_cudaERNS_18TensorIteratorBaseERKN3c106ScalarES8_ENKUlvE_clEvENKUlvE_clEvEUlhE_EEvS4_RKT_EUlibE_EEviT1_,@function
_ZN2at6native32elementwise_kernel_manual_unrollILi128ELi8EZNS0_22gpu_kernel_impl_nocastIZZZNS0_17clamp_kernel_cudaERNS_18TensorIteratorBaseERKN3c106ScalarES8_ENKUlvE_clEvENKUlvE_clEvEUlhE_EEvS4_RKT_EUlibE_EEviT1_: ; @_ZN2at6native32elementwise_kernel_manual_unrollILi128ELi8EZNS0_22gpu_kernel_impl_nocastIZZZNS0_17clamp_kernel_cudaERNS_18TensorIteratorBaseERKN3c106ScalarES8_ENKUlvE_clEvENKUlvE_clEvEUlhE_EEvS4_RKT_EUlibE_EEviT1_
; %bb.0:
	s_clause 0x1
	s_load_b32 s22, s[0:1], 0x8
	s_load_b32 s28, s[0:1], 0x0
	v_lshl_or_b32 v12, s15, 10, v0
	s_or_b32 s0, s0, 8
	s_mov_b32 s2, exec_lo
	s_delay_alu instid0(VALU_DEP_1) | instskip(SKIP_2) | instid1(SALU_CYCLE_1)
	v_or_b32_e32 v16, 0x380, v12
	s_waitcnt lgkmcnt(0)
	s_add_i32 s23, s22, -1
	s_cmp_gt_u32 s23, 1
	s_cselect_b32 s24, -1, 0
	v_cmpx_le_i32_e64 s28, v16
	s_xor_b32 s25, exec_lo, s2
	s_cbranch_execz .LBB279_7
; %bb.1:
	s_clause 0x4
	s_load_b32 s26, s[0:1], 0x158
	s_load_b128 s[12:15], s[0:1], 0x4
	s_load_b64 s[2:3], s[0:1], 0x14
	s_load_b128 s[8:11], s[0:1], 0xc4
	s_load_b128 s[4:7], s[0:1], 0x148
	s_cmp_lg_u32 s22, 0
	s_mov_b32 s31, exec_lo
	s_cselect_b32 s30, -1, 0
	s_add_u32 s16, s0, 0xc4
	s_addc_u32 s17, s1, 0
	s_min_u32 s29, s23, 15
	s_cmp_gt_u32 s22, 1
	s_cselect_b32 s27, -1, 0
	s_waitcnt lgkmcnt(0)
	v_lshrrev_b16 v2, 8, s26
	v_cmpx_gt_i32_e64 s28, v12
	s_cbranch_execz .LBB279_14
; %bb.2:
	s_and_not1_b32 vcc_lo, exec_lo, s24
	s_cbranch_vccnz .LBB279_21
; %bb.3:
	v_dual_mov_b32 v0, 0 :: v_dual_mov_b32 v1, 0
	s_and_not1_b32 vcc_lo, exec_lo, s30
	s_mov_b32 s33, 0
	s_cbranch_vccnz .LBB279_125
; %bb.4:
	v_mov_b32_e32 v0, 0
	s_add_i32 s35, s29, 1
	s_cmp_eq_u32 s23, 2
	s_mov_b32 s34, 0
	s_cbranch_scc1 .LBB279_121
; %bb.5:
	v_dual_mov_b32 v1, 0 :: v_dual_mov_b32 v0, 0
	v_mov_b32_e32 v3, v12
	s_and_b32 s34, s35, 28
	s_mov_b32 s36, 0
	s_mov_b64 s[18:19], s[16:17]
	s_mov_b64 s[20:21], s[0:1]
.LBB279_6:                              ; =>This Inner Loop Header: Depth=1
	s_clause 0x1
	s_load_b256 s[40:47], s[20:21], 0x4
	s_load_b128 s[56:59], s[20:21], 0x24
	s_load_b256 s[48:55], s[18:19], 0x0
	s_add_u32 s20, s20, 48
	s_addc_u32 s21, s21, 0
	s_add_i32 s36, s36, 4
	s_add_u32 s18, s18, 32
	s_addc_u32 s19, s19, 0
	s_cmp_lg_u32 s34, s36
	s_waitcnt lgkmcnt(0)
	v_mul_hi_u32 v4, s41, v3
	s_delay_alu instid0(VALU_DEP_1) | instskip(NEXT) | instid1(VALU_DEP_1)
	v_add_nc_u32_e32 v4, v3, v4
	v_lshrrev_b32_e32 v4, s42, v4
	s_delay_alu instid0(VALU_DEP_1) | instskip(SKIP_1) | instid1(VALU_DEP_2)
	v_mul_hi_u32 v5, s44, v4
	v_mul_lo_u32 v7, v4, s40
	v_add_nc_u32_e32 v5, v4, v5
	s_delay_alu instid0(VALU_DEP_2) | instskip(NEXT) | instid1(VALU_DEP_2)
	v_sub_nc_u32_e32 v3, v3, v7
	v_lshrrev_b32_e32 v5, s45, v5
	s_delay_alu instid0(VALU_DEP_2) | instskip(SKIP_1) | instid1(VALU_DEP_3)
	v_mul_lo_u32 v7, v3, s48
	v_mul_lo_u32 v9, v3, s49
	v_mul_hi_u32 v6, s47, v5
	s_delay_alu instid0(VALU_DEP_1) | instskip(NEXT) | instid1(VALU_DEP_1)
	v_add_nc_u32_e32 v6, v5, v6
	v_lshrrev_b32_e32 v6, s56, v6
	s_delay_alu instid0(VALU_DEP_1) | instskip(SKIP_1) | instid1(VALU_DEP_2)
	v_mul_hi_u32 v8, s58, v6
	v_mul_lo_u32 v10, v6, s46
	v_add_nc_u32_e32 v3, v6, v8
	v_mul_lo_u32 v8, v5, s43
	s_delay_alu instid0(VALU_DEP_3) | instskip(NEXT) | instid1(VALU_DEP_3)
	v_sub_nc_u32_e32 v5, v5, v10
	v_lshrrev_b32_e32 v3, s59, v3
	s_delay_alu instid0(VALU_DEP_2) | instskip(SKIP_2) | instid1(VALU_DEP_4)
	v_mul_lo_u32 v10, v5, s52
	v_mul_lo_u32 v5, v5, s53
	v_sub_nc_u32_e32 v4, v4, v8
	v_mul_lo_u32 v11, v3, s57
	s_delay_alu instid0(VALU_DEP_2) | instskip(SKIP_1) | instid1(VALU_DEP_3)
	v_mul_lo_u32 v8, v4, s50
	v_mul_lo_u32 v4, v4, s51
	v_sub_nc_u32_e32 v6, v6, v11
	s_delay_alu instid0(VALU_DEP_3) | instskip(NEXT) | instid1(VALU_DEP_2)
	v_add3_u32 v0, v7, v0, v8
	v_mul_lo_u32 v11, v6, s54
	v_mul_lo_u32 v6, v6, s55
	v_add3_u32 v1, v9, v1, v4
	s_delay_alu instid0(VALU_DEP_3) | instskip(NEXT) | instid1(VALU_DEP_2)
	v_add3_u32 v0, v10, v0, v11
	v_add3_u32 v1, v5, v1, v6
	s_cbranch_scc1 .LBB279_6
	s_branch .LBB279_122
.LBB279_7:
	s_and_not1_saveexec_b32 s2, s25
	s_cbranch_execz .LBB279_206
.LBB279_8:
	v_cndmask_b32_e64 v14, 0, 1, s24
	s_and_not1_b32 vcc_lo, exec_lo, s24
	s_cbranch_vccnz .LBB279_20
; %bb.9:
	v_dual_mov_b32 v0, 0 :: v_dual_mov_b32 v1, 0
	s_cmp_lg_u32 s22, 0
	s_mov_b32 s6, 0
	s_cbranch_scc0 .LBB279_26
; %bb.10:
	s_min_u32 s7, s23, 15
	v_mov_b32_e32 v0, 0
	s_add_i32 s7, s7, 1
	s_cmp_eq_u32 s23, 2
	s_mov_b32 s8, 0
	s_cbranch_scc1 .LBB279_23
; %bb.11:
	v_dual_mov_b32 v1, 0 :: v_dual_mov_b32 v0, 0
	v_mov_b32_e32 v2, v12
	s_add_u32 s2, s0, 0xc4
	s_addc_u32 s3, s1, 0
	s_and_b32 s8, s7, 28
	s_mov_b32 s9, 0
	s_mov_b64 s[4:5], s[0:1]
.LBB279_12:                             ; =>This Inner Loop Header: Depth=1
	s_clause 0x1
	s_load_b256 s[12:19], s[4:5], 0x4
	s_load_b128 s[36:39], s[4:5], 0x24
	s_load_b256 s[24:31], s[2:3], 0x0
	s_add_u32 s4, s4, 48
	s_addc_u32 s5, s5, 0
	s_add_i32 s9, s9, 4
	s_add_u32 s2, s2, 32
	s_addc_u32 s3, s3, 0
	s_cmp_lg_u32 s8, s9
	s_waitcnt lgkmcnt(0)
	v_mul_hi_u32 v3, s13, v2
	s_delay_alu instid0(VALU_DEP_1) | instskip(NEXT) | instid1(VALU_DEP_1)
	v_add_nc_u32_e32 v3, v2, v3
	v_lshrrev_b32_e32 v3, s14, v3
	s_delay_alu instid0(VALU_DEP_1) | instskip(SKIP_1) | instid1(VALU_DEP_2)
	v_mul_hi_u32 v4, s16, v3
	v_mul_lo_u32 v6, v3, s12
	v_add_nc_u32_e32 v4, v3, v4
	s_delay_alu instid0(VALU_DEP_2) | instskip(NEXT) | instid1(VALU_DEP_2)
	v_sub_nc_u32_e32 v2, v2, v6
	v_lshrrev_b32_e32 v4, s17, v4
	s_delay_alu instid0(VALU_DEP_2) | instskip(SKIP_1) | instid1(VALU_DEP_3)
	v_mul_lo_u32 v6, v2, s24
	v_mul_lo_u32 v8, v2, s25
	v_mul_hi_u32 v5, s19, v4
	s_delay_alu instid0(VALU_DEP_1) | instskip(NEXT) | instid1(VALU_DEP_1)
	v_add_nc_u32_e32 v5, v4, v5
	v_lshrrev_b32_e32 v5, s36, v5
	s_delay_alu instid0(VALU_DEP_1) | instskip(SKIP_1) | instid1(VALU_DEP_2)
	v_mul_hi_u32 v7, s38, v5
	v_mul_lo_u32 v9, v5, s18
	v_add_nc_u32_e32 v2, v5, v7
	v_mul_lo_u32 v7, v4, s15
	s_delay_alu instid0(VALU_DEP_3) | instskip(NEXT) | instid1(VALU_DEP_3)
	v_sub_nc_u32_e32 v4, v4, v9
	v_lshrrev_b32_e32 v2, s39, v2
	s_delay_alu instid0(VALU_DEP_2) | instskip(SKIP_2) | instid1(VALU_DEP_4)
	v_mul_lo_u32 v9, v4, s28
	v_mul_lo_u32 v4, v4, s29
	v_sub_nc_u32_e32 v3, v3, v7
	v_mul_lo_u32 v10, v2, s37
	s_delay_alu instid0(VALU_DEP_2) | instskip(SKIP_1) | instid1(VALU_DEP_3)
	v_mul_lo_u32 v7, v3, s26
	v_mul_lo_u32 v3, v3, s27
	v_sub_nc_u32_e32 v5, v5, v10
	s_delay_alu instid0(VALU_DEP_3) | instskip(NEXT) | instid1(VALU_DEP_2)
	v_add3_u32 v0, v6, v0, v7
	v_mul_lo_u32 v10, v5, s30
	v_mul_lo_u32 v5, v5, s31
	v_add3_u32 v1, v8, v1, v3
	s_delay_alu instid0(VALU_DEP_3) | instskip(NEXT) | instid1(VALU_DEP_2)
	v_add3_u32 v0, v9, v0, v10
	v_add3_u32 v1, v4, v1, v5
	s_cbranch_scc1 .LBB279_12
; %bb.13:
	s_and_b32 s7, s7, 3
	s_delay_alu instid0(SALU_CYCLE_1)
	s_cmp_eq_u32 s7, 0
	s_cbranch_scc0 .LBB279_24
	s_branch .LBB279_26
.LBB279_14:
	s_or_b32 exec_lo, exec_lo, s31
	s_delay_alu instid0(SALU_CYCLE_1)
	s_mov_b32 s31, exec_lo
	v_cmpx_gt_i32_e64 s28, v12
	s_cbranch_execz .LBB279_129
.LBB279_15:
	s_and_not1_b32 vcc_lo, exec_lo, s24
	s_cbranch_vccnz .LBB279_22
; %bb.16:
	v_dual_mov_b32 v0, 0 :: v_dual_mov_b32 v1, 0
	s_and_not1_b32 vcc_lo, exec_lo, s30
	s_mov_b32 s33, 0
	s_cbranch_vccnz .LBB279_140
; %bb.17:
	v_mov_b32_e32 v0, 0
	s_add_i32 s35, s29, 1
	s_cmp_eq_u32 s23, 2
	s_mov_b32 s34, 0
	s_cbranch_scc1 .LBB279_136
; %bb.18:
	v_dual_mov_b32 v1, 0 :: v_dual_mov_b32 v0, 0
	v_mov_b32_e32 v3, v12
	s_and_b32 s34, s35, 28
	s_mov_b32 s36, 0
	s_mov_b64 s[18:19], s[16:17]
	s_mov_b64 s[20:21], s[0:1]
.LBB279_19:                             ; =>This Inner Loop Header: Depth=1
	s_clause 0x1
	s_load_b256 s[40:47], s[20:21], 0x4
	s_load_b128 s[56:59], s[20:21], 0x24
	s_load_b256 s[48:55], s[18:19], 0x0
	s_add_u32 s20, s20, 48
	s_addc_u32 s21, s21, 0
	s_add_i32 s36, s36, 4
	s_add_u32 s18, s18, 32
	s_addc_u32 s19, s19, 0
	s_cmp_eq_u32 s34, s36
	s_waitcnt lgkmcnt(0)
	v_mul_hi_u32 v4, s41, v3
	s_delay_alu instid0(VALU_DEP_1) | instskip(NEXT) | instid1(VALU_DEP_1)
	v_add_nc_u32_e32 v4, v3, v4
	v_lshrrev_b32_e32 v4, s42, v4
	s_delay_alu instid0(VALU_DEP_1) | instskip(SKIP_1) | instid1(VALU_DEP_2)
	v_mul_hi_u32 v5, s44, v4
	v_mul_lo_u32 v7, v4, s40
	v_add_nc_u32_e32 v5, v4, v5
	s_delay_alu instid0(VALU_DEP_2) | instskip(NEXT) | instid1(VALU_DEP_2)
	v_sub_nc_u32_e32 v3, v3, v7
	v_lshrrev_b32_e32 v5, s45, v5
	s_delay_alu instid0(VALU_DEP_2) | instskip(SKIP_1) | instid1(VALU_DEP_3)
	v_mul_lo_u32 v7, v3, s48
	v_mul_lo_u32 v9, v3, s49
	v_mul_hi_u32 v6, s47, v5
	s_delay_alu instid0(VALU_DEP_1) | instskip(NEXT) | instid1(VALU_DEP_1)
	v_add_nc_u32_e32 v6, v5, v6
	v_lshrrev_b32_e32 v6, s56, v6
	s_delay_alu instid0(VALU_DEP_1) | instskip(SKIP_1) | instid1(VALU_DEP_2)
	v_mul_hi_u32 v8, s58, v6
	v_mul_lo_u32 v10, v6, s46
	v_add_nc_u32_e32 v3, v6, v8
	v_mul_lo_u32 v8, v5, s43
	s_delay_alu instid0(VALU_DEP_3) | instskip(NEXT) | instid1(VALU_DEP_3)
	v_sub_nc_u32_e32 v5, v5, v10
	v_lshrrev_b32_e32 v3, s59, v3
	s_delay_alu instid0(VALU_DEP_2) | instskip(SKIP_2) | instid1(VALU_DEP_4)
	v_mul_lo_u32 v10, v5, s52
	v_mul_lo_u32 v5, v5, s53
	v_sub_nc_u32_e32 v4, v4, v8
	v_mul_lo_u32 v11, v3, s57
	s_delay_alu instid0(VALU_DEP_2) | instskip(SKIP_1) | instid1(VALU_DEP_3)
	v_mul_lo_u32 v8, v4, s50
	v_mul_lo_u32 v4, v4, s51
	v_sub_nc_u32_e32 v6, v6, v11
	s_delay_alu instid0(VALU_DEP_3) | instskip(NEXT) | instid1(VALU_DEP_2)
	v_add3_u32 v0, v7, v0, v8
	v_mul_lo_u32 v11, v6, s54
	v_mul_lo_u32 v6, v6, s55
	v_add3_u32 v1, v9, v1, v4
	s_delay_alu instid0(VALU_DEP_3) | instskip(NEXT) | instid1(VALU_DEP_2)
	v_add3_u32 v0, v10, v0, v11
	v_add3_u32 v1, v5, v1, v6
	s_cbranch_scc0 .LBB279_19
	s_branch .LBB279_137
.LBB279_20:
	s_mov_b32 s6, -1
                                        ; implicit-def: $vgpr0
                                        ; implicit-def: $vgpr1
	s_branch .LBB279_26
.LBB279_21:
	s_mov_b32 s33, -1
                                        ; implicit-def: $vgpr0
                                        ; implicit-def: $vgpr1
	s_branch .LBB279_125
.LBB279_22:
	s_mov_b32 s33, -1
                                        ; implicit-def: $vgpr0
                                        ; implicit-def: $vgpr1
	s_branch .LBB279_140
.LBB279_23:
	v_dual_mov_b32 v2, v12 :: v_dual_mov_b32 v1, 0
	s_and_b32 s7, s7, 3
	s_delay_alu instid0(SALU_CYCLE_1)
	s_cmp_eq_u32 s7, 0
	s_cbranch_scc1 .LBB279_26
.LBB279_24:
	s_lshl_b32 s2, s8, 3
	s_mul_i32 s4, s8, 12
	s_add_u32 s2, s2, s0
	s_addc_u32 s3, 0, s1
	s_add_u32 s2, s2, 0xc4
	s_addc_u32 s3, s3, 0
	;; [unrolled: 2-line block ×3, first 2 shown]
	.p2align	6
.LBB279_25:                             ; =>This Inner Loop Header: Depth=1
	s_clause 0x1
	s_load_b64 s[8:9], s[4:5], 0x4
	s_load_b32 s12, s[4:5], 0xc
	s_load_b64 s[10:11], s[2:3], 0x0
	s_add_u32 s4, s4, 12
	s_addc_u32 s5, s5, 0
	s_add_u32 s2, s2, 8
	s_addc_u32 s3, s3, 0
	s_add_i32 s7, s7, -1
	s_delay_alu instid0(SALU_CYCLE_1) | instskip(SKIP_2) | instid1(VALU_DEP_1)
	s_cmp_lg_u32 s7, 0
	s_waitcnt lgkmcnt(0)
	v_mul_hi_u32 v3, s9, v2
	v_add_nc_u32_e32 v3, v2, v3
	s_delay_alu instid0(VALU_DEP_1) | instskip(NEXT) | instid1(VALU_DEP_1)
	v_lshrrev_b32_e32 v6, s12, v3
	v_mul_lo_u32 v3, v6, s8
	s_delay_alu instid0(VALU_DEP_1) | instskip(NEXT) | instid1(VALU_DEP_1)
	v_sub_nc_u32_e32 v2, v2, v3
	v_mad_u64_u32 v[3:4], null, v2, s10, v[0:1]
	v_mad_u64_u32 v[4:5], null, v2, s11, v[1:2]
	v_mov_b32_e32 v2, v6
	s_delay_alu instid0(VALU_DEP_2)
	v_dual_mov_b32 v0, v3 :: v_dual_mov_b32 v1, v4
	s_cbranch_scc1 .LBB279_25
.LBB279_26:
	s_and_not1_b32 vcc_lo, exec_lo, s6
	s_cbranch_vccnz .LBB279_29
; %bb.27:
	s_clause 0x1
	s_load_b128 s[4:7], s[0:1], 0x4
	s_load_b64 s[2:3], s[0:1], 0xc4
	s_cmp_lt_u32 s22, 2
	s_waitcnt lgkmcnt(0)
	v_mul_hi_u32 v0, s5, v12
	s_delay_alu instid0(VALU_DEP_1) | instskip(NEXT) | instid1(VALU_DEP_1)
	v_add_nc_u32_e32 v0, v12, v0
	v_lshrrev_b32_e32 v2, s6, v0
	s_delay_alu instid0(VALU_DEP_1) | instskip(NEXT) | instid1(VALU_DEP_1)
	v_mul_lo_u32 v0, v2, s4
	v_sub_nc_u32_e32 v1, v12, v0
	s_delay_alu instid0(VALU_DEP_1)
	v_mul_lo_u32 v0, v1, s2
	v_mul_lo_u32 v1, v1, s3
	s_cbranch_scc1 .LBB279_29
; %bb.28:
	s_clause 0x1
	s_load_b128 s[4:7], s[0:1], 0x10
	s_load_b64 s[2:3], s[0:1], 0xcc
	s_waitcnt lgkmcnt(0)
	v_mul_hi_u32 v3, s5, v2
	s_delay_alu instid0(VALU_DEP_1) | instskip(NEXT) | instid1(VALU_DEP_1)
	v_add_nc_u32_e32 v3, v2, v3
	v_lshrrev_b32_e32 v3, s6, v3
	s_delay_alu instid0(VALU_DEP_1) | instskip(NEXT) | instid1(VALU_DEP_1)
	v_mul_lo_u32 v3, v3, s4
	v_sub_nc_u32_e32 v5, v2, v3
	s_delay_alu instid0(VALU_DEP_1) | instskip(NEXT) | instid1(VALU_DEP_1)
	v_mad_u64_u32 v[2:3], null, v5, s2, v[0:1]
	v_mad_u64_u32 v[3:4], null, v5, s3, v[1:2]
	s_delay_alu instid0(VALU_DEP_1)
	v_dual_mov_b32 v0, v2 :: v_dual_mov_b32 v1, v3
.LBB279_29:
	v_cmp_ne_u32_e32 vcc_lo, 1, v14
	v_add_nc_u32_e32 v4, 0x80, v12
	s_cbranch_vccnz .LBB279_35
; %bb.30:
	v_dual_mov_b32 v2, 0 :: v_dual_mov_b32 v3, 0
	s_cmp_lg_u32 s22, 0
	s_mov_b32 s6, 0
	s_cbranch_scc0 .LBB279_39
; %bb.31:
	s_min_u32 s7, s23, 15
	v_mov_b32_e32 v2, 0
	s_add_i32 s7, s7, 1
	s_cmp_eq_u32 s23, 2
	s_mov_b32 s8, 0
	s_cbranch_scc1 .LBB279_36
; %bb.32:
	v_dual_mov_b32 v3, 0 :: v_dual_mov_b32 v2, 0
	v_mov_b32_e32 v5, v4
	s_add_u32 s2, s0, 0xc4
	s_addc_u32 s3, s1, 0
	s_and_b32 s8, s7, 28
	s_mov_b32 s9, 0
	s_mov_b64 s[4:5], s[0:1]
.LBB279_33:                             ; =>This Inner Loop Header: Depth=1
	s_clause 0x1
	s_load_b256 s[12:19], s[4:5], 0x4
	s_load_b128 s[36:39], s[4:5], 0x24
	s_load_b256 s[24:31], s[2:3], 0x0
	s_add_u32 s4, s4, 48
	s_addc_u32 s5, s5, 0
	s_add_i32 s9, s9, 4
	s_add_u32 s2, s2, 32
	s_addc_u32 s3, s3, 0
	s_cmp_lg_u32 s8, s9
	s_waitcnt lgkmcnt(0)
	v_mul_hi_u32 v6, s13, v5
	s_delay_alu instid0(VALU_DEP_1) | instskip(NEXT) | instid1(VALU_DEP_1)
	v_add_nc_u32_e32 v6, v5, v6
	v_lshrrev_b32_e32 v6, s14, v6
	s_delay_alu instid0(VALU_DEP_1) | instskip(SKIP_1) | instid1(VALU_DEP_2)
	v_mul_hi_u32 v7, s16, v6
	v_mul_lo_u32 v9, v6, s12
	v_add_nc_u32_e32 v7, v6, v7
	s_delay_alu instid0(VALU_DEP_2) | instskip(NEXT) | instid1(VALU_DEP_2)
	v_sub_nc_u32_e32 v5, v5, v9
	v_lshrrev_b32_e32 v7, s17, v7
	s_delay_alu instid0(VALU_DEP_2) | instskip(SKIP_1) | instid1(VALU_DEP_3)
	v_mul_lo_u32 v9, v5, s24
	v_mul_lo_u32 v11, v5, s25
	v_mul_hi_u32 v8, s19, v7
	s_delay_alu instid0(VALU_DEP_1) | instskip(NEXT) | instid1(VALU_DEP_1)
	v_add_nc_u32_e32 v8, v7, v8
	v_lshrrev_b32_e32 v8, s36, v8
	s_delay_alu instid0(VALU_DEP_1) | instskip(SKIP_1) | instid1(VALU_DEP_2)
	v_mul_hi_u32 v10, s38, v8
	v_mul_lo_u32 v13, v8, s18
	v_add_nc_u32_e32 v5, v8, v10
	v_mul_lo_u32 v10, v7, s15
	s_delay_alu instid0(VALU_DEP_3) | instskip(NEXT) | instid1(VALU_DEP_3)
	v_sub_nc_u32_e32 v7, v7, v13
	v_lshrrev_b32_e32 v5, s39, v5
	s_delay_alu instid0(VALU_DEP_2) | instskip(SKIP_2) | instid1(VALU_DEP_4)
	v_mul_lo_u32 v13, v7, s28
	v_mul_lo_u32 v7, v7, s29
	v_sub_nc_u32_e32 v6, v6, v10
	v_mul_lo_u32 v15, v5, s37
	s_delay_alu instid0(VALU_DEP_2) | instskip(SKIP_1) | instid1(VALU_DEP_3)
	v_mul_lo_u32 v10, v6, s26
	v_mul_lo_u32 v6, v6, s27
	v_sub_nc_u32_e32 v8, v8, v15
	s_delay_alu instid0(VALU_DEP_3) | instskip(NEXT) | instid1(VALU_DEP_2)
	v_add3_u32 v2, v9, v2, v10
	v_mul_lo_u32 v15, v8, s30
	v_mul_lo_u32 v8, v8, s31
	v_add3_u32 v3, v11, v3, v6
	s_delay_alu instid0(VALU_DEP_3) | instskip(NEXT) | instid1(VALU_DEP_2)
	v_add3_u32 v2, v13, v2, v15
	v_add3_u32 v3, v7, v3, v8
	s_cbranch_scc1 .LBB279_33
; %bb.34:
	s_and_b32 s7, s7, 3
	s_delay_alu instid0(SALU_CYCLE_1)
	s_cmp_eq_u32 s7, 0
	s_cbranch_scc0 .LBB279_37
	s_branch .LBB279_39
.LBB279_35:
	s_mov_b32 s6, -1
                                        ; implicit-def: $vgpr2
                                        ; implicit-def: $vgpr3
	s_branch .LBB279_39
.LBB279_36:
	v_mov_b32_e32 v5, v4
	v_mov_b32_e32 v3, 0
	s_and_b32 s7, s7, 3
	s_delay_alu instid0(SALU_CYCLE_1)
	s_cmp_eq_u32 s7, 0
	s_cbranch_scc1 .LBB279_39
.LBB279_37:
	s_lshl_b32 s2, s8, 3
	s_mul_i32 s4, s8, 12
	s_add_u32 s2, s2, s0
	s_addc_u32 s3, 0, s1
	s_add_u32 s2, s2, 0xc4
	s_addc_u32 s3, s3, 0
	;; [unrolled: 2-line block ×3, first 2 shown]
	.p2align	6
.LBB279_38:                             ; =>This Inner Loop Header: Depth=1
	s_clause 0x1
	s_load_b64 s[8:9], s[4:5], 0x4
	s_load_b32 s12, s[4:5], 0xc
	s_load_b64 s[10:11], s[2:3], 0x0
	s_add_u32 s4, s4, 12
	s_addc_u32 s5, s5, 0
	s_add_u32 s2, s2, 8
	s_addc_u32 s3, s3, 0
	s_add_i32 s7, s7, -1
	s_delay_alu instid0(SALU_CYCLE_1) | instskip(SKIP_2) | instid1(VALU_DEP_1)
	s_cmp_lg_u32 s7, 0
	s_waitcnt lgkmcnt(0)
	v_mul_hi_u32 v6, s9, v5
	v_add_nc_u32_e32 v6, v5, v6
	s_delay_alu instid0(VALU_DEP_1) | instskip(NEXT) | instid1(VALU_DEP_1)
	v_lshrrev_b32_e32 v9, s12, v6
	v_mul_lo_u32 v6, v9, s8
	s_delay_alu instid0(VALU_DEP_1) | instskip(NEXT) | instid1(VALU_DEP_1)
	v_sub_nc_u32_e32 v5, v5, v6
	v_mad_u64_u32 v[6:7], null, v5, s10, v[2:3]
	v_mad_u64_u32 v[7:8], null, v5, s11, v[3:4]
	s_delay_alu instid0(VALU_DEP_2) | instskip(NEXT) | instid1(VALU_DEP_2)
	v_dual_mov_b32 v5, v9 :: v_dual_mov_b32 v2, v6
	v_mov_b32_e32 v3, v7
	s_cbranch_scc1 .LBB279_38
.LBB279_39:
	s_and_not1_b32 vcc_lo, exec_lo, s6
	s_cbranch_vccnz .LBB279_42
; %bb.40:
	s_clause 0x1
	s_load_b128 s[4:7], s[0:1], 0x4
	s_load_b64 s[2:3], s[0:1], 0xc4
	s_cmp_lt_u32 s22, 2
	s_waitcnt lgkmcnt(0)
	v_mul_hi_u32 v2, s5, v4
	s_delay_alu instid0(VALU_DEP_1) | instskip(NEXT) | instid1(VALU_DEP_1)
	v_add_nc_u32_e32 v2, v4, v2
	v_lshrrev_b32_e32 v5, s6, v2
	s_delay_alu instid0(VALU_DEP_1) | instskip(NEXT) | instid1(VALU_DEP_1)
	v_mul_lo_u32 v2, v5, s4
	v_sub_nc_u32_e32 v3, v4, v2
	s_delay_alu instid0(VALU_DEP_1)
	v_mul_lo_u32 v2, v3, s2
	v_mul_lo_u32 v3, v3, s3
	s_cbranch_scc1 .LBB279_42
; %bb.41:
	s_clause 0x1
	s_load_b128 s[4:7], s[0:1], 0x10
	s_load_b64 s[2:3], s[0:1], 0xcc
	s_waitcnt lgkmcnt(0)
	v_mul_hi_u32 v4, s5, v5
	s_delay_alu instid0(VALU_DEP_1) | instskip(NEXT) | instid1(VALU_DEP_1)
	v_add_nc_u32_e32 v4, v5, v4
	v_lshrrev_b32_e32 v4, s6, v4
	s_delay_alu instid0(VALU_DEP_1) | instskip(NEXT) | instid1(VALU_DEP_1)
	v_mul_lo_u32 v4, v4, s4
	v_sub_nc_u32_e32 v7, v5, v4
	s_delay_alu instid0(VALU_DEP_1) | instskip(NEXT) | instid1(VALU_DEP_1)
	v_mad_u64_u32 v[4:5], null, v7, s2, v[2:3]
	v_mad_u64_u32 v[5:6], null, v7, s3, v[3:4]
	s_delay_alu instid0(VALU_DEP_1)
	v_dual_mov_b32 v2, v4 :: v_dual_mov_b32 v3, v5
.LBB279_42:
	v_cmp_ne_u32_e32 vcc_lo, 1, v14
	v_add_nc_u32_e32 v6, 0x100, v12
	s_cbranch_vccnz .LBB279_48
; %bb.43:
	v_dual_mov_b32 v4, 0 :: v_dual_mov_b32 v5, 0
	s_cmp_lg_u32 s22, 0
	s_mov_b32 s6, 0
	s_cbranch_scc0 .LBB279_52
; %bb.44:
	s_min_u32 s7, s23, 15
	v_mov_b32_e32 v4, 0
	s_add_i32 s7, s7, 1
	s_cmp_eq_u32 s23, 2
	s_mov_b32 s8, 0
	s_cbranch_scc1 .LBB279_49
; %bb.45:
	v_dual_mov_b32 v5, 0 :: v_dual_mov_b32 v4, 0
	v_mov_b32_e32 v7, v6
	s_add_u32 s2, s0, 0xc4
	s_addc_u32 s3, s1, 0
	s_and_b32 s8, s7, 28
	s_mov_b32 s9, 0
	s_mov_b64 s[4:5], s[0:1]
.LBB279_46:                             ; =>This Inner Loop Header: Depth=1
	s_clause 0x1
	s_load_b256 s[12:19], s[4:5], 0x4
	s_load_b128 s[36:39], s[4:5], 0x24
	s_load_b256 s[24:31], s[2:3], 0x0
	s_add_u32 s4, s4, 48
	s_addc_u32 s5, s5, 0
	s_add_i32 s9, s9, 4
	s_add_u32 s2, s2, 32
	s_addc_u32 s3, s3, 0
	s_cmp_lg_u32 s8, s9
	s_waitcnt lgkmcnt(0)
	v_mul_hi_u32 v8, s13, v7
	s_delay_alu instid0(VALU_DEP_1) | instskip(NEXT) | instid1(VALU_DEP_1)
	v_add_nc_u32_e32 v8, v7, v8
	v_lshrrev_b32_e32 v8, s14, v8
	s_delay_alu instid0(VALU_DEP_1) | instskip(SKIP_1) | instid1(VALU_DEP_2)
	v_mul_hi_u32 v9, s16, v8
	v_mul_lo_u32 v11, v8, s12
	v_add_nc_u32_e32 v9, v8, v9
	s_delay_alu instid0(VALU_DEP_2) | instskip(NEXT) | instid1(VALU_DEP_2)
	v_sub_nc_u32_e32 v7, v7, v11
	v_lshrrev_b32_e32 v9, s17, v9
	s_delay_alu instid0(VALU_DEP_2) | instskip(SKIP_1) | instid1(VALU_DEP_3)
	v_mul_lo_u32 v11, v7, s24
	v_mul_lo_u32 v15, v7, s25
	v_mul_hi_u32 v10, s19, v9
	s_delay_alu instid0(VALU_DEP_1) | instskip(NEXT) | instid1(VALU_DEP_1)
	v_add_nc_u32_e32 v10, v9, v10
	v_lshrrev_b32_e32 v10, s36, v10
	s_delay_alu instid0(VALU_DEP_1) | instskip(SKIP_1) | instid1(VALU_DEP_2)
	v_mul_hi_u32 v13, s38, v10
	v_mul_lo_u32 v17, v10, s18
	v_add_nc_u32_e32 v7, v10, v13
	v_mul_lo_u32 v13, v9, s15
	s_delay_alu instid0(VALU_DEP_3) | instskip(NEXT) | instid1(VALU_DEP_3)
	v_sub_nc_u32_e32 v9, v9, v17
	v_lshrrev_b32_e32 v7, s39, v7
	s_delay_alu instid0(VALU_DEP_2) | instskip(SKIP_2) | instid1(VALU_DEP_4)
	v_mul_lo_u32 v17, v9, s28
	v_mul_lo_u32 v9, v9, s29
	v_sub_nc_u32_e32 v8, v8, v13
	v_mul_lo_u32 v18, v7, s37
	s_delay_alu instid0(VALU_DEP_2) | instskip(SKIP_1) | instid1(VALU_DEP_3)
	v_mul_lo_u32 v13, v8, s26
	v_mul_lo_u32 v8, v8, s27
	v_sub_nc_u32_e32 v10, v10, v18
	s_delay_alu instid0(VALU_DEP_3) | instskip(NEXT) | instid1(VALU_DEP_2)
	v_add3_u32 v4, v11, v4, v13
	v_mul_lo_u32 v18, v10, s30
	v_mul_lo_u32 v10, v10, s31
	v_add3_u32 v5, v15, v5, v8
	s_delay_alu instid0(VALU_DEP_3) | instskip(NEXT) | instid1(VALU_DEP_2)
	v_add3_u32 v4, v17, v4, v18
	v_add3_u32 v5, v9, v5, v10
	s_cbranch_scc1 .LBB279_46
; %bb.47:
	s_and_b32 s7, s7, 3
	s_delay_alu instid0(SALU_CYCLE_1)
	s_cmp_eq_u32 s7, 0
	s_cbranch_scc0 .LBB279_50
	s_branch .LBB279_52
.LBB279_48:
	s_mov_b32 s6, -1
                                        ; implicit-def: $vgpr4
                                        ; implicit-def: $vgpr5
	s_branch .LBB279_52
.LBB279_49:
	v_mov_b32_e32 v7, v6
	v_mov_b32_e32 v5, 0
	s_and_b32 s7, s7, 3
	s_delay_alu instid0(SALU_CYCLE_1)
	s_cmp_eq_u32 s7, 0
	s_cbranch_scc1 .LBB279_52
.LBB279_50:
	s_lshl_b32 s2, s8, 3
	s_mul_i32 s4, s8, 12
	s_add_u32 s2, s2, s0
	s_addc_u32 s3, 0, s1
	s_add_u32 s2, s2, 0xc4
	s_addc_u32 s3, s3, 0
	;; [unrolled: 2-line block ×3, first 2 shown]
	.p2align	6
.LBB279_51:                             ; =>This Inner Loop Header: Depth=1
	s_clause 0x1
	s_load_b64 s[8:9], s[4:5], 0x4
	s_load_b32 s12, s[4:5], 0xc
	s_load_b64 s[10:11], s[2:3], 0x0
	s_add_u32 s4, s4, 12
	s_addc_u32 s5, s5, 0
	s_add_u32 s2, s2, 8
	s_addc_u32 s3, s3, 0
	s_add_i32 s7, s7, -1
	s_delay_alu instid0(SALU_CYCLE_1) | instskip(SKIP_2) | instid1(VALU_DEP_1)
	s_cmp_lg_u32 s7, 0
	s_waitcnt lgkmcnt(0)
	v_mul_hi_u32 v8, s9, v7
	v_add_nc_u32_e32 v8, v7, v8
	s_delay_alu instid0(VALU_DEP_1) | instskip(NEXT) | instid1(VALU_DEP_1)
	v_lshrrev_b32_e32 v11, s12, v8
	v_mul_lo_u32 v8, v11, s8
	s_delay_alu instid0(VALU_DEP_1) | instskip(NEXT) | instid1(VALU_DEP_1)
	v_sub_nc_u32_e32 v7, v7, v8
	v_mad_u64_u32 v[8:9], null, v7, s10, v[4:5]
	v_mad_u64_u32 v[9:10], null, v7, s11, v[5:6]
	s_delay_alu instid0(VALU_DEP_2) | instskip(NEXT) | instid1(VALU_DEP_2)
	v_dual_mov_b32 v7, v11 :: v_dual_mov_b32 v4, v8
	v_mov_b32_e32 v5, v9
	s_cbranch_scc1 .LBB279_51
.LBB279_52:
	s_and_not1_b32 vcc_lo, exec_lo, s6
	s_cbranch_vccnz .LBB279_55
; %bb.53:
	s_clause 0x1
	s_load_b128 s[4:7], s[0:1], 0x4
	s_load_b64 s[2:3], s[0:1], 0xc4
	s_cmp_lt_u32 s22, 2
	s_waitcnt lgkmcnt(0)
	v_mul_hi_u32 v4, s5, v6
	s_delay_alu instid0(VALU_DEP_1) | instskip(NEXT) | instid1(VALU_DEP_1)
	v_add_nc_u32_e32 v4, v6, v4
	v_lshrrev_b32_e32 v7, s6, v4
	s_delay_alu instid0(VALU_DEP_1) | instskip(NEXT) | instid1(VALU_DEP_1)
	v_mul_lo_u32 v4, v7, s4
	v_sub_nc_u32_e32 v5, v6, v4
	s_delay_alu instid0(VALU_DEP_1)
	v_mul_lo_u32 v4, v5, s2
	v_mul_lo_u32 v5, v5, s3
	s_cbranch_scc1 .LBB279_55
; %bb.54:
	s_clause 0x1
	s_load_b128 s[4:7], s[0:1], 0x10
	s_load_b64 s[2:3], s[0:1], 0xcc
	s_waitcnt lgkmcnt(0)
	v_mul_hi_u32 v6, s5, v7
	s_delay_alu instid0(VALU_DEP_1) | instskip(NEXT) | instid1(VALU_DEP_1)
	v_add_nc_u32_e32 v6, v7, v6
	v_lshrrev_b32_e32 v6, s6, v6
	s_delay_alu instid0(VALU_DEP_1) | instskip(NEXT) | instid1(VALU_DEP_1)
	v_mul_lo_u32 v6, v6, s4
	v_sub_nc_u32_e32 v9, v7, v6
	s_delay_alu instid0(VALU_DEP_1) | instskip(NEXT) | instid1(VALU_DEP_1)
	v_mad_u64_u32 v[6:7], null, v9, s2, v[4:5]
	v_mad_u64_u32 v[7:8], null, v9, s3, v[5:6]
	s_delay_alu instid0(VALU_DEP_1)
	v_dual_mov_b32 v4, v6 :: v_dual_mov_b32 v5, v7
.LBB279_55:
	v_cmp_ne_u32_e32 vcc_lo, 1, v14
	v_add_nc_u32_e32 v8, 0x180, v12
	s_cbranch_vccnz .LBB279_61
; %bb.56:
	v_dual_mov_b32 v6, 0 :: v_dual_mov_b32 v7, 0
	s_cmp_lg_u32 s22, 0
	s_mov_b32 s6, 0
	s_cbranch_scc0 .LBB279_65
; %bb.57:
	s_min_u32 s7, s23, 15
	v_mov_b32_e32 v6, 0
	s_add_i32 s7, s7, 1
	s_cmp_eq_u32 s23, 2
	s_mov_b32 s8, 0
	s_cbranch_scc1 .LBB279_62
; %bb.58:
	v_dual_mov_b32 v7, 0 :: v_dual_mov_b32 v6, 0
	v_mov_b32_e32 v9, v8
	s_add_u32 s2, s0, 0xc4
	s_addc_u32 s3, s1, 0
	s_and_b32 s8, s7, 28
	s_mov_b32 s9, 0
	s_mov_b64 s[4:5], s[0:1]
.LBB279_59:                             ; =>This Inner Loop Header: Depth=1
	s_clause 0x1
	s_load_b256 s[12:19], s[4:5], 0x4
	s_load_b128 s[36:39], s[4:5], 0x24
	s_load_b256 s[24:31], s[2:3], 0x0
	s_add_u32 s4, s4, 48
	s_addc_u32 s5, s5, 0
	s_add_i32 s9, s9, 4
	s_add_u32 s2, s2, 32
	s_addc_u32 s3, s3, 0
	s_cmp_lg_u32 s8, s9
	s_waitcnt lgkmcnt(0)
	v_mul_hi_u32 v10, s13, v9
	s_delay_alu instid0(VALU_DEP_1) | instskip(NEXT) | instid1(VALU_DEP_1)
	v_add_nc_u32_e32 v10, v9, v10
	v_lshrrev_b32_e32 v10, s14, v10
	s_delay_alu instid0(VALU_DEP_1) | instskip(SKIP_1) | instid1(VALU_DEP_2)
	v_mul_hi_u32 v11, s16, v10
	v_mul_lo_u32 v15, v10, s12
	v_add_nc_u32_e32 v11, v10, v11
	s_delay_alu instid0(VALU_DEP_2) | instskip(NEXT) | instid1(VALU_DEP_2)
	v_sub_nc_u32_e32 v9, v9, v15
	v_lshrrev_b32_e32 v11, s17, v11
	s_delay_alu instid0(VALU_DEP_2) | instskip(SKIP_1) | instid1(VALU_DEP_3)
	v_mul_lo_u32 v15, v9, s24
	v_mul_lo_u32 v18, v9, s25
	v_mul_hi_u32 v13, s19, v11
	s_delay_alu instid0(VALU_DEP_1) | instskip(NEXT) | instid1(VALU_DEP_1)
	v_add_nc_u32_e32 v13, v11, v13
	v_lshrrev_b32_e32 v13, s36, v13
	s_delay_alu instid0(VALU_DEP_1) | instskip(SKIP_1) | instid1(VALU_DEP_2)
	v_mul_hi_u32 v17, s38, v13
	v_mul_lo_u32 v19, v13, s18
	v_add_nc_u32_e32 v9, v13, v17
	v_mul_lo_u32 v17, v11, s15
	s_delay_alu instid0(VALU_DEP_3) | instskip(NEXT) | instid1(VALU_DEP_3)
	v_sub_nc_u32_e32 v11, v11, v19
	v_lshrrev_b32_e32 v9, s39, v9
	s_delay_alu instid0(VALU_DEP_2) | instskip(SKIP_2) | instid1(VALU_DEP_4)
	v_mul_lo_u32 v19, v11, s28
	v_mul_lo_u32 v11, v11, s29
	v_sub_nc_u32_e32 v10, v10, v17
	v_mul_lo_u32 v20, v9, s37
	s_delay_alu instid0(VALU_DEP_2) | instskip(SKIP_1) | instid1(VALU_DEP_3)
	v_mul_lo_u32 v17, v10, s26
	v_mul_lo_u32 v10, v10, s27
	v_sub_nc_u32_e32 v13, v13, v20
	s_delay_alu instid0(VALU_DEP_3) | instskip(NEXT) | instid1(VALU_DEP_2)
	v_add3_u32 v6, v15, v6, v17
	v_mul_lo_u32 v20, v13, s30
	v_mul_lo_u32 v13, v13, s31
	v_add3_u32 v7, v18, v7, v10
	s_delay_alu instid0(VALU_DEP_3) | instskip(NEXT) | instid1(VALU_DEP_2)
	v_add3_u32 v6, v19, v6, v20
	v_add3_u32 v7, v11, v7, v13
	s_cbranch_scc1 .LBB279_59
; %bb.60:
	s_and_b32 s7, s7, 3
	s_delay_alu instid0(SALU_CYCLE_1)
	s_cmp_eq_u32 s7, 0
	s_cbranch_scc0 .LBB279_63
	s_branch .LBB279_65
.LBB279_61:
	s_mov_b32 s6, -1
                                        ; implicit-def: $vgpr6
                                        ; implicit-def: $vgpr7
	s_branch .LBB279_65
.LBB279_62:
	v_mov_b32_e32 v9, v8
	v_mov_b32_e32 v7, 0
	s_and_b32 s7, s7, 3
	s_delay_alu instid0(SALU_CYCLE_1)
	s_cmp_eq_u32 s7, 0
	s_cbranch_scc1 .LBB279_65
.LBB279_63:
	s_lshl_b32 s2, s8, 3
	s_mul_i32 s4, s8, 12
	s_add_u32 s2, s2, s0
	s_addc_u32 s3, 0, s1
	s_add_u32 s2, s2, 0xc4
	s_addc_u32 s3, s3, 0
	;; [unrolled: 2-line block ×3, first 2 shown]
	.p2align	6
.LBB279_64:                             ; =>This Inner Loop Header: Depth=1
	s_clause 0x1
	s_load_b64 s[8:9], s[4:5], 0x4
	s_load_b32 s12, s[4:5], 0xc
	s_load_b64 s[10:11], s[2:3], 0x0
	s_add_u32 s4, s4, 12
	s_addc_u32 s5, s5, 0
	s_add_u32 s2, s2, 8
	s_addc_u32 s3, s3, 0
	s_add_i32 s7, s7, -1
	s_delay_alu instid0(SALU_CYCLE_1) | instskip(SKIP_2) | instid1(VALU_DEP_1)
	s_cmp_lg_u32 s7, 0
	s_waitcnt lgkmcnt(0)
	v_mul_hi_u32 v10, s9, v9
	v_add_nc_u32_e32 v10, v9, v10
	s_delay_alu instid0(VALU_DEP_1) | instskip(NEXT) | instid1(VALU_DEP_1)
	v_lshrrev_b32_e32 v13, s12, v10
	v_mul_lo_u32 v10, v13, s8
	s_delay_alu instid0(VALU_DEP_1) | instskip(NEXT) | instid1(VALU_DEP_1)
	v_sub_nc_u32_e32 v9, v9, v10
	v_mad_u64_u32 v[10:11], null, v9, s10, v[6:7]
	v_mad_u64_u32 v[17:18], null, v9, s11, v[7:8]
	s_delay_alu instid0(VALU_DEP_2) | instskip(NEXT) | instid1(VALU_DEP_2)
	v_dual_mov_b32 v9, v13 :: v_dual_mov_b32 v6, v10
	v_mov_b32_e32 v7, v17
	s_cbranch_scc1 .LBB279_64
.LBB279_65:
	s_and_not1_b32 vcc_lo, exec_lo, s6
	s_cbranch_vccnz .LBB279_68
; %bb.66:
	s_clause 0x1
	s_load_b128 s[4:7], s[0:1], 0x4
	s_load_b64 s[2:3], s[0:1], 0xc4
	s_cmp_lt_u32 s22, 2
	s_waitcnt lgkmcnt(0)
	v_mul_hi_u32 v6, s5, v8
	s_delay_alu instid0(VALU_DEP_1) | instskip(NEXT) | instid1(VALU_DEP_1)
	v_add_nc_u32_e32 v6, v8, v6
	v_lshrrev_b32_e32 v9, s6, v6
	s_delay_alu instid0(VALU_DEP_1) | instskip(NEXT) | instid1(VALU_DEP_1)
	v_mul_lo_u32 v6, v9, s4
	v_sub_nc_u32_e32 v7, v8, v6
	s_delay_alu instid0(VALU_DEP_1)
	v_mul_lo_u32 v6, v7, s2
	v_mul_lo_u32 v7, v7, s3
	s_cbranch_scc1 .LBB279_68
; %bb.67:
	s_clause 0x1
	s_load_b128 s[4:7], s[0:1], 0x10
	s_load_b64 s[2:3], s[0:1], 0xcc
	s_waitcnt lgkmcnt(0)
	v_mul_hi_u32 v8, s5, v9
	s_delay_alu instid0(VALU_DEP_1) | instskip(NEXT) | instid1(VALU_DEP_1)
	v_add_nc_u32_e32 v8, v9, v8
	v_lshrrev_b32_e32 v8, s6, v8
	s_delay_alu instid0(VALU_DEP_1) | instskip(NEXT) | instid1(VALU_DEP_1)
	v_mul_lo_u32 v8, v8, s4
	v_sub_nc_u32_e32 v11, v9, v8
	s_delay_alu instid0(VALU_DEP_1) | instskip(NEXT) | instid1(VALU_DEP_1)
	v_mad_u64_u32 v[8:9], null, v11, s2, v[6:7]
	v_mad_u64_u32 v[9:10], null, v11, s3, v[7:8]
	s_delay_alu instid0(VALU_DEP_1)
	v_dual_mov_b32 v6, v8 :: v_dual_mov_b32 v7, v9
.LBB279_68:
	v_cmp_ne_u32_e32 vcc_lo, 1, v14
	v_add_nc_u32_e32 v10, 0x200, v12
	s_cbranch_vccnz .LBB279_74
; %bb.69:
	v_dual_mov_b32 v8, 0 :: v_dual_mov_b32 v9, 0
	s_cmp_lg_u32 s22, 0
	s_mov_b32 s6, 0
	s_cbranch_scc0 .LBB279_78
; %bb.70:
	s_min_u32 s7, s23, 15
	v_mov_b32_e32 v8, 0
	s_add_i32 s7, s7, 1
	s_cmp_eq_u32 s23, 2
	s_mov_b32 s8, 0
	s_cbranch_scc1 .LBB279_75
; %bb.71:
	v_dual_mov_b32 v9, 0 :: v_dual_mov_b32 v8, 0
	v_mov_b32_e32 v11, v10
	s_add_u32 s2, s0, 0xc4
	s_addc_u32 s3, s1, 0
	s_and_b32 s8, s7, 28
	s_mov_b32 s9, 0
	s_mov_b64 s[4:5], s[0:1]
.LBB279_72:                             ; =>This Inner Loop Header: Depth=1
	s_clause 0x1
	s_load_b256 s[12:19], s[4:5], 0x4
	s_load_b128 s[36:39], s[4:5], 0x24
	s_load_b256 s[24:31], s[2:3], 0x0
	s_add_u32 s4, s4, 48
	s_addc_u32 s5, s5, 0
	s_add_i32 s9, s9, 4
	s_add_u32 s2, s2, 32
	s_addc_u32 s3, s3, 0
	s_cmp_lg_u32 s8, s9
	s_waitcnt lgkmcnt(0)
	v_mul_hi_u32 v13, s13, v11
	s_delay_alu instid0(VALU_DEP_1) | instskip(NEXT) | instid1(VALU_DEP_1)
	v_add_nc_u32_e32 v13, v11, v13
	v_lshrrev_b32_e32 v13, s14, v13
	s_delay_alu instid0(VALU_DEP_1) | instskip(SKIP_1) | instid1(VALU_DEP_2)
	v_mul_hi_u32 v15, s16, v13
	v_mul_lo_u32 v18, v13, s12
	v_add_nc_u32_e32 v15, v13, v15
	s_delay_alu instid0(VALU_DEP_2) | instskip(NEXT) | instid1(VALU_DEP_2)
	v_sub_nc_u32_e32 v11, v11, v18
	v_lshrrev_b32_e32 v15, s17, v15
	s_delay_alu instid0(VALU_DEP_2) | instskip(SKIP_1) | instid1(VALU_DEP_3)
	v_mul_lo_u32 v18, v11, s24
	v_mul_lo_u32 v20, v11, s25
	v_mul_hi_u32 v17, s19, v15
	s_delay_alu instid0(VALU_DEP_1) | instskip(NEXT) | instid1(VALU_DEP_1)
	v_add_nc_u32_e32 v17, v15, v17
	v_lshrrev_b32_e32 v17, s36, v17
	s_delay_alu instid0(VALU_DEP_1) | instskip(SKIP_1) | instid1(VALU_DEP_2)
	v_mul_hi_u32 v19, s38, v17
	v_mul_lo_u32 v21, v17, s18
	v_add_nc_u32_e32 v11, v17, v19
	v_mul_lo_u32 v19, v15, s15
	s_delay_alu instid0(VALU_DEP_3) | instskip(NEXT) | instid1(VALU_DEP_3)
	v_sub_nc_u32_e32 v15, v15, v21
	v_lshrrev_b32_e32 v11, s39, v11
	s_delay_alu instid0(VALU_DEP_2) | instskip(SKIP_2) | instid1(VALU_DEP_4)
	v_mul_lo_u32 v21, v15, s28
	v_mul_lo_u32 v15, v15, s29
	v_sub_nc_u32_e32 v13, v13, v19
	v_mul_lo_u32 v22, v11, s37
	s_delay_alu instid0(VALU_DEP_2) | instskip(SKIP_1) | instid1(VALU_DEP_3)
	v_mul_lo_u32 v19, v13, s26
	v_mul_lo_u32 v13, v13, s27
	v_sub_nc_u32_e32 v17, v17, v22
	s_delay_alu instid0(VALU_DEP_3) | instskip(NEXT) | instid1(VALU_DEP_2)
	v_add3_u32 v8, v18, v8, v19
	v_mul_lo_u32 v22, v17, s30
	v_mul_lo_u32 v17, v17, s31
	v_add3_u32 v9, v20, v9, v13
	s_delay_alu instid0(VALU_DEP_3) | instskip(NEXT) | instid1(VALU_DEP_2)
	v_add3_u32 v8, v21, v8, v22
	v_add3_u32 v9, v15, v9, v17
	s_cbranch_scc1 .LBB279_72
; %bb.73:
	s_and_b32 s7, s7, 3
	s_delay_alu instid0(SALU_CYCLE_1)
	s_cmp_eq_u32 s7, 0
	s_cbranch_scc0 .LBB279_76
	s_branch .LBB279_78
.LBB279_74:
	s_mov_b32 s6, -1
                                        ; implicit-def: $vgpr8
                                        ; implicit-def: $vgpr9
	s_branch .LBB279_78
.LBB279_75:
	v_mov_b32_e32 v11, v10
	v_mov_b32_e32 v9, 0
	s_and_b32 s7, s7, 3
	s_delay_alu instid0(SALU_CYCLE_1)
	s_cmp_eq_u32 s7, 0
	s_cbranch_scc1 .LBB279_78
.LBB279_76:
	s_lshl_b32 s2, s8, 3
	s_mul_i32 s4, s8, 12
	s_add_u32 s2, s2, s0
	s_addc_u32 s3, 0, s1
	s_add_u32 s2, s2, 0xc4
	s_addc_u32 s3, s3, 0
	;; [unrolled: 2-line block ×3, first 2 shown]
	.p2align	6
.LBB279_77:                             ; =>This Inner Loop Header: Depth=1
	s_clause 0x1
	s_load_b64 s[8:9], s[4:5], 0x4
	s_load_b32 s12, s[4:5], 0xc
	s_load_b64 s[10:11], s[2:3], 0x0
	s_add_u32 s4, s4, 12
	s_addc_u32 s5, s5, 0
	s_add_u32 s2, s2, 8
	s_addc_u32 s3, s3, 0
	s_add_i32 s7, s7, -1
	s_delay_alu instid0(SALU_CYCLE_1) | instskip(SKIP_2) | instid1(VALU_DEP_1)
	s_cmp_lg_u32 s7, 0
	s_waitcnt lgkmcnt(0)
	v_mul_hi_u32 v13, s9, v11
	v_add_nc_u32_e32 v13, v11, v13
	s_delay_alu instid0(VALU_DEP_1) | instskip(NEXT) | instid1(VALU_DEP_1)
	v_lshrrev_b32_e32 v13, s12, v13
	v_mul_lo_u32 v15, v13, s8
	s_delay_alu instid0(VALU_DEP_1) | instskip(NEXT) | instid1(VALU_DEP_1)
	v_sub_nc_u32_e32 v11, v11, v15
	v_mad_u64_u32 v[17:18], null, v11, s10, v[8:9]
	v_mad_u64_u32 v[18:19], null, v11, s11, v[9:10]
	v_mov_b32_e32 v11, v13
	s_delay_alu instid0(VALU_DEP_2)
	v_dual_mov_b32 v8, v17 :: v_dual_mov_b32 v9, v18
	s_cbranch_scc1 .LBB279_77
.LBB279_78:
	s_and_not1_b32 vcc_lo, exec_lo, s6
	s_cbranch_vccnz .LBB279_81
; %bb.79:
	s_clause 0x1
	s_load_b128 s[4:7], s[0:1], 0x4
	s_load_b64 s[2:3], s[0:1], 0xc4
	s_cmp_lt_u32 s22, 2
	s_waitcnt lgkmcnt(0)
	v_mul_hi_u32 v8, s5, v10
	s_delay_alu instid0(VALU_DEP_1) | instskip(NEXT) | instid1(VALU_DEP_1)
	v_add_nc_u32_e32 v8, v10, v8
	v_lshrrev_b32_e32 v11, s6, v8
	s_delay_alu instid0(VALU_DEP_1) | instskip(NEXT) | instid1(VALU_DEP_1)
	v_mul_lo_u32 v8, v11, s4
	v_sub_nc_u32_e32 v9, v10, v8
	s_delay_alu instid0(VALU_DEP_1)
	v_mul_lo_u32 v8, v9, s2
	v_mul_lo_u32 v9, v9, s3
	s_cbranch_scc1 .LBB279_81
; %bb.80:
	s_clause 0x1
	s_load_b128 s[4:7], s[0:1], 0x10
	s_load_b64 s[2:3], s[0:1], 0xcc
	s_waitcnt lgkmcnt(0)
	v_mul_hi_u32 v10, s5, v11
	s_delay_alu instid0(VALU_DEP_1) | instskip(NEXT) | instid1(VALU_DEP_1)
	v_add_nc_u32_e32 v10, v11, v10
	v_lshrrev_b32_e32 v10, s6, v10
	s_delay_alu instid0(VALU_DEP_1) | instskip(NEXT) | instid1(VALU_DEP_1)
	v_mul_lo_u32 v10, v10, s4
	v_sub_nc_u32_e32 v13, v11, v10
	s_delay_alu instid0(VALU_DEP_1) | instskip(NEXT) | instid1(VALU_DEP_1)
	v_mad_u64_u32 v[10:11], null, v13, s2, v[8:9]
	v_mad_u64_u32 v[17:18], null, v13, s3, v[9:10]
	s_delay_alu instid0(VALU_DEP_1)
	v_dual_mov_b32 v8, v10 :: v_dual_mov_b32 v9, v17
.LBB279_81:
	v_cmp_ne_u32_e32 vcc_lo, 1, v14
	v_add_nc_u32_e32 v13, 0x280, v12
	s_cbranch_vccnz .LBB279_87
; %bb.82:
	v_dual_mov_b32 v10, 0 :: v_dual_mov_b32 v11, 0
	s_cmp_lg_u32 s22, 0
	s_mov_b32 s6, 0
	s_cbranch_scc0 .LBB279_91
; %bb.83:
	s_min_u32 s7, s23, 15
	v_mov_b32_e32 v10, 0
	s_add_i32 s7, s7, 1
	s_cmp_eq_u32 s23, 2
	s_mov_b32 s8, 0
	s_cbranch_scc1 .LBB279_88
; %bb.84:
	v_dual_mov_b32 v11, 0 :: v_dual_mov_b32 v10, 0
	v_mov_b32_e32 v15, v13
	s_add_u32 s2, s0, 0xc4
	s_addc_u32 s3, s1, 0
	s_and_b32 s8, s7, 28
	s_mov_b32 s9, 0
	s_mov_b64 s[4:5], s[0:1]
.LBB279_85:                             ; =>This Inner Loop Header: Depth=1
	s_clause 0x1
	s_load_b256 s[12:19], s[4:5], 0x4
	s_load_b128 s[36:39], s[4:5], 0x24
	s_load_b256 s[24:31], s[2:3], 0x0
	s_add_u32 s4, s4, 48
	s_addc_u32 s5, s5, 0
	s_add_i32 s9, s9, 4
	s_add_u32 s2, s2, 32
	s_addc_u32 s3, s3, 0
	s_cmp_lg_u32 s8, s9
	s_waitcnt lgkmcnt(0)
	v_mul_hi_u32 v17, s13, v15
	s_delay_alu instid0(VALU_DEP_1) | instskip(NEXT) | instid1(VALU_DEP_1)
	v_add_nc_u32_e32 v17, v15, v17
	v_lshrrev_b32_e32 v17, s14, v17
	s_delay_alu instid0(VALU_DEP_1) | instskip(SKIP_1) | instid1(VALU_DEP_2)
	v_mul_hi_u32 v18, s16, v17
	v_mul_lo_u32 v20, v17, s12
	v_add_nc_u32_e32 v18, v17, v18
	s_delay_alu instid0(VALU_DEP_2) | instskip(NEXT) | instid1(VALU_DEP_2)
	v_sub_nc_u32_e32 v15, v15, v20
	v_lshrrev_b32_e32 v18, s17, v18
	s_delay_alu instid0(VALU_DEP_2) | instskip(SKIP_1) | instid1(VALU_DEP_3)
	v_mul_lo_u32 v20, v15, s24
	v_mul_lo_u32 v22, v15, s25
	v_mul_hi_u32 v19, s19, v18
	s_delay_alu instid0(VALU_DEP_1) | instskip(NEXT) | instid1(VALU_DEP_1)
	v_add_nc_u32_e32 v19, v18, v19
	v_lshrrev_b32_e32 v19, s36, v19
	s_delay_alu instid0(VALU_DEP_1) | instskip(SKIP_1) | instid1(VALU_DEP_2)
	v_mul_hi_u32 v21, s38, v19
	v_mul_lo_u32 v23, v19, s18
	v_add_nc_u32_e32 v15, v19, v21
	v_mul_lo_u32 v21, v18, s15
	s_delay_alu instid0(VALU_DEP_3) | instskip(NEXT) | instid1(VALU_DEP_3)
	v_sub_nc_u32_e32 v18, v18, v23
	v_lshrrev_b32_e32 v15, s39, v15
	s_delay_alu instid0(VALU_DEP_2) | instskip(SKIP_2) | instid1(VALU_DEP_4)
	v_mul_lo_u32 v23, v18, s28
	v_mul_lo_u32 v18, v18, s29
	v_sub_nc_u32_e32 v17, v17, v21
	v_mul_lo_u32 v24, v15, s37
	s_delay_alu instid0(VALU_DEP_2) | instskip(SKIP_1) | instid1(VALU_DEP_3)
	v_mul_lo_u32 v21, v17, s26
	v_mul_lo_u32 v17, v17, s27
	v_sub_nc_u32_e32 v19, v19, v24
	s_delay_alu instid0(VALU_DEP_3) | instskip(NEXT) | instid1(VALU_DEP_2)
	v_add3_u32 v10, v20, v10, v21
	v_mul_lo_u32 v24, v19, s30
	v_mul_lo_u32 v19, v19, s31
	v_add3_u32 v11, v22, v11, v17
	s_delay_alu instid0(VALU_DEP_3) | instskip(NEXT) | instid1(VALU_DEP_2)
	v_add3_u32 v10, v23, v10, v24
	v_add3_u32 v11, v18, v11, v19
	s_cbranch_scc1 .LBB279_85
; %bb.86:
	s_and_b32 s7, s7, 3
	s_delay_alu instid0(SALU_CYCLE_1)
	s_cmp_eq_u32 s7, 0
	s_cbranch_scc0 .LBB279_89
	s_branch .LBB279_91
.LBB279_87:
	s_mov_b32 s6, -1
                                        ; implicit-def: $vgpr10
                                        ; implicit-def: $vgpr11
	s_branch .LBB279_91
.LBB279_88:
	v_mov_b32_e32 v15, v13
	v_mov_b32_e32 v11, 0
	s_and_b32 s7, s7, 3
	s_delay_alu instid0(SALU_CYCLE_1)
	s_cmp_eq_u32 s7, 0
	s_cbranch_scc1 .LBB279_91
.LBB279_89:
	s_lshl_b32 s2, s8, 3
	s_mul_i32 s4, s8, 12
	s_add_u32 s2, s2, s0
	s_addc_u32 s3, 0, s1
	s_add_u32 s2, s2, 0xc4
	s_addc_u32 s3, s3, 0
	;; [unrolled: 2-line block ×3, first 2 shown]
	.p2align	6
.LBB279_90:                             ; =>This Inner Loop Header: Depth=1
	s_clause 0x1
	s_load_b64 s[8:9], s[4:5], 0x4
	s_load_b32 s12, s[4:5], 0xc
	s_load_b64 s[10:11], s[2:3], 0x0
	s_add_u32 s4, s4, 12
	s_addc_u32 s5, s5, 0
	s_add_u32 s2, s2, 8
	s_addc_u32 s3, s3, 0
	s_add_i32 s7, s7, -1
	s_delay_alu instid0(SALU_CYCLE_1) | instskip(SKIP_2) | instid1(VALU_DEP_1)
	s_cmp_lg_u32 s7, 0
	s_waitcnt lgkmcnt(0)
	v_mul_hi_u32 v17, s9, v15
	v_add_nc_u32_e32 v17, v15, v17
	s_delay_alu instid0(VALU_DEP_1) | instskip(NEXT) | instid1(VALU_DEP_1)
	v_lshrrev_b32_e32 v20, s12, v17
	v_mul_lo_u32 v17, v20, s8
	s_delay_alu instid0(VALU_DEP_1) | instskip(NEXT) | instid1(VALU_DEP_1)
	v_sub_nc_u32_e32 v15, v15, v17
	v_mad_u64_u32 v[17:18], null, v15, s10, v[10:11]
	v_mad_u64_u32 v[18:19], null, v15, s11, v[11:12]
	s_delay_alu instid0(VALU_DEP_2) | instskip(NEXT) | instid1(VALU_DEP_2)
	v_dual_mov_b32 v15, v20 :: v_dual_mov_b32 v10, v17
	v_mov_b32_e32 v11, v18
	s_cbranch_scc1 .LBB279_90
.LBB279_91:
	s_and_not1_b32 vcc_lo, exec_lo, s6
	s_cbranch_vccnz .LBB279_94
; %bb.92:
	s_clause 0x1
	s_load_b128 s[4:7], s[0:1], 0x4
	s_load_b64 s[2:3], s[0:1], 0xc4
	s_cmp_lt_u32 s22, 2
	s_waitcnt lgkmcnt(0)
	v_mul_hi_u32 v10, s5, v13
	s_delay_alu instid0(VALU_DEP_1) | instskip(NEXT) | instid1(VALU_DEP_1)
	v_add_nc_u32_e32 v10, v13, v10
	v_lshrrev_b32_e32 v15, s6, v10
	s_delay_alu instid0(VALU_DEP_1) | instskip(NEXT) | instid1(VALU_DEP_1)
	v_mul_lo_u32 v10, v15, s4
	v_sub_nc_u32_e32 v11, v13, v10
	s_delay_alu instid0(VALU_DEP_1)
	v_mul_lo_u32 v10, v11, s2
	v_mul_lo_u32 v11, v11, s3
	s_cbranch_scc1 .LBB279_94
; %bb.93:
	s_clause 0x1
	s_load_b128 s[4:7], s[0:1], 0x10
	s_load_b64 s[2:3], s[0:1], 0xcc
	s_waitcnt lgkmcnt(0)
	v_mul_hi_u32 v13, s5, v15
	s_delay_alu instid0(VALU_DEP_1) | instskip(NEXT) | instid1(VALU_DEP_1)
	v_add_nc_u32_e32 v13, v15, v13
	v_lshrrev_b32_e32 v13, s6, v13
	s_delay_alu instid0(VALU_DEP_1) | instskip(NEXT) | instid1(VALU_DEP_1)
	v_mul_lo_u32 v13, v13, s4
	v_sub_nc_u32_e32 v13, v15, v13
	s_delay_alu instid0(VALU_DEP_1) | instskip(SKIP_1) | instid1(VALU_DEP_1)
	v_mad_u64_u32 v[17:18], null, v13, s2, v[10:11]
	v_mad_u64_u32 v[18:19], null, v13, s3, v[11:12]
	v_dual_mov_b32 v10, v17 :: v_dual_mov_b32 v11, v18
.LBB279_94:
	v_cmp_ne_u32_e32 vcc_lo, 1, v14
	v_add_nc_u32_e32 v15, 0x300, v12
	s_cbranch_vccnz .LBB279_100
; %bb.95:
	v_dual_mov_b32 v12, 0 :: v_dual_mov_b32 v13, 0
	s_cmp_lg_u32 s22, 0
	s_mov_b32 s6, 0
	s_cbranch_scc0 .LBB279_104
; %bb.96:
	s_min_u32 s7, s23, 15
	v_mov_b32_e32 v12, 0
	s_add_i32 s7, s7, 1
	s_cmp_eq_u32 s23, 2
	s_mov_b32 s8, 0
	s_cbranch_scc1 .LBB279_101
; %bb.97:
	v_dual_mov_b32 v13, 0 :: v_dual_mov_b32 v12, 0
	v_mov_b32_e32 v17, v15
	s_add_u32 s2, s0, 0xc4
	s_addc_u32 s3, s1, 0
	s_and_b32 s8, s7, 28
	s_mov_b32 s9, 0
	s_mov_b64 s[4:5], s[0:1]
.LBB279_98:                             ; =>This Inner Loop Header: Depth=1
	s_clause 0x1
	s_load_b256 s[12:19], s[4:5], 0x4
	s_load_b128 s[36:39], s[4:5], 0x24
	s_load_b256 s[24:31], s[2:3], 0x0
	s_add_u32 s4, s4, 48
	s_addc_u32 s5, s5, 0
	s_add_i32 s9, s9, 4
	s_add_u32 s2, s2, 32
	s_addc_u32 s3, s3, 0
	s_cmp_lg_u32 s8, s9
	s_waitcnt lgkmcnt(0)
	v_mul_hi_u32 v18, s13, v17
	s_delay_alu instid0(VALU_DEP_1) | instskip(NEXT) | instid1(VALU_DEP_1)
	v_add_nc_u32_e32 v18, v17, v18
	v_lshrrev_b32_e32 v18, s14, v18
	s_delay_alu instid0(VALU_DEP_1) | instskip(SKIP_1) | instid1(VALU_DEP_2)
	v_mul_hi_u32 v19, s16, v18
	v_mul_lo_u32 v21, v18, s12
	v_add_nc_u32_e32 v19, v18, v19
	s_delay_alu instid0(VALU_DEP_2) | instskip(NEXT) | instid1(VALU_DEP_2)
	v_sub_nc_u32_e32 v17, v17, v21
	v_lshrrev_b32_e32 v19, s17, v19
	s_delay_alu instid0(VALU_DEP_2) | instskip(SKIP_1) | instid1(VALU_DEP_3)
	v_mul_lo_u32 v21, v17, s24
	v_mul_lo_u32 v23, v17, s25
	v_mul_hi_u32 v20, s19, v19
	s_delay_alu instid0(VALU_DEP_1) | instskip(NEXT) | instid1(VALU_DEP_1)
	v_add_nc_u32_e32 v20, v19, v20
	v_lshrrev_b32_e32 v20, s36, v20
	s_delay_alu instid0(VALU_DEP_1) | instskip(SKIP_1) | instid1(VALU_DEP_2)
	v_mul_hi_u32 v22, s38, v20
	v_mul_lo_u32 v24, v20, s18
	v_add_nc_u32_e32 v17, v20, v22
	v_mul_lo_u32 v22, v19, s15
	s_delay_alu instid0(VALU_DEP_3) | instskip(NEXT) | instid1(VALU_DEP_3)
	v_sub_nc_u32_e32 v19, v19, v24
	v_lshrrev_b32_e32 v17, s39, v17
	s_delay_alu instid0(VALU_DEP_2) | instskip(SKIP_2) | instid1(VALU_DEP_4)
	v_mul_lo_u32 v24, v19, s28
	v_mul_lo_u32 v19, v19, s29
	v_sub_nc_u32_e32 v18, v18, v22
	v_mul_lo_u32 v25, v17, s37
	s_delay_alu instid0(VALU_DEP_2) | instskip(SKIP_1) | instid1(VALU_DEP_3)
	v_mul_lo_u32 v22, v18, s26
	v_mul_lo_u32 v18, v18, s27
	v_sub_nc_u32_e32 v20, v20, v25
	s_delay_alu instid0(VALU_DEP_3) | instskip(NEXT) | instid1(VALU_DEP_2)
	v_add3_u32 v12, v21, v12, v22
	v_mul_lo_u32 v25, v20, s30
	v_mul_lo_u32 v20, v20, s31
	v_add3_u32 v13, v23, v13, v18
	s_delay_alu instid0(VALU_DEP_3) | instskip(NEXT) | instid1(VALU_DEP_2)
	v_add3_u32 v12, v24, v12, v25
	v_add3_u32 v13, v19, v13, v20
	s_cbranch_scc1 .LBB279_98
; %bb.99:
	s_and_b32 s7, s7, 3
	s_delay_alu instid0(SALU_CYCLE_1)
	s_cmp_eq_u32 s7, 0
	s_cbranch_scc0 .LBB279_102
	s_branch .LBB279_104
.LBB279_100:
	s_mov_b32 s6, -1
                                        ; implicit-def: $vgpr12
                                        ; implicit-def: $vgpr13
	s_branch .LBB279_104
.LBB279_101:
	v_mov_b32_e32 v17, v15
	v_mov_b32_e32 v13, 0
	s_and_b32 s7, s7, 3
	s_delay_alu instid0(SALU_CYCLE_1)
	s_cmp_eq_u32 s7, 0
	s_cbranch_scc1 .LBB279_104
.LBB279_102:
	s_lshl_b32 s2, s8, 3
	s_mul_i32 s4, s8, 12
	s_add_u32 s2, s2, s0
	s_addc_u32 s3, 0, s1
	s_add_u32 s2, s2, 0xc4
	s_addc_u32 s3, s3, 0
	;; [unrolled: 2-line block ×3, first 2 shown]
	.p2align	6
.LBB279_103:                            ; =>This Inner Loop Header: Depth=1
	s_clause 0x1
	s_load_b64 s[8:9], s[4:5], 0x4
	s_load_b32 s12, s[4:5], 0xc
	s_load_b64 s[10:11], s[2:3], 0x0
	s_add_u32 s4, s4, 12
	s_addc_u32 s5, s5, 0
	s_add_u32 s2, s2, 8
	s_addc_u32 s3, s3, 0
	s_add_i32 s7, s7, -1
	s_delay_alu instid0(SALU_CYCLE_1) | instskip(SKIP_2) | instid1(VALU_DEP_1)
	s_cmp_lg_u32 s7, 0
	s_waitcnt lgkmcnt(0)
	v_mul_hi_u32 v18, s9, v17
	v_add_nc_u32_e32 v18, v17, v18
	s_delay_alu instid0(VALU_DEP_1) | instskip(NEXT) | instid1(VALU_DEP_1)
	v_lshrrev_b32_e32 v21, s12, v18
	v_mul_lo_u32 v18, v21, s8
	s_delay_alu instid0(VALU_DEP_1) | instskip(NEXT) | instid1(VALU_DEP_1)
	v_sub_nc_u32_e32 v17, v17, v18
	v_mad_u64_u32 v[18:19], null, v17, s10, v[12:13]
	v_mad_u64_u32 v[19:20], null, v17, s11, v[13:14]
	s_delay_alu instid0(VALU_DEP_2) | instskip(NEXT) | instid1(VALU_DEP_2)
	v_dual_mov_b32 v17, v21 :: v_dual_mov_b32 v12, v18
	v_mov_b32_e32 v13, v19
	s_cbranch_scc1 .LBB279_103
.LBB279_104:
	s_and_not1_b32 vcc_lo, exec_lo, s6
	s_cbranch_vccnz .LBB279_107
; %bb.105:
	s_clause 0x1
	s_load_b128 s[4:7], s[0:1], 0x4
	s_load_b64 s[2:3], s[0:1], 0xc4
	s_cmp_lt_u32 s22, 2
	s_waitcnt lgkmcnt(0)
	v_mul_hi_u32 v12, s5, v15
	s_delay_alu instid0(VALU_DEP_1) | instskip(NEXT) | instid1(VALU_DEP_1)
	v_add_nc_u32_e32 v12, v15, v12
	v_lshrrev_b32_e32 v17, s6, v12
	s_delay_alu instid0(VALU_DEP_1) | instskip(NEXT) | instid1(VALU_DEP_1)
	v_mul_lo_u32 v12, v17, s4
	v_sub_nc_u32_e32 v13, v15, v12
	s_delay_alu instid0(VALU_DEP_1)
	v_mul_lo_u32 v12, v13, s2
	v_mul_lo_u32 v13, v13, s3
	s_cbranch_scc1 .LBB279_107
; %bb.106:
	s_clause 0x1
	s_load_b128 s[4:7], s[0:1], 0x10
	s_load_b64 s[2:3], s[0:1], 0xcc
	s_waitcnt lgkmcnt(0)
	v_mul_hi_u32 v15, s5, v17
	s_delay_alu instid0(VALU_DEP_1) | instskip(NEXT) | instid1(VALU_DEP_1)
	v_add_nc_u32_e32 v15, v17, v15
	v_lshrrev_b32_e32 v15, s6, v15
	s_delay_alu instid0(VALU_DEP_1) | instskip(NEXT) | instid1(VALU_DEP_1)
	v_mul_lo_u32 v15, v15, s4
	v_sub_nc_u32_e32 v15, v17, v15
	s_delay_alu instid0(VALU_DEP_1) | instskip(SKIP_1) | instid1(VALU_DEP_1)
	v_mad_u64_u32 v[17:18], null, v15, s2, v[12:13]
	v_mad_u64_u32 v[18:19], null, v15, s3, v[13:14]
	v_dual_mov_b32 v12, v17 :: v_dual_mov_b32 v13, v18
.LBB279_107:
	v_cmp_ne_u32_e32 vcc_lo, 1, v14
	s_cbranch_vccnz .LBB279_113
; %bb.108:
	v_dual_mov_b32 v14, 0 :: v_dual_mov_b32 v15, 0
	s_cmp_lg_u32 s22, 0
	s_mov_b32 s6, 0
	s_cbranch_scc0 .LBB279_117
; %bb.109:
	s_min_u32 s7, s23, 15
	v_mov_b32_e32 v14, 0
	s_add_i32 s7, s7, 1
	s_cmp_eq_u32 s23, 2
	s_mov_b32 s8, 0
	s_cbranch_scc1 .LBB279_114
; %bb.110:
	v_dual_mov_b32 v15, 0 :: v_dual_mov_b32 v14, 0
	v_mov_b32_e32 v17, v16
	s_add_u32 s2, s0, 0xc4
	s_addc_u32 s3, s1, 0
	s_and_b32 s8, s7, 28
	s_mov_b32 s9, 0
	s_mov_b64 s[4:5], s[0:1]
.LBB279_111:                            ; =>This Inner Loop Header: Depth=1
	s_clause 0x1
	s_load_b256 s[12:19], s[4:5], 0x4
	s_load_b128 s[36:39], s[4:5], 0x24
	s_load_b256 s[24:31], s[2:3], 0x0
	s_add_u32 s4, s4, 48
	s_addc_u32 s5, s5, 0
	s_add_i32 s9, s9, 4
	s_add_u32 s2, s2, 32
	s_addc_u32 s3, s3, 0
	s_cmp_lg_u32 s8, s9
	s_waitcnt lgkmcnt(0)
	v_mul_hi_u32 v18, s13, v17
	s_delay_alu instid0(VALU_DEP_1) | instskip(NEXT) | instid1(VALU_DEP_1)
	v_add_nc_u32_e32 v18, v17, v18
	v_lshrrev_b32_e32 v18, s14, v18
	s_delay_alu instid0(VALU_DEP_1) | instskip(SKIP_1) | instid1(VALU_DEP_2)
	v_mul_hi_u32 v19, s16, v18
	v_mul_lo_u32 v21, v18, s12
	v_add_nc_u32_e32 v19, v18, v19
	s_delay_alu instid0(VALU_DEP_2) | instskip(NEXT) | instid1(VALU_DEP_2)
	v_sub_nc_u32_e32 v17, v17, v21
	v_lshrrev_b32_e32 v19, s17, v19
	s_delay_alu instid0(VALU_DEP_2) | instskip(SKIP_1) | instid1(VALU_DEP_3)
	v_mul_lo_u32 v21, v17, s24
	v_mul_lo_u32 v23, v17, s25
	v_mul_hi_u32 v20, s19, v19
	s_delay_alu instid0(VALU_DEP_1) | instskip(NEXT) | instid1(VALU_DEP_1)
	v_add_nc_u32_e32 v20, v19, v20
	v_lshrrev_b32_e32 v20, s36, v20
	s_delay_alu instid0(VALU_DEP_1) | instskip(SKIP_1) | instid1(VALU_DEP_2)
	v_mul_hi_u32 v22, s38, v20
	v_mul_lo_u32 v24, v20, s18
	v_add_nc_u32_e32 v17, v20, v22
	v_mul_lo_u32 v22, v19, s15
	s_delay_alu instid0(VALU_DEP_3) | instskip(NEXT) | instid1(VALU_DEP_3)
	v_sub_nc_u32_e32 v19, v19, v24
	v_lshrrev_b32_e32 v17, s39, v17
	s_delay_alu instid0(VALU_DEP_2) | instskip(SKIP_2) | instid1(VALU_DEP_4)
	v_mul_lo_u32 v24, v19, s28
	v_mul_lo_u32 v19, v19, s29
	v_sub_nc_u32_e32 v18, v18, v22
	v_mul_lo_u32 v25, v17, s37
	s_delay_alu instid0(VALU_DEP_2) | instskip(SKIP_1) | instid1(VALU_DEP_3)
	v_mul_lo_u32 v22, v18, s26
	v_mul_lo_u32 v18, v18, s27
	v_sub_nc_u32_e32 v20, v20, v25
	s_delay_alu instid0(VALU_DEP_3) | instskip(NEXT) | instid1(VALU_DEP_2)
	v_add3_u32 v14, v21, v14, v22
	v_mul_lo_u32 v25, v20, s30
	v_mul_lo_u32 v20, v20, s31
	v_add3_u32 v15, v23, v15, v18
	s_delay_alu instid0(VALU_DEP_3) | instskip(NEXT) | instid1(VALU_DEP_2)
	v_add3_u32 v14, v24, v14, v25
	v_add3_u32 v15, v19, v15, v20
	s_cbranch_scc1 .LBB279_111
; %bb.112:
	s_and_b32 s7, s7, 3
	s_delay_alu instid0(SALU_CYCLE_1)
	s_cmp_eq_u32 s7, 0
	s_cbranch_scc0 .LBB279_115
	s_branch .LBB279_117
.LBB279_113:
	s_mov_b32 s6, -1
                                        ; implicit-def: $vgpr14
                                        ; implicit-def: $vgpr15
	s_branch .LBB279_117
.LBB279_114:
	v_mov_b32_e32 v17, v16
	v_mov_b32_e32 v15, 0
	s_and_b32 s7, s7, 3
	s_delay_alu instid0(SALU_CYCLE_1)
	s_cmp_eq_u32 s7, 0
	s_cbranch_scc1 .LBB279_117
.LBB279_115:
	s_lshl_b32 s2, s8, 3
	s_mul_i32 s4, s8, 12
	s_add_u32 s2, s2, s0
	s_addc_u32 s3, 0, s1
	s_add_u32 s2, s2, 0xc4
	s_addc_u32 s3, s3, 0
	;; [unrolled: 2-line block ×3, first 2 shown]
	.p2align	6
.LBB279_116:                            ; =>This Inner Loop Header: Depth=1
	s_clause 0x1
	s_load_b64 s[8:9], s[4:5], 0x4
	s_load_b32 s12, s[4:5], 0xc
	s_load_b64 s[10:11], s[2:3], 0x0
	s_add_u32 s4, s4, 12
	s_addc_u32 s5, s5, 0
	s_add_u32 s2, s2, 8
	s_addc_u32 s3, s3, 0
	s_add_i32 s7, s7, -1
	s_delay_alu instid0(SALU_CYCLE_1) | instskip(SKIP_2) | instid1(VALU_DEP_1)
	s_cmp_lg_u32 s7, 0
	s_waitcnt lgkmcnt(0)
	v_mul_hi_u32 v18, s9, v17
	v_add_nc_u32_e32 v18, v17, v18
	s_delay_alu instid0(VALU_DEP_1) | instskip(NEXT) | instid1(VALU_DEP_1)
	v_lshrrev_b32_e32 v21, s12, v18
	v_mul_lo_u32 v18, v21, s8
	s_delay_alu instid0(VALU_DEP_1) | instskip(NEXT) | instid1(VALU_DEP_1)
	v_sub_nc_u32_e32 v17, v17, v18
	v_mad_u64_u32 v[18:19], null, v17, s10, v[14:15]
	v_mad_u64_u32 v[19:20], null, v17, s11, v[15:16]
	s_delay_alu instid0(VALU_DEP_2) | instskip(NEXT) | instid1(VALU_DEP_2)
	v_dual_mov_b32 v17, v21 :: v_dual_mov_b32 v14, v18
	v_mov_b32_e32 v15, v19
	s_cbranch_scc1 .LBB279_116
.LBB279_117:
	s_and_not1_b32 vcc_lo, exec_lo, s6
	s_cbranch_vccnz .LBB279_120
; %bb.118:
	s_clause 0x1
	s_load_b128 s[4:7], s[0:1], 0x4
	s_load_b64 s[2:3], s[0:1], 0xc4
	s_cmp_lt_u32 s22, 2
	s_waitcnt lgkmcnt(0)
	v_mul_hi_u32 v14, s5, v16
	s_delay_alu instid0(VALU_DEP_1) | instskip(NEXT) | instid1(VALU_DEP_1)
	v_add_nc_u32_e32 v14, v16, v14
	v_lshrrev_b32_e32 v17, s6, v14
	s_delay_alu instid0(VALU_DEP_1) | instskip(NEXT) | instid1(VALU_DEP_1)
	v_mul_lo_u32 v14, v17, s4
	v_sub_nc_u32_e32 v15, v16, v14
	s_delay_alu instid0(VALU_DEP_1)
	v_mul_lo_u32 v14, v15, s2
	v_mul_lo_u32 v15, v15, s3
	s_cbranch_scc1 .LBB279_120
; %bb.119:
	s_clause 0x1
	s_load_b128 s[4:7], s[0:1], 0x10
	s_load_b64 s[2:3], s[0:1], 0xcc
	s_waitcnt lgkmcnt(0)
	v_mul_hi_u32 v16, s5, v17
	s_delay_alu instid0(VALU_DEP_1) | instskip(NEXT) | instid1(VALU_DEP_1)
	v_add_nc_u32_e32 v16, v17, v16
	v_lshrrev_b32_e32 v16, s6, v16
	s_delay_alu instid0(VALU_DEP_1) | instskip(NEXT) | instid1(VALU_DEP_1)
	v_mul_lo_u32 v16, v16, s4
	v_sub_nc_u32_e32 v19, v17, v16
	s_delay_alu instid0(VALU_DEP_1) | instskip(NEXT) | instid1(VALU_DEP_1)
	v_mad_u64_u32 v[16:17], null, v19, s2, v[14:15]
	v_mad_u64_u32 v[17:18], null, v19, s3, v[15:16]
	s_delay_alu instid0(VALU_DEP_1)
	v_dual_mov_b32 v14, v16 :: v_dual_mov_b32 v15, v17
.LBB279_120:
	s_clause 0x1
	s_load_b128 s[4:7], s[0:1], 0x148
	s_load_b32 s0, s[0:1], 0x158
	s_waitcnt lgkmcnt(0)
	s_clause 0x7
	global_load_u8 v1, v1, s[6:7]
	global_load_u8 v3, v3, s[6:7]
	;; [unrolled: 1-line block ×8, first 2 shown]
	v_and_b32_e64 v16, 0xff, s0
	v_lshrrev_b16 v17, 8, s0
	s_waitcnt vmcnt(7)
	s_delay_alu instid0(VALU_DEP_2)
	v_max_u16 v1, v1, v16
	s_waitcnt vmcnt(6)
	v_max_u16 v3, v3, v16
	s_waitcnt vmcnt(5)
	;; [unrolled: 2-line block ×7, first 2 shown]
	v_max_u16 v15, v15, v16
	v_min_u16 v1, v1, v17
	v_min_u16 v3, v3, v17
	;; [unrolled: 1-line block ×8, first 2 shown]
	s_clause 0x7
	global_store_b8 v0, v1, s[4:5]
	global_store_b8 v2, v3, s[4:5]
	;; [unrolled: 1-line block ×8, first 2 shown]
	s_nop 0
	s_sendmsg sendmsg(MSG_DEALLOC_VGPRS)
	s_endpgm
.LBB279_121:
	v_mov_b32_e32 v3, v12
	v_mov_b32_e32 v1, 0
.LBB279_122:
	s_and_b32 s35, s35, 3
	s_delay_alu instid0(SALU_CYCLE_1)
	s_cmp_eq_u32 s35, 0
	s_cbranch_scc1 .LBB279_125
; %bb.123:
	s_lshl_b32 s18, s34, 3
	s_mul_i32 s20, s34, 12
	s_add_u32 s18, s18, s0
	s_addc_u32 s19, s1, 0
	s_add_u32 s18, s18, 0xc4
	s_addc_u32 s19, s19, 0
	;; [unrolled: 2-line block ×3, first 2 shown]
	.p2align	6
.LBB279_124:                            ; =>This Inner Loop Header: Depth=1
	s_clause 0x1
	s_load_b64 s[36:37], s[20:21], 0x4
	s_load_b32 s34, s[20:21], 0xc
	s_load_b64 s[38:39], s[18:19], 0x0
	s_add_u32 s20, s20, 12
	s_addc_u32 s21, s21, 0
	s_add_u32 s18, s18, 8
	s_addc_u32 s19, s19, 0
	s_add_i32 s35, s35, -1
	s_delay_alu instid0(SALU_CYCLE_1) | instskip(SKIP_2) | instid1(VALU_DEP_1)
	s_cmp_lg_u32 s35, 0
	s_waitcnt lgkmcnt(0)
	v_mul_hi_u32 v4, s37, v3
	v_add_nc_u32_e32 v4, v3, v4
	s_delay_alu instid0(VALU_DEP_1) | instskip(NEXT) | instid1(VALU_DEP_1)
	v_lshrrev_b32_e32 v7, s34, v4
	v_mul_lo_u32 v4, v7, s36
	s_delay_alu instid0(VALU_DEP_1) | instskip(NEXT) | instid1(VALU_DEP_1)
	v_sub_nc_u32_e32 v3, v3, v4
	v_mad_u64_u32 v[4:5], null, v3, s38, v[0:1]
	v_mad_u64_u32 v[5:6], null, v3, s39, v[1:2]
	s_delay_alu instid0(VALU_DEP_2) | instskip(NEXT) | instid1(VALU_DEP_2)
	v_dual_mov_b32 v3, v7 :: v_dual_mov_b32 v0, v4
	v_mov_b32_e32 v1, v5
	s_cbranch_scc1 .LBB279_124
.LBB279_125:
	s_and_not1_b32 vcc_lo, exec_lo, s33
	s_cbranch_vccnz .LBB279_128
; %bb.126:
	v_mul_hi_u32 v0, s13, v12
	s_and_not1_b32 vcc_lo, exec_lo, s27
	s_delay_alu instid0(VALU_DEP_1) | instskip(NEXT) | instid1(VALU_DEP_1)
	v_add_nc_u32_e32 v0, v12, v0
	v_lshrrev_b32_e32 v3, s14, v0
	s_delay_alu instid0(VALU_DEP_1) | instskip(NEXT) | instid1(VALU_DEP_1)
	v_mul_lo_u32 v0, v3, s12
	v_sub_nc_u32_e32 v1, v12, v0
	s_delay_alu instid0(VALU_DEP_1)
	v_mul_lo_u32 v0, v1, s8
	v_mul_lo_u32 v1, v1, s9
	s_cbranch_vccnz .LBB279_128
; %bb.127:
	v_mul_hi_u32 v4, s2, v3
	s_delay_alu instid0(VALU_DEP_1) | instskip(NEXT) | instid1(VALU_DEP_1)
	v_add_nc_u32_e32 v4, v3, v4
	v_lshrrev_b32_e32 v4, s3, v4
	s_delay_alu instid0(VALU_DEP_1) | instskip(NEXT) | instid1(VALU_DEP_1)
	v_mul_lo_u32 v4, v4, s15
	v_sub_nc_u32_e32 v6, v3, v4
	s_delay_alu instid0(VALU_DEP_1) | instskip(SKIP_1) | instid1(VALU_DEP_1)
	v_mad_u64_u32 v[3:4], null, v6, s10, v[0:1]
	v_mad_u64_u32 v[4:5], null, v6, s11, v[1:2]
	v_dual_mov_b32 v0, v3 :: v_dual_mov_b32 v1, v4
.LBB279_128:
	global_load_u8 v1, v1, s[6:7]
	v_and_b32_e64 v3, 0xff, s26
	v_add_nc_u32_e32 v12, 0x80, v12
	s_waitcnt vmcnt(0)
	s_delay_alu instid0(VALU_DEP_2) | instskip(NEXT) | instid1(VALU_DEP_1)
	v_max_u16 v1, v1, v3
	v_min_u16 v1, v1, v2
	global_store_b8 v0, v1, s[4:5]
	s_or_b32 exec_lo, exec_lo, s31
	s_delay_alu instid0(SALU_CYCLE_1)
	s_mov_b32 s31, exec_lo
	v_cmpx_gt_i32_e64 s28, v12
	s_cbranch_execnz .LBB279_15
.LBB279_129:
	s_or_b32 exec_lo, exec_lo, s31
	s_delay_alu instid0(SALU_CYCLE_1)
	s_mov_b32 s31, exec_lo
	v_cmpx_gt_i32_e64 s28, v12
	s_cbranch_execz .LBB279_144
.LBB279_130:
	s_and_not1_b32 vcc_lo, exec_lo, s24
	s_cbranch_vccnz .LBB279_135
; %bb.131:
	v_dual_mov_b32 v0, 0 :: v_dual_mov_b32 v1, 0
	s_and_not1_b32 vcc_lo, exec_lo, s30
	s_mov_b32 s33, 0
	s_cbranch_vccnz .LBB279_155
; %bb.132:
	v_mov_b32_e32 v0, 0
	s_add_i32 s35, s29, 1
	s_cmp_eq_u32 s23, 2
	s_mov_b32 s34, 0
	s_cbranch_scc1 .LBB279_151
; %bb.133:
	v_dual_mov_b32 v1, 0 :: v_dual_mov_b32 v0, 0
	v_mov_b32_e32 v3, v12
	s_and_b32 s34, s35, 28
	s_mov_b32 s36, 0
	s_mov_b64 s[18:19], s[16:17]
	s_mov_b64 s[20:21], s[0:1]
.LBB279_134:                            ; =>This Inner Loop Header: Depth=1
	s_clause 0x1
	s_load_b256 s[40:47], s[20:21], 0x4
	s_load_b128 s[56:59], s[20:21], 0x24
	s_load_b256 s[48:55], s[18:19], 0x0
	s_add_u32 s20, s20, 48
	s_addc_u32 s21, s21, 0
	s_add_i32 s36, s36, 4
	s_add_u32 s18, s18, 32
	s_addc_u32 s19, s19, 0
	s_cmp_eq_u32 s34, s36
	s_waitcnt lgkmcnt(0)
	v_mul_hi_u32 v4, s41, v3
	s_delay_alu instid0(VALU_DEP_1) | instskip(NEXT) | instid1(VALU_DEP_1)
	v_add_nc_u32_e32 v4, v3, v4
	v_lshrrev_b32_e32 v4, s42, v4
	s_delay_alu instid0(VALU_DEP_1) | instskip(SKIP_1) | instid1(VALU_DEP_2)
	v_mul_hi_u32 v5, s44, v4
	v_mul_lo_u32 v7, v4, s40
	v_add_nc_u32_e32 v5, v4, v5
	s_delay_alu instid0(VALU_DEP_2) | instskip(NEXT) | instid1(VALU_DEP_2)
	v_sub_nc_u32_e32 v3, v3, v7
	v_lshrrev_b32_e32 v5, s45, v5
	s_delay_alu instid0(VALU_DEP_2) | instskip(SKIP_1) | instid1(VALU_DEP_3)
	v_mul_lo_u32 v7, v3, s48
	v_mul_lo_u32 v9, v3, s49
	v_mul_hi_u32 v6, s47, v5
	s_delay_alu instid0(VALU_DEP_1) | instskip(NEXT) | instid1(VALU_DEP_1)
	v_add_nc_u32_e32 v6, v5, v6
	v_lshrrev_b32_e32 v6, s56, v6
	s_delay_alu instid0(VALU_DEP_1) | instskip(SKIP_1) | instid1(VALU_DEP_2)
	v_mul_hi_u32 v8, s58, v6
	v_mul_lo_u32 v10, v6, s46
	v_add_nc_u32_e32 v3, v6, v8
	v_mul_lo_u32 v8, v5, s43
	s_delay_alu instid0(VALU_DEP_3) | instskip(NEXT) | instid1(VALU_DEP_3)
	v_sub_nc_u32_e32 v5, v5, v10
	v_lshrrev_b32_e32 v3, s59, v3
	s_delay_alu instid0(VALU_DEP_2) | instskip(SKIP_2) | instid1(VALU_DEP_4)
	v_mul_lo_u32 v10, v5, s52
	v_mul_lo_u32 v5, v5, s53
	v_sub_nc_u32_e32 v4, v4, v8
	v_mul_lo_u32 v11, v3, s57
	s_delay_alu instid0(VALU_DEP_2) | instskip(SKIP_1) | instid1(VALU_DEP_3)
	v_mul_lo_u32 v8, v4, s50
	v_mul_lo_u32 v4, v4, s51
	v_sub_nc_u32_e32 v6, v6, v11
	s_delay_alu instid0(VALU_DEP_3) | instskip(NEXT) | instid1(VALU_DEP_2)
	v_add3_u32 v0, v7, v0, v8
	v_mul_lo_u32 v11, v6, s54
	v_mul_lo_u32 v6, v6, s55
	v_add3_u32 v1, v9, v1, v4
	s_delay_alu instid0(VALU_DEP_3) | instskip(NEXT) | instid1(VALU_DEP_2)
	v_add3_u32 v0, v10, v0, v11
	v_add3_u32 v1, v5, v1, v6
	s_cbranch_scc0 .LBB279_134
	s_branch .LBB279_152
.LBB279_135:
	s_mov_b32 s33, -1
                                        ; implicit-def: $vgpr0
                                        ; implicit-def: $vgpr1
	s_branch .LBB279_155
.LBB279_136:
	v_mov_b32_e32 v3, v12
	v_mov_b32_e32 v1, 0
.LBB279_137:
	s_and_b32 s35, s35, 3
	s_delay_alu instid0(SALU_CYCLE_1)
	s_cmp_eq_u32 s35, 0
	s_cbranch_scc1 .LBB279_140
; %bb.138:
	s_lshl_b32 s18, s34, 3
	s_mul_i32 s20, s34, 12
	s_add_u32 s18, s18, s0
	s_addc_u32 s19, s1, 0
	s_add_u32 s18, s18, 0xc4
	s_addc_u32 s19, s19, 0
	;; [unrolled: 2-line block ×3, first 2 shown]
	.p2align	6
.LBB279_139:                            ; =>This Inner Loop Header: Depth=1
	s_clause 0x1
	s_load_b64 s[36:37], s[20:21], 0x4
	s_load_b32 s34, s[20:21], 0xc
	s_load_b64 s[38:39], s[18:19], 0x0
	s_add_u32 s20, s20, 12
	s_addc_u32 s21, s21, 0
	s_add_u32 s18, s18, 8
	s_addc_u32 s19, s19, 0
	s_add_i32 s35, s35, -1
	s_delay_alu instid0(SALU_CYCLE_1) | instskip(SKIP_2) | instid1(VALU_DEP_1)
	s_cmp_lg_u32 s35, 0
	s_waitcnt lgkmcnt(0)
	v_mul_hi_u32 v4, s37, v3
	v_add_nc_u32_e32 v4, v3, v4
	s_delay_alu instid0(VALU_DEP_1) | instskip(NEXT) | instid1(VALU_DEP_1)
	v_lshrrev_b32_e32 v7, s34, v4
	v_mul_lo_u32 v4, v7, s36
	s_delay_alu instid0(VALU_DEP_1) | instskip(NEXT) | instid1(VALU_DEP_1)
	v_sub_nc_u32_e32 v3, v3, v4
	v_mad_u64_u32 v[4:5], null, v3, s38, v[0:1]
	v_mad_u64_u32 v[5:6], null, v3, s39, v[1:2]
	s_delay_alu instid0(VALU_DEP_2) | instskip(NEXT) | instid1(VALU_DEP_2)
	v_dual_mov_b32 v3, v7 :: v_dual_mov_b32 v0, v4
	v_mov_b32_e32 v1, v5
	s_cbranch_scc1 .LBB279_139
.LBB279_140:
	s_and_not1_b32 vcc_lo, exec_lo, s33
	s_cbranch_vccnz .LBB279_143
; %bb.141:
	v_mul_hi_u32 v0, s13, v12
	s_and_not1_b32 vcc_lo, exec_lo, s27
	s_delay_alu instid0(VALU_DEP_1) | instskip(NEXT) | instid1(VALU_DEP_1)
	v_add_nc_u32_e32 v0, v12, v0
	v_lshrrev_b32_e32 v3, s14, v0
	s_delay_alu instid0(VALU_DEP_1) | instskip(NEXT) | instid1(VALU_DEP_1)
	v_mul_lo_u32 v0, v3, s12
	v_sub_nc_u32_e32 v1, v12, v0
	s_delay_alu instid0(VALU_DEP_1)
	v_mul_lo_u32 v0, v1, s8
	v_mul_lo_u32 v1, v1, s9
	s_cbranch_vccnz .LBB279_143
; %bb.142:
	v_mul_hi_u32 v4, s2, v3
	s_delay_alu instid0(VALU_DEP_1) | instskip(NEXT) | instid1(VALU_DEP_1)
	v_add_nc_u32_e32 v4, v3, v4
	v_lshrrev_b32_e32 v4, s3, v4
	s_delay_alu instid0(VALU_DEP_1) | instskip(NEXT) | instid1(VALU_DEP_1)
	v_mul_lo_u32 v4, v4, s15
	v_sub_nc_u32_e32 v6, v3, v4
	s_delay_alu instid0(VALU_DEP_1) | instskip(SKIP_1) | instid1(VALU_DEP_1)
	v_mad_u64_u32 v[3:4], null, v6, s10, v[0:1]
	v_mad_u64_u32 v[4:5], null, v6, s11, v[1:2]
	v_dual_mov_b32 v0, v3 :: v_dual_mov_b32 v1, v4
.LBB279_143:
	global_load_u8 v1, v1, s[6:7]
	v_and_b32_e64 v3, 0xff, s26
	v_add_nc_u32_e32 v12, 0x80, v12
	s_waitcnt vmcnt(0)
	s_delay_alu instid0(VALU_DEP_2) | instskip(NEXT) | instid1(VALU_DEP_1)
	v_max_u16 v1, v1, v3
	v_min_u16 v1, v1, v2
	global_store_b8 v0, v1, s[4:5]
	s_or_b32 exec_lo, exec_lo, s31
	s_delay_alu instid0(SALU_CYCLE_1)
	s_mov_b32 s31, exec_lo
	v_cmpx_gt_i32_e64 s28, v12
	s_cbranch_execnz .LBB279_130
.LBB279_144:
	s_or_b32 exec_lo, exec_lo, s31
	s_delay_alu instid0(SALU_CYCLE_1)
	s_mov_b32 s31, exec_lo
	v_cmpx_gt_i32_e64 s28, v12
	s_cbranch_execz .LBB279_159
.LBB279_145:
	s_and_not1_b32 vcc_lo, exec_lo, s24
	s_cbranch_vccnz .LBB279_150
; %bb.146:
	v_dual_mov_b32 v0, 0 :: v_dual_mov_b32 v1, 0
	s_and_not1_b32 vcc_lo, exec_lo, s30
	s_mov_b32 s33, 0
	s_cbranch_vccnz .LBB279_170
; %bb.147:
	v_mov_b32_e32 v0, 0
	s_add_i32 s35, s29, 1
	s_cmp_eq_u32 s23, 2
	s_mov_b32 s34, 0
	s_cbranch_scc1 .LBB279_166
; %bb.148:
	v_dual_mov_b32 v1, 0 :: v_dual_mov_b32 v0, 0
	v_mov_b32_e32 v3, v12
	s_and_b32 s34, s35, 28
	s_mov_b32 s36, 0
	s_mov_b64 s[18:19], s[16:17]
	s_mov_b64 s[20:21], s[0:1]
.LBB279_149:                            ; =>This Inner Loop Header: Depth=1
	s_clause 0x1
	s_load_b256 s[40:47], s[20:21], 0x4
	s_load_b128 s[56:59], s[20:21], 0x24
	s_load_b256 s[48:55], s[18:19], 0x0
	s_add_u32 s20, s20, 48
	s_addc_u32 s21, s21, 0
	s_add_i32 s36, s36, 4
	s_add_u32 s18, s18, 32
	s_addc_u32 s19, s19, 0
	s_cmp_eq_u32 s34, s36
	s_waitcnt lgkmcnt(0)
	v_mul_hi_u32 v4, s41, v3
	s_delay_alu instid0(VALU_DEP_1) | instskip(NEXT) | instid1(VALU_DEP_1)
	v_add_nc_u32_e32 v4, v3, v4
	v_lshrrev_b32_e32 v4, s42, v4
	s_delay_alu instid0(VALU_DEP_1) | instskip(SKIP_1) | instid1(VALU_DEP_2)
	v_mul_hi_u32 v5, s44, v4
	v_mul_lo_u32 v7, v4, s40
	v_add_nc_u32_e32 v5, v4, v5
	s_delay_alu instid0(VALU_DEP_2) | instskip(NEXT) | instid1(VALU_DEP_2)
	v_sub_nc_u32_e32 v3, v3, v7
	v_lshrrev_b32_e32 v5, s45, v5
	s_delay_alu instid0(VALU_DEP_2) | instskip(SKIP_1) | instid1(VALU_DEP_3)
	v_mul_lo_u32 v7, v3, s48
	v_mul_lo_u32 v9, v3, s49
	v_mul_hi_u32 v6, s47, v5
	s_delay_alu instid0(VALU_DEP_1) | instskip(NEXT) | instid1(VALU_DEP_1)
	v_add_nc_u32_e32 v6, v5, v6
	v_lshrrev_b32_e32 v6, s56, v6
	s_delay_alu instid0(VALU_DEP_1) | instskip(SKIP_1) | instid1(VALU_DEP_2)
	v_mul_hi_u32 v8, s58, v6
	v_mul_lo_u32 v10, v6, s46
	v_add_nc_u32_e32 v3, v6, v8
	v_mul_lo_u32 v8, v5, s43
	s_delay_alu instid0(VALU_DEP_3) | instskip(NEXT) | instid1(VALU_DEP_3)
	v_sub_nc_u32_e32 v5, v5, v10
	v_lshrrev_b32_e32 v3, s59, v3
	s_delay_alu instid0(VALU_DEP_2) | instskip(SKIP_2) | instid1(VALU_DEP_4)
	v_mul_lo_u32 v10, v5, s52
	v_mul_lo_u32 v5, v5, s53
	v_sub_nc_u32_e32 v4, v4, v8
	v_mul_lo_u32 v11, v3, s57
	s_delay_alu instid0(VALU_DEP_2) | instskip(SKIP_1) | instid1(VALU_DEP_3)
	v_mul_lo_u32 v8, v4, s50
	v_mul_lo_u32 v4, v4, s51
	v_sub_nc_u32_e32 v6, v6, v11
	s_delay_alu instid0(VALU_DEP_3) | instskip(NEXT) | instid1(VALU_DEP_2)
	v_add3_u32 v0, v7, v0, v8
	v_mul_lo_u32 v11, v6, s54
	v_mul_lo_u32 v6, v6, s55
	v_add3_u32 v1, v9, v1, v4
	s_delay_alu instid0(VALU_DEP_3) | instskip(NEXT) | instid1(VALU_DEP_2)
	v_add3_u32 v0, v10, v0, v11
	v_add3_u32 v1, v5, v1, v6
	s_cbranch_scc0 .LBB279_149
	s_branch .LBB279_167
.LBB279_150:
	s_mov_b32 s33, -1
                                        ; implicit-def: $vgpr0
                                        ; implicit-def: $vgpr1
	s_branch .LBB279_170
.LBB279_151:
	v_mov_b32_e32 v3, v12
	v_mov_b32_e32 v1, 0
.LBB279_152:
	s_and_b32 s35, s35, 3
	s_delay_alu instid0(SALU_CYCLE_1)
	s_cmp_eq_u32 s35, 0
	s_cbranch_scc1 .LBB279_155
; %bb.153:
	s_lshl_b32 s18, s34, 3
	s_mul_i32 s20, s34, 12
	s_add_u32 s18, s18, s0
	s_addc_u32 s19, s1, 0
	s_add_u32 s18, s18, 0xc4
	s_addc_u32 s19, s19, 0
	;; [unrolled: 2-line block ×3, first 2 shown]
	.p2align	6
.LBB279_154:                            ; =>This Inner Loop Header: Depth=1
	s_clause 0x1
	s_load_b64 s[36:37], s[20:21], 0x4
	s_load_b32 s34, s[20:21], 0xc
	s_load_b64 s[38:39], s[18:19], 0x0
	s_add_u32 s20, s20, 12
	s_addc_u32 s21, s21, 0
	s_add_u32 s18, s18, 8
	s_addc_u32 s19, s19, 0
	s_add_i32 s35, s35, -1
	s_delay_alu instid0(SALU_CYCLE_1) | instskip(SKIP_2) | instid1(VALU_DEP_1)
	s_cmp_lg_u32 s35, 0
	s_waitcnt lgkmcnt(0)
	v_mul_hi_u32 v4, s37, v3
	v_add_nc_u32_e32 v4, v3, v4
	s_delay_alu instid0(VALU_DEP_1) | instskip(NEXT) | instid1(VALU_DEP_1)
	v_lshrrev_b32_e32 v7, s34, v4
	v_mul_lo_u32 v4, v7, s36
	s_delay_alu instid0(VALU_DEP_1) | instskip(NEXT) | instid1(VALU_DEP_1)
	v_sub_nc_u32_e32 v3, v3, v4
	v_mad_u64_u32 v[4:5], null, v3, s38, v[0:1]
	v_mad_u64_u32 v[5:6], null, v3, s39, v[1:2]
	s_delay_alu instid0(VALU_DEP_2) | instskip(NEXT) | instid1(VALU_DEP_2)
	v_dual_mov_b32 v3, v7 :: v_dual_mov_b32 v0, v4
	v_mov_b32_e32 v1, v5
	s_cbranch_scc1 .LBB279_154
.LBB279_155:
	s_and_not1_b32 vcc_lo, exec_lo, s33
	s_cbranch_vccnz .LBB279_158
; %bb.156:
	v_mul_hi_u32 v0, s13, v12
	s_and_not1_b32 vcc_lo, exec_lo, s27
	s_delay_alu instid0(VALU_DEP_1) | instskip(NEXT) | instid1(VALU_DEP_1)
	v_add_nc_u32_e32 v0, v12, v0
	v_lshrrev_b32_e32 v3, s14, v0
	s_delay_alu instid0(VALU_DEP_1) | instskip(NEXT) | instid1(VALU_DEP_1)
	v_mul_lo_u32 v0, v3, s12
	v_sub_nc_u32_e32 v1, v12, v0
	s_delay_alu instid0(VALU_DEP_1)
	v_mul_lo_u32 v0, v1, s8
	v_mul_lo_u32 v1, v1, s9
	s_cbranch_vccnz .LBB279_158
; %bb.157:
	v_mul_hi_u32 v4, s2, v3
	s_delay_alu instid0(VALU_DEP_1) | instskip(NEXT) | instid1(VALU_DEP_1)
	v_add_nc_u32_e32 v4, v3, v4
	v_lshrrev_b32_e32 v4, s3, v4
	s_delay_alu instid0(VALU_DEP_1) | instskip(NEXT) | instid1(VALU_DEP_1)
	v_mul_lo_u32 v4, v4, s15
	v_sub_nc_u32_e32 v6, v3, v4
	s_delay_alu instid0(VALU_DEP_1) | instskip(SKIP_1) | instid1(VALU_DEP_1)
	v_mad_u64_u32 v[3:4], null, v6, s10, v[0:1]
	v_mad_u64_u32 v[4:5], null, v6, s11, v[1:2]
	v_dual_mov_b32 v0, v3 :: v_dual_mov_b32 v1, v4
.LBB279_158:
	global_load_u8 v1, v1, s[6:7]
	v_and_b32_e64 v3, 0xff, s26
	v_add_nc_u32_e32 v12, 0x80, v12
	s_waitcnt vmcnt(0)
	s_delay_alu instid0(VALU_DEP_2) | instskip(NEXT) | instid1(VALU_DEP_1)
	v_max_u16 v1, v1, v3
	v_min_u16 v1, v1, v2
	global_store_b8 v0, v1, s[4:5]
	s_or_b32 exec_lo, exec_lo, s31
	s_delay_alu instid0(SALU_CYCLE_1)
	s_mov_b32 s31, exec_lo
	v_cmpx_gt_i32_e64 s28, v12
	s_cbranch_execnz .LBB279_145
.LBB279_159:
	s_or_b32 exec_lo, exec_lo, s31
	s_delay_alu instid0(SALU_CYCLE_1)
	s_mov_b32 s31, exec_lo
	v_cmpx_gt_i32_e64 s28, v12
	s_cbranch_execz .LBB279_174
.LBB279_160:
	s_and_not1_b32 vcc_lo, exec_lo, s24
	s_cbranch_vccnz .LBB279_165
; %bb.161:
	v_dual_mov_b32 v0, 0 :: v_dual_mov_b32 v1, 0
	s_and_not1_b32 vcc_lo, exec_lo, s30
	s_mov_b32 s33, 0
	s_cbranch_vccnz .LBB279_185
; %bb.162:
	v_mov_b32_e32 v0, 0
	s_add_i32 s35, s29, 1
	s_cmp_eq_u32 s23, 2
	s_mov_b32 s34, 0
	s_cbranch_scc1 .LBB279_181
; %bb.163:
	v_dual_mov_b32 v1, 0 :: v_dual_mov_b32 v0, 0
	v_mov_b32_e32 v3, v12
	s_and_b32 s34, s35, 28
	s_mov_b32 s36, 0
	s_mov_b64 s[18:19], s[16:17]
	s_mov_b64 s[20:21], s[0:1]
.LBB279_164:                            ; =>This Inner Loop Header: Depth=1
	s_clause 0x1
	s_load_b256 s[40:47], s[20:21], 0x4
	s_load_b128 s[56:59], s[20:21], 0x24
	s_load_b256 s[48:55], s[18:19], 0x0
	s_add_u32 s20, s20, 48
	s_addc_u32 s21, s21, 0
	s_add_i32 s36, s36, 4
	s_add_u32 s18, s18, 32
	s_addc_u32 s19, s19, 0
	s_cmp_eq_u32 s34, s36
	s_waitcnt lgkmcnt(0)
	v_mul_hi_u32 v4, s41, v3
	s_delay_alu instid0(VALU_DEP_1) | instskip(NEXT) | instid1(VALU_DEP_1)
	v_add_nc_u32_e32 v4, v3, v4
	v_lshrrev_b32_e32 v4, s42, v4
	s_delay_alu instid0(VALU_DEP_1) | instskip(SKIP_1) | instid1(VALU_DEP_2)
	v_mul_hi_u32 v5, s44, v4
	v_mul_lo_u32 v7, v4, s40
	v_add_nc_u32_e32 v5, v4, v5
	s_delay_alu instid0(VALU_DEP_2) | instskip(NEXT) | instid1(VALU_DEP_2)
	v_sub_nc_u32_e32 v3, v3, v7
	v_lshrrev_b32_e32 v5, s45, v5
	s_delay_alu instid0(VALU_DEP_2) | instskip(SKIP_1) | instid1(VALU_DEP_3)
	v_mul_lo_u32 v7, v3, s48
	v_mul_lo_u32 v9, v3, s49
	v_mul_hi_u32 v6, s47, v5
	s_delay_alu instid0(VALU_DEP_1) | instskip(NEXT) | instid1(VALU_DEP_1)
	v_add_nc_u32_e32 v6, v5, v6
	v_lshrrev_b32_e32 v6, s56, v6
	s_delay_alu instid0(VALU_DEP_1) | instskip(SKIP_1) | instid1(VALU_DEP_2)
	v_mul_hi_u32 v8, s58, v6
	v_mul_lo_u32 v10, v6, s46
	v_add_nc_u32_e32 v3, v6, v8
	v_mul_lo_u32 v8, v5, s43
	s_delay_alu instid0(VALU_DEP_3) | instskip(NEXT) | instid1(VALU_DEP_3)
	v_sub_nc_u32_e32 v5, v5, v10
	v_lshrrev_b32_e32 v3, s59, v3
	s_delay_alu instid0(VALU_DEP_2) | instskip(SKIP_2) | instid1(VALU_DEP_4)
	v_mul_lo_u32 v10, v5, s52
	v_mul_lo_u32 v5, v5, s53
	v_sub_nc_u32_e32 v4, v4, v8
	v_mul_lo_u32 v11, v3, s57
	s_delay_alu instid0(VALU_DEP_2) | instskip(SKIP_1) | instid1(VALU_DEP_3)
	v_mul_lo_u32 v8, v4, s50
	v_mul_lo_u32 v4, v4, s51
	v_sub_nc_u32_e32 v6, v6, v11
	s_delay_alu instid0(VALU_DEP_3) | instskip(NEXT) | instid1(VALU_DEP_2)
	v_add3_u32 v0, v7, v0, v8
	v_mul_lo_u32 v11, v6, s54
	v_mul_lo_u32 v6, v6, s55
	v_add3_u32 v1, v9, v1, v4
	s_delay_alu instid0(VALU_DEP_3) | instskip(NEXT) | instid1(VALU_DEP_2)
	v_add3_u32 v0, v10, v0, v11
	v_add3_u32 v1, v5, v1, v6
	s_cbranch_scc0 .LBB279_164
	s_branch .LBB279_182
.LBB279_165:
	s_mov_b32 s33, -1
                                        ; implicit-def: $vgpr0
                                        ; implicit-def: $vgpr1
	s_branch .LBB279_185
.LBB279_166:
	v_mov_b32_e32 v3, v12
	v_mov_b32_e32 v1, 0
.LBB279_167:
	s_and_b32 s35, s35, 3
	s_delay_alu instid0(SALU_CYCLE_1)
	s_cmp_eq_u32 s35, 0
	s_cbranch_scc1 .LBB279_170
; %bb.168:
	s_lshl_b32 s18, s34, 3
	s_mul_i32 s20, s34, 12
	s_add_u32 s18, s18, s0
	s_addc_u32 s19, s1, 0
	s_add_u32 s18, s18, 0xc4
	s_addc_u32 s19, s19, 0
	;; [unrolled: 2-line block ×3, first 2 shown]
	.p2align	6
.LBB279_169:                            ; =>This Inner Loop Header: Depth=1
	s_clause 0x1
	s_load_b64 s[36:37], s[20:21], 0x4
	s_load_b32 s34, s[20:21], 0xc
	s_load_b64 s[38:39], s[18:19], 0x0
	s_add_u32 s20, s20, 12
	s_addc_u32 s21, s21, 0
	s_add_u32 s18, s18, 8
	s_addc_u32 s19, s19, 0
	s_add_i32 s35, s35, -1
	s_delay_alu instid0(SALU_CYCLE_1) | instskip(SKIP_2) | instid1(VALU_DEP_1)
	s_cmp_lg_u32 s35, 0
	s_waitcnt lgkmcnt(0)
	v_mul_hi_u32 v4, s37, v3
	v_add_nc_u32_e32 v4, v3, v4
	s_delay_alu instid0(VALU_DEP_1) | instskip(NEXT) | instid1(VALU_DEP_1)
	v_lshrrev_b32_e32 v7, s34, v4
	v_mul_lo_u32 v4, v7, s36
	s_delay_alu instid0(VALU_DEP_1) | instskip(NEXT) | instid1(VALU_DEP_1)
	v_sub_nc_u32_e32 v3, v3, v4
	v_mad_u64_u32 v[4:5], null, v3, s38, v[0:1]
	v_mad_u64_u32 v[5:6], null, v3, s39, v[1:2]
	s_delay_alu instid0(VALU_DEP_2) | instskip(NEXT) | instid1(VALU_DEP_2)
	v_dual_mov_b32 v3, v7 :: v_dual_mov_b32 v0, v4
	v_mov_b32_e32 v1, v5
	s_cbranch_scc1 .LBB279_169
.LBB279_170:
	s_and_not1_b32 vcc_lo, exec_lo, s33
	s_cbranch_vccnz .LBB279_173
; %bb.171:
	v_mul_hi_u32 v0, s13, v12
	s_and_not1_b32 vcc_lo, exec_lo, s27
	s_delay_alu instid0(VALU_DEP_1) | instskip(NEXT) | instid1(VALU_DEP_1)
	v_add_nc_u32_e32 v0, v12, v0
	v_lshrrev_b32_e32 v3, s14, v0
	s_delay_alu instid0(VALU_DEP_1) | instskip(NEXT) | instid1(VALU_DEP_1)
	v_mul_lo_u32 v0, v3, s12
	v_sub_nc_u32_e32 v1, v12, v0
	s_delay_alu instid0(VALU_DEP_1)
	v_mul_lo_u32 v0, v1, s8
	v_mul_lo_u32 v1, v1, s9
	s_cbranch_vccnz .LBB279_173
; %bb.172:
	v_mul_hi_u32 v4, s2, v3
	s_delay_alu instid0(VALU_DEP_1) | instskip(NEXT) | instid1(VALU_DEP_1)
	v_add_nc_u32_e32 v4, v3, v4
	v_lshrrev_b32_e32 v4, s3, v4
	s_delay_alu instid0(VALU_DEP_1) | instskip(NEXT) | instid1(VALU_DEP_1)
	v_mul_lo_u32 v4, v4, s15
	v_sub_nc_u32_e32 v6, v3, v4
	s_delay_alu instid0(VALU_DEP_1) | instskip(SKIP_1) | instid1(VALU_DEP_1)
	v_mad_u64_u32 v[3:4], null, v6, s10, v[0:1]
	v_mad_u64_u32 v[4:5], null, v6, s11, v[1:2]
	v_dual_mov_b32 v0, v3 :: v_dual_mov_b32 v1, v4
.LBB279_173:
	global_load_u8 v1, v1, s[6:7]
	v_and_b32_e64 v3, 0xff, s26
	v_add_nc_u32_e32 v12, 0x80, v12
	s_waitcnt vmcnt(0)
	s_delay_alu instid0(VALU_DEP_2) | instskip(NEXT) | instid1(VALU_DEP_1)
	v_max_u16 v1, v1, v3
	v_min_u16 v1, v1, v2
	global_store_b8 v0, v1, s[4:5]
	s_or_b32 exec_lo, exec_lo, s31
	s_delay_alu instid0(SALU_CYCLE_1)
	s_mov_b32 s31, exec_lo
	v_cmpx_gt_i32_e64 s28, v12
	s_cbranch_execnz .LBB279_160
.LBB279_174:
	s_or_b32 exec_lo, exec_lo, s31
	s_delay_alu instid0(SALU_CYCLE_1)
	s_mov_b32 s31, exec_lo
	v_cmpx_gt_i32_e64 s28, v12
	s_cbranch_execz .LBB279_189
.LBB279_175:
	s_and_not1_b32 vcc_lo, exec_lo, s24
	s_cbranch_vccnz .LBB279_180
; %bb.176:
	v_dual_mov_b32 v0, 0 :: v_dual_mov_b32 v1, 0
	s_and_not1_b32 vcc_lo, exec_lo, s30
	s_mov_b32 s33, 0
	s_cbranch_vccnz .LBB279_200
; %bb.177:
	v_mov_b32_e32 v0, 0
	s_add_i32 s35, s29, 1
	s_cmp_eq_u32 s23, 2
	s_mov_b32 s34, 0
	s_cbranch_scc1 .LBB279_196
; %bb.178:
	v_dual_mov_b32 v1, 0 :: v_dual_mov_b32 v0, 0
	v_mov_b32_e32 v3, v12
	s_and_b32 s34, s35, 28
	s_mov_b32 s36, 0
	s_mov_b64 s[18:19], s[16:17]
	s_mov_b64 s[20:21], s[0:1]
.LBB279_179:                            ; =>This Inner Loop Header: Depth=1
	s_clause 0x1
	s_load_b256 s[40:47], s[20:21], 0x4
	s_load_b128 s[56:59], s[20:21], 0x24
	s_load_b256 s[48:55], s[18:19], 0x0
	s_add_u32 s20, s20, 48
	s_addc_u32 s21, s21, 0
	s_add_i32 s36, s36, 4
	s_add_u32 s18, s18, 32
	s_addc_u32 s19, s19, 0
	s_cmp_eq_u32 s34, s36
	s_waitcnt lgkmcnt(0)
	v_mul_hi_u32 v4, s41, v3
	s_delay_alu instid0(VALU_DEP_1) | instskip(NEXT) | instid1(VALU_DEP_1)
	v_add_nc_u32_e32 v4, v3, v4
	v_lshrrev_b32_e32 v4, s42, v4
	s_delay_alu instid0(VALU_DEP_1) | instskip(SKIP_1) | instid1(VALU_DEP_2)
	v_mul_hi_u32 v5, s44, v4
	v_mul_lo_u32 v7, v4, s40
	v_add_nc_u32_e32 v5, v4, v5
	s_delay_alu instid0(VALU_DEP_2) | instskip(NEXT) | instid1(VALU_DEP_2)
	v_sub_nc_u32_e32 v3, v3, v7
	v_lshrrev_b32_e32 v5, s45, v5
	s_delay_alu instid0(VALU_DEP_2) | instskip(SKIP_1) | instid1(VALU_DEP_3)
	v_mul_lo_u32 v7, v3, s48
	v_mul_lo_u32 v9, v3, s49
	v_mul_hi_u32 v6, s47, v5
	s_delay_alu instid0(VALU_DEP_1) | instskip(NEXT) | instid1(VALU_DEP_1)
	v_add_nc_u32_e32 v6, v5, v6
	v_lshrrev_b32_e32 v6, s56, v6
	s_delay_alu instid0(VALU_DEP_1) | instskip(SKIP_1) | instid1(VALU_DEP_2)
	v_mul_hi_u32 v8, s58, v6
	v_mul_lo_u32 v10, v6, s46
	v_add_nc_u32_e32 v3, v6, v8
	v_mul_lo_u32 v8, v5, s43
	s_delay_alu instid0(VALU_DEP_3) | instskip(NEXT) | instid1(VALU_DEP_3)
	v_sub_nc_u32_e32 v5, v5, v10
	v_lshrrev_b32_e32 v3, s59, v3
	s_delay_alu instid0(VALU_DEP_2) | instskip(SKIP_2) | instid1(VALU_DEP_4)
	v_mul_lo_u32 v10, v5, s52
	v_mul_lo_u32 v5, v5, s53
	v_sub_nc_u32_e32 v4, v4, v8
	v_mul_lo_u32 v11, v3, s57
	s_delay_alu instid0(VALU_DEP_2) | instskip(SKIP_1) | instid1(VALU_DEP_3)
	v_mul_lo_u32 v8, v4, s50
	v_mul_lo_u32 v4, v4, s51
	v_sub_nc_u32_e32 v6, v6, v11
	s_delay_alu instid0(VALU_DEP_3) | instskip(NEXT) | instid1(VALU_DEP_2)
	v_add3_u32 v0, v7, v0, v8
	v_mul_lo_u32 v11, v6, s54
	v_mul_lo_u32 v6, v6, s55
	v_add3_u32 v1, v9, v1, v4
	s_delay_alu instid0(VALU_DEP_3) | instskip(NEXT) | instid1(VALU_DEP_2)
	v_add3_u32 v0, v10, v0, v11
	v_add3_u32 v1, v5, v1, v6
	s_cbranch_scc0 .LBB279_179
	s_branch .LBB279_197
.LBB279_180:
	s_mov_b32 s33, -1
                                        ; implicit-def: $vgpr0
                                        ; implicit-def: $vgpr1
	s_branch .LBB279_200
.LBB279_181:
	v_mov_b32_e32 v3, v12
	v_mov_b32_e32 v1, 0
.LBB279_182:
	s_and_b32 s35, s35, 3
	s_delay_alu instid0(SALU_CYCLE_1)
	s_cmp_eq_u32 s35, 0
	s_cbranch_scc1 .LBB279_185
; %bb.183:
	s_lshl_b32 s18, s34, 3
	s_mul_i32 s20, s34, 12
	s_add_u32 s18, s18, s0
	s_addc_u32 s19, s1, 0
	s_add_u32 s18, s18, 0xc4
	s_addc_u32 s19, s19, 0
	;; [unrolled: 2-line block ×3, first 2 shown]
	.p2align	6
.LBB279_184:                            ; =>This Inner Loop Header: Depth=1
	s_clause 0x1
	s_load_b64 s[36:37], s[20:21], 0x4
	s_load_b32 s34, s[20:21], 0xc
	s_load_b64 s[38:39], s[18:19], 0x0
	s_add_u32 s20, s20, 12
	s_addc_u32 s21, s21, 0
	s_add_u32 s18, s18, 8
	s_addc_u32 s19, s19, 0
	s_add_i32 s35, s35, -1
	s_delay_alu instid0(SALU_CYCLE_1) | instskip(SKIP_2) | instid1(VALU_DEP_1)
	s_cmp_lg_u32 s35, 0
	s_waitcnt lgkmcnt(0)
	v_mul_hi_u32 v4, s37, v3
	v_add_nc_u32_e32 v4, v3, v4
	s_delay_alu instid0(VALU_DEP_1) | instskip(NEXT) | instid1(VALU_DEP_1)
	v_lshrrev_b32_e32 v7, s34, v4
	v_mul_lo_u32 v4, v7, s36
	s_delay_alu instid0(VALU_DEP_1) | instskip(NEXT) | instid1(VALU_DEP_1)
	v_sub_nc_u32_e32 v3, v3, v4
	v_mad_u64_u32 v[4:5], null, v3, s38, v[0:1]
	v_mad_u64_u32 v[5:6], null, v3, s39, v[1:2]
	s_delay_alu instid0(VALU_DEP_2) | instskip(NEXT) | instid1(VALU_DEP_2)
	v_dual_mov_b32 v3, v7 :: v_dual_mov_b32 v0, v4
	v_mov_b32_e32 v1, v5
	s_cbranch_scc1 .LBB279_184
.LBB279_185:
	s_and_not1_b32 vcc_lo, exec_lo, s33
	s_cbranch_vccnz .LBB279_188
; %bb.186:
	v_mul_hi_u32 v0, s13, v12
	s_and_not1_b32 vcc_lo, exec_lo, s27
	s_delay_alu instid0(VALU_DEP_1) | instskip(NEXT) | instid1(VALU_DEP_1)
	v_add_nc_u32_e32 v0, v12, v0
	v_lshrrev_b32_e32 v3, s14, v0
	s_delay_alu instid0(VALU_DEP_1) | instskip(NEXT) | instid1(VALU_DEP_1)
	v_mul_lo_u32 v0, v3, s12
	v_sub_nc_u32_e32 v1, v12, v0
	s_delay_alu instid0(VALU_DEP_1)
	v_mul_lo_u32 v0, v1, s8
	v_mul_lo_u32 v1, v1, s9
	s_cbranch_vccnz .LBB279_188
; %bb.187:
	v_mul_hi_u32 v4, s2, v3
	s_delay_alu instid0(VALU_DEP_1) | instskip(NEXT) | instid1(VALU_DEP_1)
	v_add_nc_u32_e32 v4, v3, v4
	v_lshrrev_b32_e32 v4, s3, v4
	s_delay_alu instid0(VALU_DEP_1) | instskip(NEXT) | instid1(VALU_DEP_1)
	v_mul_lo_u32 v4, v4, s15
	v_sub_nc_u32_e32 v6, v3, v4
	s_delay_alu instid0(VALU_DEP_1) | instskip(SKIP_1) | instid1(VALU_DEP_1)
	v_mad_u64_u32 v[3:4], null, v6, s10, v[0:1]
	v_mad_u64_u32 v[4:5], null, v6, s11, v[1:2]
	v_dual_mov_b32 v0, v3 :: v_dual_mov_b32 v1, v4
.LBB279_188:
	global_load_u8 v1, v1, s[6:7]
	v_and_b32_e64 v3, 0xff, s26
	v_add_nc_u32_e32 v12, 0x80, v12
	s_waitcnt vmcnt(0)
	s_delay_alu instid0(VALU_DEP_2) | instskip(NEXT) | instid1(VALU_DEP_1)
	v_max_u16 v1, v1, v3
	v_min_u16 v1, v1, v2
	global_store_b8 v0, v1, s[4:5]
	s_or_b32 exec_lo, exec_lo, s31
	s_delay_alu instid0(SALU_CYCLE_1)
	s_mov_b32 s31, exec_lo
	v_cmpx_gt_i32_e64 s28, v12
	s_cbranch_execnz .LBB279_175
.LBB279_189:
	s_or_b32 exec_lo, exec_lo, s31
	s_delay_alu instid0(SALU_CYCLE_1)
	s_mov_b32 s31, exec_lo
	v_cmpx_gt_i32_e64 s28, v12
	s_cbranch_execz .LBB279_204
.LBB279_190:
	s_and_not1_b32 vcc_lo, exec_lo, s24
	s_cbranch_vccnz .LBB279_195
; %bb.191:
	v_dual_mov_b32 v0, 0 :: v_dual_mov_b32 v1, 0
	s_and_not1_b32 vcc_lo, exec_lo, s30
	s_mov_b32 s33, 0
	s_cbranch_vccnz .LBB279_211
; %bb.192:
	v_mov_b32_e32 v0, 0
	s_add_i32 s35, s29, 1
	s_cmp_eq_u32 s23, 2
	s_mov_b32 s34, 0
	s_cbranch_scc1 .LBB279_207
; %bb.193:
	v_dual_mov_b32 v1, 0 :: v_dual_mov_b32 v0, 0
	v_mov_b32_e32 v3, v12
	s_and_b32 s34, s35, 28
	s_mov_b32 s36, 0
	s_mov_b64 s[18:19], s[16:17]
	s_mov_b64 s[20:21], s[0:1]
.LBB279_194:                            ; =>This Inner Loop Header: Depth=1
	s_clause 0x1
	s_load_b256 s[40:47], s[20:21], 0x4
	s_load_b128 s[56:59], s[20:21], 0x24
	s_load_b256 s[48:55], s[18:19], 0x0
	s_add_u32 s20, s20, 48
	s_addc_u32 s21, s21, 0
	s_add_i32 s36, s36, 4
	s_add_u32 s18, s18, 32
	s_addc_u32 s19, s19, 0
	s_cmp_eq_u32 s34, s36
	s_waitcnt lgkmcnt(0)
	v_mul_hi_u32 v4, s41, v3
	s_delay_alu instid0(VALU_DEP_1) | instskip(NEXT) | instid1(VALU_DEP_1)
	v_add_nc_u32_e32 v4, v3, v4
	v_lshrrev_b32_e32 v4, s42, v4
	s_delay_alu instid0(VALU_DEP_1) | instskip(SKIP_1) | instid1(VALU_DEP_2)
	v_mul_hi_u32 v5, s44, v4
	v_mul_lo_u32 v7, v4, s40
	v_add_nc_u32_e32 v5, v4, v5
	s_delay_alu instid0(VALU_DEP_2) | instskip(NEXT) | instid1(VALU_DEP_2)
	v_sub_nc_u32_e32 v3, v3, v7
	v_lshrrev_b32_e32 v5, s45, v5
	s_delay_alu instid0(VALU_DEP_2) | instskip(SKIP_1) | instid1(VALU_DEP_3)
	v_mul_lo_u32 v7, v3, s48
	v_mul_lo_u32 v9, v3, s49
	v_mul_hi_u32 v6, s47, v5
	s_delay_alu instid0(VALU_DEP_1) | instskip(NEXT) | instid1(VALU_DEP_1)
	v_add_nc_u32_e32 v6, v5, v6
	v_lshrrev_b32_e32 v6, s56, v6
	s_delay_alu instid0(VALU_DEP_1) | instskip(SKIP_1) | instid1(VALU_DEP_2)
	v_mul_hi_u32 v8, s58, v6
	v_mul_lo_u32 v10, v6, s46
	v_add_nc_u32_e32 v3, v6, v8
	v_mul_lo_u32 v8, v5, s43
	s_delay_alu instid0(VALU_DEP_3) | instskip(NEXT) | instid1(VALU_DEP_3)
	v_sub_nc_u32_e32 v5, v5, v10
	v_lshrrev_b32_e32 v3, s59, v3
	s_delay_alu instid0(VALU_DEP_2) | instskip(SKIP_2) | instid1(VALU_DEP_4)
	v_mul_lo_u32 v10, v5, s52
	v_mul_lo_u32 v5, v5, s53
	v_sub_nc_u32_e32 v4, v4, v8
	v_mul_lo_u32 v11, v3, s57
	s_delay_alu instid0(VALU_DEP_2) | instskip(SKIP_1) | instid1(VALU_DEP_3)
	v_mul_lo_u32 v8, v4, s50
	v_mul_lo_u32 v4, v4, s51
	v_sub_nc_u32_e32 v6, v6, v11
	s_delay_alu instid0(VALU_DEP_3) | instskip(NEXT) | instid1(VALU_DEP_2)
	v_add3_u32 v0, v7, v0, v8
	v_mul_lo_u32 v11, v6, s54
	v_mul_lo_u32 v6, v6, s55
	v_add3_u32 v1, v9, v1, v4
	s_delay_alu instid0(VALU_DEP_3) | instskip(NEXT) | instid1(VALU_DEP_2)
	v_add3_u32 v0, v10, v0, v11
	v_add3_u32 v1, v5, v1, v6
	s_cbranch_scc0 .LBB279_194
	s_branch .LBB279_208
.LBB279_195:
	s_mov_b32 s33, -1
                                        ; implicit-def: $vgpr0
                                        ; implicit-def: $vgpr1
	s_branch .LBB279_211
.LBB279_196:
	v_mov_b32_e32 v3, v12
	v_mov_b32_e32 v1, 0
.LBB279_197:
	s_and_b32 s35, s35, 3
	s_delay_alu instid0(SALU_CYCLE_1)
	s_cmp_eq_u32 s35, 0
	s_cbranch_scc1 .LBB279_200
; %bb.198:
	s_lshl_b32 s18, s34, 3
	s_mul_i32 s20, s34, 12
	s_add_u32 s18, s18, s0
	s_addc_u32 s19, s1, 0
	s_add_u32 s18, s18, 0xc4
	s_addc_u32 s19, s19, 0
	;; [unrolled: 2-line block ×3, first 2 shown]
	.p2align	6
.LBB279_199:                            ; =>This Inner Loop Header: Depth=1
	s_clause 0x1
	s_load_b64 s[36:37], s[20:21], 0x4
	s_load_b32 s34, s[20:21], 0xc
	s_load_b64 s[38:39], s[18:19], 0x0
	s_add_u32 s20, s20, 12
	s_addc_u32 s21, s21, 0
	s_add_u32 s18, s18, 8
	s_addc_u32 s19, s19, 0
	s_add_i32 s35, s35, -1
	s_delay_alu instid0(SALU_CYCLE_1) | instskip(SKIP_2) | instid1(VALU_DEP_1)
	s_cmp_lg_u32 s35, 0
	s_waitcnt lgkmcnt(0)
	v_mul_hi_u32 v4, s37, v3
	v_add_nc_u32_e32 v4, v3, v4
	s_delay_alu instid0(VALU_DEP_1) | instskip(NEXT) | instid1(VALU_DEP_1)
	v_lshrrev_b32_e32 v7, s34, v4
	v_mul_lo_u32 v4, v7, s36
	s_delay_alu instid0(VALU_DEP_1) | instskip(NEXT) | instid1(VALU_DEP_1)
	v_sub_nc_u32_e32 v3, v3, v4
	v_mad_u64_u32 v[4:5], null, v3, s38, v[0:1]
	v_mad_u64_u32 v[5:6], null, v3, s39, v[1:2]
	s_delay_alu instid0(VALU_DEP_2) | instskip(NEXT) | instid1(VALU_DEP_2)
	v_dual_mov_b32 v3, v7 :: v_dual_mov_b32 v0, v4
	v_mov_b32_e32 v1, v5
	s_cbranch_scc1 .LBB279_199
.LBB279_200:
	s_and_not1_b32 vcc_lo, exec_lo, s33
	s_cbranch_vccnz .LBB279_203
; %bb.201:
	v_mul_hi_u32 v0, s13, v12
	s_and_not1_b32 vcc_lo, exec_lo, s27
	s_delay_alu instid0(VALU_DEP_1) | instskip(NEXT) | instid1(VALU_DEP_1)
	v_add_nc_u32_e32 v0, v12, v0
	v_lshrrev_b32_e32 v3, s14, v0
	s_delay_alu instid0(VALU_DEP_1) | instskip(NEXT) | instid1(VALU_DEP_1)
	v_mul_lo_u32 v0, v3, s12
	v_sub_nc_u32_e32 v1, v12, v0
	s_delay_alu instid0(VALU_DEP_1)
	v_mul_lo_u32 v0, v1, s8
	v_mul_lo_u32 v1, v1, s9
	s_cbranch_vccnz .LBB279_203
; %bb.202:
	v_mul_hi_u32 v4, s2, v3
	s_delay_alu instid0(VALU_DEP_1) | instskip(NEXT) | instid1(VALU_DEP_1)
	v_add_nc_u32_e32 v4, v3, v4
	v_lshrrev_b32_e32 v4, s3, v4
	s_delay_alu instid0(VALU_DEP_1) | instskip(NEXT) | instid1(VALU_DEP_1)
	v_mul_lo_u32 v4, v4, s15
	v_sub_nc_u32_e32 v6, v3, v4
	s_delay_alu instid0(VALU_DEP_1) | instskip(SKIP_1) | instid1(VALU_DEP_1)
	v_mad_u64_u32 v[3:4], null, v6, s10, v[0:1]
	v_mad_u64_u32 v[4:5], null, v6, s11, v[1:2]
	v_dual_mov_b32 v0, v3 :: v_dual_mov_b32 v1, v4
.LBB279_203:
	global_load_u8 v1, v1, s[6:7]
	v_and_b32_e64 v3, 0xff, s26
	v_add_nc_u32_e32 v12, 0x80, v12
	s_waitcnt vmcnt(0)
	s_delay_alu instid0(VALU_DEP_2) | instskip(NEXT) | instid1(VALU_DEP_1)
	v_max_u16 v1, v1, v3
	v_min_u16 v1, v1, v2
	global_store_b8 v0, v1, s[4:5]
	s_or_b32 exec_lo, exec_lo, s31
	s_delay_alu instid0(SALU_CYCLE_1)
	s_mov_b32 s31, exec_lo
	v_cmpx_gt_i32_e64 s28, v12
	s_cbranch_execnz .LBB279_190
.LBB279_204:
	s_or_b32 exec_lo, exec_lo, s31
	s_delay_alu instid0(SALU_CYCLE_1)
	s_mov_b32 s20, exec_lo
	v_cmpx_gt_i32_e64 s28, v12
	s_cbranch_execnz .LBB279_215
.LBB279_205:
	s_or_b32 exec_lo, exec_lo, s20
                                        ; implicit-def: $vgpr16
                                        ; implicit-def: $vgpr12
	s_and_not1_saveexec_b32 s2, s25
	s_cbranch_execnz .LBB279_8
.LBB279_206:
	s_nop 0
	s_sendmsg sendmsg(MSG_DEALLOC_VGPRS)
	s_endpgm
.LBB279_207:
	v_mov_b32_e32 v3, v12
	v_mov_b32_e32 v1, 0
.LBB279_208:
	s_and_b32 s35, s35, 3
	s_delay_alu instid0(SALU_CYCLE_1)
	s_cmp_eq_u32 s35, 0
	s_cbranch_scc1 .LBB279_211
; %bb.209:
	s_lshl_b32 s18, s34, 3
	s_mul_i32 s20, s34, 12
	s_add_u32 s18, s18, s0
	s_addc_u32 s19, s1, 0
	s_add_u32 s18, s18, 0xc4
	s_addc_u32 s19, s19, 0
	;; [unrolled: 2-line block ×3, first 2 shown]
	.p2align	6
.LBB279_210:                            ; =>This Inner Loop Header: Depth=1
	s_clause 0x1
	s_load_b64 s[36:37], s[20:21], 0x4
	s_load_b32 s34, s[20:21], 0xc
	s_load_b64 s[38:39], s[18:19], 0x0
	s_add_u32 s20, s20, 12
	s_addc_u32 s21, s21, 0
	s_add_u32 s18, s18, 8
	s_addc_u32 s19, s19, 0
	s_add_i32 s35, s35, -1
	s_delay_alu instid0(SALU_CYCLE_1) | instskip(SKIP_2) | instid1(VALU_DEP_1)
	s_cmp_lg_u32 s35, 0
	s_waitcnt lgkmcnt(0)
	v_mul_hi_u32 v4, s37, v3
	v_add_nc_u32_e32 v4, v3, v4
	s_delay_alu instid0(VALU_DEP_1) | instskip(NEXT) | instid1(VALU_DEP_1)
	v_lshrrev_b32_e32 v7, s34, v4
	v_mul_lo_u32 v4, v7, s36
	s_delay_alu instid0(VALU_DEP_1) | instskip(NEXT) | instid1(VALU_DEP_1)
	v_sub_nc_u32_e32 v3, v3, v4
	v_mad_u64_u32 v[4:5], null, v3, s38, v[0:1]
	v_mad_u64_u32 v[5:6], null, v3, s39, v[1:2]
	s_delay_alu instid0(VALU_DEP_2) | instskip(NEXT) | instid1(VALU_DEP_2)
	v_dual_mov_b32 v3, v7 :: v_dual_mov_b32 v0, v4
	v_mov_b32_e32 v1, v5
	s_cbranch_scc1 .LBB279_210
.LBB279_211:
	s_and_not1_b32 vcc_lo, exec_lo, s33
	s_cbranch_vccnz .LBB279_214
; %bb.212:
	v_mul_hi_u32 v0, s13, v12
	s_and_not1_b32 vcc_lo, exec_lo, s27
	s_delay_alu instid0(VALU_DEP_1) | instskip(NEXT) | instid1(VALU_DEP_1)
	v_add_nc_u32_e32 v0, v12, v0
	v_lshrrev_b32_e32 v3, s14, v0
	s_delay_alu instid0(VALU_DEP_1) | instskip(NEXT) | instid1(VALU_DEP_1)
	v_mul_lo_u32 v0, v3, s12
	v_sub_nc_u32_e32 v1, v12, v0
	s_delay_alu instid0(VALU_DEP_1)
	v_mul_lo_u32 v0, v1, s8
	v_mul_lo_u32 v1, v1, s9
	s_cbranch_vccnz .LBB279_214
; %bb.213:
	v_mul_hi_u32 v4, s2, v3
	s_delay_alu instid0(VALU_DEP_1) | instskip(NEXT) | instid1(VALU_DEP_1)
	v_add_nc_u32_e32 v4, v3, v4
	v_lshrrev_b32_e32 v4, s3, v4
	s_delay_alu instid0(VALU_DEP_1) | instskip(NEXT) | instid1(VALU_DEP_1)
	v_mul_lo_u32 v4, v4, s15
	v_sub_nc_u32_e32 v6, v3, v4
	s_delay_alu instid0(VALU_DEP_1) | instskip(SKIP_1) | instid1(VALU_DEP_1)
	v_mad_u64_u32 v[3:4], null, v6, s10, v[0:1]
	v_mad_u64_u32 v[4:5], null, v6, s11, v[1:2]
	v_dual_mov_b32 v0, v3 :: v_dual_mov_b32 v1, v4
.LBB279_214:
	global_load_u8 v1, v1, s[6:7]
	v_and_b32_e64 v3, 0xff, s26
	v_add_nc_u32_e32 v12, 0x80, v12
	s_waitcnt vmcnt(0)
	s_delay_alu instid0(VALU_DEP_2) | instskip(NEXT) | instid1(VALU_DEP_1)
	v_max_u16 v1, v1, v3
	v_min_u16 v1, v1, v2
	global_store_b8 v0, v1, s[4:5]
	s_or_b32 exec_lo, exec_lo, s31
	s_delay_alu instid0(SALU_CYCLE_1)
	s_mov_b32 s20, exec_lo
	v_cmpx_gt_i32_e64 s28, v12
	s_cbranch_execz .LBB279_205
.LBB279_215:
	s_and_not1_b32 vcc_lo, exec_lo, s24
	s_cbranch_vccnz .LBB279_220
; %bb.216:
	v_dual_mov_b32 v0, 0 :: v_dual_mov_b32 v1, 0
	s_and_not1_b32 vcc_lo, exec_lo, s30
	s_mov_b32 s21, 0
	s_cbranch_vccnz .LBB279_225
; %bb.217:
	v_mov_b32_e32 v0, 0
	s_add_i32 s29, s29, 1
	s_cmp_eq_u32 s23, 2
	s_mov_b32 s28, 0
	s_cbranch_scc1 .LBB279_221
; %bb.218:
	v_dual_mov_b32 v1, 0 :: v_dual_mov_b32 v0, 0
	v_mov_b32_e32 v3, v12
	s_and_b32 s28, s29, 28
	s_mov_b32 s30, 0
	s_mov_b64 s[18:19], s[0:1]
.LBB279_219:                            ; =>This Inner Loop Header: Depth=1
	s_clause 0x1
	s_load_b256 s[36:43], s[18:19], 0x4
	s_load_b128 s[52:55], s[18:19], 0x24
	s_load_b256 s[44:51], s[16:17], 0x0
	s_add_u32 s18, s18, 48
	s_addc_u32 s19, s19, 0
	s_add_i32 s30, s30, 4
	s_add_u32 s16, s16, 32
	s_addc_u32 s17, s17, 0
	s_cmp_eq_u32 s28, s30
	s_waitcnt lgkmcnt(0)
	v_mul_hi_u32 v4, s37, v3
	s_delay_alu instid0(VALU_DEP_1) | instskip(NEXT) | instid1(VALU_DEP_1)
	v_add_nc_u32_e32 v4, v3, v4
	v_lshrrev_b32_e32 v4, s38, v4
	s_delay_alu instid0(VALU_DEP_1) | instskip(SKIP_1) | instid1(VALU_DEP_2)
	v_mul_hi_u32 v5, s40, v4
	v_mul_lo_u32 v7, v4, s36
	v_add_nc_u32_e32 v5, v4, v5
	s_delay_alu instid0(VALU_DEP_2) | instskip(NEXT) | instid1(VALU_DEP_2)
	v_sub_nc_u32_e32 v3, v3, v7
	v_lshrrev_b32_e32 v5, s41, v5
	s_delay_alu instid0(VALU_DEP_2) | instskip(SKIP_1) | instid1(VALU_DEP_3)
	v_mul_lo_u32 v7, v3, s44
	v_mul_lo_u32 v9, v3, s45
	v_mul_hi_u32 v6, s43, v5
	s_delay_alu instid0(VALU_DEP_1) | instskip(NEXT) | instid1(VALU_DEP_1)
	v_add_nc_u32_e32 v6, v5, v6
	v_lshrrev_b32_e32 v6, s52, v6
	s_delay_alu instid0(VALU_DEP_1) | instskip(SKIP_1) | instid1(VALU_DEP_2)
	v_mul_hi_u32 v8, s54, v6
	v_mul_lo_u32 v10, v6, s42
	v_add_nc_u32_e32 v3, v6, v8
	v_mul_lo_u32 v8, v5, s39
	s_delay_alu instid0(VALU_DEP_3) | instskip(NEXT) | instid1(VALU_DEP_3)
	v_sub_nc_u32_e32 v5, v5, v10
	v_lshrrev_b32_e32 v3, s55, v3
	s_delay_alu instid0(VALU_DEP_2) | instskip(SKIP_2) | instid1(VALU_DEP_4)
	v_mul_lo_u32 v10, v5, s48
	v_mul_lo_u32 v5, v5, s49
	v_sub_nc_u32_e32 v4, v4, v8
	v_mul_lo_u32 v11, v3, s53
	s_delay_alu instid0(VALU_DEP_2) | instskip(SKIP_1) | instid1(VALU_DEP_3)
	v_mul_lo_u32 v8, v4, s46
	v_mul_lo_u32 v4, v4, s47
	v_sub_nc_u32_e32 v6, v6, v11
	s_delay_alu instid0(VALU_DEP_3) | instskip(NEXT) | instid1(VALU_DEP_2)
	v_add3_u32 v0, v7, v0, v8
	v_mul_lo_u32 v11, v6, s50
	v_mul_lo_u32 v6, v6, s51
	v_add3_u32 v1, v9, v1, v4
	s_delay_alu instid0(VALU_DEP_3) | instskip(NEXT) | instid1(VALU_DEP_2)
	v_add3_u32 v0, v10, v0, v11
	v_add3_u32 v1, v5, v1, v6
	s_cbranch_scc0 .LBB279_219
	s_branch .LBB279_222
.LBB279_220:
	s_mov_b32 s21, -1
                                        ; implicit-def: $vgpr0
                                        ; implicit-def: $vgpr1
	s_branch .LBB279_225
.LBB279_221:
	v_mov_b32_e32 v3, v12
	v_mov_b32_e32 v1, 0
.LBB279_222:
	s_and_b32 s29, s29, 3
	s_delay_alu instid0(SALU_CYCLE_1)
	s_cmp_eq_u32 s29, 0
	s_cbranch_scc1 .LBB279_225
; %bb.223:
	s_lshl_b32 s16, s28, 3
	s_mul_i32 s18, s28, 12
	s_add_u32 s16, s16, s0
	s_addc_u32 s17, s1, 0
	s_add_u32 s16, s16, 0xc4
	s_addc_u32 s17, s17, 0
	;; [unrolled: 2-line block ×3, first 2 shown]
	.p2align	6
.LBB279_224:                            ; =>This Inner Loop Header: Depth=1
	s_clause 0x1
	s_load_b64 s[30:31], s[18:19], 0x4
	s_load_b32 s28, s[18:19], 0xc
	s_load_b64 s[34:35], s[16:17], 0x0
	s_add_u32 s18, s18, 12
	s_addc_u32 s19, s19, 0
	s_add_u32 s16, s16, 8
	s_addc_u32 s17, s17, 0
	s_add_i32 s29, s29, -1
	s_delay_alu instid0(SALU_CYCLE_1) | instskip(SKIP_2) | instid1(VALU_DEP_1)
	s_cmp_lg_u32 s29, 0
	s_waitcnt lgkmcnt(0)
	v_mul_hi_u32 v4, s31, v3
	v_add_nc_u32_e32 v4, v3, v4
	s_delay_alu instid0(VALU_DEP_1) | instskip(NEXT) | instid1(VALU_DEP_1)
	v_lshrrev_b32_e32 v7, s28, v4
	v_mul_lo_u32 v4, v7, s30
	s_delay_alu instid0(VALU_DEP_1) | instskip(NEXT) | instid1(VALU_DEP_1)
	v_sub_nc_u32_e32 v3, v3, v4
	v_mad_u64_u32 v[4:5], null, v3, s34, v[0:1]
	v_mad_u64_u32 v[5:6], null, v3, s35, v[1:2]
	s_delay_alu instid0(VALU_DEP_2) | instskip(NEXT) | instid1(VALU_DEP_2)
	v_dual_mov_b32 v3, v7 :: v_dual_mov_b32 v0, v4
	v_mov_b32_e32 v1, v5
	s_cbranch_scc1 .LBB279_224
.LBB279_225:
	s_and_not1_b32 vcc_lo, exec_lo, s21
	s_cbranch_vccnz .LBB279_228
; %bb.226:
	v_mul_hi_u32 v0, s13, v12
	s_and_not1_b32 vcc_lo, exec_lo, s27
	s_delay_alu instid0(VALU_DEP_1) | instskip(NEXT) | instid1(VALU_DEP_1)
	v_add_nc_u32_e32 v0, v12, v0
	v_lshrrev_b32_e32 v3, s14, v0
	s_delay_alu instid0(VALU_DEP_1) | instskip(NEXT) | instid1(VALU_DEP_1)
	v_mul_lo_u32 v0, v3, s12
	v_sub_nc_u32_e32 v1, v12, v0
	s_delay_alu instid0(VALU_DEP_1)
	v_mul_lo_u32 v0, v1, s8
	v_mul_lo_u32 v1, v1, s9
	s_cbranch_vccnz .LBB279_228
; %bb.227:
	v_mul_hi_u32 v4, s2, v3
	s_delay_alu instid0(VALU_DEP_1) | instskip(NEXT) | instid1(VALU_DEP_1)
	v_add_nc_u32_e32 v4, v3, v4
	v_lshrrev_b32_e32 v4, s3, v4
	s_delay_alu instid0(VALU_DEP_1) | instskip(NEXT) | instid1(VALU_DEP_1)
	v_mul_lo_u32 v4, v4, s15
	v_sub_nc_u32_e32 v6, v3, v4
	s_delay_alu instid0(VALU_DEP_1) | instskip(SKIP_1) | instid1(VALU_DEP_1)
	v_mad_u64_u32 v[3:4], null, v6, s10, v[0:1]
	v_mad_u64_u32 v[4:5], null, v6, s11, v[1:2]
	v_dual_mov_b32 v0, v3 :: v_dual_mov_b32 v1, v4
.LBB279_228:
	global_load_u8 v1, v1, s[6:7]
	v_and_b32_e64 v3, 0xff, s26
	s_waitcnt vmcnt(0)
	s_delay_alu instid0(VALU_DEP_1) | instskip(NEXT) | instid1(VALU_DEP_1)
	v_max_u16 v1, v1, v3
	v_min_u16 v1, v1, v2
	global_store_b8 v0, v1, s[4:5]
	s_or_b32 exec_lo, exec_lo, s20
                                        ; implicit-def: $vgpr16
                                        ; implicit-def: $vgpr12
	s_and_not1_saveexec_b32 s2, s25
	s_cbranch_execz .LBB279_206
	s_branch .LBB279_8
	.section	.rodata,"a",@progbits
	.p2align	6, 0x0
	.amdhsa_kernel _ZN2at6native32elementwise_kernel_manual_unrollILi128ELi8EZNS0_22gpu_kernel_impl_nocastIZZZNS0_17clamp_kernel_cudaERNS_18TensorIteratorBaseERKN3c106ScalarES8_ENKUlvE_clEvENKUlvE_clEvEUlhE_EEvS4_RKT_EUlibE_EEviT1_
		.amdhsa_group_segment_fixed_size 0
		.amdhsa_private_segment_fixed_size 0
		.amdhsa_kernarg_size 360
		.amdhsa_user_sgpr_count 15
		.amdhsa_user_sgpr_dispatch_ptr 0
		.amdhsa_user_sgpr_queue_ptr 0
		.amdhsa_user_sgpr_kernarg_segment_ptr 1
		.amdhsa_user_sgpr_dispatch_id 0
		.amdhsa_user_sgpr_private_segment_size 0
		.amdhsa_wavefront_size32 1
		.amdhsa_uses_dynamic_stack 0
		.amdhsa_enable_private_segment 0
		.amdhsa_system_sgpr_workgroup_id_x 1
		.amdhsa_system_sgpr_workgroup_id_y 0
		.amdhsa_system_sgpr_workgroup_id_z 0
		.amdhsa_system_sgpr_workgroup_info 0
		.amdhsa_system_vgpr_workitem_id 0
		.amdhsa_next_free_vgpr 26
		.amdhsa_next_free_sgpr 60
		.amdhsa_reserve_vcc 1
		.amdhsa_float_round_mode_32 0
		.amdhsa_float_round_mode_16_64 0
		.amdhsa_float_denorm_mode_32 3
		.amdhsa_float_denorm_mode_16_64 3
		.amdhsa_dx10_clamp 1
		.amdhsa_ieee_mode 1
		.amdhsa_fp16_overflow 0
		.amdhsa_workgroup_processor_mode 1
		.amdhsa_memory_ordered 1
		.amdhsa_forward_progress 0
		.amdhsa_shared_vgpr_count 0
		.amdhsa_exception_fp_ieee_invalid_op 0
		.amdhsa_exception_fp_denorm_src 0
		.amdhsa_exception_fp_ieee_div_zero 0
		.amdhsa_exception_fp_ieee_overflow 0
		.amdhsa_exception_fp_ieee_underflow 0
		.amdhsa_exception_fp_ieee_inexact 0
		.amdhsa_exception_int_div_zero 0
	.end_amdhsa_kernel
	.section	.text._ZN2at6native32elementwise_kernel_manual_unrollILi128ELi8EZNS0_22gpu_kernel_impl_nocastIZZZNS0_17clamp_kernel_cudaERNS_18TensorIteratorBaseERKN3c106ScalarES8_ENKUlvE_clEvENKUlvE_clEvEUlhE_EEvS4_RKT_EUlibE_EEviT1_,"axG",@progbits,_ZN2at6native32elementwise_kernel_manual_unrollILi128ELi8EZNS0_22gpu_kernel_impl_nocastIZZZNS0_17clamp_kernel_cudaERNS_18TensorIteratorBaseERKN3c106ScalarES8_ENKUlvE_clEvENKUlvE_clEvEUlhE_EEvS4_RKT_EUlibE_EEviT1_,comdat
.Lfunc_end279:
	.size	_ZN2at6native32elementwise_kernel_manual_unrollILi128ELi8EZNS0_22gpu_kernel_impl_nocastIZZZNS0_17clamp_kernel_cudaERNS_18TensorIteratorBaseERKN3c106ScalarES8_ENKUlvE_clEvENKUlvE_clEvEUlhE_EEvS4_RKT_EUlibE_EEviT1_, .Lfunc_end279-_ZN2at6native32elementwise_kernel_manual_unrollILi128ELi8EZNS0_22gpu_kernel_impl_nocastIZZZNS0_17clamp_kernel_cudaERNS_18TensorIteratorBaseERKN3c106ScalarES8_ENKUlvE_clEvENKUlvE_clEvEUlhE_EEvS4_RKT_EUlibE_EEviT1_
                                        ; -- End function
	.section	.AMDGPU.csdata,"",@progbits
; Kernel info:
; codeLenInByte = 13728
; NumSgprs: 62
; NumVgprs: 26
; ScratchSize: 0
; MemoryBound: 0
; FloatMode: 240
; IeeeMode: 1
; LDSByteSize: 0 bytes/workgroup (compile time only)
; SGPRBlocks: 7
; VGPRBlocks: 3
; NumSGPRsForWavesPerEU: 62
; NumVGPRsForWavesPerEU: 26
; Occupancy: 16
; WaveLimiterHint : 1
; COMPUTE_PGM_RSRC2:SCRATCH_EN: 0
; COMPUTE_PGM_RSRC2:USER_SGPR: 15
; COMPUTE_PGM_RSRC2:TRAP_HANDLER: 0
; COMPUTE_PGM_RSRC2:TGID_X_EN: 1
; COMPUTE_PGM_RSRC2:TGID_Y_EN: 0
; COMPUTE_PGM_RSRC2:TGID_Z_EN: 0
; COMPUTE_PGM_RSRC2:TIDIG_COMP_CNT: 0
	.section	.text._ZN2at6native32elementwise_kernel_manual_unrollILi128ELi4EZNS0_15gpu_kernel_implIZZZNS0_17clamp_kernel_cudaERNS_18TensorIteratorBaseERKN3c106ScalarES8_ENKUlvE_clEvENKUlvE_clEvEUlhE_EEvS4_RKT_EUlibE_EEviT1_,"axG",@progbits,_ZN2at6native32elementwise_kernel_manual_unrollILi128ELi4EZNS0_15gpu_kernel_implIZZZNS0_17clamp_kernel_cudaERNS_18TensorIteratorBaseERKN3c106ScalarES8_ENKUlvE_clEvENKUlvE_clEvEUlhE_EEvS4_RKT_EUlibE_EEviT1_,comdat
	.globl	_ZN2at6native32elementwise_kernel_manual_unrollILi128ELi4EZNS0_15gpu_kernel_implIZZZNS0_17clamp_kernel_cudaERNS_18TensorIteratorBaseERKN3c106ScalarES8_ENKUlvE_clEvENKUlvE_clEvEUlhE_EEvS4_RKT_EUlibE_EEviT1_ ; -- Begin function _ZN2at6native32elementwise_kernel_manual_unrollILi128ELi4EZNS0_15gpu_kernel_implIZZZNS0_17clamp_kernel_cudaERNS_18TensorIteratorBaseERKN3c106ScalarES8_ENKUlvE_clEvENKUlvE_clEvEUlhE_EEvS4_RKT_EUlibE_EEviT1_
	.p2align	8
	.type	_ZN2at6native32elementwise_kernel_manual_unrollILi128ELi4EZNS0_15gpu_kernel_implIZZZNS0_17clamp_kernel_cudaERNS_18TensorIteratorBaseERKN3c106ScalarES8_ENKUlvE_clEvENKUlvE_clEvEUlhE_EEvS4_RKT_EUlibE_EEviT1_,@function
_ZN2at6native32elementwise_kernel_manual_unrollILi128ELi4EZNS0_15gpu_kernel_implIZZZNS0_17clamp_kernel_cudaERNS_18TensorIteratorBaseERKN3c106ScalarES8_ENKUlvE_clEvENKUlvE_clEvEUlhE_EEvS4_RKT_EUlibE_EEviT1_: ; @_ZN2at6native32elementwise_kernel_manual_unrollILi128ELi4EZNS0_15gpu_kernel_implIZZZNS0_17clamp_kernel_cudaERNS_18TensorIteratorBaseERKN3c106ScalarES8_ENKUlvE_clEvENKUlvE_clEvEUlhE_EEvS4_RKT_EUlibE_EEviT1_
; %bb.0:
	s_clause 0x3
	s_load_b32 s8, s[0:1], 0x20
	s_load_b32 s14, s[0:1], 0x0
	s_load_b64 s[2:3], s[0:1], 0x18
	s_load_b128 s[4:7], s[0:1], 0x8
	v_lshl_or_b32 v7, s15, 9, v0
	s_mov_b32 s11, 0
	s_mov_b32 s13, 0
	s_mov_b32 s0, exec_lo
	s_delay_alu instid0(VALU_DEP_1)
	v_or_b32_e32 v0, 0x180, v7
	s_waitcnt lgkmcnt(0)
	s_lshr_b32 s1, s8, 16
	s_lshr_b32 s9, s8, 8
	;; [unrolled: 1-line block ×3, first 2 shown]
	v_cmpx_le_i32_e64 s14, v0
	s_xor_b32 s12, exec_lo, s0
	s_cbranch_execz .LBB280_1017
; %bb.1:
	s_mov_b32 s19, -1
	s_mov_b32 s17, 0
	s_mov_b32 s15, 0
	s_mov_b32 s16, exec_lo
	v_cmpx_gt_i32_e64 s14, v7
	s_cbranch_execz .LBB280_248
; %bb.2:
	v_mul_lo_u32 v0, v7, s3
	v_cmp_lt_i16_e64 s0, s10, 11
	s_delay_alu instid0(VALU_DEP_2) | instskip(SKIP_1) | instid1(VALU_DEP_2)
	v_ashrrev_i32_e32 v1, 31, v0
	v_add_co_u32 v0, vcc_lo, s6, v0
	v_add_co_ci_u32_e32 v1, vcc_lo, s7, v1, vcc_lo
	s_delay_alu instid0(VALU_DEP_4)
	s_and_b32 vcc_lo, exec_lo, s0
	s_cbranch_vccnz .LBB280_9
; %bb.3:
	v_cmp_gt_i16_e64 s0, s10, 25
	s_delay_alu instid0(VALU_DEP_1)
	s_and_b32 vcc_lo, exec_lo, s0
	s_cbranch_vccz .LBB280_18
; %bb.4:
	v_cmp_gt_i16_e64 s0, s10, 28
	s_delay_alu instid0(VALU_DEP_1)
	s_and_b32 vcc_lo, exec_lo, s0
	s_cbranch_vccz .LBB280_21
	;; [unrolled: 5-line block ×4, first 2 shown]
; %bb.7:
	v_cmp_eq_u16_e64 s0, s10, 46
	s_delay_alu instid0(VALU_DEP_1)
	s_and_b32 vcc_lo, exec_lo, s0
	s_cbranch_vccz .LBB280_27
; %bb.8:
	global_load_b32 v2, v[0:1], off
	s_mov_b32 s0, -1
	s_waitcnt vmcnt(0)
	v_lshlrev_b32_e32 v2, 16, v2
	s_delay_alu instid0(VALU_DEP_1) | instskip(NEXT) | instid1(VALU_DEP_1)
	v_trunc_f32_e32 v2, v2
	v_mul_f32_e64 v3, 0x2f800000, |v2|
	s_delay_alu instid0(VALU_DEP_1) | instskip(NEXT) | instid1(VALU_DEP_1)
	v_floor_f32_e32 v3, v3
	v_fma_f32 v3, 0xcf800000, v3, |v2|
	v_ashrrev_i32_e32 v2, 31, v2
	s_delay_alu instid0(VALU_DEP_2) | instskip(NEXT) | instid1(VALU_DEP_1)
	v_cvt_u32_f32_e32 v3, v3
	v_xor_b32_e32 v3, v3, v2
	s_delay_alu instid0(VALU_DEP_1)
	v_sub_nc_u32_e32 v2, v3, v2
	s_branch .LBB280_29
.LBB280_9:
	s_mov_b32 s0, 0
                                        ; implicit-def: $vgpr2
	s_cbranch_execnz .LBB280_198
.LBB280_10:
	s_and_not1_b32 vcc_lo, exec_lo, s0
	s_cbranch_vccnz .LBB280_245
.LBB280_11:
	v_mul_lo_u32 v4, v7, s2
	v_and_b32_e64 v0, 0xff, s8
	s_waitcnt vmcnt(0)
	s_delay_alu instid0(VALU_DEP_3) | instskip(SKIP_2) | instid1(VALU_DEP_3)
	v_and_b32_e32 v1, 0xff, v2
	v_and_b32_e64 v3, 0xff, s1
	v_and_b32_e64 v2, 0xff, s9
	v_max_u16 v0, v1, v0
	v_ashrrev_i32_e32 v1, 31, v4
	s_delay_alu instid0(VALU_DEP_4) | instskip(NEXT) | instid1(VALU_DEP_3)
	v_cmp_gt_i16_e32 vcc_lo, 11, v3
	v_min_u16 v2, v0, v2
	v_add_co_u32 v0, s0, s4, v4
	s_delay_alu instid0(VALU_DEP_1)
	v_add_co_ci_u32_e64 v1, s0, s5, v1, s0
	s_cbranch_vccnz .LBB280_19
; %bb.12:
	v_cmp_lt_i16_e32 vcc_lo, 25, v3
	s_cbranch_vccz .LBB280_22
; %bb.13:
	v_cmp_lt_i16_e32 vcc_lo, 28, v3
	s_cbranch_vccz .LBB280_24
	;; [unrolled: 3-line block ×4, first 2 shown]
; %bb.16:
	v_cmp_eq_u16_e32 vcc_lo, 46, v3
	s_mov_b32 s18, 0
	s_mov_b32 s0, -1
	s_mov_b32 s13, 0
	s_cbranch_vccz .LBB280_33
; %bb.17:
	v_cvt_f32_ubyte0_e32 v4, v2
	s_mov_b32 s13, -1
	s_mov_b32 s0, 0
	s_delay_alu instid0(VALU_DEP_1) | instskip(NEXT) | instid1(VALU_DEP_1)
	v_bfe_u32 v5, v4, 16, 1
	v_add3_u32 v4, v4, v5, 0x7fff
	s_delay_alu instid0(VALU_DEP_1)
	v_lshrrev_b32_e32 v4, 16, v4
	global_store_b32 v[0:1], v4, off
	s_branch .LBB280_33
.LBB280_18:
	s_mov_b32 s0, 0
                                        ; implicit-def: $vgpr2
	s_cbranch_execnz .LBB280_165
	s_branch .LBB280_197
.LBB280_19:
	s_mov_b32 s0, 0
	s_mov_b32 s13, 0
	s_cbranch_execnz .LBB280_102
.LBB280_20:
	s_and_not1_b32 vcc_lo, exec_lo, s13
	s_cbranch_vccnz .LBB280_246
	s_branch .LBB280_140
.LBB280_21:
	s_mov_b32 s13, -1
	s_mov_b32 s0, 0
                                        ; implicit-def: $vgpr2
	s_branch .LBB280_148
.LBB280_22:
	s_mov_b32 s18, -1
	s_mov_b32 s0, 0
	s_mov_b32 s13, 0
	s_branch .LBB280_60
.LBB280_23:
	s_mov_b32 s13, -1
	s_mov_b32 s0, 0
                                        ; implicit-def: $vgpr2
	s_branch .LBB280_143
.LBB280_24:
	s_mov_b32 s18, -1
	s_mov_b32 s0, 0
	s_mov_b32 s13, 0
	s_branch .LBB280_43
.LBB280_25:
	s_mov_b32 s13, -1
	s_branch .LBB280_28
.LBB280_26:
	s_mov_b32 s18, -1
	s_mov_b32 s0, 0
	s_mov_b32 s13, 0
	s_branch .LBB280_39
.LBB280_27:
	s_mov_b32 s15, -1
.LBB280_28:
	s_mov_b32 s0, 0
                                        ; implicit-def: $vgpr2
.LBB280_29:
	s_and_b32 vcc_lo, exec_lo, s13
	s_cbranch_vccz .LBB280_142
; %bb.30:
	v_cmp_eq_u16_e64 s13, s10, 44
	s_delay_alu instid0(VALU_DEP_1)
	s_and_b32 vcc_lo, exec_lo, s13
	s_cbranch_vccz .LBB280_141
; %bb.31:
	global_load_u8 v2, v[0:1], off
	s_mov_b32 s15, 0
	s_mov_b32 s0, -1
	s_waitcnt vmcnt(0)
	v_lshlrev_b32_e32 v3, 23, v2
	v_cmp_ne_u32_e32 vcc_lo, 0, v2
	s_delay_alu instid0(VALU_DEP_2) | instskip(NEXT) | instid1(VALU_DEP_1)
	v_trunc_f32_e32 v3, v3
	v_mul_f32_e64 v4, 0x2f800000, |v3|
	s_delay_alu instid0(VALU_DEP_1) | instskip(NEXT) | instid1(VALU_DEP_1)
	v_floor_f32_e32 v4, v4
	v_fma_f32 v4, 0xcf800000, v4, |v3|
	v_ashrrev_i32_e32 v3, 31, v3
	s_delay_alu instid0(VALU_DEP_2) | instskip(NEXT) | instid1(VALU_DEP_1)
	v_cvt_u32_f32_e32 v4, v4
	v_xor_b32_e32 v4, v4, v3
	s_delay_alu instid0(VALU_DEP_1) | instskip(NEXT) | instid1(VALU_DEP_1)
	v_sub_nc_u32_e32 v3, v4, v3
	v_cndmask_b32_e32 v2, 0, v3, vcc_lo
	s_branch .LBB280_142
.LBB280_32:
	s_mov_b32 s18, -1
	s_mov_b32 s0, 0
	s_mov_b32 s13, 0
.LBB280_33:
	s_and_b32 vcc_lo, exec_lo, s18
	s_cbranch_vccz .LBB280_38
; %bb.34:
	v_cmp_eq_u16_e32 vcc_lo, 44, v3
	s_mov_b32 s0, -1
	s_cbranch_vccz .LBB280_38
; %bb.35:
	v_cvt_f32_ubyte0_e32 v6, v2
	v_mov_b32_e32 v5, 0xff
	s_mov_b32 s13, exec_lo
	s_delay_alu instid0(VALU_DEP_2) | instskip(NEXT) | instid1(VALU_DEP_1)
	v_lshrrev_b32_e32 v4, 23, v6
	v_cmpx_ne_u32_e32 0xff, v4
; %bb.36:
	v_and_b32_e32 v5, 0x400000, v6
	v_and_or_b32 v6, 0x3fffff, v6, v4
	s_delay_alu instid0(VALU_DEP_2) | instskip(NEXT) | instid1(VALU_DEP_2)
	v_cmp_ne_u32_e32 vcc_lo, 0, v5
	v_cmp_ne_u32_e64 s0, 0, v6
	s_delay_alu instid0(VALU_DEP_1) | instskip(NEXT) | instid1(SALU_CYCLE_1)
	s_and_b32 s0, vcc_lo, s0
	v_cndmask_b32_e64 v5, 0, 1, s0
	s_delay_alu instid0(VALU_DEP_1)
	v_add_nc_u32_e32 v5, v4, v5
; %bb.37:
	s_or_b32 exec_lo, exec_lo, s13
	s_mov_b32 s13, -1
	s_mov_b32 s0, 0
	global_store_b8 v[0:1], v5, off
.LBB280_38:
	s_mov_b32 s18, 0
.LBB280_39:
	s_delay_alu instid0(SALU_CYCLE_1)
	s_and_b32 vcc_lo, exec_lo, s18
	s_cbranch_vccz .LBB280_42
; %bb.40:
	v_cmp_eq_u16_e32 vcc_lo, 29, v3
	s_mov_b32 s0, -1
	s_cbranch_vccz .LBB280_42
; %bb.41:
	s_mov_b32 s0, 0
	s_delay_alu instid0(SALU_CYCLE_1)
	v_dual_mov_b32 v5, s0 :: v_dual_and_b32 v4, 0xffff, v2
	s_mov_b32 s13, -1
	s_mov_b32 s18, 0
	global_store_b64 v[0:1], v[4:5], off
	s_branch .LBB280_43
.LBB280_42:
	s_mov_b32 s18, 0
.LBB280_43:
	s_delay_alu instid0(SALU_CYCLE_1)
	s_and_b32 vcc_lo, exec_lo, s18
	s_cbranch_vccz .LBB280_59
; %bb.44:
	v_cmp_gt_i16_e32 vcc_lo, 27, v3
	s_mov_b32 s13, -1
	s_cbranch_vccnz .LBB280_50
; %bb.45:
	v_cmp_lt_i16_e32 vcc_lo, 27, v3
	s_cbranch_vccz .LBB280_47
; %bb.46:
	v_and_b32_e32 v4, 0xffff, v2
	s_mov_b32 s13, 0
	global_store_b32 v[0:1], v4, off
.LBB280_47:
	s_and_not1_b32 vcc_lo, exec_lo, s13
	s_cbranch_vccnz .LBB280_49
; %bb.48:
	global_store_b16 v[0:1], v2, off
.LBB280_49:
	s_mov_b32 s13, 0
.LBB280_50:
	s_delay_alu instid0(SALU_CYCLE_1)
	s_and_not1_b32 vcc_lo, exec_lo, s13
	s_cbranch_vccnz .LBB280_58
; %bb.51:
	v_cvt_f32_ubyte0_e32 v5, v2
	v_mov_b32_e32 v6, 0x80
	s_mov_b32 s13, exec_lo
	s_delay_alu instid0(VALU_DEP_2)
	v_cmpx_gt_u32_e32 0x43800000, v5
	s_cbranch_execz .LBB280_57
; %bb.52:
	s_mov_b32 s18, 0
	s_mov_b32 s19, exec_lo
                                        ; implicit-def: $vgpr4
	v_cmpx_lt_u32_e32 0x3bffffff, v5
	s_xor_b32 s19, exec_lo, s19
	s_cbranch_execz .LBB280_272
; %bb.53:
	v_bfe_u32 v4, v5, 20, 1
	s_mov_b32 s18, exec_lo
	s_delay_alu instid0(VALU_DEP_1) | instskip(NEXT) | instid1(VALU_DEP_1)
	v_add3_u32 v4, v5, v4, 0x487ffff
                                        ; implicit-def: $vgpr5
	v_lshrrev_b32_e32 v4, 20, v4
	s_or_saveexec_b32 s19, s19
                                        ; implicit-def: $sgpr20
	s_delay_alu instid0(SALU_CYCLE_1)
	s_xor_b32 exec_lo, exec_lo, s19
	s_cbranch_execnz .LBB280_273
.LBB280_54:
	s_or_b32 exec_lo, exec_lo, s19
	v_mov_b32_e32 v6, s20
	s_and_saveexec_b32 s19, s18
.LBB280_55:
	v_mov_b32_e32 v6, v4
.LBB280_56:
	s_or_b32 exec_lo, exec_lo, s19
.LBB280_57:
	s_delay_alu instid0(SALU_CYCLE_1)
	s_or_b32 exec_lo, exec_lo, s13
	global_store_b8 v[0:1], v6, off
.LBB280_58:
	s_mov_b32 s13, -1
.LBB280_59:
	s_mov_b32 s18, 0
.LBB280_60:
	s_delay_alu instid0(SALU_CYCLE_1)
	s_and_b32 vcc_lo, exec_lo, s18
	s_cbranch_vccz .LBB280_101
; %bb.61:
	v_cmp_lt_i16_e32 vcc_lo, 22, v3
	s_mov_b32 s18, -1
	s_cbranch_vccz .LBB280_93
; %bb.62:
	v_cmp_gt_i16_e32 vcc_lo, 24, v3
	s_mov_b32 s13, -1
	s_cbranch_vccnz .LBB280_82
; %bb.63:
	v_cmp_lt_i16_e32 vcc_lo, 24, v3
	s_cbranch_vccz .LBB280_71
; %bb.64:
	v_cvt_f32_ubyte0_e32 v5, v2
	v_mov_b32_e32 v6, 0x80
	s_mov_b32 s13, exec_lo
	s_delay_alu instid0(VALU_DEP_2)
	v_cmpx_gt_u32_e32 0x47800000, v5
	s_cbranch_execz .LBB280_70
; %bb.65:
	s_mov_b32 s18, 0
	s_mov_b32 s19, exec_lo
                                        ; implicit-def: $vgpr4
	v_cmpx_lt_u32_e32 0x37ffffff, v5
	s_xor_b32 s19, exec_lo, s19
	s_cbranch_execz .LBB280_276
; %bb.66:
	v_bfe_u32 v4, v5, 21, 1
	s_mov_b32 s18, exec_lo
	s_delay_alu instid0(VALU_DEP_1) | instskip(NEXT) | instid1(VALU_DEP_1)
	v_add3_u32 v4, v5, v4, 0x88fffff
                                        ; implicit-def: $vgpr5
	v_lshrrev_b32_e32 v4, 21, v4
	s_or_saveexec_b32 s19, s19
                                        ; implicit-def: $sgpr20
	s_delay_alu instid0(SALU_CYCLE_1)
	s_xor_b32 exec_lo, exec_lo, s19
	s_cbranch_execnz .LBB280_277
.LBB280_67:
	s_or_b32 exec_lo, exec_lo, s19
	v_mov_b32_e32 v6, s20
	s_and_saveexec_b32 s19, s18
.LBB280_68:
	v_mov_b32_e32 v6, v4
.LBB280_69:
	s_or_b32 exec_lo, exec_lo, s19
.LBB280_70:
	s_delay_alu instid0(SALU_CYCLE_1)
	s_or_b32 exec_lo, exec_lo, s13
	s_mov_b32 s13, 0
	global_store_b8 v[0:1], v6, off
.LBB280_71:
	s_and_b32 vcc_lo, exec_lo, s13
	s_cbranch_vccz .LBB280_81
; %bb.72:
	v_cvt_f32_ubyte0_e32 v5, v2
	s_mov_b32 s13, exec_lo
                                        ; implicit-def: $vgpr4
	s_delay_alu instid0(VALU_DEP_1)
	v_cmpx_gt_u32_e32 0x43f00000, v5
	s_xor_b32 s13, exec_lo, s13
	s_cbranch_execz .LBB280_78
; %bb.73:
	s_mov_b32 s18, exec_lo
                                        ; implicit-def: $vgpr4
	v_cmpx_lt_u32_e32 0x3c7fffff, v5
	s_xor_b32 s18, exec_lo, s18
; %bb.74:
	v_bfe_u32 v4, v5, 20, 1
	s_delay_alu instid0(VALU_DEP_1) | instskip(NEXT) | instid1(VALU_DEP_1)
	v_add3_u32 v4, v5, v4, 0x407ffff
	v_and_b32_e32 v5, 0xff00000, v4
	v_lshrrev_b32_e32 v4, 20, v4
	s_delay_alu instid0(VALU_DEP_2) | instskip(NEXT) | instid1(VALU_DEP_2)
	v_cmp_ne_u32_e32 vcc_lo, 0x7f00000, v5
                                        ; implicit-def: $vgpr5
	v_cndmask_b32_e32 v4, 0x7e, v4, vcc_lo
; %bb.75:
	s_and_not1_saveexec_b32 s18, s18
; %bb.76:
	v_add_f32_e32 v4, 0x46800000, v5
; %bb.77:
	s_or_b32 exec_lo, exec_lo, s18
                                        ; implicit-def: $vgpr5
.LBB280_78:
	s_and_not1_saveexec_b32 s13, s13
; %bb.79:
	v_mov_b32_e32 v4, 0x7f
	v_cmp_lt_u32_e32 vcc_lo, 0x7f800000, v5
	s_delay_alu instid0(VALU_DEP_2)
	v_cndmask_b32_e32 v4, 0x7e, v4, vcc_lo
; %bb.80:
	s_or_b32 exec_lo, exec_lo, s13
	global_store_b8 v[0:1], v4, off
.LBB280_81:
	s_mov_b32 s13, 0
.LBB280_82:
	s_delay_alu instid0(SALU_CYCLE_1)
	s_and_not1_b32 vcc_lo, exec_lo, s13
	s_cbranch_vccnz .LBB280_92
; %bb.83:
	v_cvt_f32_ubyte0_e32 v5, v2
	s_mov_b32 s13, exec_lo
                                        ; implicit-def: $vgpr4
	s_delay_alu instid0(VALU_DEP_1)
	v_cmpx_gt_u32_e32 0x47800000, v5
	s_xor_b32 s13, exec_lo, s13
	s_cbranch_execz .LBB280_89
; %bb.84:
	s_mov_b32 s18, exec_lo
                                        ; implicit-def: $vgpr4
	v_cmpx_lt_u32_e32 0x387fffff, v5
	s_xor_b32 s18, exec_lo, s18
; %bb.85:
	v_bfe_u32 v4, v5, 21, 1
	s_delay_alu instid0(VALU_DEP_1) | instskip(NEXT) | instid1(VALU_DEP_1)
	v_add3_u32 v4, v5, v4, 0x80fffff
                                        ; implicit-def: $vgpr5
	v_lshrrev_b32_e32 v4, 21, v4
; %bb.86:
	s_and_not1_saveexec_b32 s18, s18
; %bb.87:
	v_add_f32_e32 v4, 0x43000000, v5
; %bb.88:
	s_or_b32 exec_lo, exec_lo, s18
                                        ; implicit-def: $vgpr5
.LBB280_89:
	s_and_not1_saveexec_b32 s13, s13
; %bb.90:
	v_mov_b32_e32 v4, 0x7f
	v_cmp_lt_u32_e32 vcc_lo, 0x7f800000, v5
	s_delay_alu instid0(VALU_DEP_2)
	v_cndmask_b32_e32 v4, 0x7c, v4, vcc_lo
; %bb.91:
	s_or_b32 exec_lo, exec_lo, s13
	global_store_b8 v[0:1], v4, off
.LBB280_92:
	s_mov_b32 s18, 0
	s_mov_b32 s13, -1
.LBB280_93:
	s_and_not1_b32 vcc_lo, exec_lo, s18
	s_cbranch_vccnz .LBB280_101
; %bb.94:
	v_cmp_lt_i16_e32 vcc_lo, 14, v3
	s_mov_b32 s18, -1
	s_cbranch_vccz .LBB280_98
; %bb.95:
	v_cmp_eq_u16_e32 vcc_lo, 15, v3
	s_mov_b32 s0, -1
	s_cbranch_vccz .LBB280_97
; %bb.96:
	v_cvt_f32_ubyte0_e32 v4, v2
	s_mov_b32 s13, -1
	s_mov_b32 s0, 0
	s_delay_alu instid0(VALU_DEP_1) | instskip(NEXT) | instid1(VALU_DEP_1)
	v_bfe_u32 v5, v4, 16, 1
	v_add3_u32 v4, v4, v5, 0x7fff
	global_store_d16_hi_b16 v[0:1], v4, off
.LBB280_97:
	s_mov_b32 s18, 0
.LBB280_98:
	s_delay_alu instid0(SALU_CYCLE_1)
	s_and_b32 vcc_lo, exec_lo, s18
	s_cbranch_vccz .LBB280_101
; %bb.99:
	v_cmp_eq_u16_e32 vcc_lo, 11, v3
	s_mov_b32 s0, -1
	s_cbranch_vccz .LBB280_101
; %bb.100:
	v_cmp_ne_u16_e32 vcc_lo, 0, v2
	s_mov_b32 s0, 0
	s_mov_b32 s13, -1
	v_cndmask_b32_e64 v4, 0, 1, vcc_lo
	global_store_b8 v[0:1], v4, off
.LBB280_101:
	s_branch .LBB280_20
.LBB280_102:
	v_cmp_gt_i16_e32 vcc_lo, 5, v3
	s_mov_b32 s13, -1
	s_cbranch_vccnz .LBB280_123
; %bb.103:
	v_cmp_gt_i16_e32 vcc_lo, 8, v3
	s_cbranch_vccnz .LBB280_113
; %bb.104:
	v_cmp_gt_i16_e32 vcc_lo, 9, v3
	s_cbranch_vccnz .LBB280_110
; %bb.105:
	v_cmp_lt_i16_e32 vcc_lo, 9, v3
	s_cbranch_vccz .LBB280_107
; %bb.106:
	v_mov_b32_e32 v10, 0
	v_and_b32_e32 v4, 0xffff, v2
	s_mov_b32 s13, 0
	s_delay_alu instid0(VALU_DEP_2) | instskip(NEXT) | instid1(VALU_DEP_2)
	v_mov_b32_e32 v11, v10
	v_cvt_f64_u32_e32 v[8:9], v4
	global_store_b128 v[0:1], v[8:11], off
.LBB280_107:
	s_and_not1_b32 vcc_lo, exec_lo, s13
	s_cbranch_vccnz .LBB280_109
; %bb.108:
	v_cvt_f32_ubyte0_e32 v4, v2
	v_mov_b32_e32 v5, 0
	global_store_b64 v[0:1], v[4:5], off
.LBB280_109:
	s_mov_b32 s13, 0
.LBB280_110:
	s_delay_alu instid0(SALU_CYCLE_1)
	s_and_not1_b32 vcc_lo, exec_lo, s13
	s_cbranch_vccnz .LBB280_112
; %bb.111:
	v_cvt_f16_u16_e32 v4, v2
	s_delay_alu instid0(VALU_DEP_1)
	v_and_b32_e32 v4, 0xffff, v4
	global_store_b32 v[0:1], v4, off
.LBB280_112:
	s_mov_b32 s13, 0
.LBB280_113:
	s_delay_alu instid0(SALU_CYCLE_1)
	s_and_not1_b32 vcc_lo, exec_lo, s13
	s_cbranch_vccnz .LBB280_122
; %bb.114:
	v_cmp_gt_i16_e32 vcc_lo, 6, v3
	s_mov_b32 s13, -1
	s_cbranch_vccnz .LBB280_120
; %bb.115:
	v_cmp_lt_i16_e32 vcc_lo, 6, v3
	s_cbranch_vccz .LBB280_117
; %bb.116:
	v_and_b32_e32 v4, 0xffff, v2
	s_mov_b32 s13, 0
	s_delay_alu instid0(VALU_DEP_1)
	v_cvt_f64_u32_e32 v[4:5], v4
	global_store_b64 v[0:1], v[4:5], off
.LBB280_117:
	s_and_not1_b32 vcc_lo, exec_lo, s13
	s_cbranch_vccnz .LBB280_119
; %bb.118:
	v_cvt_f32_ubyte0_e32 v4, v2
	global_store_b32 v[0:1], v4, off
.LBB280_119:
	s_mov_b32 s13, 0
.LBB280_120:
	s_delay_alu instid0(SALU_CYCLE_1)
	s_and_not1_b32 vcc_lo, exec_lo, s13
	s_cbranch_vccnz .LBB280_122
; %bb.121:
	v_cvt_f16_u16_e32 v4, v2
	global_store_b16 v[0:1], v4, off
.LBB280_122:
	s_mov_b32 s13, 0
.LBB280_123:
	s_delay_alu instid0(SALU_CYCLE_1)
	s_and_not1_b32 vcc_lo, exec_lo, s13
	s_cbranch_vccnz .LBB280_139
; %bb.124:
	v_cmp_gt_i16_e32 vcc_lo, 2, v3
	s_mov_b32 s13, -1
	s_cbranch_vccnz .LBB280_134
; %bb.125:
	v_cmp_gt_i16_e32 vcc_lo, 3, v3
	s_cbranch_vccnz .LBB280_131
; %bb.126:
	v_cmp_lt_i16_e32 vcc_lo, 3, v3
	s_cbranch_vccz .LBB280_128
; %bb.127:
	s_mov_b32 s13, 0
	s_delay_alu instid0(SALU_CYCLE_1)
	v_dual_mov_b32 v5, s13 :: v_dual_and_b32 v4, 0xffff, v2
	global_store_b64 v[0:1], v[4:5], off
.LBB280_128:
	s_and_not1_b32 vcc_lo, exec_lo, s13
	s_cbranch_vccnz .LBB280_130
; %bb.129:
	v_and_b32_e32 v4, 0xffff, v2
	global_store_b32 v[0:1], v4, off
.LBB280_130:
	s_mov_b32 s13, 0
.LBB280_131:
	s_delay_alu instid0(SALU_CYCLE_1)
	s_and_not1_b32 vcc_lo, exec_lo, s13
	s_cbranch_vccnz .LBB280_133
; %bb.132:
	global_store_b16 v[0:1], v2, off
.LBB280_133:
	s_mov_b32 s13, 0
.LBB280_134:
	s_delay_alu instid0(SALU_CYCLE_1)
	s_and_not1_b32 vcc_lo, exec_lo, s13
	s_cbranch_vccnz .LBB280_139
; %bb.135:
	v_cmp_lt_i16_e32 vcc_lo, 0, v3
	s_mov_b32 s13, -1
	s_cbranch_vccz .LBB280_137
; %bb.136:
	s_mov_b32 s13, 0
	global_store_b8 v[0:1], v2, off
.LBB280_137:
	s_and_not1_b32 vcc_lo, exec_lo, s13
	s_cbranch_vccnz .LBB280_139
; %bb.138:
	global_store_b8 v[0:1], v2, off
.LBB280_139:
.LBB280_140:
	v_add_nc_u32_e32 v7, 0x80, v7
	s_mov_b32 s18, -1
	s_branch .LBB280_247
.LBB280_141:
	s_mov_b32 s15, -1
                                        ; implicit-def: $vgpr2
.LBB280_142:
	s_mov_b32 s13, 0
.LBB280_143:
	s_delay_alu instid0(SALU_CYCLE_1)
	s_and_b32 vcc_lo, exec_lo, s13
	s_cbranch_vccz .LBB280_147
; %bb.144:
	v_cmp_eq_u16_e64 s13, s10, 29
	s_delay_alu instid0(VALU_DEP_1)
	s_and_b32 vcc_lo, exec_lo, s13
	s_cbranch_vccz .LBB280_146
; %bb.145:
	global_load_b64 v[2:3], v[0:1], off
	s_mov_b32 s0, -1
	s_mov_b32 s15, 0
	s_branch .LBB280_147
.LBB280_146:
	s_mov_b32 s15, -1
                                        ; implicit-def: $vgpr2
.LBB280_147:
	s_mov_b32 s13, 0
.LBB280_148:
	s_delay_alu instid0(SALU_CYCLE_1)
	s_and_b32 vcc_lo, exec_lo, s13
	s_cbranch_vccz .LBB280_164
; %bb.149:
	v_cmp_lt_i16_e64 s0, s10, 27
	s_delay_alu instid0(VALU_DEP_1)
	s_and_b32 vcc_lo, exec_lo, s0
	s_cbranch_vccnz .LBB280_152
; %bb.150:
	v_cmp_gt_i16_e64 s0, s10, 27
	s_delay_alu instid0(VALU_DEP_1)
	s_and_b32 vcc_lo, exec_lo, s0
	s_cbranch_vccz .LBB280_153
; %bb.151:
	global_load_b32 v2, v[0:1], off
	s_mov_b32 s0, 0
	s_branch .LBB280_154
.LBB280_152:
	s_mov_b32 s0, -1
                                        ; implicit-def: $vgpr2
	s_branch .LBB280_157
.LBB280_153:
	s_mov_b32 s0, -1
                                        ; implicit-def: $vgpr2
.LBB280_154:
	s_delay_alu instid0(SALU_CYCLE_1)
	s_and_not1_b32 vcc_lo, exec_lo, s0
	s_cbranch_vccnz .LBB280_156
; %bb.155:
	global_load_u16 v2, v[0:1], off
.LBB280_156:
	s_mov_b32 s0, 0
.LBB280_157:
	s_delay_alu instid0(SALU_CYCLE_1)
	s_and_not1_b32 vcc_lo, exec_lo, s0
	s_cbranch_vccnz .LBB280_163
; %bb.158:
	global_load_u8 v3, v[0:1], off
	s_mov_b32 s13, 0
	s_mov_b32 s0, exec_lo
                                        ; implicit-def: $sgpr18
	s_waitcnt vmcnt(0)
	v_cmpx_lt_i16_e32 0x7f, v3
	s_xor_b32 s0, exec_lo, s0
	s_cbranch_execz .LBB280_174
; %bb.159:
	v_cmp_ne_u16_e32 vcc_lo, 0x80, v3
	s_mov_b32 s18, 0
	s_and_b32 s13, vcc_lo, exec_lo
	s_or_saveexec_b32 s0, s0
	v_mov_b32_e32 v2, s18
	s_xor_b32 exec_lo, exec_lo, s0
	s_cbranch_execnz .LBB280_175
.LBB280_160:
	s_or_b32 exec_lo, exec_lo, s0
	s_and_saveexec_b32 s0, s13
	s_cbranch_execz .LBB280_162
.LBB280_161:
	v_and_b32_e32 v2, 0xffff, v3
	s_delay_alu instid0(VALU_DEP_1) | instskip(NEXT) | instid1(VALU_DEP_1)
	v_and_b32_e32 v4, 7, v2
	v_clz_i32_u32_e32 v5, v4
	s_delay_alu instid0(VALU_DEP_1) | instskip(NEXT) | instid1(VALU_DEP_1)
	v_min_u32_e32 v5, 32, v5
	v_subrev_nc_u32_e32 v6, 28, v5
	v_sub_nc_u32_e32 v5, 29, v5
	s_delay_alu instid0(VALU_DEP_2) | instskip(SKIP_1) | instid1(VALU_DEP_2)
	v_lshlrev_b32_e32 v6, v6, v2
	v_bfe_u32 v2, v2, 3, 4
	v_and_b32_e32 v6, 7, v6
	s_delay_alu instid0(VALU_DEP_2) | instskip(SKIP_1) | instid1(VALU_DEP_1)
	v_cmp_eq_u32_e32 vcc_lo, 0, v2
	v_dual_cndmask_b32 v2, v2, v5 :: v_dual_lshlrev_b32 v3, 24, v3
	v_dual_cndmask_b32 v4, v4, v6 :: v_dual_and_b32 v3, 0x80000000, v3
	s_delay_alu instid0(VALU_DEP_2) | instskip(NEXT) | instid1(VALU_DEP_2)
	v_lshl_add_u32 v2, v2, 23, 0x3b800000
	v_lshlrev_b32_e32 v4, 20, v4
	s_delay_alu instid0(VALU_DEP_1) | instskip(NEXT) | instid1(VALU_DEP_1)
	v_or3_b32 v2, v3, v2, v4
	v_trunc_f32_e32 v2, v2
	s_delay_alu instid0(VALU_DEP_1) | instskip(NEXT) | instid1(VALU_DEP_1)
	v_mul_f32_e64 v3, 0x2f800000, |v2|
	v_floor_f32_e32 v3, v3
	s_delay_alu instid0(VALU_DEP_1) | instskip(SKIP_1) | instid1(VALU_DEP_2)
	v_fma_f32 v3, 0xcf800000, v3, |v2|
	v_ashrrev_i32_e32 v2, 31, v2
	v_cvt_u32_f32_e32 v3, v3
	s_delay_alu instid0(VALU_DEP_1) | instskip(NEXT) | instid1(VALU_DEP_1)
	v_xor_b32_e32 v3, v3, v2
	v_sub_nc_u32_e32 v2, v3, v2
.LBB280_162:
	s_or_b32 exec_lo, exec_lo, s0
.LBB280_163:
	s_mov_b32 s0, -1
.LBB280_164:
	s_branch .LBB280_197
.LBB280_165:
	v_cmp_gt_i16_e64 s13, s10, 22
	s_delay_alu instid0(VALU_DEP_1)
	s_and_b32 vcc_lo, exec_lo, s13
	s_cbranch_vccz .LBB280_173
; %bb.166:
	v_cmp_lt_i16_e64 s0, s10, 24
	s_delay_alu instid0(VALU_DEP_1)
	s_and_b32 vcc_lo, exec_lo, s0
	s_cbranch_vccnz .LBB280_176
; %bb.167:
	v_cmp_gt_i16_e64 s0, s10, 24
	s_delay_alu instid0(VALU_DEP_1)
	s_and_b32 vcc_lo, exec_lo, s0
	s_cbranch_vccz .LBB280_177
; %bb.168:
	global_load_u8 v3, v[0:1], off
	s_mov_b32 s13, 0
	s_mov_b32 s0, exec_lo
                                        ; implicit-def: $sgpr18
	s_waitcnt vmcnt(0)
	v_cmpx_lt_i16_e32 0x7f, v3
	s_xor_b32 s0, exec_lo, s0
	s_cbranch_execz .LBB280_189
; %bb.169:
	v_cmp_ne_u16_e32 vcc_lo, 0x80, v3
	s_mov_b32 s18, 0
	s_and_b32 s13, vcc_lo, exec_lo
	s_or_saveexec_b32 s0, s0
	v_mov_b32_e32 v2, s18
	s_xor_b32 exec_lo, exec_lo, s0
	s_cbranch_execnz .LBB280_190
.LBB280_170:
	s_or_b32 exec_lo, exec_lo, s0
	s_and_saveexec_b32 s0, s13
	s_cbranch_execz .LBB280_172
.LBB280_171:
	v_and_b32_e32 v2, 0xffff, v3
	s_delay_alu instid0(VALU_DEP_1) | instskip(NEXT) | instid1(VALU_DEP_1)
	v_and_b32_e32 v4, 3, v2
	v_clz_i32_u32_e32 v5, v4
	s_delay_alu instid0(VALU_DEP_1) | instskip(NEXT) | instid1(VALU_DEP_1)
	v_min_u32_e32 v5, 32, v5
	v_subrev_nc_u32_e32 v6, 29, v5
	v_sub_nc_u32_e32 v5, 30, v5
	s_delay_alu instid0(VALU_DEP_2) | instskip(SKIP_1) | instid1(VALU_DEP_2)
	v_lshlrev_b32_e32 v6, v6, v2
	v_bfe_u32 v2, v2, 2, 5
	v_and_b32_e32 v6, 3, v6
	s_delay_alu instid0(VALU_DEP_2) | instskip(SKIP_1) | instid1(VALU_DEP_1)
	v_cmp_eq_u32_e32 vcc_lo, 0, v2
	v_dual_cndmask_b32 v2, v2, v5 :: v_dual_lshlrev_b32 v3, 24, v3
	v_dual_cndmask_b32 v4, v4, v6 :: v_dual_and_b32 v3, 0x80000000, v3
	s_delay_alu instid0(VALU_DEP_2) | instskip(NEXT) | instid1(VALU_DEP_2)
	v_lshl_add_u32 v2, v2, 23, 0x37800000
	v_lshlrev_b32_e32 v4, 21, v4
	s_delay_alu instid0(VALU_DEP_1) | instskip(NEXT) | instid1(VALU_DEP_1)
	v_or3_b32 v2, v3, v2, v4
	v_trunc_f32_e32 v2, v2
	s_delay_alu instid0(VALU_DEP_1) | instskip(NEXT) | instid1(VALU_DEP_1)
	v_mul_f32_e64 v3, 0x2f800000, |v2|
	v_floor_f32_e32 v3, v3
	s_delay_alu instid0(VALU_DEP_1) | instskip(SKIP_1) | instid1(VALU_DEP_2)
	v_fma_f32 v3, 0xcf800000, v3, |v2|
	v_ashrrev_i32_e32 v2, 31, v2
	v_cvt_u32_f32_e32 v3, v3
	s_delay_alu instid0(VALU_DEP_1) | instskip(NEXT) | instid1(VALU_DEP_1)
	v_xor_b32_e32 v3, v3, v2
	v_sub_nc_u32_e32 v2, v3, v2
.LBB280_172:
	s_or_b32 exec_lo, exec_lo, s0
	s_mov_b32 s0, 0
	s_branch .LBB280_178
.LBB280_173:
	s_mov_b32 s13, -1
                                        ; implicit-def: $vgpr2
	s_branch .LBB280_184
.LBB280_174:
	s_or_saveexec_b32 s0, s0
	v_mov_b32_e32 v2, s18
	s_xor_b32 exec_lo, exec_lo, s0
	s_cbranch_execz .LBB280_160
.LBB280_175:
	v_cmp_ne_u16_e32 vcc_lo, 0, v3
	v_mov_b32_e32 v2, 0
	s_and_not1_b32 s13, s13, exec_lo
	s_and_b32 s18, vcc_lo, exec_lo
	s_delay_alu instid0(SALU_CYCLE_1)
	s_or_b32 s13, s13, s18
	s_or_b32 exec_lo, exec_lo, s0
	s_and_saveexec_b32 s0, s13
	s_cbranch_execnz .LBB280_161
	s_branch .LBB280_162
.LBB280_176:
	s_mov_b32 s0, -1
                                        ; implicit-def: $vgpr2
	s_branch .LBB280_181
.LBB280_177:
	s_mov_b32 s0, -1
                                        ; implicit-def: $vgpr2
.LBB280_178:
	s_delay_alu instid0(SALU_CYCLE_1)
	s_and_b32 vcc_lo, exec_lo, s0
	s_cbranch_vccz .LBB280_180
; %bb.179:
	global_load_u8 v2, v[0:1], off
	s_waitcnt vmcnt(0)
	v_lshlrev_b32_e32 v2, 24, v2
	s_delay_alu instid0(VALU_DEP_1) | instskip(NEXT) | instid1(VALU_DEP_1)
	v_and_b32_e32 v3, 0x7f000000, v2
	v_clz_i32_u32_e32 v4, v3
	v_add_nc_u32_e32 v6, 0x1000000, v3
	v_cmp_ne_u32_e32 vcc_lo, 0, v3
	s_delay_alu instid0(VALU_DEP_3) | instskip(NEXT) | instid1(VALU_DEP_1)
	v_min_u32_e32 v4, 32, v4
	v_sub_nc_u32_e64 v4, v4, 4 clamp
	s_delay_alu instid0(VALU_DEP_1) | instskip(SKIP_1) | instid1(VALU_DEP_2)
	v_lshlrev_b32_e32 v5, v4, v3
	v_lshlrev_b32_e32 v4, 23, v4
	v_lshrrev_b32_e32 v5, 4, v5
	s_delay_alu instid0(VALU_DEP_1) | instskip(SKIP_1) | instid1(VALU_DEP_2)
	v_sub_nc_u32_e32 v4, v5, v4
	v_ashrrev_i32_e32 v5, 8, v6
	v_add_nc_u32_e32 v4, 0x3c000000, v4
	s_delay_alu instid0(VALU_DEP_1) | instskip(NEXT) | instid1(VALU_DEP_1)
	v_and_or_b32 v4, 0x7f800000, v5, v4
	v_cndmask_b32_e32 v3, 0, v4, vcc_lo
	s_delay_alu instid0(VALU_DEP_1) | instskip(NEXT) | instid1(VALU_DEP_1)
	v_and_or_b32 v2, 0x80000000, v2, v3
	v_trunc_f32_e32 v2, v2
	s_delay_alu instid0(VALU_DEP_1) | instskip(NEXT) | instid1(VALU_DEP_1)
	v_mul_f32_e64 v3, 0x2f800000, |v2|
	v_floor_f32_e32 v3, v3
	s_delay_alu instid0(VALU_DEP_1) | instskip(SKIP_1) | instid1(VALU_DEP_2)
	v_fma_f32 v3, 0xcf800000, v3, |v2|
	v_ashrrev_i32_e32 v2, 31, v2
	v_cvt_u32_f32_e32 v3, v3
	s_delay_alu instid0(VALU_DEP_1) | instskip(NEXT) | instid1(VALU_DEP_1)
	v_xor_b32_e32 v3, v3, v2
	v_sub_nc_u32_e32 v2, v3, v2
.LBB280_180:
	s_mov_b32 s0, 0
.LBB280_181:
	s_delay_alu instid0(SALU_CYCLE_1)
	s_and_not1_b32 vcc_lo, exec_lo, s0
	s_cbranch_vccnz .LBB280_183
; %bb.182:
	global_load_u8 v2, v[0:1], off
	s_waitcnt vmcnt(0)
	v_lshlrev_b32_e32 v3, 25, v2
	v_lshlrev_b16 v2, 8, v2
	s_delay_alu instid0(VALU_DEP_2) | instskip(NEXT) | instid1(VALU_DEP_2)
	v_lshrrev_b32_e32 v4, 4, v3
	v_and_or_b32 v5, 0x7f00, v2, 0.5
	v_bfe_i32 v2, v2, 0, 16
	s_delay_alu instid0(VALU_DEP_3) | instskip(NEXT) | instid1(VALU_DEP_1)
	v_or_b32_e32 v4, 0x70000000, v4
	v_dual_add_f32 v5, -0.5, v5 :: v_dual_mul_f32 v4, 0x7800000, v4
	v_cmp_gt_u32_e32 vcc_lo, 0x8000000, v3
	s_delay_alu instid0(VALU_DEP_2) | instskip(NEXT) | instid1(VALU_DEP_1)
	v_cndmask_b32_e32 v3, v4, v5, vcc_lo
	v_and_or_b32 v2, 0x80000000, v2, v3
	s_delay_alu instid0(VALU_DEP_1) | instskip(NEXT) | instid1(VALU_DEP_1)
	v_trunc_f32_e32 v2, v2
	v_mul_f32_e64 v3, 0x2f800000, |v2|
	s_delay_alu instid0(VALU_DEP_1) | instskip(NEXT) | instid1(VALU_DEP_1)
	v_floor_f32_e32 v3, v3
	v_fma_f32 v3, 0xcf800000, v3, |v2|
	v_ashrrev_i32_e32 v2, 31, v2
	s_delay_alu instid0(VALU_DEP_2) | instskip(NEXT) | instid1(VALU_DEP_1)
	v_cvt_u32_f32_e32 v3, v3
	v_xor_b32_e32 v3, v3, v2
	s_delay_alu instid0(VALU_DEP_1)
	v_sub_nc_u32_e32 v2, v3, v2
.LBB280_183:
	s_mov_b32 s13, 0
	s_mov_b32 s0, -1
.LBB280_184:
	s_and_not1_b32 vcc_lo, exec_lo, s13
	s_cbranch_vccnz .LBB280_197
; %bb.185:
	v_cmp_gt_i16_e64 s13, s10, 14
	s_delay_alu instid0(VALU_DEP_1)
	s_and_b32 vcc_lo, exec_lo, s13
	s_cbranch_vccz .LBB280_188
; %bb.186:
	v_cmp_eq_u16_e64 s13, s10, 15
	s_delay_alu instid0(VALU_DEP_1)
	s_and_b32 vcc_lo, exec_lo, s13
	s_cbranch_vccz .LBB280_191
; %bb.187:
	global_load_u16 v2, v[0:1], off
	s_mov_b32 s0, -1
	s_mov_b32 s15, 0
	s_waitcnt vmcnt(0)
	v_lshlrev_b32_e32 v2, 16, v2
	s_delay_alu instid0(VALU_DEP_1) | instskip(NEXT) | instid1(VALU_DEP_1)
	v_trunc_f32_e32 v2, v2
	v_mul_f32_e64 v3, 0x2f800000, |v2|
	s_delay_alu instid0(VALU_DEP_1) | instskip(NEXT) | instid1(VALU_DEP_1)
	v_floor_f32_e32 v3, v3
	v_fma_f32 v3, 0xcf800000, v3, |v2|
	v_ashrrev_i32_e32 v2, 31, v2
	s_delay_alu instid0(VALU_DEP_2) | instskip(NEXT) | instid1(VALU_DEP_1)
	v_cvt_u32_f32_e32 v3, v3
	v_xor_b32_e32 v3, v3, v2
	s_delay_alu instid0(VALU_DEP_1)
	v_sub_nc_u32_e32 v2, v3, v2
	s_branch .LBB280_192
.LBB280_188:
	s_mov_b32 s13, -1
                                        ; implicit-def: $vgpr2
	s_branch .LBB280_193
.LBB280_189:
	s_or_saveexec_b32 s0, s0
	v_mov_b32_e32 v2, s18
	s_xor_b32 exec_lo, exec_lo, s0
	s_cbranch_execz .LBB280_170
.LBB280_190:
	v_cmp_ne_u16_e32 vcc_lo, 0, v3
	v_mov_b32_e32 v2, 0
	s_and_not1_b32 s13, s13, exec_lo
	s_and_b32 s18, vcc_lo, exec_lo
	s_delay_alu instid0(SALU_CYCLE_1)
	s_or_b32 s13, s13, s18
	s_or_b32 exec_lo, exec_lo, s0
	s_and_saveexec_b32 s0, s13
	s_cbranch_execnz .LBB280_171
	s_branch .LBB280_172
.LBB280_191:
	s_mov_b32 s15, -1
                                        ; implicit-def: $vgpr2
.LBB280_192:
	s_mov_b32 s13, 0
.LBB280_193:
	s_delay_alu instid0(SALU_CYCLE_1)
	s_and_b32 vcc_lo, exec_lo, s13
	s_cbranch_vccz .LBB280_197
; %bb.194:
	v_cmp_eq_u16_e64 s13, s10, 11
	s_delay_alu instid0(VALU_DEP_1)
	s_and_b32 vcc_lo, exec_lo, s13
	s_cbranch_vccz .LBB280_196
; %bb.195:
	global_load_u8 v2, v[0:1], off
	s_mov_b32 s15, 0
	s_mov_b32 s0, -1
	s_waitcnt vmcnt(0)
	v_cmp_ne_u16_e32 vcc_lo, 0, v2
	v_cndmask_b32_e64 v2, 0, 1, vcc_lo
	s_branch .LBB280_197
.LBB280_196:
	s_mov_b32 s15, -1
                                        ; implicit-def: $vgpr2
.LBB280_197:
	s_branch .LBB280_10
.LBB280_198:
	v_cmp_lt_i16_e64 s0, s10, 5
	s_delay_alu instid0(VALU_DEP_1)
	s_and_b32 vcc_lo, exec_lo, s0
	s_cbranch_vccnz .LBB280_203
; %bb.199:
	v_cmp_lt_i16_e64 s0, s10, 8
	s_delay_alu instid0(VALU_DEP_1)
	s_and_b32 vcc_lo, exec_lo, s0
	s_cbranch_vccnz .LBB280_204
; %bb.200:
	;; [unrolled: 5-line block ×3, first 2 shown]
	v_cmp_gt_i16_e64 s0, s10, 9
	s_delay_alu instid0(VALU_DEP_1)
	s_and_b32 vcc_lo, exec_lo, s0
	s_cbranch_vccz .LBB280_206
; %bb.202:
	global_load_b64 v[2:3], v[0:1], off
	s_mov_b32 s0, 0
	s_waitcnt vmcnt(0)
	v_trunc_f64_e32 v[2:3], v[2:3]
	s_delay_alu instid0(VALU_DEP_1) | instskip(NEXT) | instid1(VALU_DEP_1)
	v_ldexp_f64 v[4:5], v[2:3], 0xffffffe0
	v_floor_f64_e32 v[4:5], v[4:5]
	s_delay_alu instid0(VALU_DEP_1) | instskip(NEXT) | instid1(VALU_DEP_1)
	v_fma_f64 v[2:3], 0xc1f00000, v[4:5], v[2:3]
	v_cvt_u32_f64_e32 v2, v[2:3]
	s_branch .LBB280_207
.LBB280_203:
                                        ; implicit-def: $vgpr2
	s_branch .LBB280_225
.LBB280_204:
	s_mov_b32 s0, -1
                                        ; implicit-def: $vgpr2
	s_branch .LBB280_213
.LBB280_205:
	s_mov_b32 s0, -1
                                        ; implicit-def: $vgpr2
	s_branch .LBB280_210
.LBB280_206:
	s_mov_b32 s0, -1
                                        ; implicit-def: $vgpr2
.LBB280_207:
	s_delay_alu instid0(SALU_CYCLE_1)
	s_and_not1_b32 vcc_lo, exec_lo, s0
	s_cbranch_vccnz .LBB280_209
; %bb.208:
	global_load_b32 v2, v[0:1], off
	s_waitcnt vmcnt(0)
	v_trunc_f32_e32 v2, v2
	s_delay_alu instid0(VALU_DEP_1) | instskip(NEXT) | instid1(VALU_DEP_1)
	v_mul_f32_e64 v3, 0x2f800000, |v2|
	v_floor_f32_e32 v3, v3
	s_delay_alu instid0(VALU_DEP_1) | instskip(SKIP_1) | instid1(VALU_DEP_2)
	v_fma_f32 v3, 0xcf800000, v3, |v2|
	v_ashrrev_i32_e32 v2, 31, v2
	v_cvt_u32_f32_e32 v3, v3
	s_delay_alu instid0(VALU_DEP_1) | instskip(NEXT) | instid1(VALU_DEP_1)
	v_xor_b32_e32 v3, v3, v2
	v_sub_nc_u32_e32 v2, v3, v2
.LBB280_209:
	s_mov_b32 s0, 0
.LBB280_210:
	s_delay_alu instid0(SALU_CYCLE_1)
	s_and_not1_b32 vcc_lo, exec_lo, s0
	s_cbranch_vccnz .LBB280_212
; %bb.211:
	global_load_b32 v2, v[0:1], off
	s_waitcnt vmcnt(0)
	v_cvt_f32_f16_e32 v2, v2
	s_delay_alu instid0(VALU_DEP_1)
	v_cvt_i32_f32_e32 v2, v2
.LBB280_212:
	s_mov_b32 s0, 0
.LBB280_213:
	s_delay_alu instid0(SALU_CYCLE_1)
	s_and_not1_b32 vcc_lo, exec_lo, s0
	s_cbranch_vccnz .LBB280_224
; %bb.214:
	v_cmp_lt_i16_e64 s0, s10, 6
	s_delay_alu instid0(VALU_DEP_1)
	s_and_b32 vcc_lo, exec_lo, s0
	s_cbranch_vccnz .LBB280_217
; %bb.215:
	v_cmp_gt_i16_e64 s0, s10, 6
	s_delay_alu instid0(VALU_DEP_1)
	s_and_b32 vcc_lo, exec_lo, s0
	s_cbranch_vccz .LBB280_218
; %bb.216:
	global_load_b64 v[2:3], v[0:1], off
	s_mov_b32 s0, 0
	s_waitcnt vmcnt(0)
	v_trunc_f64_e32 v[2:3], v[2:3]
	s_delay_alu instid0(VALU_DEP_1) | instskip(NEXT) | instid1(VALU_DEP_1)
	v_ldexp_f64 v[4:5], v[2:3], 0xffffffe0
	v_floor_f64_e32 v[4:5], v[4:5]
	s_delay_alu instid0(VALU_DEP_1) | instskip(NEXT) | instid1(VALU_DEP_1)
	v_fma_f64 v[2:3], 0xc1f00000, v[4:5], v[2:3]
	v_cvt_u32_f64_e32 v2, v[2:3]
	s_branch .LBB280_219
.LBB280_217:
	s_mov_b32 s0, -1
                                        ; implicit-def: $vgpr2
	s_branch .LBB280_222
.LBB280_218:
	s_mov_b32 s0, -1
                                        ; implicit-def: $vgpr2
.LBB280_219:
	s_delay_alu instid0(SALU_CYCLE_1)
	s_and_not1_b32 vcc_lo, exec_lo, s0
	s_cbranch_vccnz .LBB280_221
; %bb.220:
	global_load_b32 v2, v[0:1], off
	s_waitcnt vmcnt(0)
	v_trunc_f32_e32 v2, v2
	s_delay_alu instid0(VALU_DEP_1) | instskip(NEXT) | instid1(VALU_DEP_1)
	v_mul_f32_e64 v3, 0x2f800000, |v2|
	v_floor_f32_e32 v3, v3
	s_delay_alu instid0(VALU_DEP_1) | instskip(SKIP_1) | instid1(VALU_DEP_2)
	v_fma_f32 v3, 0xcf800000, v3, |v2|
	v_ashrrev_i32_e32 v2, 31, v2
	v_cvt_u32_f32_e32 v3, v3
	s_delay_alu instid0(VALU_DEP_1) | instskip(NEXT) | instid1(VALU_DEP_1)
	v_xor_b32_e32 v3, v3, v2
	v_sub_nc_u32_e32 v2, v3, v2
.LBB280_221:
	s_mov_b32 s0, 0
.LBB280_222:
	s_delay_alu instid0(SALU_CYCLE_1)
	s_and_not1_b32 vcc_lo, exec_lo, s0
	s_cbranch_vccnz .LBB280_224
; %bb.223:
	global_load_u16 v2, v[0:1], off
	s_waitcnt vmcnt(0)
	v_cvt_f32_f16_e32 v2, v2
	s_delay_alu instid0(VALU_DEP_1)
	v_cvt_i32_f32_e32 v2, v2
.LBB280_224:
	s_cbranch_execnz .LBB280_244
.LBB280_225:
	v_cmp_lt_i16_e64 s0, s10, 2
	s_delay_alu instid0(VALU_DEP_1)
	s_and_b32 vcc_lo, exec_lo, s0
	s_cbranch_vccnz .LBB280_229
; %bb.226:
	v_cmp_lt_i16_e64 s0, s10, 3
	s_delay_alu instid0(VALU_DEP_1)
	s_and_b32 vcc_lo, exec_lo, s0
	s_cbranch_vccnz .LBB280_230
; %bb.227:
	v_cmp_gt_i16_e64 s0, s10, 3
	s_delay_alu instid0(VALU_DEP_1)
	s_and_b32 vcc_lo, exec_lo, s0
	s_cbranch_vccz .LBB280_231
; %bb.228:
	global_load_b64 v[2:3], v[0:1], off
	s_mov_b32 s0, 0
	s_branch .LBB280_232
.LBB280_229:
	s_mov_b32 s0, -1
                                        ; implicit-def: $vgpr2
	s_branch .LBB280_238
.LBB280_230:
	s_mov_b32 s0, -1
                                        ; implicit-def: $vgpr2
	s_branch .LBB280_235
.LBB280_231:
	s_mov_b32 s0, -1
                                        ; implicit-def: $vgpr2
.LBB280_232:
	s_delay_alu instid0(SALU_CYCLE_1)
	s_and_not1_b32 vcc_lo, exec_lo, s0
	s_cbranch_vccnz .LBB280_234
; %bb.233:
	global_load_b32 v2, v[0:1], off
.LBB280_234:
	s_mov_b32 s0, 0
.LBB280_235:
	s_delay_alu instid0(SALU_CYCLE_1)
	s_and_not1_b32 vcc_lo, exec_lo, s0
	s_cbranch_vccnz .LBB280_237
; %bb.236:
	global_load_u16 v2, v[0:1], off
.LBB280_237:
	s_mov_b32 s0, 0
.LBB280_238:
	s_delay_alu instid0(SALU_CYCLE_1)
	s_and_not1_b32 vcc_lo, exec_lo, s0
	s_cbranch_vccnz .LBB280_244
; %bb.239:
	v_cmp_gt_i16_e64 s0, s10, 0
	s_delay_alu instid0(VALU_DEP_1)
	s_and_b32 vcc_lo, exec_lo, s0
	s_mov_b32 s0, 0
	s_cbranch_vccz .LBB280_241
; %bb.240:
	global_load_u8 v2, v[0:1], off
	s_branch .LBB280_242
.LBB280_241:
	s_mov_b32 s0, -1
                                        ; implicit-def: $vgpr2
.LBB280_242:
	s_delay_alu instid0(SALU_CYCLE_1)
	s_and_not1_b32 vcc_lo, exec_lo, s0
	s_cbranch_vccnz .LBB280_244
; %bb.243:
	global_load_u8 v2, v[0:1], off
.LBB280_244:
	s_branch .LBB280_11
.LBB280_245:
	s_mov_b32 s0, 0
.LBB280_246:
	s_mov_b32 s18, 0
                                        ; implicit-def: $vgpr7
.LBB280_247:
	s_and_b32 s13, s0, exec_lo
	s_and_b32 s15, s15, exec_lo
	s_or_not1_b32 s19, s18, exec_lo
.LBB280_248:
	s_or_b32 exec_lo, exec_lo, s16
	s_mov_b32 s18, 0
	s_mov_b32 s0, 0
                                        ; implicit-def: $vgpr0_vgpr1
                                        ; implicit-def: $vgpr2
	s_and_saveexec_b32 s16, s19
	s_cbranch_execz .LBB280_844
; %bb.249:
	s_mov_b32 s0, -1
	s_mov_b32 s17, s15
	s_mov_b32 s18, s13
	s_mov_b32 s19, exec_lo
	v_cmpx_gt_i32_e64 s14, v7
	s_cbranch_execz .LBB280_504
; %bb.250:
	v_mul_lo_u32 v0, v7, s3
	v_cmp_lt_i16_e64 s0, s10, 11
	s_delay_alu instid0(VALU_DEP_2) | instskip(SKIP_1) | instid1(VALU_DEP_2)
	v_ashrrev_i32_e32 v1, 31, v0
	v_add_co_u32 v0, vcc_lo, s6, v0
	v_add_co_ci_u32_e32 v1, vcc_lo, s7, v1, vcc_lo
	s_delay_alu instid0(VALU_DEP_4)
	s_and_b32 vcc_lo, exec_lo, s0
	s_cbranch_vccnz .LBB280_257
; %bb.251:
	v_cmp_gt_i16_e64 s0, s10, 25
	s_delay_alu instid0(VALU_DEP_1)
	s_and_b32 vcc_lo, exec_lo, s0
	s_cbranch_vccz .LBB280_266
; %bb.252:
	v_cmp_gt_i16_e64 s0, s10, 28
	s_delay_alu instid0(VALU_DEP_1)
	s_and_b32 vcc_lo, exec_lo, s0
	s_cbranch_vccz .LBB280_268
	;; [unrolled: 5-line block ×4, first 2 shown]
; %bb.255:
	v_cmp_eq_u16_e64 s0, s10, 46
	s_mov_b32 s18, 0
	s_delay_alu instid0(VALU_DEP_1)
	s_and_b32 vcc_lo, exec_lo, s0
	s_cbranch_vccz .LBB280_278
; %bb.256:
	global_load_b32 v2, v[0:1], off
	s_mov_b32 s0, -1
	s_mov_b32 s17, 0
	s_waitcnt vmcnt(0)
	v_lshlrev_b32_e32 v2, 16, v2
	s_delay_alu instid0(VALU_DEP_1) | instskip(NEXT) | instid1(VALU_DEP_1)
	v_trunc_f32_e32 v2, v2
	v_mul_f32_e64 v3, 0x2f800000, |v2|
	s_delay_alu instid0(VALU_DEP_1) | instskip(NEXT) | instid1(VALU_DEP_1)
	v_floor_f32_e32 v3, v3
	v_fma_f32 v3, 0xcf800000, v3, |v2|
	v_ashrrev_i32_e32 v2, 31, v2
	s_delay_alu instid0(VALU_DEP_2) | instskip(NEXT) | instid1(VALU_DEP_1)
	v_cvt_u32_f32_e32 v3, v3
	v_xor_b32_e32 v3, v3, v2
	s_delay_alu instid0(VALU_DEP_1)
	v_sub_nc_u32_e32 v2, v3, v2
	s_branch .LBB280_280
.LBB280_257:
	s_mov_b32 s0, 0
	s_mov_b32 s17, s15
                                        ; implicit-def: $vgpr2
	s_cbranch_execnz .LBB280_453
.LBB280_258:
	s_and_not1_b32 vcc_lo, exec_lo, s0
	s_cbranch_vccnz .LBB280_501
.LBB280_259:
	v_mul_lo_u32 v4, v7, s2
	v_and_b32_e64 v0, 0xff, s8
	s_waitcnt vmcnt(0)
	s_delay_alu instid0(VALU_DEP_3) | instskip(SKIP_2) | instid1(VALU_DEP_3)
	v_and_b32_e32 v1, 0xff, v2
	v_and_b32_e64 v3, 0xff, s1
	v_and_b32_e64 v2, 0xff, s9
	v_max_u16 v0, v1, v0
	v_ashrrev_i32_e32 v1, 31, v4
	s_delay_alu instid0(VALU_DEP_4) | instskip(NEXT) | instid1(VALU_DEP_3)
	v_cmp_gt_i16_e32 vcc_lo, 11, v3
	v_min_u16 v2, v0, v2
	v_add_co_u32 v0, s0, s4, v4
	s_delay_alu instid0(VALU_DEP_1)
	v_add_co_ci_u32_e64 v1, s0, s5, v1, s0
	s_cbranch_vccnz .LBB280_267
; %bb.260:
	v_cmp_lt_i16_e32 vcc_lo, 25, v3
	s_cbranch_vccz .LBB280_269
; %bb.261:
	v_cmp_lt_i16_e32 vcc_lo, 28, v3
	s_cbranch_vccz .LBB280_271
	;; [unrolled: 3-line block ×4, first 2 shown]
; %bb.264:
	v_cmp_eq_u16_e32 vcc_lo, 46, v3
	s_mov_b32 s20, 0
	s_mov_b32 s0, -1
	s_mov_b32 s18, 0
	s_cbranch_vccz .LBB280_284
; %bb.265:
	v_cvt_f32_ubyte0_e32 v4, v2
	s_mov_b32 s18, -1
	s_mov_b32 s0, 0
	s_delay_alu instid0(VALU_DEP_1) | instskip(NEXT) | instid1(VALU_DEP_1)
	v_bfe_u32 v5, v4, 16, 1
	v_add3_u32 v4, v4, v5, 0x7fff
	s_delay_alu instid0(VALU_DEP_1)
	v_lshrrev_b32_e32 v4, 16, v4
	global_store_b32 v[0:1], v4, off
	s_branch .LBB280_284
.LBB280_266:
	s_mov_b32 s18, -1
	s_mov_b32 s0, 0
	s_mov_b32 s17, s15
                                        ; implicit-def: $vgpr2
	s_branch .LBB280_419
.LBB280_267:
	s_mov_b32 s20, -1
	s_mov_b32 s18, 0
	s_mov_b32 s0, s13
	s_branch .LBB280_353
.LBB280_268:
	s_mov_b32 s18, -1
	s_mov_b32 s0, 0
	s_mov_b32 s17, s15
                                        ; implicit-def: $vgpr2
	s_branch .LBB280_402
.LBB280_269:
	s_mov_b32 s20, -1
	s_mov_b32 s18, 0
	s_mov_b32 s0, s13
	s_branch .LBB280_311
.LBB280_270:
	s_mov_b32 s18, -1
	s_mov_b32 s0, 0
	s_mov_b32 s17, s15
                                        ; implicit-def: $vgpr2
	s_branch .LBB280_397
.LBB280_271:
	s_mov_b32 s20, -1
	s_mov_b32 s18, 0
	s_mov_b32 s0, s13
	s_branch .LBB280_294
.LBB280_272:
	s_or_saveexec_b32 s19, s19
                                        ; implicit-def: $sgpr20
	s_delay_alu instid0(SALU_CYCLE_1)
	s_xor_b32 exec_lo, exec_lo, s19
	s_cbranch_execz .LBB280_54
.LBB280_273:
	v_add_f32_e32 v4, 0x46000000, v5
	s_and_not1_b32 s18, s18, exec_lo
	s_mov_b32 s20, 0
	s_delay_alu instid0(VALU_DEP_1) | instskip(NEXT) | instid1(VALU_DEP_1)
	v_and_b32_e32 v4, 0xff, v4
	v_cmp_ne_u32_e32 vcc_lo, 0, v4
	s_and_b32 s21, vcc_lo, exec_lo
	s_delay_alu instid0(SALU_CYCLE_1)
	s_or_b32 s18, s18, s21
	s_or_b32 exec_lo, exec_lo, s19
	v_mov_b32_e32 v6, s20
	s_and_saveexec_b32 s19, s18
	s_cbranch_execnz .LBB280_55
	s_branch .LBB280_56
.LBB280_274:
	s_mov_b32 s18, -1
	s_mov_b32 s0, 0
	s_mov_b32 s17, s15
	s_branch .LBB280_279
.LBB280_275:
	s_mov_b32 s20, -1
	s_mov_b32 s18, 0
	s_mov_b32 s0, s13
	s_branch .LBB280_290
.LBB280_276:
	s_or_saveexec_b32 s19, s19
                                        ; implicit-def: $sgpr20
	s_delay_alu instid0(SALU_CYCLE_1)
	s_xor_b32 exec_lo, exec_lo, s19
	s_cbranch_execz .LBB280_67
.LBB280_277:
	v_add_f32_e32 v4, 0x42800000, v5
	s_and_not1_b32 s18, s18, exec_lo
	s_mov_b32 s20, 0
	s_delay_alu instid0(VALU_DEP_1) | instskip(NEXT) | instid1(VALU_DEP_1)
	v_and_b32_e32 v4, 0xff, v4
	v_cmp_ne_u32_e32 vcc_lo, 0, v4
	s_and_b32 s21, vcc_lo, exec_lo
	s_delay_alu instid0(SALU_CYCLE_1)
	s_or_b32 s18, s18, s21
	s_or_b32 exec_lo, exec_lo, s19
	v_mov_b32_e32 v6, s20
	s_and_saveexec_b32 s19, s18
	s_cbranch_execnz .LBB280_68
	s_branch .LBB280_69
.LBB280_278:
	s_mov_b32 s17, -1
	s_mov_b32 s0, 0
.LBB280_279:
                                        ; implicit-def: $vgpr2
.LBB280_280:
	s_and_b32 vcc_lo, exec_lo, s18
	s_cbranch_vccz .LBB280_396
; %bb.281:
	v_cmp_eq_u16_e64 s17, s10, 44
	s_delay_alu instid0(VALU_DEP_1)
	s_and_b32 vcc_lo, exec_lo, s17
	s_cbranch_vccz .LBB280_395
; %bb.282:
	global_load_u8 v2, v[0:1], off
	s_mov_b32 s17, 0
	s_mov_b32 s0, -1
	s_waitcnt vmcnt(0)
	v_lshlrev_b32_e32 v3, 23, v2
	v_cmp_ne_u32_e32 vcc_lo, 0, v2
	s_delay_alu instid0(VALU_DEP_2) | instskip(NEXT) | instid1(VALU_DEP_1)
	v_trunc_f32_e32 v3, v3
	v_mul_f32_e64 v4, 0x2f800000, |v3|
	s_delay_alu instid0(VALU_DEP_1) | instskip(NEXT) | instid1(VALU_DEP_1)
	v_floor_f32_e32 v4, v4
	v_fma_f32 v4, 0xcf800000, v4, |v3|
	v_ashrrev_i32_e32 v3, 31, v3
	s_delay_alu instid0(VALU_DEP_2) | instskip(NEXT) | instid1(VALU_DEP_1)
	v_cvt_u32_f32_e32 v4, v4
	v_xor_b32_e32 v4, v4, v3
	s_delay_alu instid0(VALU_DEP_1) | instskip(NEXT) | instid1(VALU_DEP_1)
	v_sub_nc_u32_e32 v3, v4, v3
	v_cndmask_b32_e32 v2, 0, v3, vcc_lo
	s_branch .LBB280_396
.LBB280_283:
	s_mov_b32 s20, -1
	s_mov_b32 s18, 0
	s_mov_b32 s0, s13
.LBB280_284:
	s_and_b32 vcc_lo, exec_lo, s20
	s_cbranch_vccz .LBB280_289
; %bb.285:
	v_cmp_eq_u16_e32 vcc_lo, 44, v3
	s_mov_b32 s0, -1
	s_cbranch_vccz .LBB280_289
; %bb.286:
	v_cvt_f32_ubyte0_e32 v6, v2
	v_mov_b32_e32 v5, 0xff
	s_mov_b32 s18, exec_lo
	s_delay_alu instid0(VALU_DEP_2) | instskip(NEXT) | instid1(VALU_DEP_1)
	v_lshrrev_b32_e32 v4, 23, v6
	v_cmpx_ne_u32_e32 0xff, v4
; %bb.287:
	v_and_b32_e32 v5, 0x400000, v6
	v_and_or_b32 v6, 0x3fffff, v6, v4
	s_delay_alu instid0(VALU_DEP_2) | instskip(NEXT) | instid1(VALU_DEP_2)
	v_cmp_ne_u32_e32 vcc_lo, 0, v5
	v_cmp_ne_u32_e64 s0, 0, v6
	s_delay_alu instid0(VALU_DEP_1) | instskip(NEXT) | instid1(SALU_CYCLE_1)
	s_and_b32 s0, vcc_lo, s0
	v_cndmask_b32_e64 v5, 0, 1, s0
	s_delay_alu instid0(VALU_DEP_1)
	v_add_nc_u32_e32 v5, v4, v5
; %bb.288:
	s_or_b32 exec_lo, exec_lo, s18
	s_mov_b32 s18, -1
	s_mov_b32 s0, 0
	global_store_b8 v[0:1], v5, off
.LBB280_289:
	s_mov_b32 s20, 0
.LBB280_290:
	s_delay_alu instid0(SALU_CYCLE_1)
	s_and_b32 vcc_lo, exec_lo, s20
	s_cbranch_vccz .LBB280_293
; %bb.291:
	v_cmp_eq_u16_e32 vcc_lo, 29, v3
	s_mov_b32 s0, -1
	s_cbranch_vccz .LBB280_293
; %bb.292:
	s_mov_b32 s0, 0
	s_delay_alu instid0(SALU_CYCLE_1)
	v_dual_mov_b32 v5, s0 :: v_dual_and_b32 v4, 0xffff, v2
	s_mov_b32 s18, -1
	s_mov_b32 s20, 0
	global_store_b64 v[0:1], v[4:5], off
	s_branch .LBB280_294
.LBB280_293:
	s_mov_b32 s20, 0
.LBB280_294:
	s_delay_alu instid0(SALU_CYCLE_1)
	s_and_b32 vcc_lo, exec_lo, s20
	s_cbranch_vccz .LBB280_310
; %bb.295:
	v_cmp_gt_i16_e32 vcc_lo, 27, v3
	s_mov_b32 s18, -1
	s_cbranch_vccnz .LBB280_301
; %bb.296:
	v_cmp_lt_i16_e32 vcc_lo, 27, v3
	s_cbranch_vccz .LBB280_298
; %bb.297:
	v_and_b32_e32 v4, 0xffff, v2
	s_mov_b32 s18, 0
	global_store_b32 v[0:1], v4, off
.LBB280_298:
	s_and_not1_b32 vcc_lo, exec_lo, s18
	s_cbranch_vccnz .LBB280_300
; %bb.299:
	global_store_b16 v[0:1], v2, off
.LBB280_300:
	s_mov_b32 s18, 0
.LBB280_301:
	s_delay_alu instid0(SALU_CYCLE_1)
	s_and_not1_b32 vcc_lo, exec_lo, s18
	s_cbranch_vccnz .LBB280_309
; %bb.302:
	v_cvt_f32_ubyte0_e32 v5, v2
	v_mov_b32_e32 v6, 0x80
	s_mov_b32 s18, exec_lo
	s_delay_alu instid0(VALU_DEP_2)
	v_cmpx_gt_u32_e32 0x43800000, v5
	s_cbranch_execz .LBB280_308
; %bb.303:
	s_mov_b32 s20, 0
	s_mov_b32 s21, exec_lo
                                        ; implicit-def: $vgpr4
	v_cmpx_lt_u32_e32 0x3bffffff, v5
	s_xor_b32 s21, exec_lo, s21
	s_cbranch_execz .LBB280_517
; %bb.304:
	v_bfe_u32 v4, v5, 20, 1
	s_mov_b32 s20, exec_lo
	s_delay_alu instid0(VALU_DEP_1) | instskip(NEXT) | instid1(VALU_DEP_1)
	v_add3_u32 v4, v5, v4, 0x487ffff
                                        ; implicit-def: $vgpr5
	v_lshrrev_b32_e32 v4, 20, v4
	s_or_saveexec_b32 s21, s21
                                        ; implicit-def: $sgpr22
	s_delay_alu instid0(SALU_CYCLE_1)
	s_xor_b32 exec_lo, exec_lo, s21
	s_cbranch_execnz .LBB280_518
.LBB280_305:
	s_or_b32 exec_lo, exec_lo, s21
	v_mov_b32_e32 v6, s22
	s_and_saveexec_b32 s21, s20
.LBB280_306:
	v_mov_b32_e32 v6, v4
.LBB280_307:
	s_or_b32 exec_lo, exec_lo, s21
.LBB280_308:
	s_delay_alu instid0(SALU_CYCLE_1)
	s_or_b32 exec_lo, exec_lo, s18
	global_store_b8 v[0:1], v6, off
.LBB280_309:
	s_mov_b32 s18, -1
.LBB280_310:
	s_mov_b32 s20, 0
.LBB280_311:
	s_delay_alu instid0(SALU_CYCLE_1)
	s_and_b32 vcc_lo, exec_lo, s20
	s_cbranch_vccz .LBB280_352
; %bb.312:
	v_cmp_lt_i16_e32 vcc_lo, 22, v3
	s_mov_b32 s20, -1
	s_cbranch_vccz .LBB280_344
; %bb.313:
	v_cmp_gt_i16_e32 vcc_lo, 24, v3
	s_mov_b32 s18, -1
	s_cbranch_vccnz .LBB280_333
; %bb.314:
	v_cmp_lt_i16_e32 vcc_lo, 24, v3
	s_cbranch_vccz .LBB280_322
; %bb.315:
	v_cvt_f32_ubyte0_e32 v5, v2
	v_mov_b32_e32 v6, 0x80
	s_mov_b32 s18, exec_lo
	s_delay_alu instid0(VALU_DEP_2)
	v_cmpx_gt_u32_e32 0x47800000, v5
	s_cbranch_execz .LBB280_321
; %bb.316:
	s_mov_b32 s20, 0
	s_mov_b32 s21, exec_lo
                                        ; implicit-def: $vgpr4
	v_cmpx_lt_u32_e32 0x37ffffff, v5
	s_xor_b32 s21, exec_lo, s21
	s_cbranch_execz .LBB280_520
; %bb.317:
	v_bfe_u32 v4, v5, 21, 1
	s_mov_b32 s20, exec_lo
	s_delay_alu instid0(VALU_DEP_1) | instskip(NEXT) | instid1(VALU_DEP_1)
	v_add3_u32 v4, v5, v4, 0x88fffff
                                        ; implicit-def: $vgpr5
	v_lshrrev_b32_e32 v4, 21, v4
	s_or_saveexec_b32 s21, s21
                                        ; implicit-def: $sgpr22
	s_delay_alu instid0(SALU_CYCLE_1)
	s_xor_b32 exec_lo, exec_lo, s21
	s_cbranch_execnz .LBB280_521
.LBB280_318:
	s_or_b32 exec_lo, exec_lo, s21
	v_mov_b32_e32 v6, s22
	s_and_saveexec_b32 s21, s20
.LBB280_319:
	v_mov_b32_e32 v6, v4
.LBB280_320:
	s_or_b32 exec_lo, exec_lo, s21
.LBB280_321:
	s_delay_alu instid0(SALU_CYCLE_1)
	s_or_b32 exec_lo, exec_lo, s18
	s_mov_b32 s18, 0
	global_store_b8 v[0:1], v6, off
.LBB280_322:
	s_and_b32 vcc_lo, exec_lo, s18
	s_cbranch_vccz .LBB280_332
; %bb.323:
	v_cvt_f32_ubyte0_e32 v5, v2
	s_mov_b32 s18, exec_lo
                                        ; implicit-def: $vgpr4
	s_delay_alu instid0(VALU_DEP_1)
	v_cmpx_gt_u32_e32 0x43f00000, v5
	s_xor_b32 s18, exec_lo, s18
	s_cbranch_execz .LBB280_329
; %bb.324:
	s_mov_b32 s20, exec_lo
                                        ; implicit-def: $vgpr4
	v_cmpx_lt_u32_e32 0x3c7fffff, v5
	s_xor_b32 s20, exec_lo, s20
; %bb.325:
	v_bfe_u32 v4, v5, 20, 1
	s_delay_alu instid0(VALU_DEP_1) | instskip(NEXT) | instid1(VALU_DEP_1)
	v_add3_u32 v4, v5, v4, 0x407ffff
	v_and_b32_e32 v5, 0xff00000, v4
	v_lshrrev_b32_e32 v4, 20, v4
	s_delay_alu instid0(VALU_DEP_2) | instskip(NEXT) | instid1(VALU_DEP_2)
	v_cmp_ne_u32_e32 vcc_lo, 0x7f00000, v5
                                        ; implicit-def: $vgpr5
	v_cndmask_b32_e32 v4, 0x7e, v4, vcc_lo
; %bb.326:
	s_and_not1_saveexec_b32 s20, s20
; %bb.327:
	v_add_f32_e32 v4, 0x46800000, v5
; %bb.328:
	s_or_b32 exec_lo, exec_lo, s20
                                        ; implicit-def: $vgpr5
.LBB280_329:
	s_and_not1_saveexec_b32 s18, s18
; %bb.330:
	v_mov_b32_e32 v4, 0x7f
	v_cmp_lt_u32_e32 vcc_lo, 0x7f800000, v5
	s_delay_alu instid0(VALU_DEP_2)
	v_cndmask_b32_e32 v4, 0x7e, v4, vcc_lo
; %bb.331:
	s_or_b32 exec_lo, exec_lo, s18
	global_store_b8 v[0:1], v4, off
.LBB280_332:
	s_mov_b32 s18, 0
.LBB280_333:
	s_delay_alu instid0(SALU_CYCLE_1)
	s_and_not1_b32 vcc_lo, exec_lo, s18
	s_cbranch_vccnz .LBB280_343
; %bb.334:
	v_cvt_f32_ubyte0_e32 v5, v2
	s_mov_b32 s18, exec_lo
                                        ; implicit-def: $vgpr4
	s_delay_alu instid0(VALU_DEP_1)
	v_cmpx_gt_u32_e32 0x47800000, v5
	s_xor_b32 s18, exec_lo, s18
	s_cbranch_execz .LBB280_340
; %bb.335:
	s_mov_b32 s20, exec_lo
                                        ; implicit-def: $vgpr4
	v_cmpx_lt_u32_e32 0x387fffff, v5
	s_xor_b32 s20, exec_lo, s20
; %bb.336:
	v_bfe_u32 v4, v5, 21, 1
	s_delay_alu instid0(VALU_DEP_1) | instskip(NEXT) | instid1(VALU_DEP_1)
	v_add3_u32 v4, v5, v4, 0x80fffff
                                        ; implicit-def: $vgpr5
	v_lshrrev_b32_e32 v4, 21, v4
; %bb.337:
	s_and_not1_saveexec_b32 s20, s20
; %bb.338:
	v_add_f32_e32 v4, 0x43000000, v5
; %bb.339:
	s_or_b32 exec_lo, exec_lo, s20
                                        ; implicit-def: $vgpr5
.LBB280_340:
	s_and_not1_saveexec_b32 s18, s18
; %bb.341:
	v_mov_b32_e32 v4, 0x7f
	v_cmp_lt_u32_e32 vcc_lo, 0x7f800000, v5
	s_delay_alu instid0(VALU_DEP_2)
	v_cndmask_b32_e32 v4, 0x7c, v4, vcc_lo
; %bb.342:
	s_or_b32 exec_lo, exec_lo, s18
	global_store_b8 v[0:1], v4, off
.LBB280_343:
	s_mov_b32 s20, 0
	s_mov_b32 s18, -1
.LBB280_344:
	s_and_not1_b32 vcc_lo, exec_lo, s20
	s_cbranch_vccnz .LBB280_352
; %bb.345:
	v_cmp_lt_i16_e32 vcc_lo, 14, v3
	s_mov_b32 s20, -1
	s_cbranch_vccz .LBB280_349
; %bb.346:
	v_cmp_eq_u16_e32 vcc_lo, 15, v3
	s_mov_b32 s0, -1
	s_cbranch_vccz .LBB280_348
; %bb.347:
	v_cvt_f32_ubyte0_e32 v4, v2
	s_mov_b32 s18, -1
	s_mov_b32 s0, 0
	s_delay_alu instid0(VALU_DEP_1) | instskip(NEXT) | instid1(VALU_DEP_1)
	v_bfe_u32 v5, v4, 16, 1
	v_add3_u32 v4, v4, v5, 0x7fff
	global_store_d16_hi_b16 v[0:1], v4, off
.LBB280_348:
	s_mov_b32 s20, 0
.LBB280_349:
	s_delay_alu instid0(SALU_CYCLE_1)
	s_and_b32 vcc_lo, exec_lo, s20
	s_cbranch_vccz .LBB280_352
; %bb.350:
	v_cmp_eq_u16_e32 vcc_lo, 11, v3
	s_mov_b32 s0, -1
	s_cbranch_vccz .LBB280_352
; %bb.351:
	v_cmp_ne_u16_e32 vcc_lo, 0, v2
	s_mov_b32 s0, 0
	s_mov_b32 s18, -1
	v_cndmask_b32_e64 v4, 0, 1, vcc_lo
	global_store_b8 v[0:1], v4, off
.LBB280_352:
	s_mov_b32 s20, 0
.LBB280_353:
	s_delay_alu instid0(SALU_CYCLE_1)
	s_and_b32 vcc_lo, exec_lo, s20
	s_cbranch_vccz .LBB280_392
; %bb.354:
	v_cmp_gt_i16_e32 vcc_lo, 5, v3
	s_mov_b32 s18, -1
	s_cbranch_vccnz .LBB280_375
; %bb.355:
	v_cmp_gt_i16_e32 vcc_lo, 8, v3
	s_cbranch_vccnz .LBB280_365
; %bb.356:
	v_cmp_gt_i16_e32 vcc_lo, 9, v3
	s_cbranch_vccnz .LBB280_362
; %bb.357:
	v_cmp_lt_i16_e32 vcc_lo, 9, v3
	s_cbranch_vccz .LBB280_359
; %bb.358:
	v_mov_b32_e32 v10, 0
	v_and_b32_e32 v4, 0xffff, v2
	s_mov_b32 s18, 0
	s_delay_alu instid0(VALU_DEP_2) | instskip(NEXT) | instid1(VALU_DEP_2)
	v_mov_b32_e32 v11, v10
	v_cvt_f64_u32_e32 v[8:9], v4
	global_store_b128 v[0:1], v[8:11], off
.LBB280_359:
	s_and_not1_b32 vcc_lo, exec_lo, s18
	s_cbranch_vccnz .LBB280_361
; %bb.360:
	v_cvt_f32_ubyte0_e32 v4, v2
	v_mov_b32_e32 v5, 0
	global_store_b64 v[0:1], v[4:5], off
.LBB280_361:
	s_mov_b32 s18, 0
.LBB280_362:
	s_delay_alu instid0(SALU_CYCLE_1)
	s_and_not1_b32 vcc_lo, exec_lo, s18
	s_cbranch_vccnz .LBB280_364
; %bb.363:
	v_cvt_f16_u16_e32 v4, v2
	s_delay_alu instid0(VALU_DEP_1)
	v_and_b32_e32 v4, 0xffff, v4
	global_store_b32 v[0:1], v4, off
.LBB280_364:
	s_mov_b32 s18, 0
.LBB280_365:
	s_delay_alu instid0(SALU_CYCLE_1)
	s_and_not1_b32 vcc_lo, exec_lo, s18
	s_cbranch_vccnz .LBB280_374
; %bb.366:
	v_cmp_gt_i16_e32 vcc_lo, 6, v3
	s_mov_b32 s18, -1
	s_cbranch_vccnz .LBB280_372
; %bb.367:
	v_cmp_lt_i16_e32 vcc_lo, 6, v3
	s_cbranch_vccz .LBB280_369
; %bb.368:
	v_and_b32_e32 v4, 0xffff, v2
	s_mov_b32 s18, 0
	s_delay_alu instid0(VALU_DEP_1)
	v_cvt_f64_u32_e32 v[4:5], v4
	global_store_b64 v[0:1], v[4:5], off
.LBB280_369:
	s_and_not1_b32 vcc_lo, exec_lo, s18
	s_cbranch_vccnz .LBB280_371
; %bb.370:
	v_cvt_f32_ubyte0_e32 v4, v2
	global_store_b32 v[0:1], v4, off
.LBB280_371:
	s_mov_b32 s18, 0
.LBB280_372:
	s_delay_alu instid0(SALU_CYCLE_1)
	s_and_not1_b32 vcc_lo, exec_lo, s18
	s_cbranch_vccnz .LBB280_374
; %bb.373:
	v_cvt_f16_u16_e32 v4, v2
	global_store_b16 v[0:1], v4, off
.LBB280_374:
	s_mov_b32 s18, 0
.LBB280_375:
	s_delay_alu instid0(SALU_CYCLE_1)
	s_and_not1_b32 vcc_lo, exec_lo, s18
	s_cbranch_vccnz .LBB280_391
; %bb.376:
	v_cmp_gt_i16_e32 vcc_lo, 2, v3
	s_mov_b32 s18, -1
	s_cbranch_vccnz .LBB280_386
; %bb.377:
	v_cmp_gt_i16_e32 vcc_lo, 3, v3
	s_cbranch_vccnz .LBB280_383
; %bb.378:
	v_cmp_lt_i16_e32 vcc_lo, 3, v3
	s_cbranch_vccz .LBB280_380
; %bb.379:
	s_mov_b32 s18, 0
	s_delay_alu instid0(SALU_CYCLE_1)
	v_dual_mov_b32 v5, s18 :: v_dual_and_b32 v4, 0xffff, v2
	global_store_b64 v[0:1], v[4:5], off
.LBB280_380:
	s_and_not1_b32 vcc_lo, exec_lo, s18
	s_cbranch_vccnz .LBB280_382
; %bb.381:
	v_and_b32_e32 v4, 0xffff, v2
	global_store_b32 v[0:1], v4, off
.LBB280_382:
	s_mov_b32 s18, 0
.LBB280_383:
	s_delay_alu instid0(SALU_CYCLE_1)
	s_and_not1_b32 vcc_lo, exec_lo, s18
	s_cbranch_vccnz .LBB280_385
; %bb.384:
	global_store_b16 v[0:1], v2, off
.LBB280_385:
	s_mov_b32 s18, 0
.LBB280_386:
	s_delay_alu instid0(SALU_CYCLE_1)
	s_and_not1_b32 vcc_lo, exec_lo, s18
	s_cbranch_vccnz .LBB280_391
; %bb.387:
	v_cmp_lt_i16_e32 vcc_lo, 0, v3
	s_mov_b32 s18, -1
	s_cbranch_vccz .LBB280_389
; %bb.388:
	s_mov_b32 s18, 0
	global_store_b8 v[0:1], v2, off
.LBB280_389:
	s_and_not1_b32 vcc_lo, exec_lo, s18
	s_cbranch_vccnz .LBB280_391
; %bb.390:
	global_store_b8 v[0:1], v2, off
.LBB280_391:
	s_mov_b32 s18, -1
.LBB280_392:
	s_delay_alu instid0(SALU_CYCLE_1)
	s_and_not1_b32 vcc_lo, exec_lo, s18
	s_cbranch_vccnz .LBB280_394
; %bb.393:
	v_add_nc_u32_e32 v7, 0x80, v7
	s_mov_b32 s20, -1
	s_branch .LBB280_503
.LBB280_394:
	s_mov_b32 s20, 0
	s_branch .LBB280_502
.LBB280_395:
	s_mov_b32 s17, -1
                                        ; implicit-def: $vgpr2
.LBB280_396:
	s_mov_b32 s18, 0
.LBB280_397:
	s_delay_alu instid0(SALU_CYCLE_1)
	s_and_b32 vcc_lo, exec_lo, s18
	s_cbranch_vccz .LBB280_401
; %bb.398:
	v_cmp_eq_u16_e64 s17, s10, 29
	s_delay_alu instid0(VALU_DEP_1)
	s_and_b32 vcc_lo, exec_lo, s17
	s_cbranch_vccz .LBB280_400
; %bb.399:
	global_load_b64 v[2:3], v[0:1], off
	s_mov_b32 s0, -1
	s_mov_b32 s17, 0
	s_branch .LBB280_401
.LBB280_400:
	s_mov_b32 s17, -1
                                        ; implicit-def: $vgpr2
.LBB280_401:
	s_mov_b32 s18, 0
.LBB280_402:
	s_delay_alu instid0(SALU_CYCLE_1)
	s_and_b32 vcc_lo, exec_lo, s18
	s_cbranch_vccz .LBB280_418
; %bb.403:
	v_cmp_lt_i16_e64 s0, s10, 27
	s_delay_alu instid0(VALU_DEP_1)
	s_and_b32 vcc_lo, exec_lo, s0
	s_cbranch_vccnz .LBB280_406
; %bb.404:
	v_cmp_gt_i16_e64 s0, s10, 27
	s_delay_alu instid0(VALU_DEP_1)
	s_and_b32 vcc_lo, exec_lo, s0
	s_cbranch_vccz .LBB280_407
; %bb.405:
	global_load_b32 v2, v[0:1], off
	s_mov_b32 s0, 0
	s_branch .LBB280_408
.LBB280_406:
	s_mov_b32 s0, -1
                                        ; implicit-def: $vgpr2
	s_branch .LBB280_411
.LBB280_407:
	s_mov_b32 s0, -1
                                        ; implicit-def: $vgpr2
.LBB280_408:
	s_delay_alu instid0(SALU_CYCLE_1)
	s_and_not1_b32 vcc_lo, exec_lo, s0
	s_cbranch_vccnz .LBB280_410
; %bb.409:
	global_load_u16 v2, v[0:1], off
.LBB280_410:
	s_mov_b32 s0, 0
.LBB280_411:
	s_delay_alu instid0(SALU_CYCLE_1)
	s_and_not1_b32 vcc_lo, exec_lo, s0
	s_cbranch_vccnz .LBB280_417
; %bb.412:
	global_load_u8 v3, v[0:1], off
	s_mov_b32 s18, 0
	s_mov_b32 s0, exec_lo
                                        ; implicit-def: $sgpr20
	s_waitcnt vmcnt(0)
	v_cmpx_lt_i16_e32 0x7f, v3
	s_xor_b32 s0, exec_lo, s0
	s_cbranch_execz .LBB280_429
; %bb.413:
	v_cmp_ne_u16_e32 vcc_lo, 0x80, v3
	s_mov_b32 s20, 0
	s_and_b32 s18, vcc_lo, exec_lo
	s_or_saveexec_b32 s0, s0
	v_mov_b32_e32 v2, s20
	s_xor_b32 exec_lo, exec_lo, s0
	s_cbranch_execnz .LBB280_430
.LBB280_414:
	s_or_b32 exec_lo, exec_lo, s0
	s_and_saveexec_b32 s0, s18
	s_cbranch_execz .LBB280_416
.LBB280_415:
	v_and_b32_e32 v2, 0xffff, v3
	s_delay_alu instid0(VALU_DEP_1) | instskip(NEXT) | instid1(VALU_DEP_1)
	v_and_b32_e32 v4, 7, v2
	v_clz_i32_u32_e32 v5, v4
	s_delay_alu instid0(VALU_DEP_1) | instskip(NEXT) | instid1(VALU_DEP_1)
	v_min_u32_e32 v5, 32, v5
	v_subrev_nc_u32_e32 v6, 28, v5
	v_sub_nc_u32_e32 v5, 29, v5
	s_delay_alu instid0(VALU_DEP_2) | instskip(SKIP_1) | instid1(VALU_DEP_2)
	v_lshlrev_b32_e32 v6, v6, v2
	v_bfe_u32 v2, v2, 3, 4
	v_and_b32_e32 v6, 7, v6
	s_delay_alu instid0(VALU_DEP_2) | instskip(SKIP_1) | instid1(VALU_DEP_1)
	v_cmp_eq_u32_e32 vcc_lo, 0, v2
	v_dual_cndmask_b32 v2, v2, v5 :: v_dual_lshlrev_b32 v3, 24, v3
	v_dual_cndmask_b32 v4, v4, v6 :: v_dual_and_b32 v3, 0x80000000, v3
	s_delay_alu instid0(VALU_DEP_2) | instskip(NEXT) | instid1(VALU_DEP_2)
	v_lshl_add_u32 v2, v2, 23, 0x3b800000
	v_lshlrev_b32_e32 v4, 20, v4
	s_delay_alu instid0(VALU_DEP_1) | instskip(NEXT) | instid1(VALU_DEP_1)
	v_or3_b32 v2, v3, v2, v4
	v_trunc_f32_e32 v2, v2
	s_delay_alu instid0(VALU_DEP_1) | instskip(NEXT) | instid1(VALU_DEP_1)
	v_mul_f32_e64 v3, 0x2f800000, |v2|
	v_floor_f32_e32 v3, v3
	s_delay_alu instid0(VALU_DEP_1) | instskip(SKIP_1) | instid1(VALU_DEP_2)
	v_fma_f32 v3, 0xcf800000, v3, |v2|
	v_ashrrev_i32_e32 v2, 31, v2
	v_cvt_u32_f32_e32 v3, v3
	s_delay_alu instid0(VALU_DEP_1) | instskip(NEXT) | instid1(VALU_DEP_1)
	v_xor_b32_e32 v3, v3, v2
	v_sub_nc_u32_e32 v2, v3, v2
.LBB280_416:
	s_or_b32 exec_lo, exec_lo, s0
.LBB280_417:
	s_mov_b32 s0, -1
.LBB280_418:
	s_mov_b32 s18, 0
.LBB280_419:
	s_delay_alu instid0(SALU_CYCLE_1)
	s_and_b32 vcc_lo, exec_lo, s18
	s_cbranch_vccz .LBB280_452
; %bb.420:
	v_cmp_gt_i16_e64 s18, s10, 22
	s_delay_alu instid0(VALU_DEP_1)
	s_and_b32 vcc_lo, exec_lo, s18
	s_cbranch_vccz .LBB280_428
; %bb.421:
	v_cmp_lt_i16_e64 s0, s10, 24
	s_delay_alu instid0(VALU_DEP_1)
	s_and_b32 vcc_lo, exec_lo, s0
	s_cbranch_vccnz .LBB280_431
; %bb.422:
	v_cmp_gt_i16_e64 s0, s10, 24
	s_delay_alu instid0(VALU_DEP_1)
	s_and_b32 vcc_lo, exec_lo, s0
	s_cbranch_vccz .LBB280_432
; %bb.423:
	global_load_u8 v3, v[0:1], off
	s_mov_b32 s18, 0
	s_mov_b32 s0, exec_lo
                                        ; implicit-def: $sgpr20
	s_waitcnt vmcnt(0)
	v_cmpx_lt_i16_e32 0x7f, v3
	s_xor_b32 s0, exec_lo, s0
	s_cbranch_execz .LBB280_444
; %bb.424:
	v_cmp_ne_u16_e32 vcc_lo, 0x80, v3
	s_mov_b32 s20, 0
	s_and_b32 s18, vcc_lo, exec_lo
	s_or_saveexec_b32 s0, s0
	v_mov_b32_e32 v2, s20
	s_xor_b32 exec_lo, exec_lo, s0
	s_cbranch_execnz .LBB280_445
.LBB280_425:
	s_or_b32 exec_lo, exec_lo, s0
	s_and_saveexec_b32 s0, s18
	s_cbranch_execz .LBB280_427
.LBB280_426:
	v_and_b32_e32 v2, 0xffff, v3
	s_delay_alu instid0(VALU_DEP_1) | instskip(NEXT) | instid1(VALU_DEP_1)
	v_and_b32_e32 v4, 3, v2
	v_clz_i32_u32_e32 v5, v4
	s_delay_alu instid0(VALU_DEP_1) | instskip(NEXT) | instid1(VALU_DEP_1)
	v_min_u32_e32 v5, 32, v5
	v_subrev_nc_u32_e32 v6, 29, v5
	v_sub_nc_u32_e32 v5, 30, v5
	s_delay_alu instid0(VALU_DEP_2) | instskip(SKIP_1) | instid1(VALU_DEP_2)
	v_lshlrev_b32_e32 v6, v6, v2
	v_bfe_u32 v2, v2, 2, 5
	v_and_b32_e32 v6, 3, v6
	s_delay_alu instid0(VALU_DEP_2) | instskip(SKIP_1) | instid1(VALU_DEP_1)
	v_cmp_eq_u32_e32 vcc_lo, 0, v2
	v_dual_cndmask_b32 v2, v2, v5 :: v_dual_lshlrev_b32 v3, 24, v3
	v_dual_cndmask_b32 v4, v4, v6 :: v_dual_and_b32 v3, 0x80000000, v3
	s_delay_alu instid0(VALU_DEP_2) | instskip(NEXT) | instid1(VALU_DEP_2)
	v_lshl_add_u32 v2, v2, 23, 0x37800000
	v_lshlrev_b32_e32 v4, 21, v4
	s_delay_alu instid0(VALU_DEP_1) | instskip(NEXT) | instid1(VALU_DEP_1)
	v_or3_b32 v2, v3, v2, v4
	v_trunc_f32_e32 v2, v2
	s_delay_alu instid0(VALU_DEP_1) | instskip(NEXT) | instid1(VALU_DEP_1)
	v_mul_f32_e64 v3, 0x2f800000, |v2|
	v_floor_f32_e32 v3, v3
	s_delay_alu instid0(VALU_DEP_1) | instskip(SKIP_1) | instid1(VALU_DEP_2)
	v_fma_f32 v3, 0xcf800000, v3, |v2|
	v_ashrrev_i32_e32 v2, 31, v2
	v_cvt_u32_f32_e32 v3, v3
	s_delay_alu instid0(VALU_DEP_1) | instskip(NEXT) | instid1(VALU_DEP_1)
	v_xor_b32_e32 v3, v3, v2
	v_sub_nc_u32_e32 v2, v3, v2
.LBB280_427:
	s_or_b32 exec_lo, exec_lo, s0
	s_mov_b32 s0, 0
	s_branch .LBB280_433
.LBB280_428:
	s_mov_b32 s18, -1
                                        ; implicit-def: $vgpr2
	s_branch .LBB280_439
.LBB280_429:
	s_or_saveexec_b32 s0, s0
	v_mov_b32_e32 v2, s20
	s_xor_b32 exec_lo, exec_lo, s0
	s_cbranch_execz .LBB280_414
.LBB280_430:
	v_cmp_ne_u16_e32 vcc_lo, 0, v3
	v_mov_b32_e32 v2, 0
	s_and_not1_b32 s18, s18, exec_lo
	s_and_b32 s20, vcc_lo, exec_lo
	s_delay_alu instid0(SALU_CYCLE_1)
	s_or_b32 s18, s18, s20
	s_or_b32 exec_lo, exec_lo, s0
	s_and_saveexec_b32 s0, s18
	s_cbranch_execnz .LBB280_415
	s_branch .LBB280_416
.LBB280_431:
	s_mov_b32 s0, -1
                                        ; implicit-def: $vgpr2
	s_branch .LBB280_436
.LBB280_432:
	s_mov_b32 s0, -1
                                        ; implicit-def: $vgpr2
.LBB280_433:
	s_delay_alu instid0(SALU_CYCLE_1)
	s_and_b32 vcc_lo, exec_lo, s0
	s_cbranch_vccz .LBB280_435
; %bb.434:
	global_load_u8 v2, v[0:1], off
	s_waitcnt vmcnt(0)
	v_lshlrev_b32_e32 v2, 24, v2
	s_delay_alu instid0(VALU_DEP_1) | instskip(NEXT) | instid1(VALU_DEP_1)
	v_and_b32_e32 v3, 0x7f000000, v2
	v_clz_i32_u32_e32 v4, v3
	v_add_nc_u32_e32 v6, 0x1000000, v3
	v_cmp_ne_u32_e32 vcc_lo, 0, v3
	s_delay_alu instid0(VALU_DEP_3) | instskip(NEXT) | instid1(VALU_DEP_1)
	v_min_u32_e32 v4, 32, v4
	v_sub_nc_u32_e64 v4, v4, 4 clamp
	s_delay_alu instid0(VALU_DEP_1) | instskip(SKIP_1) | instid1(VALU_DEP_2)
	v_lshlrev_b32_e32 v5, v4, v3
	v_lshlrev_b32_e32 v4, 23, v4
	v_lshrrev_b32_e32 v5, 4, v5
	s_delay_alu instid0(VALU_DEP_1) | instskip(SKIP_1) | instid1(VALU_DEP_2)
	v_sub_nc_u32_e32 v4, v5, v4
	v_ashrrev_i32_e32 v5, 8, v6
	v_add_nc_u32_e32 v4, 0x3c000000, v4
	s_delay_alu instid0(VALU_DEP_1) | instskip(NEXT) | instid1(VALU_DEP_1)
	v_and_or_b32 v4, 0x7f800000, v5, v4
	v_cndmask_b32_e32 v3, 0, v4, vcc_lo
	s_delay_alu instid0(VALU_DEP_1) | instskip(NEXT) | instid1(VALU_DEP_1)
	v_and_or_b32 v2, 0x80000000, v2, v3
	v_trunc_f32_e32 v2, v2
	s_delay_alu instid0(VALU_DEP_1) | instskip(NEXT) | instid1(VALU_DEP_1)
	v_mul_f32_e64 v3, 0x2f800000, |v2|
	v_floor_f32_e32 v3, v3
	s_delay_alu instid0(VALU_DEP_1) | instskip(SKIP_1) | instid1(VALU_DEP_2)
	v_fma_f32 v3, 0xcf800000, v3, |v2|
	v_ashrrev_i32_e32 v2, 31, v2
	v_cvt_u32_f32_e32 v3, v3
	s_delay_alu instid0(VALU_DEP_1) | instskip(NEXT) | instid1(VALU_DEP_1)
	v_xor_b32_e32 v3, v3, v2
	v_sub_nc_u32_e32 v2, v3, v2
.LBB280_435:
	s_mov_b32 s0, 0
.LBB280_436:
	s_delay_alu instid0(SALU_CYCLE_1)
	s_and_not1_b32 vcc_lo, exec_lo, s0
	s_cbranch_vccnz .LBB280_438
; %bb.437:
	global_load_u8 v2, v[0:1], off
	s_waitcnt vmcnt(0)
	v_lshlrev_b32_e32 v3, 25, v2
	v_lshlrev_b16 v2, 8, v2
	s_delay_alu instid0(VALU_DEP_2) | instskip(NEXT) | instid1(VALU_DEP_2)
	v_lshrrev_b32_e32 v4, 4, v3
	v_and_or_b32 v5, 0x7f00, v2, 0.5
	v_bfe_i32 v2, v2, 0, 16
	s_delay_alu instid0(VALU_DEP_3) | instskip(NEXT) | instid1(VALU_DEP_1)
	v_or_b32_e32 v4, 0x70000000, v4
	v_dual_add_f32 v5, -0.5, v5 :: v_dual_mul_f32 v4, 0x7800000, v4
	v_cmp_gt_u32_e32 vcc_lo, 0x8000000, v3
	s_delay_alu instid0(VALU_DEP_2) | instskip(NEXT) | instid1(VALU_DEP_1)
	v_cndmask_b32_e32 v3, v4, v5, vcc_lo
	v_and_or_b32 v2, 0x80000000, v2, v3
	s_delay_alu instid0(VALU_DEP_1) | instskip(NEXT) | instid1(VALU_DEP_1)
	v_trunc_f32_e32 v2, v2
	v_mul_f32_e64 v3, 0x2f800000, |v2|
	s_delay_alu instid0(VALU_DEP_1) | instskip(NEXT) | instid1(VALU_DEP_1)
	v_floor_f32_e32 v3, v3
	v_fma_f32 v3, 0xcf800000, v3, |v2|
	v_ashrrev_i32_e32 v2, 31, v2
	s_delay_alu instid0(VALU_DEP_2) | instskip(NEXT) | instid1(VALU_DEP_1)
	v_cvt_u32_f32_e32 v3, v3
	v_xor_b32_e32 v3, v3, v2
	s_delay_alu instid0(VALU_DEP_1)
	v_sub_nc_u32_e32 v2, v3, v2
.LBB280_438:
	s_mov_b32 s18, 0
	s_mov_b32 s0, -1
.LBB280_439:
	s_and_not1_b32 vcc_lo, exec_lo, s18
	s_cbranch_vccnz .LBB280_452
; %bb.440:
	v_cmp_gt_i16_e64 s18, s10, 14
	s_delay_alu instid0(VALU_DEP_1)
	s_and_b32 vcc_lo, exec_lo, s18
	s_cbranch_vccz .LBB280_443
; %bb.441:
	v_cmp_eq_u16_e64 s17, s10, 15
	s_delay_alu instid0(VALU_DEP_1)
	s_and_b32 vcc_lo, exec_lo, s17
	s_cbranch_vccz .LBB280_446
; %bb.442:
	global_load_u16 v2, v[0:1], off
	s_mov_b32 s0, -1
	s_mov_b32 s17, 0
	s_waitcnt vmcnt(0)
	v_lshlrev_b32_e32 v2, 16, v2
	s_delay_alu instid0(VALU_DEP_1) | instskip(NEXT) | instid1(VALU_DEP_1)
	v_trunc_f32_e32 v2, v2
	v_mul_f32_e64 v3, 0x2f800000, |v2|
	s_delay_alu instid0(VALU_DEP_1) | instskip(NEXT) | instid1(VALU_DEP_1)
	v_floor_f32_e32 v3, v3
	v_fma_f32 v3, 0xcf800000, v3, |v2|
	v_ashrrev_i32_e32 v2, 31, v2
	s_delay_alu instid0(VALU_DEP_2) | instskip(NEXT) | instid1(VALU_DEP_1)
	v_cvt_u32_f32_e32 v3, v3
	v_xor_b32_e32 v3, v3, v2
	s_delay_alu instid0(VALU_DEP_1)
	v_sub_nc_u32_e32 v2, v3, v2
	s_branch .LBB280_447
.LBB280_443:
	s_mov_b32 s18, -1
                                        ; implicit-def: $vgpr2
	s_branch .LBB280_448
.LBB280_444:
	s_or_saveexec_b32 s0, s0
	v_mov_b32_e32 v2, s20
	s_xor_b32 exec_lo, exec_lo, s0
	s_cbranch_execz .LBB280_425
.LBB280_445:
	v_cmp_ne_u16_e32 vcc_lo, 0, v3
	v_mov_b32_e32 v2, 0
	s_and_not1_b32 s18, s18, exec_lo
	s_and_b32 s20, vcc_lo, exec_lo
	s_delay_alu instid0(SALU_CYCLE_1)
	s_or_b32 s18, s18, s20
	s_or_b32 exec_lo, exec_lo, s0
	s_and_saveexec_b32 s0, s18
	s_cbranch_execnz .LBB280_426
	s_branch .LBB280_427
.LBB280_446:
	s_mov_b32 s17, -1
                                        ; implicit-def: $vgpr2
.LBB280_447:
	s_mov_b32 s18, 0
.LBB280_448:
	s_delay_alu instid0(SALU_CYCLE_1)
	s_and_b32 vcc_lo, exec_lo, s18
	s_cbranch_vccz .LBB280_452
; %bb.449:
	v_cmp_eq_u16_e64 s17, s10, 11
	s_delay_alu instid0(VALU_DEP_1)
	s_and_b32 vcc_lo, exec_lo, s17
	s_cbranch_vccz .LBB280_451
; %bb.450:
	global_load_u8 v2, v[0:1], off
	s_mov_b32 s17, 0
	s_mov_b32 s0, -1
	s_waitcnt vmcnt(0)
	v_cmp_ne_u16_e32 vcc_lo, 0, v2
	v_cndmask_b32_e64 v2, 0, 1, vcc_lo
	s_branch .LBB280_452
.LBB280_451:
	s_mov_b32 s17, -1
                                        ; implicit-def: $vgpr2
.LBB280_452:
	s_branch .LBB280_258
.LBB280_453:
	v_cmp_lt_i16_e64 s0, s10, 5
	s_delay_alu instid0(VALU_DEP_1)
	s_and_b32 vcc_lo, exec_lo, s0
	s_cbranch_vccnz .LBB280_458
; %bb.454:
	v_cmp_lt_i16_e64 s0, s10, 8
	s_delay_alu instid0(VALU_DEP_1)
	s_and_b32 vcc_lo, exec_lo, s0
	s_cbranch_vccnz .LBB280_459
; %bb.455:
	;; [unrolled: 5-line block ×3, first 2 shown]
	v_cmp_gt_i16_e64 s0, s10, 9
	s_delay_alu instid0(VALU_DEP_1)
	s_and_b32 vcc_lo, exec_lo, s0
	s_cbranch_vccz .LBB280_461
; %bb.457:
	global_load_b64 v[2:3], v[0:1], off
	s_mov_b32 s0, 0
	s_waitcnt vmcnt(0)
	v_trunc_f64_e32 v[2:3], v[2:3]
	s_delay_alu instid0(VALU_DEP_1) | instskip(NEXT) | instid1(VALU_DEP_1)
	v_ldexp_f64 v[4:5], v[2:3], 0xffffffe0
	v_floor_f64_e32 v[4:5], v[4:5]
	s_delay_alu instid0(VALU_DEP_1) | instskip(NEXT) | instid1(VALU_DEP_1)
	v_fma_f64 v[2:3], 0xc1f00000, v[4:5], v[2:3]
	v_cvt_u32_f64_e32 v2, v[2:3]
	s_branch .LBB280_462
.LBB280_458:
	s_mov_b32 s0, -1
                                        ; implicit-def: $vgpr2
	s_branch .LBB280_480
.LBB280_459:
	s_mov_b32 s0, -1
                                        ; implicit-def: $vgpr2
	s_branch .LBB280_468
.LBB280_460:
	s_mov_b32 s0, -1
                                        ; implicit-def: $vgpr2
	s_branch .LBB280_465
.LBB280_461:
	s_mov_b32 s0, -1
                                        ; implicit-def: $vgpr2
.LBB280_462:
	s_delay_alu instid0(SALU_CYCLE_1)
	s_and_not1_b32 vcc_lo, exec_lo, s0
	s_cbranch_vccnz .LBB280_464
; %bb.463:
	global_load_b32 v2, v[0:1], off
	s_waitcnt vmcnt(0)
	v_trunc_f32_e32 v2, v2
	s_delay_alu instid0(VALU_DEP_1) | instskip(NEXT) | instid1(VALU_DEP_1)
	v_mul_f32_e64 v3, 0x2f800000, |v2|
	v_floor_f32_e32 v3, v3
	s_delay_alu instid0(VALU_DEP_1) | instskip(SKIP_1) | instid1(VALU_DEP_2)
	v_fma_f32 v3, 0xcf800000, v3, |v2|
	v_ashrrev_i32_e32 v2, 31, v2
	v_cvt_u32_f32_e32 v3, v3
	s_delay_alu instid0(VALU_DEP_1) | instskip(NEXT) | instid1(VALU_DEP_1)
	v_xor_b32_e32 v3, v3, v2
	v_sub_nc_u32_e32 v2, v3, v2
.LBB280_464:
	s_mov_b32 s0, 0
.LBB280_465:
	s_delay_alu instid0(SALU_CYCLE_1)
	s_and_not1_b32 vcc_lo, exec_lo, s0
	s_cbranch_vccnz .LBB280_467
; %bb.466:
	global_load_b32 v2, v[0:1], off
	s_waitcnt vmcnt(0)
	v_cvt_f32_f16_e32 v2, v2
	s_delay_alu instid0(VALU_DEP_1)
	v_cvt_i32_f32_e32 v2, v2
.LBB280_467:
	s_mov_b32 s0, 0
.LBB280_468:
	s_delay_alu instid0(SALU_CYCLE_1)
	s_and_not1_b32 vcc_lo, exec_lo, s0
	s_cbranch_vccnz .LBB280_479
; %bb.469:
	v_cmp_lt_i16_e64 s0, s10, 6
	s_delay_alu instid0(VALU_DEP_1)
	s_and_b32 vcc_lo, exec_lo, s0
	s_cbranch_vccnz .LBB280_472
; %bb.470:
	v_cmp_gt_i16_e64 s0, s10, 6
	s_delay_alu instid0(VALU_DEP_1)
	s_and_b32 vcc_lo, exec_lo, s0
	s_cbranch_vccz .LBB280_473
; %bb.471:
	global_load_b64 v[2:3], v[0:1], off
	s_mov_b32 s0, 0
	s_waitcnt vmcnt(0)
	v_trunc_f64_e32 v[2:3], v[2:3]
	s_delay_alu instid0(VALU_DEP_1) | instskip(NEXT) | instid1(VALU_DEP_1)
	v_ldexp_f64 v[4:5], v[2:3], 0xffffffe0
	v_floor_f64_e32 v[4:5], v[4:5]
	s_delay_alu instid0(VALU_DEP_1) | instskip(NEXT) | instid1(VALU_DEP_1)
	v_fma_f64 v[2:3], 0xc1f00000, v[4:5], v[2:3]
	v_cvt_u32_f64_e32 v2, v[2:3]
	s_branch .LBB280_474
.LBB280_472:
	s_mov_b32 s0, -1
                                        ; implicit-def: $vgpr2
	s_branch .LBB280_477
.LBB280_473:
	s_mov_b32 s0, -1
                                        ; implicit-def: $vgpr2
.LBB280_474:
	s_delay_alu instid0(SALU_CYCLE_1)
	s_and_not1_b32 vcc_lo, exec_lo, s0
	s_cbranch_vccnz .LBB280_476
; %bb.475:
	global_load_b32 v2, v[0:1], off
	s_waitcnt vmcnt(0)
	v_trunc_f32_e32 v2, v2
	s_delay_alu instid0(VALU_DEP_1) | instskip(NEXT) | instid1(VALU_DEP_1)
	v_mul_f32_e64 v3, 0x2f800000, |v2|
	v_floor_f32_e32 v3, v3
	s_delay_alu instid0(VALU_DEP_1) | instskip(SKIP_1) | instid1(VALU_DEP_2)
	v_fma_f32 v3, 0xcf800000, v3, |v2|
	v_ashrrev_i32_e32 v2, 31, v2
	v_cvt_u32_f32_e32 v3, v3
	s_delay_alu instid0(VALU_DEP_1) | instskip(NEXT) | instid1(VALU_DEP_1)
	v_xor_b32_e32 v3, v3, v2
	v_sub_nc_u32_e32 v2, v3, v2
.LBB280_476:
	s_mov_b32 s0, 0
.LBB280_477:
	s_delay_alu instid0(SALU_CYCLE_1)
	s_and_not1_b32 vcc_lo, exec_lo, s0
	s_cbranch_vccnz .LBB280_479
; %bb.478:
	global_load_u16 v2, v[0:1], off
	s_waitcnt vmcnt(0)
	v_cvt_f32_f16_e32 v2, v2
	s_delay_alu instid0(VALU_DEP_1)
	v_cvt_i32_f32_e32 v2, v2
.LBB280_479:
	s_mov_b32 s0, 0
.LBB280_480:
	s_delay_alu instid0(SALU_CYCLE_1)
	s_and_not1_b32 vcc_lo, exec_lo, s0
	s_cbranch_vccnz .LBB280_500
; %bb.481:
	v_cmp_lt_i16_e64 s0, s10, 2
	s_delay_alu instid0(VALU_DEP_1)
	s_and_b32 vcc_lo, exec_lo, s0
	s_cbranch_vccnz .LBB280_485
; %bb.482:
	v_cmp_lt_i16_e64 s0, s10, 3
	s_delay_alu instid0(VALU_DEP_1)
	s_and_b32 vcc_lo, exec_lo, s0
	s_cbranch_vccnz .LBB280_486
; %bb.483:
	v_cmp_gt_i16_e64 s0, s10, 3
	s_delay_alu instid0(VALU_DEP_1)
	s_and_b32 vcc_lo, exec_lo, s0
	s_cbranch_vccz .LBB280_487
; %bb.484:
	global_load_b64 v[2:3], v[0:1], off
	s_mov_b32 s0, 0
	s_branch .LBB280_488
.LBB280_485:
	s_mov_b32 s0, -1
                                        ; implicit-def: $vgpr2
	s_branch .LBB280_494
.LBB280_486:
	s_mov_b32 s0, -1
                                        ; implicit-def: $vgpr2
	s_branch .LBB280_491
.LBB280_487:
	s_mov_b32 s0, -1
                                        ; implicit-def: $vgpr2
.LBB280_488:
	s_delay_alu instid0(SALU_CYCLE_1)
	s_and_not1_b32 vcc_lo, exec_lo, s0
	s_cbranch_vccnz .LBB280_490
; %bb.489:
	global_load_b32 v2, v[0:1], off
.LBB280_490:
	s_mov_b32 s0, 0
.LBB280_491:
	s_delay_alu instid0(SALU_CYCLE_1)
	s_and_not1_b32 vcc_lo, exec_lo, s0
	s_cbranch_vccnz .LBB280_493
; %bb.492:
	global_load_u16 v2, v[0:1], off
.LBB280_493:
	s_mov_b32 s0, 0
.LBB280_494:
	s_delay_alu instid0(SALU_CYCLE_1)
	s_and_not1_b32 vcc_lo, exec_lo, s0
	s_cbranch_vccnz .LBB280_500
; %bb.495:
	v_cmp_gt_i16_e64 s0, s10, 0
	s_delay_alu instid0(VALU_DEP_1)
	s_and_b32 vcc_lo, exec_lo, s0
	s_mov_b32 s0, 0
	s_cbranch_vccz .LBB280_497
; %bb.496:
	global_load_u8 v2, v[0:1], off
	s_branch .LBB280_498
.LBB280_497:
	s_mov_b32 s0, -1
                                        ; implicit-def: $vgpr2
.LBB280_498:
	s_delay_alu instid0(SALU_CYCLE_1)
	s_and_not1_b32 vcc_lo, exec_lo, s0
	s_cbranch_vccnz .LBB280_500
; %bb.499:
	global_load_u8 v2, v[0:1], off
.LBB280_500:
	s_branch .LBB280_259
.LBB280_501:
	s_mov_b32 s20, 0
	s_mov_b32 s0, s13
.LBB280_502:
                                        ; implicit-def: $vgpr7
.LBB280_503:
	s_and_not1_b32 s18, s13, exec_lo
	s_and_b32 s0, s0, exec_lo
	s_and_not1_b32 s21, s15, exec_lo
	s_and_b32 s17, s17, exec_lo
	s_or_b32 s18, s18, s0
	s_or_b32 s17, s21, s17
	s_or_not1_b32 s0, s20, exec_lo
.LBB280_504:
	s_or_b32 exec_lo, exec_lo, s19
	s_mov_b32 s20, 0
	s_mov_b32 s21, 0
	;; [unrolled: 1-line block ×3, first 2 shown]
                                        ; implicit-def: $vgpr0_vgpr1
                                        ; implicit-def: $vgpr2
	s_and_saveexec_b32 s19, s0
	s_cbranch_execz .LBB280_843
; %bb.505:
	s_mov_b32 s22, -1
	s_mov_b32 s0, s17
	s_mov_b32 s21, s18
	s_mov_b32 s20, exec_lo
	v_cmpx_gt_i32_e64 s14, v7
	s_cbranch_execz .LBB280_761
; %bb.506:
	v_mul_lo_u32 v0, v7, s3
	v_cmp_lt_i16_e64 s0, s10, 11
	s_delay_alu instid0(VALU_DEP_2) | instskip(SKIP_1) | instid1(VALU_DEP_2)
	v_ashrrev_i32_e32 v1, 31, v0
	v_add_co_u32 v0, vcc_lo, s6, v0
	v_add_co_ci_u32_e32 v1, vcc_lo, s7, v1, vcc_lo
	s_delay_alu instid0(VALU_DEP_4)
	s_and_b32 vcc_lo, exec_lo, s0
	s_cbranch_vccnz .LBB280_513
; %bb.507:
	v_cmp_gt_i16_e64 s0, s10, 25
	s_delay_alu instid0(VALU_DEP_1)
	s_and_b32 vcc_lo, exec_lo, s0
	s_cbranch_vccz .LBB280_514
; %bb.508:
	v_cmp_gt_i16_e64 s0, s10, 28
	s_delay_alu instid0(VALU_DEP_1)
	s_and_b32 vcc_lo, exec_lo, s0
	s_cbranch_vccz .LBB280_515
	;; [unrolled: 5-line block ×4, first 2 shown]
; %bb.511:
	v_cmp_eq_u16_e64 s0, s10, 46
	s_mov_b32 s22, 0
	s_delay_alu instid0(VALU_DEP_1)
	s_and_b32 vcc_lo, exec_lo, s0
	s_cbranch_vccz .LBB280_522
; %bb.512:
	global_load_b32 v2, v[0:1], off
	s_mov_b32 s0, -1
	s_mov_b32 s21, 0
	s_waitcnt vmcnt(0)
	v_lshlrev_b32_e32 v2, 16, v2
	s_delay_alu instid0(VALU_DEP_1) | instskip(NEXT) | instid1(VALU_DEP_1)
	v_trunc_f32_e32 v2, v2
	v_mul_f32_e64 v3, 0x2f800000, |v2|
	s_delay_alu instid0(VALU_DEP_1) | instskip(NEXT) | instid1(VALU_DEP_1)
	v_floor_f32_e32 v3, v3
	v_fma_f32 v3, 0xcf800000, v3, |v2|
	v_ashrrev_i32_e32 v2, 31, v2
	s_delay_alu instid0(VALU_DEP_2) | instskip(NEXT) | instid1(VALU_DEP_1)
	v_cvt_u32_f32_e32 v3, v3
	v_xor_b32_e32 v3, v3, v2
	s_delay_alu instid0(VALU_DEP_1)
	v_sub_nc_u32_e32 v2, v3, v2
	s_branch .LBB280_524
.LBB280_513:
	s_mov_b32 s0, 0
	s_mov_b32 s21, s17
                                        ; implicit-def: $vgpr2
	s_branch .LBB280_585
.LBB280_514:
	s_mov_b32 s0, 0
	s_mov_b32 s21, s17
                                        ; implicit-def: $vgpr2
	s_branch .LBB280_551
.LBB280_515:
	s_mov_b32 s0, 0
	s_mov_b32 s21, s17
                                        ; implicit-def: $vgpr2
	s_branch .LBB280_534
.LBB280_516:
	s_mov_b32 s0, 0
	s_mov_b32 s21, s17
                                        ; implicit-def: $vgpr2
	s_branch .LBB280_529
.LBB280_517:
	s_or_saveexec_b32 s21, s21
                                        ; implicit-def: $sgpr22
	s_delay_alu instid0(SALU_CYCLE_1)
	s_xor_b32 exec_lo, exec_lo, s21
	s_cbranch_execz .LBB280_305
.LBB280_518:
	v_add_f32_e32 v4, 0x46000000, v5
	s_and_not1_b32 s20, s20, exec_lo
	s_mov_b32 s22, 0
	s_delay_alu instid0(VALU_DEP_1) | instskip(NEXT) | instid1(VALU_DEP_1)
	v_and_b32_e32 v4, 0xff, v4
	v_cmp_ne_u32_e32 vcc_lo, 0, v4
	s_and_b32 s23, vcc_lo, exec_lo
	s_delay_alu instid0(SALU_CYCLE_1)
	s_or_b32 s20, s20, s23
	s_or_b32 exec_lo, exec_lo, s21
	v_mov_b32_e32 v6, s22
	s_and_saveexec_b32 s21, s20
	s_cbranch_execnz .LBB280_306
	s_branch .LBB280_307
.LBB280_519:
	s_mov_b32 s0, 0
	s_mov_b32 s21, s17
	s_branch .LBB280_523
.LBB280_520:
	s_or_saveexec_b32 s21, s21
                                        ; implicit-def: $sgpr22
	s_delay_alu instid0(SALU_CYCLE_1)
	s_xor_b32 exec_lo, exec_lo, s21
	s_cbranch_execz .LBB280_318
.LBB280_521:
	v_add_f32_e32 v4, 0x42800000, v5
	s_and_not1_b32 s20, s20, exec_lo
	s_mov_b32 s22, 0
	s_delay_alu instid0(VALU_DEP_1) | instskip(NEXT) | instid1(VALU_DEP_1)
	v_and_b32_e32 v4, 0xff, v4
	v_cmp_ne_u32_e32 vcc_lo, 0, v4
	s_and_b32 s23, vcc_lo, exec_lo
	s_delay_alu instid0(SALU_CYCLE_1)
	s_or_b32 s20, s20, s23
	s_or_b32 exec_lo, exec_lo, s21
	v_mov_b32_e32 v6, s22
	s_and_saveexec_b32 s21, s20
	s_cbranch_execnz .LBB280_319
	s_branch .LBB280_320
.LBB280_522:
	s_mov_b32 s21, -1
	s_mov_b32 s0, 0
.LBB280_523:
                                        ; implicit-def: $vgpr2
.LBB280_524:
	s_and_b32 vcc_lo, exec_lo, s22
	s_cbranch_vccz .LBB280_528
; %bb.525:
	v_cmp_eq_u16_e64 s21, s10, 44
	s_delay_alu instid0(VALU_DEP_1)
	s_and_b32 vcc_lo, exec_lo, s21
	s_cbranch_vccz .LBB280_527
; %bb.526:
	global_load_u8 v2, v[0:1], off
	s_mov_b32 s21, 0
	s_mov_b32 s0, -1
	s_waitcnt vmcnt(0)
	v_lshlrev_b32_e32 v3, 23, v2
	v_cmp_ne_u32_e32 vcc_lo, 0, v2
	s_delay_alu instid0(VALU_DEP_2) | instskip(NEXT) | instid1(VALU_DEP_1)
	v_trunc_f32_e32 v3, v3
	v_mul_f32_e64 v4, 0x2f800000, |v3|
	s_delay_alu instid0(VALU_DEP_1) | instskip(NEXT) | instid1(VALU_DEP_1)
	v_floor_f32_e32 v4, v4
	v_fma_f32 v4, 0xcf800000, v4, |v3|
	v_ashrrev_i32_e32 v3, 31, v3
	s_delay_alu instid0(VALU_DEP_2) | instskip(NEXT) | instid1(VALU_DEP_1)
	v_cvt_u32_f32_e32 v4, v4
	v_xor_b32_e32 v4, v4, v3
	s_delay_alu instid0(VALU_DEP_1) | instskip(NEXT) | instid1(VALU_DEP_1)
	v_sub_nc_u32_e32 v3, v4, v3
	v_cndmask_b32_e32 v2, 0, v3, vcc_lo
	s_branch .LBB280_528
.LBB280_527:
	s_mov_b32 s21, -1
                                        ; implicit-def: $vgpr2
.LBB280_528:
	s_mov_b32 s22, 0
.LBB280_529:
	s_delay_alu instid0(SALU_CYCLE_1)
	s_and_b32 vcc_lo, exec_lo, s22
	s_cbranch_vccz .LBB280_533
; %bb.530:
	v_cmp_eq_u16_e64 s21, s10, 29
	s_delay_alu instid0(VALU_DEP_1)
	s_and_b32 vcc_lo, exec_lo, s21
	s_cbranch_vccz .LBB280_532
; %bb.531:
	global_load_b64 v[2:3], v[0:1], off
	s_mov_b32 s0, -1
	s_mov_b32 s21, 0
	s_branch .LBB280_533
.LBB280_532:
	s_mov_b32 s21, -1
                                        ; implicit-def: $vgpr2
.LBB280_533:
	s_mov_b32 s22, 0
.LBB280_534:
	s_delay_alu instid0(SALU_CYCLE_1)
	s_and_b32 vcc_lo, exec_lo, s22
	s_cbranch_vccz .LBB280_550
; %bb.535:
	v_cmp_lt_i16_e64 s0, s10, 27
	s_delay_alu instid0(VALU_DEP_1)
	s_and_b32 vcc_lo, exec_lo, s0
	s_cbranch_vccnz .LBB280_538
; %bb.536:
	v_cmp_gt_i16_e64 s0, s10, 27
	s_delay_alu instid0(VALU_DEP_1)
	s_and_b32 vcc_lo, exec_lo, s0
	s_cbranch_vccz .LBB280_539
; %bb.537:
	global_load_b32 v2, v[0:1], off
	s_mov_b32 s0, 0
	s_branch .LBB280_540
.LBB280_538:
	s_mov_b32 s0, -1
                                        ; implicit-def: $vgpr2
	s_branch .LBB280_543
.LBB280_539:
	s_mov_b32 s0, -1
                                        ; implicit-def: $vgpr2
.LBB280_540:
	s_delay_alu instid0(SALU_CYCLE_1)
	s_and_not1_b32 vcc_lo, exec_lo, s0
	s_cbranch_vccnz .LBB280_542
; %bb.541:
	global_load_u16 v2, v[0:1], off
.LBB280_542:
	s_mov_b32 s0, 0
.LBB280_543:
	s_delay_alu instid0(SALU_CYCLE_1)
	s_and_not1_b32 vcc_lo, exec_lo, s0
	s_cbranch_vccnz .LBB280_549
; %bb.544:
	global_load_u8 v3, v[0:1], off
	s_mov_b32 s22, 0
	s_mov_b32 s0, exec_lo
                                        ; implicit-def: $sgpr23
	s_waitcnt vmcnt(0)
	v_cmpx_lt_i16_e32 0x7f, v3
	s_xor_b32 s0, exec_lo, s0
	s_cbranch_execz .LBB280_561
; %bb.545:
	v_cmp_ne_u16_e32 vcc_lo, 0x80, v3
	s_mov_b32 s23, 0
	s_and_b32 s22, vcc_lo, exec_lo
	s_or_saveexec_b32 s0, s0
	v_mov_b32_e32 v2, s23
	s_xor_b32 exec_lo, exec_lo, s0
	s_cbranch_execnz .LBB280_562
.LBB280_546:
	s_or_b32 exec_lo, exec_lo, s0
	s_and_saveexec_b32 s0, s22
	s_cbranch_execz .LBB280_548
.LBB280_547:
	v_and_b32_e32 v2, 0xffff, v3
	s_delay_alu instid0(VALU_DEP_1) | instskip(NEXT) | instid1(VALU_DEP_1)
	v_and_b32_e32 v4, 7, v2
	v_clz_i32_u32_e32 v5, v4
	s_delay_alu instid0(VALU_DEP_1) | instskip(NEXT) | instid1(VALU_DEP_1)
	v_min_u32_e32 v5, 32, v5
	v_subrev_nc_u32_e32 v6, 28, v5
	v_sub_nc_u32_e32 v5, 29, v5
	s_delay_alu instid0(VALU_DEP_2) | instskip(SKIP_1) | instid1(VALU_DEP_2)
	v_lshlrev_b32_e32 v6, v6, v2
	v_bfe_u32 v2, v2, 3, 4
	v_and_b32_e32 v6, 7, v6
	s_delay_alu instid0(VALU_DEP_2) | instskip(SKIP_1) | instid1(VALU_DEP_1)
	v_cmp_eq_u32_e32 vcc_lo, 0, v2
	v_dual_cndmask_b32 v2, v2, v5 :: v_dual_lshlrev_b32 v3, 24, v3
	v_dual_cndmask_b32 v4, v4, v6 :: v_dual_and_b32 v3, 0x80000000, v3
	s_delay_alu instid0(VALU_DEP_2) | instskip(NEXT) | instid1(VALU_DEP_2)
	v_lshl_add_u32 v2, v2, 23, 0x3b800000
	v_lshlrev_b32_e32 v4, 20, v4
	s_delay_alu instid0(VALU_DEP_1) | instskip(NEXT) | instid1(VALU_DEP_1)
	v_or3_b32 v2, v3, v2, v4
	v_trunc_f32_e32 v2, v2
	s_delay_alu instid0(VALU_DEP_1) | instskip(NEXT) | instid1(VALU_DEP_1)
	v_mul_f32_e64 v3, 0x2f800000, |v2|
	v_floor_f32_e32 v3, v3
	s_delay_alu instid0(VALU_DEP_1) | instskip(SKIP_1) | instid1(VALU_DEP_2)
	v_fma_f32 v3, 0xcf800000, v3, |v2|
	v_ashrrev_i32_e32 v2, 31, v2
	v_cvt_u32_f32_e32 v3, v3
	s_delay_alu instid0(VALU_DEP_1) | instskip(NEXT) | instid1(VALU_DEP_1)
	v_xor_b32_e32 v3, v3, v2
	v_sub_nc_u32_e32 v2, v3, v2
.LBB280_548:
	s_or_b32 exec_lo, exec_lo, s0
.LBB280_549:
	s_mov_b32 s0, -1
.LBB280_550:
	s_mov_b32 s22, 0
.LBB280_551:
	s_delay_alu instid0(SALU_CYCLE_1)
	s_and_b32 vcc_lo, exec_lo, s22
	s_cbranch_vccz .LBB280_584
; %bb.552:
	v_cmp_gt_i16_e64 s22, s10, 22
	s_delay_alu instid0(VALU_DEP_1)
	s_and_b32 vcc_lo, exec_lo, s22
	s_cbranch_vccz .LBB280_560
; %bb.553:
	v_cmp_lt_i16_e64 s0, s10, 24
	s_delay_alu instid0(VALU_DEP_1)
	s_and_b32 vcc_lo, exec_lo, s0
	s_cbranch_vccnz .LBB280_563
; %bb.554:
	v_cmp_gt_i16_e64 s0, s10, 24
	s_delay_alu instid0(VALU_DEP_1)
	s_and_b32 vcc_lo, exec_lo, s0
	s_cbranch_vccz .LBB280_564
; %bb.555:
	global_load_u8 v3, v[0:1], off
	s_mov_b32 s22, 0
	s_mov_b32 s0, exec_lo
                                        ; implicit-def: $sgpr23
	s_waitcnt vmcnt(0)
	v_cmpx_lt_i16_e32 0x7f, v3
	s_xor_b32 s0, exec_lo, s0
	s_cbranch_execz .LBB280_576
; %bb.556:
	v_cmp_ne_u16_e32 vcc_lo, 0x80, v3
	s_mov_b32 s23, 0
	s_and_b32 s22, vcc_lo, exec_lo
	s_or_saveexec_b32 s0, s0
	v_mov_b32_e32 v2, s23
	s_xor_b32 exec_lo, exec_lo, s0
	s_cbranch_execnz .LBB280_577
.LBB280_557:
	s_or_b32 exec_lo, exec_lo, s0
	s_and_saveexec_b32 s0, s22
	s_cbranch_execz .LBB280_559
.LBB280_558:
	v_and_b32_e32 v2, 0xffff, v3
	s_delay_alu instid0(VALU_DEP_1) | instskip(NEXT) | instid1(VALU_DEP_1)
	v_and_b32_e32 v4, 3, v2
	v_clz_i32_u32_e32 v5, v4
	s_delay_alu instid0(VALU_DEP_1) | instskip(NEXT) | instid1(VALU_DEP_1)
	v_min_u32_e32 v5, 32, v5
	v_subrev_nc_u32_e32 v6, 29, v5
	v_sub_nc_u32_e32 v5, 30, v5
	s_delay_alu instid0(VALU_DEP_2) | instskip(SKIP_1) | instid1(VALU_DEP_2)
	v_lshlrev_b32_e32 v6, v6, v2
	v_bfe_u32 v2, v2, 2, 5
	v_and_b32_e32 v6, 3, v6
	s_delay_alu instid0(VALU_DEP_2) | instskip(SKIP_1) | instid1(VALU_DEP_1)
	v_cmp_eq_u32_e32 vcc_lo, 0, v2
	v_dual_cndmask_b32 v2, v2, v5 :: v_dual_lshlrev_b32 v3, 24, v3
	v_dual_cndmask_b32 v4, v4, v6 :: v_dual_and_b32 v3, 0x80000000, v3
	s_delay_alu instid0(VALU_DEP_2) | instskip(NEXT) | instid1(VALU_DEP_2)
	v_lshl_add_u32 v2, v2, 23, 0x37800000
	v_lshlrev_b32_e32 v4, 21, v4
	s_delay_alu instid0(VALU_DEP_1) | instskip(NEXT) | instid1(VALU_DEP_1)
	v_or3_b32 v2, v3, v2, v4
	v_trunc_f32_e32 v2, v2
	s_delay_alu instid0(VALU_DEP_1) | instskip(NEXT) | instid1(VALU_DEP_1)
	v_mul_f32_e64 v3, 0x2f800000, |v2|
	v_floor_f32_e32 v3, v3
	s_delay_alu instid0(VALU_DEP_1) | instskip(SKIP_1) | instid1(VALU_DEP_2)
	v_fma_f32 v3, 0xcf800000, v3, |v2|
	v_ashrrev_i32_e32 v2, 31, v2
	v_cvt_u32_f32_e32 v3, v3
	s_delay_alu instid0(VALU_DEP_1) | instskip(NEXT) | instid1(VALU_DEP_1)
	v_xor_b32_e32 v3, v3, v2
	v_sub_nc_u32_e32 v2, v3, v2
.LBB280_559:
	s_or_b32 exec_lo, exec_lo, s0
	s_mov_b32 s0, 0
	s_branch .LBB280_565
.LBB280_560:
	s_mov_b32 s22, -1
                                        ; implicit-def: $vgpr2
	s_branch .LBB280_571
.LBB280_561:
	s_or_saveexec_b32 s0, s0
	v_mov_b32_e32 v2, s23
	s_xor_b32 exec_lo, exec_lo, s0
	s_cbranch_execz .LBB280_546
.LBB280_562:
	v_cmp_ne_u16_e32 vcc_lo, 0, v3
	v_mov_b32_e32 v2, 0
	s_and_not1_b32 s22, s22, exec_lo
	s_and_b32 s23, vcc_lo, exec_lo
	s_delay_alu instid0(SALU_CYCLE_1)
	s_or_b32 s22, s22, s23
	s_or_b32 exec_lo, exec_lo, s0
	s_and_saveexec_b32 s0, s22
	s_cbranch_execnz .LBB280_547
	s_branch .LBB280_548
.LBB280_563:
	s_mov_b32 s0, -1
                                        ; implicit-def: $vgpr2
	s_branch .LBB280_568
.LBB280_564:
	s_mov_b32 s0, -1
                                        ; implicit-def: $vgpr2
.LBB280_565:
	s_delay_alu instid0(SALU_CYCLE_1)
	s_and_b32 vcc_lo, exec_lo, s0
	s_cbranch_vccz .LBB280_567
; %bb.566:
	global_load_u8 v2, v[0:1], off
	s_waitcnt vmcnt(0)
	v_lshlrev_b32_e32 v2, 24, v2
	s_delay_alu instid0(VALU_DEP_1) | instskip(NEXT) | instid1(VALU_DEP_1)
	v_and_b32_e32 v3, 0x7f000000, v2
	v_clz_i32_u32_e32 v4, v3
	v_add_nc_u32_e32 v6, 0x1000000, v3
	v_cmp_ne_u32_e32 vcc_lo, 0, v3
	s_delay_alu instid0(VALU_DEP_3) | instskip(NEXT) | instid1(VALU_DEP_1)
	v_min_u32_e32 v4, 32, v4
	v_sub_nc_u32_e64 v4, v4, 4 clamp
	s_delay_alu instid0(VALU_DEP_1) | instskip(SKIP_1) | instid1(VALU_DEP_2)
	v_lshlrev_b32_e32 v5, v4, v3
	v_lshlrev_b32_e32 v4, 23, v4
	v_lshrrev_b32_e32 v5, 4, v5
	s_delay_alu instid0(VALU_DEP_1) | instskip(SKIP_1) | instid1(VALU_DEP_2)
	v_sub_nc_u32_e32 v4, v5, v4
	v_ashrrev_i32_e32 v5, 8, v6
	v_add_nc_u32_e32 v4, 0x3c000000, v4
	s_delay_alu instid0(VALU_DEP_1) | instskip(NEXT) | instid1(VALU_DEP_1)
	v_and_or_b32 v4, 0x7f800000, v5, v4
	v_cndmask_b32_e32 v3, 0, v4, vcc_lo
	s_delay_alu instid0(VALU_DEP_1) | instskip(NEXT) | instid1(VALU_DEP_1)
	v_and_or_b32 v2, 0x80000000, v2, v3
	v_trunc_f32_e32 v2, v2
	s_delay_alu instid0(VALU_DEP_1) | instskip(NEXT) | instid1(VALU_DEP_1)
	v_mul_f32_e64 v3, 0x2f800000, |v2|
	v_floor_f32_e32 v3, v3
	s_delay_alu instid0(VALU_DEP_1) | instskip(SKIP_1) | instid1(VALU_DEP_2)
	v_fma_f32 v3, 0xcf800000, v3, |v2|
	v_ashrrev_i32_e32 v2, 31, v2
	v_cvt_u32_f32_e32 v3, v3
	s_delay_alu instid0(VALU_DEP_1) | instskip(NEXT) | instid1(VALU_DEP_1)
	v_xor_b32_e32 v3, v3, v2
	v_sub_nc_u32_e32 v2, v3, v2
.LBB280_567:
	s_mov_b32 s0, 0
.LBB280_568:
	s_delay_alu instid0(SALU_CYCLE_1)
	s_and_not1_b32 vcc_lo, exec_lo, s0
	s_cbranch_vccnz .LBB280_570
; %bb.569:
	global_load_u8 v2, v[0:1], off
	s_waitcnt vmcnt(0)
	v_lshlrev_b32_e32 v3, 25, v2
	v_lshlrev_b16 v2, 8, v2
	s_delay_alu instid0(VALU_DEP_2) | instskip(NEXT) | instid1(VALU_DEP_2)
	v_lshrrev_b32_e32 v4, 4, v3
	v_and_or_b32 v5, 0x7f00, v2, 0.5
	v_bfe_i32 v2, v2, 0, 16
	s_delay_alu instid0(VALU_DEP_3) | instskip(NEXT) | instid1(VALU_DEP_1)
	v_or_b32_e32 v4, 0x70000000, v4
	v_dual_add_f32 v5, -0.5, v5 :: v_dual_mul_f32 v4, 0x7800000, v4
	v_cmp_gt_u32_e32 vcc_lo, 0x8000000, v3
	s_delay_alu instid0(VALU_DEP_2) | instskip(NEXT) | instid1(VALU_DEP_1)
	v_cndmask_b32_e32 v3, v4, v5, vcc_lo
	v_and_or_b32 v2, 0x80000000, v2, v3
	s_delay_alu instid0(VALU_DEP_1) | instskip(NEXT) | instid1(VALU_DEP_1)
	v_trunc_f32_e32 v2, v2
	v_mul_f32_e64 v3, 0x2f800000, |v2|
	s_delay_alu instid0(VALU_DEP_1) | instskip(NEXT) | instid1(VALU_DEP_1)
	v_floor_f32_e32 v3, v3
	v_fma_f32 v3, 0xcf800000, v3, |v2|
	v_ashrrev_i32_e32 v2, 31, v2
	s_delay_alu instid0(VALU_DEP_2) | instskip(NEXT) | instid1(VALU_DEP_1)
	v_cvt_u32_f32_e32 v3, v3
	v_xor_b32_e32 v3, v3, v2
	s_delay_alu instid0(VALU_DEP_1)
	v_sub_nc_u32_e32 v2, v3, v2
.LBB280_570:
	s_mov_b32 s22, 0
	s_mov_b32 s0, -1
.LBB280_571:
	s_and_not1_b32 vcc_lo, exec_lo, s22
	s_cbranch_vccnz .LBB280_584
; %bb.572:
	v_cmp_gt_i16_e64 s22, s10, 14
	s_delay_alu instid0(VALU_DEP_1)
	s_and_b32 vcc_lo, exec_lo, s22
	s_cbranch_vccz .LBB280_575
; %bb.573:
	v_cmp_eq_u16_e64 s21, s10, 15
	s_delay_alu instid0(VALU_DEP_1)
	s_and_b32 vcc_lo, exec_lo, s21
	s_cbranch_vccz .LBB280_578
; %bb.574:
	global_load_u16 v2, v[0:1], off
	s_mov_b32 s0, -1
	s_mov_b32 s21, 0
	s_waitcnt vmcnt(0)
	v_lshlrev_b32_e32 v2, 16, v2
	s_delay_alu instid0(VALU_DEP_1) | instskip(NEXT) | instid1(VALU_DEP_1)
	v_trunc_f32_e32 v2, v2
	v_mul_f32_e64 v3, 0x2f800000, |v2|
	s_delay_alu instid0(VALU_DEP_1) | instskip(NEXT) | instid1(VALU_DEP_1)
	v_floor_f32_e32 v3, v3
	v_fma_f32 v3, 0xcf800000, v3, |v2|
	v_ashrrev_i32_e32 v2, 31, v2
	s_delay_alu instid0(VALU_DEP_2) | instskip(NEXT) | instid1(VALU_DEP_1)
	v_cvt_u32_f32_e32 v3, v3
	v_xor_b32_e32 v3, v3, v2
	s_delay_alu instid0(VALU_DEP_1)
	v_sub_nc_u32_e32 v2, v3, v2
	s_branch .LBB280_579
.LBB280_575:
	s_mov_b32 s22, -1
                                        ; implicit-def: $vgpr2
	s_branch .LBB280_580
.LBB280_576:
	s_or_saveexec_b32 s0, s0
	v_mov_b32_e32 v2, s23
	s_xor_b32 exec_lo, exec_lo, s0
	s_cbranch_execz .LBB280_557
.LBB280_577:
	v_cmp_ne_u16_e32 vcc_lo, 0, v3
	v_mov_b32_e32 v2, 0
	s_and_not1_b32 s22, s22, exec_lo
	s_and_b32 s23, vcc_lo, exec_lo
	s_delay_alu instid0(SALU_CYCLE_1)
	s_or_b32 s22, s22, s23
	s_or_b32 exec_lo, exec_lo, s0
	s_and_saveexec_b32 s0, s22
	s_cbranch_execnz .LBB280_558
	s_branch .LBB280_559
.LBB280_578:
	s_mov_b32 s21, -1
                                        ; implicit-def: $vgpr2
.LBB280_579:
	s_mov_b32 s22, 0
.LBB280_580:
	s_delay_alu instid0(SALU_CYCLE_1)
	s_and_b32 vcc_lo, exec_lo, s22
	s_cbranch_vccz .LBB280_584
; %bb.581:
	v_cmp_eq_u16_e64 s21, s10, 11
	s_delay_alu instid0(VALU_DEP_1)
	s_and_b32 vcc_lo, exec_lo, s21
	s_cbranch_vccz .LBB280_583
; %bb.582:
	global_load_u8 v2, v[0:1], off
	s_mov_b32 s21, 0
	s_mov_b32 s0, -1
	s_waitcnt vmcnt(0)
	v_cmp_ne_u16_e32 vcc_lo, 0, v2
	v_cndmask_b32_e64 v2, 0, 1, vcc_lo
	s_branch .LBB280_584
.LBB280_583:
	s_mov_b32 s21, -1
                                        ; implicit-def: $vgpr2
.LBB280_584:
	s_mov_b32 s22, 0
.LBB280_585:
	s_delay_alu instid0(SALU_CYCLE_1)
	s_and_b32 vcc_lo, exec_lo, s22
	s_cbranch_vccz .LBB280_634
; %bb.586:
	v_cmp_lt_i16_e64 s0, s10, 5
	s_delay_alu instid0(VALU_DEP_1)
	s_and_b32 vcc_lo, exec_lo, s0
	s_cbranch_vccnz .LBB280_591
; %bb.587:
	v_cmp_lt_i16_e64 s0, s10, 8
	s_delay_alu instid0(VALU_DEP_1)
	s_and_b32 vcc_lo, exec_lo, s0
	s_cbranch_vccnz .LBB280_592
	;; [unrolled: 5-line block ×3, first 2 shown]
; %bb.589:
	v_cmp_gt_i16_e64 s0, s10, 9
	s_delay_alu instid0(VALU_DEP_1)
	s_and_b32 vcc_lo, exec_lo, s0
	s_cbranch_vccz .LBB280_594
; %bb.590:
	global_load_b64 v[2:3], v[0:1], off
	s_mov_b32 s0, 0
	s_waitcnt vmcnt(0)
	v_trunc_f64_e32 v[2:3], v[2:3]
	s_delay_alu instid0(VALU_DEP_1) | instskip(NEXT) | instid1(VALU_DEP_1)
	v_ldexp_f64 v[4:5], v[2:3], 0xffffffe0
	v_floor_f64_e32 v[4:5], v[4:5]
	s_delay_alu instid0(VALU_DEP_1) | instskip(NEXT) | instid1(VALU_DEP_1)
	v_fma_f64 v[2:3], 0xc1f00000, v[4:5], v[2:3]
	v_cvt_u32_f64_e32 v2, v[2:3]
	s_branch .LBB280_595
.LBB280_591:
	s_mov_b32 s0, -1
                                        ; implicit-def: $vgpr2
	s_branch .LBB280_613
.LBB280_592:
	s_mov_b32 s0, -1
                                        ; implicit-def: $vgpr2
	s_branch .LBB280_601
.LBB280_593:
	s_mov_b32 s0, -1
                                        ; implicit-def: $vgpr2
	s_branch .LBB280_598
.LBB280_594:
	s_mov_b32 s0, -1
                                        ; implicit-def: $vgpr2
.LBB280_595:
	s_delay_alu instid0(SALU_CYCLE_1)
	s_and_not1_b32 vcc_lo, exec_lo, s0
	s_cbranch_vccnz .LBB280_597
; %bb.596:
	global_load_b32 v2, v[0:1], off
	s_waitcnt vmcnt(0)
	v_trunc_f32_e32 v2, v2
	s_delay_alu instid0(VALU_DEP_1) | instskip(NEXT) | instid1(VALU_DEP_1)
	v_mul_f32_e64 v3, 0x2f800000, |v2|
	v_floor_f32_e32 v3, v3
	s_delay_alu instid0(VALU_DEP_1) | instskip(SKIP_1) | instid1(VALU_DEP_2)
	v_fma_f32 v3, 0xcf800000, v3, |v2|
	v_ashrrev_i32_e32 v2, 31, v2
	v_cvt_u32_f32_e32 v3, v3
	s_delay_alu instid0(VALU_DEP_1) | instskip(NEXT) | instid1(VALU_DEP_1)
	v_xor_b32_e32 v3, v3, v2
	v_sub_nc_u32_e32 v2, v3, v2
.LBB280_597:
	s_mov_b32 s0, 0
.LBB280_598:
	s_delay_alu instid0(SALU_CYCLE_1)
	s_and_not1_b32 vcc_lo, exec_lo, s0
	s_cbranch_vccnz .LBB280_600
; %bb.599:
	global_load_b32 v2, v[0:1], off
	s_waitcnt vmcnt(0)
	v_cvt_f32_f16_e32 v2, v2
	s_delay_alu instid0(VALU_DEP_1)
	v_cvt_i32_f32_e32 v2, v2
.LBB280_600:
	s_mov_b32 s0, 0
.LBB280_601:
	s_delay_alu instid0(SALU_CYCLE_1)
	s_and_not1_b32 vcc_lo, exec_lo, s0
	s_cbranch_vccnz .LBB280_612
; %bb.602:
	v_cmp_lt_i16_e64 s0, s10, 6
	s_delay_alu instid0(VALU_DEP_1)
	s_and_b32 vcc_lo, exec_lo, s0
	s_cbranch_vccnz .LBB280_605
; %bb.603:
	v_cmp_gt_i16_e64 s0, s10, 6
	s_delay_alu instid0(VALU_DEP_1)
	s_and_b32 vcc_lo, exec_lo, s0
	s_cbranch_vccz .LBB280_606
; %bb.604:
	global_load_b64 v[2:3], v[0:1], off
	s_mov_b32 s0, 0
	s_waitcnt vmcnt(0)
	v_trunc_f64_e32 v[2:3], v[2:3]
	s_delay_alu instid0(VALU_DEP_1) | instskip(NEXT) | instid1(VALU_DEP_1)
	v_ldexp_f64 v[4:5], v[2:3], 0xffffffe0
	v_floor_f64_e32 v[4:5], v[4:5]
	s_delay_alu instid0(VALU_DEP_1) | instskip(NEXT) | instid1(VALU_DEP_1)
	v_fma_f64 v[2:3], 0xc1f00000, v[4:5], v[2:3]
	v_cvt_u32_f64_e32 v2, v[2:3]
	s_branch .LBB280_607
.LBB280_605:
	s_mov_b32 s0, -1
                                        ; implicit-def: $vgpr2
	s_branch .LBB280_610
.LBB280_606:
	s_mov_b32 s0, -1
                                        ; implicit-def: $vgpr2
.LBB280_607:
	s_delay_alu instid0(SALU_CYCLE_1)
	s_and_not1_b32 vcc_lo, exec_lo, s0
	s_cbranch_vccnz .LBB280_609
; %bb.608:
	global_load_b32 v2, v[0:1], off
	s_waitcnt vmcnt(0)
	v_trunc_f32_e32 v2, v2
	s_delay_alu instid0(VALU_DEP_1) | instskip(NEXT) | instid1(VALU_DEP_1)
	v_mul_f32_e64 v3, 0x2f800000, |v2|
	v_floor_f32_e32 v3, v3
	s_delay_alu instid0(VALU_DEP_1) | instskip(SKIP_1) | instid1(VALU_DEP_2)
	v_fma_f32 v3, 0xcf800000, v3, |v2|
	v_ashrrev_i32_e32 v2, 31, v2
	v_cvt_u32_f32_e32 v3, v3
	s_delay_alu instid0(VALU_DEP_1) | instskip(NEXT) | instid1(VALU_DEP_1)
	v_xor_b32_e32 v3, v3, v2
	v_sub_nc_u32_e32 v2, v3, v2
.LBB280_609:
	s_mov_b32 s0, 0
.LBB280_610:
	s_delay_alu instid0(SALU_CYCLE_1)
	s_and_not1_b32 vcc_lo, exec_lo, s0
	s_cbranch_vccnz .LBB280_612
; %bb.611:
	global_load_u16 v2, v[0:1], off
	s_waitcnt vmcnt(0)
	v_cvt_f32_f16_e32 v2, v2
	s_delay_alu instid0(VALU_DEP_1)
	v_cvt_i32_f32_e32 v2, v2
.LBB280_612:
	s_mov_b32 s0, 0
.LBB280_613:
	s_delay_alu instid0(SALU_CYCLE_1)
	s_and_not1_b32 vcc_lo, exec_lo, s0
	s_cbranch_vccnz .LBB280_633
; %bb.614:
	v_cmp_lt_i16_e64 s0, s10, 2
	s_delay_alu instid0(VALU_DEP_1)
	s_and_b32 vcc_lo, exec_lo, s0
	s_cbranch_vccnz .LBB280_618
; %bb.615:
	v_cmp_lt_i16_e64 s0, s10, 3
	s_delay_alu instid0(VALU_DEP_1)
	s_and_b32 vcc_lo, exec_lo, s0
	s_cbranch_vccnz .LBB280_619
; %bb.616:
	v_cmp_gt_i16_e64 s0, s10, 3
	s_delay_alu instid0(VALU_DEP_1)
	s_and_b32 vcc_lo, exec_lo, s0
	s_cbranch_vccz .LBB280_620
; %bb.617:
	global_load_b64 v[2:3], v[0:1], off
	s_mov_b32 s0, 0
	s_branch .LBB280_621
.LBB280_618:
	s_mov_b32 s0, -1
                                        ; implicit-def: $vgpr2
	s_branch .LBB280_627
.LBB280_619:
	s_mov_b32 s0, -1
                                        ; implicit-def: $vgpr2
	s_branch .LBB280_624
.LBB280_620:
	s_mov_b32 s0, -1
                                        ; implicit-def: $vgpr2
.LBB280_621:
	s_delay_alu instid0(SALU_CYCLE_1)
	s_and_not1_b32 vcc_lo, exec_lo, s0
	s_cbranch_vccnz .LBB280_623
; %bb.622:
	global_load_b32 v2, v[0:1], off
.LBB280_623:
	s_mov_b32 s0, 0
.LBB280_624:
	s_delay_alu instid0(SALU_CYCLE_1)
	s_and_not1_b32 vcc_lo, exec_lo, s0
	s_cbranch_vccnz .LBB280_626
; %bb.625:
	global_load_u16 v2, v[0:1], off
.LBB280_626:
	s_mov_b32 s0, 0
.LBB280_627:
	s_delay_alu instid0(SALU_CYCLE_1)
	s_and_not1_b32 vcc_lo, exec_lo, s0
	s_cbranch_vccnz .LBB280_633
; %bb.628:
	v_cmp_gt_i16_e64 s0, s10, 0
	s_delay_alu instid0(VALU_DEP_1)
	s_and_b32 vcc_lo, exec_lo, s0
	s_mov_b32 s0, 0
	s_cbranch_vccz .LBB280_630
; %bb.629:
	global_load_u8 v2, v[0:1], off
	s_branch .LBB280_631
.LBB280_630:
	s_mov_b32 s0, -1
                                        ; implicit-def: $vgpr2
.LBB280_631:
	s_delay_alu instid0(SALU_CYCLE_1)
	s_and_not1_b32 vcc_lo, exec_lo, s0
	s_cbranch_vccnz .LBB280_633
; %bb.632:
	global_load_u8 v2, v[0:1], off
.LBB280_633:
	s_mov_b32 s0, -1
.LBB280_634:
	s_delay_alu instid0(SALU_CYCLE_1)
	s_and_not1_b32 vcc_lo, exec_lo, s0
	s_cbranch_vccnz .LBB280_642
; %bb.635:
	v_mul_lo_u32 v4, v7, s2
	v_and_b32_e64 v0, 0xff, s8
	s_waitcnt vmcnt(0)
	s_delay_alu instid0(VALU_DEP_3) | instskip(SKIP_2) | instid1(VALU_DEP_3)
	v_and_b32_e32 v1, 0xff, v2
	v_and_b32_e64 v3, 0xff, s1
	v_and_b32_e64 v2, 0xff, s9
	v_max_u16 v0, v1, v0
	v_ashrrev_i32_e32 v1, 31, v4
	s_delay_alu instid0(VALU_DEP_4) | instskip(NEXT) | instid1(VALU_DEP_3)
	v_cmp_gt_i16_e32 vcc_lo, 11, v3
	v_min_u16 v2, v0, v2
	v_add_co_u32 v0, s0, s4, v4
	s_delay_alu instid0(VALU_DEP_1)
	v_add_co_ci_u32_e64 v1, s0, s5, v1, s0
	s_cbranch_vccnz .LBB280_643
; %bb.636:
	v_cmp_lt_i16_e32 vcc_lo, 25, v3
	s_cbranch_vccz .LBB280_644
; %bb.637:
	v_cmp_lt_i16_e32 vcc_lo, 28, v3
	s_cbranch_vccz .LBB280_645
	;; [unrolled: 3-line block ×4, first 2 shown]
; %bb.640:
	v_cmp_eq_u16_e32 vcc_lo, 46, v3
	s_mov_b32 s23, 0
	s_mov_b32 s0, -1
	s_mov_b32 s22, 0
	s_cbranch_vccz .LBB280_648
; %bb.641:
	v_cvt_f32_ubyte0_e32 v4, v2
	s_mov_b32 s22, -1
	s_mov_b32 s0, 0
	s_delay_alu instid0(VALU_DEP_1) | instskip(NEXT) | instid1(VALU_DEP_1)
	v_bfe_u32 v5, v4, 16, 1
	v_add3_u32 v4, v4, v5, 0x7fff
	s_delay_alu instid0(VALU_DEP_1)
	v_lshrrev_b32_e32 v4, 16, v4
	global_store_b32 v[0:1], v4, off
	s_branch .LBB280_648
.LBB280_642:
	s_mov_b32 s22, 0
	s_mov_b32 s0, s18
	s_branch .LBB280_759
.LBB280_643:
	s_mov_b32 s23, -1
	s_mov_b32 s22, 0
	s_mov_b32 s0, s18
	s_branch .LBB280_717
.LBB280_644:
	s_mov_b32 s23, -1
	s_mov_b32 s22, 0
	s_mov_b32 s0, s18
	s_branch .LBB280_675
.LBB280_645:
	s_mov_b32 s23, -1
	s_mov_b32 s22, 0
	s_mov_b32 s0, s18
	s_branch .LBB280_658
.LBB280_646:
	s_mov_b32 s23, -1
	s_mov_b32 s22, 0
	s_mov_b32 s0, s18
	s_branch .LBB280_654
.LBB280_647:
	s_mov_b32 s23, -1
	s_mov_b32 s22, 0
	s_mov_b32 s0, s18
.LBB280_648:
	s_and_b32 vcc_lo, exec_lo, s23
	s_cbranch_vccz .LBB280_653
; %bb.649:
	v_cmp_eq_u16_e32 vcc_lo, 44, v3
	s_mov_b32 s0, -1
	s_cbranch_vccz .LBB280_653
; %bb.650:
	v_cvt_f32_ubyte0_e32 v6, v2
	v_mov_b32_e32 v5, 0xff
	s_mov_b32 s22, exec_lo
	s_delay_alu instid0(VALU_DEP_2) | instskip(NEXT) | instid1(VALU_DEP_1)
	v_lshrrev_b32_e32 v4, 23, v6
	v_cmpx_ne_u32_e32 0xff, v4
; %bb.651:
	v_and_b32_e32 v5, 0x400000, v6
	v_and_or_b32 v6, 0x3fffff, v6, v4
	s_delay_alu instid0(VALU_DEP_2) | instskip(NEXT) | instid1(VALU_DEP_2)
	v_cmp_ne_u32_e32 vcc_lo, 0, v5
	v_cmp_ne_u32_e64 s0, 0, v6
	s_delay_alu instid0(VALU_DEP_1) | instskip(NEXT) | instid1(SALU_CYCLE_1)
	s_and_b32 s0, vcc_lo, s0
	v_cndmask_b32_e64 v5, 0, 1, s0
	s_delay_alu instid0(VALU_DEP_1)
	v_add_nc_u32_e32 v5, v4, v5
; %bb.652:
	s_or_b32 exec_lo, exec_lo, s22
	s_mov_b32 s22, -1
	s_mov_b32 s0, 0
	global_store_b8 v[0:1], v5, off
.LBB280_653:
	s_mov_b32 s23, 0
.LBB280_654:
	s_delay_alu instid0(SALU_CYCLE_1)
	s_and_b32 vcc_lo, exec_lo, s23
	s_cbranch_vccz .LBB280_657
; %bb.655:
	v_cmp_eq_u16_e32 vcc_lo, 29, v3
	s_mov_b32 s0, -1
	s_cbranch_vccz .LBB280_657
; %bb.656:
	s_mov_b32 s0, 0
	s_delay_alu instid0(SALU_CYCLE_1)
	v_dual_mov_b32 v5, s0 :: v_dual_and_b32 v4, 0xffff, v2
	s_mov_b32 s22, -1
	s_mov_b32 s23, 0
	global_store_b64 v[0:1], v[4:5], off
	s_branch .LBB280_658
.LBB280_657:
	s_mov_b32 s23, 0
.LBB280_658:
	s_delay_alu instid0(SALU_CYCLE_1)
	s_and_b32 vcc_lo, exec_lo, s23
	s_cbranch_vccz .LBB280_674
; %bb.659:
	v_cmp_gt_i16_e32 vcc_lo, 27, v3
	s_mov_b32 s22, -1
	s_cbranch_vccnz .LBB280_665
; %bb.660:
	v_cmp_lt_i16_e32 vcc_lo, 27, v3
	s_cbranch_vccz .LBB280_662
; %bb.661:
	v_and_b32_e32 v4, 0xffff, v2
	s_mov_b32 s22, 0
	global_store_b32 v[0:1], v4, off
.LBB280_662:
	s_and_not1_b32 vcc_lo, exec_lo, s22
	s_cbranch_vccnz .LBB280_664
; %bb.663:
	global_store_b16 v[0:1], v2, off
.LBB280_664:
	s_mov_b32 s22, 0
.LBB280_665:
	s_delay_alu instid0(SALU_CYCLE_1)
	s_and_not1_b32 vcc_lo, exec_lo, s22
	s_cbranch_vccnz .LBB280_673
; %bb.666:
	v_cvt_f32_ubyte0_e32 v5, v2
	v_mov_b32_e32 v6, 0x80
	s_mov_b32 s22, exec_lo
	s_delay_alu instid0(VALU_DEP_2)
	v_cmpx_gt_u32_e32 0x43800000, v5
	s_cbranch_execz .LBB280_672
; %bb.667:
	s_mov_b32 s23, 0
	s_mov_b32 s24, exec_lo
                                        ; implicit-def: $vgpr4
	v_cmpx_lt_u32_e32 0x3bffffff, v5
	s_xor_b32 s24, exec_lo, s24
	s_cbranch_execz .LBB280_774
; %bb.668:
	v_bfe_u32 v4, v5, 20, 1
	s_mov_b32 s23, exec_lo
	s_delay_alu instid0(VALU_DEP_1) | instskip(NEXT) | instid1(VALU_DEP_1)
	v_add3_u32 v4, v5, v4, 0x487ffff
                                        ; implicit-def: $vgpr5
	v_lshrrev_b32_e32 v4, 20, v4
	s_or_saveexec_b32 s24, s24
                                        ; implicit-def: $sgpr25
	s_delay_alu instid0(SALU_CYCLE_1)
	s_xor_b32 exec_lo, exec_lo, s24
	s_cbranch_execnz .LBB280_775
.LBB280_669:
	s_or_b32 exec_lo, exec_lo, s24
	v_mov_b32_e32 v6, s25
	s_and_saveexec_b32 s24, s23
.LBB280_670:
	v_mov_b32_e32 v6, v4
.LBB280_671:
	s_or_b32 exec_lo, exec_lo, s24
.LBB280_672:
	s_delay_alu instid0(SALU_CYCLE_1)
	s_or_b32 exec_lo, exec_lo, s22
	global_store_b8 v[0:1], v6, off
.LBB280_673:
	s_mov_b32 s22, -1
.LBB280_674:
	s_mov_b32 s23, 0
.LBB280_675:
	s_delay_alu instid0(SALU_CYCLE_1)
	s_and_b32 vcc_lo, exec_lo, s23
	s_cbranch_vccz .LBB280_716
; %bb.676:
	v_cmp_lt_i16_e32 vcc_lo, 22, v3
	s_mov_b32 s23, -1
	s_cbranch_vccz .LBB280_708
; %bb.677:
	v_cmp_gt_i16_e32 vcc_lo, 24, v3
	s_mov_b32 s22, -1
	s_cbranch_vccnz .LBB280_697
; %bb.678:
	v_cmp_lt_i16_e32 vcc_lo, 24, v3
	s_cbranch_vccz .LBB280_686
; %bb.679:
	v_cvt_f32_ubyte0_e32 v5, v2
	v_mov_b32_e32 v6, 0x80
	s_mov_b32 s22, exec_lo
	s_delay_alu instid0(VALU_DEP_2)
	v_cmpx_gt_u32_e32 0x47800000, v5
	s_cbranch_execz .LBB280_685
; %bb.680:
	s_mov_b32 s23, 0
	s_mov_b32 s24, exec_lo
                                        ; implicit-def: $vgpr4
	v_cmpx_lt_u32_e32 0x37ffffff, v5
	s_xor_b32 s24, exec_lo, s24
	s_cbranch_execz .LBB280_777
; %bb.681:
	v_bfe_u32 v4, v5, 21, 1
	s_mov_b32 s23, exec_lo
	s_delay_alu instid0(VALU_DEP_1) | instskip(NEXT) | instid1(VALU_DEP_1)
	v_add3_u32 v4, v5, v4, 0x88fffff
                                        ; implicit-def: $vgpr5
	v_lshrrev_b32_e32 v4, 21, v4
	s_or_saveexec_b32 s24, s24
                                        ; implicit-def: $sgpr25
	s_delay_alu instid0(SALU_CYCLE_1)
	s_xor_b32 exec_lo, exec_lo, s24
	s_cbranch_execnz .LBB280_778
.LBB280_682:
	s_or_b32 exec_lo, exec_lo, s24
	v_mov_b32_e32 v6, s25
	s_and_saveexec_b32 s24, s23
.LBB280_683:
	v_mov_b32_e32 v6, v4
.LBB280_684:
	s_or_b32 exec_lo, exec_lo, s24
.LBB280_685:
	s_delay_alu instid0(SALU_CYCLE_1)
	s_or_b32 exec_lo, exec_lo, s22
	s_mov_b32 s22, 0
	global_store_b8 v[0:1], v6, off
.LBB280_686:
	s_and_b32 vcc_lo, exec_lo, s22
	s_cbranch_vccz .LBB280_696
; %bb.687:
	v_cvt_f32_ubyte0_e32 v5, v2
	s_mov_b32 s22, exec_lo
                                        ; implicit-def: $vgpr4
	s_delay_alu instid0(VALU_DEP_1)
	v_cmpx_gt_u32_e32 0x43f00000, v5
	s_xor_b32 s22, exec_lo, s22
	s_cbranch_execz .LBB280_693
; %bb.688:
	s_mov_b32 s23, exec_lo
                                        ; implicit-def: $vgpr4
	v_cmpx_lt_u32_e32 0x3c7fffff, v5
	s_xor_b32 s23, exec_lo, s23
; %bb.689:
	v_bfe_u32 v4, v5, 20, 1
	s_delay_alu instid0(VALU_DEP_1) | instskip(NEXT) | instid1(VALU_DEP_1)
	v_add3_u32 v4, v5, v4, 0x407ffff
	v_and_b32_e32 v5, 0xff00000, v4
	v_lshrrev_b32_e32 v4, 20, v4
	s_delay_alu instid0(VALU_DEP_2) | instskip(NEXT) | instid1(VALU_DEP_2)
	v_cmp_ne_u32_e32 vcc_lo, 0x7f00000, v5
                                        ; implicit-def: $vgpr5
	v_cndmask_b32_e32 v4, 0x7e, v4, vcc_lo
; %bb.690:
	s_and_not1_saveexec_b32 s23, s23
; %bb.691:
	v_add_f32_e32 v4, 0x46800000, v5
; %bb.692:
	s_or_b32 exec_lo, exec_lo, s23
                                        ; implicit-def: $vgpr5
.LBB280_693:
	s_and_not1_saveexec_b32 s22, s22
; %bb.694:
	v_mov_b32_e32 v4, 0x7f
	v_cmp_lt_u32_e32 vcc_lo, 0x7f800000, v5
	s_delay_alu instid0(VALU_DEP_2)
	v_cndmask_b32_e32 v4, 0x7e, v4, vcc_lo
; %bb.695:
	s_or_b32 exec_lo, exec_lo, s22
	global_store_b8 v[0:1], v4, off
.LBB280_696:
	s_mov_b32 s22, 0
.LBB280_697:
	s_delay_alu instid0(SALU_CYCLE_1)
	s_and_not1_b32 vcc_lo, exec_lo, s22
	s_cbranch_vccnz .LBB280_707
; %bb.698:
	v_cvt_f32_ubyte0_e32 v5, v2
	s_mov_b32 s22, exec_lo
                                        ; implicit-def: $vgpr4
	s_delay_alu instid0(VALU_DEP_1)
	v_cmpx_gt_u32_e32 0x47800000, v5
	s_xor_b32 s22, exec_lo, s22
	s_cbranch_execz .LBB280_704
; %bb.699:
	s_mov_b32 s23, exec_lo
                                        ; implicit-def: $vgpr4
	v_cmpx_lt_u32_e32 0x387fffff, v5
	s_xor_b32 s23, exec_lo, s23
; %bb.700:
	v_bfe_u32 v4, v5, 21, 1
	s_delay_alu instid0(VALU_DEP_1) | instskip(NEXT) | instid1(VALU_DEP_1)
	v_add3_u32 v4, v5, v4, 0x80fffff
                                        ; implicit-def: $vgpr5
	v_lshrrev_b32_e32 v4, 21, v4
; %bb.701:
	s_and_not1_saveexec_b32 s23, s23
; %bb.702:
	v_add_f32_e32 v4, 0x43000000, v5
; %bb.703:
	s_or_b32 exec_lo, exec_lo, s23
                                        ; implicit-def: $vgpr5
.LBB280_704:
	s_and_not1_saveexec_b32 s22, s22
; %bb.705:
	v_mov_b32_e32 v4, 0x7f
	v_cmp_lt_u32_e32 vcc_lo, 0x7f800000, v5
	s_delay_alu instid0(VALU_DEP_2)
	v_cndmask_b32_e32 v4, 0x7c, v4, vcc_lo
; %bb.706:
	s_or_b32 exec_lo, exec_lo, s22
	global_store_b8 v[0:1], v4, off
.LBB280_707:
	s_mov_b32 s23, 0
	s_mov_b32 s22, -1
.LBB280_708:
	s_and_not1_b32 vcc_lo, exec_lo, s23
	s_cbranch_vccnz .LBB280_716
; %bb.709:
	v_cmp_lt_i16_e32 vcc_lo, 14, v3
	s_mov_b32 s23, -1
	s_cbranch_vccz .LBB280_713
; %bb.710:
	v_cmp_eq_u16_e32 vcc_lo, 15, v3
	s_mov_b32 s0, -1
	s_cbranch_vccz .LBB280_712
; %bb.711:
	v_cvt_f32_ubyte0_e32 v4, v2
	s_mov_b32 s22, -1
	s_mov_b32 s0, 0
	s_delay_alu instid0(VALU_DEP_1) | instskip(NEXT) | instid1(VALU_DEP_1)
	v_bfe_u32 v5, v4, 16, 1
	v_add3_u32 v4, v4, v5, 0x7fff
	global_store_d16_hi_b16 v[0:1], v4, off
.LBB280_712:
	s_mov_b32 s23, 0
.LBB280_713:
	s_delay_alu instid0(SALU_CYCLE_1)
	s_and_b32 vcc_lo, exec_lo, s23
	s_cbranch_vccz .LBB280_716
; %bb.714:
	v_cmp_eq_u16_e32 vcc_lo, 11, v3
	s_mov_b32 s0, -1
	s_cbranch_vccz .LBB280_716
; %bb.715:
	v_cmp_ne_u16_e32 vcc_lo, 0, v2
	s_mov_b32 s0, 0
	s_mov_b32 s22, -1
	v_cndmask_b32_e64 v4, 0, 1, vcc_lo
	global_store_b8 v[0:1], v4, off
.LBB280_716:
	s_mov_b32 s23, 0
.LBB280_717:
	s_delay_alu instid0(SALU_CYCLE_1)
	s_and_b32 vcc_lo, exec_lo, s23
	s_cbranch_vccz .LBB280_756
; %bb.718:
	v_cmp_gt_i16_e32 vcc_lo, 5, v3
	s_mov_b32 s22, -1
	s_cbranch_vccnz .LBB280_739
; %bb.719:
	v_cmp_gt_i16_e32 vcc_lo, 8, v3
	s_cbranch_vccnz .LBB280_729
; %bb.720:
	v_cmp_gt_i16_e32 vcc_lo, 9, v3
	s_cbranch_vccnz .LBB280_726
; %bb.721:
	v_cmp_lt_i16_e32 vcc_lo, 9, v3
	s_cbranch_vccz .LBB280_723
; %bb.722:
	v_mov_b32_e32 v10, 0
	v_and_b32_e32 v4, 0xffff, v2
	s_mov_b32 s22, 0
	s_delay_alu instid0(VALU_DEP_2) | instskip(NEXT) | instid1(VALU_DEP_2)
	v_mov_b32_e32 v11, v10
	v_cvt_f64_u32_e32 v[8:9], v4
	global_store_b128 v[0:1], v[8:11], off
.LBB280_723:
	s_and_not1_b32 vcc_lo, exec_lo, s22
	s_cbranch_vccnz .LBB280_725
; %bb.724:
	v_cvt_f32_ubyte0_e32 v4, v2
	v_mov_b32_e32 v5, 0
	global_store_b64 v[0:1], v[4:5], off
.LBB280_725:
	s_mov_b32 s22, 0
.LBB280_726:
	s_delay_alu instid0(SALU_CYCLE_1)
	s_and_not1_b32 vcc_lo, exec_lo, s22
	s_cbranch_vccnz .LBB280_728
; %bb.727:
	v_cvt_f16_u16_e32 v4, v2
	s_delay_alu instid0(VALU_DEP_1)
	v_and_b32_e32 v4, 0xffff, v4
	global_store_b32 v[0:1], v4, off
.LBB280_728:
	s_mov_b32 s22, 0
.LBB280_729:
	s_delay_alu instid0(SALU_CYCLE_1)
	s_and_not1_b32 vcc_lo, exec_lo, s22
	s_cbranch_vccnz .LBB280_738
; %bb.730:
	v_cmp_gt_i16_e32 vcc_lo, 6, v3
	s_mov_b32 s22, -1
	s_cbranch_vccnz .LBB280_736
; %bb.731:
	v_cmp_lt_i16_e32 vcc_lo, 6, v3
	s_cbranch_vccz .LBB280_733
; %bb.732:
	v_and_b32_e32 v4, 0xffff, v2
	s_mov_b32 s22, 0
	s_delay_alu instid0(VALU_DEP_1)
	v_cvt_f64_u32_e32 v[4:5], v4
	global_store_b64 v[0:1], v[4:5], off
.LBB280_733:
	s_and_not1_b32 vcc_lo, exec_lo, s22
	s_cbranch_vccnz .LBB280_735
; %bb.734:
	v_cvt_f32_ubyte0_e32 v4, v2
	global_store_b32 v[0:1], v4, off
.LBB280_735:
	s_mov_b32 s22, 0
.LBB280_736:
	s_delay_alu instid0(SALU_CYCLE_1)
	s_and_not1_b32 vcc_lo, exec_lo, s22
	s_cbranch_vccnz .LBB280_738
; %bb.737:
	v_cvt_f16_u16_e32 v4, v2
	global_store_b16 v[0:1], v4, off
.LBB280_738:
	s_mov_b32 s22, 0
.LBB280_739:
	s_delay_alu instid0(SALU_CYCLE_1)
	s_and_not1_b32 vcc_lo, exec_lo, s22
	s_cbranch_vccnz .LBB280_755
; %bb.740:
	v_cmp_gt_i16_e32 vcc_lo, 2, v3
	s_mov_b32 s22, -1
	s_cbranch_vccnz .LBB280_750
; %bb.741:
	v_cmp_gt_i16_e32 vcc_lo, 3, v3
	s_cbranch_vccnz .LBB280_747
; %bb.742:
	v_cmp_lt_i16_e32 vcc_lo, 3, v3
	s_cbranch_vccz .LBB280_744
; %bb.743:
	s_mov_b32 s22, 0
	s_delay_alu instid0(SALU_CYCLE_1)
	v_dual_mov_b32 v5, s22 :: v_dual_and_b32 v4, 0xffff, v2
	global_store_b64 v[0:1], v[4:5], off
.LBB280_744:
	s_and_not1_b32 vcc_lo, exec_lo, s22
	s_cbranch_vccnz .LBB280_746
; %bb.745:
	v_and_b32_e32 v4, 0xffff, v2
	global_store_b32 v[0:1], v4, off
.LBB280_746:
	s_mov_b32 s22, 0
.LBB280_747:
	s_delay_alu instid0(SALU_CYCLE_1)
	s_and_not1_b32 vcc_lo, exec_lo, s22
	s_cbranch_vccnz .LBB280_749
; %bb.748:
	global_store_b16 v[0:1], v2, off
.LBB280_749:
	s_mov_b32 s22, 0
.LBB280_750:
	s_delay_alu instid0(SALU_CYCLE_1)
	s_and_not1_b32 vcc_lo, exec_lo, s22
	s_cbranch_vccnz .LBB280_755
; %bb.751:
	v_cmp_lt_i16_e32 vcc_lo, 0, v3
	s_mov_b32 s22, -1
	s_cbranch_vccz .LBB280_753
; %bb.752:
	s_mov_b32 s22, 0
	global_store_b8 v[0:1], v2, off
.LBB280_753:
	s_and_not1_b32 vcc_lo, exec_lo, s22
	s_cbranch_vccnz .LBB280_755
; %bb.754:
	global_store_b8 v[0:1], v2, off
.LBB280_755:
	s_mov_b32 s22, -1
.LBB280_756:
	s_delay_alu instid0(SALU_CYCLE_1)
	s_and_not1_b32 vcc_lo, exec_lo, s22
	s_cbranch_vccnz .LBB280_758
; %bb.757:
	v_add_nc_u32_e32 v7, 0x80, v7
	s_mov_b32 s22, -1
	s_branch .LBB280_760
.LBB280_758:
	s_mov_b32 s22, 0
.LBB280_759:
                                        ; implicit-def: $vgpr7
.LBB280_760:
	s_and_not1_b32 s23, s18, exec_lo
	s_and_b32 s0, s0, exec_lo
	s_and_not1_b32 s24, s17, exec_lo
	s_and_b32 s25, s21, exec_lo
	s_or_b32 s21, s23, s0
	s_or_b32 s0, s24, s25
	s_or_not1_b32 s22, s22, exec_lo
.LBB280_761:
	s_or_b32 exec_lo, exec_lo, s20
	s_mov_b32 s23, 0
	s_mov_b32 s24, 0
	;; [unrolled: 1-line block ×3, first 2 shown]
                                        ; implicit-def: $vgpr0_vgpr1
                                        ; implicit-def: $vgpr2
	s_and_saveexec_b32 s20, s22
	s_cbranch_execz .LBB280_842
; %bb.762:
	v_cmp_gt_i32_e32 vcc_lo, s14, v7
	s_mov_b32 s22, 0
	s_mov_b32 s23, s0
                                        ; implicit-def: $vgpr0_vgpr1
                                        ; implicit-def: $vgpr2
	s_and_saveexec_b32 s14, vcc_lo
	s_cbranch_execz .LBB280_841
; %bb.763:
	v_mul_lo_u32 v0, v7, s3
	v_cmp_lt_i16_e64 s22, s10, 11
	s_delay_alu instid0(VALU_DEP_2) | instskip(SKIP_1) | instid1(VALU_DEP_2)
	v_ashrrev_i32_e32 v1, 31, v0
	v_add_co_u32 v0, vcc_lo, s6, v0
	v_add_co_ci_u32_e32 v1, vcc_lo, s7, v1, vcc_lo
	s_delay_alu instid0(VALU_DEP_4)
	s_and_b32 vcc_lo, exec_lo, s22
	s_cbranch_vccnz .LBB280_770
; %bb.764:
	v_cmp_gt_i16_e64 s22, s10, 25
	s_mov_b32 s23, 0
	s_delay_alu instid0(VALU_DEP_1)
	s_and_b32 vcc_lo, exec_lo, s22
	s_cbranch_vccz .LBB280_771
; %bb.765:
	v_cmp_gt_i16_e64 s22, s10, 28
	s_delay_alu instid0(VALU_DEP_1)
	s_and_b32 vcc_lo, exec_lo, s22
	s_cbranch_vccz .LBB280_772
; %bb.766:
	v_cmp_gt_i16_e64 s22, s10, 43
	;; [unrolled: 5-line block ×3, first 2 shown]
	s_delay_alu instid0(VALU_DEP_1)
	s_and_b32 vcc_lo, exec_lo, s22
	s_cbranch_vccz .LBB280_776
; %bb.768:
	v_cmp_eq_u16_e64 s22, s10, 46
	s_delay_alu instid0(VALU_DEP_1)
	s_and_b32 vcc_lo, exec_lo, s22
	s_cbranch_vccz .LBB280_779
; %bb.769:
	global_load_b32 v2, v[0:1], off
	s_mov_b32 s22, 0
	s_mov_b32 s24, -1
	s_waitcnt vmcnt(0)
	v_lshlrev_b32_e32 v2, 16, v2
	s_delay_alu instid0(VALU_DEP_1) | instskip(NEXT) | instid1(VALU_DEP_1)
	v_trunc_f32_e32 v2, v2
	v_mul_f32_e64 v3, 0x2f800000, |v2|
	s_delay_alu instid0(VALU_DEP_1) | instskip(NEXT) | instid1(VALU_DEP_1)
	v_floor_f32_e32 v3, v3
	v_fma_f32 v3, 0xcf800000, v3, |v2|
	v_ashrrev_i32_e32 v2, 31, v2
	s_delay_alu instid0(VALU_DEP_2) | instskip(NEXT) | instid1(VALU_DEP_1)
	v_cvt_u32_f32_e32 v3, v3
	v_xor_b32_e32 v3, v3, v2
	s_delay_alu instid0(VALU_DEP_1)
	v_sub_nc_u32_e32 v2, v3, v2
	s_branch .LBB280_781
.LBB280_770:
	s_mov_b32 s26, -1
	s_mov_b32 s23, 0
	s_mov_b32 s22, s0
                                        ; implicit-def: $vgpr2
	s_branch .LBB280_840
.LBB280_771:
	s_mov_b32 s25, -1
	s_mov_b32 s22, s0
                                        ; implicit-def: $vgpr2
	s_branch .LBB280_808
.LBB280_772:
	s_mov_b32 s25, -1
	s_mov_b32 s22, s0
                                        ; implicit-def: $vgpr2
	s_branch .LBB280_791
.LBB280_773:
	s_mov_b32 s25, -1
	s_mov_b32 s22, s0
                                        ; implicit-def: $vgpr2
	s_branch .LBB280_786
.LBB280_774:
	s_or_saveexec_b32 s24, s24
                                        ; implicit-def: $sgpr25
	s_delay_alu instid0(SALU_CYCLE_1)
	s_xor_b32 exec_lo, exec_lo, s24
	s_cbranch_execz .LBB280_669
.LBB280_775:
	v_add_f32_e32 v4, 0x46000000, v5
	s_and_not1_b32 s23, s23, exec_lo
	s_mov_b32 s25, 0
	s_delay_alu instid0(VALU_DEP_1) | instskip(NEXT) | instid1(VALU_DEP_1)
	v_and_b32_e32 v4, 0xff, v4
	v_cmp_ne_u32_e32 vcc_lo, 0, v4
	s_and_b32 s26, vcc_lo, exec_lo
	s_delay_alu instid0(SALU_CYCLE_1)
	s_or_b32 s23, s23, s26
	s_or_b32 exec_lo, exec_lo, s24
	v_mov_b32_e32 v6, s25
	s_and_saveexec_b32 s24, s23
	s_cbranch_execnz .LBB280_670
	s_branch .LBB280_671
.LBB280_776:
	s_mov_b32 s25, -1
	s_mov_b32 s22, s0
	s_branch .LBB280_780
.LBB280_777:
	s_or_saveexec_b32 s24, s24
                                        ; implicit-def: $sgpr25
	s_delay_alu instid0(SALU_CYCLE_1)
	s_xor_b32 exec_lo, exec_lo, s24
	s_cbranch_execz .LBB280_682
.LBB280_778:
	v_add_f32_e32 v4, 0x42800000, v5
	s_and_not1_b32 s23, s23, exec_lo
	s_mov_b32 s25, 0
	s_delay_alu instid0(VALU_DEP_1) | instskip(NEXT) | instid1(VALU_DEP_1)
	v_and_b32_e32 v4, 0xff, v4
	v_cmp_ne_u32_e32 vcc_lo, 0, v4
	s_and_b32 s26, vcc_lo, exec_lo
	s_delay_alu instid0(SALU_CYCLE_1)
	s_or_b32 s23, s23, s26
	s_or_b32 exec_lo, exec_lo, s24
	v_mov_b32_e32 v6, s25
	s_and_saveexec_b32 s24, s23
	s_cbranch_execnz .LBB280_683
	s_branch .LBB280_684
.LBB280_779:
	s_mov_b32 s22, -1
.LBB280_780:
                                        ; implicit-def: $vgpr2
.LBB280_781:
	s_and_b32 vcc_lo, exec_lo, s25
	s_cbranch_vccz .LBB280_785
; %bb.782:
	v_cmp_eq_u16_e64 s22, s10, 44
	s_delay_alu instid0(VALU_DEP_1)
	s_and_b32 vcc_lo, exec_lo, s22
	s_cbranch_vccz .LBB280_784
; %bb.783:
	global_load_u8 v2, v[0:1], off
	s_mov_b32 s22, 0
	s_mov_b32 s24, -1
	s_waitcnt vmcnt(0)
	v_lshlrev_b32_e32 v3, 23, v2
	v_cmp_ne_u32_e32 vcc_lo, 0, v2
	s_delay_alu instid0(VALU_DEP_2) | instskip(NEXT) | instid1(VALU_DEP_1)
	v_trunc_f32_e32 v3, v3
	v_mul_f32_e64 v4, 0x2f800000, |v3|
	s_delay_alu instid0(VALU_DEP_1) | instskip(NEXT) | instid1(VALU_DEP_1)
	v_floor_f32_e32 v4, v4
	v_fma_f32 v4, 0xcf800000, v4, |v3|
	v_ashrrev_i32_e32 v3, 31, v3
	s_delay_alu instid0(VALU_DEP_2) | instskip(NEXT) | instid1(VALU_DEP_1)
	v_cvt_u32_f32_e32 v4, v4
	v_xor_b32_e32 v4, v4, v3
	s_delay_alu instid0(VALU_DEP_1) | instskip(NEXT) | instid1(VALU_DEP_1)
	v_sub_nc_u32_e32 v3, v4, v3
	v_cndmask_b32_e32 v2, 0, v3, vcc_lo
	s_branch .LBB280_785
.LBB280_784:
	s_mov_b32 s22, -1
                                        ; implicit-def: $vgpr2
.LBB280_785:
	s_mov_b32 s25, 0
.LBB280_786:
	s_delay_alu instid0(SALU_CYCLE_1)
	s_and_b32 vcc_lo, exec_lo, s25
	s_cbranch_vccz .LBB280_790
; %bb.787:
	v_cmp_eq_u16_e64 s22, s10, 29
	s_delay_alu instid0(VALU_DEP_1)
	s_and_b32 vcc_lo, exec_lo, s22
	s_cbranch_vccz .LBB280_789
; %bb.788:
	global_load_b64 v[2:3], v[0:1], off
	s_mov_b32 s22, 0
	s_mov_b32 s24, -1
	s_branch .LBB280_790
.LBB280_789:
	s_mov_b32 s22, -1
                                        ; implicit-def: $vgpr2
.LBB280_790:
	s_mov_b32 s25, 0
.LBB280_791:
	s_delay_alu instid0(SALU_CYCLE_1)
	s_and_b32 vcc_lo, exec_lo, s25
	s_cbranch_vccz .LBB280_807
; %bb.792:
	v_cmp_lt_i16_e64 s24, s10, 27
	s_delay_alu instid0(VALU_DEP_1)
	s_and_b32 vcc_lo, exec_lo, s24
	s_cbranch_vccnz .LBB280_795
; %bb.793:
	v_cmp_gt_i16_e64 s24, s10, 27
	s_delay_alu instid0(VALU_DEP_1)
	s_and_b32 vcc_lo, exec_lo, s24
	s_cbranch_vccz .LBB280_796
; %bb.794:
	global_load_b32 v2, v[0:1], off
	s_mov_b32 s24, 0
	s_branch .LBB280_797
.LBB280_795:
	s_mov_b32 s24, -1
                                        ; implicit-def: $vgpr2
	s_branch .LBB280_800
.LBB280_796:
	s_mov_b32 s24, -1
                                        ; implicit-def: $vgpr2
.LBB280_797:
	s_delay_alu instid0(SALU_CYCLE_1)
	s_and_not1_b32 vcc_lo, exec_lo, s24
	s_cbranch_vccnz .LBB280_799
; %bb.798:
	global_load_u16 v2, v[0:1], off
.LBB280_799:
	s_mov_b32 s24, 0
.LBB280_800:
	s_delay_alu instid0(SALU_CYCLE_1)
	s_and_not1_b32 vcc_lo, exec_lo, s24
	s_cbranch_vccnz .LBB280_806
; %bb.801:
	global_load_u8 v3, v[0:1], off
	s_mov_b32 s25, 0
	s_mov_b32 s24, exec_lo
                                        ; implicit-def: $sgpr26
	s_waitcnt vmcnt(0)
	v_cmpx_lt_i16_e32 0x7f, v3
	s_xor_b32 s24, exec_lo, s24
	s_cbranch_execz .LBB280_818
; %bb.802:
	v_cmp_ne_u16_e32 vcc_lo, 0x80, v3
	s_mov_b32 s26, 0
	s_and_b32 s25, vcc_lo, exec_lo
	s_or_saveexec_b32 s24, s24
	v_mov_b32_e32 v2, s26
	s_xor_b32 exec_lo, exec_lo, s24
	s_cbranch_execnz .LBB280_819
.LBB280_803:
	s_or_b32 exec_lo, exec_lo, s24
	s_and_saveexec_b32 s24, s25
	s_cbranch_execz .LBB280_805
.LBB280_804:
	v_and_b32_e32 v2, 0xffff, v3
	s_delay_alu instid0(VALU_DEP_1) | instskip(NEXT) | instid1(VALU_DEP_1)
	v_and_b32_e32 v4, 7, v2
	v_clz_i32_u32_e32 v5, v4
	s_delay_alu instid0(VALU_DEP_1) | instskip(NEXT) | instid1(VALU_DEP_1)
	v_min_u32_e32 v5, 32, v5
	v_subrev_nc_u32_e32 v6, 28, v5
	v_sub_nc_u32_e32 v5, 29, v5
	s_delay_alu instid0(VALU_DEP_2) | instskip(SKIP_1) | instid1(VALU_DEP_2)
	v_lshlrev_b32_e32 v6, v6, v2
	v_bfe_u32 v2, v2, 3, 4
	v_and_b32_e32 v6, 7, v6
	s_delay_alu instid0(VALU_DEP_2) | instskip(SKIP_1) | instid1(VALU_DEP_1)
	v_cmp_eq_u32_e32 vcc_lo, 0, v2
	v_dual_cndmask_b32 v2, v2, v5 :: v_dual_lshlrev_b32 v3, 24, v3
	v_dual_cndmask_b32 v4, v4, v6 :: v_dual_and_b32 v3, 0x80000000, v3
	s_delay_alu instid0(VALU_DEP_2) | instskip(NEXT) | instid1(VALU_DEP_2)
	v_lshl_add_u32 v2, v2, 23, 0x3b800000
	v_lshlrev_b32_e32 v4, 20, v4
	s_delay_alu instid0(VALU_DEP_1) | instskip(NEXT) | instid1(VALU_DEP_1)
	v_or3_b32 v2, v3, v2, v4
	v_trunc_f32_e32 v2, v2
	s_delay_alu instid0(VALU_DEP_1) | instskip(NEXT) | instid1(VALU_DEP_1)
	v_mul_f32_e64 v3, 0x2f800000, |v2|
	v_floor_f32_e32 v3, v3
	s_delay_alu instid0(VALU_DEP_1) | instskip(SKIP_1) | instid1(VALU_DEP_2)
	v_fma_f32 v3, 0xcf800000, v3, |v2|
	v_ashrrev_i32_e32 v2, 31, v2
	v_cvt_u32_f32_e32 v3, v3
	s_delay_alu instid0(VALU_DEP_1) | instskip(NEXT) | instid1(VALU_DEP_1)
	v_xor_b32_e32 v3, v3, v2
	v_sub_nc_u32_e32 v2, v3, v2
.LBB280_805:
	s_or_b32 exec_lo, exec_lo, s24
.LBB280_806:
	s_mov_b32 s24, -1
.LBB280_807:
	s_mov_b32 s25, 0
.LBB280_808:
	s_delay_alu instid0(SALU_CYCLE_1)
	s_and_b32 vcc_lo, exec_lo, s25
	s_cbranch_vccz .LBB280_839
; %bb.809:
	v_cmp_gt_i16_e64 s23, s10, 22
	s_delay_alu instid0(VALU_DEP_1)
	s_and_b32 vcc_lo, exec_lo, s23
	s_cbranch_vccz .LBB280_817
; %bb.810:
	v_cmp_lt_i16_e64 s23, s10, 24
	s_delay_alu instid0(VALU_DEP_1)
	s_and_b32 vcc_lo, exec_lo, s23
	s_cbranch_vccnz .LBB280_820
; %bb.811:
	v_cmp_gt_i16_e64 s23, s10, 24
	s_delay_alu instid0(VALU_DEP_1)
	s_and_b32 vcc_lo, exec_lo, s23
	s_cbranch_vccz .LBB280_821
; %bb.812:
	global_load_u8 v3, v[0:1], off
	s_mov_b32 s24, 0
	s_mov_b32 s23, exec_lo
                                        ; implicit-def: $sgpr25
	s_waitcnt vmcnt(0)
	v_cmpx_lt_i16_e32 0x7f, v3
	s_xor_b32 s23, exec_lo, s23
	s_cbranch_execz .LBB280_833
; %bb.813:
	v_cmp_ne_u16_e32 vcc_lo, 0x80, v3
	s_mov_b32 s25, 0
	s_and_b32 s24, vcc_lo, exec_lo
	s_or_saveexec_b32 s23, s23
	v_mov_b32_e32 v2, s25
	s_xor_b32 exec_lo, exec_lo, s23
	s_cbranch_execnz .LBB280_834
.LBB280_814:
	s_or_b32 exec_lo, exec_lo, s23
	s_and_saveexec_b32 s23, s24
	s_cbranch_execz .LBB280_816
.LBB280_815:
	v_and_b32_e32 v2, 0xffff, v3
	s_delay_alu instid0(VALU_DEP_1) | instskip(NEXT) | instid1(VALU_DEP_1)
	v_and_b32_e32 v4, 3, v2
	v_clz_i32_u32_e32 v5, v4
	s_delay_alu instid0(VALU_DEP_1) | instskip(NEXT) | instid1(VALU_DEP_1)
	v_min_u32_e32 v5, 32, v5
	v_subrev_nc_u32_e32 v6, 29, v5
	v_sub_nc_u32_e32 v5, 30, v5
	s_delay_alu instid0(VALU_DEP_2) | instskip(SKIP_1) | instid1(VALU_DEP_2)
	v_lshlrev_b32_e32 v6, v6, v2
	v_bfe_u32 v2, v2, 2, 5
	v_and_b32_e32 v6, 3, v6
	s_delay_alu instid0(VALU_DEP_2) | instskip(SKIP_1) | instid1(VALU_DEP_1)
	v_cmp_eq_u32_e32 vcc_lo, 0, v2
	v_dual_cndmask_b32 v2, v2, v5 :: v_dual_lshlrev_b32 v3, 24, v3
	v_dual_cndmask_b32 v4, v4, v6 :: v_dual_and_b32 v3, 0x80000000, v3
	s_delay_alu instid0(VALU_DEP_2) | instskip(NEXT) | instid1(VALU_DEP_2)
	v_lshl_add_u32 v2, v2, 23, 0x37800000
	v_lshlrev_b32_e32 v4, 21, v4
	s_delay_alu instid0(VALU_DEP_1) | instskip(NEXT) | instid1(VALU_DEP_1)
	v_or3_b32 v2, v3, v2, v4
	v_trunc_f32_e32 v2, v2
	s_delay_alu instid0(VALU_DEP_1) | instskip(NEXT) | instid1(VALU_DEP_1)
	v_mul_f32_e64 v3, 0x2f800000, |v2|
	v_floor_f32_e32 v3, v3
	s_delay_alu instid0(VALU_DEP_1) | instskip(SKIP_1) | instid1(VALU_DEP_2)
	v_fma_f32 v3, 0xcf800000, v3, |v2|
	v_ashrrev_i32_e32 v2, 31, v2
	v_cvt_u32_f32_e32 v3, v3
	s_delay_alu instid0(VALU_DEP_1) | instskip(NEXT) | instid1(VALU_DEP_1)
	v_xor_b32_e32 v3, v3, v2
	v_sub_nc_u32_e32 v2, v3, v2
.LBB280_816:
	s_or_b32 exec_lo, exec_lo, s23
	s_mov_b32 s23, 0
	s_branch .LBB280_822
.LBB280_817:
	s_mov_b32 s23, -1
                                        ; implicit-def: $vgpr2
	s_branch .LBB280_828
.LBB280_818:
	s_or_saveexec_b32 s24, s24
	v_mov_b32_e32 v2, s26
	s_xor_b32 exec_lo, exec_lo, s24
	s_cbranch_execz .LBB280_803
.LBB280_819:
	v_cmp_ne_u16_e32 vcc_lo, 0, v3
	v_mov_b32_e32 v2, 0
	s_and_not1_b32 s25, s25, exec_lo
	s_and_b32 s26, vcc_lo, exec_lo
	s_delay_alu instid0(SALU_CYCLE_1)
	s_or_b32 s25, s25, s26
	s_or_b32 exec_lo, exec_lo, s24
	s_and_saveexec_b32 s24, s25
	s_cbranch_execnz .LBB280_804
	s_branch .LBB280_805
.LBB280_820:
	s_mov_b32 s23, -1
                                        ; implicit-def: $vgpr2
	s_branch .LBB280_825
.LBB280_821:
	s_mov_b32 s23, -1
                                        ; implicit-def: $vgpr2
.LBB280_822:
	s_delay_alu instid0(SALU_CYCLE_1)
	s_and_b32 vcc_lo, exec_lo, s23
	s_cbranch_vccz .LBB280_824
; %bb.823:
	global_load_u8 v2, v[0:1], off
	s_waitcnt vmcnt(0)
	v_lshlrev_b32_e32 v2, 24, v2
	s_delay_alu instid0(VALU_DEP_1) | instskip(NEXT) | instid1(VALU_DEP_1)
	v_and_b32_e32 v3, 0x7f000000, v2
	v_clz_i32_u32_e32 v4, v3
	v_add_nc_u32_e32 v6, 0x1000000, v3
	v_cmp_ne_u32_e32 vcc_lo, 0, v3
	s_delay_alu instid0(VALU_DEP_3) | instskip(NEXT) | instid1(VALU_DEP_1)
	v_min_u32_e32 v4, 32, v4
	v_sub_nc_u32_e64 v4, v4, 4 clamp
	s_delay_alu instid0(VALU_DEP_1) | instskip(SKIP_1) | instid1(VALU_DEP_2)
	v_lshlrev_b32_e32 v5, v4, v3
	v_lshlrev_b32_e32 v4, 23, v4
	v_lshrrev_b32_e32 v5, 4, v5
	s_delay_alu instid0(VALU_DEP_1) | instskip(SKIP_1) | instid1(VALU_DEP_2)
	v_sub_nc_u32_e32 v4, v5, v4
	v_ashrrev_i32_e32 v5, 8, v6
	v_add_nc_u32_e32 v4, 0x3c000000, v4
	s_delay_alu instid0(VALU_DEP_1) | instskip(NEXT) | instid1(VALU_DEP_1)
	v_and_or_b32 v4, 0x7f800000, v5, v4
	v_cndmask_b32_e32 v3, 0, v4, vcc_lo
	s_delay_alu instid0(VALU_DEP_1) | instskip(NEXT) | instid1(VALU_DEP_1)
	v_and_or_b32 v2, 0x80000000, v2, v3
	v_trunc_f32_e32 v2, v2
	s_delay_alu instid0(VALU_DEP_1) | instskip(NEXT) | instid1(VALU_DEP_1)
	v_mul_f32_e64 v3, 0x2f800000, |v2|
	v_floor_f32_e32 v3, v3
	s_delay_alu instid0(VALU_DEP_1) | instskip(SKIP_1) | instid1(VALU_DEP_2)
	v_fma_f32 v3, 0xcf800000, v3, |v2|
	v_ashrrev_i32_e32 v2, 31, v2
	v_cvt_u32_f32_e32 v3, v3
	s_delay_alu instid0(VALU_DEP_1) | instskip(NEXT) | instid1(VALU_DEP_1)
	v_xor_b32_e32 v3, v3, v2
	v_sub_nc_u32_e32 v2, v3, v2
.LBB280_824:
	s_mov_b32 s23, 0
.LBB280_825:
	s_delay_alu instid0(SALU_CYCLE_1)
	s_and_not1_b32 vcc_lo, exec_lo, s23
	s_cbranch_vccnz .LBB280_827
; %bb.826:
	global_load_u8 v2, v[0:1], off
	s_waitcnt vmcnt(0)
	v_lshlrev_b32_e32 v3, 25, v2
	v_lshlrev_b16 v2, 8, v2
	s_delay_alu instid0(VALU_DEP_2) | instskip(NEXT) | instid1(VALU_DEP_2)
	v_lshrrev_b32_e32 v4, 4, v3
	v_and_or_b32 v5, 0x7f00, v2, 0.5
	v_bfe_i32 v2, v2, 0, 16
	s_delay_alu instid0(VALU_DEP_3) | instskip(NEXT) | instid1(VALU_DEP_1)
	v_or_b32_e32 v4, 0x70000000, v4
	v_dual_add_f32 v5, -0.5, v5 :: v_dual_mul_f32 v4, 0x7800000, v4
	v_cmp_gt_u32_e32 vcc_lo, 0x8000000, v3
	s_delay_alu instid0(VALU_DEP_2) | instskip(NEXT) | instid1(VALU_DEP_1)
	v_cndmask_b32_e32 v3, v4, v5, vcc_lo
	v_and_or_b32 v2, 0x80000000, v2, v3
	s_delay_alu instid0(VALU_DEP_1) | instskip(NEXT) | instid1(VALU_DEP_1)
	v_trunc_f32_e32 v2, v2
	v_mul_f32_e64 v3, 0x2f800000, |v2|
	s_delay_alu instid0(VALU_DEP_1) | instskip(NEXT) | instid1(VALU_DEP_1)
	v_floor_f32_e32 v3, v3
	v_fma_f32 v3, 0xcf800000, v3, |v2|
	v_ashrrev_i32_e32 v2, 31, v2
	s_delay_alu instid0(VALU_DEP_2) | instskip(NEXT) | instid1(VALU_DEP_1)
	v_cvt_u32_f32_e32 v3, v3
	v_xor_b32_e32 v3, v3, v2
	s_delay_alu instid0(VALU_DEP_1)
	v_sub_nc_u32_e32 v2, v3, v2
.LBB280_827:
	s_mov_b32 s23, 0
	s_mov_b32 s24, -1
.LBB280_828:
	s_and_not1_b32 vcc_lo, exec_lo, s23
	s_mov_b32 s23, 0
	s_cbranch_vccnz .LBB280_839
; %bb.829:
	v_cmp_gt_i16_e64 s23, s10, 14
	s_delay_alu instid0(VALU_DEP_1)
	s_and_b32 vcc_lo, exec_lo, s23
	s_cbranch_vccz .LBB280_832
; %bb.830:
	v_cmp_eq_u16_e64 s22, s10, 15
	s_delay_alu instid0(VALU_DEP_1)
	s_and_b32 vcc_lo, exec_lo, s22
	s_cbranch_vccz .LBB280_835
; %bb.831:
	global_load_u16 v2, v[0:1], off
	s_mov_b32 s22, 0
	s_mov_b32 s24, -1
	s_waitcnt vmcnt(0)
	v_lshlrev_b32_e32 v2, 16, v2
	s_delay_alu instid0(VALU_DEP_1) | instskip(NEXT) | instid1(VALU_DEP_1)
	v_trunc_f32_e32 v2, v2
	v_mul_f32_e64 v3, 0x2f800000, |v2|
	s_delay_alu instid0(VALU_DEP_1) | instskip(NEXT) | instid1(VALU_DEP_1)
	v_floor_f32_e32 v3, v3
	v_fma_f32 v3, 0xcf800000, v3, |v2|
	v_ashrrev_i32_e32 v2, 31, v2
	s_delay_alu instid0(VALU_DEP_2) | instskip(NEXT) | instid1(VALU_DEP_1)
	v_cvt_u32_f32_e32 v3, v3
	v_xor_b32_e32 v3, v3, v2
	s_delay_alu instid0(VALU_DEP_1)
	v_sub_nc_u32_e32 v2, v3, v2
	s_branch .LBB280_836
.LBB280_832:
	s_mov_b32 s23, -1
                                        ; implicit-def: $vgpr2
	s_branch .LBB280_837
.LBB280_833:
	s_or_saveexec_b32 s23, s23
	v_mov_b32_e32 v2, s25
	s_xor_b32 exec_lo, exec_lo, s23
	s_cbranch_execz .LBB280_814
.LBB280_834:
	v_cmp_ne_u16_e32 vcc_lo, 0, v3
	v_mov_b32_e32 v2, 0
	s_and_not1_b32 s24, s24, exec_lo
	s_and_b32 s25, vcc_lo, exec_lo
	s_delay_alu instid0(SALU_CYCLE_1)
	s_or_b32 s24, s24, s25
	s_or_b32 exec_lo, exec_lo, s23
	s_and_saveexec_b32 s23, s24
	s_cbranch_execnz .LBB280_815
	s_branch .LBB280_816
.LBB280_835:
	s_mov_b32 s22, -1
                                        ; implicit-def: $vgpr2
.LBB280_836:
	s_mov_b32 s23, 0
.LBB280_837:
	s_delay_alu instid0(SALU_CYCLE_1)
	s_and_b32 vcc_lo, exec_lo, s23
	s_mov_b32 s23, 0
	s_cbranch_vccz .LBB280_839
; %bb.838:
	v_cmp_ne_u16_e64 s23, s10, 11
	s_and_not1_b32 s22, s22, exec_lo
                                        ; implicit-def: $vgpr2
	s_delay_alu instid0(VALU_DEP_1)
	s_and_b32 s25, s23, exec_lo
	s_mov_b32 s23, -1
	s_or_b32 s22, s22, s25
.LBB280_839:
	s_mov_b32 s26, 0
.LBB280_840:
	s_and_b32 s25, s24, exec_lo
	s_and_b32 s24, s26, exec_lo
	s_and_not1_b32 s26, s0, exec_lo
	s_and_b32 s27, s22, exec_lo
	s_and_b32 s22, s23, exec_lo
	s_or_b32 s23, s26, s27
.LBB280_841:
	s_or_b32 exec_lo, exec_lo, s14
	s_delay_alu instid0(SALU_CYCLE_1)
	s_and_not1_b32 s0, s0, exec_lo
	s_and_b32 s14, s23, exec_lo
	s_and_b32 s25, s25, exec_lo
	;; [unrolled: 1-line block ×4, first 2 shown]
	s_or_b32 s0, s0, s14
.LBB280_842:
	s_or_b32 exec_lo, exec_lo, s20
	s_delay_alu instid0(SALU_CYCLE_1)
	s_and_not1_b32 s14, s18, exec_lo
	s_and_b32 s18, s21, exec_lo
	s_and_b32 s0, s0, exec_lo
	s_or_b32 s18, s14, s18
	s_and_not1_b32 s14, s17, exec_lo
	s_and_b32 s22, s25, exec_lo
	s_and_b32 s21, s24, exec_lo
	;; [unrolled: 1-line block ×3, first 2 shown]
	s_or_b32 s17, s14, s0
.LBB280_843:
	s_or_b32 exec_lo, exec_lo, s19
	s_delay_alu instid0(SALU_CYCLE_1)
	s_and_not1_b32 s0, s13, exec_lo
	s_and_b32 s13, s18, exec_lo
	s_and_not1_b32 s14, s15, exec_lo
	s_and_b32 s15, s17, exec_lo
	s_or_b32 s13, s0, s13
	s_and_b32 s0, s22, exec_lo
	s_and_b32 s18, s21, exec_lo
	;; [unrolled: 1-line block ×3, first 2 shown]
	s_or_b32 s15, s14, s15
.LBB280_844:
	s_or_b32 exec_lo, exec_lo, s16
	s_mov_b32 s14, 0
	s_and_saveexec_b32 s16, s15
	s_cbranch_execnz .LBB280_856
; %bb.845:
	s_or_b32 exec_lo, exec_lo, s16
	s_and_saveexec_b32 s15, s17
	s_delay_alu instid0(SALU_CYCLE_1)
	s_xor_b32 s15, exec_lo, s15
	s_cbranch_execz .LBB280_847
.LBB280_846:
	global_load_u8 v2, v[0:1], off
	s_or_b32 s0, s0, exec_lo
	s_waitcnt vmcnt(0)
	v_cmp_ne_u16_e32 vcc_lo, 0, v2
	v_cndmask_b32_e64 v2, 0, 1, vcc_lo
.LBB280_847:
	s_or_b32 exec_lo, exec_lo, s15
	s_and_saveexec_b32 s15, s18
	s_cbranch_execz .LBB280_895
; %bb.848:
	v_cmp_lt_i16_e64 s16, s10, 5
	s_delay_alu instid0(VALU_DEP_1)
	s_and_b32 vcc_lo, exec_lo, s16
	s_cbranch_vccnz .LBB280_853
; %bb.849:
	v_cmp_lt_i16_e64 s16, s10, 8
	s_delay_alu instid0(VALU_DEP_1)
	s_and_b32 vcc_lo, exec_lo, s16
	s_cbranch_vccnz .LBB280_854
	;; [unrolled: 5-line block ×3, first 2 shown]
; %bb.851:
	v_cmp_gt_i16_e64 s16, s10, 9
	s_delay_alu instid0(VALU_DEP_1)
	s_and_b32 vcc_lo, exec_lo, s16
	s_cbranch_vccz .LBB280_858
; %bb.852:
	global_load_b64 v[2:3], v[0:1], off
	s_mov_b32 s16, 0
	s_waitcnt vmcnt(0)
	v_trunc_f64_e32 v[2:3], v[2:3]
	s_delay_alu instid0(VALU_DEP_1) | instskip(NEXT) | instid1(VALU_DEP_1)
	v_ldexp_f64 v[4:5], v[2:3], 0xffffffe0
	v_floor_f64_e32 v[4:5], v[4:5]
	s_delay_alu instid0(VALU_DEP_1) | instskip(NEXT) | instid1(VALU_DEP_1)
	v_fma_f64 v[2:3], 0xc1f00000, v[4:5], v[2:3]
	v_cvt_u32_f64_e32 v2, v[2:3]
	s_branch .LBB280_859
.LBB280_853:
                                        ; implicit-def: $vgpr2
	s_branch .LBB280_876
.LBB280_854:
                                        ; implicit-def: $vgpr2
	s_branch .LBB280_865
.LBB280_855:
	s_mov_b32 s16, -1
                                        ; implicit-def: $vgpr2
	s_branch .LBB280_862
.LBB280_856:
	s_cbranch_execnz .LBB280_904
; %bb.857:
	s_mov_b32 s14, exec_lo
	s_and_not1_b32 s17, s17, exec_lo
                                        ; implicit-def: $vgpr2
	s_or_b32 exec_lo, exec_lo, s16
	s_and_saveexec_b32 s15, s17
	s_delay_alu instid0(SALU_CYCLE_1)
	s_xor_b32 s15, exec_lo, s15
	s_cbranch_execnz .LBB280_846
	s_branch .LBB280_847
.LBB280_858:
	s_mov_b32 s16, -1
                                        ; implicit-def: $vgpr2
.LBB280_859:
	s_delay_alu instid0(SALU_CYCLE_1)
	s_and_not1_b32 vcc_lo, exec_lo, s16
	s_cbranch_vccnz .LBB280_861
; %bb.860:
	global_load_b32 v2, v[0:1], off
	s_waitcnt vmcnt(0)
	v_trunc_f32_e32 v2, v2
	s_delay_alu instid0(VALU_DEP_1) | instskip(NEXT) | instid1(VALU_DEP_1)
	v_mul_f32_e64 v3, 0x2f800000, |v2|
	v_floor_f32_e32 v3, v3
	s_delay_alu instid0(VALU_DEP_1) | instskip(SKIP_1) | instid1(VALU_DEP_2)
	v_fma_f32 v3, 0xcf800000, v3, |v2|
	v_ashrrev_i32_e32 v2, 31, v2
	v_cvt_u32_f32_e32 v3, v3
	s_delay_alu instid0(VALU_DEP_1) | instskip(NEXT) | instid1(VALU_DEP_1)
	v_xor_b32_e32 v3, v3, v2
	v_sub_nc_u32_e32 v2, v3, v2
.LBB280_861:
	s_mov_b32 s16, 0
.LBB280_862:
	s_delay_alu instid0(SALU_CYCLE_1)
	s_and_not1_b32 vcc_lo, exec_lo, s16
	s_cbranch_vccnz .LBB280_864
; %bb.863:
	global_load_b32 v2, v[0:1], off
	s_waitcnt vmcnt(0)
	v_cvt_f32_f16_e32 v2, v2
	s_delay_alu instid0(VALU_DEP_1)
	v_cvt_i32_f32_e32 v2, v2
.LBB280_864:
	s_cbranch_execnz .LBB280_875
.LBB280_865:
	v_cmp_lt_i16_e64 s16, s10, 6
	s_delay_alu instid0(VALU_DEP_1)
	s_and_b32 vcc_lo, exec_lo, s16
	s_cbranch_vccnz .LBB280_868
; %bb.866:
	v_cmp_gt_i16_e64 s16, s10, 6
	s_delay_alu instid0(VALU_DEP_1)
	s_and_b32 vcc_lo, exec_lo, s16
	s_cbranch_vccz .LBB280_869
; %bb.867:
	global_load_b64 v[2:3], v[0:1], off
	s_mov_b32 s16, 0
	s_waitcnt vmcnt(0)
	v_trunc_f64_e32 v[2:3], v[2:3]
	s_delay_alu instid0(VALU_DEP_1) | instskip(NEXT) | instid1(VALU_DEP_1)
	v_ldexp_f64 v[4:5], v[2:3], 0xffffffe0
	v_floor_f64_e32 v[4:5], v[4:5]
	s_delay_alu instid0(VALU_DEP_1) | instskip(NEXT) | instid1(VALU_DEP_1)
	v_fma_f64 v[2:3], 0xc1f00000, v[4:5], v[2:3]
	v_cvt_u32_f64_e32 v2, v[2:3]
	s_branch .LBB280_870
.LBB280_868:
	s_mov_b32 s16, -1
                                        ; implicit-def: $vgpr2
	s_branch .LBB280_873
.LBB280_869:
	s_mov_b32 s16, -1
                                        ; implicit-def: $vgpr2
.LBB280_870:
	s_delay_alu instid0(SALU_CYCLE_1)
	s_and_not1_b32 vcc_lo, exec_lo, s16
	s_cbranch_vccnz .LBB280_872
; %bb.871:
	global_load_b32 v2, v[0:1], off
	s_waitcnt vmcnt(0)
	v_trunc_f32_e32 v2, v2
	s_delay_alu instid0(VALU_DEP_1) | instskip(NEXT) | instid1(VALU_DEP_1)
	v_mul_f32_e64 v3, 0x2f800000, |v2|
	v_floor_f32_e32 v3, v3
	s_delay_alu instid0(VALU_DEP_1) | instskip(SKIP_1) | instid1(VALU_DEP_2)
	v_fma_f32 v3, 0xcf800000, v3, |v2|
	v_ashrrev_i32_e32 v2, 31, v2
	v_cvt_u32_f32_e32 v3, v3
	s_delay_alu instid0(VALU_DEP_1) | instskip(NEXT) | instid1(VALU_DEP_1)
	v_xor_b32_e32 v3, v3, v2
	v_sub_nc_u32_e32 v2, v3, v2
.LBB280_872:
	s_mov_b32 s16, 0
.LBB280_873:
	s_delay_alu instid0(SALU_CYCLE_1)
	s_and_not1_b32 vcc_lo, exec_lo, s16
	s_cbranch_vccnz .LBB280_875
; %bb.874:
	global_load_u16 v2, v[0:1], off
	s_waitcnt vmcnt(0)
	v_cvt_f32_f16_e32 v2, v2
	s_delay_alu instid0(VALU_DEP_1)
	v_cvt_i32_f32_e32 v2, v2
.LBB280_875:
	s_cbranch_execnz .LBB280_894
.LBB280_876:
	v_cmp_lt_i16_e64 s16, s10, 2
	s_delay_alu instid0(VALU_DEP_1)
	s_and_b32 vcc_lo, exec_lo, s16
	s_cbranch_vccnz .LBB280_880
; %bb.877:
	v_cmp_lt_i16_e64 s16, s10, 3
	s_delay_alu instid0(VALU_DEP_1)
	s_and_b32 vcc_lo, exec_lo, s16
	s_cbranch_vccnz .LBB280_881
; %bb.878:
	v_cmp_gt_i16_e64 s16, s10, 3
	s_delay_alu instid0(VALU_DEP_1)
	s_and_b32 vcc_lo, exec_lo, s16
	s_cbranch_vccz .LBB280_882
; %bb.879:
	global_load_b64 v[2:3], v[0:1], off
	s_mov_b32 s16, 0
	s_branch .LBB280_883
.LBB280_880:
                                        ; implicit-def: $vgpr2
	s_branch .LBB280_889
.LBB280_881:
	s_mov_b32 s16, -1
                                        ; implicit-def: $vgpr2
	s_branch .LBB280_886
.LBB280_882:
	s_mov_b32 s16, -1
                                        ; implicit-def: $vgpr2
.LBB280_883:
	s_delay_alu instid0(SALU_CYCLE_1)
	s_and_not1_b32 vcc_lo, exec_lo, s16
	s_cbranch_vccnz .LBB280_885
; %bb.884:
	global_load_b32 v2, v[0:1], off
.LBB280_885:
	s_mov_b32 s16, 0
.LBB280_886:
	s_delay_alu instid0(SALU_CYCLE_1)
	s_and_not1_b32 vcc_lo, exec_lo, s16
	s_cbranch_vccnz .LBB280_888
; %bb.887:
	global_load_u16 v2, v[0:1], off
.LBB280_888:
	s_cbranch_execnz .LBB280_894
.LBB280_889:
	v_cmp_gt_i16_e64 s16, s10, 0
	s_delay_alu instid0(VALU_DEP_1)
	s_and_b32 vcc_lo, exec_lo, s16
	s_mov_b32 s16, 0
	s_cbranch_vccz .LBB280_891
; %bb.890:
	global_load_u8 v2, v[0:1], off
	s_branch .LBB280_892
.LBB280_891:
	s_mov_b32 s16, -1
                                        ; implicit-def: $vgpr2
.LBB280_892:
	s_delay_alu instid0(SALU_CYCLE_1)
	s_and_not1_b32 vcc_lo, exec_lo, s16
	s_cbranch_vccnz .LBB280_894
; %bb.893:
	global_load_u8 v2, v[0:1], off
.LBB280_894:
	s_or_b32 s0, s0, exec_lo
.LBB280_895:
	s_or_b32 exec_lo, exec_lo, s15
	s_mov_b32 s17, 0
	s_mov_b32 s16, 0
                                        ; implicit-def: $vgpr4
                                        ; implicit-def: $vgpr0_vgpr1
                                        ; implicit-def: $vgpr3
	s_and_saveexec_b32 s15, s0
	s_cbranch_execz .LBB280_975
; %bb.896:
	s_waitcnt vmcnt(0)
	s_delay_alu instid0(VALU_DEP_1) | instskip(SKIP_4) | instid1(VALU_DEP_3)
	v_and_b32_e32 v1, 0xff, v2
	v_mul_lo_u32 v2, v7, s2
	v_and_b32_e64 v0, 0xff, s8
	v_and_b32_e64 v4, 0xff, s1
	;; [unrolled: 1-line block ×3, first 2 shown]
	v_max_u16 v0, v1, v0
	s_delay_alu instid0(VALU_DEP_3) | instskip(SKIP_1) | instid1(VALU_DEP_3)
	v_cmp_gt_i16_e32 vcc_lo, 11, v4
	v_ashrrev_i32_e32 v1, 31, v2
	v_min_u16 v3, v0, v3
	v_add_co_u32 v0, s0, s4, v2
	s_delay_alu instid0(VALU_DEP_1)
	v_add_co_ci_u32_e64 v1, s0, s5, v1, s0
	s_cbranch_vccnz .LBB280_903
; %bb.897:
	v_cmp_lt_i16_e32 vcc_lo, 25, v4
	s_mov_b32 s16, -1
	s_mov_b32 s0, s13
	s_cbranch_vccz .LBB280_933
; %bb.898:
	v_cmp_lt_i16_e32 vcc_lo, 28, v4
	s_mov_b32 s0, s13
	s_cbranch_vccz .LBB280_917
; %bb.899:
	v_cmp_lt_i16_e32 vcc_lo, 43, v4
	;; [unrolled: 4-line block ×3, first 2 shown]
	s_mov_b32 s0, s13
	s_cbranch_vccz .LBB280_907
; %bb.901:
	v_cmp_eq_u16_e32 vcc_lo, 46, v4
	s_mov_b32 s0, -1
	s_cbranch_vccz .LBB280_906
; %bb.902:
	v_cvt_f32_ubyte0_e32 v2, v3
	s_mov_b32 s0, 0
	s_mov_b32 s16, 0
	s_delay_alu instid0(VALU_DEP_1) | instskip(NEXT) | instid1(VALU_DEP_1)
	v_bfe_u32 v5, v2, 16, 1
	v_add3_u32 v2, v2, v5, 0x7fff
	s_delay_alu instid0(VALU_DEP_1)
	v_lshrrev_b32_e32 v2, 16, v2
	global_store_b32 v[0:1], v2, off
	s_branch .LBB280_907
.LBB280_903:
	s_mov_b32 s16, -1
	s_mov_b32 s0, s13
	s_branch .LBB280_974
.LBB280_904:
	s_trap 2
	s_sendmsg_rtn_b32 s0, sendmsg(MSG_RTN_GET_DOORBELL)
	s_mov_b32 ttmp2, m0
	s_waitcnt lgkmcnt(0)
	s_and_b32 s0, s0, 0x3ff
	s_delay_alu instid0(SALU_CYCLE_1) | instskip(NEXT) | instid1(SALU_CYCLE_1)
	s_bitset1_b32 s0, 10
	s_mov_b32 m0, s0
	s_sendmsg sendmsg(MSG_INTERRUPT)
	s_mov_b32 m0, ttmp2
.LBB280_905:                            ; =>This Inner Loop Header: Depth=1
	s_sethalt 5
	s_branch .LBB280_905
.LBB280_906:
	s_mov_b32 s16, 0
.LBB280_907:
	s_delay_alu instid0(SALU_CYCLE_1)
	s_and_b32 vcc_lo, exec_lo, s16
	s_cbranch_vccz .LBB280_912
; %bb.908:
	v_cmp_eq_u16_e32 vcc_lo, 44, v4
	s_mov_b32 s0, -1
	s_cbranch_vccz .LBB280_912
; %bb.909:
	v_cvt_f32_ubyte0_e32 v6, v3
	v_mov_b32_e32 v5, 0xff
	s_mov_b32 s16, exec_lo
	s_delay_alu instid0(VALU_DEP_2) | instskip(NEXT) | instid1(VALU_DEP_1)
	v_lshrrev_b32_e32 v2, 23, v6
	v_cmpx_ne_u32_e32 0xff, v2
; %bb.910:
	v_and_b32_e32 v5, 0x400000, v6
	v_and_or_b32 v6, 0x3fffff, v6, v2
	s_delay_alu instid0(VALU_DEP_2) | instskip(NEXT) | instid1(VALU_DEP_2)
	v_cmp_ne_u32_e32 vcc_lo, 0, v5
	v_cmp_ne_u32_e64 s0, 0, v6
	s_delay_alu instid0(VALU_DEP_1) | instskip(NEXT) | instid1(SALU_CYCLE_1)
	s_and_b32 s0, vcc_lo, s0
	v_cndmask_b32_e64 v5, 0, 1, s0
	s_delay_alu instid0(VALU_DEP_1)
	v_add_nc_u32_e32 v5, v2, v5
; %bb.911:
	s_or_b32 exec_lo, exec_lo, s16
	s_mov_b32 s0, 0
	global_store_b8 v[0:1], v5, off
.LBB280_912:
	s_mov_b32 s16, 0
.LBB280_913:
	s_delay_alu instid0(SALU_CYCLE_1)
	s_and_b32 vcc_lo, exec_lo, s16
	s_cbranch_vccz .LBB280_916
; %bb.914:
	v_cmp_eq_u16_e32 vcc_lo, 29, v4
	s_mov_b32 s0, -1
	s_cbranch_vccz .LBB280_916
; %bb.915:
	s_mov_b32 s0, 0
	s_delay_alu instid0(SALU_CYCLE_1)
	v_dual_mov_b32 v6, s0 :: v_dual_and_b32 v5, 0xffff, v3
	s_mov_b32 s16, 0
	global_store_b64 v[0:1], v[5:6], off
	s_branch .LBB280_917
.LBB280_916:
	s_mov_b32 s16, 0
.LBB280_917:
	s_delay_alu instid0(SALU_CYCLE_1)
	s_and_b32 vcc_lo, exec_lo, s16
	s_cbranch_vccz .LBB280_932
; %bb.918:
	v_cmp_gt_i16_e32 vcc_lo, 27, v4
	s_mov_b32 s16, -1
	s_cbranch_vccnz .LBB280_924
; %bb.919:
	v_cmp_lt_i16_e32 vcc_lo, 27, v4
	s_cbranch_vccz .LBB280_921
; %bb.920:
	v_and_b32_e32 v2, 0xffff, v3
	s_mov_b32 s16, 0
	global_store_b32 v[0:1], v2, off
.LBB280_921:
	s_and_not1_b32 vcc_lo, exec_lo, s16
	s_cbranch_vccnz .LBB280_923
; %bb.922:
	global_store_b16 v[0:1], v3, off
.LBB280_923:
	s_mov_b32 s16, 0
.LBB280_924:
	s_delay_alu instid0(SALU_CYCLE_1)
	s_and_not1_b32 vcc_lo, exec_lo, s16
	s_cbranch_vccnz .LBB280_932
; %bb.925:
	v_cvt_f32_ubyte0_e32 v5, v3
	v_mov_b32_e32 v6, 0x80
	s_mov_b32 s16, exec_lo
	s_delay_alu instid0(VALU_DEP_2)
	v_cmpx_gt_u32_e32 0x43800000, v5
	s_cbranch_execz .LBB280_931
; %bb.926:
	s_mov_b32 s18, exec_lo
                                        ; implicit-def: $vgpr2
	v_cmpx_lt_u32_e32 0x3bffffff, v5
	s_xor_b32 s18, exec_lo, s18
	s_cbranch_execz .LBB280_1161
; %bb.927:
	v_bfe_u32 v2, v5, 20, 1
	s_mov_b32 s17, exec_lo
	s_delay_alu instid0(VALU_DEP_1) | instskip(NEXT) | instid1(VALU_DEP_1)
	v_add3_u32 v2, v5, v2, 0x487ffff
                                        ; implicit-def: $vgpr5
	v_lshrrev_b32_e32 v2, 20, v2
	s_or_saveexec_b32 s18, s18
                                        ; implicit-def: $sgpr19
	s_delay_alu instid0(SALU_CYCLE_1)
	s_xor_b32 exec_lo, exec_lo, s18
	s_cbranch_execnz .LBB280_1162
.LBB280_928:
	s_or_b32 exec_lo, exec_lo, s18
	v_mov_b32_e32 v6, s19
	s_and_saveexec_b32 s18, s17
.LBB280_929:
	v_mov_b32_e32 v6, v2
.LBB280_930:
	s_or_b32 exec_lo, exec_lo, s18
.LBB280_931:
	s_delay_alu instid0(SALU_CYCLE_1)
	s_or_b32 exec_lo, exec_lo, s16
	global_store_b8 v[0:1], v6, off
.LBB280_932:
	s_mov_b32 s16, 0
.LBB280_933:
	s_delay_alu instid0(SALU_CYCLE_1)
	s_and_b32 vcc_lo, exec_lo, s16
	s_mov_b32 s16, 0
	s_cbranch_vccz .LBB280_973
; %bb.934:
	v_cmp_lt_i16_e32 vcc_lo, 22, v4
	s_mov_b32 s17, -1
	s_cbranch_vccz .LBB280_966
; %bb.935:
	v_cmp_gt_i16_e32 vcc_lo, 24, v4
	s_cbranch_vccnz .LBB280_955
; %bb.936:
	v_cmp_lt_i16_e32 vcc_lo, 24, v4
	s_cbranch_vccz .LBB280_944
; %bb.937:
	v_cvt_f32_ubyte0_e32 v5, v3
	v_mov_b32_e32 v6, 0x80
	s_mov_b32 s17, exec_lo
	s_delay_alu instid0(VALU_DEP_2)
	v_cmpx_gt_u32_e32 0x47800000, v5
	s_cbranch_execz .LBB280_943
; %bb.938:
	s_mov_b32 s18, 0
	s_mov_b32 s19, exec_lo
                                        ; implicit-def: $vgpr2
	v_cmpx_lt_u32_e32 0x37ffffff, v5
	s_xor_b32 s19, exec_lo, s19
	s_cbranch_execz .LBB280_1205
; %bb.939:
	v_bfe_u32 v2, v5, 21, 1
	s_mov_b32 s18, exec_lo
	s_delay_alu instid0(VALU_DEP_1) | instskip(NEXT) | instid1(VALU_DEP_1)
	v_add3_u32 v2, v5, v2, 0x88fffff
                                        ; implicit-def: $vgpr5
	v_lshrrev_b32_e32 v2, 21, v2
	s_or_saveexec_b32 s19, s19
                                        ; implicit-def: $sgpr20
	s_delay_alu instid0(SALU_CYCLE_1)
	s_xor_b32 exec_lo, exec_lo, s19
	s_cbranch_execnz .LBB280_1206
.LBB280_940:
	s_or_b32 exec_lo, exec_lo, s19
	v_mov_b32_e32 v6, s20
	s_and_saveexec_b32 s19, s18
.LBB280_941:
	v_mov_b32_e32 v6, v2
.LBB280_942:
	s_or_b32 exec_lo, exec_lo, s19
.LBB280_943:
	s_delay_alu instid0(SALU_CYCLE_1)
	s_or_b32 exec_lo, exec_lo, s17
	s_mov_b32 s17, 0
	global_store_b8 v[0:1], v6, off
.LBB280_944:
	s_and_b32 vcc_lo, exec_lo, s17
	s_cbranch_vccz .LBB280_954
; %bb.945:
	v_cvt_f32_ubyte0_e32 v5, v3
	s_mov_b32 s17, exec_lo
                                        ; implicit-def: $vgpr2
	s_delay_alu instid0(VALU_DEP_1)
	v_cmpx_gt_u32_e32 0x43f00000, v5
	s_xor_b32 s17, exec_lo, s17
	s_cbranch_execz .LBB280_951
; %bb.946:
	s_mov_b32 s18, exec_lo
                                        ; implicit-def: $vgpr2
	v_cmpx_lt_u32_e32 0x3c7fffff, v5
	s_xor_b32 s18, exec_lo, s18
; %bb.947:
	v_bfe_u32 v2, v5, 20, 1
	s_delay_alu instid0(VALU_DEP_1) | instskip(NEXT) | instid1(VALU_DEP_1)
	v_add3_u32 v2, v5, v2, 0x407ffff
	v_and_b32_e32 v5, 0xff00000, v2
	v_lshrrev_b32_e32 v2, 20, v2
	s_delay_alu instid0(VALU_DEP_2) | instskip(NEXT) | instid1(VALU_DEP_2)
	v_cmp_ne_u32_e32 vcc_lo, 0x7f00000, v5
                                        ; implicit-def: $vgpr5
	v_cndmask_b32_e32 v2, 0x7e, v2, vcc_lo
; %bb.948:
	s_and_not1_saveexec_b32 s18, s18
; %bb.949:
	v_add_f32_e32 v2, 0x46800000, v5
; %bb.950:
	s_or_b32 exec_lo, exec_lo, s18
                                        ; implicit-def: $vgpr5
.LBB280_951:
	s_and_not1_saveexec_b32 s17, s17
; %bb.952:
	v_mov_b32_e32 v2, 0x7f
	v_cmp_lt_u32_e32 vcc_lo, 0x7f800000, v5
	s_delay_alu instid0(VALU_DEP_2)
	v_cndmask_b32_e32 v2, 0x7e, v2, vcc_lo
; %bb.953:
	s_or_b32 exec_lo, exec_lo, s17
	global_store_b8 v[0:1], v2, off
.LBB280_954:
	s_mov_b32 s17, 0
.LBB280_955:
	s_delay_alu instid0(SALU_CYCLE_1)
	s_and_not1_b32 vcc_lo, exec_lo, s17
	s_cbranch_vccnz .LBB280_965
; %bb.956:
	v_cvt_f32_ubyte0_e32 v5, v3
	s_mov_b32 s17, exec_lo
                                        ; implicit-def: $vgpr2
	s_delay_alu instid0(VALU_DEP_1)
	v_cmpx_gt_u32_e32 0x47800000, v5
	s_xor_b32 s17, exec_lo, s17
	s_cbranch_execz .LBB280_962
; %bb.957:
	s_mov_b32 s18, exec_lo
                                        ; implicit-def: $vgpr2
	v_cmpx_lt_u32_e32 0x387fffff, v5
	s_xor_b32 s18, exec_lo, s18
; %bb.958:
	v_bfe_u32 v2, v5, 21, 1
	s_delay_alu instid0(VALU_DEP_1) | instskip(NEXT) | instid1(VALU_DEP_1)
	v_add3_u32 v2, v5, v2, 0x80fffff
                                        ; implicit-def: $vgpr5
	v_lshrrev_b32_e32 v2, 21, v2
; %bb.959:
	s_and_not1_saveexec_b32 s18, s18
; %bb.960:
	v_add_f32_e32 v2, 0x43000000, v5
; %bb.961:
	s_or_b32 exec_lo, exec_lo, s18
                                        ; implicit-def: $vgpr5
.LBB280_962:
	s_and_not1_saveexec_b32 s17, s17
; %bb.963:
	v_mov_b32_e32 v2, 0x7f
	v_cmp_lt_u32_e32 vcc_lo, 0x7f800000, v5
	s_delay_alu instid0(VALU_DEP_2)
	v_cndmask_b32_e32 v2, 0x7c, v2, vcc_lo
; %bb.964:
	s_or_b32 exec_lo, exec_lo, s17
	global_store_b8 v[0:1], v2, off
.LBB280_965:
	s_mov_b32 s17, 0
.LBB280_966:
	s_delay_alu instid0(SALU_CYCLE_1)
	s_and_not1_b32 vcc_lo, exec_lo, s17
	s_mov_b32 s17, 0
	s_cbranch_vccnz .LBB280_974
; %bb.967:
	v_cmp_lt_i16_e32 vcc_lo, 14, v4
	s_mov_b32 s17, -1
	s_cbranch_vccz .LBB280_971
; %bb.968:
	v_cmp_eq_u16_e32 vcc_lo, 15, v4
	s_mov_b32 s0, -1
	s_cbranch_vccz .LBB280_970
; %bb.969:
	v_cvt_f32_ubyte0_e32 v2, v3
	s_mov_b32 s0, 0
	s_delay_alu instid0(VALU_DEP_1) | instskip(NEXT) | instid1(VALU_DEP_1)
	v_bfe_u32 v5, v2, 16, 1
	v_add3_u32 v2, v2, v5, 0x7fff
	global_store_d16_hi_b16 v[0:1], v2, off
.LBB280_970:
	s_mov_b32 s17, 0
.LBB280_971:
	s_delay_alu instid0(SALU_CYCLE_1)
	s_and_b32 vcc_lo, exec_lo, s17
	s_mov_b32 s17, 0
	s_cbranch_vccz .LBB280_974
; %bb.972:
	v_cmp_ne_u16_e32 vcc_lo, 11, v4
	s_and_not1_b32 s0, s0, exec_lo
	s_mov_b32 s17, -1
	s_and_b32 s18, vcc_lo, exec_lo
	s_delay_alu instid0(SALU_CYCLE_1)
	s_or_b32 s0, s0, s18
	s_branch .LBB280_974
.LBB280_973:
	s_mov_b32 s17, 0
.LBB280_974:
	s_and_not1_b32 s13, s13, exec_lo
	s_and_b32 s0, s0, exec_lo
	s_and_b32 s16, s16, exec_lo
	;; [unrolled: 1-line block ×3, first 2 shown]
	s_or_b32 s13, s13, s0
.LBB280_975:
	s_or_b32 exec_lo, exec_lo, s15
	s_and_saveexec_b32 s0, s13
	s_cbranch_execnz .LBB280_1037
; %bb.976:
	s_or_b32 exec_lo, exec_lo, s0
	s_and_saveexec_b32 s0, s17
	s_delay_alu instid0(SALU_CYCLE_1)
	s_xor_b32 s0, exec_lo, s0
	s_cbranch_execz .LBB280_978
.LBB280_977:
	s_waitcnt vmcnt(0)
	v_and_b32_e32 v2, 0xff, v3
	s_delay_alu instid0(VALU_DEP_1)
	v_cmp_ne_u16_e32 vcc_lo, 0, v2
	v_cndmask_b32_e64 v2, 0, 1, vcc_lo
	global_store_b8 v[0:1], v2, off
.LBB280_978:
	s_or_b32 exec_lo, exec_lo, s0
	s_and_saveexec_b32 s0, s16
	s_delay_alu instid0(SALU_CYCLE_1)
	s_xor_b32 s0, exec_lo, s0
	s_cbranch_execz .LBB280_1016
; %bb.979:
	v_cmp_gt_i16_e32 vcc_lo, 5, v4
	s_mov_b32 s13, -1
	s_cbranch_vccnz .LBB280_1000
; %bb.980:
	v_cmp_gt_i16_e32 vcc_lo, 8, v4
	s_cbranch_vccnz .LBB280_990
; %bb.981:
	v_cmp_gt_i16_e32 vcc_lo, 9, v4
	s_cbranch_vccnz .LBB280_987
; %bb.982:
	v_cmp_lt_i16_e32 vcc_lo, 9, v4
	s_cbranch_vccz .LBB280_984
; %bb.983:
	s_waitcnt vmcnt(0)
	v_dual_mov_b32 v7, 0 :: v_dual_and_b32 v2, 0xff, v3
	s_mov_b32 s13, 0
	s_delay_alu instid0(VALU_DEP_1) | instskip(NEXT) | instid1(VALU_DEP_2)
	v_and_b32_e32 v2, 0xffff, v2
	v_mov_b32_e32 v8, v7
	s_delay_alu instid0(VALU_DEP_2)
	v_cvt_f64_u32_e32 v[5:6], v2
	global_store_b128 v[0:1], v[5:8], off
.LBB280_984:
	s_and_not1_b32 vcc_lo, exec_lo, s13
	s_cbranch_vccnz .LBB280_986
; %bb.985:
	s_waitcnt vmcnt(0)
	v_cvt_f32_ubyte0_e32 v5, v3
	v_mov_b32_e32 v6, 0
	global_store_b64 v[0:1], v[5:6], off
.LBB280_986:
	s_mov_b32 s13, 0
.LBB280_987:
	s_delay_alu instid0(SALU_CYCLE_1)
	s_and_not1_b32 vcc_lo, exec_lo, s13
	s_cbranch_vccnz .LBB280_989
; %bb.988:
	s_waitcnt vmcnt(0)
	v_and_b32_e32 v2, 0xff, v3
	s_delay_alu instid0(VALU_DEP_1) | instskip(NEXT) | instid1(VALU_DEP_1)
	v_cvt_f16_u16_e32 v2, v2
	v_and_b32_e32 v2, 0xffff, v2
	global_store_b32 v[0:1], v2, off
.LBB280_989:
	s_mov_b32 s13, 0
.LBB280_990:
	s_delay_alu instid0(SALU_CYCLE_1)
	s_and_not1_b32 vcc_lo, exec_lo, s13
	s_cbranch_vccnz .LBB280_999
; %bb.991:
	v_cmp_gt_i16_e32 vcc_lo, 6, v4
	s_mov_b32 s13, -1
	s_cbranch_vccnz .LBB280_997
; %bb.992:
	v_cmp_lt_i16_e32 vcc_lo, 6, v4
	s_cbranch_vccz .LBB280_994
; %bb.993:
	s_waitcnt vmcnt(0)
	v_and_b32_e32 v2, 0xff, v3
	s_mov_b32 s13, 0
	s_delay_alu instid0(VALU_DEP_1) | instskip(NEXT) | instid1(VALU_DEP_1)
	v_and_b32_e32 v2, 0xffff, v2
	v_cvt_f64_u32_e32 v[5:6], v2
	global_store_b64 v[0:1], v[5:6], off
.LBB280_994:
	s_and_not1_b32 vcc_lo, exec_lo, s13
	s_cbranch_vccnz .LBB280_996
; %bb.995:
	s_waitcnt vmcnt(0)
	v_cvt_f32_ubyte0_e32 v2, v3
	global_store_b32 v[0:1], v2, off
.LBB280_996:
	s_mov_b32 s13, 0
.LBB280_997:
	s_delay_alu instid0(SALU_CYCLE_1)
	s_and_not1_b32 vcc_lo, exec_lo, s13
	s_cbranch_vccnz .LBB280_999
; %bb.998:
	s_waitcnt vmcnt(0)
	v_and_b32_e32 v2, 0xff, v3
	s_delay_alu instid0(VALU_DEP_1)
	v_cvt_f16_u16_e32 v2, v2
	global_store_b16 v[0:1], v2, off
.LBB280_999:
	s_mov_b32 s13, 0
.LBB280_1000:
	s_delay_alu instid0(SALU_CYCLE_1)
	s_and_not1_b32 vcc_lo, exec_lo, s13
	s_cbranch_vccnz .LBB280_1016
; %bb.1001:
	v_cmp_gt_i16_e32 vcc_lo, 2, v4
	s_mov_b32 s13, -1
	s_cbranch_vccnz .LBB280_1011
; %bb.1002:
	v_cmp_gt_i16_e32 vcc_lo, 3, v4
	s_cbranch_vccnz .LBB280_1008
; %bb.1003:
	v_cmp_lt_i16_e32 vcc_lo, 3, v4
	s_cbranch_vccz .LBB280_1005
; %bb.1004:
	s_waitcnt vmcnt(0)
	v_dual_mov_b32 v6, 0 :: v_dual_and_b32 v5, 0xff, v3
	s_mov_b32 s13, 0
	global_store_b64 v[0:1], v[5:6], off
.LBB280_1005:
	s_and_not1_b32 vcc_lo, exec_lo, s13
	s_cbranch_vccnz .LBB280_1007
; %bb.1006:
	s_waitcnt vmcnt(0)
	v_and_b32_e32 v2, 0xff, v3
	global_store_b32 v[0:1], v2, off
.LBB280_1007:
	s_mov_b32 s13, 0
.LBB280_1008:
	s_delay_alu instid0(SALU_CYCLE_1)
	s_and_not1_b32 vcc_lo, exec_lo, s13
	s_cbranch_vccnz .LBB280_1010
; %bb.1009:
	s_waitcnt vmcnt(0)
	v_and_b32_e32 v2, 0xff, v3
	global_store_b16 v[0:1], v2, off
.LBB280_1010:
	s_mov_b32 s13, 0
.LBB280_1011:
	s_delay_alu instid0(SALU_CYCLE_1)
	s_and_not1_b32 vcc_lo, exec_lo, s13
	s_cbranch_vccnz .LBB280_1016
; %bb.1012:
	v_cmp_lt_i16_e32 vcc_lo, 0, v4
	s_mov_b32 s13, -1
	s_cbranch_vccz .LBB280_1014
; %bb.1013:
	s_mov_b32 s13, 0
	s_waitcnt vmcnt(0)
	global_store_b8 v[0:1], v3, off
.LBB280_1014:
	s_and_not1_b32 vcc_lo, exec_lo, s13
	s_cbranch_vccnz .LBB280_1016
; %bb.1015:
	s_waitcnt vmcnt(0)
	global_store_b8 v[0:1], v3, off
.LBB280_1016:
	s_or_b32 exec_lo, exec_lo, s0
	s_delay_alu instid0(SALU_CYCLE_1)
	s_and_b32 s13, s14, exec_lo
                                        ; implicit-def: $vgpr7
.LBB280_1017:
	s_or_saveexec_b32 s12, s12
	s_mov_b32 s0, 0
                                        ; implicit-def: $vgpr6
                                        ; implicit-def: $vgpr0_vgpr1
                                        ; implicit-def: $vgpr2
	s_xor_b32 exec_lo, exec_lo, s12
	s_cbranch_execz .LBB280_1965
; %bb.1018:
	v_mul_lo_u32 v4, s3, v7
	v_cmp_lt_i16_e64 s0, s10, 11
	s_delay_alu instid0(VALU_DEP_2) | instskip(SKIP_2) | instid1(VALU_DEP_2)
	v_ashrrev_i32_e32 v0, 31, v4
	s_waitcnt vmcnt(0)
	v_add_co_u32 v2, vcc_lo, s6, v4
	v_add_co_ci_u32_e32 v3, vcc_lo, s7, v0, vcc_lo
	s_and_b32 vcc_lo, exec_lo, s0
	s_cbranch_vccnz .LBB280_1025
; %bb.1019:
	v_cmp_gt_i16_e64 s0, s10, 25
	s_mov_b32 s14, 0
	s_delay_alu instid0(VALU_DEP_1)
	s_and_b32 vcc_lo, exec_lo, s0
	s_cbranch_vccz .LBB280_1031
; %bb.1020:
	v_cmp_gt_i16_e64 s0, s10, 28
	s_delay_alu instid0(VALU_DEP_1)
	s_and_b32 vcc_lo, exec_lo, s0
	s_cbranch_vccz .LBB280_1033
; %bb.1021:
	v_cmp_gt_i16_e64 s0, s10, 43
	;; [unrolled: 5-line block ×3, first 2 shown]
	s_delay_alu instid0(VALU_DEP_1)
	s_and_b32 vcc_lo, exec_lo, s0
	s_cbranch_vccz .LBB280_1039
; %bb.1023:
	v_cmp_eq_u16_e64 s0, s10, 46
	s_delay_alu instid0(VALU_DEP_1)
	s_and_b32 vcc_lo, exec_lo, s0
	s_cbranch_vccz .LBB280_1079
; %bb.1024:
	global_load_b32 v0, v[2:3], off
	s_mov_b32 s0, 0
	s_mov_b32 s15, -1
	s_waitcnt vmcnt(0)
	v_lshlrev_b32_e32 v0, 16, v0
	s_delay_alu instid0(VALU_DEP_1) | instskip(NEXT) | instid1(VALU_DEP_1)
	v_trunc_f32_e32 v0, v0
	v_mul_f32_e64 v1, 0x2f800000, |v0|
	s_delay_alu instid0(VALU_DEP_1) | instskip(NEXT) | instid1(VALU_DEP_1)
	v_floor_f32_e32 v1, v1
	v_fma_f32 v1, 0xcf800000, v1, |v0|
	v_ashrrev_i32_e32 v0, 31, v0
	s_delay_alu instid0(VALU_DEP_2) | instskip(NEXT) | instid1(VALU_DEP_1)
	v_cvt_u32_f32_e32 v1, v1
	v_xor_b32_e32 v1, v1, v0
	s_delay_alu instid0(VALU_DEP_1)
	v_sub_nc_u32_e32 v0, v1, v0
	s_branch .LBB280_1081
.LBB280_1025:
	s_mov_b32 s15, 0
	s_mov_b32 s11, s13
                                        ; implicit-def: $vgpr0
	s_cbranch_execz .LBB280_1139
; %bb.1026:
	v_cmp_lt_i16_e64 s0, s10, 5
	s_delay_alu instid0(VALU_DEP_1)
	s_and_b32 vcc_lo, exec_lo, s0
	s_cbranch_vccnz .LBB280_1032
; %bb.1027:
	v_cmp_lt_i16_e64 s0, s10, 8
	s_delay_alu instid0(VALU_DEP_1)
	s_and_b32 vcc_lo, exec_lo, s0
	s_cbranch_vccnz .LBB280_1034
	;; [unrolled: 5-line block ×3, first 2 shown]
; %bb.1029:
	v_cmp_gt_i16_e64 s0, s10, 9
	s_delay_alu instid0(VALU_DEP_1)
	s_and_b32 vcc_lo, exec_lo, s0
	s_cbranch_vccz .LBB280_1040
; %bb.1030:
	global_load_b64 v[0:1], v[2:3], off
	s_mov_b32 s0, 0
	s_waitcnt vmcnt(0)
	v_trunc_f64_e32 v[0:1], v[0:1]
	s_delay_alu instid0(VALU_DEP_1) | instskip(NEXT) | instid1(VALU_DEP_1)
	v_ldexp_f64 v[5:6], v[0:1], 0xffffffe0
	v_floor_f64_e32 v[5:6], v[5:6]
	s_delay_alu instid0(VALU_DEP_1) | instskip(NEXT) | instid1(VALU_DEP_1)
	v_fma_f64 v[0:1], 0xc1f00000, v[5:6], v[0:1]
	v_cvt_u32_f64_e32 v0, v[0:1]
	s_branch .LBB280_1041
.LBB280_1031:
	s_mov_b32 s15, 0
	s_mov_b32 s0, 0
                                        ; implicit-def: $vgpr0
	s_cbranch_execnz .LBB280_1106
	s_branch .LBB280_1135
.LBB280_1032:
                                        ; implicit-def: $vgpr0
	s_branch .LBB280_1058
.LBB280_1033:
	s_mov_b32 s15, 0
	s_mov_b32 s0, 0
                                        ; implicit-def: $vgpr0
	s_cbranch_execz .LBB280_1105
	s_branch .LBB280_1090
.LBB280_1034:
                                        ; implicit-def: $vgpr0
	s_branch .LBB280_1047
.LBB280_1035:
	s_mov_b32 s15, 0
	s_mov_b32 s0, 0
                                        ; implicit-def: $vgpr0
	s_cbranch_execnz .LBB280_1086
	s_branch .LBB280_1089
.LBB280_1036:
	s_mov_b32 s0, -1
                                        ; implicit-def: $vgpr0
	s_branch .LBB280_1044
.LBB280_1037:
	s_cbranch_execnz .LBB280_1077
; %bb.1038:
	s_or_b32 s14, s14, exec_lo
	s_and_not1_b32 s17, s17, exec_lo
	s_or_b32 exec_lo, exec_lo, s0
	s_and_saveexec_b32 s0, s17
	s_delay_alu instid0(SALU_CYCLE_1)
	s_xor_b32 s0, exec_lo, s0
	s_cbranch_execnz .LBB280_977
	s_branch .LBB280_978
.LBB280_1039:
	s_mov_b32 s11, -1
	s_mov_b32 s15, 0
	s_mov_b32 s0, 0
	s_branch .LBB280_1080
.LBB280_1040:
	s_mov_b32 s0, -1
                                        ; implicit-def: $vgpr0
.LBB280_1041:
	s_delay_alu instid0(SALU_CYCLE_1)
	s_and_not1_b32 vcc_lo, exec_lo, s0
	s_cbranch_vccnz .LBB280_1043
; %bb.1042:
	global_load_b32 v0, v[2:3], off
	s_waitcnt vmcnt(0)
	v_trunc_f32_e32 v0, v0
	s_delay_alu instid0(VALU_DEP_1) | instskip(NEXT) | instid1(VALU_DEP_1)
	v_mul_f32_e64 v1, 0x2f800000, |v0|
	v_floor_f32_e32 v1, v1
	s_delay_alu instid0(VALU_DEP_1) | instskip(SKIP_1) | instid1(VALU_DEP_2)
	v_fma_f32 v1, 0xcf800000, v1, |v0|
	v_ashrrev_i32_e32 v0, 31, v0
	v_cvt_u32_f32_e32 v1, v1
	s_delay_alu instid0(VALU_DEP_1) | instskip(NEXT) | instid1(VALU_DEP_1)
	v_xor_b32_e32 v1, v1, v0
	v_sub_nc_u32_e32 v0, v1, v0
.LBB280_1043:
	s_mov_b32 s0, 0
.LBB280_1044:
	s_delay_alu instid0(SALU_CYCLE_1)
	s_and_not1_b32 vcc_lo, exec_lo, s0
	s_cbranch_vccnz .LBB280_1046
; %bb.1045:
	global_load_b32 v0, v[2:3], off
	s_waitcnt vmcnt(0)
	v_cvt_f32_f16_e32 v0, v0
	s_delay_alu instid0(VALU_DEP_1)
	v_cvt_i32_f32_e32 v0, v0
.LBB280_1046:
	s_cbranch_execnz .LBB280_1057
.LBB280_1047:
	v_cmp_lt_i16_e64 s0, s10, 6
	s_delay_alu instid0(VALU_DEP_1)
	s_and_b32 vcc_lo, exec_lo, s0
	s_cbranch_vccnz .LBB280_1050
; %bb.1048:
	v_cmp_gt_i16_e64 s0, s10, 6
	s_delay_alu instid0(VALU_DEP_1)
	s_and_b32 vcc_lo, exec_lo, s0
	s_cbranch_vccz .LBB280_1051
; %bb.1049:
	global_load_b64 v[0:1], v[2:3], off
	s_mov_b32 s0, 0
	s_waitcnt vmcnt(0)
	v_trunc_f64_e32 v[0:1], v[0:1]
	s_delay_alu instid0(VALU_DEP_1) | instskip(NEXT) | instid1(VALU_DEP_1)
	v_ldexp_f64 v[5:6], v[0:1], 0xffffffe0
	v_floor_f64_e32 v[5:6], v[5:6]
	s_delay_alu instid0(VALU_DEP_1) | instskip(NEXT) | instid1(VALU_DEP_1)
	v_fma_f64 v[0:1], 0xc1f00000, v[5:6], v[0:1]
	v_cvt_u32_f64_e32 v0, v[0:1]
	s_branch .LBB280_1052
.LBB280_1050:
	s_mov_b32 s0, -1
                                        ; implicit-def: $vgpr0
	s_branch .LBB280_1055
.LBB280_1051:
	s_mov_b32 s0, -1
                                        ; implicit-def: $vgpr0
.LBB280_1052:
	s_delay_alu instid0(SALU_CYCLE_1)
	s_and_not1_b32 vcc_lo, exec_lo, s0
	s_cbranch_vccnz .LBB280_1054
; %bb.1053:
	global_load_b32 v0, v[2:3], off
	s_waitcnt vmcnt(0)
	v_trunc_f32_e32 v0, v0
	s_delay_alu instid0(VALU_DEP_1) | instskip(NEXT) | instid1(VALU_DEP_1)
	v_mul_f32_e64 v1, 0x2f800000, |v0|
	v_floor_f32_e32 v1, v1
	s_delay_alu instid0(VALU_DEP_1) | instskip(SKIP_1) | instid1(VALU_DEP_2)
	v_fma_f32 v1, 0xcf800000, v1, |v0|
	v_ashrrev_i32_e32 v0, 31, v0
	v_cvt_u32_f32_e32 v1, v1
	s_delay_alu instid0(VALU_DEP_1) | instskip(NEXT) | instid1(VALU_DEP_1)
	v_xor_b32_e32 v1, v1, v0
	v_sub_nc_u32_e32 v0, v1, v0
.LBB280_1054:
	s_mov_b32 s0, 0
.LBB280_1055:
	s_delay_alu instid0(SALU_CYCLE_1)
	s_and_not1_b32 vcc_lo, exec_lo, s0
	s_cbranch_vccnz .LBB280_1057
; %bb.1056:
	global_load_u16 v0, v[2:3], off
	s_waitcnt vmcnt(0)
	v_cvt_f32_f16_e32 v0, v0
	s_delay_alu instid0(VALU_DEP_1)
	v_cvt_i32_f32_e32 v0, v0
.LBB280_1057:
	s_cbranch_execnz .LBB280_1076
.LBB280_1058:
	v_cmp_lt_i16_e64 s0, s10, 2
	s_delay_alu instid0(VALU_DEP_1)
	s_and_b32 vcc_lo, exec_lo, s0
	s_cbranch_vccnz .LBB280_1062
; %bb.1059:
	v_cmp_lt_i16_e64 s0, s10, 3
	s_delay_alu instid0(VALU_DEP_1)
	s_and_b32 vcc_lo, exec_lo, s0
	s_cbranch_vccnz .LBB280_1063
; %bb.1060:
	v_cmp_gt_i16_e64 s0, s10, 3
	s_delay_alu instid0(VALU_DEP_1)
	s_and_b32 vcc_lo, exec_lo, s0
	s_cbranch_vccz .LBB280_1064
; %bb.1061:
	global_load_b64 v[0:1], v[2:3], off
	s_mov_b32 s0, 0
	s_branch .LBB280_1065
.LBB280_1062:
                                        ; implicit-def: $vgpr0
	s_branch .LBB280_1071
.LBB280_1063:
	s_mov_b32 s0, -1
                                        ; implicit-def: $vgpr0
	s_branch .LBB280_1068
.LBB280_1064:
	s_mov_b32 s0, -1
                                        ; implicit-def: $vgpr0
.LBB280_1065:
	s_delay_alu instid0(SALU_CYCLE_1)
	s_and_not1_b32 vcc_lo, exec_lo, s0
	s_cbranch_vccnz .LBB280_1067
; %bb.1066:
	global_load_b32 v0, v[2:3], off
.LBB280_1067:
	s_mov_b32 s0, 0
.LBB280_1068:
	s_delay_alu instid0(SALU_CYCLE_1)
	s_and_not1_b32 vcc_lo, exec_lo, s0
	s_cbranch_vccnz .LBB280_1070
; %bb.1069:
	global_load_u16 v0, v[2:3], off
.LBB280_1070:
	s_cbranch_execnz .LBB280_1076
.LBB280_1071:
	v_cmp_gt_i16_e64 s0, s10, 0
	s_delay_alu instid0(VALU_DEP_1)
	s_and_b32 vcc_lo, exec_lo, s0
	s_mov_b32 s0, 0
	s_cbranch_vccz .LBB280_1073
; %bb.1072:
	global_load_u8 v0, v[2:3], off
	s_branch .LBB280_1074
.LBB280_1073:
	s_mov_b32 s0, -1
                                        ; implicit-def: $vgpr0
.LBB280_1074:
	s_delay_alu instid0(SALU_CYCLE_1)
	s_and_not1_b32 vcc_lo, exec_lo, s0
	s_cbranch_vccnz .LBB280_1076
; %bb.1075:
	global_load_u8 v0, v[2:3], off
.LBB280_1076:
	s_branch .LBB280_1140
.LBB280_1077:
	s_trap 2
	s_sendmsg_rtn_b32 s0, sendmsg(MSG_RTN_GET_DOORBELL)
	s_mov_b32 ttmp2, m0
	s_waitcnt lgkmcnt(0)
	s_and_b32 s0, s0, 0x3ff
	s_delay_alu instid0(SALU_CYCLE_1) | instskip(NEXT) | instid1(SALU_CYCLE_1)
	s_bitset1_b32 s0, 10
	s_mov_b32 m0, s0
	s_sendmsg sendmsg(MSG_INTERRUPT)
	s_mov_b32 m0, ttmp2
.LBB280_1078:                           ; =>This Inner Loop Header: Depth=1
	s_sethalt 5
	s_branch .LBB280_1078
.LBB280_1079:
	s_mov_b32 s0, -1
	s_mov_b32 s15, 0
.LBB280_1080:
                                        ; implicit-def: $vgpr0
.LBB280_1081:
	s_and_b32 vcc_lo, exec_lo, s11
	s_cbranch_vccz .LBB280_1084
; %bb.1082:
	v_cmp_eq_u16_e64 s0, s10, 44
	s_delay_alu instid0(VALU_DEP_1)
	s_and_b32 vcc_lo, exec_lo, s0
	s_cbranch_vccz .LBB280_1085
; %bb.1083:
	global_load_u8 v0, v[2:3], off
	s_mov_b32 s0, 0
	s_mov_b32 s15, -1
	s_waitcnt vmcnt(0)
	v_lshlrev_b32_e32 v1, 23, v0
	v_cmp_ne_u32_e32 vcc_lo, 0, v0
	s_delay_alu instid0(VALU_DEP_2) | instskip(NEXT) | instid1(VALU_DEP_1)
	v_trunc_f32_e32 v1, v1
	v_mul_f32_e64 v5, 0x2f800000, |v1|
	s_delay_alu instid0(VALU_DEP_1) | instskip(NEXT) | instid1(VALU_DEP_1)
	v_floor_f32_e32 v5, v5
	v_fma_f32 v5, 0xcf800000, v5, |v1|
	v_ashrrev_i32_e32 v1, 31, v1
	s_delay_alu instid0(VALU_DEP_2) | instskip(NEXT) | instid1(VALU_DEP_1)
	v_cvt_u32_f32_e32 v5, v5
	v_xor_b32_e32 v5, v5, v1
	s_delay_alu instid0(VALU_DEP_1) | instskip(NEXT) | instid1(VALU_DEP_1)
	v_sub_nc_u32_e32 v1, v5, v1
	v_cndmask_b32_e32 v0, 0, v1, vcc_lo
.LBB280_1084:
	s_branch .LBB280_1089
.LBB280_1085:
	s_mov_b32 s0, -1
                                        ; implicit-def: $vgpr0
	s_branch .LBB280_1089
.LBB280_1086:
	v_cmp_eq_u16_e64 s0, s10, 29
	s_delay_alu instid0(VALU_DEP_1)
	s_and_b32 vcc_lo, exec_lo, s0
	s_cbranch_vccz .LBB280_1088
; %bb.1087:
	global_load_b64 v[0:1], v[2:3], off
	s_mov_b32 s0, 0
	s_mov_b32 s15, -1
	s_branch .LBB280_1089
.LBB280_1088:
	s_mov_b32 s0, -1
                                        ; implicit-def: $vgpr0
.LBB280_1089:
	s_branch .LBB280_1105
.LBB280_1090:
	v_cmp_lt_i16_e64 s11, s10, 27
	s_delay_alu instid0(VALU_DEP_1)
	s_and_b32 vcc_lo, exec_lo, s11
	s_cbranch_vccnz .LBB280_1093
; %bb.1091:
	v_cmp_gt_i16_e64 s11, s10, 27
	s_delay_alu instid0(VALU_DEP_1)
	s_and_b32 vcc_lo, exec_lo, s11
	s_cbranch_vccz .LBB280_1094
; %bb.1092:
	global_load_b32 v0, v[2:3], off
	s_mov_b32 s11, 0
	s_branch .LBB280_1095
.LBB280_1093:
	s_mov_b32 s11, -1
                                        ; implicit-def: $vgpr0
	s_branch .LBB280_1098
.LBB280_1094:
	s_mov_b32 s11, -1
                                        ; implicit-def: $vgpr0
.LBB280_1095:
	s_delay_alu instid0(SALU_CYCLE_1)
	s_and_not1_b32 vcc_lo, exec_lo, s11
	s_cbranch_vccnz .LBB280_1097
; %bb.1096:
	global_load_u16 v0, v[2:3], off
.LBB280_1097:
	s_mov_b32 s11, 0
.LBB280_1098:
	s_delay_alu instid0(SALU_CYCLE_1)
	s_and_not1_b32 vcc_lo, exec_lo, s11
	s_cbranch_vccnz .LBB280_1104
; %bb.1099:
	global_load_u8 v1, v[2:3], off
	s_mov_b32 s15, 0
	s_mov_b32 s11, exec_lo
                                        ; implicit-def: $sgpr16
	s_waitcnt vmcnt(0)
	v_cmpx_lt_i16_e32 0x7f, v1
	s_xor_b32 s11, exec_lo, s11
	s_cbranch_execz .LBB280_1115
; %bb.1100:
	v_cmp_ne_u16_e32 vcc_lo, 0x80, v1
	s_mov_b32 s16, 0
	s_and_b32 s15, vcc_lo, exec_lo
	s_or_saveexec_b32 s11, s11
	v_mov_b32_e32 v0, s16
	s_xor_b32 exec_lo, exec_lo, s11
	s_cbranch_execnz .LBB280_1116
.LBB280_1101:
	s_or_b32 exec_lo, exec_lo, s11
	s_and_saveexec_b32 s11, s15
	s_cbranch_execz .LBB280_1103
.LBB280_1102:
	v_and_b32_e32 v0, 0xffff, v1
	v_lshlrev_b32_e32 v1, 24, v1
	s_delay_alu instid0(VALU_DEP_2) | instskip(NEXT) | instid1(VALU_DEP_2)
	v_and_b32_e32 v5, 7, v0
	v_and_b32_e32 v1, 0x80000000, v1
	s_delay_alu instid0(VALU_DEP_2) | instskip(NEXT) | instid1(VALU_DEP_1)
	v_clz_i32_u32_e32 v6, v5
	v_min_u32_e32 v6, 32, v6
	s_delay_alu instid0(VALU_DEP_1) | instskip(SKIP_1) | instid1(VALU_DEP_2)
	v_subrev_nc_u32_e32 v8, 28, v6
	v_sub_nc_u32_e32 v6, 29, v6
	v_lshlrev_b32_e32 v8, v8, v0
	v_bfe_u32 v0, v0, 3, 4
	s_delay_alu instid0(VALU_DEP_2) | instskip(NEXT) | instid1(VALU_DEP_2)
	v_and_b32_e32 v8, 7, v8
	v_cmp_eq_u32_e32 vcc_lo, 0, v0
	s_delay_alu instid0(VALU_DEP_2) | instskip(NEXT) | instid1(VALU_DEP_1)
	v_dual_cndmask_b32 v0, v0, v6 :: v_dual_cndmask_b32 v5, v5, v8
	v_lshl_add_u32 v0, v0, 23, 0x3b800000
	s_delay_alu instid0(VALU_DEP_2) | instskip(NEXT) | instid1(VALU_DEP_1)
	v_lshlrev_b32_e32 v5, 20, v5
	v_or3_b32 v0, v1, v0, v5
	s_delay_alu instid0(VALU_DEP_1) | instskip(NEXT) | instid1(VALU_DEP_1)
	v_trunc_f32_e32 v0, v0
	v_mul_f32_e64 v1, 0x2f800000, |v0|
	s_delay_alu instid0(VALU_DEP_1) | instskip(NEXT) | instid1(VALU_DEP_1)
	v_floor_f32_e32 v1, v1
	v_fma_f32 v1, 0xcf800000, v1, |v0|
	v_ashrrev_i32_e32 v0, 31, v0
	s_delay_alu instid0(VALU_DEP_2) | instskip(NEXT) | instid1(VALU_DEP_1)
	v_cvt_u32_f32_e32 v1, v1
	v_xor_b32_e32 v1, v1, v0
	s_delay_alu instid0(VALU_DEP_1)
	v_sub_nc_u32_e32 v0, v1, v0
.LBB280_1103:
	s_or_b32 exec_lo, exec_lo, s11
.LBB280_1104:
	s_mov_b32 s15, -1
.LBB280_1105:
	s_branch .LBB280_1135
.LBB280_1106:
	v_cmp_gt_i16_e64 s11, s10, 22
	s_delay_alu instid0(VALU_DEP_1)
	s_and_b32 vcc_lo, exec_lo, s11
	s_cbranch_vccz .LBB280_1114
; %bb.1107:
	v_cmp_lt_i16_e64 s11, s10, 24
	s_delay_alu instid0(VALU_DEP_1)
	s_and_b32 vcc_lo, exec_lo, s11
	s_cbranch_vccnz .LBB280_1117
; %bb.1108:
	v_cmp_gt_i16_e64 s11, s10, 24
	s_delay_alu instid0(VALU_DEP_1)
	s_and_b32 vcc_lo, exec_lo, s11
	s_cbranch_vccz .LBB280_1118
; %bb.1109:
	global_load_u8 v1, v[2:3], off
	s_mov_b32 s11, exec_lo
                                        ; implicit-def: $sgpr15
	s_waitcnt vmcnt(0)
	v_cmpx_lt_i16_e32 0x7f, v1
	s_xor_b32 s11, exec_lo, s11
	s_cbranch_execz .LBB280_1129
; %bb.1110:
	v_cmp_ne_u16_e32 vcc_lo, 0x80, v1
	s_mov_b32 s15, 0
	s_and_b32 s14, vcc_lo, exec_lo
	s_or_saveexec_b32 s11, s11
	v_mov_b32_e32 v0, s15
	s_xor_b32 exec_lo, exec_lo, s11
	s_cbranch_execnz .LBB280_1130
.LBB280_1111:
	s_or_b32 exec_lo, exec_lo, s11
	s_and_saveexec_b32 s11, s14
	s_cbranch_execz .LBB280_1113
.LBB280_1112:
	v_and_b32_e32 v0, 0xffff, v1
	v_lshlrev_b32_e32 v1, 24, v1
	s_delay_alu instid0(VALU_DEP_2) | instskip(NEXT) | instid1(VALU_DEP_2)
	v_and_b32_e32 v5, 3, v0
	v_and_b32_e32 v1, 0x80000000, v1
	s_delay_alu instid0(VALU_DEP_2) | instskip(NEXT) | instid1(VALU_DEP_1)
	v_clz_i32_u32_e32 v6, v5
	v_min_u32_e32 v6, 32, v6
	s_delay_alu instid0(VALU_DEP_1) | instskip(SKIP_1) | instid1(VALU_DEP_2)
	v_subrev_nc_u32_e32 v8, 29, v6
	v_sub_nc_u32_e32 v6, 30, v6
	v_lshlrev_b32_e32 v8, v8, v0
	v_bfe_u32 v0, v0, 2, 5
	s_delay_alu instid0(VALU_DEP_2) | instskip(NEXT) | instid1(VALU_DEP_2)
	v_and_b32_e32 v8, 3, v8
	v_cmp_eq_u32_e32 vcc_lo, 0, v0
	s_delay_alu instid0(VALU_DEP_2) | instskip(NEXT) | instid1(VALU_DEP_1)
	v_dual_cndmask_b32 v0, v0, v6 :: v_dual_cndmask_b32 v5, v5, v8
	v_lshl_add_u32 v0, v0, 23, 0x37800000
	s_delay_alu instid0(VALU_DEP_2) | instskip(NEXT) | instid1(VALU_DEP_1)
	v_lshlrev_b32_e32 v5, 21, v5
	v_or3_b32 v0, v1, v0, v5
	s_delay_alu instid0(VALU_DEP_1) | instskip(NEXT) | instid1(VALU_DEP_1)
	v_trunc_f32_e32 v0, v0
	v_mul_f32_e64 v1, 0x2f800000, |v0|
	s_delay_alu instid0(VALU_DEP_1) | instskip(NEXT) | instid1(VALU_DEP_1)
	v_floor_f32_e32 v1, v1
	v_fma_f32 v1, 0xcf800000, v1, |v0|
	v_ashrrev_i32_e32 v0, 31, v0
	s_delay_alu instid0(VALU_DEP_2) | instskip(NEXT) | instid1(VALU_DEP_1)
	v_cvt_u32_f32_e32 v1, v1
	v_xor_b32_e32 v1, v1, v0
	s_delay_alu instid0(VALU_DEP_1)
	v_sub_nc_u32_e32 v0, v1, v0
.LBB280_1113:
	s_or_b32 exec_lo, exec_lo, s11
	s_mov_b32 s11, 0
	s_branch .LBB280_1119
.LBB280_1114:
                                        ; implicit-def: $vgpr0
	s_mov_b32 s14, 0
	s_branch .LBB280_1125
.LBB280_1115:
	s_or_saveexec_b32 s11, s11
	v_mov_b32_e32 v0, s16
	s_xor_b32 exec_lo, exec_lo, s11
	s_cbranch_execz .LBB280_1101
.LBB280_1116:
	v_cmp_ne_u16_e32 vcc_lo, 0, v1
	v_mov_b32_e32 v0, 0
	s_and_not1_b32 s15, s15, exec_lo
	s_and_b32 s16, vcc_lo, exec_lo
	s_delay_alu instid0(SALU_CYCLE_1)
	s_or_b32 s15, s15, s16
	s_or_b32 exec_lo, exec_lo, s11
	s_and_saveexec_b32 s11, s15
	s_cbranch_execnz .LBB280_1102
	s_branch .LBB280_1103
.LBB280_1117:
	s_mov_b32 s11, -1
                                        ; implicit-def: $vgpr0
	s_branch .LBB280_1122
.LBB280_1118:
	s_mov_b32 s11, -1
                                        ; implicit-def: $vgpr0
.LBB280_1119:
	s_delay_alu instid0(SALU_CYCLE_1)
	s_and_b32 vcc_lo, exec_lo, s11
	s_cbranch_vccz .LBB280_1121
; %bb.1120:
	global_load_u8 v0, v[2:3], off
	s_waitcnt vmcnt(0)
	v_lshlrev_b32_e32 v0, 24, v0
	s_delay_alu instid0(VALU_DEP_1) | instskip(NEXT) | instid1(VALU_DEP_1)
	v_and_b32_e32 v1, 0x7f000000, v0
	v_clz_i32_u32_e32 v5, v1
	v_add_nc_u32_e32 v8, 0x1000000, v1
	v_cmp_ne_u32_e32 vcc_lo, 0, v1
	s_delay_alu instid0(VALU_DEP_3) | instskip(NEXT) | instid1(VALU_DEP_1)
	v_min_u32_e32 v5, 32, v5
	v_sub_nc_u32_e64 v5, v5, 4 clamp
	s_delay_alu instid0(VALU_DEP_1) | instskip(SKIP_1) | instid1(VALU_DEP_2)
	v_lshlrev_b32_e32 v6, v5, v1
	v_lshlrev_b32_e32 v5, 23, v5
	v_lshrrev_b32_e32 v6, 4, v6
	s_delay_alu instid0(VALU_DEP_1) | instskip(SKIP_1) | instid1(VALU_DEP_2)
	v_sub_nc_u32_e32 v5, v6, v5
	v_ashrrev_i32_e32 v6, 8, v8
	v_add_nc_u32_e32 v5, 0x3c000000, v5
	s_delay_alu instid0(VALU_DEP_1) | instskip(NEXT) | instid1(VALU_DEP_1)
	v_and_or_b32 v5, 0x7f800000, v6, v5
	v_cndmask_b32_e32 v1, 0, v5, vcc_lo
	s_delay_alu instid0(VALU_DEP_1) | instskip(NEXT) | instid1(VALU_DEP_1)
	v_and_or_b32 v0, 0x80000000, v0, v1
	v_trunc_f32_e32 v0, v0
	s_delay_alu instid0(VALU_DEP_1) | instskip(NEXT) | instid1(VALU_DEP_1)
	v_mul_f32_e64 v1, 0x2f800000, |v0|
	v_floor_f32_e32 v1, v1
	s_delay_alu instid0(VALU_DEP_1) | instskip(SKIP_1) | instid1(VALU_DEP_2)
	v_fma_f32 v1, 0xcf800000, v1, |v0|
	v_ashrrev_i32_e32 v0, 31, v0
	v_cvt_u32_f32_e32 v1, v1
	s_delay_alu instid0(VALU_DEP_1) | instskip(NEXT) | instid1(VALU_DEP_1)
	v_xor_b32_e32 v1, v1, v0
	v_sub_nc_u32_e32 v0, v1, v0
.LBB280_1121:
	s_mov_b32 s11, 0
.LBB280_1122:
	s_delay_alu instid0(SALU_CYCLE_1)
	s_and_not1_b32 vcc_lo, exec_lo, s11
	s_cbranch_vccnz .LBB280_1124
; %bb.1123:
	global_load_u8 v0, v[2:3], off
	s_waitcnt vmcnt(0)
	v_lshlrev_b32_e32 v1, 25, v0
	v_lshlrev_b16 v0, 8, v0
	s_delay_alu instid0(VALU_DEP_1) | instskip(SKIP_1) | instid1(VALU_DEP_2)
	v_and_or_b32 v6, 0x7f00, v0, 0.5
	v_bfe_i32 v0, v0, 0, 16
	v_add_f32_e32 v6, -0.5, v6
	v_lshrrev_b32_e32 v5, 4, v1
	v_cmp_gt_u32_e32 vcc_lo, 0x8000000, v1
	s_delay_alu instid0(VALU_DEP_2) | instskip(NEXT) | instid1(VALU_DEP_1)
	v_or_b32_e32 v5, 0x70000000, v5
	v_mul_f32_e32 v5, 0x7800000, v5
	s_delay_alu instid0(VALU_DEP_1) | instskip(NEXT) | instid1(VALU_DEP_1)
	v_cndmask_b32_e32 v1, v5, v6, vcc_lo
	v_and_or_b32 v0, 0x80000000, v0, v1
	s_delay_alu instid0(VALU_DEP_1) | instskip(NEXT) | instid1(VALU_DEP_1)
	v_trunc_f32_e32 v0, v0
	v_mul_f32_e64 v1, 0x2f800000, |v0|
	s_delay_alu instid0(VALU_DEP_1) | instskip(NEXT) | instid1(VALU_DEP_1)
	v_floor_f32_e32 v1, v1
	v_fma_f32 v1, 0xcf800000, v1, |v0|
	v_ashrrev_i32_e32 v0, 31, v0
	s_delay_alu instid0(VALU_DEP_2) | instskip(NEXT) | instid1(VALU_DEP_1)
	v_cvt_u32_f32_e32 v1, v1
	v_xor_b32_e32 v1, v1, v0
	s_delay_alu instid0(VALU_DEP_1)
	v_sub_nc_u32_e32 v0, v1, v0
.LBB280_1124:
	s_mov_b32 s15, -1
	s_mov_b32 s14, 0
	s_cbranch_execnz .LBB280_1135
.LBB280_1125:
	v_cmp_gt_i16_e64 s11, s10, 14
	s_delay_alu instid0(VALU_DEP_1)
	s_and_b32 vcc_lo, exec_lo, s11
	s_cbranch_vccz .LBB280_1128
; %bb.1126:
	v_cmp_eq_u16_e64 s0, s10, 15
	s_delay_alu instid0(VALU_DEP_1)
	s_and_b32 vcc_lo, exec_lo, s0
	s_cbranch_vccz .LBB280_1131
; %bb.1127:
	global_load_u16 v0, v[2:3], off
	s_mov_b32 s0, 0
	s_mov_b32 s15, -1
	s_waitcnt vmcnt(0)
	v_lshlrev_b32_e32 v0, 16, v0
	s_delay_alu instid0(VALU_DEP_1) | instskip(NEXT) | instid1(VALU_DEP_1)
	v_trunc_f32_e32 v0, v0
	v_mul_f32_e64 v1, 0x2f800000, |v0|
	s_delay_alu instid0(VALU_DEP_1) | instskip(NEXT) | instid1(VALU_DEP_1)
	v_floor_f32_e32 v1, v1
	v_fma_f32 v1, 0xcf800000, v1, |v0|
	v_ashrrev_i32_e32 v0, 31, v0
	s_delay_alu instid0(VALU_DEP_2) | instskip(NEXT) | instid1(VALU_DEP_1)
	v_cvt_u32_f32_e32 v1, v1
	v_xor_b32_e32 v1, v1, v0
	s_delay_alu instid0(VALU_DEP_1)
	v_sub_nc_u32_e32 v0, v1, v0
	s_branch .LBB280_1132
.LBB280_1128:
	s_mov_b32 s11, -1
                                        ; implicit-def: $vgpr0
	s_branch .LBB280_1133
.LBB280_1129:
	s_or_saveexec_b32 s11, s11
	v_mov_b32_e32 v0, s15
	s_xor_b32 exec_lo, exec_lo, s11
	s_cbranch_execz .LBB280_1111
.LBB280_1130:
	v_cmp_ne_u16_e32 vcc_lo, 0, v1
	v_mov_b32_e32 v0, 0
	s_and_not1_b32 s14, s14, exec_lo
	s_and_b32 s15, vcc_lo, exec_lo
	s_delay_alu instid0(SALU_CYCLE_1)
	s_or_b32 s14, s14, s15
	s_or_b32 exec_lo, exec_lo, s11
	s_and_saveexec_b32 s11, s14
	s_cbranch_execnz .LBB280_1112
	s_branch .LBB280_1113
.LBB280_1131:
	s_mov_b32 s0, -1
                                        ; implicit-def: $vgpr0
.LBB280_1132:
	s_mov_b32 s11, 0
.LBB280_1133:
	s_delay_alu instid0(SALU_CYCLE_1)
	s_and_b32 vcc_lo, exec_lo, s11
	s_cbranch_vccz .LBB280_1135
; %bb.1134:
	v_cmp_ne_u16_e64 s0, s10, 11
	s_mov_b32 s14, -1
                                        ; implicit-def: $vgpr0
.LBB280_1135:
	s_delay_alu instid0(VALU_DEP_1)
	s_and_b32 vcc_lo, exec_lo, s0
	s_mov_b32 s11, s13
	s_cbranch_vccnz .LBB280_1159
; %bb.1136:
	s_and_not1_b32 vcc_lo, exec_lo, s14
	s_cbranch_vccnz .LBB280_1138
.LBB280_1137:
	global_load_u8 v0, v[2:3], off
	s_mov_b32 s15, -1
	s_waitcnt vmcnt(0)
	v_cmp_ne_u16_e32 vcc_lo, 0, v0
	v_cndmask_b32_e64 v0, 0, 1, vcc_lo
.LBB280_1138:
.LBB280_1139:
	s_and_not1_b32 vcc_lo, exec_lo, s15
	s_cbranch_vccnz .LBB280_1963
.LBB280_1140:
	s_lshl_b32 s0, s3, 7
	v_cmp_lt_i16_e64 s3, s10, 11
	v_add_nc_u32_e32 v5, s0, v4
	s_waitcnt vmcnt(0)
	s_delay_alu instid0(VALU_DEP_1) | instskip(SKIP_1) | instid1(VALU_DEP_2)
	v_ashrrev_i32_e32 v1, 31, v5
	v_add_co_u32 v3, vcc_lo, s6, v5
	v_add_co_ci_u32_e32 v4, vcc_lo, s7, v1, vcc_lo
	s_and_b32 vcc_lo, exec_lo, s3
	s_cbranch_vccnz .LBB280_1147
; %bb.1141:
	v_cmp_gt_i16_e64 s3, s10, 25
	s_mov_b32 s14, 0
	s_delay_alu instid0(VALU_DEP_1)
	s_and_b32 vcc_lo, exec_lo, s3
	s_cbranch_vccz .LBB280_1153
; %bb.1142:
	v_cmp_gt_i16_e64 s3, s10, 28
	s_delay_alu instid0(VALU_DEP_1)
	s_and_b32 vcc_lo, exec_lo, s3
	s_cbranch_vccz .LBB280_1155
; %bb.1143:
	v_cmp_gt_i16_e64 s3, s10, 43
	;; [unrolled: 5-line block ×3, first 2 shown]
	s_delay_alu instid0(VALU_DEP_1)
	s_and_b32 vcc_lo, exec_lo, s3
	s_cbranch_vccz .LBB280_1163
; %bb.1145:
	v_cmp_eq_u16_e64 s3, s10, 46
	s_mov_b32 s16, 0
	s_delay_alu instid0(VALU_DEP_1)
	s_and_b32 vcc_lo, exec_lo, s3
	s_cbranch_vccz .LBB280_1207
; %bb.1146:
	global_load_b32 v1, v[3:4], off
	s_mov_b32 s3, 0
	s_mov_b32 s15, -1
	s_waitcnt vmcnt(0)
	v_lshlrev_b32_e32 v1, 16, v1
	s_delay_alu instid0(VALU_DEP_1) | instskip(NEXT) | instid1(VALU_DEP_1)
	v_trunc_f32_e32 v1, v1
	v_mul_f32_e64 v2, 0x2f800000, |v1|
	s_delay_alu instid0(VALU_DEP_1) | instskip(NEXT) | instid1(VALU_DEP_1)
	v_floor_f32_e32 v2, v2
	v_fma_f32 v2, 0xcf800000, v2, |v1|
	v_ashrrev_i32_e32 v1, 31, v1
	s_delay_alu instid0(VALU_DEP_2) | instskip(NEXT) | instid1(VALU_DEP_1)
	v_cvt_u32_f32_e32 v2, v2
	v_xor_b32_e32 v2, v2, v1
	s_delay_alu instid0(VALU_DEP_1)
	v_sub_nc_u32_e32 v1, v2, v1
	s_branch .LBB280_1209
.LBB280_1147:
	s_mov_b32 s15, 0
                                        ; implicit-def: $vgpr1
	s_cbranch_execz .LBB280_1270
; %bb.1148:
	v_cmp_lt_i16_e64 s3, s10, 5
	s_delay_alu instid0(VALU_DEP_1)
	s_and_b32 vcc_lo, exec_lo, s3
	s_cbranch_vccnz .LBB280_1154
; %bb.1149:
	v_cmp_lt_i16_e64 s3, s10, 8
	s_delay_alu instid0(VALU_DEP_1)
	s_and_b32 vcc_lo, exec_lo, s3
	s_cbranch_vccnz .LBB280_1156
	;; [unrolled: 5-line block ×3, first 2 shown]
; %bb.1151:
	v_cmp_gt_i16_e64 s3, s10, 9
	s_delay_alu instid0(VALU_DEP_1)
	s_and_b32 vcc_lo, exec_lo, s3
	s_cbranch_vccz .LBB280_1164
; %bb.1152:
	global_load_b64 v[1:2], v[3:4], off
	s_mov_b32 s3, 0
	s_waitcnt vmcnt(0)
	v_trunc_f64_e32 v[1:2], v[1:2]
	s_delay_alu instid0(VALU_DEP_1) | instskip(NEXT) | instid1(VALU_DEP_1)
	v_ldexp_f64 v[8:9], v[1:2], 0xffffffe0
	v_floor_f64_e32 v[8:9], v[8:9]
	s_delay_alu instid0(VALU_DEP_1) | instskip(NEXT) | instid1(VALU_DEP_1)
	v_fma_f64 v[1:2], 0xc1f00000, v[8:9], v[1:2]
	v_cvt_u32_f64_e32 v1, v[1:2]
	s_branch .LBB280_1165
.LBB280_1153:
	s_mov_b32 s15, 0
	s_mov_b32 s3, 0
                                        ; implicit-def: $vgpr1
	s_cbranch_execnz .LBB280_1236
	s_branch .LBB280_1266
.LBB280_1154:
                                        ; implicit-def: $vgpr1
	s_branch .LBB280_1183
.LBB280_1155:
	s_mov_b32 s16, -1
	s_mov_b32 s15, 0
	s_mov_b32 s3, 0
                                        ; implicit-def: $vgpr1
	s_branch .LBB280_1219
.LBB280_1156:
	s_mov_b32 s3, -1
                                        ; implicit-def: $vgpr1
	s_branch .LBB280_1171
.LBB280_1157:
	s_mov_b32 s16, -1
	s_mov_b32 s15, 0
	s_mov_b32 s3, 0
                                        ; implicit-def: $vgpr1
	s_branch .LBB280_1214
.LBB280_1158:
	s_mov_b32 s3, -1
                                        ; implicit-def: $vgpr1
	s_branch .LBB280_1168
.LBB280_1159:
	s_cbranch_execnz .LBB280_1203
; %bb.1160:
	s_or_b32 s11, s13, exec_lo
                                        ; implicit-def: $vgpr0
	s_cbranch_execz .LBB280_1137
	s_branch .LBB280_1138
.LBB280_1161:
	s_or_saveexec_b32 s18, s18
                                        ; implicit-def: $sgpr19
	s_delay_alu instid0(SALU_CYCLE_1)
	s_xor_b32 exec_lo, exec_lo, s18
	s_cbranch_execz .LBB280_928
.LBB280_1162:
	v_add_f32_e32 v2, 0x46000000, v5
	s_and_not1_b32 s17, s17, exec_lo
	s_mov_b32 s19, 0
	s_delay_alu instid0(VALU_DEP_1) | instskip(NEXT) | instid1(VALU_DEP_1)
	v_and_b32_e32 v2, 0xff, v2
	v_cmp_ne_u32_e32 vcc_lo, 0, v2
	s_and_b32 s20, vcc_lo, exec_lo
	s_delay_alu instid0(SALU_CYCLE_1)
	s_or_b32 s17, s17, s20
	s_or_b32 exec_lo, exec_lo, s18
	v_mov_b32_e32 v6, s19
	s_and_saveexec_b32 s18, s17
	s_cbranch_execnz .LBB280_929
	s_branch .LBB280_930
.LBB280_1163:
	s_mov_b32 s16, -1
	s_mov_b32 s15, 0
	s_mov_b32 s3, 0
	s_branch .LBB280_1208
.LBB280_1164:
	s_mov_b32 s3, -1
                                        ; implicit-def: $vgpr1
.LBB280_1165:
	s_delay_alu instid0(SALU_CYCLE_1)
	s_and_not1_b32 vcc_lo, exec_lo, s3
	s_cbranch_vccnz .LBB280_1167
; %bb.1166:
	global_load_b32 v1, v[3:4], off
	s_waitcnt vmcnt(0)
	v_trunc_f32_e32 v1, v1
	s_delay_alu instid0(VALU_DEP_1) | instskip(NEXT) | instid1(VALU_DEP_1)
	v_mul_f32_e64 v2, 0x2f800000, |v1|
	v_floor_f32_e32 v2, v2
	s_delay_alu instid0(VALU_DEP_1) | instskip(SKIP_1) | instid1(VALU_DEP_2)
	v_fma_f32 v2, 0xcf800000, v2, |v1|
	v_ashrrev_i32_e32 v1, 31, v1
	v_cvt_u32_f32_e32 v2, v2
	s_delay_alu instid0(VALU_DEP_1) | instskip(NEXT) | instid1(VALU_DEP_1)
	v_xor_b32_e32 v2, v2, v1
	v_sub_nc_u32_e32 v1, v2, v1
.LBB280_1167:
	s_mov_b32 s3, 0
.LBB280_1168:
	s_delay_alu instid0(SALU_CYCLE_1)
	s_and_not1_b32 vcc_lo, exec_lo, s3
	s_cbranch_vccnz .LBB280_1170
; %bb.1169:
	global_load_b32 v1, v[3:4], off
	s_waitcnt vmcnt(0)
	v_cvt_f32_f16_e32 v1, v1
	s_delay_alu instid0(VALU_DEP_1)
	v_cvt_i32_f32_e32 v1, v1
.LBB280_1170:
	s_mov_b32 s3, 0
.LBB280_1171:
	s_delay_alu instid0(SALU_CYCLE_1)
	s_and_not1_b32 vcc_lo, exec_lo, s3
	s_cbranch_vccnz .LBB280_1182
; %bb.1172:
	v_cmp_lt_i16_e64 s3, s10, 6
	s_delay_alu instid0(VALU_DEP_1)
	s_and_b32 vcc_lo, exec_lo, s3
	s_cbranch_vccnz .LBB280_1175
; %bb.1173:
	v_cmp_gt_i16_e64 s3, s10, 6
	s_delay_alu instid0(VALU_DEP_1)
	s_and_b32 vcc_lo, exec_lo, s3
	s_cbranch_vccz .LBB280_1176
; %bb.1174:
	global_load_b64 v[1:2], v[3:4], off
	s_mov_b32 s3, 0
	s_waitcnt vmcnt(0)
	v_trunc_f64_e32 v[1:2], v[1:2]
	s_delay_alu instid0(VALU_DEP_1) | instskip(NEXT) | instid1(VALU_DEP_1)
	v_ldexp_f64 v[8:9], v[1:2], 0xffffffe0
	v_floor_f64_e32 v[8:9], v[8:9]
	s_delay_alu instid0(VALU_DEP_1) | instskip(NEXT) | instid1(VALU_DEP_1)
	v_fma_f64 v[1:2], 0xc1f00000, v[8:9], v[1:2]
	v_cvt_u32_f64_e32 v1, v[1:2]
	s_branch .LBB280_1177
.LBB280_1175:
	s_mov_b32 s3, -1
                                        ; implicit-def: $vgpr1
	s_branch .LBB280_1180
.LBB280_1176:
	s_mov_b32 s3, -1
                                        ; implicit-def: $vgpr1
.LBB280_1177:
	s_delay_alu instid0(SALU_CYCLE_1)
	s_and_not1_b32 vcc_lo, exec_lo, s3
	s_cbranch_vccnz .LBB280_1179
; %bb.1178:
	global_load_b32 v1, v[3:4], off
	s_waitcnt vmcnt(0)
	v_trunc_f32_e32 v1, v1
	s_delay_alu instid0(VALU_DEP_1) | instskip(NEXT) | instid1(VALU_DEP_1)
	v_mul_f32_e64 v2, 0x2f800000, |v1|
	v_floor_f32_e32 v2, v2
	s_delay_alu instid0(VALU_DEP_1) | instskip(SKIP_1) | instid1(VALU_DEP_2)
	v_fma_f32 v2, 0xcf800000, v2, |v1|
	v_ashrrev_i32_e32 v1, 31, v1
	v_cvt_u32_f32_e32 v2, v2
	s_delay_alu instid0(VALU_DEP_1) | instskip(NEXT) | instid1(VALU_DEP_1)
	v_xor_b32_e32 v2, v2, v1
	v_sub_nc_u32_e32 v1, v2, v1
.LBB280_1179:
	s_mov_b32 s3, 0
.LBB280_1180:
	s_delay_alu instid0(SALU_CYCLE_1)
	s_and_not1_b32 vcc_lo, exec_lo, s3
	s_cbranch_vccnz .LBB280_1182
; %bb.1181:
	global_load_u16 v1, v[3:4], off
	s_waitcnt vmcnt(0)
	v_cvt_f32_f16_e32 v1, v1
	s_delay_alu instid0(VALU_DEP_1)
	v_cvt_i32_f32_e32 v1, v1
.LBB280_1182:
	s_cbranch_execnz .LBB280_1202
.LBB280_1183:
	v_cmp_lt_i16_e64 s3, s10, 2
	s_delay_alu instid0(VALU_DEP_1)
	s_and_b32 vcc_lo, exec_lo, s3
	s_cbranch_vccnz .LBB280_1187
; %bb.1184:
	v_cmp_lt_i16_e64 s3, s10, 3
	s_delay_alu instid0(VALU_DEP_1)
	s_and_b32 vcc_lo, exec_lo, s3
	s_cbranch_vccnz .LBB280_1188
; %bb.1185:
	v_cmp_gt_i16_e64 s3, s10, 3
	s_delay_alu instid0(VALU_DEP_1)
	s_and_b32 vcc_lo, exec_lo, s3
	s_cbranch_vccz .LBB280_1189
; %bb.1186:
	global_load_b64 v[1:2], v[3:4], off
	s_mov_b32 s3, 0
	s_branch .LBB280_1190
.LBB280_1187:
	s_mov_b32 s3, -1
                                        ; implicit-def: $vgpr1
	s_branch .LBB280_1196
.LBB280_1188:
	s_mov_b32 s3, -1
                                        ; implicit-def: $vgpr1
	s_branch .LBB280_1193
.LBB280_1189:
	s_mov_b32 s3, -1
                                        ; implicit-def: $vgpr1
.LBB280_1190:
	s_delay_alu instid0(SALU_CYCLE_1)
	s_and_not1_b32 vcc_lo, exec_lo, s3
	s_cbranch_vccnz .LBB280_1192
; %bb.1191:
	global_load_b32 v1, v[3:4], off
.LBB280_1192:
	s_mov_b32 s3, 0
.LBB280_1193:
	s_delay_alu instid0(SALU_CYCLE_1)
	s_and_not1_b32 vcc_lo, exec_lo, s3
	s_cbranch_vccnz .LBB280_1195
; %bb.1194:
	global_load_u16 v1, v[3:4], off
.LBB280_1195:
	s_mov_b32 s3, 0
.LBB280_1196:
	s_delay_alu instid0(SALU_CYCLE_1)
	s_and_not1_b32 vcc_lo, exec_lo, s3
	s_cbranch_vccnz .LBB280_1202
; %bb.1197:
	v_cmp_gt_i16_e64 s3, s10, 0
	s_delay_alu instid0(VALU_DEP_1)
	s_and_b32 vcc_lo, exec_lo, s3
	s_mov_b32 s3, 0
	s_cbranch_vccz .LBB280_1199
; %bb.1198:
	global_load_u8 v1, v[3:4], off
	s_branch .LBB280_1200
.LBB280_1199:
	s_mov_b32 s3, -1
                                        ; implicit-def: $vgpr1
.LBB280_1200:
	s_delay_alu instid0(SALU_CYCLE_1)
	s_and_not1_b32 vcc_lo, exec_lo, s3
	s_cbranch_vccnz .LBB280_1202
; %bb.1201:
	global_load_u8 v1, v[3:4], off
.LBB280_1202:
	s_branch .LBB280_1271
.LBB280_1203:
	s_trap 2
	s_sendmsg_rtn_b32 s0, sendmsg(MSG_RTN_GET_DOORBELL)
	s_mov_b32 ttmp2, m0
	s_waitcnt lgkmcnt(0)
	s_and_b32 s0, s0, 0x3ff
	s_delay_alu instid0(SALU_CYCLE_1) | instskip(NEXT) | instid1(SALU_CYCLE_1)
	s_bitset1_b32 s0, 10
	s_mov_b32 m0, s0
	s_sendmsg sendmsg(MSG_INTERRUPT)
	s_mov_b32 m0, ttmp2
.LBB280_1204:                           ; =>This Inner Loop Header: Depth=1
	s_sethalt 5
	s_branch .LBB280_1204
.LBB280_1205:
	s_or_saveexec_b32 s19, s19
                                        ; implicit-def: $sgpr20
	s_delay_alu instid0(SALU_CYCLE_1)
	s_xor_b32 exec_lo, exec_lo, s19
	s_cbranch_execz .LBB280_940
.LBB280_1206:
	v_add_f32_e32 v2, 0x42800000, v5
	s_and_not1_b32 s18, s18, exec_lo
	s_mov_b32 s20, 0
	s_delay_alu instid0(VALU_DEP_1) | instskip(NEXT) | instid1(VALU_DEP_1)
	v_and_b32_e32 v2, 0xff, v2
	v_cmp_ne_u32_e32 vcc_lo, 0, v2
	s_and_b32 s21, vcc_lo, exec_lo
	s_delay_alu instid0(SALU_CYCLE_1)
	s_or_b32 s18, s18, s21
	s_or_b32 exec_lo, exec_lo, s19
	v_mov_b32_e32 v6, s20
	s_and_saveexec_b32 s19, s18
	s_cbranch_execnz .LBB280_941
	s_branch .LBB280_942
.LBB280_1207:
	s_mov_b32 s3, -1
	s_mov_b32 s15, 0
.LBB280_1208:
                                        ; implicit-def: $vgpr1
.LBB280_1209:
	s_and_b32 vcc_lo, exec_lo, s16
	s_cbranch_vccz .LBB280_1213
; %bb.1210:
	v_cmp_eq_u16_e64 s3, s10, 44
	s_delay_alu instid0(VALU_DEP_1)
	s_and_b32 vcc_lo, exec_lo, s3
	s_cbranch_vccz .LBB280_1212
; %bb.1211:
	global_load_u8 v1, v[3:4], off
	s_mov_b32 s3, 0
	s_mov_b32 s15, -1
	s_waitcnt vmcnt(0)
	v_lshlrev_b32_e32 v2, 23, v1
	v_cmp_ne_u32_e32 vcc_lo, 0, v1
	s_delay_alu instid0(VALU_DEP_2) | instskip(NEXT) | instid1(VALU_DEP_1)
	v_trunc_f32_e32 v2, v2
	v_mul_f32_e64 v6, 0x2f800000, |v2|
	s_delay_alu instid0(VALU_DEP_1) | instskip(NEXT) | instid1(VALU_DEP_1)
	v_floor_f32_e32 v6, v6
	v_fma_f32 v6, 0xcf800000, v6, |v2|
	v_ashrrev_i32_e32 v2, 31, v2
	s_delay_alu instid0(VALU_DEP_2) | instskip(NEXT) | instid1(VALU_DEP_1)
	v_cvt_u32_f32_e32 v6, v6
	v_xor_b32_e32 v6, v6, v2
	s_delay_alu instid0(VALU_DEP_1) | instskip(NEXT) | instid1(VALU_DEP_1)
	v_sub_nc_u32_e32 v2, v6, v2
	v_cndmask_b32_e32 v1, 0, v2, vcc_lo
	s_branch .LBB280_1213
.LBB280_1212:
	s_mov_b32 s3, -1
                                        ; implicit-def: $vgpr1
.LBB280_1213:
	s_mov_b32 s16, 0
.LBB280_1214:
	s_delay_alu instid0(SALU_CYCLE_1)
	s_and_b32 vcc_lo, exec_lo, s16
	s_cbranch_vccz .LBB280_1218
; %bb.1215:
	v_cmp_eq_u16_e64 s3, s10, 29
	s_delay_alu instid0(VALU_DEP_1)
	s_and_b32 vcc_lo, exec_lo, s3
	s_cbranch_vccz .LBB280_1217
; %bb.1216:
	global_load_b64 v[1:2], v[3:4], off
	s_mov_b32 s3, 0
	s_mov_b32 s15, -1
	s_branch .LBB280_1218
.LBB280_1217:
	s_mov_b32 s3, -1
                                        ; implicit-def: $vgpr1
.LBB280_1218:
	s_mov_b32 s16, 0
.LBB280_1219:
	s_delay_alu instid0(SALU_CYCLE_1)
	s_and_b32 vcc_lo, exec_lo, s16
	s_cbranch_vccz .LBB280_1235
; %bb.1220:
	v_cmp_lt_i16_e64 s15, s10, 27
	s_delay_alu instid0(VALU_DEP_1)
	s_and_b32 vcc_lo, exec_lo, s15
	s_cbranch_vccnz .LBB280_1223
; %bb.1221:
	v_cmp_gt_i16_e64 s15, s10, 27
	s_delay_alu instid0(VALU_DEP_1)
	s_and_b32 vcc_lo, exec_lo, s15
	s_cbranch_vccz .LBB280_1224
; %bb.1222:
	global_load_b32 v1, v[3:4], off
	s_mov_b32 s15, 0
	s_branch .LBB280_1225
.LBB280_1223:
	s_mov_b32 s15, -1
                                        ; implicit-def: $vgpr1
	s_branch .LBB280_1228
.LBB280_1224:
	s_mov_b32 s15, -1
                                        ; implicit-def: $vgpr1
.LBB280_1225:
	s_delay_alu instid0(SALU_CYCLE_1)
	s_and_not1_b32 vcc_lo, exec_lo, s15
	s_cbranch_vccnz .LBB280_1227
; %bb.1226:
	global_load_u16 v1, v[3:4], off
.LBB280_1227:
	s_mov_b32 s15, 0
.LBB280_1228:
	s_delay_alu instid0(SALU_CYCLE_1)
	s_and_not1_b32 vcc_lo, exec_lo, s15
	s_cbranch_vccnz .LBB280_1234
; %bb.1229:
	global_load_u8 v2, v[3:4], off
	s_mov_b32 s16, 0
	s_mov_b32 s15, exec_lo
                                        ; implicit-def: $sgpr17
	s_waitcnt vmcnt(0)
	v_cmpx_lt_i16_e32 0x7f, v2
	s_xor_b32 s15, exec_lo, s15
	s_cbranch_execz .LBB280_1245
; %bb.1230:
	v_cmp_ne_u16_e32 vcc_lo, 0x80, v2
	s_mov_b32 s17, 0
	s_and_b32 s16, vcc_lo, exec_lo
	s_or_saveexec_b32 s15, s15
	v_mov_b32_e32 v1, s17
	s_xor_b32 exec_lo, exec_lo, s15
	s_cbranch_execnz .LBB280_1246
.LBB280_1231:
	s_or_b32 exec_lo, exec_lo, s15
	s_and_saveexec_b32 s15, s16
	s_cbranch_execz .LBB280_1233
.LBB280_1232:
	v_and_b32_e32 v1, 0xffff, v2
	v_lshlrev_b32_e32 v2, 24, v2
	s_delay_alu instid0(VALU_DEP_2) | instskip(NEXT) | instid1(VALU_DEP_2)
	v_and_b32_e32 v6, 7, v1
	v_and_b32_e32 v2, 0x80000000, v2
	s_delay_alu instid0(VALU_DEP_2) | instskip(NEXT) | instid1(VALU_DEP_1)
	v_clz_i32_u32_e32 v8, v6
	v_min_u32_e32 v8, 32, v8
	s_delay_alu instid0(VALU_DEP_1) | instskip(SKIP_1) | instid1(VALU_DEP_2)
	v_subrev_nc_u32_e32 v9, 28, v8
	v_sub_nc_u32_e32 v8, 29, v8
	v_lshlrev_b32_e32 v9, v9, v1
	v_bfe_u32 v1, v1, 3, 4
	s_delay_alu instid0(VALU_DEP_2) | instskip(NEXT) | instid1(VALU_DEP_2)
	v_and_b32_e32 v9, 7, v9
	v_cmp_eq_u32_e32 vcc_lo, 0, v1
	s_delay_alu instid0(VALU_DEP_2) | instskip(NEXT) | instid1(VALU_DEP_1)
	v_dual_cndmask_b32 v1, v1, v8 :: v_dual_cndmask_b32 v6, v6, v9
	v_lshl_add_u32 v1, v1, 23, 0x3b800000
	s_delay_alu instid0(VALU_DEP_2) | instskip(NEXT) | instid1(VALU_DEP_1)
	v_lshlrev_b32_e32 v6, 20, v6
	v_or3_b32 v1, v2, v1, v6
	s_delay_alu instid0(VALU_DEP_1) | instskip(NEXT) | instid1(VALU_DEP_1)
	v_trunc_f32_e32 v1, v1
	v_mul_f32_e64 v2, 0x2f800000, |v1|
	s_delay_alu instid0(VALU_DEP_1) | instskip(NEXT) | instid1(VALU_DEP_1)
	v_floor_f32_e32 v2, v2
	v_fma_f32 v2, 0xcf800000, v2, |v1|
	v_ashrrev_i32_e32 v1, 31, v1
	s_delay_alu instid0(VALU_DEP_2) | instskip(NEXT) | instid1(VALU_DEP_1)
	v_cvt_u32_f32_e32 v2, v2
	v_xor_b32_e32 v2, v2, v1
	s_delay_alu instid0(VALU_DEP_1)
	v_sub_nc_u32_e32 v1, v2, v1
.LBB280_1233:
	s_or_b32 exec_lo, exec_lo, s15
.LBB280_1234:
	s_mov_b32 s15, -1
.LBB280_1235:
	s_branch .LBB280_1266
.LBB280_1236:
	v_cmp_gt_i16_e64 s14, s10, 22
	s_delay_alu instid0(VALU_DEP_1)
	s_and_b32 vcc_lo, exec_lo, s14
	s_cbranch_vccz .LBB280_1244
; %bb.1237:
	v_cmp_lt_i16_e64 s14, s10, 24
	s_delay_alu instid0(VALU_DEP_1)
	s_and_b32 vcc_lo, exec_lo, s14
	s_cbranch_vccnz .LBB280_1247
; %bb.1238:
	v_cmp_gt_i16_e64 s14, s10, 24
	s_delay_alu instid0(VALU_DEP_1)
	s_and_b32 vcc_lo, exec_lo, s14
	s_cbranch_vccz .LBB280_1248
; %bb.1239:
	global_load_u8 v2, v[3:4], off
	s_mov_b32 s15, 0
	s_mov_b32 s14, exec_lo
                                        ; implicit-def: $sgpr16
	s_waitcnt vmcnt(0)
	v_cmpx_lt_i16_e32 0x7f, v2
	s_xor_b32 s14, exec_lo, s14
	s_cbranch_execz .LBB280_1260
; %bb.1240:
	v_cmp_ne_u16_e32 vcc_lo, 0x80, v2
	s_mov_b32 s16, 0
	s_and_b32 s15, vcc_lo, exec_lo
	s_or_saveexec_b32 s14, s14
	v_mov_b32_e32 v1, s16
	s_xor_b32 exec_lo, exec_lo, s14
	s_cbranch_execnz .LBB280_1261
.LBB280_1241:
	s_or_b32 exec_lo, exec_lo, s14
	s_and_saveexec_b32 s14, s15
	s_cbranch_execz .LBB280_1243
.LBB280_1242:
	v_and_b32_e32 v1, 0xffff, v2
	v_lshlrev_b32_e32 v2, 24, v2
	s_delay_alu instid0(VALU_DEP_2) | instskip(NEXT) | instid1(VALU_DEP_2)
	v_and_b32_e32 v6, 3, v1
	v_and_b32_e32 v2, 0x80000000, v2
	s_delay_alu instid0(VALU_DEP_2) | instskip(NEXT) | instid1(VALU_DEP_1)
	v_clz_i32_u32_e32 v8, v6
	v_min_u32_e32 v8, 32, v8
	s_delay_alu instid0(VALU_DEP_1) | instskip(SKIP_1) | instid1(VALU_DEP_2)
	v_subrev_nc_u32_e32 v9, 29, v8
	v_sub_nc_u32_e32 v8, 30, v8
	v_lshlrev_b32_e32 v9, v9, v1
	v_bfe_u32 v1, v1, 2, 5
	s_delay_alu instid0(VALU_DEP_2) | instskip(NEXT) | instid1(VALU_DEP_2)
	v_and_b32_e32 v9, 3, v9
	v_cmp_eq_u32_e32 vcc_lo, 0, v1
	s_delay_alu instid0(VALU_DEP_2) | instskip(NEXT) | instid1(VALU_DEP_1)
	v_dual_cndmask_b32 v1, v1, v8 :: v_dual_cndmask_b32 v6, v6, v9
	v_lshl_add_u32 v1, v1, 23, 0x37800000
	s_delay_alu instid0(VALU_DEP_2) | instskip(NEXT) | instid1(VALU_DEP_1)
	v_lshlrev_b32_e32 v6, 21, v6
	v_or3_b32 v1, v2, v1, v6
	s_delay_alu instid0(VALU_DEP_1) | instskip(NEXT) | instid1(VALU_DEP_1)
	v_trunc_f32_e32 v1, v1
	v_mul_f32_e64 v2, 0x2f800000, |v1|
	s_delay_alu instid0(VALU_DEP_1) | instskip(NEXT) | instid1(VALU_DEP_1)
	v_floor_f32_e32 v2, v2
	v_fma_f32 v2, 0xcf800000, v2, |v1|
	v_ashrrev_i32_e32 v1, 31, v1
	s_delay_alu instid0(VALU_DEP_2) | instskip(NEXT) | instid1(VALU_DEP_1)
	v_cvt_u32_f32_e32 v2, v2
	v_xor_b32_e32 v2, v2, v1
	s_delay_alu instid0(VALU_DEP_1)
	v_sub_nc_u32_e32 v1, v2, v1
.LBB280_1243:
	s_or_b32 exec_lo, exec_lo, s14
	s_mov_b32 s14, 0
	s_branch .LBB280_1249
.LBB280_1244:
	s_mov_b32 s14, -1
                                        ; implicit-def: $vgpr1
	s_branch .LBB280_1255
.LBB280_1245:
	s_or_saveexec_b32 s15, s15
	v_mov_b32_e32 v1, s17
	s_xor_b32 exec_lo, exec_lo, s15
	s_cbranch_execz .LBB280_1231
.LBB280_1246:
	v_cmp_ne_u16_e32 vcc_lo, 0, v2
	v_mov_b32_e32 v1, 0
	s_and_not1_b32 s16, s16, exec_lo
	s_and_b32 s17, vcc_lo, exec_lo
	s_delay_alu instid0(SALU_CYCLE_1)
	s_or_b32 s16, s16, s17
	s_or_b32 exec_lo, exec_lo, s15
	s_and_saveexec_b32 s15, s16
	s_cbranch_execnz .LBB280_1232
	s_branch .LBB280_1233
.LBB280_1247:
	s_mov_b32 s14, -1
                                        ; implicit-def: $vgpr1
	s_branch .LBB280_1252
.LBB280_1248:
	s_mov_b32 s14, -1
                                        ; implicit-def: $vgpr1
.LBB280_1249:
	s_delay_alu instid0(SALU_CYCLE_1)
	s_and_b32 vcc_lo, exec_lo, s14
	s_cbranch_vccz .LBB280_1251
; %bb.1250:
	global_load_u8 v1, v[3:4], off
	s_waitcnt vmcnt(0)
	v_lshlrev_b32_e32 v1, 24, v1
	s_delay_alu instid0(VALU_DEP_1) | instskip(NEXT) | instid1(VALU_DEP_1)
	v_and_b32_e32 v2, 0x7f000000, v1
	v_clz_i32_u32_e32 v6, v2
	v_add_nc_u32_e32 v9, 0x1000000, v2
	v_cmp_ne_u32_e32 vcc_lo, 0, v2
	s_delay_alu instid0(VALU_DEP_3) | instskip(NEXT) | instid1(VALU_DEP_1)
	v_min_u32_e32 v6, 32, v6
	v_sub_nc_u32_e64 v6, v6, 4 clamp
	s_delay_alu instid0(VALU_DEP_1) | instskip(SKIP_1) | instid1(VALU_DEP_2)
	v_lshlrev_b32_e32 v8, v6, v2
	v_lshlrev_b32_e32 v6, 23, v6
	v_lshrrev_b32_e32 v8, 4, v8
	s_delay_alu instid0(VALU_DEP_1) | instskip(SKIP_1) | instid1(VALU_DEP_2)
	v_sub_nc_u32_e32 v6, v8, v6
	v_ashrrev_i32_e32 v8, 8, v9
	v_add_nc_u32_e32 v6, 0x3c000000, v6
	s_delay_alu instid0(VALU_DEP_1) | instskip(NEXT) | instid1(VALU_DEP_1)
	v_and_or_b32 v6, 0x7f800000, v8, v6
	v_cndmask_b32_e32 v2, 0, v6, vcc_lo
	s_delay_alu instid0(VALU_DEP_1) | instskip(NEXT) | instid1(VALU_DEP_1)
	v_and_or_b32 v1, 0x80000000, v1, v2
	v_trunc_f32_e32 v1, v1
	s_delay_alu instid0(VALU_DEP_1) | instskip(NEXT) | instid1(VALU_DEP_1)
	v_mul_f32_e64 v2, 0x2f800000, |v1|
	v_floor_f32_e32 v2, v2
	s_delay_alu instid0(VALU_DEP_1) | instskip(SKIP_1) | instid1(VALU_DEP_2)
	v_fma_f32 v2, 0xcf800000, v2, |v1|
	v_ashrrev_i32_e32 v1, 31, v1
	v_cvt_u32_f32_e32 v2, v2
	s_delay_alu instid0(VALU_DEP_1) | instskip(NEXT) | instid1(VALU_DEP_1)
	v_xor_b32_e32 v2, v2, v1
	v_sub_nc_u32_e32 v1, v2, v1
.LBB280_1251:
	s_mov_b32 s14, 0
.LBB280_1252:
	s_delay_alu instid0(SALU_CYCLE_1)
	s_and_not1_b32 vcc_lo, exec_lo, s14
	s_cbranch_vccnz .LBB280_1254
; %bb.1253:
	global_load_u8 v1, v[3:4], off
	s_waitcnt vmcnt(0)
	v_lshlrev_b32_e32 v2, 25, v1
	v_lshlrev_b16 v1, 8, v1
	s_delay_alu instid0(VALU_DEP_2) | instskip(NEXT) | instid1(VALU_DEP_2)
	v_lshrrev_b32_e32 v6, 4, v2
	v_and_or_b32 v8, 0x7f00, v1, 0.5
	v_cmp_gt_u32_e32 vcc_lo, 0x8000000, v2
	v_bfe_i32 v1, v1, 0, 16
	s_delay_alu instid0(VALU_DEP_4) | instskip(NEXT) | instid1(VALU_DEP_4)
	v_or_b32_e32 v6, 0x70000000, v6
	v_add_f32_e32 v8, -0.5, v8
	s_delay_alu instid0(VALU_DEP_2) | instskip(NEXT) | instid1(VALU_DEP_1)
	v_mul_f32_e32 v6, 0x7800000, v6
	v_cndmask_b32_e32 v2, v6, v8, vcc_lo
	s_delay_alu instid0(VALU_DEP_1) | instskip(NEXT) | instid1(VALU_DEP_1)
	v_and_or_b32 v1, 0x80000000, v1, v2
	v_trunc_f32_e32 v1, v1
	s_delay_alu instid0(VALU_DEP_1) | instskip(NEXT) | instid1(VALU_DEP_1)
	v_mul_f32_e64 v2, 0x2f800000, |v1|
	v_floor_f32_e32 v2, v2
	s_delay_alu instid0(VALU_DEP_1) | instskip(SKIP_1) | instid1(VALU_DEP_2)
	v_fma_f32 v2, 0xcf800000, v2, |v1|
	v_ashrrev_i32_e32 v1, 31, v1
	v_cvt_u32_f32_e32 v2, v2
	s_delay_alu instid0(VALU_DEP_1) | instskip(NEXT) | instid1(VALU_DEP_1)
	v_xor_b32_e32 v2, v2, v1
	v_sub_nc_u32_e32 v1, v2, v1
.LBB280_1254:
	s_mov_b32 s14, 0
	s_mov_b32 s15, -1
.LBB280_1255:
	s_and_not1_b32 vcc_lo, exec_lo, s14
	s_mov_b32 s14, 0
	s_cbranch_vccnz .LBB280_1266
; %bb.1256:
	v_cmp_gt_i16_e64 s14, s10, 14
	s_delay_alu instid0(VALU_DEP_1)
	s_and_b32 vcc_lo, exec_lo, s14
	s_cbranch_vccz .LBB280_1259
; %bb.1257:
	v_cmp_eq_u16_e64 s3, s10, 15
	s_delay_alu instid0(VALU_DEP_1)
	s_and_b32 vcc_lo, exec_lo, s3
	s_cbranch_vccz .LBB280_1262
; %bb.1258:
	global_load_u16 v1, v[3:4], off
	s_mov_b32 s3, 0
	s_mov_b32 s15, -1
	s_waitcnt vmcnt(0)
	v_lshlrev_b32_e32 v1, 16, v1
	s_delay_alu instid0(VALU_DEP_1) | instskip(NEXT) | instid1(VALU_DEP_1)
	v_trunc_f32_e32 v1, v1
	v_mul_f32_e64 v2, 0x2f800000, |v1|
	s_delay_alu instid0(VALU_DEP_1) | instskip(NEXT) | instid1(VALU_DEP_1)
	v_floor_f32_e32 v2, v2
	v_fma_f32 v2, 0xcf800000, v2, |v1|
	v_ashrrev_i32_e32 v1, 31, v1
	s_delay_alu instid0(VALU_DEP_2) | instskip(NEXT) | instid1(VALU_DEP_1)
	v_cvt_u32_f32_e32 v2, v2
	v_xor_b32_e32 v2, v2, v1
	s_delay_alu instid0(VALU_DEP_1)
	v_sub_nc_u32_e32 v1, v2, v1
	s_branch .LBB280_1263
.LBB280_1259:
	s_mov_b32 s14, -1
                                        ; implicit-def: $vgpr1
	s_branch .LBB280_1264
.LBB280_1260:
	s_or_saveexec_b32 s14, s14
	v_mov_b32_e32 v1, s16
	s_xor_b32 exec_lo, exec_lo, s14
	s_cbranch_execz .LBB280_1241
.LBB280_1261:
	v_cmp_ne_u16_e32 vcc_lo, 0, v2
	v_mov_b32_e32 v1, 0
	s_and_not1_b32 s15, s15, exec_lo
	s_and_b32 s16, vcc_lo, exec_lo
	s_delay_alu instid0(SALU_CYCLE_1)
	s_or_b32 s15, s15, s16
	s_or_b32 exec_lo, exec_lo, s14
	s_and_saveexec_b32 s14, s15
	s_cbranch_execnz .LBB280_1242
	s_branch .LBB280_1243
.LBB280_1262:
	s_mov_b32 s3, -1
                                        ; implicit-def: $vgpr1
.LBB280_1263:
	s_mov_b32 s14, 0
.LBB280_1264:
	s_delay_alu instid0(SALU_CYCLE_1)
	s_and_b32 vcc_lo, exec_lo, s14
	s_mov_b32 s14, 0
	s_cbranch_vccz .LBB280_1266
; %bb.1265:
	v_cmp_ne_u16_e64 s3, s10, 11
	s_mov_b32 s14, -1
                                        ; implicit-def: $vgpr1
.LBB280_1266:
	s_delay_alu instid0(VALU_DEP_1)
	s_and_b32 vcc_lo, exec_lo, s3
	s_cbranch_vccnz .LBB280_1290
; %bb.1267:
	s_and_not1_b32 vcc_lo, exec_lo, s14
	s_cbranch_vccnz .LBB280_1269
.LBB280_1268:
	global_load_u8 v1, v[3:4], off
	s_mov_b32 s15, -1
	s_waitcnt vmcnt(0)
	v_cmp_ne_u16_e32 vcc_lo, 0, v1
	v_cndmask_b32_e64 v1, 0, 1, vcc_lo
.LBB280_1269:
.LBB280_1270:
	s_and_not1_b32 vcc_lo, exec_lo, s15
	s_cbranch_vccnz .LBB280_1963
.LBB280_1271:
	v_add_nc_u32_e32 v6, s0, v5
	v_cmp_lt_i16_e64 s3, s10, 11
	s_waitcnt vmcnt(0)
	s_delay_alu instid0(VALU_DEP_2) | instskip(SKIP_1) | instid1(VALU_DEP_2)
	v_ashrrev_i32_e32 v2, 31, v6
	v_add_co_u32 v4, vcc_lo, s6, v6
	v_add_co_ci_u32_e32 v5, vcc_lo, s7, v2, vcc_lo
	s_and_b32 vcc_lo, exec_lo, s3
	s_cbranch_vccnz .LBB280_1278
; %bb.1272:
	v_cmp_gt_i16_e64 s3, s10, 25
	s_mov_b32 s14, 0
	s_delay_alu instid0(VALU_DEP_1)
	s_and_b32 vcc_lo, exec_lo, s3
	s_cbranch_vccz .LBB280_1284
; %bb.1273:
	v_cmp_gt_i16_e64 s3, s10, 28
	s_delay_alu instid0(VALU_DEP_1)
	s_and_b32 vcc_lo, exec_lo, s3
	s_cbranch_vccz .LBB280_1286
; %bb.1274:
	v_cmp_gt_i16_e64 s3, s10, 43
	;; [unrolled: 5-line block ×3, first 2 shown]
	s_delay_alu instid0(VALU_DEP_1)
	s_and_b32 vcc_lo, exec_lo, s3
	s_cbranch_vccz .LBB280_1292
; %bb.1276:
	v_cmp_eq_u16_e64 s3, s10, 46
	s_mov_b32 s16, 0
	s_delay_alu instid0(VALU_DEP_1)
	s_and_b32 vcc_lo, exec_lo, s3
	s_cbranch_vccz .LBB280_1335
; %bb.1277:
	global_load_b32 v2, v[4:5], off
	s_mov_b32 s3, 0
	s_mov_b32 s15, -1
	s_waitcnt vmcnt(0)
	v_lshlrev_b32_e32 v2, 16, v2
	s_delay_alu instid0(VALU_DEP_1) | instskip(NEXT) | instid1(VALU_DEP_1)
	v_trunc_f32_e32 v2, v2
	v_mul_f32_e64 v3, 0x2f800000, |v2|
	s_delay_alu instid0(VALU_DEP_1) | instskip(NEXT) | instid1(VALU_DEP_1)
	v_floor_f32_e32 v3, v3
	v_fma_f32 v3, 0xcf800000, v3, |v2|
	v_ashrrev_i32_e32 v2, 31, v2
	s_delay_alu instid0(VALU_DEP_2) | instskip(NEXT) | instid1(VALU_DEP_1)
	v_cvt_u32_f32_e32 v3, v3
	v_xor_b32_e32 v3, v3, v2
	s_delay_alu instid0(VALU_DEP_1)
	v_sub_nc_u32_e32 v2, v3, v2
	s_branch .LBB280_1337
.LBB280_1278:
	s_mov_b32 s15, 0
                                        ; implicit-def: $vgpr2
	s_cbranch_execz .LBB280_1399
; %bb.1279:
	v_cmp_lt_i16_e64 s3, s10, 5
	s_delay_alu instid0(VALU_DEP_1)
	s_and_b32 vcc_lo, exec_lo, s3
	s_cbranch_vccnz .LBB280_1285
; %bb.1280:
	v_cmp_lt_i16_e64 s3, s10, 8
	s_delay_alu instid0(VALU_DEP_1)
	s_and_b32 vcc_lo, exec_lo, s3
	s_cbranch_vccnz .LBB280_1287
	;; [unrolled: 5-line block ×3, first 2 shown]
; %bb.1282:
	v_cmp_gt_i16_e64 s3, s10, 9
	s_delay_alu instid0(VALU_DEP_1)
	s_and_b32 vcc_lo, exec_lo, s3
	s_cbranch_vccz .LBB280_1293
; %bb.1283:
	global_load_b64 v[2:3], v[4:5], off
	s_mov_b32 s3, 0
	s_waitcnt vmcnt(0)
	v_trunc_f64_e32 v[2:3], v[2:3]
	s_delay_alu instid0(VALU_DEP_1) | instskip(NEXT) | instid1(VALU_DEP_1)
	v_ldexp_f64 v[8:9], v[2:3], 0xffffffe0
	v_floor_f64_e32 v[8:9], v[8:9]
	s_delay_alu instid0(VALU_DEP_1) | instskip(NEXT) | instid1(VALU_DEP_1)
	v_fma_f64 v[2:3], 0xc1f00000, v[8:9], v[2:3]
	v_cvt_u32_f64_e32 v2, v[2:3]
	s_branch .LBB280_1294
.LBB280_1284:
	s_mov_b32 s16, -1
	s_mov_b32 s15, 0
	s_mov_b32 s3, 0
                                        ; implicit-def: $vgpr2
	s_branch .LBB280_1364
.LBB280_1285:
	s_mov_b32 s3, -1
                                        ; implicit-def: $vgpr2
	s_branch .LBB280_1312
.LBB280_1286:
	s_mov_b32 s16, -1
	s_mov_b32 s15, 0
	s_mov_b32 s3, 0
                                        ; implicit-def: $vgpr2
	s_branch .LBB280_1347
.LBB280_1287:
	s_mov_b32 s3, -1
                                        ; implicit-def: $vgpr2
	s_branch .LBB280_1300
.LBB280_1288:
	s_mov_b32 s16, -1
	s_mov_b32 s15, 0
	s_mov_b32 s3, 0
                                        ; implicit-def: $vgpr2
	s_branch .LBB280_1342
.LBB280_1289:
	s_mov_b32 s3, -1
                                        ; implicit-def: $vgpr2
	s_branch .LBB280_1297
.LBB280_1290:
	s_cbranch_execnz .LBB280_1333
; %bb.1291:
	s_or_b32 s11, s11, exec_lo
                                        ; implicit-def: $vgpr1
	s_cbranch_execz .LBB280_1268
	s_branch .LBB280_1269
.LBB280_1292:
	s_mov_b32 s16, -1
	s_mov_b32 s15, 0
	s_mov_b32 s3, 0
	s_branch .LBB280_1336
.LBB280_1293:
	s_mov_b32 s3, -1
                                        ; implicit-def: $vgpr2
.LBB280_1294:
	s_delay_alu instid0(SALU_CYCLE_1)
	s_and_not1_b32 vcc_lo, exec_lo, s3
	s_cbranch_vccnz .LBB280_1296
; %bb.1295:
	global_load_b32 v2, v[4:5], off
	s_waitcnt vmcnt(0)
	v_trunc_f32_e32 v2, v2
	s_delay_alu instid0(VALU_DEP_1) | instskip(NEXT) | instid1(VALU_DEP_1)
	v_mul_f32_e64 v3, 0x2f800000, |v2|
	v_floor_f32_e32 v3, v3
	s_delay_alu instid0(VALU_DEP_1) | instskip(SKIP_1) | instid1(VALU_DEP_2)
	v_fma_f32 v3, 0xcf800000, v3, |v2|
	v_ashrrev_i32_e32 v2, 31, v2
	v_cvt_u32_f32_e32 v3, v3
	s_delay_alu instid0(VALU_DEP_1) | instskip(NEXT) | instid1(VALU_DEP_1)
	v_xor_b32_e32 v3, v3, v2
	v_sub_nc_u32_e32 v2, v3, v2
.LBB280_1296:
	s_mov_b32 s3, 0
.LBB280_1297:
	s_delay_alu instid0(SALU_CYCLE_1)
	s_and_not1_b32 vcc_lo, exec_lo, s3
	s_cbranch_vccnz .LBB280_1299
; %bb.1298:
	global_load_b32 v2, v[4:5], off
	s_waitcnt vmcnt(0)
	v_cvt_f32_f16_e32 v2, v2
	s_delay_alu instid0(VALU_DEP_1)
	v_cvt_i32_f32_e32 v2, v2
.LBB280_1299:
	s_mov_b32 s3, 0
.LBB280_1300:
	s_delay_alu instid0(SALU_CYCLE_1)
	s_and_not1_b32 vcc_lo, exec_lo, s3
	s_cbranch_vccnz .LBB280_1311
; %bb.1301:
	v_cmp_lt_i16_e64 s3, s10, 6
	s_delay_alu instid0(VALU_DEP_1)
	s_and_b32 vcc_lo, exec_lo, s3
	s_cbranch_vccnz .LBB280_1304
; %bb.1302:
	v_cmp_gt_i16_e64 s3, s10, 6
	s_delay_alu instid0(VALU_DEP_1)
	s_and_b32 vcc_lo, exec_lo, s3
	s_cbranch_vccz .LBB280_1305
; %bb.1303:
	global_load_b64 v[2:3], v[4:5], off
	s_mov_b32 s3, 0
	s_waitcnt vmcnt(0)
	v_trunc_f64_e32 v[2:3], v[2:3]
	s_delay_alu instid0(VALU_DEP_1) | instskip(NEXT) | instid1(VALU_DEP_1)
	v_ldexp_f64 v[8:9], v[2:3], 0xffffffe0
	v_floor_f64_e32 v[8:9], v[8:9]
	s_delay_alu instid0(VALU_DEP_1) | instskip(NEXT) | instid1(VALU_DEP_1)
	v_fma_f64 v[2:3], 0xc1f00000, v[8:9], v[2:3]
	v_cvt_u32_f64_e32 v2, v[2:3]
	s_branch .LBB280_1306
.LBB280_1304:
	s_mov_b32 s3, -1
                                        ; implicit-def: $vgpr2
	s_branch .LBB280_1309
.LBB280_1305:
	s_mov_b32 s3, -1
                                        ; implicit-def: $vgpr2
.LBB280_1306:
	s_delay_alu instid0(SALU_CYCLE_1)
	s_and_not1_b32 vcc_lo, exec_lo, s3
	s_cbranch_vccnz .LBB280_1308
; %bb.1307:
	global_load_b32 v2, v[4:5], off
	s_waitcnt vmcnt(0)
	v_trunc_f32_e32 v2, v2
	s_delay_alu instid0(VALU_DEP_1) | instskip(NEXT) | instid1(VALU_DEP_1)
	v_mul_f32_e64 v3, 0x2f800000, |v2|
	v_floor_f32_e32 v3, v3
	s_delay_alu instid0(VALU_DEP_1) | instskip(SKIP_1) | instid1(VALU_DEP_2)
	v_fma_f32 v3, 0xcf800000, v3, |v2|
	v_ashrrev_i32_e32 v2, 31, v2
	v_cvt_u32_f32_e32 v3, v3
	s_delay_alu instid0(VALU_DEP_1) | instskip(NEXT) | instid1(VALU_DEP_1)
	v_xor_b32_e32 v3, v3, v2
	v_sub_nc_u32_e32 v2, v3, v2
.LBB280_1308:
	s_mov_b32 s3, 0
.LBB280_1309:
	s_delay_alu instid0(SALU_CYCLE_1)
	s_and_not1_b32 vcc_lo, exec_lo, s3
	s_cbranch_vccnz .LBB280_1311
; %bb.1310:
	global_load_u16 v2, v[4:5], off
	s_waitcnt vmcnt(0)
	v_cvt_f32_f16_e32 v2, v2
	s_delay_alu instid0(VALU_DEP_1)
	v_cvt_i32_f32_e32 v2, v2
.LBB280_1311:
	s_mov_b32 s3, 0
.LBB280_1312:
	s_delay_alu instid0(SALU_CYCLE_1)
	s_and_not1_b32 vcc_lo, exec_lo, s3
	s_cbranch_vccnz .LBB280_1332
; %bb.1313:
	v_cmp_lt_i16_e64 s3, s10, 2
	s_delay_alu instid0(VALU_DEP_1)
	s_and_b32 vcc_lo, exec_lo, s3
	s_cbranch_vccnz .LBB280_1317
; %bb.1314:
	v_cmp_lt_i16_e64 s3, s10, 3
	s_delay_alu instid0(VALU_DEP_1)
	s_and_b32 vcc_lo, exec_lo, s3
	s_cbranch_vccnz .LBB280_1318
; %bb.1315:
	v_cmp_gt_i16_e64 s3, s10, 3
	s_delay_alu instid0(VALU_DEP_1)
	s_and_b32 vcc_lo, exec_lo, s3
	s_cbranch_vccz .LBB280_1319
; %bb.1316:
	global_load_b64 v[2:3], v[4:5], off
	s_mov_b32 s3, 0
	s_branch .LBB280_1320
.LBB280_1317:
	s_mov_b32 s3, -1
                                        ; implicit-def: $vgpr2
	s_branch .LBB280_1326
.LBB280_1318:
	s_mov_b32 s3, -1
                                        ; implicit-def: $vgpr2
	s_branch .LBB280_1323
.LBB280_1319:
	s_mov_b32 s3, -1
                                        ; implicit-def: $vgpr2
.LBB280_1320:
	s_delay_alu instid0(SALU_CYCLE_1)
	s_and_not1_b32 vcc_lo, exec_lo, s3
	s_cbranch_vccnz .LBB280_1322
; %bb.1321:
	global_load_b32 v2, v[4:5], off
.LBB280_1322:
	s_mov_b32 s3, 0
.LBB280_1323:
	s_delay_alu instid0(SALU_CYCLE_1)
	s_and_not1_b32 vcc_lo, exec_lo, s3
	s_cbranch_vccnz .LBB280_1325
; %bb.1324:
	global_load_u16 v2, v[4:5], off
.LBB280_1325:
	s_mov_b32 s3, 0
.LBB280_1326:
	s_delay_alu instid0(SALU_CYCLE_1)
	s_and_not1_b32 vcc_lo, exec_lo, s3
	s_cbranch_vccnz .LBB280_1332
; %bb.1327:
	v_cmp_gt_i16_e64 s3, s10, 0
	s_delay_alu instid0(VALU_DEP_1)
	s_and_b32 vcc_lo, exec_lo, s3
	s_mov_b32 s3, 0
	s_cbranch_vccz .LBB280_1329
; %bb.1328:
	global_load_u8 v2, v[4:5], off
	s_branch .LBB280_1330
.LBB280_1329:
	s_mov_b32 s3, -1
                                        ; implicit-def: $vgpr2
.LBB280_1330:
	s_delay_alu instid0(SALU_CYCLE_1)
	s_and_not1_b32 vcc_lo, exec_lo, s3
	s_cbranch_vccnz .LBB280_1332
; %bb.1331:
	global_load_u8 v2, v[4:5], off
.LBB280_1332:
	s_branch .LBB280_1400
.LBB280_1333:
	s_trap 2
	s_sendmsg_rtn_b32 s0, sendmsg(MSG_RTN_GET_DOORBELL)
	s_mov_b32 ttmp2, m0
	s_waitcnt lgkmcnt(0)
	s_and_b32 s0, s0, 0x3ff
	s_delay_alu instid0(SALU_CYCLE_1) | instskip(NEXT) | instid1(SALU_CYCLE_1)
	s_bitset1_b32 s0, 10
	s_mov_b32 m0, s0
	s_sendmsg sendmsg(MSG_INTERRUPT)
	s_mov_b32 m0, ttmp2
.LBB280_1334:                           ; =>This Inner Loop Header: Depth=1
	s_sethalt 5
	s_branch .LBB280_1334
.LBB280_1335:
	s_mov_b32 s3, -1
	s_mov_b32 s15, 0
.LBB280_1336:
                                        ; implicit-def: $vgpr2
.LBB280_1337:
	s_and_b32 vcc_lo, exec_lo, s16
	s_cbranch_vccz .LBB280_1341
; %bb.1338:
	v_cmp_eq_u16_e64 s3, s10, 44
	s_delay_alu instid0(VALU_DEP_1)
	s_and_b32 vcc_lo, exec_lo, s3
	s_cbranch_vccz .LBB280_1340
; %bb.1339:
	global_load_u8 v2, v[4:5], off
	s_mov_b32 s3, 0
	s_mov_b32 s15, -1
	s_waitcnt vmcnt(0)
	v_lshlrev_b32_e32 v3, 23, v2
	v_cmp_ne_u32_e32 vcc_lo, 0, v2
	s_delay_alu instid0(VALU_DEP_2) | instskip(NEXT) | instid1(VALU_DEP_1)
	v_trunc_f32_e32 v3, v3
	v_mul_f32_e64 v8, 0x2f800000, |v3|
	s_delay_alu instid0(VALU_DEP_1) | instskip(NEXT) | instid1(VALU_DEP_1)
	v_floor_f32_e32 v8, v8
	v_fma_f32 v8, 0xcf800000, v8, |v3|
	v_ashrrev_i32_e32 v3, 31, v3
	s_delay_alu instid0(VALU_DEP_2) | instskip(NEXT) | instid1(VALU_DEP_1)
	v_cvt_u32_f32_e32 v8, v8
	v_xor_b32_e32 v8, v8, v3
	s_delay_alu instid0(VALU_DEP_1) | instskip(NEXT) | instid1(VALU_DEP_1)
	v_sub_nc_u32_e32 v3, v8, v3
	v_cndmask_b32_e32 v2, 0, v3, vcc_lo
	s_branch .LBB280_1341
.LBB280_1340:
	s_mov_b32 s3, -1
                                        ; implicit-def: $vgpr2
.LBB280_1341:
	s_mov_b32 s16, 0
.LBB280_1342:
	s_delay_alu instid0(SALU_CYCLE_1)
	s_and_b32 vcc_lo, exec_lo, s16
	s_cbranch_vccz .LBB280_1346
; %bb.1343:
	v_cmp_eq_u16_e64 s3, s10, 29
	s_delay_alu instid0(VALU_DEP_1)
	s_and_b32 vcc_lo, exec_lo, s3
	s_cbranch_vccz .LBB280_1345
; %bb.1344:
	global_load_b64 v[2:3], v[4:5], off
	s_mov_b32 s3, 0
	s_mov_b32 s15, -1
	s_branch .LBB280_1346
.LBB280_1345:
	s_mov_b32 s3, -1
                                        ; implicit-def: $vgpr2
.LBB280_1346:
	s_mov_b32 s16, 0
.LBB280_1347:
	s_delay_alu instid0(SALU_CYCLE_1)
	s_and_b32 vcc_lo, exec_lo, s16
	s_cbranch_vccz .LBB280_1363
; %bb.1348:
	v_cmp_lt_i16_e64 s15, s10, 27
	s_delay_alu instid0(VALU_DEP_1)
	s_and_b32 vcc_lo, exec_lo, s15
	s_cbranch_vccnz .LBB280_1351
; %bb.1349:
	v_cmp_gt_i16_e64 s15, s10, 27
	s_delay_alu instid0(VALU_DEP_1)
	s_and_b32 vcc_lo, exec_lo, s15
	s_cbranch_vccz .LBB280_1352
; %bb.1350:
	global_load_b32 v2, v[4:5], off
	s_mov_b32 s15, 0
	s_branch .LBB280_1353
.LBB280_1351:
	s_mov_b32 s15, -1
                                        ; implicit-def: $vgpr2
	s_branch .LBB280_1356
.LBB280_1352:
	s_mov_b32 s15, -1
                                        ; implicit-def: $vgpr2
.LBB280_1353:
	s_delay_alu instid0(SALU_CYCLE_1)
	s_and_not1_b32 vcc_lo, exec_lo, s15
	s_cbranch_vccnz .LBB280_1355
; %bb.1354:
	global_load_u16 v2, v[4:5], off
.LBB280_1355:
	s_mov_b32 s15, 0
.LBB280_1356:
	s_delay_alu instid0(SALU_CYCLE_1)
	s_and_not1_b32 vcc_lo, exec_lo, s15
	s_cbranch_vccnz .LBB280_1362
; %bb.1357:
	global_load_u8 v3, v[4:5], off
	s_mov_b32 s16, 0
	s_mov_b32 s15, exec_lo
                                        ; implicit-def: $sgpr17
	s_waitcnt vmcnt(0)
	v_cmpx_lt_i16_e32 0x7f, v3
	s_xor_b32 s15, exec_lo, s15
	s_cbranch_execz .LBB280_1374
; %bb.1358:
	v_cmp_ne_u16_e32 vcc_lo, 0x80, v3
	s_mov_b32 s17, 0
	s_and_b32 s16, vcc_lo, exec_lo
	s_or_saveexec_b32 s15, s15
	v_mov_b32_e32 v2, s17
	s_xor_b32 exec_lo, exec_lo, s15
	s_cbranch_execnz .LBB280_1375
.LBB280_1359:
	s_or_b32 exec_lo, exec_lo, s15
	s_and_saveexec_b32 s15, s16
	s_cbranch_execz .LBB280_1361
.LBB280_1360:
	v_and_b32_e32 v2, 0xffff, v3
	s_delay_alu instid0(VALU_DEP_1) | instskip(NEXT) | instid1(VALU_DEP_1)
	v_and_b32_e32 v8, 7, v2
	v_clz_i32_u32_e32 v9, v8
	s_delay_alu instid0(VALU_DEP_1) | instskip(NEXT) | instid1(VALU_DEP_1)
	v_min_u32_e32 v9, 32, v9
	v_subrev_nc_u32_e32 v10, 28, v9
	v_sub_nc_u32_e32 v9, 29, v9
	s_delay_alu instid0(VALU_DEP_2) | instskip(SKIP_1) | instid1(VALU_DEP_2)
	v_lshlrev_b32_e32 v10, v10, v2
	v_bfe_u32 v2, v2, 3, 4
	v_and_b32_e32 v10, 7, v10
	s_delay_alu instid0(VALU_DEP_2) | instskip(SKIP_1) | instid1(VALU_DEP_1)
	v_cmp_eq_u32_e32 vcc_lo, 0, v2
	v_dual_cndmask_b32 v2, v2, v9 :: v_dual_lshlrev_b32 v3, 24, v3
	v_dual_cndmask_b32 v8, v8, v10 :: v_dual_and_b32 v3, 0x80000000, v3
	s_delay_alu instid0(VALU_DEP_2) | instskip(NEXT) | instid1(VALU_DEP_2)
	v_lshl_add_u32 v2, v2, 23, 0x3b800000
	v_lshlrev_b32_e32 v8, 20, v8
	s_delay_alu instid0(VALU_DEP_1) | instskip(NEXT) | instid1(VALU_DEP_1)
	v_or3_b32 v2, v3, v2, v8
	v_trunc_f32_e32 v2, v2
	s_delay_alu instid0(VALU_DEP_1) | instskip(NEXT) | instid1(VALU_DEP_1)
	v_mul_f32_e64 v3, 0x2f800000, |v2|
	v_floor_f32_e32 v3, v3
	s_delay_alu instid0(VALU_DEP_1) | instskip(SKIP_1) | instid1(VALU_DEP_2)
	v_fma_f32 v3, 0xcf800000, v3, |v2|
	v_ashrrev_i32_e32 v2, 31, v2
	v_cvt_u32_f32_e32 v3, v3
	s_delay_alu instid0(VALU_DEP_1) | instskip(NEXT) | instid1(VALU_DEP_1)
	v_xor_b32_e32 v3, v3, v2
	v_sub_nc_u32_e32 v2, v3, v2
.LBB280_1361:
	s_or_b32 exec_lo, exec_lo, s15
.LBB280_1362:
	s_mov_b32 s15, -1
.LBB280_1363:
	s_mov_b32 s16, 0
.LBB280_1364:
	s_delay_alu instid0(SALU_CYCLE_1)
	s_and_b32 vcc_lo, exec_lo, s16
	s_cbranch_vccz .LBB280_1395
; %bb.1365:
	v_cmp_gt_i16_e64 s14, s10, 22
	s_delay_alu instid0(VALU_DEP_1)
	s_and_b32 vcc_lo, exec_lo, s14
	s_cbranch_vccz .LBB280_1373
; %bb.1366:
	v_cmp_lt_i16_e64 s14, s10, 24
	s_delay_alu instid0(VALU_DEP_1)
	s_and_b32 vcc_lo, exec_lo, s14
	s_cbranch_vccnz .LBB280_1376
; %bb.1367:
	v_cmp_gt_i16_e64 s14, s10, 24
	s_delay_alu instid0(VALU_DEP_1)
	s_and_b32 vcc_lo, exec_lo, s14
	s_cbranch_vccz .LBB280_1377
; %bb.1368:
	global_load_u8 v3, v[4:5], off
	s_mov_b32 s15, 0
	s_mov_b32 s14, exec_lo
                                        ; implicit-def: $sgpr16
	s_waitcnt vmcnt(0)
	v_cmpx_lt_i16_e32 0x7f, v3
	s_xor_b32 s14, exec_lo, s14
	s_cbranch_execz .LBB280_1389
; %bb.1369:
	v_cmp_ne_u16_e32 vcc_lo, 0x80, v3
	s_mov_b32 s16, 0
	s_and_b32 s15, vcc_lo, exec_lo
	s_or_saveexec_b32 s14, s14
	v_mov_b32_e32 v2, s16
	s_xor_b32 exec_lo, exec_lo, s14
	s_cbranch_execnz .LBB280_1390
.LBB280_1370:
	s_or_b32 exec_lo, exec_lo, s14
	s_and_saveexec_b32 s14, s15
	s_cbranch_execz .LBB280_1372
.LBB280_1371:
	v_and_b32_e32 v2, 0xffff, v3
	s_delay_alu instid0(VALU_DEP_1) | instskip(NEXT) | instid1(VALU_DEP_1)
	v_and_b32_e32 v8, 3, v2
	v_clz_i32_u32_e32 v9, v8
	s_delay_alu instid0(VALU_DEP_1) | instskip(NEXT) | instid1(VALU_DEP_1)
	v_min_u32_e32 v9, 32, v9
	v_subrev_nc_u32_e32 v10, 29, v9
	v_sub_nc_u32_e32 v9, 30, v9
	s_delay_alu instid0(VALU_DEP_2) | instskip(SKIP_1) | instid1(VALU_DEP_2)
	v_lshlrev_b32_e32 v10, v10, v2
	v_bfe_u32 v2, v2, 2, 5
	v_and_b32_e32 v10, 3, v10
	s_delay_alu instid0(VALU_DEP_2) | instskip(SKIP_1) | instid1(VALU_DEP_1)
	v_cmp_eq_u32_e32 vcc_lo, 0, v2
	v_dual_cndmask_b32 v2, v2, v9 :: v_dual_lshlrev_b32 v3, 24, v3
	v_dual_cndmask_b32 v8, v8, v10 :: v_dual_and_b32 v3, 0x80000000, v3
	s_delay_alu instid0(VALU_DEP_2) | instskip(NEXT) | instid1(VALU_DEP_2)
	v_lshl_add_u32 v2, v2, 23, 0x37800000
	v_lshlrev_b32_e32 v8, 21, v8
	s_delay_alu instid0(VALU_DEP_1) | instskip(NEXT) | instid1(VALU_DEP_1)
	v_or3_b32 v2, v3, v2, v8
	v_trunc_f32_e32 v2, v2
	s_delay_alu instid0(VALU_DEP_1) | instskip(NEXT) | instid1(VALU_DEP_1)
	v_mul_f32_e64 v3, 0x2f800000, |v2|
	v_floor_f32_e32 v3, v3
	s_delay_alu instid0(VALU_DEP_1) | instskip(SKIP_1) | instid1(VALU_DEP_2)
	v_fma_f32 v3, 0xcf800000, v3, |v2|
	v_ashrrev_i32_e32 v2, 31, v2
	v_cvt_u32_f32_e32 v3, v3
	s_delay_alu instid0(VALU_DEP_1) | instskip(NEXT) | instid1(VALU_DEP_1)
	v_xor_b32_e32 v3, v3, v2
	v_sub_nc_u32_e32 v2, v3, v2
.LBB280_1372:
	s_or_b32 exec_lo, exec_lo, s14
	s_mov_b32 s14, 0
	s_branch .LBB280_1378
.LBB280_1373:
	s_mov_b32 s14, -1
                                        ; implicit-def: $vgpr2
	s_branch .LBB280_1384
.LBB280_1374:
	s_or_saveexec_b32 s15, s15
	v_mov_b32_e32 v2, s17
	s_xor_b32 exec_lo, exec_lo, s15
	s_cbranch_execz .LBB280_1359
.LBB280_1375:
	v_cmp_ne_u16_e32 vcc_lo, 0, v3
	v_mov_b32_e32 v2, 0
	s_and_not1_b32 s16, s16, exec_lo
	s_and_b32 s17, vcc_lo, exec_lo
	s_delay_alu instid0(SALU_CYCLE_1)
	s_or_b32 s16, s16, s17
	s_or_b32 exec_lo, exec_lo, s15
	s_and_saveexec_b32 s15, s16
	s_cbranch_execnz .LBB280_1360
	s_branch .LBB280_1361
.LBB280_1376:
	s_mov_b32 s14, -1
                                        ; implicit-def: $vgpr2
	s_branch .LBB280_1381
.LBB280_1377:
	s_mov_b32 s14, -1
                                        ; implicit-def: $vgpr2
.LBB280_1378:
	s_delay_alu instid0(SALU_CYCLE_1)
	s_and_b32 vcc_lo, exec_lo, s14
	s_cbranch_vccz .LBB280_1380
; %bb.1379:
	global_load_u8 v2, v[4:5], off
	s_waitcnt vmcnt(0)
	v_lshlrev_b32_e32 v2, 24, v2
	s_delay_alu instid0(VALU_DEP_1) | instskip(NEXT) | instid1(VALU_DEP_1)
	v_and_b32_e32 v3, 0x7f000000, v2
	v_clz_i32_u32_e32 v8, v3
	v_add_nc_u32_e32 v10, 0x1000000, v3
	v_cmp_ne_u32_e32 vcc_lo, 0, v3
	s_delay_alu instid0(VALU_DEP_3) | instskip(NEXT) | instid1(VALU_DEP_1)
	v_min_u32_e32 v8, 32, v8
	v_sub_nc_u32_e64 v8, v8, 4 clamp
	s_delay_alu instid0(VALU_DEP_1) | instskip(SKIP_1) | instid1(VALU_DEP_2)
	v_lshlrev_b32_e32 v9, v8, v3
	v_lshlrev_b32_e32 v8, 23, v8
	v_lshrrev_b32_e32 v9, 4, v9
	s_delay_alu instid0(VALU_DEP_1) | instskip(SKIP_1) | instid1(VALU_DEP_2)
	v_sub_nc_u32_e32 v8, v9, v8
	v_ashrrev_i32_e32 v9, 8, v10
	v_add_nc_u32_e32 v8, 0x3c000000, v8
	s_delay_alu instid0(VALU_DEP_1) | instskip(NEXT) | instid1(VALU_DEP_1)
	v_and_or_b32 v8, 0x7f800000, v9, v8
	v_cndmask_b32_e32 v3, 0, v8, vcc_lo
	s_delay_alu instid0(VALU_DEP_1) | instskip(NEXT) | instid1(VALU_DEP_1)
	v_and_or_b32 v2, 0x80000000, v2, v3
	v_trunc_f32_e32 v2, v2
	s_delay_alu instid0(VALU_DEP_1) | instskip(NEXT) | instid1(VALU_DEP_1)
	v_mul_f32_e64 v3, 0x2f800000, |v2|
	v_floor_f32_e32 v3, v3
	s_delay_alu instid0(VALU_DEP_1) | instskip(SKIP_1) | instid1(VALU_DEP_2)
	v_fma_f32 v3, 0xcf800000, v3, |v2|
	v_ashrrev_i32_e32 v2, 31, v2
	v_cvt_u32_f32_e32 v3, v3
	s_delay_alu instid0(VALU_DEP_1) | instskip(NEXT) | instid1(VALU_DEP_1)
	v_xor_b32_e32 v3, v3, v2
	v_sub_nc_u32_e32 v2, v3, v2
.LBB280_1380:
	s_mov_b32 s14, 0
.LBB280_1381:
	s_delay_alu instid0(SALU_CYCLE_1)
	s_and_not1_b32 vcc_lo, exec_lo, s14
	s_cbranch_vccnz .LBB280_1383
; %bb.1382:
	global_load_u8 v2, v[4:5], off
	s_waitcnt vmcnt(0)
	v_lshlrev_b32_e32 v3, 25, v2
	v_lshlrev_b16 v2, 8, v2
	s_delay_alu instid0(VALU_DEP_2) | instskip(NEXT) | instid1(VALU_DEP_2)
	v_lshrrev_b32_e32 v8, 4, v3
	v_and_or_b32 v9, 0x7f00, v2, 0.5
	v_bfe_i32 v2, v2, 0, 16
	s_delay_alu instid0(VALU_DEP_3) | instskip(NEXT) | instid1(VALU_DEP_1)
	v_or_b32_e32 v8, 0x70000000, v8
	v_dual_add_f32 v9, -0.5, v9 :: v_dual_mul_f32 v8, 0x7800000, v8
	v_cmp_gt_u32_e32 vcc_lo, 0x8000000, v3
	s_delay_alu instid0(VALU_DEP_2) | instskip(NEXT) | instid1(VALU_DEP_1)
	v_cndmask_b32_e32 v3, v8, v9, vcc_lo
	v_and_or_b32 v2, 0x80000000, v2, v3
	s_delay_alu instid0(VALU_DEP_1) | instskip(NEXT) | instid1(VALU_DEP_1)
	v_trunc_f32_e32 v2, v2
	v_mul_f32_e64 v3, 0x2f800000, |v2|
	s_delay_alu instid0(VALU_DEP_1) | instskip(NEXT) | instid1(VALU_DEP_1)
	v_floor_f32_e32 v3, v3
	v_fma_f32 v3, 0xcf800000, v3, |v2|
	v_ashrrev_i32_e32 v2, 31, v2
	s_delay_alu instid0(VALU_DEP_2) | instskip(NEXT) | instid1(VALU_DEP_1)
	v_cvt_u32_f32_e32 v3, v3
	v_xor_b32_e32 v3, v3, v2
	s_delay_alu instid0(VALU_DEP_1)
	v_sub_nc_u32_e32 v2, v3, v2
.LBB280_1383:
	s_mov_b32 s14, 0
	s_mov_b32 s15, -1
.LBB280_1384:
	s_and_not1_b32 vcc_lo, exec_lo, s14
	s_mov_b32 s14, 0
	s_cbranch_vccnz .LBB280_1395
; %bb.1385:
	v_cmp_gt_i16_e64 s14, s10, 14
	s_delay_alu instid0(VALU_DEP_1)
	s_and_b32 vcc_lo, exec_lo, s14
	s_cbranch_vccz .LBB280_1388
; %bb.1386:
	v_cmp_eq_u16_e64 s3, s10, 15
	s_delay_alu instid0(VALU_DEP_1)
	s_and_b32 vcc_lo, exec_lo, s3
	s_cbranch_vccz .LBB280_1391
; %bb.1387:
	global_load_u16 v2, v[4:5], off
	s_mov_b32 s3, 0
	s_mov_b32 s15, -1
	s_waitcnt vmcnt(0)
	v_lshlrev_b32_e32 v2, 16, v2
	s_delay_alu instid0(VALU_DEP_1) | instskip(NEXT) | instid1(VALU_DEP_1)
	v_trunc_f32_e32 v2, v2
	v_mul_f32_e64 v3, 0x2f800000, |v2|
	s_delay_alu instid0(VALU_DEP_1) | instskip(NEXT) | instid1(VALU_DEP_1)
	v_floor_f32_e32 v3, v3
	v_fma_f32 v3, 0xcf800000, v3, |v2|
	v_ashrrev_i32_e32 v2, 31, v2
	s_delay_alu instid0(VALU_DEP_2) | instskip(NEXT) | instid1(VALU_DEP_1)
	v_cvt_u32_f32_e32 v3, v3
	v_xor_b32_e32 v3, v3, v2
	s_delay_alu instid0(VALU_DEP_1)
	v_sub_nc_u32_e32 v2, v3, v2
	s_branch .LBB280_1392
.LBB280_1388:
	s_mov_b32 s14, -1
                                        ; implicit-def: $vgpr2
	s_branch .LBB280_1393
.LBB280_1389:
	s_or_saveexec_b32 s14, s14
	v_mov_b32_e32 v2, s16
	s_xor_b32 exec_lo, exec_lo, s14
	s_cbranch_execz .LBB280_1370
.LBB280_1390:
	v_cmp_ne_u16_e32 vcc_lo, 0, v3
	v_mov_b32_e32 v2, 0
	s_and_not1_b32 s15, s15, exec_lo
	s_and_b32 s16, vcc_lo, exec_lo
	s_delay_alu instid0(SALU_CYCLE_1)
	s_or_b32 s15, s15, s16
	s_or_b32 exec_lo, exec_lo, s14
	s_and_saveexec_b32 s14, s15
	s_cbranch_execnz .LBB280_1371
	s_branch .LBB280_1372
.LBB280_1391:
	s_mov_b32 s3, -1
                                        ; implicit-def: $vgpr2
.LBB280_1392:
	s_mov_b32 s14, 0
.LBB280_1393:
	s_delay_alu instid0(SALU_CYCLE_1)
	s_and_b32 vcc_lo, exec_lo, s14
	s_mov_b32 s14, 0
	s_cbranch_vccz .LBB280_1395
; %bb.1394:
	v_cmp_ne_u16_e64 s3, s10, 11
	s_mov_b32 s14, -1
                                        ; implicit-def: $vgpr2
.LBB280_1395:
	s_delay_alu instid0(VALU_DEP_1)
	s_and_b32 vcc_lo, exec_lo, s3
	s_cbranch_vccnz .LBB280_1411
; %bb.1396:
	s_and_not1_b32 vcc_lo, exec_lo, s14
	s_cbranch_vccnz .LBB280_1398
.LBB280_1397:
	global_load_u8 v2, v[4:5], off
	s_mov_b32 s15, -1
	s_waitcnt vmcnt(0)
	v_cmp_ne_u16_e32 vcc_lo, 0, v2
	v_cndmask_b32_e64 v2, 0, 1, vcc_lo
.LBB280_1398:
.LBB280_1399:
	s_and_not1_b32 vcc_lo, exec_lo, s15
	s_cbranch_vccnz .LBB280_1963
.LBB280_1400:
	s_waitcnt vmcnt(0)
	v_add_nc_u32_e32 v3, s0, v6
	v_cmp_lt_i16_e64 s0, s10, 11
	s_delay_alu instid0(VALU_DEP_2) | instskip(SKIP_1) | instid1(VALU_DEP_2)
	v_ashrrev_i32_e32 v4, 31, v3
	v_add_co_u32 v5, vcc_lo, s6, v3
	v_add_co_ci_u32_e32 v6, vcc_lo, s7, v4, vcc_lo
	s_delay_alu instid0(VALU_DEP_4)
	s_and_b32 vcc_lo, exec_lo, s0
	s_cbranch_vccnz .LBB280_1407
; %bb.1401:
	v_cmp_gt_i16_e64 s0, s10, 25
	s_mov_b32 s3, 0
	s_delay_alu instid0(VALU_DEP_1)
	s_and_b32 vcc_lo, exec_lo, s0
	s_cbranch_vccz .LBB280_1408
; %bb.1402:
	v_cmp_gt_i16_e64 s0, s10, 28
	s_delay_alu instid0(VALU_DEP_1)
	s_and_b32 vcc_lo, exec_lo, s0
	s_cbranch_vccz .LBB280_1409
; %bb.1403:
	v_cmp_gt_i16_e64 s0, s10, 43
	;; [unrolled: 5-line block ×3, first 2 shown]
	s_delay_alu instid0(VALU_DEP_1)
	s_and_b32 vcc_lo, exec_lo, s0
	s_cbranch_vccz .LBB280_1413
; %bb.1405:
	v_cmp_eq_u16_e64 s0, s10, 46
	s_mov_b32 s7, 0
	s_delay_alu instid0(VALU_DEP_1)
	s_and_b32 vcc_lo, exec_lo, s0
	s_cbranch_vccz .LBB280_1416
; %bb.1406:
	global_load_b32 v3, v[5:6], off
	s_mov_b32 s0, 0
	s_mov_b32 s6, -1
	s_waitcnt vmcnt(0)
	v_lshlrev_b32_e32 v3, 16, v3
	s_delay_alu instid0(VALU_DEP_1) | instskip(NEXT) | instid1(VALU_DEP_1)
	v_trunc_f32_e32 v3, v3
	v_mul_f32_e64 v4, 0x2f800000, |v3|
	s_delay_alu instid0(VALU_DEP_1) | instskip(NEXT) | instid1(VALU_DEP_1)
	v_floor_f32_e32 v4, v4
	v_fma_f32 v4, 0xcf800000, v4, |v3|
	v_ashrrev_i32_e32 v3, 31, v3
	s_delay_alu instid0(VALU_DEP_2) | instskip(NEXT) | instid1(VALU_DEP_1)
	v_cvt_u32_f32_e32 v4, v4
	v_xor_b32_e32 v4, v4, v3
	s_delay_alu instid0(VALU_DEP_1)
	v_sub_nc_u32_e32 v3, v4, v3
	s_branch .LBB280_1418
.LBB280_1407:
	s_mov_b32 s0, -1
	s_mov_b32 s6, 0
                                        ; implicit-def: $vgpr3
	s_branch .LBB280_1480
.LBB280_1408:
	s_mov_b32 s7, -1
	s_mov_b32 s6, 0
	s_mov_b32 s0, 0
                                        ; implicit-def: $vgpr3
	s_branch .LBB280_1445
.LBB280_1409:
	s_mov_b32 s7, -1
	s_mov_b32 s6, 0
	s_mov_b32 s0, 0
                                        ; implicit-def: $vgpr3
	s_branch .LBB280_1428
.LBB280_1410:
	s_mov_b32 s7, -1
	s_mov_b32 s6, 0
	s_mov_b32 s0, 0
                                        ; implicit-def: $vgpr3
	s_branch .LBB280_1423
.LBB280_1411:
	s_cbranch_execnz .LBB280_1414
; %bb.1412:
	s_or_b32 s11, s11, exec_lo
                                        ; implicit-def: $vgpr2
	s_cbranch_execz .LBB280_1397
	s_branch .LBB280_1398
.LBB280_1413:
	s_mov_b32 s7, -1
	s_mov_b32 s6, 0
	s_mov_b32 s0, 0
	s_branch .LBB280_1417
.LBB280_1414:
	s_trap 2
	s_sendmsg_rtn_b32 s0, sendmsg(MSG_RTN_GET_DOORBELL)
	s_mov_b32 ttmp2, m0
	s_waitcnt lgkmcnt(0)
	s_and_b32 s0, s0, 0x3ff
	s_delay_alu instid0(SALU_CYCLE_1) | instskip(NEXT) | instid1(SALU_CYCLE_1)
	s_bitset1_b32 s0, 10
	s_mov_b32 m0, s0
	s_sendmsg sendmsg(MSG_INTERRUPT)
	s_mov_b32 m0, ttmp2
.LBB280_1415:                           ; =>This Inner Loop Header: Depth=1
	s_sethalt 5
	s_branch .LBB280_1415
.LBB280_1416:
	s_mov_b32 s0, -1
	s_mov_b32 s6, 0
.LBB280_1417:
                                        ; implicit-def: $vgpr3
.LBB280_1418:
	s_and_b32 vcc_lo, exec_lo, s7
	s_cbranch_vccz .LBB280_1422
; %bb.1419:
	v_cmp_eq_u16_e64 s0, s10, 44
	s_delay_alu instid0(VALU_DEP_1)
	s_and_b32 vcc_lo, exec_lo, s0
	s_cbranch_vccz .LBB280_1421
; %bb.1420:
	global_load_u8 v3, v[5:6], off
	s_mov_b32 s0, 0
	s_mov_b32 s6, -1
	s_waitcnt vmcnt(0)
	v_lshlrev_b32_e32 v4, 23, v3
	v_cmp_ne_u32_e32 vcc_lo, 0, v3
	s_delay_alu instid0(VALU_DEP_2) | instskip(NEXT) | instid1(VALU_DEP_1)
	v_trunc_f32_e32 v4, v4
	v_mul_f32_e64 v8, 0x2f800000, |v4|
	s_delay_alu instid0(VALU_DEP_1) | instskip(NEXT) | instid1(VALU_DEP_1)
	v_floor_f32_e32 v8, v8
	v_fma_f32 v8, 0xcf800000, v8, |v4|
	v_ashrrev_i32_e32 v4, 31, v4
	s_delay_alu instid0(VALU_DEP_2) | instskip(NEXT) | instid1(VALU_DEP_1)
	v_cvt_u32_f32_e32 v8, v8
	v_xor_b32_e32 v8, v8, v4
	s_delay_alu instid0(VALU_DEP_1) | instskip(NEXT) | instid1(VALU_DEP_1)
	v_sub_nc_u32_e32 v4, v8, v4
	v_cndmask_b32_e32 v3, 0, v4, vcc_lo
	s_branch .LBB280_1422
.LBB280_1421:
	s_mov_b32 s0, -1
                                        ; implicit-def: $vgpr3
.LBB280_1422:
	s_mov_b32 s7, 0
.LBB280_1423:
	s_delay_alu instid0(SALU_CYCLE_1)
	s_and_b32 vcc_lo, exec_lo, s7
	s_cbranch_vccz .LBB280_1427
; %bb.1424:
	v_cmp_eq_u16_e64 s0, s10, 29
	s_delay_alu instid0(VALU_DEP_1)
	s_and_b32 vcc_lo, exec_lo, s0
	s_cbranch_vccz .LBB280_1426
; %bb.1425:
	global_load_b64 v[3:4], v[5:6], off
	s_mov_b32 s0, 0
	s_mov_b32 s6, -1
	s_branch .LBB280_1427
.LBB280_1426:
	s_mov_b32 s0, -1
                                        ; implicit-def: $vgpr3
.LBB280_1427:
	s_mov_b32 s7, 0
.LBB280_1428:
	s_delay_alu instid0(SALU_CYCLE_1)
	s_and_b32 vcc_lo, exec_lo, s7
	s_cbranch_vccz .LBB280_1444
; %bb.1429:
	v_cmp_lt_i16_e64 s6, s10, 27
	s_delay_alu instid0(VALU_DEP_1)
	s_and_b32 vcc_lo, exec_lo, s6
	s_cbranch_vccnz .LBB280_1432
; %bb.1430:
	v_cmp_gt_i16_e64 s6, s10, 27
	s_delay_alu instid0(VALU_DEP_1)
	s_and_b32 vcc_lo, exec_lo, s6
	s_cbranch_vccz .LBB280_1433
; %bb.1431:
	global_load_b32 v3, v[5:6], off
	s_mov_b32 s6, 0
	s_branch .LBB280_1434
.LBB280_1432:
	s_mov_b32 s6, -1
                                        ; implicit-def: $vgpr3
	s_branch .LBB280_1437
.LBB280_1433:
	s_mov_b32 s6, -1
                                        ; implicit-def: $vgpr3
.LBB280_1434:
	s_delay_alu instid0(SALU_CYCLE_1)
	s_and_not1_b32 vcc_lo, exec_lo, s6
	s_cbranch_vccnz .LBB280_1436
; %bb.1435:
	global_load_u16 v3, v[5:6], off
.LBB280_1436:
	s_mov_b32 s6, 0
.LBB280_1437:
	s_delay_alu instid0(SALU_CYCLE_1)
	s_and_not1_b32 vcc_lo, exec_lo, s6
	s_cbranch_vccnz .LBB280_1443
; %bb.1438:
	global_load_u8 v4, v[5:6], off
	s_mov_b32 s7, 0
	s_mov_b32 s6, exec_lo
                                        ; implicit-def: $sgpr14
	s_waitcnt vmcnt(0)
	v_cmpx_lt_i16_e32 0x7f, v4
	s_xor_b32 s6, exec_lo, s6
	s_cbranch_execz .LBB280_1455
; %bb.1439:
	v_cmp_ne_u16_e32 vcc_lo, 0x80, v4
	s_mov_b32 s14, 0
	s_and_b32 s7, vcc_lo, exec_lo
	s_or_saveexec_b32 s6, s6
	v_mov_b32_e32 v3, s14
	s_xor_b32 exec_lo, exec_lo, s6
	s_cbranch_execnz .LBB280_1456
.LBB280_1440:
	s_or_b32 exec_lo, exec_lo, s6
	s_and_saveexec_b32 s6, s7
	s_cbranch_execz .LBB280_1442
.LBB280_1441:
	v_and_b32_e32 v3, 0xffff, v4
	v_lshlrev_b32_e32 v4, 24, v4
	s_delay_alu instid0(VALU_DEP_2) | instskip(NEXT) | instid1(VALU_DEP_2)
	v_and_b32_e32 v8, 7, v3
	v_and_b32_e32 v4, 0x80000000, v4
	s_delay_alu instid0(VALU_DEP_2) | instskip(NEXT) | instid1(VALU_DEP_1)
	v_clz_i32_u32_e32 v9, v8
	v_min_u32_e32 v9, 32, v9
	s_delay_alu instid0(VALU_DEP_1) | instskip(SKIP_1) | instid1(VALU_DEP_2)
	v_subrev_nc_u32_e32 v10, 28, v9
	v_sub_nc_u32_e32 v9, 29, v9
	v_lshlrev_b32_e32 v10, v10, v3
	v_bfe_u32 v3, v3, 3, 4
	s_delay_alu instid0(VALU_DEP_2) | instskip(NEXT) | instid1(VALU_DEP_2)
	v_and_b32_e32 v10, 7, v10
	v_cmp_eq_u32_e32 vcc_lo, 0, v3
	s_delay_alu instid0(VALU_DEP_2) | instskip(NEXT) | instid1(VALU_DEP_1)
	v_dual_cndmask_b32 v3, v3, v9 :: v_dual_cndmask_b32 v8, v8, v10
	v_lshl_add_u32 v3, v3, 23, 0x3b800000
	s_delay_alu instid0(VALU_DEP_2) | instskip(NEXT) | instid1(VALU_DEP_1)
	v_lshlrev_b32_e32 v8, 20, v8
	v_or3_b32 v3, v4, v3, v8
	s_delay_alu instid0(VALU_DEP_1) | instskip(NEXT) | instid1(VALU_DEP_1)
	v_trunc_f32_e32 v3, v3
	v_mul_f32_e64 v4, 0x2f800000, |v3|
	s_delay_alu instid0(VALU_DEP_1) | instskip(NEXT) | instid1(VALU_DEP_1)
	v_floor_f32_e32 v4, v4
	v_fma_f32 v4, 0xcf800000, v4, |v3|
	v_ashrrev_i32_e32 v3, 31, v3
	s_delay_alu instid0(VALU_DEP_2) | instskip(NEXT) | instid1(VALU_DEP_1)
	v_cvt_u32_f32_e32 v4, v4
	v_xor_b32_e32 v4, v4, v3
	s_delay_alu instid0(VALU_DEP_1)
	v_sub_nc_u32_e32 v3, v4, v3
.LBB280_1442:
	s_or_b32 exec_lo, exec_lo, s6
.LBB280_1443:
	s_mov_b32 s6, -1
.LBB280_1444:
	s_mov_b32 s7, 0
.LBB280_1445:
	s_delay_alu instid0(SALU_CYCLE_1)
	s_and_b32 vcc_lo, exec_lo, s7
	s_cbranch_vccz .LBB280_1476
; %bb.1446:
	v_cmp_gt_i16_e64 s3, s10, 22
	s_delay_alu instid0(VALU_DEP_1)
	s_and_b32 vcc_lo, exec_lo, s3
	s_cbranch_vccz .LBB280_1454
; %bb.1447:
	v_cmp_lt_i16_e64 s3, s10, 24
	s_delay_alu instid0(VALU_DEP_1)
	s_and_b32 vcc_lo, exec_lo, s3
	s_cbranch_vccnz .LBB280_1457
; %bb.1448:
	v_cmp_gt_i16_e64 s3, s10, 24
	s_delay_alu instid0(VALU_DEP_1)
	s_and_b32 vcc_lo, exec_lo, s3
	s_cbranch_vccz .LBB280_1458
; %bb.1449:
	global_load_u8 v4, v[5:6], off
	s_mov_b32 s6, 0
	s_mov_b32 s3, exec_lo
                                        ; implicit-def: $sgpr7
	s_waitcnt vmcnt(0)
	v_cmpx_lt_i16_e32 0x7f, v4
	s_xor_b32 s3, exec_lo, s3
	s_cbranch_execz .LBB280_1470
; %bb.1450:
	v_cmp_ne_u16_e32 vcc_lo, 0x80, v4
	s_mov_b32 s7, 0
	s_and_b32 s6, vcc_lo, exec_lo
	s_or_saveexec_b32 s3, s3
	v_mov_b32_e32 v3, s7
	s_xor_b32 exec_lo, exec_lo, s3
	s_cbranch_execnz .LBB280_1471
.LBB280_1451:
	s_or_b32 exec_lo, exec_lo, s3
	s_and_saveexec_b32 s3, s6
	s_cbranch_execz .LBB280_1453
.LBB280_1452:
	v_and_b32_e32 v3, 0xffff, v4
	v_lshlrev_b32_e32 v4, 24, v4
	s_delay_alu instid0(VALU_DEP_2) | instskip(NEXT) | instid1(VALU_DEP_2)
	v_and_b32_e32 v8, 3, v3
	v_and_b32_e32 v4, 0x80000000, v4
	s_delay_alu instid0(VALU_DEP_2) | instskip(NEXT) | instid1(VALU_DEP_1)
	v_clz_i32_u32_e32 v9, v8
	v_min_u32_e32 v9, 32, v9
	s_delay_alu instid0(VALU_DEP_1) | instskip(SKIP_1) | instid1(VALU_DEP_2)
	v_subrev_nc_u32_e32 v10, 29, v9
	v_sub_nc_u32_e32 v9, 30, v9
	v_lshlrev_b32_e32 v10, v10, v3
	v_bfe_u32 v3, v3, 2, 5
	s_delay_alu instid0(VALU_DEP_2) | instskip(NEXT) | instid1(VALU_DEP_2)
	v_and_b32_e32 v10, 3, v10
	v_cmp_eq_u32_e32 vcc_lo, 0, v3
	s_delay_alu instid0(VALU_DEP_2) | instskip(NEXT) | instid1(VALU_DEP_1)
	v_dual_cndmask_b32 v3, v3, v9 :: v_dual_cndmask_b32 v8, v8, v10
	v_lshl_add_u32 v3, v3, 23, 0x37800000
	s_delay_alu instid0(VALU_DEP_2) | instskip(NEXT) | instid1(VALU_DEP_1)
	v_lshlrev_b32_e32 v8, 21, v8
	v_or3_b32 v3, v4, v3, v8
	s_delay_alu instid0(VALU_DEP_1) | instskip(NEXT) | instid1(VALU_DEP_1)
	v_trunc_f32_e32 v3, v3
	v_mul_f32_e64 v4, 0x2f800000, |v3|
	s_delay_alu instid0(VALU_DEP_1) | instskip(NEXT) | instid1(VALU_DEP_1)
	v_floor_f32_e32 v4, v4
	v_fma_f32 v4, 0xcf800000, v4, |v3|
	v_ashrrev_i32_e32 v3, 31, v3
	s_delay_alu instid0(VALU_DEP_2) | instskip(NEXT) | instid1(VALU_DEP_1)
	v_cvt_u32_f32_e32 v4, v4
	v_xor_b32_e32 v4, v4, v3
	s_delay_alu instid0(VALU_DEP_1)
	v_sub_nc_u32_e32 v3, v4, v3
.LBB280_1453:
	s_or_b32 exec_lo, exec_lo, s3
	s_mov_b32 s3, 0
	s_branch .LBB280_1459
.LBB280_1454:
	s_mov_b32 s3, -1
                                        ; implicit-def: $vgpr3
	s_branch .LBB280_1465
.LBB280_1455:
	s_or_saveexec_b32 s6, s6
	v_mov_b32_e32 v3, s14
	s_xor_b32 exec_lo, exec_lo, s6
	s_cbranch_execz .LBB280_1440
.LBB280_1456:
	v_cmp_ne_u16_e32 vcc_lo, 0, v4
	v_mov_b32_e32 v3, 0
	s_and_not1_b32 s7, s7, exec_lo
	s_and_b32 s14, vcc_lo, exec_lo
	s_delay_alu instid0(SALU_CYCLE_1)
	s_or_b32 s7, s7, s14
	s_or_b32 exec_lo, exec_lo, s6
	s_and_saveexec_b32 s6, s7
	s_cbranch_execnz .LBB280_1441
	s_branch .LBB280_1442
.LBB280_1457:
	s_mov_b32 s3, -1
                                        ; implicit-def: $vgpr3
	s_branch .LBB280_1462
.LBB280_1458:
	s_mov_b32 s3, -1
                                        ; implicit-def: $vgpr3
.LBB280_1459:
	s_delay_alu instid0(SALU_CYCLE_1)
	s_and_b32 vcc_lo, exec_lo, s3
	s_cbranch_vccz .LBB280_1461
; %bb.1460:
	global_load_u8 v3, v[5:6], off
	s_waitcnt vmcnt(0)
	v_lshlrev_b32_e32 v3, 24, v3
	s_delay_alu instid0(VALU_DEP_1) | instskip(NEXT) | instid1(VALU_DEP_1)
	v_and_b32_e32 v4, 0x7f000000, v3
	v_clz_i32_u32_e32 v8, v4
	v_add_nc_u32_e32 v10, 0x1000000, v4
	v_cmp_ne_u32_e32 vcc_lo, 0, v4
	s_delay_alu instid0(VALU_DEP_3) | instskip(NEXT) | instid1(VALU_DEP_1)
	v_min_u32_e32 v8, 32, v8
	v_sub_nc_u32_e64 v8, v8, 4 clamp
	s_delay_alu instid0(VALU_DEP_1) | instskip(SKIP_1) | instid1(VALU_DEP_2)
	v_lshlrev_b32_e32 v9, v8, v4
	v_lshlrev_b32_e32 v8, 23, v8
	v_lshrrev_b32_e32 v9, 4, v9
	s_delay_alu instid0(VALU_DEP_1) | instskip(SKIP_1) | instid1(VALU_DEP_2)
	v_sub_nc_u32_e32 v8, v9, v8
	v_ashrrev_i32_e32 v9, 8, v10
	v_add_nc_u32_e32 v8, 0x3c000000, v8
	s_delay_alu instid0(VALU_DEP_1) | instskip(NEXT) | instid1(VALU_DEP_1)
	v_and_or_b32 v8, 0x7f800000, v9, v8
	v_cndmask_b32_e32 v4, 0, v8, vcc_lo
	s_delay_alu instid0(VALU_DEP_1) | instskip(NEXT) | instid1(VALU_DEP_1)
	v_and_or_b32 v3, 0x80000000, v3, v4
	v_trunc_f32_e32 v3, v3
	s_delay_alu instid0(VALU_DEP_1) | instskip(NEXT) | instid1(VALU_DEP_1)
	v_mul_f32_e64 v4, 0x2f800000, |v3|
	v_floor_f32_e32 v4, v4
	s_delay_alu instid0(VALU_DEP_1) | instskip(SKIP_1) | instid1(VALU_DEP_2)
	v_fma_f32 v4, 0xcf800000, v4, |v3|
	v_ashrrev_i32_e32 v3, 31, v3
	v_cvt_u32_f32_e32 v4, v4
	s_delay_alu instid0(VALU_DEP_1) | instskip(NEXT) | instid1(VALU_DEP_1)
	v_xor_b32_e32 v4, v4, v3
	v_sub_nc_u32_e32 v3, v4, v3
.LBB280_1461:
	s_mov_b32 s3, 0
.LBB280_1462:
	s_delay_alu instid0(SALU_CYCLE_1)
	s_and_not1_b32 vcc_lo, exec_lo, s3
	s_cbranch_vccnz .LBB280_1464
; %bb.1463:
	global_load_u8 v3, v[5:6], off
	s_waitcnt vmcnt(0)
	v_lshlrev_b32_e32 v4, 25, v3
	v_lshlrev_b16 v3, 8, v3
	s_delay_alu instid0(VALU_DEP_1) | instskip(SKIP_1) | instid1(VALU_DEP_2)
	v_and_or_b32 v9, 0x7f00, v3, 0.5
	v_bfe_i32 v3, v3, 0, 16
	v_add_f32_e32 v9, -0.5, v9
	v_lshrrev_b32_e32 v8, 4, v4
	v_cmp_gt_u32_e32 vcc_lo, 0x8000000, v4
	s_delay_alu instid0(VALU_DEP_2) | instskip(NEXT) | instid1(VALU_DEP_1)
	v_or_b32_e32 v8, 0x70000000, v8
	v_mul_f32_e32 v8, 0x7800000, v8
	s_delay_alu instid0(VALU_DEP_1) | instskip(NEXT) | instid1(VALU_DEP_1)
	v_cndmask_b32_e32 v4, v8, v9, vcc_lo
	v_and_or_b32 v3, 0x80000000, v3, v4
	s_delay_alu instid0(VALU_DEP_1) | instskip(NEXT) | instid1(VALU_DEP_1)
	v_trunc_f32_e32 v3, v3
	v_mul_f32_e64 v4, 0x2f800000, |v3|
	s_delay_alu instid0(VALU_DEP_1) | instskip(NEXT) | instid1(VALU_DEP_1)
	v_floor_f32_e32 v4, v4
	v_fma_f32 v4, 0xcf800000, v4, |v3|
	v_ashrrev_i32_e32 v3, 31, v3
	s_delay_alu instid0(VALU_DEP_2) | instskip(NEXT) | instid1(VALU_DEP_1)
	v_cvt_u32_f32_e32 v4, v4
	v_xor_b32_e32 v4, v4, v3
	s_delay_alu instid0(VALU_DEP_1)
	v_sub_nc_u32_e32 v3, v4, v3
.LBB280_1464:
	s_mov_b32 s3, 0
	s_mov_b32 s6, -1
.LBB280_1465:
	s_and_not1_b32 vcc_lo, exec_lo, s3
	s_mov_b32 s3, 0
	s_cbranch_vccnz .LBB280_1476
; %bb.1466:
	v_cmp_gt_i16_e64 s3, s10, 14
	s_delay_alu instid0(VALU_DEP_1)
	s_and_b32 vcc_lo, exec_lo, s3
	s_cbranch_vccz .LBB280_1469
; %bb.1467:
	v_cmp_eq_u16_e64 s0, s10, 15
	s_delay_alu instid0(VALU_DEP_1)
	s_and_b32 vcc_lo, exec_lo, s0
	s_cbranch_vccz .LBB280_1472
; %bb.1468:
	global_load_u16 v3, v[5:6], off
	s_mov_b32 s0, 0
	s_mov_b32 s6, -1
	s_waitcnt vmcnt(0)
	v_lshlrev_b32_e32 v3, 16, v3
	s_delay_alu instid0(VALU_DEP_1) | instskip(NEXT) | instid1(VALU_DEP_1)
	v_trunc_f32_e32 v3, v3
	v_mul_f32_e64 v4, 0x2f800000, |v3|
	s_delay_alu instid0(VALU_DEP_1) | instskip(NEXT) | instid1(VALU_DEP_1)
	v_floor_f32_e32 v4, v4
	v_fma_f32 v4, 0xcf800000, v4, |v3|
	v_ashrrev_i32_e32 v3, 31, v3
	s_delay_alu instid0(VALU_DEP_2) | instskip(NEXT) | instid1(VALU_DEP_1)
	v_cvt_u32_f32_e32 v4, v4
	v_xor_b32_e32 v4, v4, v3
	s_delay_alu instid0(VALU_DEP_1)
	v_sub_nc_u32_e32 v3, v4, v3
	s_branch .LBB280_1473
.LBB280_1469:
	s_mov_b32 s3, -1
                                        ; implicit-def: $vgpr3
	s_branch .LBB280_1474
.LBB280_1470:
	s_or_saveexec_b32 s3, s3
	v_mov_b32_e32 v3, s7
	s_xor_b32 exec_lo, exec_lo, s3
	s_cbranch_execz .LBB280_1451
.LBB280_1471:
	v_cmp_ne_u16_e32 vcc_lo, 0, v4
	v_mov_b32_e32 v3, 0
	s_and_not1_b32 s6, s6, exec_lo
	s_and_b32 s7, vcc_lo, exec_lo
	s_delay_alu instid0(SALU_CYCLE_1)
	s_or_b32 s6, s6, s7
	s_or_b32 exec_lo, exec_lo, s3
	s_and_saveexec_b32 s3, s6
	s_cbranch_execnz .LBB280_1452
	s_branch .LBB280_1453
.LBB280_1472:
	s_mov_b32 s0, -1
                                        ; implicit-def: $vgpr3
.LBB280_1473:
	s_mov_b32 s3, 0
.LBB280_1474:
	s_delay_alu instid0(SALU_CYCLE_1)
	s_and_b32 vcc_lo, exec_lo, s3
	s_mov_b32 s3, 0
	s_cbranch_vccz .LBB280_1476
; %bb.1475:
	v_cmp_ne_u16_e64 s0, s10, 11
	s_mov_b32 s3, -1
                                        ; implicit-def: $vgpr3
.LBB280_1476:
	s_delay_alu instid0(VALU_DEP_1)
	s_and_b32 vcc_lo, exec_lo, s0
	s_cbranch_vccnz .LBB280_2009
; %bb.1477:
	s_and_not1_b32 vcc_lo, exec_lo, s3
	s_cbranch_vccnz .LBB280_1479
.LBB280_1478:
	global_load_u8 v3, v[5:6], off
	s_mov_b32 s6, -1
	s_waitcnt vmcnt(0)
	v_cmp_ne_u16_e32 vcc_lo, 0, v3
	v_cndmask_b32_e64 v3, 0, 1, vcc_lo
.LBB280_1479:
	s_mov_b32 s0, 0
.LBB280_1480:
	s_delay_alu instid0(SALU_CYCLE_1)
	s_and_b32 vcc_lo, exec_lo, s0
	s_cbranch_vccz .LBB280_1529
; %bb.1481:
	v_cmp_lt_i16_e64 s0, s10, 5
	s_delay_alu instid0(VALU_DEP_1)
	s_and_b32 vcc_lo, exec_lo, s0
	s_cbranch_vccnz .LBB280_1486
; %bb.1482:
	v_cmp_lt_i16_e64 s0, s10, 8
	s_delay_alu instid0(VALU_DEP_1)
	s_and_b32 vcc_lo, exec_lo, s0
	s_cbranch_vccnz .LBB280_1487
	;; [unrolled: 5-line block ×3, first 2 shown]
; %bb.1484:
	v_cmp_gt_i16_e64 s0, s10, 9
	s_delay_alu instid0(VALU_DEP_1)
	s_and_b32 vcc_lo, exec_lo, s0
	s_cbranch_vccz .LBB280_1489
; %bb.1485:
	global_load_b64 v[3:4], v[5:6], off
	s_mov_b32 s0, 0
	s_waitcnt vmcnt(0)
	v_trunc_f64_e32 v[3:4], v[3:4]
	s_delay_alu instid0(VALU_DEP_1) | instskip(NEXT) | instid1(VALU_DEP_1)
	v_ldexp_f64 v[8:9], v[3:4], 0xffffffe0
	v_floor_f64_e32 v[8:9], v[8:9]
	s_delay_alu instid0(VALU_DEP_1) | instskip(NEXT) | instid1(VALU_DEP_1)
	v_fma_f64 v[3:4], 0xc1f00000, v[8:9], v[3:4]
	v_cvt_u32_f64_e32 v3, v[3:4]
	s_branch .LBB280_1490
.LBB280_1486:
	s_mov_b32 s0, -1
                                        ; implicit-def: $vgpr3
	s_branch .LBB280_1508
.LBB280_1487:
	s_mov_b32 s0, -1
                                        ; implicit-def: $vgpr3
	s_branch .LBB280_1496
.LBB280_1488:
	s_mov_b32 s0, -1
                                        ; implicit-def: $vgpr3
	s_branch .LBB280_1493
.LBB280_1489:
	s_mov_b32 s0, -1
                                        ; implicit-def: $vgpr3
.LBB280_1490:
	s_delay_alu instid0(SALU_CYCLE_1)
	s_and_not1_b32 vcc_lo, exec_lo, s0
	s_cbranch_vccnz .LBB280_1492
; %bb.1491:
	global_load_b32 v3, v[5:6], off
	s_waitcnt vmcnt(0)
	v_trunc_f32_e32 v3, v3
	s_delay_alu instid0(VALU_DEP_1) | instskip(NEXT) | instid1(VALU_DEP_1)
	v_mul_f32_e64 v4, 0x2f800000, |v3|
	v_floor_f32_e32 v4, v4
	s_delay_alu instid0(VALU_DEP_1) | instskip(SKIP_1) | instid1(VALU_DEP_2)
	v_fma_f32 v4, 0xcf800000, v4, |v3|
	v_ashrrev_i32_e32 v3, 31, v3
	v_cvt_u32_f32_e32 v4, v4
	s_delay_alu instid0(VALU_DEP_1) | instskip(NEXT) | instid1(VALU_DEP_1)
	v_xor_b32_e32 v4, v4, v3
	v_sub_nc_u32_e32 v3, v4, v3
.LBB280_1492:
	s_mov_b32 s0, 0
.LBB280_1493:
	s_delay_alu instid0(SALU_CYCLE_1)
	s_and_not1_b32 vcc_lo, exec_lo, s0
	s_cbranch_vccnz .LBB280_1495
; %bb.1494:
	global_load_b32 v3, v[5:6], off
	s_waitcnt vmcnt(0)
	v_cvt_f32_f16_e32 v3, v3
	s_delay_alu instid0(VALU_DEP_1)
	v_cvt_i32_f32_e32 v3, v3
.LBB280_1495:
	s_mov_b32 s0, 0
.LBB280_1496:
	s_delay_alu instid0(SALU_CYCLE_1)
	s_and_not1_b32 vcc_lo, exec_lo, s0
	s_cbranch_vccnz .LBB280_1507
; %bb.1497:
	v_cmp_lt_i16_e64 s0, s10, 6
	s_delay_alu instid0(VALU_DEP_1)
	s_and_b32 vcc_lo, exec_lo, s0
	s_cbranch_vccnz .LBB280_1500
; %bb.1498:
	v_cmp_gt_i16_e64 s0, s10, 6
	s_delay_alu instid0(VALU_DEP_1)
	s_and_b32 vcc_lo, exec_lo, s0
	s_cbranch_vccz .LBB280_1501
; %bb.1499:
	global_load_b64 v[3:4], v[5:6], off
	s_mov_b32 s0, 0
	s_waitcnt vmcnt(0)
	v_trunc_f64_e32 v[3:4], v[3:4]
	s_delay_alu instid0(VALU_DEP_1) | instskip(NEXT) | instid1(VALU_DEP_1)
	v_ldexp_f64 v[8:9], v[3:4], 0xffffffe0
	v_floor_f64_e32 v[8:9], v[8:9]
	s_delay_alu instid0(VALU_DEP_1) | instskip(NEXT) | instid1(VALU_DEP_1)
	v_fma_f64 v[3:4], 0xc1f00000, v[8:9], v[3:4]
	v_cvt_u32_f64_e32 v3, v[3:4]
	s_branch .LBB280_1502
.LBB280_1500:
	s_mov_b32 s0, -1
                                        ; implicit-def: $vgpr3
	s_branch .LBB280_1505
.LBB280_1501:
	s_mov_b32 s0, -1
                                        ; implicit-def: $vgpr3
.LBB280_1502:
	s_delay_alu instid0(SALU_CYCLE_1)
	s_and_not1_b32 vcc_lo, exec_lo, s0
	s_cbranch_vccnz .LBB280_1504
; %bb.1503:
	global_load_b32 v3, v[5:6], off
	s_waitcnt vmcnt(0)
	v_trunc_f32_e32 v3, v3
	s_delay_alu instid0(VALU_DEP_1) | instskip(NEXT) | instid1(VALU_DEP_1)
	v_mul_f32_e64 v4, 0x2f800000, |v3|
	v_floor_f32_e32 v4, v4
	s_delay_alu instid0(VALU_DEP_1) | instskip(SKIP_1) | instid1(VALU_DEP_2)
	v_fma_f32 v4, 0xcf800000, v4, |v3|
	v_ashrrev_i32_e32 v3, 31, v3
	v_cvt_u32_f32_e32 v4, v4
	s_delay_alu instid0(VALU_DEP_1) | instskip(NEXT) | instid1(VALU_DEP_1)
	v_xor_b32_e32 v4, v4, v3
	v_sub_nc_u32_e32 v3, v4, v3
.LBB280_1504:
	s_mov_b32 s0, 0
.LBB280_1505:
	s_delay_alu instid0(SALU_CYCLE_1)
	s_and_not1_b32 vcc_lo, exec_lo, s0
	s_cbranch_vccnz .LBB280_1507
; %bb.1506:
	global_load_u16 v3, v[5:6], off
	s_waitcnt vmcnt(0)
	v_cvt_f32_f16_e32 v3, v3
	s_delay_alu instid0(VALU_DEP_1)
	v_cvt_i32_f32_e32 v3, v3
.LBB280_1507:
	s_mov_b32 s0, 0
.LBB280_1508:
	s_delay_alu instid0(SALU_CYCLE_1)
	s_and_not1_b32 vcc_lo, exec_lo, s0
	s_cbranch_vccnz .LBB280_1528
; %bb.1509:
	v_cmp_lt_i16_e64 s0, s10, 2
	s_delay_alu instid0(VALU_DEP_1)
	s_and_b32 vcc_lo, exec_lo, s0
	s_cbranch_vccnz .LBB280_1513
; %bb.1510:
	v_cmp_lt_i16_e64 s0, s10, 3
	s_delay_alu instid0(VALU_DEP_1)
	s_and_b32 vcc_lo, exec_lo, s0
	s_cbranch_vccnz .LBB280_1514
; %bb.1511:
	v_cmp_gt_i16_e64 s0, s10, 3
	s_delay_alu instid0(VALU_DEP_1)
	s_and_b32 vcc_lo, exec_lo, s0
	s_cbranch_vccz .LBB280_1515
; %bb.1512:
	global_load_b64 v[3:4], v[5:6], off
	s_mov_b32 s0, 0
	s_branch .LBB280_1516
.LBB280_1513:
	s_mov_b32 s0, -1
                                        ; implicit-def: $vgpr3
	s_branch .LBB280_1522
.LBB280_1514:
	s_mov_b32 s0, -1
                                        ; implicit-def: $vgpr3
	s_branch .LBB280_1519
.LBB280_1515:
	s_mov_b32 s0, -1
                                        ; implicit-def: $vgpr3
.LBB280_1516:
	s_delay_alu instid0(SALU_CYCLE_1)
	s_and_not1_b32 vcc_lo, exec_lo, s0
	s_cbranch_vccnz .LBB280_1518
; %bb.1517:
	global_load_b32 v3, v[5:6], off
.LBB280_1518:
	s_mov_b32 s0, 0
.LBB280_1519:
	s_delay_alu instid0(SALU_CYCLE_1)
	s_and_not1_b32 vcc_lo, exec_lo, s0
	s_cbranch_vccnz .LBB280_1521
; %bb.1520:
	global_load_u16 v3, v[5:6], off
.LBB280_1521:
	s_mov_b32 s0, 0
.LBB280_1522:
	s_delay_alu instid0(SALU_CYCLE_1)
	s_and_not1_b32 vcc_lo, exec_lo, s0
	s_cbranch_vccnz .LBB280_1528
; %bb.1523:
	v_cmp_gt_i16_e64 s0, s10, 0
	s_delay_alu instid0(VALU_DEP_1)
	s_and_b32 vcc_lo, exec_lo, s0
	s_mov_b32 s0, 0
	s_cbranch_vccz .LBB280_1525
; %bb.1524:
	global_load_u8 v3, v[5:6], off
	s_branch .LBB280_1526
.LBB280_1525:
	s_mov_b32 s0, -1
                                        ; implicit-def: $vgpr3
.LBB280_1526:
	s_delay_alu instid0(SALU_CYCLE_1)
	s_and_not1_b32 vcc_lo, exec_lo, s0
	s_cbranch_vccnz .LBB280_1528
; %bb.1527:
	global_load_u8 v3, v[5:6], off
.LBB280_1528:
	s_mov_b32 s6, -1
.LBB280_1529:
	s_delay_alu instid0(SALU_CYCLE_1)
	s_and_not1_b32 vcc_lo, exec_lo, s6
	s_cbranch_vccnz .LBB280_1963
; %bb.1530:
	s_waitcnt vmcnt(0)
	v_and_b32_e32 v4, 0xff, v0
	v_mul_lo_u32 v0, s2, v7
	v_and_b32_e64 v8, 0xff, s8
	v_and_b32_e64 v6, 0xff, s1
	;; [unrolled: 1-line block ×3, first 2 shown]
	s_delay_alu instid0(VALU_DEP_3) | instskip(NEXT) | instid1(VALU_DEP_3)
	v_max_u16 v4, v4, v8
	v_cmp_gt_i16_e32 vcc_lo, 11, v6
	v_ashrrev_i32_e32 v5, 31, v0
	s_delay_alu instid0(VALU_DEP_3) | instskip(SKIP_1) | instid1(VALU_DEP_1)
	v_min_u16 v9, v4, v7
	v_add_co_u32 v4, s0, s4, v0
	v_add_co_ci_u32_e64 v5, s0, s5, v5, s0
	s_cbranch_vccnz .LBB280_1608
; %bb.1531:
	v_cmp_lt_i16_e32 vcc_lo, 25, v6
	s_mov_b32 s6, -1
	s_mov_b32 s1, 0
	s_mov_b32 s3, 0
	;; [unrolled: 1-line block ×3, first 2 shown]
	s_cbranch_vccz .LBB280_1564
; %bb.1532:
	v_cmp_lt_i16_e32 vcc_lo, 28, v6
	s_cbranch_vccz .LBB280_1547
; %bb.1533:
	v_cmp_lt_i16_e32 vcc_lo, 43, v6
	;; [unrolled: 3-line block ×3, first 2 shown]
	s_cbranch_vccz .LBB280_1537
; %bb.1535:
	v_cmp_eq_u16_e32 vcc_lo, 46, v6
	s_mov_b32 s0, -1
	s_mov_b32 s6, 0
	s_cbranch_vccz .LBB280_1537
; %bb.1536:
	v_cvt_f32_ubyte0_e32 v10, v9
	s_mov_b32 s0, 0
	s_mov_b32 s3, -1
	s_delay_alu instid0(VALU_DEP_1) | instskip(NEXT) | instid1(VALU_DEP_1)
	v_bfe_u32 v11, v10, 16, 1
	v_add3_u32 v10, v10, v11, 0x7fff
	s_delay_alu instid0(VALU_DEP_1)
	v_lshrrev_b32_e32 v10, 16, v10
	global_store_b32 v[4:5], v10, off
.LBB280_1537:
	s_and_b32 vcc_lo, exec_lo, s6
	s_cbranch_vccz .LBB280_1542
; %bb.1538:
	v_cmp_eq_u16_e32 vcc_lo, 44, v6
	s_mov_b32 s0, -1
	s_cbranch_vccz .LBB280_1542
; %bb.1539:
	v_cvt_f32_ubyte0_e32 v12, v9
	v_mov_b32_e32 v11, 0xff
	s_mov_b32 s3, exec_lo
	s_delay_alu instid0(VALU_DEP_2) | instskip(NEXT) | instid1(VALU_DEP_1)
	v_lshrrev_b32_e32 v10, 23, v12
	v_cmpx_ne_u32_e32 0xff, v10
; %bb.1540:
	v_and_b32_e32 v11, 0x400000, v12
	v_and_or_b32 v12, 0x3fffff, v12, v10
	s_delay_alu instid0(VALU_DEP_2) | instskip(NEXT) | instid1(VALU_DEP_2)
	v_cmp_ne_u32_e32 vcc_lo, 0, v11
	v_cmp_ne_u32_e64 s0, 0, v12
	s_delay_alu instid0(VALU_DEP_1) | instskip(NEXT) | instid1(SALU_CYCLE_1)
	s_and_b32 s0, vcc_lo, s0
	v_cndmask_b32_e64 v11, 0, 1, s0
	s_delay_alu instid0(VALU_DEP_1)
	v_add_nc_u32_e32 v11, v10, v11
; %bb.1541:
	s_or_b32 exec_lo, exec_lo, s3
	s_mov_b32 s0, 0
	s_mov_b32 s3, -1
	global_store_b8 v[4:5], v11, off
.LBB280_1542:
	s_mov_b32 s6, 0
.LBB280_1543:
	s_delay_alu instid0(SALU_CYCLE_1)
	s_and_b32 vcc_lo, exec_lo, s6
	s_cbranch_vccz .LBB280_1546
; %bb.1544:
	v_cmp_eq_u16_e32 vcc_lo, 29, v6
	s_mov_b32 s0, -1
	s_cbranch_vccz .LBB280_1546
; %bb.1545:
	s_mov_b32 s0, 0
	s_delay_alu instid0(SALU_CYCLE_1)
	v_dual_mov_b32 v11, s0 :: v_dual_and_b32 v10, 0xffff, v9
	s_mov_b32 s3, -1
	global_store_b64 v[4:5], v[10:11], off
.LBB280_1546:
	s_mov_b32 s6, 0
.LBB280_1547:
	s_delay_alu instid0(SALU_CYCLE_1)
	s_and_b32 vcc_lo, exec_lo, s6
	s_cbranch_vccz .LBB280_1563
; %bb.1548:
	v_cmp_gt_i16_e32 vcc_lo, 27, v6
	s_mov_b32 s3, -1
	s_cbranch_vccnz .LBB280_1554
; %bb.1549:
	v_cmp_lt_i16_e32 vcc_lo, 27, v6
	s_cbranch_vccz .LBB280_1551
; %bb.1550:
	v_and_b32_e32 v10, 0xffff, v9
	s_mov_b32 s3, 0
	global_store_b32 v[4:5], v10, off
.LBB280_1551:
	s_and_not1_b32 vcc_lo, exec_lo, s3
	s_cbranch_vccnz .LBB280_1553
; %bb.1552:
	global_store_b16 v[4:5], v9, off
.LBB280_1553:
	s_mov_b32 s3, 0
.LBB280_1554:
	s_delay_alu instid0(SALU_CYCLE_1)
	s_and_not1_b32 vcc_lo, exec_lo, s3
	s_cbranch_vccnz .LBB280_1562
; %bb.1555:
	v_cvt_f32_ubyte0_e32 v11, v9
	v_mov_b32_e32 v12, 0x80
	s_mov_b32 s3, exec_lo
	s_delay_alu instid0(VALU_DEP_2)
	v_cmpx_gt_u32_e32 0x43800000, v11
	s_cbranch_execz .LBB280_1561
; %bb.1556:
	s_mov_b32 s6, 0
	s_mov_b32 s7, exec_lo
                                        ; implicit-def: $vgpr10
	v_cmpx_lt_u32_e32 0x3bffffff, v11
	s_xor_b32 s7, exec_lo, s7
	s_cbranch_execz .LBB280_2011
; %bb.1557:
	v_bfe_u32 v10, v11, 20, 1
	s_mov_b32 s6, exec_lo
	s_delay_alu instid0(VALU_DEP_1) | instskip(NEXT) | instid1(VALU_DEP_1)
	v_add3_u32 v10, v11, v10, 0x487ffff
                                        ; implicit-def: $vgpr11
	v_lshrrev_b32_e32 v10, 20, v10
	s_or_saveexec_b32 s7, s7
                                        ; implicit-def: $sgpr8
	s_delay_alu instid0(SALU_CYCLE_1)
	s_xor_b32 exec_lo, exec_lo, s7
	s_cbranch_execnz .LBB280_2012
.LBB280_1558:
	s_or_b32 exec_lo, exec_lo, s7
	v_mov_b32_e32 v12, s8
	s_and_saveexec_b32 s7, s6
.LBB280_1559:
	v_mov_b32_e32 v12, v10
.LBB280_1560:
	s_or_b32 exec_lo, exec_lo, s7
.LBB280_1561:
	s_delay_alu instid0(SALU_CYCLE_1)
	s_or_b32 exec_lo, exec_lo, s3
	global_store_b8 v[4:5], v12, off
.LBB280_1562:
	s_mov_b32 s3, -1
.LBB280_1563:
	s_mov_b32 s6, 0
.LBB280_1564:
	s_delay_alu instid0(SALU_CYCLE_1)
	s_and_b32 vcc_lo, exec_lo, s6
	s_cbranch_vccz .LBB280_1604
; %bb.1565:
	v_cmp_lt_i16_e32 vcc_lo, 22, v6
	s_mov_b32 s1, -1
	s_cbranch_vccz .LBB280_1597
; %bb.1566:
	v_cmp_gt_i16_e32 vcc_lo, 24, v6
	s_cbranch_vccnz .LBB280_1586
; %bb.1567:
	v_cmp_lt_i16_e32 vcc_lo, 24, v6
	s_cbranch_vccz .LBB280_1575
; %bb.1568:
	v_cvt_f32_ubyte0_e32 v11, v9
	v_mov_b32_e32 v12, 0x80
	s_mov_b32 s1, exec_lo
	s_delay_alu instid0(VALU_DEP_2)
	v_cmpx_gt_u32_e32 0x47800000, v11
	s_cbranch_execz .LBB280_1574
; %bb.1569:
	s_mov_b32 s3, 0
	s_mov_b32 s6, exec_lo
                                        ; implicit-def: $vgpr10
	v_cmpx_lt_u32_e32 0x37ffffff, v11
	s_xor_b32 s6, exec_lo, s6
	s_cbranch_execz .LBB280_2017
; %bb.1570:
	v_bfe_u32 v10, v11, 21, 1
	s_mov_b32 s3, exec_lo
	s_delay_alu instid0(VALU_DEP_1) | instskip(NEXT) | instid1(VALU_DEP_1)
	v_add3_u32 v10, v11, v10, 0x88fffff
                                        ; implicit-def: $vgpr11
	v_lshrrev_b32_e32 v10, 21, v10
	s_or_saveexec_b32 s6, s6
                                        ; implicit-def: $sgpr7
	s_delay_alu instid0(SALU_CYCLE_1)
	s_xor_b32 exec_lo, exec_lo, s6
	s_cbranch_execnz .LBB280_2018
.LBB280_1571:
	s_or_b32 exec_lo, exec_lo, s6
	v_mov_b32_e32 v12, s7
	s_and_saveexec_b32 s6, s3
.LBB280_1572:
	v_mov_b32_e32 v12, v10
.LBB280_1573:
	s_or_b32 exec_lo, exec_lo, s6
.LBB280_1574:
	s_delay_alu instid0(SALU_CYCLE_1)
	s_or_b32 exec_lo, exec_lo, s1
	s_mov_b32 s1, 0
	global_store_b8 v[4:5], v12, off
.LBB280_1575:
	s_and_b32 vcc_lo, exec_lo, s1
	s_cbranch_vccz .LBB280_1585
; %bb.1576:
	v_cvt_f32_ubyte0_e32 v11, v9
	s_mov_b32 s1, exec_lo
                                        ; implicit-def: $vgpr10
	s_delay_alu instid0(VALU_DEP_1)
	v_cmpx_gt_u32_e32 0x43f00000, v11
	s_xor_b32 s1, exec_lo, s1
	s_cbranch_execz .LBB280_1582
; %bb.1577:
	s_mov_b32 s3, exec_lo
                                        ; implicit-def: $vgpr10
	v_cmpx_lt_u32_e32 0x3c7fffff, v11
	s_xor_b32 s3, exec_lo, s3
; %bb.1578:
	v_bfe_u32 v10, v11, 20, 1
	s_delay_alu instid0(VALU_DEP_1) | instskip(NEXT) | instid1(VALU_DEP_1)
	v_add3_u32 v10, v11, v10, 0x407ffff
	v_and_b32_e32 v11, 0xff00000, v10
	v_lshrrev_b32_e32 v10, 20, v10
	s_delay_alu instid0(VALU_DEP_2) | instskip(NEXT) | instid1(VALU_DEP_2)
	v_cmp_ne_u32_e32 vcc_lo, 0x7f00000, v11
                                        ; implicit-def: $vgpr11
	v_cndmask_b32_e32 v10, 0x7e, v10, vcc_lo
; %bb.1579:
	s_and_not1_saveexec_b32 s3, s3
; %bb.1580:
	v_add_f32_e32 v10, 0x46800000, v11
; %bb.1581:
	s_or_b32 exec_lo, exec_lo, s3
                                        ; implicit-def: $vgpr11
.LBB280_1582:
	s_and_not1_saveexec_b32 s1, s1
; %bb.1583:
	v_mov_b32_e32 v10, 0x7f
	v_cmp_lt_u32_e32 vcc_lo, 0x7f800000, v11
	s_delay_alu instid0(VALU_DEP_2)
	v_cndmask_b32_e32 v10, 0x7e, v10, vcc_lo
; %bb.1584:
	s_or_b32 exec_lo, exec_lo, s1
	global_store_b8 v[4:5], v10, off
.LBB280_1585:
	s_mov_b32 s1, 0
.LBB280_1586:
	s_delay_alu instid0(SALU_CYCLE_1)
	s_and_not1_b32 vcc_lo, exec_lo, s1
	s_cbranch_vccnz .LBB280_1596
; %bb.1587:
	v_cvt_f32_ubyte0_e32 v11, v9
	s_mov_b32 s1, exec_lo
                                        ; implicit-def: $vgpr10
	s_delay_alu instid0(VALU_DEP_1)
	v_cmpx_gt_u32_e32 0x47800000, v11
	s_xor_b32 s1, exec_lo, s1
	s_cbranch_execz .LBB280_1593
; %bb.1588:
	s_mov_b32 s3, exec_lo
                                        ; implicit-def: $vgpr10
	v_cmpx_lt_u32_e32 0x387fffff, v11
	s_xor_b32 s3, exec_lo, s3
; %bb.1589:
	v_bfe_u32 v10, v11, 21, 1
	s_delay_alu instid0(VALU_DEP_1) | instskip(NEXT) | instid1(VALU_DEP_1)
	v_add3_u32 v10, v11, v10, 0x80fffff
                                        ; implicit-def: $vgpr11
	v_lshrrev_b32_e32 v10, 21, v10
; %bb.1590:
	s_and_not1_saveexec_b32 s3, s3
; %bb.1591:
	v_add_f32_e32 v10, 0x43000000, v11
; %bb.1592:
	s_or_b32 exec_lo, exec_lo, s3
                                        ; implicit-def: $vgpr11
.LBB280_1593:
	s_and_not1_saveexec_b32 s1, s1
; %bb.1594:
	v_mov_b32_e32 v10, 0x7f
	v_cmp_lt_u32_e32 vcc_lo, 0x7f800000, v11
	s_delay_alu instid0(VALU_DEP_2)
	v_cndmask_b32_e32 v10, 0x7c, v10, vcc_lo
; %bb.1595:
	s_or_b32 exec_lo, exec_lo, s1
	global_store_b8 v[4:5], v10, off
.LBB280_1596:
	s_mov_b32 s1, 0
	s_mov_b32 s3, -1
.LBB280_1597:
	s_and_not1_b32 vcc_lo, exec_lo, s1
	s_mov_b32 s1, 0
	s_cbranch_vccnz .LBB280_1604
; %bb.1598:
	v_cmp_lt_i16_e32 vcc_lo, 14, v6
	s_mov_b32 s1, -1
	s_cbranch_vccz .LBB280_1602
; %bb.1599:
	v_cmp_eq_u16_e32 vcc_lo, 15, v6
	s_mov_b32 s0, -1
	s_cbranch_vccz .LBB280_1601
; %bb.1600:
	v_cvt_f32_ubyte0_e32 v10, v9
	s_mov_b32 s0, 0
	s_mov_b32 s3, -1
	s_delay_alu instid0(VALU_DEP_1) | instskip(NEXT) | instid1(VALU_DEP_1)
	v_bfe_u32 v11, v10, 16, 1
	v_add3_u32 v10, v10, v11, 0x7fff
	global_store_d16_hi_b16 v[4:5], v10, off
.LBB280_1601:
	s_mov_b32 s1, 0
.LBB280_1602:
	s_delay_alu instid0(SALU_CYCLE_1)
	s_and_b32 vcc_lo, exec_lo, s1
	s_mov_b32 s1, 0
	s_cbranch_vccz .LBB280_1604
; %bb.1603:
	v_cmp_ne_u16_e64 s0, 11, v6
	s_mov_b32 s1, -1
.LBB280_1604:
	s_delay_alu instid0(VALU_DEP_1)
	s_and_b32 vcc_lo, exec_lo, s0
	s_cbranch_vccnz .LBB280_2015
; %bb.1605:
	s_and_not1_b32 vcc_lo, exec_lo, s1
	s_cbranch_vccnz .LBB280_1607
.LBB280_1606:
	v_cmp_ne_u16_e32 vcc_lo, 0, v9
	s_mov_b32 s3, -1
	v_cndmask_b32_e64 v10, 0, 1, vcc_lo
	global_store_b8 v[4:5], v10, off
.LBB280_1607:
	s_mov_b32 s0, 0
	s_branch .LBB280_1609
.LBB280_1608:
	s_mov_b32 s0, -1
	s_mov_b32 s3, 0
.LBB280_1609:
	s_and_b32 vcc_lo, exec_lo, s0
	s_cbranch_vccz .LBB280_1648
; %bb.1610:
	v_cmp_gt_i16_e32 vcc_lo, 5, v6
	s_mov_b32 s0, -1
	s_cbranch_vccnz .LBB280_1631
; %bb.1611:
	v_cmp_gt_i16_e32 vcc_lo, 8, v6
	s_cbranch_vccnz .LBB280_1621
; %bb.1612:
	v_cmp_gt_i16_e32 vcc_lo, 9, v6
	s_cbranch_vccnz .LBB280_1618
; %bb.1613:
	v_cmp_lt_i16_e32 vcc_lo, 9, v6
	s_cbranch_vccz .LBB280_1615
; %bb.1614:
	v_mov_b32_e32 v12, 0
	v_and_b32_e32 v10, 0xffff, v9
	s_mov_b32 s0, 0
	s_delay_alu instid0(VALU_DEP_2) | instskip(NEXT) | instid1(VALU_DEP_2)
	v_mov_b32_e32 v13, v12
	v_cvt_f64_u32_e32 v[10:11], v10
	global_store_b128 v[4:5], v[10:13], off
.LBB280_1615:
	s_and_not1_b32 vcc_lo, exec_lo, s0
	s_cbranch_vccnz .LBB280_1617
; %bb.1616:
	v_cvt_f32_ubyte0_e32 v10, v9
	v_mov_b32_e32 v11, 0
	global_store_b64 v[4:5], v[10:11], off
.LBB280_1617:
	s_mov_b32 s0, 0
.LBB280_1618:
	s_delay_alu instid0(SALU_CYCLE_1)
	s_and_not1_b32 vcc_lo, exec_lo, s0
	s_cbranch_vccnz .LBB280_1620
; %bb.1619:
	v_cvt_f16_u16_e32 v10, v9
	s_delay_alu instid0(VALU_DEP_1)
	v_and_b32_e32 v10, 0xffff, v10
	global_store_b32 v[4:5], v10, off
.LBB280_1620:
	s_mov_b32 s0, 0
.LBB280_1621:
	s_delay_alu instid0(SALU_CYCLE_1)
	s_and_not1_b32 vcc_lo, exec_lo, s0
	s_cbranch_vccnz .LBB280_1630
; %bb.1622:
	v_cmp_gt_i16_e32 vcc_lo, 6, v6
	s_mov_b32 s0, -1
	s_cbranch_vccnz .LBB280_1628
; %bb.1623:
	v_cmp_lt_i16_e32 vcc_lo, 6, v6
	s_cbranch_vccz .LBB280_1625
; %bb.1624:
	v_and_b32_e32 v10, 0xffff, v9
	s_mov_b32 s0, 0
	s_delay_alu instid0(VALU_DEP_1)
	v_cvt_f64_u32_e32 v[10:11], v10
	global_store_b64 v[4:5], v[10:11], off
.LBB280_1625:
	s_and_not1_b32 vcc_lo, exec_lo, s0
	s_cbranch_vccnz .LBB280_1627
; %bb.1626:
	v_cvt_f32_ubyte0_e32 v10, v9
	global_store_b32 v[4:5], v10, off
.LBB280_1627:
	s_mov_b32 s0, 0
.LBB280_1628:
	s_delay_alu instid0(SALU_CYCLE_1)
	s_and_not1_b32 vcc_lo, exec_lo, s0
	s_cbranch_vccnz .LBB280_1630
; %bb.1629:
	v_cvt_f16_u16_e32 v10, v9
	global_store_b16 v[4:5], v10, off
.LBB280_1630:
	s_mov_b32 s0, 0
.LBB280_1631:
	s_delay_alu instid0(SALU_CYCLE_1)
	s_and_not1_b32 vcc_lo, exec_lo, s0
	s_cbranch_vccnz .LBB280_1647
; %bb.1632:
	v_cmp_gt_i16_e32 vcc_lo, 2, v6
	s_mov_b32 s0, -1
	s_cbranch_vccnz .LBB280_1642
; %bb.1633:
	v_cmp_gt_i16_e32 vcc_lo, 3, v6
	s_cbranch_vccnz .LBB280_1639
; %bb.1634:
	v_cmp_lt_i16_e32 vcc_lo, 3, v6
	s_cbranch_vccz .LBB280_1636
; %bb.1635:
	s_mov_b32 s0, 0
	s_delay_alu instid0(SALU_CYCLE_1)
	v_dual_mov_b32 v11, s0 :: v_dual_and_b32 v10, 0xffff, v9
	global_store_b64 v[4:5], v[10:11], off
.LBB280_1636:
	s_and_not1_b32 vcc_lo, exec_lo, s0
	s_cbranch_vccnz .LBB280_1638
; %bb.1637:
	v_and_b32_e32 v10, 0xffff, v9
	global_store_b32 v[4:5], v10, off
.LBB280_1638:
	s_mov_b32 s0, 0
.LBB280_1639:
	s_delay_alu instid0(SALU_CYCLE_1)
	s_and_not1_b32 vcc_lo, exec_lo, s0
	s_cbranch_vccnz .LBB280_1641
; %bb.1640:
	global_store_b16 v[4:5], v9, off
.LBB280_1641:
	s_mov_b32 s0, 0
.LBB280_1642:
	s_delay_alu instid0(SALU_CYCLE_1)
	s_and_not1_b32 vcc_lo, exec_lo, s0
	s_cbranch_vccnz .LBB280_1647
; %bb.1643:
	v_cmp_lt_i16_e32 vcc_lo, 0, v6
	s_mov_b32 s0, -1
	s_cbranch_vccz .LBB280_1645
; %bb.1644:
	s_mov_b32 s0, 0
	global_store_b8 v[4:5], v9, off
.LBB280_1645:
	s_and_not1_b32 vcc_lo, exec_lo, s0
	s_cbranch_vccnz .LBB280_1647
; %bb.1646:
	global_store_b8 v[4:5], v9, off
.LBB280_1647:
	s_mov_b32 s3, -1
.LBB280_1648:
	s_delay_alu instid0(SALU_CYCLE_1)
	s_and_not1_b32 vcc_lo, exec_lo, s3
	s_cbranch_vccnz .LBB280_1963
; %bb.1649:
	v_and_b32_e32 v1, 0xff, v1
	s_lshl_b32 s1, s2, 7
	v_cmp_gt_i16_e32 vcc_lo, 11, v6
	v_add_nc_u32_e32 v9, s1, v0
	s_delay_alu instid0(VALU_DEP_3) | instskip(SKIP_1) | instid1(VALU_DEP_2)
	v_max_u16 v0, v1, v8
	s_and_b32 vcc_lo, exec_lo, vcc_lo
	v_ashrrev_i32_e32 v1, 31, v9
	s_delay_alu instid0(VALU_DEP_2) | instskip(SKIP_1) | instid1(VALU_DEP_1)
	v_min_u16 v10, v0, v7
	v_add_co_u32 v0, s0, s4, v9
	v_add_co_ci_u32_e64 v1, s0, s5, v1, s0
	s_cbranch_vccnz .LBB280_1727
; %bb.1650:
	v_cmp_lt_i16_e32 vcc_lo, 25, v6
	s_mov_b32 s6, -1
	s_mov_b32 s2, 0
	s_mov_b32 s3, 0
	s_mov_b32 s0, 0
	s_cbranch_vccz .LBB280_1683
; %bb.1651:
	v_cmp_lt_i16_e32 vcc_lo, 28, v6
	s_cbranch_vccz .LBB280_1666
; %bb.1652:
	v_cmp_lt_i16_e32 vcc_lo, 43, v6
	;; [unrolled: 3-line block ×3, first 2 shown]
	s_cbranch_vccz .LBB280_1656
; %bb.1654:
	v_cmp_eq_u16_e32 vcc_lo, 46, v6
	s_mov_b32 s0, -1
	s_mov_b32 s6, 0
	s_cbranch_vccz .LBB280_1656
; %bb.1655:
	v_cvt_f32_ubyte0_e32 v4, v10
	s_mov_b32 s0, 0
	s_mov_b32 s3, -1
	s_delay_alu instid0(VALU_DEP_1) | instskip(NEXT) | instid1(VALU_DEP_1)
	v_bfe_u32 v5, v4, 16, 1
	v_add3_u32 v4, v4, v5, 0x7fff
	s_delay_alu instid0(VALU_DEP_1)
	v_lshrrev_b32_e32 v4, 16, v4
	global_store_b32 v[0:1], v4, off
.LBB280_1656:
	s_and_b32 vcc_lo, exec_lo, s6
	s_cbranch_vccz .LBB280_1661
; %bb.1657:
	v_cmp_eq_u16_e32 vcc_lo, 44, v6
	s_mov_b32 s0, -1
	s_cbranch_vccz .LBB280_1661
; %bb.1658:
	v_cvt_f32_ubyte0_e32 v11, v10
	v_mov_b32_e32 v5, 0xff
	s_mov_b32 s3, exec_lo
	s_delay_alu instid0(VALU_DEP_2) | instskip(NEXT) | instid1(VALU_DEP_1)
	v_lshrrev_b32_e32 v4, 23, v11
	v_cmpx_ne_u32_e32 0xff, v4
; %bb.1659:
	v_and_b32_e32 v5, 0x400000, v11
	v_and_or_b32 v11, 0x3fffff, v11, v4
	s_delay_alu instid0(VALU_DEP_2) | instskip(NEXT) | instid1(VALU_DEP_2)
	v_cmp_ne_u32_e32 vcc_lo, 0, v5
	v_cmp_ne_u32_e64 s0, 0, v11
	s_delay_alu instid0(VALU_DEP_1) | instskip(NEXT) | instid1(SALU_CYCLE_1)
	s_and_b32 s0, vcc_lo, s0
	v_cndmask_b32_e64 v5, 0, 1, s0
	s_delay_alu instid0(VALU_DEP_1)
	v_add_nc_u32_e32 v5, v4, v5
; %bb.1660:
	s_or_b32 exec_lo, exec_lo, s3
	s_mov_b32 s0, 0
	s_mov_b32 s3, -1
	global_store_b8 v[0:1], v5, off
.LBB280_1661:
	s_mov_b32 s6, 0
.LBB280_1662:
	s_delay_alu instid0(SALU_CYCLE_1)
	s_and_b32 vcc_lo, exec_lo, s6
	s_cbranch_vccz .LBB280_1665
; %bb.1663:
	v_cmp_eq_u16_e32 vcc_lo, 29, v6
	s_mov_b32 s0, -1
	s_cbranch_vccz .LBB280_1665
; %bb.1664:
	s_mov_b32 s0, 0
	s_delay_alu instid0(SALU_CYCLE_1)
	v_dual_mov_b32 v5, s0 :: v_dual_and_b32 v4, 0xffff, v10
	s_mov_b32 s3, -1
	global_store_b64 v[0:1], v[4:5], off
.LBB280_1665:
	s_mov_b32 s6, 0
.LBB280_1666:
	s_delay_alu instid0(SALU_CYCLE_1)
	s_and_b32 vcc_lo, exec_lo, s6
	s_cbranch_vccz .LBB280_1682
; %bb.1667:
	v_cmp_gt_i16_e32 vcc_lo, 27, v6
	s_mov_b32 s3, -1
	s_cbranch_vccnz .LBB280_1673
; %bb.1668:
	v_cmp_lt_i16_e32 vcc_lo, 27, v6
	s_cbranch_vccz .LBB280_1670
; %bb.1669:
	v_and_b32_e32 v4, 0xffff, v10
	s_mov_b32 s3, 0
	global_store_b32 v[0:1], v4, off
.LBB280_1670:
	s_and_not1_b32 vcc_lo, exec_lo, s3
	s_cbranch_vccnz .LBB280_1672
; %bb.1671:
	global_store_b16 v[0:1], v10, off
.LBB280_1672:
	s_mov_b32 s3, 0
.LBB280_1673:
	s_delay_alu instid0(SALU_CYCLE_1)
	s_and_not1_b32 vcc_lo, exec_lo, s3
	s_cbranch_vccnz .LBB280_1681
; %bb.1674:
	v_cvt_f32_ubyte0_e32 v5, v10
	v_mov_b32_e32 v11, 0x80
	s_mov_b32 s3, exec_lo
	s_delay_alu instid0(VALU_DEP_2)
	v_cmpx_gt_u32_e32 0x43800000, v5
	s_cbranch_execz .LBB280_1680
; %bb.1675:
	s_mov_b32 s6, 0
	s_mov_b32 s7, exec_lo
                                        ; implicit-def: $vgpr4
	v_cmpx_lt_u32_e32 0x3bffffff, v5
	s_xor_b32 s7, exec_lo, s7
	s_cbranch_execz .LBB280_2019
; %bb.1676:
	v_bfe_u32 v4, v5, 20, 1
	s_mov_b32 s6, exec_lo
	s_delay_alu instid0(VALU_DEP_1) | instskip(NEXT) | instid1(VALU_DEP_1)
	v_add3_u32 v4, v5, v4, 0x487ffff
                                        ; implicit-def: $vgpr5
	v_lshrrev_b32_e32 v4, 20, v4
	s_or_saveexec_b32 s7, s7
                                        ; implicit-def: $sgpr8
	s_delay_alu instid0(SALU_CYCLE_1)
	s_xor_b32 exec_lo, exec_lo, s7
	s_cbranch_execnz .LBB280_2020
.LBB280_1677:
	s_or_b32 exec_lo, exec_lo, s7
	v_mov_b32_e32 v11, s8
	s_and_saveexec_b32 s7, s6
.LBB280_1678:
	v_mov_b32_e32 v11, v4
.LBB280_1679:
	s_or_b32 exec_lo, exec_lo, s7
.LBB280_1680:
	s_delay_alu instid0(SALU_CYCLE_1)
	s_or_b32 exec_lo, exec_lo, s3
	global_store_b8 v[0:1], v11, off
.LBB280_1681:
	s_mov_b32 s3, -1
.LBB280_1682:
	s_mov_b32 s6, 0
.LBB280_1683:
	s_delay_alu instid0(SALU_CYCLE_1)
	s_and_b32 vcc_lo, exec_lo, s6
	s_cbranch_vccz .LBB280_1723
; %bb.1684:
	v_cmp_lt_i16_e32 vcc_lo, 22, v6
	s_mov_b32 s2, -1
	s_cbranch_vccz .LBB280_1716
; %bb.1685:
	v_cmp_gt_i16_e32 vcc_lo, 24, v6
	s_cbranch_vccnz .LBB280_1705
; %bb.1686:
	v_cmp_lt_i16_e32 vcc_lo, 24, v6
	s_cbranch_vccz .LBB280_1694
; %bb.1687:
	v_cvt_f32_ubyte0_e32 v5, v10
	v_mov_b32_e32 v11, 0x80
	s_mov_b32 s2, exec_lo
	s_delay_alu instid0(VALU_DEP_2)
	v_cmpx_gt_u32_e32 0x47800000, v5
	s_cbranch_execz .LBB280_1693
; %bb.1688:
	s_mov_b32 s3, 0
	s_mov_b32 s6, exec_lo
                                        ; implicit-def: $vgpr4
	v_cmpx_lt_u32_e32 0x37ffffff, v5
	s_xor_b32 s6, exec_lo, s6
	s_cbranch_execz .LBB280_2025
; %bb.1689:
	v_bfe_u32 v4, v5, 21, 1
	s_mov_b32 s3, exec_lo
	s_delay_alu instid0(VALU_DEP_1) | instskip(NEXT) | instid1(VALU_DEP_1)
	v_add3_u32 v4, v5, v4, 0x88fffff
                                        ; implicit-def: $vgpr5
	v_lshrrev_b32_e32 v4, 21, v4
	s_or_saveexec_b32 s6, s6
                                        ; implicit-def: $sgpr7
	s_delay_alu instid0(SALU_CYCLE_1)
	s_xor_b32 exec_lo, exec_lo, s6
	s_cbranch_execnz .LBB280_2026
.LBB280_1690:
	s_or_b32 exec_lo, exec_lo, s6
	v_mov_b32_e32 v11, s7
	s_and_saveexec_b32 s6, s3
.LBB280_1691:
	v_mov_b32_e32 v11, v4
.LBB280_1692:
	s_or_b32 exec_lo, exec_lo, s6
.LBB280_1693:
	s_delay_alu instid0(SALU_CYCLE_1)
	s_or_b32 exec_lo, exec_lo, s2
	s_mov_b32 s2, 0
	global_store_b8 v[0:1], v11, off
.LBB280_1694:
	s_and_b32 vcc_lo, exec_lo, s2
	s_cbranch_vccz .LBB280_1704
; %bb.1695:
	v_cvt_f32_ubyte0_e32 v5, v10
	s_mov_b32 s2, exec_lo
                                        ; implicit-def: $vgpr4
	s_delay_alu instid0(VALU_DEP_1)
	v_cmpx_gt_u32_e32 0x43f00000, v5
	s_xor_b32 s2, exec_lo, s2
	s_cbranch_execz .LBB280_1701
; %bb.1696:
	s_mov_b32 s3, exec_lo
                                        ; implicit-def: $vgpr4
	v_cmpx_lt_u32_e32 0x3c7fffff, v5
	s_xor_b32 s3, exec_lo, s3
; %bb.1697:
	v_bfe_u32 v4, v5, 20, 1
	s_delay_alu instid0(VALU_DEP_1) | instskip(NEXT) | instid1(VALU_DEP_1)
	v_add3_u32 v4, v5, v4, 0x407ffff
	v_and_b32_e32 v5, 0xff00000, v4
	v_lshrrev_b32_e32 v4, 20, v4
	s_delay_alu instid0(VALU_DEP_2) | instskip(NEXT) | instid1(VALU_DEP_2)
	v_cmp_ne_u32_e32 vcc_lo, 0x7f00000, v5
                                        ; implicit-def: $vgpr5
	v_cndmask_b32_e32 v4, 0x7e, v4, vcc_lo
; %bb.1698:
	s_and_not1_saveexec_b32 s3, s3
; %bb.1699:
	v_add_f32_e32 v4, 0x46800000, v5
; %bb.1700:
	s_or_b32 exec_lo, exec_lo, s3
                                        ; implicit-def: $vgpr5
.LBB280_1701:
	s_and_not1_saveexec_b32 s2, s2
; %bb.1702:
	v_mov_b32_e32 v4, 0x7f
	v_cmp_lt_u32_e32 vcc_lo, 0x7f800000, v5
	s_delay_alu instid0(VALU_DEP_2)
	v_cndmask_b32_e32 v4, 0x7e, v4, vcc_lo
; %bb.1703:
	s_or_b32 exec_lo, exec_lo, s2
	global_store_b8 v[0:1], v4, off
.LBB280_1704:
	s_mov_b32 s2, 0
.LBB280_1705:
	s_delay_alu instid0(SALU_CYCLE_1)
	s_and_not1_b32 vcc_lo, exec_lo, s2
	s_cbranch_vccnz .LBB280_1715
; %bb.1706:
	v_cvt_f32_ubyte0_e32 v5, v10
	s_mov_b32 s2, exec_lo
                                        ; implicit-def: $vgpr4
	s_delay_alu instid0(VALU_DEP_1)
	v_cmpx_gt_u32_e32 0x47800000, v5
	s_xor_b32 s2, exec_lo, s2
	s_cbranch_execz .LBB280_1712
; %bb.1707:
	s_mov_b32 s3, exec_lo
                                        ; implicit-def: $vgpr4
	v_cmpx_lt_u32_e32 0x387fffff, v5
	s_xor_b32 s3, exec_lo, s3
; %bb.1708:
	v_bfe_u32 v4, v5, 21, 1
	s_delay_alu instid0(VALU_DEP_1) | instskip(NEXT) | instid1(VALU_DEP_1)
	v_add3_u32 v4, v5, v4, 0x80fffff
                                        ; implicit-def: $vgpr5
	v_lshrrev_b32_e32 v4, 21, v4
; %bb.1709:
	s_and_not1_saveexec_b32 s3, s3
; %bb.1710:
	v_add_f32_e32 v4, 0x43000000, v5
; %bb.1711:
	s_or_b32 exec_lo, exec_lo, s3
                                        ; implicit-def: $vgpr5
.LBB280_1712:
	s_and_not1_saveexec_b32 s2, s2
; %bb.1713:
	v_mov_b32_e32 v4, 0x7f
	v_cmp_lt_u32_e32 vcc_lo, 0x7f800000, v5
	s_delay_alu instid0(VALU_DEP_2)
	v_cndmask_b32_e32 v4, 0x7c, v4, vcc_lo
; %bb.1714:
	s_or_b32 exec_lo, exec_lo, s2
	global_store_b8 v[0:1], v4, off
.LBB280_1715:
	s_mov_b32 s2, 0
	s_mov_b32 s3, -1
.LBB280_1716:
	s_and_not1_b32 vcc_lo, exec_lo, s2
	s_mov_b32 s2, 0
	s_cbranch_vccnz .LBB280_1723
; %bb.1717:
	v_cmp_lt_i16_e32 vcc_lo, 14, v6
	s_mov_b32 s2, -1
	s_cbranch_vccz .LBB280_1721
; %bb.1718:
	v_cmp_eq_u16_e32 vcc_lo, 15, v6
	s_mov_b32 s0, -1
	s_cbranch_vccz .LBB280_1720
; %bb.1719:
	v_cvt_f32_ubyte0_e32 v4, v10
	s_mov_b32 s0, 0
	s_mov_b32 s3, -1
	s_delay_alu instid0(VALU_DEP_1) | instskip(NEXT) | instid1(VALU_DEP_1)
	v_bfe_u32 v5, v4, 16, 1
	v_add3_u32 v4, v4, v5, 0x7fff
	global_store_d16_hi_b16 v[0:1], v4, off
.LBB280_1720:
	s_mov_b32 s2, 0
.LBB280_1721:
	s_delay_alu instid0(SALU_CYCLE_1)
	s_and_b32 vcc_lo, exec_lo, s2
	s_mov_b32 s2, 0
	s_cbranch_vccz .LBB280_1723
; %bb.1722:
	v_cmp_ne_u16_e64 s0, 11, v6
	s_mov_b32 s2, -1
.LBB280_1723:
	s_delay_alu instid0(VALU_DEP_1)
	s_and_b32 vcc_lo, exec_lo, s0
	s_cbranch_vccnz .LBB280_2023
; %bb.1724:
	s_and_not1_b32 vcc_lo, exec_lo, s2
	s_cbranch_vccnz .LBB280_1726
.LBB280_1725:
	v_cmp_ne_u16_e32 vcc_lo, 0, v10
	s_mov_b32 s3, -1
	v_cndmask_b32_e64 v4, 0, 1, vcc_lo
	global_store_b8 v[0:1], v4, off
.LBB280_1726:
	s_mov_b32 s0, 0
	s_branch .LBB280_1728
.LBB280_1727:
	s_mov_b32 s0, -1
	s_mov_b32 s3, 0
.LBB280_1728:
	s_and_b32 vcc_lo, exec_lo, s0
	s_cbranch_vccz .LBB280_1767
; %bb.1729:
	v_cmp_gt_i16_e32 vcc_lo, 5, v6
	s_mov_b32 s0, -1
	s_cbranch_vccnz .LBB280_1750
; %bb.1730:
	v_cmp_gt_i16_e32 vcc_lo, 8, v6
	s_cbranch_vccnz .LBB280_1740
; %bb.1731:
	v_cmp_gt_i16_e32 vcc_lo, 9, v6
	s_cbranch_vccnz .LBB280_1737
; %bb.1732:
	v_cmp_lt_i16_e32 vcc_lo, 9, v6
	s_cbranch_vccz .LBB280_1734
; %bb.1733:
	v_dual_mov_b32 v13, 0 :: v_dual_and_b32 v4, 0xffff, v10
	s_mov_b32 s0, 0
	s_delay_alu instid0(VALU_DEP_1) | instskip(NEXT) | instid1(VALU_DEP_2)
	v_cvt_f64_u32_e32 v[11:12], v4
	v_mov_b32_e32 v14, v13
	global_store_b128 v[0:1], v[11:14], off
.LBB280_1734:
	s_and_not1_b32 vcc_lo, exec_lo, s0
	s_cbranch_vccnz .LBB280_1736
; %bb.1735:
	v_cvt_f32_ubyte0_e32 v4, v10
	v_mov_b32_e32 v5, 0
	global_store_b64 v[0:1], v[4:5], off
.LBB280_1736:
	s_mov_b32 s0, 0
.LBB280_1737:
	s_delay_alu instid0(SALU_CYCLE_1)
	s_and_not1_b32 vcc_lo, exec_lo, s0
	s_cbranch_vccnz .LBB280_1739
; %bb.1738:
	v_cvt_f16_u16_e32 v4, v10
	s_delay_alu instid0(VALU_DEP_1)
	v_and_b32_e32 v4, 0xffff, v4
	global_store_b32 v[0:1], v4, off
.LBB280_1739:
	s_mov_b32 s0, 0
.LBB280_1740:
	s_delay_alu instid0(SALU_CYCLE_1)
	s_and_not1_b32 vcc_lo, exec_lo, s0
	s_cbranch_vccnz .LBB280_1749
; %bb.1741:
	v_cmp_gt_i16_e32 vcc_lo, 6, v6
	s_mov_b32 s0, -1
	s_cbranch_vccnz .LBB280_1747
; %bb.1742:
	v_cmp_lt_i16_e32 vcc_lo, 6, v6
	s_cbranch_vccz .LBB280_1744
; %bb.1743:
	v_and_b32_e32 v4, 0xffff, v10
	s_mov_b32 s0, 0
	s_delay_alu instid0(VALU_DEP_1)
	v_cvt_f64_u32_e32 v[4:5], v4
	global_store_b64 v[0:1], v[4:5], off
.LBB280_1744:
	s_and_not1_b32 vcc_lo, exec_lo, s0
	s_cbranch_vccnz .LBB280_1746
; %bb.1745:
	v_cvt_f32_ubyte0_e32 v4, v10
	global_store_b32 v[0:1], v4, off
.LBB280_1746:
	s_mov_b32 s0, 0
.LBB280_1747:
	s_delay_alu instid0(SALU_CYCLE_1)
	s_and_not1_b32 vcc_lo, exec_lo, s0
	s_cbranch_vccnz .LBB280_1749
; %bb.1748:
	v_cvt_f16_u16_e32 v4, v10
	global_store_b16 v[0:1], v4, off
.LBB280_1749:
	s_mov_b32 s0, 0
.LBB280_1750:
	s_delay_alu instid0(SALU_CYCLE_1)
	s_and_not1_b32 vcc_lo, exec_lo, s0
	s_cbranch_vccnz .LBB280_1766
; %bb.1751:
	v_cmp_gt_i16_e32 vcc_lo, 2, v6
	s_mov_b32 s0, -1
	s_cbranch_vccnz .LBB280_1761
; %bb.1752:
	v_cmp_gt_i16_e32 vcc_lo, 3, v6
	s_cbranch_vccnz .LBB280_1758
; %bb.1753:
	v_cmp_lt_i16_e32 vcc_lo, 3, v6
	v_and_b32_e32 v4, 0xffff, v10
	s_cbranch_vccz .LBB280_1755
; %bb.1754:
	s_mov_b32 s0, 0
	s_delay_alu instid0(SALU_CYCLE_1)
	v_mov_b32_e32 v5, s0
	global_store_b64 v[0:1], v[4:5], off
.LBB280_1755:
	s_and_not1_b32 vcc_lo, exec_lo, s0
	s_cbranch_vccnz .LBB280_1757
; %bb.1756:
	global_store_b32 v[0:1], v4, off
.LBB280_1757:
	s_mov_b32 s0, 0
.LBB280_1758:
	s_delay_alu instid0(SALU_CYCLE_1)
	s_and_not1_b32 vcc_lo, exec_lo, s0
	s_cbranch_vccnz .LBB280_1760
; %bb.1759:
	global_store_b16 v[0:1], v10, off
.LBB280_1760:
	s_mov_b32 s0, 0
.LBB280_1761:
	s_delay_alu instid0(SALU_CYCLE_1)
	s_and_not1_b32 vcc_lo, exec_lo, s0
	s_cbranch_vccnz .LBB280_1766
; %bb.1762:
	v_cmp_lt_i16_e32 vcc_lo, 0, v6
	s_mov_b32 s0, -1
	s_cbranch_vccz .LBB280_1764
; %bb.1763:
	s_mov_b32 s0, 0
	global_store_b8 v[0:1], v10, off
.LBB280_1764:
	s_and_not1_b32 vcc_lo, exec_lo, s0
	s_cbranch_vccnz .LBB280_1766
; %bb.1765:
	global_store_b8 v[0:1], v10, off
.LBB280_1766:
	s_mov_b32 s3, -1
.LBB280_1767:
	s_delay_alu instid0(SALU_CYCLE_1)
	s_and_not1_b32 vcc_lo, exec_lo, s3
	s_cbranch_vccnz .LBB280_1963
; %bb.1768:
	v_and_b32_e32 v0, 0xff, v2
	v_add_nc_u32_e32 v2, s1, v9
	v_cmp_gt_i16_e32 vcc_lo, 11, v6
	s_delay_alu instid0(VALU_DEP_3) | instskip(NEXT) | instid1(VALU_DEP_3)
	v_max_u16 v0, v0, v8
	v_ashrrev_i32_e32 v1, 31, v2
	s_delay_alu instid0(VALU_DEP_2) | instskip(SKIP_1) | instid1(VALU_DEP_1)
	v_min_u16 v9, v0, v7
	v_add_co_u32 v0, s0, s4, v2
	v_add_co_ci_u32_e64 v1, s0, s5, v1, s0
	s_cbranch_vccnz .LBB280_1846
; %bb.1769:
	v_cmp_lt_i16_e32 vcc_lo, 25, v6
	s_mov_b32 s6, -1
	s_mov_b32 s2, 0
	s_mov_b32 s3, 0
	;; [unrolled: 1-line block ×3, first 2 shown]
	s_cbranch_vccz .LBB280_1802
; %bb.1770:
	v_cmp_lt_i16_e32 vcc_lo, 28, v6
	s_cbranch_vccz .LBB280_1785
; %bb.1771:
	v_cmp_lt_i16_e32 vcc_lo, 43, v6
	s_cbranch_vccz .LBB280_1781
; %bb.1772:
	v_cmp_lt_i16_e32 vcc_lo, 45, v6
	s_cbranch_vccz .LBB280_1775
; %bb.1773:
	v_cmp_eq_u16_e32 vcc_lo, 46, v6
	s_mov_b32 s0, -1
	s_mov_b32 s6, 0
	s_cbranch_vccz .LBB280_1775
; %bb.1774:
	v_cvt_f32_ubyte0_e32 v4, v9
	s_mov_b32 s0, 0
	s_mov_b32 s3, -1
	s_delay_alu instid0(VALU_DEP_1) | instskip(NEXT) | instid1(VALU_DEP_1)
	v_bfe_u32 v5, v4, 16, 1
	v_add3_u32 v4, v4, v5, 0x7fff
	s_delay_alu instid0(VALU_DEP_1)
	v_lshrrev_b32_e32 v4, 16, v4
	global_store_b32 v[0:1], v4, off
.LBB280_1775:
	s_and_b32 vcc_lo, exec_lo, s6
	s_cbranch_vccz .LBB280_1780
; %bb.1776:
	v_cmp_eq_u16_e32 vcc_lo, 44, v6
	s_mov_b32 s0, -1
	s_cbranch_vccz .LBB280_1780
; %bb.1777:
	v_cvt_f32_ubyte0_e32 v10, v9
	v_mov_b32_e32 v5, 0xff
	s_mov_b32 s3, exec_lo
	s_delay_alu instid0(VALU_DEP_2) | instskip(NEXT) | instid1(VALU_DEP_1)
	v_lshrrev_b32_e32 v4, 23, v10
	v_cmpx_ne_u32_e32 0xff, v4
; %bb.1778:
	v_and_b32_e32 v5, 0x400000, v10
	v_and_or_b32 v10, 0x3fffff, v10, v4
	s_delay_alu instid0(VALU_DEP_2) | instskip(NEXT) | instid1(VALU_DEP_2)
	v_cmp_ne_u32_e32 vcc_lo, 0, v5
	v_cmp_ne_u32_e64 s0, 0, v10
	s_delay_alu instid0(VALU_DEP_1) | instskip(NEXT) | instid1(SALU_CYCLE_1)
	s_and_b32 s0, vcc_lo, s0
	v_cndmask_b32_e64 v5, 0, 1, s0
	s_delay_alu instid0(VALU_DEP_1)
	v_add_nc_u32_e32 v5, v4, v5
; %bb.1779:
	s_or_b32 exec_lo, exec_lo, s3
	s_mov_b32 s0, 0
	s_mov_b32 s3, -1
	global_store_b8 v[0:1], v5, off
.LBB280_1780:
	s_mov_b32 s6, 0
.LBB280_1781:
	s_delay_alu instid0(SALU_CYCLE_1)
	s_and_b32 vcc_lo, exec_lo, s6
	s_cbranch_vccz .LBB280_1784
; %bb.1782:
	v_cmp_eq_u16_e32 vcc_lo, 29, v6
	s_mov_b32 s0, -1
	s_cbranch_vccz .LBB280_1784
; %bb.1783:
	s_mov_b32 s0, 0
	s_delay_alu instid0(SALU_CYCLE_1)
	v_dual_mov_b32 v5, s0 :: v_dual_and_b32 v4, 0xffff, v9
	s_mov_b32 s3, -1
	global_store_b64 v[0:1], v[4:5], off
.LBB280_1784:
	s_mov_b32 s6, 0
.LBB280_1785:
	s_delay_alu instid0(SALU_CYCLE_1)
	s_and_b32 vcc_lo, exec_lo, s6
	s_cbranch_vccz .LBB280_1801
; %bb.1786:
	v_cmp_gt_i16_e32 vcc_lo, 27, v6
	s_mov_b32 s3, -1
	s_cbranch_vccnz .LBB280_1792
; %bb.1787:
	v_cmp_lt_i16_e32 vcc_lo, 27, v6
	s_cbranch_vccz .LBB280_1789
; %bb.1788:
	v_and_b32_e32 v4, 0xffff, v9
	s_mov_b32 s3, 0
	global_store_b32 v[0:1], v4, off
.LBB280_1789:
	s_and_not1_b32 vcc_lo, exec_lo, s3
	s_cbranch_vccnz .LBB280_1791
; %bb.1790:
	global_store_b16 v[0:1], v9, off
.LBB280_1791:
	s_mov_b32 s3, 0
.LBB280_1792:
	s_delay_alu instid0(SALU_CYCLE_1)
	s_and_not1_b32 vcc_lo, exec_lo, s3
	s_cbranch_vccnz .LBB280_1800
; %bb.1793:
	v_cvt_f32_ubyte0_e32 v5, v9
	v_mov_b32_e32 v10, 0x80
	s_mov_b32 s3, exec_lo
	s_delay_alu instid0(VALU_DEP_2)
	v_cmpx_gt_u32_e32 0x43800000, v5
	s_cbranch_execz .LBB280_1799
; %bb.1794:
	s_mov_b32 s6, 0
	s_mov_b32 s7, exec_lo
                                        ; implicit-def: $vgpr4
	v_cmpx_lt_u32_e32 0x3bffffff, v5
	s_xor_b32 s7, exec_lo, s7
	s_cbranch_execz .LBB280_2027
; %bb.1795:
	v_bfe_u32 v4, v5, 20, 1
	s_mov_b32 s6, exec_lo
	s_delay_alu instid0(VALU_DEP_1) | instskip(NEXT) | instid1(VALU_DEP_1)
	v_add3_u32 v4, v5, v4, 0x487ffff
                                        ; implicit-def: $vgpr5
	v_lshrrev_b32_e32 v4, 20, v4
	s_or_saveexec_b32 s7, s7
                                        ; implicit-def: $sgpr8
	s_delay_alu instid0(SALU_CYCLE_1)
	s_xor_b32 exec_lo, exec_lo, s7
	s_cbranch_execnz .LBB280_2028
.LBB280_1796:
	s_or_b32 exec_lo, exec_lo, s7
	v_mov_b32_e32 v10, s8
	s_and_saveexec_b32 s7, s6
.LBB280_1797:
	v_mov_b32_e32 v10, v4
.LBB280_1798:
	s_or_b32 exec_lo, exec_lo, s7
.LBB280_1799:
	s_delay_alu instid0(SALU_CYCLE_1)
	s_or_b32 exec_lo, exec_lo, s3
	global_store_b8 v[0:1], v10, off
.LBB280_1800:
	s_mov_b32 s3, -1
.LBB280_1801:
	s_mov_b32 s6, 0
.LBB280_1802:
	s_delay_alu instid0(SALU_CYCLE_1)
	s_and_b32 vcc_lo, exec_lo, s6
	s_cbranch_vccz .LBB280_1842
; %bb.1803:
	v_cmp_lt_i16_e32 vcc_lo, 22, v6
	s_mov_b32 s2, -1
	s_cbranch_vccz .LBB280_1835
; %bb.1804:
	v_cmp_gt_i16_e32 vcc_lo, 24, v6
	s_cbranch_vccnz .LBB280_1824
; %bb.1805:
	v_cmp_lt_i16_e32 vcc_lo, 24, v6
	s_cbranch_vccz .LBB280_1813
; %bb.1806:
	v_cvt_f32_ubyte0_e32 v5, v9
	v_mov_b32_e32 v10, 0x80
	s_mov_b32 s2, exec_lo
	s_delay_alu instid0(VALU_DEP_2)
	v_cmpx_gt_u32_e32 0x47800000, v5
	s_cbranch_execz .LBB280_1812
; %bb.1807:
	s_mov_b32 s3, 0
	s_mov_b32 s6, exec_lo
                                        ; implicit-def: $vgpr4
	v_cmpx_lt_u32_e32 0x37ffffff, v5
	s_xor_b32 s6, exec_lo, s6
	s_cbranch_execz .LBB280_2033
; %bb.1808:
	v_bfe_u32 v4, v5, 21, 1
	s_mov_b32 s3, exec_lo
	s_delay_alu instid0(VALU_DEP_1) | instskip(NEXT) | instid1(VALU_DEP_1)
	v_add3_u32 v4, v5, v4, 0x88fffff
                                        ; implicit-def: $vgpr5
	v_lshrrev_b32_e32 v4, 21, v4
	s_or_saveexec_b32 s6, s6
                                        ; implicit-def: $sgpr7
	s_delay_alu instid0(SALU_CYCLE_1)
	s_xor_b32 exec_lo, exec_lo, s6
	s_cbranch_execnz .LBB280_2034
.LBB280_1809:
	s_or_b32 exec_lo, exec_lo, s6
	v_mov_b32_e32 v10, s7
	s_and_saveexec_b32 s6, s3
.LBB280_1810:
	v_mov_b32_e32 v10, v4
.LBB280_1811:
	s_or_b32 exec_lo, exec_lo, s6
.LBB280_1812:
	s_delay_alu instid0(SALU_CYCLE_1)
	s_or_b32 exec_lo, exec_lo, s2
	s_mov_b32 s2, 0
	global_store_b8 v[0:1], v10, off
.LBB280_1813:
	s_and_b32 vcc_lo, exec_lo, s2
	s_cbranch_vccz .LBB280_1823
; %bb.1814:
	v_cvt_f32_ubyte0_e32 v5, v9
	s_mov_b32 s2, exec_lo
                                        ; implicit-def: $vgpr4
	s_delay_alu instid0(VALU_DEP_1)
	v_cmpx_gt_u32_e32 0x43f00000, v5
	s_xor_b32 s2, exec_lo, s2
	s_cbranch_execz .LBB280_1820
; %bb.1815:
	s_mov_b32 s3, exec_lo
                                        ; implicit-def: $vgpr4
	v_cmpx_lt_u32_e32 0x3c7fffff, v5
	s_xor_b32 s3, exec_lo, s3
; %bb.1816:
	v_bfe_u32 v4, v5, 20, 1
	s_delay_alu instid0(VALU_DEP_1) | instskip(NEXT) | instid1(VALU_DEP_1)
	v_add3_u32 v4, v5, v4, 0x407ffff
	v_and_b32_e32 v5, 0xff00000, v4
	v_lshrrev_b32_e32 v4, 20, v4
	s_delay_alu instid0(VALU_DEP_2) | instskip(NEXT) | instid1(VALU_DEP_2)
	v_cmp_ne_u32_e32 vcc_lo, 0x7f00000, v5
                                        ; implicit-def: $vgpr5
	v_cndmask_b32_e32 v4, 0x7e, v4, vcc_lo
; %bb.1817:
	s_and_not1_saveexec_b32 s3, s3
; %bb.1818:
	v_add_f32_e32 v4, 0x46800000, v5
; %bb.1819:
	s_or_b32 exec_lo, exec_lo, s3
                                        ; implicit-def: $vgpr5
.LBB280_1820:
	s_and_not1_saveexec_b32 s2, s2
; %bb.1821:
	v_mov_b32_e32 v4, 0x7f
	v_cmp_lt_u32_e32 vcc_lo, 0x7f800000, v5
	s_delay_alu instid0(VALU_DEP_2)
	v_cndmask_b32_e32 v4, 0x7e, v4, vcc_lo
; %bb.1822:
	s_or_b32 exec_lo, exec_lo, s2
	global_store_b8 v[0:1], v4, off
.LBB280_1823:
	s_mov_b32 s2, 0
.LBB280_1824:
	s_delay_alu instid0(SALU_CYCLE_1)
	s_and_not1_b32 vcc_lo, exec_lo, s2
	s_cbranch_vccnz .LBB280_1834
; %bb.1825:
	v_cvt_f32_ubyte0_e32 v5, v9
	s_mov_b32 s2, exec_lo
                                        ; implicit-def: $vgpr4
	s_delay_alu instid0(VALU_DEP_1)
	v_cmpx_gt_u32_e32 0x47800000, v5
	s_xor_b32 s2, exec_lo, s2
	s_cbranch_execz .LBB280_1831
; %bb.1826:
	s_mov_b32 s3, exec_lo
                                        ; implicit-def: $vgpr4
	v_cmpx_lt_u32_e32 0x387fffff, v5
	s_xor_b32 s3, exec_lo, s3
; %bb.1827:
	v_bfe_u32 v4, v5, 21, 1
	s_delay_alu instid0(VALU_DEP_1) | instskip(NEXT) | instid1(VALU_DEP_1)
	v_add3_u32 v4, v5, v4, 0x80fffff
                                        ; implicit-def: $vgpr5
	v_lshrrev_b32_e32 v4, 21, v4
; %bb.1828:
	s_and_not1_saveexec_b32 s3, s3
; %bb.1829:
	v_add_f32_e32 v4, 0x43000000, v5
; %bb.1830:
	s_or_b32 exec_lo, exec_lo, s3
                                        ; implicit-def: $vgpr5
.LBB280_1831:
	s_and_not1_saveexec_b32 s2, s2
; %bb.1832:
	v_mov_b32_e32 v4, 0x7f
	v_cmp_lt_u32_e32 vcc_lo, 0x7f800000, v5
	s_delay_alu instid0(VALU_DEP_2)
	v_cndmask_b32_e32 v4, 0x7c, v4, vcc_lo
; %bb.1833:
	s_or_b32 exec_lo, exec_lo, s2
	global_store_b8 v[0:1], v4, off
.LBB280_1834:
	s_mov_b32 s2, 0
	s_mov_b32 s3, -1
.LBB280_1835:
	s_and_not1_b32 vcc_lo, exec_lo, s2
	s_mov_b32 s2, 0
	s_cbranch_vccnz .LBB280_1842
; %bb.1836:
	v_cmp_lt_i16_e32 vcc_lo, 14, v6
	s_mov_b32 s2, -1
	s_cbranch_vccz .LBB280_1840
; %bb.1837:
	v_cmp_eq_u16_e32 vcc_lo, 15, v6
	s_mov_b32 s0, -1
	s_cbranch_vccz .LBB280_1839
; %bb.1838:
	v_cvt_f32_ubyte0_e32 v4, v9
	s_mov_b32 s0, 0
	s_mov_b32 s3, -1
	s_delay_alu instid0(VALU_DEP_1) | instskip(NEXT) | instid1(VALU_DEP_1)
	v_bfe_u32 v5, v4, 16, 1
	v_add3_u32 v4, v4, v5, 0x7fff
	global_store_d16_hi_b16 v[0:1], v4, off
.LBB280_1839:
	s_mov_b32 s2, 0
.LBB280_1840:
	s_delay_alu instid0(SALU_CYCLE_1)
	s_and_b32 vcc_lo, exec_lo, s2
	s_mov_b32 s2, 0
	s_cbranch_vccz .LBB280_1842
; %bb.1841:
	v_cmp_ne_u16_e64 s0, 11, v6
	s_mov_b32 s2, -1
.LBB280_1842:
	s_delay_alu instid0(VALU_DEP_1)
	s_and_b32 vcc_lo, exec_lo, s0
	s_cbranch_vccnz .LBB280_2031
; %bb.1843:
	s_and_not1_b32 vcc_lo, exec_lo, s2
	s_cbranch_vccnz .LBB280_1845
.LBB280_1844:
	v_cmp_ne_u16_e32 vcc_lo, 0, v9
	s_mov_b32 s3, -1
	v_cndmask_b32_e64 v4, 0, 1, vcc_lo
	global_store_b8 v[0:1], v4, off
.LBB280_1845:
	s_mov_b32 s0, 0
	s_branch .LBB280_1847
.LBB280_1846:
	s_mov_b32 s0, -1
	s_mov_b32 s3, 0
.LBB280_1847:
	s_and_b32 vcc_lo, exec_lo, s0
	s_cbranch_vccz .LBB280_1886
; %bb.1848:
	v_cmp_gt_i16_e32 vcc_lo, 5, v6
	s_mov_b32 s0, -1
	s_cbranch_vccnz .LBB280_1869
; %bb.1849:
	v_cmp_gt_i16_e32 vcc_lo, 8, v6
	s_cbranch_vccnz .LBB280_1859
; %bb.1850:
	v_cmp_gt_i16_e32 vcc_lo, 9, v6
	s_cbranch_vccnz .LBB280_1856
; %bb.1851:
	v_cmp_lt_i16_e32 vcc_lo, 9, v6
	s_cbranch_vccz .LBB280_1853
; %bb.1852:
	v_mov_b32_e32 v12, 0
	v_and_b32_e32 v4, 0xffff, v9
	s_mov_b32 s0, 0
	s_delay_alu instid0(VALU_DEP_2) | instskip(NEXT) | instid1(VALU_DEP_2)
	v_mov_b32_e32 v13, v12
	v_cvt_f64_u32_e32 v[10:11], v4
	global_store_b128 v[0:1], v[10:13], off
.LBB280_1853:
	s_and_not1_b32 vcc_lo, exec_lo, s0
	s_cbranch_vccnz .LBB280_1855
; %bb.1854:
	v_cvt_f32_ubyte0_e32 v4, v9
	v_mov_b32_e32 v5, 0
	global_store_b64 v[0:1], v[4:5], off
.LBB280_1855:
	s_mov_b32 s0, 0
.LBB280_1856:
	s_delay_alu instid0(SALU_CYCLE_1)
	s_and_not1_b32 vcc_lo, exec_lo, s0
	s_cbranch_vccnz .LBB280_1858
; %bb.1857:
	v_cvt_f16_u16_e32 v4, v9
	s_delay_alu instid0(VALU_DEP_1)
	v_and_b32_e32 v4, 0xffff, v4
	global_store_b32 v[0:1], v4, off
.LBB280_1858:
	s_mov_b32 s0, 0
.LBB280_1859:
	s_delay_alu instid0(SALU_CYCLE_1)
	s_and_not1_b32 vcc_lo, exec_lo, s0
	s_cbranch_vccnz .LBB280_1868
; %bb.1860:
	v_cmp_gt_i16_e32 vcc_lo, 6, v6
	s_mov_b32 s0, -1
	s_cbranch_vccnz .LBB280_1866
; %bb.1861:
	v_cmp_lt_i16_e32 vcc_lo, 6, v6
	s_cbranch_vccz .LBB280_1863
; %bb.1862:
	v_and_b32_e32 v4, 0xffff, v9
	s_mov_b32 s0, 0
	s_delay_alu instid0(VALU_DEP_1)
	v_cvt_f64_u32_e32 v[4:5], v4
	global_store_b64 v[0:1], v[4:5], off
.LBB280_1863:
	s_and_not1_b32 vcc_lo, exec_lo, s0
	s_cbranch_vccnz .LBB280_1865
; %bb.1864:
	v_cvt_f32_ubyte0_e32 v4, v9
	global_store_b32 v[0:1], v4, off
.LBB280_1865:
	s_mov_b32 s0, 0
.LBB280_1866:
	s_delay_alu instid0(SALU_CYCLE_1)
	s_and_not1_b32 vcc_lo, exec_lo, s0
	s_cbranch_vccnz .LBB280_1868
; %bb.1867:
	v_cvt_f16_u16_e32 v4, v9
	global_store_b16 v[0:1], v4, off
.LBB280_1868:
	s_mov_b32 s0, 0
.LBB280_1869:
	s_delay_alu instid0(SALU_CYCLE_1)
	s_and_not1_b32 vcc_lo, exec_lo, s0
	s_cbranch_vccnz .LBB280_1885
; %bb.1870:
	v_cmp_gt_i16_e32 vcc_lo, 2, v6
	s_mov_b32 s0, -1
	s_cbranch_vccnz .LBB280_1880
; %bb.1871:
	v_cmp_gt_i16_e32 vcc_lo, 3, v6
	s_cbranch_vccnz .LBB280_1877
; %bb.1872:
	v_cmp_lt_i16_e32 vcc_lo, 3, v6
	v_and_b32_e32 v4, 0xffff, v9
	s_cbranch_vccz .LBB280_1874
; %bb.1873:
	s_mov_b32 s0, 0
	s_delay_alu instid0(SALU_CYCLE_1)
	v_mov_b32_e32 v5, s0
	global_store_b64 v[0:1], v[4:5], off
.LBB280_1874:
	s_and_not1_b32 vcc_lo, exec_lo, s0
	s_cbranch_vccnz .LBB280_1876
; %bb.1875:
	global_store_b32 v[0:1], v4, off
.LBB280_1876:
	s_mov_b32 s0, 0
.LBB280_1877:
	s_delay_alu instid0(SALU_CYCLE_1)
	s_and_not1_b32 vcc_lo, exec_lo, s0
	s_cbranch_vccnz .LBB280_1879
; %bb.1878:
	global_store_b16 v[0:1], v9, off
.LBB280_1879:
	s_mov_b32 s0, 0
.LBB280_1880:
	s_delay_alu instid0(SALU_CYCLE_1)
	s_and_not1_b32 vcc_lo, exec_lo, s0
	s_cbranch_vccnz .LBB280_1885
; %bb.1881:
	v_cmp_lt_i16_e32 vcc_lo, 0, v6
	s_mov_b32 s0, -1
	s_cbranch_vccz .LBB280_1883
; %bb.1882:
	s_mov_b32 s0, 0
	global_store_b8 v[0:1], v9, off
.LBB280_1883:
	s_and_not1_b32 vcc_lo, exec_lo, s0
	s_cbranch_vccnz .LBB280_1885
; %bb.1884:
	global_store_b8 v[0:1], v9, off
.LBB280_1885:
	s_mov_b32 s3, -1
.LBB280_1886:
	s_delay_alu instid0(SALU_CYCLE_1)
	s_and_not1_b32 vcc_lo, exec_lo, s3
	s_cbranch_vccnz .LBB280_1963
; %bb.1887:
	v_and_b32_e32 v0, 0xff, v3
	v_add_nc_u32_e32 v1, s1, v2
	v_cmp_gt_i16_e32 vcc_lo, 11, v6
	s_delay_alu instid0(VALU_DEP_3) | instskip(NEXT) | instid1(VALU_DEP_3)
	v_max_u16 v0, v0, v8
	v_ashrrev_i32_e32 v3, 31, v1
	s_delay_alu instid0(VALU_DEP_2) | instskip(SKIP_1) | instid1(VALU_DEP_1)
	v_min_u16 v2, v0, v7
	v_add_co_u32 v0, s0, s4, v1
	v_add_co_ci_u32_e64 v1, s0, s5, v3, s0
	s_cbranch_vccnz .LBB280_2008
; %bb.1888:
	v_cmp_lt_i16_e32 vcc_lo, 25, v6
	s_mov_b32 s2, -1
	s_mov_b32 s1, 0
	s_mov_b32 s0, 0
	s_cbranch_vccz .LBB280_1921
; %bb.1889:
	v_cmp_lt_i16_e32 vcc_lo, 28, v6
	s_cbranch_vccz .LBB280_1905
; %bb.1890:
	v_cmp_lt_i16_e32 vcc_lo, 43, v6
	;; [unrolled: 3-line block ×3, first 2 shown]
	s_cbranch_vccz .LBB280_1895
; %bb.1892:
	v_cmp_eq_u16_e32 vcc_lo, 46, v6
	s_mov_b32 s0, -1
	s_cbranch_vccz .LBB280_1894
; %bb.1893:
	v_cvt_f32_ubyte0_e32 v3, v2
	s_mov_b32 s0, 0
	s_delay_alu instid0(VALU_DEP_1) | instskip(NEXT) | instid1(VALU_DEP_1)
	v_bfe_u32 v4, v3, 16, 1
	v_add3_u32 v3, v3, v4, 0x7fff
	s_delay_alu instid0(VALU_DEP_1)
	v_lshrrev_b32_e32 v3, 16, v3
	global_store_b32 v[0:1], v3, off
.LBB280_1894:
	s_mov_b32 s2, 0
.LBB280_1895:
	s_delay_alu instid0(SALU_CYCLE_1)
	s_and_b32 vcc_lo, exec_lo, s2
	s_cbranch_vccz .LBB280_1900
; %bb.1896:
	v_cmp_eq_u16_e32 vcc_lo, 44, v6
	s_mov_b32 s0, -1
	s_cbranch_vccz .LBB280_1900
; %bb.1897:
	v_cvt_f32_ubyte0_e32 v5, v2
	v_mov_b32_e32 v4, 0xff
	s_mov_b32 s2, exec_lo
	s_delay_alu instid0(VALU_DEP_2) | instskip(NEXT) | instid1(VALU_DEP_1)
	v_lshrrev_b32_e32 v3, 23, v5
	v_cmpx_ne_u32_e32 0xff, v3
; %bb.1898:
	v_and_b32_e32 v4, 0x400000, v5
	v_and_or_b32 v5, 0x3fffff, v5, v3
	s_delay_alu instid0(VALU_DEP_2) | instskip(NEXT) | instid1(VALU_DEP_2)
	v_cmp_ne_u32_e32 vcc_lo, 0, v4
	v_cmp_ne_u32_e64 s0, 0, v5
	s_delay_alu instid0(VALU_DEP_1) | instskip(NEXT) | instid1(SALU_CYCLE_1)
	s_and_b32 s0, vcc_lo, s0
	v_cndmask_b32_e64 v4, 0, 1, s0
	s_delay_alu instid0(VALU_DEP_1)
	v_add_nc_u32_e32 v4, v3, v4
; %bb.1899:
	s_or_b32 exec_lo, exec_lo, s2
	s_mov_b32 s0, 0
	global_store_b8 v[0:1], v4, off
.LBB280_1900:
	s_mov_b32 s2, 0
.LBB280_1901:
	s_delay_alu instid0(SALU_CYCLE_1)
	s_and_b32 vcc_lo, exec_lo, s2
	s_cbranch_vccz .LBB280_1904
; %bb.1902:
	v_cmp_eq_u16_e32 vcc_lo, 29, v6
	s_mov_b32 s0, -1
	s_cbranch_vccz .LBB280_1904
; %bb.1903:
	s_mov_b32 s0, 0
	s_delay_alu instid0(SALU_CYCLE_1)
	v_dual_mov_b32 v4, s0 :: v_dual_and_b32 v3, 0xffff, v2
	global_store_b64 v[0:1], v[3:4], off
.LBB280_1904:
	s_mov_b32 s2, 0
.LBB280_1905:
	s_delay_alu instid0(SALU_CYCLE_1)
	s_and_b32 vcc_lo, exec_lo, s2
	s_cbranch_vccz .LBB280_1920
; %bb.1906:
	v_cmp_gt_i16_e32 vcc_lo, 27, v6
	s_mov_b32 s2, -1
	s_cbranch_vccnz .LBB280_1912
; %bb.1907:
	v_cmp_lt_i16_e32 vcc_lo, 27, v6
	s_cbranch_vccz .LBB280_1909
; %bb.1908:
	v_and_b32_e32 v3, 0xffff, v2
	s_mov_b32 s2, 0
	global_store_b32 v[0:1], v3, off
.LBB280_1909:
	s_and_not1_b32 vcc_lo, exec_lo, s2
	s_cbranch_vccnz .LBB280_1911
; %bb.1910:
	global_store_b16 v[0:1], v2, off
.LBB280_1911:
	s_mov_b32 s2, 0
.LBB280_1912:
	s_delay_alu instid0(SALU_CYCLE_1)
	s_and_not1_b32 vcc_lo, exec_lo, s2
	s_cbranch_vccnz .LBB280_1920
; %bb.1913:
	v_cvt_f32_ubyte0_e32 v4, v2
	v_mov_b32_e32 v5, 0x80
	s_mov_b32 s2, exec_lo
	s_delay_alu instid0(VALU_DEP_2)
	v_cmpx_gt_u32_e32 0x43800000, v4
	s_cbranch_execz .LBB280_1919
; %bb.1914:
	s_mov_b32 s3, 0
	s_mov_b32 s4, exec_lo
                                        ; implicit-def: $vgpr3
	v_cmpx_lt_u32_e32 0x3bffffff, v4
	s_xor_b32 s4, exec_lo, s4
	s_cbranch_execz .LBB280_2035
; %bb.1915:
	v_bfe_u32 v3, v4, 20, 1
	s_mov_b32 s3, exec_lo
	s_delay_alu instid0(VALU_DEP_1) | instskip(NEXT) | instid1(VALU_DEP_1)
	v_add3_u32 v3, v4, v3, 0x487ffff
                                        ; implicit-def: $vgpr4
	v_lshrrev_b32_e32 v3, 20, v3
	s_or_saveexec_b32 s4, s4
                                        ; implicit-def: $sgpr5
	s_delay_alu instid0(SALU_CYCLE_1)
	s_xor_b32 exec_lo, exec_lo, s4
	s_cbranch_execnz .LBB280_2036
.LBB280_1916:
	s_or_b32 exec_lo, exec_lo, s4
	v_mov_b32_e32 v5, s5
	s_and_saveexec_b32 s4, s3
.LBB280_1917:
	v_mov_b32_e32 v5, v3
.LBB280_1918:
	s_or_b32 exec_lo, exec_lo, s4
.LBB280_1919:
	s_delay_alu instid0(SALU_CYCLE_1)
	s_or_b32 exec_lo, exec_lo, s2
	global_store_b8 v[0:1], v5, off
.LBB280_1920:
	s_mov_b32 s2, 0
.LBB280_1921:
	s_delay_alu instid0(SALU_CYCLE_1)
	s_and_b32 vcc_lo, exec_lo, s2
	s_cbranch_vccz .LBB280_1961
; %bb.1922:
	v_cmp_lt_i16_e32 vcc_lo, 22, v6
	s_mov_b32 s1, -1
	s_cbranch_vccz .LBB280_1954
; %bb.1923:
	v_cmp_gt_i16_e32 vcc_lo, 24, v6
	s_cbranch_vccnz .LBB280_1943
; %bb.1924:
	v_cmp_lt_i16_e32 vcc_lo, 24, v6
	s_cbranch_vccz .LBB280_1932
; %bb.1925:
	v_cvt_f32_ubyte0_e32 v4, v2
	v_mov_b32_e32 v5, 0x80
	s_mov_b32 s1, exec_lo
	s_delay_alu instid0(VALU_DEP_2)
	v_cmpx_gt_u32_e32 0x47800000, v4
	s_cbranch_execz .LBB280_1931
; %bb.1926:
	s_mov_b32 s2, 0
	s_mov_b32 s3, exec_lo
                                        ; implicit-def: $vgpr3
	v_cmpx_lt_u32_e32 0x37ffffff, v4
	s_xor_b32 s3, exec_lo, s3
	s_cbranch_execz .LBB280_2041
; %bb.1927:
	v_bfe_u32 v3, v4, 21, 1
	s_mov_b32 s2, exec_lo
	s_delay_alu instid0(VALU_DEP_1) | instskip(NEXT) | instid1(VALU_DEP_1)
	v_add3_u32 v3, v4, v3, 0x88fffff
                                        ; implicit-def: $vgpr4
	v_lshrrev_b32_e32 v3, 21, v3
	s_or_saveexec_b32 s3, s3
                                        ; implicit-def: $sgpr4
	s_delay_alu instid0(SALU_CYCLE_1)
	s_xor_b32 exec_lo, exec_lo, s3
	s_cbranch_execnz .LBB280_2042
.LBB280_1928:
	s_or_b32 exec_lo, exec_lo, s3
	v_mov_b32_e32 v5, s4
	s_and_saveexec_b32 s3, s2
.LBB280_1929:
	v_mov_b32_e32 v5, v3
.LBB280_1930:
	s_or_b32 exec_lo, exec_lo, s3
.LBB280_1931:
	s_delay_alu instid0(SALU_CYCLE_1)
	s_or_b32 exec_lo, exec_lo, s1
	s_mov_b32 s1, 0
	global_store_b8 v[0:1], v5, off
.LBB280_1932:
	s_and_b32 vcc_lo, exec_lo, s1
	s_cbranch_vccz .LBB280_1942
; %bb.1933:
	v_cvt_f32_ubyte0_e32 v4, v2
	s_mov_b32 s1, exec_lo
                                        ; implicit-def: $vgpr3
	s_delay_alu instid0(VALU_DEP_1)
	v_cmpx_gt_u32_e32 0x43f00000, v4
	s_xor_b32 s1, exec_lo, s1
	s_cbranch_execz .LBB280_1939
; %bb.1934:
	s_mov_b32 s2, exec_lo
                                        ; implicit-def: $vgpr3
	v_cmpx_lt_u32_e32 0x3c7fffff, v4
	s_xor_b32 s2, exec_lo, s2
; %bb.1935:
	v_bfe_u32 v3, v4, 20, 1
	s_delay_alu instid0(VALU_DEP_1) | instskip(NEXT) | instid1(VALU_DEP_1)
	v_add3_u32 v3, v4, v3, 0x407ffff
	v_and_b32_e32 v4, 0xff00000, v3
	v_lshrrev_b32_e32 v3, 20, v3
	s_delay_alu instid0(VALU_DEP_2) | instskip(NEXT) | instid1(VALU_DEP_2)
	v_cmp_ne_u32_e32 vcc_lo, 0x7f00000, v4
                                        ; implicit-def: $vgpr4
	v_cndmask_b32_e32 v3, 0x7e, v3, vcc_lo
; %bb.1936:
	s_and_not1_saveexec_b32 s2, s2
; %bb.1937:
	v_add_f32_e32 v3, 0x46800000, v4
; %bb.1938:
	s_or_b32 exec_lo, exec_lo, s2
                                        ; implicit-def: $vgpr4
.LBB280_1939:
	s_and_not1_saveexec_b32 s1, s1
; %bb.1940:
	v_mov_b32_e32 v3, 0x7f
	v_cmp_lt_u32_e32 vcc_lo, 0x7f800000, v4
	s_delay_alu instid0(VALU_DEP_2)
	v_cndmask_b32_e32 v3, 0x7e, v3, vcc_lo
; %bb.1941:
	s_or_b32 exec_lo, exec_lo, s1
	global_store_b8 v[0:1], v3, off
.LBB280_1942:
	s_mov_b32 s1, 0
.LBB280_1943:
	s_delay_alu instid0(SALU_CYCLE_1)
	s_and_not1_b32 vcc_lo, exec_lo, s1
	s_cbranch_vccnz .LBB280_1953
; %bb.1944:
	v_cvt_f32_ubyte0_e32 v4, v2
	s_mov_b32 s1, exec_lo
                                        ; implicit-def: $vgpr3
	s_delay_alu instid0(VALU_DEP_1)
	v_cmpx_gt_u32_e32 0x47800000, v4
	s_xor_b32 s1, exec_lo, s1
	s_cbranch_execz .LBB280_1950
; %bb.1945:
	s_mov_b32 s2, exec_lo
                                        ; implicit-def: $vgpr3
	v_cmpx_lt_u32_e32 0x387fffff, v4
	s_xor_b32 s2, exec_lo, s2
; %bb.1946:
	v_bfe_u32 v3, v4, 21, 1
	s_delay_alu instid0(VALU_DEP_1) | instskip(NEXT) | instid1(VALU_DEP_1)
	v_add3_u32 v3, v4, v3, 0x80fffff
                                        ; implicit-def: $vgpr4
	v_lshrrev_b32_e32 v3, 21, v3
; %bb.1947:
	s_and_not1_saveexec_b32 s2, s2
; %bb.1948:
	v_add_f32_e32 v3, 0x43000000, v4
; %bb.1949:
	s_or_b32 exec_lo, exec_lo, s2
                                        ; implicit-def: $vgpr4
.LBB280_1950:
	s_and_not1_saveexec_b32 s1, s1
; %bb.1951:
	v_mov_b32_e32 v3, 0x7f
	v_cmp_lt_u32_e32 vcc_lo, 0x7f800000, v4
	s_delay_alu instid0(VALU_DEP_2)
	v_cndmask_b32_e32 v3, 0x7c, v3, vcc_lo
; %bb.1952:
	s_or_b32 exec_lo, exec_lo, s1
	global_store_b8 v[0:1], v3, off
.LBB280_1953:
	s_mov_b32 s1, 0
.LBB280_1954:
	s_delay_alu instid0(SALU_CYCLE_1)
	s_and_not1_b32 vcc_lo, exec_lo, s1
	s_mov_b32 s1, 0
	s_cbranch_vccnz .LBB280_1961
; %bb.1955:
	v_cmp_lt_i16_e32 vcc_lo, 14, v6
	s_mov_b32 s1, -1
	s_cbranch_vccz .LBB280_1959
; %bb.1956:
	v_cmp_eq_u16_e32 vcc_lo, 15, v6
	s_mov_b32 s0, -1
	s_cbranch_vccz .LBB280_1958
; %bb.1957:
	v_cvt_f32_ubyte0_e32 v3, v2
	s_mov_b32 s0, 0
	s_delay_alu instid0(VALU_DEP_1) | instskip(NEXT) | instid1(VALU_DEP_1)
	v_bfe_u32 v4, v3, 16, 1
	v_add3_u32 v3, v3, v4, 0x7fff
	global_store_d16_hi_b16 v[0:1], v3, off
.LBB280_1958:
	s_mov_b32 s1, 0
.LBB280_1959:
	s_delay_alu instid0(SALU_CYCLE_1)
	s_and_b32 vcc_lo, exec_lo, s1
	s_mov_b32 s1, 0
	s_cbranch_vccz .LBB280_1961
; %bb.1960:
	v_cmp_ne_u16_e64 s0, 11, v6
	s_mov_b32 s1, -1
.LBB280_1961:
	s_delay_alu instid0(VALU_DEP_1)
	s_and_b32 vcc_lo, exec_lo, s0
	s_cbranch_vccnz .LBB280_2039
.LBB280_1962:
	s_mov_b32 s0, 0
	s_branch .LBB280_1964
.LBB280_1963:
	s_mov_b32 s0, 0
	s_mov_b32 s1, 0
                                        ; implicit-def: $vgpr6
                                        ; implicit-def: $vgpr0_vgpr1
                                        ; implicit-def: $vgpr2
.LBB280_1964:
	s_and_not1_b32 s2, s13, exec_lo
	s_and_b32 s3, s11, exec_lo
	s_and_b32 s0, s0, exec_lo
	;; [unrolled: 1-line block ×3, first 2 shown]
	s_or_b32 s13, s2, s3
.LBB280_1965:
	s_or_b32 exec_lo, exec_lo, s12
	s_and_saveexec_b32 s1, s13
	s_cbranch_execz .LBB280_1968
; %bb.1966:
	; divergent unreachable
	s_or_b32 exec_lo, exec_lo, s1
	s_and_saveexec_b32 s1, s11
	s_delay_alu instid0(SALU_CYCLE_1)
	s_xor_b32 s1, exec_lo, s1
	s_cbranch_execnz .LBB280_1969
.LBB280_1967:
	s_or_b32 exec_lo, exec_lo, s1
	s_and_saveexec_b32 s1, s0
	s_cbranch_execnz .LBB280_1970
	s_branch .LBB280_2007
.LBB280_1968:
	s_or_b32 exec_lo, exec_lo, s1
	s_and_saveexec_b32 s1, s11
	s_delay_alu instid0(SALU_CYCLE_1)
	s_xor_b32 s1, exec_lo, s1
	s_cbranch_execz .LBB280_1967
.LBB280_1969:
	s_waitcnt vmcnt(0)
	v_and_b32_e32 v3, 0xff, v2
	s_delay_alu instid0(VALU_DEP_1)
	v_cmp_ne_u16_e32 vcc_lo, 0, v3
	v_cndmask_b32_e64 v3, 0, 1, vcc_lo
	global_store_b8 v[0:1], v3, off
	s_or_b32 exec_lo, exec_lo, s1
	s_and_saveexec_b32 s1, s0
	s_cbranch_execz .LBB280_2007
.LBB280_1970:
	v_cmp_gt_i16_e32 vcc_lo, 5, v6
	s_mov_b32 s0, -1
	s_cbranch_vccnz .LBB280_1991
; %bb.1971:
	v_cmp_gt_i16_e32 vcc_lo, 8, v6
	s_cbranch_vccnz .LBB280_1981
; %bb.1972:
	v_cmp_gt_i16_e32 vcc_lo, 9, v6
	s_cbranch_vccnz .LBB280_1978
; %bb.1973:
	v_cmp_lt_i16_e32 vcc_lo, 9, v6
	s_cbranch_vccz .LBB280_1975
; %bb.1974:
	v_mov_b32_e32 v9, 0
	s_waitcnt vmcnt(0)
	v_and_b32_e32 v3, 0xff, v2
	s_mov_b32 s0, 0
	s_delay_alu instid0(VALU_DEP_1) | instskip(NEXT) | instid1(VALU_DEP_1)
	v_dual_mov_b32 v10, v9 :: v_dual_and_b32 v3, 0xffff, v3
	v_cvt_f64_u32_e32 v[7:8], v3
	global_store_b128 v[0:1], v[7:10], off
.LBB280_1975:
	s_and_not1_b32 vcc_lo, exec_lo, s0
	s_cbranch_vccnz .LBB280_1977
; %bb.1976:
	s_waitcnt vmcnt(0)
	v_cvt_f32_ubyte0_e32 v3, v2
	v_mov_b32_e32 v4, 0
	global_store_b64 v[0:1], v[3:4], off
.LBB280_1977:
	s_mov_b32 s0, 0
.LBB280_1978:
	s_delay_alu instid0(SALU_CYCLE_1)
	s_and_not1_b32 vcc_lo, exec_lo, s0
	s_cbranch_vccnz .LBB280_1980
; %bb.1979:
	s_waitcnt vmcnt(0)
	v_and_b32_e32 v3, 0xff, v2
	s_delay_alu instid0(VALU_DEP_1) | instskip(NEXT) | instid1(VALU_DEP_1)
	v_cvt_f16_u16_e32 v3, v3
	v_and_b32_e32 v3, 0xffff, v3
	global_store_b32 v[0:1], v3, off
.LBB280_1980:
	s_mov_b32 s0, 0
.LBB280_1981:
	s_delay_alu instid0(SALU_CYCLE_1)
	s_and_not1_b32 vcc_lo, exec_lo, s0
	s_cbranch_vccnz .LBB280_1990
; %bb.1982:
	v_cmp_gt_i16_e32 vcc_lo, 6, v6
	s_mov_b32 s0, -1
	s_cbranch_vccnz .LBB280_1988
; %bb.1983:
	v_cmp_lt_i16_e32 vcc_lo, 6, v6
	s_cbranch_vccz .LBB280_1985
; %bb.1984:
	s_waitcnt vmcnt(0)
	v_and_b32_e32 v3, 0xff, v2
	s_mov_b32 s0, 0
	s_delay_alu instid0(VALU_DEP_1) | instskip(NEXT) | instid1(VALU_DEP_1)
	v_and_b32_e32 v3, 0xffff, v3
	v_cvt_f64_u32_e32 v[3:4], v3
	global_store_b64 v[0:1], v[3:4], off
.LBB280_1985:
	s_and_not1_b32 vcc_lo, exec_lo, s0
	s_cbranch_vccnz .LBB280_1987
; %bb.1986:
	s_waitcnt vmcnt(0)
	v_cvt_f32_ubyte0_e32 v3, v2
	global_store_b32 v[0:1], v3, off
.LBB280_1987:
	s_mov_b32 s0, 0
.LBB280_1988:
	s_delay_alu instid0(SALU_CYCLE_1)
	s_and_not1_b32 vcc_lo, exec_lo, s0
	s_cbranch_vccnz .LBB280_1990
; %bb.1989:
	s_waitcnt vmcnt(0)
	v_and_b32_e32 v3, 0xff, v2
	s_delay_alu instid0(VALU_DEP_1)
	v_cvt_f16_u16_e32 v3, v3
	global_store_b16 v[0:1], v3, off
.LBB280_1990:
	s_mov_b32 s0, 0
.LBB280_1991:
	s_delay_alu instid0(SALU_CYCLE_1)
	s_and_not1_b32 vcc_lo, exec_lo, s0
	s_cbranch_vccnz .LBB280_2007
; %bb.1992:
	v_cmp_gt_i16_e32 vcc_lo, 2, v6
	s_mov_b32 s0, -1
	s_cbranch_vccnz .LBB280_2002
; %bb.1993:
	v_cmp_gt_i16_e32 vcc_lo, 3, v6
	s_cbranch_vccnz .LBB280_1999
; %bb.1994:
	v_cmp_lt_i16_e32 vcc_lo, 3, v6
	s_cbranch_vccz .LBB280_1996
; %bb.1995:
	s_waitcnt vmcnt(0)
	v_dual_mov_b32 v4, 0 :: v_dual_and_b32 v3, 0xff, v2
	s_mov_b32 s0, 0
	global_store_b64 v[0:1], v[3:4], off
.LBB280_1996:
	s_and_not1_b32 vcc_lo, exec_lo, s0
	s_cbranch_vccnz .LBB280_1998
; %bb.1997:
	s_waitcnt vmcnt(0)
	v_and_b32_e32 v3, 0xff, v2
	global_store_b32 v[0:1], v3, off
.LBB280_1998:
	s_mov_b32 s0, 0
.LBB280_1999:
	s_delay_alu instid0(SALU_CYCLE_1)
	s_and_not1_b32 vcc_lo, exec_lo, s0
	s_cbranch_vccnz .LBB280_2001
; %bb.2000:
	s_waitcnt vmcnt(0)
	v_and_b32_e32 v3, 0xff, v2
	global_store_b16 v[0:1], v3, off
.LBB280_2001:
	s_mov_b32 s0, 0
.LBB280_2002:
	s_delay_alu instid0(SALU_CYCLE_1)
	s_and_not1_b32 vcc_lo, exec_lo, s0
	s_cbranch_vccnz .LBB280_2007
; %bb.2003:
	v_cmp_lt_i16_e32 vcc_lo, 0, v6
	s_mov_b32 s0, -1
	s_cbranch_vccz .LBB280_2005
; %bb.2004:
	s_mov_b32 s0, 0
	s_waitcnt vmcnt(0)
	global_store_b8 v[0:1], v2, off
.LBB280_2005:
	s_and_not1_b32 vcc_lo, exec_lo, s0
	s_cbranch_vccnz .LBB280_2007
; %bb.2006:
	s_waitcnt vmcnt(0)
	global_store_b8 v[0:1], v2, off
	s_nop 0
	s_sendmsg sendmsg(MSG_DEALLOC_VGPRS)
	s_endpgm
.LBB280_2007:
	s_nop 0
	s_sendmsg sendmsg(MSG_DEALLOC_VGPRS)
	s_endpgm
.LBB280_2008:
	s_mov_b32 s1, 0
	s_mov_b32 s0, -1
	s_branch .LBB280_1964
.LBB280_2009:
	s_cbranch_execnz .LBB280_2013
; %bb.2010:
	s_or_b32 s11, s11, exec_lo
                                        ; implicit-def: $vgpr3
	s_cbranch_execz .LBB280_1478
	s_branch .LBB280_1479
.LBB280_2011:
	s_or_saveexec_b32 s7, s7
                                        ; implicit-def: $sgpr8
	s_delay_alu instid0(SALU_CYCLE_1)
	s_xor_b32 exec_lo, exec_lo, s7
	s_cbranch_execz .LBB280_1558
.LBB280_2012:
	v_add_f32_e32 v10, 0x46000000, v11
	s_and_not1_b32 s6, s6, exec_lo
	s_mov_b32 s8, 0
	s_delay_alu instid0(VALU_DEP_1) | instskip(NEXT) | instid1(VALU_DEP_1)
	v_and_b32_e32 v10, 0xff, v10
	v_cmp_ne_u32_e32 vcc_lo, 0, v10
	s_and_b32 s9, vcc_lo, exec_lo
	s_delay_alu instid0(SALU_CYCLE_1)
	s_or_b32 s6, s6, s9
	s_or_b32 exec_lo, exec_lo, s7
	v_mov_b32_e32 v12, s8
	s_and_saveexec_b32 s7, s6
	s_cbranch_execnz .LBB280_1559
	s_branch .LBB280_1560
.LBB280_2013:
	s_trap 2
	s_sendmsg_rtn_b32 s0, sendmsg(MSG_RTN_GET_DOORBELL)
	s_mov_b32 ttmp2, m0
	s_waitcnt lgkmcnt(0)
	s_and_b32 s0, s0, 0x3ff
	s_delay_alu instid0(SALU_CYCLE_1) | instskip(NEXT) | instid1(SALU_CYCLE_1)
	s_bitset1_b32 s0, 10
	s_mov_b32 m0, s0
	s_sendmsg sendmsg(MSG_INTERRUPT)
	s_mov_b32 m0, ttmp2
.LBB280_2014:                           ; =>This Inner Loop Header: Depth=1
	s_sethalt 5
	s_branch .LBB280_2014
.LBB280_2015:
	s_cbranch_execnz .LBB280_2021
; %bb.2016:
	s_or_b32 s11, s11, exec_lo
	s_cbranch_execz .LBB280_1606
	s_branch .LBB280_1607
.LBB280_2017:
	s_or_saveexec_b32 s6, s6
                                        ; implicit-def: $sgpr7
	s_delay_alu instid0(SALU_CYCLE_1)
	s_xor_b32 exec_lo, exec_lo, s6
	s_cbranch_execz .LBB280_1571
.LBB280_2018:
	v_add_f32_e32 v10, 0x42800000, v11
	s_and_not1_b32 s3, s3, exec_lo
	s_mov_b32 s7, 0
	s_delay_alu instid0(VALU_DEP_1) | instskip(NEXT) | instid1(VALU_DEP_1)
	v_and_b32_e32 v10, 0xff, v10
	v_cmp_ne_u32_e32 vcc_lo, 0, v10
	s_and_b32 s8, vcc_lo, exec_lo
	s_delay_alu instid0(SALU_CYCLE_1)
	s_or_b32 s3, s3, s8
	s_or_b32 exec_lo, exec_lo, s6
	v_mov_b32_e32 v12, s7
	s_and_saveexec_b32 s6, s3
	s_cbranch_execnz .LBB280_1572
	s_branch .LBB280_1573
.LBB280_2019:
	s_or_saveexec_b32 s7, s7
                                        ; implicit-def: $sgpr8
	s_delay_alu instid0(SALU_CYCLE_1)
	s_xor_b32 exec_lo, exec_lo, s7
	s_cbranch_execz .LBB280_1677
.LBB280_2020:
	v_add_f32_e32 v4, 0x46000000, v5
	s_and_not1_b32 s6, s6, exec_lo
	s_mov_b32 s8, 0
	s_delay_alu instid0(VALU_DEP_1) | instskip(NEXT) | instid1(VALU_DEP_1)
	v_and_b32_e32 v4, 0xff, v4
	v_cmp_ne_u32_e32 vcc_lo, 0, v4
	s_and_b32 s9, vcc_lo, exec_lo
	s_delay_alu instid0(SALU_CYCLE_1)
	s_or_b32 s6, s6, s9
	s_or_b32 exec_lo, exec_lo, s7
	v_mov_b32_e32 v11, s8
	s_and_saveexec_b32 s7, s6
	s_cbranch_execnz .LBB280_1678
	s_branch .LBB280_1679
.LBB280_2021:
	s_trap 2
	s_sendmsg_rtn_b32 s0, sendmsg(MSG_RTN_GET_DOORBELL)
	s_mov_b32 ttmp2, m0
	s_waitcnt lgkmcnt(0)
	s_and_b32 s0, s0, 0x3ff
	s_delay_alu instid0(SALU_CYCLE_1) | instskip(NEXT) | instid1(SALU_CYCLE_1)
	s_bitset1_b32 s0, 10
	s_mov_b32 m0, s0
	s_sendmsg sendmsg(MSG_INTERRUPT)
	s_mov_b32 m0, ttmp2
.LBB280_2022:                           ; =>This Inner Loop Header: Depth=1
	s_sethalt 5
	s_branch .LBB280_2022
.LBB280_2023:
	s_cbranch_execnz .LBB280_2029
; %bb.2024:
	s_or_b32 s11, s11, exec_lo
	s_cbranch_execz .LBB280_1725
	s_branch .LBB280_1726
.LBB280_2025:
	s_or_saveexec_b32 s6, s6
                                        ; implicit-def: $sgpr7
	s_delay_alu instid0(SALU_CYCLE_1)
	s_xor_b32 exec_lo, exec_lo, s6
	s_cbranch_execz .LBB280_1690
.LBB280_2026:
	v_add_f32_e32 v4, 0x42800000, v5
	s_and_not1_b32 s3, s3, exec_lo
	s_mov_b32 s7, 0
	s_delay_alu instid0(VALU_DEP_1) | instskip(NEXT) | instid1(VALU_DEP_1)
	v_and_b32_e32 v4, 0xff, v4
	v_cmp_ne_u32_e32 vcc_lo, 0, v4
	s_and_b32 s8, vcc_lo, exec_lo
	s_delay_alu instid0(SALU_CYCLE_1)
	s_or_b32 s3, s3, s8
	s_or_b32 exec_lo, exec_lo, s6
	v_mov_b32_e32 v11, s7
	s_and_saveexec_b32 s6, s3
	s_cbranch_execnz .LBB280_1691
	s_branch .LBB280_1692
.LBB280_2027:
	s_or_saveexec_b32 s7, s7
                                        ; implicit-def: $sgpr8
	s_delay_alu instid0(SALU_CYCLE_1)
	s_xor_b32 exec_lo, exec_lo, s7
	s_cbranch_execz .LBB280_1796
.LBB280_2028:
	v_add_f32_e32 v4, 0x46000000, v5
	s_and_not1_b32 s6, s6, exec_lo
	s_mov_b32 s8, 0
	s_delay_alu instid0(VALU_DEP_1) | instskip(NEXT) | instid1(VALU_DEP_1)
	v_and_b32_e32 v4, 0xff, v4
	v_cmp_ne_u32_e32 vcc_lo, 0, v4
	s_and_b32 s9, vcc_lo, exec_lo
	s_delay_alu instid0(SALU_CYCLE_1)
	s_or_b32 s6, s6, s9
	s_or_b32 exec_lo, exec_lo, s7
	v_mov_b32_e32 v10, s8
	s_and_saveexec_b32 s7, s6
	s_cbranch_execnz .LBB280_1797
	s_branch .LBB280_1798
.LBB280_2029:
	s_trap 2
	s_sendmsg_rtn_b32 s0, sendmsg(MSG_RTN_GET_DOORBELL)
	s_mov_b32 ttmp2, m0
	s_waitcnt lgkmcnt(0)
	s_and_b32 s0, s0, 0x3ff
	s_delay_alu instid0(SALU_CYCLE_1) | instskip(NEXT) | instid1(SALU_CYCLE_1)
	s_bitset1_b32 s0, 10
	s_mov_b32 m0, s0
	s_sendmsg sendmsg(MSG_INTERRUPT)
	s_mov_b32 m0, ttmp2
.LBB280_2030:                           ; =>This Inner Loop Header: Depth=1
	s_sethalt 5
	s_branch .LBB280_2030
.LBB280_2031:
	s_cbranch_execnz .LBB280_2037
; %bb.2032:
	s_or_b32 s11, s11, exec_lo
	s_cbranch_execz .LBB280_1844
	s_branch .LBB280_1845
.LBB280_2033:
	s_or_saveexec_b32 s6, s6
                                        ; implicit-def: $sgpr7
	s_delay_alu instid0(SALU_CYCLE_1)
	s_xor_b32 exec_lo, exec_lo, s6
	s_cbranch_execz .LBB280_1809
.LBB280_2034:
	v_add_f32_e32 v4, 0x42800000, v5
	s_and_not1_b32 s3, s3, exec_lo
	s_mov_b32 s7, 0
	s_delay_alu instid0(VALU_DEP_1) | instskip(NEXT) | instid1(VALU_DEP_1)
	v_and_b32_e32 v4, 0xff, v4
	v_cmp_ne_u32_e32 vcc_lo, 0, v4
	s_and_b32 s8, vcc_lo, exec_lo
	s_delay_alu instid0(SALU_CYCLE_1)
	s_or_b32 s3, s3, s8
	s_or_b32 exec_lo, exec_lo, s6
	v_mov_b32_e32 v10, s7
	s_and_saveexec_b32 s6, s3
	s_cbranch_execnz .LBB280_1810
	s_branch .LBB280_1811
.LBB280_2035:
	s_or_saveexec_b32 s4, s4
                                        ; implicit-def: $sgpr5
	s_delay_alu instid0(SALU_CYCLE_1)
	s_xor_b32 exec_lo, exec_lo, s4
	s_cbranch_execz .LBB280_1916
.LBB280_2036:
	v_add_f32_e32 v3, 0x46000000, v4
	s_and_not1_b32 s3, s3, exec_lo
	s_mov_b32 s5, 0
	s_delay_alu instid0(VALU_DEP_1) | instskip(NEXT) | instid1(VALU_DEP_1)
	v_and_b32_e32 v3, 0xff, v3
	v_cmp_ne_u32_e32 vcc_lo, 0, v3
	s_and_b32 s6, vcc_lo, exec_lo
	s_delay_alu instid0(SALU_CYCLE_1)
	s_or_b32 s3, s3, s6
	s_or_b32 exec_lo, exec_lo, s4
	v_mov_b32_e32 v5, s5
	s_and_saveexec_b32 s4, s3
	s_cbranch_execnz .LBB280_1917
	s_branch .LBB280_1918
.LBB280_2037:
	s_trap 2
	s_sendmsg_rtn_b32 s0, sendmsg(MSG_RTN_GET_DOORBELL)
	s_mov_b32 ttmp2, m0
	s_waitcnt lgkmcnt(0)
	s_and_b32 s0, s0, 0x3ff
	s_delay_alu instid0(SALU_CYCLE_1) | instskip(NEXT) | instid1(SALU_CYCLE_1)
	s_bitset1_b32 s0, 10
	s_mov_b32 m0, s0
	s_sendmsg sendmsg(MSG_INTERRUPT)
	s_mov_b32 m0, ttmp2
.LBB280_2038:                           ; =>This Inner Loop Header: Depth=1
	s_sethalt 5
	s_branch .LBB280_2038
.LBB280_2039:
	s_cbranch_execnz .LBB280_2043
; %bb.2040:
	s_mov_b32 s1, 0
	s_or_b32 s11, s11, exec_lo
	s_branch .LBB280_1962
.LBB280_2041:
	s_or_saveexec_b32 s3, s3
                                        ; implicit-def: $sgpr4
	s_delay_alu instid0(SALU_CYCLE_1)
	s_xor_b32 exec_lo, exec_lo, s3
	s_cbranch_execz .LBB280_1928
.LBB280_2042:
	v_add_f32_e32 v3, 0x42800000, v4
	s_and_not1_b32 s2, s2, exec_lo
	s_mov_b32 s4, 0
	s_delay_alu instid0(VALU_DEP_1) | instskip(NEXT) | instid1(VALU_DEP_1)
	v_and_b32_e32 v3, 0xff, v3
	v_cmp_ne_u32_e32 vcc_lo, 0, v3
	s_and_b32 s5, vcc_lo, exec_lo
	s_delay_alu instid0(SALU_CYCLE_1)
	s_or_b32 s2, s2, s5
	s_or_b32 exec_lo, exec_lo, s3
	v_mov_b32_e32 v5, s4
	s_and_saveexec_b32 s3, s2
	s_cbranch_execnz .LBB280_1929
	s_branch .LBB280_1930
.LBB280_2043:
	s_trap 2
	s_sendmsg_rtn_b32 s0, sendmsg(MSG_RTN_GET_DOORBELL)
	s_mov_b32 ttmp2, m0
	s_waitcnt lgkmcnt(0)
	s_and_b32 s0, s0, 0x3ff
	s_delay_alu instid0(SALU_CYCLE_1) | instskip(NEXT) | instid1(SALU_CYCLE_1)
	s_bitset1_b32 s0, 10
	s_mov_b32 m0, s0
	s_sendmsg sendmsg(MSG_INTERRUPT)
	s_mov_b32 m0, ttmp2
.LBB280_2044:                           ; =>This Inner Loop Header: Depth=1
	s_sethalt 5
	s_branch .LBB280_2044
	.section	.rodata,"a",@progbits
	.p2align	6, 0x0
	.amdhsa_kernel _ZN2at6native32elementwise_kernel_manual_unrollILi128ELi4EZNS0_15gpu_kernel_implIZZZNS0_17clamp_kernel_cudaERNS_18TensorIteratorBaseERKN3c106ScalarES8_ENKUlvE_clEvENKUlvE_clEvEUlhE_EEvS4_RKT_EUlibE_EEviT1_
		.amdhsa_group_segment_fixed_size 0
		.amdhsa_private_segment_fixed_size 0
		.amdhsa_kernarg_size 40
		.amdhsa_user_sgpr_count 15
		.amdhsa_user_sgpr_dispatch_ptr 0
		.amdhsa_user_sgpr_queue_ptr 0
		.amdhsa_user_sgpr_kernarg_segment_ptr 1
		.amdhsa_user_sgpr_dispatch_id 0
		.amdhsa_user_sgpr_private_segment_size 0
		.amdhsa_wavefront_size32 1
		.amdhsa_uses_dynamic_stack 0
		.amdhsa_enable_private_segment 0
		.amdhsa_system_sgpr_workgroup_id_x 1
		.amdhsa_system_sgpr_workgroup_id_y 0
		.amdhsa_system_sgpr_workgroup_id_z 0
		.amdhsa_system_sgpr_workgroup_info 0
		.amdhsa_system_vgpr_workitem_id 0
		.amdhsa_next_free_vgpr 15
		.amdhsa_next_free_sgpr 28
		.amdhsa_reserve_vcc 1
		.amdhsa_float_round_mode_32 0
		.amdhsa_float_round_mode_16_64 0
		.amdhsa_float_denorm_mode_32 3
		.amdhsa_float_denorm_mode_16_64 3
		.amdhsa_dx10_clamp 1
		.amdhsa_ieee_mode 1
		.amdhsa_fp16_overflow 0
		.amdhsa_workgroup_processor_mode 1
		.amdhsa_memory_ordered 1
		.amdhsa_forward_progress 0
		.amdhsa_shared_vgpr_count 0
		.amdhsa_exception_fp_ieee_invalid_op 0
		.amdhsa_exception_fp_denorm_src 0
		.amdhsa_exception_fp_ieee_div_zero 0
		.amdhsa_exception_fp_ieee_overflow 0
		.amdhsa_exception_fp_ieee_underflow 0
		.amdhsa_exception_fp_ieee_inexact 0
		.amdhsa_exception_int_div_zero 0
	.end_amdhsa_kernel
	.section	.text._ZN2at6native32elementwise_kernel_manual_unrollILi128ELi4EZNS0_15gpu_kernel_implIZZZNS0_17clamp_kernel_cudaERNS_18TensorIteratorBaseERKN3c106ScalarES8_ENKUlvE_clEvENKUlvE_clEvEUlhE_EEvS4_RKT_EUlibE_EEviT1_,"axG",@progbits,_ZN2at6native32elementwise_kernel_manual_unrollILi128ELi4EZNS0_15gpu_kernel_implIZZZNS0_17clamp_kernel_cudaERNS_18TensorIteratorBaseERKN3c106ScalarES8_ENKUlvE_clEvENKUlvE_clEvEUlhE_EEvS4_RKT_EUlibE_EEviT1_,comdat
.Lfunc_end280:
	.size	_ZN2at6native32elementwise_kernel_manual_unrollILi128ELi4EZNS0_15gpu_kernel_implIZZZNS0_17clamp_kernel_cudaERNS_18TensorIteratorBaseERKN3c106ScalarES8_ENKUlvE_clEvENKUlvE_clEvEUlhE_EEvS4_RKT_EUlibE_EEviT1_, .Lfunc_end280-_ZN2at6native32elementwise_kernel_manual_unrollILi128ELi4EZNS0_15gpu_kernel_implIZZZNS0_17clamp_kernel_cudaERNS_18TensorIteratorBaseERKN3c106ScalarES8_ENKUlvE_clEvENKUlvE_clEvEUlhE_EEvS4_RKT_EUlibE_EEviT1_
                                        ; -- End function
	.section	.AMDGPU.csdata,"",@progbits
; Kernel info:
; codeLenInByte = 39476
; NumSgprs: 30
; NumVgprs: 15
; ScratchSize: 0
; MemoryBound: 1
; FloatMode: 240
; IeeeMode: 1
; LDSByteSize: 0 bytes/workgroup (compile time only)
; SGPRBlocks: 3
; VGPRBlocks: 1
; NumSGPRsForWavesPerEU: 30
; NumVGPRsForWavesPerEU: 15
; Occupancy: 16
; WaveLimiterHint : 0
; COMPUTE_PGM_RSRC2:SCRATCH_EN: 0
; COMPUTE_PGM_RSRC2:USER_SGPR: 15
; COMPUTE_PGM_RSRC2:TRAP_HANDLER: 0
; COMPUTE_PGM_RSRC2:TGID_X_EN: 1
; COMPUTE_PGM_RSRC2:TGID_Y_EN: 0
; COMPUTE_PGM_RSRC2:TGID_Z_EN: 0
; COMPUTE_PGM_RSRC2:TIDIG_COMP_CNT: 0
	.section	.text._ZN2at6native32elementwise_kernel_manual_unrollILi128ELi4EZNS0_15gpu_kernel_implIZZZNS0_17clamp_kernel_cudaERNS_18TensorIteratorBaseERKN3c106ScalarES8_ENKUlvE_clEvENKUlvE_clEvEUlhE_EEvS4_RKT_EUlibE0_EEviT1_,"axG",@progbits,_ZN2at6native32elementwise_kernel_manual_unrollILi128ELi4EZNS0_15gpu_kernel_implIZZZNS0_17clamp_kernel_cudaERNS_18TensorIteratorBaseERKN3c106ScalarES8_ENKUlvE_clEvENKUlvE_clEvEUlhE_EEvS4_RKT_EUlibE0_EEviT1_,comdat
	.globl	_ZN2at6native32elementwise_kernel_manual_unrollILi128ELi4EZNS0_15gpu_kernel_implIZZZNS0_17clamp_kernel_cudaERNS_18TensorIteratorBaseERKN3c106ScalarES8_ENKUlvE_clEvENKUlvE_clEvEUlhE_EEvS4_RKT_EUlibE0_EEviT1_ ; -- Begin function _ZN2at6native32elementwise_kernel_manual_unrollILi128ELi4EZNS0_15gpu_kernel_implIZZZNS0_17clamp_kernel_cudaERNS_18TensorIteratorBaseERKN3c106ScalarES8_ENKUlvE_clEvENKUlvE_clEvEUlhE_EEvS4_RKT_EUlibE0_EEviT1_
	.p2align	8
	.type	_ZN2at6native32elementwise_kernel_manual_unrollILi128ELi4EZNS0_15gpu_kernel_implIZZZNS0_17clamp_kernel_cudaERNS_18TensorIteratorBaseERKN3c106ScalarES8_ENKUlvE_clEvENKUlvE_clEvEUlhE_EEvS4_RKT_EUlibE0_EEviT1_,@function
_ZN2at6native32elementwise_kernel_manual_unrollILi128ELi4EZNS0_15gpu_kernel_implIZZZNS0_17clamp_kernel_cudaERNS_18TensorIteratorBaseERKN3c106ScalarES8_ENKUlvE_clEvENKUlvE_clEvEUlhE_EEvS4_RKT_EUlibE0_EEviT1_: ; @_ZN2at6native32elementwise_kernel_manual_unrollILi128ELi4EZNS0_15gpu_kernel_implIZZZNS0_17clamp_kernel_cudaERNS_18TensorIteratorBaseERKN3c106ScalarES8_ENKUlvE_clEvENKUlvE_clEvEUlhE_EEvS4_RKT_EUlibE0_EEviT1_
; %bb.0:
	s_clause 0x1
	s_load_b32 s24, s[0:1], 0x8
	s_load_b32 s35, s[0:1], 0x0
	v_lshl_or_b32 v5, s15, 9, v0
	s_or_b32 s16, s0, 8
	s_mov_b32 s3, -1
	s_mov_b32 s26, 0
	s_mov_b32 s17, s1
	v_or_b32_e32 v9, 0x180, v5
	s_mov_b32 s8, 0
	s_mov_b32 s2, exec_lo
	s_waitcnt lgkmcnt(0)
	s_add_i32 s25, s24, -1
	s_delay_alu instid0(SALU_CYCLE_1)
	s_cmp_gt_u32 s25, 1
	s_cselect_b32 s27, -1, 0
	v_cmpx_le_i32_e64 s35, v9
	s_xor_b32 s28, exec_lo, s2
	s_cbranch_execz .LBB281_1060
; %bb.1:
	s_clause 0x4
	s_load_b32 s29, s[16:17], 0x158
	s_load_b128 s[12:15], s[16:17], 0x4
	s_load_b64 s[18:19], s[16:17], 0x14
	s_load_b128 s[8:11], s[16:17], 0xc4
	s_load_b128 s[4:7], s[16:17], 0x148
	s_cmp_lg_u32 s24, 0
	s_mov_b32 s41, 0
	s_cselect_b32 s37, -1, 0
	s_add_u32 s20, s16, 0xc4
	s_addc_u32 s21, s17, 0
	s_min_u32 s36, s25, 15
	s_cmp_gt_u32 s24, 1
	s_mov_b32 s39, 0
	s_cselect_b32 s34, -1, 0
	s_mov_b32 s38, 0
	s_mov_b32 s40, exec_lo
	s_waitcnt lgkmcnt(0)
	s_lshr_b32 s30, s29, 16
	s_lshr_b32 s31, s29, 8
	;; [unrolled: 1-line block ×3, first 2 shown]
	v_cmpx_gt_i32_e64 s35, v5
	s_cbranch_execz .LBB281_259
; %bb.2:
	s_and_not1_b32 vcc_lo, exec_lo, s27
	s_cbranch_vccnz .LBB281_7
; %bb.3:
	v_dual_mov_b32 v0, 0 :: v_dual_mov_b32 v1, 0
	s_and_not1_b32 vcc_lo, exec_lo, s37
	s_cbranch_vccnz .LBB281_12
; %bb.4:
	v_mov_b32_e32 v0, 0
	s_add_i32 s42, s36, 1
	s_cmp_eq_u32 s25, 2
	s_cbranch_scc1 .LBB281_8
; %bb.5:
	v_dual_mov_b32 v1, 0 :: v_dual_mov_b32 v0, 0
	v_mov_b32_e32 v2, v5
	s_and_b32 s39, s42, 28
	s_mov_b32 s43, 0
	s_mov_b64 s[2:3], s[20:21]
	s_mov_b64 s[22:23], s[16:17]
.LBB281_6:                              ; =>This Inner Loop Header: Depth=1
	s_clause 0x1
	s_load_b256 s[44:51], s[22:23], 0x4
	s_load_b128 s[60:63], s[22:23], 0x24
	s_load_b256 s[52:59], s[2:3], 0x0
	s_add_u32 s22, s22, 48
	s_addc_u32 s23, s23, 0
	s_add_i32 s43, s43, 4
	s_add_u32 s2, s2, 32
	s_addc_u32 s3, s3, 0
	s_cmp_lg_u32 s39, s43
	s_waitcnt lgkmcnt(0)
	v_mul_hi_u32 v3, s45, v2
	s_delay_alu instid0(VALU_DEP_1) | instskip(NEXT) | instid1(VALU_DEP_1)
	v_add_nc_u32_e32 v3, v2, v3
	v_lshrrev_b32_e32 v3, s46, v3
	s_delay_alu instid0(VALU_DEP_1) | instskip(SKIP_1) | instid1(VALU_DEP_2)
	v_mul_hi_u32 v4, s48, v3
	v_mul_lo_u32 v7, v3, s44
	v_add_nc_u32_e32 v4, v3, v4
	s_delay_alu instid0(VALU_DEP_2) | instskip(NEXT) | instid1(VALU_DEP_2)
	v_sub_nc_u32_e32 v2, v2, v7
	v_lshrrev_b32_e32 v4, s49, v4
	s_delay_alu instid0(VALU_DEP_2) | instskip(SKIP_1) | instid1(VALU_DEP_3)
	v_mul_lo_u32 v7, v2, s52
	v_mul_lo_u32 v9, v2, s53
	v_mul_hi_u32 v6, s51, v4
	s_delay_alu instid0(VALU_DEP_1) | instskip(NEXT) | instid1(VALU_DEP_1)
	v_add_nc_u32_e32 v6, v4, v6
	v_lshrrev_b32_e32 v6, s60, v6
	s_delay_alu instid0(VALU_DEP_1) | instskip(SKIP_1) | instid1(VALU_DEP_2)
	v_mul_hi_u32 v8, s62, v6
	v_mul_lo_u32 v10, v6, s50
	v_add_nc_u32_e32 v2, v6, v8
	v_mul_lo_u32 v8, v4, s47
	s_delay_alu instid0(VALU_DEP_3) | instskip(NEXT) | instid1(VALU_DEP_3)
	v_sub_nc_u32_e32 v4, v4, v10
	v_lshrrev_b32_e32 v2, s63, v2
	s_delay_alu instid0(VALU_DEP_2) | instskip(SKIP_2) | instid1(VALU_DEP_4)
	v_mul_lo_u32 v10, v4, s56
	v_mul_lo_u32 v4, v4, s57
	v_sub_nc_u32_e32 v3, v3, v8
	v_mul_lo_u32 v11, v2, s61
	s_delay_alu instid0(VALU_DEP_2) | instskip(SKIP_1) | instid1(VALU_DEP_3)
	v_mul_lo_u32 v8, v3, s54
	v_mul_lo_u32 v3, v3, s55
	v_sub_nc_u32_e32 v6, v6, v11
	s_delay_alu instid0(VALU_DEP_3) | instskip(NEXT) | instid1(VALU_DEP_2)
	v_add3_u32 v0, v7, v0, v8
	v_mul_lo_u32 v11, v6, s58
	v_mul_lo_u32 v6, v6, s59
	v_add3_u32 v1, v9, v1, v3
	s_delay_alu instid0(VALU_DEP_3) | instskip(NEXT) | instid1(VALU_DEP_2)
	v_add3_u32 v0, v10, v0, v11
	v_add3_u32 v1, v4, v1, v6
	s_cbranch_scc1 .LBB281_6
	s_branch .LBB281_9
.LBB281_7:
	s_mov_b32 s38, -1
                                        ; implicit-def: $vgpr0
                                        ; implicit-def: $vgpr1
	s_branch .LBB281_12
.LBB281_8:
	v_dual_mov_b32 v2, v5 :: v_dual_mov_b32 v1, 0
.LBB281_9:
	s_and_b32 s42, s42, 3
	s_delay_alu instid0(SALU_CYCLE_1)
	s_cmp_eq_u32 s42, 0
	s_cbranch_scc1 .LBB281_12
; %bb.10:
	s_lshl_b32 s2, s39, 3
	s_mul_i32 s22, s39, 12
	s_add_u32 s2, s2, s16
	s_addc_u32 s3, s17, 0
	s_add_u32 s2, s2, 0xc4
	s_addc_u32 s3, s3, 0
	;; [unrolled: 2-line block ×3, first 2 shown]
	.p2align	6
.LBB281_11:                             ; =>This Inner Loop Header: Depth=1
	s_clause 0x1
	s_load_b64 s[44:45], s[22:23], 0x4
	s_load_b32 s39, s[22:23], 0xc
	s_load_b64 s[46:47], s[2:3], 0x0
	s_add_u32 s22, s22, 12
	s_addc_u32 s23, s23, 0
	s_add_u32 s2, s2, 8
	s_addc_u32 s3, s3, 0
	s_add_i32 s42, s42, -1
	s_delay_alu instid0(SALU_CYCLE_1) | instskip(SKIP_2) | instid1(VALU_DEP_1)
	s_cmp_lg_u32 s42, 0
	s_waitcnt lgkmcnt(0)
	v_mul_hi_u32 v3, s45, v2
	v_add_nc_u32_e32 v3, v2, v3
	s_delay_alu instid0(VALU_DEP_1) | instskip(NEXT) | instid1(VALU_DEP_1)
	v_lshrrev_b32_e32 v8, s39, v3
	v_mul_lo_u32 v3, v8, s44
	s_delay_alu instid0(VALU_DEP_1) | instskip(NEXT) | instid1(VALU_DEP_1)
	v_sub_nc_u32_e32 v2, v2, v3
	v_mad_u64_u32 v[3:4], null, v2, s46, v[0:1]
	v_mad_u64_u32 v[6:7], null, v2, s47, v[1:2]
	v_mov_b32_e32 v2, v8
	s_delay_alu instid0(VALU_DEP_2)
	v_dual_mov_b32 v0, v3 :: v_dual_mov_b32 v1, v6
	s_cbranch_scc1 .LBB281_11
.LBB281_12:
	s_and_not1_b32 vcc_lo, exec_lo, s38
	s_cbranch_vccnz .LBB281_15
; %bb.13:
	v_mul_hi_u32 v0, s13, v5
	s_and_not1_b32 vcc_lo, exec_lo, s34
	s_delay_alu instid0(VALU_DEP_1) | instskip(NEXT) | instid1(VALU_DEP_1)
	v_add_nc_u32_e32 v0, v5, v0
	v_lshrrev_b32_e32 v2, s14, v0
	s_delay_alu instid0(VALU_DEP_1) | instskip(NEXT) | instid1(VALU_DEP_1)
	v_mul_lo_u32 v0, v2, s12
	v_sub_nc_u32_e32 v1, v5, v0
	s_delay_alu instid0(VALU_DEP_1)
	v_mul_lo_u32 v0, v1, s8
	v_mul_lo_u32 v1, v1, s9
	s_cbranch_vccnz .LBB281_15
; %bb.14:
	v_mul_hi_u32 v3, s18, v2
	s_delay_alu instid0(VALU_DEP_1) | instskip(NEXT) | instid1(VALU_DEP_1)
	v_add_nc_u32_e32 v3, v2, v3
	v_lshrrev_b32_e32 v3, s19, v3
	s_delay_alu instid0(VALU_DEP_1) | instskip(NEXT) | instid1(VALU_DEP_1)
	v_mul_lo_u32 v3, v3, s15
	v_sub_nc_u32_e32 v6, v2, v3
	s_delay_alu instid0(VALU_DEP_1) | instskip(NEXT) | instid1(VALU_DEP_1)
	v_mad_u64_u32 v[2:3], null, v6, s10, v[0:1]
	v_mad_u64_u32 v[3:4], null, v6, s11, v[1:2]
	s_delay_alu instid0(VALU_DEP_1)
	v_dual_mov_b32 v0, v2 :: v_dual_mov_b32 v1, v3
.LBB281_15:
	v_cmp_lt_i16_e64 s2, s33, 11
	s_delay_alu instid0(VALU_DEP_2) | instskip(NEXT) | instid1(VALU_DEP_1)
	v_add_co_u32 v1, s3, s6, v1
	v_add_co_ci_u32_e64 v2, null, s7, 0, s3
	s_delay_alu instid0(VALU_DEP_3)
	s_and_b32 vcc_lo, exec_lo, s2
	s_mov_b32 s3, 0
	s_cbranch_vccnz .LBB281_22
; %bb.16:
	v_cmp_gt_i16_e64 s2, s33, 25
	s_delay_alu instid0(VALU_DEP_1)
	s_and_b32 vcc_lo, exec_lo, s2
	s_cbranch_vccz .LBB281_141
; %bb.17:
	v_cmp_gt_i16_e64 s2, s33, 28
	s_delay_alu instid0(VALU_DEP_1)
	s_and_b32 vcc_lo, exec_lo, s2
	s_cbranch_vccz .LBB281_142
	;; [unrolled: 5-line block ×4, first 2 shown]
; %bb.20:
	v_cmp_eq_u16_e64 s2, s33, 46
	s_mov_b32 s22, 0
	s_delay_alu instid0(VALU_DEP_1)
	s_and_b32 vcc_lo, exec_lo, s2
	s_cbranch_vccz .LBB281_145
; %bb.21:
	global_load_b32 v3, v[1:2], off
	s_mov_b32 s2, -1
	s_waitcnt vmcnt(0)
	v_lshlrev_b32_e32 v3, 16, v3
	s_delay_alu instid0(VALU_DEP_1) | instskip(NEXT) | instid1(VALU_DEP_1)
	v_trunc_f32_e32 v3, v3
	v_mul_f32_e64 v4, 0x2f800000, |v3|
	s_delay_alu instid0(VALU_DEP_1) | instskip(NEXT) | instid1(VALU_DEP_1)
	v_floor_f32_e32 v4, v4
	v_fma_f32 v4, 0xcf800000, v4, |v3|
	v_ashrrev_i32_e32 v3, 31, v3
	s_delay_alu instid0(VALU_DEP_2) | instskip(NEXT) | instid1(VALU_DEP_1)
	v_cvt_u32_f32_e32 v4, v4
	v_xor_b32_e32 v4, v4, v3
	s_delay_alu instid0(VALU_DEP_1)
	v_sub_nc_u32_e32 v3, v4, v3
	s_branch .LBB281_147
.LBB281_22:
	s_mov_b32 s2, 0
                                        ; implicit-def: $vgpr3
	s_cbranch_execnz .LBB281_209
.LBB281_23:
	s_and_not1_b32 vcc_lo, exec_lo, s2
	s_cbranch_vccnz .LBB281_256
.LBB281_24:
	v_and_b32_e64 v1, 0xff, s29
	s_waitcnt vmcnt(0)
	s_delay_alu instid0(VALU_DEP_2) | instskip(SKIP_3) | instid1(VALU_DEP_4)
	v_and_b32_e32 v2, 0xff, v3
	v_and_b32_e64 v3, 0xff, s30
	v_and_b32_e64 v4, 0xff, s31
	v_add_co_u32 v0, s22, s4, v0
	v_max_u16 v1, v2, v1
	s_delay_alu instid0(VALU_DEP_4) | instskip(SKIP_2) | instid1(VALU_DEP_2)
	v_cmp_gt_i16_e32 vcc_lo, 11, v3
	s_mov_b32 s2, 0
	s_mov_b32 s23, -1
	v_min_u16 v2, v1, v4
	v_add_co_ci_u32_e64 v1, null, s5, 0, s22
	s_mov_b32 s22, 0
	s_cbranch_vccnz .LBB281_101
; %bb.25:
	v_cmp_lt_i16_e32 vcc_lo, 25, v3
	s_cbranch_vccz .LBB281_58
; %bb.26:
	v_cmp_lt_i16_e32 vcc_lo, 28, v3
	s_cbranch_vccz .LBB281_41
	;; [unrolled: 3-line block ×4, first 2 shown]
; %bb.29:
	v_cmp_eq_u16_e32 vcc_lo, 46, v3
	s_mov_b32 s23, 0
	s_mov_b32 s2, -1
	s_cbranch_vccz .LBB281_31
; %bb.30:
	v_cvt_f32_ubyte0_e32 v4, v2
	s_mov_b32 s22, -1
	s_mov_b32 s2, 0
	s_delay_alu instid0(VALU_DEP_1) | instskip(NEXT) | instid1(VALU_DEP_1)
	v_bfe_u32 v6, v4, 16, 1
	v_add3_u32 v4, v4, v6, 0x7fff
	s_delay_alu instid0(VALU_DEP_1)
	v_lshrrev_b32_e32 v4, 16, v4
	global_store_b32 v[0:1], v4, off
.LBB281_31:
	s_and_b32 vcc_lo, exec_lo, s23
	s_cbranch_vccz .LBB281_36
; %bb.32:
	v_cmp_eq_u16_e32 vcc_lo, 44, v3
	s_mov_b32 s2, -1
	s_cbranch_vccz .LBB281_36
; %bb.33:
	v_cvt_f32_ubyte0_e32 v7, v2
	v_mov_b32_e32 v6, 0xff
	s_mov_b32 s22, exec_lo
	s_delay_alu instid0(VALU_DEP_2) | instskip(NEXT) | instid1(VALU_DEP_1)
	v_lshrrev_b32_e32 v4, 23, v7
	v_cmpx_ne_u32_e32 0xff, v4
; %bb.34:
	v_and_b32_e32 v6, 0x400000, v7
	v_and_or_b32 v7, 0x3fffff, v7, v4
	s_delay_alu instid0(VALU_DEP_2) | instskip(NEXT) | instid1(VALU_DEP_2)
	v_cmp_ne_u32_e32 vcc_lo, 0, v6
	v_cmp_ne_u32_e64 s2, 0, v7
	s_delay_alu instid0(VALU_DEP_1) | instskip(NEXT) | instid1(SALU_CYCLE_1)
	s_and_b32 s2, vcc_lo, s2
	v_cndmask_b32_e64 v6, 0, 1, s2
	s_delay_alu instid0(VALU_DEP_1)
	v_add_nc_u32_e32 v6, v4, v6
; %bb.35:
	s_or_b32 exec_lo, exec_lo, s22
	s_mov_b32 s22, -1
	s_mov_b32 s2, 0
	global_store_b8 v[0:1], v6, off
.LBB281_36:
	s_mov_b32 s23, 0
.LBB281_37:
	s_delay_alu instid0(SALU_CYCLE_1)
	s_and_b32 vcc_lo, exec_lo, s23
	s_cbranch_vccz .LBB281_40
; %bb.38:
	v_cmp_eq_u16_e32 vcc_lo, 29, v3
	s_mov_b32 s2, -1
	s_cbranch_vccz .LBB281_40
; %bb.39:
	s_mov_b32 s2, 0
	s_delay_alu instid0(SALU_CYCLE_1)
	v_dual_mov_b32 v7, s2 :: v_dual_and_b32 v6, 0xffff, v2
	s_mov_b32 s22, -1
	global_store_b64 v[0:1], v[6:7], off
.LBB281_40:
	s_mov_b32 s23, 0
.LBB281_41:
	s_delay_alu instid0(SALU_CYCLE_1)
	s_and_b32 vcc_lo, exec_lo, s23
	s_cbranch_vccz .LBB281_57
; %bb.42:
	v_cmp_gt_i16_e32 vcc_lo, 27, v3
	s_mov_b32 s22, -1
	s_cbranch_vccnz .LBB281_48
; %bb.43:
	v_cmp_lt_i16_e32 vcc_lo, 27, v3
	s_cbranch_vccz .LBB281_45
; %bb.44:
	v_and_b32_e32 v4, 0xffff, v2
	s_mov_b32 s22, 0
	global_store_b32 v[0:1], v4, off
.LBB281_45:
	s_and_not1_b32 vcc_lo, exec_lo, s22
	s_cbranch_vccnz .LBB281_47
; %bb.46:
	global_store_b16 v[0:1], v2, off
.LBB281_47:
	s_mov_b32 s22, 0
.LBB281_48:
	s_delay_alu instid0(SALU_CYCLE_1)
	s_and_not1_b32 vcc_lo, exec_lo, s22
	s_cbranch_vccnz .LBB281_56
; %bb.49:
	v_cvt_f32_ubyte0_e32 v6, v2
	v_mov_b32_e32 v7, 0x80
	s_mov_b32 s22, exec_lo
	s_delay_alu instid0(VALU_DEP_2)
	v_cmpx_gt_u32_e32 0x43800000, v6
	s_cbranch_execz .LBB281_55
; %bb.50:
	s_mov_b32 s23, 0
	s_mov_b32 s38, exec_lo
                                        ; implicit-def: $vgpr4
	v_cmpx_lt_u32_e32 0x3bffffff, v6
	s_xor_b32 s38, exec_lo, s38
	s_cbranch_execz .LBB281_150
; %bb.51:
	v_bfe_u32 v4, v6, 20, 1
	s_mov_b32 s23, exec_lo
	s_delay_alu instid0(VALU_DEP_1) | instskip(NEXT) | instid1(VALU_DEP_1)
	v_add3_u32 v4, v6, v4, 0x487ffff
                                        ; implicit-def: $vgpr6
	v_lshrrev_b32_e32 v4, 20, v4
	s_or_saveexec_b32 s38, s38
                                        ; implicit-def: $sgpr39
	s_delay_alu instid0(SALU_CYCLE_1)
	s_xor_b32 exec_lo, exec_lo, s38
	s_cbranch_execnz .LBB281_151
.LBB281_52:
	s_or_b32 exec_lo, exec_lo, s38
	v_mov_b32_e32 v7, s39
	s_and_saveexec_b32 s38, s23
.LBB281_53:
	v_mov_b32_e32 v7, v4
.LBB281_54:
	s_or_b32 exec_lo, exec_lo, s38
.LBB281_55:
	s_delay_alu instid0(SALU_CYCLE_1)
	s_or_b32 exec_lo, exec_lo, s22
	global_store_b8 v[0:1], v7, off
.LBB281_56:
	s_mov_b32 s22, -1
.LBB281_57:
	s_mov_b32 s23, 0
.LBB281_58:
	s_delay_alu instid0(SALU_CYCLE_1)
	s_and_b32 vcc_lo, exec_lo, s23
	s_cbranch_vccz .LBB281_99
; %bb.59:
	v_cmp_lt_i16_e32 vcc_lo, 22, v3
	s_mov_b32 s23, -1
	s_cbranch_vccz .LBB281_91
; %bb.60:
	v_cmp_gt_i16_e32 vcc_lo, 24, v3
	s_mov_b32 s22, -1
	s_cbranch_vccnz .LBB281_80
; %bb.61:
	v_cmp_lt_i16_e32 vcc_lo, 24, v3
	s_cbranch_vccz .LBB281_69
; %bb.62:
	v_cvt_f32_ubyte0_e32 v6, v2
	v_mov_b32_e32 v7, 0x80
	s_mov_b32 s22, exec_lo
	s_delay_alu instid0(VALU_DEP_2)
	v_cmpx_gt_u32_e32 0x47800000, v6
	s_cbranch_execz .LBB281_68
; %bb.63:
	s_mov_b32 s23, 0
	s_mov_b32 s38, exec_lo
                                        ; implicit-def: $vgpr4
	v_cmpx_lt_u32_e32 0x37ffffff, v6
	s_xor_b32 s38, exec_lo, s38
	s_cbranch_execz .LBB281_337
; %bb.64:
	v_bfe_u32 v4, v6, 21, 1
	s_mov_b32 s23, exec_lo
	s_delay_alu instid0(VALU_DEP_1) | instskip(NEXT) | instid1(VALU_DEP_1)
	v_add3_u32 v4, v6, v4, 0x88fffff
                                        ; implicit-def: $vgpr6
	v_lshrrev_b32_e32 v4, 21, v4
	s_or_saveexec_b32 s38, s38
                                        ; implicit-def: $sgpr39
	s_delay_alu instid0(SALU_CYCLE_1)
	s_xor_b32 exec_lo, exec_lo, s38
	s_cbranch_execnz .LBB281_338
.LBB281_65:
	s_or_b32 exec_lo, exec_lo, s38
	v_mov_b32_e32 v7, s39
	s_and_saveexec_b32 s38, s23
.LBB281_66:
	v_mov_b32_e32 v7, v4
.LBB281_67:
	s_or_b32 exec_lo, exec_lo, s38
.LBB281_68:
	s_delay_alu instid0(SALU_CYCLE_1)
	s_or_b32 exec_lo, exec_lo, s22
	s_mov_b32 s22, 0
	global_store_b8 v[0:1], v7, off
.LBB281_69:
	s_and_b32 vcc_lo, exec_lo, s22
	s_cbranch_vccz .LBB281_79
; %bb.70:
	v_cvt_f32_ubyte0_e32 v6, v2
	s_mov_b32 s22, exec_lo
                                        ; implicit-def: $vgpr4
	s_delay_alu instid0(VALU_DEP_1)
	v_cmpx_gt_u32_e32 0x43f00000, v6
	s_xor_b32 s22, exec_lo, s22
	s_cbranch_execz .LBB281_76
; %bb.71:
	s_mov_b32 s23, exec_lo
                                        ; implicit-def: $vgpr4
	v_cmpx_lt_u32_e32 0x3c7fffff, v6
	s_xor_b32 s23, exec_lo, s23
; %bb.72:
	v_bfe_u32 v4, v6, 20, 1
	s_delay_alu instid0(VALU_DEP_1) | instskip(NEXT) | instid1(VALU_DEP_1)
	v_add3_u32 v4, v6, v4, 0x407ffff
	v_and_b32_e32 v6, 0xff00000, v4
	v_lshrrev_b32_e32 v4, 20, v4
	s_delay_alu instid0(VALU_DEP_2) | instskip(NEXT) | instid1(VALU_DEP_2)
	v_cmp_ne_u32_e32 vcc_lo, 0x7f00000, v6
                                        ; implicit-def: $vgpr6
	v_cndmask_b32_e32 v4, 0x7e, v4, vcc_lo
; %bb.73:
	s_and_not1_saveexec_b32 s23, s23
; %bb.74:
	v_add_f32_e32 v4, 0x46800000, v6
; %bb.75:
	s_or_b32 exec_lo, exec_lo, s23
                                        ; implicit-def: $vgpr6
.LBB281_76:
	s_and_not1_saveexec_b32 s22, s22
; %bb.77:
	v_mov_b32_e32 v4, 0x7f
	v_cmp_lt_u32_e32 vcc_lo, 0x7f800000, v6
	s_delay_alu instid0(VALU_DEP_2)
	v_cndmask_b32_e32 v4, 0x7e, v4, vcc_lo
; %bb.78:
	s_or_b32 exec_lo, exec_lo, s22
	global_store_b8 v[0:1], v4, off
.LBB281_79:
	s_mov_b32 s22, 0
.LBB281_80:
	s_delay_alu instid0(SALU_CYCLE_1)
	s_and_not1_b32 vcc_lo, exec_lo, s22
	s_cbranch_vccnz .LBB281_90
; %bb.81:
	v_cvt_f32_ubyte0_e32 v6, v2
	s_mov_b32 s22, exec_lo
                                        ; implicit-def: $vgpr4
	s_delay_alu instid0(VALU_DEP_1)
	v_cmpx_gt_u32_e32 0x47800000, v6
	s_xor_b32 s22, exec_lo, s22
	s_cbranch_execz .LBB281_87
; %bb.82:
	s_mov_b32 s23, exec_lo
                                        ; implicit-def: $vgpr4
	v_cmpx_lt_u32_e32 0x387fffff, v6
	s_xor_b32 s23, exec_lo, s23
; %bb.83:
	v_bfe_u32 v4, v6, 21, 1
	s_delay_alu instid0(VALU_DEP_1) | instskip(NEXT) | instid1(VALU_DEP_1)
	v_add3_u32 v4, v6, v4, 0x80fffff
                                        ; implicit-def: $vgpr6
	v_lshrrev_b32_e32 v4, 21, v4
; %bb.84:
	s_and_not1_saveexec_b32 s23, s23
; %bb.85:
	v_add_f32_e32 v4, 0x43000000, v6
; %bb.86:
	s_or_b32 exec_lo, exec_lo, s23
                                        ; implicit-def: $vgpr6
.LBB281_87:
	s_and_not1_saveexec_b32 s22, s22
; %bb.88:
	v_mov_b32_e32 v4, 0x7f
	v_cmp_lt_u32_e32 vcc_lo, 0x7f800000, v6
	s_delay_alu instid0(VALU_DEP_2)
	v_cndmask_b32_e32 v4, 0x7c, v4, vcc_lo
; %bb.89:
	s_or_b32 exec_lo, exec_lo, s22
	global_store_b8 v[0:1], v4, off
.LBB281_90:
	s_mov_b32 s23, 0
	s_mov_b32 s22, -1
.LBB281_91:
	s_and_not1_b32 vcc_lo, exec_lo, s23
	s_cbranch_vccnz .LBB281_99
; %bb.92:
	v_cmp_lt_i16_e32 vcc_lo, 14, v3
	s_mov_b32 s23, -1
	s_cbranch_vccz .LBB281_96
; %bb.93:
	v_cmp_eq_u16_e32 vcc_lo, 15, v3
	s_mov_b32 s2, -1
	s_cbranch_vccz .LBB281_95
; %bb.94:
	v_cvt_f32_ubyte0_e32 v4, v2
	s_mov_b32 s22, -1
	s_mov_b32 s2, 0
	s_delay_alu instid0(VALU_DEP_1) | instskip(NEXT) | instid1(VALU_DEP_1)
	v_bfe_u32 v6, v4, 16, 1
	v_add3_u32 v4, v4, v6, 0x7fff
	global_store_d16_hi_b16 v[0:1], v4, off
.LBB281_95:
	s_mov_b32 s23, 0
.LBB281_96:
	s_delay_alu instid0(SALU_CYCLE_1)
	s_and_b32 vcc_lo, exec_lo, s23
	s_cbranch_vccz .LBB281_99
; %bb.97:
	v_cmp_eq_u16_e32 vcc_lo, 11, v3
	s_mov_b32 s2, -1
	s_cbranch_vccz .LBB281_99
; %bb.98:
	v_cmp_ne_u16_e32 vcc_lo, 0, v2
	s_mov_b32 s2, 0
	s_mov_b32 s22, -1
	v_cndmask_b32_e64 v4, 0, 1, vcc_lo
	global_store_b8 v[0:1], v4, off
.LBB281_99:
.LBB281_100:
	s_and_not1_b32 vcc_lo, exec_lo, s22
	s_cbranch_vccz .LBB281_140
	s_branch .LBB281_257
.LBB281_101:
	s_and_b32 vcc_lo, exec_lo, s23
	s_cbranch_vccz .LBB281_100
; %bb.102:
	v_cmp_gt_i16_e32 vcc_lo, 5, v3
	s_mov_b32 s22, -1
	s_cbranch_vccnz .LBB281_123
; %bb.103:
	v_cmp_gt_i16_e32 vcc_lo, 8, v3
	s_cbranch_vccnz .LBB281_113
; %bb.104:
	v_cmp_gt_i16_e32 vcc_lo, 9, v3
	s_cbranch_vccnz .LBB281_110
; %bb.105:
	v_cmp_lt_i16_e32 vcc_lo, 9, v3
	s_cbranch_vccz .LBB281_107
; %bb.106:
	v_mov_b32_e32 v8, 0
	v_and_b32_e32 v4, 0xffff, v2
	s_mov_b32 s22, 0
	s_delay_alu instid0(VALU_DEP_2) | instskip(NEXT) | instid1(VALU_DEP_2)
	v_mov_b32_e32 v9, v8
	v_cvt_f64_u32_e32 v[6:7], v4
	global_store_b128 v[0:1], v[6:9], off
.LBB281_107:
	s_and_not1_b32 vcc_lo, exec_lo, s22
	s_cbranch_vccnz .LBB281_109
; %bb.108:
	v_cvt_f32_ubyte0_e32 v6, v2
	v_mov_b32_e32 v7, 0
	global_store_b64 v[0:1], v[6:7], off
.LBB281_109:
	s_mov_b32 s22, 0
.LBB281_110:
	s_delay_alu instid0(SALU_CYCLE_1)
	s_and_not1_b32 vcc_lo, exec_lo, s22
	s_cbranch_vccnz .LBB281_112
; %bb.111:
	v_cvt_f16_u16_e32 v4, v2
	s_delay_alu instid0(VALU_DEP_1)
	v_and_b32_e32 v4, 0xffff, v4
	global_store_b32 v[0:1], v4, off
.LBB281_112:
	s_mov_b32 s22, 0
.LBB281_113:
	s_delay_alu instid0(SALU_CYCLE_1)
	s_and_not1_b32 vcc_lo, exec_lo, s22
	s_cbranch_vccnz .LBB281_122
; %bb.114:
	v_cmp_gt_i16_e32 vcc_lo, 6, v3
	s_mov_b32 s22, -1
	s_cbranch_vccnz .LBB281_120
; %bb.115:
	v_cmp_lt_i16_e32 vcc_lo, 6, v3
	s_cbranch_vccz .LBB281_117
; %bb.116:
	v_and_b32_e32 v4, 0xffff, v2
	s_mov_b32 s22, 0
	s_delay_alu instid0(VALU_DEP_1)
	v_cvt_f64_u32_e32 v[6:7], v4
	global_store_b64 v[0:1], v[6:7], off
.LBB281_117:
	s_and_not1_b32 vcc_lo, exec_lo, s22
	s_cbranch_vccnz .LBB281_119
; %bb.118:
	v_cvt_f32_ubyte0_e32 v4, v2
	global_store_b32 v[0:1], v4, off
.LBB281_119:
	s_mov_b32 s22, 0
.LBB281_120:
	s_delay_alu instid0(SALU_CYCLE_1)
	s_and_not1_b32 vcc_lo, exec_lo, s22
	s_cbranch_vccnz .LBB281_122
; %bb.121:
	v_cvt_f16_u16_e32 v4, v2
	global_store_b16 v[0:1], v4, off
.LBB281_122:
	s_mov_b32 s22, 0
.LBB281_123:
	s_delay_alu instid0(SALU_CYCLE_1)
	s_and_not1_b32 vcc_lo, exec_lo, s22
	s_cbranch_vccnz .LBB281_139
; %bb.124:
	v_cmp_gt_i16_e32 vcc_lo, 2, v3
	s_mov_b32 s22, -1
	s_cbranch_vccnz .LBB281_134
; %bb.125:
	v_cmp_gt_i16_e32 vcc_lo, 3, v3
	s_cbranch_vccnz .LBB281_131
; %bb.126:
	v_cmp_lt_i16_e32 vcc_lo, 3, v3
	s_cbranch_vccz .LBB281_128
; %bb.127:
	s_mov_b32 s22, 0
	s_delay_alu instid0(SALU_CYCLE_1)
	v_dual_mov_b32 v7, s22 :: v_dual_and_b32 v6, 0xffff, v2
	global_store_b64 v[0:1], v[6:7], off
.LBB281_128:
	s_and_not1_b32 vcc_lo, exec_lo, s22
	s_cbranch_vccnz .LBB281_130
; %bb.129:
	v_and_b32_e32 v4, 0xffff, v2
	global_store_b32 v[0:1], v4, off
.LBB281_130:
	s_mov_b32 s22, 0
.LBB281_131:
	s_delay_alu instid0(SALU_CYCLE_1)
	s_and_not1_b32 vcc_lo, exec_lo, s22
	s_cbranch_vccnz .LBB281_133
; %bb.132:
	global_store_b16 v[0:1], v2, off
.LBB281_133:
	s_mov_b32 s22, 0
.LBB281_134:
	s_delay_alu instid0(SALU_CYCLE_1)
	s_and_not1_b32 vcc_lo, exec_lo, s22
	s_cbranch_vccnz .LBB281_139
; %bb.135:
	v_cmp_lt_i16_e32 vcc_lo, 0, v3
	s_mov_b32 s22, -1
	s_cbranch_vccz .LBB281_137
; %bb.136:
	s_mov_b32 s22, 0
	global_store_b8 v[0:1], v2, off
.LBB281_137:
	s_and_not1_b32 vcc_lo, exec_lo, s22
	s_cbranch_vccnz .LBB281_139
; %bb.138:
	global_store_b8 v[0:1], v2, off
.LBB281_139:
.LBB281_140:
	v_add_nc_u32_e32 v5, 0x80, v5
	s_mov_b32 s22, -1
	s_branch .LBB281_258
.LBB281_141:
	s_mov_b32 s2, 0
                                        ; implicit-def: $vgpr3
	s_cbranch_execnz .LBB281_176
	s_branch .LBB281_208
.LBB281_142:
	s_mov_b32 s22, -1
	s_mov_b32 s2, 0
                                        ; implicit-def: $vgpr3
	s_branch .LBB281_159
.LBB281_143:
	s_mov_b32 s22, -1
	s_mov_b32 s2, 0
                                        ; implicit-def: $vgpr3
	s_branch .LBB281_154
.LBB281_144:
	s_mov_b32 s22, -1
	s_branch .LBB281_146
.LBB281_145:
	s_mov_b32 s3, -1
.LBB281_146:
	s_mov_b32 s2, 0
                                        ; implicit-def: $vgpr3
.LBB281_147:
	s_and_b32 vcc_lo, exec_lo, s22
	s_cbranch_vccz .LBB281_153
; %bb.148:
	v_cmp_eq_u16_e64 s3, s33, 44
	s_delay_alu instid0(VALU_DEP_1)
	s_and_b32 vcc_lo, exec_lo, s3
	s_cbranch_vccz .LBB281_152
; %bb.149:
	global_load_u8 v3, v[1:2], off
	s_mov_b32 s3, 0
	s_mov_b32 s2, -1
	s_waitcnt vmcnt(0)
	v_lshlrev_b32_e32 v4, 23, v3
	v_cmp_ne_u32_e32 vcc_lo, 0, v3
	s_delay_alu instid0(VALU_DEP_2) | instskip(NEXT) | instid1(VALU_DEP_1)
	v_trunc_f32_e32 v4, v4
	v_mul_f32_e64 v6, 0x2f800000, |v4|
	s_delay_alu instid0(VALU_DEP_1) | instskip(NEXT) | instid1(VALU_DEP_1)
	v_floor_f32_e32 v6, v6
	v_fma_f32 v6, 0xcf800000, v6, |v4|
	v_ashrrev_i32_e32 v4, 31, v4
	s_delay_alu instid0(VALU_DEP_2) | instskip(NEXT) | instid1(VALU_DEP_1)
	v_cvt_u32_f32_e32 v6, v6
	v_xor_b32_e32 v6, v6, v4
	s_delay_alu instid0(VALU_DEP_1) | instskip(NEXT) | instid1(VALU_DEP_1)
	v_sub_nc_u32_e32 v4, v6, v4
	v_cndmask_b32_e32 v3, 0, v4, vcc_lo
	s_branch .LBB281_153
.LBB281_150:
	s_or_saveexec_b32 s38, s38
                                        ; implicit-def: $sgpr39
	s_delay_alu instid0(SALU_CYCLE_1)
	s_xor_b32 exec_lo, exec_lo, s38
	s_cbranch_execz .LBB281_52
.LBB281_151:
	v_add_f32_e32 v4, 0x46000000, v6
	s_and_not1_b32 s23, s23, exec_lo
	s_mov_b32 s39, 0
	s_delay_alu instid0(VALU_DEP_1) | instskip(NEXT) | instid1(VALU_DEP_1)
	v_and_b32_e32 v4, 0xff, v4
	v_cmp_ne_u32_e32 vcc_lo, 0, v4
	s_and_b32 s42, vcc_lo, exec_lo
	s_delay_alu instid0(SALU_CYCLE_1)
	s_or_b32 s23, s23, s42
	s_or_b32 exec_lo, exec_lo, s38
	v_mov_b32_e32 v7, s39
	s_and_saveexec_b32 s38, s23
	s_cbranch_execnz .LBB281_53
	s_branch .LBB281_54
.LBB281_152:
	s_mov_b32 s3, -1
                                        ; implicit-def: $vgpr3
.LBB281_153:
	s_mov_b32 s22, 0
.LBB281_154:
	s_delay_alu instid0(SALU_CYCLE_1)
	s_and_b32 vcc_lo, exec_lo, s22
	s_cbranch_vccz .LBB281_158
; %bb.155:
	v_cmp_eq_u16_e64 s3, s33, 29
	s_delay_alu instid0(VALU_DEP_1)
	s_and_b32 vcc_lo, exec_lo, s3
	s_cbranch_vccz .LBB281_157
; %bb.156:
	global_load_b64 v[3:4], v[1:2], off
	s_mov_b32 s2, -1
	s_mov_b32 s3, 0
	s_branch .LBB281_158
.LBB281_157:
	s_mov_b32 s3, -1
                                        ; implicit-def: $vgpr3
.LBB281_158:
	s_mov_b32 s22, 0
.LBB281_159:
	s_delay_alu instid0(SALU_CYCLE_1)
	s_and_b32 vcc_lo, exec_lo, s22
	s_cbranch_vccz .LBB281_175
; %bb.160:
	v_cmp_lt_i16_e64 s2, s33, 27
	s_delay_alu instid0(VALU_DEP_1)
	s_and_b32 vcc_lo, exec_lo, s2
	s_cbranch_vccnz .LBB281_163
; %bb.161:
	v_cmp_gt_i16_e64 s2, s33, 27
	s_delay_alu instid0(VALU_DEP_1)
	s_and_b32 vcc_lo, exec_lo, s2
	s_cbranch_vccz .LBB281_164
; %bb.162:
	global_load_b32 v3, v[1:2], off
	s_mov_b32 s2, 0
	s_branch .LBB281_165
.LBB281_163:
	s_mov_b32 s2, -1
                                        ; implicit-def: $vgpr3
	s_branch .LBB281_168
.LBB281_164:
	s_mov_b32 s2, -1
                                        ; implicit-def: $vgpr3
.LBB281_165:
	s_delay_alu instid0(SALU_CYCLE_1)
	s_and_not1_b32 vcc_lo, exec_lo, s2
	s_cbranch_vccnz .LBB281_167
; %bb.166:
	global_load_u16 v3, v[1:2], off
.LBB281_167:
	s_mov_b32 s2, 0
.LBB281_168:
	s_delay_alu instid0(SALU_CYCLE_1)
	s_and_not1_b32 vcc_lo, exec_lo, s2
	s_cbranch_vccnz .LBB281_174
; %bb.169:
	global_load_u8 v4, v[1:2], off
	s_mov_b32 s22, 0
	s_mov_b32 s2, exec_lo
                                        ; implicit-def: $sgpr23
	s_waitcnt vmcnt(0)
	v_cmpx_lt_i16_e32 0x7f, v4
	s_xor_b32 s2, exec_lo, s2
	s_cbranch_execz .LBB281_185
; %bb.170:
	v_cmp_ne_u16_e32 vcc_lo, 0x80, v4
	s_mov_b32 s23, 0
	s_and_b32 s22, vcc_lo, exec_lo
	s_or_saveexec_b32 s2, s2
	v_mov_b32_e32 v3, s23
	s_xor_b32 exec_lo, exec_lo, s2
	s_cbranch_execnz .LBB281_186
.LBB281_171:
	s_or_b32 exec_lo, exec_lo, s2
	s_and_saveexec_b32 s2, s22
	s_cbranch_execz .LBB281_173
.LBB281_172:
	v_and_b32_e32 v3, 0xffff, v4
	v_lshlrev_b32_e32 v4, 24, v4
	s_delay_alu instid0(VALU_DEP_2) | instskip(NEXT) | instid1(VALU_DEP_2)
	v_and_b32_e32 v6, 7, v3
	v_and_b32_e32 v4, 0x80000000, v4
	s_delay_alu instid0(VALU_DEP_2) | instskip(NEXT) | instid1(VALU_DEP_1)
	v_clz_i32_u32_e32 v7, v6
	v_min_u32_e32 v7, 32, v7
	s_delay_alu instid0(VALU_DEP_1) | instskip(SKIP_1) | instid1(VALU_DEP_2)
	v_subrev_nc_u32_e32 v8, 28, v7
	v_sub_nc_u32_e32 v7, 29, v7
	v_lshlrev_b32_e32 v8, v8, v3
	v_bfe_u32 v3, v3, 3, 4
	s_delay_alu instid0(VALU_DEP_1) | instskip(NEXT) | instid1(VALU_DEP_3)
	v_cmp_eq_u32_e32 vcc_lo, 0, v3
	v_dual_cndmask_b32 v3, v3, v7 :: v_dual_and_b32 v8, 7, v8
	s_delay_alu instid0(VALU_DEP_1) | instskip(NEXT) | instid1(VALU_DEP_2)
	v_cndmask_b32_e32 v6, v6, v8, vcc_lo
	v_lshl_add_u32 v3, v3, 23, 0x3b800000
	s_delay_alu instid0(VALU_DEP_2) | instskip(NEXT) | instid1(VALU_DEP_1)
	v_lshlrev_b32_e32 v6, 20, v6
	v_or3_b32 v3, v4, v3, v6
	s_delay_alu instid0(VALU_DEP_1) | instskip(NEXT) | instid1(VALU_DEP_1)
	v_trunc_f32_e32 v3, v3
	v_mul_f32_e64 v4, 0x2f800000, |v3|
	s_delay_alu instid0(VALU_DEP_1) | instskip(NEXT) | instid1(VALU_DEP_1)
	v_floor_f32_e32 v4, v4
	v_fma_f32 v4, 0xcf800000, v4, |v3|
	v_ashrrev_i32_e32 v3, 31, v3
	s_delay_alu instid0(VALU_DEP_2) | instskip(NEXT) | instid1(VALU_DEP_1)
	v_cvt_u32_f32_e32 v4, v4
	v_xor_b32_e32 v4, v4, v3
	s_delay_alu instid0(VALU_DEP_1)
	v_sub_nc_u32_e32 v3, v4, v3
.LBB281_173:
	s_or_b32 exec_lo, exec_lo, s2
.LBB281_174:
	s_mov_b32 s2, -1
.LBB281_175:
	s_branch .LBB281_208
.LBB281_176:
	v_cmp_gt_i16_e64 s22, s33, 22
	s_delay_alu instid0(VALU_DEP_1)
	s_and_b32 vcc_lo, exec_lo, s22
	s_cbranch_vccz .LBB281_184
; %bb.177:
	v_cmp_lt_i16_e64 s2, s33, 24
	s_delay_alu instid0(VALU_DEP_1)
	s_and_b32 vcc_lo, exec_lo, s2
	s_cbranch_vccnz .LBB281_187
; %bb.178:
	v_cmp_gt_i16_e64 s2, s33, 24
	s_delay_alu instid0(VALU_DEP_1)
	s_and_b32 vcc_lo, exec_lo, s2
	s_cbranch_vccz .LBB281_188
; %bb.179:
	global_load_u8 v4, v[1:2], off
	s_mov_b32 s22, 0
	s_mov_b32 s2, exec_lo
                                        ; implicit-def: $sgpr23
	s_waitcnt vmcnt(0)
	v_cmpx_lt_i16_e32 0x7f, v4
	s_xor_b32 s2, exec_lo, s2
	s_cbranch_execz .LBB281_200
; %bb.180:
	v_cmp_ne_u16_e32 vcc_lo, 0x80, v4
	s_mov_b32 s23, 0
	s_and_b32 s22, vcc_lo, exec_lo
	s_or_saveexec_b32 s2, s2
	v_mov_b32_e32 v3, s23
	s_xor_b32 exec_lo, exec_lo, s2
	s_cbranch_execnz .LBB281_201
.LBB281_181:
	s_or_b32 exec_lo, exec_lo, s2
	s_and_saveexec_b32 s2, s22
	s_cbranch_execz .LBB281_183
.LBB281_182:
	v_and_b32_e32 v3, 0xffff, v4
	v_lshlrev_b32_e32 v4, 24, v4
	s_delay_alu instid0(VALU_DEP_2) | instskip(NEXT) | instid1(VALU_DEP_2)
	v_and_b32_e32 v6, 3, v3
	v_and_b32_e32 v4, 0x80000000, v4
	s_delay_alu instid0(VALU_DEP_2) | instskip(NEXT) | instid1(VALU_DEP_1)
	v_clz_i32_u32_e32 v7, v6
	v_min_u32_e32 v7, 32, v7
	s_delay_alu instid0(VALU_DEP_1) | instskip(SKIP_1) | instid1(VALU_DEP_2)
	v_subrev_nc_u32_e32 v8, 29, v7
	v_sub_nc_u32_e32 v7, 30, v7
	v_lshlrev_b32_e32 v8, v8, v3
	v_bfe_u32 v3, v3, 2, 5
	s_delay_alu instid0(VALU_DEP_1) | instskip(NEXT) | instid1(VALU_DEP_3)
	v_cmp_eq_u32_e32 vcc_lo, 0, v3
	v_dual_cndmask_b32 v3, v3, v7 :: v_dual_and_b32 v8, 3, v8
	s_delay_alu instid0(VALU_DEP_1) | instskip(NEXT) | instid1(VALU_DEP_2)
	v_cndmask_b32_e32 v6, v6, v8, vcc_lo
	v_lshl_add_u32 v3, v3, 23, 0x37800000
	s_delay_alu instid0(VALU_DEP_2) | instskip(NEXT) | instid1(VALU_DEP_1)
	v_lshlrev_b32_e32 v6, 21, v6
	v_or3_b32 v3, v4, v3, v6
	s_delay_alu instid0(VALU_DEP_1) | instskip(NEXT) | instid1(VALU_DEP_1)
	v_trunc_f32_e32 v3, v3
	v_mul_f32_e64 v4, 0x2f800000, |v3|
	s_delay_alu instid0(VALU_DEP_1) | instskip(NEXT) | instid1(VALU_DEP_1)
	v_floor_f32_e32 v4, v4
	v_fma_f32 v4, 0xcf800000, v4, |v3|
	v_ashrrev_i32_e32 v3, 31, v3
	s_delay_alu instid0(VALU_DEP_2) | instskip(NEXT) | instid1(VALU_DEP_1)
	v_cvt_u32_f32_e32 v4, v4
	v_xor_b32_e32 v4, v4, v3
	s_delay_alu instid0(VALU_DEP_1)
	v_sub_nc_u32_e32 v3, v4, v3
.LBB281_183:
	s_or_b32 exec_lo, exec_lo, s2
	s_mov_b32 s2, 0
	s_branch .LBB281_189
.LBB281_184:
	s_mov_b32 s22, -1
                                        ; implicit-def: $vgpr3
	s_branch .LBB281_195
.LBB281_185:
	s_or_saveexec_b32 s2, s2
	v_mov_b32_e32 v3, s23
	s_xor_b32 exec_lo, exec_lo, s2
	s_cbranch_execz .LBB281_171
.LBB281_186:
	v_cmp_ne_u16_e32 vcc_lo, 0, v4
	v_mov_b32_e32 v3, 0
	s_and_not1_b32 s22, s22, exec_lo
	s_and_b32 s23, vcc_lo, exec_lo
	s_delay_alu instid0(SALU_CYCLE_1)
	s_or_b32 s22, s22, s23
	s_or_b32 exec_lo, exec_lo, s2
	s_and_saveexec_b32 s2, s22
	s_cbranch_execnz .LBB281_172
	s_branch .LBB281_173
.LBB281_187:
	s_mov_b32 s2, -1
                                        ; implicit-def: $vgpr3
	s_branch .LBB281_192
.LBB281_188:
	s_mov_b32 s2, -1
                                        ; implicit-def: $vgpr3
.LBB281_189:
	s_delay_alu instid0(SALU_CYCLE_1)
	s_and_b32 vcc_lo, exec_lo, s2
	s_cbranch_vccz .LBB281_191
; %bb.190:
	global_load_u8 v3, v[1:2], off
	s_waitcnt vmcnt(0)
	v_lshlrev_b32_e32 v3, 24, v3
	s_delay_alu instid0(VALU_DEP_1) | instskip(NEXT) | instid1(VALU_DEP_1)
	v_and_b32_e32 v4, 0x7f000000, v3
	v_clz_i32_u32_e32 v6, v4
	v_add_nc_u32_e32 v8, 0x1000000, v4
	v_cmp_ne_u32_e32 vcc_lo, 0, v4
	s_delay_alu instid0(VALU_DEP_3) | instskip(NEXT) | instid1(VALU_DEP_1)
	v_min_u32_e32 v6, 32, v6
	v_sub_nc_u32_e64 v6, v6, 4 clamp
	s_delay_alu instid0(VALU_DEP_1) | instskip(SKIP_1) | instid1(VALU_DEP_2)
	v_lshlrev_b32_e32 v7, v6, v4
	v_lshlrev_b32_e32 v6, 23, v6
	v_lshrrev_b32_e32 v7, 4, v7
	s_delay_alu instid0(VALU_DEP_1) | instskip(SKIP_1) | instid1(VALU_DEP_2)
	v_sub_nc_u32_e32 v6, v7, v6
	v_ashrrev_i32_e32 v7, 8, v8
	v_add_nc_u32_e32 v6, 0x3c000000, v6
	s_delay_alu instid0(VALU_DEP_1) | instskip(NEXT) | instid1(VALU_DEP_1)
	v_and_or_b32 v6, 0x7f800000, v7, v6
	v_cndmask_b32_e32 v4, 0, v6, vcc_lo
	s_delay_alu instid0(VALU_DEP_1) | instskip(NEXT) | instid1(VALU_DEP_1)
	v_and_or_b32 v3, 0x80000000, v3, v4
	v_trunc_f32_e32 v3, v3
	s_delay_alu instid0(VALU_DEP_1) | instskip(NEXT) | instid1(VALU_DEP_1)
	v_mul_f32_e64 v4, 0x2f800000, |v3|
	v_floor_f32_e32 v4, v4
	s_delay_alu instid0(VALU_DEP_1) | instskip(SKIP_1) | instid1(VALU_DEP_2)
	v_fma_f32 v4, 0xcf800000, v4, |v3|
	v_ashrrev_i32_e32 v3, 31, v3
	v_cvt_u32_f32_e32 v4, v4
	s_delay_alu instid0(VALU_DEP_1) | instskip(NEXT) | instid1(VALU_DEP_1)
	v_xor_b32_e32 v4, v4, v3
	v_sub_nc_u32_e32 v3, v4, v3
.LBB281_191:
	s_mov_b32 s2, 0
.LBB281_192:
	s_delay_alu instid0(SALU_CYCLE_1)
	s_and_not1_b32 vcc_lo, exec_lo, s2
	s_cbranch_vccnz .LBB281_194
; %bb.193:
	global_load_u8 v3, v[1:2], off
	s_waitcnt vmcnt(0)
	v_lshlrev_b32_e32 v4, 25, v3
	v_lshlrev_b16 v3, 8, v3
	s_delay_alu instid0(VALU_DEP_2) | instskip(NEXT) | instid1(VALU_DEP_2)
	v_lshrrev_b32_e32 v6, 4, v4
	v_and_or_b32 v7, 0x7f00, v3, 0.5
	v_cmp_gt_u32_e32 vcc_lo, 0x8000000, v4
	v_bfe_i32 v3, v3, 0, 16
	s_delay_alu instid0(VALU_DEP_4) | instskip(NEXT) | instid1(VALU_DEP_1)
	v_or_b32_e32 v6, 0x70000000, v6
	v_dual_add_f32 v7, -0.5, v7 :: v_dual_mul_f32 v6, 0x7800000, v6
	s_delay_alu instid0(VALU_DEP_1) | instskip(NEXT) | instid1(VALU_DEP_1)
	v_cndmask_b32_e32 v4, v6, v7, vcc_lo
	v_and_or_b32 v3, 0x80000000, v3, v4
	s_delay_alu instid0(VALU_DEP_1) | instskip(NEXT) | instid1(VALU_DEP_1)
	v_trunc_f32_e32 v3, v3
	v_mul_f32_e64 v4, 0x2f800000, |v3|
	s_delay_alu instid0(VALU_DEP_1) | instskip(NEXT) | instid1(VALU_DEP_1)
	v_floor_f32_e32 v4, v4
	v_fma_f32 v4, 0xcf800000, v4, |v3|
	v_ashrrev_i32_e32 v3, 31, v3
	s_delay_alu instid0(VALU_DEP_2) | instskip(NEXT) | instid1(VALU_DEP_1)
	v_cvt_u32_f32_e32 v4, v4
	v_xor_b32_e32 v4, v4, v3
	s_delay_alu instid0(VALU_DEP_1)
	v_sub_nc_u32_e32 v3, v4, v3
.LBB281_194:
	s_mov_b32 s22, 0
	s_mov_b32 s2, -1
.LBB281_195:
	s_and_not1_b32 vcc_lo, exec_lo, s22
	s_cbranch_vccnz .LBB281_208
; %bb.196:
	v_cmp_gt_i16_e64 s22, s33, 14
	s_delay_alu instid0(VALU_DEP_1)
	s_and_b32 vcc_lo, exec_lo, s22
	s_cbranch_vccz .LBB281_199
; %bb.197:
	v_cmp_eq_u16_e64 s3, s33, 15
	s_delay_alu instid0(VALU_DEP_1)
	s_and_b32 vcc_lo, exec_lo, s3
	s_cbranch_vccz .LBB281_202
; %bb.198:
	global_load_u16 v3, v[1:2], off
	s_mov_b32 s2, -1
	s_mov_b32 s3, 0
	s_waitcnt vmcnt(0)
	v_lshlrev_b32_e32 v3, 16, v3
	s_delay_alu instid0(VALU_DEP_1) | instskip(NEXT) | instid1(VALU_DEP_1)
	v_trunc_f32_e32 v3, v3
	v_mul_f32_e64 v4, 0x2f800000, |v3|
	s_delay_alu instid0(VALU_DEP_1) | instskip(NEXT) | instid1(VALU_DEP_1)
	v_floor_f32_e32 v4, v4
	v_fma_f32 v4, 0xcf800000, v4, |v3|
	v_ashrrev_i32_e32 v3, 31, v3
	s_delay_alu instid0(VALU_DEP_2) | instskip(NEXT) | instid1(VALU_DEP_1)
	v_cvt_u32_f32_e32 v4, v4
	v_xor_b32_e32 v4, v4, v3
	s_delay_alu instid0(VALU_DEP_1)
	v_sub_nc_u32_e32 v3, v4, v3
	s_branch .LBB281_203
.LBB281_199:
	s_mov_b32 s22, -1
                                        ; implicit-def: $vgpr3
	s_branch .LBB281_204
.LBB281_200:
	s_or_saveexec_b32 s2, s2
	v_mov_b32_e32 v3, s23
	s_xor_b32 exec_lo, exec_lo, s2
	s_cbranch_execz .LBB281_181
.LBB281_201:
	v_cmp_ne_u16_e32 vcc_lo, 0, v4
	v_mov_b32_e32 v3, 0
	s_and_not1_b32 s22, s22, exec_lo
	s_and_b32 s23, vcc_lo, exec_lo
	s_delay_alu instid0(SALU_CYCLE_1)
	s_or_b32 s22, s22, s23
	s_or_b32 exec_lo, exec_lo, s2
	s_and_saveexec_b32 s2, s22
	s_cbranch_execnz .LBB281_182
	s_branch .LBB281_183
.LBB281_202:
	s_mov_b32 s3, -1
                                        ; implicit-def: $vgpr3
.LBB281_203:
	s_mov_b32 s22, 0
.LBB281_204:
	s_delay_alu instid0(SALU_CYCLE_1)
	s_and_b32 vcc_lo, exec_lo, s22
	s_cbranch_vccz .LBB281_208
; %bb.205:
	v_cmp_eq_u16_e64 s3, s33, 11
	s_delay_alu instid0(VALU_DEP_1)
	s_and_b32 vcc_lo, exec_lo, s3
	s_cbranch_vccz .LBB281_207
; %bb.206:
	global_load_u8 v3, v[1:2], off
	s_mov_b32 s3, 0
	s_mov_b32 s2, -1
	s_waitcnt vmcnt(0)
	v_cmp_ne_u16_e32 vcc_lo, 0, v3
	v_cndmask_b32_e64 v3, 0, 1, vcc_lo
	s_branch .LBB281_208
.LBB281_207:
	s_mov_b32 s3, -1
                                        ; implicit-def: $vgpr3
.LBB281_208:
	s_branch .LBB281_23
.LBB281_209:
	v_cmp_lt_i16_e64 s2, s33, 5
	s_delay_alu instid0(VALU_DEP_1)
	s_and_b32 vcc_lo, exec_lo, s2
	s_cbranch_vccnz .LBB281_214
; %bb.210:
	v_cmp_lt_i16_e64 s2, s33, 8
	s_delay_alu instid0(VALU_DEP_1)
	s_and_b32 vcc_lo, exec_lo, s2
	s_cbranch_vccnz .LBB281_215
; %bb.211:
	;; [unrolled: 5-line block ×3, first 2 shown]
	v_cmp_gt_i16_e64 s2, s33, 9
	s_delay_alu instid0(VALU_DEP_1)
	s_and_b32 vcc_lo, exec_lo, s2
	s_cbranch_vccz .LBB281_217
; %bb.213:
	global_load_b64 v[3:4], v[1:2], off
	s_mov_b32 s2, 0
	s_waitcnt vmcnt(0)
	v_trunc_f64_e32 v[3:4], v[3:4]
	s_delay_alu instid0(VALU_DEP_1) | instskip(NEXT) | instid1(VALU_DEP_1)
	v_ldexp_f64 v[6:7], v[3:4], 0xffffffe0
	v_floor_f64_e32 v[6:7], v[6:7]
	s_delay_alu instid0(VALU_DEP_1) | instskip(NEXT) | instid1(VALU_DEP_1)
	v_fma_f64 v[3:4], 0xc1f00000, v[6:7], v[3:4]
	v_cvt_u32_f64_e32 v3, v[3:4]
	s_branch .LBB281_218
.LBB281_214:
                                        ; implicit-def: $vgpr3
	s_branch .LBB281_236
.LBB281_215:
	s_mov_b32 s2, -1
                                        ; implicit-def: $vgpr3
	s_branch .LBB281_224
.LBB281_216:
	s_mov_b32 s2, -1
                                        ; implicit-def: $vgpr3
	s_branch .LBB281_221
.LBB281_217:
	s_mov_b32 s2, -1
                                        ; implicit-def: $vgpr3
.LBB281_218:
	s_delay_alu instid0(SALU_CYCLE_1)
	s_and_not1_b32 vcc_lo, exec_lo, s2
	s_cbranch_vccnz .LBB281_220
; %bb.219:
	global_load_b32 v3, v[1:2], off
	s_waitcnt vmcnt(0)
	v_trunc_f32_e32 v3, v3
	s_delay_alu instid0(VALU_DEP_1) | instskip(NEXT) | instid1(VALU_DEP_1)
	v_mul_f32_e64 v4, 0x2f800000, |v3|
	v_floor_f32_e32 v4, v4
	s_delay_alu instid0(VALU_DEP_1) | instskip(SKIP_1) | instid1(VALU_DEP_2)
	v_fma_f32 v4, 0xcf800000, v4, |v3|
	v_ashrrev_i32_e32 v3, 31, v3
	v_cvt_u32_f32_e32 v4, v4
	s_delay_alu instid0(VALU_DEP_1) | instskip(NEXT) | instid1(VALU_DEP_1)
	v_xor_b32_e32 v4, v4, v3
	v_sub_nc_u32_e32 v3, v4, v3
.LBB281_220:
	s_mov_b32 s2, 0
.LBB281_221:
	s_delay_alu instid0(SALU_CYCLE_1)
	s_and_not1_b32 vcc_lo, exec_lo, s2
	s_cbranch_vccnz .LBB281_223
; %bb.222:
	global_load_b32 v3, v[1:2], off
	s_waitcnt vmcnt(0)
	v_cvt_f32_f16_e32 v3, v3
	s_delay_alu instid0(VALU_DEP_1)
	v_cvt_i32_f32_e32 v3, v3
.LBB281_223:
	s_mov_b32 s2, 0
.LBB281_224:
	s_delay_alu instid0(SALU_CYCLE_1)
	s_and_not1_b32 vcc_lo, exec_lo, s2
	s_cbranch_vccnz .LBB281_235
; %bb.225:
	v_cmp_lt_i16_e64 s2, s33, 6
	s_delay_alu instid0(VALU_DEP_1)
	s_and_b32 vcc_lo, exec_lo, s2
	s_cbranch_vccnz .LBB281_228
; %bb.226:
	v_cmp_gt_i16_e64 s2, s33, 6
	s_delay_alu instid0(VALU_DEP_1)
	s_and_b32 vcc_lo, exec_lo, s2
	s_cbranch_vccz .LBB281_229
; %bb.227:
	global_load_b64 v[3:4], v[1:2], off
	s_mov_b32 s2, 0
	s_waitcnt vmcnt(0)
	v_trunc_f64_e32 v[3:4], v[3:4]
	s_delay_alu instid0(VALU_DEP_1) | instskip(NEXT) | instid1(VALU_DEP_1)
	v_ldexp_f64 v[6:7], v[3:4], 0xffffffe0
	v_floor_f64_e32 v[6:7], v[6:7]
	s_delay_alu instid0(VALU_DEP_1) | instskip(NEXT) | instid1(VALU_DEP_1)
	v_fma_f64 v[3:4], 0xc1f00000, v[6:7], v[3:4]
	v_cvt_u32_f64_e32 v3, v[3:4]
	s_branch .LBB281_230
.LBB281_228:
	s_mov_b32 s2, -1
                                        ; implicit-def: $vgpr3
	s_branch .LBB281_233
.LBB281_229:
	s_mov_b32 s2, -1
                                        ; implicit-def: $vgpr3
.LBB281_230:
	s_delay_alu instid0(SALU_CYCLE_1)
	s_and_not1_b32 vcc_lo, exec_lo, s2
	s_cbranch_vccnz .LBB281_232
; %bb.231:
	global_load_b32 v3, v[1:2], off
	s_waitcnt vmcnt(0)
	v_trunc_f32_e32 v3, v3
	s_delay_alu instid0(VALU_DEP_1) | instskip(NEXT) | instid1(VALU_DEP_1)
	v_mul_f32_e64 v4, 0x2f800000, |v3|
	v_floor_f32_e32 v4, v4
	s_delay_alu instid0(VALU_DEP_1) | instskip(SKIP_1) | instid1(VALU_DEP_2)
	v_fma_f32 v4, 0xcf800000, v4, |v3|
	v_ashrrev_i32_e32 v3, 31, v3
	v_cvt_u32_f32_e32 v4, v4
	s_delay_alu instid0(VALU_DEP_1) | instskip(NEXT) | instid1(VALU_DEP_1)
	v_xor_b32_e32 v4, v4, v3
	v_sub_nc_u32_e32 v3, v4, v3
.LBB281_232:
	s_mov_b32 s2, 0
.LBB281_233:
	s_delay_alu instid0(SALU_CYCLE_1)
	s_and_not1_b32 vcc_lo, exec_lo, s2
	s_cbranch_vccnz .LBB281_235
; %bb.234:
	global_load_u16 v3, v[1:2], off
	s_waitcnt vmcnt(0)
	v_cvt_f32_f16_e32 v3, v3
	s_delay_alu instid0(VALU_DEP_1)
	v_cvt_i32_f32_e32 v3, v3
.LBB281_235:
	s_cbranch_execnz .LBB281_255
.LBB281_236:
	v_cmp_lt_i16_e64 s2, s33, 2
	s_delay_alu instid0(VALU_DEP_1)
	s_and_b32 vcc_lo, exec_lo, s2
	s_cbranch_vccnz .LBB281_240
; %bb.237:
	v_cmp_lt_i16_e64 s2, s33, 3
	s_delay_alu instid0(VALU_DEP_1)
	s_and_b32 vcc_lo, exec_lo, s2
	s_cbranch_vccnz .LBB281_241
; %bb.238:
	v_cmp_gt_i16_e64 s2, s33, 3
	s_delay_alu instid0(VALU_DEP_1)
	s_and_b32 vcc_lo, exec_lo, s2
	s_cbranch_vccz .LBB281_242
; %bb.239:
	global_load_b64 v[3:4], v[1:2], off
	s_mov_b32 s2, 0
	s_branch .LBB281_243
.LBB281_240:
	s_mov_b32 s2, -1
                                        ; implicit-def: $vgpr3
	s_branch .LBB281_249
.LBB281_241:
	s_mov_b32 s2, -1
                                        ; implicit-def: $vgpr3
	s_branch .LBB281_246
.LBB281_242:
	s_mov_b32 s2, -1
                                        ; implicit-def: $vgpr3
.LBB281_243:
	s_delay_alu instid0(SALU_CYCLE_1)
	s_and_not1_b32 vcc_lo, exec_lo, s2
	s_cbranch_vccnz .LBB281_245
; %bb.244:
	global_load_b32 v3, v[1:2], off
.LBB281_245:
	s_mov_b32 s2, 0
.LBB281_246:
	s_delay_alu instid0(SALU_CYCLE_1)
	s_and_not1_b32 vcc_lo, exec_lo, s2
	s_cbranch_vccnz .LBB281_248
; %bb.247:
	global_load_u16 v3, v[1:2], off
.LBB281_248:
	s_mov_b32 s2, 0
.LBB281_249:
	s_delay_alu instid0(SALU_CYCLE_1)
	s_and_not1_b32 vcc_lo, exec_lo, s2
	s_cbranch_vccnz .LBB281_255
; %bb.250:
	v_cmp_gt_i16_e64 s2, s33, 0
	s_delay_alu instid0(VALU_DEP_1)
	s_and_b32 vcc_lo, exec_lo, s2
	s_mov_b32 s2, 0
	s_cbranch_vccz .LBB281_252
; %bb.251:
	global_load_u8 v3, v[1:2], off
	s_branch .LBB281_253
.LBB281_252:
	s_mov_b32 s2, -1
                                        ; implicit-def: $vgpr3
.LBB281_253:
	s_delay_alu instid0(SALU_CYCLE_1)
	s_and_not1_b32 vcc_lo, exec_lo, s2
	s_cbranch_vccnz .LBB281_255
; %bb.254:
	global_load_u8 v3, v[1:2], off
.LBB281_255:
	s_branch .LBB281_24
.LBB281_256:
	s_mov_b32 s2, 0
.LBB281_257:
	s_mov_b32 s22, 0
                                        ; implicit-def: $vgpr5
.LBB281_258:
	s_and_b32 s38, s2, exec_lo
	s_and_b32 s39, s3, exec_lo
	s_or_not1_b32 s3, s22, exec_lo
.LBB281_259:
	s_or_b32 exec_lo, exec_lo, s40
	s_mov_b32 s22, 0
	s_mov_b32 s2, 0
                                        ; implicit-def: $vgpr1_vgpr2
                                        ; implicit-def: $vgpr0
                                        ; implicit-def: $vgpr3
	s_and_saveexec_b32 s40, s3
	s_cbranch_execz .LBB281_890
; %bb.260:
	s_mov_b32 s2, -1
	s_mov_b32 s41, s39
	s_mov_b32 s42, s38
	s_mov_b32 s43, exec_lo
	v_cmpx_gt_i32_e64 s35, v5
	s_cbranch_execz .LBB281_525
; %bb.261:
	s_and_not1_b32 vcc_lo, exec_lo, s27
	s_cbranch_vccnz .LBB281_266
; %bb.262:
	v_dual_mov_b32 v0, 0 :: v_dual_mov_b32 v1, 0
	s_and_not1_b32 vcc_lo, exec_lo, s37
	s_mov_b32 s41, 0
	s_cbranch_vccnz .LBB281_271
; %bb.263:
	v_mov_b32_e32 v0, 0
	s_add_i32 s44, s36, 1
	s_cmp_eq_u32 s25, 2
	s_mov_b32 s42, 0
	s_cbranch_scc1 .LBB281_267
; %bb.264:
	v_dual_mov_b32 v1, 0 :: v_dual_mov_b32 v0, 0
	v_mov_b32_e32 v2, v5
	s_and_b32 s42, s44, 28
	s_mov_b32 s45, 0
	s_mov_b64 s[2:3], s[20:21]
	s_mov_b64 s[22:23], s[16:17]
.LBB281_265:                            ; =>This Inner Loop Header: Depth=1
	s_clause 0x1
	s_load_b256 s[48:55], s[22:23], 0x4
	s_load_b128 s[64:67], s[22:23], 0x24
	s_load_b256 s[56:63], s[2:3], 0x0
	s_add_u32 s22, s22, 48
	s_addc_u32 s23, s23, 0
	s_add_i32 s45, s45, 4
	s_add_u32 s2, s2, 32
	s_addc_u32 s3, s3, 0
	s_cmp_eq_u32 s42, s45
	s_waitcnt vmcnt(0) lgkmcnt(0)
	v_mul_hi_u32 v3, s49, v2
	s_delay_alu instid0(VALU_DEP_1) | instskip(NEXT) | instid1(VALU_DEP_1)
	v_add_nc_u32_e32 v3, v2, v3
	v_lshrrev_b32_e32 v3, s50, v3
	s_delay_alu instid0(VALU_DEP_1) | instskip(SKIP_1) | instid1(VALU_DEP_2)
	v_mul_hi_u32 v4, s52, v3
	v_mul_lo_u32 v7, v3, s48
	v_add_nc_u32_e32 v4, v3, v4
	s_delay_alu instid0(VALU_DEP_2) | instskip(NEXT) | instid1(VALU_DEP_2)
	v_sub_nc_u32_e32 v2, v2, v7
	v_lshrrev_b32_e32 v4, s53, v4
	s_delay_alu instid0(VALU_DEP_2) | instskip(SKIP_1) | instid1(VALU_DEP_3)
	v_mul_lo_u32 v7, v2, s56
	v_mul_lo_u32 v9, v2, s57
	v_mul_hi_u32 v6, s55, v4
	s_delay_alu instid0(VALU_DEP_1) | instskip(NEXT) | instid1(VALU_DEP_1)
	v_add_nc_u32_e32 v6, v4, v6
	v_lshrrev_b32_e32 v6, s64, v6
	s_delay_alu instid0(VALU_DEP_1) | instskip(SKIP_1) | instid1(VALU_DEP_2)
	v_mul_hi_u32 v8, s66, v6
	v_mul_lo_u32 v10, v6, s54
	v_add_nc_u32_e32 v2, v6, v8
	v_mul_lo_u32 v8, v4, s51
	s_delay_alu instid0(VALU_DEP_3) | instskip(NEXT) | instid1(VALU_DEP_3)
	v_sub_nc_u32_e32 v4, v4, v10
	v_lshrrev_b32_e32 v2, s67, v2
	s_delay_alu instid0(VALU_DEP_2) | instskip(SKIP_2) | instid1(VALU_DEP_4)
	v_mul_lo_u32 v10, v4, s60
	v_mul_lo_u32 v4, v4, s61
	v_sub_nc_u32_e32 v3, v3, v8
	v_mul_lo_u32 v11, v2, s65
	s_delay_alu instid0(VALU_DEP_2) | instskip(SKIP_1) | instid1(VALU_DEP_3)
	v_mul_lo_u32 v8, v3, s58
	v_mul_lo_u32 v3, v3, s59
	v_sub_nc_u32_e32 v6, v6, v11
	s_delay_alu instid0(VALU_DEP_3) | instskip(NEXT) | instid1(VALU_DEP_2)
	v_add3_u32 v0, v7, v0, v8
	v_mul_lo_u32 v11, v6, s62
	v_mul_lo_u32 v6, v6, s63
	v_add3_u32 v1, v9, v1, v3
	s_delay_alu instid0(VALU_DEP_3) | instskip(NEXT) | instid1(VALU_DEP_2)
	v_add3_u32 v0, v10, v0, v11
	v_add3_u32 v1, v4, v1, v6
	s_cbranch_scc0 .LBB281_265
	s_branch .LBB281_268
.LBB281_266:
	s_mov_b32 s41, -1
                                        ; implicit-def: $vgpr0
                                        ; implicit-def: $vgpr1
	s_branch .LBB281_271
.LBB281_267:
	v_dual_mov_b32 v2, v5 :: v_dual_mov_b32 v1, 0
.LBB281_268:
	s_and_b32 s44, s44, 3
	s_delay_alu instid0(SALU_CYCLE_1)
	s_cmp_eq_u32 s44, 0
	s_cbranch_scc1 .LBB281_271
; %bb.269:
	s_lshl_b32 s2, s42, 3
	s_mul_i32 s22, s42, 12
	s_add_u32 s2, s2, s16
	s_addc_u32 s3, s17, 0
	s_add_u32 s2, s2, 0xc4
	s_addc_u32 s3, s3, 0
	;; [unrolled: 2-line block ×3, first 2 shown]
	.p2align	6
.LBB281_270:                            ; =>This Inner Loop Header: Depth=1
	s_clause 0x1
	s_load_b64 s[46:47], s[22:23], 0x4
	s_load_b32 s42, s[22:23], 0xc
	s_load_b64 s[48:49], s[2:3], 0x0
	s_add_u32 s22, s22, 12
	s_addc_u32 s23, s23, 0
	s_add_u32 s2, s2, 8
	s_addc_u32 s3, s3, 0
	s_add_i32 s44, s44, -1
	s_delay_alu instid0(SALU_CYCLE_1) | instskip(SKIP_2) | instid1(VALU_DEP_1)
	s_cmp_lg_u32 s44, 0
	s_waitcnt vmcnt(0) lgkmcnt(0)
	v_mul_hi_u32 v3, s47, v2
	v_add_nc_u32_e32 v3, v2, v3
	s_delay_alu instid0(VALU_DEP_1) | instskip(NEXT) | instid1(VALU_DEP_1)
	v_lshrrev_b32_e32 v8, s42, v3
	v_mul_lo_u32 v3, v8, s46
	s_delay_alu instid0(VALU_DEP_1) | instskip(NEXT) | instid1(VALU_DEP_1)
	v_sub_nc_u32_e32 v2, v2, v3
	v_mad_u64_u32 v[3:4], null, v2, s48, v[0:1]
	v_mad_u64_u32 v[6:7], null, v2, s49, v[1:2]
	v_mov_b32_e32 v2, v8
	s_delay_alu instid0(VALU_DEP_2)
	v_dual_mov_b32 v0, v3 :: v_dual_mov_b32 v1, v6
	s_cbranch_scc1 .LBB281_270
.LBB281_271:
	s_and_not1_b32 vcc_lo, exec_lo, s41
	s_cbranch_vccnz .LBB281_274
; %bb.272:
	v_mul_hi_u32 v0, s13, v5
	s_and_not1_b32 vcc_lo, exec_lo, s34
	s_delay_alu instid0(VALU_DEP_1) | instskip(NEXT) | instid1(VALU_DEP_1)
	v_add_nc_u32_e32 v0, v5, v0
	v_lshrrev_b32_e32 v2, s14, v0
	s_delay_alu instid0(VALU_DEP_1) | instskip(NEXT) | instid1(VALU_DEP_1)
	v_mul_lo_u32 v0, v2, s12
	v_sub_nc_u32_e32 v1, v5, v0
	s_delay_alu instid0(VALU_DEP_1)
	v_mul_lo_u32 v0, v1, s8
	v_mul_lo_u32 v1, v1, s9
	s_cbranch_vccnz .LBB281_274
; %bb.273:
	s_waitcnt vmcnt(0)
	v_mul_hi_u32 v3, s18, v2
	s_delay_alu instid0(VALU_DEP_1) | instskip(NEXT) | instid1(VALU_DEP_1)
	v_add_nc_u32_e32 v3, v2, v3
	v_lshrrev_b32_e32 v3, s19, v3
	s_delay_alu instid0(VALU_DEP_1) | instskip(NEXT) | instid1(VALU_DEP_1)
	v_mul_lo_u32 v3, v3, s15
	v_sub_nc_u32_e32 v6, v2, v3
	s_delay_alu instid0(VALU_DEP_1) | instskip(NEXT) | instid1(VALU_DEP_1)
	v_mad_u64_u32 v[2:3], null, v6, s10, v[0:1]
	v_mad_u64_u32 v[3:4], null, v6, s11, v[1:2]
	s_delay_alu instid0(VALU_DEP_1)
	v_dual_mov_b32 v0, v2 :: v_dual_mov_b32 v1, v3
.LBB281_274:
	v_cmp_lt_i16_e64 s2, s33, 11
	s_delay_alu instid0(VALU_DEP_2) | instskip(NEXT) | instid1(VALU_DEP_1)
	v_add_co_u32 v1, s3, s6, v1
	v_add_co_ci_u32_e64 v2, null, s7, 0, s3
	s_delay_alu instid0(VALU_DEP_3)
	s_and_b32 vcc_lo, exec_lo, s2
	s_mov_b32 s2, 0
	s_cbranch_vccnz .LBB281_281
; %bb.275:
	v_cmp_gt_i16_e64 s2, s33, 25
	s_delay_alu instid0(VALU_DEP_1)
	s_and_b32 vcc_lo, exec_lo, s2
	s_cbranch_vccz .LBB281_330
; %bb.276:
	v_cmp_gt_i16_e64 s2, s33, 28
	s_delay_alu instid0(VALU_DEP_1)
	s_and_b32 vcc_lo, exec_lo, s2
	s_cbranch_vccz .LBB281_331
	;; [unrolled: 5-line block ×4, first 2 shown]
; %bb.279:
	v_cmp_eq_u16_e64 s2, s33, 46
	s_mov_b32 s22, 0
	s_delay_alu instid0(VALU_DEP_1)
	s_and_b32 vcc_lo, exec_lo, s2
	s_cbranch_vccz .LBB281_339
; %bb.280:
	global_load_b32 v3, v[1:2], off
	s_mov_b32 s2, -1
	s_mov_b32 s3, 0
	s_waitcnt vmcnt(0)
	v_lshlrev_b32_e32 v3, 16, v3
	s_delay_alu instid0(VALU_DEP_1) | instskip(NEXT) | instid1(VALU_DEP_1)
	v_trunc_f32_e32 v3, v3
	v_mul_f32_e64 v4, 0x2f800000, |v3|
	s_delay_alu instid0(VALU_DEP_1) | instskip(NEXT) | instid1(VALU_DEP_1)
	v_floor_f32_e32 v4, v4
	v_fma_f32 v4, 0xcf800000, v4, |v3|
	v_ashrrev_i32_e32 v3, 31, v3
	s_delay_alu instid0(VALU_DEP_2) | instskip(NEXT) | instid1(VALU_DEP_1)
	v_cvt_u32_f32_e32 v4, v4
	v_xor_b32_e32 v4, v4, v3
	s_delay_alu instid0(VALU_DEP_1)
	v_sub_nc_u32_e32 v3, v4, v3
	s_branch .LBB281_341
.LBB281_281:
	s_mov_b32 s3, s39
                                        ; implicit-def: $vgpr3
	s_cbranch_execnz .LBB281_474
.LBB281_282:
	s_and_not1_b32 vcc_lo, exec_lo, s2
	s_cbranch_vccnz .LBB281_522
.LBB281_283:
	v_and_b32_e64 v1, 0xff, s29
	s_waitcnt vmcnt(0)
	s_delay_alu instid0(VALU_DEP_2) | instskip(SKIP_3) | instid1(VALU_DEP_4)
	v_and_b32_e32 v2, 0xff, v3
	v_and_b32_e64 v3, 0xff, s30
	v_and_b32_e64 v4, 0xff, s31
	v_add_co_u32 v0, s2, s4, v0
	v_max_u16 v1, v2, v1
	s_delay_alu instid0(VALU_DEP_4) | instskip(SKIP_2) | instid1(VALU_DEP_2)
	v_cmp_gt_i16_e32 vcc_lo, 11, v3
	s_mov_b32 s22, 0
	s_mov_b32 s23, -1
	v_min_u16 v2, v1, v4
	v_add_co_ci_u32_e64 v1, null, s5, 0, s2
	s_mov_b32 s2, s38
	s_cbranch_vccnz .LBB281_290
; %bb.284:
	v_cmp_lt_i16_e32 vcc_lo, 25, v3
	s_cbranch_vccz .LBB281_332
; %bb.285:
	v_cmp_lt_i16_e32 vcc_lo, 28, v3
	s_cbranch_vccz .LBB281_334
	;; [unrolled: 3-line block ×4, first 2 shown]
; %bb.288:
	v_cmp_eq_u16_e32 vcc_lo, 46, v3
	s_mov_b32 s23, 0
	s_mov_b32 s2, -1
	s_cbranch_vccz .LBB281_345
; %bb.289:
	v_cvt_f32_ubyte0_e32 v4, v2
	s_mov_b32 s22, -1
	s_mov_b32 s2, 0
	s_delay_alu instid0(VALU_DEP_1) | instskip(NEXT) | instid1(VALU_DEP_1)
	v_bfe_u32 v6, v4, 16, 1
	v_add3_u32 v4, v4, v6, 0x7fff
	s_delay_alu instid0(VALU_DEP_1)
	v_lshrrev_b32_e32 v4, 16, v4
	global_store_b32 v[0:1], v4, off
	s_branch .LBB281_345
.LBB281_290:
	s_and_b32 vcc_lo, exec_lo, s23
	s_cbranch_vccz .LBB281_414
; %bb.291:
	v_cmp_gt_i16_e32 vcc_lo, 5, v3
	s_mov_b32 s22, -1
	s_cbranch_vccnz .LBB281_312
; %bb.292:
	v_cmp_gt_i16_e32 vcc_lo, 8, v3
	s_cbranch_vccnz .LBB281_302
; %bb.293:
	v_cmp_gt_i16_e32 vcc_lo, 9, v3
	s_cbranch_vccnz .LBB281_299
; %bb.294:
	v_cmp_lt_i16_e32 vcc_lo, 9, v3
	s_cbranch_vccz .LBB281_296
; %bb.295:
	v_mov_b32_e32 v8, 0
	v_and_b32_e32 v4, 0xffff, v2
	s_mov_b32 s22, 0
	s_delay_alu instid0(VALU_DEP_2) | instskip(NEXT) | instid1(VALU_DEP_2)
	v_mov_b32_e32 v9, v8
	v_cvt_f64_u32_e32 v[6:7], v4
	global_store_b128 v[0:1], v[6:9], off
.LBB281_296:
	s_and_not1_b32 vcc_lo, exec_lo, s22
	s_cbranch_vccnz .LBB281_298
; %bb.297:
	v_cvt_f32_ubyte0_e32 v6, v2
	v_mov_b32_e32 v7, 0
	global_store_b64 v[0:1], v[6:7], off
.LBB281_298:
	s_mov_b32 s22, 0
.LBB281_299:
	s_delay_alu instid0(SALU_CYCLE_1)
	s_and_not1_b32 vcc_lo, exec_lo, s22
	s_cbranch_vccnz .LBB281_301
; %bb.300:
	v_cvt_f16_u16_e32 v4, v2
	s_delay_alu instid0(VALU_DEP_1)
	v_and_b32_e32 v4, 0xffff, v4
	global_store_b32 v[0:1], v4, off
.LBB281_301:
	s_mov_b32 s22, 0
.LBB281_302:
	s_delay_alu instid0(SALU_CYCLE_1)
	s_and_not1_b32 vcc_lo, exec_lo, s22
	s_cbranch_vccnz .LBB281_311
; %bb.303:
	v_cmp_gt_i16_e32 vcc_lo, 6, v3
	s_mov_b32 s22, -1
	s_cbranch_vccnz .LBB281_309
; %bb.304:
	v_cmp_lt_i16_e32 vcc_lo, 6, v3
	s_cbranch_vccz .LBB281_306
; %bb.305:
	v_and_b32_e32 v4, 0xffff, v2
	s_mov_b32 s22, 0
	s_delay_alu instid0(VALU_DEP_1)
	v_cvt_f64_u32_e32 v[6:7], v4
	global_store_b64 v[0:1], v[6:7], off
.LBB281_306:
	s_and_not1_b32 vcc_lo, exec_lo, s22
	s_cbranch_vccnz .LBB281_308
; %bb.307:
	v_cvt_f32_ubyte0_e32 v4, v2
	global_store_b32 v[0:1], v4, off
.LBB281_308:
	s_mov_b32 s22, 0
.LBB281_309:
	s_delay_alu instid0(SALU_CYCLE_1)
	s_and_not1_b32 vcc_lo, exec_lo, s22
	s_cbranch_vccnz .LBB281_311
; %bb.310:
	v_cvt_f16_u16_e32 v4, v2
	global_store_b16 v[0:1], v4, off
.LBB281_311:
	s_mov_b32 s22, 0
.LBB281_312:
	s_delay_alu instid0(SALU_CYCLE_1)
	s_and_not1_b32 vcc_lo, exec_lo, s22
	s_cbranch_vccnz .LBB281_328
; %bb.313:
	v_cmp_gt_i16_e32 vcc_lo, 2, v3
	s_mov_b32 s22, -1
	s_cbranch_vccnz .LBB281_323
; %bb.314:
	v_cmp_gt_i16_e32 vcc_lo, 3, v3
	s_cbranch_vccnz .LBB281_320
; %bb.315:
	v_cmp_lt_i16_e32 vcc_lo, 3, v3
	s_cbranch_vccz .LBB281_317
; %bb.316:
	s_mov_b32 s22, 0
	s_delay_alu instid0(SALU_CYCLE_1)
	v_dual_mov_b32 v7, s22 :: v_dual_and_b32 v6, 0xffff, v2
	global_store_b64 v[0:1], v[6:7], off
.LBB281_317:
	s_and_not1_b32 vcc_lo, exec_lo, s22
	s_cbranch_vccnz .LBB281_319
; %bb.318:
	v_and_b32_e32 v4, 0xffff, v2
	global_store_b32 v[0:1], v4, off
.LBB281_319:
	s_mov_b32 s22, 0
.LBB281_320:
	s_delay_alu instid0(SALU_CYCLE_1)
	s_and_not1_b32 vcc_lo, exec_lo, s22
	s_cbranch_vccnz .LBB281_322
; %bb.321:
	global_store_b16 v[0:1], v2, off
.LBB281_322:
	s_mov_b32 s22, 0
.LBB281_323:
	s_delay_alu instid0(SALU_CYCLE_1)
	s_and_not1_b32 vcc_lo, exec_lo, s22
	s_cbranch_vccnz .LBB281_328
; %bb.324:
	v_cmp_lt_i16_e32 vcc_lo, 0, v3
	s_mov_b32 s22, -1
	s_cbranch_vccz .LBB281_326
; %bb.325:
	s_mov_b32 s22, 0
	global_store_b8 v[0:1], v2, off
.LBB281_326:
	s_and_not1_b32 vcc_lo, exec_lo, s22
	s_cbranch_vccnz .LBB281_328
; %bb.327:
	global_store_b8 v[0:1], v2, off
.LBB281_328:
	s_branch .LBB281_415
.LBB281_329:
	s_mov_b32 s22, 0
	s_branch .LBB281_523
.LBB281_330:
	s_mov_b32 s22, -1
	s_mov_b32 s2, 0
	s_mov_b32 s3, s39
                                        ; implicit-def: $vgpr3
	s_branch .LBB281_440
.LBB281_331:
	s_mov_b32 s22, -1
	s_mov_b32 s2, 0
	s_mov_b32 s3, s39
                                        ; implicit-def: $vgpr3
	s_branch .LBB281_423
.LBB281_332:
	s_mov_b32 s2, s38
	s_branch .LBB281_372
.LBB281_333:
	s_mov_b32 s22, -1
	s_mov_b32 s2, 0
	s_mov_b32 s3, s39
                                        ; implicit-def: $vgpr3
	s_branch .LBB281_418
.LBB281_334:
	s_mov_b32 s2, s38
	s_branch .LBB281_355
.LBB281_335:
	s_mov_b32 s22, -1
	s_mov_b32 s2, 0
	s_mov_b32 s3, s39
	s_branch .LBB281_340
.LBB281_336:
	s_mov_b32 s2, s38
	s_branch .LBB281_351
.LBB281_337:
	s_or_saveexec_b32 s38, s38
                                        ; implicit-def: $sgpr39
	s_delay_alu instid0(SALU_CYCLE_1)
	s_xor_b32 exec_lo, exec_lo, s38
	s_cbranch_execz .LBB281_65
.LBB281_338:
	v_add_f32_e32 v4, 0x42800000, v6
	s_and_not1_b32 s23, s23, exec_lo
	s_mov_b32 s39, 0
	s_delay_alu instid0(VALU_DEP_1) | instskip(NEXT) | instid1(VALU_DEP_1)
	v_and_b32_e32 v4, 0xff, v4
	v_cmp_ne_u32_e32 vcc_lo, 0, v4
	s_and_b32 s42, vcc_lo, exec_lo
	s_delay_alu instid0(SALU_CYCLE_1)
	s_or_b32 s23, s23, s42
	s_or_b32 exec_lo, exec_lo, s38
	v_mov_b32_e32 v7, s39
	s_and_saveexec_b32 s38, s23
	s_cbranch_execnz .LBB281_66
	s_branch .LBB281_67
.LBB281_339:
	s_mov_b32 s3, -1
	s_mov_b32 s2, 0
.LBB281_340:
                                        ; implicit-def: $vgpr3
.LBB281_341:
	s_and_b32 vcc_lo, exec_lo, s22
	s_cbranch_vccz .LBB281_417
; %bb.342:
	v_cmp_eq_u16_e64 s3, s33, 44
	s_delay_alu instid0(VALU_DEP_1)
	s_and_b32 vcc_lo, exec_lo, s3
	s_cbranch_vccz .LBB281_416
; %bb.343:
	global_load_u8 v3, v[1:2], off
	s_mov_b32 s3, 0
	s_mov_b32 s2, -1
	s_waitcnt vmcnt(0)
	v_lshlrev_b32_e32 v4, 23, v3
	v_cmp_ne_u32_e32 vcc_lo, 0, v3
	s_delay_alu instid0(VALU_DEP_2) | instskip(NEXT) | instid1(VALU_DEP_1)
	v_trunc_f32_e32 v4, v4
	v_mul_f32_e64 v6, 0x2f800000, |v4|
	s_delay_alu instid0(VALU_DEP_1) | instskip(NEXT) | instid1(VALU_DEP_1)
	v_floor_f32_e32 v6, v6
	v_fma_f32 v6, 0xcf800000, v6, |v4|
	v_ashrrev_i32_e32 v4, 31, v4
	s_delay_alu instid0(VALU_DEP_2) | instskip(NEXT) | instid1(VALU_DEP_1)
	v_cvt_u32_f32_e32 v6, v6
	v_xor_b32_e32 v6, v6, v4
	s_delay_alu instid0(VALU_DEP_1) | instskip(NEXT) | instid1(VALU_DEP_1)
	v_sub_nc_u32_e32 v4, v6, v4
	v_cndmask_b32_e32 v3, 0, v4, vcc_lo
	s_branch .LBB281_417
.LBB281_344:
	s_mov_b32 s2, s38
.LBB281_345:
	s_and_b32 vcc_lo, exec_lo, s23
	s_cbranch_vccz .LBB281_350
; %bb.346:
	v_cmp_eq_u16_e32 vcc_lo, 44, v3
	s_mov_b32 s2, -1
	s_cbranch_vccz .LBB281_350
; %bb.347:
	v_cvt_f32_ubyte0_e32 v7, v2
	v_mov_b32_e32 v6, 0xff
	s_mov_b32 s22, exec_lo
	s_delay_alu instid0(VALU_DEP_2) | instskip(NEXT) | instid1(VALU_DEP_1)
	v_lshrrev_b32_e32 v4, 23, v7
	v_cmpx_ne_u32_e32 0xff, v4
; %bb.348:
	v_and_b32_e32 v6, 0x400000, v7
	v_and_or_b32 v7, 0x3fffff, v7, v4
	s_delay_alu instid0(VALU_DEP_2) | instskip(NEXT) | instid1(VALU_DEP_2)
	v_cmp_ne_u32_e32 vcc_lo, 0, v6
	v_cmp_ne_u32_e64 s2, 0, v7
	s_delay_alu instid0(VALU_DEP_1) | instskip(NEXT) | instid1(SALU_CYCLE_1)
	s_and_b32 s2, vcc_lo, s2
	v_cndmask_b32_e64 v6, 0, 1, s2
	s_delay_alu instid0(VALU_DEP_1)
	v_add_nc_u32_e32 v6, v4, v6
; %bb.349:
	s_or_b32 exec_lo, exec_lo, s22
	s_mov_b32 s22, -1
	s_mov_b32 s2, 0
	global_store_b8 v[0:1], v6, off
.LBB281_350:
	s_mov_b32 s23, 0
.LBB281_351:
	s_delay_alu instid0(SALU_CYCLE_1)
	s_and_b32 vcc_lo, exec_lo, s23
	s_cbranch_vccz .LBB281_354
; %bb.352:
	v_cmp_eq_u16_e32 vcc_lo, 29, v3
	s_mov_b32 s2, -1
	s_cbranch_vccz .LBB281_354
; %bb.353:
	s_mov_b32 s2, 0
	s_delay_alu instid0(SALU_CYCLE_1)
	v_dual_mov_b32 v7, s2 :: v_dual_and_b32 v6, 0xffff, v2
	s_mov_b32 s22, -1
	s_mov_b32 s23, 0
	global_store_b64 v[0:1], v[6:7], off
	s_branch .LBB281_355
.LBB281_354:
	s_mov_b32 s23, 0
.LBB281_355:
	s_delay_alu instid0(SALU_CYCLE_1)
	s_and_b32 vcc_lo, exec_lo, s23
	s_cbranch_vccz .LBB281_371
; %bb.356:
	v_cmp_gt_i16_e32 vcc_lo, 27, v3
	s_mov_b32 s22, -1
	s_cbranch_vccnz .LBB281_362
; %bb.357:
	v_cmp_lt_i16_e32 vcc_lo, 27, v3
	s_cbranch_vccz .LBB281_359
; %bb.358:
	v_and_b32_e32 v4, 0xffff, v2
	s_mov_b32 s22, 0
	global_store_b32 v[0:1], v4, off
.LBB281_359:
	s_and_not1_b32 vcc_lo, exec_lo, s22
	s_cbranch_vccnz .LBB281_361
; %bb.360:
	global_store_b16 v[0:1], v2, off
.LBB281_361:
	s_mov_b32 s22, 0
.LBB281_362:
	s_delay_alu instid0(SALU_CYCLE_1)
	s_and_not1_b32 vcc_lo, exec_lo, s22
	s_cbranch_vccnz .LBB281_370
; %bb.363:
	v_cvt_f32_ubyte0_e32 v6, v2
	v_mov_b32_e32 v7, 0x80
	s_mov_b32 s22, exec_lo
	s_delay_alu instid0(VALU_DEP_2)
	v_cmpx_gt_u32_e32 0x43800000, v6
	s_cbranch_execz .LBB281_369
; %bb.364:
	s_mov_b32 s23, 0
	s_mov_b32 s41, exec_lo
                                        ; implicit-def: $vgpr4
	v_cmpx_lt_u32_e32 0x3bffffff, v6
	s_xor_b32 s41, exec_lo, s41
	s_cbranch_execz .LBB281_551
; %bb.365:
	v_bfe_u32 v4, v6, 20, 1
	s_mov_b32 s23, exec_lo
	s_delay_alu instid0(VALU_DEP_1) | instskip(NEXT) | instid1(VALU_DEP_1)
	v_add3_u32 v4, v6, v4, 0x487ffff
                                        ; implicit-def: $vgpr6
	v_lshrrev_b32_e32 v4, 20, v4
	s_or_saveexec_b32 s41, s41
                                        ; implicit-def: $sgpr42
	s_delay_alu instid0(SALU_CYCLE_1)
	s_xor_b32 exec_lo, exec_lo, s41
	s_cbranch_execnz .LBB281_552
.LBB281_366:
	s_or_b32 exec_lo, exec_lo, s41
	v_mov_b32_e32 v7, s42
	s_and_saveexec_b32 s41, s23
.LBB281_367:
	v_mov_b32_e32 v7, v4
.LBB281_368:
	s_or_b32 exec_lo, exec_lo, s41
.LBB281_369:
	s_delay_alu instid0(SALU_CYCLE_1)
	s_or_b32 exec_lo, exec_lo, s22
	global_store_b8 v[0:1], v7, off
.LBB281_370:
	s_mov_b32 s22, -1
.LBB281_371:
	s_mov_b32 s23, 0
.LBB281_372:
	s_delay_alu instid0(SALU_CYCLE_1)
	s_and_b32 vcc_lo, exec_lo, s23
	s_cbranch_vccz .LBB281_413
; %bb.373:
	v_cmp_lt_i16_e32 vcc_lo, 22, v3
	s_mov_b32 s23, -1
	s_cbranch_vccz .LBB281_405
; %bb.374:
	v_cmp_gt_i16_e32 vcc_lo, 24, v3
	s_mov_b32 s22, -1
	s_cbranch_vccnz .LBB281_394
; %bb.375:
	v_cmp_lt_i16_e32 vcc_lo, 24, v3
	s_cbranch_vccz .LBB281_383
; %bb.376:
	v_cvt_f32_ubyte0_e32 v6, v2
	v_mov_b32_e32 v7, 0x80
	s_mov_b32 s22, exec_lo
	s_delay_alu instid0(VALU_DEP_2)
	v_cmpx_gt_u32_e32 0x47800000, v6
	s_cbranch_execz .LBB281_382
; %bb.377:
	s_mov_b32 s23, 0
	s_mov_b32 s41, exec_lo
                                        ; implicit-def: $vgpr4
	v_cmpx_lt_u32_e32 0x37ffffff, v6
	s_xor_b32 s41, exec_lo, s41
	s_cbranch_execz .LBB281_554
; %bb.378:
	v_bfe_u32 v4, v6, 21, 1
	s_mov_b32 s23, exec_lo
	s_delay_alu instid0(VALU_DEP_1) | instskip(NEXT) | instid1(VALU_DEP_1)
	v_add3_u32 v4, v6, v4, 0x88fffff
                                        ; implicit-def: $vgpr6
	v_lshrrev_b32_e32 v4, 21, v4
	s_or_saveexec_b32 s41, s41
                                        ; implicit-def: $sgpr42
	s_delay_alu instid0(SALU_CYCLE_1)
	s_xor_b32 exec_lo, exec_lo, s41
	s_cbranch_execnz .LBB281_555
.LBB281_379:
	s_or_b32 exec_lo, exec_lo, s41
	v_mov_b32_e32 v7, s42
	s_and_saveexec_b32 s41, s23
.LBB281_380:
	v_mov_b32_e32 v7, v4
.LBB281_381:
	s_or_b32 exec_lo, exec_lo, s41
.LBB281_382:
	s_delay_alu instid0(SALU_CYCLE_1)
	s_or_b32 exec_lo, exec_lo, s22
	s_mov_b32 s22, 0
	global_store_b8 v[0:1], v7, off
.LBB281_383:
	s_and_b32 vcc_lo, exec_lo, s22
	s_cbranch_vccz .LBB281_393
; %bb.384:
	v_cvt_f32_ubyte0_e32 v6, v2
	s_mov_b32 s22, exec_lo
                                        ; implicit-def: $vgpr4
	s_delay_alu instid0(VALU_DEP_1)
	v_cmpx_gt_u32_e32 0x43f00000, v6
	s_xor_b32 s22, exec_lo, s22
	s_cbranch_execz .LBB281_390
; %bb.385:
	s_mov_b32 s23, exec_lo
                                        ; implicit-def: $vgpr4
	v_cmpx_lt_u32_e32 0x3c7fffff, v6
	s_xor_b32 s23, exec_lo, s23
; %bb.386:
	v_bfe_u32 v4, v6, 20, 1
	s_delay_alu instid0(VALU_DEP_1) | instskip(NEXT) | instid1(VALU_DEP_1)
	v_add3_u32 v4, v6, v4, 0x407ffff
	v_and_b32_e32 v6, 0xff00000, v4
	v_lshrrev_b32_e32 v4, 20, v4
	s_delay_alu instid0(VALU_DEP_2) | instskip(NEXT) | instid1(VALU_DEP_2)
	v_cmp_ne_u32_e32 vcc_lo, 0x7f00000, v6
                                        ; implicit-def: $vgpr6
	v_cndmask_b32_e32 v4, 0x7e, v4, vcc_lo
; %bb.387:
	s_and_not1_saveexec_b32 s23, s23
; %bb.388:
	v_add_f32_e32 v4, 0x46800000, v6
; %bb.389:
	s_or_b32 exec_lo, exec_lo, s23
                                        ; implicit-def: $vgpr6
.LBB281_390:
	s_and_not1_saveexec_b32 s22, s22
; %bb.391:
	v_mov_b32_e32 v4, 0x7f
	v_cmp_lt_u32_e32 vcc_lo, 0x7f800000, v6
	s_delay_alu instid0(VALU_DEP_2)
	v_cndmask_b32_e32 v4, 0x7e, v4, vcc_lo
; %bb.392:
	s_or_b32 exec_lo, exec_lo, s22
	global_store_b8 v[0:1], v4, off
.LBB281_393:
	s_mov_b32 s22, 0
.LBB281_394:
	s_delay_alu instid0(SALU_CYCLE_1)
	s_and_not1_b32 vcc_lo, exec_lo, s22
	s_cbranch_vccnz .LBB281_404
; %bb.395:
	v_cvt_f32_ubyte0_e32 v6, v2
	s_mov_b32 s22, exec_lo
                                        ; implicit-def: $vgpr4
	s_delay_alu instid0(VALU_DEP_1)
	v_cmpx_gt_u32_e32 0x47800000, v6
	s_xor_b32 s22, exec_lo, s22
	s_cbranch_execz .LBB281_401
; %bb.396:
	s_mov_b32 s23, exec_lo
                                        ; implicit-def: $vgpr4
	v_cmpx_lt_u32_e32 0x387fffff, v6
	s_xor_b32 s23, exec_lo, s23
; %bb.397:
	v_bfe_u32 v4, v6, 21, 1
	s_delay_alu instid0(VALU_DEP_1) | instskip(NEXT) | instid1(VALU_DEP_1)
	v_add3_u32 v4, v6, v4, 0x80fffff
                                        ; implicit-def: $vgpr6
	v_lshrrev_b32_e32 v4, 21, v4
; %bb.398:
	s_and_not1_saveexec_b32 s23, s23
; %bb.399:
	v_add_f32_e32 v4, 0x43000000, v6
; %bb.400:
	s_or_b32 exec_lo, exec_lo, s23
                                        ; implicit-def: $vgpr6
.LBB281_401:
	s_and_not1_saveexec_b32 s22, s22
; %bb.402:
	v_mov_b32_e32 v4, 0x7f
	v_cmp_lt_u32_e32 vcc_lo, 0x7f800000, v6
	s_delay_alu instid0(VALU_DEP_2)
	v_cndmask_b32_e32 v4, 0x7c, v4, vcc_lo
; %bb.403:
	s_or_b32 exec_lo, exec_lo, s22
	global_store_b8 v[0:1], v4, off
.LBB281_404:
	s_mov_b32 s23, 0
	s_mov_b32 s22, -1
.LBB281_405:
	s_and_not1_b32 vcc_lo, exec_lo, s23
	s_cbranch_vccnz .LBB281_413
; %bb.406:
	v_cmp_lt_i16_e32 vcc_lo, 14, v3
	s_mov_b32 s23, -1
	s_cbranch_vccz .LBB281_410
; %bb.407:
	v_cmp_eq_u16_e32 vcc_lo, 15, v3
	s_mov_b32 s2, -1
	s_cbranch_vccz .LBB281_409
; %bb.408:
	v_cvt_f32_ubyte0_e32 v4, v2
	s_mov_b32 s22, -1
	s_mov_b32 s2, 0
	s_delay_alu instid0(VALU_DEP_1) | instskip(NEXT) | instid1(VALU_DEP_1)
	v_bfe_u32 v6, v4, 16, 1
	v_add3_u32 v4, v4, v6, 0x7fff
	global_store_d16_hi_b16 v[0:1], v4, off
.LBB281_409:
	s_mov_b32 s23, 0
.LBB281_410:
	s_delay_alu instid0(SALU_CYCLE_1)
	s_and_b32 vcc_lo, exec_lo, s23
	s_cbranch_vccz .LBB281_413
; %bb.411:
	v_cmp_eq_u16_e32 vcc_lo, 11, v3
	s_mov_b32 s2, -1
	s_cbranch_vccz .LBB281_413
; %bb.412:
	v_cmp_ne_u16_e32 vcc_lo, 0, v2
	s_mov_b32 s2, 0
	s_mov_b32 s22, -1
	v_cndmask_b32_e64 v4, 0, 1, vcc_lo
	global_store_b8 v[0:1], v4, off
.LBB281_413:
.LBB281_414:
	s_and_not1_b32 vcc_lo, exec_lo, s22
	s_cbranch_vccnz .LBB281_329
.LBB281_415:
	v_add_nc_u32_e32 v5, 0x80, v5
	s_mov_b32 s22, -1
	s_branch .LBB281_524
.LBB281_416:
	s_mov_b32 s3, -1
                                        ; implicit-def: $vgpr3
.LBB281_417:
	s_mov_b32 s22, 0
.LBB281_418:
	s_delay_alu instid0(SALU_CYCLE_1)
	s_and_b32 vcc_lo, exec_lo, s22
	s_cbranch_vccz .LBB281_422
; %bb.419:
	v_cmp_eq_u16_e64 s3, s33, 29
	s_delay_alu instid0(VALU_DEP_1)
	s_and_b32 vcc_lo, exec_lo, s3
	s_cbranch_vccz .LBB281_421
; %bb.420:
	global_load_b64 v[3:4], v[1:2], off
	s_mov_b32 s2, -1
	s_mov_b32 s3, 0
	s_branch .LBB281_422
.LBB281_421:
	s_mov_b32 s3, -1
                                        ; implicit-def: $vgpr3
.LBB281_422:
	s_mov_b32 s22, 0
.LBB281_423:
	s_delay_alu instid0(SALU_CYCLE_1)
	s_and_b32 vcc_lo, exec_lo, s22
	s_cbranch_vccz .LBB281_439
; %bb.424:
	v_cmp_lt_i16_e64 s2, s33, 27
	s_delay_alu instid0(VALU_DEP_1)
	s_and_b32 vcc_lo, exec_lo, s2
	s_cbranch_vccnz .LBB281_427
; %bb.425:
	v_cmp_gt_i16_e64 s2, s33, 27
	s_delay_alu instid0(VALU_DEP_1)
	s_and_b32 vcc_lo, exec_lo, s2
	s_cbranch_vccz .LBB281_428
; %bb.426:
	global_load_b32 v3, v[1:2], off
	s_mov_b32 s2, 0
	s_branch .LBB281_429
.LBB281_427:
	s_mov_b32 s2, -1
                                        ; implicit-def: $vgpr3
	s_branch .LBB281_432
.LBB281_428:
	s_mov_b32 s2, -1
                                        ; implicit-def: $vgpr3
.LBB281_429:
	s_delay_alu instid0(SALU_CYCLE_1)
	s_and_not1_b32 vcc_lo, exec_lo, s2
	s_cbranch_vccnz .LBB281_431
; %bb.430:
	global_load_u16 v3, v[1:2], off
.LBB281_431:
	s_mov_b32 s2, 0
.LBB281_432:
	s_delay_alu instid0(SALU_CYCLE_1)
	s_and_not1_b32 vcc_lo, exec_lo, s2
	s_cbranch_vccnz .LBB281_438
; %bb.433:
	global_load_u8 v4, v[1:2], off
	s_mov_b32 s22, 0
	s_mov_b32 s2, exec_lo
                                        ; implicit-def: $sgpr23
	s_waitcnt vmcnt(0)
	v_cmpx_lt_i16_e32 0x7f, v4
	s_xor_b32 s2, exec_lo, s2
	s_cbranch_execz .LBB281_450
; %bb.434:
	v_cmp_ne_u16_e32 vcc_lo, 0x80, v4
	s_mov_b32 s23, 0
	s_and_b32 s22, vcc_lo, exec_lo
	s_or_saveexec_b32 s2, s2
	v_mov_b32_e32 v3, s23
	s_xor_b32 exec_lo, exec_lo, s2
	s_cbranch_execnz .LBB281_451
.LBB281_435:
	s_or_b32 exec_lo, exec_lo, s2
	s_and_saveexec_b32 s2, s22
	s_cbranch_execz .LBB281_437
.LBB281_436:
	v_and_b32_e32 v3, 0xffff, v4
	v_lshlrev_b32_e32 v4, 24, v4
	s_delay_alu instid0(VALU_DEP_2) | instskip(NEXT) | instid1(VALU_DEP_2)
	v_and_b32_e32 v6, 7, v3
	v_and_b32_e32 v4, 0x80000000, v4
	s_delay_alu instid0(VALU_DEP_2) | instskip(NEXT) | instid1(VALU_DEP_1)
	v_clz_i32_u32_e32 v7, v6
	v_min_u32_e32 v7, 32, v7
	s_delay_alu instid0(VALU_DEP_1) | instskip(SKIP_1) | instid1(VALU_DEP_2)
	v_subrev_nc_u32_e32 v8, 28, v7
	v_sub_nc_u32_e32 v7, 29, v7
	v_lshlrev_b32_e32 v8, v8, v3
	v_bfe_u32 v3, v3, 3, 4
	s_delay_alu instid0(VALU_DEP_1) | instskip(NEXT) | instid1(VALU_DEP_3)
	v_cmp_eq_u32_e32 vcc_lo, 0, v3
	v_dual_cndmask_b32 v3, v3, v7 :: v_dual_and_b32 v8, 7, v8
	s_delay_alu instid0(VALU_DEP_1) | instskip(NEXT) | instid1(VALU_DEP_2)
	v_cndmask_b32_e32 v6, v6, v8, vcc_lo
	v_lshl_add_u32 v3, v3, 23, 0x3b800000
	s_delay_alu instid0(VALU_DEP_2) | instskip(NEXT) | instid1(VALU_DEP_1)
	v_lshlrev_b32_e32 v6, 20, v6
	v_or3_b32 v3, v4, v3, v6
	s_delay_alu instid0(VALU_DEP_1) | instskip(NEXT) | instid1(VALU_DEP_1)
	v_trunc_f32_e32 v3, v3
	v_mul_f32_e64 v4, 0x2f800000, |v3|
	s_delay_alu instid0(VALU_DEP_1) | instskip(NEXT) | instid1(VALU_DEP_1)
	v_floor_f32_e32 v4, v4
	v_fma_f32 v4, 0xcf800000, v4, |v3|
	v_ashrrev_i32_e32 v3, 31, v3
	s_delay_alu instid0(VALU_DEP_2) | instskip(NEXT) | instid1(VALU_DEP_1)
	v_cvt_u32_f32_e32 v4, v4
	v_xor_b32_e32 v4, v4, v3
	s_delay_alu instid0(VALU_DEP_1)
	v_sub_nc_u32_e32 v3, v4, v3
.LBB281_437:
	s_or_b32 exec_lo, exec_lo, s2
.LBB281_438:
	s_mov_b32 s2, -1
.LBB281_439:
	s_mov_b32 s22, 0
.LBB281_440:
	s_delay_alu instid0(SALU_CYCLE_1)
	s_and_b32 vcc_lo, exec_lo, s22
	s_cbranch_vccz .LBB281_473
; %bb.441:
	v_cmp_gt_i16_e64 s22, s33, 22
	s_delay_alu instid0(VALU_DEP_1)
	s_and_b32 vcc_lo, exec_lo, s22
	s_cbranch_vccz .LBB281_449
; %bb.442:
	v_cmp_lt_i16_e64 s2, s33, 24
	s_delay_alu instid0(VALU_DEP_1)
	s_and_b32 vcc_lo, exec_lo, s2
	s_cbranch_vccnz .LBB281_452
; %bb.443:
	v_cmp_gt_i16_e64 s2, s33, 24
	s_delay_alu instid0(VALU_DEP_1)
	s_and_b32 vcc_lo, exec_lo, s2
	s_cbranch_vccz .LBB281_453
; %bb.444:
	global_load_u8 v4, v[1:2], off
	s_mov_b32 s22, 0
	s_mov_b32 s2, exec_lo
                                        ; implicit-def: $sgpr23
	s_waitcnt vmcnt(0)
	v_cmpx_lt_i16_e32 0x7f, v4
	s_xor_b32 s2, exec_lo, s2
	s_cbranch_execz .LBB281_465
; %bb.445:
	v_cmp_ne_u16_e32 vcc_lo, 0x80, v4
	s_mov_b32 s23, 0
	s_and_b32 s22, vcc_lo, exec_lo
	s_or_saveexec_b32 s2, s2
	v_mov_b32_e32 v3, s23
	s_xor_b32 exec_lo, exec_lo, s2
	s_cbranch_execnz .LBB281_466
.LBB281_446:
	s_or_b32 exec_lo, exec_lo, s2
	s_and_saveexec_b32 s2, s22
	s_cbranch_execz .LBB281_448
.LBB281_447:
	v_and_b32_e32 v3, 0xffff, v4
	v_lshlrev_b32_e32 v4, 24, v4
	s_delay_alu instid0(VALU_DEP_2) | instskip(NEXT) | instid1(VALU_DEP_2)
	v_and_b32_e32 v6, 3, v3
	v_and_b32_e32 v4, 0x80000000, v4
	s_delay_alu instid0(VALU_DEP_2) | instskip(NEXT) | instid1(VALU_DEP_1)
	v_clz_i32_u32_e32 v7, v6
	v_min_u32_e32 v7, 32, v7
	s_delay_alu instid0(VALU_DEP_1) | instskip(SKIP_1) | instid1(VALU_DEP_2)
	v_subrev_nc_u32_e32 v8, 29, v7
	v_sub_nc_u32_e32 v7, 30, v7
	v_lshlrev_b32_e32 v8, v8, v3
	v_bfe_u32 v3, v3, 2, 5
	s_delay_alu instid0(VALU_DEP_1) | instskip(NEXT) | instid1(VALU_DEP_3)
	v_cmp_eq_u32_e32 vcc_lo, 0, v3
	v_dual_cndmask_b32 v3, v3, v7 :: v_dual_and_b32 v8, 3, v8
	s_delay_alu instid0(VALU_DEP_1) | instskip(NEXT) | instid1(VALU_DEP_2)
	v_cndmask_b32_e32 v6, v6, v8, vcc_lo
	v_lshl_add_u32 v3, v3, 23, 0x37800000
	s_delay_alu instid0(VALU_DEP_2) | instskip(NEXT) | instid1(VALU_DEP_1)
	v_lshlrev_b32_e32 v6, 21, v6
	v_or3_b32 v3, v4, v3, v6
	s_delay_alu instid0(VALU_DEP_1) | instskip(NEXT) | instid1(VALU_DEP_1)
	v_trunc_f32_e32 v3, v3
	v_mul_f32_e64 v4, 0x2f800000, |v3|
	s_delay_alu instid0(VALU_DEP_1) | instskip(NEXT) | instid1(VALU_DEP_1)
	v_floor_f32_e32 v4, v4
	v_fma_f32 v4, 0xcf800000, v4, |v3|
	v_ashrrev_i32_e32 v3, 31, v3
	s_delay_alu instid0(VALU_DEP_2) | instskip(NEXT) | instid1(VALU_DEP_1)
	v_cvt_u32_f32_e32 v4, v4
	v_xor_b32_e32 v4, v4, v3
	s_delay_alu instid0(VALU_DEP_1)
	v_sub_nc_u32_e32 v3, v4, v3
.LBB281_448:
	s_or_b32 exec_lo, exec_lo, s2
	s_mov_b32 s2, 0
	s_branch .LBB281_454
.LBB281_449:
	s_mov_b32 s22, -1
                                        ; implicit-def: $vgpr3
	s_branch .LBB281_460
.LBB281_450:
	s_or_saveexec_b32 s2, s2
	v_mov_b32_e32 v3, s23
	s_xor_b32 exec_lo, exec_lo, s2
	s_cbranch_execz .LBB281_435
.LBB281_451:
	v_cmp_ne_u16_e32 vcc_lo, 0, v4
	v_mov_b32_e32 v3, 0
	s_and_not1_b32 s22, s22, exec_lo
	s_and_b32 s23, vcc_lo, exec_lo
	s_delay_alu instid0(SALU_CYCLE_1)
	s_or_b32 s22, s22, s23
	s_or_b32 exec_lo, exec_lo, s2
	s_and_saveexec_b32 s2, s22
	s_cbranch_execnz .LBB281_436
	s_branch .LBB281_437
.LBB281_452:
	s_mov_b32 s2, -1
                                        ; implicit-def: $vgpr3
	s_branch .LBB281_457
.LBB281_453:
	s_mov_b32 s2, -1
                                        ; implicit-def: $vgpr3
.LBB281_454:
	s_delay_alu instid0(SALU_CYCLE_1)
	s_and_b32 vcc_lo, exec_lo, s2
	s_cbranch_vccz .LBB281_456
; %bb.455:
	global_load_u8 v3, v[1:2], off
	s_waitcnt vmcnt(0)
	v_lshlrev_b32_e32 v3, 24, v3
	s_delay_alu instid0(VALU_DEP_1) | instskip(NEXT) | instid1(VALU_DEP_1)
	v_and_b32_e32 v4, 0x7f000000, v3
	v_clz_i32_u32_e32 v6, v4
	v_add_nc_u32_e32 v8, 0x1000000, v4
	v_cmp_ne_u32_e32 vcc_lo, 0, v4
	s_delay_alu instid0(VALU_DEP_3) | instskip(NEXT) | instid1(VALU_DEP_1)
	v_min_u32_e32 v6, 32, v6
	v_sub_nc_u32_e64 v6, v6, 4 clamp
	s_delay_alu instid0(VALU_DEP_1) | instskip(SKIP_1) | instid1(VALU_DEP_2)
	v_lshlrev_b32_e32 v7, v6, v4
	v_lshlrev_b32_e32 v6, 23, v6
	v_lshrrev_b32_e32 v7, 4, v7
	s_delay_alu instid0(VALU_DEP_1) | instskip(SKIP_1) | instid1(VALU_DEP_2)
	v_sub_nc_u32_e32 v6, v7, v6
	v_ashrrev_i32_e32 v7, 8, v8
	v_add_nc_u32_e32 v6, 0x3c000000, v6
	s_delay_alu instid0(VALU_DEP_1) | instskip(NEXT) | instid1(VALU_DEP_1)
	v_and_or_b32 v6, 0x7f800000, v7, v6
	v_cndmask_b32_e32 v4, 0, v6, vcc_lo
	s_delay_alu instid0(VALU_DEP_1) | instskip(NEXT) | instid1(VALU_DEP_1)
	v_and_or_b32 v3, 0x80000000, v3, v4
	v_trunc_f32_e32 v3, v3
	s_delay_alu instid0(VALU_DEP_1) | instskip(NEXT) | instid1(VALU_DEP_1)
	v_mul_f32_e64 v4, 0x2f800000, |v3|
	v_floor_f32_e32 v4, v4
	s_delay_alu instid0(VALU_DEP_1) | instskip(SKIP_1) | instid1(VALU_DEP_2)
	v_fma_f32 v4, 0xcf800000, v4, |v3|
	v_ashrrev_i32_e32 v3, 31, v3
	v_cvt_u32_f32_e32 v4, v4
	s_delay_alu instid0(VALU_DEP_1) | instskip(NEXT) | instid1(VALU_DEP_1)
	v_xor_b32_e32 v4, v4, v3
	v_sub_nc_u32_e32 v3, v4, v3
.LBB281_456:
	s_mov_b32 s2, 0
.LBB281_457:
	s_delay_alu instid0(SALU_CYCLE_1)
	s_and_not1_b32 vcc_lo, exec_lo, s2
	s_cbranch_vccnz .LBB281_459
; %bb.458:
	global_load_u8 v3, v[1:2], off
	s_waitcnt vmcnt(0)
	v_lshlrev_b32_e32 v4, 25, v3
	v_lshlrev_b16 v3, 8, v3
	s_delay_alu instid0(VALU_DEP_2) | instskip(NEXT) | instid1(VALU_DEP_2)
	v_lshrrev_b32_e32 v6, 4, v4
	v_and_or_b32 v7, 0x7f00, v3, 0.5
	v_cmp_gt_u32_e32 vcc_lo, 0x8000000, v4
	v_bfe_i32 v3, v3, 0, 16
	s_delay_alu instid0(VALU_DEP_4) | instskip(NEXT) | instid1(VALU_DEP_1)
	v_or_b32_e32 v6, 0x70000000, v6
	v_dual_add_f32 v7, -0.5, v7 :: v_dual_mul_f32 v6, 0x7800000, v6
	s_delay_alu instid0(VALU_DEP_1) | instskip(NEXT) | instid1(VALU_DEP_1)
	v_cndmask_b32_e32 v4, v6, v7, vcc_lo
	v_and_or_b32 v3, 0x80000000, v3, v4
	s_delay_alu instid0(VALU_DEP_1) | instskip(NEXT) | instid1(VALU_DEP_1)
	v_trunc_f32_e32 v3, v3
	v_mul_f32_e64 v4, 0x2f800000, |v3|
	s_delay_alu instid0(VALU_DEP_1) | instskip(NEXT) | instid1(VALU_DEP_1)
	v_floor_f32_e32 v4, v4
	v_fma_f32 v4, 0xcf800000, v4, |v3|
	v_ashrrev_i32_e32 v3, 31, v3
	s_delay_alu instid0(VALU_DEP_2) | instskip(NEXT) | instid1(VALU_DEP_1)
	v_cvt_u32_f32_e32 v4, v4
	v_xor_b32_e32 v4, v4, v3
	s_delay_alu instid0(VALU_DEP_1)
	v_sub_nc_u32_e32 v3, v4, v3
.LBB281_459:
	s_mov_b32 s22, 0
	s_mov_b32 s2, -1
.LBB281_460:
	s_and_not1_b32 vcc_lo, exec_lo, s22
	s_cbranch_vccnz .LBB281_473
; %bb.461:
	v_cmp_gt_i16_e64 s22, s33, 14
	s_delay_alu instid0(VALU_DEP_1)
	s_and_b32 vcc_lo, exec_lo, s22
	s_cbranch_vccz .LBB281_464
; %bb.462:
	v_cmp_eq_u16_e64 s3, s33, 15
	s_delay_alu instid0(VALU_DEP_1)
	s_and_b32 vcc_lo, exec_lo, s3
	s_cbranch_vccz .LBB281_467
; %bb.463:
	global_load_u16 v3, v[1:2], off
	s_mov_b32 s2, -1
	s_mov_b32 s3, 0
	s_waitcnt vmcnt(0)
	v_lshlrev_b32_e32 v3, 16, v3
	s_delay_alu instid0(VALU_DEP_1) | instskip(NEXT) | instid1(VALU_DEP_1)
	v_trunc_f32_e32 v3, v3
	v_mul_f32_e64 v4, 0x2f800000, |v3|
	s_delay_alu instid0(VALU_DEP_1) | instskip(NEXT) | instid1(VALU_DEP_1)
	v_floor_f32_e32 v4, v4
	v_fma_f32 v4, 0xcf800000, v4, |v3|
	v_ashrrev_i32_e32 v3, 31, v3
	s_delay_alu instid0(VALU_DEP_2) | instskip(NEXT) | instid1(VALU_DEP_1)
	v_cvt_u32_f32_e32 v4, v4
	v_xor_b32_e32 v4, v4, v3
	s_delay_alu instid0(VALU_DEP_1)
	v_sub_nc_u32_e32 v3, v4, v3
	s_branch .LBB281_468
.LBB281_464:
	s_mov_b32 s22, -1
                                        ; implicit-def: $vgpr3
	s_branch .LBB281_469
.LBB281_465:
	s_or_saveexec_b32 s2, s2
	v_mov_b32_e32 v3, s23
	s_xor_b32 exec_lo, exec_lo, s2
	s_cbranch_execz .LBB281_446
.LBB281_466:
	v_cmp_ne_u16_e32 vcc_lo, 0, v4
	v_mov_b32_e32 v3, 0
	s_and_not1_b32 s22, s22, exec_lo
	s_and_b32 s23, vcc_lo, exec_lo
	s_delay_alu instid0(SALU_CYCLE_1)
	s_or_b32 s22, s22, s23
	s_or_b32 exec_lo, exec_lo, s2
	s_and_saveexec_b32 s2, s22
	s_cbranch_execnz .LBB281_447
	s_branch .LBB281_448
.LBB281_467:
	s_mov_b32 s3, -1
                                        ; implicit-def: $vgpr3
.LBB281_468:
	s_mov_b32 s22, 0
.LBB281_469:
	s_delay_alu instid0(SALU_CYCLE_1)
	s_and_b32 vcc_lo, exec_lo, s22
	s_cbranch_vccz .LBB281_473
; %bb.470:
	v_cmp_eq_u16_e64 s3, s33, 11
	s_delay_alu instid0(VALU_DEP_1)
	s_and_b32 vcc_lo, exec_lo, s3
	s_cbranch_vccz .LBB281_472
; %bb.471:
	global_load_u8 v3, v[1:2], off
	s_mov_b32 s3, 0
	s_mov_b32 s2, -1
	s_waitcnt vmcnt(0)
	v_cmp_ne_u16_e32 vcc_lo, 0, v3
	v_cndmask_b32_e64 v3, 0, 1, vcc_lo
	s_branch .LBB281_473
.LBB281_472:
	s_mov_b32 s3, -1
                                        ; implicit-def: $vgpr3
.LBB281_473:
	s_branch .LBB281_282
.LBB281_474:
	v_cmp_lt_i16_e64 s2, s33, 5
	s_delay_alu instid0(VALU_DEP_1)
	s_and_b32 vcc_lo, exec_lo, s2
	s_cbranch_vccnz .LBB281_479
; %bb.475:
	v_cmp_lt_i16_e64 s2, s33, 8
	s_delay_alu instid0(VALU_DEP_1)
	s_and_b32 vcc_lo, exec_lo, s2
	s_cbranch_vccnz .LBB281_480
; %bb.476:
	;; [unrolled: 5-line block ×3, first 2 shown]
	v_cmp_gt_i16_e64 s2, s33, 9
	s_delay_alu instid0(VALU_DEP_1)
	s_and_b32 vcc_lo, exec_lo, s2
	s_cbranch_vccz .LBB281_482
; %bb.478:
	global_load_b64 v[3:4], v[1:2], off
	s_mov_b32 s2, 0
	s_waitcnt vmcnt(0)
	v_trunc_f64_e32 v[3:4], v[3:4]
	s_delay_alu instid0(VALU_DEP_1) | instskip(NEXT) | instid1(VALU_DEP_1)
	v_ldexp_f64 v[6:7], v[3:4], 0xffffffe0
	v_floor_f64_e32 v[6:7], v[6:7]
	s_delay_alu instid0(VALU_DEP_1) | instskip(NEXT) | instid1(VALU_DEP_1)
	v_fma_f64 v[3:4], 0xc1f00000, v[6:7], v[3:4]
	v_cvt_u32_f64_e32 v3, v[3:4]
	s_branch .LBB281_483
.LBB281_479:
	s_mov_b32 s2, -1
                                        ; implicit-def: $vgpr3
	s_branch .LBB281_501
.LBB281_480:
	s_mov_b32 s2, -1
                                        ; implicit-def: $vgpr3
	s_branch .LBB281_489
.LBB281_481:
	s_mov_b32 s2, -1
                                        ; implicit-def: $vgpr3
	s_branch .LBB281_486
.LBB281_482:
	s_mov_b32 s2, -1
                                        ; implicit-def: $vgpr3
.LBB281_483:
	s_delay_alu instid0(SALU_CYCLE_1)
	s_and_not1_b32 vcc_lo, exec_lo, s2
	s_cbranch_vccnz .LBB281_485
; %bb.484:
	global_load_b32 v3, v[1:2], off
	s_waitcnt vmcnt(0)
	v_trunc_f32_e32 v3, v3
	s_delay_alu instid0(VALU_DEP_1) | instskip(NEXT) | instid1(VALU_DEP_1)
	v_mul_f32_e64 v4, 0x2f800000, |v3|
	v_floor_f32_e32 v4, v4
	s_delay_alu instid0(VALU_DEP_1) | instskip(SKIP_1) | instid1(VALU_DEP_2)
	v_fma_f32 v4, 0xcf800000, v4, |v3|
	v_ashrrev_i32_e32 v3, 31, v3
	v_cvt_u32_f32_e32 v4, v4
	s_delay_alu instid0(VALU_DEP_1) | instskip(NEXT) | instid1(VALU_DEP_1)
	v_xor_b32_e32 v4, v4, v3
	v_sub_nc_u32_e32 v3, v4, v3
.LBB281_485:
	s_mov_b32 s2, 0
.LBB281_486:
	s_delay_alu instid0(SALU_CYCLE_1)
	s_and_not1_b32 vcc_lo, exec_lo, s2
	s_cbranch_vccnz .LBB281_488
; %bb.487:
	global_load_b32 v3, v[1:2], off
	s_waitcnt vmcnt(0)
	v_cvt_f32_f16_e32 v3, v3
	s_delay_alu instid0(VALU_DEP_1)
	v_cvt_i32_f32_e32 v3, v3
.LBB281_488:
	s_mov_b32 s2, 0
.LBB281_489:
	s_delay_alu instid0(SALU_CYCLE_1)
	s_and_not1_b32 vcc_lo, exec_lo, s2
	s_cbranch_vccnz .LBB281_500
; %bb.490:
	v_cmp_lt_i16_e64 s2, s33, 6
	s_delay_alu instid0(VALU_DEP_1)
	s_and_b32 vcc_lo, exec_lo, s2
	s_cbranch_vccnz .LBB281_493
; %bb.491:
	v_cmp_gt_i16_e64 s2, s33, 6
	s_delay_alu instid0(VALU_DEP_1)
	s_and_b32 vcc_lo, exec_lo, s2
	s_cbranch_vccz .LBB281_494
; %bb.492:
	global_load_b64 v[3:4], v[1:2], off
	s_mov_b32 s2, 0
	s_waitcnt vmcnt(0)
	v_trunc_f64_e32 v[3:4], v[3:4]
	s_delay_alu instid0(VALU_DEP_1) | instskip(NEXT) | instid1(VALU_DEP_1)
	v_ldexp_f64 v[6:7], v[3:4], 0xffffffe0
	v_floor_f64_e32 v[6:7], v[6:7]
	s_delay_alu instid0(VALU_DEP_1) | instskip(NEXT) | instid1(VALU_DEP_1)
	v_fma_f64 v[3:4], 0xc1f00000, v[6:7], v[3:4]
	v_cvt_u32_f64_e32 v3, v[3:4]
	s_branch .LBB281_495
.LBB281_493:
	s_mov_b32 s2, -1
                                        ; implicit-def: $vgpr3
	s_branch .LBB281_498
.LBB281_494:
	s_mov_b32 s2, -1
                                        ; implicit-def: $vgpr3
.LBB281_495:
	s_delay_alu instid0(SALU_CYCLE_1)
	s_and_not1_b32 vcc_lo, exec_lo, s2
	s_cbranch_vccnz .LBB281_497
; %bb.496:
	global_load_b32 v3, v[1:2], off
	s_waitcnt vmcnt(0)
	v_trunc_f32_e32 v3, v3
	s_delay_alu instid0(VALU_DEP_1) | instskip(NEXT) | instid1(VALU_DEP_1)
	v_mul_f32_e64 v4, 0x2f800000, |v3|
	v_floor_f32_e32 v4, v4
	s_delay_alu instid0(VALU_DEP_1) | instskip(SKIP_1) | instid1(VALU_DEP_2)
	v_fma_f32 v4, 0xcf800000, v4, |v3|
	v_ashrrev_i32_e32 v3, 31, v3
	v_cvt_u32_f32_e32 v4, v4
	s_delay_alu instid0(VALU_DEP_1) | instskip(NEXT) | instid1(VALU_DEP_1)
	v_xor_b32_e32 v4, v4, v3
	v_sub_nc_u32_e32 v3, v4, v3
.LBB281_497:
	s_mov_b32 s2, 0
.LBB281_498:
	s_delay_alu instid0(SALU_CYCLE_1)
	s_and_not1_b32 vcc_lo, exec_lo, s2
	s_cbranch_vccnz .LBB281_500
; %bb.499:
	global_load_u16 v3, v[1:2], off
	s_waitcnt vmcnt(0)
	v_cvt_f32_f16_e32 v3, v3
	s_delay_alu instid0(VALU_DEP_1)
	v_cvt_i32_f32_e32 v3, v3
.LBB281_500:
	s_mov_b32 s2, 0
.LBB281_501:
	s_delay_alu instid0(SALU_CYCLE_1)
	s_and_not1_b32 vcc_lo, exec_lo, s2
	s_cbranch_vccnz .LBB281_521
; %bb.502:
	v_cmp_lt_i16_e64 s2, s33, 2
	s_delay_alu instid0(VALU_DEP_1)
	s_and_b32 vcc_lo, exec_lo, s2
	s_cbranch_vccnz .LBB281_506
; %bb.503:
	v_cmp_lt_i16_e64 s2, s33, 3
	s_delay_alu instid0(VALU_DEP_1)
	s_and_b32 vcc_lo, exec_lo, s2
	s_cbranch_vccnz .LBB281_507
; %bb.504:
	v_cmp_gt_i16_e64 s2, s33, 3
	s_delay_alu instid0(VALU_DEP_1)
	s_and_b32 vcc_lo, exec_lo, s2
	s_cbranch_vccz .LBB281_508
; %bb.505:
	global_load_b64 v[3:4], v[1:2], off
	s_mov_b32 s2, 0
	s_branch .LBB281_509
.LBB281_506:
	s_mov_b32 s2, -1
                                        ; implicit-def: $vgpr3
	s_branch .LBB281_515
.LBB281_507:
	s_mov_b32 s2, -1
                                        ; implicit-def: $vgpr3
	s_branch .LBB281_512
.LBB281_508:
	s_mov_b32 s2, -1
                                        ; implicit-def: $vgpr3
.LBB281_509:
	s_delay_alu instid0(SALU_CYCLE_1)
	s_and_not1_b32 vcc_lo, exec_lo, s2
	s_cbranch_vccnz .LBB281_511
; %bb.510:
	global_load_b32 v3, v[1:2], off
.LBB281_511:
	s_mov_b32 s2, 0
.LBB281_512:
	s_delay_alu instid0(SALU_CYCLE_1)
	s_and_not1_b32 vcc_lo, exec_lo, s2
	s_cbranch_vccnz .LBB281_514
; %bb.513:
	global_load_u16 v3, v[1:2], off
.LBB281_514:
	s_mov_b32 s2, 0
.LBB281_515:
	s_delay_alu instid0(SALU_CYCLE_1)
	s_and_not1_b32 vcc_lo, exec_lo, s2
	s_cbranch_vccnz .LBB281_521
; %bb.516:
	v_cmp_gt_i16_e64 s2, s33, 0
	s_delay_alu instid0(VALU_DEP_1)
	s_and_b32 vcc_lo, exec_lo, s2
	s_mov_b32 s2, 0
	s_cbranch_vccz .LBB281_518
; %bb.517:
	global_load_u8 v3, v[1:2], off
	s_branch .LBB281_519
.LBB281_518:
	s_mov_b32 s2, -1
                                        ; implicit-def: $vgpr3
.LBB281_519:
	s_delay_alu instid0(SALU_CYCLE_1)
	s_and_not1_b32 vcc_lo, exec_lo, s2
	s_cbranch_vccnz .LBB281_521
; %bb.520:
	global_load_u8 v3, v[1:2], off
.LBB281_521:
	s_branch .LBB281_283
.LBB281_522:
	s_mov_b32 s22, 0
	s_mov_b32 s2, s38
.LBB281_523:
                                        ; implicit-def: $vgpr5
.LBB281_524:
	s_and_not1_b32 s23, s38, exec_lo
	s_and_b32 s2, s2, exec_lo
	s_and_not1_b32 s41, s39, exec_lo
	s_and_b32 s3, s3, exec_lo
	s_or_b32 s42, s23, s2
	s_or_b32 s41, s41, s3
	s_or_not1_b32 s2, s22, exec_lo
.LBB281_525:
	s_or_b32 exec_lo, exec_lo, s43
	s_mov_b32 s3, 0
	s_mov_b32 s23, 0
	;; [unrolled: 1-line block ×3, first 2 shown]
                                        ; implicit-def: $vgpr1_vgpr2
                                        ; implicit-def: $vgpr0
                                        ; implicit-def: $vgpr3
	s_and_saveexec_b32 s43, s2
	s_cbranch_execz .LBB281_889
; %bb.526:
	s_mov_b32 s46, -1
	s_mov_b32 s22, s41
	s_mov_b32 s23, s42
	s_mov_b32 s44, exec_lo
	v_cmpx_gt_i32_e64 s35, v5
	s_cbranch_execz .LBB281_794
; %bb.527:
	s_and_not1_b32 vcc_lo, exec_lo, s27
	s_cbranch_vccnz .LBB281_532
; %bb.528:
	v_dual_mov_b32 v0, 0 :: v_dual_mov_b32 v1, 0
	s_and_not1_b32 vcc_lo, exec_lo, s37
	s_mov_b32 s45, 0
	s_cbranch_vccnz .LBB281_537
; %bb.529:
	v_mov_b32_e32 v0, 0
	s_add_i32 s47, s36, 1
	s_cmp_eq_u32 s25, 2
	s_mov_b32 s46, 0
	s_cbranch_scc1 .LBB281_533
; %bb.530:
	v_dual_mov_b32 v1, 0 :: v_dual_mov_b32 v0, 0
	v_mov_b32_e32 v2, v5
	s_and_b32 s46, s47, 28
	s_mov_b32 s48, 0
	s_mov_b64 s[2:3], s[20:21]
	s_mov_b64 s[22:23], s[16:17]
.LBB281_531:                            ; =>This Inner Loop Header: Depth=1
	s_clause 0x1
	s_load_b256 s[52:59], s[22:23], 0x4
	s_load_b128 s[68:71], s[22:23], 0x24
	s_load_b256 s[60:67], s[2:3], 0x0
	s_add_u32 s22, s22, 48
	s_addc_u32 s23, s23, 0
	s_add_i32 s48, s48, 4
	s_add_u32 s2, s2, 32
	s_addc_u32 s3, s3, 0
	s_cmp_eq_u32 s46, s48
	s_waitcnt vmcnt(0) lgkmcnt(0)
	v_mul_hi_u32 v3, s53, v2
	s_delay_alu instid0(VALU_DEP_1) | instskip(NEXT) | instid1(VALU_DEP_1)
	v_add_nc_u32_e32 v3, v2, v3
	v_lshrrev_b32_e32 v3, s54, v3
	s_delay_alu instid0(VALU_DEP_1) | instskip(SKIP_1) | instid1(VALU_DEP_2)
	v_mul_hi_u32 v4, s56, v3
	v_mul_lo_u32 v7, v3, s52
	v_add_nc_u32_e32 v4, v3, v4
	s_delay_alu instid0(VALU_DEP_2) | instskip(NEXT) | instid1(VALU_DEP_2)
	v_sub_nc_u32_e32 v2, v2, v7
	v_lshrrev_b32_e32 v4, s57, v4
	s_delay_alu instid0(VALU_DEP_2) | instskip(SKIP_1) | instid1(VALU_DEP_3)
	v_mul_lo_u32 v7, v2, s60
	v_mul_lo_u32 v9, v2, s61
	v_mul_hi_u32 v6, s59, v4
	s_delay_alu instid0(VALU_DEP_1) | instskip(NEXT) | instid1(VALU_DEP_1)
	v_add_nc_u32_e32 v6, v4, v6
	v_lshrrev_b32_e32 v6, s68, v6
	s_delay_alu instid0(VALU_DEP_1) | instskip(SKIP_1) | instid1(VALU_DEP_2)
	v_mul_hi_u32 v8, s70, v6
	v_mul_lo_u32 v10, v6, s58
	v_add_nc_u32_e32 v2, v6, v8
	v_mul_lo_u32 v8, v4, s55
	s_delay_alu instid0(VALU_DEP_3) | instskip(NEXT) | instid1(VALU_DEP_3)
	v_sub_nc_u32_e32 v4, v4, v10
	v_lshrrev_b32_e32 v2, s71, v2
	s_delay_alu instid0(VALU_DEP_2) | instskip(SKIP_2) | instid1(VALU_DEP_4)
	v_mul_lo_u32 v10, v4, s64
	v_mul_lo_u32 v4, v4, s65
	v_sub_nc_u32_e32 v3, v3, v8
	v_mul_lo_u32 v11, v2, s69
	s_delay_alu instid0(VALU_DEP_2) | instskip(SKIP_1) | instid1(VALU_DEP_3)
	v_mul_lo_u32 v8, v3, s62
	v_mul_lo_u32 v3, v3, s63
	v_sub_nc_u32_e32 v6, v6, v11
	s_delay_alu instid0(VALU_DEP_3) | instskip(NEXT) | instid1(VALU_DEP_2)
	v_add3_u32 v0, v7, v0, v8
	v_mul_lo_u32 v11, v6, s66
	v_mul_lo_u32 v6, v6, s67
	v_add3_u32 v1, v9, v1, v3
	s_delay_alu instid0(VALU_DEP_3) | instskip(NEXT) | instid1(VALU_DEP_2)
	v_add3_u32 v0, v10, v0, v11
	v_add3_u32 v1, v4, v1, v6
	s_cbranch_scc0 .LBB281_531
	s_branch .LBB281_534
.LBB281_532:
	s_mov_b32 s45, -1
                                        ; implicit-def: $vgpr0
                                        ; implicit-def: $vgpr1
	s_branch .LBB281_537
.LBB281_533:
	v_dual_mov_b32 v2, v5 :: v_dual_mov_b32 v1, 0
.LBB281_534:
	s_and_b32 s47, s47, 3
	s_delay_alu instid0(SALU_CYCLE_1)
	s_cmp_eq_u32 s47, 0
	s_cbranch_scc1 .LBB281_537
; %bb.535:
	s_lshl_b32 s2, s46, 3
	s_mul_i32 s22, s46, 12
	s_add_u32 s2, s2, s16
	s_addc_u32 s3, s17, 0
	s_add_u32 s2, s2, 0xc4
	s_addc_u32 s3, s3, 0
	;; [unrolled: 2-line block ×3, first 2 shown]
	.p2align	6
.LBB281_536:                            ; =>This Inner Loop Header: Depth=1
	s_clause 0x1
	s_load_b64 s[48:49], s[22:23], 0x4
	s_load_b32 s46, s[22:23], 0xc
	s_load_b64 s[50:51], s[2:3], 0x0
	s_add_u32 s22, s22, 12
	s_addc_u32 s23, s23, 0
	s_add_u32 s2, s2, 8
	s_addc_u32 s3, s3, 0
	s_add_i32 s47, s47, -1
	s_delay_alu instid0(SALU_CYCLE_1) | instskip(SKIP_2) | instid1(VALU_DEP_1)
	s_cmp_lg_u32 s47, 0
	s_waitcnt vmcnt(0) lgkmcnt(0)
	v_mul_hi_u32 v3, s49, v2
	v_add_nc_u32_e32 v3, v2, v3
	s_delay_alu instid0(VALU_DEP_1) | instskip(NEXT) | instid1(VALU_DEP_1)
	v_lshrrev_b32_e32 v8, s46, v3
	v_mul_lo_u32 v3, v8, s48
	s_delay_alu instid0(VALU_DEP_1) | instskip(NEXT) | instid1(VALU_DEP_1)
	v_sub_nc_u32_e32 v2, v2, v3
	v_mad_u64_u32 v[3:4], null, v2, s50, v[0:1]
	v_mad_u64_u32 v[6:7], null, v2, s51, v[1:2]
	v_mov_b32_e32 v2, v8
	s_delay_alu instid0(VALU_DEP_2)
	v_dual_mov_b32 v0, v3 :: v_dual_mov_b32 v1, v6
	s_cbranch_scc1 .LBB281_536
.LBB281_537:
	s_and_not1_b32 vcc_lo, exec_lo, s45
	s_cbranch_vccnz .LBB281_540
; %bb.538:
	v_mul_hi_u32 v0, s13, v5
	s_and_not1_b32 vcc_lo, exec_lo, s34
	s_delay_alu instid0(VALU_DEP_1) | instskip(NEXT) | instid1(VALU_DEP_1)
	v_add_nc_u32_e32 v0, v5, v0
	v_lshrrev_b32_e32 v2, s14, v0
	s_delay_alu instid0(VALU_DEP_1) | instskip(NEXT) | instid1(VALU_DEP_1)
	v_mul_lo_u32 v0, v2, s12
	v_sub_nc_u32_e32 v1, v5, v0
	s_delay_alu instid0(VALU_DEP_1)
	v_mul_lo_u32 v0, v1, s8
	v_mul_lo_u32 v1, v1, s9
	s_cbranch_vccnz .LBB281_540
; %bb.539:
	s_waitcnt vmcnt(0)
	v_mul_hi_u32 v3, s18, v2
	s_delay_alu instid0(VALU_DEP_1) | instskip(NEXT) | instid1(VALU_DEP_1)
	v_add_nc_u32_e32 v3, v2, v3
	v_lshrrev_b32_e32 v3, s19, v3
	s_delay_alu instid0(VALU_DEP_1) | instskip(NEXT) | instid1(VALU_DEP_1)
	v_mul_lo_u32 v3, v3, s15
	v_sub_nc_u32_e32 v6, v2, v3
	s_delay_alu instid0(VALU_DEP_1) | instskip(NEXT) | instid1(VALU_DEP_1)
	v_mad_u64_u32 v[2:3], null, v6, s10, v[0:1]
	v_mad_u64_u32 v[3:4], null, v6, s11, v[1:2]
	s_delay_alu instid0(VALU_DEP_1)
	v_dual_mov_b32 v0, v2 :: v_dual_mov_b32 v1, v3
.LBB281_540:
	v_cmp_lt_i16_e64 s2, s33, 11
	s_delay_alu instid0(VALU_DEP_2) | instskip(NEXT) | instid1(VALU_DEP_1)
	v_add_co_u32 v1, s3, s6, v1
	v_add_co_ci_u32_e64 v2, null, s7, 0, s3
	s_delay_alu instid0(VALU_DEP_3)
	s_and_b32 vcc_lo, exec_lo, s2
	s_mov_b32 s2, 0
	s_cbranch_vccnz .LBB281_547
; %bb.541:
	v_cmp_gt_i16_e64 s2, s33, 25
	s_delay_alu instid0(VALU_DEP_1)
	s_and_b32 vcc_lo, exec_lo, s2
	s_cbranch_vccz .LBB281_548
; %bb.542:
	v_cmp_gt_i16_e64 s2, s33, 28
	s_delay_alu instid0(VALU_DEP_1)
	s_and_b32 vcc_lo, exec_lo, s2
	s_cbranch_vccz .LBB281_549
	;; [unrolled: 5-line block ×4, first 2 shown]
; %bb.545:
	v_cmp_eq_u16_e64 s2, s33, 46
	s_mov_b32 s22, 0
	s_delay_alu instid0(VALU_DEP_1)
	s_and_b32 vcc_lo, exec_lo, s2
	s_cbranch_vccz .LBB281_556
; %bb.546:
	global_load_b32 v3, v[1:2], off
	s_mov_b32 s2, -1
	s_mov_b32 s3, 0
	s_waitcnt vmcnt(0)
	v_lshlrev_b32_e32 v3, 16, v3
	s_delay_alu instid0(VALU_DEP_1) | instskip(NEXT) | instid1(VALU_DEP_1)
	v_trunc_f32_e32 v3, v3
	v_mul_f32_e64 v4, 0x2f800000, |v3|
	s_delay_alu instid0(VALU_DEP_1) | instskip(NEXT) | instid1(VALU_DEP_1)
	v_floor_f32_e32 v4, v4
	v_fma_f32 v4, 0xcf800000, v4, |v3|
	v_ashrrev_i32_e32 v3, 31, v3
	s_delay_alu instid0(VALU_DEP_2) | instskip(NEXT) | instid1(VALU_DEP_1)
	v_cvt_u32_f32_e32 v4, v4
	v_xor_b32_e32 v4, v4, v3
	s_delay_alu instid0(VALU_DEP_1)
	v_sub_nc_u32_e32 v3, v4, v3
	s_branch .LBB281_558
.LBB281_547:
	s_mov_b32 s22, -1
	s_mov_b32 s3, s41
                                        ; implicit-def: $vgpr3
	s_branch .LBB281_619
.LBB281_548:
	s_mov_b32 s22, -1
	s_mov_b32 s2, 0
	s_mov_b32 s3, s41
                                        ; implicit-def: $vgpr3
	s_branch .LBB281_585
.LBB281_549:
	s_mov_b32 s22, -1
	s_mov_b32 s2, 0
	s_mov_b32 s3, s41
                                        ; implicit-def: $vgpr3
	s_branch .LBB281_568
.LBB281_550:
	s_mov_b32 s22, -1
	s_mov_b32 s2, 0
	s_mov_b32 s3, s41
                                        ; implicit-def: $vgpr3
	s_branch .LBB281_563
.LBB281_551:
	s_or_saveexec_b32 s41, s41
                                        ; implicit-def: $sgpr42
	s_delay_alu instid0(SALU_CYCLE_1)
	s_xor_b32 exec_lo, exec_lo, s41
	s_cbranch_execz .LBB281_366
.LBB281_552:
	v_add_f32_e32 v4, 0x46000000, v6
	s_and_not1_b32 s23, s23, exec_lo
	s_mov_b32 s42, 0
	s_delay_alu instid0(VALU_DEP_1) | instskip(NEXT) | instid1(VALU_DEP_1)
	v_and_b32_e32 v4, 0xff, v4
	v_cmp_ne_u32_e32 vcc_lo, 0, v4
	s_and_b32 s44, vcc_lo, exec_lo
	s_delay_alu instid0(SALU_CYCLE_1)
	s_or_b32 s23, s23, s44
	s_or_b32 exec_lo, exec_lo, s41
	v_mov_b32_e32 v7, s42
	s_and_saveexec_b32 s41, s23
	s_cbranch_execnz .LBB281_367
	s_branch .LBB281_368
.LBB281_553:
	s_mov_b32 s22, -1
	s_mov_b32 s2, 0
	s_mov_b32 s3, s41
	s_branch .LBB281_557
.LBB281_554:
	s_or_saveexec_b32 s41, s41
                                        ; implicit-def: $sgpr42
	s_delay_alu instid0(SALU_CYCLE_1)
	s_xor_b32 exec_lo, exec_lo, s41
	s_cbranch_execz .LBB281_379
.LBB281_555:
	v_add_f32_e32 v4, 0x42800000, v6
	s_and_not1_b32 s23, s23, exec_lo
	s_mov_b32 s42, 0
	s_delay_alu instid0(VALU_DEP_1) | instskip(NEXT) | instid1(VALU_DEP_1)
	v_and_b32_e32 v4, 0xff, v4
	v_cmp_ne_u32_e32 vcc_lo, 0, v4
	s_and_b32 s44, vcc_lo, exec_lo
	s_delay_alu instid0(SALU_CYCLE_1)
	s_or_b32 s23, s23, s44
	s_or_b32 exec_lo, exec_lo, s41
	v_mov_b32_e32 v7, s42
	s_and_saveexec_b32 s41, s23
	s_cbranch_execnz .LBB281_380
	s_branch .LBB281_381
.LBB281_556:
	s_mov_b32 s3, -1
	s_mov_b32 s2, 0
.LBB281_557:
                                        ; implicit-def: $vgpr3
.LBB281_558:
	s_and_b32 vcc_lo, exec_lo, s22
	s_cbranch_vccz .LBB281_562
; %bb.559:
	v_cmp_eq_u16_e64 s3, s33, 44
	s_delay_alu instid0(VALU_DEP_1)
	s_and_b32 vcc_lo, exec_lo, s3
	s_cbranch_vccz .LBB281_561
; %bb.560:
	global_load_u8 v3, v[1:2], off
	s_mov_b32 s3, 0
	s_mov_b32 s2, -1
	s_waitcnt vmcnt(0)
	v_lshlrev_b32_e32 v4, 23, v3
	v_cmp_ne_u32_e32 vcc_lo, 0, v3
	s_delay_alu instid0(VALU_DEP_2) | instskip(NEXT) | instid1(VALU_DEP_1)
	v_trunc_f32_e32 v4, v4
	v_mul_f32_e64 v6, 0x2f800000, |v4|
	s_delay_alu instid0(VALU_DEP_1) | instskip(NEXT) | instid1(VALU_DEP_1)
	v_floor_f32_e32 v6, v6
	v_fma_f32 v6, 0xcf800000, v6, |v4|
	v_ashrrev_i32_e32 v4, 31, v4
	s_delay_alu instid0(VALU_DEP_2) | instskip(NEXT) | instid1(VALU_DEP_1)
	v_cvt_u32_f32_e32 v6, v6
	v_xor_b32_e32 v6, v6, v4
	s_delay_alu instid0(VALU_DEP_1) | instskip(NEXT) | instid1(VALU_DEP_1)
	v_sub_nc_u32_e32 v4, v6, v4
	v_cndmask_b32_e32 v3, 0, v4, vcc_lo
	s_branch .LBB281_562
.LBB281_561:
	s_mov_b32 s3, -1
                                        ; implicit-def: $vgpr3
.LBB281_562:
	s_mov_b32 s22, 0
.LBB281_563:
	s_delay_alu instid0(SALU_CYCLE_1)
	s_and_b32 vcc_lo, exec_lo, s22
	s_cbranch_vccz .LBB281_567
; %bb.564:
	v_cmp_eq_u16_e64 s3, s33, 29
	s_delay_alu instid0(VALU_DEP_1)
	s_and_b32 vcc_lo, exec_lo, s3
	s_cbranch_vccz .LBB281_566
; %bb.565:
	global_load_b64 v[3:4], v[1:2], off
	s_mov_b32 s2, -1
	s_mov_b32 s3, 0
	s_branch .LBB281_567
.LBB281_566:
	s_mov_b32 s3, -1
                                        ; implicit-def: $vgpr3
.LBB281_567:
	s_mov_b32 s22, 0
.LBB281_568:
	s_delay_alu instid0(SALU_CYCLE_1)
	s_and_b32 vcc_lo, exec_lo, s22
	s_cbranch_vccz .LBB281_584
; %bb.569:
	v_cmp_lt_i16_e64 s2, s33, 27
	s_delay_alu instid0(VALU_DEP_1)
	s_and_b32 vcc_lo, exec_lo, s2
	s_cbranch_vccnz .LBB281_572
; %bb.570:
	v_cmp_gt_i16_e64 s2, s33, 27
	s_delay_alu instid0(VALU_DEP_1)
	s_and_b32 vcc_lo, exec_lo, s2
	s_cbranch_vccz .LBB281_573
; %bb.571:
	global_load_b32 v3, v[1:2], off
	s_mov_b32 s2, 0
	s_branch .LBB281_574
.LBB281_572:
	s_mov_b32 s2, -1
                                        ; implicit-def: $vgpr3
	s_branch .LBB281_577
.LBB281_573:
	s_mov_b32 s2, -1
                                        ; implicit-def: $vgpr3
.LBB281_574:
	s_delay_alu instid0(SALU_CYCLE_1)
	s_and_not1_b32 vcc_lo, exec_lo, s2
	s_cbranch_vccnz .LBB281_576
; %bb.575:
	global_load_u16 v3, v[1:2], off
.LBB281_576:
	s_mov_b32 s2, 0
.LBB281_577:
	s_delay_alu instid0(SALU_CYCLE_1)
	s_and_not1_b32 vcc_lo, exec_lo, s2
	s_cbranch_vccnz .LBB281_583
; %bb.578:
	global_load_u8 v4, v[1:2], off
	s_mov_b32 s22, 0
	s_mov_b32 s2, exec_lo
                                        ; implicit-def: $sgpr23
	s_waitcnt vmcnt(0)
	v_cmpx_lt_i16_e32 0x7f, v4
	s_xor_b32 s2, exec_lo, s2
	s_cbranch_execz .LBB281_595
; %bb.579:
	v_cmp_ne_u16_e32 vcc_lo, 0x80, v4
	s_mov_b32 s23, 0
	s_and_b32 s22, vcc_lo, exec_lo
	s_or_saveexec_b32 s2, s2
	v_mov_b32_e32 v3, s23
	s_xor_b32 exec_lo, exec_lo, s2
	s_cbranch_execnz .LBB281_596
.LBB281_580:
	s_or_b32 exec_lo, exec_lo, s2
	s_and_saveexec_b32 s2, s22
	s_cbranch_execz .LBB281_582
.LBB281_581:
	v_and_b32_e32 v3, 0xffff, v4
	v_lshlrev_b32_e32 v4, 24, v4
	s_delay_alu instid0(VALU_DEP_2) | instskip(NEXT) | instid1(VALU_DEP_2)
	v_and_b32_e32 v6, 7, v3
	v_and_b32_e32 v4, 0x80000000, v4
	s_delay_alu instid0(VALU_DEP_2) | instskip(NEXT) | instid1(VALU_DEP_1)
	v_clz_i32_u32_e32 v7, v6
	v_min_u32_e32 v7, 32, v7
	s_delay_alu instid0(VALU_DEP_1) | instskip(SKIP_1) | instid1(VALU_DEP_2)
	v_subrev_nc_u32_e32 v8, 28, v7
	v_sub_nc_u32_e32 v7, 29, v7
	v_lshlrev_b32_e32 v8, v8, v3
	v_bfe_u32 v3, v3, 3, 4
	s_delay_alu instid0(VALU_DEP_1) | instskip(NEXT) | instid1(VALU_DEP_3)
	v_cmp_eq_u32_e32 vcc_lo, 0, v3
	v_dual_cndmask_b32 v3, v3, v7 :: v_dual_and_b32 v8, 7, v8
	s_delay_alu instid0(VALU_DEP_1) | instskip(NEXT) | instid1(VALU_DEP_2)
	v_cndmask_b32_e32 v6, v6, v8, vcc_lo
	v_lshl_add_u32 v3, v3, 23, 0x3b800000
	s_delay_alu instid0(VALU_DEP_2) | instskip(NEXT) | instid1(VALU_DEP_1)
	v_lshlrev_b32_e32 v6, 20, v6
	v_or3_b32 v3, v4, v3, v6
	s_delay_alu instid0(VALU_DEP_1) | instskip(NEXT) | instid1(VALU_DEP_1)
	v_trunc_f32_e32 v3, v3
	v_mul_f32_e64 v4, 0x2f800000, |v3|
	s_delay_alu instid0(VALU_DEP_1) | instskip(NEXT) | instid1(VALU_DEP_1)
	v_floor_f32_e32 v4, v4
	v_fma_f32 v4, 0xcf800000, v4, |v3|
	v_ashrrev_i32_e32 v3, 31, v3
	s_delay_alu instid0(VALU_DEP_2) | instskip(NEXT) | instid1(VALU_DEP_1)
	v_cvt_u32_f32_e32 v4, v4
	v_xor_b32_e32 v4, v4, v3
	s_delay_alu instid0(VALU_DEP_1)
	v_sub_nc_u32_e32 v3, v4, v3
.LBB281_582:
	s_or_b32 exec_lo, exec_lo, s2
.LBB281_583:
	s_mov_b32 s2, -1
.LBB281_584:
	s_mov_b32 s22, 0
.LBB281_585:
	s_delay_alu instid0(SALU_CYCLE_1)
	s_and_b32 vcc_lo, exec_lo, s22
	s_cbranch_vccz .LBB281_618
; %bb.586:
	v_cmp_gt_i16_e64 s22, s33, 22
	s_delay_alu instid0(VALU_DEP_1)
	s_and_b32 vcc_lo, exec_lo, s22
	s_cbranch_vccz .LBB281_594
; %bb.587:
	v_cmp_lt_i16_e64 s2, s33, 24
	s_delay_alu instid0(VALU_DEP_1)
	s_and_b32 vcc_lo, exec_lo, s2
	s_cbranch_vccnz .LBB281_597
; %bb.588:
	v_cmp_gt_i16_e64 s2, s33, 24
	s_delay_alu instid0(VALU_DEP_1)
	s_and_b32 vcc_lo, exec_lo, s2
	s_cbranch_vccz .LBB281_598
; %bb.589:
	global_load_u8 v4, v[1:2], off
	s_mov_b32 s22, 0
	s_mov_b32 s2, exec_lo
                                        ; implicit-def: $sgpr23
	s_waitcnt vmcnt(0)
	v_cmpx_lt_i16_e32 0x7f, v4
	s_xor_b32 s2, exec_lo, s2
	s_cbranch_execz .LBB281_610
; %bb.590:
	v_cmp_ne_u16_e32 vcc_lo, 0x80, v4
	s_mov_b32 s23, 0
	s_and_b32 s22, vcc_lo, exec_lo
	s_or_saveexec_b32 s2, s2
	v_mov_b32_e32 v3, s23
	s_xor_b32 exec_lo, exec_lo, s2
	s_cbranch_execnz .LBB281_611
.LBB281_591:
	s_or_b32 exec_lo, exec_lo, s2
	s_and_saveexec_b32 s2, s22
	s_cbranch_execz .LBB281_593
.LBB281_592:
	v_and_b32_e32 v3, 0xffff, v4
	v_lshlrev_b32_e32 v4, 24, v4
	s_delay_alu instid0(VALU_DEP_2) | instskip(NEXT) | instid1(VALU_DEP_2)
	v_and_b32_e32 v6, 3, v3
	v_and_b32_e32 v4, 0x80000000, v4
	s_delay_alu instid0(VALU_DEP_2) | instskip(NEXT) | instid1(VALU_DEP_1)
	v_clz_i32_u32_e32 v7, v6
	v_min_u32_e32 v7, 32, v7
	s_delay_alu instid0(VALU_DEP_1) | instskip(SKIP_1) | instid1(VALU_DEP_2)
	v_subrev_nc_u32_e32 v8, 29, v7
	v_sub_nc_u32_e32 v7, 30, v7
	v_lshlrev_b32_e32 v8, v8, v3
	v_bfe_u32 v3, v3, 2, 5
	s_delay_alu instid0(VALU_DEP_1) | instskip(NEXT) | instid1(VALU_DEP_3)
	v_cmp_eq_u32_e32 vcc_lo, 0, v3
	v_dual_cndmask_b32 v3, v3, v7 :: v_dual_and_b32 v8, 3, v8
	s_delay_alu instid0(VALU_DEP_1) | instskip(NEXT) | instid1(VALU_DEP_2)
	v_cndmask_b32_e32 v6, v6, v8, vcc_lo
	v_lshl_add_u32 v3, v3, 23, 0x37800000
	s_delay_alu instid0(VALU_DEP_2) | instskip(NEXT) | instid1(VALU_DEP_1)
	v_lshlrev_b32_e32 v6, 21, v6
	v_or3_b32 v3, v4, v3, v6
	s_delay_alu instid0(VALU_DEP_1) | instskip(NEXT) | instid1(VALU_DEP_1)
	v_trunc_f32_e32 v3, v3
	v_mul_f32_e64 v4, 0x2f800000, |v3|
	s_delay_alu instid0(VALU_DEP_1) | instskip(NEXT) | instid1(VALU_DEP_1)
	v_floor_f32_e32 v4, v4
	v_fma_f32 v4, 0xcf800000, v4, |v3|
	v_ashrrev_i32_e32 v3, 31, v3
	s_delay_alu instid0(VALU_DEP_2) | instskip(NEXT) | instid1(VALU_DEP_1)
	v_cvt_u32_f32_e32 v4, v4
	v_xor_b32_e32 v4, v4, v3
	s_delay_alu instid0(VALU_DEP_1)
	v_sub_nc_u32_e32 v3, v4, v3
.LBB281_593:
	s_or_b32 exec_lo, exec_lo, s2
	s_mov_b32 s2, 0
	s_branch .LBB281_599
.LBB281_594:
	s_mov_b32 s22, -1
                                        ; implicit-def: $vgpr3
	s_branch .LBB281_605
.LBB281_595:
	s_or_saveexec_b32 s2, s2
	v_mov_b32_e32 v3, s23
	s_xor_b32 exec_lo, exec_lo, s2
	s_cbranch_execz .LBB281_580
.LBB281_596:
	v_cmp_ne_u16_e32 vcc_lo, 0, v4
	v_mov_b32_e32 v3, 0
	s_and_not1_b32 s22, s22, exec_lo
	s_and_b32 s23, vcc_lo, exec_lo
	s_delay_alu instid0(SALU_CYCLE_1)
	s_or_b32 s22, s22, s23
	s_or_b32 exec_lo, exec_lo, s2
	s_and_saveexec_b32 s2, s22
	s_cbranch_execnz .LBB281_581
	s_branch .LBB281_582
.LBB281_597:
	s_mov_b32 s2, -1
                                        ; implicit-def: $vgpr3
	s_branch .LBB281_602
.LBB281_598:
	s_mov_b32 s2, -1
                                        ; implicit-def: $vgpr3
.LBB281_599:
	s_delay_alu instid0(SALU_CYCLE_1)
	s_and_b32 vcc_lo, exec_lo, s2
	s_cbranch_vccz .LBB281_601
; %bb.600:
	global_load_u8 v3, v[1:2], off
	s_waitcnt vmcnt(0)
	v_lshlrev_b32_e32 v3, 24, v3
	s_delay_alu instid0(VALU_DEP_1) | instskip(NEXT) | instid1(VALU_DEP_1)
	v_and_b32_e32 v4, 0x7f000000, v3
	v_clz_i32_u32_e32 v6, v4
	v_add_nc_u32_e32 v8, 0x1000000, v4
	v_cmp_ne_u32_e32 vcc_lo, 0, v4
	s_delay_alu instid0(VALU_DEP_3) | instskip(NEXT) | instid1(VALU_DEP_1)
	v_min_u32_e32 v6, 32, v6
	v_sub_nc_u32_e64 v6, v6, 4 clamp
	s_delay_alu instid0(VALU_DEP_1) | instskip(SKIP_1) | instid1(VALU_DEP_2)
	v_lshlrev_b32_e32 v7, v6, v4
	v_lshlrev_b32_e32 v6, 23, v6
	v_lshrrev_b32_e32 v7, 4, v7
	s_delay_alu instid0(VALU_DEP_1) | instskip(SKIP_1) | instid1(VALU_DEP_2)
	v_sub_nc_u32_e32 v6, v7, v6
	v_ashrrev_i32_e32 v7, 8, v8
	v_add_nc_u32_e32 v6, 0x3c000000, v6
	s_delay_alu instid0(VALU_DEP_1) | instskip(NEXT) | instid1(VALU_DEP_1)
	v_and_or_b32 v6, 0x7f800000, v7, v6
	v_cndmask_b32_e32 v4, 0, v6, vcc_lo
	s_delay_alu instid0(VALU_DEP_1) | instskip(NEXT) | instid1(VALU_DEP_1)
	v_and_or_b32 v3, 0x80000000, v3, v4
	v_trunc_f32_e32 v3, v3
	s_delay_alu instid0(VALU_DEP_1) | instskip(NEXT) | instid1(VALU_DEP_1)
	v_mul_f32_e64 v4, 0x2f800000, |v3|
	v_floor_f32_e32 v4, v4
	s_delay_alu instid0(VALU_DEP_1) | instskip(SKIP_1) | instid1(VALU_DEP_2)
	v_fma_f32 v4, 0xcf800000, v4, |v3|
	v_ashrrev_i32_e32 v3, 31, v3
	v_cvt_u32_f32_e32 v4, v4
	s_delay_alu instid0(VALU_DEP_1) | instskip(NEXT) | instid1(VALU_DEP_1)
	v_xor_b32_e32 v4, v4, v3
	v_sub_nc_u32_e32 v3, v4, v3
.LBB281_601:
	s_mov_b32 s2, 0
.LBB281_602:
	s_delay_alu instid0(SALU_CYCLE_1)
	s_and_not1_b32 vcc_lo, exec_lo, s2
	s_cbranch_vccnz .LBB281_604
; %bb.603:
	global_load_u8 v3, v[1:2], off
	s_waitcnt vmcnt(0)
	v_lshlrev_b32_e32 v4, 25, v3
	v_lshlrev_b16 v3, 8, v3
	s_delay_alu instid0(VALU_DEP_2) | instskip(NEXT) | instid1(VALU_DEP_2)
	v_lshrrev_b32_e32 v6, 4, v4
	v_and_or_b32 v7, 0x7f00, v3, 0.5
	v_cmp_gt_u32_e32 vcc_lo, 0x8000000, v4
	v_bfe_i32 v3, v3, 0, 16
	s_delay_alu instid0(VALU_DEP_4) | instskip(NEXT) | instid1(VALU_DEP_1)
	v_or_b32_e32 v6, 0x70000000, v6
	v_dual_add_f32 v7, -0.5, v7 :: v_dual_mul_f32 v6, 0x7800000, v6
	s_delay_alu instid0(VALU_DEP_1) | instskip(NEXT) | instid1(VALU_DEP_1)
	v_cndmask_b32_e32 v4, v6, v7, vcc_lo
	v_and_or_b32 v3, 0x80000000, v3, v4
	s_delay_alu instid0(VALU_DEP_1) | instskip(NEXT) | instid1(VALU_DEP_1)
	v_trunc_f32_e32 v3, v3
	v_mul_f32_e64 v4, 0x2f800000, |v3|
	s_delay_alu instid0(VALU_DEP_1) | instskip(NEXT) | instid1(VALU_DEP_1)
	v_floor_f32_e32 v4, v4
	v_fma_f32 v4, 0xcf800000, v4, |v3|
	v_ashrrev_i32_e32 v3, 31, v3
	s_delay_alu instid0(VALU_DEP_2) | instskip(NEXT) | instid1(VALU_DEP_1)
	v_cvt_u32_f32_e32 v4, v4
	v_xor_b32_e32 v4, v4, v3
	s_delay_alu instid0(VALU_DEP_1)
	v_sub_nc_u32_e32 v3, v4, v3
.LBB281_604:
	s_mov_b32 s22, 0
	s_mov_b32 s2, -1
.LBB281_605:
	s_and_not1_b32 vcc_lo, exec_lo, s22
	s_cbranch_vccnz .LBB281_618
; %bb.606:
	v_cmp_gt_i16_e64 s22, s33, 14
	s_delay_alu instid0(VALU_DEP_1)
	s_and_b32 vcc_lo, exec_lo, s22
	s_cbranch_vccz .LBB281_609
; %bb.607:
	v_cmp_eq_u16_e64 s3, s33, 15
	s_delay_alu instid0(VALU_DEP_1)
	s_and_b32 vcc_lo, exec_lo, s3
	s_cbranch_vccz .LBB281_612
; %bb.608:
	global_load_u16 v3, v[1:2], off
	s_mov_b32 s2, -1
	s_mov_b32 s3, 0
	s_waitcnt vmcnt(0)
	v_lshlrev_b32_e32 v3, 16, v3
	s_delay_alu instid0(VALU_DEP_1) | instskip(NEXT) | instid1(VALU_DEP_1)
	v_trunc_f32_e32 v3, v3
	v_mul_f32_e64 v4, 0x2f800000, |v3|
	s_delay_alu instid0(VALU_DEP_1) | instskip(NEXT) | instid1(VALU_DEP_1)
	v_floor_f32_e32 v4, v4
	v_fma_f32 v4, 0xcf800000, v4, |v3|
	v_ashrrev_i32_e32 v3, 31, v3
	s_delay_alu instid0(VALU_DEP_2) | instskip(NEXT) | instid1(VALU_DEP_1)
	v_cvt_u32_f32_e32 v4, v4
	v_xor_b32_e32 v4, v4, v3
	s_delay_alu instid0(VALU_DEP_1)
	v_sub_nc_u32_e32 v3, v4, v3
	s_branch .LBB281_613
.LBB281_609:
	s_mov_b32 s22, -1
                                        ; implicit-def: $vgpr3
	s_branch .LBB281_614
.LBB281_610:
	s_or_saveexec_b32 s2, s2
	v_mov_b32_e32 v3, s23
	s_xor_b32 exec_lo, exec_lo, s2
	s_cbranch_execz .LBB281_591
.LBB281_611:
	v_cmp_ne_u16_e32 vcc_lo, 0, v4
	v_mov_b32_e32 v3, 0
	s_and_not1_b32 s22, s22, exec_lo
	s_and_b32 s23, vcc_lo, exec_lo
	s_delay_alu instid0(SALU_CYCLE_1)
	s_or_b32 s22, s22, s23
	s_or_b32 exec_lo, exec_lo, s2
	s_and_saveexec_b32 s2, s22
	s_cbranch_execnz .LBB281_592
	s_branch .LBB281_593
.LBB281_612:
	s_mov_b32 s3, -1
                                        ; implicit-def: $vgpr3
.LBB281_613:
	s_mov_b32 s22, 0
.LBB281_614:
	s_delay_alu instid0(SALU_CYCLE_1)
	s_and_b32 vcc_lo, exec_lo, s22
	s_cbranch_vccz .LBB281_618
; %bb.615:
	v_cmp_eq_u16_e64 s3, s33, 11
	s_delay_alu instid0(VALU_DEP_1)
	s_and_b32 vcc_lo, exec_lo, s3
	s_cbranch_vccz .LBB281_617
; %bb.616:
	global_load_u8 v3, v[1:2], off
	s_mov_b32 s3, 0
	s_mov_b32 s2, -1
	s_waitcnt vmcnt(0)
	v_cmp_ne_u16_e32 vcc_lo, 0, v3
	v_cndmask_b32_e64 v3, 0, 1, vcc_lo
	s_branch .LBB281_618
.LBB281_617:
	s_mov_b32 s3, -1
                                        ; implicit-def: $vgpr3
.LBB281_618:
	s_mov_b32 s22, 0
.LBB281_619:
	s_delay_alu instid0(SALU_CYCLE_1)
	s_and_b32 vcc_lo, exec_lo, s22
	s_cbranch_vccz .LBB281_668
; %bb.620:
	v_cmp_lt_i16_e64 s2, s33, 5
	s_delay_alu instid0(VALU_DEP_1)
	s_and_b32 vcc_lo, exec_lo, s2
	s_cbranch_vccnz .LBB281_625
; %bb.621:
	v_cmp_lt_i16_e64 s2, s33, 8
	s_delay_alu instid0(VALU_DEP_1)
	s_and_b32 vcc_lo, exec_lo, s2
	s_cbranch_vccnz .LBB281_626
	;; [unrolled: 5-line block ×3, first 2 shown]
; %bb.623:
	v_cmp_gt_i16_e64 s2, s33, 9
	s_delay_alu instid0(VALU_DEP_1)
	s_and_b32 vcc_lo, exec_lo, s2
	s_cbranch_vccz .LBB281_628
; %bb.624:
	global_load_b64 v[3:4], v[1:2], off
	s_mov_b32 s2, 0
	s_waitcnt vmcnt(0)
	v_trunc_f64_e32 v[3:4], v[3:4]
	s_delay_alu instid0(VALU_DEP_1) | instskip(NEXT) | instid1(VALU_DEP_1)
	v_ldexp_f64 v[6:7], v[3:4], 0xffffffe0
	v_floor_f64_e32 v[6:7], v[6:7]
	s_delay_alu instid0(VALU_DEP_1) | instskip(NEXT) | instid1(VALU_DEP_1)
	v_fma_f64 v[3:4], 0xc1f00000, v[6:7], v[3:4]
	v_cvt_u32_f64_e32 v3, v[3:4]
	s_branch .LBB281_629
.LBB281_625:
	s_mov_b32 s2, -1
                                        ; implicit-def: $vgpr3
	s_branch .LBB281_647
.LBB281_626:
	s_mov_b32 s2, -1
                                        ; implicit-def: $vgpr3
	s_branch .LBB281_635
.LBB281_627:
	s_mov_b32 s2, -1
                                        ; implicit-def: $vgpr3
	s_branch .LBB281_632
.LBB281_628:
	s_mov_b32 s2, -1
                                        ; implicit-def: $vgpr3
.LBB281_629:
	s_delay_alu instid0(SALU_CYCLE_1)
	s_and_not1_b32 vcc_lo, exec_lo, s2
	s_cbranch_vccnz .LBB281_631
; %bb.630:
	global_load_b32 v3, v[1:2], off
	s_waitcnt vmcnt(0)
	v_trunc_f32_e32 v3, v3
	s_delay_alu instid0(VALU_DEP_1) | instskip(NEXT) | instid1(VALU_DEP_1)
	v_mul_f32_e64 v4, 0x2f800000, |v3|
	v_floor_f32_e32 v4, v4
	s_delay_alu instid0(VALU_DEP_1) | instskip(SKIP_1) | instid1(VALU_DEP_2)
	v_fma_f32 v4, 0xcf800000, v4, |v3|
	v_ashrrev_i32_e32 v3, 31, v3
	v_cvt_u32_f32_e32 v4, v4
	s_delay_alu instid0(VALU_DEP_1) | instskip(NEXT) | instid1(VALU_DEP_1)
	v_xor_b32_e32 v4, v4, v3
	v_sub_nc_u32_e32 v3, v4, v3
.LBB281_631:
	s_mov_b32 s2, 0
.LBB281_632:
	s_delay_alu instid0(SALU_CYCLE_1)
	s_and_not1_b32 vcc_lo, exec_lo, s2
	s_cbranch_vccnz .LBB281_634
; %bb.633:
	global_load_b32 v3, v[1:2], off
	s_waitcnt vmcnt(0)
	v_cvt_f32_f16_e32 v3, v3
	s_delay_alu instid0(VALU_DEP_1)
	v_cvt_i32_f32_e32 v3, v3
.LBB281_634:
	s_mov_b32 s2, 0
.LBB281_635:
	s_delay_alu instid0(SALU_CYCLE_1)
	s_and_not1_b32 vcc_lo, exec_lo, s2
	s_cbranch_vccnz .LBB281_646
; %bb.636:
	v_cmp_lt_i16_e64 s2, s33, 6
	s_delay_alu instid0(VALU_DEP_1)
	s_and_b32 vcc_lo, exec_lo, s2
	s_cbranch_vccnz .LBB281_639
; %bb.637:
	v_cmp_gt_i16_e64 s2, s33, 6
	s_delay_alu instid0(VALU_DEP_1)
	s_and_b32 vcc_lo, exec_lo, s2
	s_cbranch_vccz .LBB281_640
; %bb.638:
	global_load_b64 v[3:4], v[1:2], off
	s_mov_b32 s2, 0
	s_waitcnt vmcnt(0)
	v_trunc_f64_e32 v[3:4], v[3:4]
	s_delay_alu instid0(VALU_DEP_1) | instskip(NEXT) | instid1(VALU_DEP_1)
	v_ldexp_f64 v[6:7], v[3:4], 0xffffffe0
	v_floor_f64_e32 v[6:7], v[6:7]
	s_delay_alu instid0(VALU_DEP_1) | instskip(NEXT) | instid1(VALU_DEP_1)
	v_fma_f64 v[3:4], 0xc1f00000, v[6:7], v[3:4]
	v_cvt_u32_f64_e32 v3, v[3:4]
	s_branch .LBB281_641
.LBB281_639:
	s_mov_b32 s2, -1
                                        ; implicit-def: $vgpr3
	s_branch .LBB281_644
.LBB281_640:
	s_mov_b32 s2, -1
                                        ; implicit-def: $vgpr3
.LBB281_641:
	s_delay_alu instid0(SALU_CYCLE_1)
	s_and_not1_b32 vcc_lo, exec_lo, s2
	s_cbranch_vccnz .LBB281_643
; %bb.642:
	global_load_b32 v3, v[1:2], off
	s_waitcnt vmcnt(0)
	v_trunc_f32_e32 v3, v3
	s_delay_alu instid0(VALU_DEP_1) | instskip(NEXT) | instid1(VALU_DEP_1)
	v_mul_f32_e64 v4, 0x2f800000, |v3|
	v_floor_f32_e32 v4, v4
	s_delay_alu instid0(VALU_DEP_1) | instskip(SKIP_1) | instid1(VALU_DEP_2)
	v_fma_f32 v4, 0xcf800000, v4, |v3|
	v_ashrrev_i32_e32 v3, 31, v3
	v_cvt_u32_f32_e32 v4, v4
	s_delay_alu instid0(VALU_DEP_1) | instskip(NEXT) | instid1(VALU_DEP_1)
	v_xor_b32_e32 v4, v4, v3
	v_sub_nc_u32_e32 v3, v4, v3
.LBB281_643:
	s_mov_b32 s2, 0
.LBB281_644:
	s_delay_alu instid0(SALU_CYCLE_1)
	s_and_not1_b32 vcc_lo, exec_lo, s2
	s_cbranch_vccnz .LBB281_646
; %bb.645:
	global_load_u16 v3, v[1:2], off
	s_waitcnt vmcnt(0)
	v_cvt_f32_f16_e32 v3, v3
	s_delay_alu instid0(VALU_DEP_1)
	v_cvt_i32_f32_e32 v3, v3
.LBB281_646:
	s_mov_b32 s2, 0
.LBB281_647:
	s_delay_alu instid0(SALU_CYCLE_1)
	s_and_not1_b32 vcc_lo, exec_lo, s2
	s_cbranch_vccnz .LBB281_667
; %bb.648:
	v_cmp_lt_i16_e64 s2, s33, 2
	s_delay_alu instid0(VALU_DEP_1)
	s_and_b32 vcc_lo, exec_lo, s2
	s_cbranch_vccnz .LBB281_652
; %bb.649:
	v_cmp_lt_i16_e64 s2, s33, 3
	s_delay_alu instid0(VALU_DEP_1)
	s_and_b32 vcc_lo, exec_lo, s2
	s_cbranch_vccnz .LBB281_653
; %bb.650:
	v_cmp_gt_i16_e64 s2, s33, 3
	s_delay_alu instid0(VALU_DEP_1)
	s_and_b32 vcc_lo, exec_lo, s2
	s_cbranch_vccz .LBB281_654
; %bb.651:
	global_load_b64 v[3:4], v[1:2], off
	s_mov_b32 s2, 0
	s_branch .LBB281_655
.LBB281_652:
	s_mov_b32 s2, -1
                                        ; implicit-def: $vgpr3
	s_branch .LBB281_661
.LBB281_653:
	s_mov_b32 s2, -1
                                        ; implicit-def: $vgpr3
	s_branch .LBB281_658
.LBB281_654:
	s_mov_b32 s2, -1
                                        ; implicit-def: $vgpr3
.LBB281_655:
	s_delay_alu instid0(SALU_CYCLE_1)
	s_and_not1_b32 vcc_lo, exec_lo, s2
	s_cbranch_vccnz .LBB281_657
; %bb.656:
	global_load_b32 v3, v[1:2], off
.LBB281_657:
	s_mov_b32 s2, 0
.LBB281_658:
	s_delay_alu instid0(SALU_CYCLE_1)
	s_and_not1_b32 vcc_lo, exec_lo, s2
	s_cbranch_vccnz .LBB281_660
; %bb.659:
	global_load_u16 v3, v[1:2], off
.LBB281_660:
	s_mov_b32 s2, 0
.LBB281_661:
	s_delay_alu instid0(SALU_CYCLE_1)
	s_and_not1_b32 vcc_lo, exec_lo, s2
	s_cbranch_vccnz .LBB281_667
; %bb.662:
	v_cmp_gt_i16_e64 s2, s33, 0
	s_delay_alu instid0(VALU_DEP_1)
	s_and_b32 vcc_lo, exec_lo, s2
	s_mov_b32 s2, 0
	s_cbranch_vccz .LBB281_664
; %bb.663:
	global_load_u8 v3, v[1:2], off
	s_branch .LBB281_665
.LBB281_664:
	s_mov_b32 s2, -1
                                        ; implicit-def: $vgpr3
.LBB281_665:
	s_delay_alu instid0(SALU_CYCLE_1)
	s_and_not1_b32 vcc_lo, exec_lo, s2
	s_cbranch_vccnz .LBB281_667
; %bb.666:
	global_load_u8 v3, v[1:2], off
.LBB281_667:
	s_mov_b32 s2, -1
.LBB281_668:
	s_delay_alu instid0(SALU_CYCLE_1)
	s_and_not1_b32 vcc_lo, exec_lo, s2
	s_cbranch_vccnz .LBB281_676
; %bb.669:
	v_and_b32_e64 v1, 0xff, s29
	s_waitcnt vmcnt(0)
	s_delay_alu instid0(VALU_DEP_2) | instskip(SKIP_3) | instid1(VALU_DEP_4)
	v_and_b32_e32 v2, 0xff, v3
	v_and_b32_e64 v3, 0xff, s30
	v_and_b32_e64 v4, 0xff, s31
	v_add_co_u32 v0, s2, s4, v0
	v_max_u16 v1, v2, v1
	s_delay_alu instid0(VALU_DEP_4) | instskip(SKIP_2) | instid1(VALU_DEP_2)
	v_cmp_gt_i16_e32 vcc_lo, 11, v3
	s_mov_b32 s22, 0
	s_mov_b32 s23, -1
	v_min_u16 v2, v1, v4
	v_add_co_ci_u32_e64 v1, null, s5, 0, s2
	s_mov_b32 s2, s42
	s_cbranch_vccnz .LBB281_677
; %bb.670:
	v_cmp_lt_i16_e32 vcc_lo, 25, v3
	s_cbranch_vccz .LBB281_718
; %bb.671:
	v_cmp_lt_i16_e32 vcc_lo, 28, v3
	s_cbranch_vccz .LBB281_719
	;; [unrolled: 3-line block ×4, first 2 shown]
; %bb.674:
	v_cmp_eq_u16_e32 vcc_lo, 46, v3
	s_mov_b32 s23, 0
	s_mov_b32 s2, -1
	s_cbranch_vccz .LBB281_722
; %bb.675:
	v_cvt_f32_ubyte0_e32 v4, v2
	s_mov_b32 s22, -1
	s_mov_b32 s2, 0
	s_delay_alu instid0(VALU_DEP_1) | instskip(NEXT) | instid1(VALU_DEP_1)
	v_bfe_u32 v6, v4, 16, 1
	v_add3_u32 v4, v4, v6, 0x7fff
	s_delay_alu instid0(VALU_DEP_1)
	v_lshrrev_b32_e32 v4, 16, v4
	global_store_b32 v[0:1], v4, off
	s_branch .LBB281_722
.LBB281_676:
	s_mov_b32 s45, 0
	s_mov_b32 s2, s42
	s_branch .LBB281_717
.LBB281_677:
	s_and_b32 vcc_lo, exec_lo, s23
	s_cbranch_vccz .LBB281_791
; %bb.678:
	v_cmp_gt_i16_e32 vcc_lo, 5, v3
	s_mov_b32 s22, -1
	s_cbranch_vccnz .LBB281_699
; %bb.679:
	v_cmp_gt_i16_e32 vcc_lo, 8, v3
	s_cbranch_vccnz .LBB281_689
; %bb.680:
	v_cmp_gt_i16_e32 vcc_lo, 9, v3
	s_cbranch_vccnz .LBB281_686
; %bb.681:
	v_cmp_lt_i16_e32 vcc_lo, 9, v3
	s_cbranch_vccz .LBB281_683
; %bb.682:
	v_mov_b32_e32 v8, 0
	v_and_b32_e32 v4, 0xffff, v2
	s_mov_b32 s22, 0
	s_delay_alu instid0(VALU_DEP_2) | instskip(NEXT) | instid1(VALU_DEP_2)
	v_mov_b32_e32 v9, v8
	v_cvt_f64_u32_e32 v[6:7], v4
	global_store_b128 v[0:1], v[6:9], off
.LBB281_683:
	s_and_not1_b32 vcc_lo, exec_lo, s22
	s_cbranch_vccnz .LBB281_685
; %bb.684:
	v_cvt_f32_ubyte0_e32 v6, v2
	v_mov_b32_e32 v7, 0
	global_store_b64 v[0:1], v[6:7], off
.LBB281_685:
	s_mov_b32 s22, 0
.LBB281_686:
	s_delay_alu instid0(SALU_CYCLE_1)
	s_and_not1_b32 vcc_lo, exec_lo, s22
	s_cbranch_vccnz .LBB281_688
; %bb.687:
	v_cvt_f16_u16_e32 v4, v2
	s_delay_alu instid0(VALU_DEP_1)
	v_and_b32_e32 v4, 0xffff, v4
	global_store_b32 v[0:1], v4, off
.LBB281_688:
	s_mov_b32 s22, 0
.LBB281_689:
	s_delay_alu instid0(SALU_CYCLE_1)
	s_and_not1_b32 vcc_lo, exec_lo, s22
	s_cbranch_vccnz .LBB281_698
; %bb.690:
	v_cmp_gt_i16_e32 vcc_lo, 6, v3
	s_mov_b32 s22, -1
	s_cbranch_vccnz .LBB281_696
; %bb.691:
	v_cmp_lt_i16_e32 vcc_lo, 6, v3
	s_cbranch_vccz .LBB281_693
; %bb.692:
	v_and_b32_e32 v4, 0xffff, v2
	s_mov_b32 s22, 0
	s_delay_alu instid0(VALU_DEP_1)
	v_cvt_f64_u32_e32 v[6:7], v4
	global_store_b64 v[0:1], v[6:7], off
.LBB281_693:
	s_and_not1_b32 vcc_lo, exec_lo, s22
	s_cbranch_vccnz .LBB281_695
; %bb.694:
	v_cvt_f32_ubyte0_e32 v4, v2
	global_store_b32 v[0:1], v4, off
.LBB281_695:
	s_mov_b32 s22, 0
.LBB281_696:
	s_delay_alu instid0(SALU_CYCLE_1)
	s_and_not1_b32 vcc_lo, exec_lo, s22
	s_cbranch_vccnz .LBB281_698
; %bb.697:
	v_cvt_f16_u16_e32 v4, v2
	global_store_b16 v[0:1], v4, off
.LBB281_698:
	s_mov_b32 s22, 0
.LBB281_699:
	s_delay_alu instid0(SALU_CYCLE_1)
	s_and_not1_b32 vcc_lo, exec_lo, s22
	s_cbranch_vccnz .LBB281_715
; %bb.700:
	v_cmp_gt_i16_e32 vcc_lo, 2, v3
	s_mov_b32 s22, -1
	s_cbranch_vccnz .LBB281_710
; %bb.701:
	v_cmp_gt_i16_e32 vcc_lo, 3, v3
	s_cbranch_vccnz .LBB281_707
; %bb.702:
	v_cmp_lt_i16_e32 vcc_lo, 3, v3
	s_cbranch_vccz .LBB281_704
; %bb.703:
	s_mov_b32 s22, 0
	s_delay_alu instid0(SALU_CYCLE_1)
	v_dual_mov_b32 v7, s22 :: v_dual_and_b32 v6, 0xffff, v2
	global_store_b64 v[0:1], v[6:7], off
.LBB281_704:
	s_and_not1_b32 vcc_lo, exec_lo, s22
	s_cbranch_vccnz .LBB281_706
; %bb.705:
	v_and_b32_e32 v4, 0xffff, v2
	global_store_b32 v[0:1], v4, off
.LBB281_706:
	s_mov_b32 s22, 0
.LBB281_707:
	s_delay_alu instid0(SALU_CYCLE_1)
	s_and_not1_b32 vcc_lo, exec_lo, s22
	s_cbranch_vccnz .LBB281_709
; %bb.708:
	global_store_b16 v[0:1], v2, off
.LBB281_709:
	s_mov_b32 s22, 0
.LBB281_710:
	s_delay_alu instid0(SALU_CYCLE_1)
	s_and_not1_b32 vcc_lo, exec_lo, s22
	s_cbranch_vccnz .LBB281_715
; %bb.711:
	v_cmp_lt_i16_e32 vcc_lo, 0, v3
	s_mov_b32 s22, -1
	s_cbranch_vccz .LBB281_713
; %bb.712:
	s_mov_b32 s22, 0
	global_store_b8 v[0:1], v2, off
.LBB281_713:
	s_and_not1_b32 vcc_lo, exec_lo, s22
	s_cbranch_vccnz .LBB281_715
; %bb.714:
	global_store_b8 v[0:1], v2, off
.LBB281_715:
	s_branch .LBB281_792
.LBB281_716:
	s_mov_b32 s45, 0
.LBB281_717:
                                        ; implicit-def: $vgpr5
	s_branch .LBB281_793
.LBB281_718:
	s_mov_b32 s2, s42
	s_branch .LBB281_749
.LBB281_719:
	s_mov_b32 s2, s42
	s_branch .LBB281_732
.LBB281_720:
	s_mov_b32 s2, s42
	s_branch .LBB281_728
.LBB281_721:
	s_mov_b32 s2, s42
.LBB281_722:
	s_and_b32 vcc_lo, exec_lo, s23
	s_cbranch_vccz .LBB281_727
; %bb.723:
	v_cmp_eq_u16_e32 vcc_lo, 44, v3
	s_mov_b32 s2, -1
	s_cbranch_vccz .LBB281_727
; %bb.724:
	v_cvt_f32_ubyte0_e32 v7, v2
	v_mov_b32_e32 v6, 0xff
	s_mov_b32 s22, exec_lo
	s_delay_alu instid0(VALU_DEP_2) | instskip(NEXT) | instid1(VALU_DEP_1)
	v_lshrrev_b32_e32 v4, 23, v7
	v_cmpx_ne_u32_e32 0xff, v4
; %bb.725:
	v_and_b32_e32 v6, 0x400000, v7
	v_and_or_b32 v7, 0x3fffff, v7, v4
	s_delay_alu instid0(VALU_DEP_2) | instskip(NEXT) | instid1(VALU_DEP_2)
	v_cmp_ne_u32_e32 vcc_lo, 0, v6
	v_cmp_ne_u32_e64 s2, 0, v7
	s_delay_alu instid0(VALU_DEP_1) | instskip(NEXT) | instid1(SALU_CYCLE_1)
	s_and_b32 s2, vcc_lo, s2
	v_cndmask_b32_e64 v6, 0, 1, s2
	s_delay_alu instid0(VALU_DEP_1)
	v_add_nc_u32_e32 v6, v4, v6
; %bb.726:
	s_or_b32 exec_lo, exec_lo, s22
	s_mov_b32 s22, -1
	s_mov_b32 s2, 0
	global_store_b8 v[0:1], v6, off
.LBB281_727:
	s_mov_b32 s23, 0
.LBB281_728:
	s_delay_alu instid0(SALU_CYCLE_1)
	s_and_b32 vcc_lo, exec_lo, s23
	s_cbranch_vccz .LBB281_731
; %bb.729:
	v_cmp_eq_u16_e32 vcc_lo, 29, v3
	s_mov_b32 s2, -1
	s_cbranch_vccz .LBB281_731
; %bb.730:
	s_mov_b32 s2, 0
	s_delay_alu instid0(SALU_CYCLE_1)
	v_dual_mov_b32 v7, s2 :: v_dual_and_b32 v6, 0xffff, v2
	s_mov_b32 s22, -1
	s_mov_b32 s23, 0
	global_store_b64 v[0:1], v[6:7], off
	s_branch .LBB281_732
.LBB281_731:
	s_mov_b32 s23, 0
.LBB281_732:
	s_delay_alu instid0(SALU_CYCLE_1)
	s_and_b32 vcc_lo, exec_lo, s23
	s_cbranch_vccz .LBB281_748
; %bb.733:
	v_cmp_gt_i16_e32 vcc_lo, 27, v3
	s_mov_b32 s22, -1
	s_cbranch_vccnz .LBB281_739
; %bb.734:
	v_cmp_lt_i16_e32 vcc_lo, 27, v3
	s_cbranch_vccz .LBB281_736
; %bb.735:
	v_and_b32_e32 v4, 0xffff, v2
	s_mov_b32 s22, 0
	global_store_b32 v[0:1], v4, off
.LBB281_736:
	s_and_not1_b32 vcc_lo, exec_lo, s22
	s_cbranch_vccnz .LBB281_738
; %bb.737:
	global_store_b16 v[0:1], v2, off
.LBB281_738:
	s_mov_b32 s22, 0
.LBB281_739:
	s_delay_alu instid0(SALU_CYCLE_1)
	s_and_not1_b32 vcc_lo, exec_lo, s22
	s_cbranch_vccnz .LBB281_747
; %bb.740:
	v_cvt_f32_ubyte0_e32 v6, v2
	v_mov_b32_e32 v7, 0x80
	s_mov_b32 s22, exec_lo
	s_delay_alu instid0(VALU_DEP_2)
	v_cmpx_gt_u32_e32 0x43800000, v6
	s_cbranch_execz .LBB281_746
; %bb.741:
	s_mov_b32 s23, 0
	s_mov_b32 s45, exec_lo
                                        ; implicit-def: $vgpr4
	v_cmpx_lt_u32_e32 0x3bffffff, v6
	s_xor_b32 s45, exec_lo, s45
	s_cbranch_execz .LBB281_820
; %bb.742:
	v_bfe_u32 v4, v6, 20, 1
	s_mov_b32 s23, exec_lo
	s_delay_alu instid0(VALU_DEP_1) | instskip(NEXT) | instid1(VALU_DEP_1)
	v_add3_u32 v4, v6, v4, 0x487ffff
                                        ; implicit-def: $vgpr6
	v_lshrrev_b32_e32 v4, 20, v4
	s_or_saveexec_b32 s45, s45
                                        ; implicit-def: $sgpr46
	s_delay_alu instid0(SALU_CYCLE_1)
	s_xor_b32 exec_lo, exec_lo, s45
	s_cbranch_execnz .LBB281_821
.LBB281_743:
	s_or_b32 exec_lo, exec_lo, s45
	v_mov_b32_e32 v7, s46
	s_and_saveexec_b32 s45, s23
.LBB281_744:
	v_mov_b32_e32 v7, v4
.LBB281_745:
	s_or_b32 exec_lo, exec_lo, s45
.LBB281_746:
	s_delay_alu instid0(SALU_CYCLE_1)
	s_or_b32 exec_lo, exec_lo, s22
	global_store_b8 v[0:1], v7, off
.LBB281_747:
	s_mov_b32 s22, -1
.LBB281_748:
	s_mov_b32 s23, 0
.LBB281_749:
	s_delay_alu instid0(SALU_CYCLE_1)
	s_and_b32 vcc_lo, exec_lo, s23
	s_cbranch_vccz .LBB281_790
; %bb.750:
	v_cmp_lt_i16_e32 vcc_lo, 22, v3
	s_mov_b32 s23, -1
	s_cbranch_vccz .LBB281_782
; %bb.751:
	v_cmp_gt_i16_e32 vcc_lo, 24, v3
	s_mov_b32 s22, -1
	s_cbranch_vccnz .LBB281_771
; %bb.752:
	v_cmp_lt_i16_e32 vcc_lo, 24, v3
	s_cbranch_vccz .LBB281_760
; %bb.753:
	v_cvt_f32_ubyte0_e32 v6, v2
	v_mov_b32_e32 v7, 0x80
	s_mov_b32 s22, exec_lo
	s_delay_alu instid0(VALU_DEP_2)
	v_cmpx_gt_u32_e32 0x47800000, v6
	s_cbranch_execz .LBB281_759
; %bb.754:
	s_mov_b32 s23, 0
	s_mov_b32 s45, exec_lo
                                        ; implicit-def: $vgpr4
	v_cmpx_lt_u32_e32 0x37ffffff, v6
	s_xor_b32 s45, exec_lo, s45
	s_cbranch_execz .LBB281_823
; %bb.755:
	v_bfe_u32 v4, v6, 21, 1
	s_mov_b32 s23, exec_lo
	s_delay_alu instid0(VALU_DEP_1) | instskip(NEXT) | instid1(VALU_DEP_1)
	v_add3_u32 v4, v6, v4, 0x88fffff
                                        ; implicit-def: $vgpr6
	v_lshrrev_b32_e32 v4, 21, v4
	s_or_saveexec_b32 s45, s45
                                        ; implicit-def: $sgpr46
	s_delay_alu instid0(SALU_CYCLE_1)
	s_xor_b32 exec_lo, exec_lo, s45
	s_cbranch_execnz .LBB281_824
.LBB281_756:
	s_or_b32 exec_lo, exec_lo, s45
	v_mov_b32_e32 v7, s46
	s_and_saveexec_b32 s45, s23
.LBB281_757:
	v_mov_b32_e32 v7, v4
.LBB281_758:
	s_or_b32 exec_lo, exec_lo, s45
.LBB281_759:
	s_delay_alu instid0(SALU_CYCLE_1)
	s_or_b32 exec_lo, exec_lo, s22
	s_mov_b32 s22, 0
	global_store_b8 v[0:1], v7, off
.LBB281_760:
	s_and_b32 vcc_lo, exec_lo, s22
	s_cbranch_vccz .LBB281_770
; %bb.761:
	v_cvt_f32_ubyte0_e32 v6, v2
	s_mov_b32 s22, exec_lo
                                        ; implicit-def: $vgpr4
	s_delay_alu instid0(VALU_DEP_1)
	v_cmpx_gt_u32_e32 0x43f00000, v6
	s_xor_b32 s22, exec_lo, s22
	s_cbranch_execz .LBB281_767
; %bb.762:
	s_mov_b32 s23, exec_lo
                                        ; implicit-def: $vgpr4
	v_cmpx_lt_u32_e32 0x3c7fffff, v6
	s_xor_b32 s23, exec_lo, s23
; %bb.763:
	v_bfe_u32 v4, v6, 20, 1
	s_delay_alu instid0(VALU_DEP_1) | instskip(NEXT) | instid1(VALU_DEP_1)
	v_add3_u32 v4, v6, v4, 0x407ffff
	v_and_b32_e32 v6, 0xff00000, v4
	v_lshrrev_b32_e32 v4, 20, v4
	s_delay_alu instid0(VALU_DEP_2) | instskip(NEXT) | instid1(VALU_DEP_2)
	v_cmp_ne_u32_e32 vcc_lo, 0x7f00000, v6
                                        ; implicit-def: $vgpr6
	v_cndmask_b32_e32 v4, 0x7e, v4, vcc_lo
; %bb.764:
	s_and_not1_saveexec_b32 s23, s23
; %bb.765:
	v_add_f32_e32 v4, 0x46800000, v6
; %bb.766:
	s_or_b32 exec_lo, exec_lo, s23
                                        ; implicit-def: $vgpr6
.LBB281_767:
	s_and_not1_saveexec_b32 s22, s22
; %bb.768:
	v_mov_b32_e32 v4, 0x7f
	v_cmp_lt_u32_e32 vcc_lo, 0x7f800000, v6
	s_delay_alu instid0(VALU_DEP_2)
	v_cndmask_b32_e32 v4, 0x7e, v4, vcc_lo
; %bb.769:
	s_or_b32 exec_lo, exec_lo, s22
	global_store_b8 v[0:1], v4, off
.LBB281_770:
	s_mov_b32 s22, 0
.LBB281_771:
	s_delay_alu instid0(SALU_CYCLE_1)
	s_and_not1_b32 vcc_lo, exec_lo, s22
	s_cbranch_vccnz .LBB281_781
; %bb.772:
	v_cvt_f32_ubyte0_e32 v6, v2
	s_mov_b32 s22, exec_lo
                                        ; implicit-def: $vgpr4
	s_delay_alu instid0(VALU_DEP_1)
	v_cmpx_gt_u32_e32 0x47800000, v6
	s_xor_b32 s22, exec_lo, s22
	s_cbranch_execz .LBB281_778
; %bb.773:
	s_mov_b32 s23, exec_lo
                                        ; implicit-def: $vgpr4
	v_cmpx_lt_u32_e32 0x387fffff, v6
	s_xor_b32 s23, exec_lo, s23
; %bb.774:
	v_bfe_u32 v4, v6, 21, 1
	s_delay_alu instid0(VALU_DEP_1) | instskip(NEXT) | instid1(VALU_DEP_1)
	v_add3_u32 v4, v6, v4, 0x80fffff
                                        ; implicit-def: $vgpr6
	v_lshrrev_b32_e32 v4, 21, v4
; %bb.775:
	s_and_not1_saveexec_b32 s23, s23
; %bb.776:
	v_add_f32_e32 v4, 0x43000000, v6
; %bb.777:
	s_or_b32 exec_lo, exec_lo, s23
                                        ; implicit-def: $vgpr6
.LBB281_778:
	s_and_not1_saveexec_b32 s22, s22
; %bb.779:
	v_mov_b32_e32 v4, 0x7f
	v_cmp_lt_u32_e32 vcc_lo, 0x7f800000, v6
	s_delay_alu instid0(VALU_DEP_2)
	v_cndmask_b32_e32 v4, 0x7c, v4, vcc_lo
; %bb.780:
	s_or_b32 exec_lo, exec_lo, s22
	global_store_b8 v[0:1], v4, off
.LBB281_781:
	s_mov_b32 s23, 0
	s_mov_b32 s22, -1
.LBB281_782:
	s_and_not1_b32 vcc_lo, exec_lo, s23
	s_cbranch_vccnz .LBB281_790
; %bb.783:
	v_cmp_lt_i16_e32 vcc_lo, 14, v3
	s_mov_b32 s23, -1
	s_cbranch_vccz .LBB281_787
; %bb.784:
	v_cmp_eq_u16_e32 vcc_lo, 15, v3
	s_mov_b32 s2, -1
	s_cbranch_vccz .LBB281_786
; %bb.785:
	v_cvt_f32_ubyte0_e32 v4, v2
	s_mov_b32 s22, -1
	s_mov_b32 s2, 0
	s_delay_alu instid0(VALU_DEP_1) | instskip(NEXT) | instid1(VALU_DEP_1)
	v_bfe_u32 v6, v4, 16, 1
	v_add3_u32 v4, v4, v6, 0x7fff
	global_store_d16_hi_b16 v[0:1], v4, off
.LBB281_786:
	s_mov_b32 s23, 0
.LBB281_787:
	s_delay_alu instid0(SALU_CYCLE_1)
	s_and_b32 vcc_lo, exec_lo, s23
	s_cbranch_vccz .LBB281_790
; %bb.788:
	v_cmp_eq_u16_e32 vcc_lo, 11, v3
	s_mov_b32 s2, -1
	s_cbranch_vccz .LBB281_790
; %bb.789:
	v_cmp_ne_u16_e32 vcc_lo, 0, v2
	s_mov_b32 s2, 0
	s_mov_b32 s22, -1
	v_cndmask_b32_e64 v4, 0, 1, vcc_lo
	global_store_b8 v[0:1], v4, off
.LBB281_790:
.LBB281_791:
	s_and_not1_b32 vcc_lo, exec_lo, s22
	s_cbranch_vccnz .LBB281_716
.LBB281_792:
	v_add_nc_u32_e32 v5, 0x80, v5
	s_mov_b32 s45, -1
.LBB281_793:
	s_and_not1_b32 s22, s42, exec_lo
	s_and_b32 s2, s2, exec_lo
	s_and_not1_b32 s46, s41, exec_lo
	s_and_b32 s3, s3, exec_lo
	s_or_b32 s23, s22, s2
	s_or_b32 s22, s46, s3
	s_or_not1_b32 s46, s45, exec_lo
.LBB281_794:
	s_or_b32 exec_lo, exec_lo, s44
	s_mov_b32 s2, 0
	s_mov_b32 s3, 0
	;; [unrolled: 1-line block ×3, first 2 shown]
                                        ; implicit-def: $vgpr1_vgpr2
                                        ; implicit-def: $vgpr0
                                        ; implicit-def: $vgpr3
	s_and_saveexec_b32 s44, s46
	s_cbranch_execz .LBB281_888
; %bb.795:
	v_cmp_gt_i32_e32 vcc_lo, s35, v5
	s_mov_b32 s47, s22
	s_mov_b32 s46, 0
                                        ; implicit-def: $vgpr1_vgpr2
                                        ; implicit-def: $vgpr0
                                        ; implicit-def: $vgpr3
	s_and_saveexec_b32 s35, vcc_lo
	s_cbranch_execz .LBB281_887
; %bb.796:
	s_and_not1_b32 vcc_lo, exec_lo, s27
	s_cbranch_vccnz .LBB281_801
; %bb.797:
	v_dual_mov_b32 v0, 0 :: v_dual_mov_b32 v1, 0
	s_and_not1_b32 vcc_lo, exec_lo, s37
	s_mov_b32 s37, 0
	s_cbranch_vccnz .LBB281_806
; %bb.798:
	v_mov_b32_e32 v0, 0
	s_add_i32 s45, s36, 1
	s_cmp_eq_u32 s25, 2
	s_mov_b32 s36, 0
	s_cbranch_scc1 .LBB281_802
; %bb.799:
	v_dual_mov_b32 v1, 0 :: v_dual_mov_b32 v0, 0
	v_mov_b32_e32 v2, v5
	s_and_b32 s36, s45, 28
	s_mov_b64 s[2:3], s[16:17]
.LBB281_800:                            ; =>This Inner Loop Header: Depth=1
	s_clause 0x1
	s_load_b256 s[48:55], s[2:3], 0x4
	s_load_b128 s[64:67], s[2:3], 0x24
	s_load_b256 s[56:63], s[20:21], 0x0
	s_add_u32 s2, s2, 48
	s_addc_u32 s3, s3, 0
	s_add_i32 s46, s46, 4
	s_add_u32 s20, s20, 32
	s_addc_u32 s21, s21, 0
	s_cmp_eq_u32 s36, s46
	s_waitcnt vmcnt(0) lgkmcnt(0)
	v_mul_hi_u32 v3, s49, v2
	s_delay_alu instid0(VALU_DEP_1) | instskip(NEXT) | instid1(VALU_DEP_1)
	v_add_nc_u32_e32 v3, v2, v3
	v_lshrrev_b32_e32 v3, s50, v3
	s_delay_alu instid0(VALU_DEP_1) | instskip(SKIP_1) | instid1(VALU_DEP_2)
	v_mul_hi_u32 v4, s52, v3
	v_mul_lo_u32 v7, v3, s48
	v_add_nc_u32_e32 v4, v3, v4
	s_delay_alu instid0(VALU_DEP_2) | instskip(NEXT) | instid1(VALU_DEP_2)
	v_sub_nc_u32_e32 v2, v2, v7
	v_lshrrev_b32_e32 v4, s53, v4
	s_delay_alu instid0(VALU_DEP_2) | instskip(SKIP_1) | instid1(VALU_DEP_3)
	v_mul_lo_u32 v7, v2, s56
	v_mul_lo_u32 v9, v2, s57
	v_mul_hi_u32 v6, s55, v4
	s_delay_alu instid0(VALU_DEP_1) | instskip(NEXT) | instid1(VALU_DEP_1)
	v_add_nc_u32_e32 v6, v4, v6
	v_lshrrev_b32_e32 v6, s64, v6
	s_delay_alu instid0(VALU_DEP_1) | instskip(SKIP_1) | instid1(VALU_DEP_2)
	v_mul_hi_u32 v8, s66, v6
	v_mul_lo_u32 v10, v6, s54
	v_add_nc_u32_e32 v2, v6, v8
	v_mul_lo_u32 v8, v4, s51
	s_delay_alu instid0(VALU_DEP_3) | instskip(NEXT) | instid1(VALU_DEP_3)
	v_sub_nc_u32_e32 v4, v4, v10
	v_lshrrev_b32_e32 v2, s67, v2
	s_delay_alu instid0(VALU_DEP_2) | instskip(SKIP_2) | instid1(VALU_DEP_4)
	v_mul_lo_u32 v10, v4, s60
	v_mul_lo_u32 v4, v4, s61
	v_sub_nc_u32_e32 v3, v3, v8
	v_mul_lo_u32 v11, v2, s65
	s_delay_alu instid0(VALU_DEP_2) | instskip(SKIP_1) | instid1(VALU_DEP_3)
	v_mul_lo_u32 v8, v3, s58
	v_mul_lo_u32 v3, v3, s59
	v_sub_nc_u32_e32 v6, v6, v11
	s_delay_alu instid0(VALU_DEP_3) | instskip(NEXT) | instid1(VALU_DEP_2)
	v_add3_u32 v0, v7, v0, v8
	v_mul_lo_u32 v11, v6, s62
	v_mul_lo_u32 v6, v6, s63
	v_add3_u32 v1, v9, v1, v3
	s_delay_alu instid0(VALU_DEP_3) | instskip(NEXT) | instid1(VALU_DEP_2)
	v_add3_u32 v0, v10, v0, v11
	v_add3_u32 v1, v4, v1, v6
	s_cbranch_scc0 .LBB281_800
	s_branch .LBB281_803
.LBB281_801:
	s_mov_b32 s37, -1
                                        ; implicit-def: $vgpr0
                                        ; implicit-def: $vgpr1
	s_branch .LBB281_806
.LBB281_802:
	v_dual_mov_b32 v2, v5 :: v_dual_mov_b32 v1, 0
.LBB281_803:
	s_and_b32 s45, s45, 3
	s_delay_alu instid0(SALU_CYCLE_1)
	s_cmp_eq_u32 s45, 0
	s_cbranch_scc1 .LBB281_806
; %bb.804:
	s_lshl_b32 s2, s36, 3
	s_mul_i32 s20, s36, 12
	s_add_u32 s2, s2, s16
	s_addc_u32 s3, s17, 0
	s_add_u32 s2, s2, 0xc4
	s_addc_u32 s3, s3, 0
	;; [unrolled: 2-line block ×3, first 2 shown]
.LBB281_805:                            ; =>This Inner Loop Header: Depth=1
	s_clause 0x1
	s_load_b64 s[46:47], s[20:21], 0x4
	s_load_b32 s36, s[20:21], 0xc
	s_load_b64 s[48:49], s[2:3], 0x0
	s_add_u32 s20, s20, 12
	s_addc_u32 s21, s21, 0
	s_add_u32 s2, s2, 8
	s_addc_u32 s3, s3, 0
	s_add_i32 s45, s45, -1
	s_delay_alu instid0(SALU_CYCLE_1) | instskip(SKIP_2) | instid1(VALU_DEP_1)
	s_cmp_lg_u32 s45, 0
	s_waitcnt vmcnt(0) lgkmcnt(0)
	v_mul_hi_u32 v3, s47, v2
	v_add_nc_u32_e32 v3, v2, v3
	s_delay_alu instid0(VALU_DEP_1) | instskip(NEXT) | instid1(VALU_DEP_1)
	v_lshrrev_b32_e32 v8, s36, v3
	v_mul_lo_u32 v3, v8, s46
	s_delay_alu instid0(VALU_DEP_1) | instskip(NEXT) | instid1(VALU_DEP_1)
	v_sub_nc_u32_e32 v2, v2, v3
	v_mad_u64_u32 v[3:4], null, v2, s48, v[0:1]
	v_mad_u64_u32 v[6:7], null, v2, s49, v[1:2]
	v_mov_b32_e32 v2, v8
	s_delay_alu instid0(VALU_DEP_2)
	v_dual_mov_b32 v0, v3 :: v_dual_mov_b32 v1, v6
	s_cbranch_scc1 .LBB281_805
.LBB281_806:
	s_and_not1_b32 vcc_lo, exec_lo, s37
	s_cbranch_vccnz .LBB281_809
; %bb.807:
	v_mul_hi_u32 v0, s13, v5
	s_and_not1_b32 vcc_lo, exec_lo, s34
	s_delay_alu instid0(VALU_DEP_1) | instskip(NEXT) | instid1(VALU_DEP_1)
	v_add_nc_u32_e32 v0, v5, v0
	v_lshrrev_b32_e32 v2, s14, v0
	s_delay_alu instid0(VALU_DEP_1) | instskip(NEXT) | instid1(VALU_DEP_1)
	v_mul_lo_u32 v0, v2, s12
	v_sub_nc_u32_e32 v1, v5, v0
	s_delay_alu instid0(VALU_DEP_1)
	v_mul_lo_u32 v0, v1, s8
	v_mul_lo_u32 v1, v1, s9
	s_cbranch_vccnz .LBB281_809
; %bb.808:
	s_waitcnt vmcnt(0)
	v_mul_hi_u32 v3, s18, v2
	s_delay_alu instid0(VALU_DEP_1) | instskip(NEXT) | instid1(VALU_DEP_1)
	v_add_nc_u32_e32 v3, v2, v3
	v_lshrrev_b32_e32 v3, s19, v3
	s_delay_alu instid0(VALU_DEP_1) | instskip(NEXT) | instid1(VALU_DEP_1)
	v_mul_lo_u32 v3, v3, s15
	v_sub_nc_u32_e32 v5, v2, v3
	s_delay_alu instid0(VALU_DEP_1) | instskip(NEXT) | instid1(VALU_DEP_1)
	v_mad_u64_u32 v[2:3], null, v5, s10, v[0:1]
	v_mad_u64_u32 v[3:4], null, v5, s11, v[1:2]
	s_delay_alu instid0(VALU_DEP_1)
	v_dual_mov_b32 v0, v2 :: v_dual_mov_b32 v1, v3
.LBB281_809:
	v_cmp_lt_i16_e64 s2, s33, 11
	s_delay_alu instid0(VALU_DEP_2) | instskip(NEXT) | instid1(VALU_DEP_1)
	v_add_co_u32 v1, s3, s6, v1
	v_add_co_ci_u32_e64 v2, null, s7, 0, s3
	s_delay_alu instid0(VALU_DEP_3)
	s_and_b32 vcc_lo, exec_lo, s2
	s_mov_b32 s6, 0
	s_cbranch_vccnz .LBB281_816
; %bb.810:
	v_cmp_gt_i16_e64 s2, s33, 25
	s_mov_b32 s3, 0
	s_delay_alu instid0(VALU_DEP_1)
	s_and_b32 vcc_lo, exec_lo, s2
	s_cbranch_vccz .LBB281_817
; %bb.811:
	v_cmp_gt_i16_e64 s2, s33, 28
	s_delay_alu instid0(VALU_DEP_1)
	s_and_b32 vcc_lo, exec_lo, s2
	s_cbranch_vccz .LBB281_818
; %bb.812:
	v_cmp_gt_i16_e64 s2, s33, 43
	;; [unrolled: 5-line block ×3, first 2 shown]
	s_delay_alu instid0(VALU_DEP_1)
	s_and_b32 vcc_lo, exec_lo, s2
	s_cbranch_vccz .LBB281_822
; %bb.814:
	v_cmp_eq_u16_e64 s2, s33, 46
	s_mov_b32 s7, 0
	s_delay_alu instid0(VALU_DEP_1)
	s_and_b32 vcc_lo, exec_lo, s2
	s_cbranch_vccz .LBB281_825
; %bb.815:
	global_load_b32 v3, v[1:2], off
	s_mov_b32 s2, 0
	s_mov_b32 s6, -1
	s_waitcnt vmcnt(0)
	v_lshlrev_b32_e32 v3, 16, v3
	s_delay_alu instid0(VALU_DEP_1) | instskip(NEXT) | instid1(VALU_DEP_1)
	v_trunc_f32_e32 v3, v3
	v_mul_f32_e64 v4, 0x2f800000, |v3|
	s_delay_alu instid0(VALU_DEP_1) | instskip(NEXT) | instid1(VALU_DEP_1)
	v_floor_f32_e32 v4, v4
	v_fma_f32 v4, 0xcf800000, v4, |v3|
	v_ashrrev_i32_e32 v3, 31, v3
	s_delay_alu instid0(VALU_DEP_2) | instskip(NEXT) | instid1(VALU_DEP_1)
	v_cvt_u32_f32_e32 v4, v4
	v_xor_b32_e32 v4, v4, v3
	s_delay_alu instid0(VALU_DEP_1)
	v_sub_nc_u32_e32 v3, v4, v3
	s_branch .LBB281_827
.LBB281_816:
	s_mov_b32 s7, -1
	s_mov_b32 s3, 0
	s_mov_b32 s2, s22
                                        ; implicit-def: $vgpr3
	s_branch .LBB281_886
.LBB281_817:
	s_mov_b32 s7, -1
	s_mov_b32 s2, s22
                                        ; implicit-def: $vgpr3
	s_branch .LBB281_854
.LBB281_818:
	s_mov_b32 s7, -1
	s_mov_b32 s2, s22
                                        ; implicit-def: $vgpr3
	s_branch .LBB281_837
.LBB281_819:
	s_mov_b32 s7, -1
	s_mov_b32 s2, s22
                                        ; implicit-def: $vgpr3
	s_branch .LBB281_832
.LBB281_820:
	s_or_saveexec_b32 s45, s45
                                        ; implicit-def: $sgpr46
	s_delay_alu instid0(SALU_CYCLE_1)
	s_xor_b32 exec_lo, exec_lo, s45
	s_cbranch_execz .LBB281_743
.LBB281_821:
	v_add_f32_e32 v4, 0x46000000, v6
	s_and_not1_b32 s23, s23, exec_lo
	s_mov_b32 s46, 0
	s_delay_alu instid0(VALU_DEP_1) | instskip(NEXT) | instid1(VALU_DEP_1)
	v_and_b32_e32 v4, 0xff, v4
	v_cmp_ne_u32_e32 vcc_lo, 0, v4
	s_and_b32 s47, vcc_lo, exec_lo
	s_delay_alu instid0(SALU_CYCLE_1)
	s_or_b32 s23, s23, s47
	s_or_b32 exec_lo, exec_lo, s45
	v_mov_b32_e32 v7, s46
	s_and_saveexec_b32 s45, s23
	s_cbranch_execnz .LBB281_744
	s_branch .LBB281_745
.LBB281_822:
	s_mov_b32 s7, -1
	s_mov_b32 s2, s22
	s_branch .LBB281_826
.LBB281_823:
	s_or_saveexec_b32 s45, s45
                                        ; implicit-def: $sgpr46
	s_delay_alu instid0(SALU_CYCLE_1)
	s_xor_b32 exec_lo, exec_lo, s45
	s_cbranch_execz .LBB281_756
.LBB281_824:
	v_add_f32_e32 v4, 0x42800000, v6
	s_and_not1_b32 s23, s23, exec_lo
	s_mov_b32 s46, 0
	s_delay_alu instid0(VALU_DEP_1) | instskip(NEXT) | instid1(VALU_DEP_1)
	v_and_b32_e32 v4, 0xff, v4
	v_cmp_ne_u32_e32 vcc_lo, 0, v4
	s_and_b32 s47, vcc_lo, exec_lo
	s_delay_alu instid0(SALU_CYCLE_1)
	s_or_b32 s23, s23, s47
	s_or_b32 exec_lo, exec_lo, s45
	v_mov_b32_e32 v7, s46
	s_and_saveexec_b32 s45, s23
	s_cbranch_execnz .LBB281_757
	s_branch .LBB281_758
.LBB281_825:
	s_mov_b32 s2, -1
.LBB281_826:
                                        ; implicit-def: $vgpr3
.LBB281_827:
	s_and_b32 vcc_lo, exec_lo, s7
	s_cbranch_vccz .LBB281_831
; %bb.828:
	v_cmp_eq_u16_e64 s2, s33, 44
	s_delay_alu instid0(VALU_DEP_1)
	s_and_b32 vcc_lo, exec_lo, s2
	s_cbranch_vccz .LBB281_830
; %bb.829:
	global_load_u8 v3, v[1:2], off
	s_mov_b32 s2, 0
	s_mov_b32 s6, -1
	s_waitcnt vmcnt(0)
	v_lshlrev_b32_e32 v4, 23, v3
	v_cmp_ne_u32_e32 vcc_lo, 0, v3
	s_delay_alu instid0(VALU_DEP_2) | instskip(NEXT) | instid1(VALU_DEP_1)
	v_trunc_f32_e32 v4, v4
	v_mul_f32_e64 v5, 0x2f800000, |v4|
	s_delay_alu instid0(VALU_DEP_1) | instskip(NEXT) | instid1(VALU_DEP_1)
	v_floor_f32_e32 v5, v5
	v_fma_f32 v5, 0xcf800000, v5, |v4|
	v_ashrrev_i32_e32 v4, 31, v4
	s_delay_alu instid0(VALU_DEP_2) | instskip(NEXT) | instid1(VALU_DEP_1)
	v_cvt_u32_f32_e32 v5, v5
	v_xor_b32_e32 v5, v5, v4
	s_delay_alu instid0(VALU_DEP_1) | instskip(NEXT) | instid1(VALU_DEP_1)
	v_sub_nc_u32_e32 v4, v5, v4
	v_cndmask_b32_e32 v3, 0, v4, vcc_lo
	s_branch .LBB281_831
.LBB281_830:
	s_mov_b32 s2, -1
                                        ; implicit-def: $vgpr3
.LBB281_831:
	s_mov_b32 s7, 0
.LBB281_832:
	s_delay_alu instid0(SALU_CYCLE_1)
	s_and_b32 vcc_lo, exec_lo, s7
	s_cbranch_vccz .LBB281_836
; %bb.833:
	v_cmp_eq_u16_e64 s2, s33, 29
	s_delay_alu instid0(VALU_DEP_1)
	s_and_b32 vcc_lo, exec_lo, s2
	s_cbranch_vccz .LBB281_835
; %bb.834:
	global_load_b64 v[3:4], v[1:2], off
	s_mov_b32 s2, 0
	s_mov_b32 s6, -1
	s_branch .LBB281_836
.LBB281_835:
	s_mov_b32 s2, -1
                                        ; implicit-def: $vgpr3
.LBB281_836:
	s_mov_b32 s7, 0
.LBB281_837:
	s_delay_alu instid0(SALU_CYCLE_1)
	s_and_b32 vcc_lo, exec_lo, s7
	s_cbranch_vccz .LBB281_853
; %bb.838:
	v_cmp_lt_i16_e64 s6, s33, 27
	s_delay_alu instid0(VALU_DEP_1)
	s_and_b32 vcc_lo, exec_lo, s6
	s_cbranch_vccnz .LBB281_841
; %bb.839:
	v_cmp_gt_i16_e64 s6, s33, 27
	s_delay_alu instid0(VALU_DEP_1)
	s_and_b32 vcc_lo, exec_lo, s6
	s_cbranch_vccz .LBB281_842
; %bb.840:
	global_load_b32 v3, v[1:2], off
	s_mov_b32 s6, 0
	s_branch .LBB281_843
.LBB281_841:
	s_mov_b32 s6, -1
                                        ; implicit-def: $vgpr3
	s_branch .LBB281_846
.LBB281_842:
	s_mov_b32 s6, -1
                                        ; implicit-def: $vgpr3
.LBB281_843:
	s_delay_alu instid0(SALU_CYCLE_1)
	s_and_not1_b32 vcc_lo, exec_lo, s6
	s_cbranch_vccnz .LBB281_845
; %bb.844:
	global_load_u16 v3, v[1:2], off
.LBB281_845:
	s_mov_b32 s6, 0
.LBB281_846:
	s_delay_alu instid0(SALU_CYCLE_1)
	s_and_not1_b32 vcc_lo, exec_lo, s6
	s_cbranch_vccnz .LBB281_852
; %bb.847:
	global_load_u8 v4, v[1:2], off
	s_mov_b32 s7, 0
	s_mov_b32 s6, exec_lo
                                        ; implicit-def: $sgpr8
	s_waitcnt vmcnt(0)
	v_cmpx_lt_i16_e32 0x7f, v4
	s_xor_b32 s6, exec_lo, s6
	s_cbranch_execz .LBB281_864
; %bb.848:
	v_cmp_ne_u16_e32 vcc_lo, 0x80, v4
	s_mov_b32 s8, 0
	s_and_b32 s7, vcc_lo, exec_lo
	s_or_saveexec_b32 s6, s6
	v_mov_b32_e32 v3, s8
	s_xor_b32 exec_lo, exec_lo, s6
	s_cbranch_execnz .LBB281_865
.LBB281_849:
	s_or_b32 exec_lo, exec_lo, s6
	s_and_saveexec_b32 s6, s7
	s_cbranch_execz .LBB281_851
.LBB281_850:
	v_and_b32_e32 v3, 0xffff, v4
	s_delay_alu instid0(VALU_DEP_1) | instskip(NEXT) | instid1(VALU_DEP_1)
	v_and_b32_e32 v5, 7, v3
	v_clz_i32_u32_e32 v6, v5
	s_delay_alu instid0(VALU_DEP_1) | instskip(NEXT) | instid1(VALU_DEP_1)
	v_min_u32_e32 v6, 32, v6
	v_subrev_nc_u32_e32 v7, 28, v6
	v_sub_nc_u32_e32 v6, 29, v6
	s_delay_alu instid0(VALU_DEP_2) | instskip(SKIP_1) | instid1(VALU_DEP_2)
	v_lshlrev_b32_e32 v7, v7, v3
	v_bfe_u32 v3, v3, 3, 4
	v_and_b32_e32 v7, 7, v7
	s_delay_alu instid0(VALU_DEP_2) | instskip(SKIP_1) | instid1(VALU_DEP_1)
	v_cmp_eq_u32_e32 vcc_lo, 0, v3
	v_dual_cndmask_b32 v3, v3, v6 :: v_dual_lshlrev_b32 v4, 24, v4
	v_dual_cndmask_b32 v5, v5, v7 :: v_dual_and_b32 v4, 0x80000000, v4
	s_delay_alu instid0(VALU_DEP_2) | instskip(NEXT) | instid1(VALU_DEP_2)
	v_lshl_add_u32 v3, v3, 23, 0x3b800000
	v_lshlrev_b32_e32 v5, 20, v5
	s_delay_alu instid0(VALU_DEP_1) | instskip(NEXT) | instid1(VALU_DEP_1)
	v_or3_b32 v3, v4, v3, v5
	v_trunc_f32_e32 v3, v3
	s_delay_alu instid0(VALU_DEP_1) | instskip(NEXT) | instid1(VALU_DEP_1)
	v_mul_f32_e64 v4, 0x2f800000, |v3|
	v_floor_f32_e32 v4, v4
	s_delay_alu instid0(VALU_DEP_1) | instskip(SKIP_1) | instid1(VALU_DEP_2)
	v_fma_f32 v4, 0xcf800000, v4, |v3|
	v_ashrrev_i32_e32 v3, 31, v3
	v_cvt_u32_f32_e32 v4, v4
	s_delay_alu instid0(VALU_DEP_1) | instskip(NEXT) | instid1(VALU_DEP_1)
	v_xor_b32_e32 v4, v4, v3
	v_sub_nc_u32_e32 v3, v4, v3
.LBB281_851:
	s_or_b32 exec_lo, exec_lo, s6
.LBB281_852:
	s_mov_b32 s6, -1
.LBB281_853:
	s_mov_b32 s7, 0
.LBB281_854:
	s_delay_alu instid0(SALU_CYCLE_1)
	s_and_b32 vcc_lo, exec_lo, s7
	s_cbranch_vccz .LBB281_885
; %bb.855:
	v_cmp_gt_i16_e64 s3, s33, 22
	s_delay_alu instid0(VALU_DEP_1)
	s_and_b32 vcc_lo, exec_lo, s3
	s_cbranch_vccz .LBB281_863
; %bb.856:
	v_cmp_lt_i16_e64 s3, s33, 24
	s_delay_alu instid0(VALU_DEP_1)
	s_and_b32 vcc_lo, exec_lo, s3
	s_cbranch_vccnz .LBB281_866
; %bb.857:
	v_cmp_gt_i16_e64 s3, s33, 24
	s_delay_alu instid0(VALU_DEP_1)
	s_and_b32 vcc_lo, exec_lo, s3
	s_cbranch_vccz .LBB281_867
; %bb.858:
	global_load_u8 v4, v[1:2], off
	s_mov_b32 s6, 0
	s_mov_b32 s3, exec_lo
                                        ; implicit-def: $sgpr7
	s_waitcnt vmcnt(0)
	v_cmpx_lt_i16_e32 0x7f, v4
	s_xor_b32 s3, exec_lo, s3
	s_cbranch_execz .LBB281_879
; %bb.859:
	v_cmp_ne_u16_e32 vcc_lo, 0x80, v4
	s_mov_b32 s7, 0
	s_and_b32 s6, vcc_lo, exec_lo
	s_or_saveexec_b32 s3, s3
	v_mov_b32_e32 v3, s7
	s_xor_b32 exec_lo, exec_lo, s3
	s_cbranch_execnz .LBB281_880
.LBB281_860:
	s_or_b32 exec_lo, exec_lo, s3
	s_and_saveexec_b32 s3, s6
	s_cbranch_execz .LBB281_862
.LBB281_861:
	v_and_b32_e32 v3, 0xffff, v4
	s_delay_alu instid0(VALU_DEP_1) | instskip(NEXT) | instid1(VALU_DEP_1)
	v_and_b32_e32 v5, 3, v3
	v_clz_i32_u32_e32 v6, v5
	s_delay_alu instid0(VALU_DEP_1) | instskip(NEXT) | instid1(VALU_DEP_1)
	v_min_u32_e32 v6, 32, v6
	v_subrev_nc_u32_e32 v7, 29, v6
	v_sub_nc_u32_e32 v6, 30, v6
	s_delay_alu instid0(VALU_DEP_2) | instskip(SKIP_1) | instid1(VALU_DEP_2)
	v_lshlrev_b32_e32 v7, v7, v3
	v_bfe_u32 v3, v3, 2, 5
	v_and_b32_e32 v7, 3, v7
	s_delay_alu instid0(VALU_DEP_2) | instskip(SKIP_1) | instid1(VALU_DEP_1)
	v_cmp_eq_u32_e32 vcc_lo, 0, v3
	v_dual_cndmask_b32 v3, v3, v6 :: v_dual_lshlrev_b32 v4, 24, v4
	v_dual_cndmask_b32 v5, v5, v7 :: v_dual_and_b32 v4, 0x80000000, v4
	s_delay_alu instid0(VALU_DEP_2) | instskip(NEXT) | instid1(VALU_DEP_2)
	v_lshl_add_u32 v3, v3, 23, 0x37800000
	v_lshlrev_b32_e32 v5, 21, v5
	s_delay_alu instid0(VALU_DEP_1) | instskip(NEXT) | instid1(VALU_DEP_1)
	v_or3_b32 v3, v4, v3, v5
	v_trunc_f32_e32 v3, v3
	s_delay_alu instid0(VALU_DEP_1) | instskip(NEXT) | instid1(VALU_DEP_1)
	v_mul_f32_e64 v4, 0x2f800000, |v3|
	v_floor_f32_e32 v4, v4
	s_delay_alu instid0(VALU_DEP_1) | instskip(SKIP_1) | instid1(VALU_DEP_2)
	v_fma_f32 v4, 0xcf800000, v4, |v3|
	v_ashrrev_i32_e32 v3, 31, v3
	v_cvt_u32_f32_e32 v4, v4
	s_delay_alu instid0(VALU_DEP_1) | instskip(NEXT) | instid1(VALU_DEP_1)
	v_xor_b32_e32 v4, v4, v3
	v_sub_nc_u32_e32 v3, v4, v3
.LBB281_862:
	s_or_b32 exec_lo, exec_lo, s3
	s_mov_b32 s3, 0
	s_branch .LBB281_868
.LBB281_863:
	s_mov_b32 s3, -1
                                        ; implicit-def: $vgpr3
	s_branch .LBB281_874
.LBB281_864:
	s_or_saveexec_b32 s6, s6
	v_mov_b32_e32 v3, s8
	s_xor_b32 exec_lo, exec_lo, s6
	s_cbranch_execz .LBB281_849
.LBB281_865:
	v_cmp_ne_u16_e32 vcc_lo, 0, v4
	v_mov_b32_e32 v3, 0
	s_and_not1_b32 s7, s7, exec_lo
	s_and_b32 s8, vcc_lo, exec_lo
	s_delay_alu instid0(SALU_CYCLE_1)
	s_or_b32 s7, s7, s8
	s_or_b32 exec_lo, exec_lo, s6
	s_and_saveexec_b32 s6, s7
	s_cbranch_execnz .LBB281_850
	s_branch .LBB281_851
.LBB281_866:
	s_mov_b32 s3, -1
                                        ; implicit-def: $vgpr3
	s_branch .LBB281_871
.LBB281_867:
	s_mov_b32 s3, -1
                                        ; implicit-def: $vgpr3
.LBB281_868:
	s_delay_alu instid0(SALU_CYCLE_1)
	s_and_b32 vcc_lo, exec_lo, s3
	s_cbranch_vccz .LBB281_870
; %bb.869:
	global_load_u8 v3, v[1:2], off
	s_waitcnt vmcnt(0)
	v_lshlrev_b32_e32 v3, 24, v3
	s_delay_alu instid0(VALU_DEP_1) | instskip(NEXT) | instid1(VALU_DEP_1)
	v_and_b32_e32 v4, 0x7f000000, v3
	v_clz_i32_u32_e32 v5, v4
	v_add_nc_u32_e32 v7, 0x1000000, v4
	v_cmp_ne_u32_e32 vcc_lo, 0, v4
	s_delay_alu instid0(VALU_DEP_3) | instskip(NEXT) | instid1(VALU_DEP_1)
	v_min_u32_e32 v5, 32, v5
	v_sub_nc_u32_e64 v5, v5, 4 clamp
	s_delay_alu instid0(VALU_DEP_1) | instskip(SKIP_1) | instid1(VALU_DEP_2)
	v_lshlrev_b32_e32 v6, v5, v4
	v_lshlrev_b32_e32 v5, 23, v5
	v_lshrrev_b32_e32 v6, 4, v6
	s_delay_alu instid0(VALU_DEP_1) | instskip(SKIP_1) | instid1(VALU_DEP_2)
	v_sub_nc_u32_e32 v5, v6, v5
	v_ashrrev_i32_e32 v6, 8, v7
	v_add_nc_u32_e32 v5, 0x3c000000, v5
	s_delay_alu instid0(VALU_DEP_1) | instskip(NEXT) | instid1(VALU_DEP_1)
	v_and_or_b32 v5, 0x7f800000, v6, v5
	v_cndmask_b32_e32 v4, 0, v5, vcc_lo
	s_delay_alu instid0(VALU_DEP_1) | instskip(NEXT) | instid1(VALU_DEP_1)
	v_and_or_b32 v3, 0x80000000, v3, v4
	v_trunc_f32_e32 v3, v3
	s_delay_alu instid0(VALU_DEP_1) | instskip(NEXT) | instid1(VALU_DEP_1)
	v_mul_f32_e64 v4, 0x2f800000, |v3|
	v_floor_f32_e32 v4, v4
	s_delay_alu instid0(VALU_DEP_1) | instskip(SKIP_1) | instid1(VALU_DEP_2)
	v_fma_f32 v4, 0xcf800000, v4, |v3|
	v_ashrrev_i32_e32 v3, 31, v3
	v_cvt_u32_f32_e32 v4, v4
	s_delay_alu instid0(VALU_DEP_1) | instskip(NEXT) | instid1(VALU_DEP_1)
	v_xor_b32_e32 v4, v4, v3
	v_sub_nc_u32_e32 v3, v4, v3
.LBB281_870:
	s_mov_b32 s3, 0
.LBB281_871:
	s_delay_alu instid0(SALU_CYCLE_1)
	s_and_not1_b32 vcc_lo, exec_lo, s3
	s_cbranch_vccnz .LBB281_873
; %bb.872:
	global_load_u8 v3, v[1:2], off
	s_waitcnt vmcnt(0)
	v_lshlrev_b32_e32 v4, 25, v3
	v_lshlrev_b16 v3, 8, v3
	s_delay_alu instid0(VALU_DEP_2) | instskip(NEXT) | instid1(VALU_DEP_2)
	v_lshrrev_b32_e32 v5, 4, v4
	v_and_or_b32 v6, 0x7f00, v3, 0.5
	v_bfe_i32 v3, v3, 0, 16
	s_delay_alu instid0(VALU_DEP_3) | instskip(NEXT) | instid1(VALU_DEP_1)
	v_or_b32_e32 v5, 0x70000000, v5
	v_dual_add_f32 v6, -0.5, v6 :: v_dual_mul_f32 v5, 0x7800000, v5
	v_cmp_gt_u32_e32 vcc_lo, 0x8000000, v4
	s_delay_alu instid0(VALU_DEP_2) | instskip(NEXT) | instid1(VALU_DEP_1)
	v_cndmask_b32_e32 v4, v5, v6, vcc_lo
	v_and_or_b32 v3, 0x80000000, v3, v4
	s_delay_alu instid0(VALU_DEP_1) | instskip(NEXT) | instid1(VALU_DEP_1)
	v_trunc_f32_e32 v3, v3
	v_mul_f32_e64 v4, 0x2f800000, |v3|
	s_delay_alu instid0(VALU_DEP_1) | instskip(NEXT) | instid1(VALU_DEP_1)
	v_floor_f32_e32 v4, v4
	v_fma_f32 v4, 0xcf800000, v4, |v3|
	v_ashrrev_i32_e32 v3, 31, v3
	s_delay_alu instid0(VALU_DEP_2) | instskip(NEXT) | instid1(VALU_DEP_1)
	v_cvt_u32_f32_e32 v4, v4
	v_xor_b32_e32 v4, v4, v3
	s_delay_alu instid0(VALU_DEP_1)
	v_sub_nc_u32_e32 v3, v4, v3
.LBB281_873:
	s_mov_b32 s3, 0
	s_mov_b32 s6, -1
.LBB281_874:
	s_and_not1_b32 vcc_lo, exec_lo, s3
	s_mov_b32 s3, 0
	s_cbranch_vccnz .LBB281_885
; %bb.875:
	v_cmp_gt_i16_e64 s3, s33, 14
	s_delay_alu instid0(VALU_DEP_1)
	s_and_b32 vcc_lo, exec_lo, s3
	s_cbranch_vccz .LBB281_878
; %bb.876:
	v_cmp_eq_u16_e64 s2, s33, 15
	s_delay_alu instid0(VALU_DEP_1)
	s_and_b32 vcc_lo, exec_lo, s2
	s_cbranch_vccz .LBB281_881
; %bb.877:
	global_load_u16 v3, v[1:2], off
	s_mov_b32 s2, 0
	s_mov_b32 s6, -1
	s_waitcnt vmcnt(0)
	v_lshlrev_b32_e32 v3, 16, v3
	s_delay_alu instid0(VALU_DEP_1) | instskip(NEXT) | instid1(VALU_DEP_1)
	v_trunc_f32_e32 v3, v3
	v_mul_f32_e64 v4, 0x2f800000, |v3|
	s_delay_alu instid0(VALU_DEP_1) | instskip(NEXT) | instid1(VALU_DEP_1)
	v_floor_f32_e32 v4, v4
	v_fma_f32 v4, 0xcf800000, v4, |v3|
	v_ashrrev_i32_e32 v3, 31, v3
	s_delay_alu instid0(VALU_DEP_2) | instskip(NEXT) | instid1(VALU_DEP_1)
	v_cvt_u32_f32_e32 v4, v4
	v_xor_b32_e32 v4, v4, v3
	s_delay_alu instid0(VALU_DEP_1)
	v_sub_nc_u32_e32 v3, v4, v3
	s_branch .LBB281_882
.LBB281_878:
	s_mov_b32 s3, -1
                                        ; implicit-def: $vgpr3
	s_branch .LBB281_883
.LBB281_879:
	s_or_saveexec_b32 s3, s3
	v_mov_b32_e32 v3, s7
	s_xor_b32 exec_lo, exec_lo, s3
	s_cbranch_execz .LBB281_860
.LBB281_880:
	v_cmp_ne_u16_e32 vcc_lo, 0, v4
	v_mov_b32_e32 v3, 0
	s_and_not1_b32 s6, s6, exec_lo
	s_and_b32 s7, vcc_lo, exec_lo
	s_delay_alu instid0(SALU_CYCLE_1)
	s_or_b32 s6, s6, s7
	s_or_b32 exec_lo, exec_lo, s3
	s_and_saveexec_b32 s3, s6
	s_cbranch_execnz .LBB281_861
	s_branch .LBB281_862
.LBB281_881:
	s_mov_b32 s2, -1
                                        ; implicit-def: $vgpr3
.LBB281_882:
	s_mov_b32 s3, 0
.LBB281_883:
	s_delay_alu instid0(SALU_CYCLE_1)
	s_and_b32 vcc_lo, exec_lo, s3
	s_mov_b32 s3, 0
	s_cbranch_vccz .LBB281_885
; %bb.884:
	v_cmp_ne_u16_e64 s3, s33, 11
	s_and_not1_b32 s2, s2, exec_lo
                                        ; implicit-def: $vgpr3
	s_delay_alu instid0(VALU_DEP_1)
	s_and_b32 s7, s3, exec_lo
	s_mov_b32 s3, -1
	s_or_b32 s2, s2, s7
.LBB281_885:
	s_mov_b32 s7, 0
.LBB281_886:
	s_and_b32 s45, s6, exec_lo
	s_and_b32 s46, s7, exec_lo
	s_and_not1_b32 s6, s22, exec_lo
	s_and_b32 s7, s2, exec_lo
	s_and_b32 s2, s3, exec_lo
	s_or_b32 s47, s6, s7
.LBB281_887:
	s_or_b32 exec_lo, exec_lo, s35
	s_delay_alu instid0(SALU_CYCLE_1)
	s_and_not1_b32 s6, s22, exec_lo
	s_and_b32 s7, s47, exec_lo
	s_and_b32 s45, s45, exec_lo
	;; [unrolled: 1-line block ×4, first 2 shown]
	s_or_b32 s22, s6, s7
.LBB281_888:
	s_or_b32 exec_lo, exec_lo, s44
	s_delay_alu instid0(SALU_CYCLE_1)
	s_and_not1_b32 s6, s42, exec_lo
	s_and_b32 s7, s23, exec_lo
	s_and_b32 s44, s45, exec_lo
	s_or_b32 s42, s6, s7
	s_and_not1_b32 s6, s41, exec_lo
	s_and_b32 s7, s22, exec_lo
	s_and_b32 s23, s3, exec_lo
	;; [unrolled: 1-line block ×3, first 2 shown]
	s_or_b32 s41, s6, s7
.LBB281_889:
	s_or_b32 exec_lo, exec_lo, s43
	s_delay_alu instid0(SALU_CYCLE_1)
	s_and_not1_b32 s2, s38, exec_lo
	s_and_b32 s6, s42, exec_lo
	s_and_b32 s7, s41, exec_lo
	s_or_b32 s38, s2, s6
	s_and_not1_b32 s6, s39, exec_lo
	s_and_b32 s2, s44, exec_lo
	s_and_b32 s22, s23, exec_lo
	;; [unrolled: 1-line block ×3, first 2 shown]
	s_or_b32 s39, s6, s7
.LBB281_890:
	s_or_b32 exec_lo, exec_lo, s40
	s_mov_b32 s3, 0
	s_and_saveexec_b32 s6, s39
	s_cbranch_execnz .LBB281_902
; %bb.891:
	s_or_b32 exec_lo, exec_lo, s6
	s_and_saveexec_b32 s6, s41
	s_delay_alu instid0(SALU_CYCLE_1)
	s_xor_b32 s6, exec_lo, s6
	s_cbranch_execz .LBB281_893
.LBB281_892:
	global_load_u8 v3, v[1:2], off
	s_or_b32 s2, s2, exec_lo
	s_waitcnt vmcnt(0)
	v_cmp_ne_u16_e32 vcc_lo, 0, v3
	v_cndmask_b32_e64 v3, 0, 1, vcc_lo
.LBB281_893:
	s_or_b32 exec_lo, exec_lo, s6
	s_and_saveexec_b32 s6, s22
	s_cbranch_execz .LBB281_941
; %bb.894:
	v_cmp_lt_i16_e64 s7, s33, 5
	s_delay_alu instid0(VALU_DEP_1)
	s_and_b32 vcc_lo, exec_lo, s7
	s_cbranch_vccnz .LBB281_899
; %bb.895:
	v_cmp_lt_i16_e64 s7, s33, 8
	s_delay_alu instid0(VALU_DEP_1)
	s_and_b32 vcc_lo, exec_lo, s7
	s_cbranch_vccnz .LBB281_900
	;; [unrolled: 5-line block ×3, first 2 shown]
; %bb.897:
	v_cmp_gt_i16_e64 s7, s33, 9
	s_delay_alu instid0(VALU_DEP_1)
	s_and_b32 vcc_lo, exec_lo, s7
	s_cbranch_vccz .LBB281_904
; %bb.898:
	global_load_b64 v[3:4], v[1:2], off
	s_mov_b32 s7, 0
	s_waitcnt vmcnt(0)
	v_trunc_f64_e32 v[3:4], v[3:4]
	s_delay_alu instid0(VALU_DEP_1) | instskip(NEXT) | instid1(VALU_DEP_1)
	v_ldexp_f64 v[5:6], v[3:4], 0xffffffe0
	v_floor_f64_e32 v[5:6], v[5:6]
	s_delay_alu instid0(VALU_DEP_1) | instskip(NEXT) | instid1(VALU_DEP_1)
	v_fma_f64 v[3:4], 0xc1f00000, v[5:6], v[3:4]
	v_cvt_u32_f64_e32 v3, v[3:4]
	s_branch .LBB281_905
.LBB281_899:
                                        ; implicit-def: $vgpr3
	s_branch .LBB281_922
.LBB281_900:
                                        ; implicit-def: $vgpr3
	s_branch .LBB281_911
.LBB281_901:
	s_mov_b32 s7, -1
                                        ; implicit-def: $vgpr3
	s_branch .LBB281_908
.LBB281_902:
	s_cbranch_execnz .LBB281_1172
; %bb.903:
	s_mov_b32 s3, exec_lo
	s_and_not1_b32 s41, s41, exec_lo
                                        ; implicit-def: $vgpr3
	s_or_b32 exec_lo, exec_lo, s6
	s_and_saveexec_b32 s6, s41
	s_delay_alu instid0(SALU_CYCLE_1)
	s_xor_b32 s6, exec_lo, s6
	s_cbranch_execnz .LBB281_892
	s_branch .LBB281_893
.LBB281_904:
	s_mov_b32 s7, -1
                                        ; implicit-def: $vgpr3
.LBB281_905:
	s_delay_alu instid0(SALU_CYCLE_1)
	s_and_not1_b32 vcc_lo, exec_lo, s7
	s_cbranch_vccnz .LBB281_907
; %bb.906:
	global_load_b32 v3, v[1:2], off
	s_waitcnt vmcnt(0)
	v_trunc_f32_e32 v3, v3
	s_delay_alu instid0(VALU_DEP_1) | instskip(NEXT) | instid1(VALU_DEP_1)
	v_mul_f32_e64 v4, 0x2f800000, |v3|
	v_floor_f32_e32 v4, v4
	s_delay_alu instid0(VALU_DEP_1) | instskip(SKIP_1) | instid1(VALU_DEP_2)
	v_fma_f32 v4, 0xcf800000, v4, |v3|
	v_ashrrev_i32_e32 v3, 31, v3
	v_cvt_u32_f32_e32 v4, v4
	s_delay_alu instid0(VALU_DEP_1) | instskip(NEXT) | instid1(VALU_DEP_1)
	v_xor_b32_e32 v4, v4, v3
	v_sub_nc_u32_e32 v3, v4, v3
.LBB281_907:
	s_mov_b32 s7, 0
.LBB281_908:
	s_delay_alu instid0(SALU_CYCLE_1)
	s_and_not1_b32 vcc_lo, exec_lo, s7
	s_cbranch_vccnz .LBB281_910
; %bb.909:
	global_load_b32 v3, v[1:2], off
	s_waitcnt vmcnt(0)
	v_cvt_f32_f16_e32 v3, v3
	s_delay_alu instid0(VALU_DEP_1)
	v_cvt_i32_f32_e32 v3, v3
.LBB281_910:
	s_cbranch_execnz .LBB281_921
.LBB281_911:
	v_cmp_lt_i16_e64 s7, s33, 6
	s_delay_alu instid0(VALU_DEP_1)
	s_and_b32 vcc_lo, exec_lo, s7
	s_cbranch_vccnz .LBB281_914
; %bb.912:
	v_cmp_gt_i16_e64 s7, s33, 6
	s_delay_alu instid0(VALU_DEP_1)
	s_and_b32 vcc_lo, exec_lo, s7
	s_cbranch_vccz .LBB281_915
; %bb.913:
	global_load_b64 v[3:4], v[1:2], off
	s_mov_b32 s7, 0
	s_waitcnt vmcnt(0)
	v_trunc_f64_e32 v[3:4], v[3:4]
	s_delay_alu instid0(VALU_DEP_1) | instskip(NEXT) | instid1(VALU_DEP_1)
	v_ldexp_f64 v[5:6], v[3:4], 0xffffffe0
	v_floor_f64_e32 v[5:6], v[5:6]
	s_delay_alu instid0(VALU_DEP_1) | instskip(NEXT) | instid1(VALU_DEP_1)
	v_fma_f64 v[3:4], 0xc1f00000, v[5:6], v[3:4]
	v_cvt_u32_f64_e32 v3, v[3:4]
	s_branch .LBB281_916
.LBB281_914:
	s_mov_b32 s7, -1
                                        ; implicit-def: $vgpr3
	s_branch .LBB281_919
.LBB281_915:
	s_mov_b32 s7, -1
                                        ; implicit-def: $vgpr3
.LBB281_916:
	s_delay_alu instid0(SALU_CYCLE_1)
	s_and_not1_b32 vcc_lo, exec_lo, s7
	s_cbranch_vccnz .LBB281_918
; %bb.917:
	global_load_b32 v3, v[1:2], off
	s_waitcnt vmcnt(0)
	v_trunc_f32_e32 v3, v3
	s_delay_alu instid0(VALU_DEP_1) | instskip(NEXT) | instid1(VALU_DEP_1)
	v_mul_f32_e64 v4, 0x2f800000, |v3|
	v_floor_f32_e32 v4, v4
	s_delay_alu instid0(VALU_DEP_1) | instskip(SKIP_1) | instid1(VALU_DEP_2)
	v_fma_f32 v4, 0xcf800000, v4, |v3|
	v_ashrrev_i32_e32 v3, 31, v3
	v_cvt_u32_f32_e32 v4, v4
	s_delay_alu instid0(VALU_DEP_1) | instskip(NEXT) | instid1(VALU_DEP_1)
	v_xor_b32_e32 v4, v4, v3
	v_sub_nc_u32_e32 v3, v4, v3
.LBB281_918:
	s_mov_b32 s7, 0
.LBB281_919:
	s_delay_alu instid0(SALU_CYCLE_1)
	s_and_not1_b32 vcc_lo, exec_lo, s7
	s_cbranch_vccnz .LBB281_921
; %bb.920:
	global_load_u16 v3, v[1:2], off
	s_waitcnt vmcnt(0)
	v_cvt_f32_f16_e32 v3, v3
	s_delay_alu instid0(VALU_DEP_1)
	v_cvt_i32_f32_e32 v3, v3
.LBB281_921:
	s_cbranch_execnz .LBB281_940
.LBB281_922:
	v_cmp_lt_i16_e64 s7, s33, 2
	s_delay_alu instid0(VALU_DEP_1)
	s_and_b32 vcc_lo, exec_lo, s7
	s_cbranch_vccnz .LBB281_926
; %bb.923:
	v_cmp_lt_i16_e64 s7, s33, 3
	s_delay_alu instid0(VALU_DEP_1)
	s_and_b32 vcc_lo, exec_lo, s7
	s_cbranch_vccnz .LBB281_927
; %bb.924:
	v_cmp_gt_i16_e64 s7, s33, 3
	s_delay_alu instid0(VALU_DEP_1)
	s_and_b32 vcc_lo, exec_lo, s7
	s_cbranch_vccz .LBB281_928
; %bb.925:
	global_load_b64 v[3:4], v[1:2], off
	s_mov_b32 s7, 0
	s_branch .LBB281_929
.LBB281_926:
                                        ; implicit-def: $vgpr3
	s_branch .LBB281_935
.LBB281_927:
	s_mov_b32 s7, -1
                                        ; implicit-def: $vgpr3
	s_branch .LBB281_932
.LBB281_928:
	s_mov_b32 s7, -1
                                        ; implicit-def: $vgpr3
.LBB281_929:
	s_delay_alu instid0(SALU_CYCLE_1)
	s_and_not1_b32 vcc_lo, exec_lo, s7
	s_cbranch_vccnz .LBB281_931
; %bb.930:
	global_load_b32 v3, v[1:2], off
.LBB281_931:
	s_mov_b32 s7, 0
.LBB281_932:
	s_delay_alu instid0(SALU_CYCLE_1)
	s_and_not1_b32 vcc_lo, exec_lo, s7
	s_cbranch_vccnz .LBB281_934
; %bb.933:
	global_load_u16 v3, v[1:2], off
.LBB281_934:
	s_cbranch_execnz .LBB281_940
.LBB281_935:
	v_cmp_gt_i16_e64 s7, s33, 0
	s_delay_alu instid0(VALU_DEP_1)
	s_and_b32 vcc_lo, exec_lo, s7
	s_mov_b32 s7, 0
	s_cbranch_vccz .LBB281_937
; %bb.936:
	global_load_u8 v3, v[1:2], off
	s_branch .LBB281_938
.LBB281_937:
	s_mov_b32 s7, -1
                                        ; implicit-def: $vgpr3
.LBB281_938:
	s_delay_alu instid0(SALU_CYCLE_1)
	s_and_not1_b32 vcc_lo, exec_lo, s7
	s_cbranch_vccnz .LBB281_940
; %bb.939:
	global_load_u8 v3, v[1:2], off
.LBB281_940:
	s_or_b32 s2, s2, exec_lo
.LBB281_941:
	s_or_b32 exec_lo, exec_lo, s6
	s_mov_b32 s8, 0
	s_mov_b32 s7, 0
                                        ; implicit-def: $vgpr5
                                        ; implicit-def: $vgpr1_vgpr2
                                        ; implicit-def: $vgpr4
	s_and_saveexec_b32 s6, s2
	s_cbranch_execz .LBB281_1018
; %bb.942:
	v_and_b32_e64 v1, 0xff, s29
	s_waitcnt vmcnt(0)
	s_delay_alu instid0(VALU_DEP_2) | instskip(SKIP_2) | instid1(VALU_DEP_3)
	v_and_b32_e32 v2, 0xff, v3
	v_and_b32_e64 v3, 0xff, s31
	v_and_b32_e64 v5, 0xff, s30
	v_max_u16 v1, v2, v1
	s_delay_alu instid0(VALU_DEP_2) | instskip(NEXT) | instid1(VALU_DEP_2)
	v_cmp_gt_i16_e32 vcc_lo, 11, v5
	v_min_u16 v4, v1, v3
	v_add_co_u32 v1, s2, s4, v0
	s_delay_alu instid0(VALU_DEP_1)
	v_add_co_ci_u32_e64 v2, null, s5, 0, s2
	s_mov_b32 s4, -1
	s_mov_b32 s2, s38
	s_cbranch_vccnz .LBB281_1017
; %bb.943:
	v_cmp_lt_i16_e32 vcc_lo, 25, v5
	s_mov_b32 s2, s38
	s_cbranch_vccz .LBB281_976
; %bb.944:
	v_cmp_lt_i16_e32 vcc_lo, 28, v5
	s_mov_b32 s2, s38
	s_cbranch_vccz .LBB281_960
	;; [unrolled: 4-line block ×4, first 2 shown]
; %bb.947:
	v_cmp_eq_u16_e32 vcc_lo, 46, v5
	s_mov_b32 s2, -1
	s_cbranch_vccz .LBB281_949
; %bb.948:
	v_cvt_f32_ubyte0_e32 v0, v4
	s_mov_b32 s2, 0
	s_delay_alu instid0(VALU_DEP_1) | instskip(NEXT) | instid1(VALU_DEP_1)
	v_bfe_u32 v3, v0, 16, 1
	v_add3_u32 v0, v0, v3, 0x7fff
	s_delay_alu instid0(VALU_DEP_1)
	v_lshrrev_b32_e32 v0, 16, v0
	global_store_b32 v[1:2], v0, off
.LBB281_949:
	s_mov_b32 s4, 0
.LBB281_950:
	s_delay_alu instid0(SALU_CYCLE_1)
	s_and_b32 vcc_lo, exec_lo, s4
	s_cbranch_vccz .LBB281_955
; %bb.951:
	v_cmp_eq_u16_e32 vcc_lo, 44, v5
	s_mov_b32 s2, -1
	s_cbranch_vccz .LBB281_955
; %bb.952:
	v_cvt_f32_ubyte0_e32 v6, v4
	v_mov_b32_e32 v3, 0xff
	s_mov_b32 s4, exec_lo
	s_delay_alu instid0(VALU_DEP_2) | instskip(NEXT) | instid1(VALU_DEP_1)
	v_lshrrev_b32_e32 v0, 23, v6
	v_cmpx_ne_u32_e32 0xff, v0
; %bb.953:
	v_and_b32_e32 v3, 0x400000, v6
	v_and_or_b32 v6, 0x3fffff, v6, v0
	s_delay_alu instid0(VALU_DEP_2) | instskip(NEXT) | instid1(VALU_DEP_2)
	v_cmp_ne_u32_e32 vcc_lo, 0, v3
	v_cmp_ne_u32_e64 s2, 0, v6
	s_delay_alu instid0(VALU_DEP_1) | instskip(NEXT) | instid1(SALU_CYCLE_1)
	s_and_b32 s2, vcc_lo, s2
	v_cndmask_b32_e64 v3, 0, 1, s2
	s_delay_alu instid0(VALU_DEP_1)
	v_add_nc_u32_e32 v3, v0, v3
; %bb.954:
	s_or_b32 exec_lo, exec_lo, s4
	s_mov_b32 s2, 0
	global_store_b8 v[1:2], v3, off
.LBB281_955:
	s_mov_b32 s4, 0
.LBB281_956:
	s_delay_alu instid0(SALU_CYCLE_1)
	s_and_b32 vcc_lo, exec_lo, s4
	s_cbranch_vccz .LBB281_959
; %bb.957:
	v_cmp_eq_u16_e32 vcc_lo, 29, v5
	s_mov_b32 s2, -1
	s_cbranch_vccz .LBB281_959
; %bb.958:
	s_mov_b32 s2, 0
	s_delay_alu instid0(SALU_CYCLE_1)
	v_dual_mov_b32 v7, s2 :: v_dual_and_b32 v6, 0xffff, v4
	global_store_b64 v[1:2], v[6:7], off
.LBB281_959:
	s_mov_b32 s4, 0
.LBB281_960:
	s_delay_alu instid0(SALU_CYCLE_1)
	s_and_b32 vcc_lo, exec_lo, s4
	s_cbranch_vccz .LBB281_975
; %bb.961:
	v_cmp_gt_i16_e32 vcc_lo, 27, v5
	s_mov_b32 s4, -1
	s_cbranch_vccnz .LBB281_967
; %bb.962:
	v_cmp_lt_i16_e32 vcc_lo, 27, v5
	s_cbranch_vccz .LBB281_964
; %bb.963:
	v_and_b32_e32 v0, 0xffff, v4
	s_mov_b32 s4, 0
	global_store_b32 v[1:2], v0, off
.LBB281_964:
	s_and_not1_b32 vcc_lo, exec_lo, s4
	s_cbranch_vccnz .LBB281_966
; %bb.965:
	global_store_b16 v[1:2], v4, off
.LBB281_966:
	s_mov_b32 s4, 0
.LBB281_967:
	s_delay_alu instid0(SALU_CYCLE_1)
	s_and_not1_b32 vcc_lo, exec_lo, s4
	s_cbranch_vccnz .LBB281_975
; %bb.968:
	v_cvt_f32_ubyte0_e32 v3, v4
	v_mov_b32_e32 v6, 0x80
	s_mov_b32 s4, exec_lo
	s_delay_alu instid0(VALU_DEP_2)
	v_cmpx_gt_u32_e32 0x43800000, v3
	s_cbranch_execz .LBB281_974
; %bb.969:
	s_mov_b32 s5, 0
	s_mov_b32 s7, exec_lo
                                        ; implicit-def: $vgpr0
	v_cmpx_lt_u32_e32 0x3bffffff, v3
	s_xor_b32 s7, exec_lo, s7
	s_cbranch_execz .LBB281_1258
; %bb.970:
	v_bfe_u32 v0, v3, 20, 1
	s_mov_b32 s5, exec_lo
	s_delay_alu instid0(VALU_DEP_1) | instskip(NEXT) | instid1(VALU_DEP_1)
	v_add3_u32 v0, v3, v0, 0x487ffff
                                        ; implicit-def: $vgpr3
	v_lshrrev_b32_e32 v0, 20, v0
	s_or_saveexec_b32 s7, s7
                                        ; implicit-def: $sgpr8
	s_delay_alu instid0(SALU_CYCLE_1)
	s_xor_b32 exec_lo, exec_lo, s7
	s_cbranch_execnz .LBB281_1259
.LBB281_971:
	s_or_b32 exec_lo, exec_lo, s7
	v_mov_b32_e32 v6, s8
	s_and_saveexec_b32 s7, s5
.LBB281_972:
	v_mov_b32_e32 v6, v0
.LBB281_973:
	s_or_b32 exec_lo, exec_lo, s7
.LBB281_974:
	s_delay_alu instid0(SALU_CYCLE_1)
	s_or_b32 exec_lo, exec_lo, s4
	global_store_b8 v[1:2], v6, off
.LBB281_975:
	s_mov_b32 s4, 0
.LBB281_976:
	s_delay_alu instid0(SALU_CYCLE_1)
	s_and_b32 vcc_lo, exec_lo, s4
	s_mov_b32 s4, 0
	s_cbranch_vccz .LBB281_1016
; %bb.977:
	v_cmp_lt_i16_e32 vcc_lo, 22, v5
	s_mov_b32 s5, -1
	s_cbranch_vccz .LBB281_1009
; %bb.978:
	v_cmp_gt_i16_e32 vcc_lo, 24, v5
	s_cbranch_vccnz .LBB281_998
; %bb.979:
	v_cmp_lt_i16_e32 vcc_lo, 24, v5
	s_cbranch_vccz .LBB281_987
; %bb.980:
	v_cvt_f32_ubyte0_e32 v3, v4
	v_mov_b32_e32 v6, 0x80
	s_mov_b32 s5, exec_lo
	s_delay_alu instid0(VALU_DEP_2)
	v_cmpx_gt_u32_e32 0x47800000, v3
	s_cbranch_execz .LBB281_986
; %bb.981:
	s_mov_b32 s7, 0
	s_mov_b32 s8, exec_lo
                                        ; implicit-def: $vgpr0
	v_cmpx_lt_u32_e32 0x37ffffff, v3
	s_xor_b32 s8, exec_lo, s8
	s_cbranch_execz .LBB281_1302
; %bb.982:
	v_bfe_u32 v0, v3, 21, 1
	s_mov_b32 s7, exec_lo
	s_delay_alu instid0(VALU_DEP_1) | instskip(NEXT) | instid1(VALU_DEP_1)
	v_add3_u32 v0, v3, v0, 0x88fffff
                                        ; implicit-def: $vgpr3
	v_lshrrev_b32_e32 v0, 21, v0
	s_or_saveexec_b32 s8, s8
                                        ; implicit-def: $sgpr9
	s_delay_alu instid0(SALU_CYCLE_1)
	s_xor_b32 exec_lo, exec_lo, s8
	s_cbranch_execnz .LBB281_1303
.LBB281_983:
	s_or_b32 exec_lo, exec_lo, s8
	v_mov_b32_e32 v6, s9
	s_and_saveexec_b32 s8, s7
.LBB281_984:
	v_mov_b32_e32 v6, v0
.LBB281_985:
	s_or_b32 exec_lo, exec_lo, s8
.LBB281_986:
	s_delay_alu instid0(SALU_CYCLE_1)
	s_or_b32 exec_lo, exec_lo, s5
	s_mov_b32 s5, 0
	global_store_b8 v[1:2], v6, off
.LBB281_987:
	s_and_b32 vcc_lo, exec_lo, s5
	s_cbranch_vccz .LBB281_997
; %bb.988:
	v_cvt_f32_ubyte0_e32 v3, v4
	s_mov_b32 s5, exec_lo
                                        ; implicit-def: $vgpr0
	s_delay_alu instid0(VALU_DEP_1)
	v_cmpx_gt_u32_e32 0x43f00000, v3
	s_xor_b32 s5, exec_lo, s5
	s_cbranch_execz .LBB281_994
; %bb.989:
	s_mov_b32 s7, exec_lo
                                        ; implicit-def: $vgpr0
	v_cmpx_lt_u32_e32 0x3c7fffff, v3
	s_xor_b32 s7, exec_lo, s7
; %bb.990:
	v_bfe_u32 v0, v3, 20, 1
	s_delay_alu instid0(VALU_DEP_1) | instskip(NEXT) | instid1(VALU_DEP_1)
	v_add3_u32 v0, v3, v0, 0x407ffff
	v_and_b32_e32 v3, 0xff00000, v0
	v_lshrrev_b32_e32 v0, 20, v0
	s_delay_alu instid0(VALU_DEP_2) | instskip(NEXT) | instid1(VALU_DEP_2)
	v_cmp_ne_u32_e32 vcc_lo, 0x7f00000, v3
                                        ; implicit-def: $vgpr3
	v_cndmask_b32_e32 v0, 0x7e, v0, vcc_lo
; %bb.991:
	s_and_not1_saveexec_b32 s7, s7
; %bb.992:
	v_add_f32_e32 v0, 0x46800000, v3
; %bb.993:
	s_or_b32 exec_lo, exec_lo, s7
                                        ; implicit-def: $vgpr3
.LBB281_994:
	s_and_not1_saveexec_b32 s5, s5
; %bb.995:
	v_mov_b32_e32 v0, 0x7f
	v_cmp_lt_u32_e32 vcc_lo, 0x7f800000, v3
	s_delay_alu instid0(VALU_DEP_2)
	v_cndmask_b32_e32 v0, 0x7e, v0, vcc_lo
; %bb.996:
	s_or_b32 exec_lo, exec_lo, s5
	global_store_b8 v[1:2], v0, off
.LBB281_997:
	s_mov_b32 s5, 0
.LBB281_998:
	s_delay_alu instid0(SALU_CYCLE_1)
	s_and_not1_b32 vcc_lo, exec_lo, s5
	s_cbranch_vccnz .LBB281_1008
; %bb.999:
	v_cvt_f32_ubyte0_e32 v3, v4
	s_mov_b32 s5, exec_lo
                                        ; implicit-def: $vgpr0
	s_delay_alu instid0(VALU_DEP_1)
	v_cmpx_gt_u32_e32 0x47800000, v3
	s_xor_b32 s5, exec_lo, s5
	s_cbranch_execz .LBB281_1005
; %bb.1000:
	s_mov_b32 s7, exec_lo
                                        ; implicit-def: $vgpr0
	v_cmpx_lt_u32_e32 0x387fffff, v3
	s_xor_b32 s7, exec_lo, s7
; %bb.1001:
	v_bfe_u32 v0, v3, 21, 1
	s_delay_alu instid0(VALU_DEP_1) | instskip(NEXT) | instid1(VALU_DEP_1)
	v_add3_u32 v0, v3, v0, 0x80fffff
                                        ; implicit-def: $vgpr3
	v_lshrrev_b32_e32 v0, 21, v0
; %bb.1002:
	s_and_not1_saveexec_b32 s7, s7
; %bb.1003:
	v_add_f32_e32 v0, 0x43000000, v3
; %bb.1004:
	s_or_b32 exec_lo, exec_lo, s7
                                        ; implicit-def: $vgpr3
.LBB281_1005:
	s_and_not1_saveexec_b32 s5, s5
; %bb.1006:
	v_mov_b32_e32 v0, 0x7f
	v_cmp_lt_u32_e32 vcc_lo, 0x7f800000, v3
	s_delay_alu instid0(VALU_DEP_2)
	v_cndmask_b32_e32 v0, 0x7c, v0, vcc_lo
; %bb.1007:
	s_or_b32 exec_lo, exec_lo, s5
	global_store_b8 v[1:2], v0, off
.LBB281_1008:
	s_mov_b32 s5, 0
.LBB281_1009:
	s_delay_alu instid0(SALU_CYCLE_1)
	s_and_not1_b32 vcc_lo, exec_lo, s5
	s_mov_b32 s8, 0
	s_cbranch_vccnz .LBB281_1017
; %bb.1010:
	v_cmp_lt_i16_e32 vcc_lo, 14, v5
	s_mov_b32 s5, -1
	s_cbranch_vccz .LBB281_1014
; %bb.1011:
	v_cmp_eq_u16_e32 vcc_lo, 15, v5
	s_mov_b32 s2, -1
	s_cbranch_vccz .LBB281_1013
; %bb.1012:
	v_cvt_f32_ubyte0_e32 v0, v4
	s_mov_b32 s2, 0
	s_delay_alu instid0(VALU_DEP_1) | instskip(NEXT) | instid1(VALU_DEP_1)
	v_bfe_u32 v3, v0, 16, 1
	v_add3_u32 v0, v0, v3, 0x7fff
	global_store_d16_hi_b16 v[1:2], v0, off
.LBB281_1013:
	s_mov_b32 s5, 0
.LBB281_1014:
	s_delay_alu instid0(SALU_CYCLE_1)
	s_and_b32 vcc_lo, exec_lo, s5
	s_cbranch_vccz .LBB281_1017
; %bb.1015:
	v_cmp_ne_u16_e32 vcc_lo, 11, v5
	s_and_not1_b32 s2, s2, exec_lo
	s_mov_b32 s8, -1
	s_and_b32 s5, vcc_lo, exec_lo
	s_delay_alu instid0(SALU_CYCLE_1)
	s_or_b32 s2, s2, s5
	s_branch .LBB281_1017
.LBB281_1016:
	s_mov_b32 s8, 0
.LBB281_1017:
	s_and_b32 s7, s4, exec_lo
	s_and_not1_b32 s4, s38, exec_lo
	s_and_b32 s2, s2, exec_lo
	s_and_b32 s8, s8, exec_lo
	s_or_b32 s38, s4, s2
.LBB281_1018:
	s_or_b32 exec_lo, exec_lo, s6
	s_and_saveexec_b32 s2, s38
	s_cbranch_execnz .LBB281_1132
; %bb.1019:
	s_or_b32 exec_lo, exec_lo, s2
	s_and_saveexec_b32 s2, s8
	s_delay_alu instid0(SALU_CYCLE_1)
	s_xor_b32 s2, exec_lo, s2
	s_cbranch_execz .LBB281_1021
.LBB281_1020:
	s_waitcnt vmcnt(0)
	v_and_b32_e32 v0, 0xff, v4
	s_delay_alu instid0(VALU_DEP_1)
	v_cmp_ne_u16_e32 vcc_lo, 0, v0
	v_cndmask_b32_e64 v0, 0, 1, vcc_lo
	global_store_b8 v[1:2], v0, off
.LBB281_1021:
	s_or_b32 exec_lo, exec_lo, s2
	s_and_saveexec_b32 s2, s7
	s_delay_alu instid0(SALU_CYCLE_1)
	s_xor_b32 s2, exec_lo, s2
	s_cbranch_execz .LBB281_1059
; %bb.1022:
	v_cmp_gt_i16_e32 vcc_lo, 5, v5
	s_mov_b32 s4, -1
	s_cbranch_vccnz .LBB281_1043
; %bb.1023:
	v_cmp_gt_i16_e32 vcc_lo, 8, v5
	s_cbranch_vccnz .LBB281_1033
; %bb.1024:
	v_cmp_gt_i16_e32 vcc_lo, 9, v5
	s_cbranch_vccnz .LBB281_1030
; %bb.1025:
	v_cmp_lt_i16_e32 vcc_lo, 9, v5
	s_cbranch_vccz .LBB281_1027
; %bb.1026:
	v_mov_b32_e32 v8, 0
	s_waitcnt vmcnt(0)
	v_and_b32_e32 v0, 0xff, v4
	s_mov_b32 s4, 0
	s_delay_alu instid0(VALU_DEP_1) | instskip(NEXT) | instid1(VALU_DEP_1)
	v_dual_mov_b32 v9, v8 :: v_dual_and_b32 v0, 0xffff, v0
	v_cvt_f64_u32_e32 v[6:7], v0
	global_store_b128 v[1:2], v[6:9], off
.LBB281_1027:
	s_and_not1_b32 vcc_lo, exec_lo, s4
	s_cbranch_vccnz .LBB281_1029
; %bb.1028:
	s_waitcnt vmcnt(0)
	v_cvt_f32_ubyte0_e32 v6, v4
	v_mov_b32_e32 v7, 0
	global_store_b64 v[1:2], v[6:7], off
.LBB281_1029:
	s_mov_b32 s4, 0
.LBB281_1030:
	s_delay_alu instid0(SALU_CYCLE_1)
	s_and_not1_b32 vcc_lo, exec_lo, s4
	s_cbranch_vccnz .LBB281_1032
; %bb.1031:
	s_waitcnt vmcnt(0)
	v_and_b32_e32 v0, 0xff, v4
	s_delay_alu instid0(VALU_DEP_1) | instskip(NEXT) | instid1(VALU_DEP_1)
	v_cvt_f16_u16_e32 v0, v0
	v_and_b32_e32 v0, 0xffff, v0
	global_store_b32 v[1:2], v0, off
.LBB281_1032:
	s_mov_b32 s4, 0
.LBB281_1033:
	s_delay_alu instid0(SALU_CYCLE_1)
	s_and_not1_b32 vcc_lo, exec_lo, s4
	s_cbranch_vccnz .LBB281_1042
; %bb.1034:
	v_cmp_gt_i16_e32 vcc_lo, 6, v5
	s_mov_b32 s4, -1
	s_cbranch_vccnz .LBB281_1040
; %bb.1035:
	v_cmp_lt_i16_e32 vcc_lo, 6, v5
	s_cbranch_vccz .LBB281_1037
; %bb.1036:
	s_waitcnt vmcnt(0)
	v_and_b32_e32 v0, 0xff, v4
	s_mov_b32 s4, 0
	s_delay_alu instid0(VALU_DEP_1) | instskip(NEXT) | instid1(VALU_DEP_1)
	v_and_b32_e32 v0, 0xffff, v0
	v_cvt_f64_u32_e32 v[6:7], v0
	global_store_b64 v[1:2], v[6:7], off
.LBB281_1037:
	s_and_not1_b32 vcc_lo, exec_lo, s4
	s_cbranch_vccnz .LBB281_1039
; %bb.1038:
	s_waitcnt vmcnt(0)
	v_cvt_f32_ubyte0_e32 v0, v4
	global_store_b32 v[1:2], v0, off
.LBB281_1039:
	s_mov_b32 s4, 0
.LBB281_1040:
	s_delay_alu instid0(SALU_CYCLE_1)
	s_and_not1_b32 vcc_lo, exec_lo, s4
	s_cbranch_vccnz .LBB281_1042
; %bb.1041:
	s_waitcnt vmcnt(0)
	v_and_b32_e32 v0, 0xff, v4
	s_delay_alu instid0(VALU_DEP_1)
	v_cvt_f16_u16_e32 v0, v0
	global_store_b16 v[1:2], v0, off
.LBB281_1042:
	s_mov_b32 s4, 0
.LBB281_1043:
	s_delay_alu instid0(SALU_CYCLE_1)
	s_and_not1_b32 vcc_lo, exec_lo, s4
	s_cbranch_vccnz .LBB281_1059
; %bb.1044:
	v_cmp_gt_i16_e32 vcc_lo, 2, v5
	s_mov_b32 s4, -1
	s_cbranch_vccnz .LBB281_1054
; %bb.1045:
	v_cmp_gt_i16_e32 vcc_lo, 3, v5
	s_cbranch_vccnz .LBB281_1051
; %bb.1046:
	v_cmp_lt_i16_e32 vcc_lo, 3, v5
	s_cbranch_vccz .LBB281_1048
; %bb.1047:
	s_waitcnt vmcnt(0)
	v_dual_mov_b32 v7, 0 :: v_dual_and_b32 v6, 0xff, v4
	s_mov_b32 s4, 0
	global_store_b64 v[1:2], v[6:7], off
.LBB281_1048:
	s_and_not1_b32 vcc_lo, exec_lo, s4
	s_cbranch_vccnz .LBB281_1050
; %bb.1049:
	s_waitcnt vmcnt(0)
	v_and_b32_e32 v0, 0xff, v4
	global_store_b32 v[1:2], v0, off
.LBB281_1050:
	s_mov_b32 s4, 0
.LBB281_1051:
	s_delay_alu instid0(SALU_CYCLE_1)
	s_and_not1_b32 vcc_lo, exec_lo, s4
	s_cbranch_vccnz .LBB281_1053
; %bb.1052:
	s_waitcnt vmcnt(0)
	v_and_b32_e32 v0, 0xff, v4
	global_store_b16 v[1:2], v0, off
.LBB281_1053:
	s_mov_b32 s4, 0
.LBB281_1054:
	s_delay_alu instid0(SALU_CYCLE_1)
	s_and_not1_b32 vcc_lo, exec_lo, s4
	s_cbranch_vccnz .LBB281_1059
; %bb.1055:
	v_cmp_lt_i16_e32 vcc_lo, 0, v5
	s_mov_b32 s4, -1
	s_cbranch_vccz .LBB281_1057
; %bb.1056:
	s_mov_b32 s4, 0
	s_waitcnt vmcnt(0)
	global_store_b8 v[1:2], v4, off
.LBB281_1057:
	s_and_not1_b32 vcc_lo, exec_lo, s4
	s_cbranch_vccnz .LBB281_1059
; %bb.1058:
	s_waitcnt vmcnt(0)
	global_store_b8 v[1:2], v4, off
.LBB281_1059:
	s_or_b32 exec_lo, exec_lo, s2
	s_delay_alu instid0(SALU_CYCLE_1)
	s_and_b32 s8, s3, exec_lo
                                        ; implicit-def: $vgpr9
                                        ; implicit-def: $vgpr5
.LBB281_1060:
	s_or_saveexec_b32 s9, s28
	s_mov_b32 s3, 0
                                        ; implicit-def: $vgpr0_vgpr1
                                        ; implicit-def: $vgpr8
                                        ; implicit-def: $vgpr2
	s_xor_b32 exec_lo, exec_lo, s9
	s_cbranch_execz .LBB281_2059
; %bb.1061:
	v_cndmask_b32_e64 v0, 0, 1, s27
	s_and_not1_b32 vcc_lo, exec_lo, s27
	s_cbranch_vccnz .LBB281_1067
; %bb.1062:
	s_waitcnt vmcnt(0)
	v_dual_mov_b32 v3, 0 :: v_dual_mov_b32 v4, 0
	s_cmp_lg_u32 s24, 0
	s_mov_b32 s6, 0
	s_cbranch_scc0 .LBB281_1071
; %bb.1063:
	s_min_u32 s7, s25, 15
	v_mov_b32_e32 v3, 0
	s_add_i32 s7, s7, 1
	s_cmp_eq_u32 s25, 2
	s_mov_b32 s10, 0
	s_cbranch_scc1 .LBB281_1068
; %bb.1064:
	v_dual_mov_b32 v4, 0 :: v_dual_mov_b32 v3, 0
	v_mov_b32_e32 v1, v5
	s_add_u32 s2, s16, 0xc4
	s_addc_u32 s3, s17, 0
	s_and_b32 s10, s7, 28
	s_mov_b32 s11, 0
	s_mov_b64 s[4:5], s[16:17]
.LBB281_1065:                           ; =>This Inner Loop Header: Depth=1
	s_clause 0x1
	s_load_b256 s[36:43], s[4:5], 0x4
	s_load_b128 s[12:15], s[4:5], 0x24
	s_load_b256 s[44:51], s[2:3], 0x0
	s_add_u32 s4, s4, 48
	s_addc_u32 s5, s5, 0
	s_add_i32 s11, s11, 4
	s_add_u32 s2, s2, 32
	s_addc_u32 s3, s3, 0
	s_cmp_lg_u32 s10, s11
	s_waitcnt lgkmcnt(0)
	v_mul_hi_u32 v2, s37, v1
	s_delay_alu instid0(VALU_DEP_1) | instskip(NEXT) | instid1(VALU_DEP_1)
	v_add_nc_u32_e32 v2, v1, v2
	v_lshrrev_b32_e32 v2, s38, v2
	s_delay_alu instid0(VALU_DEP_1) | instskip(SKIP_1) | instid1(VALU_DEP_2)
	v_mul_hi_u32 v6, s40, v2
	v_mul_lo_u32 v8, v2, s36
	v_add_nc_u32_e32 v6, v2, v6
	s_delay_alu instid0(VALU_DEP_2) | instskip(NEXT) | instid1(VALU_DEP_2)
	v_sub_nc_u32_e32 v1, v1, v8
	v_lshrrev_b32_e32 v6, s41, v6
	s_delay_alu instid0(VALU_DEP_2) | instskip(SKIP_1) | instid1(VALU_DEP_3)
	v_mul_lo_u32 v8, v1, s44
	v_mul_lo_u32 v11, v1, s45
	v_mul_hi_u32 v7, s43, v6
	s_delay_alu instid0(VALU_DEP_1) | instskip(NEXT) | instid1(VALU_DEP_1)
	v_add_nc_u32_e32 v7, v6, v7
	v_lshrrev_b32_e32 v7, s12, v7
	s_delay_alu instid0(VALU_DEP_1) | instskip(SKIP_1) | instid1(VALU_DEP_2)
	v_mul_hi_u32 v10, s14, v7
	v_mul_lo_u32 v12, v7, s42
	v_add_nc_u32_e32 v1, v7, v10
	v_mul_lo_u32 v10, v6, s39
	s_delay_alu instid0(VALU_DEP_3) | instskip(NEXT) | instid1(VALU_DEP_3)
	v_sub_nc_u32_e32 v6, v6, v12
	v_lshrrev_b32_e32 v1, s15, v1
	s_delay_alu instid0(VALU_DEP_2) | instskip(SKIP_2) | instid1(VALU_DEP_4)
	v_mul_lo_u32 v12, v6, s48
	v_mul_lo_u32 v6, v6, s49
	v_sub_nc_u32_e32 v2, v2, v10
	v_mul_lo_u32 v13, v1, s13
	s_delay_alu instid0(VALU_DEP_2) | instskip(SKIP_1) | instid1(VALU_DEP_3)
	v_mul_lo_u32 v10, v2, s46
	v_mul_lo_u32 v2, v2, s47
	v_sub_nc_u32_e32 v7, v7, v13
	s_delay_alu instid0(VALU_DEP_3) | instskip(NEXT) | instid1(VALU_DEP_2)
	v_add3_u32 v3, v8, v3, v10
	v_mul_lo_u32 v13, v7, s50
	v_mul_lo_u32 v7, v7, s51
	v_add3_u32 v2, v11, v4, v2
	s_delay_alu instid0(VALU_DEP_3) | instskip(NEXT) | instid1(VALU_DEP_2)
	v_add3_u32 v3, v12, v3, v13
	v_add3_u32 v4, v6, v2, v7
	s_cbranch_scc1 .LBB281_1065
; %bb.1066:
	s_and_b32 s7, s7, 3
	s_delay_alu instid0(SALU_CYCLE_1)
	s_cmp_eq_u32 s7, 0
	s_cbranch_scc0 .LBB281_1069
	s_branch .LBB281_1071
.LBB281_1067:
	s_mov_b32 s6, -1
                                        ; implicit-def: $vgpr3
                                        ; implicit-def: $vgpr4
	s_branch .LBB281_1071
.LBB281_1068:
	v_dual_mov_b32 v1, v5 :: v_dual_mov_b32 v4, 0
	s_and_b32 s7, s7, 3
	s_delay_alu instid0(SALU_CYCLE_1)
	s_cmp_eq_u32 s7, 0
	s_cbranch_scc1 .LBB281_1071
.LBB281_1069:
	s_lshl_b32 s2, s10, 3
	s_mul_i32 s4, s10, 12
	s_add_u32 s2, s2, s16
	s_addc_u32 s3, 0, s17
	s_add_u32 s2, s2, 0xc4
	s_addc_u32 s3, s3, 0
	;; [unrolled: 2-line block ×3, first 2 shown]
	.p2align	6
.LBB281_1070:                           ; =>This Inner Loop Header: Depth=1
	s_clause 0x1
	s_load_b64 s[10:11], s[4:5], 0x4
	s_load_b32 s14, s[4:5], 0xc
	s_load_b64 s[12:13], s[2:3], 0x0
	s_add_u32 s4, s4, 12
	s_addc_u32 s5, s5, 0
	s_add_u32 s2, s2, 8
	s_addc_u32 s3, s3, 0
	s_add_i32 s7, s7, -1
	s_delay_alu instid0(SALU_CYCLE_1) | instskip(SKIP_2) | instid1(VALU_DEP_1)
	s_cmp_lg_u32 s7, 0
	s_waitcnt lgkmcnt(0)
	v_mul_hi_u32 v2, s11, v1
	v_add_nc_u32_e32 v2, v1, v2
	s_delay_alu instid0(VALU_DEP_1) | instskip(NEXT) | instid1(VALU_DEP_1)
	v_lshrrev_b32_e32 v8, s14, v2
	v_mul_lo_u32 v2, v8, s10
	s_delay_alu instid0(VALU_DEP_1) | instskip(NEXT) | instid1(VALU_DEP_1)
	v_sub_nc_u32_e32 v1, v1, v2
	v_mad_u64_u32 v[6:7], null, v1, s12, v[3:4]
	v_mad_u64_u32 v[2:3], null, v1, s13, v[4:5]
	v_mov_b32_e32 v1, v8
	s_delay_alu instid0(VALU_DEP_3) | instskip(NEXT) | instid1(VALU_DEP_3)
	v_mov_b32_e32 v3, v6
	v_mov_b32_e32 v4, v2
	s_cbranch_scc1 .LBB281_1070
.LBB281_1071:
	s_and_not1_b32 vcc_lo, exec_lo, s6
	s_cbranch_vccnz .LBB281_1074
; %bb.1072:
	s_clause 0x1
	s_load_b128 s[4:7], s[16:17], 0x4
	s_load_b64 s[2:3], s[16:17], 0xc4
	s_cmp_lt_u32 s24, 2
	s_waitcnt lgkmcnt(0)
	v_mul_hi_u32 v1, s5, v5
	s_delay_alu instid0(VALU_DEP_1) | instskip(NEXT) | instid1(VALU_DEP_1)
	v_add_nc_u32_e32 v1, v5, v1
	v_lshrrev_b32_e32 v1, s6, v1
	s_delay_alu instid0(VALU_DEP_1) | instskip(NEXT) | instid1(VALU_DEP_1)
	v_mul_lo_u32 v2, v1, s4
	v_sub_nc_u32_e32 v2, v5, v2
	s_waitcnt vmcnt(0)
	s_delay_alu instid0(VALU_DEP_1)
	v_mul_lo_u32 v3, v2, s2
	v_mul_lo_u32 v4, v2, s3
	s_cbranch_scc1 .LBB281_1074
; %bb.1073:
	s_clause 0x1
	s_load_b128 s[4:7], s[16:17], 0x10
	s_load_b64 s[2:3], s[16:17], 0xcc
	s_waitcnt lgkmcnt(0)
	v_mul_hi_u32 v2, s5, v1
	s_delay_alu instid0(VALU_DEP_1) | instskip(NEXT) | instid1(VALU_DEP_1)
	v_add_nc_u32_e32 v2, v1, v2
	v_lshrrev_b32_e32 v2, s6, v2
	s_delay_alu instid0(VALU_DEP_1) | instskip(NEXT) | instid1(VALU_DEP_1)
	v_mul_lo_u32 v2, v2, s4
	v_sub_nc_u32_e32 v6, v1, v2
	s_delay_alu instid0(VALU_DEP_1) | instskip(SKIP_1) | instid1(VALU_DEP_1)
	v_mad_u64_u32 v[1:2], null, v6, s2, v[3:4]
	v_mad_u64_u32 v[2:3], null, v6, s3, v[4:5]
	v_dual_mov_b32 v3, v1 :: v_dual_mov_b32 v4, v2
.LBB281_1074:
	v_cmp_ne_u32_e32 vcc_lo, 1, v0
	v_add_nc_u32_e32 v1, 0x80, v5
	s_cbranch_vccnz .LBB281_1080
; %bb.1075:
	v_mov_b32_e32 v2, 0
	v_mov_b32_e32 v6, 0
	s_cmp_lg_u32 s24, 0
	s_mov_b32 s6, 0
	s_cbranch_scc0 .LBB281_1084
; %bb.1076:
	s_min_u32 s7, s25, 15
	v_mov_b32_e32 v2, 0
	s_add_i32 s7, s7, 1
	s_cmp_eq_u32 s25, 2
	s_mov_b32 s10, 0
	s_cbranch_scc1 .LBB281_1081
; %bb.1077:
	v_dual_mov_b32 v6, 0 :: v_dual_mov_b32 v7, v1
	v_mov_b32_e32 v2, 0
	s_add_u32 s2, s16, 0xc4
	s_addc_u32 s3, s17, 0
	s_and_b32 s10, s7, 28
	s_mov_b32 s11, 0
	s_mov_b64 s[4:5], s[16:17]
.LBB281_1078:                           ; =>This Inner Loop Header: Depth=1
	s_clause 0x1
	s_load_b256 s[36:43], s[4:5], 0x4
	s_load_b128 s[12:15], s[4:5], 0x24
	s_load_b256 s[44:51], s[2:3], 0x0
	s_add_u32 s4, s4, 48
	s_addc_u32 s5, s5, 0
	s_add_i32 s11, s11, 4
	s_add_u32 s2, s2, 32
	s_addc_u32 s3, s3, 0
	s_cmp_lg_u32 s10, s11
	s_waitcnt lgkmcnt(0)
	v_mul_hi_u32 v8, s37, v7
	s_delay_alu instid0(VALU_DEP_1) | instskip(NEXT) | instid1(VALU_DEP_1)
	v_add_nc_u32_e32 v8, v7, v8
	v_lshrrev_b32_e32 v8, s38, v8
	s_delay_alu instid0(VALU_DEP_1) | instskip(SKIP_1) | instid1(VALU_DEP_2)
	v_mul_hi_u32 v10, s40, v8
	v_mul_lo_u32 v12, v8, s36
	v_add_nc_u32_e32 v10, v8, v10
	s_delay_alu instid0(VALU_DEP_2) | instskip(NEXT) | instid1(VALU_DEP_2)
	v_sub_nc_u32_e32 v7, v7, v12
	v_lshrrev_b32_e32 v10, s41, v10
	s_delay_alu instid0(VALU_DEP_2) | instskip(SKIP_1) | instid1(VALU_DEP_3)
	v_mul_lo_u32 v12, v7, s44
	v_mul_lo_u32 v14, v7, s45
	v_mul_hi_u32 v11, s43, v10
	s_delay_alu instid0(VALU_DEP_1) | instskip(NEXT) | instid1(VALU_DEP_1)
	v_add_nc_u32_e32 v11, v10, v11
	v_lshrrev_b32_e32 v11, s12, v11
	s_delay_alu instid0(VALU_DEP_1) | instskip(SKIP_1) | instid1(VALU_DEP_2)
	v_mul_hi_u32 v13, s14, v11
	v_mul_lo_u32 v15, v11, s42
	v_add_nc_u32_e32 v7, v11, v13
	v_mul_lo_u32 v13, v10, s39
	s_delay_alu instid0(VALU_DEP_3) | instskip(NEXT) | instid1(VALU_DEP_3)
	v_sub_nc_u32_e32 v10, v10, v15
	v_lshrrev_b32_e32 v7, s15, v7
	s_delay_alu instid0(VALU_DEP_2) | instskip(SKIP_2) | instid1(VALU_DEP_4)
	v_mul_lo_u32 v15, v10, s48
	v_mul_lo_u32 v10, v10, s49
	v_sub_nc_u32_e32 v8, v8, v13
	v_mul_lo_u32 v16, v7, s13
	s_delay_alu instid0(VALU_DEP_2) | instskip(SKIP_1) | instid1(VALU_DEP_3)
	v_mul_lo_u32 v13, v8, s46
	v_mul_lo_u32 v8, v8, s47
	v_sub_nc_u32_e32 v11, v11, v16
	s_delay_alu instid0(VALU_DEP_3) | instskip(NEXT) | instid1(VALU_DEP_2)
	v_add3_u32 v2, v12, v2, v13
	v_mul_lo_u32 v16, v11, s50
	v_mul_lo_u32 v11, v11, s51
	v_add3_u32 v6, v14, v6, v8
	s_delay_alu instid0(VALU_DEP_3) | instskip(NEXT) | instid1(VALU_DEP_2)
	v_add3_u32 v2, v15, v2, v16
	v_add3_u32 v6, v10, v6, v11
	s_cbranch_scc1 .LBB281_1078
; %bb.1079:
	s_and_b32 s7, s7, 3
	s_delay_alu instid0(SALU_CYCLE_1)
	s_cmp_eq_u32 s7, 0
	s_cbranch_scc0 .LBB281_1082
	s_branch .LBB281_1084
.LBB281_1080:
	s_mov_b32 s6, -1
                                        ; implicit-def: $vgpr2
                                        ; implicit-def: $vgpr6
	s_branch .LBB281_1084
.LBB281_1081:
	v_dual_mov_b32 v7, v1 :: v_dual_mov_b32 v6, 0
	s_and_b32 s7, s7, 3
	s_delay_alu instid0(SALU_CYCLE_1)
	s_cmp_eq_u32 s7, 0
	s_cbranch_scc1 .LBB281_1084
.LBB281_1082:
	s_lshl_b32 s2, s10, 3
	s_mul_i32 s4, s10, 12
	s_add_u32 s2, s2, s16
	s_addc_u32 s3, 0, s17
	s_add_u32 s2, s2, 0xc4
	s_addc_u32 s3, s3, 0
	;; [unrolled: 2-line block ×3, first 2 shown]
	.p2align	6
.LBB281_1083:                           ; =>This Inner Loop Header: Depth=1
	s_clause 0x1
	s_load_b64 s[10:11], s[4:5], 0x4
	s_load_b32 s14, s[4:5], 0xc
	s_load_b64 s[12:13], s[2:3], 0x0
	s_add_u32 s4, s4, 12
	s_addc_u32 s5, s5, 0
	s_add_u32 s2, s2, 8
	s_addc_u32 s3, s3, 0
	s_add_i32 s7, s7, -1
	s_delay_alu instid0(SALU_CYCLE_1) | instskip(SKIP_2) | instid1(VALU_DEP_1)
	s_cmp_lg_u32 s7, 0
	s_waitcnt lgkmcnt(0)
	v_mul_hi_u32 v8, s11, v7
	v_add_nc_u32_e32 v8, v7, v8
	s_delay_alu instid0(VALU_DEP_1) | instskip(NEXT) | instid1(VALU_DEP_1)
	v_lshrrev_b32_e32 v8, s14, v8
	v_mul_lo_u32 v10, v8, s10
	s_delay_alu instid0(VALU_DEP_1) | instskip(SKIP_1) | instid1(VALU_DEP_1)
	v_sub_nc_u32_e32 v7, v7, v10
	s_waitcnt vmcnt(0)
	v_mad_u64_u32 v[10:11], null, v7, s12, v[2:3]
	v_mad_u64_u32 v[11:12], null, v7, s13, v[6:7]
	s_delay_alu instid0(VALU_DEP_2) | instskip(NEXT) | instid1(VALU_DEP_2)
	v_dual_mov_b32 v7, v8 :: v_dual_mov_b32 v2, v10
	v_mov_b32_e32 v6, v11
	s_cbranch_scc1 .LBB281_1083
.LBB281_1084:
	s_and_not1_b32 vcc_lo, exec_lo, s6
	s_cbranch_vccnz .LBB281_1087
; %bb.1085:
	s_clause 0x1
	s_load_b128 s[4:7], s[16:17], 0x4
	s_load_b64 s[2:3], s[16:17], 0xc4
	s_cmp_lt_u32 s24, 2
	s_waitcnt lgkmcnt(0)
	v_mul_hi_u32 v2, s5, v1
	s_delay_alu instid0(VALU_DEP_1) | instskip(NEXT) | instid1(VALU_DEP_1)
	v_add_nc_u32_e32 v2, v1, v2
	v_lshrrev_b32_e32 v7, s6, v2
	s_delay_alu instid0(VALU_DEP_1) | instskip(NEXT) | instid1(VALU_DEP_1)
	v_mul_lo_u32 v2, v7, s4
	v_sub_nc_u32_e32 v1, v1, v2
	s_delay_alu instid0(VALU_DEP_1)
	v_mul_lo_u32 v2, v1, s2
	v_mul_lo_u32 v6, v1, s3
	s_cbranch_scc1 .LBB281_1087
; %bb.1086:
	s_clause 0x1
	s_load_b128 s[4:7], s[16:17], 0x10
	s_load_b64 s[2:3], s[16:17], 0xcc
	s_waitcnt lgkmcnt(0)
	v_mul_hi_u32 v1, s5, v7
	s_delay_alu instid0(VALU_DEP_1) | instskip(NEXT) | instid1(VALU_DEP_1)
	v_add_nc_u32_e32 v1, v7, v1
	v_lshrrev_b32_e32 v1, s6, v1
	s_delay_alu instid0(VALU_DEP_1) | instskip(NEXT) | instid1(VALU_DEP_1)
	v_mul_lo_u32 v1, v1, s4
	v_sub_nc_u32_e32 v10, v7, v1
	s_waitcnt vmcnt(0)
	s_delay_alu instid0(VALU_DEP_1) | instskip(NEXT) | instid1(VALU_DEP_1)
	v_mad_u64_u32 v[7:8], null, v10, s2, v[2:3]
	v_mad_u64_u32 v[1:2], null, v10, s3, v[6:7]
	v_mov_b32_e32 v2, v7
	s_delay_alu instid0(VALU_DEP_2)
	v_mov_b32_e32 v6, v1
.LBB281_1087:
	v_cmp_ne_u32_e32 vcc_lo, 1, v0
	v_add_nc_u32_e32 v5, 0x100, v5
	s_cbranch_vccnz .LBB281_1093
; %bb.1088:
	v_mov_b32_e32 v1, 0
	v_mov_b32_e32 v7, 0
	s_cmp_lg_u32 s24, 0
	s_mov_b32 s6, 0
	s_cbranch_scc0 .LBB281_1097
; %bb.1089:
	s_min_u32 s7, s25, 15
	v_mov_b32_e32 v1, 0
	s_add_i32 s7, s7, 1
	s_cmp_eq_u32 s25, 2
	s_mov_b32 s10, 0
	s_cbranch_scc1 .LBB281_1094
; %bb.1090:
	v_dual_mov_b32 v7, 0 :: v_dual_mov_b32 v8, v5
	v_mov_b32_e32 v1, 0
	s_add_u32 s2, s16, 0xc4
	s_addc_u32 s3, s17, 0
	s_and_b32 s10, s7, 28
	s_mov_b32 s11, 0
	s_mov_b64 s[4:5], s[16:17]
.LBB281_1091:                           ; =>This Inner Loop Header: Depth=1
	s_clause 0x1
	s_load_b256 s[36:43], s[4:5], 0x4
	s_load_b128 s[12:15], s[4:5], 0x24
	s_load_b256 s[44:51], s[2:3], 0x0
	s_add_u32 s4, s4, 48
	s_addc_u32 s5, s5, 0
	s_add_i32 s11, s11, 4
	s_add_u32 s2, s2, 32
	s_addc_u32 s3, s3, 0
	s_cmp_lg_u32 s10, s11
	s_waitcnt lgkmcnt(0)
	v_mul_hi_u32 v10, s37, v8
	s_delay_alu instid0(VALU_DEP_1) | instskip(NEXT) | instid1(VALU_DEP_1)
	v_add_nc_u32_e32 v10, v8, v10
	v_lshrrev_b32_e32 v10, s38, v10
	s_delay_alu instid0(VALU_DEP_1) | instskip(SKIP_1) | instid1(VALU_DEP_2)
	v_mul_hi_u32 v11, s40, v10
	v_mul_lo_u32 v13, v10, s36
	v_add_nc_u32_e32 v11, v10, v11
	s_delay_alu instid0(VALU_DEP_2) | instskip(NEXT) | instid1(VALU_DEP_2)
	v_sub_nc_u32_e32 v8, v8, v13
	v_lshrrev_b32_e32 v11, s41, v11
	s_delay_alu instid0(VALU_DEP_2) | instskip(SKIP_1) | instid1(VALU_DEP_3)
	v_mul_lo_u32 v13, v8, s44
	v_mul_lo_u32 v15, v8, s45
	v_mul_hi_u32 v12, s43, v11
	s_delay_alu instid0(VALU_DEP_1) | instskip(NEXT) | instid1(VALU_DEP_1)
	v_add_nc_u32_e32 v12, v11, v12
	v_lshrrev_b32_e32 v12, s12, v12
	s_delay_alu instid0(VALU_DEP_1) | instskip(SKIP_1) | instid1(VALU_DEP_2)
	v_mul_hi_u32 v14, s14, v12
	v_mul_lo_u32 v16, v12, s42
	v_add_nc_u32_e32 v8, v12, v14
	v_mul_lo_u32 v14, v11, s39
	s_delay_alu instid0(VALU_DEP_3) | instskip(NEXT) | instid1(VALU_DEP_3)
	v_sub_nc_u32_e32 v11, v11, v16
	v_lshrrev_b32_e32 v8, s15, v8
	s_delay_alu instid0(VALU_DEP_2) | instskip(SKIP_2) | instid1(VALU_DEP_4)
	v_mul_lo_u32 v16, v11, s48
	v_mul_lo_u32 v11, v11, s49
	v_sub_nc_u32_e32 v10, v10, v14
	v_mul_lo_u32 v17, v8, s13
	s_delay_alu instid0(VALU_DEP_2) | instskip(SKIP_1) | instid1(VALU_DEP_3)
	v_mul_lo_u32 v14, v10, s46
	v_mul_lo_u32 v10, v10, s47
	v_sub_nc_u32_e32 v12, v12, v17
	s_delay_alu instid0(VALU_DEP_3) | instskip(NEXT) | instid1(VALU_DEP_2)
	v_add3_u32 v1, v13, v1, v14
	v_mul_lo_u32 v17, v12, s50
	v_mul_lo_u32 v12, v12, s51
	v_add3_u32 v7, v15, v7, v10
	s_delay_alu instid0(VALU_DEP_3) | instskip(NEXT) | instid1(VALU_DEP_2)
	v_add3_u32 v1, v16, v1, v17
	v_add3_u32 v7, v11, v7, v12
	s_cbranch_scc1 .LBB281_1091
; %bb.1092:
	s_and_b32 s7, s7, 3
	s_delay_alu instid0(SALU_CYCLE_1)
	s_cmp_eq_u32 s7, 0
	s_cbranch_scc0 .LBB281_1095
	s_branch .LBB281_1097
.LBB281_1093:
	s_mov_b32 s6, -1
                                        ; implicit-def: $vgpr1
                                        ; implicit-def: $vgpr7
	s_branch .LBB281_1097
.LBB281_1094:
	v_dual_mov_b32 v8, v5 :: v_dual_mov_b32 v7, 0
	s_and_b32 s7, s7, 3
	s_delay_alu instid0(SALU_CYCLE_1)
	s_cmp_eq_u32 s7, 0
	s_cbranch_scc1 .LBB281_1097
.LBB281_1095:
	s_lshl_b32 s2, s10, 3
	s_mul_i32 s4, s10, 12
	s_add_u32 s2, s2, s16
	s_addc_u32 s3, 0, s17
	s_add_u32 s2, s2, 0xc4
	s_addc_u32 s3, s3, 0
	;; [unrolled: 2-line block ×3, first 2 shown]
	.p2align	6
.LBB281_1096:                           ; =>This Inner Loop Header: Depth=1
	s_clause 0x1
	s_load_b64 s[10:11], s[4:5], 0x4
	s_load_b32 s14, s[4:5], 0xc
	s_load_b64 s[12:13], s[2:3], 0x0
	s_add_u32 s4, s4, 12
	s_addc_u32 s5, s5, 0
	s_add_u32 s2, s2, 8
	s_addc_u32 s3, s3, 0
	s_add_i32 s7, s7, -1
	s_delay_alu instid0(SALU_CYCLE_1) | instskip(SKIP_2) | instid1(VALU_DEP_1)
	s_cmp_lg_u32 s7, 0
	s_waitcnt lgkmcnt(0)
	v_mul_hi_u32 v10, s11, v8
	v_add_nc_u32_e32 v10, v8, v10
	s_delay_alu instid0(VALU_DEP_1) | instskip(NEXT) | instid1(VALU_DEP_1)
	v_lshrrev_b32_e32 v13, s14, v10
	v_mul_lo_u32 v10, v13, s10
	s_delay_alu instid0(VALU_DEP_1) | instskip(NEXT) | instid1(VALU_DEP_1)
	v_sub_nc_u32_e32 v8, v8, v10
	v_mad_u64_u32 v[10:11], null, v8, s12, v[1:2]
	v_mad_u64_u32 v[11:12], null, v8, s13, v[7:8]
	s_delay_alu instid0(VALU_DEP_2) | instskip(NEXT) | instid1(VALU_DEP_2)
	v_dual_mov_b32 v8, v13 :: v_dual_mov_b32 v1, v10
	v_mov_b32_e32 v7, v11
	s_cbranch_scc1 .LBB281_1096
.LBB281_1097:
	s_and_not1_b32 vcc_lo, exec_lo, s6
	s_cbranch_vccnz .LBB281_1100
; %bb.1098:
	s_clause 0x1
	s_load_b128 s[4:7], s[16:17], 0x4
	s_load_b64 s[2:3], s[16:17], 0xc4
	s_cmp_lt_u32 s24, 2
	s_waitcnt lgkmcnt(0)
	v_mul_hi_u32 v1, s5, v5
	s_delay_alu instid0(VALU_DEP_1) | instskip(NEXT) | instid1(VALU_DEP_1)
	v_add_nc_u32_e32 v1, v5, v1
	v_lshrrev_b32_e32 v8, s6, v1
	s_delay_alu instid0(VALU_DEP_1) | instskip(NEXT) | instid1(VALU_DEP_1)
	v_mul_lo_u32 v1, v8, s4
	v_sub_nc_u32_e32 v5, v5, v1
	s_delay_alu instid0(VALU_DEP_1)
	v_mul_lo_u32 v1, v5, s2
	v_mul_lo_u32 v7, v5, s3
	s_cbranch_scc1 .LBB281_1100
; %bb.1099:
	s_clause 0x1
	s_load_b128 s[4:7], s[16:17], 0x10
	s_load_b64 s[2:3], s[16:17], 0xcc
	s_waitcnt lgkmcnt(0)
	v_mul_hi_u32 v5, s5, v8
	s_delay_alu instid0(VALU_DEP_1) | instskip(NEXT) | instid1(VALU_DEP_1)
	v_add_nc_u32_e32 v5, v8, v5
	v_lshrrev_b32_e32 v5, s6, v5
	s_delay_alu instid0(VALU_DEP_1) | instskip(NEXT) | instid1(VALU_DEP_1)
	v_mul_lo_u32 v5, v5, s4
	v_sub_nc_u32_e32 v5, v8, v5
	s_delay_alu instid0(VALU_DEP_1) | instskip(SKIP_1) | instid1(VALU_DEP_2)
	v_mad_u64_u32 v[10:11], null, v5, s2, v[1:2]
	v_mad_u64_u32 v[11:12], null, v5, s3, v[7:8]
	v_mov_b32_e32 v1, v10
	s_delay_alu instid0(VALU_DEP_2)
	v_mov_b32_e32 v7, v11
.LBB281_1100:
	v_cmp_ne_u32_e32 vcc_lo, 1, v0
	s_cbranch_vccnz .LBB281_1106
; %bb.1101:
	v_mov_b32_e32 v0, 0
	v_mov_b32_e32 v8, 0
	s_cmp_lg_u32 s24, 0
	s_mov_b32 s6, 0
	s_cbranch_scc0 .LBB281_1110
; %bb.1102:
	s_min_u32 s7, s25, 15
	v_mov_b32_e32 v0, 0
	s_add_i32 s7, s7, 1
	s_cmp_eq_u32 s25, 2
	s_mov_b32 s10, 0
	s_cbranch_scc1 .LBB281_1107
; %bb.1103:
	v_dual_mov_b32 v8, 0 :: v_dual_mov_b32 v5, v9
	v_mov_b32_e32 v0, 0
	s_add_u32 s2, s16, 0xc4
	s_addc_u32 s3, s17, 0
	s_and_b32 s10, s7, 28
	s_mov_b32 s11, 0
	s_mov_b64 s[4:5], s[16:17]
.LBB281_1104:                           ; =>This Inner Loop Header: Depth=1
	s_clause 0x1
	s_load_b256 s[36:43], s[4:5], 0x4
	s_load_b128 s[12:15], s[4:5], 0x24
	s_load_b256 s[44:51], s[2:3], 0x0
	s_add_u32 s4, s4, 48
	s_addc_u32 s5, s5, 0
	s_add_i32 s11, s11, 4
	s_add_u32 s2, s2, 32
	s_addc_u32 s3, s3, 0
	s_cmp_lg_u32 s10, s11
	s_waitcnt lgkmcnt(0)
	v_mul_hi_u32 v10, s37, v5
	s_delay_alu instid0(VALU_DEP_1) | instskip(NEXT) | instid1(VALU_DEP_1)
	v_add_nc_u32_e32 v10, v5, v10
	v_lshrrev_b32_e32 v10, s38, v10
	s_delay_alu instid0(VALU_DEP_1) | instskip(SKIP_1) | instid1(VALU_DEP_2)
	v_mul_hi_u32 v11, s40, v10
	v_mul_lo_u32 v13, v10, s36
	v_add_nc_u32_e32 v11, v10, v11
	s_delay_alu instid0(VALU_DEP_2) | instskip(NEXT) | instid1(VALU_DEP_2)
	v_sub_nc_u32_e32 v5, v5, v13
	v_lshrrev_b32_e32 v11, s41, v11
	s_delay_alu instid0(VALU_DEP_2) | instskip(SKIP_1) | instid1(VALU_DEP_3)
	v_mul_lo_u32 v13, v5, s44
	v_mul_lo_u32 v15, v5, s45
	v_mul_hi_u32 v12, s43, v11
	s_delay_alu instid0(VALU_DEP_1) | instskip(NEXT) | instid1(VALU_DEP_1)
	v_add_nc_u32_e32 v12, v11, v12
	v_lshrrev_b32_e32 v12, s12, v12
	s_delay_alu instid0(VALU_DEP_1) | instskip(SKIP_1) | instid1(VALU_DEP_2)
	v_mul_hi_u32 v14, s14, v12
	v_mul_lo_u32 v16, v12, s42
	v_add_nc_u32_e32 v5, v12, v14
	v_mul_lo_u32 v14, v11, s39
	s_delay_alu instid0(VALU_DEP_3) | instskip(NEXT) | instid1(VALU_DEP_3)
	v_sub_nc_u32_e32 v11, v11, v16
	v_lshrrev_b32_e32 v5, s15, v5
	s_delay_alu instid0(VALU_DEP_2) | instskip(SKIP_2) | instid1(VALU_DEP_4)
	v_mul_lo_u32 v16, v11, s48
	v_mul_lo_u32 v11, v11, s49
	v_sub_nc_u32_e32 v10, v10, v14
	v_mul_lo_u32 v17, v5, s13
	s_delay_alu instid0(VALU_DEP_2) | instskip(SKIP_1) | instid1(VALU_DEP_3)
	v_mul_lo_u32 v14, v10, s46
	v_mul_lo_u32 v10, v10, s47
	v_sub_nc_u32_e32 v12, v12, v17
	s_delay_alu instid0(VALU_DEP_3) | instskip(NEXT) | instid1(VALU_DEP_2)
	v_add3_u32 v0, v13, v0, v14
	v_mul_lo_u32 v17, v12, s50
	v_mul_lo_u32 v12, v12, s51
	v_add3_u32 v8, v15, v8, v10
	s_delay_alu instid0(VALU_DEP_3) | instskip(NEXT) | instid1(VALU_DEP_2)
	v_add3_u32 v0, v16, v0, v17
	v_add3_u32 v8, v11, v8, v12
	s_cbranch_scc1 .LBB281_1104
; %bb.1105:
	s_and_b32 s7, s7, 3
	s_delay_alu instid0(SALU_CYCLE_1)
	s_cmp_eq_u32 s7, 0
	s_cbranch_scc0 .LBB281_1108
	s_branch .LBB281_1110
.LBB281_1106:
	s_mov_b32 s6, -1
                                        ; implicit-def: $vgpr0
                                        ; implicit-def: $vgpr8
	s_branch .LBB281_1110
.LBB281_1107:
	v_dual_mov_b32 v5, v9 :: v_dual_mov_b32 v8, 0
	s_and_b32 s7, s7, 3
	s_delay_alu instid0(SALU_CYCLE_1)
	s_cmp_eq_u32 s7, 0
	s_cbranch_scc1 .LBB281_1110
.LBB281_1108:
	s_lshl_b32 s2, s10, 3
	s_mul_i32 s4, s10, 12
	s_add_u32 s2, s2, s16
	s_addc_u32 s3, 0, s17
	s_add_u32 s2, s2, 0xc4
	s_addc_u32 s3, s3, 0
	;; [unrolled: 2-line block ×3, first 2 shown]
	.p2align	6
.LBB281_1109:                           ; =>This Inner Loop Header: Depth=1
	s_clause 0x1
	s_load_b64 s[10:11], s[4:5], 0x4
	s_load_b32 s14, s[4:5], 0xc
	s_load_b64 s[12:13], s[2:3], 0x0
	s_add_u32 s4, s4, 12
	s_addc_u32 s5, s5, 0
	s_add_u32 s2, s2, 8
	s_addc_u32 s3, s3, 0
	s_add_i32 s7, s7, -1
	s_delay_alu instid0(SALU_CYCLE_1) | instskip(SKIP_2) | instid1(VALU_DEP_1)
	s_cmp_lg_u32 s7, 0
	s_waitcnt lgkmcnt(0)
	v_mul_hi_u32 v10, s11, v5
	v_add_nc_u32_e32 v10, v5, v10
	s_delay_alu instid0(VALU_DEP_1) | instskip(NEXT) | instid1(VALU_DEP_1)
	v_lshrrev_b32_e32 v13, s14, v10
	v_mul_lo_u32 v10, v13, s10
	s_delay_alu instid0(VALU_DEP_1) | instskip(NEXT) | instid1(VALU_DEP_1)
	v_sub_nc_u32_e32 v5, v5, v10
	v_mad_u64_u32 v[10:11], null, v5, s12, v[0:1]
	v_mad_u64_u32 v[11:12], null, v5, s13, v[8:9]
	s_delay_alu instid0(VALU_DEP_2) | instskip(NEXT) | instid1(VALU_DEP_2)
	v_dual_mov_b32 v5, v13 :: v_dual_mov_b32 v0, v10
	v_mov_b32_e32 v8, v11
	s_cbranch_scc1 .LBB281_1109
.LBB281_1110:
	s_and_not1_b32 vcc_lo, exec_lo, s6
	s_cbranch_vccnz .LBB281_1113
; %bb.1111:
	s_clause 0x1
	s_load_b128 s[4:7], s[16:17], 0x4
	s_load_b64 s[2:3], s[16:17], 0xc4
	s_cmp_lt_u32 s24, 2
	s_waitcnt lgkmcnt(0)
	v_mul_hi_u32 v0, s5, v9
	s_delay_alu instid0(VALU_DEP_1) | instskip(NEXT) | instid1(VALU_DEP_1)
	v_add_nc_u32_e32 v0, v9, v0
	v_lshrrev_b32_e32 v5, s6, v0
	s_delay_alu instid0(VALU_DEP_1) | instskip(NEXT) | instid1(VALU_DEP_1)
	v_mul_lo_u32 v0, v5, s4
	v_sub_nc_u32_e32 v8, v9, v0
	s_delay_alu instid0(VALU_DEP_1)
	v_mul_lo_u32 v0, v8, s2
	v_mul_lo_u32 v8, v8, s3
	s_cbranch_scc1 .LBB281_1113
; %bb.1112:
	s_clause 0x1
	s_load_b128 s[4:7], s[16:17], 0x10
	s_load_b64 s[2:3], s[16:17], 0xcc
	s_waitcnt lgkmcnt(0)
	v_mul_hi_u32 v9, s5, v5
	s_delay_alu instid0(VALU_DEP_1) | instskip(NEXT) | instid1(VALU_DEP_1)
	v_add_nc_u32_e32 v9, v5, v9
	v_lshrrev_b32_e32 v9, s6, v9
	s_delay_alu instid0(VALU_DEP_1) | instskip(NEXT) | instid1(VALU_DEP_1)
	v_mul_lo_u32 v9, v9, s4
	v_sub_nc_u32_e32 v5, v5, v9
	s_delay_alu instid0(VALU_DEP_1) | instskip(NEXT) | instid1(VALU_DEP_1)
	v_mad_u64_u32 v[9:10], null, v5, s2, v[0:1]
	v_mad_u64_u32 v[10:11], null, v5, s3, v[8:9]
	v_mov_b32_e32 v0, v9
	s_delay_alu instid0(VALU_DEP_2)
	v_mov_b32_e32 v8, v10
.LBB281_1113:
	s_clause 0x1
	s_load_b32 s0, s[0:1], 0x160
	s_load_b128 s[4:7], s[16:17], 0x148
	s_mov_b32 s10, 0
	s_waitcnt lgkmcnt(0)
	s_lshr_b32 s2, s0, 24
	s_waitcnt vmcnt(0)
	v_add_co_u32 v9, s3, s6, v4
	v_cmp_lt_i16_e64 s1, s2, 11
	v_add_co_ci_u32_e64 v10, null, s7, 0, s3
	s_delay_alu instid0(VALU_DEP_2)
	s_and_b32 vcc_lo, exec_lo, s1
	s_cbranch_vccnz .LBB281_1120
; %bb.1114:
	v_cmp_gt_i16_e64 s1, s2, 25
	s_mov_b32 s3, 0
	s_delay_alu instid0(VALU_DEP_1)
	s_and_b32 vcc_lo, exec_lo, s1
	s_cbranch_vccz .LBB281_1126
; %bb.1115:
	v_cmp_gt_i16_e64 s1, s2, 28
	s_delay_alu instid0(VALU_DEP_1)
	s_and_b32 vcc_lo, exec_lo, s1
	s_cbranch_vccz .LBB281_1128
; %bb.1116:
	v_cmp_gt_i16_e64 s1, s2, 43
	s_delay_alu instid0(VALU_DEP_1)
	s_and_b32 vcc_lo, exec_lo, s1
	s_cbranch_vccz .LBB281_1130
; %bb.1117:
	v_cmp_gt_i16_e64 s1, s2, 45
	s_delay_alu instid0(VALU_DEP_1)
	s_and_b32 vcc_lo, exec_lo, s1
	s_cbranch_vccz .LBB281_1134
; %bb.1118:
	v_cmp_eq_u16_e64 s1, s2, 46
	s_mov_b32 s11, 0
	s_delay_alu instid0(VALU_DEP_1)
	s_and_b32 vcc_lo, exec_lo, s1
	s_cbranch_vccz .LBB281_1176
; %bb.1119:
	global_load_b32 v4, v[9:10], off
	s_mov_b32 s1, 0
	s_mov_b32 s10, -1
	s_waitcnt vmcnt(0)
	v_lshlrev_b32_e32 v4, 16, v4
	s_delay_alu instid0(VALU_DEP_1) | instskip(NEXT) | instid1(VALU_DEP_1)
	v_trunc_f32_e32 v4, v4
	v_mul_f32_e64 v5, 0x2f800000, |v4|
	s_delay_alu instid0(VALU_DEP_1) | instskip(NEXT) | instid1(VALU_DEP_1)
	v_floor_f32_e32 v5, v5
	v_fma_f32 v5, 0xcf800000, v5, |v4|
	v_ashrrev_i32_e32 v4, 31, v4
	s_delay_alu instid0(VALU_DEP_2) | instskip(NEXT) | instid1(VALU_DEP_1)
	v_cvt_u32_f32_e32 v5, v5
	v_xor_b32_e32 v5, v5, v4
	s_delay_alu instid0(VALU_DEP_1)
	v_sub_nc_u32_e32 v4, v5, v4
	s_branch .LBB281_1178
.LBB281_1120:
	s_mov_b32 s1, s8
                                        ; implicit-def: $vgpr4
	s_cbranch_execz .LBB281_1236
; %bb.1121:
	v_cmp_lt_i16_e64 s3, s2, 5
	s_delay_alu instid0(VALU_DEP_1)
	s_and_b32 vcc_lo, exec_lo, s3
	s_cbranch_vccnz .LBB281_1127
; %bb.1122:
	v_cmp_lt_i16_e64 s3, s2, 8
	s_delay_alu instid0(VALU_DEP_1)
	s_and_b32 vcc_lo, exec_lo, s3
	s_cbranch_vccnz .LBB281_1129
	;; [unrolled: 5-line block ×3, first 2 shown]
; %bb.1124:
	v_cmp_gt_i16_e64 s3, s2, 9
	s_delay_alu instid0(VALU_DEP_1)
	s_and_b32 vcc_lo, exec_lo, s3
	s_cbranch_vccz .LBB281_1135
; %bb.1125:
	global_load_b64 v[4:5], v[9:10], off
	s_mov_b32 s3, 0
	s_waitcnt vmcnt(0)
	v_trunc_f64_e32 v[4:5], v[4:5]
	s_delay_alu instid0(VALU_DEP_1) | instskip(NEXT) | instid1(VALU_DEP_1)
	v_ldexp_f64 v[11:12], v[4:5], 0xffffffe0
	v_floor_f64_e32 v[11:12], v[11:12]
	s_delay_alu instid0(VALU_DEP_1) | instskip(NEXT) | instid1(VALU_DEP_1)
	v_fma_f64 v[4:5], 0xc1f00000, v[11:12], v[4:5]
	v_cvt_u32_f64_e32 v4, v[4:5]
	s_branch .LBB281_1136
.LBB281_1126:
	s_mov_b32 s1, 0
                                        ; implicit-def: $vgpr4
	s_cbranch_execnz .LBB281_1203
	s_branch .LBB281_1232
.LBB281_1127:
                                        ; implicit-def: $vgpr4
	s_branch .LBB281_1153
.LBB281_1128:
	s_mov_b32 s1, 0
                                        ; implicit-def: $vgpr4
	s_cbranch_execz .LBB281_1202
	s_branch .LBB281_1187
.LBB281_1129:
                                        ; implicit-def: $vgpr4
	s_branch .LBB281_1142
.LBB281_1130:
	s_mov_b32 s1, 0
                                        ; implicit-def: $vgpr4
	s_cbranch_execnz .LBB281_1183
	s_branch .LBB281_1186
.LBB281_1131:
	s_mov_b32 s3, -1
                                        ; implicit-def: $vgpr4
	s_branch .LBB281_1139
.LBB281_1132:
	s_cbranch_execnz .LBB281_1174
; %bb.1133:
	s_or_b32 s3, s3, exec_lo
	s_and_not1_b32 s8, s8, exec_lo
	s_or_b32 exec_lo, exec_lo, s2
	s_and_saveexec_b32 s2, s8
	s_delay_alu instid0(SALU_CYCLE_1)
	s_xor_b32 s2, exec_lo, s2
	s_cbranch_execnz .LBB281_1020
	s_branch .LBB281_1021
.LBB281_1134:
	s_mov_b32 s11, -1
	s_mov_b32 s1, 0
	s_branch .LBB281_1177
.LBB281_1135:
	s_mov_b32 s3, -1
                                        ; implicit-def: $vgpr4
.LBB281_1136:
	s_delay_alu instid0(SALU_CYCLE_1)
	s_and_not1_b32 vcc_lo, exec_lo, s3
	s_cbranch_vccnz .LBB281_1138
; %bb.1137:
	global_load_b32 v4, v[9:10], off
	s_waitcnt vmcnt(0)
	v_trunc_f32_e32 v4, v4
	s_delay_alu instid0(VALU_DEP_1) | instskip(NEXT) | instid1(VALU_DEP_1)
	v_mul_f32_e64 v5, 0x2f800000, |v4|
	v_floor_f32_e32 v5, v5
	s_delay_alu instid0(VALU_DEP_1) | instskip(SKIP_1) | instid1(VALU_DEP_2)
	v_fma_f32 v5, 0xcf800000, v5, |v4|
	v_ashrrev_i32_e32 v4, 31, v4
	v_cvt_u32_f32_e32 v5, v5
	s_delay_alu instid0(VALU_DEP_1) | instskip(NEXT) | instid1(VALU_DEP_1)
	v_xor_b32_e32 v5, v5, v4
	v_sub_nc_u32_e32 v4, v5, v4
.LBB281_1138:
	s_mov_b32 s3, 0
.LBB281_1139:
	s_delay_alu instid0(SALU_CYCLE_1)
	s_and_not1_b32 vcc_lo, exec_lo, s3
	s_cbranch_vccnz .LBB281_1141
; %bb.1140:
	global_load_b32 v4, v[9:10], off
	s_waitcnt vmcnt(0)
	v_cvt_f32_f16_e32 v4, v4
	s_delay_alu instid0(VALU_DEP_1)
	v_cvt_i32_f32_e32 v4, v4
.LBB281_1141:
	s_cbranch_execnz .LBB281_1152
.LBB281_1142:
	v_cmp_lt_i16_e64 s3, s2, 6
	s_delay_alu instid0(VALU_DEP_1)
	s_and_b32 vcc_lo, exec_lo, s3
	s_cbranch_vccnz .LBB281_1145
; %bb.1143:
	v_cmp_gt_i16_e64 s3, s2, 6
	s_delay_alu instid0(VALU_DEP_1)
	s_and_b32 vcc_lo, exec_lo, s3
	s_cbranch_vccz .LBB281_1146
; %bb.1144:
	global_load_b64 v[4:5], v[9:10], off
	s_mov_b32 s3, 0
	s_waitcnt vmcnt(0)
	v_trunc_f64_e32 v[4:5], v[4:5]
	s_delay_alu instid0(VALU_DEP_1) | instskip(NEXT) | instid1(VALU_DEP_1)
	v_ldexp_f64 v[11:12], v[4:5], 0xffffffe0
	v_floor_f64_e32 v[11:12], v[11:12]
	s_delay_alu instid0(VALU_DEP_1) | instskip(NEXT) | instid1(VALU_DEP_1)
	v_fma_f64 v[4:5], 0xc1f00000, v[11:12], v[4:5]
	v_cvt_u32_f64_e32 v4, v[4:5]
	s_branch .LBB281_1147
.LBB281_1145:
	s_mov_b32 s3, -1
                                        ; implicit-def: $vgpr4
	s_branch .LBB281_1150
.LBB281_1146:
	s_mov_b32 s3, -1
                                        ; implicit-def: $vgpr4
.LBB281_1147:
	s_delay_alu instid0(SALU_CYCLE_1)
	s_and_not1_b32 vcc_lo, exec_lo, s3
	s_cbranch_vccnz .LBB281_1149
; %bb.1148:
	global_load_b32 v4, v[9:10], off
	s_waitcnt vmcnt(0)
	v_trunc_f32_e32 v4, v4
	s_delay_alu instid0(VALU_DEP_1) | instskip(NEXT) | instid1(VALU_DEP_1)
	v_mul_f32_e64 v5, 0x2f800000, |v4|
	v_floor_f32_e32 v5, v5
	s_delay_alu instid0(VALU_DEP_1) | instskip(SKIP_1) | instid1(VALU_DEP_2)
	v_fma_f32 v5, 0xcf800000, v5, |v4|
	v_ashrrev_i32_e32 v4, 31, v4
	v_cvt_u32_f32_e32 v5, v5
	s_delay_alu instid0(VALU_DEP_1) | instskip(NEXT) | instid1(VALU_DEP_1)
	v_xor_b32_e32 v5, v5, v4
	v_sub_nc_u32_e32 v4, v5, v4
.LBB281_1149:
	s_mov_b32 s3, 0
.LBB281_1150:
	s_delay_alu instid0(SALU_CYCLE_1)
	s_and_not1_b32 vcc_lo, exec_lo, s3
	s_cbranch_vccnz .LBB281_1152
; %bb.1151:
	global_load_u16 v4, v[9:10], off
	s_waitcnt vmcnt(0)
	v_cvt_f32_f16_e32 v4, v4
	s_delay_alu instid0(VALU_DEP_1)
	v_cvt_i32_f32_e32 v4, v4
.LBB281_1152:
	s_cbranch_execnz .LBB281_1171
.LBB281_1153:
	v_cmp_lt_i16_e64 s3, s2, 2
	s_delay_alu instid0(VALU_DEP_1)
	s_and_b32 vcc_lo, exec_lo, s3
	s_cbranch_vccnz .LBB281_1157
; %bb.1154:
	v_cmp_lt_i16_e64 s3, s2, 3
	s_delay_alu instid0(VALU_DEP_1)
	s_and_b32 vcc_lo, exec_lo, s3
	s_cbranch_vccnz .LBB281_1158
; %bb.1155:
	v_cmp_gt_i16_e64 s3, s2, 3
	s_delay_alu instid0(VALU_DEP_1)
	s_and_b32 vcc_lo, exec_lo, s3
	s_cbranch_vccz .LBB281_1159
; %bb.1156:
	global_load_b64 v[4:5], v[9:10], off
	s_mov_b32 s3, 0
	s_branch .LBB281_1160
.LBB281_1157:
                                        ; implicit-def: $vgpr4
	s_branch .LBB281_1166
.LBB281_1158:
	s_mov_b32 s3, -1
                                        ; implicit-def: $vgpr4
	s_branch .LBB281_1163
.LBB281_1159:
	s_mov_b32 s3, -1
                                        ; implicit-def: $vgpr4
.LBB281_1160:
	s_delay_alu instid0(SALU_CYCLE_1)
	s_and_not1_b32 vcc_lo, exec_lo, s3
	s_cbranch_vccnz .LBB281_1162
; %bb.1161:
	global_load_b32 v4, v[9:10], off
.LBB281_1162:
	s_mov_b32 s3, 0
.LBB281_1163:
	s_delay_alu instid0(SALU_CYCLE_1)
	s_and_not1_b32 vcc_lo, exec_lo, s3
	s_cbranch_vccnz .LBB281_1165
; %bb.1164:
	global_load_u16 v4, v[9:10], off
.LBB281_1165:
	s_cbranch_execnz .LBB281_1171
.LBB281_1166:
	v_cmp_gt_i16_e64 s3, s2, 0
	s_delay_alu instid0(VALU_DEP_1)
	s_and_b32 vcc_lo, exec_lo, s3
	s_mov_b32 s3, 0
	s_cbranch_vccz .LBB281_1168
; %bb.1167:
	global_load_u8 v4, v[9:10], off
	s_branch .LBB281_1169
.LBB281_1168:
	s_mov_b32 s3, -1
                                        ; implicit-def: $vgpr4
.LBB281_1169:
	s_delay_alu instid0(SALU_CYCLE_1)
	s_and_not1_b32 vcc_lo, exec_lo, s3
	s_cbranch_vccnz .LBB281_1171
; %bb.1170:
	global_load_u8 v4, v[9:10], off
.LBB281_1171:
	s_branch .LBB281_1237
.LBB281_1172:
	s_trap 2
	s_sendmsg_rtn_b32 s0, sendmsg(MSG_RTN_GET_DOORBELL)
	s_mov_b32 ttmp2, m0
	s_waitcnt lgkmcnt(0)
	s_and_b32 s0, s0, 0x3ff
	s_delay_alu instid0(SALU_CYCLE_1) | instskip(NEXT) | instid1(SALU_CYCLE_1)
	s_bitset1_b32 s0, 10
	s_mov_b32 m0, s0
	s_sendmsg sendmsg(MSG_INTERRUPT)
	s_mov_b32 m0, ttmp2
.LBB281_1173:                           ; =>This Inner Loop Header: Depth=1
	s_sethalt 5
	s_branch .LBB281_1173
.LBB281_1174:
	s_trap 2
	s_sendmsg_rtn_b32 s0, sendmsg(MSG_RTN_GET_DOORBELL)
	s_mov_b32 ttmp2, m0
	s_waitcnt lgkmcnt(0)
	s_and_b32 s0, s0, 0x3ff
	s_delay_alu instid0(SALU_CYCLE_1) | instskip(NEXT) | instid1(SALU_CYCLE_1)
	s_bitset1_b32 s0, 10
	s_mov_b32 m0, s0
	s_sendmsg sendmsg(MSG_INTERRUPT)
	s_mov_b32 m0, ttmp2
.LBB281_1175:                           ; =>This Inner Loop Header: Depth=1
	s_sethalt 5
	s_branch .LBB281_1175
.LBB281_1176:
	s_mov_b32 s1, -1
.LBB281_1177:
                                        ; implicit-def: $vgpr4
.LBB281_1178:
	s_and_b32 vcc_lo, exec_lo, s11
	s_cbranch_vccz .LBB281_1181
; %bb.1179:
	v_cmp_eq_u16_e64 s1, s2, 44
	s_delay_alu instid0(VALU_DEP_1)
	s_and_b32 vcc_lo, exec_lo, s1
	s_cbranch_vccz .LBB281_1182
; %bb.1180:
	global_load_u8 v4, v[9:10], off
	s_mov_b32 s1, 0
	s_mov_b32 s10, -1
	s_waitcnt vmcnt(0)
	v_lshlrev_b32_e32 v5, 23, v4
	v_cmp_ne_u32_e32 vcc_lo, 0, v4
	s_delay_alu instid0(VALU_DEP_2) | instskip(NEXT) | instid1(VALU_DEP_1)
	v_trunc_f32_e32 v5, v5
	v_mul_f32_e64 v11, 0x2f800000, |v5|
	s_delay_alu instid0(VALU_DEP_1) | instskip(NEXT) | instid1(VALU_DEP_1)
	v_floor_f32_e32 v11, v11
	v_fma_f32 v11, 0xcf800000, v11, |v5|
	v_ashrrev_i32_e32 v5, 31, v5
	s_delay_alu instid0(VALU_DEP_2) | instskip(NEXT) | instid1(VALU_DEP_1)
	v_cvt_u32_f32_e32 v11, v11
	v_xor_b32_e32 v11, v11, v5
	s_delay_alu instid0(VALU_DEP_1) | instskip(NEXT) | instid1(VALU_DEP_1)
	v_sub_nc_u32_e32 v5, v11, v5
	v_cndmask_b32_e32 v4, 0, v5, vcc_lo
.LBB281_1181:
	s_branch .LBB281_1186
.LBB281_1182:
	s_mov_b32 s1, -1
                                        ; implicit-def: $vgpr4
	s_branch .LBB281_1186
.LBB281_1183:
	v_cmp_eq_u16_e64 s1, s2, 29
	s_delay_alu instid0(VALU_DEP_1)
	s_and_b32 vcc_lo, exec_lo, s1
	s_cbranch_vccz .LBB281_1185
; %bb.1184:
	global_load_b64 v[4:5], v[9:10], off
	s_mov_b32 s1, 0
	s_mov_b32 s10, -1
	s_branch .LBB281_1186
.LBB281_1185:
	s_mov_b32 s1, -1
                                        ; implicit-def: $vgpr4
.LBB281_1186:
	s_branch .LBB281_1202
.LBB281_1187:
	v_cmp_lt_i16_e64 s10, s2, 27
	s_delay_alu instid0(VALU_DEP_1)
	s_and_b32 vcc_lo, exec_lo, s10
	s_cbranch_vccnz .LBB281_1190
; %bb.1188:
	v_cmp_gt_i16_e64 s10, s2, 27
	s_delay_alu instid0(VALU_DEP_1)
	s_and_b32 vcc_lo, exec_lo, s10
	s_cbranch_vccz .LBB281_1191
; %bb.1189:
	global_load_b32 v4, v[9:10], off
	s_mov_b32 s10, 0
	s_branch .LBB281_1192
.LBB281_1190:
	s_mov_b32 s10, -1
                                        ; implicit-def: $vgpr4
	s_branch .LBB281_1195
.LBB281_1191:
	s_mov_b32 s10, -1
                                        ; implicit-def: $vgpr4
.LBB281_1192:
	s_delay_alu instid0(SALU_CYCLE_1)
	s_and_not1_b32 vcc_lo, exec_lo, s10
	s_cbranch_vccnz .LBB281_1194
; %bb.1193:
	global_load_u16 v4, v[9:10], off
.LBB281_1194:
	s_mov_b32 s10, 0
.LBB281_1195:
	s_delay_alu instid0(SALU_CYCLE_1)
	s_and_not1_b32 vcc_lo, exec_lo, s10
	s_cbranch_vccnz .LBB281_1201
; %bb.1196:
	global_load_u8 v5, v[9:10], off
	s_mov_b32 s11, 0
	s_mov_b32 s10, exec_lo
                                        ; implicit-def: $sgpr12
	s_waitcnt vmcnt(0)
	v_cmpx_lt_i16_e32 0x7f, v5
	s_xor_b32 s10, exec_lo, s10
	s_cbranch_execz .LBB281_1212
; %bb.1197:
	v_cmp_ne_u16_e32 vcc_lo, 0x80, v5
	s_mov_b32 s12, 0
	s_and_b32 s11, vcc_lo, exec_lo
	s_or_saveexec_b32 s10, s10
	v_mov_b32_e32 v4, s12
	s_xor_b32 exec_lo, exec_lo, s10
	s_cbranch_execnz .LBB281_1213
.LBB281_1198:
	s_or_b32 exec_lo, exec_lo, s10
	s_and_saveexec_b32 s10, s11
	s_cbranch_execz .LBB281_1200
.LBB281_1199:
	v_and_b32_e32 v4, 0xffff, v5
	v_lshlrev_b32_e32 v5, 24, v5
	s_delay_alu instid0(VALU_DEP_2) | instskip(NEXT) | instid1(VALU_DEP_2)
	v_and_b32_e32 v11, 7, v4
	v_and_b32_e32 v5, 0x80000000, v5
	s_delay_alu instid0(VALU_DEP_2) | instskip(NEXT) | instid1(VALU_DEP_1)
	v_clz_i32_u32_e32 v12, v11
	v_min_u32_e32 v12, 32, v12
	s_delay_alu instid0(VALU_DEP_1) | instskip(SKIP_1) | instid1(VALU_DEP_2)
	v_subrev_nc_u32_e32 v13, 28, v12
	v_sub_nc_u32_e32 v12, 29, v12
	v_lshlrev_b32_e32 v13, v13, v4
	v_bfe_u32 v4, v4, 3, 4
	s_delay_alu instid0(VALU_DEP_1) | instskip(NEXT) | instid1(VALU_DEP_3)
	v_cmp_eq_u32_e32 vcc_lo, 0, v4
	v_dual_cndmask_b32 v4, v4, v12 :: v_dual_and_b32 v13, 7, v13
	s_delay_alu instid0(VALU_DEP_1) | instskip(NEXT) | instid1(VALU_DEP_2)
	v_cndmask_b32_e32 v11, v11, v13, vcc_lo
	v_lshl_add_u32 v4, v4, 23, 0x3b800000
	s_delay_alu instid0(VALU_DEP_2) | instskip(NEXT) | instid1(VALU_DEP_1)
	v_lshlrev_b32_e32 v11, 20, v11
	v_or3_b32 v4, v5, v4, v11
	s_delay_alu instid0(VALU_DEP_1) | instskip(NEXT) | instid1(VALU_DEP_1)
	v_trunc_f32_e32 v4, v4
	v_mul_f32_e64 v5, 0x2f800000, |v4|
	s_delay_alu instid0(VALU_DEP_1) | instskip(NEXT) | instid1(VALU_DEP_1)
	v_floor_f32_e32 v5, v5
	v_fma_f32 v5, 0xcf800000, v5, |v4|
	v_ashrrev_i32_e32 v4, 31, v4
	s_delay_alu instid0(VALU_DEP_2) | instskip(NEXT) | instid1(VALU_DEP_1)
	v_cvt_u32_f32_e32 v5, v5
	v_xor_b32_e32 v5, v5, v4
	s_delay_alu instid0(VALU_DEP_1)
	v_sub_nc_u32_e32 v4, v5, v4
.LBB281_1200:
	s_or_b32 exec_lo, exec_lo, s10
.LBB281_1201:
	s_mov_b32 s10, -1
.LBB281_1202:
	s_branch .LBB281_1232
.LBB281_1203:
	v_cmp_gt_i16_e64 s3, s2, 22
	s_delay_alu instid0(VALU_DEP_1)
	s_and_b32 vcc_lo, exec_lo, s3
	s_cbranch_vccz .LBB281_1211
; %bb.1204:
	v_cmp_lt_i16_e64 s3, s2, 24
	s_delay_alu instid0(VALU_DEP_1)
	s_and_b32 vcc_lo, exec_lo, s3
	s_cbranch_vccnz .LBB281_1214
; %bb.1205:
	v_cmp_gt_i16_e64 s3, s2, 24
	s_delay_alu instid0(VALU_DEP_1)
	s_and_b32 vcc_lo, exec_lo, s3
	s_cbranch_vccz .LBB281_1215
; %bb.1206:
	global_load_u8 v5, v[9:10], off
	s_mov_b32 s10, 0
	s_mov_b32 s3, exec_lo
                                        ; implicit-def: $sgpr11
	s_waitcnt vmcnt(0)
	v_cmpx_lt_i16_e32 0x7f, v5
	s_xor_b32 s3, exec_lo, s3
	s_cbranch_execz .LBB281_1226
; %bb.1207:
	v_cmp_ne_u16_e32 vcc_lo, 0x80, v5
	s_mov_b32 s11, 0
	s_and_b32 s10, vcc_lo, exec_lo
	s_or_saveexec_b32 s3, s3
	v_mov_b32_e32 v4, s11
	s_xor_b32 exec_lo, exec_lo, s3
	s_cbranch_execnz .LBB281_1227
.LBB281_1208:
	s_or_b32 exec_lo, exec_lo, s3
	s_and_saveexec_b32 s3, s10
	s_cbranch_execz .LBB281_1210
.LBB281_1209:
	v_and_b32_e32 v4, 0xffff, v5
	v_lshlrev_b32_e32 v5, 24, v5
	s_delay_alu instid0(VALU_DEP_2) | instskip(NEXT) | instid1(VALU_DEP_2)
	v_and_b32_e32 v11, 3, v4
	v_and_b32_e32 v5, 0x80000000, v5
	s_delay_alu instid0(VALU_DEP_2) | instskip(NEXT) | instid1(VALU_DEP_1)
	v_clz_i32_u32_e32 v12, v11
	v_min_u32_e32 v12, 32, v12
	s_delay_alu instid0(VALU_DEP_1) | instskip(SKIP_1) | instid1(VALU_DEP_2)
	v_subrev_nc_u32_e32 v13, 29, v12
	v_sub_nc_u32_e32 v12, 30, v12
	v_lshlrev_b32_e32 v13, v13, v4
	v_bfe_u32 v4, v4, 2, 5
	s_delay_alu instid0(VALU_DEP_1) | instskip(NEXT) | instid1(VALU_DEP_3)
	v_cmp_eq_u32_e32 vcc_lo, 0, v4
	v_dual_cndmask_b32 v4, v4, v12 :: v_dual_and_b32 v13, 3, v13
	s_delay_alu instid0(VALU_DEP_1) | instskip(NEXT) | instid1(VALU_DEP_2)
	v_cndmask_b32_e32 v11, v11, v13, vcc_lo
	v_lshl_add_u32 v4, v4, 23, 0x37800000
	s_delay_alu instid0(VALU_DEP_2) | instskip(NEXT) | instid1(VALU_DEP_1)
	v_lshlrev_b32_e32 v11, 21, v11
	v_or3_b32 v4, v5, v4, v11
	s_delay_alu instid0(VALU_DEP_1) | instskip(NEXT) | instid1(VALU_DEP_1)
	v_trunc_f32_e32 v4, v4
	v_mul_f32_e64 v5, 0x2f800000, |v4|
	s_delay_alu instid0(VALU_DEP_1) | instskip(NEXT) | instid1(VALU_DEP_1)
	v_floor_f32_e32 v5, v5
	v_fma_f32 v5, 0xcf800000, v5, |v4|
	v_ashrrev_i32_e32 v4, 31, v4
	s_delay_alu instid0(VALU_DEP_2) | instskip(NEXT) | instid1(VALU_DEP_1)
	v_cvt_u32_f32_e32 v5, v5
	v_xor_b32_e32 v5, v5, v4
	s_delay_alu instid0(VALU_DEP_1)
	v_sub_nc_u32_e32 v4, v5, v4
.LBB281_1210:
	s_or_b32 exec_lo, exec_lo, s3
	s_mov_b32 s3, 0
	s_branch .LBB281_1216
.LBB281_1211:
                                        ; implicit-def: $vgpr4
	s_mov_b32 s3, 0
	s_branch .LBB281_1222
.LBB281_1212:
	s_or_saveexec_b32 s10, s10
	v_mov_b32_e32 v4, s12
	s_xor_b32 exec_lo, exec_lo, s10
	s_cbranch_execz .LBB281_1198
.LBB281_1213:
	v_cmp_ne_u16_e32 vcc_lo, 0, v5
	v_mov_b32_e32 v4, 0
	s_and_not1_b32 s11, s11, exec_lo
	s_and_b32 s12, vcc_lo, exec_lo
	s_delay_alu instid0(SALU_CYCLE_1)
	s_or_b32 s11, s11, s12
	s_or_b32 exec_lo, exec_lo, s10
	s_and_saveexec_b32 s10, s11
	s_cbranch_execnz .LBB281_1199
	s_branch .LBB281_1200
.LBB281_1214:
	s_mov_b32 s3, -1
                                        ; implicit-def: $vgpr4
	s_branch .LBB281_1219
.LBB281_1215:
	s_mov_b32 s3, -1
                                        ; implicit-def: $vgpr4
.LBB281_1216:
	s_delay_alu instid0(SALU_CYCLE_1)
	s_and_b32 vcc_lo, exec_lo, s3
	s_cbranch_vccz .LBB281_1218
; %bb.1217:
	global_load_u8 v4, v[9:10], off
	s_waitcnt vmcnt(0)
	v_lshlrev_b32_e32 v4, 24, v4
	s_delay_alu instid0(VALU_DEP_1) | instskip(NEXT) | instid1(VALU_DEP_1)
	v_and_b32_e32 v5, 0x7f000000, v4
	v_clz_i32_u32_e32 v11, v5
	v_add_nc_u32_e32 v13, 0x1000000, v5
	v_cmp_ne_u32_e32 vcc_lo, 0, v5
	s_delay_alu instid0(VALU_DEP_3) | instskip(NEXT) | instid1(VALU_DEP_1)
	v_min_u32_e32 v11, 32, v11
	v_sub_nc_u32_e64 v11, v11, 4 clamp
	s_delay_alu instid0(VALU_DEP_1) | instskip(SKIP_1) | instid1(VALU_DEP_2)
	v_lshlrev_b32_e32 v12, v11, v5
	v_lshlrev_b32_e32 v11, 23, v11
	v_lshrrev_b32_e32 v12, 4, v12
	s_delay_alu instid0(VALU_DEP_1) | instskip(SKIP_1) | instid1(VALU_DEP_2)
	v_sub_nc_u32_e32 v11, v12, v11
	v_ashrrev_i32_e32 v12, 8, v13
	v_add_nc_u32_e32 v11, 0x3c000000, v11
	s_delay_alu instid0(VALU_DEP_1) | instskip(NEXT) | instid1(VALU_DEP_1)
	v_and_or_b32 v11, 0x7f800000, v12, v11
	v_cndmask_b32_e32 v5, 0, v11, vcc_lo
	s_delay_alu instid0(VALU_DEP_1) | instskip(NEXT) | instid1(VALU_DEP_1)
	v_and_or_b32 v4, 0x80000000, v4, v5
	v_trunc_f32_e32 v4, v4
	s_delay_alu instid0(VALU_DEP_1) | instskip(NEXT) | instid1(VALU_DEP_1)
	v_mul_f32_e64 v5, 0x2f800000, |v4|
	v_floor_f32_e32 v5, v5
	s_delay_alu instid0(VALU_DEP_1) | instskip(SKIP_1) | instid1(VALU_DEP_2)
	v_fma_f32 v5, 0xcf800000, v5, |v4|
	v_ashrrev_i32_e32 v4, 31, v4
	v_cvt_u32_f32_e32 v5, v5
	s_delay_alu instid0(VALU_DEP_1) | instskip(NEXT) | instid1(VALU_DEP_1)
	v_xor_b32_e32 v5, v5, v4
	v_sub_nc_u32_e32 v4, v5, v4
.LBB281_1218:
	s_mov_b32 s3, 0
.LBB281_1219:
	s_delay_alu instid0(SALU_CYCLE_1)
	s_and_not1_b32 vcc_lo, exec_lo, s3
	s_cbranch_vccnz .LBB281_1221
; %bb.1220:
	global_load_u8 v4, v[9:10], off
	s_waitcnt vmcnt(0)
	v_lshlrev_b32_e32 v5, 25, v4
	v_lshlrev_b16 v4, 8, v4
	s_delay_alu instid0(VALU_DEP_2) | instskip(NEXT) | instid1(VALU_DEP_2)
	v_lshrrev_b32_e32 v11, 4, v5
	v_and_or_b32 v12, 0x7f00, v4, 0.5
	v_cmp_gt_u32_e32 vcc_lo, 0x8000000, v5
	v_bfe_i32 v4, v4, 0, 16
	s_delay_alu instid0(VALU_DEP_4) | instskip(NEXT) | instid1(VALU_DEP_1)
	v_or_b32_e32 v11, 0x70000000, v11
	v_dual_add_f32 v12, -0.5, v12 :: v_dual_mul_f32 v11, 0x7800000, v11
	s_delay_alu instid0(VALU_DEP_1) | instskip(NEXT) | instid1(VALU_DEP_1)
	v_cndmask_b32_e32 v5, v11, v12, vcc_lo
	v_and_or_b32 v4, 0x80000000, v4, v5
	s_delay_alu instid0(VALU_DEP_1) | instskip(NEXT) | instid1(VALU_DEP_1)
	v_trunc_f32_e32 v4, v4
	v_mul_f32_e64 v5, 0x2f800000, |v4|
	s_delay_alu instid0(VALU_DEP_1) | instskip(NEXT) | instid1(VALU_DEP_1)
	v_floor_f32_e32 v5, v5
	v_fma_f32 v5, 0xcf800000, v5, |v4|
	v_ashrrev_i32_e32 v4, 31, v4
	s_delay_alu instid0(VALU_DEP_2) | instskip(NEXT) | instid1(VALU_DEP_1)
	v_cvt_u32_f32_e32 v5, v5
	v_xor_b32_e32 v5, v5, v4
	s_delay_alu instid0(VALU_DEP_1)
	v_sub_nc_u32_e32 v4, v5, v4
.LBB281_1221:
	s_mov_b32 s10, -1
	s_mov_b32 s3, 0
	s_cbranch_execnz .LBB281_1232
.LBB281_1222:
	v_cmp_gt_i16_e64 s3, s2, 14
	s_delay_alu instid0(VALU_DEP_1)
	s_and_b32 vcc_lo, exec_lo, s3
	s_cbranch_vccz .LBB281_1225
; %bb.1223:
	v_cmp_eq_u16_e64 s1, s2, 15
	s_delay_alu instid0(VALU_DEP_1)
	s_and_b32 vcc_lo, exec_lo, s1
	s_cbranch_vccz .LBB281_1228
; %bb.1224:
	global_load_u16 v4, v[9:10], off
	s_mov_b32 s1, 0
	s_mov_b32 s10, -1
	s_waitcnt vmcnt(0)
	v_lshlrev_b32_e32 v4, 16, v4
	s_delay_alu instid0(VALU_DEP_1) | instskip(NEXT) | instid1(VALU_DEP_1)
	v_trunc_f32_e32 v4, v4
	v_mul_f32_e64 v5, 0x2f800000, |v4|
	s_delay_alu instid0(VALU_DEP_1) | instskip(NEXT) | instid1(VALU_DEP_1)
	v_floor_f32_e32 v5, v5
	v_fma_f32 v5, 0xcf800000, v5, |v4|
	v_ashrrev_i32_e32 v4, 31, v4
	s_delay_alu instid0(VALU_DEP_2) | instskip(NEXT) | instid1(VALU_DEP_1)
	v_cvt_u32_f32_e32 v5, v5
	v_xor_b32_e32 v5, v5, v4
	s_delay_alu instid0(VALU_DEP_1)
	v_sub_nc_u32_e32 v4, v5, v4
	s_branch .LBB281_1229
.LBB281_1225:
	s_mov_b32 s3, -1
                                        ; implicit-def: $vgpr4
	s_branch .LBB281_1230
.LBB281_1226:
	s_or_saveexec_b32 s3, s3
	v_mov_b32_e32 v4, s11
	s_xor_b32 exec_lo, exec_lo, s3
	s_cbranch_execz .LBB281_1208
.LBB281_1227:
	v_cmp_ne_u16_e32 vcc_lo, 0, v5
	v_mov_b32_e32 v4, 0
	s_and_not1_b32 s10, s10, exec_lo
	s_and_b32 s11, vcc_lo, exec_lo
	s_delay_alu instid0(SALU_CYCLE_1)
	s_or_b32 s10, s10, s11
	s_or_b32 exec_lo, exec_lo, s3
	s_and_saveexec_b32 s3, s10
	s_cbranch_execnz .LBB281_1209
	s_branch .LBB281_1210
.LBB281_1228:
	s_mov_b32 s1, -1
                                        ; implicit-def: $vgpr4
.LBB281_1229:
	s_mov_b32 s3, 0
.LBB281_1230:
	s_delay_alu instid0(SALU_CYCLE_1)
	s_and_b32 vcc_lo, exec_lo, s3
	s_mov_b32 s3, 0
	s_cbranch_vccz .LBB281_1232
; %bb.1231:
	v_cmp_ne_u16_e64 s1, s2, 11
	s_mov_b32 s3, -1
                                        ; implicit-def: $vgpr4
.LBB281_1232:
	s_delay_alu instid0(VALU_DEP_1)
	s_and_b32 vcc_lo, exec_lo, s1
	s_mov_b32 s1, s8
	s_cbranch_vccnz .LBB281_1256
; %bb.1233:
	s_and_not1_b32 vcc_lo, exec_lo, s3
	s_cbranch_vccnz .LBB281_1235
.LBB281_1234:
	global_load_u8 v4, v[9:10], off
	s_mov_b32 s10, -1
	s_waitcnt vmcnt(0)
	v_cmp_ne_u16_e32 vcc_lo, 0, v4
	v_cndmask_b32_e64 v4, 0, 1, vcc_lo
.LBB281_1235:
.LBB281_1236:
	s_and_not1_b32 vcc_lo, exec_lo, s10
	s_cbranch_vccnz .LBB281_2057
.LBB281_1237:
	v_cmp_lt_i16_e64 s3, s2, 11
	v_add_co_u32 v9, s10, s6, v6
	s_delay_alu instid0(VALU_DEP_1) | instskip(NEXT) | instid1(VALU_DEP_3)
	v_add_co_ci_u32_e64 v10, null, s7, 0, s10
	s_and_b32 vcc_lo, exec_lo, s3
	s_mov_b32 s11, 0
	s_cbranch_vccnz .LBB281_1244
; %bb.1238:
	v_cmp_gt_i16_e64 s3, s2, 25
	s_mov_b32 s10, 0
	s_delay_alu instid0(VALU_DEP_1)
	s_and_b32 vcc_lo, exec_lo, s3
	s_cbranch_vccz .LBB281_1250
; %bb.1239:
	v_cmp_gt_i16_e64 s3, s2, 28
	s_delay_alu instid0(VALU_DEP_1)
	s_and_b32 vcc_lo, exec_lo, s3
	s_cbranch_vccz .LBB281_1252
; %bb.1240:
	v_cmp_gt_i16_e64 s3, s2, 43
	;; [unrolled: 5-line block ×3, first 2 shown]
	s_delay_alu instid0(VALU_DEP_1)
	s_and_b32 vcc_lo, exec_lo, s3
	s_cbranch_vccz .LBB281_1260
; %bb.1242:
	v_cmp_eq_u16_e64 s3, s2, 46
	s_mov_b32 s12, 0
	s_delay_alu instid0(VALU_DEP_1)
	s_and_b32 vcc_lo, exec_lo, s3
	s_cbranch_vccz .LBB281_1304
; %bb.1243:
	global_load_b32 v5, v[9:10], off
	s_mov_b32 s3, 0
	s_mov_b32 s11, -1
	s_waitcnt vmcnt(0)
	v_lshlrev_b32_e32 v5, 16, v5
	s_delay_alu instid0(VALU_DEP_1) | instskip(NEXT) | instid1(VALU_DEP_1)
	v_trunc_f32_e32 v5, v5
	v_mul_f32_e64 v6, 0x2f800000, |v5|
	s_delay_alu instid0(VALU_DEP_1) | instskip(NEXT) | instid1(VALU_DEP_1)
	v_floor_f32_e32 v6, v6
	v_fma_f32 v6, 0xcf800000, v6, |v5|
	v_ashrrev_i32_e32 v5, 31, v5
	s_delay_alu instid0(VALU_DEP_2) | instskip(NEXT) | instid1(VALU_DEP_1)
	v_cvt_u32_f32_e32 v6, v6
	v_xor_b32_e32 v6, v6, v5
	s_delay_alu instid0(VALU_DEP_1)
	v_sub_nc_u32_e32 v5, v6, v5
	s_branch .LBB281_1306
.LBB281_1244:
                                        ; implicit-def: $vgpr5
	s_cbranch_execz .LBB281_1367
; %bb.1245:
	v_cmp_lt_i16_e64 s3, s2, 5
	s_delay_alu instid0(VALU_DEP_1)
	s_and_b32 vcc_lo, exec_lo, s3
	s_cbranch_vccnz .LBB281_1251
; %bb.1246:
	v_cmp_lt_i16_e64 s3, s2, 8
	s_delay_alu instid0(VALU_DEP_1)
	s_and_b32 vcc_lo, exec_lo, s3
	s_cbranch_vccnz .LBB281_1253
	;; [unrolled: 5-line block ×3, first 2 shown]
; %bb.1248:
	v_cmp_gt_i16_e64 s3, s2, 9
	s_delay_alu instid0(VALU_DEP_1)
	s_and_b32 vcc_lo, exec_lo, s3
	s_cbranch_vccz .LBB281_1261
; %bb.1249:
	global_load_b64 v[5:6], v[9:10], off
	s_mov_b32 s3, 0
	s_waitcnt vmcnt(0)
	v_trunc_f64_e32 v[5:6], v[5:6]
	s_delay_alu instid0(VALU_DEP_1) | instskip(NEXT) | instid1(VALU_DEP_1)
	v_ldexp_f64 v[11:12], v[5:6], 0xffffffe0
	v_floor_f64_e32 v[11:12], v[11:12]
	s_delay_alu instid0(VALU_DEP_1) | instskip(NEXT) | instid1(VALU_DEP_1)
	v_fma_f64 v[5:6], 0xc1f00000, v[11:12], v[5:6]
	v_cvt_u32_f64_e32 v5, v[5:6]
	s_branch .LBB281_1262
.LBB281_1250:
	s_mov_b32 s3, 0
                                        ; implicit-def: $vgpr5
	s_cbranch_execnz .LBB281_1333
	s_branch .LBB281_1363
.LBB281_1251:
                                        ; implicit-def: $vgpr5
	s_branch .LBB281_1280
.LBB281_1252:
	s_mov_b32 s12, -1
	s_mov_b32 s3, 0
                                        ; implicit-def: $vgpr5
	s_branch .LBB281_1316
.LBB281_1253:
	s_mov_b32 s3, -1
                                        ; implicit-def: $vgpr5
	s_branch .LBB281_1268
.LBB281_1254:
	s_mov_b32 s12, -1
	s_mov_b32 s3, 0
                                        ; implicit-def: $vgpr5
	s_branch .LBB281_1311
.LBB281_1255:
	s_mov_b32 s3, -1
                                        ; implicit-def: $vgpr5
	s_branch .LBB281_1265
.LBB281_1256:
	s_cbranch_execnz .LBB281_1300
; %bb.1257:
	s_or_b32 s1, s8, exec_lo
                                        ; implicit-def: $vgpr4
	s_cbranch_execz .LBB281_1234
	s_branch .LBB281_1235
.LBB281_1258:
	s_or_saveexec_b32 s7, s7
                                        ; implicit-def: $sgpr8
	s_delay_alu instid0(SALU_CYCLE_1)
	s_xor_b32 exec_lo, exec_lo, s7
	s_cbranch_execz .LBB281_971
.LBB281_1259:
	v_add_f32_e32 v0, 0x46000000, v3
	s_and_not1_b32 s5, s5, exec_lo
	s_mov_b32 s8, 0
	s_delay_alu instid0(VALU_DEP_1) | instskip(NEXT) | instid1(VALU_DEP_1)
	v_and_b32_e32 v0, 0xff, v0
	v_cmp_ne_u32_e32 vcc_lo, 0, v0
	s_and_b32 s9, vcc_lo, exec_lo
	s_delay_alu instid0(SALU_CYCLE_1)
	s_or_b32 s5, s5, s9
	s_or_b32 exec_lo, exec_lo, s7
	v_mov_b32_e32 v6, s8
	s_and_saveexec_b32 s7, s5
	s_cbranch_execnz .LBB281_972
	s_branch .LBB281_973
.LBB281_1260:
	s_mov_b32 s12, -1
	s_mov_b32 s3, 0
	s_branch .LBB281_1305
.LBB281_1261:
	s_mov_b32 s3, -1
                                        ; implicit-def: $vgpr5
.LBB281_1262:
	s_delay_alu instid0(SALU_CYCLE_1)
	s_and_not1_b32 vcc_lo, exec_lo, s3
	s_cbranch_vccnz .LBB281_1264
; %bb.1263:
	global_load_b32 v5, v[9:10], off
	s_waitcnt vmcnt(0)
	v_trunc_f32_e32 v5, v5
	s_delay_alu instid0(VALU_DEP_1) | instskip(NEXT) | instid1(VALU_DEP_1)
	v_mul_f32_e64 v6, 0x2f800000, |v5|
	v_floor_f32_e32 v6, v6
	s_delay_alu instid0(VALU_DEP_1) | instskip(SKIP_1) | instid1(VALU_DEP_2)
	v_fma_f32 v6, 0xcf800000, v6, |v5|
	v_ashrrev_i32_e32 v5, 31, v5
	v_cvt_u32_f32_e32 v6, v6
	s_delay_alu instid0(VALU_DEP_1) | instskip(NEXT) | instid1(VALU_DEP_1)
	v_xor_b32_e32 v6, v6, v5
	v_sub_nc_u32_e32 v5, v6, v5
.LBB281_1264:
	s_mov_b32 s3, 0
.LBB281_1265:
	s_delay_alu instid0(SALU_CYCLE_1)
	s_and_not1_b32 vcc_lo, exec_lo, s3
	s_cbranch_vccnz .LBB281_1267
; %bb.1266:
	global_load_b32 v5, v[9:10], off
	s_waitcnt vmcnt(0)
	v_cvt_f32_f16_e32 v5, v5
	s_delay_alu instid0(VALU_DEP_1)
	v_cvt_i32_f32_e32 v5, v5
.LBB281_1267:
	s_mov_b32 s3, 0
.LBB281_1268:
	s_delay_alu instid0(SALU_CYCLE_1)
	s_and_not1_b32 vcc_lo, exec_lo, s3
	s_cbranch_vccnz .LBB281_1279
; %bb.1269:
	v_cmp_lt_i16_e64 s3, s2, 6
	s_delay_alu instid0(VALU_DEP_1)
	s_and_b32 vcc_lo, exec_lo, s3
	s_cbranch_vccnz .LBB281_1272
; %bb.1270:
	v_cmp_gt_i16_e64 s3, s2, 6
	s_delay_alu instid0(VALU_DEP_1)
	s_and_b32 vcc_lo, exec_lo, s3
	s_cbranch_vccz .LBB281_1273
; %bb.1271:
	global_load_b64 v[5:6], v[9:10], off
	s_mov_b32 s3, 0
	s_waitcnt vmcnt(0)
	v_trunc_f64_e32 v[5:6], v[5:6]
	s_delay_alu instid0(VALU_DEP_1) | instskip(NEXT) | instid1(VALU_DEP_1)
	v_ldexp_f64 v[11:12], v[5:6], 0xffffffe0
	v_floor_f64_e32 v[11:12], v[11:12]
	s_delay_alu instid0(VALU_DEP_1) | instskip(NEXT) | instid1(VALU_DEP_1)
	v_fma_f64 v[5:6], 0xc1f00000, v[11:12], v[5:6]
	v_cvt_u32_f64_e32 v5, v[5:6]
	s_branch .LBB281_1274
.LBB281_1272:
	s_mov_b32 s3, -1
                                        ; implicit-def: $vgpr5
	s_branch .LBB281_1277
.LBB281_1273:
	s_mov_b32 s3, -1
                                        ; implicit-def: $vgpr5
.LBB281_1274:
	s_delay_alu instid0(SALU_CYCLE_1)
	s_and_not1_b32 vcc_lo, exec_lo, s3
	s_cbranch_vccnz .LBB281_1276
; %bb.1275:
	global_load_b32 v5, v[9:10], off
	s_waitcnt vmcnt(0)
	v_trunc_f32_e32 v5, v5
	s_delay_alu instid0(VALU_DEP_1) | instskip(NEXT) | instid1(VALU_DEP_1)
	v_mul_f32_e64 v6, 0x2f800000, |v5|
	v_floor_f32_e32 v6, v6
	s_delay_alu instid0(VALU_DEP_1) | instskip(SKIP_1) | instid1(VALU_DEP_2)
	v_fma_f32 v6, 0xcf800000, v6, |v5|
	v_ashrrev_i32_e32 v5, 31, v5
	v_cvt_u32_f32_e32 v6, v6
	s_delay_alu instid0(VALU_DEP_1) | instskip(NEXT) | instid1(VALU_DEP_1)
	v_xor_b32_e32 v6, v6, v5
	v_sub_nc_u32_e32 v5, v6, v5
.LBB281_1276:
	s_mov_b32 s3, 0
.LBB281_1277:
	s_delay_alu instid0(SALU_CYCLE_1)
	s_and_not1_b32 vcc_lo, exec_lo, s3
	s_cbranch_vccnz .LBB281_1279
; %bb.1278:
	global_load_u16 v5, v[9:10], off
	s_waitcnt vmcnt(0)
	v_cvt_f32_f16_e32 v5, v5
	s_delay_alu instid0(VALU_DEP_1)
	v_cvt_i32_f32_e32 v5, v5
.LBB281_1279:
	s_cbranch_execnz .LBB281_1299
.LBB281_1280:
	v_cmp_lt_i16_e64 s3, s2, 2
	s_delay_alu instid0(VALU_DEP_1)
	s_and_b32 vcc_lo, exec_lo, s3
	s_cbranch_vccnz .LBB281_1284
; %bb.1281:
	v_cmp_lt_i16_e64 s3, s2, 3
	s_delay_alu instid0(VALU_DEP_1)
	s_and_b32 vcc_lo, exec_lo, s3
	s_cbranch_vccnz .LBB281_1285
; %bb.1282:
	v_cmp_gt_i16_e64 s3, s2, 3
	s_delay_alu instid0(VALU_DEP_1)
	s_and_b32 vcc_lo, exec_lo, s3
	s_cbranch_vccz .LBB281_1286
; %bb.1283:
	global_load_b64 v[5:6], v[9:10], off
	s_mov_b32 s3, 0
	s_branch .LBB281_1287
.LBB281_1284:
	s_mov_b32 s3, -1
                                        ; implicit-def: $vgpr5
	s_branch .LBB281_1293
.LBB281_1285:
	s_mov_b32 s3, -1
                                        ; implicit-def: $vgpr5
	s_branch .LBB281_1290
.LBB281_1286:
	s_mov_b32 s3, -1
                                        ; implicit-def: $vgpr5
.LBB281_1287:
	s_delay_alu instid0(SALU_CYCLE_1)
	s_and_not1_b32 vcc_lo, exec_lo, s3
	s_cbranch_vccnz .LBB281_1289
; %bb.1288:
	global_load_b32 v5, v[9:10], off
.LBB281_1289:
	s_mov_b32 s3, 0
.LBB281_1290:
	s_delay_alu instid0(SALU_CYCLE_1)
	s_and_not1_b32 vcc_lo, exec_lo, s3
	s_cbranch_vccnz .LBB281_1292
; %bb.1291:
	global_load_u16 v5, v[9:10], off
.LBB281_1292:
	s_mov_b32 s3, 0
.LBB281_1293:
	s_delay_alu instid0(SALU_CYCLE_1)
	s_and_not1_b32 vcc_lo, exec_lo, s3
	s_cbranch_vccnz .LBB281_1299
; %bb.1294:
	v_cmp_gt_i16_e64 s3, s2, 0
	s_delay_alu instid0(VALU_DEP_1)
	s_and_b32 vcc_lo, exec_lo, s3
	s_mov_b32 s3, 0
	s_cbranch_vccz .LBB281_1296
; %bb.1295:
	global_load_u8 v5, v[9:10], off
	s_branch .LBB281_1297
.LBB281_1296:
	s_mov_b32 s3, -1
                                        ; implicit-def: $vgpr5
.LBB281_1297:
	s_delay_alu instid0(SALU_CYCLE_1)
	s_and_not1_b32 vcc_lo, exec_lo, s3
	s_cbranch_vccnz .LBB281_1299
; %bb.1298:
	global_load_u8 v5, v[9:10], off
.LBB281_1299:
	s_branch .LBB281_1368
.LBB281_1300:
	s_trap 2
	s_sendmsg_rtn_b32 s0, sendmsg(MSG_RTN_GET_DOORBELL)
	s_mov_b32 ttmp2, m0
	s_waitcnt lgkmcnt(0)
	s_and_b32 s0, s0, 0x3ff
	s_delay_alu instid0(SALU_CYCLE_1) | instskip(NEXT) | instid1(SALU_CYCLE_1)
	s_bitset1_b32 s0, 10
	s_mov_b32 m0, s0
	s_sendmsg sendmsg(MSG_INTERRUPT)
	s_mov_b32 m0, ttmp2
.LBB281_1301:                           ; =>This Inner Loop Header: Depth=1
	s_sethalt 5
	s_branch .LBB281_1301
.LBB281_1302:
	s_or_saveexec_b32 s8, s8
                                        ; implicit-def: $sgpr9
	s_delay_alu instid0(SALU_CYCLE_1)
	s_xor_b32 exec_lo, exec_lo, s8
	s_cbranch_execz .LBB281_983
.LBB281_1303:
	v_add_f32_e32 v0, 0x42800000, v3
	s_and_not1_b32 s7, s7, exec_lo
	s_mov_b32 s9, 0
	s_delay_alu instid0(VALU_DEP_1) | instskip(NEXT) | instid1(VALU_DEP_1)
	v_and_b32_e32 v0, 0xff, v0
	v_cmp_ne_u32_e32 vcc_lo, 0, v0
	s_and_b32 s10, vcc_lo, exec_lo
	s_delay_alu instid0(SALU_CYCLE_1)
	s_or_b32 s7, s7, s10
	s_or_b32 exec_lo, exec_lo, s8
	v_mov_b32_e32 v6, s9
	s_and_saveexec_b32 s8, s7
	s_cbranch_execnz .LBB281_984
	s_branch .LBB281_985
.LBB281_1304:
	s_mov_b32 s3, -1
.LBB281_1305:
                                        ; implicit-def: $vgpr5
.LBB281_1306:
	s_and_b32 vcc_lo, exec_lo, s12
	s_cbranch_vccz .LBB281_1310
; %bb.1307:
	v_cmp_eq_u16_e64 s3, s2, 44
	s_delay_alu instid0(VALU_DEP_1)
	s_and_b32 vcc_lo, exec_lo, s3
	s_cbranch_vccz .LBB281_1309
; %bb.1308:
	global_load_u8 v5, v[9:10], off
	s_mov_b32 s3, 0
	s_mov_b32 s11, -1
	s_waitcnt vmcnt(0)
	v_lshlrev_b32_e32 v6, 23, v5
	v_cmp_ne_u32_e32 vcc_lo, 0, v5
	s_delay_alu instid0(VALU_DEP_2) | instskip(NEXT) | instid1(VALU_DEP_1)
	v_trunc_f32_e32 v6, v6
	v_mul_f32_e64 v11, 0x2f800000, |v6|
	s_delay_alu instid0(VALU_DEP_1) | instskip(NEXT) | instid1(VALU_DEP_1)
	v_floor_f32_e32 v11, v11
	v_fma_f32 v11, 0xcf800000, v11, |v6|
	v_ashrrev_i32_e32 v6, 31, v6
	s_delay_alu instid0(VALU_DEP_2) | instskip(NEXT) | instid1(VALU_DEP_1)
	v_cvt_u32_f32_e32 v11, v11
	v_xor_b32_e32 v11, v11, v6
	s_delay_alu instid0(VALU_DEP_1) | instskip(NEXT) | instid1(VALU_DEP_1)
	v_sub_nc_u32_e32 v6, v11, v6
	v_cndmask_b32_e32 v5, 0, v6, vcc_lo
	s_branch .LBB281_1310
.LBB281_1309:
	s_mov_b32 s3, -1
                                        ; implicit-def: $vgpr5
.LBB281_1310:
	s_mov_b32 s12, 0
.LBB281_1311:
	s_delay_alu instid0(SALU_CYCLE_1)
	s_and_b32 vcc_lo, exec_lo, s12
	s_cbranch_vccz .LBB281_1315
; %bb.1312:
	v_cmp_eq_u16_e64 s3, s2, 29
	s_delay_alu instid0(VALU_DEP_1)
	s_and_b32 vcc_lo, exec_lo, s3
	s_cbranch_vccz .LBB281_1314
; %bb.1313:
	global_load_b64 v[5:6], v[9:10], off
	s_mov_b32 s3, 0
	s_mov_b32 s11, -1
	s_branch .LBB281_1315
.LBB281_1314:
	s_mov_b32 s3, -1
                                        ; implicit-def: $vgpr5
.LBB281_1315:
	s_mov_b32 s12, 0
.LBB281_1316:
	s_delay_alu instid0(SALU_CYCLE_1)
	s_and_b32 vcc_lo, exec_lo, s12
	s_cbranch_vccz .LBB281_1332
; %bb.1317:
	v_cmp_lt_i16_e64 s11, s2, 27
	s_delay_alu instid0(VALU_DEP_1)
	s_and_b32 vcc_lo, exec_lo, s11
	s_cbranch_vccnz .LBB281_1320
; %bb.1318:
	v_cmp_gt_i16_e64 s11, s2, 27
	s_delay_alu instid0(VALU_DEP_1)
	s_and_b32 vcc_lo, exec_lo, s11
	s_cbranch_vccz .LBB281_1321
; %bb.1319:
	global_load_b32 v5, v[9:10], off
	s_mov_b32 s11, 0
	s_branch .LBB281_1322
.LBB281_1320:
	s_mov_b32 s11, -1
                                        ; implicit-def: $vgpr5
	s_branch .LBB281_1325
.LBB281_1321:
	s_mov_b32 s11, -1
                                        ; implicit-def: $vgpr5
.LBB281_1322:
	s_delay_alu instid0(SALU_CYCLE_1)
	s_and_not1_b32 vcc_lo, exec_lo, s11
	s_cbranch_vccnz .LBB281_1324
; %bb.1323:
	global_load_u16 v5, v[9:10], off
.LBB281_1324:
	s_mov_b32 s11, 0
.LBB281_1325:
	s_delay_alu instid0(SALU_CYCLE_1)
	s_and_not1_b32 vcc_lo, exec_lo, s11
	s_cbranch_vccnz .LBB281_1331
; %bb.1326:
	global_load_u8 v6, v[9:10], off
	s_mov_b32 s12, 0
	s_mov_b32 s11, exec_lo
                                        ; implicit-def: $sgpr13
	s_waitcnt vmcnt(0)
	v_cmpx_lt_i16_e32 0x7f, v6
	s_xor_b32 s11, exec_lo, s11
	s_cbranch_execz .LBB281_1342
; %bb.1327:
	v_cmp_ne_u16_e32 vcc_lo, 0x80, v6
	s_mov_b32 s13, 0
	s_and_b32 s12, vcc_lo, exec_lo
	s_or_saveexec_b32 s11, s11
	v_mov_b32_e32 v5, s13
	s_xor_b32 exec_lo, exec_lo, s11
	s_cbranch_execnz .LBB281_1343
.LBB281_1328:
	s_or_b32 exec_lo, exec_lo, s11
	s_and_saveexec_b32 s11, s12
	s_cbranch_execz .LBB281_1330
.LBB281_1329:
	v_and_b32_e32 v5, 0xffff, v6
	s_delay_alu instid0(VALU_DEP_1) | instskip(NEXT) | instid1(VALU_DEP_1)
	v_and_b32_e32 v11, 7, v5
	v_clz_i32_u32_e32 v12, v11
	s_delay_alu instid0(VALU_DEP_1) | instskip(NEXT) | instid1(VALU_DEP_1)
	v_min_u32_e32 v12, 32, v12
	v_subrev_nc_u32_e32 v13, 28, v12
	v_sub_nc_u32_e32 v12, 29, v12
	s_delay_alu instid0(VALU_DEP_2) | instskip(SKIP_1) | instid1(VALU_DEP_2)
	v_lshlrev_b32_e32 v13, v13, v5
	v_bfe_u32 v5, v5, 3, 4
	v_and_b32_e32 v13, 7, v13
	s_delay_alu instid0(VALU_DEP_2) | instskip(SKIP_1) | instid1(VALU_DEP_1)
	v_cmp_eq_u32_e32 vcc_lo, 0, v5
	v_dual_cndmask_b32 v5, v5, v12 :: v_dual_lshlrev_b32 v6, 24, v6
	v_dual_cndmask_b32 v11, v11, v13 :: v_dual_and_b32 v6, 0x80000000, v6
	s_delay_alu instid0(VALU_DEP_2) | instskip(NEXT) | instid1(VALU_DEP_2)
	v_lshl_add_u32 v5, v5, 23, 0x3b800000
	v_lshlrev_b32_e32 v11, 20, v11
	s_delay_alu instid0(VALU_DEP_1) | instskip(NEXT) | instid1(VALU_DEP_1)
	v_or3_b32 v5, v6, v5, v11
	v_trunc_f32_e32 v5, v5
	s_delay_alu instid0(VALU_DEP_1) | instskip(NEXT) | instid1(VALU_DEP_1)
	v_mul_f32_e64 v6, 0x2f800000, |v5|
	v_floor_f32_e32 v6, v6
	s_delay_alu instid0(VALU_DEP_1) | instskip(SKIP_1) | instid1(VALU_DEP_2)
	v_fma_f32 v6, 0xcf800000, v6, |v5|
	v_ashrrev_i32_e32 v5, 31, v5
	v_cvt_u32_f32_e32 v6, v6
	s_delay_alu instid0(VALU_DEP_1) | instskip(NEXT) | instid1(VALU_DEP_1)
	v_xor_b32_e32 v6, v6, v5
	v_sub_nc_u32_e32 v5, v6, v5
.LBB281_1330:
	s_or_b32 exec_lo, exec_lo, s11
.LBB281_1331:
	s_mov_b32 s11, -1
.LBB281_1332:
	s_branch .LBB281_1363
.LBB281_1333:
	v_cmp_gt_i16_e64 s10, s2, 22
	s_delay_alu instid0(VALU_DEP_1)
	s_and_b32 vcc_lo, exec_lo, s10
	s_cbranch_vccz .LBB281_1341
; %bb.1334:
	v_cmp_lt_i16_e64 s10, s2, 24
	s_delay_alu instid0(VALU_DEP_1)
	s_and_b32 vcc_lo, exec_lo, s10
	s_cbranch_vccnz .LBB281_1344
; %bb.1335:
	v_cmp_gt_i16_e64 s10, s2, 24
	s_delay_alu instid0(VALU_DEP_1)
	s_and_b32 vcc_lo, exec_lo, s10
	s_cbranch_vccz .LBB281_1345
; %bb.1336:
	global_load_u8 v6, v[9:10], off
	s_mov_b32 s11, 0
	s_mov_b32 s10, exec_lo
                                        ; implicit-def: $sgpr12
	s_waitcnt vmcnt(0)
	v_cmpx_lt_i16_e32 0x7f, v6
	s_xor_b32 s10, exec_lo, s10
	s_cbranch_execz .LBB281_1357
; %bb.1337:
	v_cmp_ne_u16_e32 vcc_lo, 0x80, v6
	s_mov_b32 s12, 0
	s_and_b32 s11, vcc_lo, exec_lo
	s_or_saveexec_b32 s10, s10
	v_mov_b32_e32 v5, s12
	s_xor_b32 exec_lo, exec_lo, s10
	s_cbranch_execnz .LBB281_1358
.LBB281_1338:
	s_or_b32 exec_lo, exec_lo, s10
	s_and_saveexec_b32 s10, s11
	s_cbranch_execz .LBB281_1340
.LBB281_1339:
	v_and_b32_e32 v5, 0xffff, v6
	s_delay_alu instid0(VALU_DEP_1) | instskip(NEXT) | instid1(VALU_DEP_1)
	v_and_b32_e32 v11, 3, v5
	v_clz_i32_u32_e32 v12, v11
	s_delay_alu instid0(VALU_DEP_1) | instskip(NEXT) | instid1(VALU_DEP_1)
	v_min_u32_e32 v12, 32, v12
	v_subrev_nc_u32_e32 v13, 29, v12
	v_sub_nc_u32_e32 v12, 30, v12
	s_delay_alu instid0(VALU_DEP_2) | instskip(SKIP_1) | instid1(VALU_DEP_2)
	v_lshlrev_b32_e32 v13, v13, v5
	v_bfe_u32 v5, v5, 2, 5
	v_and_b32_e32 v13, 3, v13
	s_delay_alu instid0(VALU_DEP_2) | instskip(SKIP_1) | instid1(VALU_DEP_1)
	v_cmp_eq_u32_e32 vcc_lo, 0, v5
	v_dual_cndmask_b32 v5, v5, v12 :: v_dual_lshlrev_b32 v6, 24, v6
	v_dual_cndmask_b32 v11, v11, v13 :: v_dual_and_b32 v6, 0x80000000, v6
	s_delay_alu instid0(VALU_DEP_2) | instskip(NEXT) | instid1(VALU_DEP_2)
	v_lshl_add_u32 v5, v5, 23, 0x37800000
	v_lshlrev_b32_e32 v11, 21, v11
	s_delay_alu instid0(VALU_DEP_1) | instskip(NEXT) | instid1(VALU_DEP_1)
	v_or3_b32 v5, v6, v5, v11
	v_trunc_f32_e32 v5, v5
	s_delay_alu instid0(VALU_DEP_1) | instskip(NEXT) | instid1(VALU_DEP_1)
	v_mul_f32_e64 v6, 0x2f800000, |v5|
	v_floor_f32_e32 v6, v6
	s_delay_alu instid0(VALU_DEP_1) | instskip(SKIP_1) | instid1(VALU_DEP_2)
	v_fma_f32 v6, 0xcf800000, v6, |v5|
	v_ashrrev_i32_e32 v5, 31, v5
	v_cvt_u32_f32_e32 v6, v6
	s_delay_alu instid0(VALU_DEP_1) | instskip(NEXT) | instid1(VALU_DEP_1)
	v_xor_b32_e32 v6, v6, v5
	v_sub_nc_u32_e32 v5, v6, v5
.LBB281_1340:
	s_or_b32 exec_lo, exec_lo, s10
	s_mov_b32 s10, 0
	s_branch .LBB281_1346
.LBB281_1341:
	s_mov_b32 s10, -1
                                        ; implicit-def: $vgpr5
	s_branch .LBB281_1352
.LBB281_1342:
	s_or_saveexec_b32 s11, s11
	v_mov_b32_e32 v5, s13
	s_xor_b32 exec_lo, exec_lo, s11
	s_cbranch_execz .LBB281_1328
.LBB281_1343:
	v_cmp_ne_u16_e32 vcc_lo, 0, v6
	v_mov_b32_e32 v5, 0
	s_and_not1_b32 s12, s12, exec_lo
	s_and_b32 s13, vcc_lo, exec_lo
	s_delay_alu instid0(SALU_CYCLE_1)
	s_or_b32 s12, s12, s13
	s_or_b32 exec_lo, exec_lo, s11
	s_and_saveexec_b32 s11, s12
	s_cbranch_execnz .LBB281_1329
	s_branch .LBB281_1330
.LBB281_1344:
	s_mov_b32 s10, -1
                                        ; implicit-def: $vgpr5
	s_branch .LBB281_1349
.LBB281_1345:
	s_mov_b32 s10, -1
                                        ; implicit-def: $vgpr5
.LBB281_1346:
	s_delay_alu instid0(SALU_CYCLE_1)
	s_and_b32 vcc_lo, exec_lo, s10
	s_cbranch_vccz .LBB281_1348
; %bb.1347:
	global_load_u8 v5, v[9:10], off
	s_waitcnt vmcnt(0)
	v_lshlrev_b32_e32 v5, 24, v5
	s_delay_alu instid0(VALU_DEP_1) | instskip(NEXT) | instid1(VALU_DEP_1)
	v_and_b32_e32 v6, 0x7f000000, v5
	v_clz_i32_u32_e32 v11, v6
	v_add_nc_u32_e32 v13, 0x1000000, v6
	v_cmp_ne_u32_e32 vcc_lo, 0, v6
	s_delay_alu instid0(VALU_DEP_3) | instskip(NEXT) | instid1(VALU_DEP_1)
	v_min_u32_e32 v11, 32, v11
	v_sub_nc_u32_e64 v11, v11, 4 clamp
	s_delay_alu instid0(VALU_DEP_1) | instskip(SKIP_1) | instid1(VALU_DEP_2)
	v_lshlrev_b32_e32 v12, v11, v6
	v_lshlrev_b32_e32 v11, 23, v11
	v_lshrrev_b32_e32 v12, 4, v12
	s_delay_alu instid0(VALU_DEP_1) | instskip(SKIP_1) | instid1(VALU_DEP_2)
	v_sub_nc_u32_e32 v11, v12, v11
	v_ashrrev_i32_e32 v12, 8, v13
	v_add_nc_u32_e32 v11, 0x3c000000, v11
	s_delay_alu instid0(VALU_DEP_1) | instskip(NEXT) | instid1(VALU_DEP_1)
	v_and_or_b32 v11, 0x7f800000, v12, v11
	v_cndmask_b32_e32 v6, 0, v11, vcc_lo
	s_delay_alu instid0(VALU_DEP_1) | instskip(NEXT) | instid1(VALU_DEP_1)
	v_and_or_b32 v5, 0x80000000, v5, v6
	v_trunc_f32_e32 v5, v5
	s_delay_alu instid0(VALU_DEP_1) | instskip(NEXT) | instid1(VALU_DEP_1)
	v_mul_f32_e64 v6, 0x2f800000, |v5|
	v_floor_f32_e32 v6, v6
	s_delay_alu instid0(VALU_DEP_1) | instskip(SKIP_1) | instid1(VALU_DEP_2)
	v_fma_f32 v6, 0xcf800000, v6, |v5|
	v_ashrrev_i32_e32 v5, 31, v5
	v_cvt_u32_f32_e32 v6, v6
	s_delay_alu instid0(VALU_DEP_1) | instskip(NEXT) | instid1(VALU_DEP_1)
	v_xor_b32_e32 v6, v6, v5
	v_sub_nc_u32_e32 v5, v6, v5
.LBB281_1348:
	s_mov_b32 s10, 0
.LBB281_1349:
	s_delay_alu instid0(SALU_CYCLE_1)
	s_and_not1_b32 vcc_lo, exec_lo, s10
	s_cbranch_vccnz .LBB281_1351
; %bb.1350:
	global_load_u8 v5, v[9:10], off
	s_waitcnt vmcnt(0)
	v_lshlrev_b32_e32 v6, 25, v5
	v_lshlrev_b16 v5, 8, v5
	s_delay_alu instid0(VALU_DEP_2) | instskip(NEXT) | instid1(VALU_DEP_2)
	v_lshrrev_b32_e32 v11, 4, v6
	v_and_or_b32 v12, 0x7f00, v5, 0.5
	v_bfe_i32 v5, v5, 0, 16
	s_delay_alu instid0(VALU_DEP_3) | instskip(NEXT) | instid1(VALU_DEP_1)
	v_or_b32_e32 v11, 0x70000000, v11
	v_dual_add_f32 v12, -0.5, v12 :: v_dual_mul_f32 v11, 0x7800000, v11
	v_cmp_gt_u32_e32 vcc_lo, 0x8000000, v6
	s_delay_alu instid0(VALU_DEP_2) | instskip(NEXT) | instid1(VALU_DEP_1)
	v_cndmask_b32_e32 v6, v11, v12, vcc_lo
	v_and_or_b32 v5, 0x80000000, v5, v6
	s_delay_alu instid0(VALU_DEP_1) | instskip(NEXT) | instid1(VALU_DEP_1)
	v_trunc_f32_e32 v5, v5
	v_mul_f32_e64 v6, 0x2f800000, |v5|
	s_delay_alu instid0(VALU_DEP_1) | instskip(NEXT) | instid1(VALU_DEP_1)
	v_floor_f32_e32 v6, v6
	v_fma_f32 v6, 0xcf800000, v6, |v5|
	v_ashrrev_i32_e32 v5, 31, v5
	s_delay_alu instid0(VALU_DEP_2) | instskip(NEXT) | instid1(VALU_DEP_1)
	v_cvt_u32_f32_e32 v6, v6
	v_xor_b32_e32 v6, v6, v5
	s_delay_alu instid0(VALU_DEP_1)
	v_sub_nc_u32_e32 v5, v6, v5
.LBB281_1351:
	s_mov_b32 s10, 0
	s_mov_b32 s11, -1
.LBB281_1352:
	s_and_not1_b32 vcc_lo, exec_lo, s10
	s_mov_b32 s10, 0
	s_cbranch_vccnz .LBB281_1363
; %bb.1353:
	v_cmp_gt_i16_e64 s10, s2, 14
	s_delay_alu instid0(VALU_DEP_1)
	s_and_b32 vcc_lo, exec_lo, s10
	s_cbranch_vccz .LBB281_1356
; %bb.1354:
	v_cmp_eq_u16_e64 s3, s2, 15
	s_delay_alu instid0(VALU_DEP_1)
	s_and_b32 vcc_lo, exec_lo, s3
	s_cbranch_vccz .LBB281_1359
; %bb.1355:
	global_load_u16 v5, v[9:10], off
	s_mov_b32 s3, 0
	s_mov_b32 s11, -1
	s_waitcnt vmcnt(0)
	v_lshlrev_b32_e32 v5, 16, v5
	s_delay_alu instid0(VALU_DEP_1) | instskip(NEXT) | instid1(VALU_DEP_1)
	v_trunc_f32_e32 v5, v5
	v_mul_f32_e64 v6, 0x2f800000, |v5|
	s_delay_alu instid0(VALU_DEP_1) | instskip(NEXT) | instid1(VALU_DEP_1)
	v_floor_f32_e32 v6, v6
	v_fma_f32 v6, 0xcf800000, v6, |v5|
	v_ashrrev_i32_e32 v5, 31, v5
	s_delay_alu instid0(VALU_DEP_2) | instskip(NEXT) | instid1(VALU_DEP_1)
	v_cvt_u32_f32_e32 v6, v6
	v_xor_b32_e32 v6, v6, v5
	s_delay_alu instid0(VALU_DEP_1)
	v_sub_nc_u32_e32 v5, v6, v5
	s_branch .LBB281_1360
.LBB281_1356:
	s_mov_b32 s10, -1
                                        ; implicit-def: $vgpr5
	s_branch .LBB281_1361
.LBB281_1357:
	s_or_saveexec_b32 s10, s10
	v_mov_b32_e32 v5, s12
	s_xor_b32 exec_lo, exec_lo, s10
	s_cbranch_execz .LBB281_1338
.LBB281_1358:
	v_cmp_ne_u16_e32 vcc_lo, 0, v6
	v_mov_b32_e32 v5, 0
	s_and_not1_b32 s11, s11, exec_lo
	s_and_b32 s12, vcc_lo, exec_lo
	s_delay_alu instid0(SALU_CYCLE_1)
	s_or_b32 s11, s11, s12
	s_or_b32 exec_lo, exec_lo, s10
	s_and_saveexec_b32 s10, s11
	s_cbranch_execnz .LBB281_1339
	s_branch .LBB281_1340
.LBB281_1359:
	s_mov_b32 s3, -1
                                        ; implicit-def: $vgpr5
.LBB281_1360:
	s_mov_b32 s10, 0
.LBB281_1361:
	s_delay_alu instid0(SALU_CYCLE_1)
	s_and_b32 vcc_lo, exec_lo, s10
	s_mov_b32 s10, 0
	s_cbranch_vccz .LBB281_1363
; %bb.1362:
	v_cmp_ne_u16_e64 s3, s2, 11
	s_mov_b32 s10, -1
                                        ; implicit-def: $vgpr5
.LBB281_1363:
	s_delay_alu instid0(VALU_DEP_1)
	s_and_b32 vcc_lo, exec_lo, s3
	s_cbranch_vccnz .LBB281_1387
; %bb.1364:
	s_and_not1_b32 vcc_lo, exec_lo, s10
	s_cbranch_vccnz .LBB281_1366
.LBB281_1365:
	global_load_u8 v5, v[9:10], off
	s_mov_b32 s11, -1
	s_waitcnt vmcnt(0)
	v_cmp_ne_u16_e32 vcc_lo, 0, v5
	v_cndmask_b32_e64 v5, 0, 1, vcc_lo
.LBB281_1366:
.LBB281_1367:
	s_and_not1_b32 vcc_lo, exec_lo, s11
	s_cbranch_vccnz .LBB281_2057
.LBB281_1368:
	v_cmp_lt_i16_e64 s3, s2, 11
	v_add_co_u32 v9, s10, s6, v7
	s_delay_alu instid0(VALU_DEP_1) | instskip(NEXT) | instid1(VALU_DEP_3)
	v_add_co_ci_u32_e64 v10, null, s7, 0, s10
	s_and_b32 vcc_lo, exec_lo, s3
	s_mov_b32 s11, 0
	s_cbranch_vccnz .LBB281_1375
; %bb.1369:
	v_cmp_gt_i16_e64 s3, s2, 25
	s_mov_b32 s10, 0
	s_delay_alu instid0(VALU_DEP_1)
	s_and_b32 vcc_lo, exec_lo, s3
	s_cbranch_vccz .LBB281_1381
; %bb.1370:
	v_cmp_gt_i16_e64 s3, s2, 28
	s_delay_alu instid0(VALU_DEP_1)
	s_and_b32 vcc_lo, exec_lo, s3
	s_cbranch_vccz .LBB281_1383
; %bb.1371:
	v_cmp_gt_i16_e64 s3, s2, 43
	;; [unrolled: 5-line block ×3, first 2 shown]
	s_delay_alu instid0(VALU_DEP_1)
	s_and_b32 vcc_lo, exec_lo, s3
	s_cbranch_vccz .LBB281_1389
; %bb.1373:
	v_cmp_eq_u16_e64 s3, s2, 46
	s_mov_b32 s12, 0
	s_delay_alu instid0(VALU_DEP_1)
	s_and_b32 vcc_lo, exec_lo, s3
	s_cbranch_vccz .LBB281_1432
; %bb.1374:
	global_load_b32 v6, v[9:10], off
	s_mov_b32 s3, 0
	s_mov_b32 s11, -1
	s_waitcnt vmcnt(0)
	v_lshlrev_b32_e32 v6, 16, v6
	s_delay_alu instid0(VALU_DEP_1) | instskip(NEXT) | instid1(VALU_DEP_1)
	v_trunc_f32_e32 v6, v6
	v_mul_f32_e64 v7, 0x2f800000, |v6|
	s_delay_alu instid0(VALU_DEP_1) | instskip(NEXT) | instid1(VALU_DEP_1)
	v_floor_f32_e32 v7, v7
	v_fma_f32 v7, 0xcf800000, v7, |v6|
	v_ashrrev_i32_e32 v6, 31, v6
	s_delay_alu instid0(VALU_DEP_2) | instskip(NEXT) | instid1(VALU_DEP_1)
	v_cvt_u32_f32_e32 v7, v7
	v_xor_b32_e32 v7, v7, v6
	s_delay_alu instid0(VALU_DEP_1)
	v_sub_nc_u32_e32 v6, v7, v6
	s_branch .LBB281_1434
.LBB281_1375:
                                        ; implicit-def: $vgpr6
	s_cbranch_execz .LBB281_1496
; %bb.1376:
	v_cmp_lt_i16_e64 s3, s2, 5
	s_delay_alu instid0(VALU_DEP_1)
	s_and_b32 vcc_lo, exec_lo, s3
	s_cbranch_vccnz .LBB281_1382
; %bb.1377:
	v_cmp_lt_i16_e64 s3, s2, 8
	s_delay_alu instid0(VALU_DEP_1)
	s_and_b32 vcc_lo, exec_lo, s3
	s_cbranch_vccnz .LBB281_1384
	;; [unrolled: 5-line block ×3, first 2 shown]
; %bb.1379:
	v_cmp_gt_i16_e64 s3, s2, 9
	s_delay_alu instid0(VALU_DEP_1)
	s_and_b32 vcc_lo, exec_lo, s3
	s_cbranch_vccz .LBB281_1390
; %bb.1380:
	global_load_b64 v[6:7], v[9:10], off
	s_mov_b32 s3, 0
	s_waitcnt vmcnt(0)
	v_trunc_f64_e32 v[6:7], v[6:7]
	s_delay_alu instid0(VALU_DEP_1) | instskip(NEXT) | instid1(VALU_DEP_1)
	v_ldexp_f64 v[11:12], v[6:7], 0xffffffe0
	v_floor_f64_e32 v[11:12], v[11:12]
	s_delay_alu instid0(VALU_DEP_1) | instskip(NEXT) | instid1(VALU_DEP_1)
	v_fma_f64 v[6:7], 0xc1f00000, v[11:12], v[6:7]
	v_cvt_u32_f64_e32 v6, v[6:7]
	s_branch .LBB281_1391
.LBB281_1381:
	s_mov_b32 s12, -1
	s_mov_b32 s3, 0
                                        ; implicit-def: $vgpr6
	s_branch .LBB281_1461
.LBB281_1382:
	s_mov_b32 s3, -1
                                        ; implicit-def: $vgpr6
	s_branch .LBB281_1409
.LBB281_1383:
	s_mov_b32 s12, -1
	s_mov_b32 s3, 0
                                        ; implicit-def: $vgpr6
	s_branch .LBB281_1444
.LBB281_1384:
	s_mov_b32 s3, -1
                                        ; implicit-def: $vgpr6
	s_branch .LBB281_1397
.LBB281_1385:
	s_mov_b32 s12, -1
	s_mov_b32 s3, 0
                                        ; implicit-def: $vgpr6
	s_branch .LBB281_1439
.LBB281_1386:
	s_mov_b32 s3, -1
                                        ; implicit-def: $vgpr6
	s_branch .LBB281_1394
.LBB281_1387:
	s_cbranch_execnz .LBB281_1430
; %bb.1388:
	s_or_b32 s1, s1, exec_lo
                                        ; implicit-def: $vgpr5
	s_cbranch_execz .LBB281_1365
	s_branch .LBB281_1366
.LBB281_1389:
	s_mov_b32 s12, -1
	s_mov_b32 s3, 0
	s_branch .LBB281_1433
.LBB281_1390:
	s_mov_b32 s3, -1
                                        ; implicit-def: $vgpr6
.LBB281_1391:
	s_delay_alu instid0(SALU_CYCLE_1)
	s_and_not1_b32 vcc_lo, exec_lo, s3
	s_cbranch_vccnz .LBB281_1393
; %bb.1392:
	global_load_b32 v6, v[9:10], off
	s_waitcnt vmcnt(0)
	v_trunc_f32_e32 v6, v6
	s_delay_alu instid0(VALU_DEP_1) | instskip(NEXT) | instid1(VALU_DEP_1)
	v_mul_f32_e64 v7, 0x2f800000, |v6|
	v_floor_f32_e32 v7, v7
	s_delay_alu instid0(VALU_DEP_1) | instskip(SKIP_1) | instid1(VALU_DEP_2)
	v_fma_f32 v7, 0xcf800000, v7, |v6|
	v_ashrrev_i32_e32 v6, 31, v6
	v_cvt_u32_f32_e32 v7, v7
	s_delay_alu instid0(VALU_DEP_1) | instskip(NEXT) | instid1(VALU_DEP_1)
	v_xor_b32_e32 v7, v7, v6
	v_sub_nc_u32_e32 v6, v7, v6
.LBB281_1393:
	s_mov_b32 s3, 0
.LBB281_1394:
	s_delay_alu instid0(SALU_CYCLE_1)
	s_and_not1_b32 vcc_lo, exec_lo, s3
	s_cbranch_vccnz .LBB281_1396
; %bb.1395:
	global_load_b32 v6, v[9:10], off
	s_waitcnt vmcnt(0)
	v_cvt_f32_f16_e32 v6, v6
	s_delay_alu instid0(VALU_DEP_1)
	v_cvt_i32_f32_e32 v6, v6
.LBB281_1396:
	s_mov_b32 s3, 0
.LBB281_1397:
	s_delay_alu instid0(SALU_CYCLE_1)
	s_and_not1_b32 vcc_lo, exec_lo, s3
	s_cbranch_vccnz .LBB281_1408
; %bb.1398:
	v_cmp_lt_i16_e64 s3, s2, 6
	s_delay_alu instid0(VALU_DEP_1)
	s_and_b32 vcc_lo, exec_lo, s3
	s_cbranch_vccnz .LBB281_1401
; %bb.1399:
	v_cmp_gt_i16_e64 s3, s2, 6
	s_delay_alu instid0(VALU_DEP_1)
	s_and_b32 vcc_lo, exec_lo, s3
	s_cbranch_vccz .LBB281_1402
; %bb.1400:
	global_load_b64 v[6:7], v[9:10], off
	s_mov_b32 s3, 0
	s_waitcnt vmcnt(0)
	v_trunc_f64_e32 v[6:7], v[6:7]
	s_delay_alu instid0(VALU_DEP_1) | instskip(NEXT) | instid1(VALU_DEP_1)
	v_ldexp_f64 v[11:12], v[6:7], 0xffffffe0
	v_floor_f64_e32 v[11:12], v[11:12]
	s_delay_alu instid0(VALU_DEP_1) | instskip(NEXT) | instid1(VALU_DEP_1)
	v_fma_f64 v[6:7], 0xc1f00000, v[11:12], v[6:7]
	v_cvt_u32_f64_e32 v6, v[6:7]
	s_branch .LBB281_1403
.LBB281_1401:
	s_mov_b32 s3, -1
                                        ; implicit-def: $vgpr6
	s_branch .LBB281_1406
.LBB281_1402:
	s_mov_b32 s3, -1
                                        ; implicit-def: $vgpr6
.LBB281_1403:
	s_delay_alu instid0(SALU_CYCLE_1)
	s_and_not1_b32 vcc_lo, exec_lo, s3
	s_cbranch_vccnz .LBB281_1405
; %bb.1404:
	global_load_b32 v6, v[9:10], off
	s_waitcnt vmcnt(0)
	v_trunc_f32_e32 v6, v6
	s_delay_alu instid0(VALU_DEP_1) | instskip(NEXT) | instid1(VALU_DEP_1)
	v_mul_f32_e64 v7, 0x2f800000, |v6|
	v_floor_f32_e32 v7, v7
	s_delay_alu instid0(VALU_DEP_1) | instskip(SKIP_1) | instid1(VALU_DEP_2)
	v_fma_f32 v7, 0xcf800000, v7, |v6|
	v_ashrrev_i32_e32 v6, 31, v6
	v_cvt_u32_f32_e32 v7, v7
	s_delay_alu instid0(VALU_DEP_1) | instskip(NEXT) | instid1(VALU_DEP_1)
	v_xor_b32_e32 v7, v7, v6
	v_sub_nc_u32_e32 v6, v7, v6
.LBB281_1405:
	s_mov_b32 s3, 0
.LBB281_1406:
	s_delay_alu instid0(SALU_CYCLE_1)
	s_and_not1_b32 vcc_lo, exec_lo, s3
	s_cbranch_vccnz .LBB281_1408
; %bb.1407:
	global_load_u16 v6, v[9:10], off
	s_waitcnt vmcnt(0)
	v_cvt_f32_f16_e32 v6, v6
	s_delay_alu instid0(VALU_DEP_1)
	v_cvt_i32_f32_e32 v6, v6
.LBB281_1408:
	s_mov_b32 s3, 0
.LBB281_1409:
	s_delay_alu instid0(SALU_CYCLE_1)
	s_and_not1_b32 vcc_lo, exec_lo, s3
	s_cbranch_vccnz .LBB281_1429
; %bb.1410:
	v_cmp_lt_i16_e64 s3, s2, 2
	s_delay_alu instid0(VALU_DEP_1)
	s_and_b32 vcc_lo, exec_lo, s3
	s_cbranch_vccnz .LBB281_1414
; %bb.1411:
	v_cmp_lt_i16_e64 s3, s2, 3
	s_delay_alu instid0(VALU_DEP_1)
	s_and_b32 vcc_lo, exec_lo, s3
	s_cbranch_vccnz .LBB281_1415
; %bb.1412:
	v_cmp_gt_i16_e64 s3, s2, 3
	s_delay_alu instid0(VALU_DEP_1)
	s_and_b32 vcc_lo, exec_lo, s3
	s_cbranch_vccz .LBB281_1416
; %bb.1413:
	global_load_b64 v[6:7], v[9:10], off
	s_mov_b32 s3, 0
	s_branch .LBB281_1417
.LBB281_1414:
	s_mov_b32 s3, -1
                                        ; implicit-def: $vgpr6
	s_branch .LBB281_1423
.LBB281_1415:
	s_mov_b32 s3, -1
                                        ; implicit-def: $vgpr6
	s_branch .LBB281_1420
.LBB281_1416:
	s_mov_b32 s3, -1
                                        ; implicit-def: $vgpr6
.LBB281_1417:
	s_delay_alu instid0(SALU_CYCLE_1)
	s_and_not1_b32 vcc_lo, exec_lo, s3
	s_cbranch_vccnz .LBB281_1419
; %bb.1418:
	global_load_b32 v6, v[9:10], off
.LBB281_1419:
	s_mov_b32 s3, 0
.LBB281_1420:
	s_delay_alu instid0(SALU_CYCLE_1)
	s_and_not1_b32 vcc_lo, exec_lo, s3
	s_cbranch_vccnz .LBB281_1422
; %bb.1421:
	global_load_u16 v6, v[9:10], off
.LBB281_1422:
	s_mov_b32 s3, 0
.LBB281_1423:
	s_delay_alu instid0(SALU_CYCLE_1)
	s_and_not1_b32 vcc_lo, exec_lo, s3
	s_cbranch_vccnz .LBB281_1429
; %bb.1424:
	v_cmp_gt_i16_e64 s3, s2, 0
	s_delay_alu instid0(VALU_DEP_1)
	s_and_b32 vcc_lo, exec_lo, s3
	s_mov_b32 s3, 0
	s_cbranch_vccz .LBB281_1426
; %bb.1425:
	global_load_u8 v6, v[9:10], off
	s_branch .LBB281_1427
.LBB281_1426:
	s_mov_b32 s3, -1
                                        ; implicit-def: $vgpr6
.LBB281_1427:
	s_delay_alu instid0(SALU_CYCLE_1)
	s_and_not1_b32 vcc_lo, exec_lo, s3
	s_cbranch_vccnz .LBB281_1429
; %bb.1428:
	global_load_u8 v6, v[9:10], off
.LBB281_1429:
	s_branch .LBB281_1497
.LBB281_1430:
	s_trap 2
	s_sendmsg_rtn_b32 s0, sendmsg(MSG_RTN_GET_DOORBELL)
	s_mov_b32 ttmp2, m0
	s_waitcnt lgkmcnt(0)
	s_and_b32 s0, s0, 0x3ff
	s_delay_alu instid0(SALU_CYCLE_1) | instskip(NEXT) | instid1(SALU_CYCLE_1)
	s_bitset1_b32 s0, 10
	s_mov_b32 m0, s0
	s_sendmsg sendmsg(MSG_INTERRUPT)
	s_mov_b32 m0, ttmp2
.LBB281_1431:                           ; =>This Inner Loop Header: Depth=1
	s_sethalt 5
	s_branch .LBB281_1431
.LBB281_1432:
	s_mov_b32 s3, -1
.LBB281_1433:
                                        ; implicit-def: $vgpr6
.LBB281_1434:
	s_and_b32 vcc_lo, exec_lo, s12
	s_cbranch_vccz .LBB281_1438
; %bb.1435:
	v_cmp_eq_u16_e64 s3, s2, 44
	s_delay_alu instid0(VALU_DEP_1)
	s_and_b32 vcc_lo, exec_lo, s3
	s_cbranch_vccz .LBB281_1437
; %bb.1436:
	global_load_u8 v6, v[9:10], off
	s_mov_b32 s3, 0
	s_mov_b32 s11, -1
	s_waitcnt vmcnt(0)
	v_lshlrev_b32_e32 v7, 23, v6
	v_cmp_ne_u32_e32 vcc_lo, 0, v6
	s_delay_alu instid0(VALU_DEP_2) | instskip(NEXT) | instid1(VALU_DEP_1)
	v_trunc_f32_e32 v7, v7
	v_mul_f32_e64 v11, 0x2f800000, |v7|
	s_delay_alu instid0(VALU_DEP_1) | instskip(NEXT) | instid1(VALU_DEP_1)
	v_floor_f32_e32 v11, v11
	v_fma_f32 v11, 0xcf800000, v11, |v7|
	v_ashrrev_i32_e32 v7, 31, v7
	s_delay_alu instid0(VALU_DEP_2) | instskip(NEXT) | instid1(VALU_DEP_1)
	v_cvt_u32_f32_e32 v11, v11
	v_xor_b32_e32 v11, v11, v7
	s_delay_alu instid0(VALU_DEP_1) | instskip(NEXT) | instid1(VALU_DEP_1)
	v_sub_nc_u32_e32 v7, v11, v7
	v_cndmask_b32_e32 v6, 0, v7, vcc_lo
	s_branch .LBB281_1438
.LBB281_1437:
	s_mov_b32 s3, -1
                                        ; implicit-def: $vgpr6
.LBB281_1438:
	s_mov_b32 s12, 0
.LBB281_1439:
	s_delay_alu instid0(SALU_CYCLE_1)
	s_and_b32 vcc_lo, exec_lo, s12
	s_cbranch_vccz .LBB281_1443
; %bb.1440:
	v_cmp_eq_u16_e64 s3, s2, 29
	s_delay_alu instid0(VALU_DEP_1)
	s_and_b32 vcc_lo, exec_lo, s3
	s_cbranch_vccz .LBB281_1442
; %bb.1441:
	global_load_b64 v[6:7], v[9:10], off
	s_mov_b32 s3, 0
	s_mov_b32 s11, -1
	s_branch .LBB281_1443
.LBB281_1442:
	s_mov_b32 s3, -1
                                        ; implicit-def: $vgpr6
.LBB281_1443:
	s_mov_b32 s12, 0
.LBB281_1444:
	s_delay_alu instid0(SALU_CYCLE_1)
	s_and_b32 vcc_lo, exec_lo, s12
	s_cbranch_vccz .LBB281_1460
; %bb.1445:
	v_cmp_lt_i16_e64 s11, s2, 27
	s_delay_alu instid0(VALU_DEP_1)
	s_and_b32 vcc_lo, exec_lo, s11
	s_cbranch_vccnz .LBB281_1448
; %bb.1446:
	v_cmp_gt_i16_e64 s11, s2, 27
	s_delay_alu instid0(VALU_DEP_1)
	s_and_b32 vcc_lo, exec_lo, s11
	s_cbranch_vccz .LBB281_1449
; %bb.1447:
	global_load_b32 v6, v[9:10], off
	s_mov_b32 s11, 0
	s_branch .LBB281_1450
.LBB281_1448:
	s_mov_b32 s11, -1
                                        ; implicit-def: $vgpr6
	s_branch .LBB281_1453
.LBB281_1449:
	s_mov_b32 s11, -1
                                        ; implicit-def: $vgpr6
.LBB281_1450:
	s_delay_alu instid0(SALU_CYCLE_1)
	s_and_not1_b32 vcc_lo, exec_lo, s11
	s_cbranch_vccnz .LBB281_1452
; %bb.1451:
	global_load_u16 v6, v[9:10], off
.LBB281_1452:
	s_mov_b32 s11, 0
.LBB281_1453:
	s_delay_alu instid0(SALU_CYCLE_1)
	s_and_not1_b32 vcc_lo, exec_lo, s11
	s_cbranch_vccnz .LBB281_1459
; %bb.1454:
	global_load_u8 v7, v[9:10], off
	s_mov_b32 s12, 0
	s_mov_b32 s11, exec_lo
                                        ; implicit-def: $sgpr13
	s_waitcnt vmcnt(0)
	v_cmpx_lt_i16_e32 0x7f, v7
	s_xor_b32 s11, exec_lo, s11
	s_cbranch_execz .LBB281_1471
; %bb.1455:
	v_cmp_ne_u16_e32 vcc_lo, 0x80, v7
	s_mov_b32 s13, 0
	s_and_b32 s12, vcc_lo, exec_lo
	s_or_saveexec_b32 s11, s11
	v_mov_b32_e32 v6, s13
	s_xor_b32 exec_lo, exec_lo, s11
	s_cbranch_execnz .LBB281_1472
.LBB281_1456:
	s_or_b32 exec_lo, exec_lo, s11
	s_and_saveexec_b32 s11, s12
	s_cbranch_execz .LBB281_1458
.LBB281_1457:
	v_and_b32_e32 v6, 0xffff, v7
	v_lshlrev_b32_e32 v7, 24, v7
	s_delay_alu instid0(VALU_DEP_2) | instskip(NEXT) | instid1(VALU_DEP_2)
	v_and_b32_e32 v11, 7, v6
	v_and_b32_e32 v7, 0x80000000, v7
	s_delay_alu instid0(VALU_DEP_2) | instskip(NEXT) | instid1(VALU_DEP_1)
	v_clz_i32_u32_e32 v12, v11
	v_min_u32_e32 v12, 32, v12
	s_delay_alu instid0(VALU_DEP_1) | instskip(SKIP_1) | instid1(VALU_DEP_2)
	v_subrev_nc_u32_e32 v13, 28, v12
	v_sub_nc_u32_e32 v12, 29, v12
	v_lshlrev_b32_e32 v13, v13, v6
	v_bfe_u32 v6, v6, 3, 4
	s_delay_alu instid0(VALU_DEP_2) | instskip(NEXT) | instid1(VALU_DEP_2)
	v_and_b32_e32 v13, 7, v13
	v_cmp_eq_u32_e32 vcc_lo, 0, v6
	s_delay_alu instid0(VALU_DEP_2) | instskip(NEXT) | instid1(VALU_DEP_1)
	v_dual_cndmask_b32 v6, v6, v12 :: v_dual_cndmask_b32 v11, v11, v13
	v_lshl_add_u32 v6, v6, 23, 0x3b800000
	s_delay_alu instid0(VALU_DEP_2) | instskip(NEXT) | instid1(VALU_DEP_1)
	v_lshlrev_b32_e32 v11, 20, v11
	v_or3_b32 v6, v7, v6, v11
	s_delay_alu instid0(VALU_DEP_1) | instskip(NEXT) | instid1(VALU_DEP_1)
	v_trunc_f32_e32 v6, v6
	v_mul_f32_e64 v7, 0x2f800000, |v6|
	s_delay_alu instid0(VALU_DEP_1) | instskip(NEXT) | instid1(VALU_DEP_1)
	v_floor_f32_e32 v7, v7
	v_fma_f32 v7, 0xcf800000, v7, |v6|
	v_ashrrev_i32_e32 v6, 31, v6
	s_delay_alu instid0(VALU_DEP_2) | instskip(NEXT) | instid1(VALU_DEP_1)
	v_cvt_u32_f32_e32 v7, v7
	v_xor_b32_e32 v7, v7, v6
	s_delay_alu instid0(VALU_DEP_1)
	v_sub_nc_u32_e32 v6, v7, v6
.LBB281_1458:
	s_or_b32 exec_lo, exec_lo, s11
.LBB281_1459:
	s_mov_b32 s11, -1
.LBB281_1460:
	s_mov_b32 s12, 0
.LBB281_1461:
	s_delay_alu instid0(SALU_CYCLE_1)
	s_and_b32 vcc_lo, exec_lo, s12
	s_cbranch_vccz .LBB281_1492
; %bb.1462:
	v_cmp_gt_i16_e64 s10, s2, 22
	s_delay_alu instid0(VALU_DEP_1)
	s_and_b32 vcc_lo, exec_lo, s10
	s_cbranch_vccz .LBB281_1470
; %bb.1463:
	v_cmp_lt_i16_e64 s10, s2, 24
	s_delay_alu instid0(VALU_DEP_1)
	s_and_b32 vcc_lo, exec_lo, s10
	s_cbranch_vccnz .LBB281_1473
; %bb.1464:
	v_cmp_gt_i16_e64 s10, s2, 24
	s_delay_alu instid0(VALU_DEP_1)
	s_and_b32 vcc_lo, exec_lo, s10
	s_cbranch_vccz .LBB281_1474
; %bb.1465:
	global_load_u8 v7, v[9:10], off
	s_mov_b32 s11, 0
	s_mov_b32 s10, exec_lo
                                        ; implicit-def: $sgpr12
	s_waitcnt vmcnt(0)
	v_cmpx_lt_i16_e32 0x7f, v7
	s_xor_b32 s10, exec_lo, s10
	s_cbranch_execz .LBB281_1486
; %bb.1466:
	v_cmp_ne_u16_e32 vcc_lo, 0x80, v7
	s_mov_b32 s12, 0
	s_and_b32 s11, vcc_lo, exec_lo
	s_or_saveexec_b32 s10, s10
	v_mov_b32_e32 v6, s12
	s_xor_b32 exec_lo, exec_lo, s10
	s_cbranch_execnz .LBB281_1487
.LBB281_1467:
	s_or_b32 exec_lo, exec_lo, s10
	s_and_saveexec_b32 s10, s11
	s_cbranch_execz .LBB281_1469
.LBB281_1468:
	v_and_b32_e32 v6, 0xffff, v7
	v_lshlrev_b32_e32 v7, 24, v7
	s_delay_alu instid0(VALU_DEP_2) | instskip(NEXT) | instid1(VALU_DEP_2)
	v_and_b32_e32 v11, 3, v6
	v_and_b32_e32 v7, 0x80000000, v7
	s_delay_alu instid0(VALU_DEP_2) | instskip(NEXT) | instid1(VALU_DEP_1)
	v_clz_i32_u32_e32 v12, v11
	v_min_u32_e32 v12, 32, v12
	s_delay_alu instid0(VALU_DEP_1) | instskip(SKIP_1) | instid1(VALU_DEP_2)
	v_subrev_nc_u32_e32 v13, 29, v12
	v_sub_nc_u32_e32 v12, 30, v12
	v_lshlrev_b32_e32 v13, v13, v6
	v_bfe_u32 v6, v6, 2, 5
	s_delay_alu instid0(VALU_DEP_2) | instskip(NEXT) | instid1(VALU_DEP_2)
	v_and_b32_e32 v13, 3, v13
	v_cmp_eq_u32_e32 vcc_lo, 0, v6
	s_delay_alu instid0(VALU_DEP_2) | instskip(NEXT) | instid1(VALU_DEP_1)
	v_dual_cndmask_b32 v6, v6, v12 :: v_dual_cndmask_b32 v11, v11, v13
	v_lshl_add_u32 v6, v6, 23, 0x37800000
	s_delay_alu instid0(VALU_DEP_2) | instskip(NEXT) | instid1(VALU_DEP_1)
	v_lshlrev_b32_e32 v11, 21, v11
	v_or3_b32 v6, v7, v6, v11
	s_delay_alu instid0(VALU_DEP_1) | instskip(NEXT) | instid1(VALU_DEP_1)
	v_trunc_f32_e32 v6, v6
	v_mul_f32_e64 v7, 0x2f800000, |v6|
	s_delay_alu instid0(VALU_DEP_1) | instskip(NEXT) | instid1(VALU_DEP_1)
	v_floor_f32_e32 v7, v7
	v_fma_f32 v7, 0xcf800000, v7, |v6|
	v_ashrrev_i32_e32 v6, 31, v6
	s_delay_alu instid0(VALU_DEP_2) | instskip(NEXT) | instid1(VALU_DEP_1)
	v_cvt_u32_f32_e32 v7, v7
	v_xor_b32_e32 v7, v7, v6
	s_delay_alu instid0(VALU_DEP_1)
	v_sub_nc_u32_e32 v6, v7, v6
.LBB281_1469:
	s_or_b32 exec_lo, exec_lo, s10
	s_mov_b32 s10, 0
	s_branch .LBB281_1475
.LBB281_1470:
	s_mov_b32 s10, -1
                                        ; implicit-def: $vgpr6
	s_branch .LBB281_1481
.LBB281_1471:
	s_or_saveexec_b32 s11, s11
	v_mov_b32_e32 v6, s13
	s_xor_b32 exec_lo, exec_lo, s11
	s_cbranch_execz .LBB281_1456
.LBB281_1472:
	v_cmp_ne_u16_e32 vcc_lo, 0, v7
	v_mov_b32_e32 v6, 0
	s_and_not1_b32 s12, s12, exec_lo
	s_and_b32 s13, vcc_lo, exec_lo
	s_delay_alu instid0(SALU_CYCLE_1)
	s_or_b32 s12, s12, s13
	s_or_b32 exec_lo, exec_lo, s11
	s_and_saveexec_b32 s11, s12
	s_cbranch_execnz .LBB281_1457
	s_branch .LBB281_1458
.LBB281_1473:
	s_mov_b32 s10, -1
                                        ; implicit-def: $vgpr6
	s_branch .LBB281_1478
.LBB281_1474:
	s_mov_b32 s10, -1
                                        ; implicit-def: $vgpr6
.LBB281_1475:
	s_delay_alu instid0(SALU_CYCLE_1)
	s_and_b32 vcc_lo, exec_lo, s10
	s_cbranch_vccz .LBB281_1477
; %bb.1476:
	global_load_u8 v6, v[9:10], off
	s_waitcnt vmcnt(0)
	v_lshlrev_b32_e32 v6, 24, v6
	s_delay_alu instid0(VALU_DEP_1) | instskip(NEXT) | instid1(VALU_DEP_1)
	v_and_b32_e32 v7, 0x7f000000, v6
	v_clz_i32_u32_e32 v11, v7
	v_add_nc_u32_e32 v13, 0x1000000, v7
	v_cmp_ne_u32_e32 vcc_lo, 0, v7
	s_delay_alu instid0(VALU_DEP_3) | instskip(NEXT) | instid1(VALU_DEP_1)
	v_min_u32_e32 v11, 32, v11
	v_sub_nc_u32_e64 v11, v11, 4 clamp
	s_delay_alu instid0(VALU_DEP_1) | instskip(SKIP_1) | instid1(VALU_DEP_2)
	v_lshlrev_b32_e32 v12, v11, v7
	v_lshlrev_b32_e32 v11, 23, v11
	v_lshrrev_b32_e32 v12, 4, v12
	s_delay_alu instid0(VALU_DEP_1) | instskip(SKIP_1) | instid1(VALU_DEP_2)
	v_sub_nc_u32_e32 v11, v12, v11
	v_ashrrev_i32_e32 v12, 8, v13
	v_add_nc_u32_e32 v11, 0x3c000000, v11
	s_delay_alu instid0(VALU_DEP_1) | instskip(NEXT) | instid1(VALU_DEP_1)
	v_and_or_b32 v11, 0x7f800000, v12, v11
	v_cndmask_b32_e32 v7, 0, v11, vcc_lo
	s_delay_alu instid0(VALU_DEP_1) | instskip(NEXT) | instid1(VALU_DEP_1)
	v_and_or_b32 v6, 0x80000000, v6, v7
	v_trunc_f32_e32 v6, v6
	s_delay_alu instid0(VALU_DEP_1) | instskip(NEXT) | instid1(VALU_DEP_1)
	v_mul_f32_e64 v7, 0x2f800000, |v6|
	v_floor_f32_e32 v7, v7
	s_delay_alu instid0(VALU_DEP_1) | instskip(SKIP_1) | instid1(VALU_DEP_2)
	v_fma_f32 v7, 0xcf800000, v7, |v6|
	v_ashrrev_i32_e32 v6, 31, v6
	v_cvt_u32_f32_e32 v7, v7
	s_delay_alu instid0(VALU_DEP_1) | instskip(NEXT) | instid1(VALU_DEP_1)
	v_xor_b32_e32 v7, v7, v6
	v_sub_nc_u32_e32 v6, v7, v6
.LBB281_1477:
	s_mov_b32 s10, 0
.LBB281_1478:
	s_delay_alu instid0(SALU_CYCLE_1)
	s_and_not1_b32 vcc_lo, exec_lo, s10
	s_cbranch_vccnz .LBB281_1480
; %bb.1479:
	global_load_u8 v6, v[9:10], off
	s_waitcnt vmcnt(0)
	v_lshlrev_b32_e32 v7, 25, v6
	v_lshlrev_b16 v6, 8, v6
	s_delay_alu instid0(VALU_DEP_1) | instskip(SKIP_1) | instid1(VALU_DEP_2)
	v_and_or_b32 v12, 0x7f00, v6, 0.5
	v_bfe_i32 v6, v6, 0, 16
	v_add_f32_e32 v12, -0.5, v12
	v_lshrrev_b32_e32 v11, 4, v7
	v_cmp_gt_u32_e32 vcc_lo, 0x8000000, v7
	s_delay_alu instid0(VALU_DEP_2) | instskip(NEXT) | instid1(VALU_DEP_1)
	v_or_b32_e32 v11, 0x70000000, v11
	v_mul_f32_e32 v11, 0x7800000, v11
	s_delay_alu instid0(VALU_DEP_1) | instskip(NEXT) | instid1(VALU_DEP_1)
	v_cndmask_b32_e32 v7, v11, v12, vcc_lo
	v_and_or_b32 v6, 0x80000000, v6, v7
	s_delay_alu instid0(VALU_DEP_1) | instskip(NEXT) | instid1(VALU_DEP_1)
	v_trunc_f32_e32 v6, v6
	v_mul_f32_e64 v7, 0x2f800000, |v6|
	s_delay_alu instid0(VALU_DEP_1) | instskip(NEXT) | instid1(VALU_DEP_1)
	v_floor_f32_e32 v7, v7
	v_fma_f32 v7, 0xcf800000, v7, |v6|
	v_ashrrev_i32_e32 v6, 31, v6
	s_delay_alu instid0(VALU_DEP_2) | instskip(NEXT) | instid1(VALU_DEP_1)
	v_cvt_u32_f32_e32 v7, v7
	v_xor_b32_e32 v7, v7, v6
	s_delay_alu instid0(VALU_DEP_1)
	v_sub_nc_u32_e32 v6, v7, v6
.LBB281_1480:
	s_mov_b32 s10, 0
	s_mov_b32 s11, -1
.LBB281_1481:
	s_and_not1_b32 vcc_lo, exec_lo, s10
	s_mov_b32 s10, 0
	s_cbranch_vccnz .LBB281_1492
; %bb.1482:
	v_cmp_gt_i16_e64 s10, s2, 14
	s_delay_alu instid0(VALU_DEP_1)
	s_and_b32 vcc_lo, exec_lo, s10
	s_cbranch_vccz .LBB281_1485
; %bb.1483:
	v_cmp_eq_u16_e64 s3, s2, 15
	s_delay_alu instid0(VALU_DEP_1)
	s_and_b32 vcc_lo, exec_lo, s3
	s_cbranch_vccz .LBB281_1488
; %bb.1484:
	global_load_u16 v6, v[9:10], off
	s_mov_b32 s3, 0
	s_mov_b32 s11, -1
	s_waitcnt vmcnt(0)
	v_lshlrev_b32_e32 v6, 16, v6
	s_delay_alu instid0(VALU_DEP_1) | instskip(NEXT) | instid1(VALU_DEP_1)
	v_trunc_f32_e32 v6, v6
	v_mul_f32_e64 v7, 0x2f800000, |v6|
	s_delay_alu instid0(VALU_DEP_1) | instskip(NEXT) | instid1(VALU_DEP_1)
	v_floor_f32_e32 v7, v7
	v_fma_f32 v7, 0xcf800000, v7, |v6|
	v_ashrrev_i32_e32 v6, 31, v6
	s_delay_alu instid0(VALU_DEP_2) | instskip(NEXT) | instid1(VALU_DEP_1)
	v_cvt_u32_f32_e32 v7, v7
	v_xor_b32_e32 v7, v7, v6
	s_delay_alu instid0(VALU_DEP_1)
	v_sub_nc_u32_e32 v6, v7, v6
	s_branch .LBB281_1489
.LBB281_1485:
	s_mov_b32 s10, -1
                                        ; implicit-def: $vgpr6
	s_branch .LBB281_1490
.LBB281_1486:
	s_or_saveexec_b32 s10, s10
	v_mov_b32_e32 v6, s12
	s_xor_b32 exec_lo, exec_lo, s10
	s_cbranch_execz .LBB281_1467
.LBB281_1487:
	v_cmp_ne_u16_e32 vcc_lo, 0, v7
	v_mov_b32_e32 v6, 0
	s_and_not1_b32 s11, s11, exec_lo
	s_and_b32 s12, vcc_lo, exec_lo
	s_delay_alu instid0(SALU_CYCLE_1)
	s_or_b32 s11, s11, s12
	s_or_b32 exec_lo, exec_lo, s10
	s_and_saveexec_b32 s10, s11
	s_cbranch_execnz .LBB281_1468
	s_branch .LBB281_1469
.LBB281_1488:
	s_mov_b32 s3, -1
                                        ; implicit-def: $vgpr6
.LBB281_1489:
	s_mov_b32 s10, 0
.LBB281_1490:
	s_delay_alu instid0(SALU_CYCLE_1)
	s_and_b32 vcc_lo, exec_lo, s10
	s_mov_b32 s10, 0
	s_cbranch_vccz .LBB281_1492
; %bb.1491:
	v_cmp_ne_u16_e64 s3, s2, 11
	s_mov_b32 s10, -1
                                        ; implicit-def: $vgpr6
.LBB281_1492:
	s_delay_alu instid0(VALU_DEP_1)
	s_and_b32 vcc_lo, exec_lo, s3
	s_cbranch_vccnz .LBB281_1508
; %bb.1493:
	s_and_not1_b32 vcc_lo, exec_lo, s10
	s_cbranch_vccnz .LBB281_1495
.LBB281_1494:
	global_load_u8 v6, v[9:10], off
	s_mov_b32 s11, -1
	s_waitcnt vmcnt(0)
	v_cmp_ne_u16_e32 vcc_lo, 0, v6
	v_cndmask_b32_e64 v6, 0, 1, vcc_lo
.LBB281_1495:
.LBB281_1496:
	s_and_not1_b32 vcc_lo, exec_lo, s11
	s_cbranch_vccnz .LBB281_2057
.LBB281_1497:
	v_cmp_lt_i16_e64 s3, s2, 11
	v_add_co_u32 v9, s6, s6, v8
	s_delay_alu instid0(VALU_DEP_1) | instskip(NEXT) | instid1(VALU_DEP_3)
	v_add_co_ci_u32_e64 v10, null, s7, 0, s6
	s_and_b32 vcc_lo, exec_lo, s3
	s_mov_b32 s7, 0
	s_cbranch_vccnz .LBB281_1504
; %bb.1498:
	v_cmp_gt_i16_e64 s3, s2, 25
	s_mov_b32 s6, 0
	s_delay_alu instid0(VALU_DEP_1)
	s_and_b32 vcc_lo, exec_lo, s3
	s_cbranch_vccz .LBB281_1505
; %bb.1499:
	v_cmp_gt_i16_e64 s3, s2, 28
	s_delay_alu instid0(VALU_DEP_1)
	s_and_b32 vcc_lo, exec_lo, s3
	s_cbranch_vccz .LBB281_1506
; %bb.1500:
	v_cmp_gt_i16_e64 s3, s2, 43
	;; [unrolled: 5-line block ×3, first 2 shown]
	s_delay_alu instid0(VALU_DEP_1)
	s_and_b32 vcc_lo, exec_lo, s3
	s_cbranch_vccz .LBB281_1510
; %bb.1502:
	v_cmp_eq_u16_e64 s3, s2, 46
	s_mov_b32 s10, 0
	s_delay_alu instid0(VALU_DEP_1)
	s_and_b32 vcc_lo, exec_lo, s3
	s_cbranch_vccz .LBB281_1513
; %bb.1503:
	global_load_b32 v7, v[9:10], off
	s_mov_b32 s3, 0
	s_mov_b32 s7, -1
	s_waitcnt vmcnt(0)
	v_lshlrev_b32_e32 v7, 16, v7
	s_delay_alu instid0(VALU_DEP_1) | instskip(NEXT) | instid1(VALU_DEP_1)
	v_trunc_f32_e32 v7, v7
	v_mul_f32_e64 v8, 0x2f800000, |v7|
	s_delay_alu instid0(VALU_DEP_1) | instskip(NEXT) | instid1(VALU_DEP_1)
	v_floor_f32_e32 v8, v8
	v_fma_f32 v8, 0xcf800000, v8, |v7|
	v_ashrrev_i32_e32 v7, 31, v7
	s_delay_alu instid0(VALU_DEP_2) | instskip(NEXT) | instid1(VALU_DEP_1)
	v_cvt_u32_f32_e32 v8, v8
	v_xor_b32_e32 v8, v8, v7
	s_delay_alu instid0(VALU_DEP_1)
	v_sub_nc_u32_e32 v7, v8, v7
	s_branch .LBB281_1515
.LBB281_1504:
	s_mov_b32 s3, -1
                                        ; implicit-def: $vgpr7
	s_branch .LBB281_1577
.LBB281_1505:
	s_mov_b32 s10, -1
	s_mov_b32 s3, 0
                                        ; implicit-def: $vgpr7
	s_branch .LBB281_1542
.LBB281_1506:
	s_mov_b32 s10, -1
	s_mov_b32 s3, 0
                                        ; implicit-def: $vgpr7
	s_branch .LBB281_1525
.LBB281_1507:
	s_mov_b32 s10, -1
	s_mov_b32 s3, 0
                                        ; implicit-def: $vgpr7
	s_branch .LBB281_1520
.LBB281_1508:
	s_cbranch_execnz .LBB281_1511
; %bb.1509:
	s_or_b32 s1, s1, exec_lo
                                        ; implicit-def: $vgpr6
	s_cbranch_execz .LBB281_1494
	s_branch .LBB281_1495
.LBB281_1510:
	s_mov_b32 s10, -1
	s_mov_b32 s3, 0
	s_branch .LBB281_1514
.LBB281_1511:
	s_trap 2
	s_sendmsg_rtn_b32 s0, sendmsg(MSG_RTN_GET_DOORBELL)
	s_mov_b32 ttmp2, m0
	s_waitcnt lgkmcnt(0)
	s_and_b32 s0, s0, 0x3ff
	s_delay_alu instid0(SALU_CYCLE_1) | instskip(NEXT) | instid1(SALU_CYCLE_1)
	s_bitset1_b32 s0, 10
	s_mov_b32 m0, s0
	s_sendmsg sendmsg(MSG_INTERRUPT)
	s_mov_b32 m0, ttmp2
.LBB281_1512:                           ; =>This Inner Loop Header: Depth=1
	s_sethalt 5
	s_branch .LBB281_1512
.LBB281_1513:
	s_mov_b32 s3, -1
.LBB281_1514:
                                        ; implicit-def: $vgpr7
.LBB281_1515:
	s_and_b32 vcc_lo, exec_lo, s10
	s_cbranch_vccz .LBB281_1519
; %bb.1516:
	v_cmp_eq_u16_e64 s3, s2, 44
	s_delay_alu instid0(VALU_DEP_1)
	s_and_b32 vcc_lo, exec_lo, s3
	s_cbranch_vccz .LBB281_1518
; %bb.1517:
	global_load_u8 v7, v[9:10], off
	s_mov_b32 s3, 0
	s_mov_b32 s7, -1
	s_waitcnt vmcnt(0)
	v_lshlrev_b32_e32 v8, 23, v7
	v_cmp_ne_u32_e32 vcc_lo, 0, v7
	s_delay_alu instid0(VALU_DEP_2) | instskip(NEXT) | instid1(VALU_DEP_1)
	v_trunc_f32_e32 v8, v8
	v_mul_f32_e64 v11, 0x2f800000, |v8|
	s_delay_alu instid0(VALU_DEP_1) | instskip(NEXT) | instid1(VALU_DEP_1)
	v_floor_f32_e32 v11, v11
	v_fma_f32 v11, 0xcf800000, v11, |v8|
	v_ashrrev_i32_e32 v8, 31, v8
	s_delay_alu instid0(VALU_DEP_2) | instskip(NEXT) | instid1(VALU_DEP_1)
	v_cvt_u32_f32_e32 v11, v11
	v_xor_b32_e32 v11, v11, v8
	s_delay_alu instid0(VALU_DEP_1) | instskip(NEXT) | instid1(VALU_DEP_1)
	v_sub_nc_u32_e32 v8, v11, v8
	v_cndmask_b32_e32 v7, 0, v8, vcc_lo
	s_branch .LBB281_1519
.LBB281_1518:
	s_mov_b32 s3, -1
                                        ; implicit-def: $vgpr7
.LBB281_1519:
	s_mov_b32 s10, 0
.LBB281_1520:
	s_delay_alu instid0(SALU_CYCLE_1)
	s_and_b32 vcc_lo, exec_lo, s10
	s_cbranch_vccz .LBB281_1524
; %bb.1521:
	v_cmp_eq_u16_e64 s3, s2, 29
	s_delay_alu instid0(VALU_DEP_1)
	s_and_b32 vcc_lo, exec_lo, s3
	s_cbranch_vccz .LBB281_1523
; %bb.1522:
	global_load_b64 v[7:8], v[9:10], off
	s_mov_b32 s3, 0
	s_mov_b32 s7, -1
	s_branch .LBB281_1524
.LBB281_1523:
	s_mov_b32 s3, -1
                                        ; implicit-def: $vgpr7
.LBB281_1524:
	s_mov_b32 s10, 0
.LBB281_1525:
	s_delay_alu instid0(SALU_CYCLE_1)
	s_and_b32 vcc_lo, exec_lo, s10
	s_cbranch_vccz .LBB281_1541
; %bb.1526:
	v_cmp_lt_i16_e64 s7, s2, 27
	s_delay_alu instid0(VALU_DEP_1)
	s_and_b32 vcc_lo, exec_lo, s7
	s_cbranch_vccnz .LBB281_1529
; %bb.1527:
	v_cmp_gt_i16_e64 s7, s2, 27
	s_delay_alu instid0(VALU_DEP_1)
	s_and_b32 vcc_lo, exec_lo, s7
	s_cbranch_vccz .LBB281_1530
; %bb.1528:
	global_load_b32 v7, v[9:10], off
	s_mov_b32 s7, 0
	s_branch .LBB281_1531
.LBB281_1529:
	s_mov_b32 s7, -1
                                        ; implicit-def: $vgpr7
	s_branch .LBB281_1534
.LBB281_1530:
	s_mov_b32 s7, -1
                                        ; implicit-def: $vgpr7
.LBB281_1531:
	s_delay_alu instid0(SALU_CYCLE_1)
	s_and_not1_b32 vcc_lo, exec_lo, s7
	s_cbranch_vccnz .LBB281_1533
; %bb.1532:
	global_load_u16 v7, v[9:10], off
.LBB281_1533:
	s_mov_b32 s7, 0
.LBB281_1534:
	s_delay_alu instid0(SALU_CYCLE_1)
	s_and_not1_b32 vcc_lo, exec_lo, s7
	s_cbranch_vccnz .LBB281_1540
; %bb.1535:
	global_load_u8 v8, v[9:10], off
	s_mov_b32 s10, 0
	s_mov_b32 s7, exec_lo
                                        ; implicit-def: $sgpr11
	s_waitcnt vmcnt(0)
	v_cmpx_lt_i16_e32 0x7f, v8
	s_xor_b32 s7, exec_lo, s7
	s_cbranch_execz .LBB281_1552
; %bb.1536:
	v_cmp_ne_u16_e32 vcc_lo, 0x80, v8
	s_mov_b32 s11, 0
	s_and_b32 s10, vcc_lo, exec_lo
	s_or_saveexec_b32 s7, s7
	v_mov_b32_e32 v7, s11
	s_xor_b32 exec_lo, exec_lo, s7
	s_cbranch_execnz .LBB281_1553
.LBB281_1537:
	s_or_b32 exec_lo, exec_lo, s7
	s_and_saveexec_b32 s7, s10
	s_cbranch_execz .LBB281_1539
.LBB281_1538:
	v_and_b32_e32 v7, 0xffff, v8
	s_delay_alu instid0(VALU_DEP_1) | instskip(NEXT) | instid1(VALU_DEP_1)
	v_and_b32_e32 v11, 7, v7
	v_clz_i32_u32_e32 v12, v11
	s_delay_alu instid0(VALU_DEP_1) | instskip(NEXT) | instid1(VALU_DEP_1)
	v_min_u32_e32 v12, 32, v12
	v_subrev_nc_u32_e32 v13, 28, v12
	v_sub_nc_u32_e32 v12, 29, v12
	s_delay_alu instid0(VALU_DEP_2) | instskip(SKIP_1) | instid1(VALU_DEP_2)
	v_lshlrev_b32_e32 v13, v13, v7
	v_bfe_u32 v7, v7, 3, 4
	v_and_b32_e32 v13, 7, v13
	s_delay_alu instid0(VALU_DEP_2) | instskip(NEXT) | instid1(VALU_DEP_2)
	v_cmp_eq_u32_e32 vcc_lo, 0, v7
	v_dual_cndmask_b32 v11, v11, v13 :: v_dual_lshlrev_b32 v8, 24, v8
	v_cndmask_b32_e32 v7, v7, v12, vcc_lo
	s_delay_alu instid0(VALU_DEP_2) | instskip(NEXT) | instid1(VALU_DEP_3)
	v_and_b32_e32 v8, 0x80000000, v8
	v_lshlrev_b32_e32 v11, 20, v11
	s_delay_alu instid0(VALU_DEP_3) | instskip(NEXT) | instid1(VALU_DEP_1)
	v_lshl_add_u32 v7, v7, 23, 0x3b800000
	v_or3_b32 v7, v8, v7, v11
	s_delay_alu instid0(VALU_DEP_1) | instskip(NEXT) | instid1(VALU_DEP_1)
	v_trunc_f32_e32 v7, v7
	v_mul_f32_e64 v8, 0x2f800000, |v7|
	s_delay_alu instid0(VALU_DEP_1) | instskip(NEXT) | instid1(VALU_DEP_1)
	v_floor_f32_e32 v8, v8
	v_fma_f32 v8, 0xcf800000, v8, |v7|
	v_ashrrev_i32_e32 v7, 31, v7
	s_delay_alu instid0(VALU_DEP_2) | instskip(NEXT) | instid1(VALU_DEP_1)
	v_cvt_u32_f32_e32 v8, v8
	v_xor_b32_e32 v8, v8, v7
	s_delay_alu instid0(VALU_DEP_1)
	v_sub_nc_u32_e32 v7, v8, v7
.LBB281_1539:
	s_or_b32 exec_lo, exec_lo, s7
.LBB281_1540:
	s_mov_b32 s7, -1
.LBB281_1541:
	s_mov_b32 s10, 0
.LBB281_1542:
	s_delay_alu instid0(SALU_CYCLE_1)
	s_and_b32 vcc_lo, exec_lo, s10
	s_cbranch_vccz .LBB281_1573
; %bb.1543:
	v_cmp_gt_i16_e64 s6, s2, 22
	s_delay_alu instid0(VALU_DEP_1)
	s_and_b32 vcc_lo, exec_lo, s6
	s_cbranch_vccz .LBB281_1551
; %bb.1544:
	v_cmp_lt_i16_e64 s6, s2, 24
	s_delay_alu instid0(VALU_DEP_1)
	s_and_b32 vcc_lo, exec_lo, s6
	s_cbranch_vccnz .LBB281_1554
; %bb.1545:
	v_cmp_gt_i16_e64 s6, s2, 24
	s_delay_alu instid0(VALU_DEP_1)
	s_and_b32 vcc_lo, exec_lo, s6
	s_cbranch_vccz .LBB281_1555
; %bb.1546:
	global_load_u8 v8, v[9:10], off
	s_mov_b32 s7, 0
	s_mov_b32 s6, exec_lo
                                        ; implicit-def: $sgpr10
	s_waitcnt vmcnt(0)
	v_cmpx_lt_i16_e32 0x7f, v8
	s_xor_b32 s6, exec_lo, s6
	s_cbranch_execz .LBB281_1567
; %bb.1547:
	v_cmp_ne_u16_e32 vcc_lo, 0x80, v8
	s_mov_b32 s10, 0
	s_and_b32 s7, vcc_lo, exec_lo
	s_or_saveexec_b32 s6, s6
	v_mov_b32_e32 v7, s10
	s_xor_b32 exec_lo, exec_lo, s6
	s_cbranch_execnz .LBB281_1568
.LBB281_1548:
	s_or_b32 exec_lo, exec_lo, s6
	s_and_saveexec_b32 s6, s7
	s_cbranch_execz .LBB281_1550
.LBB281_1549:
	v_and_b32_e32 v7, 0xffff, v8
	s_delay_alu instid0(VALU_DEP_1) | instskip(NEXT) | instid1(VALU_DEP_1)
	v_and_b32_e32 v11, 3, v7
	v_clz_i32_u32_e32 v12, v11
	s_delay_alu instid0(VALU_DEP_1) | instskip(NEXT) | instid1(VALU_DEP_1)
	v_min_u32_e32 v12, 32, v12
	v_subrev_nc_u32_e32 v13, 29, v12
	v_sub_nc_u32_e32 v12, 30, v12
	s_delay_alu instid0(VALU_DEP_2) | instskip(SKIP_1) | instid1(VALU_DEP_2)
	v_lshlrev_b32_e32 v13, v13, v7
	v_bfe_u32 v7, v7, 2, 5
	v_and_b32_e32 v13, 3, v13
	s_delay_alu instid0(VALU_DEP_2) | instskip(NEXT) | instid1(VALU_DEP_2)
	v_cmp_eq_u32_e32 vcc_lo, 0, v7
	v_dual_cndmask_b32 v11, v11, v13 :: v_dual_lshlrev_b32 v8, 24, v8
	v_cndmask_b32_e32 v7, v7, v12, vcc_lo
	s_delay_alu instid0(VALU_DEP_2) | instskip(NEXT) | instid1(VALU_DEP_3)
	v_and_b32_e32 v8, 0x80000000, v8
	v_lshlrev_b32_e32 v11, 21, v11
	s_delay_alu instid0(VALU_DEP_3) | instskip(NEXT) | instid1(VALU_DEP_1)
	v_lshl_add_u32 v7, v7, 23, 0x37800000
	v_or3_b32 v7, v8, v7, v11
	s_delay_alu instid0(VALU_DEP_1) | instskip(NEXT) | instid1(VALU_DEP_1)
	v_trunc_f32_e32 v7, v7
	v_mul_f32_e64 v8, 0x2f800000, |v7|
	s_delay_alu instid0(VALU_DEP_1) | instskip(NEXT) | instid1(VALU_DEP_1)
	v_floor_f32_e32 v8, v8
	v_fma_f32 v8, 0xcf800000, v8, |v7|
	v_ashrrev_i32_e32 v7, 31, v7
	s_delay_alu instid0(VALU_DEP_2) | instskip(NEXT) | instid1(VALU_DEP_1)
	v_cvt_u32_f32_e32 v8, v8
	v_xor_b32_e32 v8, v8, v7
	s_delay_alu instid0(VALU_DEP_1)
	v_sub_nc_u32_e32 v7, v8, v7
.LBB281_1550:
	s_or_b32 exec_lo, exec_lo, s6
	s_mov_b32 s6, 0
	s_branch .LBB281_1556
.LBB281_1551:
	s_mov_b32 s6, -1
                                        ; implicit-def: $vgpr7
	s_branch .LBB281_1562
.LBB281_1552:
	s_or_saveexec_b32 s7, s7
	v_mov_b32_e32 v7, s11
	s_xor_b32 exec_lo, exec_lo, s7
	s_cbranch_execz .LBB281_1537
.LBB281_1553:
	v_cmp_ne_u16_e32 vcc_lo, 0, v8
	v_mov_b32_e32 v7, 0
	s_and_not1_b32 s10, s10, exec_lo
	s_and_b32 s11, vcc_lo, exec_lo
	s_delay_alu instid0(SALU_CYCLE_1)
	s_or_b32 s10, s10, s11
	s_or_b32 exec_lo, exec_lo, s7
	s_and_saveexec_b32 s7, s10
	s_cbranch_execnz .LBB281_1538
	s_branch .LBB281_1539
.LBB281_1554:
	s_mov_b32 s6, -1
                                        ; implicit-def: $vgpr7
	s_branch .LBB281_1559
.LBB281_1555:
	s_mov_b32 s6, -1
                                        ; implicit-def: $vgpr7
.LBB281_1556:
	s_delay_alu instid0(SALU_CYCLE_1)
	s_and_b32 vcc_lo, exec_lo, s6
	s_cbranch_vccz .LBB281_1558
; %bb.1557:
	global_load_u8 v7, v[9:10], off
	s_waitcnt vmcnt(0)
	v_lshlrev_b32_e32 v7, 24, v7
	s_delay_alu instid0(VALU_DEP_1) | instskip(NEXT) | instid1(VALU_DEP_1)
	v_and_b32_e32 v8, 0x7f000000, v7
	v_clz_i32_u32_e32 v11, v8
	v_cmp_ne_u32_e32 vcc_lo, 0, v8
	v_add_nc_u32_e32 v13, 0x1000000, v8
	s_delay_alu instid0(VALU_DEP_3) | instskip(NEXT) | instid1(VALU_DEP_1)
	v_min_u32_e32 v11, 32, v11
	v_sub_nc_u32_e64 v11, v11, 4 clamp
	s_delay_alu instid0(VALU_DEP_1) | instskip(SKIP_1) | instid1(VALU_DEP_2)
	v_lshlrev_b32_e32 v12, v11, v8
	v_lshlrev_b32_e32 v11, 23, v11
	v_lshrrev_b32_e32 v12, 4, v12
	s_delay_alu instid0(VALU_DEP_1) | instskip(SKIP_1) | instid1(VALU_DEP_2)
	v_sub_nc_u32_e32 v11, v12, v11
	v_ashrrev_i32_e32 v12, 8, v13
	v_add_nc_u32_e32 v11, 0x3c000000, v11
	s_delay_alu instid0(VALU_DEP_1) | instskip(NEXT) | instid1(VALU_DEP_1)
	v_and_or_b32 v11, 0x7f800000, v12, v11
	v_cndmask_b32_e32 v8, 0, v11, vcc_lo
	s_delay_alu instid0(VALU_DEP_1) | instskip(NEXT) | instid1(VALU_DEP_1)
	v_and_or_b32 v7, 0x80000000, v7, v8
	v_trunc_f32_e32 v7, v7
	s_delay_alu instid0(VALU_DEP_1) | instskip(NEXT) | instid1(VALU_DEP_1)
	v_mul_f32_e64 v8, 0x2f800000, |v7|
	v_floor_f32_e32 v8, v8
	s_delay_alu instid0(VALU_DEP_1) | instskip(SKIP_1) | instid1(VALU_DEP_2)
	v_fma_f32 v8, 0xcf800000, v8, |v7|
	v_ashrrev_i32_e32 v7, 31, v7
	v_cvt_u32_f32_e32 v8, v8
	s_delay_alu instid0(VALU_DEP_1) | instskip(NEXT) | instid1(VALU_DEP_1)
	v_xor_b32_e32 v8, v8, v7
	v_sub_nc_u32_e32 v7, v8, v7
.LBB281_1558:
	s_mov_b32 s6, 0
.LBB281_1559:
	s_delay_alu instid0(SALU_CYCLE_1)
	s_and_not1_b32 vcc_lo, exec_lo, s6
	s_cbranch_vccnz .LBB281_1561
; %bb.1560:
	global_load_u8 v7, v[9:10], off
	s_waitcnt vmcnt(0)
	v_lshlrev_b32_e32 v8, 25, v7
	v_lshlrev_b16 v7, 8, v7
	s_delay_alu instid0(VALU_DEP_2) | instskip(NEXT) | instid1(VALU_DEP_2)
	v_lshrrev_b32_e32 v11, 4, v8
	v_and_or_b32 v12, 0x7f00, v7, 0.5
	v_cmp_gt_u32_e32 vcc_lo, 0x8000000, v8
	v_bfe_i32 v7, v7, 0, 16
	s_delay_alu instid0(VALU_DEP_4) | instskip(NEXT) | instid1(VALU_DEP_1)
	v_or_b32_e32 v11, 0x70000000, v11
	v_dual_add_f32 v12, -0.5, v12 :: v_dual_mul_f32 v11, 0x7800000, v11
	s_delay_alu instid0(VALU_DEP_1) | instskip(NEXT) | instid1(VALU_DEP_1)
	v_cndmask_b32_e32 v8, v11, v12, vcc_lo
	v_and_or_b32 v7, 0x80000000, v7, v8
	s_delay_alu instid0(VALU_DEP_1) | instskip(NEXT) | instid1(VALU_DEP_1)
	v_trunc_f32_e32 v7, v7
	v_mul_f32_e64 v8, 0x2f800000, |v7|
	s_delay_alu instid0(VALU_DEP_1) | instskip(NEXT) | instid1(VALU_DEP_1)
	v_floor_f32_e32 v8, v8
	v_fma_f32 v8, 0xcf800000, v8, |v7|
	v_ashrrev_i32_e32 v7, 31, v7
	s_delay_alu instid0(VALU_DEP_2) | instskip(NEXT) | instid1(VALU_DEP_1)
	v_cvt_u32_f32_e32 v8, v8
	v_xor_b32_e32 v8, v8, v7
	s_delay_alu instid0(VALU_DEP_1)
	v_sub_nc_u32_e32 v7, v8, v7
.LBB281_1561:
	s_mov_b32 s6, 0
	s_mov_b32 s7, -1
.LBB281_1562:
	s_and_not1_b32 vcc_lo, exec_lo, s6
	s_mov_b32 s6, 0
	s_cbranch_vccnz .LBB281_1573
; %bb.1563:
	v_cmp_gt_i16_e64 s6, s2, 14
	s_delay_alu instid0(VALU_DEP_1)
	s_and_b32 vcc_lo, exec_lo, s6
	s_cbranch_vccz .LBB281_1566
; %bb.1564:
	v_cmp_eq_u16_e64 s3, s2, 15
	s_delay_alu instid0(VALU_DEP_1)
	s_and_b32 vcc_lo, exec_lo, s3
	s_cbranch_vccz .LBB281_1569
; %bb.1565:
	global_load_u16 v7, v[9:10], off
	s_mov_b32 s3, 0
	s_mov_b32 s7, -1
	s_waitcnt vmcnt(0)
	v_lshlrev_b32_e32 v7, 16, v7
	s_delay_alu instid0(VALU_DEP_1) | instskip(NEXT) | instid1(VALU_DEP_1)
	v_trunc_f32_e32 v7, v7
	v_mul_f32_e64 v8, 0x2f800000, |v7|
	s_delay_alu instid0(VALU_DEP_1) | instskip(NEXT) | instid1(VALU_DEP_1)
	v_floor_f32_e32 v8, v8
	v_fma_f32 v8, 0xcf800000, v8, |v7|
	v_ashrrev_i32_e32 v7, 31, v7
	s_delay_alu instid0(VALU_DEP_2) | instskip(NEXT) | instid1(VALU_DEP_1)
	v_cvt_u32_f32_e32 v8, v8
	v_xor_b32_e32 v8, v8, v7
	s_delay_alu instid0(VALU_DEP_1)
	v_sub_nc_u32_e32 v7, v8, v7
	s_branch .LBB281_1570
.LBB281_1566:
	s_mov_b32 s6, -1
                                        ; implicit-def: $vgpr7
	s_branch .LBB281_1571
.LBB281_1567:
	s_or_saveexec_b32 s6, s6
	v_mov_b32_e32 v7, s10
	s_xor_b32 exec_lo, exec_lo, s6
	s_cbranch_execz .LBB281_1548
.LBB281_1568:
	v_cmp_ne_u16_e32 vcc_lo, 0, v8
	v_mov_b32_e32 v7, 0
	s_and_not1_b32 s7, s7, exec_lo
	s_and_b32 s10, vcc_lo, exec_lo
	s_delay_alu instid0(SALU_CYCLE_1)
	s_or_b32 s7, s7, s10
	s_or_b32 exec_lo, exec_lo, s6
	s_and_saveexec_b32 s6, s7
	s_cbranch_execnz .LBB281_1549
	s_branch .LBB281_1550
.LBB281_1569:
	s_mov_b32 s3, -1
                                        ; implicit-def: $vgpr7
.LBB281_1570:
	s_mov_b32 s6, 0
.LBB281_1571:
	s_delay_alu instid0(SALU_CYCLE_1)
	s_and_b32 vcc_lo, exec_lo, s6
	s_mov_b32 s6, 0
	s_cbranch_vccz .LBB281_1573
; %bb.1572:
	v_cmp_ne_u16_e64 s3, s2, 11
	s_mov_b32 s6, -1
                                        ; implicit-def: $vgpr7
.LBB281_1573:
	s_delay_alu instid0(VALU_DEP_1)
	s_and_b32 vcc_lo, exec_lo, s3
	s_cbranch_vccnz .LBB281_2102
; %bb.1574:
	s_and_not1_b32 vcc_lo, exec_lo, s6
	s_cbranch_vccnz .LBB281_1576
.LBB281_1575:
	global_load_u8 v7, v[9:10], off
	s_mov_b32 s7, -1
	s_waitcnt vmcnt(0)
	v_cmp_ne_u16_e32 vcc_lo, 0, v7
	v_cndmask_b32_e64 v7, 0, 1, vcc_lo
.LBB281_1576:
	s_mov_b32 s3, 0
.LBB281_1577:
	s_delay_alu instid0(SALU_CYCLE_1)
	s_and_b32 vcc_lo, exec_lo, s3
	s_cbranch_vccz .LBB281_1626
; %bb.1578:
	v_cmp_lt_i16_e64 s3, s2, 5
	s_delay_alu instid0(VALU_DEP_1)
	s_and_b32 vcc_lo, exec_lo, s3
	s_cbranch_vccnz .LBB281_1583
; %bb.1579:
	v_cmp_lt_i16_e64 s3, s2, 8
	s_delay_alu instid0(VALU_DEP_1)
	s_and_b32 vcc_lo, exec_lo, s3
	s_cbranch_vccnz .LBB281_1584
	;; [unrolled: 5-line block ×3, first 2 shown]
; %bb.1581:
	v_cmp_gt_i16_e64 s3, s2, 9
	s_delay_alu instid0(VALU_DEP_1)
	s_and_b32 vcc_lo, exec_lo, s3
	s_cbranch_vccz .LBB281_1586
; %bb.1582:
	global_load_b64 v[7:8], v[9:10], off
	s_mov_b32 s3, 0
	s_waitcnt vmcnt(0)
	v_trunc_f64_e32 v[7:8], v[7:8]
	s_delay_alu instid0(VALU_DEP_1) | instskip(NEXT) | instid1(VALU_DEP_1)
	v_ldexp_f64 v[11:12], v[7:8], 0xffffffe0
	v_floor_f64_e32 v[11:12], v[11:12]
	s_delay_alu instid0(VALU_DEP_1) | instskip(NEXT) | instid1(VALU_DEP_1)
	v_fma_f64 v[7:8], 0xc1f00000, v[11:12], v[7:8]
	v_cvt_u32_f64_e32 v7, v[7:8]
	s_branch .LBB281_1587
.LBB281_1583:
	s_mov_b32 s3, -1
                                        ; implicit-def: $vgpr7
	s_branch .LBB281_1605
.LBB281_1584:
	s_mov_b32 s3, -1
                                        ; implicit-def: $vgpr7
	s_branch .LBB281_1593
.LBB281_1585:
	s_mov_b32 s3, -1
                                        ; implicit-def: $vgpr7
	s_branch .LBB281_1590
.LBB281_1586:
	s_mov_b32 s3, -1
                                        ; implicit-def: $vgpr7
.LBB281_1587:
	s_delay_alu instid0(SALU_CYCLE_1)
	s_and_not1_b32 vcc_lo, exec_lo, s3
	s_cbranch_vccnz .LBB281_1589
; %bb.1588:
	global_load_b32 v7, v[9:10], off
	s_waitcnt vmcnt(0)
	v_trunc_f32_e32 v7, v7
	s_delay_alu instid0(VALU_DEP_1) | instskip(NEXT) | instid1(VALU_DEP_1)
	v_mul_f32_e64 v8, 0x2f800000, |v7|
	v_floor_f32_e32 v8, v8
	s_delay_alu instid0(VALU_DEP_1) | instskip(SKIP_1) | instid1(VALU_DEP_2)
	v_fma_f32 v8, 0xcf800000, v8, |v7|
	v_ashrrev_i32_e32 v7, 31, v7
	v_cvt_u32_f32_e32 v8, v8
	s_delay_alu instid0(VALU_DEP_1) | instskip(NEXT) | instid1(VALU_DEP_1)
	v_xor_b32_e32 v8, v8, v7
	v_sub_nc_u32_e32 v7, v8, v7
.LBB281_1589:
	s_mov_b32 s3, 0
.LBB281_1590:
	s_delay_alu instid0(SALU_CYCLE_1)
	s_and_not1_b32 vcc_lo, exec_lo, s3
	s_cbranch_vccnz .LBB281_1592
; %bb.1591:
	global_load_b32 v7, v[9:10], off
	s_waitcnt vmcnt(0)
	v_cvt_f32_f16_e32 v7, v7
	s_delay_alu instid0(VALU_DEP_1)
	v_cvt_i32_f32_e32 v7, v7
.LBB281_1592:
	s_mov_b32 s3, 0
.LBB281_1593:
	s_delay_alu instid0(SALU_CYCLE_1)
	s_and_not1_b32 vcc_lo, exec_lo, s3
	s_cbranch_vccnz .LBB281_1604
; %bb.1594:
	v_cmp_lt_i16_e64 s3, s2, 6
	s_delay_alu instid0(VALU_DEP_1)
	s_and_b32 vcc_lo, exec_lo, s3
	s_cbranch_vccnz .LBB281_1597
; %bb.1595:
	v_cmp_gt_i16_e64 s3, s2, 6
	s_delay_alu instid0(VALU_DEP_1)
	s_and_b32 vcc_lo, exec_lo, s3
	s_cbranch_vccz .LBB281_1598
; %bb.1596:
	global_load_b64 v[7:8], v[9:10], off
	s_mov_b32 s3, 0
	s_waitcnt vmcnt(0)
	v_trunc_f64_e32 v[7:8], v[7:8]
	s_delay_alu instid0(VALU_DEP_1) | instskip(NEXT) | instid1(VALU_DEP_1)
	v_ldexp_f64 v[11:12], v[7:8], 0xffffffe0
	v_floor_f64_e32 v[11:12], v[11:12]
	s_delay_alu instid0(VALU_DEP_1) | instskip(NEXT) | instid1(VALU_DEP_1)
	v_fma_f64 v[7:8], 0xc1f00000, v[11:12], v[7:8]
	v_cvt_u32_f64_e32 v7, v[7:8]
	s_branch .LBB281_1599
.LBB281_1597:
	s_mov_b32 s3, -1
                                        ; implicit-def: $vgpr7
	s_branch .LBB281_1602
.LBB281_1598:
	s_mov_b32 s3, -1
                                        ; implicit-def: $vgpr7
.LBB281_1599:
	s_delay_alu instid0(SALU_CYCLE_1)
	s_and_not1_b32 vcc_lo, exec_lo, s3
	s_cbranch_vccnz .LBB281_1601
; %bb.1600:
	global_load_b32 v7, v[9:10], off
	s_waitcnt vmcnt(0)
	v_trunc_f32_e32 v7, v7
	s_delay_alu instid0(VALU_DEP_1) | instskip(NEXT) | instid1(VALU_DEP_1)
	v_mul_f32_e64 v8, 0x2f800000, |v7|
	v_floor_f32_e32 v8, v8
	s_delay_alu instid0(VALU_DEP_1) | instskip(SKIP_1) | instid1(VALU_DEP_2)
	v_fma_f32 v8, 0xcf800000, v8, |v7|
	v_ashrrev_i32_e32 v7, 31, v7
	v_cvt_u32_f32_e32 v8, v8
	s_delay_alu instid0(VALU_DEP_1) | instskip(NEXT) | instid1(VALU_DEP_1)
	v_xor_b32_e32 v8, v8, v7
	v_sub_nc_u32_e32 v7, v8, v7
.LBB281_1601:
	s_mov_b32 s3, 0
.LBB281_1602:
	s_delay_alu instid0(SALU_CYCLE_1)
	s_and_not1_b32 vcc_lo, exec_lo, s3
	s_cbranch_vccnz .LBB281_1604
; %bb.1603:
	global_load_u16 v7, v[9:10], off
	s_waitcnt vmcnt(0)
	v_cvt_f32_f16_e32 v7, v7
	s_delay_alu instid0(VALU_DEP_1)
	v_cvt_i32_f32_e32 v7, v7
.LBB281_1604:
	s_mov_b32 s3, 0
.LBB281_1605:
	s_delay_alu instid0(SALU_CYCLE_1)
	s_and_not1_b32 vcc_lo, exec_lo, s3
	s_cbranch_vccnz .LBB281_1625
; %bb.1606:
	v_cmp_lt_i16_e64 s3, s2, 2
	s_delay_alu instid0(VALU_DEP_1)
	s_and_b32 vcc_lo, exec_lo, s3
	s_cbranch_vccnz .LBB281_1610
; %bb.1607:
	v_cmp_lt_i16_e64 s3, s2, 3
	s_delay_alu instid0(VALU_DEP_1)
	s_and_b32 vcc_lo, exec_lo, s3
	s_cbranch_vccnz .LBB281_1611
; %bb.1608:
	v_cmp_gt_i16_e64 s3, s2, 3
	s_delay_alu instid0(VALU_DEP_1)
	s_and_b32 vcc_lo, exec_lo, s3
	s_cbranch_vccz .LBB281_1612
; %bb.1609:
	global_load_b64 v[7:8], v[9:10], off
	s_mov_b32 s3, 0
	s_branch .LBB281_1613
.LBB281_1610:
	s_mov_b32 s3, -1
                                        ; implicit-def: $vgpr7
	s_branch .LBB281_1619
.LBB281_1611:
	s_mov_b32 s3, -1
                                        ; implicit-def: $vgpr7
	s_branch .LBB281_1616
.LBB281_1612:
	s_mov_b32 s3, -1
                                        ; implicit-def: $vgpr7
.LBB281_1613:
	s_delay_alu instid0(SALU_CYCLE_1)
	s_and_not1_b32 vcc_lo, exec_lo, s3
	s_cbranch_vccnz .LBB281_1615
; %bb.1614:
	global_load_b32 v7, v[9:10], off
.LBB281_1615:
	s_mov_b32 s3, 0
.LBB281_1616:
	s_delay_alu instid0(SALU_CYCLE_1)
	s_and_not1_b32 vcc_lo, exec_lo, s3
	s_cbranch_vccnz .LBB281_1618
; %bb.1617:
	global_load_u16 v7, v[9:10], off
.LBB281_1618:
	s_mov_b32 s3, 0
.LBB281_1619:
	s_delay_alu instid0(SALU_CYCLE_1)
	s_and_not1_b32 vcc_lo, exec_lo, s3
	s_cbranch_vccnz .LBB281_1625
; %bb.1620:
	v_cmp_gt_i16_e64 s2, s2, 0
	s_delay_alu instid0(VALU_DEP_1)
	s_and_b32 vcc_lo, exec_lo, s2
	s_mov_b32 s2, 0
	s_cbranch_vccz .LBB281_1622
; %bb.1621:
	global_load_u8 v7, v[9:10], off
	s_branch .LBB281_1623
.LBB281_1622:
	s_mov_b32 s2, -1
                                        ; implicit-def: $vgpr7
.LBB281_1623:
	s_delay_alu instid0(SALU_CYCLE_1)
	s_and_not1_b32 vcc_lo, exec_lo, s2
	s_cbranch_vccnz .LBB281_1625
; %bb.1624:
	global_load_u8 v7, v[9:10], off
.LBB281_1625:
	s_mov_b32 s7, -1
.LBB281_1626:
	s_delay_alu instid0(SALU_CYCLE_1)
	s_and_not1_b32 vcc_lo, exec_lo, s7
	s_cbranch_vccnz .LBB281_2057
; %bb.1627:
	s_load_b32 s2, s[16:17], 0x158
	s_waitcnt vmcnt(0)
	v_and_b32_e32 v4, 0xff, v4
	s_lshr_b32 s0, s0, 16
	s_mov_b32 s3, 0
	v_and_b32_e64 v8, 0xff, s0
	v_add_co_u32 v3, s0, s4, v3
	s_delay_alu instid0(VALU_DEP_2) | instskip(SKIP_4) | instid1(VALU_DEP_2)
	v_cmp_gt_i16_e32 vcc_lo, 11, v8
	s_and_b32 vcc_lo, exec_lo, vcc_lo
	s_waitcnt lgkmcnt(0)
	v_and_b32_e64 v9, 0xff, s2
	v_lshrrev_b16 v10, 8, s2
	v_max_u16 v11, v4, v9
	v_add_co_ci_u32_e64 v4, null, s5, 0, s0
	s_mov_b32 s0, -1
	s_delay_alu instid0(VALU_DEP_2)
	v_min_u16 v11, v11, v10
	s_cbranch_vccnz .LBB281_1705
; %bb.1628:
	v_cmp_lt_i16_e32 vcc_lo, 25, v8
	s_mov_b32 s6, -1
	s_mov_b32 s2, 0
	s_mov_b32 s0, 0
	s_cbranch_vccz .LBB281_1661
; %bb.1629:
	v_cmp_lt_i16_e32 vcc_lo, 28, v8
	s_cbranch_vccz .LBB281_1644
; %bb.1630:
	v_cmp_lt_i16_e32 vcc_lo, 43, v8
	;; [unrolled: 3-line block ×3, first 2 shown]
	s_cbranch_vccz .LBB281_1634
; %bb.1632:
	v_cmp_eq_u16_e32 vcc_lo, 46, v8
	s_mov_b32 s0, -1
	s_mov_b32 s6, 0
	s_cbranch_vccz .LBB281_1634
; %bb.1633:
	v_cvt_f32_ubyte0_e32 v12, v11
	s_mov_b32 s0, 0
	s_mov_b32 s3, -1
	s_delay_alu instid0(VALU_DEP_1) | instskip(NEXT) | instid1(VALU_DEP_1)
	v_bfe_u32 v13, v12, 16, 1
	v_add3_u32 v12, v12, v13, 0x7fff
	s_delay_alu instid0(VALU_DEP_1)
	v_lshrrev_b32_e32 v12, 16, v12
	global_store_b32 v[3:4], v12, off
.LBB281_1634:
	s_and_b32 vcc_lo, exec_lo, s6
	s_cbranch_vccz .LBB281_1639
; %bb.1635:
	v_cmp_eq_u16_e32 vcc_lo, 44, v8
	s_mov_b32 s0, -1
	s_cbranch_vccz .LBB281_1639
; %bb.1636:
	v_cvt_f32_ubyte0_e32 v14, v11
	v_mov_b32_e32 v13, 0xff
	s_mov_b32 s3, exec_lo
	s_delay_alu instid0(VALU_DEP_2) | instskip(NEXT) | instid1(VALU_DEP_1)
	v_lshrrev_b32_e32 v12, 23, v14
	v_cmpx_ne_u32_e32 0xff, v12
; %bb.1637:
	v_and_b32_e32 v13, 0x400000, v14
	v_and_or_b32 v14, 0x3fffff, v14, v12
	s_delay_alu instid0(VALU_DEP_2) | instskip(NEXT) | instid1(VALU_DEP_2)
	v_cmp_ne_u32_e32 vcc_lo, 0, v13
	v_cmp_ne_u32_e64 s0, 0, v14
	s_delay_alu instid0(VALU_DEP_1) | instskip(NEXT) | instid1(SALU_CYCLE_1)
	s_and_b32 s0, vcc_lo, s0
	v_cndmask_b32_e64 v13, 0, 1, s0
	s_delay_alu instid0(VALU_DEP_1)
	v_add_nc_u32_e32 v13, v12, v13
; %bb.1638:
	s_or_b32 exec_lo, exec_lo, s3
	s_mov_b32 s0, 0
	s_mov_b32 s3, -1
	global_store_b8 v[3:4], v13, off
.LBB281_1639:
	s_mov_b32 s6, 0
.LBB281_1640:
	s_delay_alu instid0(SALU_CYCLE_1)
	s_and_b32 vcc_lo, exec_lo, s6
	s_cbranch_vccz .LBB281_1643
; %bb.1641:
	v_cmp_eq_u16_e32 vcc_lo, 29, v8
	s_mov_b32 s0, -1
	s_cbranch_vccz .LBB281_1643
; %bb.1642:
	s_mov_b32 s0, 0
	s_delay_alu instid0(SALU_CYCLE_1)
	v_dual_mov_b32 v13, s0 :: v_dual_and_b32 v12, 0xffff, v11
	s_mov_b32 s3, -1
	global_store_b64 v[3:4], v[12:13], off
.LBB281_1643:
	s_mov_b32 s6, 0
.LBB281_1644:
	s_delay_alu instid0(SALU_CYCLE_1)
	s_and_b32 vcc_lo, exec_lo, s6
	s_cbranch_vccz .LBB281_1660
; %bb.1645:
	v_cmp_gt_i16_e32 vcc_lo, 27, v8
	s_mov_b32 s3, -1
	s_cbranch_vccnz .LBB281_1651
; %bb.1646:
	v_cmp_lt_i16_e32 vcc_lo, 27, v8
	s_cbranch_vccz .LBB281_1648
; %bb.1647:
	v_and_b32_e32 v12, 0xffff, v11
	s_mov_b32 s3, 0
	global_store_b32 v[3:4], v12, off
.LBB281_1648:
	s_and_not1_b32 vcc_lo, exec_lo, s3
	s_cbranch_vccnz .LBB281_1650
; %bb.1649:
	global_store_b16 v[3:4], v11, off
.LBB281_1650:
	s_mov_b32 s3, 0
.LBB281_1651:
	s_delay_alu instid0(SALU_CYCLE_1)
	s_and_not1_b32 vcc_lo, exec_lo, s3
	s_cbranch_vccnz .LBB281_1659
; %bb.1652:
	v_cvt_f32_ubyte0_e32 v13, v11
	v_mov_b32_e32 v14, 0x80
	s_mov_b32 s3, exec_lo
	s_delay_alu instid0(VALU_DEP_2)
	v_cmpx_gt_u32_e32 0x43800000, v13
	s_cbranch_execz .LBB281_1658
; %bb.1653:
	s_mov_b32 s6, 0
	s_mov_b32 s7, exec_lo
                                        ; implicit-def: $vgpr12
	v_cmpx_lt_u32_e32 0x3bffffff, v13
	s_xor_b32 s7, exec_lo, s7
	s_cbranch_execz .LBB281_2104
; %bb.1654:
	v_bfe_u32 v12, v13, 20, 1
	s_mov_b32 s6, exec_lo
	s_delay_alu instid0(VALU_DEP_1) | instskip(NEXT) | instid1(VALU_DEP_1)
	v_add3_u32 v12, v13, v12, 0x487ffff
                                        ; implicit-def: $vgpr13
	v_lshrrev_b32_e32 v12, 20, v12
	s_or_saveexec_b32 s7, s7
                                        ; implicit-def: $sgpr10
	s_delay_alu instid0(SALU_CYCLE_1)
	s_xor_b32 exec_lo, exec_lo, s7
	s_cbranch_execnz .LBB281_2105
.LBB281_1655:
	s_or_b32 exec_lo, exec_lo, s7
	v_mov_b32_e32 v14, s10
	s_and_saveexec_b32 s7, s6
.LBB281_1656:
	v_mov_b32_e32 v14, v12
.LBB281_1657:
	s_or_b32 exec_lo, exec_lo, s7
.LBB281_1658:
	s_delay_alu instid0(SALU_CYCLE_1)
	s_or_b32 exec_lo, exec_lo, s3
	global_store_b8 v[3:4], v14, off
.LBB281_1659:
	s_mov_b32 s3, -1
.LBB281_1660:
	s_mov_b32 s6, 0
.LBB281_1661:
	s_delay_alu instid0(SALU_CYCLE_1)
	s_and_b32 vcc_lo, exec_lo, s6
	s_cbranch_vccz .LBB281_1701
; %bb.1662:
	v_cmp_lt_i16_e32 vcc_lo, 22, v8
	s_mov_b32 s2, -1
	s_cbranch_vccz .LBB281_1694
; %bb.1663:
	v_cmp_gt_i16_e32 vcc_lo, 24, v8
	s_cbranch_vccnz .LBB281_1683
; %bb.1664:
	v_cmp_lt_i16_e32 vcc_lo, 24, v8
	s_cbranch_vccz .LBB281_1672
; %bb.1665:
	v_cvt_f32_ubyte0_e32 v13, v11
	v_mov_b32_e32 v14, 0x80
	s_mov_b32 s2, exec_lo
	s_delay_alu instid0(VALU_DEP_2)
	v_cmpx_gt_u32_e32 0x47800000, v13
	s_cbranch_execz .LBB281_1671
; %bb.1666:
	s_mov_b32 s3, 0
	s_mov_b32 s6, exec_lo
                                        ; implicit-def: $vgpr12
	v_cmpx_lt_u32_e32 0x37ffffff, v13
	s_xor_b32 s6, exec_lo, s6
	s_cbranch_execz .LBB281_2110
; %bb.1667:
	v_bfe_u32 v12, v13, 21, 1
	s_mov_b32 s3, exec_lo
	s_delay_alu instid0(VALU_DEP_1) | instskip(NEXT) | instid1(VALU_DEP_1)
	v_add3_u32 v12, v13, v12, 0x88fffff
                                        ; implicit-def: $vgpr13
	v_lshrrev_b32_e32 v12, 21, v12
	s_or_saveexec_b32 s6, s6
                                        ; implicit-def: $sgpr7
	s_delay_alu instid0(SALU_CYCLE_1)
	s_xor_b32 exec_lo, exec_lo, s6
	s_cbranch_execnz .LBB281_2111
.LBB281_1668:
	s_or_b32 exec_lo, exec_lo, s6
	v_mov_b32_e32 v14, s7
	s_and_saveexec_b32 s6, s3
.LBB281_1669:
	v_mov_b32_e32 v14, v12
.LBB281_1670:
	s_or_b32 exec_lo, exec_lo, s6
.LBB281_1671:
	s_delay_alu instid0(SALU_CYCLE_1)
	s_or_b32 exec_lo, exec_lo, s2
	s_mov_b32 s2, 0
	global_store_b8 v[3:4], v14, off
.LBB281_1672:
	s_and_b32 vcc_lo, exec_lo, s2
	s_cbranch_vccz .LBB281_1682
; %bb.1673:
	v_cvt_f32_ubyte0_e32 v13, v11
	s_mov_b32 s2, exec_lo
                                        ; implicit-def: $vgpr12
	s_delay_alu instid0(VALU_DEP_1)
	v_cmpx_gt_u32_e32 0x43f00000, v13
	s_xor_b32 s2, exec_lo, s2
	s_cbranch_execz .LBB281_1679
; %bb.1674:
	s_mov_b32 s3, exec_lo
                                        ; implicit-def: $vgpr12
	v_cmpx_lt_u32_e32 0x3c7fffff, v13
	s_xor_b32 s3, exec_lo, s3
; %bb.1675:
	v_bfe_u32 v12, v13, 20, 1
	s_delay_alu instid0(VALU_DEP_1) | instskip(NEXT) | instid1(VALU_DEP_1)
	v_add3_u32 v12, v13, v12, 0x407ffff
	v_and_b32_e32 v13, 0xff00000, v12
	v_lshrrev_b32_e32 v12, 20, v12
	s_delay_alu instid0(VALU_DEP_2) | instskip(NEXT) | instid1(VALU_DEP_2)
	v_cmp_ne_u32_e32 vcc_lo, 0x7f00000, v13
                                        ; implicit-def: $vgpr13
	v_cndmask_b32_e32 v12, 0x7e, v12, vcc_lo
; %bb.1676:
	s_and_not1_saveexec_b32 s3, s3
; %bb.1677:
	v_add_f32_e32 v12, 0x46800000, v13
; %bb.1678:
	s_or_b32 exec_lo, exec_lo, s3
                                        ; implicit-def: $vgpr13
.LBB281_1679:
	s_and_not1_saveexec_b32 s2, s2
; %bb.1680:
	v_mov_b32_e32 v12, 0x7f
	v_cmp_lt_u32_e32 vcc_lo, 0x7f800000, v13
	s_delay_alu instid0(VALU_DEP_2)
	v_cndmask_b32_e32 v12, 0x7e, v12, vcc_lo
; %bb.1681:
	s_or_b32 exec_lo, exec_lo, s2
	global_store_b8 v[3:4], v12, off
.LBB281_1682:
	s_mov_b32 s2, 0
.LBB281_1683:
	s_delay_alu instid0(SALU_CYCLE_1)
	s_and_not1_b32 vcc_lo, exec_lo, s2
	s_cbranch_vccnz .LBB281_1693
; %bb.1684:
	v_cvt_f32_ubyte0_e32 v13, v11
	s_mov_b32 s2, exec_lo
                                        ; implicit-def: $vgpr12
	s_delay_alu instid0(VALU_DEP_1)
	v_cmpx_gt_u32_e32 0x47800000, v13
	s_xor_b32 s2, exec_lo, s2
	s_cbranch_execz .LBB281_1690
; %bb.1685:
	s_mov_b32 s3, exec_lo
                                        ; implicit-def: $vgpr12
	v_cmpx_lt_u32_e32 0x387fffff, v13
	s_xor_b32 s3, exec_lo, s3
; %bb.1686:
	v_bfe_u32 v12, v13, 21, 1
	s_delay_alu instid0(VALU_DEP_1) | instskip(NEXT) | instid1(VALU_DEP_1)
	v_add3_u32 v12, v13, v12, 0x80fffff
                                        ; implicit-def: $vgpr13
	v_lshrrev_b32_e32 v12, 21, v12
; %bb.1687:
	s_and_not1_saveexec_b32 s3, s3
; %bb.1688:
	v_add_f32_e32 v12, 0x43000000, v13
; %bb.1689:
	s_or_b32 exec_lo, exec_lo, s3
                                        ; implicit-def: $vgpr13
.LBB281_1690:
	s_and_not1_saveexec_b32 s2, s2
; %bb.1691:
	v_mov_b32_e32 v12, 0x7f
	v_cmp_lt_u32_e32 vcc_lo, 0x7f800000, v13
	s_delay_alu instid0(VALU_DEP_2)
	v_cndmask_b32_e32 v12, 0x7c, v12, vcc_lo
; %bb.1692:
	s_or_b32 exec_lo, exec_lo, s2
	global_store_b8 v[3:4], v12, off
.LBB281_1693:
	s_mov_b32 s2, 0
	s_mov_b32 s3, -1
.LBB281_1694:
	s_and_not1_b32 vcc_lo, exec_lo, s2
	s_mov_b32 s2, 0
	s_cbranch_vccnz .LBB281_1701
; %bb.1695:
	v_cmp_lt_i16_e32 vcc_lo, 14, v8
	s_mov_b32 s2, -1
	s_cbranch_vccz .LBB281_1699
; %bb.1696:
	v_cmp_eq_u16_e32 vcc_lo, 15, v8
	s_mov_b32 s0, -1
	s_cbranch_vccz .LBB281_1698
; %bb.1697:
	v_cvt_f32_ubyte0_e32 v12, v11
	s_mov_b32 s0, 0
	s_mov_b32 s3, -1
	s_delay_alu instid0(VALU_DEP_1) | instskip(NEXT) | instid1(VALU_DEP_1)
	v_bfe_u32 v13, v12, 16, 1
	v_add3_u32 v12, v12, v13, 0x7fff
	global_store_d16_hi_b16 v[3:4], v12, off
.LBB281_1698:
	s_mov_b32 s2, 0
.LBB281_1699:
	s_delay_alu instid0(SALU_CYCLE_1)
	s_and_b32 vcc_lo, exec_lo, s2
	s_mov_b32 s2, 0
	s_cbranch_vccz .LBB281_1701
; %bb.1700:
	v_cmp_ne_u16_e64 s0, 11, v8
	s_mov_b32 s2, -1
.LBB281_1701:
	s_delay_alu instid0(VALU_DEP_1)
	s_and_b32 vcc_lo, exec_lo, s0
	s_cbranch_vccnz .LBB281_2108
; %bb.1702:
	s_and_not1_b32 vcc_lo, exec_lo, s2
	s_cbranch_vccnz .LBB281_1704
.LBB281_1703:
	v_cmp_ne_u16_e32 vcc_lo, 0, v11
	s_mov_b32 s3, -1
	v_cndmask_b32_e64 v12, 0, 1, vcc_lo
	global_store_b8 v[3:4], v12, off
.LBB281_1704:
	s_mov_b32 s0, 0
.LBB281_1705:
	s_delay_alu instid0(SALU_CYCLE_1)
	s_and_b32 vcc_lo, exec_lo, s0
	s_cbranch_vccz .LBB281_1744
; %bb.1706:
	v_cmp_gt_i16_e32 vcc_lo, 5, v8
	s_mov_b32 s0, -1
	s_cbranch_vccnz .LBB281_1727
; %bb.1707:
	v_cmp_gt_i16_e32 vcc_lo, 8, v8
	s_cbranch_vccnz .LBB281_1717
; %bb.1708:
	v_cmp_gt_i16_e32 vcc_lo, 9, v8
	s_cbranch_vccnz .LBB281_1714
; %bb.1709:
	v_cmp_lt_i16_e32 vcc_lo, 9, v8
	s_cbranch_vccz .LBB281_1711
; %bb.1710:
	v_mov_b32_e32 v14, 0
	v_and_b32_e32 v12, 0xffff, v11
	s_mov_b32 s0, 0
	s_delay_alu instid0(VALU_DEP_2) | instskip(NEXT) | instid1(VALU_DEP_2)
	v_mov_b32_e32 v15, v14
	v_cvt_f64_u32_e32 v[12:13], v12
	global_store_b128 v[3:4], v[12:15], off
.LBB281_1711:
	s_and_not1_b32 vcc_lo, exec_lo, s0
	s_cbranch_vccnz .LBB281_1713
; %bb.1712:
	v_cvt_f32_ubyte0_e32 v12, v11
	v_mov_b32_e32 v13, 0
	global_store_b64 v[3:4], v[12:13], off
.LBB281_1713:
	s_mov_b32 s0, 0
.LBB281_1714:
	s_delay_alu instid0(SALU_CYCLE_1)
	s_and_not1_b32 vcc_lo, exec_lo, s0
	s_cbranch_vccnz .LBB281_1716
; %bb.1715:
	v_cvt_f16_u16_e32 v12, v11
	s_delay_alu instid0(VALU_DEP_1)
	v_and_b32_e32 v12, 0xffff, v12
	global_store_b32 v[3:4], v12, off
.LBB281_1716:
	s_mov_b32 s0, 0
.LBB281_1717:
	s_delay_alu instid0(SALU_CYCLE_1)
	s_and_not1_b32 vcc_lo, exec_lo, s0
	s_cbranch_vccnz .LBB281_1726
; %bb.1718:
	v_cmp_gt_i16_e32 vcc_lo, 6, v8
	s_mov_b32 s0, -1
	s_cbranch_vccnz .LBB281_1724
; %bb.1719:
	v_cmp_lt_i16_e32 vcc_lo, 6, v8
	s_cbranch_vccz .LBB281_1721
; %bb.1720:
	v_and_b32_e32 v12, 0xffff, v11
	s_mov_b32 s0, 0
	s_delay_alu instid0(VALU_DEP_1)
	v_cvt_f64_u32_e32 v[12:13], v12
	global_store_b64 v[3:4], v[12:13], off
.LBB281_1721:
	s_and_not1_b32 vcc_lo, exec_lo, s0
	s_cbranch_vccnz .LBB281_1723
; %bb.1722:
	v_cvt_f32_ubyte0_e32 v12, v11
	global_store_b32 v[3:4], v12, off
.LBB281_1723:
	s_mov_b32 s0, 0
.LBB281_1724:
	s_delay_alu instid0(SALU_CYCLE_1)
	s_and_not1_b32 vcc_lo, exec_lo, s0
	s_cbranch_vccnz .LBB281_1726
; %bb.1725:
	v_cvt_f16_u16_e32 v12, v11
	global_store_b16 v[3:4], v12, off
.LBB281_1726:
	s_mov_b32 s0, 0
.LBB281_1727:
	s_delay_alu instid0(SALU_CYCLE_1)
	s_and_not1_b32 vcc_lo, exec_lo, s0
	s_cbranch_vccnz .LBB281_1743
; %bb.1728:
	v_cmp_gt_i16_e32 vcc_lo, 2, v8
	s_mov_b32 s0, -1
	s_cbranch_vccnz .LBB281_1738
; %bb.1729:
	v_cmp_gt_i16_e32 vcc_lo, 3, v8
	s_cbranch_vccnz .LBB281_1735
; %bb.1730:
	v_cmp_lt_i16_e32 vcc_lo, 3, v8
	s_cbranch_vccz .LBB281_1732
; %bb.1731:
	s_mov_b32 s0, 0
	s_delay_alu instid0(SALU_CYCLE_1)
	v_dual_mov_b32 v13, s0 :: v_dual_and_b32 v12, 0xffff, v11
	global_store_b64 v[3:4], v[12:13], off
.LBB281_1732:
	s_and_not1_b32 vcc_lo, exec_lo, s0
	s_cbranch_vccnz .LBB281_1734
; %bb.1733:
	v_and_b32_e32 v12, 0xffff, v11
	global_store_b32 v[3:4], v12, off
.LBB281_1734:
	s_mov_b32 s0, 0
.LBB281_1735:
	s_delay_alu instid0(SALU_CYCLE_1)
	s_and_not1_b32 vcc_lo, exec_lo, s0
	s_cbranch_vccnz .LBB281_1737
; %bb.1736:
	global_store_b16 v[3:4], v11, off
.LBB281_1737:
	s_mov_b32 s0, 0
.LBB281_1738:
	s_delay_alu instid0(SALU_CYCLE_1)
	s_and_not1_b32 vcc_lo, exec_lo, s0
	s_cbranch_vccnz .LBB281_1743
; %bb.1739:
	v_cmp_lt_i16_e32 vcc_lo, 0, v8
	s_mov_b32 s0, -1
	s_cbranch_vccz .LBB281_1741
; %bb.1740:
	s_mov_b32 s0, 0
	global_store_b8 v[3:4], v11, off
.LBB281_1741:
	s_and_not1_b32 vcc_lo, exec_lo, s0
	s_cbranch_vccnz .LBB281_1743
; %bb.1742:
	global_store_b8 v[3:4], v11, off
.LBB281_1743:
	s_mov_b32 s3, -1
.LBB281_1744:
	s_delay_alu instid0(SALU_CYCLE_1)
	s_and_not1_b32 vcc_lo, exec_lo, s3
	s_cbranch_vccnz .LBB281_2057
; %bb.1745:
	v_and_b32_e32 v3, 0xff, v5
	v_cmp_gt_i16_e32 vcc_lo, 11, v8
	v_add_co_u32 v2, s0, s4, v2
	s_mov_b32 s3, 0
	s_delay_alu instid0(VALU_DEP_3) | instskip(SKIP_2) | instid1(VALU_DEP_2)
	v_max_u16 v4, v3, v9
	v_add_co_ci_u32_e64 v3, null, s5, 0, s0
	s_mov_b32 s0, -1
	v_min_u16 v11, v4, v10
	s_cbranch_vccnz .LBB281_1823
; %bb.1746:
	v_cmp_lt_i16_e32 vcc_lo, 25, v8
	s_mov_b32 s6, -1
	s_mov_b32 s2, 0
	s_mov_b32 s0, 0
	s_cbranch_vccz .LBB281_1779
; %bb.1747:
	v_cmp_lt_i16_e32 vcc_lo, 28, v8
	s_cbranch_vccz .LBB281_1762
; %bb.1748:
	v_cmp_lt_i16_e32 vcc_lo, 43, v8
	;; [unrolled: 3-line block ×3, first 2 shown]
	s_cbranch_vccz .LBB281_1752
; %bb.1750:
	v_cmp_eq_u16_e32 vcc_lo, 46, v8
	s_mov_b32 s0, -1
	s_mov_b32 s6, 0
	s_cbranch_vccz .LBB281_1752
; %bb.1751:
	v_cvt_f32_ubyte0_e32 v4, v11
	s_mov_b32 s0, 0
	s_mov_b32 s3, -1
	s_delay_alu instid0(VALU_DEP_1) | instskip(NEXT) | instid1(VALU_DEP_1)
	v_bfe_u32 v5, v4, 16, 1
	v_add3_u32 v4, v4, v5, 0x7fff
	s_delay_alu instid0(VALU_DEP_1)
	v_lshrrev_b32_e32 v4, 16, v4
	global_store_b32 v[2:3], v4, off
.LBB281_1752:
	s_and_b32 vcc_lo, exec_lo, s6
	s_cbranch_vccz .LBB281_1757
; %bb.1753:
	v_cmp_eq_u16_e32 vcc_lo, 44, v8
	s_mov_b32 s0, -1
	s_cbranch_vccz .LBB281_1757
; %bb.1754:
	v_cvt_f32_ubyte0_e32 v12, v11
	v_mov_b32_e32 v5, 0xff
	s_mov_b32 s3, exec_lo
	s_delay_alu instid0(VALU_DEP_2) | instskip(NEXT) | instid1(VALU_DEP_1)
	v_lshrrev_b32_e32 v4, 23, v12
	v_cmpx_ne_u32_e32 0xff, v4
; %bb.1755:
	v_and_b32_e32 v5, 0x400000, v12
	v_and_or_b32 v12, 0x3fffff, v12, v4
	s_delay_alu instid0(VALU_DEP_2) | instskip(NEXT) | instid1(VALU_DEP_2)
	v_cmp_ne_u32_e32 vcc_lo, 0, v5
	v_cmp_ne_u32_e64 s0, 0, v12
	s_delay_alu instid0(VALU_DEP_1) | instskip(NEXT) | instid1(SALU_CYCLE_1)
	s_and_b32 s0, vcc_lo, s0
	v_cndmask_b32_e64 v5, 0, 1, s0
	s_delay_alu instid0(VALU_DEP_1)
	v_add_nc_u32_e32 v5, v4, v5
; %bb.1756:
	s_or_b32 exec_lo, exec_lo, s3
	s_mov_b32 s0, 0
	s_mov_b32 s3, -1
	global_store_b8 v[2:3], v5, off
.LBB281_1757:
	s_mov_b32 s6, 0
.LBB281_1758:
	s_delay_alu instid0(SALU_CYCLE_1)
	s_and_b32 vcc_lo, exec_lo, s6
	s_cbranch_vccz .LBB281_1761
; %bb.1759:
	v_cmp_eq_u16_e32 vcc_lo, 29, v8
	s_mov_b32 s0, -1
	s_cbranch_vccz .LBB281_1761
; %bb.1760:
	s_mov_b32 s0, 0
	s_delay_alu instid0(SALU_CYCLE_1)
	v_dual_mov_b32 v5, s0 :: v_dual_and_b32 v4, 0xffff, v11
	s_mov_b32 s3, -1
	global_store_b64 v[2:3], v[4:5], off
.LBB281_1761:
	s_mov_b32 s6, 0
.LBB281_1762:
	s_delay_alu instid0(SALU_CYCLE_1)
	s_and_b32 vcc_lo, exec_lo, s6
	s_cbranch_vccz .LBB281_1778
; %bb.1763:
	v_cmp_gt_i16_e32 vcc_lo, 27, v8
	s_mov_b32 s3, -1
	s_cbranch_vccnz .LBB281_1769
; %bb.1764:
	v_cmp_lt_i16_e32 vcc_lo, 27, v8
	s_cbranch_vccz .LBB281_1766
; %bb.1765:
	v_and_b32_e32 v4, 0xffff, v11
	s_mov_b32 s3, 0
	global_store_b32 v[2:3], v4, off
.LBB281_1766:
	s_and_not1_b32 vcc_lo, exec_lo, s3
	s_cbranch_vccnz .LBB281_1768
; %bb.1767:
	global_store_b16 v[2:3], v11, off
.LBB281_1768:
	s_mov_b32 s3, 0
.LBB281_1769:
	s_delay_alu instid0(SALU_CYCLE_1)
	s_and_not1_b32 vcc_lo, exec_lo, s3
	s_cbranch_vccnz .LBB281_1777
; %bb.1770:
	v_cvt_f32_ubyte0_e32 v5, v11
	v_mov_b32_e32 v12, 0x80
	s_mov_b32 s3, exec_lo
	s_delay_alu instid0(VALU_DEP_2)
	v_cmpx_gt_u32_e32 0x43800000, v5
	s_cbranch_execz .LBB281_1776
; %bb.1771:
	s_mov_b32 s6, 0
	s_mov_b32 s7, exec_lo
                                        ; implicit-def: $vgpr4
	v_cmpx_lt_u32_e32 0x3bffffff, v5
	s_xor_b32 s7, exec_lo, s7
	s_cbranch_execz .LBB281_2112
; %bb.1772:
	v_bfe_u32 v4, v5, 20, 1
	s_mov_b32 s6, exec_lo
	s_delay_alu instid0(VALU_DEP_1) | instskip(NEXT) | instid1(VALU_DEP_1)
	v_add3_u32 v4, v5, v4, 0x487ffff
                                        ; implicit-def: $vgpr5
	v_lshrrev_b32_e32 v4, 20, v4
	s_or_saveexec_b32 s7, s7
                                        ; implicit-def: $sgpr10
	s_delay_alu instid0(SALU_CYCLE_1)
	s_xor_b32 exec_lo, exec_lo, s7
	s_cbranch_execnz .LBB281_2113
.LBB281_1773:
	s_or_b32 exec_lo, exec_lo, s7
	v_mov_b32_e32 v12, s10
	s_and_saveexec_b32 s7, s6
.LBB281_1774:
	v_mov_b32_e32 v12, v4
.LBB281_1775:
	s_or_b32 exec_lo, exec_lo, s7
.LBB281_1776:
	s_delay_alu instid0(SALU_CYCLE_1)
	s_or_b32 exec_lo, exec_lo, s3
	global_store_b8 v[2:3], v12, off
.LBB281_1777:
	s_mov_b32 s3, -1
.LBB281_1778:
	s_mov_b32 s6, 0
.LBB281_1779:
	s_delay_alu instid0(SALU_CYCLE_1)
	s_and_b32 vcc_lo, exec_lo, s6
	s_cbranch_vccz .LBB281_1819
; %bb.1780:
	v_cmp_lt_i16_e32 vcc_lo, 22, v8
	s_mov_b32 s2, -1
	s_cbranch_vccz .LBB281_1812
; %bb.1781:
	v_cmp_gt_i16_e32 vcc_lo, 24, v8
	s_cbranch_vccnz .LBB281_1801
; %bb.1782:
	v_cmp_lt_i16_e32 vcc_lo, 24, v8
	s_cbranch_vccz .LBB281_1790
; %bb.1783:
	v_cvt_f32_ubyte0_e32 v5, v11
	v_mov_b32_e32 v12, 0x80
	s_mov_b32 s2, exec_lo
	s_delay_alu instid0(VALU_DEP_2)
	v_cmpx_gt_u32_e32 0x47800000, v5
	s_cbranch_execz .LBB281_1789
; %bb.1784:
	s_mov_b32 s3, 0
	s_mov_b32 s6, exec_lo
                                        ; implicit-def: $vgpr4
	v_cmpx_lt_u32_e32 0x37ffffff, v5
	s_xor_b32 s6, exec_lo, s6
	s_cbranch_execz .LBB281_2118
; %bb.1785:
	v_bfe_u32 v4, v5, 21, 1
	s_mov_b32 s3, exec_lo
	s_delay_alu instid0(VALU_DEP_1) | instskip(NEXT) | instid1(VALU_DEP_1)
	v_add3_u32 v4, v5, v4, 0x88fffff
                                        ; implicit-def: $vgpr5
	v_lshrrev_b32_e32 v4, 21, v4
	s_or_saveexec_b32 s6, s6
                                        ; implicit-def: $sgpr7
	s_delay_alu instid0(SALU_CYCLE_1)
	s_xor_b32 exec_lo, exec_lo, s6
	s_cbranch_execnz .LBB281_2119
.LBB281_1786:
	s_or_b32 exec_lo, exec_lo, s6
	v_mov_b32_e32 v12, s7
	s_and_saveexec_b32 s6, s3
.LBB281_1787:
	v_mov_b32_e32 v12, v4
.LBB281_1788:
	s_or_b32 exec_lo, exec_lo, s6
.LBB281_1789:
	s_delay_alu instid0(SALU_CYCLE_1)
	s_or_b32 exec_lo, exec_lo, s2
	s_mov_b32 s2, 0
	global_store_b8 v[2:3], v12, off
.LBB281_1790:
	s_and_b32 vcc_lo, exec_lo, s2
	s_cbranch_vccz .LBB281_1800
; %bb.1791:
	v_cvt_f32_ubyte0_e32 v5, v11
	s_mov_b32 s2, exec_lo
                                        ; implicit-def: $vgpr4
	s_delay_alu instid0(VALU_DEP_1)
	v_cmpx_gt_u32_e32 0x43f00000, v5
	s_xor_b32 s2, exec_lo, s2
	s_cbranch_execz .LBB281_1797
; %bb.1792:
	s_mov_b32 s3, exec_lo
                                        ; implicit-def: $vgpr4
	v_cmpx_lt_u32_e32 0x3c7fffff, v5
	s_xor_b32 s3, exec_lo, s3
; %bb.1793:
	v_bfe_u32 v4, v5, 20, 1
	s_delay_alu instid0(VALU_DEP_1) | instskip(NEXT) | instid1(VALU_DEP_1)
	v_add3_u32 v4, v5, v4, 0x407ffff
	v_and_b32_e32 v5, 0xff00000, v4
	v_lshrrev_b32_e32 v4, 20, v4
	s_delay_alu instid0(VALU_DEP_2) | instskip(NEXT) | instid1(VALU_DEP_2)
	v_cmp_ne_u32_e32 vcc_lo, 0x7f00000, v5
                                        ; implicit-def: $vgpr5
	v_cndmask_b32_e32 v4, 0x7e, v4, vcc_lo
; %bb.1794:
	s_and_not1_saveexec_b32 s3, s3
; %bb.1795:
	v_add_f32_e32 v4, 0x46800000, v5
; %bb.1796:
	s_or_b32 exec_lo, exec_lo, s3
                                        ; implicit-def: $vgpr5
.LBB281_1797:
	s_and_not1_saveexec_b32 s2, s2
; %bb.1798:
	v_mov_b32_e32 v4, 0x7f
	v_cmp_lt_u32_e32 vcc_lo, 0x7f800000, v5
	s_delay_alu instid0(VALU_DEP_2)
	v_cndmask_b32_e32 v4, 0x7e, v4, vcc_lo
; %bb.1799:
	s_or_b32 exec_lo, exec_lo, s2
	global_store_b8 v[2:3], v4, off
.LBB281_1800:
	s_mov_b32 s2, 0
.LBB281_1801:
	s_delay_alu instid0(SALU_CYCLE_1)
	s_and_not1_b32 vcc_lo, exec_lo, s2
	s_cbranch_vccnz .LBB281_1811
; %bb.1802:
	v_cvt_f32_ubyte0_e32 v5, v11
	s_mov_b32 s2, exec_lo
                                        ; implicit-def: $vgpr4
	s_delay_alu instid0(VALU_DEP_1)
	v_cmpx_gt_u32_e32 0x47800000, v5
	s_xor_b32 s2, exec_lo, s2
	s_cbranch_execz .LBB281_1808
; %bb.1803:
	s_mov_b32 s3, exec_lo
                                        ; implicit-def: $vgpr4
	v_cmpx_lt_u32_e32 0x387fffff, v5
	s_xor_b32 s3, exec_lo, s3
; %bb.1804:
	v_bfe_u32 v4, v5, 21, 1
	s_delay_alu instid0(VALU_DEP_1) | instskip(NEXT) | instid1(VALU_DEP_1)
	v_add3_u32 v4, v5, v4, 0x80fffff
                                        ; implicit-def: $vgpr5
	v_lshrrev_b32_e32 v4, 21, v4
; %bb.1805:
	s_and_not1_saveexec_b32 s3, s3
; %bb.1806:
	v_add_f32_e32 v4, 0x43000000, v5
; %bb.1807:
	s_or_b32 exec_lo, exec_lo, s3
                                        ; implicit-def: $vgpr5
.LBB281_1808:
	s_and_not1_saveexec_b32 s2, s2
; %bb.1809:
	v_mov_b32_e32 v4, 0x7f
	v_cmp_lt_u32_e32 vcc_lo, 0x7f800000, v5
	s_delay_alu instid0(VALU_DEP_2)
	v_cndmask_b32_e32 v4, 0x7c, v4, vcc_lo
; %bb.1810:
	s_or_b32 exec_lo, exec_lo, s2
	global_store_b8 v[2:3], v4, off
.LBB281_1811:
	s_mov_b32 s2, 0
	s_mov_b32 s3, -1
.LBB281_1812:
	s_and_not1_b32 vcc_lo, exec_lo, s2
	s_mov_b32 s2, 0
	s_cbranch_vccnz .LBB281_1819
; %bb.1813:
	v_cmp_lt_i16_e32 vcc_lo, 14, v8
	s_mov_b32 s2, -1
	s_cbranch_vccz .LBB281_1817
; %bb.1814:
	v_cmp_eq_u16_e32 vcc_lo, 15, v8
	s_mov_b32 s0, -1
	s_cbranch_vccz .LBB281_1816
; %bb.1815:
	v_cvt_f32_ubyte0_e32 v4, v11
	s_mov_b32 s0, 0
	s_mov_b32 s3, -1
	s_delay_alu instid0(VALU_DEP_1) | instskip(NEXT) | instid1(VALU_DEP_1)
	v_bfe_u32 v5, v4, 16, 1
	v_add3_u32 v4, v4, v5, 0x7fff
	global_store_d16_hi_b16 v[2:3], v4, off
.LBB281_1816:
	s_mov_b32 s2, 0
.LBB281_1817:
	s_delay_alu instid0(SALU_CYCLE_1)
	s_and_b32 vcc_lo, exec_lo, s2
	s_mov_b32 s2, 0
	s_cbranch_vccz .LBB281_1819
; %bb.1818:
	v_cmp_ne_u16_e64 s0, 11, v8
	s_mov_b32 s2, -1
.LBB281_1819:
	s_delay_alu instid0(VALU_DEP_1)
	s_and_b32 vcc_lo, exec_lo, s0
	s_cbranch_vccnz .LBB281_2116
; %bb.1820:
	s_and_not1_b32 vcc_lo, exec_lo, s2
	s_cbranch_vccnz .LBB281_1822
.LBB281_1821:
	v_cmp_ne_u16_e32 vcc_lo, 0, v11
	s_mov_b32 s3, -1
	v_cndmask_b32_e64 v4, 0, 1, vcc_lo
	global_store_b8 v[2:3], v4, off
.LBB281_1822:
	s_mov_b32 s0, 0
.LBB281_1823:
	s_delay_alu instid0(SALU_CYCLE_1)
	s_and_b32 vcc_lo, exec_lo, s0
	s_cbranch_vccz .LBB281_1862
; %bb.1824:
	v_cmp_gt_i16_e32 vcc_lo, 5, v8
	s_mov_b32 s0, -1
	s_cbranch_vccnz .LBB281_1845
; %bb.1825:
	v_cmp_gt_i16_e32 vcc_lo, 8, v8
	s_cbranch_vccnz .LBB281_1835
; %bb.1826:
	v_cmp_gt_i16_e32 vcc_lo, 9, v8
	s_cbranch_vccnz .LBB281_1832
; %bb.1827:
	v_cmp_lt_i16_e32 vcc_lo, 9, v8
	s_cbranch_vccz .LBB281_1829
; %bb.1828:
	v_mov_b32_e32 v14, 0
	v_and_b32_e32 v4, 0xffff, v11
	s_mov_b32 s0, 0
	s_delay_alu instid0(VALU_DEP_2) | instskip(NEXT) | instid1(VALU_DEP_2)
	v_mov_b32_e32 v15, v14
	v_cvt_f64_u32_e32 v[12:13], v4
	global_store_b128 v[2:3], v[12:15], off
.LBB281_1829:
	s_and_not1_b32 vcc_lo, exec_lo, s0
	s_cbranch_vccnz .LBB281_1831
; %bb.1830:
	v_cvt_f32_ubyte0_e32 v4, v11
	v_mov_b32_e32 v5, 0
	global_store_b64 v[2:3], v[4:5], off
.LBB281_1831:
	s_mov_b32 s0, 0
.LBB281_1832:
	s_delay_alu instid0(SALU_CYCLE_1)
	s_and_not1_b32 vcc_lo, exec_lo, s0
	s_cbranch_vccnz .LBB281_1834
; %bb.1833:
	v_cvt_f16_u16_e32 v4, v11
	s_delay_alu instid0(VALU_DEP_1)
	v_and_b32_e32 v4, 0xffff, v4
	global_store_b32 v[2:3], v4, off
.LBB281_1834:
	s_mov_b32 s0, 0
.LBB281_1835:
	s_delay_alu instid0(SALU_CYCLE_1)
	s_and_not1_b32 vcc_lo, exec_lo, s0
	s_cbranch_vccnz .LBB281_1844
; %bb.1836:
	v_cmp_gt_i16_e32 vcc_lo, 6, v8
	s_mov_b32 s0, -1
	s_cbranch_vccnz .LBB281_1842
; %bb.1837:
	v_cmp_lt_i16_e32 vcc_lo, 6, v8
	s_cbranch_vccz .LBB281_1839
; %bb.1838:
	v_and_b32_e32 v4, 0xffff, v11
	s_mov_b32 s0, 0
	s_delay_alu instid0(VALU_DEP_1)
	v_cvt_f64_u32_e32 v[4:5], v4
	global_store_b64 v[2:3], v[4:5], off
.LBB281_1839:
	s_and_not1_b32 vcc_lo, exec_lo, s0
	s_cbranch_vccnz .LBB281_1841
; %bb.1840:
	v_cvt_f32_ubyte0_e32 v4, v11
	global_store_b32 v[2:3], v4, off
.LBB281_1841:
	s_mov_b32 s0, 0
.LBB281_1842:
	s_delay_alu instid0(SALU_CYCLE_1)
	s_and_not1_b32 vcc_lo, exec_lo, s0
	s_cbranch_vccnz .LBB281_1844
; %bb.1843:
	v_cvt_f16_u16_e32 v4, v11
	global_store_b16 v[2:3], v4, off
.LBB281_1844:
	s_mov_b32 s0, 0
.LBB281_1845:
	s_delay_alu instid0(SALU_CYCLE_1)
	s_and_not1_b32 vcc_lo, exec_lo, s0
	s_cbranch_vccnz .LBB281_1861
; %bb.1846:
	v_cmp_gt_i16_e32 vcc_lo, 2, v8
	s_mov_b32 s0, -1
	s_cbranch_vccnz .LBB281_1856
; %bb.1847:
	v_cmp_gt_i16_e32 vcc_lo, 3, v8
	s_cbranch_vccnz .LBB281_1853
; %bb.1848:
	v_cmp_lt_i16_e32 vcc_lo, 3, v8
	v_and_b32_e32 v4, 0xffff, v11
	s_cbranch_vccz .LBB281_1850
; %bb.1849:
	s_mov_b32 s0, 0
	s_delay_alu instid0(SALU_CYCLE_1)
	v_mov_b32_e32 v5, s0
	global_store_b64 v[2:3], v[4:5], off
.LBB281_1850:
	s_and_not1_b32 vcc_lo, exec_lo, s0
	s_cbranch_vccnz .LBB281_1852
; %bb.1851:
	global_store_b32 v[2:3], v4, off
.LBB281_1852:
	s_mov_b32 s0, 0
.LBB281_1853:
	s_delay_alu instid0(SALU_CYCLE_1)
	s_and_not1_b32 vcc_lo, exec_lo, s0
	s_cbranch_vccnz .LBB281_1855
; %bb.1854:
	global_store_b16 v[2:3], v11, off
.LBB281_1855:
	s_mov_b32 s0, 0
.LBB281_1856:
	s_delay_alu instid0(SALU_CYCLE_1)
	s_and_not1_b32 vcc_lo, exec_lo, s0
	s_cbranch_vccnz .LBB281_1861
; %bb.1857:
	v_cmp_lt_i16_e32 vcc_lo, 0, v8
	s_mov_b32 s0, -1
	s_cbranch_vccz .LBB281_1859
; %bb.1858:
	s_mov_b32 s0, 0
	global_store_b8 v[2:3], v11, off
.LBB281_1859:
	s_and_not1_b32 vcc_lo, exec_lo, s0
	s_cbranch_vccnz .LBB281_1861
; %bb.1860:
	global_store_b8 v[2:3], v11, off
.LBB281_1861:
	s_mov_b32 s3, -1
.LBB281_1862:
	s_delay_alu instid0(SALU_CYCLE_1)
	s_and_not1_b32 vcc_lo, exec_lo, s3
	s_cbranch_vccnz .LBB281_2057
; %bb.1863:
	v_and_b32_e32 v2, 0xff, v6
	v_cmp_gt_i16_e32 vcc_lo, 11, v8
	v_add_co_u32 v1, s0, s4, v1
	s_mov_b32 s3, 0
	s_delay_alu instid0(VALU_DEP_3) | instskip(SKIP_2) | instid1(VALU_DEP_2)
	v_max_u16 v3, v2, v9
	v_add_co_ci_u32_e64 v2, null, s5, 0, s0
	s_mov_b32 s0, -1
	v_min_u16 v5, v3, v10
	s_cbranch_vccnz .LBB281_1941
; %bb.1864:
	v_cmp_lt_i16_e32 vcc_lo, 25, v8
	s_mov_b32 s6, -1
	s_mov_b32 s2, 0
	s_mov_b32 s0, 0
	s_cbranch_vccz .LBB281_1897
; %bb.1865:
	v_cmp_lt_i16_e32 vcc_lo, 28, v8
	s_cbranch_vccz .LBB281_1880
; %bb.1866:
	v_cmp_lt_i16_e32 vcc_lo, 43, v8
	;; [unrolled: 3-line block ×3, first 2 shown]
	s_cbranch_vccz .LBB281_1870
; %bb.1868:
	v_cmp_eq_u16_e32 vcc_lo, 46, v8
	s_mov_b32 s0, -1
	s_mov_b32 s6, 0
	s_cbranch_vccz .LBB281_1870
; %bb.1869:
	v_cvt_f32_ubyte0_e32 v3, v5
	s_mov_b32 s0, 0
	s_mov_b32 s3, -1
	s_delay_alu instid0(VALU_DEP_1) | instskip(NEXT) | instid1(VALU_DEP_1)
	v_bfe_u32 v4, v3, 16, 1
	v_add3_u32 v3, v3, v4, 0x7fff
	s_delay_alu instid0(VALU_DEP_1)
	v_lshrrev_b32_e32 v3, 16, v3
	global_store_b32 v[1:2], v3, off
.LBB281_1870:
	s_and_b32 vcc_lo, exec_lo, s6
	s_cbranch_vccz .LBB281_1875
; %bb.1871:
	v_cmp_eq_u16_e32 vcc_lo, 44, v8
	s_mov_b32 s0, -1
	s_cbranch_vccz .LBB281_1875
; %bb.1872:
	v_cvt_f32_ubyte0_e32 v6, v5
	v_mov_b32_e32 v4, 0xff
	s_mov_b32 s3, exec_lo
	s_delay_alu instid0(VALU_DEP_2) | instskip(NEXT) | instid1(VALU_DEP_1)
	v_lshrrev_b32_e32 v3, 23, v6
	v_cmpx_ne_u32_e32 0xff, v3
; %bb.1873:
	v_and_b32_e32 v4, 0x400000, v6
	v_and_or_b32 v6, 0x3fffff, v6, v3
	s_delay_alu instid0(VALU_DEP_2) | instskip(NEXT) | instid1(VALU_DEP_2)
	v_cmp_ne_u32_e32 vcc_lo, 0, v4
	v_cmp_ne_u32_e64 s0, 0, v6
	s_delay_alu instid0(VALU_DEP_1) | instskip(NEXT) | instid1(SALU_CYCLE_1)
	s_and_b32 s0, vcc_lo, s0
	v_cndmask_b32_e64 v4, 0, 1, s0
	s_delay_alu instid0(VALU_DEP_1)
	v_add_nc_u32_e32 v4, v3, v4
; %bb.1874:
	s_or_b32 exec_lo, exec_lo, s3
	s_mov_b32 s0, 0
	s_mov_b32 s3, -1
	global_store_b8 v[1:2], v4, off
.LBB281_1875:
	s_mov_b32 s6, 0
.LBB281_1876:
	s_delay_alu instid0(SALU_CYCLE_1)
	s_and_b32 vcc_lo, exec_lo, s6
	s_cbranch_vccz .LBB281_1879
; %bb.1877:
	v_cmp_eq_u16_e32 vcc_lo, 29, v8
	s_mov_b32 s0, -1
	s_cbranch_vccz .LBB281_1879
; %bb.1878:
	s_mov_b32 s0, 0
	s_delay_alu instid0(SALU_CYCLE_1)
	v_dual_mov_b32 v4, s0 :: v_dual_and_b32 v3, 0xffff, v5
	s_mov_b32 s3, -1
	global_store_b64 v[1:2], v[3:4], off
.LBB281_1879:
	s_mov_b32 s6, 0
.LBB281_1880:
	s_delay_alu instid0(SALU_CYCLE_1)
	s_and_b32 vcc_lo, exec_lo, s6
	s_cbranch_vccz .LBB281_1896
; %bb.1881:
	v_cmp_gt_i16_e32 vcc_lo, 27, v8
	s_mov_b32 s3, -1
	s_cbranch_vccnz .LBB281_1887
; %bb.1882:
	v_cmp_lt_i16_e32 vcc_lo, 27, v8
	s_cbranch_vccz .LBB281_1884
; %bb.1883:
	v_and_b32_e32 v3, 0xffff, v5
	s_mov_b32 s3, 0
	global_store_b32 v[1:2], v3, off
.LBB281_1884:
	s_and_not1_b32 vcc_lo, exec_lo, s3
	s_cbranch_vccnz .LBB281_1886
; %bb.1885:
	global_store_b16 v[1:2], v5, off
.LBB281_1886:
	s_mov_b32 s3, 0
.LBB281_1887:
	s_delay_alu instid0(SALU_CYCLE_1)
	s_and_not1_b32 vcc_lo, exec_lo, s3
	s_cbranch_vccnz .LBB281_1895
; %bb.1888:
	v_cvt_f32_ubyte0_e32 v4, v5
	v_mov_b32_e32 v6, 0x80
	s_mov_b32 s3, exec_lo
	s_delay_alu instid0(VALU_DEP_2)
	v_cmpx_gt_u32_e32 0x43800000, v4
	s_cbranch_execz .LBB281_1894
; %bb.1889:
	s_mov_b32 s6, 0
	s_mov_b32 s7, exec_lo
                                        ; implicit-def: $vgpr3
	v_cmpx_lt_u32_e32 0x3bffffff, v4
	s_xor_b32 s7, exec_lo, s7
	s_cbranch_execz .LBB281_2120
; %bb.1890:
	v_bfe_u32 v3, v4, 20, 1
	s_mov_b32 s6, exec_lo
	s_delay_alu instid0(VALU_DEP_1) | instskip(NEXT) | instid1(VALU_DEP_1)
	v_add3_u32 v3, v4, v3, 0x487ffff
                                        ; implicit-def: $vgpr4
	v_lshrrev_b32_e32 v3, 20, v3
	s_or_saveexec_b32 s7, s7
                                        ; implicit-def: $sgpr10
	s_delay_alu instid0(SALU_CYCLE_1)
	s_xor_b32 exec_lo, exec_lo, s7
	s_cbranch_execnz .LBB281_2121
.LBB281_1891:
	s_or_b32 exec_lo, exec_lo, s7
	v_mov_b32_e32 v6, s10
	s_and_saveexec_b32 s7, s6
.LBB281_1892:
	v_mov_b32_e32 v6, v3
.LBB281_1893:
	s_or_b32 exec_lo, exec_lo, s7
.LBB281_1894:
	s_delay_alu instid0(SALU_CYCLE_1)
	s_or_b32 exec_lo, exec_lo, s3
	global_store_b8 v[1:2], v6, off
.LBB281_1895:
	s_mov_b32 s3, -1
.LBB281_1896:
	s_mov_b32 s6, 0
.LBB281_1897:
	s_delay_alu instid0(SALU_CYCLE_1)
	s_and_b32 vcc_lo, exec_lo, s6
	s_cbranch_vccz .LBB281_1937
; %bb.1898:
	v_cmp_lt_i16_e32 vcc_lo, 22, v8
	s_mov_b32 s2, -1
	s_cbranch_vccz .LBB281_1930
; %bb.1899:
	v_cmp_gt_i16_e32 vcc_lo, 24, v8
	s_cbranch_vccnz .LBB281_1919
; %bb.1900:
	v_cmp_lt_i16_e32 vcc_lo, 24, v8
	s_cbranch_vccz .LBB281_1908
; %bb.1901:
	v_cvt_f32_ubyte0_e32 v4, v5
	v_mov_b32_e32 v6, 0x80
	s_mov_b32 s2, exec_lo
	s_delay_alu instid0(VALU_DEP_2)
	v_cmpx_gt_u32_e32 0x47800000, v4
	s_cbranch_execz .LBB281_1907
; %bb.1902:
	s_mov_b32 s3, 0
	s_mov_b32 s6, exec_lo
                                        ; implicit-def: $vgpr3
	v_cmpx_lt_u32_e32 0x37ffffff, v4
	s_xor_b32 s6, exec_lo, s6
	s_cbranch_execz .LBB281_2126
; %bb.1903:
	v_bfe_u32 v3, v4, 21, 1
	s_mov_b32 s3, exec_lo
	s_delay_alu instid0(VALU_DEP_1) | instskip(NEXT) | instid1(VALU_DEP_1)
	v_add3_u32 v3, v4, v3, 0x88fffff
                                        ; implicit-def: $vgpr4
	v_lshrrev_b32_e32 v3, 21, v3
	s_or_saveexec_b32 s6, s6
                                        ; implicit-def: $sgpr7
	s_delay_alu instid0(SALU_CYCLE_1)
	s_xor_b32 exec_lo, exec_lo, s6
	s_cbranch_execnz .LBB281_2127
.LBB281_1904:
	s_or_b32 exec_lo, exec_lo, s6
	v_mov_b32_e32 v6, s7
	s_and_saveexec_b32 s6, s3
.LBB281_1905:
	v_mov_b32_e32 v6, v3
.LBB281_1906:
	s_or_b32 exec_lo, exec_lo, s6
.LBB281_1907:
	s_delay_alu instid0(SALU_CYCLE_1)
	s_or_b32 exec_lo, exec_lo, s2
	s_mov_b32 s2, 0
	global_store_b8 v[1:2], v6, off
.LBB281_1908:
	s_and_b32 vcc_lo, exec_lo, s2
	s_cbranch_vccz .LBB281_1918
; %bb.1909:
	v_cvt_f32_ubyte0_e32 v4, v5
	s_mov_b32 s2, exec_lo
                                        ; implicit-def: $vgpr3
	s_delay_alu instid0(VALU_DEP_1)
	v_cmpx_gt_u32_e32 0x43f00000, v4
	s_xor_b32 s2, exec_lo, s2
	s_cbranch_execz .LBB281_1915
; %bb.1910:
	s_mov_b32 s3, exec_lo
                                        ; implicit-def: $vgpr3
	v_cmpx_lt_u32_e32 0x3c7fffff, v4
	s_xor_b32 s3, exec_lo, s3
; %bb.1911:
	v_bfe_u32 v3, v4, 20, 1
	s_delay_alu instid0(VALU_DEP_1) | instskip(NEXT) | instid1(VALU_DEP_1)
	v_add3_u32 v3, v4, v3, 0x407ffff
	v_and_b32_e32 v4, 0xff00000, v3
	v_lshrrev_b32_e32 v3, 20, v3
	s_delay_alu instid0(VALU_DEP_2) | instskip(NEXT) | instid1(VALU_DEP_2)
	v_cmp_ne_u32_e32 vcc_lo, 0x7f00000, v4
                                        ; implicit-def: $vgpr4
	v_cndmask_b32_e32 v3, 0x7e, v3, vcc_lo
; %bb.1912:
	s_and_not1_saveexec_b32 s3, s3
; %bb.1913:
	v_add_f32_e32 v3, 0x46800000, v4
; %bb.1914:
	s_or_b32 exec_lo, exec_lo, s3
                                        ; implicit-def: $vgpr4
.LBB281_1915:
	s_and_not1_saveexec_b32 s2, s2
; %bb.1916:
	v_mov_b32_e32 v3, 0x7f
	v_cmp_lt_u32_e32 vcc_lo, 0x7f800000, v4
	s_delay_alu instid0(VALU_DEP_2)
	v_cndmask_b32_e32 v3, 0x7e, v3, vcc_lo
; %bb.1917:
	s_or_b32 exec_lo, exec_lo, s2
	global_store_b8 v[1:2], v3, off
.LBB281_1918:
	s_mov_b32 s2, 0
.LBB281_1919:
	s_delay_alu instid0(SALU_CYCLE_1)
	s_and_not1_b32 vcc_lo, exec_lo, s2
	s_cbranch_vccnz .LBB281_1929
; %bb.1920:
	v_cvt_f32_ubyte0_e32 v4, v5
	s_mov_b32 s2, exec_lo
                                        ; implicit-def: $vgpr3
	s_delay_alu instid0(VALU_DEP_1)
	v_cmpx_gt_u32_e32 0x47800000, v4
	s_xor_b32 s2, exec_lo, s2
	s_cbranch_execz .LBB281_1926
; %bb.1921:
	s_mov_b32 s3, exec_lo
                                        ; implicit-def: $vgpr3
	v_cmpx_lt_u32_e32 0x387fffff, v4
	s_xor_b32 s3, exec_lo, s3
; %bb.1922:
	v_bfe_u32 v3, v4, 21, 1
	s_delay_alu instid0(VALU_DEP_1) | instskip(NEXT) | instid1(VALU_DEP_1)
	v_add3_u32 v3, v4, v3, 0x80fffff
                                        ; implicit-def: $vgpr4
	v_lshrrev_b32_e32 v3, 21, v3
; %bb.1923:
	s_and_not1_saveexec_b32 s3, s3
; %bb.1924:
	v_add_f32_e32 v3, 0x43000000, v4
; %bb.1925:
	s_or_b32 exec_lo, exec_lo, s3
                                        ; implicit-def: $vgpr4
.LBB281_1926:
	s_and_not1_saveexec_b32 s2, s2
; %bb.1927:
	v_mov_b32_e32 v3, 0x7f
	v_cmp_lt_u32_e32 vcc_lo, 0x7f800000, v4
	s_delay_alu instid0(VALU_DEP_2)
	v_cndmask_b32_e32 v3, 0x7c, v3, vcc_lo
; %bb.1928:
	s_or_b32 exec_lo, exec_lo, s2
	global_store_b8 v[1:2], v3, off
.LBB281_1929:
	s_mov_b32 s2, 0
	s_mov_b32 s3, -1
.LBB281_1930:
	s_and_not1_b32 vcc_lo, exec_lo, s2
	s_mov_b32 s2, 0
	s_cbranch_vccnz .LBB281_1937
; %bb.1931:
	v_cmp_lt_i16_e32 vcc_lo, 14, v8
	s_mov_b32 s2, -1
	s_cbranch_vccz .LBB281_1935
; %bb.1932:
	v_cmp_eq_u16_e32 vcc_lo, 15, v8
	s_mov_b32 s0, -1
	s_cbranch_vccz .LBB281_1934
; %bb.1933:
	v_cvt_f32_ubyte0_e32 v3, v5
	s_mov_b32 s0, 0
	s_mov_b32 s3, -1
	s_delay_alu instid0(VALU_DEP_1) | instskip(NEXT) | instid1(VALU_DEP_1)
	v_bfe_u32 v4, v3, 16, 1
	v_add3_u32 v3, v3, v4, 0x7fff
	global_store_d16_hi_b16 v[1:2], v3, off
.LBB281_1934:
	s_mov_b32 s2, 0
.LBB281_1935:
	s_delay_alu instid0(SALU_CYCLE_1)
	s_and_b32 vcc_lo, exec_lo, s2
	s_mov_b32 s2, 0
	s_cbranch_vccz .LBB281_1937
; %bb.1936:
	v_cmp_ne_u16_e64 s0, 11, v8
	s_mov_b32 s2, -1
.LBB281_1937:
	s_delay_alu instid0(VALU_DEP_1)
	s_and_b32 vcc_lo, exec_lo, s0
	s_cbranch_vccnz .LBB281_2124
; %bb.1938:
	s_and_not1_b32 vcc_lo, exec_lo, s2
	s_cbranch_vccnz .LBB281_1940
.LBB281_1939:
	v_cmp_ne_u16_e32 vcc_lo, 0, v5
	s_mov_b32 s3, -1
	v_cndmask_b32_e64 v3, 0, 1, vcc_lo
	global_store_b8 v[1:2], v3, off
.LBB281_1940:
	s_mov_b32 s0, 0
.LBB281_1941:
	s_delay_alu instid0(SALU_CYCLE_1)
	s_and_b32 vcc_lo, exec_lo, s0
	s_cbranch_vccz .LBB281_1980
; %bb.1942:
	v_cmp_gt_i16_e32 vcc_lo, 5, v8
	s_mov_b32 s0, -1
	s_cbranch_vccnz .LBB281_1963
; %bb.1943:
	v_cmp_gt_i16_e32 vcc_lo, 8, v8
	s_cbranch_vccnz .LBB281_1953
; %bb.1944:
	v_cmp_gt_i16_e32 vcc_lo, 9, v8
	s_cbranch_vccnz .LBB281_1950
; %bb.1945:
	v_cmp_lt_i16_e32 vcc_lo, 9, v8
	s_cbranch_vccz .LBB281_1947
; %bb.1946:
	v_mov_b32_e32 v13, 0
	v_and_b32_e32 v3, 0xffff, v5
	s_mov_b32 s0, 0
	s_delay_alu instid0(VALU_DEP_2) | instskip(NEXT) | instid1(VALU_DEP_2)
	v_mov_b32_e32 v14, v13
	v_cvt_f64_u32_e32 v[11:12], v3
	global_store_b128 v[1:2], v[11:14], off
.LBB281_1947:
	s_and_not1_b32 vcc_lo, exec_lo, s0
	s_cbranch_vccnz .LBB281_1949
; %bb.1948:
	v_cvt_f32_ubyte0_e32 v3, v5
	v_mov_b32_e32 v4, 0
	global_store_b64 v[1:2], v[3:4], off
.LBB281_1949:
	s_mov_b32 s0, 0
.LBB281_1950:
	s_delay_alu instid0(SALU_CYCLE_1)
	s_and_not1_b32 vcc_lo, exec_lo, s0
	s_cbranch_vccnz .LBB281_1952
; %bb.1951:
	v_cvt_f16_u16_e32 v3, v5
	s_delay_alu instid0(VALU_DEP_1)
	v_and_b32_e32 v3, 0xffff, v3
	global_store_b32 v[1:2], v3, off
.LBB281_1952:
	s_mov_b32 s0, 0
.LBB281_1953:
	s_delay_alu instid0(SALU_CYCLE_1)
	s_and_not1_b32 vcc_lo, exec_lo, s0
	s_cbranch_vccnz .LBB281_1962
; %bb.1954:
	v_cmp_gt_i16_e32 vcc_lo, 6, v8
	s_mov_b32 s0, -1
	s_cbranch_vccnz .LBB281_1960
; %bb.1955:
	v_cmp_lt_i16_e32 vcc_lo, 6, v8
	s_cbranch_vccz .LBB281_1957
; %bb.1956:
	v_and_b32_e32 v3, 0xffff, v5
	s_mov_b32 s0, 0
	s_delay_alu instid0(VALU_DEP_1)
	v_cvt_f64_u32_e32 v[3:4], v3
	global_store_b64 v[1:2], v[3:4], off
.LBB281_1957:
	s_and_not1_b32 vcc_lo, exec_lo, s0
	s_cbranch_vccnz .LBB281_1959
; %bb.1958:
	v_cvt_f32_ubyte0_e32 v3, v5
	global_store_b32 v[1:2], v3, off
.LBB281_1959:
	s_mov_b32 s0, 0
.LBB281_1960:
	s_delay_alu instid0(SALU_CYCLE_1)
	s_and_not1_b32 vcc_lo, exec_lo, s0
	s_cbranch_vccnz .LBB281_1962
; %bb.1961:
	v_cvt_f16_u16_e32 v3, v5
	global_store_b16 v[1:2], v3, off
.LBB281_1962:
	s_mov_b32 s0, 0
.LBB281_1963:
	s_delay_alu instid0(SALU_CYCLE_1)
	s_and_not1_b32 vcc_lo, exec_lo, s0
	s_cbranch_vccnz .LBB281_1979
; %bb.1964:
	v_cmp_gt_i16_e32 vcc_lo, 2, v8
	s_mov_b32 s0, -1
	s_cbranch_vccnz .LBB281_1974
; %bb.1965:
	v_cmp_gt_i16_e32 vcc_lo, 3, v8
	s_cbranch_vccnz .LBB281_1971
; %bb.1966:
	v_cmp_lt_i16_e32 vcc_lo, 3, v8
	v_and_b32_e32 v3, 0xffff, v5
	s_cbranch_vccz .LBB281_1968
; %bb.1967:
	s_mov_b32 s0, 0
	s_delay_alu instid0(SALU_CYCLE_1)
	v_mov_b32_e32 v4, s0
	global_store_b64 v[1:2], v[3:4], off
.LBB281_1968:
	s_and_not1_b32 vcc_lo, exec_lo, s0
	s_cbranch_vccnz .LBB281_1970
; %bb.1969:
	global_store_b32 v[1:2], v3, off
.LBB281_1970:
	s_mov_b32 s0, 0
.LBB281_1971:
	s_delay_alu instid0(SALU_CYCLE_1)
	s_and_not1_b32 vcc_lo, exec_lo, s0
	s_cbranch_vccnz .LBB281_1973
; %bb.1972:
	global_store_b16 v[1:2], v5, off
.LBB281_1973:
	s_mov_b32 s0, 0
.LBB281_1974:
	s_delay_alu instid0(SALU_CYCLE_1)
	s_and_not1_b32 vcc_lo, exec_lo, s0
	s_cbranch_vccnz .LBB281_1979
; %bb.1975:
	v_cmp_lt_i16_e32 vcc_lo, 0, v8
	s_mov_b32 s0, -1
	s_cbranch_vccz .LBB281_1977
; %bb.1976:
	s_mov_b32 s0, 0
	global_store_b8 v[1:2], v5, off
.LBB281_1977:
	s_and_not1_b32 vcc_lo, exec_lo, s0
	s_cbranch_vccnz .LBB281_1979
; %bb.1978:
	global_store_b8 v[1:2], v5, off
.LBB281_1979:
	s_mov_b32 s3, -1
.LBB281_1980:
	s_delay_alu instid0(SALU_CYCLE_1)
	s_and_not1_b32 vcc_lo, exec_lo, s3
	s_cbranch_vccnz .LBB281_2057
; %bb.1981:
	v_and_b32_e32 v1, 0xff, v7
	v_cmp_gt_i16_e32 vcc_lo, 11, v8
	v_add_co_u32 v0, s0, s4, v0
	s_mov_b32 s2, 0
	s_delay_alu instid0(VALU_DEP_3) | instskip(SKIP_2) | instid1(VALU_DEP_2)
	v_max_u16 v2, v1, v9
	v_add_co_ci_u32_e64 v1, null, s5, 0, s0
	s_mov_b32 s0, -1
	v_min_u16 v2, v2, v10
	s_cbranch_vccnz .LBB281_2058
; %bb.1982:
	v_cmp_lt_i16_e32 vcc_lo, 25, v8
	s_mov_b32 s3, -1
	s_mov_b32 s0, 0
	s_cbranch_vccz .LBB281_2015
; %bb.1983:
	v_cmp_lt_i16_e32 vcc_lo, 28, v8
	s_cbranch_vccz .LBB281_1999
; %bb.1984:
	v_cmp_lt_i16_e32 vcc_lo, 43, v8
	;; [unrolled: 3-line block ×3, first 2 shown]
	s_cbranch_vccz .LBB281_1989
; %bb.1986:
	v_cmp_eq_u16_e32 vcc_lo, 46, v8
	s_mov_b32 s0, -1
	s_cbranch_vccz .LBB281_1988
; %bb.1987:
	v_cvt_f32_ubyte0_e32 v3, v2
	s_mov_b32 s0, 0
	s_delay_alu instid0(VALU_DEP_1) | instskip(NEXT) | instid1(VALU_DEP_1)
	v_bfe_u32 v4, v3, 16, 1
	v_add3_u32 v3, v3, v4, 0x7fff
	s_delay_alu instid0(VALU_DEP_1)
	v_lshrrev_b32_e32 v3, 16, v3
	global_store_b32 v[0:1], v3, off
.LBB281_1988:
	s_mov_b32 s3, 0
.LBB281_1989:
	s_delay_alu instid0(SALU_CYCLE_1)
	s_and_b32 vcc_lo, exec_lo, s3
	s_cbranch_vccz .LBB281_1994
; %bb.1990:
	v_cmp_eq_u16_e32 vcc_lo, 44, v8
	s_mov_b32 s0, -1
	s_cbranch_vccz .LBB281_1994
; %bb.1991:
	v_cvt_f32_ubyte0_e32 v5, v2
	v_mov_b32_e32 v4, 0xff
	s_mov_b32 s3, exec_lo
	s_delay_alu instid0(VALU_DEP_2) | instskip(NEXT) | instid1(VALU_DEP_1)
	v_lshrrev_b32_e32 v3, 23, v5
	v_cmpx_ne_u32_e32 0xff, v3
; %bb.1992:
	v_and_b32_e32 v4, 0x400000, v5
	v_and_or_b32 v5, 0x3fffff, v5, v3
	s_delay_alu instid0(VALU_DEP_2) | instskip(NEXT) | instid1(VALU_DEP_2)
	v_cmp_ne_u32_e32 vcc_lo, 0, v4
	v_cmp_ne_u32_e64 s0, 0, v5
	s_delay_alu instid0(VALU_DEP_1) | instskip(NEXT) | instid1(SALU_CYCLE_1)
	s_and_b32 s0, vcc_lo, s0
	v_cndmask_b32_e64 v4, 0, 1, s0
	s_delay_alu instid0(VALU_DEP_1)
	v_add_nc_u32_e32 v4, v3, v4
; %bb.1993:
	s_or_b32 exec_lo, exec_lo, s3
	s_mov_b32 s0, 0
	global_store_b8 v[0:1], v4, off
.LBB281_1994:
	s_mov_b32 s3, 0
.LBB281_1995:
	s_delay_alu instid0(SALU_CYCLE_1)
	s_and_b32 vcc_lo, exec_lo, s3
	s_cbranch_vccz .LBB281_1998
; %bb.1996:
	v_cmp_eq_u16_e32 vcc_lo, 29, v8
	s_mov_b32 s0, -1
	s_cbranch_vccz .LBB281_1998
; %bb.1997:
	s_mov_b32 s0, 0
	s_delay_alu instid0(SALU_CYCLE_1)
	v_dual_mov_b32 v4, s0 :: v_dual_and_b32 v3, 0xffff, v2
	global_store_b64 v[0:1], v[3:4], off
.LBB281_1998:
	s_mov_b32 s3, 0
.LBB281_1999:
	s_delay_alu instid0(SALU_CYCLE_1)
	s_and_b32 vcc_lo, exec_lo, s3
	s_cbranch_vccz .LBB281_2014
; %bb.2000:
	v_cmp_gt_i16_e32 vcc_lo, 27, v8
	s_mov_b32 s3, -1
	s_cbranch_vccnz .LBB281_2006
; %bb.2001:
	v_cmp_lt_i16_e32 vcc_lo, 27, v8
	s_cbranch_vccz .LBB281_2003
; %bb.2002:
	v_and_b32_e32 v3, 0xffff, v2
	s_mov_b32 s3, 0
	global_store_b32 v[0:1], v3, off
.LBB281_2003:
	s_and_not1_b32 vcc_lo, exec_lo, s3
	s_cbranch_vccnz .LBB281_2005
; %bb.2004:
	global_store_b16 v[0:1], v2, off
.LBB281_2005:
	s_mov_b32 s3, 0
.LBB281_2006:
	s_delay_alu instid0(SALU_CYCLE_1)
	s_and_not1_b32 vcc_lo, exec_lo, s3
	s_cbranch_vccnz .LBB281_2014
; %bb.2007:
	v_cvt_f32_ubyte0_e32 v4, v2
	v_mov_b32_e32 v5, 0x80
	s_mov_b32 s3, exec_lo
	s_delay_alu instid0(VALU_DEP_2)
	v_cmpx_gt_u32_e32 0x43800000, v4
	s_cbranch_execz .LBB281_2013
; %bb.2008:
	s_mov_b32 s4, 0
	s_mov_b32 s5, exec_lo
                                        ; implicit-def: $vgpr3
	v_cmpx_lt_u32_e32 0x3bffffff, v4
	s_xor_b32 s5, exec_lo, s5
	s_cbranch_execz .LBB281_2128
; %bb.2009:
	v_bfe_u32 v3, v4, 20, 1
	s_mov_b32 s4, exec_lo
	s_delay_alu instid0(VALU_DEP_1) | instskip(NEXT) | instid1(VALU_DEP_1)
	v_add3_u32 v3, v4, v3, 0x487ffff
                                        ; implicit-def: $vgpr4
	v_lshrrev_b32_e32 v3, 20, v3
	s_or_saveexec_b32 s5, s5
                                        ; implicit-def: $sgpr6
	s_delay_alu instid0(SALU_CYCLE_1)
	s_xor_b32 exec_lo, exec_lo, s5
	s_cbranch_execnz .LBB281_2129
.LBB281_2010:
	s_or_b32 exec_lo, exec_lo, s5
	v_mov_b32_e32 v5, s6
	s_and_saveexec_b32 s5, s4
.LBB281_2011:
	v_mov_b32_e32 v5, v3
.LBB281_2012:
	s_or_b32 exec_lo, exec_lo, s5
.LBB281_2013:
	s_delay_alu instid0(SALU_CYCLE_1)
	s_or_b32 exec_lo, exec_lo, s3
	global_store_b8 v[0:1], v5, off
.LBB281_2014:
	s_mov_b32 s3, 0
.LBB281_2015:
	s_delay_alu instid0(SALU_CYCLE_1)
	s_and_b32 vcc_lo, exec_lo, s3
	s_cbranch_vccz .LBB281_2055
; %bb.2016:
	v_cmp_lt_i16_e32 vcc_lo, 22, v8
	s_mov_b32 s2, -1
	s_cbranch_vccz .LBB281_2048
; %bb.2017:
	v_cmp_gt_i16_e32 vcc_lo, 24, v8
	s_cbranch_vccnz .LBB281_2037
; %bb.2018:
	v_cmp_lt_i16_e32 vcc_lo, 24, v8
	s_cbranch_vccz .LBB281_2026
; %bb.2019:
	v_cvt_f32_ubyte0_e32 v4, v2
	v_mov_b32_e32 v5, 0x80
	s_mov_b32 s2, exec_lo
	s_delay_alu instid0(VALU_DEP_2)
	v_cmpx_gt_u32_e32 0x47800000, v4
	s_cbranch_execz .LBB281_2025
; %bb.2020:
	s_mov_b32 s3, 0
	s_mov_b32 s4, exec_lo
                                        ; implicit-def: $vgpr3
	v_cmpx_lt_u32_e32 0x37ffffff, v4
	s_xor_b32 s4, exec_lo, s4
	s_cbranch_execz .LBB281_2134
; %bb.2021:
	v_bfe_u32 v3, v4, 21, 1
	s_mov_b32 s3, exec_lo
	s_delay_alu instid0(VALU_DEP_1) | instskip(NEXT) | instid1(VALU_DEP_1)
	v_add3_u32 v3, v4, v3, 0x88fffff
                                        ; implicit-def: $vgpr4
	v_lshrrev_b32_e32 v3, 21, v3
	s_or_saveexec_b32 s4, s4
                                        ; implicit-def: $sgpr5
	s_delay_alu instid0(SALU_CYCLE_1)
	s_xor_b32 exec_lo, exec_lo, s4
	s_cbranch_execnz .LBB281_2135
.LBB281_2022:
	s_or_b32 exec_lo, exec_lo, s4
	v_mov_b32_e32 v5, s5
	s_and_saveexec_b32 s4, s3
.LBB281_2023:
	v_mov_b32_e32 v5, v3
.LBB281_2024:
	s_or_b32 exec_lo, exec_lo, s4
.LBB281_2025:
	s_delay_alu instid0(SALU_CYCLE_1)
	s_or_b32 exec_lo, exec_lo, s2
	s_mov_b32 s2, 0
	global_store_b8 v[0:1], v5, off
.LBB281_2026:
	s_and_b32 vcc_lo, exec_lo, s2
	s_cbranch_vccz .LBB281_2036
; %bb.2027:
	v_cvt_f32_ubyte0_e32 v4, v2
	s_mov_b32 s2, exec_lo
                                        ; implicit-def: $vgpr3
	s_delay_alu instid0(VALU_DEP_1)
	v_cmpx_gt_u32_e32 0x43f00000, v4
	s_xor_b32 s2, exec_lo, s2
	s_cbranch_execz .LBB281_2033
; %bb.2028:
	s_mov_b32 s3, exec_lo
                                        ; implicit-def: $vgpr3
	v_cmpx_lt_u32_e32 0x3c7fffff, v4
	s_xor_b32 s3, exec_lo, s3
; %bb.2029:
	v_bfe_u32 v3, v4, 20, 1
	s_delay_alu instid0(VALU_DEP_1) | instskip(NEXT) | instid1(VALU_DEP_1)
	v_add3_u32 v3, v4, v3, 0x407ffff
	v_and_b32_e32 v4, 0xff00000, v3
	v_lshrrev_b32_e32 v3, 20, v3
	s_delay_alu instid0(VALU_DEP_2) | instskip(NEXT) | instid1(VALU_DEP_2)
	v_cmp_ne_u32_e32 vcc_lo, 0x7f00000, v4
                                        ; implicit-def: $vgpr4
	v_cndmask_b32_e32 v3, 0x7e, v3, vcc_lo
; %bb.2030:
	s_and_not1_saveexec_b32 s3, s3
; %bb.2031:
	v_add_f32_e32 v3, 0x46800000, v4
; %bb.2032:
	s_or_b32 exec_lo, exec_lo, s3
                                        ; implicit-def: $vgpr4
.LBB281_2033:
	s_and_not1_saveexec_b32 s2, s2
; %bb.2034:
	v_mov_b32_e32 v3, 0x7f
	v_cmp_lt_u32_e32 vcc_lo, 0x7f800000, v4
	s_delay_alu instid0(VALU_DEP_2)
	v_cndmask_b32_e32 v3, 0x7e, v3, vcc_lo
; %bb.2035:
	s_or_b32 exec_lo, exec_lo, s2
	global_store_b8 v[0:1], v3, off
.LBB281_2036:
	s_mov_b32 s2, 0
.LBB281_2037:
	s_delay_alu instid0(SALU_CYCLE_1)
	s_and_not1_b32 vcc_lo, exec_lo, s2
	s_cbranch_vccnz .LBB281_2047
; %bb.2038:
	v_cvt_f32_ubyte0_e32 v4, v2
	s_mov_b32 s2, exec_lo
                                        ; implicit-def: $vgpr3
	s_delay_alu instid0(VALU_DEP_1)
	v_cmpx_gt_u32_e32 0x47800000, v4
	s_xor_b32 s2, exec_lo, s2
	s_cbranch_execz .LBB281_2044
; %bb.2039:
	s_mov_b32 s3, exec_lo
                                        ; implicit-def: $vgpr3
	v_cmpx_lt_u32_e32 0x387fffff, v4
	s_xor_b32 s3, exec_lo, s3
; %bb.2040:
	v_bfe_u32 v3, v4, 21, 1
	s_delay_alu instid0(VALU_DEP_1) | instskip(NEXT) | instid1(VALU_DEP_1)
	v_add3_u32 v3, v4, v3, 0x80fffff
                                        ; implicit-def: $vgpr4
	v_lshrrev_b32_e32 v3, 21, v3
; %bb.2041:
	s_and_not1_saveexec_b32 s3, s3
; %bb.2042:
	v_add_f32_e32 v3, 0x43000000, v4
; %bb.2043:
	s_or_b32 exec_lo, exec_lo, s3
                                        ; implicit-def: $vgpr4
.LBB281_2044:
	s_and_not1_saveexec_b32 s2, s2
; %bb.2045:
	v_mov_b32_e32 v3, 0x7f
	v_cmp_lt_u32_e32 vcc_lo, 0x7f800000, v4
	s_delay_alu instid0(VALU_DEP_2)
	v_cndmask_b32_e32 v3, 0x7c, v3, vcc_lo
; %bb.2046:
	s_or_b32 exec_lo, exec_lo, s2
	global_store_b8 v[0:1], v3, off
.LBB281_2047:
	s_mov_b32 s2, 0
.LBB281_2048:
	s_delay_alu instid0(SALU_CYCLE_1)
	s_and_not1_b32 vcc_lo, exec_lo, s2
	s_mov_b32 s2, 0
	s_cbranch_vccnz .LBB281_2055
; %bb.2049:
	v_cmp_lt_i16_e32 vcc_lo, 14, v8
	s_mov_b32 s2, -1
	s_cbranch_vccz .LBB281_2053
; %bb.2050:
	v_cmp_eq_u16_e32 vcc_lo, 15, v8
	s_mov_b32 s0, -1
	s_cbranch_vccz .LBB281_2052
; %bb.2051:
	v_cvt_f32_ubyte0_e32 v3, v2
	s_mov_b32 s0, 0
	s_delay_alu instid0(VALU_DEP_1) | instskip(NEXT) | instid1(VALU_DEP_1)
	v_bfe_u32 v4, v3, 16, 1
	v_add3_u32 v3, v3, v4, 0x7fff
	global_store_d16_hi_b16 v[0:1], v3, off
.LBB281_2052:
	s_mov_b32 s2, 0
.LBB281_2053:
	s_delay_alu instid0(SALU_CYCLE_1)
	s_and_b32 vcc_lo, exec_lo, s2
	s_mov_b32 s2, 0
	s_cbranch_vccz .LBB281_2055
; %bb.2054:
	v_cmp_ne_u16_e64 s0, 11, v8
	s_mov_b32 s2, -1
.LBB281_2055:
	s_delay_alu instid0(VALU_DEP_1)
	s_and_b32 vcc_lo, exec_lo, s0
	s_cbranch_vccnz .LBB281_2132
.LBB281_2056:
	s_mov_b32 s0, 0
	s_branch .LBB281_2058
.LBB281_2057:
	s_mov_b32 s0, 0
	s_mov_b32 s2, 0
                                        ; implicit-def: $vgpr0_vgpr1
                                        ; implicit-def: $vgpr8
                                        ; implicit-def: $vgpr2
.LBB281_2058:
	s_and_b32 s3, s0, exec_lo
	s_and_not1_b32 s0, s8, exec_lo
	s_and_b32 s1, s1, exec_lo
	s_and_b32 s26, s2, exec_lo
	s_or_b32 s8, s0, s1
.LBB281_2059:
	s_or_b32 exec_lo, exec_lo, s9
	s_and_saveexec_b32 s0, s8
	s_cbranch_execz .LBB281_2062
; %bb.2060:
	; divergent unreachable
	s_or_b32 exec_lo, exec_lo, s0
	s_and_saveexec_b32 s0, s26
	s_delay_alu instid0(SALU_CYCLE_1)
	s_xor_b32 s0, exec_lo, s0
	s_cbranch_execnz .LBB281_2063
.LBB281_2061:
	s_or_b32 exec_lo, exec_lo, s0
	s_and_saveexec_b32 s0, s3
	s_cbranch_execnz .LBB281_2064
	s_branch .LBB281_2101
.LBB281_2062:
	s_or_b32 exec_lo, exec_lo, s0
	s_and_saveexec_b32 s0, s26
	s_delay_alu instid0(SALU_CYCLE_1)
	s_xor_b32 s0, exec_lo, s0
	s_cbranch_execz .LBB281_2061
.LBB281_2063:
	s_waitcnt vmcnt(0)
	v_and_b32_e32 v3, 0xff, v2
	s_delay_alu instid0(VALU_DEP_1)
	v_cmp_ne_u16_e32 vcc_lo, 0, v3
	v_cndmask_b32_e64 v3, 0, 1, vcc_lo
	global_store_b8 v[0:1], v3, off
	s_or_b32 exec_lo, exec_lo, s0
	s_and_saveexec_b32 s0, s3
	s_cbranch_execz .LBB281_2101
.LBB281_2064:
	s_waitcnt vmcnt(0)
	v_cmp_gt_i16_e32 vcc_lo, 5, v8
	s_mov_b32 s0, -1
	s_cbranch_vccnz .LBB281_2085
; %bb.2065:
	v_cmp_gt_i16_e32 vcc_lo, 8, v8
	s_cbranch_vccnz .LBB281_2075
; %bb.2066:
	v_cmp_gt_i16_e32 vcc_lo, 9, v8
	s_cbranch_vccnz .LBB281_2072
; %bb.2067:
	v_cmp_lt_i16_e32 vcc_lo, 9, v8
	s_cbranch_vccz .LBB281_2069
; %bb.2068:
	v_mov_b32_e32 v5, 0
	v_and_b32_e32 v3, 0xff, v2
	s_mov_b32 s0, 0
	s_delay_alu instid0(VALU_DEP_1) | instskip(NEXT) | instid1(VALU_DEP_1)
	v_dual_mov_b32 v6, v5 :: v_dual_and_b32 v3, 0xffff, v3
	v_cvt_f64_u32_e32 v[3:4], v3
	global_store_b128 v[0:1], v[3:6], off
.LBB281_2069:
	s_and_not1_b32 vcc_lo, exec_lo, s0
	s_cbranch_vccnz .LBB281_2071
; %bb.2070:
	v_cvt_f32_ubyte0_e32 v3, v2
	v_mov_b32_e32 v4, 0
	global_store_b64 v[0:1], v[3:4], off
.LBB281_2071:
	s_mov_b32 s0, 0
.LBB281_2072:
	s_delay_alu instid0(SALU_CYCLE_1)
	s_and_not1_b32 vcc_lo, exec_lo, s0
	s_cbranch_vccnz .LBB281_2074
; %bb.2073:
	v_and_b32_e32 v3, 0xff, v2
	s_delay_alu instid0(VALU_DEP_1) | instskip(NEXT) | instid1(VALU_DEP_1)
	v_cvt_f16_u16_e32 v3, v3
	v_and_b32_e32 v3, 0xffff, v3
	global_store_b32 v[0:1], v3, off
.LBB281_2074:
	s_mov_b32 s0, 0
.LBB281_2075:
	s_delay_alu instid0(SALU_CYCLE_1)
	s_and_not1_b32 vcc_lo, exec_lo, s0
	s_cbranch_vccnz .LBB281_2084
; %bb.2076:
	v_cmp_gt_i16_e32 vcc_lo, 6, v8
	s_mov_b32 s0, -1
	s_cbranch_vccnz .LBB281_2082
; %bb.2077:
	v_cmp_lt_i16_e32 vcc_lo, 6, v8
	s_cbranch_vccz .LBB281_2079
; %bb.2078:
	v_and_b32_e32 v3, 0xff, v2
	s_mov_b32 s0, 0
	s_delay_alu instid0(VALU_DEP_1) | instskip(NEXT) | instid1(VALU_DEP_1)
	v_and_b32_e32 v3, 0xffff, v3
	v_cvt_f64_u32_e32 v[3:4], v3
	global_store_b64 v[0:1], v[3:4], off
.LBB281_2079:
	s_and_not1_b32 vcc_lo, exec_lo, s0
	s_cbranch_vccnz .LBB281_2081
; %bb.2080:
	v_cvt_f32_ubyte0_e32 v3, v2
	global_store_b32 v[0:1], v3, off
.LBB281_2081:
	s_mov_b32 s0, 0
.LBB281_2082:
	s_delay_alu instid0(SALU_CYCLE_1)
	s_and_not1_b32 vcc_lo, exec_lo, s0
	s_cbranch_vccnz .LBB281_2084
; %bb.2083:
	v_and_b32_e32 v3, 0xff, v2
	s_delay_alu instid0(VALU_DEP_1)
	v_cvt_f16_u16_e32 v3, v3
	global_store_b16 v[0:1], v3, off
.LBB281_2084:
	s_mov_b32 s0, 0
.LBB281_2085:
	s_delay_alu instid0(SALU_CYCLE_1)
	s_and_not1_b32 vcc_lo, exec_lo, s0
	s_cbranch_vccnz .LBB281_2101
; %bb.2086:
	v_cmp_gt_i16_e32 vcc_lo, 2, v8
	s_mov_b32 s0, -1
	s_cbranch_vccnz .LBB281_2096
; %bb.2087:
	v_cmp_gt_i16_e32 vcc_lo, 3, v8
	s_cbranch_vccnz .LBB281_2093
; %bb.2088:
	v_cmp_lt_i16_e32 vcc_lo, 3, v8
	s_cbranch_vccz .LBB281_2090
; %bb.2089:
	v_dual_mov_b32 v4, 0 :: v_dual_and_b32 v3, 0xff, v2
	s_mov_b32 s0, 0
	global_store_b64 v[0:1], v[3:4], off
.LBB281_2090:
	s_and_not1_b32 vcc_lo, exec_lo, s0
	s_cbranch_vccnz .LBB281_2092
; %bb.2091:
	v_and_b32_e32 v3, 0xff, v2
	global_store_b32 v[0:1], v3, off
.LBB281_2092:
	s_mov_b32 s0, 0
.LBB281_2093:
	s_delay_alu instid0(SALU_CYCLE_1)
	s_and_not1_b32 vcc_lo, exec_lo, s0
	s_cbranch_vccnz .LBB281_2095
; %bb.2094:
	v_and_b32_e32 v3, 0xff, v2
	global_store_b16 v[0:1], v3, off
.LBB281_2095:
	s_mov_b32 s0, 0
.LBB281_2096:
	s_delay_alu instid0(SALU_CYCLE_1)
	s_and_not1_b32 vcc_lo, exec_lo, s0
	s_cbranch_vccnz .LBB281_2101
; %bb.2097:
	v_cmp_lt_i16_e32 vcc_lo, 0, v8
	s_mov_b32 s0, -1
	s_cbranch_vccz .LBB281_2099
; %bb.2098:
	s_mov_b32 s0, 0
	global_store_b8 v[0:1], v2, off
.LBB281_2099:
	s_and_not1_b32 vcc_lo, exec_lo, s0
	s_cbranch_vccnz .LBB281_2101
; %bb.2100:
	global_store_b8 v[0:1], v2, off
	s_nop 0
	s_sendmsg sendmsg(MSG_DEALLOC_VGPRS)
	s_endpgm
.LBB281_2101:
	s_nop 0
	s_sendmsg sendmsg(MSG_DEALLOC_VGPRS)
	s_endpgm
.LBB281_2102:
	s_cbranch_execnz .LBB281_2106
; %bb.2103:
	s_or_b32 s1, s1, exec_lo
                                        ; implicit-def: $vgpr7
	s_cbranch_execz .LBB281_1575
	s_branch .LBB281_1576
.LBB281_2104:
	s_or_saveexec_b32 s7, s7
                                        ; implicit-def: $sgpr10
	s_delay_alu instid0(SALU_CYCLE_1)
	s_xor_b32 exec_lo, exec_lo, s7
	s_cbranch_execz .LBB281_1655
.LBB281_2105:
	v_add_f32_e32 v12, 0x46000000, v13
	s_and_not1_b32 s6, s6, exec_lo
	s_mov_b32 s10, 0
	s_delay_alu instid0(VALU_DEP_1) | instskip(NEXT) | instid1(VALU_DEP_1)
	v_and_b32_e32 v12, 0xff, v12
	v_cmp_ne_u32_e32 vcc_lo, 0, v12
	s_and_b32 s11, vcc_lo, exec_lo
	s_delay_alu instid0(SALU_CYCLE_1)
	s_or_b32 s6, s6, s11
	s_or_b32 exec_lo, exec_lo, s7
	v_mov_b32_e32 v14, s10
	s_and_saveexec_b32 s7, s6
	s_cbranch_execnz .LBB281_1656
	s_branch .LBB281_1657
.LBB281_2106:
	s_trap 2
	s_sendmsg_rtn_b32 s0, sendmsg(MSG_RTN_GET_DOORBELL)
	s_mov_b32 ttmp2, m0
	s_waitcnt lgkmcnt(0)
	s_and_b32 s0, s0, 0x3ff
	s_delay_alu instid0(SALU_CYCLE_1) | instskip(NEXT) | instid1(SALU_CYCLE_1)
	s_bitset1_b32 s0, 10
	s_mov_b32 m0, s0
	s_sendmsg sendmsg(MSG_INTERRUPT)
	s_mov_b32 m0, ttmp2
.LBB281_2107:                           ; =>This Inner Loop Header: Depth=1
	s_sethalt 5
	s_branch .LBB281_2107
.LBB281_2108:
	s_cbranch_execnz .LBB281_2114
; %bb.2109:
	s_or_b32 s1, s1, exec_lo
	s_cbranch_execz .LBB281_1703
	s_branch .LBB281_1704
.LBB281_2110:
	s_or_saveexec_b32 s6, s6
                                        ; implicit-def: $sgpr7
	s_delay_alu instid0(SALU_CYCLE_1)
	s_xor_b32 exec_lo, exec_lo, s6
	s_cbranch_execz .LBB281_1668
.LBB281_2111:
	v_add_f32_e32 v12, 0x42800000, v13
	s_and_not1_b32 s3, s3, exec_lo
	s_mov_b32 s7, 0
	s_delay_alu instid0(VALU_DEP_1) | instskip(NEXT) | instid1(VALU_DEP_1)
	v_and_b32_e32 v12, 0xff, v12
	v_cmp_ne_u32_e32 vcc_lo, 0, v12
	s_and_b32 s10, vcc_lo, exec_lo
	s_delay_alu instid0(SALU_CYCLE_1)
	s_or_b32 s3, s3, s10
	s_or_b32 exec_lo, exec_lo, s6
	v_mov_b32_e32 v14, s7
	s_and_saveexec_b32 s6, s3
	s_cbranch_execnz .LBB281_1669
	s_branch .LBB281_1670
.LBB281_2112:
	s_or_saveexec_b32 s7, s7
                                        ; implicit-def: $sgpr10
	s_delay_alu instid0(SALU_CYCLE_1)
	s_xor_b32 exec_lo, exec_lo, s7
	s_cbranch_execz .LBB281_1773
.LBB281_2113:
	v_add_f32_e32 v4, 0x46000000, v5
	s_and_not1_b32 s6, s6, exec_lo
	s_mov_b32 s10, 0
	s_delay_alu instid0(VALU_DEP_1) | instskip(NEXT) | instid1(VALU_DEP_1)
	v_and_b32_e32 v4, 0xff, v4
	v_cmp_ne_u32_e32 vcc_lo, 0, v4
	s_and_b32 s11, vcc_lo, exec_lo
	s_delay_alu instid0(SALU_CYCLE_1)
	s_or_b32 s6, s6, s11
	s_or_b32 exec_lo, exec_lo, s7
	v_mov_b32_e32 v12, s10
	s_and_saveexec_b32 s7, s6
	s_cbranch_execnz .LBB281_1774
	s_branch .LBB281_1775
.LBB281_2114:
	s_trap 2
	s_sendmsg_rtn_b32 s0, sendmsg(MSG_RTN_GET_DOORBELL)
	s_mov_b32 ttmp2, m0
	s_waitcnt lgkmcnt(0)
	s_and_b32 s0, s0, 0x3ff
	s_delay_alu instid0(SALU_CYCLE_1) | instskip(NEXT) | instid1(SALU_CYCLE_1)
	s_bitset1_b32 s0, 10
	s_mov_b32 m0, s0
	s_sendmsg sendmsg(MSG_INTERRUPT)
	s_mov_b32 m0, ttmp2
.LBB281_2115:                           ; =>This Inner Loop Header: Depth=1
	s_sethalt 5
	s_branch .LBB281_2115
.LBB281_2116:
	s_cbranch_execnz .LBB281_2122
; %bb.2117:
	s_or_b32 s1, s1, exec_lo
	s_cbranch_execz .LBB281_1821
	s_branch .LBB281_1822
.LBB281_2118:
	s_or_saveexec_b32 s6, s6
                                        ; implicit-def: $sgpr7
	s_delay_alu instid0(SALU_CYCLE_1)
	s_xor_b32 exec_lo, exec_lo, s6
	s_cbranch_execz .LBB281_1786
.LBB281_2119:
	v_add_f32_e32 v4, 0x42800000, v5
	s_and_not1_b32 s3, s3, exec_lo
	s_mov_b32 s7, 0
	s_delay_alu instid0(VALU_DEP_1) | instskip(NEXT) | instid1(VALU_DEP_1)
	v_and_b32_e32 v4, 0xff, v4
	v_cmp_ne_u32_e32 vcc_lo, 0, v4
	s_and_b32 s10, vcc_lo, exec_lo
	s_delay_alu instid0(SALU_CYCLE_1)
	s_or_b32 s3, s3, s10
	s_or_b32 exec_lo, exec_lo, s6
	v_mov_b32_e32 v12, s7
	s_and_saveexec_b32 s6, s3
	s_cbranch_execnz .LBB281_1787
	s_branch .LBB281_1788
.LBB281_2120:
	s_or_saveexec_b32 s7, s7
                                        ; implicit-def: $sgpr10
	s_delay_alu instid0(SALU_CYCLE_1)
	s_xor_b32 exec_lo, exec_lo, s7
	s_cbranch_execz .LBB281_1891
.LBB281_2121:
	v_add_f32_e32 v3, 0x46000000, v4
	s_and_not1_b32 s6, s6, exec_lo
	s_mov_b32 s10, 0
	s_delay_alu instid0(VALU_DEP_1) | instskip(NEXT) | instid1(VALU_DEP_1)
	v_and_b32_e32 v3, 0xff, v3
	v_cmp_ne_u32_e32 vcc_lo, 0, v3
	s_and_b32 s11, vcc_lo, exec_lo
	s_delay_alu instid0(SALU_CYCLE_1)
	s_or_b32 s6, s6, s11
	s_or_b32 exec_lo, exec_lo, s7
	v_mov_b32_e32 v6, s10
	s_and_saveexec_b32 s7, s6
	s_cbranch_execnz .LBB281_1892
	s_branch .LBB281_1893
.LBB281_2122:
	s_trap 2
	s_sendmsg_rtn_b32 s0, sendmsg(MSG_RTN_GET_DOORBELL)
	s_mov_b32 ttmp2, m0
	s_waitcnt lgkmcnt(0)
	s_and_b32 s0, s0, 0x3ff
	s_delay_alu instid0(SALU_CYCLE_1) | instskip(NEXT) | instid1(SALU_CYCLE_1)
	s_bitset1_b32 s0, 10
	s_mov_b32 m0, s0
	s_sendmsg sendmsg(MSG_INTERRUPT)
	s_mov_b32 m0, ttmp2
.LBB281_2123:                           ; =>This Inner Loop Header: Depth=1
	s_sethalt 5
	s_branch .LBB281_2123
.LBB281_2124:
	s_cbranch_execnz .LBB281_2130
; %bb.2125:
	s_or_b32 s1, s1, exec_lo
	s_cbranch_execz .LBB281_1939
	s_branch .LBB281_1940
.LBB281_2126:
	s_or_saveexec_b32 s6, s6
                                        ; implicit-def: $sgpr7
	s_delay_alu instid0(SALU_CYCLE_1)
	s_xor_b32 exec_lo, exec_lo, s6
	s_cbranch_execz .LBB281_1904
.LBB281_2127:
	v_add_f32_e32 v3, 0x42800000, v4
	s_and_not1_b32 s3, s3, exec_lo
	s_mov_b32 s7, 0
	s_delay_alu instid0(VALU_DEP_1) | instskip(NEXT) | instid1(VALU_DEP_1)
	v_and_b32_e32 v3, 0xff, v3
	v_cmp_ne_u32_e32 vcc_lo, 0, v3
	s_and_b32 s10, vcc_lo, exec_lo
	s_delay_alu instid0(SALU_CYCLE_1)
	s_or_b32 s3, s3, s10
	s_or_b32 exec_lo, exec_lo, s6
	v_mov_b32_e32 v6, s7
	s_and_saveexec_b32 s6, s3
	s_cbranch_execnz .LBB281_1905
	s_branch .LBB281_1906
.LBB281_2128:
	s_or_saveexec_b32 s5, s5
                                        ; implicit-def: $sgpr6
	s_delay_alu instid0(SALU_CYCLE_1)
	s_xor_b32 exec_lo, exec_lo, s5
	s_cbranch_execz .LBB281_2010
.LBB281_2129:
	v_add_f32_e32 v3, 0x46000000, v4
	s_and_not1_b32 s4, s4, exec_lo
	s_mov_b32 s6, 0
	s_delay_alu instid0(VALU_DEP_1) | instskip(NEXT) | instid1(VALU_DEP_1)
	v_and_b32_e32 v3, 0xff, v3
	v_cmp_ne_u32_e32 vcc_lo, 0, v3
	s_and_b32 s7, vcc_lo, exec_lo
	s_delay_alu instid0(SALU_CYCLE_1)
	s_or_b32 s4, s4, s7
	s_or_b32 exec_lo, exec_lo, s5
	v_mov_b32_e32 v5, s6
	s_and_saveexec_b32 s5, s4
	s_cbranch_execnz .LBB281_2011
	s_branch .LBB281_2012
.LBB281_2130:
	s_trap 2
	s_sendmsg_rtn_b32 s0, sendmsg(MSG_RTN_GET_DOORBELL)
	s_mov_b32 ttmp2, m0
	s_waitcnt lgkmcnt(0)
	s_and_b32 s0, s0, 0x3ff
	s_delay_alu instid0(SALU_CYCLE_1) | instskip(NEXT) | instid1(SALU_CYCLE_1)
	s_bitset1_b32 s0, 10
	s_mov_b32 m0, s0
	s_sendmsg sendmsg(MSG_INTERRUPT)
	s_mov_b32 m0, ttmp2
.LBB281_2131:                           ; =>This Inner Loop Header: Depth=1
	s_sethalt 5
	s_branch .LBB281_2131
.LBB281_2132:
	s_cbranch_execnz .LBB281_2136
; %bb.2133:
	s_mov_b32 s2, 0
	s_or_b32 s1, s1, exec_lo
	s_branch .LBB281_2056
.LBB281_2134:
	s_or_saveexec_b32 s4, s4
                                        ; implicit-def: $sgpr5
	s_delay_alu instid0(SALU_CYCLE_1)
	s_xor_b32 exec_lo, exec_lo, s4
	s_cbranch_execz .LBB281_2022
.LBB281_2135:
	v_add_f32_e32 v3, 0x42800000, v4
	s_and_not1_b32 s3, s3, exec_lo
	s_mov_b32 s5, 0
	s_delay_alu instid0(VALU_DEP_1) | instskip(NEXT) | instid1(VALU_DEP_1)
	v_and_b32_e32 v3, 0xff, v3
	v_cmp_ne_u32_e32 vcc_lo, 0, v3
	s_and_b32 s6, vcc_lo, exec_lo
	s_delay_alu instid0(SALU_CYCLE_1)
	s_or_b32 s3, s3, s6
	s_or_b32 exec_lo, exec_lo, s4
	v_mov_b32_e32 v5, s5
	s_and_saveexec_b32 s4, s3
	s_cbranch_execnz .LBB281_2023
	s_branch .LBB281_2024
.LBB281_2136:
	s_trap 2
	s_sendmsg_rtn_b32 s0, sendmsg(MSG_RTN_GET_DOORBELL)
	s_mov_b32 ttmp2, m0
	s_waitcnt lgkmcnt(0)
	s_and_b32 s0, s0, 0x3ff
	s_delay_alu instid0(SALU_CYCLE_1) | instskip(NEXT) | instid1(SALU_CYCLE_1)
	s_bitset1_b32 s0, 10
	s_mov_b32 m0, s0
	s_sendmsg sendmsg(MSG_INTERRUPT)
	s_mov_b32 m0, ttmp2
.LBB281_2137:                           ; =>This Inner Loop Header: Depth=1
	s_sethalt 5
	s_branch .LBB281_2137
	.section	.rodata,"a",@progbits
	.p2align	6, 0x0
	.amdhsa_kernel _ZN2at6native32elementwise_kernel_manual_unrollILi128ELi4EZNS0_15gpu_kernel_implIZZZNS0_17clamp_kernel_cudaERNS_18TensorIteratorBaseERKN3c106ScalarES8_ENKUlvE_clEvENKUlvE_clEvEUlhE_EEvS4_RKT_EUlibE0_EEviT1_
		.amdhsa_group_segment_fixed_size 0
		.amdhsa_private_segment_fixed_size 0
		.amdhsa_kernarg_size 360
		.amdhsa_user_sgpr_count 15
		.amdhsa_user_sgpr_dispatch_ptr 0
		.amdhsa_user_sgpr_queue_ptr 0
		.amdhsa_user_sgpr_kernarg_segment_ptr 1
		.amdhsa_user_sgpr_dispatch_id 0
		.amdhsa_user_sgpr_private_segment_size 0
		.amdhsa_wavefront_size32 1
		.amdhsa_uses_dynamic_stack 0
		.amdhsa_enable_private_segment 0
		.amdhsa_system_sgpr_workgroup_id_x 1
		.amdhsa_system_sgpr_workgroup_id_y 0
		.amdhsa_system_sgpr_workgroup_id_z 0
		.amdhsa_system_sgpr_workgroup_info 0
		.amdhsa_system_vgpr_workitem_id 0
		.amdhsa_next_free_vgpr 18
		.amdhsa_next_free_sgpr 72
		.amdhsa_reserve_vcc 1
		.amdhsa_float_round_mode_32 0
		.amdhsa_float_round_mode_16_64 0
		.amdhsa_float_denorm_mode_32 3
		.amdhsa_float_denorm_mode_16_64 3
		.amdhsa_dx10_clamp 1
		.amdhsa_ieee_mode 1
		.amdhsa_fp16_overflow 0
		.amdhsa_workgroup_processor_mode 1
		.amdhsa_memory_ordered 1
		.amdhsa_forward_progress 0
		.amdhsa_shared_vgpr_count 0
		.amdhsa_exception_fp_ieee_invalid_op 0
		.amdhsa_exception_fp_denorm_src 0
		.amdhsa_exception_fp_ieee_div_zero 0
		.amdhsa_exception_fp_ieee_overflow 0
		.amdhsa_exception_fp_ieee_underflow 0
		.amdhsa_exception_fp_ieee_inexact 0
		.amdhsa_exception_int_div_zero 0
	.end_amdhsa_kernel
	.section	.text._ZN2at6native32elementwise_kernel_manual_unrollILi128ELi4EZNS0_15gpu_kernel_implIZZZNS0_17clamp_kernel_cudaERNS_18TensorIteratorBaseERKN3c106ScalarES8_ENKUlvE_clEvENKUlvE_clEvEUlhE_EEvS4_RKT_EUlibE0_EEviT1_,"axG",@progbits,_ZN2at6native32elementwise_kernel_manual_unrollILi128ELi4EZNS0_15gpu_kernel_implIZZZNS0_17clamp_kernel_cudaERNS_18TensorIteratorBaseERKN3c106ScalarES8_ENKUlvE_clEvENKUlvE_clEvEUlhE_EEvS4_RKT_EUlibE0_EEviT1_,comdat
.Lfunc_end281:
	.size	_ZN2at6native32elementwise_kernel_manual_unrollILi128ELi4EZNS0_15gpu_kernel_implIZZZNS0_17clamp_kernel_cudaERNS_18TensorIteratorBaseERKN3c106ScalarES8_ENKUlvE_clEvENKUlvE_clEvEUlhE_EEvS4_RKT_EUlibE0_EEviT1_, .Lfunc_end281-_ZN2at6native32elementwise_kernel_manual_unrollILi128ELi4EZNS0_15gpu_kernel_implIZZZNS0_17clamp_kernel_cudaERNS_18TensorIteratorBaseERKN3c106ScalarES8_ENKUlvE_clEvENKUlvE_clEvEUlhE_EEvS4_RKT_EUlibE0_EEviT1_
                                        ; -- End function
	.section	.AMDGPU.csdata,"",@progbits
; Kernel info:
; codeLenInByte = 45340
; NumSgprs: 74
; NumVgprs: 18
; ScratchSize: 0
; MemoryBound: 1
; FloatMode: 240
; IeeeMode: 1
; LDSByteSize: 0 bytes/workgroup (compile time only)
; SGPRBlocks: 9
; VGPRBlocks: 2
; NumSGPRsForWavesPerEU: 74
; NumVGPRsForWavesPerEU: 18
; Occupancy: 16
; WaveLimiterHint : 1
; COMPUTE_PGM_RSRC2:SCRATCH_EN: 0
; COMPUTE_PGM_RSRC2:USER_SGPR: 15
; COMPUTE_PGM_RSRC2:TRAP_HANDLER: 0
; COMPUTE_PGM_RSRC2:TGID_X_EN: 1
; COMPUTE_PGM_RSRC2:TGID_Y_EN: 0
; COMPUTE_PGM_RSRC2:TGID_Z_EN: 0
; COMPUTE_PGM_RSRC2:TIDIG_COMP_CNT: 0
	.section	.text._ZN2at6native29vectorized_elementwise_kernelILi16EZZZNS0_17clamp_kernel_cudaERNS_18TensorIteratorBaseERKN3c106ScalarES7_ENKUlvE_clEvENKUlvE0_clEvEUlaE_St5arrayIPcLm2EEEEviT0_T1_,"axG",@progbits,_ZN2at6native29vectorized_elementwise_kernelILi16EZZZNS0_17clamp_kernel_cudaERNS_18TensorIteratorBaseERKN3c106ScalarES7_ENKUlvE_clEvENKUlvE0_clEvEUlaE_St5arrayIPcLm2EEEEviT0_T1_,comdat
	.globl	_ZN2at6native29vectorized_elementwise_kernelILi16EZZZNS0_17clamp_kernel_cudaERNS_18TensorIteratorBaseERKN3c106ScalarES7_ENKUlvE_clEvENKUlvE0_clEvEUlaE_St5arrayIPcLm2EEEEviT0_T1_ ; -- Begin function _ZN2at6native29vectorized_elementwise_kernelILi16EZZZNS0_17clamp_kernel_cudaERNS_18TensorIteratorBaseERKN3c106ScalarES7_ENKUlvE_clEvENKUlvE0_clEvEUlaE_St5arrayIPcLm2EEEEviT0_T1_
	.p2align	8
	.type	_ZN2at6native29vectorized_elementwise_kernelILi16EZZZNS0_17clamp_kernel_cudaERNS_18TensorIteratorBaseERKN3c106ScalarES7_ENKUlvE_clEvENKUlvE0_clEvEUlaE_St5arrayIPcLm2EEEEviT0_T1_,@function
_ZN2at6native29vectorized_elementwise_kernelILi16EZZZNS0_17clamp_kernel_cudaERNS_18TensorIteratorBaseERKN3c106ScalarES7_ENKUlvE_clEvENKUlvE0_clEvEUlaE_St5arrayIPcLm2EEEEviT0_T1_: ; @_ZN2at6native29vectorized_elementwise_kernelILi16EZZZNS0_17clamp_kernel_cudaERNS_18TensorIteratorBaseERKN3c106ScalarES7_ENKUlvE_clEvENKUlvE0_clEvEUlaE_St5arrayIPcLm2EEEEviT0_T1_
; %bb.0:
	v_mov_b32_e32 v1, 0
	s_clause 0x1
	s_load_b32 s2, s[0:1], 0x0
	s_load_b128 s[4:7], s[0:1], 0x8
	global_load_u16 v1, v1, s[0:1] offset:4
	s_lshl_b32 s1, s15, 12
	s_waitcnt lgkmcnt(0)
	s_sub_i32 s2, s2, s1
	s_waitcnt vmcnt(0)
	v_readfirstlane_b32 s0, v1
	v_bfe_i32 v1, v1, 0, 8
	s_delay_alu instid0(VALU_DEP_2) | instskip(NEXT) | instid1(SALU_CYCLE_1)
	s_and_b32 s0, 0xffff, s0
	s_lshr_b32 s3, s0, 8
	s_cmpk_gt_i32 s2, 0xfff
	s_mov_b32 s0, -1
	s_cbranch_scc0 .LBB282_2
; %bb.1:
	v_lshlrev_b32_e32 v6, 4, v0
	s_bfe_i32 s0, s3, 0x80000
	s_ashr_i32 s10, s1, 31
	s_add_u32 s8, s6, s1
	s_addc_u32 s9, s7, s10
	global_load_b128 v[2:5], v6, s[8:9]
	s_add_u32 s8, s4, s1
	s_addc_u32 s9, s5, s10
	s_waitcnt vmcnt(0)
	v_bfe_i32 v7, v2, 0, 8
	v_lshrrev_b32_e32 v8, 8, v2
	v_lshrrev_b32_e32 v9, 16, v2
	v_lshrrev_b32_e32 v2, 24, v2
	v_bfe_i32 v10, v3, 0, 8
	v_lshrrev_b32_e32 v11, 8, v3
	v_lshrrev_b32_e32 v12, 16, v3
	v_lshrrev_b32_e32 v3, 24, v3
	;; [unrolled: 4-line block ×4, first 2 shown]
	v_bfe_i32 v8, v8, 0, 8
	v_bfe_i32 v9, v9, 0, 8
	;; [unrolled: 1-line block ×12, first 2 shown]
	v_max_i16 v7, v7, v1
	v_max_i16 v10, v10, v1
	;; [unrolled: 1-line block ×16, first 2 shown]
	v_min_i16 v7, v7, s0
	v_min_i16 v10, v10, s0
	;; [unrolled: 1-line block ×16, first 2 shown]
	v_and_b32_e32 v16, 0xff, v16
	v_and_b32_e32 v13, 0xff, v13
	;; [unrolled: 1-line block ×4, first 2 shown]
	v_lshlrev_b16 v17, 8, v17
	v_lshlrev_b16 v5, 8, v5
	v_and_b32_e32 v18, 0xff, v18
	v_lshlrev_b16 v14, 8, v14
	v_lshlrev_b16 v4, 8, v4
	v_and_b32_e32 v15, 0xff, v15
	;; [unrolled: 3-line block ×4, first 2 shown]
	v_or_b32_e32 v16, v16, v17
	v_or_b32_e32 v5, v18, v5
	;; [unrolled: 1-line block ×8, first 2 shown]
	v_and_b32_e32 v8, 0xffff, v16
	v_lshlrev_b32_e32 v5, 16, v5
	v_and_b32_e32 v9, 0xffff, v13
	v_lshlrev_b32_e32 v4, 16, v4
	;; [unrolled: 2-line block ×4, first 2 shown]
	v_or_b32_e32 v5, v8, v5
	v_or_b32_e32 v4, v9, v4
	;; [unrolled: 1-line block ×3, first 2 shown]
	s_mov_b32 s0, 0
	v_or_b32_e32 v2, v7, v2
	global_store_b128 v6, v[2:5], s[8:9]
.LBB282_2:
	s_and_not1_b32 vcc_lo, exec_lo, s0
	s_cbranch_vccnz .LBB282_52
; %bb.3:
	v_cmp_gt_i32_e32 vcc_lo, s2, v0
	v_dual_mov_b32 v5, 0 :: v_dual_mov_b32 v6, 0
	v_or_b32_e32 v2, s1, v0
	v_or_b32_e32 v3, 0x100, v0
	v_mov_b32_e32 v11, v0
	s_and_saveexec_b32 s0, vcc_lo
	s_cbranch_execz .LBB282_5
; %bb.4:
	global_load_u8 v6, v2, s[6:7]
	v_or_b32_e32 v11, 0x100, v0
.LBB282_5:
	s_or_b32 exec_lo, exec_lo, s0
	s_delay_alu instid0(SALU_CYCLE_1) | instskip(NEXT) | instid1(VALU_DEP_1)
	s_mov_b32 s8, exec_lo
	v_cmpx_gt_i32_e64 s2, v11
	s_cbranch_execz .LBB282_7
; %bb.6:
	v_add_nc_u32_e32 v4, s1, v11
	v_add_nc_u32_e32 v11, 0x100, v11
	global_load_u8 v5, v4, s[6:7]
.LBB282_7:
	s_or_b32 exec_lo, exec_lo, s8
	v_mov_b32_e32 v4, 0
	v_mov_b32_e32 v8, 0
	s_mov_b32 s8, exec_lo
	v_cmpx_gt_i32_e64 s2, v11
	s_cbranch_execz .LBB282_9
; %bb.8:
	v_add_nc_u32_e32 v7, s1, v11
	v_add_nc_u32_e32 v11, 0x100, v11
	global_load_u8 v8, v7, s[6:7]
.LBB282_9:
	s_or_b32 exec_lo, exec_lo, s8
	s_delay_alu instid0(SALU_CYCLE_1)
	s_mov_b32 s8, exec_lo
	v_cmpx_gt_i32_e64 s2, v11
	s_cbranch_execz .LBB282_11
; %bb.10:
	v_add_nc_u32_e32 v4, s1, v11
	v_add_nc_u32_e32 v11, 0x100, v11
	global_load_u8 v4, v4, s[6:7]
.LBB282_11:
	s_or_b32 exec_lo, exec_lo, s8
	v_mov_b32_e32 v14, 0
	v_mov_b32_e32 v16, 0
	s_mov_b32 s8, exec_lo
	v_cmpx_gt_i32_e64 s2, v11
	s_cbranch_execz .LBB282_13
; %bb.12:
	v_add_nc_u32_e32 v7, s1, v11
	v_add_nc_u32_e32 v11, 0x100, v11
	global_load_u8 v16, v7, s[6:7]
.LBB282_13:
	s_or_b32 exec_lo, exec_lo, s8
	s_delay_alu instid0(SALU_CYCLE_1)
	s_mov_b32 s8, exec_lo
	v_cmpx_gt_i32_e64 s2, v11
	s_cbranch_execz .LBB282_15
; %bb.14:
	v_add_nc_u32_e32 v7, s1, v11
	v_add_nc_u32_e32 v11, 0x100, v11
	global_load_u8 v14, v7, s[6:7]
.LBB282_15:
	s_or_b32 exec_lo, exec_lo, s8
	v_dual_mov_b32 v12, 0 :: v_dual_mov_b32 v15, 0
	s_mov_b32 s8, exec_lo
	v_cmpx_gt_i32_e64 s2, v11
	s_cbranch_execz .LBB282_17
; %bb.16:
	v_add_nc_u32_e32 v7, s1, v11
	v_add_nc_u32_e32 v11, 0x100, v11
	global_load_u8 v15, v7, s[6:7]
.LBB282_17:
	s_or_b32 exec_lo, exec_lo, s8
	s_delay_alu instid0(SALU_CYCLE_1)
	s_mov_b32 s8, exec_lo
	v_cmpx_gt_i32_e64 s2, v11
	s_cbranch_execz .LBB282_19
; %bb.18:
	v_add_nc_u32_e32 v7, s1, v11
	v_add_nc_u32_e32 v11, 0x100, v11
	global_load_u8 v12, v7, s[6:7]
.LBB282_19:
	s_or_b32 exec_lo, exec_lo, s8
	v_dual_mov_b32 v9, 0 :: v_dual_mov_b32 v10, 0
	s_mov_b32 s8, exec_lo
	v_cmpx_gt_i32_e64 s2, v11
	s_cbranch_execz .LBB282_21
; %bb.20:
	v_add_nc_u32_e32 v7, s1, v11
	v_add_nc_u32_e32 v11, 0x100, v11
	global_load_u8 v10, v7, s[6:7]
.LBB282_21:
	s_or_b32 exec_lo, exec_lo, s8
	s_delay_alu instid0(SALU_CYCLE_1)
	s_mov_b32 s8, exec_lo
	v_cmpx_gt_i32_e64 s2, v11
	s_cbranch_execz .LBB282_23
; %bb.22:
	v_add_nc_u32_e32 v7, s1, v11
	v_add_nc_u32_e32 v11, 0x100, v11
	global_load_u8 v9, v7, s[6:7]
.LBB282_23:
	s_or_b32 exec_lo, exec_lo, s8
	v_mov_b32_e32 v7, 0
	v_mov_b32_e32 v13, 0
	s_mov_b32 s8, exec_lo
	v_cmpx_gt_i32_e64 s2, v11
	s_cbranch_execz .LBB282_25
; %bb.24:
	v_add_nc_u32_e32 v13, s1, v11
	v_add_nc_u32_e32 v11, 0x100, v11
	global_load_u8 v13, v13, s[6:7]
.LBB282_25:
	s_or_b32 exec_lo, exec_lo, s8
	s_delay_alu instid0(SALU_CYCLE_1)
	s_mov_b32 s8, exec_lo
	v_cmpx_gt_i32_e64 s2, v11
	s_cbranch_execz .LBB282_27
; %bb.26:
	v_add_nc_u32_e32 v7, s1, v11
	v_add_nc_u32_e32 v11, 0x100, v11
	global_load_u8 v7, v7, s[6:7]
.LBB282_27:
	s_or_b32 exec_lo, exec_lo, s8
	v_mov_b32_e32 v18, 0
	v_mov_b32_e32 v20, 0
	;; [unrolled: 21-line block ×3, first 2 shown]
	s_mov_b32 s8, exec_lo
	v_cmpx_gt_i32_e64 s2, v11
	s_cbranch_execz .LBB282_33
; %bb.32:
	v_add_nc_u32_e32 v19, s1, v11
	v_add_nc_u32_e32 v11, 0x100, v11
	global_load_u8 v19, v19, s[6:7]
.LBB282_33:
	s_or_b32 exec_lo, exec_lo, s8
	s_delay_alu instid0(SALU_CYCLE_1)
	s_mov_b32 s8, exec_lo
	v_cmpx_gt_i32_e64 s2, v11
	s_cbranch_execz .LBB282_35
; %bb.34:
	v_add_nc_u32_e32 v11, s1, v11
	global_load_u8 v17, v11, s[6:7]
.LBB282_35:
	s_or_b32 exec_lo, exec_lo, s8
	s_waitcnt vmcnt(0)
	v_bfe_i32 v11, v16, 0, 8
	v_bfe_i32 v6, v6, 0, 8
	;; [unrolled: 1-line block ×3, first 2 shown]
	s_bfe_i32 s3, s3, 0x80000
	v_bfe_i32 v8, v8, 0, 8
	v_max_i16 v11, v11, v1
	v_max_i16 v6, v6, v1
	;; [unrolled: 1-line block ×3, first 2 shown]
	v_bfe_i32 v14, v14, 0, 8
	v_or_b32_e32 v16, 0x400, v0
	v_min_i16 v11, v11, s3
	v_min_i16 v6, v6, s3
	;; [unrolled: 1-line block ×3, first 2 shown]
	v_max_i16 v14, v14, v1
	v_max_i16 v8, v8, v1
	v_perm_b32 v11, v11, 0, 0x3020104
	v_and_b32_e32 v6, 0xff, v6
	v_lshlrev_b16 v5, 8, v5
	v_cmp_gt_i32_e64 s0, s2, v16
	v_min_i16 v14, v14, s3
	v_min_i16 v8, v8, s3
	v_or_b32_e32 v16, 0x200, v0
	v_or_b32_e32 v5, v6, v5
	v_cndmask_b32_e64 v11, 0, v11, s0
	v_lshlrev_b16 v14, 8, v14
	v_and_b32_e32 v8, 0xff, v8
	v_and_b32_e32 v6, 0xffff, v6
	;; [unrolled: 1-line block ×4, first 2 shown]
	v_cmp_gt_i32_e64 s0, s2, v3
	v_bfe_i32 v15, v15, 0, 8
	v_lshlrev_b32_e32 v8, 16, v8
	v_bfe_i32 v10, v10, 0, 8
	v_or_b32_e32 v14, v21, v14
	v_cndmask_b32_e64 v5, v6, v5, s0
	v_cmp_gt_i32_e64 s0, s2, v16
	v_bfe_i32 v9, v9, 0, 8
	v_max_i16 v10, v10, v1
	v_and_b32_e32 v6, 0xffff, v14
	v_max_i16 v14, v15, v1
	v_or_b32_e32 v15, 0x500, v0
	v_or_b32_e32 v8, v5, v8
	v_max_i16 v9, v9, v1
	v_and_or_b32 v6, 0xffff0000, v11, v6
	v_min_i16 v14, v14, s3
	v_min_i16 v10, v10, s3
	v_cndmask_b32_e64 v5, v5, v8, s0
	v_cmp_gt_i32_e64 s0, s2, v15
	v_or_b32_e32 v8, 0x600, v0
	v_bfe_i32 v15, v20, 0, 8
	v_min_i16 v9, v9, s3
	v_bfe_i32 v13, v13, 0, 8
	v_cndmask_b32_e64 v6, v11, v6, s0
	v_cmp_gt_i32_e64 s0, s2, v8
	v_and_b32_e32 v10, 0xff, v10
	v_lshlrev_b16 v9, 8, v9
	v_max_i16 v13, v13, v1
	v_perm_b32 v14, v6, v14, 0x7000504
	v_bfe_i32 v4, v4, 0, 8
	v_bfe_i32 v16, v19, 0, 8
	v_or_b32_e32 v9, v10, v9
	v_lshrrev_b32_e32 v11, 16, v5
	v_cndmask_b32_e64 v8, v6, v14, s0
	v_max_i16 v6, v15, v1
	v_bfe_i32 v14, v18, 0, 8
	v_or_b32_e32 v15, 0xc00, v0
	v_and_b32_e32 v9, 0xffff, v9
	v_or_b32_e32 v18, 0xd00, v0
	v_min_i16 v6, v6, s3
	v_max_i16 v14, v14, v1
	v_cmp_gt_i32_e64 s0, s2, v15
	v_max_i16 v4, v4, v1
	v_max_i16 v16, v16, v1
	v_perm_b32 v6, v6, 0, 0x3020104
	v_min_i16 v14, v14, s3
	v_bfe_i32 v12, v12, 0, 8
	v_min_i16 v4, v4, s3
	v_and_b32_e32 v11, 0xff, v11
	v_cndmask_b32_e64 v6, 0, v6, s0
	v_lshlrev_b16 v14, 8, v14
	v_max_i16 v12, v12, v1
	v_lshlrev_b16 v4, 8, v4
	v_bfe_i32 v7, v7, 0, 8
	v_and_b32_e32 v15, 0xff, v6
	s_delay_alu instid0(VALU_DEP_4) | instskip(NEXT) | instid1(VALU_DEP_4)
	v_min_i16 v12, v12, s3
	v_or_b32_e32 v4, v11, v4
	v_lshrrev_b32_e32 v11, 16, v8
	s_delay_alu instid0(VALU_DEP_4)
	v_or_b32_e32 v14, v15, v14
	v_and_b32_e32 v15, 0xffff, v10
	v_min_i16 v10, v13, s3
	v_max_i16 v7, v7, v1
	v_and_b32_e32 v11, 0xff, v11
	v_and_b32_e32 v13, 0xffff, v14
	v_or_b32_e32 v14, 0x900, v0
	v_and_b32_e32 v10, 0xff, v10
	v_lshlrev_b32_e32 v4, 16, v4
	v_min_i16 v7, v7, s3
	v_and_or_b32 v13, 0xffff0000, v6, v13
	v_cmp_gt_i32_e64 s0, s2, v14
	v_lshlrev_b32_e32 v10, 16, v10
	v_or_b32_e32 v14, 0xa00, v0
	v_lshlrev_b16 v7, 8, v7
	v_and_or_b32 v4, 0xffff, v5, v4
	v_cndmask_b32_e64 v9, v15, v9, s0
	v_cmp_gt_i32_e64 s0, s2, v18
	v_or_b32_e32 v15, 0xe00, v0
	s_delay_alu instid0(VALU_DEP_3) | instskip(NEXT) | instid1(VALU_DEP_3)
	v_or_b32_e32 v10, v9, v10
	v_cndmask_b32_e64 v6, v6, v13, s0
	v_min_i16 v13, v16, s3
	v_cmp_gt_i32_e64 s0, s2, v14
	v_bfe_i32 v16, v17, 0, 8
	s_delay_alu instid0(VALU_DEP_3) | instskip(NEXT) | instid1(VALU_DEP_3)
	v_perm_b32 v13, v6, v13, 0x7000504
	v_cndmask_b32_e64 v9, v9, v10, s0
	v_cmp_gt_i32_e64 s0, s2, v15
	s_delay_alu instid0(VALU_DEP_4) | instskip(NEXT) | instid1(VALU_DEP_2)
	v_max_i16 v1, v16, v1
	v_cndmask_b32_e64 v10, v6, v13, s0
	v_lshlrev_b16 v6, 8, v12
	v_lshrrev_b32_e32 v12, 16, v9
	s_delay_alu instid0(VALU_DEP_4) | instskip(NEXT) | instid1(VALU_DEP_4)
	v_min_i16 v1, v1, s3
	v_lshrrev_b32_e32 v13, 16, v10
	s_delay_alu instid0(VALU_DEP_4) | instskip(NEXT) | instid1(VALU_DEP_4)
	v_or_b32_e32 v6, v11, v6
	v_and_b32_e32 v11, 0xff, v12
	s_delay_alu instid0(VALU_DEP_4) | instskip(NEXT) | instid1(VALU_DEP_4)
	v_lshlrev_b16 v1, 8, v1
	v_and_b32_e32 v12, 0xff, v13
	v_or_b32_e32 v13, 0x300, v0
	s_delay_alu instid0(VALU_DEP_4) | instskip(SKIP_1) | instid1(VALU_DEP_4)
	v_or_b32_e32 v7, v11, v7
	v_lshlrev_b32_e32 v11, 16, v6
	v_or_b32_e32 v1, v12, v1
	s_delay_alu instid0(VALU_DEP_4) | instskip(SKIP_1) | instid1(VALU_DEP_3)
	v_cmp_gt_i32_e64 s0, s2, v13
	v_or_b32_e32 v12, 0xf00, v0
	v_lshlrev_b32_e32 v1, 16, v1
	s_delay_alu instid0(VALU_DEP_3)
	v_cndmask_b32_e64 v6, v5, v4, s0
	v_or_b32_e32 v5, 0x700, v0
	v_lshlrev_b32_e32 v4, 16, v7
	v_and_or_b32 v7, 0xffff, v8, v11
	v_or_b32_e32 v11, 0xb00, v0
	v_and_or_b32 v1, 0xffff, v10, v1
	v_cmp_gt_i32_e64 s0, s2, v5
	v_and_or_b32 v4, 0xffff, v9, v4
	s_delay_alu instid0(VALU_DEP_2) | instskip(SKIP_1) | instid1(VALU_DEP_1)
	v_cndmask_b32_e64 v5, v8, v7, s0
	v_cmp_gt_i32_e64 s0, s2, v11
	v_cndmask_b32_e64 v4, v9, v4, s0
	v_cmp_gt_i32_e64 s0, s2, v12
	s_delay_alu instid0(VALU_DEP_1)
	v_cndmask_b32_e64 v1, v10, v1, s0
	s_and_saveexec_b32 s0, vcc_lo
	s_cbranch_execnz .LBB282_53
; %bb.36:
	s_or_b32 exec_lo, exec_lo, s0
	s_delay_alu instid0(SALU_CYCLE_1)
	s_mov_b32 s0, exec_lo
	v_cmpx_gt_i32_e64 s2, v0
	s_cbranch_execnz .LBB282_54
.LBB282_37:
	s_or_b32 exec_lo, exec_lo, s0
	s_delay_alu instid0(SALU_CYCLE_1)
	s_mov_b32 s0, exec_lo
	v_cmpx_gt_i32_e64 s2, v0
	s_cbranch_execnz .LBB282_55
.LBB282_38:
	s_or_b32 exec_lo, exec_lo, s0
	s_delay_alu instid0(SALU_CYCLE_1)
	s_mov_b32 s0, exec_lo
	v_cmpx_gt_i32_e64 s2, v0
	s_cbranch_execnz .LBB282_56
.LBB282_39:
	s_or_b32 exec_lo, exec_lo, s0
	s_delay_alu instid0(SALU_CYCLE_1)
	s_mov_b32 s0, exec_lo
	v_cmpx_gt_i32_e64 s2, v0
	s_cbranch_execnz .LBB282_57
.LBB282_40:
	s_or_b32 exec_lo, exec_lo, s0
	s_delay_alu instid0(SALU_CYCLE_1)
	s_mov_b32 s0, exec_lo
	v_cmpx_gt_i32_e64 s2, v0
	s_cbranch_execnz .LBB282_58
.LBB282_41:
	s_or_b32 exec_lo, exec_lo, s0
	s_delay_alu instid0(SALU_CYCLE_1)
	s_mov_b32 s0, exec_lo
	v_cmpx_gt_i32_e64 s2, v0
	s_cbranch_execnz .LBB282_59
.LBB282_42:
	s_or_b32 exec_lo, exec_lo, s0
	s_delay_alu instid0(SALU_CYCLE_1)
	s_mov_b32 s0, exec_lo
	v_cmpx_gt_i32_e64 s2, v0
	s_cbranch_execnz .LBB282_60
.LBB282_43:
	s_or_b32 exec_lo, exec_lo, s0
	s_delay_alu instid0(SALU_CYCLE_1)
	s_mov_b32 s0, exec_lo
	v_cmpx_gt_i32_e64 s2, v0
	s_cbranch_execnz .LBB282_61
.LBB282_44:
	s_or_b32 exec_lo, exec_lo, s0
	s_delay_alu instid0(SALU_CYCLE_1)
	s_mov_b32 s0, exec_lo
	v_cmpx_gt_i32_e64 s2, v0
	s_cbranch_execnz .LBB282_62
.LBB282_45:
	s_or_b32 exec_lo, exec_lo, s0
	s_delay_alu instid0(SALU_CYCLE_1)
	s_mov_b32 s0, exec_lo
	v_cmpx_gt_i32_e64 s2, v0
	s_cbranch_execnz .LBB282_63
.LBB282_46:
	s_or_b32 exec_lo, exec_lo, s0
	s_delay_alu instid0(SALU_CYCLE_1)
	s_mov_b32 s0, exec_lo
	v_cmpx_gt_i32_e64 s2, v0
	s_cbranch_execnz .LBB282_64
.LBB282_47:
	s_or_b32 exec_lo, exec_lo, s0
	s_delay_alu instid0(SALU_CYCLE_1)
	s_mov_b32 s0, exec_lo
	v_cmpx_gt_i32_e64 s2, v0
	s_cbranch_execnz .LBB282_65
.LBB282_48:
	s_or_b32 exec_lo, exec_lo, s0
	s_delay_alu instid0(SALU_CYCLE_1)
	s_mov_b32 s0, exec_lo
	v_cmpx_gt_i32_e64 s2, v0
	s_cbranch_execnz .LBB282_66
.LBB282_49:
	s_or_b32 exec_lo, exec_lo, s0
	s_delay_alu instid0(SALU_CYCLE_1)
	s_mov_b32 s0, exec_lo
	v_cmpx_gt_i32_e64 s2, v0
	s_cbranch_execnz .LBB282_67
.LBB282_50:
	s_or_b32 exec_lo, exec_lo, s0
	s_delay_alu instid0(SALU_CYCLE_1)
	s_mov_b32 s0, exec_lo
	v_cmpx_gt_i32_e64 s2, v0
	s_cbranch_execz .LBB282_52
.LBB282_51:
	v_add_nc_u32_e32 v0, s1, v0
	v_lshrrev_b32_e32 v1, 24, v1
	global_store_b8 v0, v1, s[4:5]
.LBB282_52:
	s_nop 0
	s_sendmsg sendmsg(MSG_DEALLOC_VGPRS)
	s_endpgm
.LBB282_53:
	v_mov_b32_e32 v0, v3
	global_store_b8 v2, v6, s[4:5]
	s_or_b32 exec_lo, exec_lo, s0
	s_delay_alu instid0(SALU_CYCLE_1)
	s_mov_b32 s0, exec_lo
	v_cmpx_gt_i32_e64 s2, v0
	s_cbranch_execz .LBB282_37
.LBB282_54:
	v_add_nc_u32_e32 v2, s1, v0
	v_lshrrev_b32_e32 v3, 8, v6
	v_add_nc_u32_e32 v0, 0x100, v0
	global_store_b8 v2, v3, s[4:5]
	s_or_b32 exec_lo, exec_lo, s0
	s_delay_alu instid0(SALU_CYCLE_1)
	s_mov_b32 s0, exec_lo
	v_cmpx_gt_i32_e64 s2, v0
	s_cbranch_execz .LBB282_38
.LBB282_55:
	v_add_nc_u32_e32 v2, s1, v0
	v_add_nc_u32_e32 v0, 0x100, v0
	global_store_d16_hi_b8 v2, v6, s[4:5]
	s_or_b32 exec_lo, exec_lo, s0
	s_delay_alu instid0(SALU_CYCLE_1)
	s_mov_b32 s0, exec_lo
	v_cmpx_gt_i32_e64 s2, v0
	s_cbranch_execz .LBB282_39
.LBB282_56:
	v_add_nc_u32_e32 v2, s1, v0
	v_lshrrev_b32_e32 v3, 24, v6
	v_add_nc_u32_e32 v0, 0x100, v0
	global_store_b8 v2, v3, s[4:5]
	s_or_b32 exec_lo, exec_lo, s0
	s_delay_alu instid0(SALU_CYCLE_1)
	s_mov_b32 s0, exec_lo
	v_cmpx_gt_i32_e64 s2, v0
	s_cbranch_execz .LBB282_40
.LBB282_57:
	v_add_nc_u32_e32 v2, s1, v0
	v_add_nc_u32_e32 v0, 0x100, v0
	global_store_b8 v2, v5, s[4:5]
	s_or_b32 exec_lo, exec_lo, s0
	s_delay_alu instid0(SALU_CYCLE_1)
	s_mov_b32 s0, exec_lo
	v_cmpx_gt_i32_e64 s2, v0
	s_cbranch_execz .LBB282_41
.LBB282_58:
	v_add_nc_u32_e32 v2, s1, v0
	v_lshrrev_b32_e32 v3, 8, v5
	v_add_nc_u32_e32 v0, 0x100, v0
	global_store_b8 v2, v3, s[4:5]
	s_or_b32 exec_lo, exec_lo, s0
	s_delay_alu instid0(SALU_CYCLE_1)
	s_mov_b32 s0, exec_lo
	v_cmpx_gt_i32_e64 s2, v0
	s_cbranch_execz .LBB282_42
.LBB282_59:
	v_add_nc_u32_e32 v2, s1, v0
	v_add_nc_u32_e32 v0, 0x100, v0
	global_store_d16_hi_b8 v2, v5, s[4:5]
	s_or_b32 exec_lo, exec_lo, s0
	s_delay_alu instid0(SALU_CYCLE_1)
	s_mov_b32 s0, exec_lo
	v_cmpx_gt_i32_e64 s2, v0
	s_cbranch_execz .LBB282_43
.LBB282_60:
	v_add_nc_u32_e32 v2, s1, v0
	v_lshrrev_b32_e32 v3, 24, v5
	v_add_nc_u32_e32 v0, 0x100, v0
	global_store_b8 v2, v3, s[4:5]
	s_or_b32 exec_lo, exec_lo, s0
	s_delay_alu instid0(SALU_CYCLE_1)
	s_mov_b32 s0, exec_lo
	v_cmpx_gt_i32_e64 s2, v0
	s_cbranch_execz .LBB282_44
.LBB282_61:
	v_add_nc_u32_e32 v2, s1, v0
	v_add_nc_u32_e32 v0, 0x100, v0
	global_store_b8 v2, v4, s[4:5]
	s_or_b32 exec_lo, exec_lo, s0
	s_delay_alu instid0(SALU_CYCLE_1)
	s_mov_b32 s0, exec_lo
	v_cmpx_gt_i32_e64 s2, v0
	s_cbranch_execz .LBB282_45
.LBB282_62:
	v_add_nc_u32_e32 v2, s1, v0
	v_lshrrev_b32_e32 v3, 8, v4
	v_add_nc_u32_e32 v0, 0x100, v0
	global_store_b8 v2, v3, s[4:5]
	s_or_b32 exec_lo, exec_lo, s0
	s_delay_alu instid0(SALU_CYCLE_1)
	s_mov_b32 s0, exec_lo
	v_cmpx_gt_i32_e64 s2, v0
	s_cbranch_execz .LBB282_46
.LBB282_63:
	v_add_nc_u32_e32 v2, s1, v0
	v_add_nc_u32_e32 v0, 0x100, v0
	global_store_d16_hi_b8 v2, v4, s[4:5]
	s_or_b32 exec_lo, exec_lo, s0
	s_delay_alu instid0(SALU_CYCLE_1)
	s_mov_b32 s0, exec_lo
	v_cmpx_gt_i32_e64 s2, v0
	s_cbranch_execz .LBB282_47
.LBB282_64:
	v_add_nc_u32_e32 v2, s1, v0
	v_lshrrev_b32_e32 v3, 24, v4
	v_add_nc_u32_e32 v0, 0x100, v0
	global_store_b8 v2, v3, s[4:5]
	s_or_b32 exec_lo, exec_lo, s0
	s_delay_alu instid0(SALU_CYCLE_1)
	s_mov_b32 s0, exec_lo
	v_cmpx_gt_i32_e64 s2, v0
	s_cbranch_execz .LBB282_48
.LBB282_65:
	v_add_nc_u32_e32 v2, s1, v0
	v_add_nc_u32_e32 v0, 0x100, v0
	global_store_b8 v2, v1, s[4:5]
	s_or_b32 exec_lo, exec_lo, s0
	s_delay_alu instid0(SALU_CYCLE_1)
	s_mov_b32 s0, exec_lo
	v_cmpx_gt_i32_e64 s2, v0
	s_cbranch_execz .LBB282_49
.LBB282_66:
	v_add_nc_u32_e32 v2, s1, v0
	v_lshrrev_b32_e32 v3, 8, v1
	v_add_nc_u32_e32 v0, 0x100, v0
	global_store_b8 v2, v3, s[4:5]
	s_or_b32 exec_lo, exec_lo, s0
	s_delay_alu instid0(SALU_CYCLE_1)
	s_mov_b32 s0, exec_lo
	v_cmpx_gt_i32_e64 s2, v0
	s_cbranch_execz .LBB282_50
.LBB282_67:
	v_add_nc_u32_e32 v2, s1, v0
	v_add_nc_u32_e32 v0, 0x100, v0
	global_store_d16_hi_b8 v2, v1, s[4:5]
	s_or_b32 exec_lo, exec_lo, s0
	s_delay_alu instid0(SALU_CYCLE_1)
	s_mov_b32 s0, exec_lo
	v_cmpx_gt_i32_e64 s2, v0
	s_cbranch_execnz .LBB282_51
	s_branch .LBB282_52
	.section	.rodata,"a",@progbits
	.p2align	6, 0x0
	.amdhsa_kernel _ZN2at6native29vectorized_elementwise_kernelILi16EZZZNS0_17clamp_kernel_cudaERNS_18TensorIteratorBaseERKN3c106ScalarES7_ENKUlvE_clEvENKUlvE0_clEvEUlaE_St5arrayIPcLm2EEEEviT0_T1_
		.amdhsa_group_segment_fixed_size 0
		.amdhsa_private_segment_fixed_size 0
		.amdhsa_kernarg_size 24
		.amdhsa_user_sgpr_count 15
		.amdhsa_user_sgpr_dispatch_ptr 0
		.amdhsa_user_sgpr_queue_ptr 0
		.amdhsa_user_sgpr_kernarg_segment_ptr 1
		.amdhsa_user_sgpr_dispatch_id 0
		.amdhsa_user_sgpr_private_segment_size 0
		.amdhsa_wavefront_size32 1
		.amdhsa_uses_dynamic_stack 0
		.amdhsa_enable_private_segment 0
		.amdhsa_system_sgpr_workgroup_id_x 1
		.amdhsa_system_sgpr_workgroup_id_y 0
		.amdhsa_system_sgpr_workgroup_id_z 0
		.amdhsa_system_sgpr_workgroup_info 0
		.amdhsa_system_vgpr_workitem_id 0
		.amdhsa_next_free_vgpr 22
		.amdhsa_next_free_sgpr 16
		.amdhsa_reserve_vcc 1
		.amdhsa_float_round_mode_32 0
		.amdhsa_float_round_mode_16_64 0
		.amdhsa_float_denorm_mode_32 3
		.amdhsa_float_denorm_mode_16_64 3
		.amdhsa_dx10_clamp 1
		.amdhsa_ieee_mode 1
		.amdhsa_fp16_overflow 0
		.amdhsa_workgroup_processor_mode 1
		.amdhsa_memory_ordered 1
		.amdhsa_forward_progress 0
		.amdhsa_shared_vgpr_count 0
		.amdhsa_exception_fp_ieee_invalid_op 0
		.amdhsa_exception_fp_denorm_src 0
		.amdhsa_exception_fp_ieee_div_zero 0
		.amdhsa_exception_fp_ieee_overflow 0
		.amdhsa_exception_fp_ieee_underflow 0
		.amdhsa_exception_fp_ieee_inexact 0
		.amdhsa_exception_int_div_zero 0
	.end_amdhsa_kernel
	.section	.text._ZN2at6native29vectorized_elementwise_kernelILi16EZZZNS0_17clamp_kernel_cudaERNS_18TensorIteratorBaseERKN3c106ScalarES7_ENKUlvE_clEvENKUlvE0_clEvEUlaE_St5arrayIPcLm2EEEEviT0_T1_,"axG",@progbits,_ZN2at6native29vectorized_elementwise_kernelILi16EZZZNS0_17clamp_kernel_cudaERNS_18TensorIteratorBaseERKN3c106ScalarES7_ENKUlvE_clEvENKUlvE0_clEvEUlaE_St5arrayIPcLm2EEEEviT0_T1_,comdat
.Lfunc_end282:
	.size	_ZN2at6native29vectorized_elementwise_kernelILi16EZZZNS0_17clamp_kernel_cudaERNS_18TensorIteratorBaseERKN3c106ScalarES7_ENKUlvE_clEvENKUlvE0_clEvEUlaE_St5arrayIPcLm2EEEEviT0_T1_, .Lfunc_end282-_ZN2at6native29vectorized_elementwise_kernelILi16EZZZNS0_17clamp_kernel_cudaERNS_18TensorIteratorBaseERKN3c106ScalarES7_ENKUlvE_clEvENKUlvE0_clEvEUlaE_St5arrayIPcLm2EEEEviT0_T1_
                                        ; -- End function
	.section	.AMDGPU.csdata,"",@progbits
; Kernel info:
; codeLenInByte = 3792
; NumSgprs: 18
; NumVgprs: 22
; ScratchSize: 0
; MemoryBound: 0
; FloatMode: 240
; IeeeMode: 1
; LDSByteSize: 0 bytes/workgroup (compile time only)
; SGPRBlocks: 2
; VGPRBlocks: 2
; NumSGPRsForWavesPerEU: 18
; NumVGPRsForWavesPerEU: 22
; Occupancy: 16
; WaveLimiterHint : 0
; COMPUTE_PGM_RSRC2:SCRATCH_EN: 0
; COMPUTE_PGM_RSRC2:USER_SGPR: 15
; COMPUTE_PGM_RSRC2:TRAP_HANDLER: 0
; COMPUTE_PGM_RSRC2:TGID_X_EN: 1
; COMPUTE_PGM_RSRC2:TGID_Y_EN: 0
; COMPUTE_PGM_RSRC2:TGID_Z_EN: 0
; COMPUTE_PGM_RSRC2:TIDIG_COMP_CNT: 0
	.section	.text._ZN2at6native29vectorized_elementwise_kernelILi8EZZZNS0_17clamp_kernel_cudaERNS_18TensorIteratorBaseERKN3c106ScalarES7_ENKUlvE_clEvENKUlvE0_clEvEUlaE_St5arrayIPcLm2EEEEviT0_T1_,"axG",@progbits,_ZN2at6native29vectorized_elementwise_kernelILi8EZZZNS0_17clamp_kernel_cudaERNS_18TensorIteratorBaseERKN3c106ScalarES7_ENKUlvE_clEvENKUlvE0_clEvEUlaE_St5arrayIPcLm2EEEEviT0_T1_,comdat
	.globl	_ZN2at6native29vectorized_elementwise_kernelILi8EZZZNS0_17clamp_kernel_cudaERNS_18TensorIteratorBaseERKN3c106ScalarES7_ENKUlvE_clEvENKUlvE0_clEvEUlaE_St5arrayIPcLm2EEEEviT0_T1_ ; -- Begin function _ZN2at6native29vectorized_elementwise_kernelILi8EZZZNS0_17clamp_kernel_cudaERNS_18TensorIteratorBaseERKN3c106ScalarES7_ENKUlvE_clEvENKUlvE0_clEvEUlaE_St5arrayIPcLm2EEEEviT0_T1_
	.p2align	8
	.type	_ZN2at6native29vectorized_elementwise_kernelILi8EZZZNS0_17clamp_kernel_cudaERNS_18TensorIteratorBaseERKN3c106ScalarES7_ENKUlvE_clEvENKUlvE0_clEvEUlaE_St5arrayIPcLm2EEEEviT0_T1_,@function
_ZN2at6native29vectorized_elementwise_kernelILi8EZZZNS0_17clamp_kernel_cudaERNS_18TensorIteratorBaseERKN3c106ScalarES7_ENKUlvE_clEvENKUlvE0_clEvEUlaE_St5arrayIPcLm2EEEEviT0_T1_: ; @_ZN2at6native29vectorized_elementwise_kernelILi8EZZZNS0_17clamp_kernel_cudaERNS_18TensorIteratorBaseERKN3c106ScalarES7_ENKUlvE_clEvENKUlvE0_clEvEUlaE_St5arrayIPcLm2EEEEviT0_T1_
; %bb.0:
	v_mov_b32_e32 v1, 0
	s_clause 0x1
	s_load_b32 s2, s[0:1], 0x0
	s_load_b128 s[4:7], s[0:1], 0x8
	global_load_u16 v1, v1, s[0:1] offset:4
	s_lshl_b32 s1, s15, 12
	s_waitcnt lgkmcnt(0)
	s_sub_i32 s2, s2, s1
	s_waitcnt vmcnt(0)
	v_readfirstlane_b32 s0, v1
	v_bfe_i32 v1, v1, 0, 8
	s_delay_alu instid0(VALU_DEP_2) | instskip(NEXT) | instid1(SALU_CYCLE_1)
	s_and_b32 s0, 0xffff, s0
	s_lshr_b32 s3, s0, 8
	s_cmpk_gt_i32 s2, 0xfff
	s_mov_b32 s0, -1
	s_cbranch_scc0 .LBB283_2
; %bb.1:
	v_lshlrev_b32_e32 v6, 3, v0
	s_bfe_i32 s0, s3, 0x80000
	s_ashr_i32 s10, s1, 31
	s_add_u32 s8, s6, s1
	s_addc_u32 s9, s7, s10
	s_clause 0x1
	global_load_b64 v[2:3], v6, s[8:9]
	global_load_b64 v[4:5], v6, s[8:9] offset:2048
	s_add_u32 s8, s4, s1
	s_addc_u32 s9, s5, s10
	s_waitcnt vmcnt(1)
	v_lshrrev_b32_e32 v8, 8, v2
	v_lshrrev_b32_e32 v9, 16, v2
	;; [unrolled: 1-line block ×3, first 2 shown]
	s_waitcnt vmcnt(0)
	v_lshrrev_b32_e32 v14, 8, v4
	v_lshrrev_b32_e32 v15, 16, v4
	;; [unrolled: 1-line block ×3, first 2 shown]
	v_bfe_i32 v7, v2, 0, 8
	v_lshrrev_b32_e32 v2, 24, v2
	v_bfe_i32 v10, v3, 0, 8
	v_lshrrev_b32_e32 v11, 8, v3
	v_lshrrev_b32_e32 v3, 24, v3
	v_bfe_i32 v8, v8, 0, 8
	v_bfe_i32 v9, v9, 0, 8
	;; [unrolled: 1-line block ×4, first 2 shown]
	v_lshrrev_b32_e32 v4, 24, v4
	v_bfe_i32 v16, v5, 0, 8
	v_lshrrev_b32_e32 v17, 8, v5
	v_lshrrev_b32_e32 v5, 24, v5
	v_bfe_i32 v14, v14, 0, 8
	v_bfe_i32 v15, v15, 0, 8
	;; [unrolled: 1-line block ×6, first 2 shown]
	v_max_i16 v8, v8, v1
	v_max_i16 v9, v9, v1
	;; [unrolled: 1-line block ×3, first 2 shown]
	v_bfe_i32 v4, v4, 0, 8
	v_bfe_i32 v17, v17, 0, 8
	;; [unrolled: 1-line block ×3, first 2 shown]
	v_max_i16 v14, v14, v1
	v_max_i16 v15, v15, v1
	;; [unrolled: 1-line block ×6, first 2 shown]
	v_min_i16 v8, v8, s0
	v_min_i16 v9, v9, s0
	;; [unrolled: 1-line block ×3, first 2 shown]
	v_max_i16 v4, v4, v1
	v_max_i16 v17, v17, v1
	;; [unrolled: 1-line block ×3, first 2 shown]
	v_min_i16 v14, v14, s0
	v_min_i16 v15, v15, s0
	;; [unrolled: 1-line block ×3, first 2 shown]
	v_max_i16 v7, v7, v1
	v_max_i16 v10, v10, v1
	v_min_i16 v2, v2, s0
	v_min_i16 v11, v11, s0
	;; [unrolled: 1-line block ×3, first 2 shown]
	v_and_b32_e32 v12, 0xff, v12
	v_and_b32_e32 v9, 0xff, v9
	;; [unrolled: 1-line block ×3, first 2 shown]
	v_max_i16 v13, v13, v1
	v_max_i16 v16, v16, v1
	v_min_i16 v4, v4, s0
	v_min_i16 v17, v17, s0
	;; [unrolled: 1-line block ×3, first 2 shown]
	v_and_b32_e32 v18, 0xff, v18
	v_and_b32_e32 v15, 0xff, v15
	;; [unrolled: 1-line block ×3, first 2 shown]
	v_min_i16 v7, v7, s0
	v_min_i16 v10, v10, s0
	v_lshlrev_b32_e32 v3, 24, v3
	v_and_b32_e32 v11, 0xff, v11
	v_lshlrev_b32_e32 v2, 24, v2
	v_lshlrev_b32_e32 v12, 16, v12
	;; [unrolled: 1-line block ×4, first 2 shown]
	v_min_i16 v13, v13, s0
	v_min_i16 v16, v16, s0
	v_lshlrev_b32_e32 v5, 24, v5
	v_and_b32_e32 v17, 0xff, v17
	v_lshlrev_b32_e32 v4, 24, v4
	v_lshlrev_b32_e32 v18, 16, v18
	v_lshlrev_b32_e32 v15, 16, v15
	v_lshlrev_b32_e32 v14, 8, v14
	v_and_b32_e32 v10, 0xff, v10
	v_and_b32_e32 v7, 0xff, v7
	v_lshlrev_b32_e32 v11, 8, v11
	v_or_b32_e32 v3, v3, v12
	v_or3_b32 v2, v2, v9, v8
	v_and_b32_e32 v16, 0xff, v16
	v_and_b32_e32 v13, 0xff, v13
	v_lshlrev_b32_e32 v17, 8, v17
	v_or_b32_e32 v5, v5, v18
	v_or3_b32 v4, v4, v15, v14
	v_or3_b32 v3, v3, v11, v10
	v_or_b32_e32 v2, v2, v7
	s_mov_b32 s0, 0
	v_or3_b32 v5, v5, v17, v16
	v_or_b32_e32 v4, v4, v13
	s_clause 0x1
	global_store_b64 v6, v[2:3], s[8:9]
	global_store_b64 v6, v[4:5], s[8:9] offset:2048
.LBB283_2:
	s_and_not1_b32 vcc_lo, exec_lo, s0
	s_cbranch_vccnz .LBB283_52
; %bb.3:
	v_cmp_gt_i32_e32 vcc_lo, s2, v0
	v_dual_mov_b32 v5, 0 :: v_dual_mov_b32 v6, 0
	v_or_b32_e32 v2, s1, v0
	v_or_b32_e32 v3, 0x100, v0
	v_mov_b32_e32 v11, v0
	s_and_saveexec_b32 s0, vcc_lo
	s_cbranch_execz .LBB283_5
; %bb.4:
	global_load_u8 v6, v2, s[6:7]
	v_or_b32_e32 v11, 0x100, v0
.LBB283_5:
	s_or_b32 exec_lo, exec_lo, s0
	s_delay_alu instid0(SALU_CYCLE_1) | instskip(NEXT) | instid1(VALU_DEP_1)
	s_mov_b32 s8, exec_lo
	v_cmpx_gt_i32_e64 s2, v11
	s_cbranch_execz .LBB283_7
; %bb.6:
	v_add_nc_u32_e32 v4, s1, v11
	v_add_nc_u32_e32 v11, 0x100, v11
	global_load_u8 v5, v4, s[6:7]
.LBB283_7:
	s_or_b32 exec_lo, exec_lo, s8
	v_mov_b32_e32 v4, 0
	v_mov_b32_e32 v8, 0
	s_mov_b32 s8, exec_lo
	v_cmpx_gt_i32_e64 s2, v11
	s_cbranch_execz .LBB283_9
; %bb.8:
	v_add_nc_u32_e32 v7, s1, v11
	v_add_nc_u32_e32 v11, 0x100, v11
	global_load_u8 v8, v7, s[6:7]
.LBB283_9:
	s_or_b32 exec_lo, exec_lo, s8
	s_delay_alu instid0(SALU_CYCLE_1)
	s_mov_b32 s8, exec_lo
	v_cmpx_gt_i32_e64 s2, v11
	s_cbranch_execz .LBB283_11
; %bb.10:
	v_add_nc_u32_e32 v4, s1, v11
	v_add_nc_u32_e32 v11, 0x100, v11
	global_load_u8 v4, v4, s[6:7]
.LBB283_11:
	s_or_b32 exec_lo, exec_lo, s8
	v_mov_b32_e32 v14, 0
	v_mov_b32_e32 v16, 0
	s_mov_b32 s8, exec_lo
	v_cmpx_gt_i32_e64 s2, v11
	s_cbranch_execz .LBB283_13
; %bb.12:
	v_add_nc_u32_e32 v7, s1, v11
	v_add_nc_u32_e32 v11, 0x100, v11
	global_load_u8 v16, v7, s[6:7]
.LBB283_13:
	s_or_b32 exec_lo, exec_lo, s8
	s_delay_alu instid0(SALU_CYCLE_1)
	s_mov_b32 s8, exec_lo
	v_cmpx_gt_i32_e64 s2, v11
	s_cbranch_execz .LBB283_15
; %bb.14:
	v_add_nc_u32_e32 v7, s1, v11
	v_add_nc_u32_e32 v11, 0x100, v11
	global_load_u8 v14, v7, s[6:7]
.LBB283_15:
	s_or_b32 exec_lo, exec_lo, s8
	v_dual_mov_b32 v12, 0 :: v_dual_mov_b32 v15, 0
	s_mov_b32 s8, exec_lo
	v_cmpx_gt_i32_e64 s2, v11
	s_cbranch_execz .LBB283_17
; %bb.16:
	v_add_nc_u32_e32 v7, s1, v11
	v_add_nc_u32_e32 v11, 0x100, v11
	global_load_u8 v15, v7, s[6:7]
.LBB283_17:
	s_or_b32 exec_lo, exec_lo, s8
	s_delay_alu instid0(SALU_CYCLE_1)
	s_mov_b32 s8, exec_lo
	v_cmpx_gt_i32_e64 s2, v11
	s_cbranch_execz .LBB283_19
; %bb.18:
	v_add_nc_u32_e32 v7, s1, v11
	v_add_nc_u32_e32 v11, 0x100, v11
	global_load_u8 v12, v7, s[6:7]
.LBB283_19:
	s_or_b32 exec_lo, exec_lo, s8
	v_dual_mov_b32 v9, 0 :: v_dual_mov_b32 v10, 0
	s_mov_b32 s8, exec_lo
	v_cmpx_gt_i32_e64 s2, v11
	s_cbranch_execz .LBB283_21
; %bb.20:
	v_add_nc_u32_e32 v7, s1, v11
	v_add_nc_u32_e32 v11, 0x100, v11
	global_load_u8 v10, v7, s[6:7]
.LBB283_21:
	s_or_b32 exec_lo, exec_lo, s8
	s_delay_alu instid0(SALU_CYCLE_1)
	s_mov_b32 s8, exec_lo
	v_cmpx_gt_i32_e64 s2, v11
	s_cbranch_execz .LBB283_23
; %bb.22:
	v_add_nc_u32_e32 v7, s1, v11
	v_add_nc_u32_e32 v11, 0x100, v11
	global_load_u8 v9, v7, s[6:7]
.LBB283_23:
	s_or_b32 exec_lo, exec_lo, s8
	v_mov_b32_e32 v7, 0
	v_mov_b32_e32 v13, 0
	s_mov_b32 s8, exec_lo
	v_cmpx_gt_i32_e64 s2, v11
	s_cbranch_execz .LBB283_25
; %bb.24:
	v_add_nc_u32_e32 v13, s1, v11
	v_add_nc_u32_e32 v11, 0x100, v11
	global_load_u8 v13, v13, s[6:7]
.LBB283_25:
	s_or_b32 exec_lo, exec_lo, s8
	s_delay_alu instid0(SALU_CYCLE_1)
	s_mov_b32 s8, exec_lo
	v_cmpx_gt_i32_e64 s2, v11
	s_cbranch_execz .LBB283_27
; %bb.26:
	v_add_nc_u32_e32 v7, s1, v11
	v_add_nc_u32_e32 v11, 0x100, v11
	global_load_u8 v7, v7, s[6:7]
.LBB283_27:
	s_or_b32 exec_lo, exec_lo, s8
	v_mov_b32_e32 v18, 0
	v_mov_b32_e32 v20, 0
	;; [unrolled: 21-line block ×3, first 2 shown]
	s_mov_b32 s8, exec_lo
	v_cmpx_gt_i32_e64 s2, v11
	s_cbranch_execz .LBB283_33
; %bb.32:
	v_add_nc_u32_e32 v19, s1, v11
	v_add_nc_u32_e32 v11, 0x100, v11
	global_load_u8 v19, v19, s[6:7]
.LBB283_33:
	s_or_b32 exec_lo, exec_lo, s8
	s_delay_alu instid0(SALU_CYCLE_1)
	s_mov_b32 s8, exec_lo
	v_cmpx_gt_i32_e64 s2, v11
	s_cbranch_execz .LBB283_35
; %bb.34:
	v_add_nc_u32_e32 v11, s1, v11
	global_load_u8 v17, v11, s[6:7]
.LBB283_35:
	s_or_b32 exec_lo, exec_lo, s8
	s_waitcnt vmcnt(0)
	v_bfe_i32 v11, v16, 0, 8
	v_bfe_i32 v6, v6, 0, 8
	v_bfe_i32 v5, v5, 0, 8
	s_bfe_i32 s3, s3, 0x80000
	v_bfe_i32 v8, v8, 0, 8
	v_max_i16 v11, v11, v1
	v_max_i16 v6, v6, v1
	;; [unrolled: 1-line block ×3, first 2 shown]
	v_bfe_i32 v14, v14, 0, 8
	v_or_b32_e32 v16, 0x400, v0
	v_min_i16 v11, v11, s3
	v_min_i16 v6, v6, s3
	;; [unrolled: 1-line block ×3, first 2 shown]
	v_max_i16 v14, v14, v1
	v_max_i16 v8, v8, v1
	v_perm_b32 v11, v11, 0, 0x3020104
	v_and_b32_e32 v6, 0xff, v6
	v_lshlrev_b16 v5, 8, v5
	v_cmp_gt_i32_e64 s0, s2, v16
	v_min_i16 v14, v14, s3
	v_min_i16 v8, v8, s3
	v_or_b32_e32 v16, 0x200, v0
	v_or_b32_e32 v5, v6, v5
	v_cndmask_b32_e64 v11, 0, v11, s0
	v_lshlrev_b16 v14, 8, v14
	v_and_b32_e32 v8, 0xff, v8
	v_and_b32_e32 v6, 0xffff, v6
	v_and_b32_e32 v5, 0xffff, v5
	v_and_b32_e32 v21, 0xff, v11
	v_cmp_gt_i32_e64 s0, s2, v3
	v_bfe_i32 v15, v15, 0, 8
	v_lshlrev_b32_e32 v8, 16, v8
	v_bfe_i32 v10, v10, 0, 8
	v_or_b32_e32 v14, v21, v14
	v_cndmask_b32_e64 v5, v6, v5, s0
	v_cmp_gt_i32_e64 s0, s2, v16
	v_bfe_i32 v9, v9, 0, 8
	v_max_i16 v10, v10, v1
	v_and_b32_e32 v6, 0xffff, v14
	v_max_i16 v14, v15, v1
	v_or_b32_e32 v15, 0x500, v0
	v_or_b32_e32 v8, v5, v8
	v_max_i16 v9, v9, v1
	v_and_or_b32 v6, 0xffff0000, v11, v6
	v_min_i16 v14, v14, s3
	v_min_i16 v10, v10, s3
	v_cndmask_b32_e64 v5, v5, v8, s0
	v_cmp_gt_i32_e64 s0, s2, v15
	v_or_b32_e32 v8, 0x600, v0
	v_bfe_i32 v15, v20, 0, 8
	v_min_i16 v9, v9, s3
	v_bfe_i32 v13, v13, 0, 8
	v_cndmask_b32_e64 v6, v11, v6, s0
	v_cmp_gt_i32_e64 s0, s2, v8
	v_and_b32_e32 v10, 0xff, v10
	v_lshlrev_b16 v9, 8, v9
	v_max_i16 v13, v13, v1
	v_perm_b32 v14, v6, v14, 0x7000504
	v_bfe_i32 v4, v4, 0, 8
	v_bfe_i32 v16, v19, 0, 8
	v_or_b32_e32 v9, v10, v9
	v_lshrrev_b32_e32 v11, 16, v5
	v_cndmask_b32_e64 v8, v6, v14, s0
	v_max_i16 v6, v15, v1
	v_bfe_i32 v14, v18, 0, 8
	v_or_b32_e32 v15, 0xc00, v0
	v_and_b32_e32 v9, 0xffff, v9
	v_or_b32_e32 v18, 0xd00, v0
	v_min_i16 v6, v6, s3
	v_max_i16 v14, v14, v1
	v_cmp_gt_i32_e64 s0, s2, v15
	v_max_i16 v4, v4, v1
	v_max_i16 v16, v16, v1
	v_perm_b32 v6, v6, 0, 0x3020104
	v_min_i16 v14, v14, s3
	v_bfe_i32 v12, v12, 0, 8
	v_min_i16 v4, v4, s3
	v_and_b32_e32 v11, 0xff, v11
	v_cndmask_b32_e64 v6, 0, v6, s0
	v_lshlrev_b16 v14, 8, v14
	v_max_i16 v12, v12, v1
	v_lshlrev_b16 v4, 8, v4
	v_bfe_i32 v7, v7, 0, 8
	v_and_b32_e32 v15, 0xff, v6
	s_delay_alu instid0(VALU_DEP_4) | instskip(NEXT) | instid1(VALU_DEP_4)
	v_min_i16 v12, v12, s3
	v_or_b32_e32 v4, v11, v4
	v_lshrrev_b32_e32 v11, 16, v8
	s_delay_alu instid0(VALU_DEP_4)
	v_or_b32_e32 v14, v15, v14
	v_and_b32_e32 v15, 0xffff, v10
	v_min_i16 v10, v13, s3
	v_max_i16 v7, v7, v1
	v_and_b32_e32 v11, 0xff, v11
	v_and_b32_e32 v13, 0xffff, v14
	v_or_b32_e32 v14, 0x900, v0
	v_and_b32_e32 v10, 0xff, v10
	v_lshlrev_b32_e32 v4, 16, v4
	v_min_i16 v7, v7, s3
	v_and_or_b32 v13, 0xffff0000, v6, v13
	v_cmp_gt_i32_e64 s0, s2, v14
	v_lshlrev_b32_e32 v10, 16, v10
	v_or_b32_e32 v14, 0xa00, v0
	v_lshlrev_b16 v7, 8, v7
	v_and_or_b32 v4, 0xffff, v5, v4
	v_cndmask_b32_e64 v9, v15, v9, s0
	v_cmp_gt_i32_e64 s0, s2, v18
	v_or_b32_e32 v15, 0xe00, v0
	s_delay_alu instid0(VALU_DEP_3) | instskip(NEXT) | instid1(VALU_DEP_3)
	v_or_b32_e32 v10, v9, v10
	v_cndmask_b32_e64 v6, v6, v13, s0
	v_min_i16 v13, v16, s3
	v_cmp_gt_i32_e64 s0, s2, v14
	v_bfe_i32 v16, v17, 0, 8
	s_delay_alu instid0(VALU_DEP_3) | instskip(NEXT) | instid1(VALU_DEP_3)
	v_perm_b32 v13, v6, v13, 0x7000504
	v_cndmask_b32_e64 v9, v9, v10, s0
	v_cmp_gt_i32_e64 s0, s2, v15
	s_delay_alu instid0(VALU_DEP_4) | instskip(NEXT) | instid1(VALU_DEP_2)
	v_max_i16 v1, v16, v1
	v_cndmask_b32_e64 v10, v6, v13, s0
	v_lshlrev_b16 v6, 8, v12
	v_lshrrev_b32_e32 v12, 16, v9
	s_delay_alu instid0(VALU_DEP_4) | instskip(NEXT) | instid1(VALU_DEP_4)
	v_min_i16 v1, v1, s3
	v_lshrrev_b32_e32 v13, 16, v10
	s_delay_alu instid0(VALU_DEP_4) | instskip(NEXT) | instid1(VALU_DEP_4)
	v_or_b32_e32 v6, v11, v6
	v_and_b32_e32 v11, 0xff, v12
	s_delay_alu instid0(VALU_DEP_4) | instskip(NEXT) | instid1(VALU_DEP_4)
	v_lshlrev_b16 v1, 8, v1
	v_and_b32_e32 v12, 0xff, v13
	v_or_b32_e32 v13, 0x300, v0
	s_delay_alu instid0(VALU_DEP_4) | instskip(SKIP_1) | instid1(VALU_DEP_4)
	v_or_b32_e32 v7, v11, v7
	v_lshlrev_b32_e32 v11, 16, v6
	v_or_b32_e32 v1, v12, v1
	s_delay_alu instid0(VALU_DEP_4) | instskip(SKIP_1) | instid1(VALU_DEP_3)
	v_cmp_gt_i32_e64 s0, s2, v13
	v_or_b32_e32 v12, 0xf00, v0
	v_lshlrev_b32_e32 v1, 16, v1
	s_delay_alu instid0(VALU_DEP_3)
	v_cndmask_b32_e64 v6, v5, v4, s0
	v_or_b32_e32 v5, 0x700, v0
	v_lshlrev_b32_e32 v4, 16, v7
	v_and_or_b32 v7, 0xffff, v8, v11
	v_or_b32_e32 v11, 0xb00, v0
	v_and_or_b32 v1, 0xffff, v10, v1
	v_cmp_gt_i32_e64 s0, s2, v5
	v_and_or_b32 v4, 0xffff, v9, v4
	s_delay_alu instid0(VALU_DEP_2) | instskip(SKIP_1) | instid1(VALU_DEP_1)
	v_cndmask_b32_e64 v5, v8, v7, s0
	v_cmp_gt_i32_e64 s0, s2, v11
	v_cndmask_b32_e64 v4, v9, v4, s0
	v_cmp_gt_i32_e64 s0, s2, v12
	s_delay_alu instid0(VALU_DEP_1)
	v_cndmask_b32_e64 v1, v10, v1, s0
	s_and_saveexec_b32 s0, vcc_lo
	s_cbranch_execnz .LBB283_53
; %bb.36:
	s_or_b32 exec_lo, exec_lo, s0
	s_delay_alu instid0(SALU_CYCLE_1)
	s_mov_b32 s0, exec_lo
	v_cmpx_gt_i32_e64 s2, v0
	s_cbranch_execnz .LBB283_54
.LBB283_37:
	s_or_b32 exec_lo, exec_lo, s0
	s_delay_alu instid0(SALU_CYCLE_1)
	s_mov_b32 s0, exec_lo
	v_cmpx_gt_i32_e64 s2, v0
	s_cbranch_execnz .LBB283_55
.LBB283_38:
	s_or_b32 exec_lo, exec_lo, s0
	s_delay_alu instid0(SALU_CYCLE_1)
	s_mov_b32 s0, exec_lo
	v_cmpx_gt_i32_e64 s2, v0
	s_cbranch_execnz .LBB283_56
.LBB283_39:
	s_or_b32 exec_lo, exec_lo, s0
	s_delay_alu instid0(SALU_CYCLE_1)
	s_mov_b32 s0, exec_lo
	v_cmpx_gt_i32_e64 s2, v0
	s_cbranch_execnz .LBB283_57
.LBB283_40:
	s_or_b32 exec_lo, exec_lo, s0
	s_delay_alu instid0(SALU_CYCLE_1)
	s_mov_b32 s0, exec_lo
	v_cmpx_gt_i32_e64 s2, v0
	s_cbranch_execnz .LBB283_58
.LBB283_41:
	s_or_b32 exec_lo, exec_lo, s0
	s_delay_alu instid0(SALU_CYCLE_1)
	s_mov_b32 s0, exec_lo
	v_cmpx_gt_i32_e64 s2, v0
	s_cbranch_execnz .LBB283_59
.LBB283_42:
	s_or_b32 exec_lo, exec_lo, s0
	s_delay_alu instid0(SALU_CYCLE_1)
	s_mov_b32 s0, exec_lo
	v_cmpx_gt_i32_e64 s2, v0
	s_cbranch_execnz .LBB283_60
.LBB283_43:
	s_or_b32 exec_lo, exec_lo, s0
	s_delay_alu instid0(SALU_CYCLE_1)
	s_mov_b32 s0, exec_lo
	v_cmpx_gt_i32_e64 s2, v0
	s_cbranch_execnz .LBB283_61
.LBB283_44:
	s_or_b32 exec_lo, exec_lo, s0
	s_delay_alu instid0(SALU_CYCLE_1)
	s_mov_b32 s0, exec_lo
	v_cmpx_gt_i32_e64 s2, v0
	s_cbranch_execnz .LBB283_62
.LBB283_45:
	s_or_b32 exec_lo, exec_lo, s0
	s_delay_alu instid0(SALU_CYCLE_1)
	s_mov_b32 s0, exec_lo
	v_cmpx_gt_i32_e64 s2, v0
	s_cbranch_execnz .LBB283_63
.LBB283_46:
	s_or_b32 exec_lo, exec_lo, s0
	s_delay_alu instid0(SALU_CYCLE_1)
	s_mov_b32 s0, exec_lo
	v_cmpx_gt_i32_e64 s2, v0
	s_cbranch_execnz .LBB283_64
.LBB283_47:
	s_or_b32 exec_lo, exec_lo, s0
	s_delay_alu instid0(SALU_CYCLE_1)
	s_mov_b32 s0, exec_lo
	v_cmpx_gt_i32_e64 s2, v0
	s_cbranch_execnz .LBB283_65
.LBB283_48:
	s_or_b32 exec_lo, exec_lo, s0
	s_delay_alu instid0(SALU_CYCLE_1)
	s_mov_b32 s0, exec_lo
	v_cmpx_gt_i32_e64 s2, v0
	s_cbranch_execnz .LBB283_66
.LBB283_49:
	s_or_b32 exec_lo, exec_lo, s0
	s_delay_alu instid0(SALU_CYCLE_1)
	s_mov_b32 s0, exec_lo
	v_cmpx_gt_i32_e64 s2, v0
	s_cbranch_execnz .LBB283_67
.LBB283_50:
	s_or_b32 exec_lo, exec_lo, s0
	s_delay_alu instid0(SALU_CYCLE_1)
	s_mov_b32 s0, exec_lo
	v_cmpx_gt_i32_e64 s2, v0
	s_cbranch_execz .LBB283_52
.LBB283_51:
	v_add_nc_u32_e32 v0, s1, v0
	v_lshrrev_b32_e32 v1, 24, v1
	global_store_b8 v0, v1, s[4:5]
.LBB283_52:
	s_nop 0
	s_sendmsg sendmsg(MSG_DEALLOC_VGPRS)
	s_endpgm
.LBB283_53:
	v_mov_b32_e32 v0, v3
	global_store_b8 v2, v6, s[4:5]
	s_or_b32 exec_lo, exec_lo, s0
	s_delay_alu instid0(SALU_CYCLE_1)
	s_mov_b32 s0, exec_lo
	v_cmpx_gt_i32_e64 s2, v0
	s_cbranch_execz .LBB283_37
.LBB283_54:
	v_add_nc_u32_e32 v2, s1, v0
	v_lshrrev_b32_e32 v3, 8, v6
	v_add_nc_u32_e32 v0, 0x100, v0
	global_store_b8 v2, v3, s[4:5]
	s_or_b32 exec_lo, exec_lo, s0
	s_delay_alu instid0(SALU_CYCLE_1)
	s_mov_b32 s0, exec_lo
	v_cmpx_gt_i32_e64 s2, v0
	s_cbranch_execz .LBB283_38
.LBB283_55:
	v_add_nc_u32_e32 v2, s1, v0
	v_add_nc_u32_e32 v0, 0x100, v0
	global_store_d16_hi_b8 v2, v6, s[4:5]
	s_or_b32 exec_lo, exec_lo, s0
	s_delay_alu instid0(SALU_CYCLE_1)
	s_mov_b32 s0, exec_lo
	v_cmpx_gt_i32_e64 s2, v0
	s_cbranch_execz .LBB283_39
.LBB283_56:
	v_add_nc_u32_e32 v2, s1, v0
	v_lshrrev_b32_e32 v3, 24, v6
	v_add_nc_u32_e32 v0, 0x100, v0
	global_store_b8 v2, v3, s[4:5]
	s_or_b32 exec_lo, exec_lo, s0
	s_delay_alu instid0(SALU_CYCLE_1)
	s_mov_b32 s0, exec_lo
	v_cmpx_gt_i32_e64 s2, v0
	s_cbranch_execz .LBB283_40
.LBB283_57:
	v_add_nc_u32_e32 v2, s1, v0
	v_add_nc_u32_e32 v0, 0x100, v0
	global_store_b8 v2, v5, s[4:5]
	s_or_b32 exec_lo, exec_lo, s0
	s_delay_alu instid0(SALU_CYCLE_1)
	s_mov_b32 s0, exec_lo
	v_cmpx_gt_i32_e64 s2, v0
	s_cbranch_execz .LBB283_41
.LBB283_58:
	v_add_nc_u32_e32 v2, s1, v0
	v_lshrrev_b32_e32 v3, 8, v5
	v_add_nc_u32_e32 v0, 0x100, v0
	global_store_b8 v2, v3, s[4:5]
	s_or_b32 exec_lo, exec_lo, s0
	s_delay_alu instid0(SALU_CYCLE_1)
	s_mov_b32 s0, exec_lo
	v_cmpx_gt_i32_e64 s2, v0
	s_cbranch_execz .LBB283_42
.LBB283_59:
	v_add_nc_u32_e32 v2, s1, v0
	v_add_nc_u32_e32 v0, 0x100, v0
	global_store_d16_hi_b8 v2, v5, s[4:5]
	s_or_b32 exec_lo, exec_lo, s0
	s_delay_alu instid0(SALU_CYCLE_1)
	s_mov_b32 s0, exec_lo
	v_cmpx_gt_i32_e64 s2, v0
	s_cbranch_execz .LBB283_43
.LBB283_60:
	v_add_nc_u32_e32 v2, s1, v0
	v_lshrrev_b32_e32 v3, 24, v5
	v_add_nc_u32_e32 v0, 0x100, v0
	global_store_b8 v2, v3, s[4:5]
	s_or_b32 exec_lo, exec_lo, s0
	s_delay_alu instid0(SALU_CYCLE_1)
	s_mov_b32 s0, exec_lo
	v_cmpx_gt_i32_e64 s2, v0
	s_cbranch_execz .LBB283_44
.LBB283_61:
	v_add_nc_u32_e32 v2, s1, v0
	v_add_nc_u32_e32 v0, 0x100, v0
	global_store_b8 v2, v4, s[4:5]
	s_or_b32 exec_lo, exec_lo, s0
	s_delay_alu instid0(SALU_CYCLE_1)
	s_mov_b32 s0, exec_lo
	v_cmpx_gt_i32_e64 s2, v0
	s_cbranch_execz .LBB283_45
.LBB283_62:
	v_add_nc_u32_e32 v2, s1, v0
	v_lshrrev_b32_e32 v3, 8, v4
	v_add_nc_u32_e32 v0, 0x100, v0
	global_store_b8 v2, v3, s[4:5]
	s_or_b32 exec_lo, exec_lo, s0
	s_delay_alu instid0(SALU_CYCLE_1)
	s_mov_b32 s0, exec_lo
	v_cmpx_gt_i32_e64 s2, v0
	s_cbranch_execz .LBB283_46
.LBB283_63:
	v_add_nc_u32_e32 v2, s1, v0
	v_add_nc_u32_e32 v0, 0x100, v0
	global_store_d16_hi_b8 v2, v4, s[4:5]
	s_or_b32 exec_lo, exec_lo, s0
	s_delay_alu instid0(SALU_CYCLE_1)
	s_mov_b32 s0, exec_lo
	v_cmpx_gt_i32_e64 s2, v0
	s_cbranch_execz .LBB283_47
.LBB283_64:
	v_add_nc_u32_e32 v2, s1, v0
	v_lshrrev_b32_e32 v3, 24, v4
	v_add_nc_u32_e32 v0, 0x100, v0
	global_store_b8 v2, v3, s[4:5]
	s_or_b32 exec_lo, exec_lo, s0
	s_delay_alu instid0(SALU_CYCLE_1)
	s_mov_b32 s0, exec_lo
	v_cmpx_gt_i32_e64 s2, v0
	s_cbranch_execz .LBB283_48
.LBB283_65:
	v_add_nc_u32_e32 v2, s1, v0
	v_add_nc_u32_e32 v0, 0x100, v0
	global_store_b8 v2, v1, s[4:5]
	s_or_b32 exec_lo, exec_lo, s0
	s_delay_alu instid0(SALU_CYCLE_1)
	s_mov_b32 s0, exec_lo
	v_cmpx_gt_i32_e64 s2, v0
	s_cbranch_execz .LBB283_49
.LBB283_66:
	v_add_nc_u32_e32 v2, s1, v0
	v_lshrrev_b32_e32 v3, 8, v1
	v_add_nc_u32_e32 v0, 0x100, v0
	global_store_b8 v2, v3, s[4:5]
	s_or_b32 exec_lo, exec_lo, s0
	s_delay_alu instid0(SALU_CYCLE_1)
	s_mov_b32 s0, exec_lo
	v_cmpx_gt_i32_e64 s2, v0
	s_cbranch_execz .LBB283_50
.LBB283_67:
	v_add_nc_u32_e32 v2, s1, v0
	v_add_nc_u32_e32 v0, 0x100, v0
	global_store_d16_hi_b8 v2, v1, s[4:5]
	s_or_b32 exec_lo, exec_lo, s0
	s_delay_alu instid0(SALU_CYCLE_1)
	s_mov_b32 s0, exec_lo
	v_cmpx_gt_i32_e64 s2, v0
	s_cbranch_execnz .LBB283_51
	s_branch .LBB283_52
	.section	.rodata,"a",@progbits
	.p2align	6, 0x0
	.amdhsa_kernel _ZN2at6native29vectorized_elementwise_kernelILi8EZZZNS0_17clamp_kernel_cudaERNS_18TensorIteratorBaseERKN3c106ScalarES7_ENKUlvE_clEvENKUlvE0_clEvEUlaE_St5arrayIPcLm2EEEEviT0_T1_
		.amdhsa_group_segment_fixed_size 0
		.amdhsa_private_segment_fixed_size 0
		.amdhsa_kernarg_size 24
		.amdhsa_user_sgpr_count 15
		.amdhsa_user_sgpr_dispatch_ptr 0
		.amdhsa_user_sgpr_queue_ptr 0
		.amdhsa_user_sgpr_kernarg_segment_ptr 1
		.amdhsa_user_sgpr_dispatch_id 0
		.amdhsa_user_sgpr_private_segment_size 0
		.amdhsa_wavefront_size32 1
		.amdhsa_uses_dynamic_stack 0
		.amdhsa_enable_private_segment 0
		.amdhsa_system_sgpr_workgroup_id_x 1
		.amdhsa_system_sgpr_workgroup_id_y 0
		.amdhsa_system_sgpr_workgroup_id_z 0
		.amdhsa_system_sgpr_workgroup_info 0
		.amdhsa_system_vgpr_workitem_id 0
		.amdhsa_next_free_vgpr 22
		.amdhsa_next_free_sgpr 16
		.amdhsa_reserve_vcc 1
		.amdhsa_float_round_mode_32 0
		.amdhsa_float_round_mode_16_64 0
		.amdhsa_float_denorm_mode_32 3
		.amdhsa_float_denorm_mode_16_64 3
		.amdhsa_dx10_clamp 1
		.amdhsa_ieee_mode 1
		.amdhsa_fp16_overflow 0
		.amdhsa_workgroup_processor_mode 1
		.amdhsa_memory_ordered 1
		.amdhsa_forward_progress 0
		.amdhsa_shared_vgpr_count 0
		.amdhsa_exception_fp_ieee_invalid_op 0
		.amdhsa_exception_fp_denorm_src 0
		.amdhsa_exception_fp_ieee_div_zero 0
		.amdhsa_exception_fp_ieee_overflow 0
		.amdhsa_exception_fp_ieee_underflow 0
		.amdhsa_exception_fp_ieee_inexact 0
		.amdhsa_exception_int_div_zero 0
	.end_amdhsa_kernel
	.section	.text._ZN2at6native29vectorized_elementwise_kernelILi8EZZZNS0_17clamp_kernel_cudaERNS_18TensorIteratorBaseERKN3c106ScalarES7_ENKUlvE_clEvENKUlvE0_clEvEUlaE_St5arrayIPcLm2EEEEviT0_T1_,"axG",@progbits,_ZN2at6native29vectorized_elementwise_kernelILi8EZZZNS0_17clamp_kernel_cudaERNS_18TensorIteratorBaseERKN3c106ScalarES7_ENKUlvE_clEvENKUlvE0_clEvEUlaE_St5arrayIPcLm2EEEEviT0_T1_,comdat
.Lfunc_end283:
	.size	_ZN2at6native29vectorized_elementwise_kernelILi8EZZZNS0_17clamp_kernel_cudaERNS_18TensorIteratorBaseERKN3c106ScalarES7_ENKUlvE_clEvENKUlvE0_clEvEUlaE_St5arrayIPcLm2EEEEviT0_T1_, .Lfunc_end283-_ZN2at6native29vectorized_elementwise_kernelILi8EZZZNS0_17clamp_kernel_cudaERNS_18TensorIteratorBaseERKN3c106ScalarES7_ENKUlvE_clEvENKUlvE0_clEvEUlaE_St5arrayIPcLm2EEEEviT0_T1_
                                        ; -- End function
	.section	.AMDGPU.csdata,"",@progbits
; Kernel info:
; codeLenInByte = 3788
; NumSgprs: 18
; NumVgprs: 22
; ScratchSize: 0
; MemoryBound: 0
; FloatMode: 240
; IeeeMode: 1
; LDSByteSize: 0 bytes/workgroup (compile time only)
; SGPRBlocks: 2
; VGPRBlocks: 2
; NumSGPRsForWavesPerEU: 18
; NumVGPRsForWavesPerEU: 22
; Occupancy: 16
; WaveLimiterHint : 1
; COMPUTE_PGM_RSRC2:SCRATCH_EN: 0
; COMPUTE_PGM_RSRC2:USER_SGPR: 15
; COMPUTE_PGM_RSRC2:TRAP_HANDLER: 0
; COMPUTE_PGM_RSRC2:TGID_X_EN: 1
; COMPUTE_PGM_RSRC2:TGID_Y_EN: 0
; COMPUTE_PGM_RSRC2:TGID_Z_EN: 0
; COMPUTE_PGM_RSRC2:TIDIG_COMP_CNT: 0
	.section	.text._ZN2at6native29vectorized_elementwise_kernelILi4EZZZNS0_17clamp_kernel_cudaERNS_18TensorIteratorBaseERKN3c106ScalarES7_ENKUlvE_clEvENKUlvE0_clEvEUlaE_St5arrayIPcLm2EEEEviT0_T1_,"axG",@progbits,_ZN2at6native29vectorized_elementwise_kernelILi4EZZZNS0_17clamp_kernel_cudaERNS_18TensorIteratorBaseERKN3c106ScalarES7_ENKUlvE_clEvENKUlvE0_clEvEUlaE_St5arrayIPcLm2EEEEviT0_T1_,comdat
	.globl	_ZN2at6native29vectorized_elementwise_kernelILi4EZZZNS0_17clamp_kernel_cudaERNS_18TensorIteratorBaseERKN3c106ScalarES7_ENKUlvE_clEvENKUlvE0_clEvEUlaE_St5arrayIPcLm2EEEEviT0_T1_ ; -- Begin function _ZN2at6native29vectorized_elementwise_kernelILi4EZZZNS0_17clamp_kernel_cudaERNS_18TensorIteratorBaseERKN3c106ScalarES7_ENKUlvE_clEvENKUlvE0_clEvEUlaE_St5arrayIPcLm2EEEEviT0_T1_
	.p2align	8
	.type	_ZN2at6native29vectorized_elementwise_kernelILi4EZZZNS0_17clamp_kernel_cudaERNS_18TensorIteratorBaseERKN3c106ScalarES7_ENKUlvE_clEvENKUlvE0_clEvEUlaE_St5arrayIPcLm2EEEEviT0_T1_,@function
_ZN2at6native29vectorized_elementwise_kernelILi4EZZZNS0_17clamp_kernel_cudaERNS_18TensorIteratorBaseERKN3c106ScalarES7_ENKUlvE_clEvENKUlvE0_clEvEUlaE_St5arrayIPcLm2EEEEviT0_T1_: ; @_ZN2at6native29vectorized_elementwise_kernelILi4EZZZNS0_17clamp_kernel_cudaERNS_18TensorIteratorBaseERKN3c106ScalarES7_ENKUlvE_clEvENKUlvE0_clEvEUlaE_St5arrayIPcLm2EEEEviT0_T1_
; %bb.0:
	v_mov_b32_e32 v1, 0
	s_clause 0x1
	s_load_b32 s3, s[0:1], 0x0
	s_load_b128 s[4:7], s[0:1], 0x8
	s_lshl_b32 s2, s15, 12
	s_mov_b32 s9, -1
	global_load_u16 v1, v1, s[0:1] offset:4
	s_waitcnt lgkmcnt(0)
	s_sub_i32 s3, s3, s2
	s_waitcnt vmcnt(0)
	v_readfirstlane_b32 s0, v1
	v_bfe_i32 v1, v1, 0, 8
	s_delay_alu instid0(VALU_DEP_2) | instskip(NEXT) | instid1(SALU_CYCLE_1)
	s_and_b32 s0, 0xffff, s0
	s_lshr_b32 s8, s0, 8
	s_cmpk_gt_i32 s3, 0xfff
	s_cbranch_scc0 .LBB284_2
; %bb.1:
	v_lshlrev_b32_e32 v2, 2, v0
	s_bfe_i32 s9, s8, 0x80000
	s_ashr_i32 s10, s2, 31
	s_add_u32 s0, s6, s2
	s_addc_u32 s1, s7, s10
	s_clause 0x3
	global_load_b32 v3, v2, s[0:1]
	global_load_b32 v4, v2, s[0:1] offset:1024
	global_load_b32 v5, v2, s[0:1] offset:2048
	;; [unrolled: 1-line block ×3, first 2 shown]
	s_add_u32 s0, s4, s2
	s_addc_u32 s1, s5, s10
	s_waitcnt vmcnt(3)
	v_lshrrev_b32_e32 v9, 16, v3
	s_waitcnt vmcnt(2)
	v_lshrrev_b32_e32 v12, 16, v4
	;; [unrolled: 2-line block ×4, first 2 shown]
	v_lshrrev_b32_e32 v8, 8, v3
	v_bfe_i32 v9, v9, 0, 8
	v_lshrrev_b32_e32 v11, 8, v4
	v_bfe_i32 v12, v12, 0, 8
	;; [unrolled: 2-line block ×4, first 2 shown]
	v_bfe_i32 v7, v3, 0, 8
	v_lshrrev_b32_e32 v3, 24, v3
	v_bfe_i32 v8, v8, 0, 8
	v_max_i16 v9, v9, v1
	v_bfe_i32 v10, v4, 0, 8
	v_lshrrev_b32_e32 v4, 24, v4
	v_bfe_i32 v11, v11, 0, 8
	v_max_i16 v12, v12, v1
	;; [unrolled: 4-line block ×4, first 2 shown]
	v_bfe_i32 v3, v3, 0, 8
	v_max_i16 v8, v8, v1
	v_min_i16 v9, v9, s9
	v_bfe_i32 v4, v4, 0, 8
	v_max_i16 v11, v11, v1
	v_min_i16 v12, v12, s9
	;; [unrolled: 3-line block ×4, first 2 shown]
	v_max_i16 v7, v7, v1
	v_max_i16 v3, v3, v1
	v_min_i16 v8, v8, s9
	v_and_b32_e32 v9, 0xff, v9
	v_max_i16 v10, v10, v1
	v_max_i16 v4, v4, v1
	v_min_i16 v11, v11, s9
	v_and_b32_e32 v12, 0xff, v12
	;; [unrolled: 4-line block ×4, first 2 shown]
	v_min_i16 v7, v7, s9
	v_min_i16 v3, v3, s9
	v_and_b32_e32 v8, 0xff, v8
	v_lshlrev_b32_e32 v9, 16, v9
	v_min_i16 v10, v10, s9
	v_min_i16 v4, v4, s9
	v_and_b32_e32 v11, 0xff, v11
	v_lshlrev_b32_e32 v12, 16, v12
	v_min_i16 v13, v13, s9
	v_min_i16 v5, v5, s9
	v_and_b32_e32 v14, 0xff, v14
	v_lshlrev_b32_e32 v15, 16, v15
	v_min_i16 v16, v16, s9
	v_min_i16 v6, v6, s9
	v_and_b32_e32 v17, 0xff, v17
	v_lshlrev_b32_e32 v18, 16, v18
	v_and_b32_e32 v7, 0xff, v7
	v_lshlrev_b32_e32 v8, 8, v8
	v_lshl_or_b32 v3, v3, 24, v9
	v_and_b32_e32 v10, 0xff, v10
	v_lshlrev_b32_e32 v11, 8, v11
	v_lshl_or_b32 v4, v4, 24, v12
	;; [unrolled: 3-line block ×4, first 2 shown]
	v_or3_b32 v3, v3, v8, v7
	v_or3_b32 v4, v4, v11, v10
	v_or3_b32 v5, v5, v14, v13
	s_mov_b32 s9, 0
	v_or3_b32 v6, v6, v17, v16
	s_clause 0x3
	global_store_b32 v2, v3, s[0:1]
	global_store_b32 v2, v4, s[0:1] offset:1024
	global_store_b32 v2, v5, s[0:1] offset:2048
	;; [unrolled: 1-line block ×3, first 2 shown]
.LBB284_2:
	s_and_not1_b32 vcc_lo, exec_lo, s9
	s_cbranch_vccnz .LBB284_52
; %bb.3:
	v_cmp_gt_i32_e32 vcc_lo, s3, v0
	v_dual_mov_b32 v5, 0 :: v_dual_mov_b32 v6, 0
	v_or_b32_e32 v2, s2, v0
	v_or_b32_e32 v3, 0x100, v0
	v_mov_b32_e32 v11, v0
	s_and_saveexec_b32 s0, vcc_lo
	s_cbranch_execz .LBB284_5
; %bb.4:
	global_load_u8 v6, v2, s[6:7]
	v_or_b32_e32 v11, 0x100, v0
.LBB284_5:
	s_or_b32 exec_lo, exec_lo, s0
	s_delay_alu instid0(SALU_CYCLE_1) | instskip(NEXT) | instid1(VALU_DEP_1)
	s_mov_b32 s1, exec_lo
	v_cmpx_gt_i32_e64 s3, v11
	s_cbranch_execz .LBB284_7
; %bb.6:
	v_add_nc_u32_e32 v4, s2, v11
	v_add_nc_u32_e32 v11, 0x100, v11
	global_load_u8 v5, v4, s[6:7]
.LBB284_7:
	s_or_b32 exec_lo, exec_lo, s1
	v_mov_b32_e32 v4, 0
	v_mov_b32_e32 v8, 0
	s_mov_b32 s1, exec_lo
	v_cmpx_gt_i32_e64 s3, v11
	s_cbranch_execz .LBB284_9
; %bb.8:
	v_add_nc_u32_e32 v7, s2, v11
	v_add_nc_u32_e32 v11, 0x100, v11
	global_load_u8 v8, v7, s[6:7]
.LBB284_9:
	s_or_b32 exec_lo, exec_lo, s1
	s_delay_alu instid0(SALU_CYCLE_1)
	s_mov_b32 s1, exec_lo
	v_cmpx_gt_i32_e64 s3, v11
	s_cbranch_execz .LBB284_11
; %bb.10:
	v_add_nc_u32_e32 v4, s2, v11
	v_add_nc_u32_e32 v11, 0x100, v11
	global_load_u8 v4, v4, s[6:7]
.LBB284_11:
	s_or_b32 exec_lo, exec_lo, s1
	v_mov_b32_e32 v14, 0
	v_mov_b32_e32 v16, 0
	s_mov_b32 s1, exec_lo
	v_cmpx_gt_i32_e64 s3, v11
	s_cbranch_execz .LBB284_13
; %bb.12:
	v_add_nc_u32_e32 v7, s2, v11
	v_add_nc_u32_e32 v11, 0x100, v11
	global_load_u8 v16, v7, s[6:7]
.LBB284_13:
	s_or_b32 exec_lo, exec_lo, s1
	s_delay_alu instid0(SALU_CYCLE_1)
	s_mov_b32 s1, exec_lo
	v_cmpx_gt_i32_e64 s3, v11
	s_cbranch_execz .LBB284_15
; %bb.14:
	v_add_nc_u32_e32 v7, s2, v11
	v_add_nc_u32_e32 v11, 0x100, v11
	global_load_u8 v14, v7, s[6:7]
.LBB284_15:
	s_or_b32 exec_lo, exec_lo, s1
	v_dual_mov_b32 v12, 0 :: v_dual_mov_b32 v15, 0
	s_mov_b32 s1, exec_lo
	v_cmpx_gt_i32_e64 s3, v11
	s_cbranch_execz .LBB284_17
; %bb.16:
	v_add_nc_u32_e32 v7, s2, v11
	v_add_nc_u32_e32 v11, 0x100, v11
	global_load_u8 v15, v7, s[6:7]
.LBB284_17:
	s_or_b32 exec_lo, exec_lo, s1
	s_delay_alu instid0(SALU_CYCLE_1)
	s_mov_b32 s1, exec_lo
	v_cmpx_gt_i32_e64 s3, v11
	s_cbranch_execz .LBB284_19
; %bb.18:
	v_add_nc_u32_e32 v7, s2, v11
	v_add_nc_u32_e32 v11, 0x100, v11
	global_load_u8 v12, v7, s[6:7]
.LBB284_19:
	s_or_b32 exec_lo, exec_lo, s1
	v_dual_mov_b32 v9, 0 :: v_dual_mov_b32 v10, 0
	s_mov_b32 s1, exec_lo
	v_cmpx_gt_i32_e64 s3, v11
	s_cbranch_execz .LBB284_21
; %bb.20:
	v_add_nc_u32_e32 v7, s2, v11
	v_add_nc_u32_e32 v11, 0x100, v11
	global_load_u8 v10, v7, s[6:7]
.LBB284_21:
	s_or_b32 exec_lo, exec_lo, s1
	s_delay_alu instid0(SALU_CYCLE_1)
	s_mov_b32 s1, exec_lo
	v_cmpx_gt_i32_e64 s3, v11
	s_cbranch_execz .LBB284_23
; %bb.22:
	v_add_nc_u32_e32 v7, s2, v11
	v_add_nc_u32_e32 v11, 0x100, v11
	global_load_u8 v9, v7, s[6:7]
.LBB284_23:
	s_or_b32 exec_lo, exec_lo, s1
	v_mov_b32_e32 v7, 0
	v_mov_b32_e32 v13, 0
	s_mov_b32 s1, exec_lo
	v_cmpx_gt_i32_e64 s3, v11
	s_cbranch_execz .LBB284_25
; %bb.24:
	v_add_nc_u32_e32 v13, s2, v11
	v_add_nc_u32_e32 v11, 0x100, v11
	global_load_u8 v13, v13, s[6:7]
.LBB284_25:
	s_or_b32 exec_lo, exec_lo, s1
	s_delay_alu instid0(SALU_CYCLE_1)
	s_mov_b32 s1, exec_lo
	v_cmpx_gt_i32_e64 s3, v11
	s_cbranch_execz .LBB284_27
; %bb.26:
	v_add_nc_u32_e32 v7, s2, v11
	v_add_nc_u32_e32 v11, 0x100, v11
	global_load_u8 v7, v7, s[6:7]
.LBB284_27:
	s_or_b32 exec_lo, exec_lo, s1
	v_mov_b32_e32 v18, 0
	v_mov_b32_e32 v20, 0
	s_mov_b32 s1, exec_lo
	v_cmpx_gt_i32_e64 s3, v11
	s_cbranch_execz .LBB284_29
; %bb.28:
	v_add_nc_u32_e32 v17, s2, v11
	v_add_nc_u32_e32 v11, 0x100, v11
	global_load_u8 v20, v17, s[6:7]
.LBB284_29:
	s_or_b32 exec_lo, exec_lo, s1
	s_delay_alu instid0(SALU_CYCLE_1)
	s_mov_b32 s1, exec_lo
	v_cmpx_gt_i32_e64 s3, v11
	s_cbranch_execz .LBB284_31
; %bb.30:
	v_add_nc_u32_e32 v17, s2, v11
	v_add_nc_u32_e32 v11, 0x100, v11
	global_load_u8 v18, v17, s[6:7]
.LBB284_31:
	s_or_b32 exec_lo, exec_lo, s1
	v_mov_b32_e32 v17, 0
	v_mov_b32_e32 v19, 0
	s_mov_b32 s1, exec_lo
	v_cmpx_gt_i32_e64 s3, v11
	s_cbranch_execz .LBB284_33
; %bb.32:
	v_add_nc_u32_e32 v19, s2, v11
	v_add_nc_u32_e32 v11, 0x100, v11
	global_load_u8 v19, v19, s[6:7]
.LBB284_33:
	s_or_b32 exec_lo, exec_lo, s1
	s_delay_alu instid0(SALU_CYCLE_1)
	s_mov_b32 s1, exec_lo
	v_cmpx_gt_i32_e64 s3, v11
	s_cbranch_execz .LBB284_35
; %bb.34:
	v_add_nc_u32_e32 v11, s2, v11
	global_load_u8 v17, v11, s[6:7]
.LBB284_35:
	s_or_b32 exec_lo, exec_lo, s1
	s_waitcnt vmcnt(0)
	v_bfe_i32 v11, v16, 0, 8
	v_bfe_i32 v6, v6, 0, 8
	;; [unrolled: 1-line block ×3, first 2 shown]
	s_bfe_i32 s1, s8, 0x80000
	v_bfe_i32 v8, v8, 0, 8
	v_max_i16 v11, v11, v1
	v_max_i16 v6, v6, v1
	;; [unrolled: 1-line block ×3, first 2 shown]
	v_bfe_i32 v14, v14, 0, 8
	v_or_b32_e32 v16, 0x400, v0
	v_min_i16 v11, v11, s1
	v_min_i16 v6, v6, s1
	v_min_i16 v5, v5, s1
	v_max_i16 v14, v14, v1
	v_max_i16 v8, v8, v1
	v_perm_b32 v11, v11, 0, 0x3020104
	v_and_b32_e32 v6, 0xff, v6
	v_lshlrev_b16 v5, 8, v5
	v_cmp_gt_i32_e64 s0, s3, v16
	v_min_i16 v14, v14, s1
	v_min_i16 v8, v8, s1
	v_or_b32_e32 v16, 0x200, v0
	v_or_b32_e32 v5, v6, v5
	v_cndmask_b32_e64 v11, 0, v11, s0
	v_lshlrev_b16 v14, 8, v14
	v_and_b32_e32 v8, 0xff, v8
	v_and_b32_e32 v6, 0xffff, v6
	v_and_b32_e32 v5, 0xffff, v5
	v_and_b32_e32 v21, 0xff, v11
	v_cmp_gt_i32_e64 s0, s3, v3
	v_bfe_i32 v15, v15, 0, 8
	v_lshlrev_b32_e32 v8, 16, v8
	v_bfe_i32 v10, v10, 0, 8
	v_or_b32_e32 v14, v21, v14
	v_cndmask_b32_e64 v5, v6, v5, s0
	v_cmp_gt_i32_e64 s0, s3, v16
	v_bfe_i32 v9, v9, 0, 8
	v_max_i16 v10, v10, v1
	v_and_b32_e32 v6, 0xffff, v14
	v_max_i16 v14, v15, v1
	v_or_b32_e32 v15, 0x500, v0
	v_or_b32_e32 v8, v5, v8
	v_max_i16 v9, v9, v1
	v_and_or_b32 v6, 0xffff0000, v11, v6
	v_min_i16 v14, v14, s1
	v_min_i16 v10, v10, s1
	v_cndmask_b32_e64 v5, v5, v8, s0
	v_cmp_gt_i32_e64 s0, s3, v15
	v_or_b32_e32 v8, 0x600, v0
	v_bfe_i32 v15, v20, 0, 8
	v_min_i16 v9, v9, s1
	v_bfe_i32 v13, v13, 0, 8
	v_cndmask_b32_e64 v6, v11, v6, s0
	v_cmp_gt_i32_e64 s0, s3, v8
	v_and_b32_e32 v10, 0xff, v10
	v_lshlrev_b16 v9, 8, v9
	v_max_i16 v13, v13, v1
	v_perm_b32 v14, v6, v14, 0x7000504
	v_bfe_i32 v4, v4, 0, 8
	v_bfe_i32 v16, v19, 0, 8
	v_or_b32_e32 v9, v10, v9
	v_lshrrev_b32_e32 v11, 16, v5
	v_cndmask_b32_e64 v8, v6, v14, s0
	v_max_i16 v6, v15, v1
	v_bfe_i32 v14, v18, 0, 8
	v_or_b32_e32 v15, 0xc00, v0
	v_and_b32_e32 v9, 0xffff, v9
	v_or_b32_e32 v18, 0xd00, v0
	v_min_i16 v6, v6, s1
	v_max_i16 v14, v14, v1
	v_cmp_gt_i32_e64 s0, s3, v15
	v_max_i16 v4, v4, v1
	v_max_i16 v16, v16, v1
	v_perm_b32 v6, v6, 0, 0x3020104
	v_min_i16 v14, v14, s1
	v_bfe_i32 v12, v12, 0, 8
	v_min_i16 v4, v4, s1
	v_and_b32_e32 v11, 0xff, v11
	v_cndmask_b32_e64 v6, 0, v6, s0
	v_lshlrev_b16 v14, 8, v14
	v_max_i16 v12, v12, v1
	v_lshlrev_b16 v4, 8, v4
	v_bfe_i32 v7, v7, 0, 8
	v_and_b32_e32 v15, 0xff, v6
	s_delay_alu instid0(VALU_DEP_4) | instskip(NEXT) | instid1(VALU_DEP_4)
	v_min_i16 v12, v12, s1
	v_or_b32_e32 v4, v11, v4
	v_lshrrev_b32_e32 v11, 16, v8
	s_delay_alu instid0(VALU_DEP_4)
	v_or_b32_e32 v14, v15, v14
	v_and_b32_e32 v15, 0xffff, v10
	v_min_i16 v10, v13, s1
	v_max_i16 v7, v7, v1
	v_and_b32_e32 v11, 0xff, v11
	v_and_b32_e32 v13, 0xffff, v14
	v_or_b32_e32 v14, 0x900, v0
	v_and_b32_e32 v10, 0xff, v10
	v_lshlrev_b32_e32 v4, 16, v4
	v_min_i16 v7, v7, s1
	v_and_or_b32 v13, 0xffff0000, v6, v13
	v_cmp_gt_i32_e64 s0, s3, v14
	v_lshlrev_b32_e32 v10, 16, v10
	v_or_b32_e32 v14, 0xa00, v0
	v_lshlrev_b16 v7, 8, v7
	v_and_or_b32 v4, 0xffff, v5, v4
	v_cndmask_b32_e64 v9, v15, v9, s0
	v_cmp_gt_i32_e64 s0, s3, v18
	v_or_b32_e32 v15, 0xe00, v0
	s_delay_alu instid0(VALU_DEP_3) | instskip(NEXT) | instid1(VALU_DEP_3)
	v_or_b32_e32 v10, v9, v10
	v_cndmask_b32_e64 v6, v6, v13, s0
	v_min_i16 v13, v16, s1
	v_cmp_gt_i32_e64 s0, s3, v14
	v_bfe_i32 v16, v17, 0, 8
	s_delay_alu instid0(VALU_DEP_3) | instskip(NEXT) | instid1(VALU_DEP_3)
	v_perm_b32 v13, v6, v13, 0x7000504
	v_cndmask_b32_e64 v9, v9, v10, s0
	v_cmp_gt_i32_e64 s0, s3, v15
	s_delay_alu instid0(VALU_DEP_4) | instskip(NEXT) | instid1(VALU_DEP_2)
	v_max_i16 v1, v16, v1
	v_cndmask_b32_e64 v10, v6, v13, s0
	v_lshlrev_b16 v6, 8, v12
	v_lshrrev_b32_e32 v12, 16, v9
	s_delay_alu instid0(VALU_DEP_4) | instskip(NEXT) | instid1(VALU_DEP_4)
	v_min_i16 v1, v1, s1
	v_lshrrev_b32_e32 v13, 16, v10
	s_delay_alu instid0(VALU_DEP_4) | instskip(NEXT) | instid1(VALU_DEP_4)
	v_or_b32_e32 v6, v11, v6
	v_and_b32_e32 v11, 0xff, v12
	s_delay_alu instid0(VALU_DEP_4) | instskip(NEXT) | instid1(VALU_DEP_4)
	v_lshlrev_b16 v1, 8, v1
	v_and_b32_e32 v12, 0xff, v13
	v_or_b32_e32 v13, 0x300, v0
	s_delay_alu instid0(VALU_DEP_4) | instskip(SKIP_1) | instid1(VALU_DEP_4)
	v_or_b32_e32 v7, v11, v7
	v_lshlrev_b32_e32 v11, 16, v6
	v_or_b32_e32 v1, v12, v1
	s_delay_alu instid0(VALU_DEP_4) | instskip(SKIP_1) | instid1(VALU_DEP_3)
	v_cmp_gt_i32_e64 s0, s3, v13
	v_or_b32_e32 v12, 0xf00, v0
	v_lshlrev_b32_e32 v1, 16, v1
	s_delay_alu instid0(VALU_DEP_3)
	v_cndmask_b32_e64 v6, v5, v4, s0
	v_or_b32_e32 v5, 0x700, v0
	v_lshlrev_b32_e32 v4, 16, v7
	v_and_or_b32 v7, 0xffff, v8, v11
	v_or_b32_e32 v11, 0xb00, v0
	v_and_or_b32 v1, 0xffff, v10, v1
	v_cmp_gt_i32_e64 s0, s3, v5
	v_and_or_b32 v4, 0xffff, v9, v4
	s_delay_alu instid0(VALU_DEP_2) | instskip(SKIP_1) | instid1(VALU_DEP_1)
	v_cndmask_b32_e64 v5, v8, v7, s0
	v_cmp_gt_i32_e64 s0, s3, v11
	v_cndmask_b32_e64 v4, v9, v4, s0
	v_cmp_gt_i32_e64 s0, s3, v12
	s_delay_alu instid0(VALU_DEP_1)
	v_cndmask_b32_e64 v1, v10, v1, s0
	s_and_saveexec_b32 s0, vcc_lo
	s_cbranch_execnz .LBB284_53
; %bb.36:
	s_or_b32 exec_lo, exec_lo, s0
	s_delay_alu instid0(SALU_CYCLE_1)
	s_mov_b32 s0, exec_lo
	v_cmpx_gt_i32_e64 s3, v0
	s_cbranch_execnz .LBB284_54
.LBB284_37:
	s_or_b32 exec_lo, exec_lo, s0
	s_delay_alu instid0(SALU_CYCLE_1)
	s_mov_b32 s0, exec_lo
	v_cmpx_gt_i32_e64 s3, v0
	s_cbranch_execnz .LBB284_55
.LBB284_38:
	s_or_b32 exec_lo, exec_lo, s0
	s_delay_alu instid0(SALU_CYCLE_1)
	s_mov_b32 s0, exec_lo
	v_cmpx_gt_i32_e64 s3, v0
	s_cbranch_execnz .LBB284_56
.LBB284_39:
	s_or_b32 exec_lo, exec_lo, s0
	s_delay_alu instid0(SALU_CYCLE_1)
	s_mov_b32 s0, exec_lo
	v_cmpx_gt_i32_e64 s3, v0
	s_cbranch_execnz .LBB284_57
.LBB284_40:
	s_or_b32 exec_lo, exec_lo, s0
	s_delay_alu instid0(SALU_CYCLE_1)
	s_mov_b32 s0, exec_lo
	v_cmpx_gt_i32_e64 s3, v0
	s_cbranch_execnz .LBB284_58
.LBB284_41:
	s_or_b32 exec_lo, exec_lo, s0
	s_delay_alu instid0(SALU_CYCLE_1)
	s_mov_b32 s0, exec_lo
	v_cmpx_gt_i32_e64 s3, v0
	s_cbranch_execnz .LBB284_59
.LBB284_42:
	s_or_b32 exec_lo, exec_lo, s0
	s_delay_alu instid0(SALU_CYCLE_1)
	s_mov_b32 s0, exec_lo
	v_cmpx_gt_i32_e64 s3, v0
	s_cbranch_execnz .LBB284_60
.LBB284_43:
	s_or_b32 exec_lo, exec_lo, s0
	s_delay_alu instid0(SALU_CYCLE_1)
	s_mov_b32 s0, exec_lo
	v_cmpx_gt_i32_e64 s3, v0
	s_cbranch_execnz .LBB284_61
.LBB284_44:
	s_or_b32 exec_lo, exec_lo, s0
	s_delay_alu instid0(SALU_CYCLE_1)
	s_mov_b32 s0, exec_lo
	v_cmpx_gt_i32_e64 s3, v0
	s_cbranch_execnz .LBB284_62
.LBB284_45:
	s_or_b32 exec_lo, exec_lo, s0
	s_delay_alu instid0(SALU_CYCLE_1)
	s_mov_b32 s0, exec_lo
	v_cmpx_gt_i32_e64 s3, v0
	s_cbranch_execnz .LBB284_63
.LBB284_46:
	s_or_b32 exec_lo, exec_lo, s0
	s_delay_alu instid0(SALU_CYCLE_1)
	s_mov_b32 s0, exec_lo
	v_cmpx_gt_i32_e64 s3, v0
	s_cbranch_execnz .LBB284_64
.LBB284_47:
	s_or_b32 exec_lo, exec_lo, s0
	s_delay_alu instid0(SALU_CYCLE_1)
	s_mov_b32 s0, exec_lo
	v_cmpx_gt_i32_e64 s3, v0
	s_cbranch_execnz .LBB284_65
.LBB284_48:
	s_or_b32 exec_lo, exec_lo, s0
	s_delay_alu instid0(SALU_CYCLE_1)
	s_mov_b32 s0, exec_lo
	v_cmpx_gt_i32_e64 s3, v0
	s_cbranch_execnz .LBB284_66
.LBB284_49:
	s_or_b32 exec_lo, exec_lo, s0
	s_delay_alu instid0(SALU_CYCLE_1)
	s_mov_b32 s0, exec_lo
	v_cmpx_gt_i32_e64 s3, v0
	s_cbranch_execnz .LBB284_67
.LBB284_50:
	s_or_b32 exec_lo, exec_lo, s0
	s_delay_alu instid0(SALU_CYCLE_1)
	s_mov_b32 s0, exec_lo
	v_cmpx_gt_i32_e64 s3, v0
	s_cbranch_execz .LBB284_52
.LBB284_51:
	v_add_nc_u32_e32 v0, s2, v0
	v_lshrrev_b32_e32 v1, 24, v1
	global_store_b8 v0, v1, s[4:5]
.LBB284_52:
	s_nop 0
	s_sendmsg sendmsg(MSG_DEALLOC_VGPRS)
	s_endpgm
.LBB284_53:
	v_mov_b32_e32 v0, v3
	global_store_b8 v2, v6, s[4:5]
	s_or_b32 exec_lo, exec_lo, s0
	s_delay_alu instid0(SALU_CYCLE_1)
	s_mov_b32 s0, exec_lo
	v_cmpx_gt_i32_e64 s3, v0
	s_cbranch_execz .LBB284_37
.LBB284_54:
	v_add_nc_u32_e32 v2, s2, v0
	v_lshrrev_b32_e32 v3, 8, v6
	v_add_nc_u32_e32 v0, 0x100, v0
	global_store_b8 v2, v3, s[4:5]
	s_or_b32 exec_lo, exec_lo, s0
	s_delay_alu instid0(SALU_CYCLE_1)
	s_mov_b32 s0, exec_lo
	v_cmpx_gt_i32_e64 s3, v0
	s_cbranch_execz .LBB284_38
.LBB284_55:
	v_add_nc_u32_e32 v2, s2, v0
	v_add_nc_u32_e32 v0, 0x100, v0
	global_store_d16_hi_b8 v2, v6, s[4:5]
	s_or_b32 exec_lo, exec_lo, s0
	s_delay_alu instid0(SALU_CYCLE_1)
	s_mov_b32 s0, exec_lo
	v_cmpx_gt_i32_e64 s3, v0
	s_cbranch_execz .LBB284_39
.LBB284_56:
	v_add_nc_u32_e32 v2, s2, v0
	v_lshrrev_b32_e32 v3, 24, v6
	v_add_nc_u32_e32 v0, 0x100, v0
	global_store_b8 v2, v3, s[4:5]
	s_or_b32 exec_lo, exec_lo, s0
	s_delay_alu instid0(SALU_CYCLE_1)
	s_mov_b32 s0, exec_lo
	v_cmpx_gt_i32_e64 s3, v0
	s_cbranch_execz .LBB284_40
.LBB284_57:
	v_add_nc_u32_e32 v2, s2, v0
	v_add_nc_u32_e32 v0, 0x100, v0
	global_store_b8 v2, v5, s[4:5]
	s_or_b32 exec_lo, exec_lo, s0
	s_delay_alu instid0(SALU_CYCLE_1)
	s_mov_b32 s0, exec_lo
	v_cmpx_gt_i32_e64 s3, v0
	s_cbranch_execz .LBB284_41
.LBB284_58:
	v_add_nc_u32_e32 v2, s2, v0
	v_lshrrev_b32_e32 v3, 8, v5
	v_add_nc_u32_e32 v0, 0x100, v0
	global_store_b8 v2, v3, s[4:5]
	s_or_b32 exec_lo, exec_lo, s0
	s_delay_alu instid0(SALU_CYCLE_1)
	s_mov_b32 s0, exec_lo
	v_cmpx_gt_i32_e64 s3, v0
	s_cbranch_execz .LBB284_42
.LBB284_59:
	v_add_nc_u32_e32 v2, s2, v0
	v_add_nc_u32_e32 v0, 0x100, v0
	global_store_d16_hi_b8 v2, v5, s[4:5]
	s_or_b32 exec_lo, exec_lo, s0
	s_delay_alu instid0(SALU_CYCLE_1)
	s_mov_b32 s0, exec_lo
	v_cmpx_gt_i32_e64 s3, v0
	s_cbranch_execz .LBB284_43
.LBB284_60:
	v_add_nc_u32_e32 v2, s2, v0
	v_lshrrev_b32_e32 v3, 24, v5
	v_add_nc_u32_e32 v0, 0x100, v0
	global_store_b8 v2, v3, s[4:5]
	s_or_b32 exec_lo, exec_lo, s0
	s_delay_alu instid0(SALU_CYCLE_1)
	s_mov_b32 s0, exec_lo
	v_cmpx_gt_i32_e64 s3, v0
	s_cbranch_execz .LBB284_44
.LBB284_61:
	v_add_nc_u32_e32 v2, s2, v0
	v_add_nc_u32_e32 v0, 0x100, v0
	global_store_b8 v2, v4, s[4:5]
	s_or_b32 exec_lo, exec_lo, s0
	s_delay_alu instid0(SALU_CYCLE_1)
	s_mov_b32 s0, exec_lo
	v_cmpx_gt_i32_e64 s3, v0
	s_cbranch_execz .LBB284_45
.LBB284_62:
	v_add_nc_u32_e32 v2, s2, v0
	v_lshrrev_b32_e32 v3, 8, v4
	v_add_nc_u32_e32 v0, 0x100, v0
	global_store_b8 v2, v3, s[4:5]
	s_or_b32 exec_lo, exec_lo, s0
	s_delay_alu instid0(SALU_CYCLE_1)
	s_mov_b32 s0, exec_lo
	v_cmpx_gt_i32_e64 s3, v0
	s_cbranch_execz .LBB284_46
.LBB284_63:
	v_add_nc_u32_e32 v2, s2, v0
	v_add_nc_u32_e32 v0, 0x100, v0
	global_store_d16_hi_b8 v2, v4, s[4:5]
	s_or_b32 exec_lo, exec_lo, s0
	s_delay_alu instid0(SALU_CYCLE_1)
	s_mov_b32 s0, exec_lo
	v_cmpx_gt_i32_e64 s3, v0
	s_cbranch_execz .LBB284_47
.LBB284_64:
	v_add_nc_u32_e32 v2, s2, v0
	v_lshrrev_b32_e32 v3, 24, v4
	v_add_nc_u32_e32 v0, 0x100, v0
	global_store_b8 v2, v3, s[4:5]
	s_or_b32 exec_lo, exec_lo, s0
	s_delay_alu instid0(SALU_CYCLE_1)
	s_mov_b32 s0, exec_lo
	v_cmpx_gt_i32_e64 s3, v0
	s_cbranch_execz .LBB284_48
.LBB284_65:
	v_add_nc_u32_e32 v2, s2, v0
	v_add_nc_u32_e32 v0, 0x100, v0
	global_store_b8 v2, v1, s[4:5]
	s_or_b32 exec_lo, exec_lo, s0
	s_delay_alu instid0(SALU_CYCLE_1)
	s_mov_b32 s0, exec_lo
	v_cmpx_gt_i32_e64 s3, v0
	s_cbranch_execz .LBB284_49
.LBB284_66:
	v_add_nc_u32_e32 v2, s2, v0
	v_lshrrev_b32_e32 v3, 8, v1
	v_add_nc_u32_e32 v0, 0x100, v0
	global_store_b8 v2, v3, s[4:5]
	s_or_b32 exec_lo, exec_lo, s0
	s_delay_alu instid0(SALU_CYCLE_1)
	s_mov_b32 s0, exec_lo
	v_cmpx_gt_i32_e64 s3, v0
	s_cbranch_execz .LBB284_50
.LBB284_67:
	v_add_nc_u32_e32 v2, s2, v0
	v_add_nc_u32_e32 v0, 0x100, v0
	global_store_d16_hi_b8 v2, v1, s[4:5]
	s_or_b32 exec_lo, exec_lo, s0
	s_delay_alu instid0(SALU_CYCLE_1)
	s_mov_b32 s0, exec_lo
	v_cmpx_gt_i32_e64 s3, v0
	s_cbranch_execnz .LBB284_51
	s_branch .LBB284_52
	.section	.rodata,"a",@progbits
	.p2align	6, 0x0
	.amdhsa_kernel _ZN2at6native29vectorized_elementwise_kernelILi4EZZZNS0_17clamp_kernel_cudaERNS_18TensorIteratorBaseERKN3c106ScalarES7_ENKUlvE_clEvENKUlvE0_clEvEUlaE_St5arrayIPcLm2EEEEviT0_T1_
		.amdhsa_group_segment_fixed_size 0
		.amdhsa_private_segment_fixed_size 0
		.amdhsa_kernarg_size 24
		.amdhsa_user_sgpr_count 15
		.amdhsa_user_sgpr_dispatch_ptr 0
		.amdhsa_user_sgpr_queue_ptr 0
		.amdhsa_user_sgpr_kernarg_segment_ptr 1
		.amdhsa_user_sgpr_dispatch_id 0
		.amdhsa_user_sgpr_private_segment_size 0
		.amdhsa_wavefront_size32 1
		.amdhsa_uses_dynamic_stack 0
		.amdhsa_enable_private_segment 0
		.amdhsa_system_sgpr_workgroup_id_x 1
		.amdhsa_system_sgpr_workgroup_id_y 0
		.amdhsa_system_sgpr_workgroup_id_z 0
		.amdhsa_system_sgpr_workgroup_info 0
		.amdhsa_system_vgpr_workitem_id 0
		.amdhsa_next_free_vgpr 22
		.amdhsa_next_free_sgpr 16
		.amdhsa_reserve_vcc 1
		.amdhsa_float_round_mode_32 0
		.amdhsa_float_round_mode_16_64 0
		.amdhsa_float_denorm_mode_32 3
		.amdhsa_float_denorm_mode_16_64 3
		.amdhsa_dx10_clamp 1
		.amdhsa_ieee_mode 1
		.amdhsa_fp16_overflow 0
		.amdhsa_workgroup_processor_mode 1
		.amdhsa_memory_ordered 1
		.amdhsa_forward_progress 0
		.amdhsa_shared_vgpr_count 0
		.amdhsa_exception_fp_ieee_invalid_op 0
		.amdhsa_exception_fp_denorm_src 0
		.amdhsa_exception_fp_ieee_div_zero 0
		.amdhsa_exception_fp_ieee_overflow 0
		.amdhsa_exception_fp_ieee_underflow 0
		.amdhsa_exception_fp_ieee_inexact 0
		.amdhsa_exception_int_div_zero 0
	.end_amdhsa_kernel
	.section	.text._ZN2at6native29vectorized_elementwise_kernelILi4EZZZNS0_17clamp_kernel_cudaERNS_18TensorIteratorBaseERKN3c106ScalarES7_ENKUlvE_clEvENKUlvE0_clEvEUlaE_St5arrayIPcLm2EEEEviT0_T1_,"axG",@progbits,_ZN2at6native29vectorized_elementwise_kernelILi4EZZZNS0_17clamp_kernel_cudaERNS_18TensorIteratorBaseERKN3c106ScalarES7_ENKUlvE_clEvENKUlvE0_clEvEUlaE_St5arrayIPcLm2EEEEviT0_T1_,comdat
.Lfunc_end284:
	.size	_ZN2at6native29vectorized_elementwise_kernelILi4EZZZNS0_17clamp_kernel_cudaERNS_18TensorIteratorBaseERKN3c106ScalarES7_ENKUlvE_clEvENKUlvE0_clEvEUlaE_St5arrayIPcLm2EEEEviT0_T1_, .Lfunc_end284-_ZN2at6native29vectorized_elementwise_kernelILi4EZZZNS0_17clamp_kernel_cudaERNS_18TensorIteratorBaseERKN3c106ScalarES7_ENKUlvE_clEvENKUlvE0_clEvEUlaE_St5arrayIPcLm2EEEEviT0_T1_
                                        ; -- End function
	.section	.AMDGPU.csdata,"",@progbits
; Kernel info:
; codeLenInByte = 3828
; NumSgprs: 18
; NumVgprs: 22
; ScratchSize: 0
; MemoryBound: 0
; FloatMode: 240
; IeeeMode: 1
; LDSByteSize: 0 bytes/workgroup (compile time only)
; SGPRBlocks: 2
; VGPRBlocks: 2
; NumSGPRsForWavesPerEU: 18
; NumVGPRsForWavesPerEU: 22
; Occupancy: 16
; WaveLimiterHint : 1
; COMPUTE_PGM_RSRC2:SCRATCH_EN: 0
; COMPUTE_PGM_RSRC2:USER_SGPR: 15
; COMPUTE_PGM_RSRC2:TRAP_HANDLER: 0
; COMPUTE_PGM_RSRC2:TGID_X_EN: 1
; COMPUTE_PGM_RSRC2:TGID_Y_EN: 0
; COMPUTE_PGM_RSRC2:TGID_Z_EN: 0
; COMPUTE_PGM_RSRC2:TIDIG_COMP_CNT: 0
	.section	.text._ZN2at6native29vectorized_elementwise_kernelILi2EZZZNS0_17clamp_kernel_cudaERNS_18TensorIteratorBaseERKN3c106ScalarES7_ENKUlvE_clEvENKUlvE0_clEvEUlaE_St5arrayIPcLm2EEEEviT0_T1_,"axG",@progbits,_ZN2at6native29vectorized_elementwise_kernelILi2EZZZNS0_17clamp_kernel_cudaERNS_18TensorIteratorBaseERKN3c106ScalarES7_ENKUlvE_clEvENKUlvE0_clEvEUlaE_St5arrayIPcLm2EEEEviT0_T1_,comdat
	.globl	_ZN2at6native29vectorized_elementwise_kernelILi2EZZZNS0_17clamp_kernel_cudaERNS_18TensorIteratorBaseERKN3c106ScalarES7_ENKUlvE_clEvENKUlvE0_clEvEUlaE_St5arrayIPcLm2EEEEviT0_T1_ ; -- Begin function _ZN2at6native29vectorized_elementwise_kernelILi2EZZZNS0_17clamp_kernel_cudaERNS_18TensorIteratorBaseERKN3c106ScalarES7_ENKUlvE_clEvENKUlvE0_clEvEUlaE_St5arrayIPcLm2EEEEviT0_T1_
	.p2align	8
	.type	_ZN2at6native29vectorized_elementwise_kernelILi2EZZZNS0_17clamp_kernel_cudaERNS_18TensorIteratorBaseERKN3c106ScalarES7_ENKUlvE_clEvENKUlvE0_clEvEUlaE_St5arrayIPcLm2EEEEviT0_T1_,@function
_ZN2at6native29vectorized_elementwise_kernelILi2EZZZNS0_17clamp_kernel_cudaERNS_18TensorIteratorBaseERKN3c106ScalarES7_ENKUlvE_clEvENKUlvE0_clEvEUlaE_St5arrayIPcLm2EEEEviT0_T1_: ; @_ZN2at6native29vectorized_elementwise_kernelILi2EZZZNS0_17clamp_kernel_cudaERNS_18TensorIteratorBaseERKN3c106ScalarES7_ENKUlvE_clEvENKUlvE0_clEvEUlaE_St5arrayIPcLm2EEEEviT0_T1_
; %bb.0:
	v_mov_b32_e32 v1, 0
	s_clause 0x1
	s_load_b32 s2, s[0:1], 0x0
	s_load_b128 s[4:7], s[0:1], 0x8
	global_load_u16 v1, v1, s[0:1] offset:4
	s_lshl_b32 s1, s15, 12
	s_waitcnt lgkmcnt(0)
	s_sub_i32 s2, s2, s1
	s_waitcnt vmcnt(0)
	v_readfirstlane_b32 s0, v1
	v_bfe_i32 v1, v1, 0, 8
	s_delay_alu instid0(VALU_DEP_2) | instskip(NEXT) | instid1(SALU_CYCLE_1)
	s_and_b32 s0, 0xffff, s0
	s_lshr_b32 s3, s0, 8
	s_cmpk_gt_i32 s2, 0xfff
	s_mov_b32 s0, -1
	s_cbranch_scc0 .LBB285_2
; %bb.1:
	v_lshlrev_b32_e32 v2, 1, v0
	s_bfe_i32 s10, s3, 0x80000
	s_ashr_i32 s11, s1, 31
	s_add_u32 s8, s6, s1
	s_addc_u32 s9, s7, s11
	s_clause 0x7
	global_load_u16 v3, v2, s[8:9]
	global_load_u16 v4, v2, s[8:9] offset:512
	global_load_u16 v5, v2, s[8:9] offset:1024
	;; [unrolled: 1-line block ×7, first 2 shown]
	s_add_u32 s8, s4, s1
	s_addc_u32 s9, s5, s11
	s_mov_b32 s0, 0
	s_waitcnt vmcnt(7)
	v_bfe_i32 v11, v3, 0, 8
	v_ashrrev_i16 v3, 8, v3
	s_waitcnt vmcnt(6)
	v_bfe_i32 v12, v4, 0, 8
	v_ashrrev_i16 v4, 8, v4
	;; [unrolled: 3-line block ×8, first 2 shown]
	v_max_i16 v11, v11, v1
	v_max_i16 v3, v3, v1
	;; [unrolled: 1-line block ×16, first 2 shown]
	v_min_i16 v11, v11, s10
	v_min_i16 v3, v3, s10
	;; [unrolled: 1-line block ×16, first 2 shown]
	v_lshlrev_b16 v3, 8, v3
	v_and_b32_e32 v11, 0xff, v11
	v_lshlrev_b16 v4, 8, v4
	v_and_b32_e32 v12, 0xff, v12
	;; [unrolled: 2-line block ×8, first 2 shown]
	v_or_b32_e32 v3, v3, v11
	v_or_b32_e32 v4, v4, v12
	;; [unrolled: 1-line block ×8, first 2 shown]
	s_clause 0x7
	global_store_b16 v2, v3, s[8:9]
	global_store_b16 v2, v4, s[8:9] offset:512
	global_store_b16 v2, v5, s[8:9] offset:1024
	;; [unrolled: 1-line block ×7, first 2 shown]
.LBB285_2:
	s_and_not1_b32 vcc_lo, exec_lo, s0
	s_cbranch_vccnz .LBB285_52
; %bb.3:
	v_cmp_gt_i32_e32 vcc_lo, s2, v0
	v_dual_mov_b32 v5, 0 :: v_dual_mov_b32 v6, 0
	v_or_b32_e32 v2, s1, v0
	v_or_b32_e32 v3, 0x100, v0
	v_mov_b32_e32 v11, v0
	s_and_saveexec_b32 s0, vcc_lo
	s_cbranch_execz .LBB285_5
; %bb.4:
	global_load_u8 v6, v2, s[6:7]
	v_or_b32_e32 v11, 0x100, v0
.LBB285_5:
	s_or_b32 exec_lo, exec_lo, s0
	s_delay_alu instid0(SALU_CYCLE_1) | instskip(NEXT) | instid1(VALU_DEP_1)
	s_mov_b32 s8, exec_lo
	v_cmpx_gt_i32_e64 s2, v11
	s_cbranch_execz .LBB285_7
; %bb.6:
	v_add_nc_u32_e32 v4, s1, v11
	v_add_nc_u32_e32 v11, 0x100, v11
	global_load_u8 v5, v4, s[6:7]
.LBB285_7:
	s_or_b32 exec_lo, exec_lo, s8
	v_mov_b32_e32 v4, 0
	v_mov_b32_e32 v8, 0
	s_mov_b32 s8, exec_lo
	v_cmpx_gt_i32_e64 s2, v11
	s_cbranch_execz .LBB285_9
; %bb.8:
	v_add_nc_u32_e32 v7, s1, v11
	v_add_nc_u32_e32 v11, 0x100, v11
	global_load_u8 v8, v7, s[6:7]
.LBB285_9:
	s_or_b32 exec_lo, exec_lo, s8
	s_delay_alu instid0(SALU_CYCLE_1)
	s_mov_b32 s8, exec_lo
	v_cmpx_gt_i32_e64 s2, v11
	s_cbranch_execz .LBB285_11
; %bb.10:
	v_add_nc_u32_e32 v4, s1, v11
	v_add_nc_u32_e32 v11, 0x100, v11
	global_load_u8 v4, v4, s[6:7]
.LBB285_11:
	s_or_b32 exec_lo, exec_lo, s8
	v_mov_b32_e32 v14, 0
	v_mov_b32_e32 v16, 0
	s_mov_b32 s8, exec_lo
	v_cmpx_gt_i32_e64 s2, v11
	s_cbranch_execz .LBB285_13
; %bb.12:
	v_add_nc_u32_e32 v7, s1, v11
	v_add_nc_u32_e32 v11, 0x100, v11
	global_load_u8 v16, v7, s[6:7]
.LBB285_13:
	s_or_b32 exec_lo, exec_lo, s8
	s_delay_alu instid0(SALU_CYCLE_1)
	s_mov_b32 s8, exec_lo
	v_cmpx_gt_i32_e64 s2, v11
	s_cbranch_execz .LBB285_15
; %bb.14:
	v_add_nc_u32_e32 v7, s1, v11
	v_add_nc_u32_e32 v11, 0x100, v11
	global_load_u8 v14, v7, s[6:7]
.LBB285_15:
	s_or_b32 exec_lo, exec_lo, s8
	v_dual_mov_b32 v12, 0 :: v_dual_mov_b32 v15, 0
	s_mov_b32 s8, exec_lo
	v_cmpx_gt_i32_e64 s2, v11
	s_cbranch_execz .LBB285_17
; %bb.16:
	v_add_nc_u32_e32 v7, s1, v11
	v_add_nc_u32_e32 v11, 0x100, v11
	global_load_u8 v15, v7, s[6:7]
.LBB285_17:
	s_or_b32 exec_lo, exec_lo, s8
	s_delay_alu instid0(SALU_CYCLE_1)
	s_mov_b32 s8, exec_lo
	v_cmpx_gt_i32_e64 s2, v11
	s_cbranch_execz .LBB285_19
; %bb.18:
	v_add_nc_u32_e32 v7, s1, v11
	v_add_nc_u32_e32 v11, 0x100, v11
	global_load_u8 v12, v7, s[6:7]
.LBB285_19:
	s_or_b32 exec_lo, exec_lo, s8
	v_dual_mov_b32 v9, 0 :: v_dual_mov_b32 v10, 0
	s_mov_b32 s8, exec_lo
	v_cmpx_gt_i32_e64 s2, v11
	s_cbranch_execz .LBB285_21
; %bb.20:
	v_add_nc_u32_e32 v7, s1, v11
	v_add_nc_u32_e32 v11, 0x100, v11
	global_load_u8 v10, v7, s[6:7]
.LBB285_21:
	s_or_b32 exec_lo, exec_lo, s8
	s_delay_alu instid0(SALU_CYCLE_1)
	s_mov_b32 s8, exec_lo
	v_cmpx_gt_i32_e64 s2, v11
	s_cbranch_execz .LBB285_23
; %bb.22:
	v_add_nc_u32_e32 v7, s1, v11
	v_add_nc_u32_e32 v11, 0x100, v11
	global_load_u8 v9, v7, s[6:7]
.LBB285_23:
	s_or_b32 exec_lo, exec_lo, s8
	v_mov_b32_e32 v7, 0
	v_mov_b32_e32 v13, 0
	s_mov_b32 s8, exec_lo
	v_cmpx_gt_i32_e64 s2, v11
	s_cbranch_execz .LBB285_25
; %bb.24:
	v_add_nc_u32_e32 v13, s1, v11
	v_add_nc_u32_e32 v11, 0x100, v11
	global_load_u8 v13, v13, s[6:7]
.LBB285_25:
	s_or_b32 exec_lo, exec_lo, s8
	s_delay_alu instid0(SALU_CYCLE_1)
	s_mov_b32 s8, exec_lo
	v_cmpx_gt_i32_e64 s2, v11
	s_cbranch_execz .LBB285_27
; %bb.26:
	v_add_nc_u32_e32 v7, s1, v11
	v_add_nc_u32_e32 v11, 0x100, v11
	global_load_u8 v7, v7, s[6:7]
.LBB285_27:
	s_or_b32 exec_lo, exec_lo, s8
	v_mov_b32_e32 v18, 0
	v_mov_b32_e32 v20, 0
	;; [unrolled: 21-line block ×3, first 2 shown]
	s_mov_b32 s8, exec_lo
	v_cmpx_gt_i32_e64 s2, v11
	s_cbranch_execz .LBB285_33
; %bb.32:
	v_add_nc_u32_e32 v19, s1, v11
	v_add_nc_u32_e32 v11, 0x100, v11
	global_load_u8 v19, v19, s[6:7]
.LBB285_33:
	s_or_b32 exec_lo, exec_lo, s8
	s_delay_alu instid0(SALU_CYCLE_1)
	s_mov_b32 s8, exec_lo
	v_cmpx_gt_i32_e64 s2, v11
	s_cbranch_execz .LBB285_35
; %bb.34:
	v_add_nc_u32_e32 v11, s1, v11
	global_load_u8 v17, v11, s[6:7]
.LBB285_35:
	s_or_b32 exec_lo, exec_lo, s8
	s_waitcnt vmcnt(0)
	v_bfe_i32 v11, v16, 0, 8
	v_bfe_i32 v6, v6, 0, 8
	;; [unrolled: 1-line block ×3, first 2 shown]
	s_bfe_i32 s3, s3, 0x80000
	v_bfe_i32 v8, v8, 0, 8
	v_max_i16 v11, v11, v1
	v_max_i16 v6, v6, v1
	;; [unrolled: 1-line block ×3, first 2 shown]
	v_bfe_i32 v14, v14, 0, 8
	v_or_b32_e32 v16, 0x400, v0
	v_min_i16 v11, v11, s3
	v_min_i16 v6, v6, s3
	;; [unrolled: 1-line block ×3, first 2 shown]
	v_max_i16 v14, v14, v1
	v_max_i16 v8, v8, v1
	v_perm_b32 v11, v11, 0, 0x3020104
	v_and_b32_e32 v6, 0xff, v6
	v_lshlrev_b16 v5, 8, v5
	v_cmp_gt_i32_e64 s0, s2, v16
	v_min_i16 v14, v14, s3
	v_min_i16 v8, v8, s3
	v_or_b32_e32 v16, 0x200, v0
	v_or_b32_e32 v5, v6, v5
	v_cndmask_b32_e64 v11, 0, v11, s0
	v_lshlrev_b16 v14, 8, v14
	v_and_b32_e32 v8, 0xff, v8
	v_and_b32_e32 v6, 0xffff, v6
	v_and_b32_e32 v5, 0xffff, v5
	v_and_b32_e32 v21, 0xff, v11
	v_cmp_gt_i32_e64 s0, s2, v3
	v_bfe_i32 v15, v15, 0, 8
	v_lshlrev_b32_e32 v8, 16, v8
	v_bfe_i32 v10, v10, 0, 8
	v_or_b32_e32 v14, v21, v14
	v_cndmask_b32_e64 v5, v6, v5, s0
	v_cmp_gt_i32_e64 s0, s2, v16
	v_bfe_i32 v9, v9, 0, 8
	v_max_i16 v10, v10, v1
	v_and_b32_e32 v6, 0xffff, v14
	v_max_i16 v14, v15, v1
	v_or_b32_e32 v15, 0x500, v0
	v_or_b32_e32 v8, v5, v8
	v_max_i16 v9, v9, v1
	v_and_or_b32 v6, 0xffff0000, v11, v6
	v_min_i16 v14, v14, s3
	v_min_i16 v10, v10, s3
	v_cndmask_b32_e64 v5, v5, v8, s0
	v_cmp_gt_i32_e64 s0, s2, v15
	v_or_b32_e32 v8, 0x600, v0
	v_bfe_i32 v15, v20, 0, 8
	v_min_i16 v9, v9, s3
	v_bfe_i32 v13, v13, 0, 8
	v_cndmask_b32_e64 v6, v11, v6, s0
	v_cmp_gt_i32_e64 s0, s2, v8
	v_and_b32_e32 v10, 0xff, v10
	v_lshlrev_b16 v9, 8, v9
	v_max_i16 v13, v13, v1
	v_perm_b32 v14, v6, v14, 0x7000504
	v_bfe_i32 v4, v4, 0, 8
	v_bfe_i32 v16, v19, 0, 8
	v_or_b32_e32 v9, v10, v9
	v_lshrrev_b32_e32 v11, 16, v5
	v_cndmask_b32_e64 v8, v6, v14, s0
	v_max_i16 v6, v15, v1
	v_bfe_i32 v14, v18, 0, 8
	v_or_b32_e32 v15, 0xc00, v0
	v_and_b32_e32 v9, 0xffff, v9
	v_or_b32_e32 v18, 0xd00, v0
	v_min_i16 v6, v6, s3
	v_max_i16 v14, v14, v1
	v_cmp_gt_i32_e64 s0, s2, v15
	v_max_i16 v4, v4, v1
	v_max_i16 v16, v16, v1
	v_perm_b32 v6, v6, 0, 0x3020104
	v_min_i16 v14, v14, s3
	v_bfe_i32 v12, v12, 0, 8
	v_min_i16 v4, v4, s3
	v_and_b32_e32 v11, 0xff, v11
	v_cndmask_b32_e64 v6, 0, v6, s0
	v_lshlrev_b16 v14, 8, v14
	v_max_i16 v12, v12, v1
	v_lshlrev_b16 v4, 8, v4
	v_bfe_i32 v7, v7, 0, 8
	v_and_b32_e32 v15, 0xff, v6
	s_delay_alu instid0(VALU_DEP_4) | instskip(NEXT) | instid1(VALU_DEP_4)
	v_min_i16 v12, v12, s3
	v_or_b32_e32 v4, v11, v4
	v_lshrrev_b32_e32 v11, 16, v8
	s_delay_alu instid0(VALU_DEP_4)
	v_or_b32_e32 v14, v15, v14
	v_and_b32_e32 v15, 0xffff, v10
	v_min_i16 v10, v13, s3
	v_max_i16 v7, v7, v1
	v_and_b32_e32 v11, 0xff, v11
	v_and_b32_e32 v13, 0xffff, v14
	v_or_b32_e32 v14, 0x900, v0
	v_and_b32_e32 v10, 0xff, v10
	v_lshlrev_b32_e32 v4, 16, v4
	v_min_i16 v7, v7, s3
	v_and_or_b32 v13, 0xffff0000, v6, v13
	v_cmp_gt_i32_e64 s0, s2, v14
	v_lshlrev_b32_e32 v10, 16, v10
	v_or_b32_e32 v14, 0xa00, v0
	v_lshlrev_b16 v7, 8, v7
	v_and_or_b32 v4, 0xffff, v5, v4
	v_cndmask_b32_e64 v9, v15, v9, s0
	v_cmp_gt_i32_e64 s0, s2, v18
	v_or_b32_e32 v15, 0xe00, v0
	s_delay_alu instid0(VALU_DEP_3) | instskip(NEXT) | instid1(VALU_DEP_3)
	v_or_b32_e32 v10, v9, v10
	v_cndmask_b32_e64 v6, v6, v13, s0
	v_min_i16 v13, v16, s3
	v_cmp_gt_i32_e64 s0, s2, v14
	v_bfe_i32 v16, v17, 0, 8
	s_delay_alu instid0(VALU_DEP_3) | instskip(NEXT) | instid1(VALU_DEP_3)
	v_perm_b32 v13, v6, v13, 0x7000504
	v_cndmask_b32_e64 v9, v9, v10, s0
	v_cmp_gt_i32_e64 s0, s2, v15
	s_delay_alu instid0(VALU_DEP_4) | instskip(NEXT) | instid1(VALU_DEP_2)
	v_max_i16 v1, v16, v1
	v_cndmask_b32_e64 v10, v6, v13, s0
	v_lshlrev_b16 v6, 8, v12
	v_lshrrev_b32_e32 v12, 16, v9
	s_delay_alu instid0(VALU_DEP_4) | instskip(NEXT) | instid1(VALU_DEP_4)
	v_min_i16 v1, v1, s3
	v_lshrrev_b32_e32 v13, 16, v10
	s_delay_alu instid0(VALU_DEP_4) | instskip(NEXT) | instid1(VALU_DEP_4)
	v_or_b32_e32 v6, v11, v6
	v_and_b32_e32 v11, 0xff, v12
	s_delay_alu instid0(VALU_DEP_4) | instskip(NEXT) | instid1(VALU_DEP_4)
	v_lshlrev_b16 v1, 8, v1
	v_and_b32_e32 v12, 0xff, v13
	v_or_b32_e32 v13, 0x300, v0
	s_delay_alu instid0(VALU_DEP_4) | instskip(SKIP_1) | instid1(VALU_DEP_4)
	v_or_b32_e32 v7, v11, v7
	v_lshlrev_b32_e32 v11, 16, v6
	v_or_b32_e32 v1, v12, v1
	s_delay_alu instid0(VALU_DEP_4) | instskip(SKIP_1) | instid1(VALU_DEP_3)
	v_cmp_gt_i32_e64 s0, s2, v13
	v_or_b32_e32 v12, 0xf00, v0
	v_lshlrev_b32_e32 v1, 16, v1
	s_delay_alu instid0(VALU_DEP_3)
	v_cndmask_b32_e64 v6, v5, v4, s0
	v_or_b32_e32 v5, 0x700, v0
	v_lshlrev_b32_e32 v4, 16, v7
	v_and_or_b32 v7, 0xffff, v8, v11
	v_or_b32_e32 v11, 0xb00, v0
	v_and_or_b32 v1, 0xffff, v10, v1
	v_cmp_gt_i32_e64 s0, s2, v5
	v_and_or_b32 v4, 0xffff, v9, v4
	s_delay_alu instid0(VALU_DEP_2) | instskip(SKIP_1) | instid1(VALU_DEP_1)
	v_cndmask_b32_e64 v5, v8, v7, s0
	v_cmp_gt_i32_e64 s0, s2, v11
	v_cndmask_b32_e64 v4, v9, v4, s0
	v_cmp_gt_i32_e64 s0, s2, v12
	s_delay_alu instid0(VALU_DEP_1)
	v_cndmask_b32_e64 v1, v10, v1, s0
	s_and_saveexec_b32 s0, vcc_lo
	s_cbranch_execnz .LBB285_53
; %bb.36:
	s_or_b32 exec_lo, exec_lo, s0
	s_delay_alu instid0(SALU_CYCLE_1)
	s_mov_b32 s0, exec_lo
	v_cmpx_gt_i32_e64 s2, v0
	s_cbranch_execnz .LBB285_54
.LBB285_37:
	s_or_b32 exec_lo, exec_lo, s0
	s_delay_alu instid0(SALU_CYCLE_1)
	s_mov_b32 s0, exec_lo
	v_cmpx_gt_i32_e64 s2, v0
	s_cbranch_execnz .LBB285_55
.LBB285_38:
	s_or_b32 exec_lo, exec_lo, s0
	s_delay_alu instid0(SALU_CYCLE_1)
	s_mov_b32 s0, exec_lo
	v_cmpx_gt_i32_e64 s2, v0
	s_cbranch_execnz .LBB285_56
.LBB285_39:
	s_or_b32 exec_lo, exec_lo, s0
	s_delay_alu instid0(SALU_CYCLE_1)
	s_mov_b32 s0, exec_lo
	v_cmpx_gt_i32_e64 s2, v0
	s_cbranch_execnz .LBB285_57
.LBB285_40:
	s_or_b32 exec_lo, exec_lo, s0
	s_delay_alu instid0(SALU_CYCLE_1)
	s_mov_b32 s0, exec_lo
	v_cmpx_gt_i32_e64 s2, v0
	s_cbranch_execnz .LBB285_58
.LBB285_41:
	s_or_b32 exec_lo, exec_lo, s0
	s_delay_alu instid0(SALU_CYCLE_1)
	s_mov_b32 s0, exec_lo
	v_cmpx_gt_i32_e64 s2, v0
	s_cbranch_execnz .LBB285_59
.LBB285_42:
	s_or_b32 exec_lo, exec_lo, s0
	s_delay_alu instid0(SALU_CYCLE_1)
	s_mov_b32 s0, exec_lo
	v_cmpx_gt_i32_e64 s2, v0
	s_cbranch_execnz .LBB285_60
.LBB285_43:
	s_or_b32 exec_lo, exec_lo, s0
	s_delay_alu instid0(SALU_CYCLE_1)
	s_mov_b32 s0, exec_lo
	v_cmpx_gt_i32_e64 s2, v0
	s_cbranch_execnz .LBB285_61
.LBB285_44:
	s_or_b32 exec_lo, exec_lo, s0
	s_delay_alu instid0(SALU_CYCLE_1)
	s_mov_b32 s0, exec_lo
	v_cmpx_gt_i32_e64 s2, v0
	s_cbranch_execnz .LBB285_62
.LBB285_45:
	s_or_b32 exec_lo, exec_lo, s0
	s_delay_alu instid0(SALU_CYCLE_1)
	s_mov_b32 s0, exec_lo
	v_cmpx_gt_i32_e64 s2, v0
	s_cbranch_execnz .LBB285_63
.LBB285_46:
	s_or_b32 exec_lo, exec_lo, s0
	s_delay_alu instid0(SALU_CYCLE_1)
	s_mov_b32 s0, exec_lo
	v_cmpx_gt_i32_e64 s2, v0
	s_cbranch_execnz .LBB285_64
.LBB285_47:
	s_or_b32 exec_lo, exec_lo, s0
	s_delay_alu instid0(SALU_CYCLE_1)
	s_mov_b32 s0, exec_lo
	v_cmpx_gt_i32_e64 s2, v0
	s_cbranch_execnz .LBB285_65
.LBB285_48:
	s_or_b32 exec_lo, exec_lo, s0
	s_delay_alu instid0(SALU_CYCLE_1)
	s_mov_b32 s0, exec_lo
	v_cmpx_gt_i32_e64 s2, v0
	s_cbranch_execnz .LBB285_66
.LBB285_49:
	s_or_b32 exec_lo, exec_lo, s0
	s_delay_alu instid0(SALU_CYCLE_1)
	s_mov_b32 s0, exec_lo
	v_cmpx_gt_i32_e64 s2, v0
	s_cbranch_execnz .LBB285_67
.LBB285_50:
	s_or_b32 exec_lo, exec_lo, s0
	s_delay_alu instid0(SALU_CYCLE_1)
	s_mov_b32 s0, exec_lo
	v_cmpx_gt_i32_e64 s2, v0
	s_cbranch_execz .LBB285_52
.LBB285_51:
	v_add_nc_u32_e32 v0, s1, v0
	v_lshrrev_b32_e32 v1, 24, v1
	global_store_b8 v0, v1, s[4:5]
.LBB285_52:
	s_nop 0
	s_sendmsg sendmsg(MSG_DEALLOC_VGPRS)
	s_endpgm
.LBB285_53:
	v_mov_b32_e32 v0, v3
	global_store_b8 v2, v6, s[4:5]
	s_or_b32 exec_lo, exec_lo, s0
	s_delay_alu instid0(SALU_CYCLE_1)
	s_mov_b32 s0, exec_lo
	v_cmpx_gt_i32_e64 s2, v0
	s_cbranch_execz .LBB285_37
.LBB285_54:
	v_add_nc_u32_e32 v2, s1, v0
	v_lshrrev_b32_e32 v3, 8, v6
	v_add_nc_u32_e32 v0, 0x100, v0
	global_store_b8 v2, v3, s[4:5]
	s_or_b32 exec_lo, exec_lo, s0
	s_delay_alu instid0(SALU_CYCLE_1)
	s_mov_b32 s0, exec_lo
	v_cmpx_gt_i32_e64 s2, v0
	s_cbranch_execz .LBB285_38
.LBB285_55:
	v_add_nc_u32_e32 v2, s1, v0
	v_add_nc_u32_e32 v0, 0x100, v0
	global_store_d16_hi_b8 v2, v6, s[4:5]
	s_or_b32 exec_lo, exec_lo, s0
	s_delay_alu instid0(SALU_CYCLE_1)
	s_mov_b32 s0, exec_lo
	v_cmpx_gt_i32_e64 s2, v0
	s_cbranch_execz .LBB285_39
.LBB285_56:
	v_add_nc_u32_e32 v2, s1, v0
	v_lshrrev_b32_e32 v3, 24, v6
	v_add_nc_u32_e32 v0, 0x100, v0
	global_store_b8 v2, v3, s[4:5]
	s_or_b32 exec_lo, exec_lo, s0
	s_delay_alu instid0(SALU_CYCLE_1)
	s_mov_b32 s0, exec_lo
	v_cmpx_gt_i32_e64 s2, v0
	s_cbranch_execz .LBB285_40
.LBB285_57:
	v_add_nc_u32_e32 v2, s1, v0
	v_add_nc_u32_e32 v0, 0x100, v0
	global_store_b8 v2, v5, s[4:5]
	s_or_b32 exec_lo, exec_lo, s0
	s_delay_alu instid0(SALU_CYCLE_1)
	s_mov_b32 s0, exec_lo
	v_cmpx_gt_i32_e64 s2, v0
	s_cbranch_execz .LBB285_41
.LBB285_58:
	v_add_nc_u32_e32 v2, s1, v0
	v_lshrrev_b32_e32 v3, 8, v5
	v_add_nc_u32_e32 v0, 0x100, v0
	global_store_b8 v2, v3, s[4:5]
	s_or_b32 exec_lo, exec_lo, s0
	s_delay_alu instid0(SALU_CYCLE_1)
	s_mov_b32 s0, exec_lo
	v_cmpx_gt_i32_e64 s2, v0
	s_cbranch_execz .LBB285_42
.LBB285_59:
	v_add_nc_u32_e32 v2, s1, v0
	v_add_nc_u32_e32 v0, 0x100, v0
	global_store_d16_hi_b8 v2, v5, s[4:5]
	s_or_b32 exec_lo, exec_lo, s0
	s_delay_alu instid0(SALU_CYCLE_1)
	s_mov_b32 s0, exec_lo
	v_cmpx_gt_i32_e64 s2, v0
	s_cbranch_execz .LBB285_43
.LBB285_60:
	v_add_nc_u32_e32 v2, s1, v0
	v_lshrrev_b32_e32 v3, 24, v5
	v_add_nc_u32_e32 v0, 0x100, v0
	global_store_b8 v2, v3, s[4:5]
	s_or_b32 exec_lo, exec_lo, s0
	s_delay_alu instid0(SALU_CYCLE_1)
	s_mov_b32 s0, exec_lo
	v_cmpx_gt_i32_e64 s2, v0
	s_cbranch_execz .LBB285_44
.LBB285_61:
	v_add_nc_u32_e32 v2, s1, v0
	v_add_nc_u32_e32 v0, 0x100, v0
	global_store_b8 v2, v4, s[4:5]
	s_or_b32 exec_lo, exec_lo, s0
	s_delay_alu instid0(SALU_CYCLE_1)
	s_mov_b32 s0, exec_lo
	v_cmpx_gt_i32_e64 s2, v0
	s_cbranch_execz .LBB285_45
.LBB285_62:
	v_add_nc_u32_e32 v2, s1, v0
	v_lshrrev_b32_e32 v3, 8, v4
	v_add_nc_u32_e32 v0, 0x100, v0
	global_store_b8 v2, v3, s[4:5]
	s_or_b32 exec_lo, exec_lo, s0
	s_delay_alu instid0(SALU_CYCLE_1)
	s_mov_b32 s0, exec_lo
	v_cmpx_gt_i32_e64 s2, v0
	s_cbranch_execz .LBB285_46
.LBB285_63:
	v_add_nc_u32_e32 v2, s1, v0
	v_add_nc_u32_e32 v0, 0x100, v0
	global_store_d16_hi_b8 v2, v4, s[4:5]
	s_or_b32 exec_lo, exec_lo, s0
	s_delay_alu instid0(SALU_CYCLE_1)
	s_mov_b32 s0, exec_lo
	v_cmpx_gt_i32_e64 s2, v0
	s_cbranch_execz .LBB285_47
.LBB285_64:
	v_add_nc_u32_e32 v2, s1, v0
	v_lshrrev_b32_e32 v3, 24, v4
	v_add_nc_u32_e32 v0, 0x100, v0
	global_store_b8 v2, v3, s[4:5]
	s_or_b32 exec_lo, exec_lo, s0
	s_delay_alu instid0(SALU_CYCLE_1)
	s_mov_b32 s0, exec_lo
	v_cmpx_gt_i32_e64 s2, v0
	s_cbranch_execz .LBB285_48
.LBB285_65:
	v_add_nc_u32_e32 v2, s1, v0
	v_add_nc_u32_e32 v0, 0x100, v0
	global_store_b8 v2, v1, s[4:5]
	s_or_b32 exec_lo, exec_lo, s0
	s_delay_alu instid0(SALU_CYCLE_1)
	s_mov_b32 s0, exec_lo
	v_cmpx_gt_i32_e64 s2, v0
	s_cbranch_execz .LBB285_49
.LBB285_66:
	v_add_nc_u32_e32 v2, s1, v0
	v_lshrrev_b32_e32 v3, 8, v1
	v_add_nc_u32_e32 v0, 0x100, v0
	global_store_b8 v2, v3, s[4:5]
	s_or_b32 exec_lo, exec_lo, s0
	s_delay_alu instid0(SALU_CYCLE_1)
	s_mov_b32 s0, exec_lo
	v_cmpx_gt_i32_e64 s2, v0
	s_cbranch_execz .LBB285_50
.LBB285_67:
	v_add_nc_u32_e32 v2, s1, v0
	v_add_nc_u32_e32 v0, 0x100, v0
	global_store_d16_hi_b8 v2, v1, s[4:5]
	s_or_b32 exec_lo, exec_lo, s0
	s_delay_alu instid0(SALU_CYCLE_1)
	s_mov_b32 s0, exec_lo
	v_cmpx_gt_i32_e64 s2, v0
	s_cbranch_execnz .LBB285_51
	s_branch .LBB285_52
	.section	.rodata,"a",@progbits
	.p2align	6, 0x0
	.amdhsa_kernel _ZN2at6native29vectorized_elementwise_kernelILi2EZZZNS0_17clamp_kernel_cudaERNS_18TensorIteratorBaseERKN3c106ScalarES7_ENKUlvE_clEvENKUlvE0_clEvEUlaE_St5arrayIPcLm2EEEEviT0_T1_
		.amdhsa_group_segment_fixed_size 0
		.amdhsa_private_segment_fixed_size 0
		.amdhsa_kernarg_size 24
		.amdhsa_user_sgpr_count 15
		.amdhsa_user_sgpr_dispatch_ptr 0
		.amdhsa_user_sgpr_queue_ptr 0
		.amdhsa_user_sgpr_kernarg_segment_ptr 1
		.amdhsa_user_sgpr_dispatch_id 0
		.amdhsa_user_sgpr_private_segment_size 0
		.amdhsa_wavefront_size32 1
		.amdhsa_uses_dynamic_stack 0
		.amdhsa_enable_private_segment 0
		.amdhsa_system_sgpr_workgroup_id_x 1
		.amdhsa_system_sgpr_workgroup_id_y 0
		.amdhsa_system_sgpr_workgroup_id_z 0
		.amdhsa_system_sgpr_workgroup_info 0
		.amdhsa_system_vgpr_workitem_id 0
		.amdhsa_next_free_vgpr 22
		.amdhsa_next_free_sgpr 16
		.amdhsa_reserve_vcc 1
		.amdhsa_float_round_mode_32 0
		.amdhsa_float_round_mode_16_64 0
		.amdhsa_float_denorm_mode_32 3
		.amdhsa_float_denorm_mode_16_64 3
		.amdhsa_dx10_clamp 1
		.amdhsa_ieee_mode 1
		.amdhsa_fp16_overflow 0
		.amdhsa_workgroup_processor_mode 1
		.amdhsa_memory_ordered 1
		.amdhsa_forward_progress 0
		.amdhsa_shared_vgpr_count 0
		.amdhsa_exception_fp_ieee_invalid_op 0
		.amdhsa_exception_fp_denorm_src 0
		.amdhsa_exception_fp_ieee_div_zero 0
		.amdhsa_exception_fp_ieee_overflow 0
		.amdhsa_exception_fp_ieee_underflow 0
		.amdhsa_exception_fp_ieee_inexact 0
		.amdhsa_exception_int_div_zero 0
	.end_amdhsa_kernel
	.section	.text._ZN2at6native29vectorized_elementwise_kernelILi2EZZZNS0_17clamp_kernel_cudaERNS_18TensorIteratorBaseERKN3c106ScalarES7_ENKUlvE_clEvENKUlvE0_clEvEUlaE_St5arrayIPcLm2EEEEviT0_T1_,"axG",@progbits,_ZN2at6native29vectorized_elementwise_kernelILi2EZZZNS0_17clamp_kernel_cudaERNS_18TensorIteratorBaseERKN3c106ScalarES7_ENKUlvE_clEvENKUlvE0_clEvEUlaE_St5arrayIPcLm2EEEEviT0_T1_,comdat
.Lfunc_end285:
	.size	_ZN2at6native29vectorized_elementwise_kernelILi2EZZZNS0_17clamp_kernel_cudaERNS_18TensorIteratorBaseERKN3c106ScalarES7_ENKUlvE_clEvENKUlvE0_clEvEUlaE_St5arrayIPcLm2EEEEviT0_T1_, .Lfunc_end285-_ZN2at6native29vectorized_elementwise_kernelILi2EZZZNS0_17clamp_kernel_cudaERNS_18TensorIteratorBaseERKN3c106ScalarES7_ENKUlvE_clEvENKUlvE0_clEvEUlaE_St5arrayIPcLm2EEEEviT0_T1_
                                        ; -- End function
	.section	.AMDGPU.csdata,"",@progbits
; Kernel info:
; codeLenInByte = 3828
; NumSgprs: 18
; NumVgprs: 22
; ScratchSize: 0
; MemoryBound: 0
; FloatMode: 240
; IeeeMode: 1
; LDSByteSize: 0 bytes/workgroup (compile time only)
; SGPRBlocks: 2
; VGPRBlocks: 2
; NumSGPRsForWavesPerEU: 18
; NumVGPRsForWavesPerEU: 22
; Occupancy: 16
; WaveLimiterHint : 1
; COMPUTE_PGM_RSRC2:SCRATCH_EN: 0
; COMPUTE_PGM_RSRC2:USER_SGPR: 15
; COMPUTE_PGM_RSRC2:TRAP_HANDLER: 0
; COMPUTE_PGM_RSRC2:TGID_X_EN: 1
; COMPUTE_PGM_RSRC2:TGID_Y_EN: 0
; COMPUTE_PGM_RSRC2:TGID_Z_EN: 0
; COMPUTE_PGM_RSRC2:TIDIG_COMP_CNT: 0
	.section	.text._ZN2at6native27unrolled_elementwise_kernelIZZZNS0_17clamp_kernel_cudaERNS_18TensorIteratorBaseERKN3c106ScalarES7_ENKUlvE_clEvENKUlvE0_clEvEUlaE_St5arrayIPcLm2EELi4E23TrivialOffsetCalculatorILi1EjESF_NS0_6memory15LoadWithoutCastENSG_16StoreWithoutCastEEEviT_T0_T2_T3_T4_T5_,"axG",@progbits,_ZN2at6native27unrolled_elementwise_kernelIZZZNS0_17clamp_kernel_cudaERNS_18TensorIteratorBaseERKN3c106ScalarES7_ENKUlvE_clEvENKUlvE0_clEvEUlaE_St5arrayIPcLm2EELi4E23TrivialOffsetCalculatorILi1EjESF_NS0_6memory15LoadWithoutCastENSG_16StoreWithoutCastEEEviT_T0_T2_T3_T4_T5_,comdat
	.globl	_ZN2at6native27unrolled_elementwise_kernelIZZZNS0_17clamp_kernel_cudaERNS_18TensorIteratorBaseERKN3c106ScalarES7_ENKUlvE_clEvENKUlvE0_clEvEUlaE_St5arrayIPcLm2EELi4E23TrivialOffsetCalculatorILi1EjESF_NS0_6memory15LoadWithoutCastENSG_16StoreWithoutCastEEEviT_T0_T2_T3_T4_T5_ ; -- Begin function _ZN2at6native27unrolled_elementwise_kernelIZZZNS0_17clamp_kernel_cudaERNS_18TensorIteratorBaseERKN3c106ScalarES7_ENKUlvE_clEvENKUlvE0_clEvEUlaE_St5arrayIPcLm2EELi4E23TrivialOffsetCalculatorILi1EjESF_NS0_6memory15LoadWithoutCastENSG_16StoreWithoutCastEEEviT_T0_T2_T3_T4_T5_
	.p2align	8
	.type	_ZN2at6native27unrolled_elementwise_kernelIZZZNS0_17clamp_kernel_cudaERNS_18TensorIteratorBaseERKN3c106ScalarES7_ENKUlvE_clEvENKUlvE0_clEvEUlaE_St5arrayIPcLm2EELi4E23TrivialOffsetCalculatorILi1EjESF_NS0_6memory15LoadWithoutCastENSG_16StoreWithoutCastEEEviT_T0_T2_T3_T4_T5_,@function
_ZN2at6native27unrolled_elementwise_kernelIZZZNS0_17clamp_kernel_cudaERNS_18TensorIteratorBaseERKN3c106ScalarES7_ENKUlvE_clEvENKUlvE0_clEvEUlaE_St5arrayIPcLm2EELi4E23TrivialOffsetCalculatorILi1EjESF_NS0_6memory15LoadWithoutCastENSG_16StoreWithoutCastEEEviT_T0_T2_T3_T4_T5_: ; @_ZN2at6native27unrolled_elementwise_kernelIZZZNS0_17clamp_kernel_cudaERNS_18TensorIteratorBaseERKN3c106ScalarES7_ENKUlvE_clEvENKUlvE0_clEvEUlaE_St5arrayIPcLm2EELi4E23TrivialOffsetCalculatorILi1EjESF_NS0_6memory15LoadWithoutCastENSG_16StoreWithoutCastEEEviT_T0_T2_T3_T4_T5_
; %bb.0:
	v_dual_mov_b32 v4, 0 :: v_dual_mov_b32 v7, v0
	s_clause 0x1
	s_load_b32 s2, s[0:1], 0x0
	s_load_b128 s[4:7], s[0:1], 0x8
	v_or_b32_e32 v2, 0x100, v0
	v_mov_b32_e32 v6, 0
	global_load_u16 v3, v4, s[0:1] offset:4
	s_lshl_b32 s1, s15, 10
	s_delay_alu instid0(SALU_CYCLE_1) | instskip(SKIP_2) | instid1(SALU_CYCLE_1)
	v_or_b32_e32 v1, s1, v0
	s_waitcnt lgkmcnt(0)
	s_sub_i32 s2, s2, s1
	v_cmp_gt_i32_e32 vcc_lo, s2, v0
	s_and_saveexec_b32 s0, vcc_lo
	s_cbranch_execz .LBB286_2
; %bb.1:
	global_load_u8 v6, v1, s[6:7]
	v_or_b32_e32 v7, 0x100, v0
.LBB286_2:
	s_or_b32 exec_lo, exec_lo, s0
	s_delay_alu instid0(SALU_CYCLE_1) | instskip(NEXT) | instid1(VALU_DEP_1)
	s_mov_b32 s3, exec_lo
	v_cmpx_gt_i32_e64 s2, v7
	s_cbranch_execz .LBB286_4
; %bb.3:
	v_add_nc_u32_e32 v4, s1, v7
	v_add_nc_u32_e32 v7, 0x100, v7
	global_load_u8 v4, v4, s[6:7]
.LBB286_4:
	s_or_b32 exec_lo, exec_lo, s3
	v_dual_mov_b32 v5, 0 :: v_dual_mov_b32 v8, 0
	s_mov_b32 s3, exec_lo
	v_cmpx_gt_i32_e64 s2, v7
	s_cbranch_execz .LBB286_6
; %bb.5:
	v_add_nc_u32_e32 v8, s1, v7
	v_add_nc_u32_e32 v7, 0x100, v7
	global_load_u8 v8, v8, s[6:7]
.LBB286_6:
	s_or_b32 exec_lo, exec_lo, s3
	s_delay_alu instid0(SALU_CYCLE_1)
	s_mov_b32 s3, exec_lo
	v_cmpx_gt_i32_e64 s2, v7
	s_cbranch_execz .LBB286_8
; %bb.7:
	v_add_nc_u32_e32 v5, s1, v7
	global_load_u8 v5, v5, s[6:7]
.LBB286_8:
	s_or_b32 exec_lo, exec_lo, s3
	s_waitcnt vmcnt(0)
	v_bfe_i32 v7, v3, 0, 8
	v_bfe_i32 v6, v6, 0, 8
	v_bfe_i32 v4, v4, 0, 8
	v_ashrrev_i16 v3, 8, v3
	v_bfe_i32 v8, v8, 0, 8
	v_cmp_gt_i32_e64 s0, s2, v2
	v_max_i16 v6, v6, v7
	v_max_i16 v4, v4, v7
	v_bfe_i32 v5, v5, 0, 8
	v_max_i16 v8, v8, v7
	s_delay_alu instid0(VALU_DEP_4) | instskip(NEXT) | instid1(VALU_DEP_4)
	v_min_i16 v6, v6, v3
	v_min_i16 v4, v4, v3
	s_delay_alu instid0(VALU_DEP_4) | instskip(NEXT) | instid1(VALU_DEP_4)
	v_max_i16 v5, v5, v7
	v_min_i16 v8, v8, v3
	s_delay_alu instid0(VALU_DEP_4) | instskip(NEXT) | instid1(VALU_DEP_4)
	v_and_b32_e32 v6, 0xff, v6
	v_lshlrev_b16 v4, 8, v4
	s_delay_alu instid0(VALU_DEP_4) | instskip(NEXT) | instid1(VALU_DEP_4)
	v_min_i16 v3, v5, v3
	v_and_b32_e32 v8, 0xff, v8
	s_delay_alu instid0(VALU_DEP_3) | instskip(SKIP_1) | instid1(VALU_DEP_3)
	v_or_b32_e32 v4, v6, v4
	v_and_b32_e32 v6, 0xffff, v6
	v_lshlrev_b32_e32 v8, 16, v8
	v_lshlrev_b16 v3, 8, v3
	s_delay_alu instid0(VALU_DEP_4) | instskip(NEXT) | instid1(VALU_DEP_1)
	v_and_b32_e32 v4, 0xffff, v4
	v_cndmask_b32_e64 v4, v6, v4, s0
	v_or_b32_e32 v6, 0x200, v0
	s_delay_alu instid0(VALU_DEP_2) | instskip(NEXT) | instid1(VALU_DEP_2)
	v_or_b32_e32 v8, v4, v8
	v_cmp_gt_i32_e64 s0, s2, v6
	s_delay_alu instid0(VALU_DEP_1) | instskip(NEXT) | instid1(VALU_DEP_1)
	v_cndmask_b32_e64 v4, v4, v8, s0
	v_lshrrev_b32_e32 v6, 16, v4
	s_delay_alu instid0(VALU_DEP_1) | instskip(NEXT) | instid1(VALU_DEP_1)
	v_and_b32_e32 v5, 0xff, v6
	v_or_b32_e32 v3, v5, v3
	v_or_b32_e32 v5, 0x300, v0
	s_delay_alu instid0(VALU_DEP_2) | instskip(NEXT) | instid1(VALU_DEP_2)
	v_lshlrev_b32_e32 v3, 16, v3
	v_cmp_gt_i32_e64 s0, s2, v5
	s_delay_alu instid0(VALU_DEP_2) | instskip(NEXT) | instid1(VALU_DEP_1)
	v_and_or_b32 v3, 0xffff, v4, v3
	v_cndmask_b32_e64 v3, v4, v3, s0
	s_and_saveexec_b32 s0, vcc_lo
	s_cbranch_execnz .LBB286_13
; %bb.9:
	s_or_b32 exec_lo, exec_lo, s0
	s_delay_alu instid0(SALU_CYCLE_1)
	s_mov_b32 s0, exec_lo
	v_cmpx_gt_i32_e64 s2, v0
	s_cbranch_execnz .LBB286_14
.LBB286_10:
	s_or_b32 exec_lo, exec_lo, s0
	s_delay_alu instid0(SALU_CYCLE_1)
	s_mov_b32 s0, exec_lo
	v_cmpx_gt_i32_e64 s2, v0
	s_cbranch_execnz .LBB286_15
.LBB286_11:
	s_or_b32 exec_lo, exec_lo, s0
	s_delay_alu instid0(SALU_CYCLE_1)
	s_mov_b32 s0, exec_lo
	v_cmpx_gt_i32_e64 s2, v0
	s_cbranch_execnz .LBB286_16
.LBB286_12:
	s_nop 0
	s_sendmsg sendmsg(MSG_DEALLOC_VGPRS)
	s_endpgm
.LBB286_13:
	v_mov_b32_e32 v0, v2
	global_store_b8 v1, v3, s[4:5]
	s_or_b32 exec_lo, exec_lo, s0
	s_delay_alu instid0(SALU_CYCLE_1)
	s_mov_b32 s0, exec_lo
	v_cmpx_gt_i32_e64 s2, v0
	s_cbranch_execz .LBB286_10
.LBB286_14:
	v_add_nc_u32_e32 v1, 0x100, v0
	v_lshrrev_b32_e32 v2, 8, v3
	v_add_nc_u32_e32 v4, s1, v0
	s_delay_alu instid0(VALU_DEP_3) | instskip(SKIP_2) | instid1(SALU_CYCLE_1)
	v_mov_b32_e32 v0, v1
	global_store_b8 v4, v2, s[4:5]
	s_or_b32 exec_lo, exec_lo, s0
	s_mov_b32 s0, exec_lo
	v_cmpx_gt_i32_e64 s2, v0
	s_cbranch_execz .LBB286_11
.LBB286_15:
	v_add_nc_u32_e32 v1, 0x100, v0
	v_add_nc_u32_e32 v2, s1, v0
	s_delay_alu instid0(VALU_DEP_2) | instskip(SKIP_2) | instid1(SALU_CYCLE_1)
	v_mov_b32_e32 v0, v1
	global_store_d16_hi_b8 v2, v3, s[4:5]
	s_or_b32 exec_lo, exec_lo, s0
	s_mov_b32 s0, exec_lo
	v_cmpx_gt_i32_e64 s2, v0
	s_cbranch_execz .LBB286_12
.LBB286_16:
	v_lshrrev_b32_e32 v1, 24, v3
	v_add_nc_u32_e32 v0, s1, v0
	global_store_b8 v0, v1, s[4:5]
	s_nop 0
	s_sendmsg sendmsg(MSG_DEALLOC_VGPRS)
	s_endpgm
	.section	.rodata,"a",@progbits
	.p2align	6, 0x0
	.amdhsa_kernel _ZN2at6native27unrolled_elementwise_kernelIZZZNS0_17clamp_kernel_cudaERNS_18TensorIteratorBaseERKN3c106ScalarES7_ENKUlvE_clEvENKUlvE0_clEvEUlaE_St5arrayIPcLm2EELi4E23TrivialOffsetCalculatorILi1EjESF_NS0_6memory15LoadWithoutCastENSG_16StoreWithoutCastEEEviT_T0_T2_T3_T4_T5_
		.amdhsa_group_segment_fixed_size 0
		.amdhsa_private_segment_fixed_size 0
		.amdhsa_kernarg_size 28
		.amdhsa_user_sgpr_count 15
		.amdhsa_user_sgpr_dispatch_ptr 0
		.amdhsa_user_sgpr_queue_ptr 0
		.amdhsa_user_sgpr_kernarg_segment_ptr 1
		.amdhsa_user_sgpr_dispatch_id 0
		.amdhsa_user_sgpr_private_segment_size 0
		.amdhsa_wavefront_size32 1
		.amdhsa_uses_dynamic_stack 0
		.amdhsa_enable_private_segment 0
		.amdhsa_system_sgpr_workgroup_id_x 1
		.amdhsa_system_sgpr_workgroup_id_y 0
		.amdhsa_system_sgpr_workgroup_id_z 0
		.amdhsa_system_sgpr_workgroup_info 0
		.amdhsa_system_vgpr_workitem_id 0
		.amdhsa_next_free_vgpr 9
		.amdhsa_next_free_sgpr 16
		.amdhsa_reserve_vcc 1
		.amdhsa_float_round_mode_32 0
		.amdhsa_float_round_mode_16_64 0
		.amdhsa_float_denorm_mode_32 3
		.amdhsa_float_denorm_mode_16_64 3
		.amdhsa_dx10_clamp 1
		.amdhsa_ieee_mode 1
		.amdhsa_fp16_overflow 0
		.amdhsa_workgroup_processor_mode 1
		.amdhsa_memory_ordered 1
		.amdhsa_forward_progress 0
		.amdhsa_shared_vgpr_count 0
		.amdhsa_exception_fp_ieee_invalid_op 0
		.amdhsa_exception_fp_denorm_src 0
		.amdhsa_exception_fp_ieee_div_zero 0
		.amdhsa_exception_fp_ieee_overflow 0
		.amdhsa_exception_fp_ieee_underflow 0
		.amdhsa_exception_fp_ieee_inexact 0
		.amdhsa_exception_int_div_zero 0
	.end_amdhsa_kernel
	.section	.text._ZN2at6native27unrolled_elementwise_kernelIZZZNS0_17clamp_kernel_cudaERNS_18TensorIteratorBaseERKN3c106ScalarES7_ENKUlvE_clEvENKUlvE0_clEvEUlaE_St5arrayIPcLm2EELi4E23TrivialOffsetCalculatorILi1EjESF_NS0_6memory15LoadWithoutCastENSG_16StoreWithoutCastEEEviT_T0_T2_T3_T4_T5_,"axG",@progbits,_ZN2at6native27unrolled_elementwise_kernelIZZZNS0_17clamp_kernel_cudaERNS_18TensorIteratorBaseERKN3c106ScalarES7_ENKUlvE_clEvENKUlvE0_clEvEUlaE_St5arrayIPcLm2EELi4E23TrivialOffsetCalculatorILi1EjESF_NS0_6memory15LoadWithoutCastENSG_16StoreWithoutCastEEEviT_T0_T2_T3_T4_T5_,comdat
.Lfunc_end286:
	.size	_ZN2at6native27unrolled_elementwise_kernelIZZZNS0_17clamp_kernel_cudaERNS_18TensorIteratorBaseERKN3c106ScalarES7_ENKUlvE_clEvENKUlvE0_clEvEUlaE_St5arrayIPcLm2EELi4E23TrivialOffsetCalculatorILi1EjESF_NS0_6memory15LoadWithoutCastENSG_16StoreWithoutCastEEEviT_T0_T2_T3_T4_T5_, .Lfunc_end286-_ZN2at6native27unrolled_elementwise_kernelIZZZNS0_17clamp_kernel_cudaERNS_18TensorIteratorBaseERKN3c106ScalarES7_ENKUlvE_clEvENKUlvE0_clEvEUlaE_St5arrayIPcLm2EELi4E23TrivialOffsetCalculatorILi1EjESF_NS0_6memory15LoadWithoutCastENSG_16StoreWithoutCastEEEviT_T0_T2_T3_T4_T5_
                                        ; -- End function
	.section	.AMDGPU.csdata,"",@progbits
; Kernel info:
; codeLenInByte = 800
; NumSgprs: 18
; NumVgprs: 9
; ScratchSize: 0
; MemoryBound: 0
; FloatMode: 240
; IeeeMode: 1
; LDSByteSize: 0 bytes/workgroup (compile time only)
; SGPRBlocks: 2
; VGPRBlocks: 1
; NumSGPRsForWavesPerEU: 18
; NumVGPRsForWavesPerEU: 9
; Occupancy: 16
; WaveLimiterHint : 0
; COMPUTE_PGM_RSRC2:SCRATCH_EN: 0
; COMPUTE_PGM_RSRC2:USER_SGPR: 15
; COMPUTE_PGM_RSRC2:TRAP_HANDLER: 0
; COMPUTE_PGM_RSRC2:TGID_X_EN: 1
; COMPUTE_PGM_RSRC2:TGID_Y_EN: 0
; COMPUTE_PGM_RSRC2:TGID_Z_EN: 0
; COMPUTE_PGM_RSRC2:TIDIG_COMP_CNT: 0
	.section	.text._ZN2at6native32elementwise_kernel_manual_unrollILi128ELi8EZNS0_22gpu_kernel_impl_nocastIZZZNS0_17clamp_kernel_cudaERNS_18TensorIteratorBaseERKN3c106ScalarES8_ENKUlvE_clEvENKUlvE0_clEvEUlaE_EEvS4_RKT_EUlibE_EEviT1_,"axG",@progbits,_ZN2at6native32elementwise_kernel_manual_unrollILi128ELi8EZNS0_22gpu_kernel_impl_nocastIZZZNS0_17clamp_kernel_cudaERNS_18TensorIteratorBaseERKN3c106ScalarES8_ENKUlvE_clEvENKUlvE0_clEvEUlaE_EEvS4_RKT_EUlibE_EEviT1_,comdat
	.globl	_ZN2at6native32elementwise_kernel_manual_unrollILi128ELi8EZNS0_22gpu_kernel_impl_nocastIZZZNS0_17clamp_kernel_cudaERNS_18TensorIteratorBaseERKN3c106ScalarES8_ENKUlvE_clEvENKUlvE0_clEvEUlaE_EEvS4_RKT_EUlibE_EEviT1_ ; -- Begin function _ZN2at6native32elementwise_kernel_manual_unrollILi128ELi8EZNS0_22gpu_kernel_impl_nocastIZZZNS0_17clamp_kernel_cudaERNS_18TensorIteratorBaseERKN3c106ScalarES8_ENKUlvE_clEvENKUlvE0_clEvEUlaE_EEvS4_RKT_EUlibE_EEviT1_
	.p2align	8
	.type	_ZN2at6native32elementwise_kernel_manual_unrollILi128ELi8EZNS0_22gpu_kernel_impl_nocastIZZZNS0_17clamp_kernel_cudaERNS_18TensorIteratorBaseERKN3c106ScalarES8_ENKUlvE_clEvENKUlvE0_clEvEUlaE_EEvS4_RKT_EUlibE_EEviT1_,@function
_ZN2at6native32elementwise_kernel_manual_unrollILi128ELi8EZNS0_22gpu_kernel_impl_nocastIZZZNS0_17clamp_kernel_cudaERNS_18TensorIteratorBaseERKN3c106ScalarES8_ENKUlvE_clEvENKUlvE0_clEvEUlaE_EEvS4_RKT_EUlibE_EEviT1_: ; @_ZN2at6native32elementwise_kernel_manual_unrollILi128ELi8EZNS0_22gpu_kernel_impl_nocastIZZZNS0_17clamp_kernel_cudaERNS_18TensorIteratorBaseERKN3c106ScalarES8_ENKUlvE_clEvENKUlvE0_clEvEUlaE_EEvS4_RKT_EUlibE_EEviT1_
; %bb.0:
	s_clause 0x1
	s_load_b32 s22, s[0:1], 0x8
	s_load_b32 s29, s[0:1], 0x0
	v_lshl_or_b32 v12, s15, 10, v0
	s_or_b32 s0, s0, 8
	s_mov_b32 s2, exec_lo
	s_delay_alu instid0(VALU_DEP_1) | instskip(SKIP_2) | instid1(SALU_CYCLE_1)
	v_or_b32_e32 v16, 0x380, v12
	s_waitcnt lgkmcnt(0)
	s_add_i32 s23, s22, -1
	s_cmp_gt_u32 s23, 1
	s_cselect_b32 s24, -1, 0
	v_cmpx_le_i32_e64 s29, v16
	s_xor_b32 s25, exec_lo, s2
	s_cbranch_execz .LBB287_7
; %bb.1:
	s_clause 0x4
	s_load_b32 s26, s[0:1], 0x158
	s_load_b128 s[12:15], s[0:1], 0x4
	s_load_b64 s[2:3], s[0:1], 0x14
	s_load_b128 s[8:11], s[0:1], 0xc4
	s_load_b128 s[4:7], s[0:1], 0x148
	s_cmp_lg_u32 s22, 0
	s_mov_b32 s33, exec_lo
	s_cselect_b32 s31, -1, 0
	s_add_u32 s16, s0, 0xc4
	s_addc_u32 s17, s1, 0
	s_min_u32 s30, s23, 15
	s_cmp_gt_u32 s22, 1
	s_cselect_b32 s28, -1, 0
	s_waitcnt lgkmcnt(0)
	v_lshrrev_b16 v0, 8, s26
	s_delay_alu instid0(VALU_DEP_1)
	v_readfirstlane_b32 s27, v0
	v_cmpx_gt_i32_e64 s29, v12
	s_cbranch_execz .LBB287_14
; %bb.2:
	s_and_not1_b32 vcc_lo, exec_lo, s24
	s_cbranch_vccnz .LBB287_21
; %bb.3:
	v_dual_mov_b32 v0, 0 :: v_dual_mov_b32 v1, 0
	s_and_not1_b32 vcc_lo, exec_lo, s31
	s_mov_b32 s34, 0
	s_cbranch_vccnz .LBB287_125
; %bb.4:
	v_mov_b32_e32 v0, 0
	s_add_i32 s36, s30, 1
	s_cmp_eq_u32 s23, 2
	s_mov_b32 s35, 0
	s_cbranch_scc1 .LBB287_121
; %bb.5:
	v_dual_mov_b32 v1, 0 :: v_dual_mov_b32 v0, 0
	v_mov_b32_e32 v2, v12
	s_and_b32 s35, s36, 28
	s_mov_b32 s37, 0
	s_mov_b64 s[18:19], s[16:17]
	s_mov_b64 s[20:21], s[0:1]
.LBB287_6:                              ; =>This Inner Loop Header: Depth=1
	s_clause 0x1
	s_load_b256 s[40:47], s[20:21], 0x4
	s_load_b128 s[56:59], s[20:21], 0x24
	s_load_b256 s[48:55], s[18:19], 0x0
	s_add_u32 s20, s20, 48
	s_addc_u32 s21, s21, 0
	s_add_i32 s37, s37, 4
	s_add_u32 s18, s18, 32
	s_addc_u32 s19, s19, 0
	s_cmp_lg_u32 s35, s37
	s_waitcnt lgkmcnt(0)
	v_mul_hi_u32 v3, s41, v2
	s_delay_alu instid0(VALU_DEP_1) | instskip(NEXT) | instid1(VALU_DEP_1)
	v_add_nc_u32_e32 v3, v2, v3
	v_lshrrev_b32_e32 v3, s42, v3
	s_delay_alu instid0(VALU_DEP_1) | instskip(SKIP_1) | instid1(VALU_DEP_2)
	v_mul_hi_u32 v4, s44, v3
	v_mul_lo_u32 v6, v3, s40
	v_add_nc_u32_e32 v4, v3, v4
	s_delay_alu instid0(VALU_DEP_2) | instskip(NEXT) | instid1(VALU_DEP_2)
	v_sub_nc_u32_e32 v2, v2, v6
	v_lshrrev_b32_e32 v4, s45, v4
	s_delay_alu instid0(VALU_DEP_2) | instskip(SKIP_1) | instid1(VALU_DEP_3)
	v_mul_lo_u32 v6, v2, s48
	v_mul_lo_u32 v8, v2, s49
	v_mul_hi_u32 v5, s47, v4
	s_delay_alu instid0(VALU_DEP_1) | instskip(NEXT) | instid1(VALU_DEP_1)
	v_add_nc_u32_e32 v5, v4, v5
	v_lshrrev_b32_e32 v5, s56, v5
	s_delay_alu instid0(VALU_DEP_1) | instskip(SKIP_1) | instid1(VALU_DEP_2)
	v_mul_hi_u32 v7, s58, v5
	v_mul_lo_u32 v9, v5, s46
	v_add_nc_u32_e32 v2, v5, v7
	v_mul_lo_u32 v7, v4, s43
	s_delay_alu instid0(VALU_DEP_3) | instskip(NEXT) | instid1(VALU_DEP_3)
	v_sub_nc_u32_e32 v4, v4, v9
	v_lshrrev_b32_e32 v2, s59, v2
	s_delay_alu instid0(VALU_DEP_2) | instskip(SKIP_2) | instid1(VALU_DEP_4)
	v_mul_lo_u32 v9, v4, s52
	v_mul_lo_u32 v4, v4, s53
	v_sub_nc_u32_e32 v3, v3, v7
	v_mul_lo_u32 v10, v2, s57
	s_delay_alu instid0(VALU_DEP_2) | instskip(SKIP_1) | instid1(VALU_DEP_3)
	v_mul_lo_u32 v7, v3, s50
	v_mul_lo_u32 v3, v3, s51
	v_sub_nc_u32_e32 v5, v5, v10
	s_delay_alu instid0(VALU_DEP_3) | instskip(NEXT) | instid1(VALU_DEP_2)
	v_add3_u32 v0, v6, v0, v7
	v_mul_lo_u32 v10, v5, s54
	v_mul_lo_u32 v5, v5, s55
	v_add3_u32 v1, v8, v1, v3
	s_delay_alu instid0(VALU_DEP_3) | instskip(NEXT) | instid1(VALU_DEP_2)
	v_add3_u32 v0, v9, v0, v10
	v_add3_u32 v1, v4, v1, v5
	s_cbranch_scc1 .LBB287_6
	s_branch .LBB287_122
.LBB287_7:
	s_and_not1_saveexec_b32 s2, s25
	s_cbranch_execz .LBB287_206
.LBB287_8:
	v_cndmask_b32_e64 v14, 0, 1, s24
	s_and_not1_b32 vcc_lo, exec_lo, s24
	s_cbranch_vccnz .LBB287_20
; %bb.9:
	v_dual_mov_b32 v0, 0 :: v_dual_mov_b32 v1, 0
	s_cmp_lg_u32 s22, 0
	s_mov_b32 s6, 0
	s_cbranch_scc0 .LBB287_26
; %bb.10:
	s_min_u32 s7, s23, 15
	v_mov_b32_e32 v0, 0
	s_add_i32 s7, s7, 1
	s_cmp_eq_u32 s23, 2
	s_mov_b32 s8, 0
	s_cbranch_scc1 .LBB287_23
; %bb.11:
	v_dual_mov_b32 v1, 0 :: v_dual_mov_b32 v0, 0
	v_mov_b32_e32 v2, v12
	s_add_u32 s2, s0, 0xc4
	s_addc_u32 s3, s1, 0
	s_and_b32 s8, s7, 28
	s_mov_b32 s9, 0
	s_mov_b64 s[4:5], s[0:1]
.LBB287_12:                             ; =>This Inner Loop Header: Depth=1
	s_clause 0x1
	s_load_b256 s[12:19], s[4:5], 0x4
	s_load_b128 s[36:39], s[4:5], 0x24
	s_load_b256 s[24:31], s[2:3], 0x0
	s_add_u32 s4, s4, 48
	s_addc_u32 s5, s5, 0
	s_add_i32 s9, s9, 4
	s_add_u32 s2, s2, 32
	s_addc_u32 s3, s3, 0
	s_cmp_lg_u32 s8, s9
	s_waitcnt lgkmcnt(0)
	v_mul_hi_u32 v3, s13, v2
	s_delay_alu instid0(VALU_DEP_1) | instskip(NEXT) | instid1(VALU_DEP_1)
	v_add_nc_u32_e32 v3, v2, v3
	v_lshrrev_b32_e32 v3, s14, v3
	s_delay_alu instid0(VALU_DEP_1) | instskip(SKIP_1) | instid1(VALU_DEP_2)
	v_mul_hi_u32 v4, s16, v3
	v_mul_lo_u32 v6, v3, s12
	v_add_nc_u32_e32 v4, v3, v4
	s_delay_alu instid0(VALU_DEP_2) | instskip(NEXT) | instid1(VALU_DEP_2)
	v_sub_nc_u32_e32 v2, v2, v6
	v_lshrrev_b32_e32 v4, s17, v4
	s_delay_alu instid0(VALU_DEP_2) | instskip(SKIP_1) | instid1(VALU_DEP_3)
	v_mul_lo_u32 v6, v2, s24
	v_mul_lo_u32 v8, v2, s25
	v_mul_hi_u32 v5, s19, v4
	s_delay_alu instid0(VALU_DEP_1) | instskip(NEXT) | instid1(VALU_DEP_1)
	v_add_nc_u32_e32 v5, v4, v5
	v_lshrrev_b32_e32 v5, s36, v5
	s_delay_alu instid0(VALU_DEP_1) | instskip(SKIP_1) | instid1(VALU_DEP_2)
	v_mul_hi_u32 v7, s38, v5
	v_mul_lo_u32 v9, v5, s18
	v_add_nc_u32_e32 v2, v5, v7
	v_mul_lo_u32 v7, v4, s15
	s_delay_alu instid0(VALU_DEP_3) | instskip(NEXT) | instid1(VALU_DEP_3)
	v_sub_nc_u32_e32 v4, v4, v9
	v_lshrrev_b32_e32 v2, s39, v2
	s_delay_alu instid0(VALU_DEP_2) | instskip(SKIP_2) | instid1(VALU_DEP_4)
	v_mul_lo_u32 v9, v4, s28
	v_mul_lo_u32 v4, v4, s29
	v_sub_nc_u32_e32 v3, v3, v7
	v_mul_lo_u32 v10, v2, s37
	s_delay_alu instid0(VALU_DEP_2) | instskip(SKIP_1) | instid1(VALU_DEP_3)
	v_mul_lo_u32 v7, v3, s26
	v_mul_lo_u32 v3, v3, s27
	v_sub_nc_u32_e32 v5, v5, v10
	s_delay_alu instid0(VALU_DEP_3) | instskip(NEXT) | instid1(VALU_DEP_2)
	v_add3_u32 v0, v6, v0, v7
	v_mul_lo_u32 v10, v5, s30
	v_mul_lo_u32 v5, v5, s31
	v_add3_u32 v1, v8, v1, v3
	s_delay_alu instid0(VALU_DEP_3) | instskip(NEXT) | instid1(VALU_DEP_2)
	v_add3_u32 v0, v9, v0, v10
	v_add3_u32 v1, v4, v1, v5
	s_cbranch_scc1 .LBB287_12
; %bb.13:
	s_and_b32 s7, s7, 3
	s_delay_alu instid0(SALU_CYCLE_1)
	s_cmp_eq_u32 s7, 0
	s_cbranch_scc0 .LBB287_24
	s_branch .LBB287_26
.LBB287_14:
	s_or_b32 exec_lo, exec_lo, s33
	s_delay_alu instid0(SALU_CYCLE_1)
	s_mov_b32 s33, exec_lo
	v_cmpx_gt_i32_e64 s29, v12
	s_cbranch_execz .LBB287_129
.LBB287_15:
	s_and_not1_b32 vcc_lo, exec_lo, s24
	s_cbranch_vccnz .LBB287_22
; %bb.16:
	v_dual_mov_b32 v0, 0 :: v_dual_mov_b32 v1, 0
	s_and_not1_b32 vcc_lo, exec_lo, s31
	s_mov_b32 s34, 0
	s_cbranch_vccnz .LBB287_140
; %bb.17:
	v_mov_b32_e32 v0, 0
	s_add_i32 s36, s30, 1
	s_cmp_eq_u32 s23, 2
	s_mov_b32 s35, 0
	s_cbranch_scc1 .LBB287_136
; %bb.18:
	v_dual_mov_b32 v1, 0 :: v_dual_mov_b32 v0, 0
	v_mov_b32_e32 v2, v12
	s_and_b32 s35, s36, 28
	s_mov_b32 s37, 0
	s_mov_b64 s[18:19], s[16:17]
	s_mov_b64 s[20:21], s[0:1]
.LBB287_19:                             ; =>This Inner Loop Header: Depth=1
	s_clause 0x1
	s_load_b256 s[40:47], s[20:21], 0x4
	s_load_b128 s[56:59], s[20:21], 0x24
	s_load_b256 s[48:55], s[18:19], 0x0
	s_add_u32 s20, s20, 48
	s_addc_u32 s21, s21, 0
	s_add_i32 s37, s37, 4
	s_add_u32 s18, s18, 32
	s_addc_u32 s19, s19, 0
	s_cmp_eq_u32 s35, s37
	s_waitcnt lgkmcnt(0)
	v_mul_hi_u32 v3, s41, v2
	s_delay_alu instid0(VALU_DEP_1) | instskip(NEXT) | instid1(VALU_DEP_1)
	v_add_nc_u32_e32 v3, v2, v3
	v_lshrrev_b32_e32 v3, s42, v3
	s_delay_alu instid0(VALU_DEP_1) | instskip(SKIP_1) | instid1(VALU_DEP_2)
	v_mul_hi_u32 v4, s44, v3
	v_mul_lo_u32 v6, v3, s40
	v_add_nc_u32_e32 v4, v3, v4
	s_delay_alu instid0(VALU_DEP_2) | instskip(NEXT) | instid1(VALU_DEP_2)
	v_sub_nc_u32_e32 v2, v2, v6
	v_lshrrev_b32_e32 v4, s45, v4
	s_delay_alu instid0(VALU_DEP_2) | instskip(SKIP_1) | instid1(VALU_DEP_3)
	v_mul_lo_u32 v6, v2, s48
	v_mul_lo_u32 v8, v2, s49
	v_mul_hi_u32 v5, s47, v4
	s_delay_alu instid0(VALU_DEP_1) | instskip(NEXT) | instid1(VALU_DEP_1)
	v_add_nc_u32_e32 v5, v4, v5
	v_lshrrev_b32_e32 v5, s56, v5
	s_delay_alu instid0(VALU_DEP_1) | instskip(SKIP_1) | instid1(VALU_DEP_2)
	v_mul_hi_u32 v7, s58, v5
	v_mul_lo_u32 v9, v5, s46
	v_add_nc_u32_e32 v2, v5, v7
	v_mul_lo_u32 v7, v4, s43
	s_delay_alu instid0(VALU_DEP_3) | instskip(NEXT) | instid1(VALU_DEP_3)
	v_sub_nc_u32_e32 v4, v4, v9
	v_lshrrev_b32_e32 v2, s59, v2
	s_delay_alu instid0(VALU_DEP_2) | instskip(SKIP_2) | instid1(VALU_DEP_4)
	v_mul_lo_u32 v9, v4, s52
	v_mul_lo_u32 v4, v4, s53
	v_sub_nc_u32_e32 v3, v3, v7
	v_mul_lo_u32 v10, v2, s57
	s_delay_alu instid0(VALU_DEP_2) | instskip(SKIP_1) | instid1(VALU_DEP_3)
	v_mul_lo_u32 v7, v3, s50
	v_mul_lo_u32 v3, v3, s51
	v_sub_nc_u32_e32 v5, v5, v10
	s_delay_alu instid0(VALU_DEP_3) | instskip(NEXT) | instid1(VALU_DEP_2)
	v_add3_u32 v0, v6, v0, v7
	v_mul_lo_u32 v10, v5, s54
	v_mul_lo_u32 v5, v5, s55
	v_add3_u32 v1, v8, v1, v3
	s_delay_alu instid0(VALU_DEP_3) | instskip(NEXT) | instid1(VALU_DEP_2)
	v_add3_u32 v0, v9, v0, v10
	v_add3_u32 v1, v4, v1, v5
	s_cbranch_scc0 .LBB287_19
	s_branch .LBB287_137
.LBB287_20:
	s_mov_b32 s6, -1
                                        ; implicit-def: $vgpr0
                                        ; implicit-def: $vgpr1
	s_branch .LBB287_26
.LBB287_21:
	s_mov_b32 s34, -1
                                        ; implicit-def: $vgpr0
                                        ; implicit-def: $vgpr1
	s_branch .LBB287_125
.LBB287_22:
	s_mov_b32 s34, -1
                                        ; implicit-def: $vgpr0
                                        ; implicit-def: $vgpr1
	s_branch .LBB287_140
.LBB287_23:
	v_dual_mov_b32 v2, v12 :: v_dual_mov_b32 v1, 0
	s_and_b32 s7, s7, 3
	s_delay_alu instid0(SALU_CYCLE_1)
	s_cmp_eq_u32 s7, 0
	s_cbranch_scc1 .LBB287_26
.LBB287_24:
	s_lshl_b32 s2, s8, 3
	s_mul_i32 s4, s8, 12
	s_add_u32 s2, s2, s0
	s_addc_u32 s3, 0, s1
	s_add_u32 s2, s2, 0xc4
	s_addc_u32 s3, s3, 0
	;; [unrolled: 2-line block ×3, first 2 shown]
	.p2align	6
.LBB287_25:                             ; =>This Inner Loop Header: Depth=1
	s_clause 0x1
	s_load_b64 s[8:9], s[4:5], 0x4
	s_load_b32 s12, s[4:5], 0xc
	s_load_b64 s[10:11], s[2:3], 0x0
	s_add_u32 s4, s4, 12
	s_addc_u32 s5, s5, 0
	s_add_u32 s2, s2, 8
	s_addc_u32 s3, s3, 0
	s_add_i32 s7, s7, -1
	s_delay_alu instid0(SALU_CYCLE_1) | instskip(SKIP_2) | instid1(VALU_DEP_1)
	s_cmp_lg_u32 s7, 0
	s_waitcnt lgkmcnt(0)
	v_mul_hi_u32 v3, s9, v2
	v_add_nc_u32_e32 v3, v2, v3
	s_delay_alu instid0(VALU_DEP_1) | instskip(NEXT) | instid1(VALU_DEP_1)
	v_lshrrev_b32_e32 v6, s12, v3
	v_mul_lo_u32 v3, v6, s8
	s_delay_alu instid0(VALU_DEP_1) | instskip(NEXT) | instid1(VALU_DEP_1)
	v_sub_nc_u32_e32 v2, v2, v3
	v_mad_u64_u32 v[3:4], null, v2, s10, v[0:1]
	v_mad_u64_u32 v[4:5], null, v2, s11, v[1:2]
	v_mov_b32_e32 v2, v6
	s_delay_alu instid0(VALU_DEP_2)
	v_dual_mov_b32 v0, v3 :: v_dual_mov_b32 v1, v4
	s_cbranch_scc1 .LBB287_25
.LBB287_26:
	s_and_not1_b32 vcc_lo, exec_lo, s6
	s_cbranch_vccnz .LBB287_29
; %bb.27:
	s_clause 0x1
	s_load_b128 s[4:7], s[0:1], 0x4
	s_load_b64 s[2:3], s[0:1], 0xc4
	s_cmp_lt_u32 s22, 2
	s_waitcnt lgkmcnt(0)
	v_mul_hi_u32 v0, s5, v12
	s_delay_alu instid0(VALU_DEP_1) | instskip(NEXT) | instid1(VALU_DEP_1)
	v_add_nc_u32_e32 v0, v12, v0
	v_lshrrev_b32_e32 v2, s6, v0
	s_delay_alu instid0(VALU_DEP_1) | instskip(NEXT) | instid1(VALU_DEP_1)
	v_mul_lo_u32 v0, v2, s4
	v_sub_nc_u32_e32 v1, v12, v0
	s_delay_alu instid0(VALU_DEP_1)
	v_mul_lo_u32 v0, v1, s2
	v_mul_lo_u32 v1, v1, s3
	s_cbranch_scc1 .LBB287_29
; %bb.28:
	s_clause 0x1
	s_load_b128 s[4:7], s[0:1], 0x10
	s_load_b64 s[2:3], s[0:1], 0xcc
	s_waitcnt lgkmcnt(0)
	v_mul_hi_u32 v3, s5, v2
	s_delay_alu instid0(VALU_DEP_1) | instskip(NEXT) | instid1(VALU_DEP_1)
	v_add_nc_u32_e32 v3, v2, v3
	v_lshrrev_b32_e32 v3, s6, v3
	s_delay_alu instid0(VALU_DEP_1) | instskip(NEXT) | instid1(VALU_DEP_1)
	v_mul_lo_u32 v3, v3, s4
	v_sub_nc_u32_e32 v5, v2, v3
	s_delay_alu instid0(VALU_DEP_1) | instskip(NEXT) | instid1(VALU_DEP_1)
	v_mad_u64_u32 v[2:3], null, v5, s2, v[0:1]
	v_mad_u64_u32 v[3:4], null, v5, s3, v[1:2]
	s_delay_alu instid0(VALU_DEP_1)
	v_dual_mov_b32 v0, v2 :: v_dual_mov_b32 v1, v3
.LBB287_29:
	v_cmp_ne_u32_e32 vcc_lo, 1, v14
	v_add_nc_u32_e32 v4, 0x80, v12
	s_cbranch_vccnz .LBB287_35
; %bb.30:
	v_dual_mov_b32 v2, 0 :: v_dual_mov_b32 v3, 0
	s_cmp_lg_u32 s22, 0
	s_mov_b32 s6, 0
	s_cbranch_scc0 .LBB287_39
; %bb.31:
	s_min_u32 s7, s23, 15
	v_mov_b32_e32 v2, 0
	s_add_i32 s7, s7, 1
	s_cmp_eq_u32 s23, 2
	s_mov_b32 s8, 0
	s_cbranch_scc1 .LBB287_36
; %bb.32:
	v_dual_mov_b32 v3, 0 :: v_dual_mov_b32 v2, 0
	v_mov_b32_e32 v5, v4
	s_add_u32 s2, s0, 0xc4
	s_addc_u32 s3, s1, 0
	s_and_b32 s8, s7, 28
	s_mov_b32 s9, 0
	s_mov_b64 s[4:5], s[0:1]
.LBB287_33:                             ; =>This Inner Loop Header: Depth=1
	s_clause 0x1
	s_load_b256 s[12:19], s[4:5], 0x4
	s_load_b128 s[36:39], s[4:5], 0x24
	s_load_b256 s[24:31], s[2:3], 0x0
	s_add_u32 s4, s4, 48
	s_addc_u32 s5, s5, 0
	s_add_i32 s9, s9, 4
	s_add_u32 s2, s2, 32
	s_addc_u32 s3, s3, 0
	s_cmp_lg_u32 s8, s9
	s_waitcnt lgkmcnt(0)
	v_mul_hi_u32 v6, s13, v5
	s_delay_alu instid0(VALU_DEP_1) | instskip(NEXT) | instid1(VALU_DEP_1)
	v_add_nc_u32_e32 v6, v5, v6
	v_lshrrev_b32_e32 v6, s14, v6
	s_delay_alu instid0(VALU_DEP_1) | instskip(SKIP_1) | instid1(VALU_DEP_2)
	v_mul_hi_u32 v7, s16, v6
	v_mul_lo_u32 v9, v6, s12
	v_add_nc_u32_e32 v7, v6, v7
	s_delay_alu instid0(VALU_DEP_2) | instskip(NEXT) | instid1(VALU_DEP_2)
	v_sub_nc_u32_e32 v5, v5, v9
	v_lshrrev_b32_e32 v7, s17, v7
	s_delay_alu instid0(VALU_DEP_2) | instskip(SKIP_1) | instid1(VALU_DEP_3)
	v_mul_lo_u32 v9, v5, s24
	v_mul_lo_u32 v11, v5, s25
	v_mul_hi_u32 v8, s19, v7
	s_delay_alu instid0(VALU_DEP_1) | instskip(NEXT) | instid1(VALU_DEP_1)
	v_add_nc_u32_e32 v8, v7, v8
	v_lshrrev_b32_e32 v8, s36, v8
	s_delay_alu instid0(VALU_DEP_1) | instskip(SKIP_1) | instid1(VALU_DEP_2)
	v_mul_hi_u32 v10, s38, v8
	v_mul_lo_u32 v13, v8, s18
	v_add_nc_u32_e32 v5, v8, v10
	v_mul_lo_u32 v10, v7, s15
	s_delay_alu instid0(VALU_DEP_3) | instskip(NEXT) | instid1(VALU_DEP_3)
	v_sub_nc_u32_e32 v7, v7, v13
	v_lshrrev_b32_e32 v5, s39, v5
	s_delay_alu instid0(VALU_DEP_2) | instskip(SKIP_2) | instid1(VALU_DEP_4)
	v_mul_lo_u32 v13, v7, s28
	v_mul_lo_u32 v7, v7, s29
	v_sub_nc_u32_e32 v6, v6, v10
	v_mul_lo_u32 v15, v5, s37
	s_delay_alu instid0(VALU_DEP_2) | instskip(SKIP_1) | instid1(VALU_DEP_3)
	v_mul_lo_u32 v10, v6, s26
	v_mul_lo_u32 v6, v6, s27
	v_sub_nc_u32_e32 v8, v8, v15
	s_delay_alu instid0(VALU_DEP_3) | instskip(NEXT) | instid1(VALU_DEP_2)
	v_add3_u32 v2, v9, v2, v10
	v_mul_lo_u32 v15, v8, s30
	v_mul_lo_u32 v8, v8, s31
	v_add3_u32 v3, v11, v3, v6
	s_delay_alu instid0(VALU_DEP_3) | instskip(NEXT) | instid1(VALU_DEP_2)
	v_add3_u32 v2, v13, v2, v15
	v_add3_u32 v3, v7, v3, v8
	s_cbranch_scc1 .LBB287_33
; %bb.34:
	s_and_b32 s7, s7, 3
	s_delay_alu instid0(SALU_CYCLE_1)
	s_cmp_eq_u32 s7, 0
	s_cbranch_scc0 .LBB287_37
	s_branch .LBB287_39
.LBB287_35:
	s_mov_b32 s6, -1
                                        ; implicit-def: $vgpr2
                                        ; implicit-def: $vgpr3
	s_branch .LBB287_39
.LBB287_36:
	v_mov_b32_e32 v5, v4
	v_mov_b32_e32 v3, 0
	s_and_b32 s7, s7, 3
	s_delay_alu instid0(SALU_CYCLE_1)
	s_cmp_eq_u32 s7, 0
	s_cbranch_scc1 .LBB287_39
.LBB287_37:
	s_lshl_b32 s2, s8, 3
	s_mul_i32 s4, s8, 12
	s_add_u32 s2, s2, s0
	s_addc_u32 s3, 0, s1
	s_add_u32 s2, s2, 0xc4
	s_addc_u32 s3, s3, 0
	;; [unrolled: 2-line block ×3, first 2 shown]
	.p2align	6
.LBB287_38:                             ; =>This Inner Loop Header: Depth=1
	s_clause 0x1
	s_load_b64 s[8:9], s[4:5], 0x4
	s_load_b32 s12, s[4:5], 0xc
	s_load_b64 s[10:11], s[2:3], 0x0
	s_add_u32 s4, s4, 12
	s_addc_u32 s5, s5, 0
	s_add_u32 s2, s2, 8
	s_addc_u32 s3, s3, 0
	s_add_i32 s7, s7, -1
	s_delay_alu instid0(SALU_CYCLE_1) | instskip(SKIP_2) | instid1(VALU_DEP_1)
	s_cmp_lg_u32 s7, 0
	s_waitcnt lgkmcnt(0)
	v_mul_hi_u32 v6, s9, v5
	v_add_nc_u32_e32 v6, v5, v6
	s_delay_alu instid0(VALU_DEP_1) | instskip(NEXT) | instid1(VALU_DEP_1)
	v_lshrrev_b32_e32 v9, s12, v6
	v_mul_lo_u32 v6, v9, s8
	s_delay_alu instid0(VALU_DEP_1) | instskip(NEXT) | instid1(VALU_DEP_1)
	v_sub_nc_u32_e32 v5, v5, v6
	v_mad_u64_u32 v[6:7], null, v5, s10, v[2:3]
	v_mad_u64_u32 v[7:8], null, v5, s11, v[3:4]
	s_delay_alu instid0(VALU_DEP_2) | instskip(NEXT) | instid1(VALU_DEP_2)
	v_dual_mov_b32 v5, v9 :: v_dual_mov_b32 v2, v6
	v_mov_b32_e32 v3, v7
	s_cbranch_scc1 .LBB287_38
.LBB287_39:
	s_and_not1_b32 vcc_lo, exec_lo, s6
	s_cbranch_vccnz .LBB287_42
; %bb.40:
	s_clause 0x1
	s_load_b128 s[4:7], s[0:1], 0x4
	s_load_b64 s[2:3], s[0:1], 0xc4
	s_cmp_lt_u32 s22, 2
	s_waitcnt lgkmcnt(0)
	v_mul_hi_u32 v2, s5, v4
	s_delay_alu instid0(VALU_DEP_1) | instskip(NEXT) | instid1(VALU_DEP_1)
	v_add_nc_u32_e32 v2, v4, v2
	v_lshrrev_b32_e32 v5, s6, v2
	s_delay_alu instid0(VALU_DEP_1) | instskip(NEXT) | instid1(VALU_DEP_1)
	v_mul_lo_u32 v2, v5, s4
	v_sub_nc_u32_e32 v3, v4, v2
	s_delay_alu instid0(VALU_DEP_1)
	v_mul_lo_u32 v2, v3, s2
	v_mul_lo_u32 v3, v3, s3
	s_cbranch_scc1 .LBB287_42
; %bb.41:
	s_clause 0x1
	s_load_b128 s[4:7], s[0:1], 0x10
	s_load_b64 s[2:3], s[0:1], 0xcc
	s_waitcnt lgkmcnt(0)
	v_mul_hi_u32 v4, s5, v5
	s_delay_alu instid0(VALU_DEP_1) | instskip(NEXT) | instid1(VALU_DEP_1)
	v_add_nc_u32_e32 v4, v5, v4
	v_lshrrev_b32_e32 v4, s6, v4
	s_delay_alu instid0(VALU_DEP_1) | instskip(NEXT) | instid1(VALU_DEP_1)
	v_mul_lo_u32 v4, v4, s4
	v_sub_nc_u32_e32 v7, v5, v4
	s_delay_alu instid0(VALU_DEP_1) | instskip(NEXT) | instid1(VALU_DEP_1)
	v_mad_u64_u32 v[4:5], null, v7, s2, v[2:3]
	v_mad_u64_u32 v[5:6], null, v7, s3, v[3:4]
	s_delay_alu instid0(VALU_DEP_1)
	v_dual_mov_b32 v2, v4 :: v_dual_mov_b32 v3, v5
.LBB287_42:
	v_cmp_ne_u32_e32 vcc_lo, 1, v14
	v_add_nc_u32_e32 v6, 0x100, v12
	s_cbranch_vccnz .LBB287_48
; %bb.43:
	v_dual_mov_b32 v4, 0 :: v_dual_mov_b32 v5, 0
	s_cmp_lg_u32 s22, 0
	s_mov_b32 s6, 0
	s_cbranch_scc0 .LBB287_52
; %bb.44:
	s_min_u32 s7, s23, 15
	v_mov_b32_e32 v4, 0
	s_add_i32 s7, s7, 1
	s_cmp_eq_u32 s23, 2
	s_mov_b32 s8, 0
	s_cbranch_scc1 .LBB287_49
; %bb.45:
	v_dual_mov_b32 v5, 0 :: v_dual_mov_b32 v4, 0
	v_mov_b32_e32 v7, v6
	s_add_u32 s2, s0, 0xc4
	s_addc_u32 s3, s1, 0
	s_and_b32 s8, s7, 28
	s_mov_b32 s9, 0
	s_mov_b64 s[4:5], s[0:1]
.LBB287_46:                             ; =>This Inner Loop Header: Depth=1
	s_clause 0x1
	s_load_b256 s[12:19], s[4:5], 0x4
	s_load_b128 s[36:39], s[4:5], 0x24
	s_load_b256 s[24:31], s[2:3], 0x0
	s_add_u32 s4, s4, 48
	s_addc_u32 s5, s5, 0
	s_add_i32 s9, s9, 4
	s_add_u32 s2, s2, 32
	s_addc_u32 s3, s3, 0
	s_cmp_lg_u32 s8, s9
	s_waitcnt lgkmcnt(0)
	v_mul_hi_u32 v8, s13, v7
	s_delay_alu instid0(VALU_DEP_1) | instskip(NEXT) | instid1(VALU_DEP_1)
	v_add_nc_u32_e32 v8, v7, v8
	v_lshrrev_b32_e32 v8, s14, v8
	s_delay_alu instid0(VALU_DEP_1) | instskip(SKIP_1) | instid1(VALU_DEP_2)
	v_mul_hi_u32 v9, s16, v8
	v_mul_lo_u32 v11, v8, s12
	v_add_nc_u32_e32 v9, v8, v9
	s_delay_alu instid0(VALU_DEP_2) | instskip(NEXT) | instid1(VALU_DEP_2)
	v_sub_nc_u32_e32 v7, v7, v11
	v_lshrrev_b32_e32 v9, s17, v9
	s_delay_alu instid0(VALU_DEP_2) | instskip(SKIP_1) | instid1(VALU_DEP_3)
	v_mul_lo_u32 v11, v7, s24
	v_mul_lo_u32 v15, v7, s25
	v_mul_hi_u32 v10, s19, v9
	s_delay_alu instid0(VALU_DEP_1) | instskip(NEXT) | instid1(VALU_DEP_1)
	v_add_nc_u32_e32 v10, v9, v10
	v_lshrrev_b32_e32 v10, s36, v10
	s_delay_alu instid0(VALU_DEP_1) | instskip(SKIP_1) | instid1(VALU_DEP_2)
	v_mul_hi_u32 v13, s38, v10
	v_mul_lo_u32 v17, v10, s18
	v_add_nc_u32_e32 v7, v10, v13
	v_mul_lo_u32 v13, v9, s15
	s_delay_alu instid0(VALU_DEP_3) | instskip(NEXT) | instid1(VALU_DEP_3)
	v_sub_nc_u32_e32 v9, v9, v17
	v_lshrrev_b32_e32 v7, s39, v7
	s_delay_alu instid0(VALU_DEP_2) | instskip(SKIP_2) | instid1(VALU_DEP_4)
	v_mul_lo_u32 v17, v9, s28
	v_mul_lo_u32 v9, v9, s29
	v_sub_nc_u32_e32 v8, v8, v13
	v_mul_lo_u32 v18, v7, s37
	s_delay_alu instid0(VALU_DEP_2) | instskip(SKIP_1) | instid1(VALU_DEP_3)
	v_mul_lo_u32 v13, v8, s26
	v_mul_lo_u32 v8, v8, s27
	v_sub_nc_u32_e32 v10, v10, v18
	s_delay_alu instid0(VALU_DEP_3) | instskip(NEXT) | instid1(VALU_DEP_2)
	v_add3_u32 v4, v11, v4, v13
	v_mul_lo_u32 v18, v10, s30
	v_mul_lo_u32 v10, v10, s31
	v_add3_u32 v5, v15, v5, v8
	s_delay_alu instid0(VALU_DEP_3) | instskip(NEXT) | instid1(VALU_DEP_2)
	v_add3_u32 v4, v17, v4, v18
	v_add3_u32 v5, v9, v5, v10
	s_cbranch_scc1 .LBB287_46
; %bb.47:
	s_and_b32 s7, s7, 3
	s_delay_alu instid0(SALU_CYCLE_1)
	s_cmp_eq_u32 s7, 0
	s_cbranch_scc0 .LBB287_50
	s_branch .LBB287_52
.LBB287_48:
	s_mov_b32 s6, -1
                                        ; implicit-def: $vgpr4
                                        ; implicit-def: $vgpr5
	s_branch .LBB287_52
.LBB287_49:
	v_mov_b32_e32 v7, v6
	v_mov_b32_e32 v5, 0
	s_and_b32 s7, s7, 3
	s_delay_alu instid0(SALU_CYCLE_1)
	s_cmp_eq_u32 s7, 0
	s_cbranch_scc1 .LBB287_52
.LBB287_50:
	s_lshl_b32 s2, s8, 3
	s_mul_i32 s4, s8, 12
	s_add_u32 s2, s2, s0
	s_addc_u32 s3, 0, s1
	s_add_u32 s2, s2, 0xc4
	s_addc_u32 s3, s3, 0
	;; [unrolled: 2-line block ×3, first 2 shown]
	.p2align	6
.LBB287_51:                             ; =>This Inner Loop Header: Depth=1
	s_clause 0x1
	s_load_b64 s[8:9], s[4:5], 0x4
	s_load_b32 s12, s[4:5], 0xc
	s_load_b64 s[10:11], s[2:3], 0x0
	s_add_u32 s4, s4, 12
	s_addc_u32 s5, s5, 0
	s_add_u32 s2, s2, 8
	s_addc_u32 s3, s3, 0
	s_add_i32 s7, s7, -1
	s_delay_alu instid0(SALU_CYCLE_1) | instskip(SKIP_2) | instid1(VALU_DEP_1)
	s_cmp_lg_u32 s7, 0
	s_waitcnt lgkmcnt(0)
	v_mul_hi_u32 v8, s9, v7
	v_add_nc_u32_e32 v8, v7, v8
	s_delay_alu instid0(VALU_DEP_1) | instskip(NEXT) | instid1(VALU_DEP_1)
	v_lshrrev_b32_e32 v11, s12, v8
	v_mul_lo_u32 v8, v11, s8
	s_delay_alu instid0(VALU_DEP_1) | instskip(NEXT) | instid1(VALU_DEP_1)
	v_sub_nc_u32_e32 v7, v7, v8
	v_mad_u64_u32 v[8:9], null, v7, s10, v[4:5]
	v_mad_u64_u32 v[9:10], null, v7, s11, v[5:6]
	s_delay_alu instid0(VALU_DEP_2) | instskip(NEXT) | instid1(VALU_DEP_2)
	v_dual_mov_b32 v7, v11 :: v_dual_mov_b32 v4, v8
	v_mov_b32_e32 v5, v9
	s_cbranch_scc1 .LBB287_51
.LBB287_52:
	s_and_not1_b32 vcc_lo, exec_lo, s6
	s_cbranch_vccnz .LBB287_55
; %bb.53:
	s_clause 0x1
	s_load_b128 s[4:7], s[0:1], 0x4
	s_load_b64 s[2:3], s[0:1], 0xc4
	s_cmp_lt_u32 s22, 2
	s_waitcnt lgkmcnt(0)
	v_mul_hi_u32 v4, s5, v6
	s_delay_alu instid0(VALU_DEP_1) | instskip(NEXT) | instid1(VALU_DEP_1)
	v_add_nc_u32_e32 v4, v6, v4
	v_lshrrev_b32_e32 v7, s6, v4
	s_delay_alu instid0(VALU_DEP_1) | instskip(NEXT) | instid1(VALU_DEP_1)
	v_mul_lo_u32 v4, v7, s4
	v_sub_nc_u32_e32 v5, v6, v4
	s_delay_alu instid0(VALU_DEP_1)
	v_mul_lo_u32 v4, v5, s2
	v_mul_lo_u32 v5, v5, s3
	s_cbranch_scc1 .LBB287_55
; %bb.54:
	s_clause 0x1
	s_load_b128 s[4:7], s[0:1], 0x10
	s_load_b64 s[2:3], s[0:1], 0xcc
	s_waitcnt lgkmcnt(0)
	v_mul_hi_u32 v6, s5, v7
	s_delay_alu instid0(VALU_DEP_1) | instskip(NEXT) | instid1(VALU_DEP_1)
	v_add_nc_u32_e32 v6, v7, v6
	v_lshrrev_b32_e32 v6, s6, v6
	s_delay_alu instid0(VALU_DEP_1) | instskip(NEXT) | instid1(VALU_DEP_1)
	v_mul_lo_u32 v6, v6, s4
	v_sub_nc_u32_e32 v9, v7, v6
	s_delay_alu instid0(VALU_DEP_1) | instskip(NEXT) | instid1(VALU_DEP_1)
	v_mad_u64_u32 v[6:7], null, v9, s2, v[4:5]
	v_mad_u64_u32 v[7:8], null, v9, s3, v[5:6]
	s_delay_alu instid0(VALU_DEP_1)
	v_dual_mov_b32 v4, v6 :: v_dual_mov_b32 v5, v7
.LBB287_55:
	v_cmp_ne_u32_e32 vcc_lo, 1, v14
	v_add_nc_u32_e32 v8, 0x180, v12
	s_cbranch_vccnz .LBB287_61
; %bb.56:
	v_dual_mov_b32 v6, 0 :: v_dual_mov_b32 v7, 0
	s_cmp_lg_u32 s22, 0
	s_mov_b32 s6, 0
	s_cbranch_scc0 .LBB287_65
; %bb.57:
	s_min_u32 s7, s23, 15
	v_mov_b32_e32 v6, 0
	s_add_i32 s7, s7, 1
	s_cmp_eq_u32 s23, 2
	s_mov_b32 s8, 0
	s_cbranch_scc1 .LBB287_62
; %bb.58:
	v_dual_mov_b32 v7, 0 :: v_dual_mov_b32 v6, 0
	v_mov_b32_e32 v9, v8
	s_add_u32 s2, s0, 0xc4
	s_addc_u32 s3, s1, 0
	s_and_b32 s8, s7, 28
	s_mov_b32 s9, 0
	s_mov_b64 s[4:5], s[0:1]
.LBB287_59:                             ; =>This Inner Loop Header: Depth=1
	s_clause 0x1
	s_load_b256 s[12:19], s[4:5], 0x4
	s_load_b128 s[36:39], s[4:5], 0x24
	s_load_b256 s[24:31], s[2:3], 0x0
	s_add_u32 s4, s4, 48
	s_addc_u32 s5, s5, 0
	s_add_i32 s9, s9, 4
	s_add_u32 s2, s2, 32
	s_addc_u32 s3, s3, 0
	s_cmp_lg_u32 s8, s9
	s_waitcnt lgkmcnt(0)
	v_mul_hi_u32 v10, s13, v9
	s_delay_alu instid0(VALU_DEP_1) | instskip(NEXT) | instid1(VALU_DEP_1)
	v_add_nc_u32_e32 v10, v9, v10
	v_lshrrev_b32_e32 v10, s14, v10
	s_delay_alu instid0(VALU_DEP_1) | instskip(SKIP_1) | instid1(VALU_DEP_2)
	v_mul_hi_u32 v11, s16, v10
	v_mul_lo_u32 v15, v10, s12
	v_add_nc_u32_e32 v11, v10, v11
	s_delay_alu instid0(VALU_DEP_2) | instskip(NEXT) | instid1(VALU_DEP_2)
	v_sub_nc_u32_e32 v9, v9, v15
	v_lshrrev_b32_e32 v11, s17, v11
	s_delay_alu instid0(VALU_DEP_2) | instskip(SKIP_1) | instid1(VALU_DEP_3)
	v_mul_lo_u32 v15, v9, s24
	v_mul_lo_u32 v18, v9, s25
	v_mul_hi_u32 v13, s19, v11
	s_delay_alu instid0(VALU_DEP_1) | instskip(NEXT) | instid1(VALU_DEP_1)
	v_add_nc_u32_e32 v13, v11, v13
	v_lshrrev_b32_e32 v13, s36, v13
	s_delay_alu instid0(VALU_DEP_1) | instskip(SKIP_1) | instid1(VALU_DEP_2)
	v_mul_hi_u32 v17, s38, v13
	v_mul_lo_u32 v19, v13, s18
	v_add_nc_u32_e32 v9, v13, v17
	v_mul_lo_u32 v17, v11, s15
	s_delay_alu instid0(VALU_DEP_3) | instskip(NEXT) | instid1(VALU_DEP_3)
	v_sub_nc_u32_e32 v11, v11, v19
	v_lshrrev_b32_e32 v9, s39, v9
	s_delay_alu instid0(VALU_DEP_2) | instskip(SKIP_2) | instid1(VALU_DEP_4)
	v_mul_lo_u32 v19, v11, s28
	v_mul_lo_u32 v11, v11, s29
	v_sub_nc_u32_e32 v10, v10, v17
	v_mul_lo_u32 v20, v9, s37
	s_delay_alu instid0(VALU_DEP_2) | instskip(SKIP_1) | instid1(VALU_DEP_3)
	v_mul_lo_u32 v17, v10, s26
	v_mul_lo_u32 v10, v10, s27
	v_sub_nc_u32_e32 v13, v13, v20
	s_delay_alu instid0(VALU_DEP_3) | instskip(NEXT) | instid1(VALU_DEP_2)
	v_add3_u32 v6, v15, v6, v17
	v_mul_lo_u32 v20, v13, s30
	v_mul_lo_u32 v13, v13, s31
	v_add3_u32 v7, v18, v7, v10
	s_delay_alu instid0(VALU_DEP_3) | instskip(NEXT) | instid1(VALU_DEP_2)
	v_add3_u32 v6, v19, v6, v20
	v_add3_u32 v7, v11, v7, v13
	s_cbranch_scc1 .LBB287_59
; %bb.60:
	s_and_b32 s7, s7, 3
	s_delay_alu instid0(SALU_CYCLE_1)
	s_cmp_eq_u32 s7, 0
	s_cbranch_scc0 .LBB287_63
	s_branch .LBB287_65
.LBB287_61:
	s_mov_b32 s6, -1
                                        ; implicit-def: $vgpr6
                                        ; implicit-def: $vgpr7
	s_branch .LBB287_65
.LBB287_62:
	v_mov_b32_e32 v9, v8
	v_mov_b32_e32 v7, 0
	s_and_b32 s7, s7, 3
	s_delay_alu instid0(SALU_CYCLE_1)
	s_cmp_eq_u32 s7, 0
	s_cbranch_scc1 .LBB287_65
.LBB287_63:
	s_lshl_b32 s2, s8, 3
	s_mul_i32 s4, s8, 12
	s_add_u32 s2, s2, s0
	s_addc_u32 s3, 0, s1
	s_add_u32 s2, s2, 0xc4
	s_addc_u32 s3, s3, 0
	;; [unrolled: 2-line block ×3, first 2 shown]
	.p2align	6
.LBB287_64:                             ; =>This Inner Loop Header: Depth=1
	s_clause 0x1
	s_load_b64 s[8:9], s[4:5], 0x4
	s_load_b32 s12, s[4:5], 0xc
	s_load_b64 s[10:11], s[2:3], 0x0
	s_add_u32 s4, s4, 12
	s_addc_u32 s5, s5, 0
	s_add_u32 s2, s2, 8
	s_addc_u32 s3, s3, 0
	s_add_i32 s7, s7, -1
	s_delay_alu instid0(SALU_CYCLE_1) | instskip(SKIP_2) | instid1(VALU_DEP_1)
	s_cmp_lg_u32 s7, 0
	s_waitcnt lgkmcnt(0)
	v_mul_hi_u32 v10, s9, v9
	v_add_nc_u32_e32 v10, v9, v10
	s_delay_alu instid0(VALU_DEP_1) | instskip(NEXT) | instid1(VALU_DEP_1)
	v_lshrrev_b32_e32 v13, s12, v10
	v_mul_lo_u32 v10, v13, s8
	s_delay_alu instid0(VALU_DEP_1) | instskip(NEXT) | instid1(VALU_DEP_1)
	v_sub_nc_u32_e32 v9, v9, v10
	v_mad_u64_u32 v[10:11], null, v9, s10, v[6:7]
	v_mad_u64_u32 v[17:18], null, v9, s11, v[7:8]
	s_delay_alu instid0(VALU_DEP_2) | instskip(NEXT) | instid1(VALU_DEP_2)
	v_dual_mov_b32 v9, v13 :: v_dual_mov_b32 v6, v10
	v_mov_b32_e32 v7, v17
	s_cbranch_scc1 .LBB287_64
.LBB287_65:
	s_and_not1_b32 vcc_lo, exec_lo, s6
	s_cbranch_vccnz .LBB287_68
; %bb.66:
	s_clause 0x1
	s_load_b128 s[4:7], s[0:1], 0x4
	s_load_b64 s[2:3], s[0:1], 0xc4
	s_cmp_lt_u32 s22, 2
	s_waitcnt lgkmcnt(0)
	v_mul_hi_u32 v6, s5, v8
	s_delay_alu instid0(VALU_DEP_1) | instskip(NEXT) | instid1(VALU_DEP_1)
	v_add_nc_u32_e32 v6, v8, v6
	v_lshrrev_b32_e32 v9, s6, v6
	s_delay_alu instid0(VALU_DEP_1) | instskip(NEXT) | instid1(VALU_DEP_1)
	v_mul_lo_u32 v6, v9, s4
	v_sub_nc_u32_e32 v7, v8, v6
	s_delay_alu instid0(VALU_DEP_1)
	v_mul_lo_u32 v6, v7, s2
	v_mul_lo_u32 v7, v7, s3
	s_cbranch_scc1 .LBB287_68
; %bb.67:
	s_clause 0x1
	s_load_b128 s[4:7], s[0:1], 0x10
	s_load_b64 s[2:3], s[0:1], 0xcc
	s_waitcnt lgkmcnt(0)
	v_mul_hi_u32 v8, s5, v9
	s_delay_alu instid0(VALU_DEP_1) | instskip(NEXT) | instid1(VALU_DEP_1)
	v_add_nc_u32_e32 v8, v9, v8
	v_lshrrev_b32_e32 v8, s6, v8
	s_delay_alu instid0(VALU_DEP_1) | instskip(NEXT) | instid1(VALU_DEP_1)
	v_mul_lo_u32 v8, v8, s4
	v_sub_nc_u32_e32 v11, v9, v8
	s_delay_alu instid0(VALU_DEP_1) | instskip(NEXT) | instid1(VALU_DEP_1)
	v_mad_u64_u32 v[8:9], null, v11, s2, v[6:7]
	v_mad_u64_u32 v[9:10], null, v11, s3, v[7:8]
	s_delay_alu instid0(VALU_DEP_1)
	v_dual_mov_b32 v6, v8 :: v_dual_mov_b32 v7, v9
.LBB287_68:
	v_cmp_ne_u32_e32 vcc_lo, 1, v14
	v_add_nc_u32_e32 v10, 0x200, v12
	s_cbranch_vccnz .LBB287_74
; %bb.69:
	v_dual_mov_b32 v8, 0 :: v_dual_mov_b32 v9, 0
	s_cmp_lg_u32 s22, 0
	s_mov_b32 s6, 0
	s_cbranch_scc0 .LBB287_78
; %bb.70:
	s_min_u32 s7, s23, 15
	v_mov_b32_e32 v8, 0
	s_add_i32 s7, s7, 1
	s_cmp_eq_u32 s23, 2
	s_mov_b32 s8, 0
	s_cbranch_scc1 .LBB287_75
; %bb.71:
	v_dual_mov_b32 v9, 0 :: v_dual_mov_b32 v8, 0
	v_mov_b32_e32 v11, v10
	s_add_u32 s2, s0, 0xc4
	s_addc_u32 s3, s1, 0
	s_and_b32 s8, s7, 28
	s_mov_b32 s9, 0
	s_mov_b64 s[4:5], s[0:1]
.LBB287_72:                             ; =>This Inner Loop Header: Depth=1
	s_clause 0x1
	s_load_b256 s[12:19], s[4:5], 0x4
	s_load_b128 s[36:39], s[4:5], 0x24
	s_load_b256 s[24:31], s[2:3], 0x0
	s_add_u32 s4, s4, 48
	s_addc_u32 s5, s5, 0
	s_add_i32 s9, s9, 4
	s_add_u32 s2, s2, 32
	s_addc_u32 s3, s3, 0
	s_cmp_lg_u32 s8, s9
	s_waitcnt lgkmcnt(0)
	v_mul_hi_u32 v13, s13, v11
	s_delay_alu instid0(VALU_DEP_1) | instskip(NEXT) | instid1(VALU_DEP_1)
	v_add_nc_u32_e32 v13, v11, v13
	v_lshrrev_b32_e32 v13, s14, v13
	s_delay_alu instid0(VALU_DEP_1) | instskip(SKIP_1) | instid1(VALU_DEP_2)
	v_mul_hi_u32 v15, s16, v13
	v_mul_lo_u32 v18, v13, s12
	v_add_nc_u32_e32 v15, v13, v15
	s_delay_alu instid0(VALU_DEP_2) | instskip(NEXT) | instid1(VALU_DEP_2)
	v_sub_nc_u32_e32 v11, v11, v18
	v_lshrrev_b32_e32 v15, s17, v15
	s_delay_alu instid0(VALU_DEP_2) | instskip(SKIP_1) | instid1(VALU_DEP_3)
	v_mul_lo_u32 v18, v11, s24
	v_mul_lo_u32 v20, v11, s25
	v_mul_hi_u32 v17, s19, v15
	s_delay_alu instid0(VALU_DEP_1) | instskip(NEXT) | instid1(VALU_DEP_1)
	v_add_nc_u32_e32 v17, v15, v17
	v_lshrrev_b32_e32 v17, s36, v17
	s_delay_alu instid0(VALU_DEP_1) | instskip(SKIP_1) | instid1(VALU_DEP_2)
	v_mul_hi_u32 v19, s38, v17
	v_mul_lo_u32 v21, v17, s18
	v_add_nc_u32_e32 v11, v17, v19
	v_mul_lo_u32 v19, v15, s15
	s_delay_alu instid0(VALU_DEP_3) | instskip(NEXT) | instid1(VALU_DEP_3)
	v_sub_nc_u32_e32 v15, v15, v21
	v_lshrrev_b32_e32 v11, s39, v11
	s_delay_alu instid0(VALU_DEP_2) | instskip(SKIP_2) | instid1(VALU_DEP_4)
	v_mul_lo_u32 v21, v15, s28
	v_mul_lo_u32 v15, v15, s29
	v_sub_nc_u32_e32 v13, v13, v19
	v_mul_lo_u32 v22, v11, s37
	s_delay_alu instid0(VALU_DEP_2) | instskip(SKIP_1) | instid1(VALU_DEP_3)
	v_mul_lo_u32 v19, v13, s26
	v_mul_lo_u32 v13, v13, s27
	v_sub_nc_u32_e32 v17, v17, v22
	s_delay_alu instid0(VALU_DEP_3) | instskip(NEXT) | instid1(VALU_DEP_2)
	v_add3_u32 v8, v18, v8, v19
	v_mul_lo_u32 v22, v17, s30
	v_mul_lo_u32 v17, v17, s31
	v_add3_u32 v9, v20, v9, v13
	s_delay_alu instid0(VALU_DEP_3) | instskip(NEXT) | instid1(VALU_DEP_2)
	v_add3_u32 v8, v21, v8, v22
	v_add3_u32 v9, v15, v9, v17
	s_cbranch_scc1 .LBB287_72
; %bb.73:
	s_and_b32 s7, s7, 3
	s_delay_alu instid0(SALU_CYCLE_1)
	s_cmp_eq_u32 s7, 0
	s_cbranch_scc0 .LBB287_76
	s_branch .LBB287_78
.LBB287_74:
	s_mov_b32 s6, -1
                                        ; implicit-def: $vgpr8
                                        ; implicit-def: $vgpr9
	s_branch .LBB287_78
.LBB287_75:
	v_mov_b32_e32 v11, v10
	v_mov_b32_e32 v9, 0
	s_and_b32 s7, s7, 3
	s_delay_alu instid0(SALU_CYCLE_1)
	s_cmp_eq_u32 s7, 0
	s_cbranch_scc1 .LBB287_78
.LBB287_76:
	s_lshl_b32 s2, s8, 3
	s_mul_i32 s4, s8, 12
	s_add_u32 s2, s2, s0
	s_addc_u32 s3, 0, s1
	s_add_u32 s2, s2, 0xc4
	s_addc_u32 s3, s3, 0
	;; [unrolled: 2-line block ×3, first 2 shown]
	.p2align	6
.LBB287_77:                             ; =>This Inner Loop Header: Depth=1
	s_clause 0x1
	s_load_b64 s[8:9], s[4:5], 0x4
	s_load_b32 s12, s[4:5], 0xc
	s_load_b64 s[10:11], s[2:3], 0x0
	s_add_u32 s4, s4, 12
	s_addc_u32 s5, s5, 0
	s_add_u32 s2, s2, 8
	s_addc_u32 s3, s3, 0
	s_add_i32 s7, s7, -1
	s_delay_alu instid0(SALU_CYCLE_1) | instskip(SKIP_2) | instid1(VALU_DEP_1)
	s_cmp_lg_u32 s7, 0
	s_waitcnt lgkmcnt(0)
	v_mul_hi_u32 v13, s9, v11
	v_add_nc_u32_e32 v13, v11, v13
	s_delay_alu instid0(VALU_DEP_1) | instskip(NEXT) | instid1(VALU_DEP_1)
	v_lshrrev_b32_e32 v13, s12, v13
	v_mul_lo_u32 v15, v13, s8
	s_delay_alu instid0(VALU_DEP_1) | instskip(NEXT) | instid1(VALU_DEP_1)
	v_sub_nc_u32_e32 v11, v11, v15
	v_mad_u64_u32 v[17:18], null, v11, s10, v[8:9]
	v_mad_u64_u32 v[18:19], null, v11, s11, v[9:10]
	v_mov_b32_e32 v11, v13
	s_delay_alu instid0(VALU_DEP_2)
	v_dual_mov_b32 v8, v17 :: v_dual_mov_b32 v9, v18
	s_cbranch_scc1 .LBB287_77
.LBB287_78:
	s_and_not1_b32 vcc_lo, exec_lo, s6
	s_cbranch_vccnz .LBB287_81
; %bb.79:
	s_clause 0x1
	s_load_b128 s[4:7], s[0:1], 0x4
	s_load_b64 s[2:3], s[0:1], 0xc4
	s_cmp_lt_u32 s22, 2
	s_waitcnt lgkmcnt(0)
	v_mul_hi_u32 v8, s5, v10
	s_delay_alu instid0(VALU_DEP_1) | instskip(NEXT) | instid1(VALU_DEP_1)
	v_add_nc_u32_e32 v8, v10, v8
	v_lshrrev_b32_e32 v11, s6, v8
	s_delay_alu instid0(VALU_DEP_1) | instskip(NEXT) | instid1(VALU_DEP_1)
	v_mul_lo_u32 v8, v11, s4
	v_sub_nc_u32_e32 v9, v10, v8
	s_delay_alu instid0(VALU_DEP_1)
	v_mul_lo_u32 v8, v9, s2
	v_mul_lo_u32 v9, v9, s3
	s_cbranch_scc1 .LBB287_81
; %bb.80:
	s_clause 0x1
	s_load_b128 s[4:7], s[0:1], 0x10
	s_load_b64 s[2:3], s[0:1], 0xcc
	s_waitcnt lgkmcnt(0)
	v_mul_hi_u32 v10, s5, v11
	s_delay_alu instid0(VALU_DEP_1) | instskip(NEXT) | instid1(VALU_DEP_1)
	v_add_nc_u32_e32 v10, v11, v10
	v_lshrrev_b32_e32 v10, s6, v10
	s_delay_alu instid0(VALU_DEP_1) | instskip(NEXT) | instid1(VALU_DEP_1)
	v_mul_lo_u32 v10, v10, s4
	v_sub_nc_u32_e32 v13, v11, v10
	s_delay_alu instid0(VALU_DEP_1) | instskip(NEXT) | instid1(VALU_DEP_1)
	v_mad_u64_u32 v[10:11], null, v13, s2, v[8:9]
	v_mad_u64_u32 v[17:18], null, v13, s3, v[9:10]
	s_delay_alu instid0(VALU_DEP_1)
	v_dual_mov_b32 v8, v10 :: v_dual_mov_b32 v9, v17
.LBB287_81:
	v_cmp_ne_u32_e32 vcc_lo, 1, v14
	v_add_nc_u32_e32 v13, 0x280, v12
	s_cbranch_vccnz .LBB287_87
; %bb.82:
	v_dual_mov_b32 v10, 0 :: v_dual_mov_b32 v11, 0
	s_cmp_lg_u32 s22, 0
	s_mov_b32 s6, 0
	s_cbranch_scc0 .LBB287_91
; %bb.83:
	s_min_u32 s7, s23, 15
	v_mov_b32_e32 v10, 0
	s_add_i32 s7, s7, 1
	s_cmp_eq_u32 s23, 2
	s_mov_b32 s8, 0
	s_cbranch_scc1 .LBB287_88
; %bb.84:
	v_dual_mov_b32 v11, 0 :: v_dual_mov_b32 v10, 0
	v_mov_b32_e32 v15, v13
	s_add_u32 s2, s0, 0xc4
	s_addc_u32 s3, s1, 0
	s_and_b32 s8, s7, 28
	s_mov_b32 s9, 0
	s_mov_b64 s[4:5], s[0:1]
.LBB287_85:                             ; =>This Inner Loop Header: Depth=1
	s_clause 0x1
	s_load_b256 s[12:19], s[4:5], 0x4
	s_load_b128 s[36:39], s[4:5], 0x24
	s_load_b256 s[24:31], s[2:3], 0x0
	s_add_u32 s4, s4, 48
	s_addc_u32 s5, s5, 0
	s_add_i32 s9, s9, 4
	s_add_u32 s2, s2, 32
	s_addc_u32 s3, s3, 0
	s_cmp_lg_u32 s8, s9
	s_waitcnt lgkmcnt(0)
	v_mul_hi_u32 v17, s13, v15
	s_delay_alu instid0(VALU_DEP_1) | instskip(NEXT) | instid1(VALU_DEP_1)
	v_add_nc_u32_e32 v17, v15, v17
	v_lshrrev_b32_e32 v17, s14, v17
	s_delay_alu instid0(VALU_DEP_1) | instskip(SKIP_1) | instid1(VALU_DEP_2)
	v_mul_hi_u32 v18, s16, v17
	v_mul_lo_u32 v20, v17, s12
	v_add_nc_u32_e32 v18, v17, v18
	s_delay_alu instid0(VALU_DEP_2) | instskip(NEXT) | instid1(VALU_DEP_2)
	v_sub_nc_u32_e32 v15, v15, v20
	v_lshrrev_b32_e32 v18, s17, v18
	s_delay_alu instid0(VALU_DEP_2) | instskip(SKIP_1) | instid1(VALU_DEP_3)
	v_mul_lo_u32 v20, v15, s24
	v_mul_lo_u32 v22, v15, s25
	v_mul_hi_u32 v19, s19, v18
	s_delay_alu instid0(VALU_DEP_1) | instskip(NEXT) | instid1(VALU_DEP_1)
	v_add_nc_u32_e32 v19, v18, v19
	v_lshrrev_b32_e32 v19, s36, v19
	s_delay_alu instid0(VALU_DEP_1) | instskip(SKIP_1) | instid1(VALU_DEP_2)
	v_mul_hi_u32 v21, s38, v19
	v_mul_lo_u32 v23, v19, s18
	v_add_nc_u32_e32 v15, v19, v21
	v_mul_lo_u32 v21, v18, s15
	s_delay_alu instid0(VALU_DEP_3) | instskip(NEXT) | instid1(VALU_DEP_3)
	v_sub_nc_u32_e32 v18, v18, v23
	v_lshrrev_b32_e32 v15, s39, v15
	s_delay_alu instid0(VALU_DEP_2) | instskip(SKIP_2) | instid1(VALU_DEP_4)
	v_mul_lo_u32 v23, v18, s28
	v_mul_lo_u32 v18, v18, s29
	v_sub_nc_u32_e32 v17, v17, v21
	v_mul_lo_u32 v24, v15, s37
	s_delay_alu instid0(VALU_DEP_2) | instskip(SKIP_1) | instid1(VALU_DEP_3)
	v_mul_lo_u32 v21, v17, s26
	v_mul_lo_u32 v17, v17, s27
	v_sub_nc_u32_e32 v19, v19, v24
	s_delay_alu instid0(VALU_DEP_3) | instskip(NEXT) | instid1(VALU_DEP_2)
	v_add3_u32 v10, v20, v10, v21
	v_mul_lo_u32 v24, v19, s30
	v_mul_lo_u32 v19, v19, s31
	v_add3_u32 v11, v22, v11, v17
	s_delay_alu instid0(VALU_DEP_3) | instskip(NEXT) | instid1(VALU_DEP_2)
	v_add3_u32 v10, v23, v10, v24
	v_add3_u32 v11, v18, v11, v19
	s_cbranch_scc1 .LBB287_85
; %bb.86:
	s_and_b32 s7, s7, 3
	s_delay_alu instid0(SALU_CYCLE_1)
	s_cmp_eq_u32 s7, 0
	s_cbranch_scc0 .LBB287_89
	s_branch .LBB287_91
.LBB287_87:
	s_mov_b32 s6, -1
                                        ; implicit-def: $vgpr10
                                        ; implicit-def: $vgpr11
	s_branch .LBB287_91
.LBB287_88:
	v_mov_b32_e32 v15, v13
	v_mov_b32_e32 v11, 0
	s_and_b32 s7, s7, 3
	s_delay_alu instid0(SALU_CYCLE_1)
	s_cmp_eq_u32 s7, 0
	s_cbranch_scc1 .LBB287_91
.LBB287_89:
	s_lshl_b32 s2, s8, 3
	s_mul_i32 s4, s8, 12
	s_add_u32 s2, s2, s0
	s_addc_u32 s3, 0, s1
	s_add_u32 s2, s2, 0xc4
	s_addc_u32 s3, s3, 0
	;; [unrolled: 2-line block ×3, first 2 shown]
	.p2align	6
.LBB287_90:                             ; =>This Inner Loop Header: Depth=1
	s_clause 0x1
	s_load_b64 s[8:9], s[4:5], 0x4
	s_load_b32 s12, s[4:5], 0xc
	s_load_b64 s[10:11], s[2:3], 0x0
	s_add_u32 s4, s4, 12
	s_addc_u32 s5, s5, 0
	s_add_u32 s2, s2, 8
	s_addc_u32 s3, s3, 0
	s_add_i32 s7, s7, -1
	s_delay_alu instid0(SALU_CYCLE_1) | instskip(SKIP_2) | instid1(VALU_DEP_1)
	s_cmp_lg_u32 s7, 0
	s_waitcnt lgkmcnt(0)
	v_mul_hi_u32 v17, s9, v15
	v_add_nc_u32_e32 v17, v15, v17
	s_delay_alu instid0(VALU_DEP_1) | instskip(NEXT) | instid1(VALU_DEP_1)
	v_lshrrev_b32_e32 v20, s12, v17
	v_mul_lo_u32 v17, v20, s8
	s_delay_alu instid0(VALU_DEP_1) | instskip(NEXT) | instid1(VALU_DEP_1)
	v_sub_nc_u32_e32 v15, v15, v17
	v_mad_u64_u32 v[17:18], null, v15, s10, v[10:11]
	v_mad_u64_u32 v[18:19], null, v15, s11, v[11:12]
	s_delay_alu instid0(VALU_DEP_2) | instskip(NEXT) | instid1(VALU_DEP_2)
	v_dual_mov_b32 v15, v20 :: v_dual_mov_b32 v10, v17
	v_mov_b32_e32 v11, v18
	s_cbranch_scc1 .LBB287_90
.LBB287_91:
	s_and_not1_b32 vcc_lo, exec_lo, s6
	s_cbranch_vccnz .LBB287_94
; %bb.92:
	s_clause 0x1
	s_load_b128 s[4:7], s[0:1], 0x4
	s_load_b64 s[2:3], s[0:1], 0xc4
	s_cmp_lt_u32 s22, 2
	s_waitcnt lgkmcnt(0)
	v_mul_hi_u32 v10, s5, v13
	s_delay_alu instid0(VALU_DEP_1) | instskip(NEXT) | instid1(VALU_DEP_1)
	v_add_nc_u32_e32 v10, v13, v10
	v_lshrrev_b32_e32 v15, s6, v10
	s_delay_alu instid0(VALU_DEP_1) | instskip(NEXT) | instid1(VALU_DEP_1)
	v_mul_lo_u32 v10, v15, s4
	v_sub_nc_u32_e32 v11, v13, v10
	s_delay_alu instid0(VALU_DEP_1)
	v_mul_lo_u32 v10, v11, s2
	v_mul_lo_u32 v11, v11, s3
	s_cbranch_scc1 .LBB287_94
; %bb.93:
	s_clause 0x1
	s_load_b128 s[4:7], s[0:1], 0x10
	s_load_b64 s[2:3], s[0:1], 0xcc
	s_waitcnt lgkmcnt(0)
	v_mul_hi_u32 v13, s5, v15
	s_delay_alu instid0(VALU_DEP_1) | instskip(NEXT) | instid1(VALU_DEP_1)
	v_add_nc_u32_e32 v13, v15, v13
	v_lshrrev_b32_e32 v13, s6, v13
	s_delay_alu instid0(VALU_DEP_1) | instskip(NEXT) | instid1(VALU_DEP_1)
	v_mul_lo_u32 v13, v13, s4
	v_sub_nc_u32_e32 v13, v15, v13
	s_delay_alu instid0(VALU_DEP_1) | instskip(SKIP_1) | instid1(VALU_DEP_1)
	v_mad_u64_u32 v[17:18], null, v13, s2, v[10:11]
	v_mad_u64_u32 v[18:19], null, v13, s3, v[11:12]
	v_dual_mov_b32 v10, v17 :: v_dual_mov_b32 v11, v18
.LBB287_94:
	v_cmp_ne_u32_e32 vcc_lo, 1, v14
	v_add_nc_u32_e32 v15, 0x300, v12
	s_cbranch_vccnz .LBB287_100
; %bb.95:
	v_dual_mov_b32 v12, 0 :: v_dual_mov_b32 v13, 0
	s_cmp_lg_u32 s22, 0
	s_mov_b32 s6, 0
	s_cbranch_scc0 .LBB287_104
; %bb.96:
	s_min_u32 s7, s23, 15
	v_mov_b32_e32 v12, 0
	s_add_i32 s7, s7, 1
	s_cmp_eq_u32 s23, 2
	s_mov_b32 s8, 0
	s_cbranch_scc1 .LBB287_101
; %bb.97:
	v_dual_mov_b32 v13, 0 :: v_dual_mov_b32 v12, 0
	v_mov_b32_e32 v17, v15
	s_add_u32 s2, s0, 0xc4
	s_addc_u32 s3, s1, 0
	s_and_b32 s8, s7, 28
	s_mov_b32 s9, 0
	s_mov_b64 s[4:5], s[0:1]
.LBB287_98:                             ; =>This Inner Loop Header: Depth=1
	s_clause 0x1
	s_load_b256 s[12:19], s[4:5], 0x4
	s_load_b128 s[36:39], s[4:5], 0x24
	s_load_b256 s[24:31], s[2:3], 0x0
	s_add_u32 s4, s4, 48
	s_addc_u32 s5, s5, 0
	s_add_i32 s9, s9, 4
	s_add_u32 s2, s2, 32
	s_addc_u32 s3, s3, 0
	s_cmp_lg_u32 s8, s9
	s_waitcnt lgkmcnt(0)
	v_mul_hi_u32 v18, s13, v17
	s_delay_alu instid0(VALU_DEP_1) | instskip(NEXT) | instid1(VALU_DEP_1)
	v_add_nc_u32_e32 v18, v17, v18
	v_lshrrev_b32_e32 v18, s14, v18
	s_delay_alu instid0(VALU_DEP_1) | instskip(SKIP_1) | instid1(VALU_DEP_2)
	v_mul_hi_u32 v19, s16, v18
	v_mul_lo_u32 v21, v18, s12
	v_add_nc_u32_e32 v19, v18, v19
	s_delay_alu instid0(VALU_DEP_2) | instskip(NEXT) | instid1(VALU_DEP_2)
	v_sub_nc_u32_e32 v17, v17, v21
	v_lshrrev_b32_e32 v19, s17, v19
	s_delay_alu instid0(VALU_DEP_2) | instskip(SKIP_1) | instid1(VALU_DEP_3)
	v_mul_lo_u32 v21, v17, s24
	v_mul_lo_u32 v23, v17, s25
	v_mul_hi_u32 v20, s19, v19
	s_delay_alu instid0(VALU_DEP_1) | instskip(NEXT) | instid1(VALU_DEP_1)
	v_add_nc_u32_e32 v20, v19, v20
	v_lshrrev_b32_e32 v20, s36, v20
	s_delay_alu instid0(VALU_DEP_1) | instskip(SKIP_1) | instid1(VALU_DEP_2)
	v_mul_hi_u32 v22, s38, v20
	v_mul_lo_u32 v24, v20, s18
	v_add_nc_u32_e32 v17, v20, v22
	v_mul_lo_u32 v22, v19, s15
	s_delay_alu instid0(VALU_DEP_3) | instskip(NEXT) | instid1(VALU_DEP_3)
	v_sub_nc_u32_e32 v19, v19, v24
	v_lshrrev_b32_e32 v17, s39, v17
	s_delay_alu instid0(VALU_DEP_2) | instskip(SKIP_2) | instid1(VALU_DEP_4)
	v_mul_lo_u32 v24, v19, s28
	v_mul_lo_u32 v19, v19, s29
	v_sub_nc_u32_e32 v18, v18, v22
	v_mul_lo_u32 v25, v17, s37
	s_delay_alu instid0(VALU_DEP_2) | instskip(SKIP_1) | instid1(VALU_DEP_3)
	v_mul_lo_u32 v22, v18, s26
	v_mul_lo_u32 v18, v18, s27
	v_sub_nc_u32_e32 v20, v20, v25
	s_delay_alu instid0(VALU_DEP_3) | instskip(NEXT) | instid1(VALU_DEP_2)
	v_add3_u32 v12, v21, v12, v22
	v_mul_lo_u32 v25, v20, s30
	v_mul_lo_u32 v20, v20, s31
	v_add3_u32 v13, v23, v13, v18
	s_delay_alu instid0(VALU_DEP_3) | instskip(NEXT) | instid1(VALU_DEP_2)
	v_add3_u32 v12, v24, v12, v25
	v_add3_u32 v13, v19, v13, v20
	s_cbranch_scc1 .LBB287_98
; %bb.99:
	s_and_b32 s7, s7, 3
	s_delay_alu instid0(SALU_CYCLE_1)
	s_cmp_eq_u32 s7, 0
	s_cbranch_scc0 .LBB287_102
	s_branch .LBB287_104
.LBB287_100:
	s_mov_b32 s6, -1
                                        ; implicit-def: $vgpr12
                                        ; implicit-def: $vgpr13
	s_branch .LBB287_104
.LBB287_101:
	v_mov_b32_e32 v17, v15
	v_mov_b32_e32 v13, 0
	s_and_b32 s7, s7, 3
	s_delay_alu instid0(SALU_CYCLE_1)
	s_cmp_eq_u32 s7, 0
	s_cbranch_scc1 .LBB287_104
.LBB287_102:
	s_lshl_b32 s2, s8, 3
	s_mul_i32 s4, s8, 12
	s_add_u32 s2, s2, s0
	s_addc_u32 s3, 0, s1
	s_add_u32 s2, s2, 0xc4
	s_addc_u32 s3, s3, 0
	;; [unrolled: 2-line block ×3, first 2 shown]
	.p2align	6
.LBB287_103:                            ; =>This Inner Loop Header: Depth=1
	s_clause 0x1
	s_load_b64 s[8:9], s[4:5], 0x4
	s_load_b32 s12, s[4:5], 0xc
	s_load_b64 s[10:11], s[2:3], 0x0
	s_add_u32 s4, s4, 12
	s_addc_u32 s5, s5, 0
	s_add_u32 s2, s2, 8
	s_addc_u32 s3, s3, 0
	s_add_i32 s7, s7, -1
	s_delay_alu instid0(SALU_CYCLE_1) | instskip(SKIP_2) | instid1(VALU_DEP_1)
	s_cmp_lg_u32 s7, 0
	s_waitcnt lgkmcnt(0)
	v_mul_hi_u32 v18, s9, v17
	v_add_nc_u32_e32 v18, v17, v18
	s_delay_alu instid0(VALU_DEP_1) | instskip(NEXT) | instid1(VALU_DEP_1)
	v_lshrrev_b32_e32 v21, s12, v18
	v_mul_lo_u32 v18, v21, s8
	s_delay_alu instid0(VALU_DEP_1) | instskip(NEXT) | instid1(VALU_DEP_1)
	v_sub_nc_u32_e32 v17, v17, v18
	v_mad_u64_u32 v[18:19], null, v17, s10, v[12:13]
	v_mad_u64_u32 v[19:20], null, v17, s11, v[13:14]
	s_delay_alu instid0(VALU_DEP_2) | instskip(NEXT) | instid1(VALU_DEP_2)
	v_dual_mov_b32 v17, v21 :: v_dual_mov_b32 v12, v18
	v_mov_b32_e32 v13, v19
	s_cbranch_scc1 .LBB287_103
.LBB287_104:
	s_and_not1_b32 vcc_lo, exec_lo, s6
	s_cbranch_vccnz .LBB287_107
; %bb.105:
	s_clause 0x1
	s_load_b128 s[4:7], s[0:1], 0x4
	s_load_b64 s[2:3], s[0:1], 0xc4
	s_cmp_lt_u32 s22, 2
	s_waitcnt lgkmcnt(0)
	v_mul_hi_u32 v12, s5, v15
	s_delay_alu instid0(VALU_DEP_1) | instskip(NEXT) | instid1(VALU_DEP_1)
	v_add_nc_u32_e32 v12, v15, v12
	v_lshrrev_b32_e32 v17, s6, v12
	s_delay_alu instid0(VALU_DEP_1) | instskip(NEXT) | instid1(VALU_DEP_1)
	v_mul_lo_u32 v12, v17, s4
	v_sub_nc_u32_e32 v13, v15, v12
	s_delay_alu instid0(VALU_DEP_1)
	v_mul_lo_u32 v12, v13, s2
	v_mul_lo_u32 v13, v13, s3
	s_cbranch_scc1 .LBB287_107
; %bb.106:
	s_clause 0x1
	s_load_b128 s[4:7], s[0:1], 0x10
	s_load_b64 s[2:3], s[0:1], 0xcc
	s_waitcnt lgkmcnt(0)
	v_mul_hi_u32 v15, s5, v17
	s_delay_alu instid0(VALU_DEP_1) | instskip(NEXT) | instid1(VALU_DEP_1)
	v_add_nc_u32_e32 v15, v17, v15
	v_lshrrev_b32_e32 v15, s6, v15
	s_delay_alu instid0(VALU_DEP_1) | instskip(NEXT) | instid1(VALU_DEP_1)
	v_mul_lo_u32 v15, v15, s4
	v_sub_nc_u32_e32 v15, v17, v15
	s_delay_alu instid0(VALU_DEP_1) | instskip(SKIP_1) | instid1(VALU_DEP_1)
	v_mad_u64_u32 v[17:18], null, v15, s2, v[12:13]
	v_mad_u64_u32 v[18:19], null, v15, s3, v[13:14]
	v_dual_mov_b32 v12, v17 :: v_dual_mov_b32 v13, v18
.LBB287_107:
	v_cmp_ne_u32_e32 vcc_lo, 1, v14
	s_cbranch_vccnz .LBB287_113
; %bb.108:
	v_dual_mov_b32 v14, 0 :: v_dual_mov_b32 v15, 0
	s_cmp_lg_u32 s22, 0
	s_mov_b32 s6, 0
	s_cbranch_scc0 .LBB287_117
; %bb.109:
	s_min_u32 s7, s23, 15
	v_mov_b32_e32 v14, 0
	s_add_i32 s7, s7, 1
	s_cmp_eq_u32 s23, 2
	s_mov_b32 s8, 0
	s_cbranch_scc1 .LBB287_114
; %bb.110:
	v_dual_mov_b32 v15, 0 :: v_dual_mov_b32 v14, 0
	v_mov_b32_e32 v17, v16
	s_add_u32 s2, s0, 0xc4
	s_addc_u32 s3, s1, 0
	s_and_b32 s8, s7, 28
	s_mov_b32 s9, 0
	s_mov_b64 s[4:5], s[0:1]
.LBB287_111:                            ; =>This Inner Loop Header: Depth=1
	s_clause 0x1
	s_load_b256 s[12:19], s[4:5], 0x4
	s_load_b128 s[36:39], s[4:5], 0x24
	s_load_b256 s[24:31], s[2:3], 0x0
	s_add_u32 s4, s4, 48
	s_addc_u32 s5, s5, 0
	s_add_i32 s9, s9, 4
	s_add_u32 s2, s2, 32
	s_addc_u32 s3, s3, 0
	s_cmp_lg_u32 s8, s9
	s_waitcnt lgkmcnt(0)
	v_mul_hi_u32 v18, s13, v17
	s_delay_alu instid0(VALU_DEP_1) | instskip(NEXT) | instid1(VALU_DEP_1)
	v_add_nc_u32_e32 v18, v17, v18
	v_lshrrev_b32_e32 v18, s14, v18
	s_delay_alu instid0(VALU_DEP_1) | instskip(SKIP_1) | instid1(VALU_DEP_2)
	v_mul_hi_u32 v19, s16, v18
	v_mul_lo_u32 v21, v18, s12
	v_add_nc_u32_e32 v19, v18, v19
	s_delay_alu instid0(VALU_DEP_2) | instskip(NEXT) | instid1(VALU_DEP_2)
	v_sub_nc_u32_e32 v17, v17, v21
	v_lshrrev_b32_e32 v19, s17, v19
	s_delay_alu instid0(VALU_DEP_2) | instskip(SKIP_1) | instid1(VALU_DEP_3)
	v_mul_lo_u32 v21, v17, s24
	v_mul_lo_u32 v23, v17, s25
	v_mul_hi_u32 v20, s19, v19
	s_delay_alu instid0(VALU_DEP_1) | instskip(NEXT) | instid1(VALU_DEP_1)
	v_add_nc_u32_e32 v20, v19, v20
	v_lshrrev_b32_e32 v20, s36, v20
	s_delay_alu instid0(VALU_DEP_1) | instskip(SKIP_1) | instid1(VALU_DEP_2)
	v_mul_hi_u32 v22, s38, v20
	v_mul_lo_u32 v24, v20, s18
	v_add_nc_u32_e32 v17, v20, v22
	v_mul_lo_u32 v22, v19, s15
	s_delay_alu instid0(VALU_DEP_3) | instskip(NEXT) | instid1(VALU_DEP_3)
	v_sub_nc_u32_e32 v19, v19, v24
	v_lshrrev_b32_e32 v17, s39, v17
	s_delay_alu instid0(VALU_DEP_2) | instskip(SKIP_2) | instid1(VALU_DEP_4)
	v_mul_lo_u32 v24, v19, s28
	v_mul_lo_u32 v19, v19, s29
	v_sub_nc_u32_e32 v18, v18, v22
	v_mul_lo_u32 v25, v17, s37
	s_delay_alu instid0(VALU_DEP_2) | instskip(SKIP_1) | instid1(VALU_DEP_3)
	v_mul_lo_u32 v22, v18, s26
	v_mul_lo_u32 v18, v18, s27
	v_sub_nc_u32_e32 v20, v20, v25
	s_delay_alu instid0(VALU_DEP_3) | instskip(NEXT) | instid1(VALU_DEP_2)
	v_add3_u32 v14, v21, v14, v22
	v_mul_lo_u32 v25, v20, s30
	v_mul_lo_u32 v20, v20, s31
	v_add3_u32 v15, v23, v15, v18
	s_delay_alu instid0(VALU_DEP_3) | instskip(NEXT) | instid1(VALU_DEP_2)
	v_add3_u32 v14, v24, v14, v25
	v_add3_u32 v15, v19, v15, v20
	s_cbranch_scc1 .LBB287_111
; %bb.112:
	s_and_b32 s7, s7, 3
	s_delay_alu instid0(SALU_CYCLE_1)
	s_cmp_eq_u32 s7, 0
	s_cbranch_scc0 .LBB287_115
	s_branch .LBB287_117
.LBB287_113:
	s_mov_b32 s6, -1
                                        ; implicit-def: $vgpr14
                                        ; implicit-def: $vgpr15
	s_branch .LBB287_117
.LBB287_114:
	v_mov_b32_e32 v17, v16
	v_mov_b32_e32 v15, 0
	s_and_b32 s7, s7, 3
	s_delay_alu instid0(SALU_CYCLE_1)
	s_cmp_eq_u32 s7, 0
	s_cbranch_scc1 .LBB287_117
.LBB287_115:
	s_lshl_b32 s2, s8, 3
	s_mul_i32 s4, s8, 12
	s_add_u32 s2, s2, s0
	s_addc_u32 s3, 0, s1
	s_add_u32 s2, s2, 0xc4
	s_addc_u32 s3, s3, 0
	;; [unrolled: 2-line block ×3, first 2 shown]
	.p2align	6
.LBB287_116:                            ; =>This Inner Loop Header: Depth=1
	s_clause 0x1
	s_load_b64 s[8:9], s[4:5], 0x4
	s_load_b32 s12, s[4:5], 0xc
	s_load_b64 s[10:11], s[2:3], 0x0
	s_add_u32 s4, s4, 12
	s_addc_u32 s5, s5, 0
	s_add_u32 s2, s2, 8
	s_addc_u32 s3, s3, 0
	s_add_i32 s7, s7, -1
	s_delay_alu instid0(SALU_CYCLE_1) | instskip(SKIP_2) | instid1(VALU_DEP_1)
	s_cmp_lg_u32 s7, 0
	s_waitcnt lgkmcnt(0)
	v_mul_hi_u32 v18, s9, v17
	v_add_nc_u32_e32 v18, v17, v18
	s_delay_alu instid0(VALU_DEP_1) | instskip(NEXT) | instid1(VALU_DEP_1)
	v_lshrrev_b32_e32 v21, s12, v18
	v_mul_lo_u32 v18, v21, s8
	s_delay_alu instid0(VALU_DEP_1) | instskip(NEXT) | instid1(VALU_DEP_1)
	v_sub_nc_u32_e32 v17, v17, v18
	v_mad_u64_u32 v[18:19], null, v17, s10, v[14:15]
	v_mad_u64_u32 v[19:20], null, v17, s11, v[15:16]
	s_delay_alu instid0(VALU_DEP_2) | instskip(NEXT) | instid1(VALU_DEP_2)
	v_dual_mov_b32 v17, v21 :: v_dual_mov_b32 v14, v18
	v_mov_b32_e32 v15, v19
	s_cbranch_scc1 .LBB287_116
.LBB287_117:
	s_and_not1_b32 vcc_lo, exec_lo, s6
	s_cbranch_vccnz .LBB287_120
; %bb.118:
	s_clause 0x1
	s_load_b128 s[4:7], s[0:1], 0x4
	s_load_b64 s[2:3], s[0:1], 0xc4
	s_cmp_lt_u32 s22, 2
	s_waitcnt lgkmcnt(0)
	v_mul_hi_u32 v14, s5, v16
	s_delay_alu instid0(VALU_DEP_1) | instskip(NEXT) | instid1(VALU_DEP_1)
	v_add_nc_u32_e32 v14, v16, v14
	v_lshrrev_b32_e32 v17, s6, v14
	s_delay_alu instid0(VALU_DEP_1) | instskip(NEXT) | instid1(VALU_DEP_1)
	v_mul_lo_u32 v14, v17, s4
	v_sub_nc_u32_e32 v15, v16, v14
	s_delay_alu instid0(VALU_DEP_1)
	v_mul_lo_u32 v14, v15, s2
	v_mul_lo_u32 v15, v15, s3
	s_cbranch_scc1 .LBB287_120
; %bb.119:
	s_clause 0x1
	s_load_b128 s[4:7], s[0:1], 0x10
	s_load_b64 s[2:3], s[0:1], 0xcc
	s_waitcnt lgkmcnt(0)
	v_mul_hi_u32 v16, s5, v17
	s_delay_alu instid0(VALU_DEP_1) | instskip(NEXT) | instid1(VALU_DEP_1)
	v_add_nc_u32_e32 v16, v17, v16
	v_lshrrev_b32_e32 v16, s6, v16
	s_delay_alu instid0(VALU_DEP_1) | instskip(NEXT) | instid1(VALU_DEP_1)
	v_mul_lo_u32 v16, v16, s4
	v_sub_nc_u32_e32 v19, v17, v16
	s_delay_alu instid0(VALU_DEP_1) | instskip(NEXT) | instid1(VALU_DEP_1)
	v_mad_u64_u32 v[16:17], null, v19, s2, v[14:15]
	v_mad_u64_u32 v[17:18], null, v19, s3, v[15:16]
	s_delay_alu instid0(VALU_DEP_1)
	v_dual_mov_b32 v14, v16 :: v_dual_mov_b32 v15, v17
.LBB287_120:
	s_clause 0x1
	s_load_b128 s[4:7], s[0:1], 0x148
	s_load_b32 s0, s[0:1], 0x158
	s_waitcnt lgkmcnt(0)
	s_clause 0x7
	global_load_i8 v1, v1, s[6:7]
	global_load_i8 v3, v3, s[6:7]
	;; [unrolled: 1-line block ×8, first 2 shown]
	s_bfe_i32 s1, s0, 0x80000
	v_ashrrev_i16 v16, 8, s0
	s_waitcnt vmcnt(7)
	v_max_i16 v1, v1, s1
	s_waitcnt vmcnt(6)
	v_max_i16 v3, v3, s1
	s_waitcnt vmcnt(5)
	v_max_i16 v5, v5, s1
	s_waitcnt vmcnt(4)
	v_max_i16 v7, v7, s1
	s_waitcnt vmcnt(3)
	v_max_i16 v9, v9, s1
	s_waitcnt vmcnt(2)
	v_max_i16 v11, v11, s1
	s_waitcnt vmcnt(1)
	v_max_i16 v13, v13, s1
	s_waitcnt vmcnt(0)
	v_max_i16 v15, v15, s1
	v_min_i16 v1, v1, v16
	v_min_i16 v3, v3, v16
	;; [unrolled: 1-line block ×8, first 2 shown]
	s_clause 0x7
	global_store_b8 v0, v1, s[4:5]
	global_store_b8 v2, v3, s[4:5]
	;; [unrolled: 1-line block ×8, first 2 shown]
	s_nop 0
	s_sendmsg sendmsg(MSG_DEALLOC_VGPRS)
	s_endpgm
.LBB287_121:
	v_dual_mov_b32 v2, v12 :: v_dual_mov_b32 v1, 0
.LBB287_122:
	s_and_b32 s36, s36, 3
	s_delay_alu instid0(SALU_CYCLE_1)
	s_cmp_eq_u32 s36, 0
	s_cbranch_scc1 .LBB287_125
; %bb.123:
	s_lshl_b32 s18, s35, 3
	s_mul_i32 s20, s35, 12
	s_add_u32 s18, s18, s0
	s_addc_u32 s19, s1, 0
	s_add_u32 s18, s18, 0xc4
	s_addc_u32 s19, s19, 0
	s_add_u32 s20, s0, s20
	s_addc_u32 s21, s1, 0
	.p2align	6
.LBB287_124:                            ; =>This Inner Loop Header: Depth=1
	s_clause 0x1
	s_load_b64 s[38:39], s[20:21], 0x4
	s_load_b32 s35, s[20:21], 0xc
	s_load_b64 s[40:41], s[18:19], 0x0
	s_add_u32 s20, s20, 12
	s_addc_u32 s21, s21, 0
	s_add_u32 s18, s18, 8
	s_addc_u32 s19, s19, 0
	s_add_i32 s36, s36, -1
	s_delay_alu instid0(SALU_CYCLE_1) | instskip(SKIP_2) | instid1(VALU_DEP_1)
	s_cmp_lg_u32 s36, 0
	s_waitcnt lgkmcnt(0)
	v_mul_hi_u32 v3, s39, v2
	v_add_nc_u32_e32 v3, v2, v3
	s_delay_alu instid0(VALU_DEP_1) | instskip(NEXT) | instid1(VALU_DEP_1)
	v_lshrrev_b32_e32 v6, s35, v3
	v_mul_lo_u32 v3, v6, s38
	s_delay_alu instid0(VALU_DEP_1) | instskip(NEXT) | instid1(VALU_DEP_1)
	v_sub_nc_u32_e32 v2, v2, v3
	v_mad_u64_u32 v[3:4], null, v2, s40, v[0:1]
	v_mad_u64_u32 v[4:5], null, v2, s41, v[1:2]
	v_mov_b32_e32 v2, v6
	s_delay_alu instid0(VALU_DEP_2)
	v_dual_mov_b32 v0, v3 :: v_dual_mov_b32 v1, v4
	s_cbranch_scc1 .LBB287_124
.LBB287_125:
	s_and_not1_b32 vcc_lo, exec_lo, s34
	s_cbranch_vccnz .LBB287_128
; %bb.126:
	v_mul_hi_u32 v0, s13, v12
	s_and_not1_b32 vcc_lo, exec_lo, s28
	s_delay_alu instid0(VALU_DEP_1) | instskip(NEXT) | instid1(VALU_DEP_1)
	v_add_nc_u32_e32 v0, v12, v0
	v_lshrrev_b32_e32 v2, s14, v0
	s_delay_alu instid0(VALU_DEP_1) | instskip(NEXT) | instid1(VALU_DEP_1)
	v_mul_lo_u32 v0, v2, s12
	v_sub_nc_u32_e32 v1, v12, v0
	s_delay_alu instid0(VALU_DEP_1)
	v_mul_lo_u32 v0, v1, s8
	v_mul_lo_u32 v1, v1, s9
	s_cbranch_vccnz .LBB287_128
; %bb.127:
	v_mul_hi_u32 v3, s2, v2
	s_delay_alu instid0(VALU_DEP_1) | instskip(NEXT) | instid1(VALU_DEP_1)
	v_add_nc_u32_e32 v3, v2, v3
	v_lshrrev_b32_e32 v3, s3, v3
	s_delay_alu instid0(VALU_DEP_1) | instskip(NEXT) | instid1(VALU_DEP_1)
	v_mul_lo_u32 v3, v3, s15
	v_sub_nc_u32_e32 v5, v2, v3
	s_delay_alu instid0(VALU_DEP_1) | instskip(NEXT) | instid1(VALU_DEP_1)
	v_mad_u64_u32 v[2:3], null, v5, s10, v[0:1]
	v_mad_u64_u32 v[3:4], null, v5, s11, v[1:2]
	s_delay_alu instid0(VALU_DEP_1)
	v_dual_mov_b32 v0, v2 :: v_dual_mov_b32 v1, v3
.LBB287_128:
	global_load_i8 v1, v1, s[6:7]
	s_bfe_i32 s18, s26, 0x80000
	v_add_nc_u32_e32 v12, 0x80, v12
	s_waitcnt vmcnt(0)
	v_max_i16 v1, v1, s18
	s_bfe_i32 s18, s27, 0x80000
	s_delay_alu instid0(VALU_DEP_1) | instid1(SALU_CYCLE_1)
	v_min_i16 v1, v1, s18
	global_store_b8 v0, v1, s[4:5]
	s_or_b32 exec_lo, exec_lo, s33
	s_delay_alu instid0(SALU_CYCLE_1)
	s_mov_b32 s33, exec_lo
	v_cmpx_gt_i32_e64 s29, v12
	s_cbranch_execnz .LBB287_15
.LBB287_129:
	s_or_b32 exec_lo, exec_lo, s33
	s_delay_alu instid0(SALU_CYCLE_1)
	s_mov_b32 s33, exec_lo
	v_cmpx_gt_i32_e64 s29, v12
	s_cbranch_execz .LBB287_144
.LBB287_130:
	s_and_not1_b32 vcc_lo, exec_lo, s24
	s_cbranch_vccnz .LBB287_135
; %bb.131:
	v_dual_mov_b32 v0, 0 :: v_dual_mov_b32 v1, 0
	s_and_not1_b32 vcc_lo, exec_lo, s31
	s_mov_b32 s34, 0
	s_cbranch_vccnz .LBB287_155
; %bb.132:
	v_mov_b32_e32 v0, 0
	s_add_i32 s36, s30, 1
	s_cmp_eq_u32 s23, 2
	s_mov_b32 s35, 0
	s_cbranch_scc1 .LBB287_151
; %bb.133:
	v_dual_mov_b32 v1, 0 :: v_dual_mov_b32 v0, 0
	v_mov_b32_e32 v2, v12
	s_and_b32 s35, s36, 28
	s_mov_b32 s37, 0
	s_mov_b64 s[18:19], s[16:17]
	s_mov_b64 s[20:21], s[0:1]
.LBB287_134:                            ; =>This Inner Loop Header: Depth=1
	s_clause 0x1
	s_load_b256 s[40:47], s[20:21], 0x4
	s_load_b128 s[56:59], s[20:21], 0x24
	s_load_b256 s[48:55], s[18:19], 0x0
	s_add_u32 s20, s20, 48
	s_addc_u32 s21, s21, 0
	s_add_i32 s37, s37, 4
	s_add_u32 s18, s18, 32
	s_addc_u32 s19, s19, 0
	s_cmp_eq_u32 s35, s37
	s_waitcnt lgkmcnt(0)
	v_mul_hi_u32 v3, s41, v2
	s_delay_alu instid0(VALU_DEP_1) | instskip(NEXT) | instid1(VALU_DEP_1)
	v_add_nc_u32_e32 v3, v2, v3
	v_lshrrev_b32_e32 v3, s42, v3
	s_delay_alu instid0(VALU_DEP_1) | instskip(SKIP_1) | instid1(VALU_DEP_2)
	v_mul_hi_u32 v4, s44, v3
	v_mul_lo_u32 v6, v3, s40
	v_add_nc_u32_e32 v4, v3, v4
	s_delay_alu instid0(VALU_DEP_2) | instskip(NEXT) | instid1(VALU_DEP_2)
	v_sub_nc_u32_e32 v2, v2, v6
	v_lshrrev_b32_e32 v4, s45, v4
	s_delay_alu instid0(VALU_DEP_2) | instskip(SKIP_1) | instid1(VALU_DEP_3)
	v_mul_lo_u32 v6, v2, s48
	v_mul_lo_u32 v8, v2, s49
	v_mul_hi_u32 v5, s47, v4
	s_delay_alu instid0(VALU_DEP_1) | instskip(NEXT) | instid1(VALU_DEP_1)
	v_add_nc_u32_e32 v5, v4, v5
	v_lshrrev_b32_e32 v5, s56, v5
	s_delay_alu instid0(VALU_DEP_1) | instskip(SKIP_1) | instid1(VALU_DEP_2)
	v_mul_hi_u32 v7, s58, v5
	v_mul_lo_u32 v9, v5, s46
	v_add_nc_u32_e32 v2, v5, v7
	v_mul_lo_u32 v7, v4, s43
	s_delay_alu instid0(VALU_DEP_3) | instskip(NEXT) | instid1(VALU_DEP_3)
	v_sub_nc_u32_e32 v4, v4, v9
	v_lshrrev_b32_e32 v2, s59, v2
	s_delay_alu instid0(VALU_DEP_2) | instskip(SKIP_2) | instid1(VALU_DEP_4)
	v_mul_lo_u32 v9, v4, s52
	v_mul_lo_u32 v4, v4, s53
	v_sub_nc_u32_e32 v3, v3, v7
	v_mul_lo_u32 v10, v2, s57
	s_delay_alu instid0(VALU_DEP_2) | instskip(SKIP_1) | instid1(VALU_DEP_3)
	v_mul_lo_u32 v7, v3, s50
	v_mul_lo_u32 v3, v3, s51
	v_sub_nc_u32_e32 v5, v5, v10
	s_delay_alu instid0(VALU_DEP_3) | instskip(NEXT) | instid1(VALU_DEP_2)
	v_add3_u32 v0, v6, v0, v7
	v_mul_lo_u32 v10, v5, s54
	v_mul_lo_u32 v5, v5, s55
	v_add3_u32 v1, v8, v1, v3
	s_delay_alu instid0(VALU_DEP_3) | instskip(NEXT) | instid1(VALU_DEP_2)
	v_add3_u32 v0, v9, v0, v10
	v_add3_u32 v1, v4, v1, v5
	s_cbranch_scc0 .LBB287_134
	s_branch .LBB287_152
.LBB287_135:
	s_mov_b32 s34, -1
                                        ; implicit-def: $vgpr0
                                        ; implicit-def: $vgpr1
	s_branch .LBB287_155
.LBB287_136:
	v_dual_mov_b32 v2, v12 :: v_dual_mov_b32 v1, 0
.LBB287_137:
	s_and_b32 s36, s36, 3
	s_delay_alu instid0(SALU_CYCLE_1)
	s_cmp_eq_u32 s36, 0
	s_cbranch_scc1 .LBB287_140
; %bb.138:
	s_lshl_b32 s18, s35, 3
	s_mul_i32 s20, s35, 12
	s_add_u32 s18, s18, s0
	s_addc_u32 s19, s1, 0
	s_add_u32 s18, s18, 0xc4
	s_addc_u32 s19, s19, 0
	;; [unrolled: 2-line block ×3, first 2 shown]
	.p2align	6
.LBB287_139:                            ; =>This Inner Loop Header: Depth=1
	s_clause 0x1
	s_load_b64 s[38:39], s[20:21], 0x4
	s_load_b32 s35, s[20:21], 0xc
	s_load_b64 s[40:41], s[18:19], 0x0
	s_add_u32 s20, s20, 12
	s_addc_u32 s21, s21, 0
	s_add_u32 s18, s18, 8
	s_addc_u32 s19, s19, 0
	s_add_i32 s36, s36, -1
	s_delay_alu instid0(SALU_CYCLE_1) | instskip(SKIP_2) | instid1(VALU_DEP_1)
	s_cmp_lg_u32 s36, 0
	s_waitcnt lgkmcnt(0)
	v_mul_hi_u32 v3, s39, v2
	v_add_nc_u32_e32 v3, v2, v3
	s_delay_alu instid0(VALU_DEP_1) | instskip(NEXT) | instid1(VALU_DEP_1)
	v_lshrrev_b32_e32 v6, s35, v3
	v_mul_lo_u32 v3, v6, s38
	s_delay_alu instid0(VALU_DEP_1) | instskip(NEXT) | instid1(VALU_DEP_1)
	v_sub_nc_u32_e32 v2, v2, v3
	v_mad_u64_u32 v[3:4], null, v2, s40, v[0:1]
	v_mad_u64_u32 v[4:5], null, v2, s41, v[1:2]
	v_mov_b32_e32 v2, v6
	s_delay_alu instid0(VALU_DEP_2)
	v_dual_mov_b32 v0, v3 :: v_dual_mov_b32 v1, v4
	s_cbranch_scc1 .LBB287_139
.LBB287_140:
	s_and_not1_b32 vcc_lo, exec_lo, s34
	s_cbranch_vccnz .LBB287_143
; %bb.141:
	v_mul_hi_u32 v0, s13, v12
	s_and_not1_b32 vcc_lo, exec_lo, s28
	s_delay_alu instid0(VALU_DEP_1) | instskip(NEXT) | instid1(VALU_DEP_1)
	v_add_nc_u32_e32 v0, v12, v0
	v_lshrrev_b32_e32 v2, s14, v0
	s_delay_alu instid0(VALU_DEP_1) | instskip(NEXT) | instid1(VALU_DEP_1)
	v_mul_lo_u32 v0, v2, s12
	v_sub_nc_u32_e32 v1, v12, v0
	s_delay_alu instid0(VALU_DEP_1)
	v_mul_lo_u32 v0, v1, s8
	v_mul_lo_u32 v1, v1, s9
	s_cbranch_vccnz .LBB287_143
; %bb.142:
	v_mul_hi_u32 v3, s2, v2
	s_delay_alu instid0(VALU_DEP_1) | instskip(NEXT) | instid1(VALU_DEP_1)
	v_add_nc_u32_e32 v3, v2, v3
	v_lshrrev_b32_e32 v3, s3, v3
	s_delay_alu instid0(VALU_DEP_1) | instskip(NEXT) | instid1(VALU_DEP_1)
	v_mul_lo_u32 v3, v3, s15
	v_sub_nc_u32_e32 v5, v2, v3
	s_delay_alu instid0(VALU_DEP_1) | instskip(NEXT) | instid1(VALU_DEP_1)
	v_mad_u64_u32 v[2:3], null, v5, s10, v[0:1]
	v_mad_u64_u32 v[3:4], null, v5, s11, v[1:2]
	s_delay_alu instid0(VALU_DEP_1)
	v_dual_mov_b32 v0, v2 :: v_dual_mov_b32 v1, v3
.LBB287_143:
	global_load_i8 v1, v1, s[6:7]
	s_bfe_i32 s18, s26, 0x80000
	v_add_nc_u32_e32 v12, 0x80, v12
	s_waitcnt vmcnt(0)
	v_max_i16 v1, v1, s18
	s_bfe_i32 s18, s27, 0x80000
	s_delay_alu instid0(VALU_DEP_1) | instid1(SALU_CYCLE_1)
	v_min_i16 v1, v1, s18
	global_store_b8 v0, v1, s[4:5]
	s_or_b32 exec_lo, exec_lo, s33
	s_delay_alu instid0(SALU_CYCLE_1)
	s_mov_b32 s33, exec_lo
	v_cmpx_gt_i32_e64 s29, v12
	s_cbranch_execnz .LBB287_130
.LBB287_144:
	s_or_b32 exec_lo, exec_lo, s33
	s_delay_alu instid0(SALU_CYCLE_1)
	s_mov_b32 s33, exec_lo
	v_cmpx_gt_i32_e64 s29, v12
	s_cbranch_execz .LBB287_159
.LBB287_145:
	s_and_not1_b32 vcc_lo, exec_lo, s24
	s_cbranch_vccnz .LBB287_150
; %bb.146:
	v_dual_mov_b32 v0, 0 :: v_dual_mov_b32 v1, 0
	s_and_not1_b32 vcc_lo, exec_lo, s31
	s_mov_b32 s34, 0
	s_cbranch_vccnz .LBB287_170
; %bb.147:
	v_mov_b32_e32 v0, 0
	s_add_i32 s36, s30, 1
	s_cmp_eq_u32 s23, 2
	s_mov_b32 s35, 0
	s_cbranch_scc1 .LBB287_166
; %bb.148:
	v_dual_mov_b32 v1, 0 :: v_dual_mov_b32 v0, 0
	v_mov_b32_e32 v2, v12
	s_and_b32 s35, s36, 28
	s_mov_b32 s37, 0
	s_mov_b64 s[18:19], s[16:17]
	s_mov_b64 s[20:21], s[0:1]
.LBB287_149:                            ; =>This Inner Loop Header: Depth=1
	s_clause 0x1
	s_load_b256 s[40:47], s[20:21], 0x4
	s_load_b128 s[56:59], s[20:21], 0x24
	s_load_b256 s[48:55], s[18:19], 0x0
	s_add_u32 s20, s20, 48
	s_addc_u32 s21, s21, 0
	s_add_i32 s37, s37, 4
	s_add_u32 s18, s18, 32
	s_addc_u32 s19, s19, 0
	s_cmp_eq_u32 s35, s37
	s_waitcnt lgkmcnt(0)
	v_mul_hi_u32 v3, s41, v2
	s_delay_alu instid0(VALU_DEP_1) | instskip(NEXT) | instid1(VALU_DEP_1)
	v_add_nc_u32_e32 v3, v2, v3
	v_lshrrev_b32_e32 v3, s42, v3
	s_delay_alu instid0(VALU_DEP_1) | instskip(SKIP_1) | instid1(VALU_DEP_2)
	v_mul_hi_u32 v4, s44, v3
	v_mul_lo_u32 v6, v3, s40
	v_add_nc_u32_e32 v4, v3, v4
	s_delay_alu instid0(VALU_DEP_2) | instskip(NEXT) | instid1(VALU_DEP_2)
	v_sub_nc_u32_e32 v2, v2, v6
	v_lshrrev_b32_e32 v4, s45, v4
	s_delay_alu instid0(VALU_DEP_2) | instskip(SKIP_1) | instid1(VALU_DEP_3)
	v_mul_lo_u32 v6, v2, s48
	v_mul_lo_u32 v8, v2, s49
	v_mul_hi_u32 v5, s47, v4
	s_delay_alu instid0(VALU_DEP_1) | instskip(NEXT) | instid1(VALU_DEP_1)
	v_add_nc_u32_e32 v5, v4, v5
	v_lshrrev_b32_e32 v5, s56, v5
	s_delay_alu instid0(VALU_DEP_1) | instskip(SKIP_1) | instid1(VALU_DEP_2)
	v_mul_hi_u32 v7, s58, v5
	v_mul_lo_u32 v9, v5, s46
	v_add_nc_u32_e32 v2, v5, v7
	v_mul_lo_u32 v7, v4, s43
	s_delay_alu instid0(VALU_DEP_3) | instskip(NEXT) | instid1(VALU_DEP_3)
	v_sub_nc_u32_e32 v4, v4, v9
	v_lshrrev_b32_e32 v2, s59, v2
	s_delay_alu instid0(VALU_DEP_2) | instskip(SKIP_2) | instid1(VALU_DEP_4)
	v_mul_lo_u32 v9, v4, s52
	v_mul_lo_u32 v4, v4, s53
	v_sub_nc_u32_e32 v3, v3, v7
	v_mul_lo_u32 v10, v2, s57
	s_delay_alu instid0(VALU_DEP_2) | instskip(SKIP_1) | instid1(VALU_DEP_3)
	v_mul_lo_u32 v7, v3, s50
	v_mul_lo_u32 v3, v3, s51
	v_sub_nc_u32_e32 v5, v5, v10
	s_delay_alu instid0(VALU_DEP_3) | instskip(NEXT) | instid1(VALU_DEP_2)
	v_add3_u32 v0, v6, v0, v7
	v_mul_lo_u32 v10, v5, s54
	v_mul_lo_u32 v5, v5, s55
	v_add3_u32 v1, v8, v1, v3
	s_delay_alu instid0(VALU_DEP_3) | instskip(NEXT) | instid1(VALU_DEP_2)
	v_add3_u32 v0, v9, v0, v10
	v_add3_u32 v1, v4, v1, v5
	s_cbranch_scc0 .LBB287_149
	s_branch .LBB287_167
.LBB287_150:
	s_mov_b32 s34, -1
                                        ; implicit-def: $vgpr0
                                        ; implicit-def: $vgpr1
	s_branch .LBB287_170
.LBB287_151:
	v_dual_mov_b32 v2, v12 :: v_dual_mov_b32 v1, 0
.LBB287_152:
	s_and_b32 s36, s36, 3
	s_delay_alu instid0(SALU_CYCLE_1)
	s_cmp_eq_u32 s36, 0
	s_cbranch_scc1 .LBB287_155
; %bb.153:
	s_lshl_b32 s18, s35, 3
	s_mul_i32 s20, s35, 12
	s_add_u32 s18, s18, s0
	s_addc_u32 s19, s1, 0
	s_add_u32 s18, s18, 0xc4
	s_addc_u32 s19, s19, 0
	;; [unrolled: 2-line block ×3, first 2 shown]
	.p2align	6
.LBB287_154:                            ; =>This Inner Loop Header: Depth=1
	s_clause 0x1
	s_load_b64 s[38:39], s[20:21], 0x4
	s_load_b32 s35, s[20:21], 0xc
	s_load_b64 s[40:41], s[18:19], 0x0
	s_add_u32 s20, s20, 12
	s_addc_u32 s21, s21, 0
	s_add_u32 s18, s18, 8
	s_addc_u32 s19, s19, 0
	s_add_i32 s36, s36, -1
	s_delay_alu instid0(SALU_CYCLE_1) | instskip(SKIP_2) | instid1(VALU_DEP_1)
	s_cmp_lg_u32 s36, 0
	s_waitcnt lgkmcnt(0)
	v_mul_hi_u32 v3, s39, v2
	v_add_nc_u32_e32 v3, v2, v3
	s_delay_alu instid0(VALU_DEP_1) | instskip(NEXT) | instid1(VALU_DEP_1)
	v_lshrrev_b32_e32 v6, s35, v3
	v_mul_lo_u32 v3, v6, s38
	s_delay_alu instid0(VALU_DEP_1) | instskip(NEXT) | instid1(VALU_DEP_1)
	v_sub_nc_u32_e32 v2, v2, v3
	v_mad_u64_u32 v[3:4], null, v2, s40, v[0:1]
	v_mad_u64_u32 v[4:5], null, v2, s41, v[1:2]
	v_mov_b32_e32 v2, v6
	s_delay_alu instid0(VALU_DEP_2)
	v_dual_mov_b32 v0, v3 :: v_dual_mov_b32 v1, v4
	s_cbranch_scc1 .LBB287_154
.LBB287_155:
	s_and_not1_b32 vcc_lo, exec_lo, s34
	s_cbranch_vccnz .LBB287_158
; %bb.156:
	v_mul_hi_u32 v0, s13, v12
	s_and_not1_b32 vcc_lo, exec_lo, s28
	s_delay_alu instid0(VALU_DEP_1) | instskip(NEXT) | instid1(VALU_DEP_1)
	v_add_nc_u32_e32 v0, v12, v0
	v_lshrrev_b32_e32 v2, s14, v0
	s_delay_alu instid0(VALU_DEP_1) | instskip(NEXT) | instid1(VALU_DEP_1)
	v_mul_lo_u32 v0, v2, s12
	v_sub_nc_u32_e32 v1, v12, v0
	s_delay_alu instid0(VALU_DEP_1)
	v_mul_lo_u32 v0, v1, s8
	v_mul_lo_u32 v1, v1, s9
	s_cbranch_vccnz .LBB287_158
; %bb.157:
	v_mul_hi_u32 v3, s2, v2
	s_delay_alu instid0(VALU_DEP_1) | instskip(NEXT) | instid1(VALU_DEP_1)
	v_add_nc_u32_e32 v3, v2, v3
	v_lshrrev_b32_e32 v3, s3, v3
	s_delay_alu instid0(VALU_DEP_1) | instskip(NEXT) | instid1(VALU_DEP_1)
	v_mul_lo_u32 v3, v3, s15
	v_sub_nc_u32_e32 v5, v2, v3
	s_delay_alu instid0(VALU_DEP_1) | instskip(NEXT) | instid1(VALU_DEP_1)
	v_mad_u64_u32 v[2:3], null, v5, s10, v[0:1]
	v_mad_u64_u32 v[3:4], null, v5, s11, v[1:2]
	s_delay_alu instid0(VALU_DEP_1)
	v_dual_mov_b32 v0, v2 :: v_dual_mov_b32 v1, v3
.LBB287_158:
	global_load_i8 v1, v1, s[6:7]
	s_bfe_i32 s18, s26, 0x80000
	v_add_nc_u32_e32 v12, 0x80, v12
	s_waitcnt vmcnt(0)
	v_max_i16 v1, v1, s18
	s_bfe_i32 s18, s27, 0x80000
	s_delay_alu instid0(VALU_DEP_1) | instid1(SALU_CYCLE_1)
	v_min_i16 v1, v1, s18
	global_store_b8 v0, v1, s[4:5]
	s_or_b32 exec_lo, exec_lo, s33
	s_delay_alu instid0(SALU_CYCLE_1)
	s_mov_b32 s33, exec_lo
	v_cmpx_gt_i32_e64 s29, v12
	s_cbranch_execnz .LBB287_145
.LBB287_159:
	s_or_b32 exec_lo, exec_lo, s33
	s_delay_alu instid0(SALU_CYCLE_1)
	s_mov_b32 s33, exec_lo
	v_cmpx_gt_i32_e64 s29, v12
	s_cbranch_execz .LBB287_174
.LBB287_160:
	s_and_not1_b32 vcc_lo, exec_lo, s24
	s_cbranch_vccnz .LBB287_165
; %bb.161:
	v_dual_mov_b32 v0, 0 :: v_dual_mov_b32 v1, 0
	s_and_not1_b32 vcc_lo, exec_lo, s31
	s_mov_b32 s34, 0
	s_cbranch_vccnz .LBB287_185
; %bb.162:
	v_mov_b32_e32 v0, 0
	s_add_i32 s36, s30, 1
	s_cmp_eq_u32 s23, 2
	s_mov_b32 s35, 0
	s_cbranch_scc1 .LBB287_181
; %bb.163:
	v_dual_mov_b32 v1, 0 :: v_dual_mov_b32 v0, 0
	v_mov_b32_e32 v2, v12
	s_and_b32 s35, s36, 28
	s_mov_b32 s37, 0
	s_mov_b64 s[18:19], s[16:17]
	s_mov_b64 s[20:21], s[0:1]
.LBB287_164:                            ; =>This Inner Loop Header: Depth=1
	s_clause 0x1
	s_load_b256 s[40:47], s[20:21], 0x4
	s_load_b128 s[56:59], s[20:21], 0x24
	s_load_b256 s[48:55], s[18:19], 0x0
	s_add_u32 s20, s20, 48
	s_addc_u32 s21, s21, 0
	s_add_i32 s37, s37, 4
	s_add_u32 s18, s18, 32
	s_addc_u32 s19, s19, 0
	s_cmp_eq_u32 s35, s37
	s_waitcnt lgkmcnt(0)
	v_mul_hi_u32 v3, s41, v2
	s_delay_alu instid0(VALU_DEP_1) | instskip(NEXT) | instid1(VALU_DEP_1)
	v_add_nc_u32_e32 v3, v2, v3
	v_lshrrev_b32_e32 v3, s42, v3
	s_delay_alu instid0(VALU_DEP_1) | instskip(SKIP_1) | instid1(VALU_DEP_2)
	v_mul_hi_u32 v4, s44, v3
	v_mul_lo_u32 v6, v3, s40
	v_add_nc_u32_e32 v4, v3, v4
	s_delay_alu instid0(VALU_DEP_2) | instskip(NEXT) | instid1(VALU_DEP_2)
	v_sub_nc_u32_e32 v2, v2, v6
	v_lshrrev_b32_e32 v4, s45, v4
	s_delay_alu instid0(VALU_DEP_2) | instskip(SKIP_1) | instid1(VALU_DEP_3)
	v_mul_lo_u32 v6, v2, s48
	v_mul_lo_u32 v8, v2, s49
	v_mul_hi_u32 v5, s47, v4
	s_delay_alu instid0(VALU_DEP_1) | instskip(NEXT) | instid1(VALU_DEP_1)
	v_add_nc_u32_e32 v5, v4, v5
	v_lshrrev_b32_e32 v5, s56, v5
	s_delay_alu instid0(VALU_DEP_1) | instskip(SKIP_1) | instid1(VALU_DEP_2)
	v_mul_hi_u32 v7, s58, v5
	v_mul_lo_u32 v9, v5, s46
	v_add_nc_u32_e32 v2, v5, v7
	v_mul_lo_u32 v7, v4, s43
	s_delay_alu instid0(VALU_DEP_3) | instskip(NEXT) | instid1(VALU_DEP_3)
	v_sub_nc_u32_e32 v4, v4, v9
	v_lshrrev_b32_e32 v2, s59, v2
	s_delay_alu instid0(VALU_DEP_2) | instskip(SKIP_2) | instid1(VALU_DEP_4)
	v_mul_lo_u32 v9, v4, s52
	v_mul_lo_u32 v4, v4, s53
	v_sub_nc_u32_e32 v3, v3, v7
	v_mul_lo_u32 v10, v2, s57
	s_delay_alu instid0(VALU_DEP_2) | instskip(SKIP_1) | instid1(VALU_DEP_3)
	v_mul_lo_u32 v7, v3, s50
	v_mul_lo_u32 v3, v3, s51
	v_sub_nc_u32_e32 v5, v5, v10
	s_delay_alu instid0(VALU_DEP_3) | instskip(NEXT) | instid1(VALU_DEP_2)
	v_add3_u32 v0, v6, v0, v7
	v_mul_lo_u32 v10, v5, s54
	v_mul_lo_u32 v5, v5, s55
	v_add3_u32 v1, v8, v1, v3
	s_delay_alu instid0(VALU_DEP_3) | instskip(NEXT) | instid1(VALU_DEP_2)
	v_add3_u32 v0, v9, v0, v10
	v_add3_u32 v1, v4, v1, v5
	s_cbranch_scc0 .LBB287_164
	s_branch .LBB287_182
.LBB287_165:
	s_mov_b32 s34, -1
                                        ; implicit-def: $vgpr0
                                        ; implicit-def: $vgpr1
	s_branch .LBB287_185
.LBB287_166:
	v_dual_mov_b32 v2, v12 :: v_dual_mov_b32 v1, 0
.LBB287_167:
	s_and_b32 s36, s36, 3
	s_delay_alu instid0(SALU_CYCLE_1)
	s_cmp_eq_u32 s36, 0
	s_cbranch_scc1 .LBB287_170
; %bb.168:
	s_lshl_b32 s18, s35, 3
	s_mul_i32 s20, s35, 12
	s_add_u32 s18, s18, s0
	s_addc_u32 s19, s1, 0
	s_add_u32 s18, s18, 0xc4
	s_addc_u32 s19, s19, 0
	;; [unrolled: 2-line block ×3, first 2 shown]
	.p2align	6
.LBB287_169:                            ; =>This Inner Loop Header: Depth=1
	s_clause 0x1
	s_load_b64 s[38:39], s[20:21], 0x4
	s_load_b32 s35, s[20:21], 0xc
	s_load_b64 s[40:41], s[18:19], 0x0
	s_add_u32 s20, s20, 12
	s_addc_u32 s21, s21, 0
	s_add_u32 s18, s18, 8
	s_addc_u32 s19, s19, 0
	s_add_i32 s36, s36, -1
	s_delay_alu instid0(SALU_CYCLE_1) | instskip(SKIP_2) | instid1(VALU_DEP_1)
	s_cmp_lg_u32 s36, 0
	s_waitcnt lgkmcnt(0)
	v_mul_hi_u32 v3, s39, v2
	v_add_nc_u32_e32 v3, v2, v3
	s_delay_alu instid0(VALU_DEP_1) | instskip(NEXT) | instid1(VALU_DEP_1)
	v_lshrrev_b32_e32 v6, s35, v3
	v_mul_lo_u32 v3, v6, s38
	s_delay_alu instid0(VALU_DEP_1) | instskip(NEXT) | instid1(VALU_DEP_1)
	v_sub_nc_u32_e32 v2, v2, v3
	v_mad_u64_u32 v[3:4], null, v2, s40, v[0:1]
	v_mad_u64_u32 v[4:5], null, v2, s41, v[1:2]
	v_mov_b32_e32 v2, v6
	s_delay_alu instid0(VALU_DEP_2)
	v_dual_mov_b32 v0, v3 :: v_dual_mov_b32 v1, v4
	s_cbranch_scc1 .LBB287_169
.LBB287_170:
	s_and_not1_b32 vcc_lo, exec_lo, s34
	s_cbranch_vccnz .LBB287_173
; %bb.171:
	v_mul_hi_u32 v0, s13, v12
	s_and_not1_b32 vcc_lo, exec_lo, s28
	s_delay_alu instid0(VALU_DEP_1) | instskip(NEXT) | instid1(VALU_DEP_1)
	v_add_nc_u32_e32 v0, v12, v0
	v_lshrrev_b32_e32 v2, s14, v0
	s_delay_alu instid0(VALU_DEP_1) | instskip(NEXT) | instid1(VALU_DEP_1)
	v_mul_lo_u32 v0, v2, s12
	v_sub_nc_u32_e32 v1, v12, v0
	s_delay_alu instid0(VALU_DEP_1)
	v_mul_lo_u32 v0, v1, s8
	v_mul_lo_u32 v1, v1, s9
	s_cbranch_vccnz .LBB287_173
; %bb.172:
	v_mul_hi_u32 v3, s2, v2
	s_delay_alu instid0(VALU_DEP_1) | instskip(NEXT) | instid1(VALU_DEP_1)
	v_add_nc_u32_e32 v3, v2, v3
	v_lshrrev_b32_e32 v3, s3, v3
	s_delay_alu instid0(VALU_DEP_1) | instskip(NEXT) | instid1(VALU_DEP_1)
	v_mul_lo_u32 v3, v3, s15
	v_sub_nc_u32_e32 v5, v2, v3
	s_delay_alu instid0(VALU_DEP_1) | instskip(NEXT) | instid1(VALU_DEP_1)
	v_mad_u64_u32 v[2:3], null, v5, s10, v[0:1]
	v_mad_u64_u32 v[3:4], null, v5, s11, v[1:2]
	s_delay_alu instid0(VALU_DEP_1)
	v_dual_mov_b32 v0, v2 :: v_dual_mov_b32 v1, v3
.LBB287_173:
	global_load_i8 v1, v1, s[6:7]
	s_bfe_i32 s18, s26, 0x80000
	v_add_nc_u32_e32 v12, 0x80, v12
	s_waitcnt vmcnt(0)
	v_max_i16 v1, v1, s18
	s_bfe_i32 s18, s27, 0x80000
	s_delay_alu instid0(VALU_DEP_1) | instid1(SALU_CYCLE_1)
	v_min_i16 v1, v1, s18
	global_store_b8 v0, v1, s[4:5]
	s_or_b32 exec_lo, exec_lo, s33
	s_delay_alu instid0(SALU_CYCLE_1)
	s_mov_b32 s33, exec_lo
	v_cmpx_gt_i32_e64 s29, v12
	s_cbranch_execnz .LBB287_160
.LBB287_174:
	s_or_b32 exec_lo, exec_lo, s33
	s_delay_alu instid0(SALU_CYCLE_1)
	s_mov_b32 s33, exec_lo
	v_cmpx_gt_i32_e64 s29, v12
	s_cbranch_execz .LBB287_189
.LBB287_175:
	s_and_not1_b32 vcc_lo, exec_lo, s24
	s_cbranch_vccnz .LBB287_180
; %bb.176:
	v_dual_mov_b32 v0, 0 :: v_dual_mov_b32 v1, 0
	s_and_not1_b32 vcc_lo, exec_lo, s31
	s_mov_b32 s34, 0
	s_cbranch_vccnz .LBB287_200
; %bb.177:
	v_mov_b32_e32 v0, 0
	s_add_i32 s36, s30, 1
	s_cmp_eq_u32 s23, 2
	s_mov_b32 s35, 0
	s_cbranch_scc1 .LBB287_196
; %bb.178:
	v_dual_mov_b32 v1, 0 :: v_dual_mov_b32 v0, 0
	v_mov_b32_e32 v2, v12
	s_and_b32 s35, s36, 28
	s_mov_b32 s37, 0
	s_mov_b64 s[18:19], s[16:17]
	s_mov_b64 s[20:21], s[0:1]
.LBB287_179:                            ; =>This Inner Loop Header: Depth=1
	s_clause 0x1
	s_load_b256 s[40:47], s[20:21], 0x4
	s_load_b128 s[56:59], s[20:21], 0x24
	s_load_b256 s[48:55], s[18:19], 0x0
	s_add_u32 s20, s20, 48
	s_addc_u32 s21, s21, 0
	s_add_i32 s37, s37, 4
	s_add_u32 s18, s18, 32
	s_addc_u32 s19, s19, 0
	s_cmp_eq_u32 s35, s37
	s_waitcnt lgkmcnt(0)
	v_mul_hi_u32 v3, s41, v2
	s_delay_alu instid0(VALU_DEP_1) | instskip(NEXT) | instid1(VALU_DEP_1)
	v_add_nc_u32_e32 v3, v2, v3
	v_lshrrev_b32_e32 v3, s42, v3
	s_delay_alu instid0(VALU_DEP_1) | instskip(SKIP_1) | instid1(VALU_DEP_2)
	v_mul_hi_u32 v4, s44, v3
	v_mul_lo_u32 v6, v3, s40
	v_add_nc_u32_e32 v4, v3, v4
	s_delay_alu instid0(VALU_DEP_2) | instskip(NEXT) | instid1(VALU_DEP_2)
	v_sub_nc_u32_e32 v2, v2, v6
	v_lshrrev_b32_e32 v4, s45, v4
	s_delay_alu instid0(VALU_DEP_2) | instskip(SKIP_1) | instid1(VALU_DEP_3)
	v_mul_lo_u32 v6, v2, s48
	v_mul_lo_u32 v8, v2, s49
	v_mul_hi_u32 v5, s47, v4
	s_delay_alu instid0(VALU_DEP_1) | instskip(NEXT) | instid1(VALU_DEP_1)
	v_add_nc_u32_e32 v5, v4, v5
	v_lshrrev_b32_e32 v5, s56, v5
	s_delay_alu instid0(VALU_DEP_1) | instskip(SKIP_1) | instid1(VALU_DEP_2)
	v_mul_hi_u32 v7, s58, v5
	v_mul_lo_u32 v9, v5, s46
	v_add_nc_u32_e32 v2, v5, v7
	v_mul_lo_u32 v7, v4, s43
	s_delay_alu instid0(VALU_DEP_3) | instskip(NEXT) | instid1(VALU_DEP_3)
	v_sub_nc_u32_e32 v4, v4, v9
	v_lshrrev_b32_e32 v2, s59, v2
	s_delay_alu instid0(VALU_DEP_2) | instskip(SKIP_2) | instid1(VALU_DEP_4)
	v_mul_lo_u32 v9, v4, s52
	v_mul_lo_u32 v4, v4, s53
	v_sub_nc_u32_e32 v3, v3, v7
	v_mul_lo_u32 v10, v2, s57
	s_delay_alu instid0(VALU_DEP_2) | instskip(SKIP_1) | instid1(VALU_DEP_3)
	v_mul_lo_u32 v7, v3, s50
	v_mul_lo_u32 v3, v3, s51
	v_sub_nc_u32_e32 v5, v5, v10
	s_delay_alu instid0(VALU_DEP_3) | instskip(NEXT) | instid1(VALU_DEP_2)
	v_add3_u32 v0, v6, v0, v7
	v_mul_lo_u32 v10, v5, s54
	v_mul_lo_u32 v5, v5, s55
	v_add3_u32 v1, v8, v1, v3
	s_delay_alu instid0(VALU_DEP_3) | instskip(NEXT) | instid1(VALU_DEP_2)
	v_add3_u32 v0, v9, v0, v10
	v_add3_u32 v1, v4, v1, v5
	s_cbranch_scc0 .LBB287_179
	s_branch .LBB287_197
.LBB287_180:
	s_mov_b32 s34, -1
                                        ; implicit-def: $vgpr0
                                        ; implicit-def: $vgpr1
	s_branch .LBB287_200
.LBB287_181:
	v_dual_mov_b32 v2, v12 :: v_dual_mov_b32 v1, 0
.LBB287_182:
	s_and_b32 s36, s36, 3
	s_delay_alu instid0(SALU_CYCLE_1)
	s_cmp_eq_u32 s36, 0
	s_cbranch_scc1 .LBB287_185
; %bb.183:
	s_lshl_b32 s18, s35, 3
	s_mul_i32 s20, s35, 12
	s_add_u32 s18, s18, s0
	s_addc_u32 s19, s1, 0
	s_add_u32 s18, s18, 0xc4
	s_addc_u32 s19, s19, 0
	;; [unrolled: 2-line block ×3, first 2 shown]
	.p2align	6
.LBB287_184:                            ; =>This Inner Loop Header: Depth=1
	s_clause 0x1
	s_load_b64 s[38:39], s[20:21], 0x4
	s_load_b32 s35, s[20:21], 0xc
	s_load_b64 s[40:41], s[18:19], 0x0
	s_add_u32 s20, s20, 12
	s_addc_u32 s21, s21, 0
	s_add_u32 s18, s18, 8
	s_addc_u32 s19, s19, 0
	s_add_i32 s36, s36, -1
	s_delay_alu instid0(SALU_CYCLE_1) | instskip(SKIP_2) | instid1(VALU_DEP_1)
	s_cmp_lg_u32 s36, 0
	s_waitcnt lgkmcnt(0)
	v_mul_hi_u32 v3, s39, v2
	v_add_nc_u32_e32 v3, v2, v3
	s_delay_alu instid0(VALU_DEP_1) | instskip(NEXT) | instid1(VALU_DEP_1)
	v_lshrrev_b32_e32 v6, s35, v3
	v_mul_lo_u32 v3, v6, s38
	s_delay_alu instid0(VALU_DEP_1) | instskip(NEXT) | instid1(VALU_DEP_1)
	v_sub_nc_u32_e32 v2, v2, v3
	v_mad_u64_u32 v[3:4], null, v2, s40, v[0:1]
	v_mad_u64_u32 v[4:5], null, v2, s41, v[1:2]
	v_mov_b32_e32 v2, v6
	s_delay_alu instid0(VALU_DEP_2)
	v_dual_mov_b32 v0, v3 :: v_dual_mov_b32 v1, v4
	s_cbranch_scc1 .LBB287_184
.LBB287_185:
	s_and_not1_b32 vcc_lo, exec_lo, s34
	s_cbranch_vccnz .LBB287_188
; %bb.186:
	v_mul_hi_u32 v0, s13, v12
	s_and_not1_b32 vcc_lo, exec_lo, s28
	s_delay_alu instid0(VALU_DEP_1) | instskip(NEXT) | instid1(VALU_DEP_1)
	v_add_nc_u32_e32 v0, v12, v0
	v_lshrrev_b32_e32 v2, s14, v0
	s_delay_alu instid0(VALU_DEP_1) | instskip(NEXT) | instid1(VALU_DEP_1)
	v_mul_lo_u32 v0, v2, s12
	v_sub_nc_u32_e32 v1, v12, v0
	s_delay_alu instid0(VALU_DEP_1)
	v_mul_lo_u32 v0, v1, s8
	v_mul_lo_u32 v1, v1, s9
	s_cbranch_vccnz .LBB287_188
; %bb.187:
	v_mul_hi_u32 v3, s2, v2
	s_delay_alu instid0(VALU_DEP_1) | instskip(NEXT) | instid1(VALU_DEP_1)
	v_add_nc_u32_e32 v3, v2, v3
	v_lshrrev_b32_e32 v3, s3, v3
	s_delay_alu instid0(VALU_DEP_1) | instskip(NEXT) | instid1(VALU_DEP_1)
	v_mul_lo_u32 v3, v3, s15
	v_sub_nc_u32_e32 v5, v2, v3
	s_delay_alu instid0(VALU_DEP_1) | instskip(NEXT) | instid1(VALU_DEP_1)
	v_mad_u64_u32 v[2:3], null, v5, s10, v[0:1]
	v_mad_u64_u32 v[3:4], null, v5, s11, v[1:2]
	s_delay_alu instid0(VALU_DEP_1)
	v_dual_mov_b32 v0, v2 :: v_dual_mov_b32 v1, v3
.LBB287_188:
	global_load_i8 v1, v1, s[6:7]
	s_bfe_i32 s18, s26, 0x80000
	v_add_nc_u32_e32 v12, 0x80, v12
	s_waitcnt vmcnt(0)
	v_max_i16 v1, v1, s18
	s_bfe_i32 s18, s27, 0x80000
	s_delay_alu instid0(VALU_DEP_1) | instid1(SALU_CYCLE_1)
	v_min_i16 v1, v1, s18
	global_store_b8 v0, v1, s[4:5]
	s_or_b32 exec_lo, exec_lo, s33
	s_delay_alu instid0(SALU_CYCLE_1)
	s_mov_b32 s33, exec_lo
	v_cmpx_gt_i32_e64 s29, v12
	s_cbranch_execnz .LBB287_175
.LBB287_189:
	s_or_b32 exec_lo, exec_lo, s33
	s_delay_alu instid0(SALU_CYCLE_1)
	s_mov_b32 s33, exec_lo
	v_cmpx_gt_i32_e64 s29, v12
	s_cbranch_execz .LBB287_204
.LBB287_190:
	s_and_not1_b32 vcc_lo, exec_lo, s24
	s_cbranch_vccnz .LBB287_195
; %bb.191:
	v_dual_mov_b32 v0, 0 :: v_dual_mov_b32 v1, 0
	s_and_not1_b32 vcc_lo, exec_lo, s31
	s_mov_b32 s34, 0
	s_cbranch_vccnz .LBB287_211
; %bb.192:
	v_mov_b32_e32 v0, 0
	s_add_i32 s36, s30, 1
	s_cmp_eq_u32 s23, 2
	s_mov_b32 s35, 0
	s_cbranch_scc1 .LBB287_207
; %bb.193:
	v_dual_mov_b32 v1, 0 :: v_dual_mov_b32 v0, 0
	v_mov_b32_e32 v2, v12
	s_and_b32 s35, s36, 28
	s_mov_b32 s37, 0
	s_mov_b64 s[18:19], s[16:17]
	s_mov_b64 s[20:21], s[0:1]
.LBB287_194:                            ; =>This Inner Loop Header: Depth=1
	s_clause 0x1
	s_load_b256 s[40:47], s[20:21], 0x4
	s_load_b128 s[56:59], s[20:21], 0x24
	s_load_b256 s[48:55], s[18:19], 0x0
	s_add_u32 s20, s20, 48
	s_addc_u32 s21, s21, 0
	s_add_i32 s37, s37, 4
	s_add_u32 s18, s18, 32
	s_addc_u32 s19, s19, 0
	s_cmp_eq_u32 s35, s37
	s_waitcnt lgkmcnt(0)
	v_mul_hi_u32 v3, s41, v2
	s_delay_alu instid0(VALU_DEP_1) | instskip(NEXT) | instid1(VALU_DEP_1)
	v_add_nc_u32_e32 v3, v2, v3
	v_lshrrev_b32_e32 v3, s42, v3
	s_delay_alu instid0(VALU_DEP_1) | instskip(SKIP_1) | instid1(VALU_DEP_2)
	v_mul_hi_u32 v4, s44, v3
	v_mul_lo_u32 v6, v3, s40
	v_add_nc_u32_e32 v4, v3, v4
	s_delay_alu instid0(VALU_DEP_2) | instskip(NEXT) | instid1(VALU_DEP_2)
	v_sub_nc_u32_e32 v2, v2, v6
	v_lshrrev_b32_e32 v4, s45, v4
	s_delay_alu instid0(VALU_DEP_2) | instskip(SKIP_1) | instid1(VALU_DEP_3)
	v_mul_lo_u32 v6, v2, s48
	v_mul_lo_u32 v8, v2, s49
	v_mul_hi_u32 v5, s47, v4
	s_delay_alu instid0(VALU_DEP_1) | instskip(NEXT) | instid1(VALU_DEP_1)
	v_add_nc_u32_e32 v5, v4, v5
	v_lshrrev_b32_e32 v5, s56, v5
	s_delay_alu instid0(VALU_DEP_1) | instskip(SKIP_1) | instid1(VALU_DEP_2)
	v_mul_hi_u32 v7, s58, v5
	v_mul_lo_u32 v9, v5, s46
	v_add_nc_u32_e32 v2, v5, v7
	v_mul_lo_u32 v7, v4, s43
	s_delay_alu instid0(VALU_DEP_3) | instskip(NEXT) | instid1(VALU_DEP_3)
	v_sub_nc_u32_e32 v4, v4, v9
	v_lshrrev_b32_e32 v2, s59, v2
	s_delay_alu instid0(VALU_DEP_2) | instskip(SKIP_2) | instid1(VALU_DEP_4)
	v_mul_lo_u32 v9, v4, s52
	v_mul_lo_u32 v4, v4, s53
	v_sub_nc_u32_e32 v3, v3, v7
	v_mul_lo_u32 v10, v2, s57
	s_delay_alu instid0(VALU_DEP_2) | instskip(SKIP_1) | instid1(VALU_DEP_3)
	v_mul_lo_u32 v7, v3, s50
	v_mul_lo_u32 v3, v3, s51
	v_sub_nc_u32_e32 v5, v5, v10
	s_delay_alu instid0(VALU_DEP_3) | instskip(NEXT) | instid1(VALU_DEP_2)
	v_add3_u32 v0, v6, v0, v7
	v_mul_lo_u32 v10, v5, s54
	v_mul_lo_u32 v5, v5, s55
	v_add3_u32 v1, v8, v1, v3
	s_delay_alu instid0(VALU_DEP_3) | instskip(NEXT) | instid1(VALU_DEP_2)
	v_add3_u32 v0, v9, v0, v10
	v_add3_u32 v1, v4, v1, v5
	s_cbranch_scc0 .LBB287_194
	s_branch .LBB287_208
.LBB287_195:
	s_mov_b32 s34, -1
                                        ; implicit-def: $vgpr0
                                        ; implicit-def: $vgpr1
	s_branch .LBB287_211
.LBB287_196:
	v_dual_mov_b32 v2, v12 :: v_dual_mov_b32 v1, 0
.LBB287_197:
	s_and_b32 s36, s36, 3
	s_delay_alu instid0(SALU_CYCLE_1)
	s_cmp_eq_u32 s36, 0
	s_cbranch_scc1 .LBB287_200
; %bb.198:
	s_lshl_b32 s18, s35, 3
	s_mul_i32 s20, s35, 12
	s_add_u32 s18, s18, s0
	s_addc_u32 s19, s1, 0
	s_add_u32 s18, s18, 0xc4
	s_addc_u32 s19, s19, 0
	s_add_u32 s20, s0, s20
	s_addc_u32 s21, s1, 0
	.p2align	6
.LBB287_199:                            ; =>This Inner Loop Header: Depth=1
	s_clause 0x1
	s_load_b64 s[38:39], s[20:21], 0x4
	s_load_b32 s35, s[20:21], 0xc
	s_load_b64 s[40:41], s[18:19], 0x0
	s_add_u32 s20, s20, 12
	s_addc_u32 s21, s21, 0
	s_add_u32 s18, s18, 8
	s_addc_u32 s19, s19, 0
	s_add_i32 s36, s36, -1
	s_delay_alu instid0(SALU_CYCLE_1) | instskip(SKIP_2) | instid1(VALU_DEP_1)
	s_cmp_lg_u32 s36, 0
	s_waitcnt lgkmcnt(0)
	v_mul_hi_u32 v3, s39, v2
	v_add_nc_u32_e32 v3, v2, v3
	s_delay_alu instid0(VALU_DEP_1) | instskip(NEXT) | instid1(VALU_DEP_1)
	v_lshrrev_b32_e32 v6, s35, v3
	v_mul_lo_u32 v3, v6, s38
	s_delay_alu instid0(VALU_DEP_1) | instskip(NEXT) | instid1(VALU_DEP_1)
	v_sub_nc_u32_e32 v2, v2, v3
	v_mad_u64_u32 v[3:4], null, v2, s40, v[0:1]
	v_mad_u64_u32 v[4:5], null, v2, s41, v[1:2]
	v_mov_b32_e32 v2, v6
	s_delay_alu instid0(VALU_DEP_2)
	v_dual_mov_b32 v0, v3 :: v_dual_mov_b32 v1, v4
	s_cbranch_scc1 .LBB287_199
.LBB287_200:
	s_and_not1_b32 vcc_lo, exec_lo, s34
	s_cbranch_vccnz .LBB287_203
; %bb.201:
	v_mul_hi_u32 v0, s13, v12
	s_and_not1_b32 vcc_lo, exec_lo, s28
	s_delay_alu instid0(VALU_DEP_1) | instskip(NEXT) | instid1(VALU_DEP_1)
	v_add_nc_u32_e32 v0, v12, v0
	v_lshrrev_b32_e32 v2, s14, v0
	s_delay_alu instid0(VALU_DEP_1) | instskip(NEXT) | instid1(VALU_DEP_1)
	v_mul_lo_u32 v0, v2, s12
	v_sub_nc_u32_e32 v1, v12, v0
	s_delay_alu instid0(VALU_DEP_1)
	v_mul_lo_u32 v0, v1, s8
	v_mul_lo_u32 v1, v1, s9
	s_cbranch_vccnz .LBB287_203
; %bb.202:
	v_mul_hi_u32 v3, s2, v2
	s_delay_alu instid0(VALU_DEP_1) | instskip(NEXT) | instid1(VALU_DEP_1)
	v_add_nc_u32_e32 v3, v2, v3
	v_lshrrev_b32_e32 v3, s3, v3
	s_delay_alu instid0(VALU_DEP_1) | instskip(NEXT) | instid1(VALU_DEP_1)
	v_mul_lo_u32 v3, v3, s15
	v_sub_nc_u32_e32 v5, v2, v3
	s_delay_alu instid0(VALU_DEP_1) | instskip(NEXT) | instid1(VALU_DEP_1)
	v_mad_u64_u32 v[2:3], null, v5, s10, v[0:1]
	v_mad_u64_u32 v[3:4], null, v5, s11, v[1:2]
	s_delay_alu instid0(VALU_DEP_1)
	v_dual_mov_b32 v0, v2 :: v_dual_mov_b32 v1, v3
.LBB287_203:
	global_load_i8 v1, v1, s[6:7]
	s_bfe_i32 s18, s26, 0x80000
	v_add_nc_u32_e32 v12, 0x80, v12
	s_waitcnt vmcnt(0)
	v_max_i16 v1, v1, s18
	s_bfe_i32 s18, s27, 0x80000
	s_delay_alu instid0(VALU_DEP_1) | instid1(SALU_CYCLE_1)
	v_min_i16 v1, v1, s18
	global_store_b8 v0, v1, s[4:5]
	s_or_b32 exec_lo, exec_lo, s33
	s_delay_alu instid0(SALU_CYCLE_1)
	s_mov_b32 s33, exec_lo
	v_cmpx_gt_i32_e64 s29, v12
	s_cbranch_execnz .LBB287_190
.LBB287_204:
	s_or_b32 exec_lo, exec_lo, s33
	s_delay_alu instid0(SALU_CYCLE_1)
	s_mov_b32 s20, exec_lo
	v_cmpx_gt_i32_e64 s29, v12
	s_cbranch_execnz .LBB287_215
.LBB287_205:
	s_or_b32 exec_lo, exec_lo, s20
                                        ; implicit-def: $vgpr16
                                        ; implicit-def: $vgpr12
	s_and_not1_saveexec_b32 s2, s25
	s_cbranch_execnz .LBB287_8
.LBB287_206:
	s_nop 0
	s_sendmsg sendmsg(MSG_DEALLOC_VGPRS)
	s_endpgm
.LBB287_207:
	v_dual_mov_b32 v2, v12 :: v_dual_mov_b32 v1, 0
.LBB287_208:
	s_and_b32 s36, s36, 3
	s_delay_alu instid0(SALU_CYCLE_1)
	s_cmp_eq_u32 s36, 0
	s_cbranch_scc1 .LBB287_211
; %bb.209:
	s_lshl_b32 s18, s35, 3
	s_mul_i32 s20, s35, 12
	s_add_u32 s18, s18, s0
	s_addc_u32 s19, s1, 0
	s_add_u32 s18, s18, 0xc4
	s_addc_u32 s19, s19, 0
	s_add_u32 s20, s0, s20
	s_addc_u32 s21, s1, 0
	.p2align	6
.LBB287_210:                            ; =>This Inner Loop Header: Depth=1
	s_clause 0x1
	s_load_b64 s[38:39], s[20:21], 0x4
	s_load_b32 s35, s[20:21], 0xc
	s_load_b64 s[40:41], s[18:19], 0x0
	s_add_u32 s20, s20, 12
	s_addc_u32 s21, s21, 0
	s_add_u32 s18, s18, 8
	s_addc_u32 s19, s19, 0
	s_add_i32 s36, s36, -1
	s_delay_alu instid0(SALU_CYCLE_1) | instskip(SKIP_2) | instid1(VALU_DEP_1)
	s_cmp_lg_u32 s36, 0
	s_waitcnt lgkmcnt(0)
	v_mul_hi_u32 v3, s39, v2
	v_add_nc_u32_e32 v3, v2, v3
	s_delay_alu instid0(VALU_DEP_1) | instskip(NEXT) | instid1(VALU_DEP_1)
	v_lshrrev_b32_e32 v6, s35, v3
	v_mul_lo_u32 v3, v6, s38
	s_delay_alu instid0(VALU_DEP_1) | instskip(NEXT) | instid1(VALU_DEP_1)
	v_sub_nc_u32_e32 v2, v2, v3
	v_mad_u64_u32 v[3:4], null, v2, s40, v[0:1]
	v_mad_u64_u32 v[4:5], null, v2, s41, v[1:2]
	v_mov_b32_e32 v2, v6
	s_delay_alu instid0(VALU_DEP_2)
	v_dual_mov_b32 v0, v3 :: v_dual_mov_b32 v1, v4
	s_cbranch_scc1 .LBB287_210
.LBB287_211:
	s_and_not1_b32 vcc_lo, exec_lo, s34
	s_cbranch_vccnz .LBB287_214
; %bb.212:
	v_mul_hi_u32 v0, s13, v12
	s_and_not1_b32 vcc_lo, exec_lo, s28
	s_delay_alu instid0(VALU_DEP_1) | instskip(NEXT) | instid1(VALU_DEP_1)
	v_add_nc_u32_e32 v0, v12, v0
	v_lshrrev_b32_e32 v2, s14, v0
	s_delay_alu instid0(VALU_DEP_1) | instskip(NEXT) | instid1(VALU_DEP_1)
	v_mul_lo_u32 v0, v2, s12
	v_sub_nc_u32_e32 v1, v12, v0
	s_delay_alu instid0(VALU_DEP_1)
	v_mul_lo_u32 v0, v1, s8
	v_mul_lo_u32 v1, v1, s9
	s_cbranch_vccnz .LBB287_214
; %bb.213:
	v_mul_hi_u32 v3, s2, v2
	s_delay_alu instid0(VALU_DEP_1) | instskip(NEXT) | instid1(VALU_DEP_1)
	v_add_nc_u32_e32 v3, v2, v3
	v_lshrrev_b32_e32 v3, s3, v3
	s_delay_alu instid0(VALU_DEP_1) | instskip(NEXT) | instid1(VALU_DEP_1)
	v_mul_lo_u32 v3, v3, s15
	v_sub_nc_u32_e32 v5, v2, v3
	s_delay_alu instid0(VALU_DEP_1) | instskip(NEXT) | instid1(VALU_DEP_1)
	v_mad_u64_u32 v[2:3], null, v5, s10, v[0:1]
	v_mad_u64_u32 v[3:4], null, v5, s11, v[1:2]
	s_delay_alu instid0(VALU_DEP_1)
	v_dual_mov_b32 v0, v2 :: v_dual_mov_b32 v1, v3
.LBB287_214:
	global_load_i8 v1, v1, s[6:7]
	s_bfe_i32 s18, s26, 0x80000
	v_add_nc_u32_e32 v12, 0x80, v12
	s_waitcnt vmcnt(0)
	v_max_i16 v1, v1, s18
	s_bfe_i32 s18, s27, 0x80000
	s_delay_alu instid0(VALU_DEP_1) | instid1(SALU_CYCLE_1)
	v_min_i16 v1, v1, s18
	global_store_b8 v0, v1, s[4:5]
	s_or_b32 exec_lo, exec_lo, s33
	s_delay_alu instid0(SALU_CYCLE_1)
	s_mov_b32 s20, exec_lo
	v_cmpx_gt_i32_e64 s29, v12
	s_cbranch_execz .LBB287_205
.LBB287_215:
	s_and_not1_b32 vcc_lo, exec_lo, s24
	s_cbranch_vccnz .LBB287_220
; %bb.216:
	v_dual_mov_b32 v0, 0 :: v_dual_mov_b32 v1, 0
	s_and_not1_b32 vcc_lo, exec_lo, s31
	s_mov_b32 s21, 0
	s_cbranch_vccnz .LBB287_225
; %bb.217:
	v_mov_b32_e32 v0, 0
	s_add_i32 s30, s30, 1
	s_cmp_eq_u32 s23, 2
	s_mov_b32 s29, 0
	s_cbranch_scc1 .LBB287_221
; %bb.218:
	v_dual_mov_b32 v1, 0 :: v_dual_mov_b32 v0, 0
	v_mov_b32_e32 v2, v12
	s_and_b32 s29, s30, 28
	s_mov_b32 s31, 0
	s_mov_b64 s[18:19], s[0:1]
.LBB287_219:                            ; =>This Inner Loop Header: Depth=1
	s_clause 0x1
	s_load_b256 s[36:43], s[18:19], 0x4
	s_load_b128 s[52:55], s[18:19], 0x24
	s_load_b256 s[44:51], s[16:17], 0x0
	s_add_u32 s18, s18, 48
	s_addc_u32 s19, s19, 0
	s_add_i32 s31, s31, 4
	s_add_u32 s16, s16, 32
	s_addc_u32 s17, s17, 0
	s_cmp_eq_u32 s29, s31
	s_waitcnt lgkmcnt(0)
	v_mul_hi_u32 v3, s37, v2
	s_delay_alu instid0(VALU_DEP_1) | instskip(NEXT) | instid1(VALU_DEP_1)
	v_add_nc_u32_e32 v3, v2, v3
	v_lshrrev_b32_e32 v3, s38, v3
	s_delay_alu instid0(VALU_DEP_1) | instskip(SKIP_1) | instid1(VALU_DEP_2)
	v_mul_hi_u32 v4, s40, v3
	v_mul_lo_u32 v6, v3, s36
	v_add_nc_u32_e32 v4, v3, v4
	s_delay_alu instid0(VALU_DEP_2) | instskip(NEXT) | instid1(VALU_DEP_2)
	v_sub_nc_u32_e32 v2, v2, v6
	v_lshrrev_b32_e32 v4, s41, v4
	s_delay_alu instid0(VALU_DEP_2) | instskip(SKIP_1) | instid1(VALU_DEP_3)
	v_mul_lo_u32 v6, v2, s44
	v_mul_lo_u32 v8, v2, s45
	v_mul_hi_u32 v5, s43, v4
	s_delay_alu instid0(VALU_DEP_1) | instskip(NEXT) | instid1(VALU_DEP_1)
	v_add_nc_u32_e32 v5, v4, v5
	v_lshrrev_b32_e32 v5, s52, v5
	s_delay_alu instid0(VALU_DEP_1) | instskip(SKIP_1) | instid1(VALU_DEP_2)
	v_mul_hi_u32 v7, s54, v5
	v_mul_lo_u32 v9, v5, s42
	v_add_nc_u32_e32 v2, v5, v7
	v_mul_lo_u32 v7, v4, s39
	s_delay_alu instid0(VALU_DEP_3) | instskip(NEXT) | instid1(VALU_DEP_3)
	v_sub_nc_u32_e32 v4, v4, v9
	v_lshrrev_b32_e32 v2, s55, v2
	s_delay_alu instid0(VALU_DEP_2) | instskip(SKIP_2) | instid1(VALU_DEP_4)
	v_mul_lo_u32 v9, v4, s48
	v_mul_lo_u32 v4, v4, s49
	v_sub_nc_u32_e32 v3, v3, v7
	v_mul_lo_u32 v10, v2, s53
	s_delay_alu instid0(VALU_DEP_2) | instskip(SKIP_1) | instid1(VALU_DEP_3)
	v_mul_lo_u32 v7, v3, s46
	v_mul_lo_u32 v3, v3, s47
	v_sub_nc_u32_e32 v5, v5, v10
	s_delay_alu instid0(VALU_DEP_3) | instskip(NEXT) | instid1(VALU_DEP_2)
	v_add3_u32 v0, v6, v0, v7
	v_mul_lo_u32 v10, v5, s50
	v_mul_lo_u32 v5, v5, s51
	v_add3_u32 v1, v8, v1, v3
	s_delay_alu instid0(VALU_DEP_3) | instskip(NEXT) | instid1(VALU_DEP_2)
	v_add3_u32 v0, v9, v0, v10
	v_add3_u32 v1, v4, v1, v5
	s_cbranch_scc0 .LBB287_219
	s_branch .LBB287_222
.LBB287_220:
	s_mov_b32 s21, -1
                                        ; implicit-def: $vgpr0
                                        ; implicit-def: $vgpr1
	s_branch .LBB287_225
.LBB287_221:
	v_dual_mov_b32 v2, v12 :: v_dual_mov_b32 v1, 0
.LBB287_222:
	s_and_b32 s30, s30, 3
	s_delay_alu instid0(SALU_CYCLE_1)
	s_cmp_eq_u32 s30, 0
	s_cbranch_scc1 .LBB287_225
; %bb.223:
	s_lshl_b32 s16, s29, 3
	s_mul_i32 s18, s29, 12
	s_add_u32 s16, s16, s0
	s_addc_u32 s17, s1, 0
	s_add_u32 s16, s16, 0xc4
	s_addc_u32 s17, s17, 0
	;; [unrolled: 2-line block ×3, first 2 shown]
	.p2align	6
.LBB287_224:                            ; =>This Inner Loop Header: Depth=1
	s_clause 0x1
	s_load_b64 s[34:35], s[18:19], 0x4
	s_load_b32 s29, s[18:19], 0xc
	s_load_b64 s[36:37], s[16:17], 0x0
	s_add_u32 s18, s18, 12
	s_addc_u32 s19, s19, 0
	s_add_u32 s16, s16, 8
	s_addc_u32 s17, s17, 0
	s_add_i32 s30, s30, -1
	s_delay_alu instid0(SALU_CYCLE_1) | instskip(SKIP_2) | instid1(VALU_DEP_1)
	s_cmp_lg_u32 s30, 0
	s_waitcnt lgkmcnt(0)
	v_mul_hi_u32 v3, s35, v2
	v_add_nc_u32_e32 v3, v2, v3
	s_delay_alu instid0(VALU_DEP_1) | instskip(NEXT) | instid1(VALU_DEP_1)
	v_lshrrev_b32_e32 v6, s29, v3
	v_mul_lo_u32 v3, v6, s34
	s_delay_alu instid0(VALU_DEP_1) | instskip(NEXT) | instid1(VALU_DEP_1)
	v_sub_nc_u32_e32 v2, v2, v3
	v_mad_u64_u32 v[3:4], null, v2, s36, v[0:1]
	v_mad_u64_u32 v[4:5], null, v2, s37, v[1:2]
	v_mov_b32_e32 v2, v6
	s_delay_alu instid0(VALU_DEP_2)
	v_dual_mov_b32 v0, v3 :: v_dual_mov_b32 v1, v4
	s_cbranch_scc1 .LBB287_224
.LBB287_225:
	s_and_not1_b32 vcc_lo, exec_lo, s21
	s_cbranch_vccnz .LBB287_228
; %bb.226:
	v_mul_hi_u32 v0, s13, v12
	s_and_not1_b32 vcc_lo, exec_lo, s28
	s_delay_alu instid0(VALU_DEP_1) | instskip(NEXT) | instid1(VALU_DEP_1)
	v_add_nc_u32_e32 v0, v12, v0
	v_lshrrev_b32_e32 v2, s14, v0
	s_delay_alu instid0(VALU_DEP_1) | instskip(NEXT) | instid1(VALU_DEP_1)
	v_mul_lo_u32 v0, v2, s12
	v_sub_nc_u32_e32 v1, v12, v0
	s_delay_alu instid0(VALU_DEP_1)
	v_mul_lo_u32 v0, v1, s8
	v_mul_lo_u32 v1, v1, s9
	s_cbranch_vccnz .LBB287_228
; %bb.227:
	v_mul_hi_u32 v3, s2, v2
	s_delay_alu instid0(VALU_DEP_1) | instskip(NEXT) | instid1(VALU_DEP_1)
	v_add_nc_u32_e32 v3, v2, v3
	v_lshrrev_b32_e32 v3, s3, v3
	s_delay_alu instid0(VALU_DEP_1) | instskip(NEXT) | instid1(VALU_DEP_1)
	v_mul_lo_u32 v3, v3, s15
	v_sub_nc_u32_e32 v5, v2, v3
	s_delay_alu instid0(VALU_DEP_1) | instskip(NEXT) | instid1(VALU_DEP_1)
	v_mad_u64_u32 v[2:3], null, v5, s10, v[0:1]
	v_mad_u64_u32 v[3:4], null, v5, s11, v[1:2]
	s_delay_alu instid0(VALU_DEP_1)
	v_dual_mov_b32 v0, v2 :: v_dual_mov_b32 v1, v3
.LBB287_228:
	global_load_i8 v1, v1, s[6:7]
	s_bfe_i32 s2, s26, 0x80000
	s_waitcnt vmcnt(0)
	v_max_i16 v1, v1, s2
	s_bfe_i32 s2, s27, 0x80000
	s_delay_alu instid0(VALU_DEP_1) | instid1(SALU_CYCLE_1)
	v_min_i16 v1, v1, s2
	global_store_b8 v0, v1, s[4:5]
	s_or_b32 exec_lo, exec_lo, s20
                                        ; implicit-def: $vgpr16
                                        ; implicit-def: $vgpr12
	s_and_not1_saveexec_b32 s2, s25
	s_cbranch_execz .LBB287_206
	s_branch .LBB287_8
	.section	.rodata,"a",@progbits
	.p2align	6, 0x0
	.amdhsa_kernel _ZN2at6native32elementwise_kernel_manual_unrollILi128ELi8EZNS0_22gpu_kernel_impl_nocastIZZZNS0_17clamp_kernel_cudaERNS_18TensorIteratorBaseERKN3c106ScalarES8_ENKUlvE_clEvENKUlvE0_clEvEUlaE_EEvS4_RKT_EUlibE_EEviT1_
		.amdhsa_group_segment_fixed_size 0
		.amdhsa_private_segment_fixed_size 0
		.amdhsa_kernarg_size 360
		.amdhsa_user_sgpr_count 15
		.amdhsa_user_sgpr_dispatch_ptr 0
		.amdhsa_user_sgpr_queue_ptr 0
		.amdhsa_user_sgpr_kernarg_segment_ptr 1
		.amdhsa_user_sgpr_dispatch_id 0
		.amdhsa_user_sgpr_private_segment_size 0
		.amdhsa_wavefront_size32 1
		.amdhsa_uses_dynamic_stack 0
		.amdhsa_enable_private_segment 0
		.amdhsa_system_sgpr_workgroup_id_x 1
		.amdhsa_system_sgpr_workgroup_id_y 0
		.amdhsa_system_sgpr_workgroup_id_z 0
		.amdhsa_system_sgpr_workgroup_info 0
		.amdhsa_system_vgpr_workitem_id 0
		.amdhsa_next_free_vgpr 26
		.amdhsa_next_free_sgpr 60
		.amdhsa_reserve_vcc 1
		.amdhsa_float_round_mode_32 0
		.amdhsa_float_round_mode_16_64 0
		.amdhsa_float_denorm_mode_32 3
		.amdhsa_float_denorm_mode_16_64 3
		.amdhsa_dx10_clamp 1
		.amdhsa_ieee_mode 1
		.amdhsa_fp16_overflow 0
		.amdhsa_workgroup_processor_mode 1
		.amdhsa_memory_ordered 1
		.amdhsa_forward_progress 0
		.amdhsa_shared_vgpr_count 0
		.amdhsa_exception_fp_ieee_invalid_op 0
		.amdhsa_exception_fp_denorm_src 0
		.amdhsa_exception_fp_ieee_div_zero 0
		.amdhsa_exception_fp_ieee_overflow 0
		.amdhsa_exception_fp_ieee_underflow 0
		.amdhsa_exception_fp_ieee_inexact 0
		.amdhsa_exception_int_div_zero 0
	.end_amdhsa_kernel
	.section	.text._ZN2at6native32elementwise_kernel_manual_unrollILi128ELi8EZNS0_22gpu_kernel_impl_nocastIZZZNS0_17clamp_kernel_cudaERNS_18TensorIteratorBaseERKN3c106ScalarES8_ENKUlvE_clEvENKUlvE0_clEvEUlaE_EEvS4_RKT_EUlibE_EEviT1_,"axG",@progbits,_ZN2at6native32elementwise_kernel_manual_unrollILi128ELi8EZNS0_22gpu_kernel_impl_nocastIZZZNS0_17clamp_kernel_cudaERNS_18TensorIteratorBaseERKN3c106ScalarES8_ENKUlvE_clEvENKUlvE0_clEvEUlaE_EEvS4_RKT_EUlibE_EEviT1_,comdat
.Lfunc_end287:
	.size	_ZN2at6native32elementwise_kernel_manual_unrollILi128ELi8EZNS0_22gpu_kernel_impl_nocastIZZZNS0_17clamp_kernel_cudaERNS_18TensorIteratorBaseERKN3c106ScalarES8_ENKUlvE_clEvENKUlvE0_clEvEUlaE_EEvS4_RKT_EUlibE_EEviT1_, .Lfunc_end287-_ZN2at6native32elementwise_kernel_manual_unrollILi128ELi8EZNS0_22gpu_kernel_impl_nocastIZZZNS0_17clamp_kernel_cudaERNS_18TensorIteratorBaseERKN3c106ScalarES8_ENKUlvE_clEvENKUlvE0_clEvEUlaE_EEvS4_RKT_EUlibE_EEviT1_
                                        ; -- End function
	.section	.AMDGPU.csdata,"",@progbits
; Kernel info:
; codeLenInByte = 13792
; NumSgprs: 62
; NumVgprs: 26
; ScratchSize: 0
; MemoryBound: 0
; FloatMode: 240
; IeeeMode: 1
; LDSByteSize: 0 bytes/workgroup (compile time only)
; SGPRBlocks: 7
; VGPRBlocks: 3
; NumSGPRsForWavesPerEU: 62
; NumVGPRsForWavesPerEU: 26
; Occupancy: 16
; WaveLimiterHint : 1
; COMPUTE_PGM_RSRC2:SCRATCH_EN: 0
; COMPUTE_PGM_RSRC2:USER_SGPR: 15
; COMPUTE_PGM_RSRC2:TRAP_HANDLER: 0
; COMPUTE_PGM_RSRC2:TGID_X_EN: 1
; COMPUTE_PGM_RSRC2:TGID_Y_EN: 0
; COMPUTE_PGM_RSRC2:TGID_Z_EN: 0
; COMPUTE_PGM_RSRC2:TIDIG_COMP_CNT: 0
	.section	.text._ZN2at6native32elementwise_kernel_manual_unrollILi128ELi4EZNS0_15gpu_kernel_implIZZZNS0_17clamp_kernel_cudaERNS_18TensorIteratorBaseERKN3c106ScalarES8_ENKUlvE_clEvENKUlvE0_clEvEUlaE_EEvS4_RKT_EUlibE_EEviT1_,"axG",@progbits,_ZN2at6native32elementwise_kernel_manual_unrollILi128ELi4EZNS0_15gpu_kernel_implIZZZNS0_17clamp_kernel_cudaERNS_18TensorIteratorBaseERKN3c106ScalarES8_ENKUlvE_clEvENKUlvE0_clEvEUlaE_EEvS4_RKT_EUlibE_EEviT1_,comdat
	.globl	_ZN2at6native32elementwise_kernel_manual_unrollILi128ELi4EZNS0_15gpu_kernel_implIZZZNS0_17clamp_kernel_cudaERNS_18TensorIteratorBaseERKN3c106ScalarES8_ENKUlvE_clEvENKUlvE0_clEvEUlaE_EEvS4_RKT_EUlibE_EEviT1_ ; -- Begin function _ZN2at6native32elementwise_kernel_manual_unrollILi128ELi4EZNS0_15gpu_kernel_implIZZZNS0_17clamp_kernel_cudaERNS_18TensorIteratorBaseERKN3c106ScalarES8_ENKUlvE_clEvENKUlvE0_clEvEUlaE_EEvS4_RKT_EUlibE_EEviT1_
	.p2align	8
	.type	_ZN2at6native32elementwise_kernel_manual_unrollILi128ELi4EZNS0_15gpu_kernel_implIZZZNS0_17clamp_kernel_cudaERNS_18TensorIteratorBaseERKN3c106ScalarES8_ENKUlvE_clEvENKUlvE0_clEvEUlaE_EEvS4_RKT_EUlibE_EEviT1_,@function
_ZN2at6native32elementwise_kernel_manual_unrollILi128ELi4EZNS0_15gpu_kernel_implIZZZNS0_17clamp_kernel_cudaERNS_18TensorIteratorBaseERKN3c106ScalarES8_ENKUlvE_clEvENKUlvE0_clEvEUlaE_EEvS4_RKT_EUlibE_EEviT1_: ; @_ZN2at6native32elementwise_kernel_manual_unrollILi128ELi4EZNS0_15gpu_kernel_implIZZZNS0_17clamp_kernel_cudaERNS_18TensorIteratorBaseERKN3c106ScalarES8_ENKUlvE_clEvENKUlvE0_clEvEUlaE_EEvS4_RKT_EUlibE_EEviT1_
; %bb.0:
	s_clause 0x3
	s_load_b32 s8, s[0:1], 0x20
	s_load_b32 s14, s[0:1], 0x0
	s_load_b64 s[2:3], s[0:1], 0x18
	s_load_b128 s[4:7], s[0:1], 0x8
	v_lshl_or_b32 v9, s15, 9, v0
	s_mov_b32 s11, 0
	s_mov_b32 s13, 0
	s_mov_b32 s0, exec_lo
	s_delay_alu instid0(VALU_DEP_1)
	v_or_b32_e32 v0, 0x180, v9
	s_waitcnt lgkmcnt(0)
	s_lshr_b32 s9, s8, 16
	s_lshr_b32 s1, s8, 8
	;; [unrolled: 1-line block ×3, first 2 shown]
	v_cmpx_le_i32_e64 s14, v0
	s_xor_b32 s12, exec_lo, s0
	s_cbranch_execz .LBB288_1017
; %bb.1:
	s_mov_b32 s19, -1
	s_mov_b32 s17, 0
	s_mov_b32 s15, 0
	s_mov_b32 s16, exec_lo
	v_cmpx_gt_i32_e64 s14, v9
	s_cbranch_execz .LBB288_248
; %bb.2:
	v_mul_lo_u32 v0, v9, s3
	v_cmp_lt_i16_e64 s0, s10, 11
	s_delay_alu instid0(VALU_DEP_2) | instskip(SKIP_1) | instid1(VALU_DEP_2)
	v_ashrrev_i32_e32 v1, 31, v0
	v_add_co_u32 v0, vcc_lo, s6, v0
	v_add_co_ci_u32_e32 v1, vcc_lo, s7, v1, vcc_lo
	s_delay_alu instid0(VALU_DEP_4)
	s_and_b32 vcc_lo, exec_lo, s0
	s_cbranch_vccnz .LBB288_9
; %bb.3:
	v_cmp_gt_i16_e64 s0, s10, 25
	s_delay_alu instid0(VALU_DEP_1)
	s_and_b32 vcc_lo, exec_lo, s0
	s_cbranch_vccz .LBB288_18
; %bb.4:
	v_cmp_gt_i16_e64 s0, s10, 28
	s_delay_alu instid0(VALU_DEP_1)
	s_and_b32 vcc_lo, exec_lo, s0
	s_cbranch_vccz .LBB288_21
	;; [unrolled: 5-line block ×4, first 2 shown]
; %bb.7:
	v_cmp_eq_u16_e64 s0, s10, 46
	s_delay_alu instid0(VALU_DEP_1)
	s_and_b32 vcc_lo, exec_lo, s0
	s_cbranch_vccz .LBB288_27
; %bb.8:
	global_load_b32 v2, v[0:1], off
	s_mov_b32 s0, -1
	s_waitcnt vmcnt(0)
	v_lshlrev_b32_e32 v2, 16, v2
	s_delay_alu instid0(VALU_DEP_1)
	v_cvt_i32_f32_e32 v2, v2
	s_branch .LBB288_29
.LBB288_9:
	s_mov_b32 s0, 0
                                        ; implicit-def: $vgpr2
	s_cbranch_execnz .LBB288_198
.LBB288_10:
	s_and_not1_b32 vcc_lo, exec_lo, s0
	s_cbranch_vccnz .LBB288_245
.LBB288_11:
	v_mul_lo_u32 v1, v9, s2
	s_waitcnt vmcnt(0)
	s_delay_alu instid0(VALU_DEP_2) | instskip(SKIP_2) | instid1(VALU_DEP_2)
	v_bfe_i32 v0, v2, 0, 8
	s_bfe_i32 s0, s8, 0x80000
	v_and_b32_e64 v3, 0xff, s9
	v_max_i16 v0, v0, s0
	s_bfe_i32 s0, s1, 0x80000
	s_delay_alu instid0(VALU_DEP_4) | instskip(NEXT) | instid1(VALU_DEP_3)
	v_ashrrev_i32_e32 v4, 31, v1
	v_cmp_gt_i16_e32 vcc_lo, 11, v3
	s_delay_alu instid0(VALU_DEP_3) | instskip(SKIP_1) | instid1(VALU_DEP_1)
	v_min_i16 v2, v0, s0
	v_add_co_u32 v0, s0, s4, v1
	v_add_co_ci_u32_e64 v1, s0, s5, v4, s0
	s_cbranch_vccnz .LBB288_19
; %bb.12:
	v_cmp_lt_i16_e32 vcc_lo, 25, v3
	s_cbranch_vccz .LBB288_22
; %bb.13:
	v_cmp_lt_i16_e32 vcc_lo, 28, v3
	s_cbranch_vccz .LBB288_24
	;; [unrolled: 3-line block ×4, first 2 shown]
; %bb.16:
	v_cmp_eq_u16_e32 vcc_lo, 46, v3
	s_mov_b32 s18, 0
	s_mov_b32 s0, -1
	s_mov_b32 s13, 0
	s_cbranch_vccz .LBB288_33
; %bb.17:
	v_bfe_i32 v4, v2, 0, 16
	s_mov_b32 s13, -1
	s_mov_b32 s0, 0
	s_delay_alu instid0(VALU_DEP_1) | instskip(NEXT) | instid1(VALU_DEP_1)
	v_cvt_f32_i32_e32 v4, v4
	v_bfe_u32 v5, v4, 16, 1
	s_delay_alu instid0(VALU_DEP_1) | instskip(NEXT) | instid1(VALU_DEP_1)
	v_add3_u32 v4, v4, v5, 0x7fff
	v_lshrrev_b32_e32 v4, 16, v4
	global_store_b32 v[0:1], v4, off
	s_branch .LBB288_33
.LBB288_18:
	s_mov_b32 s0, 0
                                        ; implicit-def: $vgpr2
	s_cbranch_execnz .LBB288_165
	s_branch .LBB288_197
.LBB288_19:
	s_mov_b32 s0, 0
	s_mov_b32 s13, 0
	s_cbranch_execnz .LBB288_102
.LBB288_20:
	s_and_not1_b32 vcc_lo, exec_lo, s13
	s_cbranch_vccnz .LBB288_246
	s_branch .LBB288_140
.LBB288_21:
	s_mov_b32 s13, -1
	s_mov_b32 s0, 0
                                        ; implicit-def: $vgpr2
	s_branch .LBB288_148
.LBB288_22:
	s_mov_b32 s18, -1
	s_mov_b32 s0, 0
	s_mov_b32 s13, 0
	s_branch .LBB288_60
.LBB288_23:
	s_mov_b32 s13, -1
	s_mov_b32 s0, 0
                                        ; implicit-def: $vgpr2
	s_branch .LBB288_143
.LBB288_24:
	s_mov_b32 s18, -1
	s_mov_b32 s0, 0
	s_mov_b32 s13, 0
	s_branch .LBB288_43
.LBB288_25:
	s_mov_b32 s13, -1
	s_branch .LBB288_28
.LBB288_26:
	s_mov_b32 s18, -1
	s_mov_b32 s0, 0
	s_mov_b32 s13, 0
	s_branch .LBB288_39
.LBB288_27:
	s_mov_b32 s15, -1
.LBB288_28:
	s_mov_b32 s0, 0
                                        ; implicit-def: $vgpr2
.LBB288_29:
	s_and_b32 vcc_lo, exec_lo, s13
	s_cbranch_vccz .LBB288_142
; %bb.30:
	v_cmp_eq_u16_e64 s13, s10, 44
	s_delay_alu instid0(VALU_DEP_1)
	s_and_b32 vcc_lo, exec_lo, s13
	s_cbranch_vccz .LBB288_141
; %bb.31:
	global_load_u8 v2, v[0:1], off
	s_mov_b32 s15, 0
	s_mov_b32 s0, -1
	s_waitcnt vmcnt(0)
	v_lshlrev_b32_e32 v3, 23, v2
	v_cmp_ne_u32_e32 vcc_lo, 0, v2
	s_delay_alu instid0(VALU_DEP_2) | instskip(NEXT) | instid1(VALU_DEP_1)
	v_cvt_i32_f32_e32 v3, v3
	v_cndmask_b32_e32 v2, 0, v3, vcc_lo
	s_branch .LBB288_142
.LBB288_32:
	s_mov_b32 s18, -1
	s_mov_b32 s0, 0
	s_mov_b32 s13, 0
.LBB288_33:
	s_and_b32 vcc_lo, exec_lo, s18
	s_cbranch_vccz .LBB288_38
; %bb.34:
	v_cmp_eq_u16_e32 vcc_lo, 44, v3
	s_mov_b32 s0, -1
	s_cbranch_vccz .LBB288_38
; %bb.35:
	v_bfe_i32 v4, v2, 0, 16
	v_mov_b32_e32 v5, 0xff
	s_mov_b32 s13, exec_lo
	s_delay_alu instid0(VALU_DEP_2) | instskip(NEXT) | instid1(VALU_DEP_1)
	v_cvt_f32_i32_e32 v4, v4
	v_bfe_u32 v6, v4, 23, 8
	s_delay_alu instid0(VALU_DEP_1)
	v_cmpx_ne_u32_e32 0xff, v6
; %bb.36:
	v_and_b32_e32 v5, 0x400000, v4
	v_and_or_b32 v6, 0x3fffff, v4, v6
	v_lshrrev_b32_e32 v4, 23, v4
	s_delay_alu instid0(VALU_DEP_3) | instskip(NEXT) | instid1(VALU_DEP_3)
	v_cmp_ne_u32_e32 vcc_lo, 0, v5
	v_cmp_ne_u32_e64 s0, 0, v6
	s_delay_alu instid0(VALU_DEP_1) | instskip(NEXT) | instid1(SALU_CYCLE_1)
	s_and_b32 s0, vcc_lo, s0
	v_cndmask_b32_e64 v5, 0, 1, s0
	s_delay_alu instid0(VALU_DEP_1)
	v_add_nc_u32_e32 v5, v4, v5
; %bb.37:
	s_or_b32 exec_lo, exec_lo, s13
	s_mov_b32 s13, -1
	s_mov_b32 s0, 0
	global_store_b8 v[0:1], v5, off
.LBB288_38:
	s_mov_b32 s18, 0
.LBB288_39:
	s_delay_alu instid0(SALU_CYCLE_1)
	s_and_b32 vcc_lo, exec_lo, s18
	s_cbranch_vccz .LBB288_42
; %bb.40:
	v_cmp_eq_u16_e32 vcc_lo, 29, v3
	s_mov_b32 s0, -1
	s_cbranch_vccz .LBB288_42
; %bb.41:
	v_bfe_i32 v4, v2, 0, 16
	s_mov_b32 s0, 0
	s_mov_b32 s13, -1
	s_mov_b32 s18, 0
	s_delay_alu instid0(VALU_DEP_1)
	v_ashrrev_i32_e32 v5, 31, v4
	global_store_b64 v[0:1], v[4:5], off
	s_branch .LBB288_43
.LBB288_42:
	s_mov_b32 s18, 0
.LBB288_43:
	s_delay_alu instid0(SALU_CYCLE_1)
	s_and_b32 vcc_lo, exec_lo, s18
	s_cbranch_vccz .LBB288_59
; %bb.44:
	v_cmp_gt_i16_e32 vcc_lo, 27, v3
	s_mov_b32 s13, -1
	s_cbranch_vccnz .LBB288_50
; %bb.45:
	v_cmp_lt_i16_e32 vcc_lo, 27, v3
	s_cbranch_vccz .LBB288_47
; %bb.46:
	v_bfe_i32 v4, v2, 0, 16
	s_mov_b32 s13, 0
	global_store_b32 v[0:1], v4, off
.LBB288_47:
	s_and_not1_b32 vcc_lo, exec_lo, s13
	s_cbranch_vccnz .LBB288_49
; %bb.48:
	global_store_b16 v[0:1], v2, off
.LBB288_49:
	s_mov_b32 s13, 0
.LBB288_50:
	s_delay_alu instid0(SALU_CYCLE_1)
	s_and_not1_b32 vcc_lo, exec_lo, s13
	s_cbranch_vccnz .LBB288_58
; %bb.51:
	v_bfe_i32 v4, v2, 0, 16
	v_mov_b32_e32 v6, 0x80
	s_mov_b32 s13, exec_lo
	s_delay_alu instid0(VALU_DEP_2) | instskip(NEXT) | instid1(VALU_DEP_1)
	v_cvt_f32_i32_e32 v4, v4
	v_and_b32_e32 v5, 0x7fffffff, v4
	s_delay_alu instid0(VALU_DEP_1)
	v_cmpx_gt_u32_e32 0x43800000, v5
	s_cbranch_execz .LBB288_57
; %bb.52:
	v_cmp_lt_u32_e32 vcc_lo, 0x3bffffff, v5
	s_mov_b32 s18, 0
                                        ; implicit-def: $vgpr5
	s_and_saveexec_b32 s19, vcc_lo
	s_delay_alu instid0(SALU_CYCLE_1)
	s_xor_b32 s19, exec_lo, s19
	s_cbranch_execz .LBB288_272
; %bb.53:
	v_bfe_u32 v5, v4, 20, 1
	s_mov_b32 s18, exec_lo
	s_delay_alu instid0(VALU_DEP_1) | instskip(NEXT) | instid1(VALU_DEP_1)
	v_add3_u32 v5, v4, v5, 0x487ffff
	v_lshrrev_b32_e32 v5, 20, v5
	s_or_saveexec_b32 s19, s19
                                        ; implicit-def: $sgpr20
	s_delay_alu instid0(SALU_CYCLE_1)
	s_xor_b32 exec_lo, exec_lo, s19
	s_cbranch_execnz .LBB288_273
.LBB288_54:
	s_or_b32 exec_lo, exec_lo, s19
	v_mov_b32_e32 v6, s20
	s_and_saveexec_b32 s19, s18
.LBB288_55:
	v_lshrrev_b32_e32 v4, 24, v4
	s_delay_alu instid0(VALU_DEP_1)
	v_and_or_b32 v6, 0x80, v4, v5
.LBB288_56:
	s_or_b32 exec_lo, exec_lo, s19
.LBB288_57:
	s_delay_alu instid0(SALU_CYCLE_1)
	s_or_b32 exec_lo, exec_lo, s13
	global_store_b8 v[0:1], v6, off
.LBB288_58:
	s_mov_b32 s13, -1
.LBB288_59:
	s_mov_b32 s18, 0
.LBB288_60:
	s_delay_alu instid0(SALU_CYCLE_1)
	s_and_b32 vcc_lo, exec_lo, s18
	s_cbranch_vccz .LBB288_101
; %bb.61:
	v_cmp_lt_i16_e32 vcc_lo, 22, v3
	s_mov_b32 s18, -1
	s_cbranch_vccz .LBB288_93
; %bb.62:
	v_cmp_gt_i16_e32 vcc_lo, 24, v3
	s_mov_b32 s13, -1
	s_cbranch_vccnz .LBB288_82
; %bb.63:
	v_cmp_lt_i16_e32 vcc_lo, 24, v3
	s_cbranch_vccz .LBB288_71
; %bb.64:
	v_bfe_i32 v4, v2, 0, 16
	v_mov_b32_e32 v6, 0x80
	s_mov_b32 s13, exec_lo
	s_delay_alu instid0(VALU_DEP_2) | instskip(NEXT) | instid1(VALU_DEP_1)
	v_cvt_f32_i32_e32 v4, v4
	v_and_b32_e32 v5, 0x7fffffff, v4
	s_delay_alu instid0(VALU_DEP_1)
	v_cmpx_gt_u32_e32 0x47800000, v5
	s_cbranch_execz .LBB288_70
; %bb.65:
	v_cmp_lt_u32_e32 vcc_lo, 0x37ffffff, v5
	s_mov_b32 s18, 0
                                        ; implicit-def: $vgpr5
	s_and_saveexec_b32 s19, vcc_lo
	s_delay_alu instid0(SALU_CYCLE_1)
	s_xor_b32 s19, exec_lo, s19
	s_cbranch_execz .LBB288_276
; %bb.66:
	v_bfe_u32 v5, v4, 21, 1
	s_mov_b32 s18, exec_lo
	s_delay_alu instid0(VALU_DEP_1) | instskip(NEXT) | instid1(VALU_DEP_1)
	v_add3_u32 v5, v4, v5, 0x88fffff
	v_lshrrev_b32_e32 v5, 21, v5
	s_or_saveexec_b32 s19, s19
                                        ; implicit-def: $sgpr20
	s_delay_alu instid0(SALU_CYCLE_1)
	s_xor_b32 exec_lo, exec_lo, s19
	s_cbranch_execnz .LBB288_277
.LBB288_67:
	s_or_b32 exec_lo, exec_lo, s19
	v_mov_b32_e32 v6, s20
	s_and_saveexec_b32 s19, s18
.LBB288_68:
	v_lshrrev_b32_e32 v4, 24, v4
	s_delay_alu instid0(VALU_DEP_1)
	v_and_or_b32 v6, 0x80, v4, v5
.LBB288_69:
	s_or_b32 exec_lo, exec_lo, s19
.LBB288_70:
	s_delay_alu instid0(SALU_CYCLE_1)
	s_or_b32 exec_lo, exec_lo, s13
	s_mov_b32 s13, 0
	global_store_b8 v[0:1], v6, off
.LBB288_71:
	s_and_b32 vcc_lo, exec_lo, s13
	s_cbranch_vccz .LBB288_81
; %bb.72:
	v_bfe_i32 v4, v2, 0, 16
	s_mov_b32 s13, exec_lo
                                        ; implicit-def: $vgpr5
	s_delay_alu instid0(VALU_DEP_1) | instskip(NEXT) | instid1(VALU_DEP_1)
	v_cvt_f32_i32_e32 v4, v4
	v_and_b32_e32 v6, 0x7fffffff, v4
	s_delay_alu instid0(VALU_DEP_1)
	v_cmpx_gt_u32_e32 0x43f00000, v6
	s_xor_b32 s13, exec_lo, s13
	s_cbranch_execz .LBB288_78
; %bb.73:
	s_mov_b32 s18, exec_lo
                                        ; implicit-def: $vgpr5
	v_cmpx_lt_u32_e32 0x3c7fffff, v6
	s_xor_b32 s18, exec_lo, s18
; %bb.74:
	v_bfe_u32 v5, v4, 20, 1
	s_delay_alu instid0(VALU_DEP_1) | instskip(NEXT) | instid1(VALU_DEP_1)
	v_add3_u32 v5, v4, v5, 0x407ffff
	v_and_b32_e32 v6, 0xff00000, v5
	v_lshrrev_b32_e32 v5, 20, v5
	s_delay_alu instid0(VALU_DEP_2) | instskip(NEXT) | instid1(VALU_DEP_2)
	v_cmp_ne_u32_e32 vcc_lo, 0x7f00000, v6
	v_cndmask_b32_e32 v5, 0x7e, v5, vcc_lo
; %bb.75:
	s_and_not1_saveexec_b32 s18, s18
; %bb.76:
	v_add_f32_e64 v5, 0x46800000, |v4|
; %bb.77:
	s_or_b32 exec_lo, exec_lo, s18
                                        ; implicit-def: $vgpr6
.LBB288_78:
	s_and_not1_saveexec_b32 s13, s13
; %bb.79:
	v_mov_b32_e32 v5, 0x7f
	v_cmp_lt_u32_e32 vcc_lo, 0x7f800000, v6
	s_delay_alu instid0(VALU_DEP_2)
	v_cndmask_b32_e32 v5, 0x7e, v5, vcc_lo
; %bb.80:
	s_or_b32 exec_lo, exec_lo, s13
	v_lshrrev_b32_e32 v4, 24, v4
	s_delay_alu instid0(VALU_DEP_1)
	v_and_or_b32 v4, 0x80, v4, v5
	global_store_b8 v[0:1], v4, off
.LBB288_81:
	s_mov_b32 s13, 0
.LBB288_82:
	s_delay_alu instid0(SALU_CYCLE_1)
	s_and_not1_b32 vcc_lo, exec_lo, s13
	s_cbranch_vccnz .LBB288_92
; %bb.83:
	v_bfe_i32 v4, v2, 0, 16
	s_mov_b32 s13, exec_lo
                                        ; implicit-def: $vgpr5
	s_delay_alu instid0(VALU_DEP_1) | instskip(NEXT) | instid1(VALU_DEP_1)
	v_cvt_f32_i32_e32 v4, v4
	v_and_b32_e32 v6, 0x7fffffff, v4
	s_delay_alu instid0(VALU_DEP_1)
	v_cmpx_gt_u32_e32 0x47800000, v6
	s_xor_b32 s13, exec_lo, s13
	s_cbranch_execz .LBB288_89
; %bb.84:
	s_mov_b32 s18, exec_lo
                                        ; implicit-def: $vgpr5
	v_cmpx_lt_u32_e32 0x387fffff, v6
	s_xor_b32 s18, exec_lo, s18
; %bb.85:
	v_bfe_u32 v5, v4, 21, 1
	s_delay_alu instid0(VALU_DEP_1) | instskip(NEXT) | instid1(VALU_DEP_1)
	v_add3_u32 v5, v4, v5, 0x80fffff
	v_lshrrev_b32_e32 v5, 21, v5
; %bb.86:
	s_and_not1_saveexec_b32 s18, s18
; %bb.87:
	v_add_f32_e64 v5, 0x43000000, |v4|
; %bb.88:
	s_or_b32 exec_lo, exec_lo, s18
                                        ; implicit-def: $vgpr6
.LBB288_89:
	s_and_not1_saveexec_b32 s13, s13
; %bb.90:
	v_mov_b32_e32 v5, 0x7f
	v_cmp_lt_u32_e32 vcc_lo, 0x7f800000, v6
	s_delay_alu instid0(VALU_DEP_2)
	v_cndmask_b32_e32 v5, 0x7c, v5, vcc_lo
; %bb.91:
	s_or_b32 exec_lo, exec_lo, s13
	v_lshrrev_b32_e32 v4, 24, v4
	s_delay_alu instid0(VALU_DEP_1)
	v_and_or_b32 v4, 0x80, v4, v5
	global_store_b8 v[0:1], v4, off
.LBB288_92:
	s_mov_b32 s18, 0
	s_mov_b32 s13, -1
.LBB288_93:
	s_and_not1_b32 vcc_lo, exec_lo, s18
	s_cbranch_vccnz .LBB288_101
; %bb.94:
	v_cmp_lt_i16_e32 vcc_lo, 14, v3
	s_mov_b32 s18, -1
	s_cbranch_vccz .LBB288_98
; %bb.95:
	v_cmp_eq_u16_e32 vcc_lo, 15, v3
	s_mov_b32 s0, -1
	s_cbranch_vccz .LBB288_97
; %bb.96:
	v_bfe_i32 v4, v2, 0, 16
	s_mov_b32 s13, -1
	s_mov_b32 s0, 0
	s_delay_alu instid0(VALU_DEP_1) | instskip(NEXT) | instid1(VALU_DEP_1)
	v_cvt_f32_i32_e32 v4, v4
	v_bfe_u32 v5, v4, 16, 1
	s_delay_alu instid0(VALU_DEP_1)
	v_add3_u32 v4, v4, v5, 0x7fff
	global_store_d16_hi_b16 v[0:1], v4, off
.LBB288_97:
	s_mov_b32 s18, 0
.LBB288_98:
	s_delay_alu instid0(SALU_CYCLE_1)
	s_and_b32 vcc_lo, exec_lo, s18
	s_cbranch_vccz .LBB288_101
; %bb.99:
	v_cmp_eq_u16_e32 vcc_lo, 11, v3
	s_mov_b32 s0, -1
	s_cbranch_vccz .LBB288_101
; %bb.100:
	v_cmp_ne_u16_e32 vcc_lo, 0, v2
	s_mov_b32 s0, 0
	s_mov_b32 s13, -1
	v_cndmask_b32_e64 v4, 0, 1, vcc_lo
	global_store_b8 v[0:1], v4, off
.LBB288_101:
	s_branch .LBB288_20
.LBB288_102:
	v_cmp_gt_i16_e32 vcc_lo, 5, v3
	s_mov_b32 s13, -1
	s_cbranch_vccnz .LBB288_123
; %bb.103:
	v_cmp_gt_i16_e32 vcc_lo, 8, v3
	s_cbranch_vccnz .LBB288_113
; %bb.104:
	v_cmp_gt_i16_e32 vcc_lo, 9, v3
	s_cbranch_vccnz .LBB288_110
; %bb.105:
	v_cmp_lt_i16_e32 vcc_lo, 9, v3
	s_cbranch_vccz .LBB288_107
; %bb.106:
	v_bfe_i32 v4, v2, 0, 16
	v_mov_b32_e32 v6, 0
	s_mov_b32 s13, 0
	s_delay_alu instid0(VALU_DEP_2) | instskip(NEXT) | instid1(VALU_DEP_2)
	v_cvt_f64_i32_e32 v[4:5], v4
	v_mov_b32_e32 v7, v6
	global_store_b128 v[0:1], v[4:7], off
.LBB288_107:
	s_and_not1_b32 vcc_lo, exec_lo, s13
	s_cbranch_vccnz .LBB288_109
; %bb.108:
	v_bfe_i32 v4, v2, 0, 16
	v_mov_b32_e32 v5, 0
	s_delay_alu instid0(VALU_DEP_2)
	v_cvt_f32_i32_e32 v4, v4
	global_store_b64 v[0:1], v[4:5], off
.LBB288_109:
	s_mov_b32 s13, 0
.LBB288_110:
	s_delay_alu instid0(SALU_CYCLE_1)
	s_and_not1_b32 vcc_lo, exec_lo, s13
	s_cbranch_vccnz .LBB288_112
; %bb.111:
	v_cvt_f16_i16_e32 v4, v2
	s_delay_alu instid0(VALU_DEP_1)
	v_and_b32_e32 v4, 0xffff, v4
	global_store_b32 v[0:1], v4, off
.LBB288_112:
	s_mov_b32 s13, 0
.LBB288_113:
	s_delay_alu instid0(SALU_CYCLE_1)
	s_and_not1_b32 vcc_lo, exec_lo, s13
	s_cbranch_vccnz .LBB288_122
; %bb.114:
	v_cmp_gt_i16_e32 vcc_lo, 6, v3
	s_mov_b32 s13, -1
	s_cbranch_vccnz .LBB288_120
; %bb.115:
	v_cmp_lt_i16_e32 vcc_lo, 6, v3
	s_cbranch_vccz .LBB288_117
; %bb.116:
	v_bfe_i32 v4, v2, 0, 16
	s_mov_b32 s13, 0
	s_delay_alu instid0(VALU_DEP_1)
	v_cvt_f64_i32_e32 v[4:5], v4
	global_store_b64 v[0:1], v[4:5], off
.LBB288_117:
	s_and_not1_b32 vcc_lo, exec_lo, s13
	s_cbranch_vccnz .LBB288_119
; %bb.118:
	v_bfe_i32 v4, v2, 0, 16
	s_delay_alu instid0(VALU_DEP_1)
	v_cvt_f32_i32_e32 v4, v4
	global_store_b32 v[0:1], v4, off
.LBB288_119:
	s_mov_b32 s13, 0
.LBB288_120:
	s_delay_alu instid0(SALU_CYCLE_1)
	s_and_not1_b32 vcc_lo, exec_lo, s13
	s_cbranch_vccnz .LBB288_122
; %bb.121:
	v_cvt_f16_i16_e32 v4, v2
	global_store_b16 v[0:1], v4, off
.LBB288_122:
	s_mov_b32 s13, 0
.LBB288_123:
	s_delay_alu instid0(SALU_CYCLE_1)
	s_and_not1_b32 vcc_lo, exec_lo, s13
	s_cbranch_vccnz .LBB288_139
; %bb.124:
	v_cmp_gt_i16_e32 vcc_lo, 2, v3
	s_mov_b32 s13, -1
	s_cbranch_vccnz .LBB288_134
; %bb.125:
	v_cmp_gt_i16_e32 vcc_lo, 3, v3
	s_cbranch_vccnz .LBB288_131
; %bb.126:
	v_cmp_lt_i16_e32 vcc_lo, 3, v3
	s_cbranch_vccz .LBB288_128
; %bb.127:
	v_bfe_i32 v4, v2, 0, 16
	s_mov_b32 s13, 0
	s_delay_alu instid0(VALU_DEP_1)
	v_ashrrev_i32_e32 v5, 31, v4
	global_store_b64 v[0:1], v[4:5], off
.LBB288_128:
	s_and_not1_b32 vcc_lo, exec_lo, s13
	s_cbranch_vccnz .LBB288_130
; %bb.129:
	v_bfe_i32 v4, v2, 0, 16
	global_store_b32 v[0:1], v4, off
.LBB288_130:
	s_mov_b32 s13, 0
.LBB288_131:
	s_delay_alu instid0(SALU_CYCLE_1)
	s_and_not1_b32 vcc_lo, exec_lo, s13
	s_cbranch_vccnz .LBB288_133
; %bb.132:
	global_store_b16 v[0:1], v2, off
.LBB288_133:
	s_mov_b32 s13, 0
.LBB288_134:
	s_delay_alu instid0(SALU_CYCLE_1)
	s_and_not1_b32 vcc_lo, exec_lo, s13
	s_cbranch_vccnz .LBB288_139
; %bb.135:
	v_cmp_lt_i16_e32 vcc_lo, 0, v3
	s_mov_b32 s13, -1
	s_cbranch_vccz .LBB288_137
; %bb.136:
	s_mov_b32 s13, 0
	global_store_b8 v[0:1], v2, off
.LBB288_137:
	s_and_not1_b32 vcc_lo, exec_lo, s13
	s_cbranch_vccnz .LBB288_139
; %bb.138:
	global_store_b8 v[0:1], v2, off
.LBB288_139:
.LBB288_140:
	v_add_nc_u32_e32 v9, 0x80, v9
	s_mov_b32 s18, -1
	s_branch .LBB288_247
.LBB288_141:
	s_mov_b32 s15, -1
                                        ; implicit-def: $vgpr2
.LBB288_142:
	s_mov_b32 s13, 0
.LBB288_143:
	s_delay_alu instid0(SALU_CYCLE_1)
	s_and_b32 vcc_lo, exec_lo, s13
	s_cbranch_vccz .LBB288_147
; %bb.144:
	v_cmp_eq_u16_e64 s13, s10, 29
	s_delay_alu instid0(VALU_DEP_1)
	s_and_b32 vcc_lo, exec_lo, s13
	s_cbranch_vccz .LBB288_146
; %bb.145:
	global_load_b64 v[2:3], v[0:1], off
	s_mov_b32 s0, -1
	s_mov_b32 s15, 0
	s_branch .LBB288_147
.LBB288_146:
	s_mov_b32 s15, -1
                                        ; implicit-def: $vgpr2
.LBB288_147:
	s_mov_b32 s13, 0
.LBB288_148:
	s_delay_alu instid0(SALU_CYCLE_1)
	s_and_b32 vcc_lo, exec_lo, s13
	s_cbranch_vccz .LBB288_164
; %bb.149:
	v_cmp_lt_i16_e64 s0, s10, 27
	s_delay_alu instid0(VALU_DEP_1)
	s_and_b32 vcc_lo, exec_lo, s0
	s_cbranch_vccnz .LBB288_152
; %bb.150:
	v_cmp_gt_i16_e64 s0, s10, 27
	s_delay_alu instid0(VALU_DEP_1)
	s_and_b32 vcc_lo, exec_lo, s0
	s_cbranch_vccz .LBB288_153
; %bb.151:
	global_load_b32 v2, v[0:1], off
	s_mov_b32 s0, 0
	s_branch .LBB288_154
.LBB288_152:
	s_mov_b32 s0, -1
                                        ; implicit-def: $vgpr2
	s_branch .LBB288_157
.LBB288_153:
	s_mov_b32 s0, -1
                                        ; implicit-def: $vgpr2
.LBB288_154:
	s_delay_alu instid0(SALU_CYCLE_1)
	s_and_not1_b32 vcc_lo, exec_lo, s0
	s_cbranch_vccnz .LBB288_156
; %bb.155:
	global_load_u16 v2, v[0:1], off
.LBB288_156:
	s_mov_b32 s0, 0
.LBB288_157:
	s_delay_alu instid0(SALU_CYCLE_1)
	s_and_not1_b32 vcc_lo, exec_lo, s0
	s_cbranch_vccnz .LBB288_163
; %bb.158:
	global_load_u8 v3, v[0:1], off
	s_mov_b32 s0, 0
	s_mov_b32 s13, exec_lo
                                        ; implicit-def: $sgpr18
	s_waitcnt vmcnt(0)
	v_cmpx_lt_i16_e32 0x7f, v3
	s_xor_b32 s13, exec_lo, s13
	s_cbranch_execz .LBB288_174
; %bb.159:
	v_cmp_ne_u16_e32 vcc_lo, 0x80, v3
	s_mov_b32 s18, 0
	s_and_b32 s0, vcc_lo, exec_lo
	s_or_saveexec_b32 s13, s13
	v_mov_b32_e32 v2, s18
	s_xor_b32 exec_lo, exec_lo, s13
	s_cbranch_execnz .LBB288_175
.LBB288_160:
	s_or_b32 exec_lo, exec_lo, s13
	s_and_saveexec_b32 s13, s0
	s_cbranch_execz .LBB288_162
.LBB288_161:
	v_and_b32_e32 v2, 0xffff, v3
	s_delay_alu instid0(VALU_DEP_1) | instskip(NEXT) | instid1(VALU_DEP_1)
	v_and_b32_e32 v4, 7, v2
	v_clz_i32_u32_e32 v5, v4
	s_delay_alu instid0(VALU_DEP_1) | instskip(NEXT) | instid1(VALU_DEP_1)
	v_min_u32_e32 v5, 32, v5
	v_subrev_nc_u32_e32 v6, 28, v5
	v_sub_nc_u32_e32 v5, 29, v5
	s_delay_alu instid0(VALU_DEP_2) | instskip(SKIP_1) | instid1(VALU_DEP_2)
	v_lshlrev_b32_e32 v6, v6, v2
	v_bfe_u32 v2, v2, 3, 4
	v_and_b32_e32 v6, 7, v6
	s_delay_alu instid0(VALU_DEP_2) | instskip(SKIP_1) | instid1(VALU_DEP_1)
	v_cmp_eq_u32_e32 vcc_lo, 0, v2
	v_dual_cndmask_b32 v2, v2, v5 :: v_dual_lshlrev_b32 v3, 24, v3
	v_dual_cndmask_b32 v4, v4, v6 :: v_dual_and_b32 v3, 0x80000000, v3
	s_delay_alu instid0(VALU_DEP_2) | instskip(NEXT) | instid1(VALU_DEP_2)
	v_lshl_add_u32 v2, v2, 23, 0x3b800000
	v_lshlrev_b32_e32 v4, 20, v4
	s_delay_alu instid0(VALU_DEP_1) | instskip(NEXT) | instid1(VALU_DEP_1)
	v_or3_b32 v2, v3, v2, v4
	v_cvt_i32_f32_e32 v2, v2
.LBB288_162:
	s_or_b32 exec_lo, exec_lo, s13
.LBB288_163:
	s_mov_b32 s0, -1
.LBB288_164:
	s_branch .LBB288_197
.LBB288_165:
	v_cmp_gt_i16_e64 s13, s10, 22
	s_delay_alu instid0(VALU_DEP_1)
	s_and_b32 vcc_lo, exec_lo, s13
	s_cbranch_vccz .LBB288_173
; %bb.166:
	v_cmp_lt_i16_e64 s0, s10, 24
	s_delay_alu instid0(VALU_DEP_1)
	s_and_b32 vcc_lo, exec_lo, s0
	s_cbranch_vccnz .LBB288_176
; %bb.167:
	v_cmp_gt_i16_e64 s0, s10, 24
	s_delay_alu instid0(VALU_DEP_1)
	s_and_b32 vcc_lo, exec_lo, s0
	s_cbranch_vccz .LBB288_177
; %bb.168:
	global_load_u8 v3, v[0:1], off
	s_mov_b32 s0, 0
	s_mov_b32 s13, exec_lo
                                        ; implicit-def: $sgpr18
	s_waitcnt vmcnt(0)
	v_cmpx_lt_i16_e32 0x7f, v3
	s_xor_b32 s13, exec_lo, s13
	s_cbranch_execz .LBB288_189
; %bb.169:
	v_cmp_ne_u16_e32 vcc_lo, 0x80, v3
	s_mov_b32 s18, 0
	s_and_b32 s0, vcc_lo, exec_lo
	s_or_saveexec_b32 s13, s13
	v_mov_b32_e32 v2, s18
	s_xor_b32 exec_lo, exec_lo, s13
	s_cbranch_execnz .LBB288_190
.LBB288_170:
	s_or_b32 exec_lo, exec_lo, s13
	s_and_saveexec_b32 s13, s0
	s_cbranch_execz .LBB288_172
.LBB288_171:
	v_and_b32_e32 v2, 0xffff, v3
	s_delay_alu instid0(VALU_DEP_1) | instskip(NEXT) | instid1(VALU_DEP_1)
	v_and_b32_e32 v4, 3, v2
	v_clz_i32_u32_e32 v5, v4
	s_delay_alu instid0(VALU_DEP_1) | instskip(NEXT) | instid1(VALU_DEP_1)
	v_min_u32_e32 v5, 32, v5
	v_subrev_nc_u32_e32 v6, 29, v5
	v_sub_nc_u32_e32 v5, 30, v5
	s_delay_alu instid0(VALU_DEP_2) | instskip(SKIP_1) | instid1(VALU_DEP_2)
	v_lshlrev_b32_e32 v6, v6, v2
	v_bfe_u32 v2, v2, 2, 5
	v_and_b32_e32 v6, 3, v6
	s_delay_alu instid0(VALU_DEP_2) | instskip(SKIP_1) | instid1(VALU_DEP_1)
	v_cmp_eq_u32_e32 vcc_lo, 0, v2
	v_dual_cndmask_b32 v2, v2, v5 :: v_dual_lshlrev_b32 v3, 24, v3
	v_dual_cndmask_b32 v4, v4, v6 :: v_dual_and_b32 v3, 0x80000000, v3
	s_delay_alu instid0(VALU_DEP_2) | instskip(NEXT) | instid1(VALU_DEP_2)
	v_lshl_add_u32 v2, v2, 23, 0x37800000
	v_lshlrev_b32_e32 v4, 21, v4
	s_delay_alu instid0(VALU_DEP_1) | instskip(NEXT) | instid1(VALU_DEP_1)
	v_or3_b32 v2, v3, v2, v4
	v_cvt_i32_f32_e32 v2, v2
.LBB288_172:
	s_or_b32 exec_lo, exec_lo, s13
	s_mov_b32 s0, 0
	s_branch .LBB288_178
.LBB288_173:
	s_mov_b32 s13, -1
                                        ; implicit-def: $vgpr2
	s_branch .LBB288_184
.LBB288_174:
	s_or_saveexec_b32 s13, s13
	v_mov_b32_e32 v2, s18
	s_xor_b32 exec_lo, exec_lo, s13
	s_cbranch_execz .LBB288_160
.LBB288_175:
	v_cmp_ne_u16_e32 vcc_lo, 0, v3
	v_mov_b32_e32 v2, 0
	s_and_not1_b32 s0, s0, exec_lo
	s_and_b32 s18, vcc_lo, exec_lo
	s_delay_alu instid0(SALU_CYCLE_1)
	s_or_b32 s0, s0, s18
	s_or_b32 exec_lo, exec_lo, s13
	s_and_saveexec_b32 s13, s0
	s_cbranch_execnz .LBB288_161
	s_branch .LBB288_162
.LBB288_176:
	s_mov_b32 s0, -1
                                        ; implicit-def: $vgpr2
	s_branch .LBB288_181
.LBB288_177:
	s_mov_b32 s0, -1
                                        ; implicit-def: $vgpr2
.LBB288_178:
	s_delay_alu instid0(SALU_CYCLE_1)
	s_and_b32 vcc_lo, exec_lo, s0
	s_cbranch_vccz .LBB288_180
; %bb.179:
	global_load_u8 v2, v[0:1], off
	s_waitcnt vmcnt(0)
	v_lshlrev_b32_e32 v2, 24, v2
	s_delay_alu instid0(VALU_DEP_1) | instskip(NEXT) | instid1(VALU_DEP_1)
	v_and_b32_e32 v3, 0x7f000000, v2
	v_clz_i32_u32_e32 v4, v3
	v_add_nc_u32_e32 v6, 0x1000000, v3
	v_cmp_ne_u32_e32 vcc_lo, 0, v3
	s_delay_alu instid0(VALU_DEP_3) | instskip(NEXT) | instid1(VALU_DEP_1)
	v_min_u32_e32 v4, 32, v4
	v_sub_nc_u32_e64 v4, v4, 4 clamp
	s_delay_alu instid0(VALU_DEP_1) | instskip(SKIP_1) | instid1(VALU_DEP_2)
	v_lshlrev_b32_e32 v5, v4, v3
	v_lshlrev_b32_e32 v4, 23, v4
	v_lshrrev_b32_e32 v5, 4, v5
	s_delay_alu instid0(VALU_DEP_1) | instskip(SKIP_1) | instid1(VALU_DEP_2)
	v_sub_nc_u32_e32 v4, v5, v4
	v_ashrrev_i32_e32 v5, 8, v6
	v_add_nc_u32_e32 v4, 0x3c000000, v4
	s_delay_alu instid0(VALU_DEP_1) | instskip(NEXT) | instid1(VALU_DEP_1)
	v_and_or_b32 v4, 0x7f800000, v5, v4
	v_cndmask_b32_e32 v3, 0, v4, vcc_lo
	s_delay_alu instid0(VALU_DEP_1) | instskip(NEXT) | instid1(VALU_DEP_1)
	v_and_or_b32 v2, 0x80000000, v2, v3
	v_cvt_i32_f32_e32 v2, v2
.LBB288_180:
	s_mov_b32 s0, 0
.LBB288_181:
	s_delay_alu instid0(SALU_CYCLE_1)
	s_and_not1_b32 vcc_lo, exec_lo, s0
	s_cbranch_vccnz .LBB288_183
; %bb.182:
	global_load_u8 v2, v[0:1], off
	s_waitcnt vmcnt(0)
	v_lshlrev_b32_e32 v3, 25, v2
	v_lshlrev_b16 v2, 8, v2
	s_delay_alu instid0(VALU_DEP_2) | instskip(NEXT) | instid1(VALU_DEP_2)
	v_lshrrev_b32_e32 v4, 4, v3
	v_and_or_b32 v5, 0x7f00, v2, 0.5
	v_bfe_i32 v2, v2, 0, 16
	s_delay_alu instid0(VALU_DEP_3) | instskip(NEXT) | instid1(VALU_DEP_1)
	v_or_b32_e32 v4, 0x70000000, v4
	v_dual_add_f32 v5, -0.5, v5 :: v_dual_mul_f32 v4, 0x7800000, v4
	v_cmp_gt_u32_e32 vcc_lo, 0x8000000, v3
	s_delay_alu instid0(VALU_DEP_2) | instskip(NEXT) | instid1(VALU_DEP_1)
	v_cndmask_b32_e32 v3, v4, v5, vcc_lo
	v_and_or_b32 v2, 0x80000000, v2, v3
	s_delay_alu instid0(VALU_DEP_1)
	v_cvt_i32_f32_e32 v2, v2
.LBB288_183:
	s_mov_b32 s13, 0
	s_mov_b32 s0, -1
.LBB288_184:
	s_and_not1_b32 vcc_lo, exec_lo, s13
	s_cbranch_vccnz .LBB288_197
; %bb.185:
	v_cmp_gt_i16_e64 s13, s10, 14
	s_delay_alu instid0(VALU_DEP_1)
	s_and_b32 vcc_lo, exec_lo, s13
	s_cbranch_vccz .LBB288_188
; %bb.186:
	v_cmp_eq_u16_e64 s13, s10, 15
	s_delay_alu instid0(VALU_DEP_1)
	s_and_b32 vcc_lo, exec_lo, s13
	s_cbranch_vccz .LBB288_191
; %bb.187:
	global_load_u16 v2, v[0:1], off
	s_mov_b32 s0, -1
	s_mov_b32 s15, 0
	s_waitcnt vmcnt(0)
	v_lshlrev_b32_e32 v2, 16, v2
	s_delay_alu instid0(VALU_DEP_1)
	v_cvt_i32_f32_e32 v2, v2
	s_branch .LBB288_192
.LBB288_188:
	s_mov_b32 s13, -1
                                        ; implicit-def: $vgpr2
	s_branch .LBB288_193
.LBB288_189:
	s_or_saveexec_b32 s13, s13
	v_mov_b32_e32 v2, s18
	s_xor_b32 exec_lo, exec_lo, s13
	s_cbranch_execz .LBB288_170
.LBB288_190:
	v_cmp_ne_u16_e32 vcc_lo, 0, v3
	v_mov_b32_e32 v2, 0
	s_and_not1_b32 s0, s0, exec_lo
	s_and_b32 s18, vcc_lo, exec_lo
	s_delay_alu instid0(SALU_CYCLE_1)
	s_or_b32 s0, s0, s18
	s_or_b32 exec_lo, exec_lo, s13
	s_and_saveexec_b32 s13, s0
	s_cbranch_execnz .LBB288_171
	s_branch .LBB288_172
.LBB288_191:
	s_mov_b32 s15, -1
                                        ; implicit-def: $vgpr2
.LBB288_192:
	s_mov_b32 s13, 0
.LBB288_193:
	s_delay_alu instid0(SALU_CYCLE_1)
	s_and_b32 vcc_lo, exec_lo, s13
	s_cbranch_vccz .LBB288_197
; %bb.194:
	v_cmp_eq_u16_e64 s13, s10, 11
	s_delay_alu instid0(VALU_DEP_1)
	s_and_b32 vcc_lo, exec_lo, s13
	s_cbranch_vccz .LBB288_196
; %bb.195:
	global_load_u8 v2, v[0:1], off
	s_mov_b32 s15, 0
	s_mov_b32 s0, -1
	s_waitcnt vmcnt(0)
	v_cmp_ne_u16_e32 vcc_lo, 0, v2
	v_cndmask_b32_e64 v2, 0, 1, vcc_lo
	s_branch .LBB288_197
.LBB288_196:
	s_mov_b32 s15, -1
                                        ; implicit-def: $vgpr2
.LBB288_197:
	s_branch .LBB288_10
.LBB288_198:
	v_cmp_lt_i16_e64 s0, s10, 5
	s_delay_alu instid0(VALU_DEP_1)
	s_and_b32 vcc_lo, exec_lo, s0
	s_cbranch_vccnz .LBB288_203
; %bb.199:
	v_cmp_lt_i16_e64 s0, s10, 8
	s_delay_alu instid0(VALU_DEP_1)
	s_and_b32 vcc_lo, exec_lo, s0
	s_cbranch_vccnz .LBB288_204
; %bb.200:
	v_cmp_lt_i16_e64 s0, s10, 9
	s_delay_alu instid0(VALU_DEP_1)
	s_and_b32 vcc_lo, exec_lo, s0
	s_cbranch_vccnz .LBB288_205
; %bb.201:
	v_cmp_gt_i16_e64 s0, s10, 9
	s_delay_alu instid0(VALU_DEP_1)
	s_and_b32 vcc_lo, exec_lo, s0
	s_cbranch_vccz .LBB288_206
; %bb.202:
	global_load_b64 v[2:3], v[0:1], off
	s_mov_b32 s0, 0
	s_waitcnt vmcnt(0)
	v_cvt_i32_f64_e32 v2, v[2:3]
	s_branch .LBB288_207
.LBB288_203:
                                        ; implicit-def: $vgpr2
	s_branch .LBB288_225
.LBB288_204:
	s_mov_b32 s0, -1
                                        ; implicit-def: $vgpr2
	s_branch .LBB288_213
.LBB288_205:
	s_mov_b32 s0, -1
                                        ; implicit-def: $vgpr2
	s_branch .LBB288_210
.LBB288_206:
	s_mov_b32 s0, -1
                                        ; implicit-def: $vgpr2
.LBB288_207:
	s_delay_alu instid0(SALU_CYCLE_1)
	s_and_not1_b32 vcc_lo, exec_lo, s0
	s_cbranch_vccnz .LBB288_209
; %bb.208:
	global_load_b32 v2, v[0:1], off
	s_waitcnt vmcnt(0)
	v_cvt_i32_f32_e32 v2, v2
.LBB288_209:
	s_mov_b32 s0, 0
.LBB288_210:
	s_delay_alu instid0(SALU_CYCLE_1)
	s_and_not1_b32 vcc_lo, exec_lo, s0
	s_cbranch_vccnz .LBB288_212
; %bb.211:
	global_load_b32 v2, v[0:1], off
	s_waitcnt vmcnt(0)
	v_cvt_i16_f16_e32 v2, v2
.LBB288_212:
	s_mov_b32 s0, 0
.LBB288_213:
	s_delay_alu instid0(SALU_CYCLE_1)
	s_and_not1_b32 vcc_lo, exec_lo, s0
	s_cbranch_vccnz .LBB288_224
; %bb.214:
	v_cmp_lt_i16_e64 s0, s10, 6
	s_delay_alu instid0(VALU_DEP_1)
	s_and_b32 vcc_lo, exec_lo, s0
	s_cbranch_vccnz .LBB288_217
; %bb.215:
	v_cmp_gt_i16_e64 s0, s10, 6
	s_delay_alu instid0(VALU_DEP_1)
	s_and_b32 vcc_lo, exec_lo, s0
	s_cbranch_vccz .LBB288_218
; %bb.216:
	global_load_b64 v[2:3], v[0:1], off
	s_mov_b32 s0, 0
	s_waitcnt vmcnt(0)
	v_cvt_i32_f64_e32 v2, v[2:3]
	s_branch .LBB288_219
.LBB288_217:
	s_mov_b32 s0, -1
                                        ; implicit-def: $vgpr2
	s_branch .LBB288_222
.LBB288_218:
	s_mov_b32 s0, -1
                                        ; implicit-def: $vgpr2
.LBB288_219:
	s_delay_alu instid0(SALU_CYCLE_1)
	s_and_not1_b32 vcc_lo, exec_lo, s0
	s_cbranch_vccnz .LBB288_221
; %bb.220:
	global_load_b32 v2, v[0:1], off
	s_waitcnt vmcnt(0)
	v_cvt_i32_f32_e32 v2, v2
.LBB288_221:
	s_mov_b32 s0, 0
.LBB288_222:
	s_delay_alu instid0(SALU_CYCLE_1)
	s_and_not1_b32 vcc_lo, exec_lo, s0
	s_cbranch_vccnz .LBB288_224
; %bb.223:
	global_load_u16 v2, v[0:1], off
	s_waitcnt vmcnt(0)
	v_cvt_i16_f16_e32 v2, v2
.LBB288_224:
	s_cbranch_execnz .LBB288_244
.LBB288_225:
	v_cmp_lt_i16_e64 s0, s10, 2
	s_delay_alu instid0(VALU_DEP_1)
	s_and_b32 vcc_lo, exec_lo, s0
	s_cbranch_vccnz .LBB288_229
; %bb.226:
	v_cmp_lt_i16_e64 s0, s10, 3
	s_delay_alu instid0(VALU_DEP_1)
	s_and_b32 vcc_lo, exec_lo, s0
	s_cbranch_vccnz .LBB288_230
; %bb.227:
	v_cmp_gt_i16_e64 s0, s10, 3
	s_delay_alu instid0(VALU_DEP_1)
	s_and_b32 vcc_lo, exec_lo, s0
	s_cbranch_vccz .LBB288_231
; %bb.228:
	global_load_b64 v[2:3], v[0:1], off
	s_mov_b32 s0, 0
	s_branch .LBB288_232
.LBB288_229:
	s_mov_b32 s0, -1
                                        ; implicit-def: $vgpr2
	s_branch .LBB288_238
.LBB288_230:
	s_mov_b32 s0, -1
                                        ; implicit-def: $vgpr2
	s_branch .LBB288_235
.LBB288_231:
	s_mov_b32 s0, -1
                                        ; implicit-def: $vgpr2
.LBB288_232:
	s_delay_alu instid0(SALU_CYCLE_1)
	s_and_not1_b32 vcc_lo, exec_lo, s0
	s_cbranch_vccnz .LBB288_234
; %bb.233:
	global_load_b32 v2, v[0:1], off
.LBB288_234:
	s_mov_b32 s0, 0
.LBB288_235:
	s_delay_alu instid0(SALU_CYCLE_1)
	s_and_not1_b32 vcc_lo, exec_lo, s0
	s_cbranch_vccnz .LBB288_237
; %bb.236:
	global_load_u16 v2, v[0:1], off
.LBB288_237:
	s_mov_b32 s0, 0
.LBB288_238:
	s_delay_alu instid0(SALU_CYCLE_1)
	s_and_not1_b32 vcc_lo, exec_lo, s0
	s_cbranch_vccnz .LBB288_244
; %bb.239:
	v_cmp_gt_i16_e64 s0, s10, 0
	s_delay_alu instid0(VALU_DEP_1)
	s_and_b32 vcc_lo, exec_lo, s0
	s_mov_b32 s0, 0
	s_cbranch_vccz .LBB288_241
; %bb.240:
	global_load_u8 v2, v[0:1], off
	s_branch .LBB288_242
.LBB288_241:
	s_mov_b32 s0, -1
                                        ; implicit-def: $vgpr2
.LBB288_242:
	s_delay_alu instid0(SALU_CYCLE_1)
	s_and_not1_b32 vcc_lo, exec_lo, s0
	s_cbranch_vccnz .LBB288_244
; %bb.243:
	global_load_u8 v2, v[0:1], off
.LBB288_244:
	s_branch .LBB288_11
.LBB288_245:
	s_mov_b32 s0, 0
.LBB288_246:
	s_mov_b32 s18, 0
                                        ; implicit-def: $vgpr9
.LBB288_247:
	s_and_b32 s13, s0, exec_lo
	s_and_b32 s15, s15, exec_lo
	s_or_not1_b32 s19, s18, exec_lo
.LBB288_248:
	s_or_b32 exec_lo, exec_lo, s16
	s_mov_b32 s18, 0
	s_mov_b32 s0, 0
                                        ; implicit-def: $vgpr0_vgpr1
                                        ; implicit-def: $vgpr2
	s_and_saveexec_b32 s16, s19
	s_cbranch_execz .LBB288_844
; %bb.249:
	s_mov_b32 s0, -1
	s_mov_b32 s17, s15
	s_mov_b32 s18, s13
	s_mov_b32 s19, exec_lo
	v_cmpx_gt_i32_e64 s14, v9
	s_cbranch_execz .LBB288_504
; %bb.250:
	v_mul_lo_u32 v0, v9, s3
	v_cmp_lt_i16_e64 s0, s10, 11
	s_delay_alu instid0(VALU_DEP_2) | instskip(SKIP_1) | instid1(VALU_DEP_2)
	v_ashrrev_i32_e32 v1, 31, v0
	v_add_co_u32 v0, vcc_lo, s6, v0
	v_add_co_ci_u32_e32 v1, vcc_lo, s7, v1, vcc_lo
	s_delay_alu instid0(VALU_DEP_4)
	s_and_b32 vcc_lo, exec_lo, s0
	s_cbranch_vccnz .LBB288_257
; %bb.251:
	v_cmp_gt_i16_e64 s0, s10, 25
	s_delay_alu instid0(VALU_DEP_1)
	s_and_b32 vcc_lo, exec_lo, s0
	s_cbranch_vccz .LBB288_266
; %bb.252:
	v_cmp_gt_i16_e64 s0, s10, 28
	s_delay_alu instid0(VALU_DEP_1)
	s_and_b32 vcc_lo, exec_lo, s0
	s_cbranch_vccz .LBB288_268
	;; [unrolled: 5-line block ×4, first 2 shown]
; %bb.255:
	v_cmp_eq_u16_e64 s0, s10, 46
	s_mov_b32 s18, 0
	s_delay_alu instid0(VALU_DEP_1)
	s_and_b32 vcc_lo, exec_lo, s0
	s_cbranch_vccz .LBB288_278
; %bb.256:
	global_load_b32 v2, v[0:1], off
	s_mov_b32 s0, -1
	s_mov_b32 s17, 0
	s_waitcnt vmcnt(0)
	v_lshlrev_b32_e32 v2, 16, v2
	s_delay_alu instid0(VALU_DEP_1)
	v_cvt_i32_f32_e32 v2, v2
	s_branch .LBB288_280
.LBB288_257:
	s_mov_b32 s0, 0
	s_mov_b32 s17, s15
                                        ; implicit-def: $vgpr2
	s_cbranch_execnz .LBB288_453
.LBB288_258:
	s_and_not1_b32 vcc_lo, exec_lo, s0
	s_cbranch_vccnz .LBB288_501
.LBB288_259:
	v_mul_lo_u32 v1, v9, s2
	s_waitcnt vmcnt(0)
	s_delay_alu instid0(VALU_DEP_2) | instskip(SKIP_2) | instid1(VALU_DEP_2)
	v_bfe_i32 v0, v2, 0, 8
	s_bfe_i32 s0, s8, 0x80000
	v_and_b32_e64 v3, 0xff, s9
	v_max_i16 v0, v0, s0
	s_bfe_i32 s0, s1, 0x80000
	s_delay_alu instid0(VALU_DEP_4) | instskip(NEXT) | instid1(VALU_DEP_3)
	v_ashrrev_i32_e32 v4, 31, v1
	v_cmp_gt_i16_e32 vcc_lo, 11, v3
	s_delay_alu instid0(VALU_DEP_3) | instskip(SKIP_1) | instid1(VALU_DEP_1)
	v_min_i16 v2, v0, s0
	v_add_co_u32 v0, s0, s4, v1
	v_add_co_ci_u32_e64 v1, s0, s5, v4, s0
	s_cbranch_vccnz .LBB288_267
; %bb.260:
	v_cmp_lt_i16_e32 vcc_lo, 25, v3
	s_cbranch_vccz .LBB288_269
; %bb.261:
	v_cmp_lt_i16_e32 vcc_lo, 28, v3
	s_cbranch_vccz .LBB288_271
; %bb.262:
	v_cmp_lt_i16_e32 vcc_lo, 43, v3
	s_cbranch_vccz .LBB288_275
; %bb.263:
	v_cmp_lt_i16_e32 vcc_lo, 45, v3
	s_cbranch_vccz .LBB288_283
; %bb.264:
	v_cmp_eq_u16_e32 vcc_lo, 46, v3
	s_mov_b32 s20, 0
	s_mov_b32 s0, -1
	s_mov_b32 s18, 0
	s_cbranch_vccz .LBB288_284
; %bb.265:
	v_bfe_i32 v4, v2, 0, 16
	s_mov_b32 s18, -1
	s_mov_b32 s0, 0
	s_delay_alu instid0(VALU_DEP_1) | instskip(NEXT) | instid1(VALU_DEP_1)
	v_cvt_f32_i32_e32 v4, v4
	v_bfe_u32 v5, v4, 16, 1
	s_delay_alu instid0(VALU_DEP_1) | instskip(NEXT) | instid1(VALU_DEP_1)
	v_add3_u32 v4, v4, v5, 0x7fff
	v_lshrrev_b32_e32 v4, 16, v4
	global_store_b32 v[0:1], v4, off
	s_branch .LBB288_284
.LBB288_266:
	s_mov_b32 s18, -1
	s_mov_b32 s0, 0
	s_mov_b32 s17, s15
                                        ; implicit-def: $vgpr2
	s_branch .LBB288_419
.LBB288_267:
	s_mov_b32 s20, -1
	s_mov_b32 s18, 0
	s_mov_b32 s0, s13
	s_branch .LBB288_353
.LBB288_268:
	s_mov_b32 s18, -1
	s_mov_b32 s0, 0
	s_mov_b32 s17, s15
                                        ; implicit-def: $vgpr2
	s_branch .LBB288_402
.LBB288_269:
	s_mov_b32 s20, -1
	s_mov_b32 s18, 0
	s_mov_b32 s0, s13
	s_branch .LBB288_311
.LBB288_270:
	s_mov_b32 s18, -1
	s_mov_b32 s0, 0
	s_mov_b32 s17, s15
                                        ; implicit-def: $vgpr2
	s_branch .LBB288_397
.LBB288_271:
	s_mov_b32 s20, -1
	s_mov_b32 s18, 0
	s_mov_b32 s0, s13
	s_branch .LBB288_294
.LBB288_272:
	s_or_saveexec_b32 s19, s19
                                        ; implicit-def: $sgpr20
	s_delay_alu instid0(SALU_CYCLE_1)
	s_xor_b32 exec_lo, exec_lo, s19
	s_cbranch_execz .LBB288_54
.LBB288_273:
	v_add_f32_e64 v5, 0x46000000, |v4|
	s_and_not1_b32 s18, s18, exec_lo
	s_mov_b32 s20, 0
	s_delay_alu instid0(VALU_DEP_1) | instskip(NEXT) | instid1(VALU_DEP_1)
	v_and_b32_e32 v5, 0xff, v5
	v_cmp_ne_u32_e32 vcc_lo, 0, v5
	s_and_b32 s21, vcc_lo, exec_lo
	s_delay_alu instid0(SALU_CYCLE_1)
	s_or_b32 s18, s18, s21
	s_or_b32 exec_lo, exec_lo, s19
	v_mov_b32_e32 v6, s20
	s_and_saveexec_b32 s19, s18
	s_cbranch_execnz .LBB288_55
	s_branch .LBB288_56
.LBB288_274:
	s_mov_b32 s18, -1
	s_mov_b32 s0, 0
	s_mov_b32 s17, s15
	s_branch .LBB288_279
.LBB288_275:
	s_mov_b32 s20, -1
	s_mov_b32 s18, 0
	s_mov_b32 s0, s13
	s_branch .LBB288_290
.LBB288_276:
	s_or_saveexec_b32 s19, s19
                                        ; implicit-def: $sgpr20
	s_delay_alu instid0(SALU_CYCLE_1)
	s_xor_b32 exec_lo, exec_lo, s19
	s_cbranch_execz .LBB288_67
.LBB288_277:
	v_add_f32_e64 v5, 0x42800000, |v4|
	s_and_not1_b32 s18, s18, exec_lo
	s_mov_b32 s20, 0
	s_delay_alu instid0(VALU_DEP_1) | instskip(NEXT) | instid1(VALU_DEP_1)
	v_and_b32_e32 v5, 0xff, v5
	v_cmp_ne_u32_e32 vcc_lo, 0, v5
	s_and_b32 s21, vcc_lo, exec_lo
	s_delay_alu instid0(SALU_CYCLE_1)
	s_or_b32 s18, s18, s21
	s_or_b32 exec_lo, exec_lo, s19
	v_mov_b32_e32 v6, s20
	s_and_saveexec_b32 s19, s18
	s_cbranch_execnz .LBB288_68
	s_branch .LBB288_69
.LBB288_278:
	s_mov_b32 s17, -1
	s_mov_b32 s0, 0
.LBB288_279:
                                        ; implicit-def: $vgpr2
.LBB288_280:
	s_and_b32 vcc_lo, exec_lo, s18
	s_cbranch_vccz .LBB288_396
; %bb.281:
	v_cmp_eq_u16_e64 s17, s10, 44
	s_delay_alu instid0(VALU_DEP_1)
	s_and_b32 vcc_lo, exec_lo, s17
	s_cbranch_vccz .LBB288_395
; %bb.282:
	global_load_u8 v2, v[0:1], off
	s_mov_b32 s17, 0
	s_mov_b32 s0, -1
	s_waitcnt vmcnt(0)
	v_lshlrev_b32_e32 v3, 23, v2
	v_cmp_ne_u32_e32 vcc_lo, 0, v2
	s_delay_alu instid0(VALU_DEP_2) | instskip(NEXT) | instid1(VALU_DEP_1)
	v_cvt_i32_f32_e32 v3, v3
	v_cndmask_b32_e32 v2, 0, v3, vcc_lo
	s_branch .LBB288_396
.LBB288_283:
	s_mov_b32 s20, -1
	s_mov_b32 s18, 0
	s_mov_b32 s0, s13
.LBB288_284:
	s_and_b32 vcc_lo, exec_lo, s20
	s_cbranch_vccz .LBB288_289
; %bb.285:
	v_cmp_eq_u16_e32 vcc_lo, 44, v3
	s_mov_b32 s0, -1
	s_cbranch_vccz .LBB288_289
; %bb.286:
	v_bfe_i32 v4, v2, 0, 16
	v_mov_b32_e32 v5, 0xff
	s_mov_b32 s18, exec_lo
	s_delay_alu instid0(VALU_DEP_2) | instskip(NEXT) | instid1(VALU_DEP_1)
	v_cvt_f32_i32_e32 v4, v4
	v_bfe_u32 v6, v4, 23, 8
	s_delay_alu instid0(VALU_DEP_1)
	v_cmpx_ne_u32_e32 0xff, v6
; %bb.287:
	v_and_b32_e32 v5, 0x400000, v4
	v_and_or_b32 v6, 0x3fffff, v4, v6
	v_lshrrev_b32_e32 v4, 23, v4
	s_delay_alu instid0(VALU_DEP_3) | instskip(NEXT) | instid1(VALU_DEP_3)
	v_cmp_ne_u32_e32 vcc_lo, 0, v5
	v_cmp_ne_u32_e64 s0, 0, v6
	s_delay_alu instid0(VALU_DEP_1) | instskip(NEXT) | instid1(SALU_CYCLE_1)
	s_and_b32 s0, vcc_lo, s0
	v_cndmask_b32_e64 v5, 0, 1, s0
	s_delay_alu instid0(VALU_DEP_1)
	v_add_nc_u32_e32 v5, v4, v5
; %bb.288:
	s_or_b32 exec_lo, exec_lo, s18
	s_mov_b32 s18, -1
	s_mov_b32 s0, 0
	global_store_b8 v[0:1], v5, off
.LBB288_289:
	s_mov_b32 s20, 0
.LBB288_290:
	s_delay_alu instid0(SALU_CYCLE_1)
	s_and_b32 vcc_lo, exec_lo, s20
	s_cbranch_vccz .LBB288_293
; %bb.291:
	v_cmp_eq_u16_e32 vcc_lo, 29, v3
	s_mov_b32 s0, -1
	s_cbranch_vccz .LBB288_293
; %bb.292:
	v_bfe_i32 v4, v2, 0, 16
	s_mov_b32 s0, 0
	s_mov_b32 s18, -1
	s_mov_b32 s20, 0
	s_delay_alu instid0(VALU_DEP_1)
	v_ashrrev_i32_e32 v5, 31, v4
	global_store_b64 v[0:1], v[4:5], off
	s_branch .LBB288_294
.LBB288_293:
	s_mov_b32 s20, 0
.LBB288_294:
	s_delay_alu instid0(SALU_CYCLE_1)
	s_and_b32 vcc_lo, exec_lo, s20
	s_cbranch_vccz .LBB288_310
; %bb.295:
	v_cmp_gt_i16_e32 vcc_lo, 27, v3
	s_mov_b32 s18, -1
	s_cbranch_vccnz .LBB288_301
; %bb.296:
	v_cmp_lt_i16_e32 vcc_lo, 27, v3
	s_cbranch_vccz .LBB288_298
; %bb.297:
	v_bfe_i32 v4, v2, 0, 16
	s_mov_b32 s18, 0
	global_store_b32 v[0:1], v4, off
.LBB288_298:
	s_and_not1_b32 vcc_lo, exec_lo, s18
	s_cbranch_vccnz .LBB288_300
; %bb.299:
	global_store_b16 v[0:1], v2, off
.LBB288_300:
	s_mov_b32 s18, 0
.LBB288_301:
	s_delay_alu instid0(SALU_CYCLE_1)
	s_and_not1_b32 vcc_lo, exec_lo, s18
	s_cbranch_vccnz .LBB288_309
; %bb.302:
	v_bfe_i32 v4, v2, 0, 16
	v_mov_b32_e32 v6, 0x80
	s_mov_b32 s18, exec_lo
	s_delay_alu instid0(VALU_DEP_2) | instskip(NEXT) | instid1(VALU_DEP_1)
	v_cvt_f32_i32_e32 v4, v4
	v_and_b32_e32 v5, 0x7fffffff, v4
	s_delay_alu instid0(VALU_DEP_1)
	v_cmpx_gt_u32_e32 0x43800000, v5
	s_cbranch_execz .LBB288_308
; %bb.303:
	v_cmp_lt_u32_e32 vcc_lo, 0x3bffffff, v5
	s_mov_b32 s20, 0
                                        ; implicit-def: $vgpr5
	s_and_saveexec_b32 s21, vcc_lo
	s_delay_alu instid0(SALU_CYCLE_1)
	s_xor_b32 s21, exec_lo, s21
	s_cbranch_execz .LBB288_517
; %bb.304:
	v_bfe_u32 v5, v4, 20, 1
	s_mov_b32 s20, exec_lo
	s_delay_alu instid0(VALU_DEP_1) | instskip(NEXT) | instid1(VALU_DEP_1)
	v_add3_u32 v5, v4, v5, 0x487ffff
	v_lshrrev_b32_e32 v5, 20, v5
	s_or_saveexec_b32 s21, s21
                                        ; implicit-def: $sgpr22
	s_delay_alu instid0(SALU_CYCLE_1)
	s_xor_b32 exec_lo, exec_lo, s21
	s_cbranch_execnz .LBB288_518
.LBB288_305:
	s_or_b32 exec_lo, exec_lo, s21
	v_mov_b32_e32 v6, s22
	s_and_saveexec_b32 s21, s20
.LBB288_306:
	v_lshrrev_b32_e32 v4, 24, v4
	s_delay_alu instid0(VALU_DEP_1)
	v_and_or_b32 v6, 0x80, v4, v5
.LBB288_307:
	s_or_b32 exec_lo, exec_lo, s21
.LBB288_308:
	s_delay_alu instid0(SALU_CYCLE_1)
	s_or_b32 exec_lo, exec_lo, s18
	global_store_b8 v[0:1], v6, off
.LBB288_309:
	s_mov_b32 s18, -1
.LBB288_310:
	s_mov_b32 s20, 0
.LBB288_311:
	s_delay_alu instid0(SALU_CYCLE_1)
	s_and_b32 vcc_lo, exec_lo, s20
	s_cbranch_vccz .LBB288_352
; %bb.312:
	v_cmp_lt_i16_e32 vcc_lo, 22, v3
	s_mov_b32 s20, -1
	s_cbranch_vccz .LBB288_344
; %bb.313:
	v_cmp_gt_i16_e32 vcc_lo, 24, v3
	s_mov_b32 s18, -1
	s_cbranch_vccnz .LBB288_333
; %bb.314:
	v_cmp_lt_i16_e32 vcc_lo, 24, v3
	s_cbranch_vccz .LBB288_322
; %bb.315:
	v_bfe_i32 v4, v2, 0, 16
	v_mov_b32_e32 v6, 0x80
	s_mov_b32 s18, exec_lo
	s_delay_alu instid0(VALU_DEP_2) | instskip(NEXT) | instid1(VALU_DEP_1)
	v_cvt_f32_i32_e32 v4, v4
	v_and_b32_e32 v5, 0x7fffffff, v4
	s_delay_alu instid0(VALU_DEP_1)
	v_cmpx_gt_u32_e32 0x47800000, v5
	s_cbranch_execz .LBB288_321
; %bb.316:
	v_cmp_lt_u32_e32 vcc_lo, 0x37ffffff, v5
	s_mov_b32 s20, 0
                                        ; implicit-def: $vgpr5
	s_and_saveexec_b32 s21, vcc_lo
	s_delay_alu instid0(SALU_CYCLE_1)
	s_xor_b32 s21, exec_lo, s21
	s_cbranch_execz .LBB288_520
; %bb.317:
	v_bfe_u32 v5, v4, 21, 1
	s_mov_b32 s20, exec_lo
	s_delay_alu instid0(VALU_DEP_1) | instskip(NEXT) | instid1(VALU_DEP_1)
	v_add3_u32 v5, v4, v5, 0x88fffff
	v_lshrrev_b32_e32 v5, 21, v5
	s_or_saveexec_b32 s21, s21
                                        ; implicit-def: $sgpr22
	s_delay_alu instid0(SALU_CYCLE_1)
	s_xor_b32 exec_lo, exec_lo, s21
	s_cbranch_execnz .LBB288_521
.LBB288_318:
	s_or_b32 exec_lo, exec_lo, s21
	v_mov_b32_e32 v6, s22
	s_and_saveexec_b32 s21, s20
.LBB288_319:
	v_lshrrev_b32_e32 v4, 24, v4
	s_delay_alu instid0(VALU_DEP_1)
	v_and_or_b32 v6, 0x80, v4, v5
.LBB288_320:
	s_or_b32 exec_lo, exec_lo, s21
.LBB288_321:
	s_delay_alu instid0(SALU_CYCLE_1)
	s_or_b32 exec_lo, exec_lo, s18
	s_mov_b32 s18, 0
	global_store_b8 v[0:1], v6, off
.LBB288_322:
	s_and_b32 vcc_lo, exec_lo, s18
	s_cbranch_vccz .LBB288_332
; %bb.323:
	v_bfe_i32 v4, v2, 0, 16
	s_mov_b32 s18, exec_lo
                                        ; implicit-def: $vgpr5
	s_delay_alu instid0(VALU_DEP_1) | instskip(NEXT) | instid1(VALU_DEP_1)
	v_cvt_f32_i32_e32 v4, v4
	v_and_b32_e32 v6, 0x7fffffff, v4
	s_delay_alu instid0(VALU_DEP_1)
	v_cmpx_gt_u32_e32 0x43f00000, v6
	s_xor_b32 s18, exec_lo, s18
	s_cbranch_execz .LBB288_329
; %bb.324:
	s_mov_b32 s20, exec_lo
                                        ; implicit-def: $vgpr5
	v_cmpx_lt_u32_e32 0x3c7fffff, v6
	s_xor_b32 s20, exec_lo, s20
; %bb.325:
	v_bfe_u32 v5, v4, 20, 1
	s_delay_alu instid0(VALU_DEP_1) | instskip(NEXT) | instid1(VALU_DEP_1)
	v_add3_u32 v5, v4, v5, 0x407ffff
	v_and_b32_e32 v6, 0xff00000, v5
	v_lshrrev_b32_e32 v5, 20, v5
	s_delay_alu instid0(VALU_DEP_2) | instskip(NEXT) | instid1(VALU_DEP_2)
	v_cmp_ne_u32_e32 vcc_lo, 0x7f00000, v6
	v_cndmask_b32_e32 v5, 0x7e, v5, vcc_lo
; %bb.326:
	s_and_not1_saveexec_b32 s20, s20
; %bb.327:
	v_add_f32_e64 v5, 0x46800000, |v4|
; %bb.328:
	s_or_b32 exec_lo, exec_lo, s20
                                        ; implicit-def: $vgpr6
.LBB288_329:
	s_and_not1_saveexec_b32 s18, s18
; %bb.330:
	v_mov_b32_e32 v5, 0x7f
	v_cmp_lt_u32_e32 vcc_lo, 0x7f800000, v6
	s_delay_alu instid0(VALU_DEP_2)
	v_cndmask_b32_e32 v5, 0x7e, v5, vcc_lo
; %bb.331:
	s_or_b32 exec_lo, exec_lo, s18
	v_lshrrev_b32_e32 v4, 24, v4
	s_delay_alu instid0(VALU_DEP_1)
	v_and_or_b32 v4, 0x80, v4, v5
	global_store_b8 v[0:1], v4, off
.LBB288_332:
	s_mov_b32 s18, 0
.LBB288_333:
	s_delay_alu instid0(SALU_CYCLE_1)
	s_and_not1_b32 vcc_lo, exec_lo, s18
	s_cbranch_vccnz .LBB288_343
; %bb.334:
	v_bfe_i32 v4, v2, 0, 16
	s_mov_b32 s18, exec_lo
                                        ; implicit-def: $vgpr5
	s_delay_alu instid0(VALU_DEP_1) | instskip(NEXT) | instid1(VALU_DEP_1)
	v_cvt_f32_i32_e32 v4, v4
	v_and_b32_e32 v6, 0x7fffffff, v4
	s_delay_alu instid0(VALU_DEP_1)
	v_cmpx_gt_u32_e32 0x47800000, v6
	s_xor_b32 s18, exec_lo, s18
	s_cbranch_execz .LBB288_340
; %bb.335:
	s_mov_b32 s20, exec_lo
                                        ; implicit-def: $vgpr5
	v_cmpx_lt_u32_e32 0x387fffff, v6
	s_xor_b32 s20, exec_lo, s20
; %bb.336:
	v_bfe_u32 v5, v4, 21, 1
	s_delay_alu instid0(VALU_DEP_1) | instskip(NEXT) | instid1(VALU_DEP_1)
	v_add3_u32 v5, v4, v5, 0x80fffff
	v_lshrrev_b32_e32 v5, 21, v5
; %bb.337:
	s_and_not1_saveexec_b32 s20, s20
; %bb.338:
	v_add_f32_e64 v5, 0x43000000, |v4|
; %bb.339:
	s_or_b32 exec_lo, exec_lo, s20
                                        ; implicit-def: $vgpr6
.LBB288_340:
	s_and_not1_saveexec_b32 s18, s18
; %bb.341:
	v_mov_b32_e32 v5, 0x7f
	v_cmp_lt_u32_e32 vcc_lo, 0x7f800000, v6
	s_delay_alu instid0(VALU_DEP_2)
	v_cndmask_b32_e32 v5, 0x7c, v5, vcc_lo
; %bb.342:
	s_or_b32 exec_lo, exec_lo, s18
	v_lshrrev_b32_e32 v4, 24, v4
	s_delay_alu instid0(VALU_DEP_1)
	v_and_or_b32 v4, 0x80, v4, v5
	global_store_b8 v[0:1], v4, off
.LBB288_343:
	s_mov_b32 s20, 0
	s_mov_b32 s18, -1
.LBB288_344:
	s_and_not1_b32 vcc_lo, exec_lo, s20
	s_cbranch_vccnz .LBB288_352
; %bb.345:
	v_cmp_lt_i16_e32 vcc_lo, 14, v3
	s_mov_b32 s20, -1
	s_cbranch_vccz .LBB288_349
; %bb.346:
	v_cmp_eq_u16_e32 vcc_lo, 15, v3
	s_mov_b32 s0, -1
	s_cbranch_vccz .LBB288_348
; %bb.347:
	v_bfe_i32 v4, v2, 0, 16
	s_mov_b32 s18, -1
	s_mov_b32 s0, 0
	s_delay_alu instid0(VALU_DEP_1) | instskip(NEXT) | instid1(VALU_DEP_1)
	v_cvt_f32_i32_e32 v4, v4
	v_bfe_u32 v5, v4, 16, 1
	s_delay_alu instid0(VALU_DEP_1)
	v_add3_u32 v4, v4, v5, 0x7fff
	global_store_d16_hi_b16 v[0:1], v4, off
.LBB288_348:
	s_mov_b32 s20, 0
.LBB288_349:
	s_delay_alu instid0(SALU_CYCLE_1)
	s_and_b32 vcc_lo, exec_lo, s20
	s_cbranch_vccz .LBB288_352
; %bb.350:
	v_cmp_eq_u16_e32 vcc_lo, 11, v3
	s_mov_b32 s0, -1
	s_cbranch_vccz .LBB288_352
; %bb.351:
	v_cmp_ne_u16_e32 vcc_lo, 0, v2
	s_mov_b32 s0, 0
	s_mov_b32 s18, -1
	v_cndmask_b32_e64 v4, 0, 1, vcc_lo
	global_store_b8 v[0:1], v4, off
.LBB288_352:
	s_mov_b32 s20, 0
.LBB288_353:
	s_delay_alu instid0(SALU_CYCLE_1)
	s_and_b32 vcc_lo, exec_lo, s20
	s_cbranch_vccz .LBB288_392
; %bb.354:
	v_cmp_gt_i16_e32 vcc_lo, 5, v3
	s_mov_b32 s18, -1
	s_cbranch_vccnz .LBB288_375
; %bb.355:
	v_cmp_gt_i16_e32 vcc_lo, 8, v3
	s_cbranch_vccnz .LBB288_365
; %bb.356:
	v_cmp_gt_i16_e32 vcc_lo, 9, v3
	s_cbranch_vccnz .LBB288_362
; %bb.357:
	v_cmp_lt_i16_e32 vcc_lo, 9, v3
	s_cbranch_vccz .LBB288_359
; %bb.358:
	v_bfe_i32 v4, v2, 0, 16
	v_mov_b32_e32 v6, 0
	s_mov_b32 s18, 0
	s_delay_alu instid0(VALU_DEP_2) | instskip(NEXT) | instid1(VALU_DEP_2)
	v_cvt_f64_i32_e32 v[4:5], v4
	v_mov_b32_e32 v7, v6
	global_store_b128 v[0:1], v[4:7], off
.LBB288_359:
	s_and_not1_b32 vcc_lo, exec_lo, s18
	s_cbranch_vccnz .LBB288_361
; %bb.360:
	v_bfe_i32 v4, v2, 0, 16
	v_mov_b32_e32 v5, 0
	s_delay_alu instid0(VALU_DEP_2)
	v_cvt_f32_i32_e32 v4, v4
	global_store_b64 v[0:1], v[4:5], off
.LBB288_361:
	s_mov_b32 s18, 0
.LBB288_362:
	s_delay_alu instid0(SALU_CYCLE_1)
	s_and_not1_b32 vcc_lo, exec_lo, s18
	s_cbranch_vccnz .LBB288_364
; %bb.363:
	v_cvt_f16_i16_e32 v4, v2
	s_delay_alu instid0(VALU_DEP_1)
	v_and_b32_e32 v4, 0xffff, v4
	global_store_b32 v[0:1], v4, off
.LBB288_364:
	s_mov_b32 s18, 0
.LBB288_365:
	s_delay_alu instid0(SALU_CYCLE_1)
	s_and_not1_b32 vcc_lo, exec_lo, s18
	s_cbranch_vccnz .LBB288_374
; %bb.366:
	v_cmp_gt_i16_e32 vcc_lo, 6, v3
	s_mov_b32 s18, -1
	s_cbranch_vccnz .LBB288_372
; %bb.367:
	v_cmp_lt_i16_e32 vcc_lo, 6, v3
	s_cbranch_vccz .LBB288_369
; %bb.368:
	v_bfe_i32 v4, v2, 0, 16
	s_mov_b32 s18, 0
	s_delay_alu instid0(VALU_DEP_1)
	v_cvt_f64_i32_e32 v[4:5], v4
	global_store_b64 v[0:1], v[4:5], off
.LBB288_369:
	s_and_not1_b32 vcc_lo, exec_lo, s18
	s_cbranch_vccnz .LBB288_371
; %bb.370:
	v_bfe_i32 v4, v2, 0, 16
	s_delay_alu instid0(VALU_DEP_1)
	v_cvt_f32_i32_e32 v4, v4
	global_store_b32 v[0:1], v4, off
.LBB288_371:
	s_mov_b32 s18, 0
.LBB288_372:
	s_delay_alu instid0(SALU_CYCLE_1)
	s_and_not1_b32 vcc_lo, exec_lo, s18
	s_cbranch_vccnz .LBB288_374
; %bb.373:
	v_cvt_f16_i16_e32 v4, v2
	global_store_b16 v[0:1], v4, off
.LBB288_374:
	s_mov_b32 s18, 0
.LBB288_375:
	s_delay_alu instid0(SALU_CYCLE_1)
	s_and_not1_b32 vcc_lo, exec_lo, s18
	s_cbranch_vccnz .LBB288_391
; %bb.376:
	v_cmp_gt_i16_e32 vcc_lo, 2, v3
	s_mov_b32 s18, -1
	s_cbranch_vccnz .LBB288_386
; %bb.377:
	v_cmp_gt_i16_e32 vcc_lo, 3, v3
	s_cbranch_vccnz .LBB288_383
; %bb.378:
	v_cmp_lt_i16_e32 vcc_lo, 3, v3
	s_cbranch_vccz .LBB288_380
; %bb.379:
	v_bfe_i32 v4, v2, 0, 16
	s_mov_b32 s18, 0
	s_delay_alu instid0(VALU_DEP_1)
	v_ashrrev_i32_e32 v5, 31, v4
	global_store_b64 v[0:1], v[4:5], off
.LBB288_380:
	s_and_not1_b32 vcc_lo, exec_lo, s18
	s_cbranch_vccnz .LBB288_382
; %bb.381:
	v_bfe_i32 v4, v2, 0, 16
	global_store_b32 v[0:1], v4, off
.LBB288_382:
	s_mov_b32 s18, 0
.LBB288_383:
	s_delay_alu instid0(SALU_CYCLE_1)
	s_and_not1_b32 vcc_lo, exec_lo, s18
	s_cbranch_vccnz .LBB288_385
; %bb.384:
	global_store_b16 v[0:1], v2, off
.LBB288_385:
	s_mov_b32 s18, 0
.LBB288_386:
	s_delay_alu instid0(SALU_CYCLE_1)
	s_and_not1_b32 vcc_lo, exec_lo, s18
	s_cbranch_vccnz .LBB288_391
; %bb.387:
	v_cmp_lt_i16_e32 vcc_lo, 0, v3
	s_mov_b32 s18, -1
	s_cbranch_vccz .LBB288_389
; %bb.388:
	s_mov_b32 s18, 0
	global_store_b8 v[0:1], v2, off
.LBB288_389:
	s_and_not1_b32 vcc_lo, exec_lo, s18
	s_cbranch_vccnz .LBB288_391
; %bb.390:
	global_store_b8 v[0:1], v2, off
.LBB288_391:
	s_mov_b32 s18, -1
.LBB288_392:
	s_delay_alu instid0(SALU_CYCLE_1)
	s_and_not1_b32 vcc_lo, exec_lo, s18
	s_cbranch_vccnz .LBB288_394
; %bb.393:
	v_add_nc_u32_e32 v9, 0x80, v9
	s_mov_b32 s20, -1
	s_branch .LBB288_503
.LBB288_394:
	s_mov_b32 s20, 0
	s_branch .LBB288_502
.LBB288_395:
	s_mov_b32 s17, -1
                                        ; implicit-def: $vgpr2
.LBB288_396:
	s_mov_b32 s18, 0
.LBB288_397:
	s_delay_alu instid0(SALU_CYCLE_1)
	s_and_b32 vcc_lo, exec_lo, s18
	s_cbranch_vccz .LBB288_401
; %bb.398:
	v_cmp_eq_u16_e64 s17, s10, 29
	s_delay_alu instid0(VALU_DEP_1)
	s_and_b32 vcc_lo, exec_lo, s17
	s_cbranch_vccz .LBB288_400
; %bb.399:
	global_load_b64 v[2:3], v[0:1], off
	s_mov_b32 s0, -1
	s_mov_b32 s17, 0
	s_branch .LBB288_401
.LBB288_400:
	s_mov_b32 s17, -1
                                        ; implicit-def: $vgpr2
.LBB288_401:
	s_mov_b32 s18, 0
.LBB288_402:
	s_delay_alu instid0(SALU_CYCLE_1)
	s_and_b32 vcc_lo, exec_lo, s18
	s_cbranch_vccz .LBB288_418
; %bb.403:
	v_cmp_lt_i16_e64 s0, s10, 27
	s_delay_alu instid0(VALU_DEP_1)
	s_and_b32 vcc_lo, exec_lo, s0
	s_cbranch_vccnz .LBB288_406
; %bb.404:
	v_cmp_gt_i16_e64 s0, s10, 27
	s_delay_alu instid0(VALU_DEP_1)
	s_and_b32 vcc_lo, exec_lo, s0
	s_cbranch_vccz .LBB288_407
; %bb.405:
	global_load_b32 v2, v[0:1], off
	s_mov_b32 s0, 0
	s_branch .LBB288_408
.LBB288_406:
	s_mov_b32 s0, -1
                                        ; implicit-def: $vgpr2
	s_branch .LBB288_411
.LBB288_407:
	s_mov_b32 s0, -1
                                        ; implicit-def: $vgpr2
.LBB288_408:
	s_delay_alu instid0(SALU_CYCLE_1)
	s_and_not1_b32 vcc_lo, exec_lo, s0
	s_cbranch_vccnz .LBB288_410
; %bb.409:
	global_load_u16 v2, v[0:1], off
.LBB288_410:
	s_mov_b32 s0, 0
.LBB288_411:
	s_delay_alu instid0(SALU_CYCLE_1)
	s_and_not1_b32 vcc_lo, exec_lo, s0
	s_cbranch_vccnz .LBB288_417
; %bb.412:
	global_load_u8 v3, v[0:1], off
	s_mov_b32 s0, 0
	s_mov_b32 s18, exec_lo
                                        ; implicit-def: $sgpr20
	s_waitcnt vmcnt(0)
	v_cmpx_lt_i16_e32 0x7f, v3
	s_xor_b32 s18, exec_lo, s18
	s_cbranch_execz .LBB288_429
; %bb.413:
	v_cmp_ne_u16_e32 vcc_lo, 0x80, v3
	s_mov_b32 s20, 0
	s_and_b32 s0, vcc_lo, exec_lo
	s_or_saveexec_b32 s18, s18
	v_mov_b32_e32 v2, s20
	s_xor_b32 exec_lo, exec_lo, s18
	s_cbranch_execnz .LBB288_430
.LBB288_414:
	s_or_b32 exec_lo, exec_lo, s18
	s_and_saveexec_b32 s18, s0
	s_cbranch_execz .LBB288_416
.LBB288_415:
	v_and_b32_e32 v2, 0xffff, v3
	s_delay_alu instid0(VALU_DEP_1) | instskip(NEXT) | instid1(VALU_DEP_1)
	v_and_b32_e32 v4, 7, v2
	v_clz_i32_u32_e32 v5, v4
	s_delay_alu instid0(VALU_DEP_1) | instskip(NEXT) | instid1(VALU_DEP_1)
	v_min_u32_e32 v5, 32, v5
	v_subrev_nc_u32_e32 v6, 28, v5
	v_sub_nc_u32_e32 v5, 29, v5
	s_delay_alu instid0(VALU_DEP_2) | instskip(SKIP_1) | instid1(VALU_DEP_2)
	v_lshlrev_b32_e32 v6, v6, v2
	v_bfe_u32 v2, v2, 3, 4
	v_and_b32_e32 v6, 7, v6
	s_delay_alu instid0(VALU_DEP_2) | instskip(SKIP_1) | instid1(VALU_DEP_1)
	v_cmp_eq_u32_e32 vcc_lo, 0, v2
	v_dual_cndmask_b32 v2, v2, v5 :: v_dual_lshlrev_b32 v3, 24, v3
	v_dual_cndmask_b32 v4, v4, v6 :: v_dual_and_b32 v3, 0x80000000, v3
	s_delay_alu instid0(VALU_DEP_2) | instskip(NEXT) | instid1(VALU_DEP_2)
	v_lshl_add_u32 v2, v2, 23, 0x3b800000
	v_lshlrev_b32_e32 v4, 20, v4
	s_delay_alu instid0(VALU_DEP_1) | instskip(NEXT) | instid1(VALU_DEP_1)
	v_or3_b32 v2, v3, v2, v4
	v_cvt_i32_f32_e32 v2, v2
.LBB288_416:
	s_or_b32 exec_lo, exec_lo, s18
.LBB288_417:
	s_mov_b32 s0, -1
.LBB288_418:
	s_mov_b32 s18, 0
.LBB288_419:
	s_delay_alu instid0(SALU_CYCLE_1)
	s_and_b32 vcc_lo, exec_lo, s18
	s_cbranch_vccz .LBB288_452
; %bb.420:
	v_cmp_gt_i16_e64 s18, s10, 22
	s_delay_alu instid0(VALU_DEP_1)
	s_and_b32 vcc_lo, exec_lo, s18
	s_cbranch_vccz .LBB288_428
; %bb.421:
	v_cmp_lt_i16_e64 s0, s10, 24
	s_delay_alu instid0(VALU_DEP_1)
	s_and_b32 vcc_lo, exec_lo, s0
	s_cbranch_vccnz .LBB288_431
; %bb.422:
	v_cmp_gt_i16_e64 s0, s10, 24
	s_delay_alu instid0(VALU_DEP_1)
	s_and_b32 vcc_lo, exec_lo, s0
	s_cbranch_vccz .LBB288_432
; %bb.423:
	global_load_u8 v3, v[0:1], off
	s_mov_b32 s0, 0
	s_mov_b32 s18, exec_lo
                                        ; implicit-def: $sgpr20
	s_waitcnt vmcnt(0)
	v_cmpx_lt_i16_e32 0x7f, v3
	s_xor_b32 s18, exec_lo, s18
	s_cbranch_execz .LBB288_444
; %bb.424:
	v_cmp_ne_u16_e32 vcc_lo, 0x80, v3
	s_mov_b32 s20, 0
	s_and_b32 s0, vcc_lo, exec_lo
	s_or_saveexec_b32 s18, s18
	v_mov_b32_e32 v2, s20
	s_xor_b32 exec_lo, exec_lo, s18
	s_cbranch_execnz .LBB288_445
.LBB288_425:
	s_or_b32 exec_lo, exec_lo, s18
	s_and_saveexec_b32 s18, s0
	s_cbranch_execz .LBB288_427
.LBB288_426:
	v_and_b32_e32 v2, 0xffff, v3
	s_delay_alu instid0(VALU_DEP_1) | instskip(NEXT) | instid1(VALU_DEP_1)
	v_and_b32_e32 v4, 3, v2
	v_clz_i32_u32_e32 v5, v4
	s_delay_alu instid0(VALU_DEP_1) | instskip(NEXT) | instid1(VALU_DEP_1)
	v_min_u32_e32 v5, 32, v5
	v_subrev_nc_u32_e32 v6, 29, v5
	v_sub_nc_u32_e32 v5, 30, v5
	s_delay_alu instid0(VALU_DEP_2) | instskip(SKIP_1) | instid1(VALU_DEP_2)
	v_lshlrev_b32_e32 v6, v6, v2
	v_bfe_u32 v2, v2, 2, 5
	v_and_b32_e32 v6, 3, v6
	s_delay_alu instid0(VALU_DEP_2) | instskip(SKIP_1) | instid1(VALU_DEP_1)
	v_cmp_eq_u32_e32 vcc_lo, 0, v2
	v_dual_cndmask_b32 v2, v2, v5 :: v_dual_lshlrev_b32 v3, 24, v3
	v_dual_cndmask_b32 v4, v4, v6 :: v_dual_and_b32 v3, 0x80000000, v3
	s_delay_alu instid0(VALU_DEP_2) | instskip(NEXT) | instid1(VALU_DEP_2)
	v_lshl_add_u32 v2, v2, 23, 0x37800000
	v_lshlrev_b32_e32 v4, 21, v4
	s_delay_alu instid0(VALU_DEP_1) | instskip(NEXT) | instid1(VALU_DEP_1)
	v_or3_b32 v2, v3, v2, v4
	v_cvt_i32_f32_e32 v2, v2
.LBB288_427:
	s_or_b32 exec_lo, exec_lo, s18
	s_mov_b32 s0, 0
	s_branch .LBB288_433
.LBB288_428:
	s_mov_b32 s18, -1
                                        ; implicit-def: $vgpr2
	s_branch .LBB288_439
.LBB288_429:
	s_or_saveexec_b32 s18, s18
	v_mov_b32_e32 v2, s20
	s_xor_b32 exec_lo, exec_lo, s18
	s_cbranch_execz .LBB288_414
.LBB288_430:
	v_cmp_ne_u16_e32 vcc_lo, 0, v3
	v_mov_b32_e32 v2, 0
	s_and_not1_b32 s0, s0, exec_lo
	s_and_b32 s20, vcc_lo, exec_lo
	s_delay_alu instid0(SALU_CYCLE_1)
	s_or_b32 s0, s0, s20
	s_or_b32 exec_lo, exec_lo, s18
	s_and_saveexec_b32 s18, s0
	s_cbranch_execnz .LBB288_415
	s_branch .LBB288_416
.LBB288_431:
	s_mov_b32 s0, -1
                                        ; implicit-def: $vgpr2
	s_branch .LBB288_436
.LBB288_432:
	s_mov_b32 s0, -1
                                        ; implicit-def: $vgpr2
.LBB288_433:
	s_delay_alu instid0(SALU_CYCLE_1)
	s_and_b32 vcc_lo, exec_lo, s0
	s_cbranch_vccz .LBB288_435
; %bb.434:
	global_load_u8 v2, v[0:1], off
	s_waitcnt vmcnt(0)
	v_lshlrev_b32_e32 v2, 24, v2
	s_delay_alu instid0(VALU_DEP_1) | instskip(NEXT) | instid1(VALU_DEP_1)
	v_and_b32_e32 v3, 0x7f000000, v2
	v_clz_i32_u32_e32 v4, v3
	v_add_nc_u32_e32 v6, 0x1000000, v3
	v_cmp_ne_u32_e32 vcc_lo, 0, v3
	s_delay_alu instid0(VALU_DEP_3) | instskip(NEXT) | instid1(VALU_DEP_1)
	v_min_u32_e32 v4, 32, v4
	v_sub_nc_u32_e64 v4, v4, 4 clamp
	s_delay_alu instid0(VALU_DEP_1) | instskip(SKIP_1) | instid1(VALU_DEP_2)
	v_lshlrev_b32_e32 v5, v4, v3
	v_lshlrev_b32_e32 v4, 23, v4
	v_lshrrev_b32_e32 v5, 4, v5
	s_delay_alu instid0(VALU_DEP_1) | instskip(SKIP_1) | instid1(VALU_DEP_2)
	v_sub_nc_u32_e32 v4, v5, v4
	v_ashrrev_i32_e32 v5, 8, v6
	v_add_nc_u32_e32 v4, 0x3c000000, v4
	s_delay_alu instid0(VALU_DEP_1) | instskip(NEXT) | instid1(VALU_DEP_1)
	v_and_or_b32 v4, 0x7f800000, v5, v4
	v_cndmask_b32_e32 v3, 0, v4, vcc_lo
	s_delay_alu instid0(VALU_DEP_1) | instskip(NEXT) | instid1(VALU_DEP_1)
	v_and_or_b32 v2, 0x80000000, v2, v3
	v_cvt_i32_f32_e32 v2, v2
.LBB288_435:
	s_mov_b32 s0, 0
.LBB288_436:
	s_delay_alu instid0(SALU_CYCLE_1)
	s_and_not1_b32 vcc_lo, exec_lo, s0
	s_cbranch_vccnz .LBB288_438
; %bb.437:
	global_load_u8 v2, v[0:1], off
	s_waitcnt vmcnt(0)
	v_lshlrev_b32_e32 v3, 25, v2
	v_lshlrev_b16 v2, 8, v2
	s_delay_alu instid0(VALU_DEP_2) | instskip(NEXT) | instid1(VALU_DEP_2)
	v_lshrrev_b32_e32 v4, 4, v3
	v_and_or_b32 v5, 0x7f00, v2, 0.5
	v_bfe_i32 v2, v2, 0, 16
	s_delay_alu instid0(VALU_DEP_3) | instskip(NEXT) | instid1(VALU_DEP_1)
	v_or_b32_e32 v4, 0x70000000, v4
	v_dual_add_f32 v5, -0.5, v5 :: v_dual_mul_f32 v4, 0x7800000, v4
	v_cmp_gt_u32_e32 vcc_lo, 0x8000000, v3
	s_delay_alu instid0(VALU_DEP_2) | instskip(NEXT) | instid1(VALU_DEP_1)
	v_cndmask_b32_e32 v3, v4, v5, vcc_lo
	v_and_or_b32 v2, 0x80000000, v2, v3
	s_delay_alu instid0(VALU_DEP_1)
	v_cvt_i32_f32_e32 v2, v2
.LBB288_438:
	s_mov_b32 s18, 0
	s_mov_b32 s0, -1
.LBB288_439:
	s_and_not1_b32 vcc_lo, exec_lo, s18
	s_cbranch_vccnz .LBB288_452
; %bb.440:
	v_cmp_gt_i16_e64 s18, s10, 14
	s_delay_alu instid0(VALU_DEP_1)
	s_and_b32 vcc_lo, exec_lo, s18
	s_cbranch_vccz .LBB288_443
; %bb.441:
	v_cmp_eq_u16_e64 s17, s10, 15
	s_delay_alu instid0(VALU_DEP_1)
	s_and_b32 vcc_lo, exec_lo, s17
	s_cbranch_vccz .LBB288_446
; %bb.442:
	global_load_u16 v2, v[0:1], off
	s_mov_b32 s0, -1
	s_mov_b32 s17, 0
	s_waitcnt vmcnt(0)
	v_lshlrev_b32_e32 v2, 16, v2
	s_delay_alu instid0(VALU_DEP_1)
	v_cvt_i32_f32_e32 v2, v2
	s_branch .LBB288_447
.LBB288_443:
	s_mov_b32 s18, -1
                                        ; implicit-def: $vgpr2
	s_branch .LBB288_448
.LBB288_444:
	s_or_saveexec_b32 s18, s18
	v_mov_b32_e32 v2, s20
	s_xor_b32 exec_lo, exec_lo, s18
	s_cbranch_execz .LBB288_425
.LBB288_445:
	v_cmp_ne_u16_e32 vcc_lo, 0, v3
	v_mov_b32_e32 v2, 0
	s_and_not1_b32 s0, s0, exec_lo
	s_and_b32 s20, vcc_lo, exec_lo
	s_delay_alu instid0(SALU_CYCLE_1)
	s_or_b32 s0, s0, s20
	s_or_b32 exec_lo, exec_lo, s18
	s_and_saveexec_b32 s18, s0
	s_cbranch_execnz .LBB288_426
	s_branch .LBB288_427
.LBB288_446:
	s_mov_b32 s17, -1
                                        ; implicit-def: $vgpr2
.LBB288_447:
	s_mov_b32 s18, 0
.LBB288_448:
	s_delay_alu instid0(SALU_CYCLE_1)
	s_and_b32 vcc_lo, exec_lo, s18
	s_cbranch_vccz .LBB288_452
; %bb.449:
	v_cmp_eq_u16_e64 s17, s10, 11
	s_delay_alu instid0(VALU_DEP_1)
	s_and_b32 vcc_lo, exec_lo, s17
	s_cbranch_vccz .LBB288_451
; %bb.450:
	global_load_u8 v2, v[0:1], off
	s_mov_b32 s17, 0
	s_mov_b32 s0, -1
	s_waitcnt vmcnt(0)
	v_cmp_ne_u16_e32 vcc_lo, 0, v2
	v_cndmask_b32_e64 v2, 0, 1, vcc_lo
	s_branch .LBB288_452
.LBB288_451:
	s_mov_b32 s17, -1
                                        ; implicit-def: $vgpr2
.LBB288_452:
	s_branch .LBB288_258
.LBB288_453:
	v_cmp_lt_i16_e64 s0, s10, 5
	s_delay_alu instid0(VALU_DEP_1)
	s_and_b32 vcc_lo, exec_lo, s0
	s_cbranch_vccnz .LBB288_458
; %bb.454:
	v_cmp_lt_i16_e64 s0, s10, 8
	s_delay_alu instid0(VALU_DEP_1)
	s_and_b32 vcc_lo, exec_lo, s0
	s_cbranch_vccnz .LBB288_459
; %bb.455:
	;; [unrolled: 5-line block ×3, first 2 shown]
	v_cmp_gt_i16_e64 s0, s10, 9
	s_delay_alu instid0(VALU_DEP_1)
	s_and_b32 vcc_lo, exec_lo, s0
	s_cbranch_vccz .LBB288_461
; %bb.457:
	global_load_b64 v[2:3], v[0:1], off
	s_mov_b32 s0, 0
	s_waitcnt vmcnt(0)
	v_cvt_i32_f64_e32 v2, v[2:3]
	s_branch .LBB288_462
.LBB288_458:
	s_mov_b32 s0, -1
                                        ; implicit-def: $vgpr2
	s_branch .LBB288_480
.LBB288_459:
	s_mov_b32 s0, -1
                                        ; implicit-def: $vgpr2
	s_branch .LBB288_468
.LBB288_460:
	s_mov_b32 s0, -1
                                        ; implicit-def: $vgpr2
	s_branch .LBB288_465
.LBB288_461:
	s_mov_b32 s0, -1
                                        ; implicit-def: $vgpr2
.LBB288_462:
	s_delay_alu instid0(SALU_CYCLE_1)
	s_and_not1_b32 vcc_lo, exec_lo, s0
	s_cbranch_vccnz .LBB288_464
; %bb.463:
	global_load_b32 v2, v[0:1], off
	s_waitcnt vmcnt(0)
	v_cvt_i32_f32_e32 v2, v2
.LBB288_464:
	s_mov_b32 s0, 0
.LBB288_465:
	s_delay_alu instid0(SALU_CYCLE_1)
	s_and_not1_b32 vcc_lo, exec_lo, s0
	s_cbranch_vccnz .LBB288_467
; %bb.466:
	global_load_b32 v2, v[0:1], off
	s_waitcnt vmcnt(0)
	v_cvt_i16_f16_e32 v2, v2
.LBB288_467:
	s_mov_b32 s0, 0
.LBB288_468:
	s_delay_alu instid0(SALU_CYCLE_1)
	s_and_not1_b32 vcc_lo, exec_lo, s0
	s_cbranch_vccnz .LBB288_479
; %bb.469:
	v_cmp_lt_i16_e64 s0, s10, 6
	s_delay_alu instid0(VALU_DEP_1)
	s_and_b32 vcc_lo, exec_lo, s0
	s_cbranch_vccnz .LBB288_472
; %bb.470:
	v_cmp_gt_i16_e64 s0, s10, 6
	s_delay_alu instid0(VALU_DEP_1)
	s_and_b32 vcc_lo, exec_lo, s0
	s_cbranch_vccz .LBB288_473
; %bb.471:
	global_load_b64 v[2:3], v[0:1], off
	s_mov_b32 s0, 0
	s_waitcnt vmcnt(0)
	v_cvt_i32_f64_e32 v2, v[2:3]
	s_branch .LBB288_474
.LBB288_472:
	s_mov_b32 s0, -1
                                        ; implicit-def: $vgpr2
	s_branch .LBB288_477
.LBB288_473:
	s_mov_b32 s0, -1
                                        ; implicit-def: $vgpr2
.LBB288_474:
	s_delay_alu instid0(SALU_CYCLE_1)
	s_and_not1_b32 vcc_lo, exec_lo, s0
	s_cbranch_vccnz .LBB288_476
; %bb.475:
	global_load_b32 v2, v[0:1], off
	s_waitcnt vmcnt(0)
	v_cvt_i32_f32_e32 v2, v2
.LBB288_476:
	s_mov_b32 s0, 0
.LBB288_477:
	s_delay_alu instid0(SALU_CYCLE_1)
	s_and_not1_b32 vcc_lo, exec_lo, s0
	s_cbranch_vccnz .LBB288_479
; %bb.478:
	global_load_u16 v2, v[0:1], off
	s_waitcnt vmcnt(0)
	v_cvt_i16_f16_e32 v2, v2
.LBB288_479:
	s_mov_b32 s0, 0
.LBB288_480:
	s_delay_alu instid0(SALU_CYCLE_1)
	s_and_not1_b32 vcc_lo, exec_lo, s0
	s_cbranch_vccnz .LBB288_500
; %bb.481:
	v_cmp_lt_i16_e64 s0, s10, 2
	s_delay_alu instid0(VALU_DEP_1)
	s_and_b32 vcc_lo, exec_lo, s0
	s_cbranch_vccnz .LBB288_485
; %bb.482:
	v_cmp_lt_i16_e64 s0, s10, 3
	s_delay_alu instid0(VALU_DEP_1)
	s_and_b32 vcc_lo, exec_lo, s0
	s_cbranch_vccnz .LBB288_486
; %bb.483:
	v_cmp_gt_i16_e64 s0, s10, 3
	s_delay_alu instid0(VALU_DEP_1)
	s_and_b32 vcc_lo, exec_lo, s0
	s_cbranch_vccz .LBB288_487
; %bb.484:
	global_load_b64 v[2:3], v[0:1], off
	s_mov_b32 s0, 0
	s_branch .LBB288_488
.LBB288_485:
	s_mov_b32 s0, -1
                                        ; implicit-def: $vgpr2
	s_branch .LBB288_494
.LBB288_486:
	s_mov_b32 s0, -1
                                        ; implicit-def: $vgpr2
	s_branch .LBB288_491
.LBB288_487:
	s_mov_b32 s0, -1
                                        ; implicit-def: $vgpr2
.LBB288_488:
	s_delay_alu instid0(SALU_CYCLE_1)
	s_and_not1_b32 vcc_lo, exec_lo, s0
	s_cbranch_vccnz .LBB288_490
; %bb.489:
	global_load_b32 v2, v[0:1], off
.LBB288_490:
	s_mov_b32 s0, 0
.LBB288_491:
	s_delay_alu instid0(SALU_CYCLE_1)
	s_and_not1_b32 vcc_lo, exec_lo, s0
	s_cbranch_vccnz .LBB288_493
; %bb.492:
	global_load_u16 v2, v[0:1], off
.LBB288_493:
	s_mov_b32 s0, 0
.LBB288_494:
	s_delay_alu instid0(SALU_CYCLE_1)
	s_and_not1_b32 vcc_lo, exec_lo, s0
	s_cbranch_vccnz .LBB288_500
; %bb.495:
	v_cmp_gt_i16_e64 s0, s10, 0
	s_delay_alu instid0(VALU_DEP_1)
	s_and_b32 vcc_lo, exec_lo, s0
	s_mov_b32 s0, 0
	s_cbranch_vccz .LBB288_497
; %bb.496:
	global_load_u8 v2, v[0:1], off
	s_branch .LBB288_498
.LBB288_497:
	s_mov_b32 s0, -1
                                        ; implicit-def: $vgpr2
.LBB288_498:
	s_delay_alu instid0(SALU_CYCLE_1)
	s_and_not1_b32 vcc_lo, exec_lo, s0
	s_cbranch_vccnz .LBB288_500
; %bb.499:
	global_load_u8 v2, v[0:1], off
.LBB288_500:
	s_branch .LBB288_259
.LBB288_501:
	s_mov_b32 s20, 0
	s_mov_b32 s0, s13
.LBB288_502:
                                        ; implicit-def: $vgpr9
.LBB288_503:
	s_and_not1_b32 s18, s13, exec_lo
	s_and_b32 s0, s0, exec_lo
	s_and_not1_b32 s21, s15, exec_lo
	s_and_b32 s17, s17, exec_lo
	s_or_b32 s18, s18, s0
	s_or_b32 s17, s21, s17
	s_or_not1_b32 s0, s20, exec_lo
.LBB288_504:
	s_or_b32 exec_lo, exec_lo, s19
	s_mov_b32 s20, 0
	s_mov_b32 s21, 0
	;; [unrolled: 1-line block ×3, first 2 shown]
                                        ; implicit-def: $vgpr0_vgpr1
                                        ; implicit-def: $vgpr2
	s_and_saveexec_b32 s19, s0
	s_cbranch_execz .LBB288_843
; %bb.505:
	s_mov_b32 s22, -1
	s_mov_b32 s0, s17
	s_mov_b32 s21, s18
	s_mov_b32 s20, exec_lo
	v_cmpx_gt_i32_e64 s14, v9
	s_cbranch_execz .LBB288_761
; %bb.506:
	v_mul_lo_u32 v0, v9, s3
	v_cmp_lt_i16_e64 s0, s10, 11
	s_delay_alu instid0(VALU_DEP_2) | instskip(SKIP_1) | instid1(VALU_DEP_2)
	v_ashrrev_i32_e32 v1, 31, v0
	v_add_co_u32 v0, vcc_lo, s6, v0
	v_add_co_ci_u32_e32 v1, vcc_lo, s7, v1, vcc_lo
	s_delay_alu instid0(VALU_DEP_4)
	s_and_b32 vcc_lo, exec_lo, s0
	s_cbranch_vccnz .LBB288_513
; %bb.507:
	v_cmp_gt_i16_e64 s0, s10, 25
	s_delay_alu instid0(VALU_DEP_1)
	s_and_b32 vcc_lo, exec_lo, s0
	s_cbranch_vccz .LBB288_514
; %bb.508:
	v_cmp_gt_i16_e64 s0, s10, 28
	s_delay_alu instid0(VALU_DEP_1)
	s_and_b32 vcc_lo, exec_lo, s0
	s_cbranch_vccz .LBB288_515
	;; [unrolled: 5-line block ×4, first 2 shown]
; %bb.511:
	v_cmp_eq_u16_e64 s0, s10, 46
	s_mov_b32 s22, 0
	s_delay_alu instid0(VALU_DEP_1)
	s_and_b32 vcc_lo, exec_lo, s0
	s_cbranch_vccz .LBB288_522
; %bb.512:
	global_load_b32 v2, v[0:1], off
	s_mov_b32 s0, -1
	s_mov_b32 s21, 0
	s_waitcnt vmcnt(0)
	v_lshlrev_b32_e32 v2, 16, v2
	s_delay_alu instid0(VALU_DEP_1)
	v_cvt_i32_f32_e32 v2, v2
	s_branch .LBB288_524
.LBB288_513:
	s_mov_b32 s0, 0
	s_mov_b32 s21, s17
                                        ; implicit-def: $vgpr2
	s_branch .LBB288_585
.LBB288_514:
	s_mov_b32 s0, 0
	s_mov_b32 s21, s17
                                        ; implicit-def: $vgpr2
	s_branch .LBB288_551
.LBB288_515:
	s_mov_b32 s0, 0
	s_mov_b32 s21, s17
                                        ; implicit-def: $vgpr2
	s_branch .LBB288_534
.LBB288_516:
	s_mov_b32 s0, 0
	s_mov_b32 s21, s17
                                        ; implicit-def: $vgpr2
	s_branch .LBB288_529
.LBB288_517:
	s_or_saveexec_b32 s21, s21
                                        ; implicit-def: $sgpr22
	s_delay_alu instid0(SALU_CYCLE_1)
	s_xor_b32 exec_lo, exec_lo, s21
	s_cbranch_execz .LBB288_305
.LBB288_518:
	v_add_f32_e64 v5, 0x46000000, |v4|
	s_and_not1_b32 s20, s20, exec_lo
	s_mov_b32 s22, 0
	s_delay_alu instid0(VALU_DEP_1) | instskip(NEXT) | instid1(VALU_DEP_1)
	v_and_b32_e32 v5, 0xff, v5
	v_cmp_ne_u32_e32 vcc_lo, 0, v5
	s_and_b32 s23, vcc_lo, exec_lo
	s_delay_alu instid0(SALU_CYCLE_1)
	s_or_b32 s20, s20, s23
	s_or_b32 exec_lo, exec_lo, s21
	v_mov_b32_e32 v6, s22
	s_and_saveexec_b32 s21, s20
	s_cbranch_execnz .LBB288_306
	s_branch .LBB288_307
.LBB288_519:
	s_mov_b32 s0, 0
	s_mov_b32 s21, s17
	s_branch .LBB288_523
.LBB288_520:
	s_or_saveexec_b32 s21, s21
                                        ; implicit-def: $sgpr22
	s_delay_alu instid0(SALU_CYCLE_1)
	s_xor_b32 exec_lo, exec_lo, s21
	s_cbranch_execz .LBB288_318
.LBB288_521:
	v_add_f32_e64 v5, 0x42800000, |v4|
	s_and_not1_b32 s20, s20, exec_lo
	s_mov_b32 s22, 0
	s_delay_alu instid0(VALU_DEP_1) | instskip(NEXT) | instid1(VALU_DEP_1)
	v_and_b32_e32 v5, 0xff, v5
	v_cmp_ne_u32_e32 vcc_lo, 0, v5
	s_and_b32 s23, vcc_lo, exec_lo
	s_delay_alu instid0(SALU_CYCLE_1)
	s_or_b32 s20, s20, s23
	s_or_b32 exec_lo, exec_lo, s21
	v_mov_b32_e32 v6, s22
	s_and_saveexec_b32 s21, s20
	s_cbranch_execnz .LBB288_319
	s_branch .LBB288_320
.LBB288_522:
	s_mov_b32 s21, -1
	s_mov_b32 s0, 0
.LBB288_523:
                                        ; implicit-def: $vgpr2
.LBB288_524:
	s_and_b32 vcc_lo, exec_lo, s22
	s_cbranch_vccz .LBB288_528
; %bb.525:
	v_cmp_eq_u16_e64 s21, s10, 44
	s_delay_alu instid0(VALU_DEP_1)
	s_and_b32 vcc_lo, exec_lo, s21
	s_cbranch_vccz .LBB288_527
; %bb.526:
	global_load_u8 v2, v[0:1], off
	s_mov_b32 s21, 0
	s_mov_b32 s0, -1
	s_waitcnt vmcnt(0)
	v_lshlrev_b32_e32 v3, 23, v2
	v_cmp_ne_u32_e32 vcc_lo, 0, v2
	s_delay_alu instid0(VALU_DEP_2) | instskip(NEXT) | instid1(VALU_DEP_1)
	v_cvt_i32_f32_e32 v3, v3
	v_cndmask_b32_e32 v2, 0, v3, vcc_lo
	s_branch .LBB288_528
.LBB288_527:
	s_mov_b32 s21, -1
                                        ; implicit-def: $vgpr2
.LBB288_528:
	s_mov_b32 s22, 0
.LBB288_529:
	s_delay_alu instid0(SALU_CYCLE_1)
	s_and_b32 vcc_lo, exec_lo, s22
	s_cbranch_vccz .LBB288_533
; %bb.530:
	v_cmp_eq_u16_e64 s21, s10, 29
	s_delay_alu instid0(VALU_DEP_1)
	s_and_b32 vcc_lo, exec_lo, s21
	s_cbranch_vccz .LBB288_532
; %bb.531:
	global_load_b64 v[2:3], v[0:1], off
	s_mov_b32 s0, -1
	s_mov_b32 s21, 0
	s_branch .LBB288_533
.LBB288_532:
	s_mov_b32 s21, -1
                                        ; implicit-def: $vgpr2
.LBB288_533:
	s_mov_b32 s22, 0
.LBB288_534:
	s_delay_alu instid0(SALU_CYCLE_1)
	s_and_b32 vcc_lo, exec_lo, s22
	s_cbranch_vccz .LBB288_550
; %bb.535:
	v_cmp_lt_i16_e64 s0, s10, 27
	s_delay_alu instid0(VALU_DEP_1)
	s_and_b32 vcc_lo, exec_lo, s0
	s_cbranch_vccnz .LBB288_538
; %bb.536:
	v_cmp_gt_i16_e64 s0, s10, 27
	s_delay_alu instid0(VALU_DEP_1)
	s_and_b32 vcc_lo, exec_lo, s0
	s_cbranch_vccz .LBB288_539
; %bb.537:
	global_load_b32 v2, v[0:1], off
	s_mov_b32 s0, 0
	s_branch .LBB288_540
.LBB288_538:
	s_mov_b32 s0, -1
                                        ; implicit-def: $vgpr2
	s_branch .LBB288_543
.LBB288_539:
	s_mov_b32 s0, -1
                                        ; implicit-def: $vgpr2
.LBB288_540:
	s_delay_alu instid0(SALU_CYCLE_1)
	s_and_not1_b32 vcc_lo, exec_lo, s0
	s_cbranch_vccnz .LBB288_542
; %bb.541:
	global_load_u16 v2, v[0:1], off
.LBB288_542:
	s_mov_b32 s0, 0
.LBB288_543:
	s_delay_alu instid0(SALU_CYCLE_1)
	s_and_not1_b32 vcc_lo, exec_lo, s0
	s_cbranch_vccnz .LBB288_549
; %bb.544:
	global_load_u8 v3, v[0:1], off
	s_mov_b32 s0, 0
	s_mov_b32 s22, exec_lo
                                        ; implicit-def: $sgpr23
	s_waitcnt vmcnt(0)
	v_cmpx_lt_i16_e32 0x7f, v3
	s_xor_b32 s22, exec_lo, s22
	s_cbranch_execz .LBB288_561
; %bb.545:
	v_cmp_ne_u16_e32 vcc_lo, 0x80, v3
	s_mov_b32 s23, 0
	s_and_b32 s0, vcc_lo, exec_lo
	s_or_saveexec_b32 s22, s22
	v_mov_b32_e32 v2, s23
	s_xor_b32 exec_lo, exec_lo, s22
	s_cbranch_execnz .LBB288_562
.LBB288_546:
	s_or_b32 exec_lo, exec_lo, s22
	s_and_saveexec_b32 s22, s0
	s_cbranch_execz .LBB288_548
.LBB288_547:
	v_and_b32_e32 v2, 0xffff, v3
	s_delay_alu instid0(VALU_DEP_1) | instskip(NEXT) | instid1(VALU_DEP_1)
	v_and_b32_e32 v4, 7, v2
	v_clz_i32_u32_e32 v5, v4
	s_delay_alu instid0(VALU_DEP_1) | instskip(NEXT) | instid1(VALU_DEP_1)
	v_min_u32_e32 v5, 32, v5
	v_subrev_nc_u32_e32 v6, 28, v5
	v_sub_nc_u32_e32 v5, 29, v5
	s_delay_alu instid0(VALU_DEP_2) | instskip(SKIP_1) | instid1(VALU_DEP_2)
	v_lshlrev_b32_e32 v6, v6, v2
	v_bfe_u32 v2, v2, 3, 4
	v_and_b32_e32 v6, 7, v6
	s_delay_alu instid0(VALU_DEP_2) | instskip(SKIP_1) | instid1(VALU_DEP_1)
	v_cmp_eq_u32_e32 vcc_lo, 0, v2
	v_dual_cndmask_b32 v2, v2, v5 :: v_dual_lshlrev_b32 v3, 24, v3
	v_dual_cndmask_b32 v4, v4, v6 :: v_dual_and_b32 v3, 0x80000000, v3
	s_delay_alu instid0(VALU_DEP_2) | instskip(NEXT) | instid1(VALU_DEP_2)
	v_lshl_add_u32 v2, v2, 23, 0x3b800000
	v_lshlrev_b32_e32 v4, 20, v4
	s_delay_alu instid0(VALU_DEP_1) | instskip(NEXT) | instid1(VALU_DEP_1)
	v_or3_b32 v2, v3, v2, v4
	v_cvt_i32_f32_e32 v2, v2
.LBB288_548:
	s_or_b32 exec_lo, exec_lo, s22
.LBB288_549:
	s_mov_b32 s0, -1
.LBB288_550:
	s_mov_b32 s22, 0
.LBB288_551:
	s_delay_alu instid0(SALU_CYCLE_1)
	s_and_b32 vcc_lo, exec_lo, s22
	s_cbranch_vccz .LBB288_584
; %bb.552:
	v_cmp_gt_i16_e64 s22, s10, 22
	s_delay_alu instid0(VALU_DEP_1)
	s_and_b32 vcc_lo, exec_lo, s22
	s_cbranch_vccz .LBB288_560
; %bb.553:
	v_cmp_lt_i16_e64 s0, s10, 24
	s_delay_alu instid0(VALU_DEP_1)
	s_and_b32 vcc_lo, exec_lo, s0
	s_cbranch_vccnz .LBB288_563
; %bb.554:
	v_cmp_gt_i16_e64 s0, s10, 24
	s_delay_alu instid0(VALU_DEP_1)
	s_and_b32 vcc_lo, exec_lo, s0
	s_cbranch_vccz .LBB288_564
; %bb.555:
	global_load_u8 v3, v[0:1], off
	s_mov_b32 s0, 0
	s_mov_b32 s22, exec_lo
                                        ; implicit-def: $sgpr23
	s_waitcnt vmcnt(0)
	v_cmpx_lt_i16_e32 0x7f, v3
	s_xor_b32 s22, exec_lo, s22
	s_cbranch_execz .LBB288_576
; %bb.556:
	v_cmp_ne_u16_e32 vcc_lo, 0x80, v3
	s_mov_b32 s23, 0
	s_and_b32 s0, vcc_lo, exec_lo
	s_or_saveexec_b32 s22, s22
	v_mov_b32_e32 v2, s23
	s_xor_b32 exec_lo, exec_lo, s22
	s_cbranch_execnz .LBB288_577
.LBB288_557:
	s_or_b32 exec_lo, exec_lo, s22
	s_and_saveexec_b32 s22, s0
	s_cbranch_execz .LBB288_559
.LBB288_558:
	v_and_b32_e32 v2, 0xffff, v3
	s_delay_alu instid0(VALU_DEP_1) | instskip(NEXT) | instid1(VALU_DEP_1)
	v_and_b32_e32 v4, 3, v2
	v_clz_i32_u32_e32 v5, v4
	s_delay_alu instid0(VALU_DEP_1) | instskip(NEXT) | instid1(VALU_DEP_1)
	v_min_u32_e32 v5, 32, v5
	v_subrev_nc_u32_e32 v6, 29, v5
	v_sub_nc_u32_e32 v5, 30, v5
	s_delay_alu instid0(VALU_DEP_2) | instskip(SKIP_1) | instid1(VALU_DEP_2)
	v_lshlrev_b32_e32 v6, v6, v2
	v_bfe_u32 v2, v2, 2, 5
	v_and_b32_e32 v6, 3, v6
	s_delay_alu instid0(VALU_DEP_2) | instskip(SKIP_1) | instid1(VALU_DEP_1)
	v_cmp_eq_u32_e32 vcc_lo, 0, v2
	v_dual_cndmask_b32 v2, v2, v5 :: v_dual_lshlrev_b32 v3, 24, v3
	v_dual_cndmask_b32 v4, v4, v6 :: v_dual_and_b32 v3, 0x80000000, v3
	s_delay_alu instid0(VALU_DEP_2) | instskip(NEXT) | instid1(VALU_DEP_2)
	v_lshl_add_u32 v2, v2, 23, 0x37800000
	v_lshlrev_b32_e32 v4, 21, v4
	s_delay_alu instid0(VALU_DEP_1) | instskip(NEXT) | instid1(VALU_DEP_1)
	v_or3_b32 v2, v3, v2, v4
	v_cvt_i32_f32_e32 v2, v2
.LBB288_559:
	s_or_b32 exec_lo, exec_lo, s22
	s_mov_b32 s0, 0
	s_branch .LBB288_565
.LBB288_560:
	s_mov_b32 s22, -1
                                        ; implicit-def: $vgpr2
	s_branch .LBB288_571
.LBB288_561:
	s_or_saveexec_b32 s22, s22
	v_mov_b32_e32 v2, s23
	s_xor_b32 exec_lo, exec_lo, s22
	s_cbranch_execz .LBB288_546
.LBB288_562:
	v_cmp_ne_u16_e32 vcc_lo, 0, v3
	v_mov_b32_e32 v2, 0
	s_and_not1_b32 s0, s0, exec_lo
	s_and_b32 s23, vcc_lo, exec_lo
	s_delay_alu instid0(SALU_CYCLE_1)
	s_or_b32 s0, s0, s23
	s_or_b32 exec_lo, exec_lo, s22
	s_and_saveexec_b32 s22, s0
	s_cbranch_execnz .LBB288_547
	s_branch .LBB288_548
.LBB288_563:
	s_mov_b32 s0, -1
                                        ; implicit-def: $vgpr2
	s_branch .LBB288_568
.LBB288_564:
	s_mov_b32 s0, -1
                                        ; implicit-def: $vgpr2
.LBB288_565:
	s_delay_alu instid0(SALU_CYCLE_1)
	s_and_b32 vcc_lo, exec_lo, s0
	s_cbranch_vccz .LBB288_567
; %bb.566:
	global_load_u8 v2, v[0:1], off
	s_waitcnt vmcnt(0)
	v_lshlrev_b32_e32 v2, 24, v2
	s_delay_alu instid0(VALU_DEP_1) | instskip(NEXT) | instid1(VALU_DEP_1)
	v_and_b32_e32 v3, 0x7f000000, v2
	v_clz_i32_u32_e32 v4, v3
	v_add_nc_u32_e32 v6, 0x1000000, v3
	v_cmp_ne_u32_e32 vcc_lo, 0, v3
	s_delay_alu instid0(VALU_DEP_3) | instskip(NEXT) | instid1(VALU_DEP_1)
	v_min_u32_e32 v4, 32, v4
	v_sub_nc_u32_e64 v4, v4, 4 clamp
	s_delay_alu instid0(VALU_DEP_1) | instskip(SKIP_1) | instid1(VALU_DEP_2)
	v_lshlrev_b32_e32 v5, v4, v3
	v_lshlrev_b32_e32 v4, 23, v4
	v_lshrrev_b32_e32 v5, 4, v5
	s_delay_alu instid0(VALU_DEP_1) | instskip(SKIP_1) | instid1(VALU_DEP_2)
	v_sub_nc_u32_e32 v4, v5, v4
	v_ashrrev_i32_e32 v5, 8, v6
	v_add_nc_u32_e32 v4, 0x3c000000, v4
	s_delay_alu instid0(VALU_DEP_1) | instskip(NEXT) | instid1(VALU_DEP_1)
	v_and_or_b32 v4, 0x7f800000, v5, v4
	v_cndmask_b32_e32 v3, 0, v4, vcc_lo
	s_delay_alu instid0(VALU_DEP_1) | instskip(NEXT) | instid1(VALU_DEP_1)
	v_and_or_b32 v2, 0x80000000, v2, v3
	v_cvt_i32_f32_e32 v2, v2
.LBB288_567:
	s_mov_b32 s0, 0
.LBB288_568:
	s_delay_alu instid0(SALU_CYCLE_1)
	s_and_not1_b32 vcc_lo, exec_lo, s0
	s_cbranch_vccnz .LBB288_570
; %bb.569:
	global_load_u8 v2, v[0:1], off
	s_waitcnt vmcnt(0)
	v_lshlrev_b32_e32 v3, 25, v2
	v_lshlrev_b16 v2, 8, v2
	s_delay_alu instid0(VALU_DEP_2) | instskip(NEXT) | instid1(VALU_DEP_2)
	v_lshrrev_b32_e32 v4, 4, v3
	v_and_or_b32 v5, 0x7f00, v2, 0.5
	v_bfe_i32 v2, v2, 0, 16
	s_delay_alu instid0(VALU_DEP_3) | instskip(NEXT) | instid1(VALU_DEP_1)
	v_or_b32_e32 v4, 0x70000000, v4
	v_dual_add_f32 v5, -0.5, v5 :: v_dual_mul_f32 v4, 0x7800000, v4
	v_cmp_gt_u32_e32 vcc_lo, 0x8000000, v3
	s_delay_alu instid0(VALU_DEP_2) | instskip(NEXT) | instid1(VALU_DEP_1)
	v_cndmask_b32_e32 v3, v4, v5, vcc_lo
	v_and_or_b32 v2, 0x80000000, v2, v3
	s_delay_alu instid0(VALU_DEP_1)
	v_cvt_i32_f32_e32 v2, v2
.LBB288_570:
	s_mov_b32 s22, 0
	s_mov_b32 s0, -1
.LBB288_571:
	s_and_not1_b32 vcc_lo, exec_lo, s22
	s_cbranch_vccnz .LBB288_584
; %bb.572:
	v_cmp_gt_i16_e64 s22, s10, 14
	s_delay_alu instid0(VALU_DEP_1)
	s_and_b32 vcc_lo, exec_lo, s22
	s_cbranch_vccz .LBB288_575
; %bb.573:
	v_cmp_eq_u16_e64 s21, s10, 15
	s_delay_alu instid0(VALU_DEP_1)
	s_and_b32 vcc_lo, exec_lo, s21
	s_cbranch_vccz .LBB288_578
; %bb.574:
	global_load_u16 v2, v[0:1], off
	s_mov_b32 s0, -1
	s_mov_b32 s21, 0
	s_waitcnt vmcnt(0)
	v_lshlrev_b32_e32 v2, 16, v2
	s_delay_alu instid0(VALU_DEP_1)
	v_cvt_i32_f32_e32 v2, v2
	s_branch .LBB288_579
.LBB288_575:
	s_mov_b32 s22, -1
                                        ; implicit-def: $vgpr2
	s_branch .LBB288_580
.LBB288_576:
	s_or_saveexec_b32 s22, s22
	v_mov_b32_e32 v2, s23
	s_xor_b32 exec_lo, exec_lo, s22
	s_cbranch_execz .LBB288_557
.LBB288_577:
	v_cmp_ne_u16_e32 vcc_lo, 0, v3
	v_mov_b32_e32 v2, 0
	s_and_not1_b32 s0, s0, exec_lo
	s_and_b32 s23, vcc_lo, exec_lo
	s_delay_alu instid0(SALU_CYCLE_1)
	s_or_b32 s0, s0, s23
	s_or_b32 exec_lo, exec_lo, s22
	s_and_saveexec_b32 s22, s0
	s_cbranch_execnz .LBB288_558
	s_branch .LBB288_559
.LBB288_578:
	s_mov_b32 s21, -1
                                        ; implicit-def: $vgpr2
.LBB288_579:
	s_mov_b32 s22, 0
.LBB288_580:
	s_delay_alu instid0(SALU_CYCLE_1)
	s_and_b32 vcc_lo, exec_lo, s22
	s_cbranch_vccz .LBB288_584
; %bb.581:
	v_cmp_eq_u16_e64 s21, s10, 11
	s_delay_alu instid0(VALU_DEP_1)
	s_and_b32 vcc_lo, exec_lo, s21
	s_cbranch_vccz .LBB288_583
; %bb.582:
	global_load_u8 v2, v[0:1], off
	s_mov_b32 s21, 0
	s_mov_b32 s0, -1
	s_waitcnt vmcnt(0)
	v_cmp_ne_u16_e32 vcc_lo, 0, v2
	v_cndmask_b32_e64 v2, 0, 1, vcc_lo
	s_branch .LBB288_584
.LBB288_583:
	s_mov_b32 s21, -1
                                        ; implicit-def: $vgpr2
.LBB288_584:
	s_mov_b32 s22, 0
.LBB288_585:
	s_delay_alu instid0(SALU_CYCLE_1)
	s_and_b32 vcc_lo, exec_lo, s22
	s_cbranch_vccz .LBB288_634
; %bb.586:
	v_cmp_lt_i16_e64 s0, s10, 5
	s_delay_alu instid0(VALU_DEP_1)
	s_and_b32 vcc_lo, exec_lo, s0
	s_cbranch_vccnz .LBB288_591
; %bb.587:
	v_cmp_lt_i16_e64 s0, s10, 8
	s_delay_alu instid0(VALU_DEP_1)
	s_and_b32 vcc_lo, exec_lo, s0
	s_cbranch_vccnz .LBB288_592
	;; [unrolled: 5-line block ×3, first 2 shown]
; %bb.589:
	v_cmp_gt_i16_e64 s0, s10, 9
	s_delay_alu instid0(VALU_DEP_1)
	s_and_b32 vcc_lo, exec_lo, s0
	s_cbranch_vccz .LBB288_594
; %bb.590:
	global_load_b64 v[2:3], v[0:1], off
	s_mov_b32 s0, 0
	s_waitcnt vmcnt(0)
	v_cvt_i32_f64_e32 v2, v[2:3]
	s_branch .LBB288_595
.LBB288_591:
	s_mov_b32 s0, -1
                                        ; implicit-def: $vgpr2
	s_branch .LBB288_613
.LBB288_592:
	s_mov_b32 s0, -1
                                        ; implicit-def: $vgpr2
	s_branch .LBB288_601
.LBB288_593:
	s_mov_b32 s0, -1
                                        ; implicit-def: $vgpr2
	s_branch .LBB288_598
.LBB288_594:
	s_mov_b32 s0, -1
                                        ; implicit-def: $vgpr2
.LBB288_595:
	s_delay_alu instid0(SALU_CYCLE_1)
	s_and_not1_b32 vcc_lo, exec_lo, s0
	s_cbranch_vccnz .LBB288_597
; %bb.596:
	global_load_b32 v2, v[0:1], off
	s_waitcnt vmcnt(0)
	v_cvt_i32_f32_e32 v2, v2
.LBB288_597:
	s_mov_b32 s0, 0
.LBB288_598:
	s_delay_alu instid0(SALU_CYCLE_1)
	s_and_not1_b32 vcc_lo, exec_lo, s0
	s_cbranch_vccnz .LBB288_600
; %bb.599:
	global_load_b32 v2, v[0:1], off
	s_waitcnt vmcnt(0)
	v_cvt_i16_f16_e32 v2, v2
.LBB288_600:
	s_mov_b32 s0, 0
.LBB288_601:
	s_delay_alu instid0(SALU_CYCLE_1)
	s_and_not1_b32 vcc_lo, exec_lo, s0
	s_cbranch_vccnz .LBB288_612
; %bb.602:
	v_cmp_lt_i16_e64 s0, s10, 6
	s_delay_alu instid0(VALU_DEP_1)
	s_and_b32 vcc_lo, exec_lo, s0
	s_cbranch_vccnz .LBB288_605
; %bb.603:
	v_cmp_gt_i16_e64 s0, s10, 6
	s_delay_alu instid0(VALU_DEP_1)
	s_and_b32 vcc_lo, exec_lo, s0
	s_cbranch_vccz .LBB288_606
; %bb.604:
	global_load_b64 v[2:3], v[0:1], off
	s_mov_b32 s0, 0
	s_waitcnt vmcnt(0)
	v_cvt_i32_f64_e32 v2, v[2:3]
	s_branch .LBB288_607
.LBB288_605:
	s_mov_b32 s0, -1
                                        ; implicit-def: $vgpr2
	s_branch .LBB288_610
.LBB288_606:
	s_mov_b32 s0, -1
                                        ; implicit-def: $vgpr2
.LBB288_607:
	s_delay_alu instid0(SALU_CYCLE_1)
	s_and_not1_b32 vcc_lo, exec_lo, s0
	s_cbranch_vccnz .LBB288_609
; %bb.608:
	global_load_b32 v2, v[0:1], off
	s_waitcnt vmcnt(0)
	v_cvt_i32_f32_e32 v2, v2
.LBB288_609:
	s_mov_b32 s0, 0
.LBB288_610:
	s_delay_alu instid0(SALU_CYCLE_1)
	s_and_not1_b32 vcc_lo, exec_lo, s0
	s_cbranch_vccnz .LBB288_612
; %bb.611:
	global_load_u16 v2, v[0:1], off
	s_waitcnt vmcnt(0)
	v_cvt_i16_f16_e32 v2, v2
.LBB288_612:
	s_mov_b32 s0, 0
.LBB288_613:
	s_delay_alu instid0(SALU_CYCLE_1)
	s_and_not1_b32 vcc_lo, exec_lo, s0
	s_cbranch_vccnz .LBB288_633
; %bb.614:
	v_cmp_lt_i16_e64 s0, s10, 2
	s_delay_alu instid0(VALU_DEP_1)
	s_and_b32 vcc_lo, exec_lo, s0
	s_cbranch_vccnz .LBB288_618
; %bb.615:
	v_cmp_lt_i16_e64 s0, s10, 3
	s_delay_alu instid0(VALU_DEP_1)
	s_and_b32 vcc_lo, exec_lo, s0
	s_cbranch_vccnz .LBB288_619
; %bb.616:
	v_cmp_gt_i16_e64 s0, s10, 3
	s_delay_alu instid0(VALU_DEP_1)
	s_and_b32 vcc_lo, exec_lo, s0
	s_cbranch_vccz .LBB288_620
; %bb.617:
	global_load_b64 v[2:3], v[0:1], off
	s_mov_b32 s0, 0
	s_branch .LBB288_621
.LBB288_618:
	s_mov_b32 s0, -1
                                        ; implicit-def: $vgpr2
	s_branch .LBB288_627
.LBB288_619:
	s_mov_b32 s0, -1
                                        ; implicit-def: $vgpr2
	s_branch .LBB288_624
.LBB288_620:
	s_mov_b32 s0, -1
                                        ; implicit-def: $vgpr2
.LBB288_621:
	s_delay_alu instid0(SALU_CYCLE_1)
	s_and_not1_b32 vcc_lo, exec_lo, s0
	s_cbranch_vccnz .LBB288_623
; %bb.622:
	global_load_b32 v2, v[0:1], off
.LBB288_623:
	s_mov_b32 s0, 0
.LBB288_624:
	s_delay_alu instid0(SALU_CYCLE_1)
	s_and_not1_b32 vcc_lo, exec_lo, s0
	s_cbranch_vccnz .LBB288_626
; %bb.625:
	global_load_u16 v2, v[0:1], off
.LBB288_626:
	s_mov_b32 s0, 0
.LBB288_627:
	s_delay_alu instid0(SALU_CYCLE_1)
	s_and_not1_b32 vcc_lo, exec_lo, s0
	s_cbranch_vccnz .LBB288_633
; %bb.628:
	v_cmp_gt_i16_e64 s0, s10, 0
	s_delay_alu instid0(VALU_DEP_1)
	s_and_b32 vcc_lo, exec_lo, s0
	s_mov_b32 s0, 0
	s_cbranch_vccz .LBB288_630
; %bb.629:
	global_load_u8 v2, v[0:1], off
	s_branch .LBB288_631
.LBB288_630:
	s_mov_b32 s0, -1
                                        ; implicit-def: $vgpr2
.LBB288_631:
	s_delay_alu instid0(SALU_CYCLE_1)
	s_and_not1_b32 vcc_lo, exec_lo, s0
	s_cbranch_vccnz .LBB288_633
; %bb.632:
	global_load_u8 v2, v[0:1], off
.LBB288_633:
	s_mov_b32 s0, -1
.LBB288_634:
	s_delay_alu instid0(SALU_CYCLE_1)
	s_and_not1_b32 vcc_lo, exec_lo, s0
	s_cbranch_vccnz .LBB288_642
; %bb.635:
	v_mul_lo_u32 v1, v9, s2
	s_waitcnt vmcnt(0)
	s_delay_alu instid0(VALU_DEP_2) | instskip(SKIP_2) | instid1(VALU_DEP_2)
	v_bfe_i32 v0, v2, 0, 8
	s_bfe_i32 s0, s8, 0x80000
	v_and_b32_e64 v3, 0xff, s9
	v_max_i16 v0, v0, s0
	s_bfe_i32 s0, s1, 0x80000
	s_delay_alu instid0(VALU_DEP_4) | instskip(NEXT) | instid1(VALU_DEP_3)
	v_ashrrev_i32_e32 v4, 31, v1
	v_cmp_gt_i16_e32 vcc_lo, 11, v3
	s_delay_alu instid0(VALU_DEP_3) | instskip(SKIP_1) | instid1(VALU_DEP_1)
	v_min_i16 v2, v0, s0
	v_add_co_u32 v0, s0, s4, v1
	v_add_co_ci_u32_e64 v1, s0, s5, v4, s0
	s_cbranch_vccnz .LBB288_643
; %bb.636:
	v_cmp_lt_i16_e32 vcc_lo, 25, v3
	s_cbranch_vccz .LBB288_644
; %bb.637:
	v_cmp_lt_i16_e32 vcc_lo, 28, v3
	s_cbranch_vccz .LBB288_645
	;; [unrolled: 3-line block ×4, first 2 shown]
; %bb.640:
	v_cmp_eq_u16_e32 vcc_lo, 46, v3
	s_mov_b32 s23, 0
	s_mov_b32 s0, -1
	s_mov_b32 s22, 0
	s_cbranch_vccz .LBB288_648
; %bb.641:
	v_bfe_i32 v4, v2, 0, 16
	s_mov_b32 s22, -1
	s_mov_b32 s0, 0
	s_delay_alu instid0(VALU_DEP_1) | instskip(NEXT) | instid1(VALU_DEP_1)
	v_cvt_f32_i32_e32 v4, v4
	v_bfe_u32 v5, v4, 16, 1
	s_delay_alu instid0(VALU_DEP_1) | instskip(NEXT) | instid1(VALU_DEP_1)
	v_add3_u32 v4, v4, v5, 0x7fff
	v_lshrrev_b32_e32 v4, 16, v4
	global_store_b32 v[0:1], v4, off
	s_branch .LBB288_648
.LBB288_642:
	s_mov_b32 s22, 0
	s_mov_b32 s0, s18
	s_branch .LBB288_759
.LBB288_643:
	s_mov_b32 s23, -1
	s_mov_b32 s22, 0
	s_mov_b32 s0, s18
	s_branch .LBB288_717
.LBB288_644:
	s_mov_b32 s23, -1
	s_mov_b32 s22, 0
	s_mov_b32 s0, s18
	s_branch .LBB288_675
.LBB288_645:
	s_mov_b32 s23, -1
	s_mov_b32 s22, 0
	s_mov_b32 s0, s18
	s_branch .LBB288_658
.LBB288_646:
	s_mov_b32 s23, -1
	s_mov_b32 s22, 0
	s_mov_b32 s0, s18
	s_branch .LBB288_654
.LBB288_647:
	s_mov_b32 s23, -1
	s_mov_b32 s22, 0
	s_mov_b32 s0, s18
.LBB288_648:
	s_and_b32 vcc_lo, exec_lo, s23
	s_cbranch_vccz .LBB288_653
; %bb.649:
	v_cmp_eq_u16_e32 vcc_lo, 44, v3
	s_mov_b32 s0, -1
	s_cbranch_vccz .LBB288_653
; %bb.650:
	v_bfe_i32 v4, v2, 0, 16
	v_mov_b32_e32 v5, 0xff
	s_mov_b32 s22, exec_lo
	s_delay_alu instid0(VALU_DEP_2) | instskip(NEXT) | instid1(VALU_DEP_1)
	v_cvt_f32_i32_e32 v4, v4
	v_bfe_u32 v6, v4, 23, 8
	s_delay_alu instid0(VALU_DEP_1)
	v_cmpx_ne_u32_e32 0xff, v6
; %bb.651:
	v_and_b32_e32 v5, 0x400000, v4
	v_and_or_b32 v6, 0x3fffff, v4, v6
	v_lshrrev_b32_e32 v4, 23, v4
	s_delay_alu instid0(VALU_DEP_3) | instskip(NEXT) | instid1(VALU_DEP_3)
	v_cmp_ne_u32_e32 vcc_lo, 0, v5
	v_cmp_ne_u32_e64 s0, 0, v6
	s_delay_alu instid0(VALU_DEP_1) | instskip(NEXT) | instid1(SALU_CYCLE_1)
	s_and_b32 s0, vcc_lo, s0
	v_cndmask_b32_e64 v5, 0, 1, s0
	s_delay_alu instid0(VALU_DEP_1)
	v_add_nc_u32_e32 v5, v4, v5
; %bb.652:
	s_or_b32 exec_lo, exec_lo, s22
	s_mov_b32 s22, -1
	s_mov_b32 s0, 0
	global_store_b8 v[0:1], v5, off
.LBB288_653:
	s_mov_b32 s23, 0
.LBB288_654:
	s_delay_alu instid0(SALU_CYCLE_1)
	s_and_b32 vcc_lo, exec_lo, s23
	s_cbranch_vccz .LBB288_657
; %bb.655:
	v_cmp_eq_u16_e32 vcc_lo, 29, v3
	s_mov_b32 s0, -1
	s_cbranch_vccz .LBB288_657
; %bb.656:
	v_bfe_i32 v4, v2, 0, 16
	s_mov_b32 s0, 0
	s_mov_b32 s22, -1
	s_mov_b32 s23, 0
	s_delay_alu instid0(VALU_DEP_1)
	v_ashrrev_i32_e32 v5, 31, v4
	global_store_b64 v[0:1], v[4:5], off
	s_branch .LBB288_658
.LBB288_657:
	s_mov_b32 s23, 0
.LBB288_658:
	s_delay_alu instid0(SALU_CYCLE_1)
	s_and_b32 vcc_lo, exec_lo, s23
	s_cbranch_vccz .LBB288_674
; %bb.659:
	v_cmp_gt_i16_e32 vcc_lo, 27, v3
	s_mov_b32 s22, -1
	s_cbranch_vccnz .LBB288_665
; %bb.660:
	v_cmp_lt_i16_e32 vcc_lo, 27, v3
	s_cbranch_vccz .LBB288_662
; %bb.661:
	v_bfe_i32 v4, v2, 0, 16
	s_mov_b32 s22, 0
	global_store_b32 v[0:1], v4, off
.LBB288_662:
	s_and_not1_b32 vcc_lo, exec_lo, s22
	s_cbranch_vccnz .LBB288_664
; %bb.663:
	global_store_b16 v[0:1], v2, off
.LBB288_664:
	s_mov_b32 s22, 0
.LBB288_665:
	s_delay_alu instid0(SALU_CYCLE_1)
	s_and_not1_b32 vcc_lo, exec_lo, s22
	s_cbranch_vccnz .LBB288_673
; %bb.666:
	v_bfe_i32 v4, v2, 0, 16
	v_mov_b32_e32 v6, 0x80
	s_mov_b32 s22, exec_lo
	s_delay_alu instid0(VALU_DEP_2) | instskip(NEXT) | instid1(VALU_DEP_1)
	v_cvt_f32_i32_e32 v4, v4
	v_and_b32_e32 v5, 0x7fffffff, v4
	s_delay_alu instid0(VALU_DEP_1)
	v_cmpx_gt_u32_e32 0x43800000, v5
	s_cbranch_execz .LBB288_672
; %bb.667:
	v_cmp_lt_u32_e32 vcc_lo, 0x3bffffff, v5
	s_mov_b32 s23, 0
                                        ; implicit-def: $vgpr5
	s_and_saveexec_b32 s24, vcc_lo
	s_delay_alu instid0(SALU_CYCLE_1)
	s_xor_b32 s24, exec_lo, s24
	s_cbranch_execz .LBB288_774
; %bb.668:
	v_bfe_u32 v5, v4, 20, 1
	s_mov_b32 s23, exec_lo
	s_delay_alu instid0(VALU_DEP_1) | instskip(NEXT) | instid1(VALU_DEP_1)
	v_add3_u32 v5, v4, v5, 0x487ffff
	v_lshrrev_b32_e32 v5, 20, v5
	s_or_saveexec_b32 s24, s24
                                        ; implicit-def: $sgpr25
	s_delay_alu instid0(SALU_CYCLE_1)
	s_xor_b32 exec_lo, exec_lo, s24
	s_cbranch_execnz .LBB288_775
.LBB288_669:
	s_or_b32 exec_lo, exec_lo, s24
	v_mov_b32_e32 v6, s25
	s_and_saveexec_b32 s24, s23
.LBB288_670:
	v_lshrrev_b32_e32 v4, 24, v4
	s_delay_alu instid0(VALU_DEP_1)
	v_and_or_b32 v6, 0x80, v4, v5
.LBB288_671:
	s_or_b32 exec_lo, exec_lo, s24
.LBB288_672:
	s_delay_alu instid0(SALU_CYCLE_1)
	s_or_b32 exec_lo, exec_lo, s22
	global_store_b8 v[0:1], v6, off
.LBB288_673:
	s_mov_b32 s22, -1
.LBB288_674:
	s_mov_b32 s23, 0
.LBB288_675:
	s_delay_alu instid0(SALU_CYCLE_1)
	s_and_b32 vcc_lo, exec_lo, s23
	s_cbranch_vccz .LBB288_716
; %bb.676:
	v_cmp_lt_i16_e32 vcc_lo, 22, v3
	s_mov_b32 s23, -1
	s_cbranch_vccz .LBB288_708
; %bb.677:
	v_cmp_gt_i16_e32 vcc_lo, 24, v3
	s_mov_b32 s22, -1
	s_cbranch_vccnz .LBB288_697
; %bb.678:
	v_cmp_lt_i16_e32 vcc_lo, 24, v3
	s_cbranch_vccz .LBB288_686
; %bb.679:
	v_bfe_i32 v4, v2, 0, 16
	v_mov_b32_e32 v6, 0x80
	s_mov_b32 s22, exec_lo
	s_delay_alu instid0(VALU_DEP_2) | instskip(NEXT) | instid1(VALU_DEP_1)
	v_cvt_f32_i32_e32 v4, v4
	v_and_b32_e32 v5, 0x7fffffff, v4
	s_delay_alu instid0(VALU_DEP_1)
	v_cmpx_gt_u32_e32 0x47800000, v5
	s_cbranch_execz .LBB288_685
; %bb.680:
	v_cmp_lt_u32_e32 vcc_lo, 0x37ffffff, v5
	s_mov_b32 s23, 0
                                        ; implicit-def: $vgpr5
	s_and_saveexec_b32 s24, vcc_lo
	s_delay_alu instid0(SALU_CYCLE_1)
	s_xor_b32 s24, exec_lo, s24
	s_cbranch_execz .LBB288_777
; %bb.681:
	v_bfe_u32 v5, v4, 21, 1
	s_mov_b32 s23, exec_lo
	s_delay_alu instid0(VALU_DEP_1) | instskip(NEXT) | instid1(VALU_DEP_1)
	v_add3_u32 v5, v4, v5, 0x88fffff
	v_lshrrev_b32_e32 v5, 21, v5
	s_or_saveexec_b32 s24, s24
                                        ; implicit-def: $sgpr25
	s_delay_alu instid0(SALU_CYCLE_1)
	s_xor_b32 exec_lo, exec_lo, s24
	s_cbranch_execnz .LBB288_778
.LBB288_682:
	s_or_b32 exec_lo, exec_lo, s24
	v_mov_b32_e32 v6, s25
	s_and_saveexec_b32 s24, s23
.LBB288_683:
	v_lshrrev_b32_e32 v4, 24, v4
	s_delay_alu instid0(VALU_DEP_1)
	v_and_or_b32 v6, 0x80, v4, v5
.LBB288_684:
	s_or_b32 exec_lo, exec_lo, s24
.LBB288_685:
	s_delay_alu instid0(SALU_CYCLE_1)
	s_or_b32 exec_lo, exec_lo, s22
	s_mov_b32 s22, 0
	global_store_b8 v[0:1], v6, off
.LBB288_686:
	s_and_b32 vcc_lo, exec_lo, s22
	s_cbranch_vccz .LBB288_696
; %bb.687:
	v_bfe_i32 v4, v2, 0, 16
	s_mov_b32 s22, exec_lo
                                        ; implicit-def: $vgpr5
	s_delay_alu instid0(VALU_DEP_1) | instskip(NEXT) | instid1(VALU_DEP_1)
	v_cvt_f32_i32_e32 v4, v4
	v_and_b32_e32 v6, 0x7fffffff, v4
	s_delay_alu instid0(VALU_DEP_1)
	v_cmpx_gt_u32_e32 0x43f00000, v6
	s_xor_b32 s22, exec_lo, s22
	s_cbranch_execz .LBB288_693
; %bb.688:
	s_mov_b32 s23, exec_lo
                                        ; implicit-def: $vgpr5
	v_cmpx_lt_u32_e32 0x3c7fffff, v6
	s_xor_b32 s23, exec_lo, s23
; %bb.689:
	v_bfe_u32 v5, v4, 20, 1
	s_delay_alu instid0(VALU_DEP_1) | instskip(NEXT) | instid1(VALU_DEP_1)
	v_add3_u32 v5, v4, v5, 0x407ffff
	v_and_b32_e32 v6, 0xff00000, v5
	v_lshrrev_b32_e32 v5, 20, v5
	s_delay_alu instid0(VALU_DEP_2) | instskip(NEXT) | instid1(VALU_DEP_2)
	v_cmp_ne_u32_e32 vcc_lo, 0x7f00000, v6
	v_cndmask_b32_e32 v5, 0x7e, v5, vcc_lo
; %bb.690:
	s_and_not1_saveexec_b32 s23, s23
; %bb.691:
	v_add_f32_e64 v5, 0x46800000, |v4|
; %bb.692:
	s_or_b32 exec_lo, exec_lo, s23
                                        ; implicit-def: $vgpr6
.LBB288_693:
	s_and_not1_saveexec_b32 s22, s22
; %bb.694:
	v_mov_b32_e32 v5, 0x7f
	v_cmp_lt_u32_e32 vcc_lo, 0x7f800000, v6
	s_delay_alu instid0(VALU_DEP_2)
	v_cndmask_b32_e32 v5, 0x7e, v5, vcc_lo
; %bb.695:
	s_or_b32 exec_lo, exec_lo, s22
	v_lshrrev_b32_e32 v4, 24, v4
	s_delay_alu instid0(VALU_DEP_1)
	v_and_or_b32 v4, 0x80, v4, v5
	global_store_b8 v[0:1], v4, off
.LBB288_696:
	s_mov_b32 s22, 0
.LBB288_697:
	s_delay_alu instid0(SALU_CYCLE_1)
	s_and_not1_b32 vcc_lo, exec_lo, s22
	s_cbranch_vccnz .LBB288_707
; %bb.698:
	v_bfe_i32 v4, v2, 0, 16
	s_mov_b32 s22, exec_lo
                                        ; implicit-def: $vgpr5
	s_delay_alu instid0(VALU_DEP_1) | instskip(NEXT) | instid1(VALU_DEP_1)
	v_cvt_f32_i32_e32 v4, v4
	v_and_b32_e32 v6, 0x7fffffff, v4
	s_delay_alu instid0(VALU_DEP_1)
	v_cmpx_gt_u32_e32 0x47800000, v6
	s_xor_b32 s22, exec_lo, s22
	s_cbranch_execz .LBB288_704
; %bb.699:
	s_mov_b32 s23, exec_lo
                                        ; implicit-def: $vgpr5
	v_cmpx_lt_u32_e32 0x387fffff, v6
	s_xor_b32 s23, exec_lo, s23
; %bb.700:
	v_bfe_u32 v5, v4, 21, 1
	s_delay_alu instid0(VALU_DEP_1) | instskip(NEXT) | instid1(VALU_DEP_1)
	v_add3_u32 v5, v4, v5, 0x80fffff
	v_lshrrev_b32_e32 v5, 21, v5
; %bb.701:
	s_and_not1_saveexec_b32 s23, s23
; %bb.702:
	v_add_f32_e64 v5, 0x43000000, |v4|
; %bb.703:
	s_or_b32 exec_lo, exec_lo, s23
                                        ; implicit-def: $vgpr6
.LBB288_704:
	s_and_not1_saveexec_b32 s22, s22
; %bb.705:
	v_mov_b32_e32 v5, 0x7f
	v_cmp_lt_u32_e32 vcc_lo, 0x7f800000, v6
	s_delay_alu instid0(VALU_DEP_2)
	v_cndmask_b32_e32 v5, 0x7c, v5, vcc_lo
; %bb.706:
	s_or_b32 exec_lo, exec_lo, s22
	v_lshrrev_b32_e32 v4, 24, v4
	s_delay_alu instid0(VALU_DEP_1)
	v_and_or_b32 v4, 0x80, v4, v5
	global_store_b8 v[0:1], v4, off
.LBB288_707:
	s_mov_b32 s23, 0
	s_mov_b32 s22, -1
.LBB288_708:
	s_and_not1_b32 vcc_lo, exec_lo, s23
	s_cbranch_vccnz .LBB288_716
; %bb.709:
	v_cmp_lt_i16_e32 vcc_lo, 14, v3
	s_mov_b32 s23, -1
	s_cbranch_vccz .LBB288_713
; %bb.710:
	v_cmp_eq_u16_e32 vcc_lo, 15, v3
	s_mov_b32 s0, -1
	s_cbranch_vccz .LBB288_712
; %bb.711:
	v_bfe_i32 v4, v2, 0, 16
	s_mov_b32 s22, -1
	s_mov_b32 s0, 0
	s_delay_alu instid0(VALU_DEP_1) | instskip(NEXT) | instid1(VALU_DEP_1)
	v_cvt_f32_i32_e32 v4, v4
	v_bfe_u32 v5, v4, 16, 1
	s_delay_alu instid0(VALU_DEP_1)
	v_add3_u32 v4, v4, v5, 0x7fff
	global_store_d16_hi_b16 v[0:1], v4, off
.LBB288_712:
	s_mov_b32 s23, 0
.LBB288_713:
	s_delay_alu instid0(SALU_CYCLE_1)
	s_and_b32 vcc_lo, exec_lo, s23
	s_cbranch_vccz .LBB288_716
; %bb.714:
	v_cmp_eq_u16_e32 vcc_lo, 11, v3
	s_mov_b32 s0, -1
	s_cbranch_vccz .LBB288_716
; %bb.715:
	v_cmp_ne_u16_e32 vcc_lo, 0, v2
	s_mov_b32 s0, 0
	s_mov_b32 s22, -1
	v_cndmask_b32_e64 v4, 0, 1, vcc_lo
	global_store_b8 v[0:1], v4, off
.LBB288_716:
	s_mov_b32 s23, 0
.LBB288_717:
	s_delay_alu instid0(SALU_CYCLE_1)
	s_and_b32 vcc_lo, exec_lo, s23
	s_cbranch_vccz .LBB288_756
; %bb.718:
	v_cmp_gt_i16_e32 vcc_lo, 5, v3
	s_mov_b32 s22, -1
	s_cbranch_vccnz .LBB288_739
; %bb.719:
	v_cmp_gt_i16_e32 vcc_lo, 8, v3
	s_cbranch_vccnz .LBB288_729
; %bb.720:
	v_cmp_gt_i16_e32 vcc_lo, 9, v3
	s_cbranch_vccnz .LBB288_726
; %bb.721:
	v_cmp_lt_i16_e32 vcc_lo, 9, v3
	s_cbranch_vccz .LBB288_723
; %bb.722:
	v_bfe_i32 v4, v2, 0, 16
	v_mov_b32_e32 v6, 0
	s_mov_b32 s22, 0
	s_delay_alu instid0(VALU_DEP_2) | instskip(NEXT) | instid1(VALU_DEP_2)
	v_cvt_f64_i32_e32 v[4:5], v4
	v_mov_b32_e32 v7, v6
	global_store_b128 v[0:1], v[4:7], off
.LBB288_723:
	s_and_not1_b32 vcc_lo, exec_lo, s22
	s_cbranch_vccnz .LBB288_725
; %bb.724:
	v_bfe_i32 v4, v2, 0, 16
	v_mov_b32_e32 v5, 0
	s_delay_alu instid0(VALU_DEP_2)
	v_cvt_f32_i32_e32 v4, v4
	global_store_b64 v[0:1], v[4:5], off
.LBB288_725:
	s_mov_b32 s22, 0
.LBB288_726:
	s_delay_alu instid0(SALU_CYCLE_1)
	s_and_not1_b32 vcc_lo, exec_lo, s22
	s_cbranch_vccnz .LBB288_728
; %bb.727:
	v_cvt_f16_i16_e32 v4, v2
	s_delay_alu instid0(VALU_DEP_1)
	v_and_b32_e32 v4, 0xffff, v4
	global_store_b32 v[0:1], v4, off
.LBB288_728:
	s_mov_b32 s22, 0
.LBB288_729:
	s_delay_alu instid0(SALU_CYCLE_1)
	s_and_not1_b32 vcc_lo, exec_lo, s22
	s_cbranch_vccnz .LBB288_738
; %bb.730:
	v_cmp_gt_i16_e32 vcc_lo, 6, v3
	s_mov_b32 s22, -1
	s_cbranch_vccnz .LBB288_736
; %bb.731:
	v_cmp_lt_i16_e32 vcc_lo, 6, v3
	s_cbranch_vccz .LBB288_733
; %bb.732:
	v_bfe_i32 v4, v2, 0, 16
	s_mov_b32 s22, 0
	s_delay_alu instid0(VALU_DEP_1)
	v_cvt_f64_i32_e32 v[4:5], v4
	global_store_b64 v[0:1], v[4:5], off
.LBB288_733:
	s_and_not1_b32 vcc_lo, exec_lo, s22
	s_cbranch_vccnz .LBB288_735
; %bb.734:
	v_bfe_i32 v4, v2, 0, 16
	s_delay_alu instid0(VALU_DEP_1)
	v_cvt_f32_i32_e32 v4, v4
	global_store_b32 v[0:1], v4, off
.LBB288_735:
	s_mov_b32 s22, 0
.LBB288_736:
	s_delay_alu instid0(SALU_CYCLE_1)
	s_and_not1_b32 vcc_lo, exec_lo, s22
	s_cbranch_vccnz .LBB288_738
; %bb.737:
	v_cvt_f16_i16_e32 v4, v2
	global_store_b16 v[0:1], v4, off
.LBB288_738:
	s_mov_b32 s22, 0
.LBB288_739:
	s_delay_alu instid0(SALU_CYCLE_1)
	s_and_not1_b32 vcc_lo, exec_lo, s22
	s_cbranch_vccnz .LBB288_755
; %bb.740:
	v_cmp_gt_i16_e32 vcc_lo, 2, v3
	s_mov_b32 s22, -1
	s_cbranch_vccnz .LBB288_750
; %bb.741:
	v_cmp_gt_i16_e32 vcc_lo, 3, v3
	s_cbranch_vccnz .LBB288_747
; %bb.742:
	v_cmp_lt_i16_e32 vcc_lo, 3, v3
	s_cbranch_vccz .LBB288_744
; %bb.743:
	v_bfe_i32 v4, v2, 0, 16
	s_mov_b32 s22, 0
	s_delay_alu instid0(VALU_DEP_1)
	v_ashrrev_i32_e32 v5, 31, v4
	global_store_b64 v[0:1], v[4:5], off
.LBB288_744:
	s_and_not1_b32 vcc_lo, exec_lo, s22
	s_cbranch_vccnz .LBB288_746
; %bb.745:
	v_bfe_i32 v4, v2, 0, 16
	global_store_b32 v[0:1], v4, off
.LBB288_746:
	s_mov_b32 s22, 0
.LBB288_747:
	s_delay_alu instid0(SALU_CYCLE_1)
	s_and_not1_b32 vcc_lo, exec_lo, s22
	s_cbranch_vccnz .LBB288_749
; %bb.748:
	global_store_b16 v[0:1], v2, off
.LBB288_749:
	s_mov_b32 s22, 0
.LBB288_750:
	s_delay_alu instid0(SALU_CYCLE_1)
	s_and_not1_b32 vcc_lo, exec_lo, s22
	s_cbranch_vccnz .LBB288_755
; %bb.751:
	v_cmp_lt_i16_e32 vcc_lo, 0, v3
	s_mov_b32 s22, -1
	s_cbranch_vccz .LBB288_753
; %bb.752:
	s_mov_b32 s22, 0
	global_store_b8 v[0:1], v2, off
.LBB288_753:
	s_and_not1_b32 vcc_lo, exec_lo, s22
	s_cbranch_vccnz .LBB288_755
; %bb.754:
	global_store_b8 v[0:1], v2, off
.LBB288_755:
	s_mov_b32 s22, -1
.LBB288_756:
	s_delay_alu instid0(SALU_CYCLE_1)
	s_and_not1_b32 vcc_lo, exec_lo, s22
	s_cbranch_vccnz .LBB288_758
; %bb.757:
	v_add_nc_u32_e32 v9, 0x80, v9
	s_mov_b32 s22, -1
	s_branch .LBB288_760
.LBB288_758:
	s_mov_b32 s22, 0
.LBB288_759:
                                        ; implicit-def: $vgpr9
.LBB288_760:
	s_and_not1_b32 s23, s18, exec_lo
	s_and_b32 s0, s0, exec_lo
	s_and_not1_b32 s24, s17, exec_lo
	s_and_b32 s25, s21, exec_lo
	s_or_b32 s21, s23, s0
	s_or_b32 s0, s24, s25
	s_or_not1_b32 s22, s22, exec_lo
.LBB288_761:
	s_or_b32 exec_lo, exec_lo, s20
	s_mov_b32 s23, 0
	s_mov_b32 s24, 0
	;; [unrolled: 1-line block ×3, first 2 shown]
                                        ; implicit-def: $vgpr0_vgpr1
                                        ; implicit-def: $vgpr2
	s_and_saveexec_b32 s20, s22
	s_cbranch_execz .LBB288_842
; %bb.762:
	v_cmp_gt_i32_e32 vcc_lo, s14, v9
	s_mov_b32 s22, 0
	s_mov_b32 s23, s0
                                        ; implicit-def: $vgpr0_vgpr1
                                        ; implicit-def: $vgpr2
	s_and_saveexec_b32 s14, vcc_lo
	s_cbranch_execz .LBB288_841
; %bb.763:
	v_mul_lo_u32 v0, v9, s3
	v_cmp_lt_i16_e64 s22, s10, 11
	s_delay_alu instid0(VALU_DEP_2) | instskip(SKIP_1) | instid1(VALU_DEP_2)
	v_ashrrev_i32_e32 v1, 31, v0
	v_add_co_u32 v0, vcc_lo, s6, v0
	v_add_co_ci_u32_e32 v1, vcc_lo, s7, v1, vcc_lo
	s_delay_alu instid0(VALU_DEP_4)
	s_and_b32 vcc_lo, exec_lo, s22
	s_cbranch_vccnz .LBB288_770
; %bb.764:
	v_cmp_gt_i16_e64 s22, s10, 25
	s_mov_b32 s23, 0
	s_delay_alu instid0(VALU_DEP_1)
	s_and_b32 vcc_lo, exec_lo, s22
	s_cbranch_vccz .LBB288_771
; %bb.765:
	v_cmp_gt_i16_e64 s22, s10, 28
	s_delay_alu instid0(VALU_DEP_1)
	s_and_b32 vcc_lo, exec_lo, s22
	s_cbranch_vccz .LBB288_772
; %bb.766:
	v_cmp_gt_i16_e64 s22, s10, 43
	;; [unrolled: 5-line block ×3, first 2 shown]
	s_delay_alu instid0(VALU_DEP_1)
	s_and_b32 vcc_lo, exec_lo, s22
	s_cbranch_vccz .LBB288_776
; %bb.768:
	v_cmp_eq_u16_e64 s22, s10, 46
	s_delay_alu instid0(VALU_DEP_1)
	s_and_b32 vcc_lo, exec_lo, s22
	s_cbranch_vccz .LBB288_779
; %bb.769:
	global_load_b32 v2, v[0:1], off
	s_mov_b32 s22, 0
	s_mov_b32 s24, -1
	s_waitcnt vmcnt(0)
	v_lshlrev_b32_e32 v2, 16, v2
	s_delay_alu instid0(VALU_DEP_1)
	v_cvt_i32_f32_e32 v2, v2
	s_branch .LBB288_781
.LBB288_770:
	s_mov_b32 s26, -1
	s_mov_b32 s23, 0
	s_mov_b32 s22, s0
                                        ; implicit-def: $vgpr2
	s_branch .LBB288_840
.LBB288_771:
	s_mov_b32 s25, -1
	s_mov_b32 s22, s0
                                        ; implicit-def: $vgpr2
	s_branch .LBB288_808
.LBB288_772:
	s_mov_b32 s25, -1
	s_mov_b32 s22, s0
                                        ; implicit-def: $vgpr2
	s_branch .LBB288_791
.LBB288_773:
	s_mov_b32 s25, -1
	s_mov_b32 s22, s0
                                        ; implicit-def: $vgpr2
	s_branch .LBB288_786
.LBB288_774:
	s_or_saveexec_b32 s24, s24
                                        ; implicit-def: $sgpr25
	s_delay_alu instid0(SALU_CYCLE_1)
	s_xor_b32 exec_lo, exec_lo, s24
	s_cbranch_execz .LBB288_669
.LBB288_775:
	v_add_f32_e64 v5, 0x46000000, |v4|
	s_and_not1_b32 s23, s23, exec_lo
	s_mov_b32 s25, 0
	s_delay_alu instid0(VALU_DEP_1) | instskip(NEXT) | instid1(VALU_DEP_1)
	v_and_b32_e32 v5, 0xff, v5
	v_cmp_ne_u32_e32 vcc_lo, 0, v5
	s_and_b32 s26, vcc_lo, exec_lo
	s_delay_alu instid0(SALU_CYCLE_1)
	s_or_b32 s23, s23, s26
	s_or_b32 exec_lo, exec_lo, s24
	v_mov_b32_e32 v6, s25
	s_and_saveexec_b32 s24, s23
	s_cbranch_execnz .LBB288_670
	s_branch .LBB288_671
.LBB288_776:
	s_mov_b32 s25, -1
	s_mov_b32 s22, s0
	s_branch .LBB288_780
.LBB288_777:
	s_or_saveexec_b32 s24, s24
                                        ; implicit-def: $sgpr25
	s_delay_alu instid0(SALU_CYCLE_1)
	s_xor_b32 exec_lo, exec_lo, s24
	s_cbranch_execz .LBB288_682
.LBB288_778:
	v_add_f32_e64 v5, 0x42800000, |v4|
	s_and_not1_b32 s23, s23, exec_lo
	s_mov_b32 s25, 0
	s_delay_alu instid0(VALU_DEP_1) | instskip(NEXT) | instid1(VALU_DEP_1)
	v_and_b32_e32 v5, 0xff, v5
	v_cmp_ne_u32_e32 vcc_lo, 0, v5
	s_and_b32 s26, vcc_lo, exec_lo
	s_delay_alu instid0(SALU_CYCLE_1)
	s_or_b32 s23, s23, s26
	s_or_b32 exec_lo, exec_lo, s24
	v_mov_b32_e32 v6, s25
	s_and_saveexec_b32 s24, s23
	s_cbranch_execnz .LBB288_683
	s_branch .LBB288_684
.LBB288_779:
	s_mov_b32 s22, -1
.LBB288_780:
                                        ; implicit-def: $vgpr2
.LBB288_781:
	s_and_b32 vcc_lo, exec_lo, s25
	s_cbranch_vccz .LBB288_785
; %bb.782:
	v_cmp_eq_u16_e64 s22, s10, 44
	s_delay_alu instid0(VALU_DEP_1)
	s_and_b32 vcc_lo, exec_lo, s22
	s_cbranch_vccz .LBB288_784
; %bb.783:
	global_load_u8 v2, v[0:1], off
	s_mov_b32 s22, 0
	s_mov_b32 s24, -1
	s_waitcnt vmcnt(0)
	v_lshlrev_b32_e32 v3, 23, v2
	v_cmp_ne_u32_e32 vcc_lo, 0, v2
	s_delay_alu instid0(VALU_DEP_2) | instskip(NEXT) | instid1(VALU_DEP_1)
	v_cvt_i32_f32_e32 v3, v3
	v_cndmask_b32_e32 v2, 0, v3, vcc_lo
	s_branch .LBB288_785
.LBB288_784:
	s_mov_b32 s22, -1
                                        ; implicit-def: $vgpr2
.LBB288_785:
	s_mov_b32 s25, 0
.LBB288_786:
	s_delay_alu instid0(SALU_CYCLE_1)
	s_and_b32 vcc_lo, exec_lo, s25
	s_cbranch_vccz .LBB288_790
; %bb.787:
	v_cmp_eq_u16_e64 s22, s10, 29
	s_delay_alu instid0(VALU_DEP_1)
	s_and_b32 vcc_lo, exec_lo, s22
	s_cbranch_vccz .LBB288_789
; %bb.788:
	global_load_b64 v[2:3], v[0:1], off
	s_mov_b32 s22, 0
	s_mov_b32 s24, -1
	s_branch .LBB288_790
.LBB288_789:
	s_mov_b32 s22, -1
                                        ; implicit-def: $vgpr2
.LBB288_790:
	s_mov_b32 s25, 0
.LBB288_791:
	s_delay_alu instid0(SALU_CYCLE_1)
	s_and_b32 vcc_lo, exec_lo, s25
	s_cbranch_vccz .LBB288_807
; %bb.792:
	v_cmp_lt_i16_e64 s24, s10, 27
	s_delay_alu instid0(VALU_DEP_1)
	s_and_b32 vcc_lo, exec_lo, s24
	s_cbranch_vccnz .LBB288_795
; %bb.793:
	v_cmp_gt_i16_e64 s24, s10, 27
	s_delay_alu instid0(VALU_DEP_1)
	s_and_b32 vcc_lo, exec_lo, s24
	s_cbranch_vccz .LBB288_796
; %bb.794:
	global_load_b32 v2, v[0:1], off
	s_mov_b32 s24, 0
	s_branch .LBB288_797
.LBB288_795:
	s_mov_b32 s24, -1
                                        ; implicit-def: $vgpr2
	s_branch .LBB288_800
.LBB288_796:
	s_mov_b32 s24, -1
                                        ; implicit-def: $vgpr2
.LBB288_797:
	s_delay_alu instid0(SALU_CYCLE_1)
	s_and_not1_b32 vcc_lo, exec_lo, s24
	s_cbranch_vccnz .LBB288_799
; %bb.798:
	global_load_u16 v2, v[0:1], off
.LBB288_799:
	s_mov_b32 s24, 0
.LBB288_800:
	s_delay_alu instid0(SALU_CYCLE_1)
	s_and_not1_b32 vcc_lo, exec_lo, s24
	s_cbranch_vccnz .LBB288_806
; %bb.801:
	global_load_u8 v3, v[0:1], off
	s_mov_b32 s24, 0
	s_mov_b32 s25, exec_lo
                                        ; implicit-def: $sgpr26
	s_waitcnt vmcnt(0)
	v_cmpx_lt_i16_e32 0x7f, v3
	s_xor_b32 s25, exec_lo, s25
	s_cbranch_execz .LBB288_818
; %bb.802:
	v_cmp_ne_u16_e32 vcc_lo, 0x80, v3
	s_mov_b32 s26, 0
	s_and_b32 s24, vcc_lo, exec_lo
	s_or_saveexec_b32 s25, s25
	v_mov_b32_e32 v2, s26
	s_xor_b32 exec_lo, exec_lo, s25
	s_cbranch_execnz .LBB288_819
.LBB288_803:
	s_or_b32 exec_lo, exec_lo, s25
	s_and_saveexec_b32 s25, s24
	s_cbranch_execz .LBB288_805
.LBB288_804:
	v_and_b32_e32 v2, 0xffff, v3
	s_delay_alu instid0(VALU_DEP_1) | instskip(NEXT) | instid1(VALU_DEP_1)
	v_and_b32_e32 v4, 7, v2
	v_clz_i32_u32_e32 v5, v4
	s_delay_alu instid0(VALU_DEP_1) | instskip(NEXT) | instid1(VALU_DEP_1)
	v_min_u32_e32 v5, 32, v5
	v_subrev_nc_u32_e32 v6, 28, v5
	v_sub_nc_u32_e32 v5, 29, v5
	s_delay_alu instid0(VALU_DEP_2) | instskip(SKIP_1) | instid1(VALU_DEP_2)
	v_lshlrev_b32_e32 v6, v6, v2
	v_bfe_u32 v2, v2, 3, 4
	v_and_b32_e32 v6, 7, v6
	s_delay_alu instid0(VALU_DEP_2) | instskip(SKIP_1) | instid1(VALU_DEP_1)
	v_cmp_eq_u32_e32 vcc_lo, 0, v2
	v_dual_cndmask_b32 v2, v2, v5 :: v_dual_lshlrev_b32 v3, 24, v3
	v_dual_cndmask_b32 v4, v4, v6 :: v_dual_and_b32 v3, 0x80000000, v3
	s_delay_alu instid0(VALU_DEP_2) | instskip(NEXT) | instid1(VALU_DEP_2)
	v_lshl_add_u32 v2, v2, 23, 0x3b800000
	v_lshlrev_b32_e32 v4, 20, v4
	s_delay_alu instid0(VALU_DEP_1) | instskip(NEXT) | instid1(VALU_DEP_1)
	v_or3_b32 v2, v3, v2, v4
	v_cvt_i32_f32_e32 v2, v2
.LBB288_805:
	s_or_b32 exec_lo, exec_lo, s25
.LBB288_806:
	s_mov_b32 s24, -1
.LBB288_807:
	s_mov_b32 s25, 0
.LBB288_808:
	s_delay_alu instid0(SALU_CYCLE_1)
	s_and_b32 vcc_lo, exec_lo, s25
	s_cbranch_vccz .LBB288_839
; %bb.809:
	v_cmp_gt_i16_e64 s23, s10, 22
	s_delay_alu instid0(VALU_DEP_1)
	s_and_b32 vcc_lo, exec_lo, s23
	s_cbranch_vccz .LBB288_817
; %bb.810:
	v_cmp_lt_i16_e64 s23, s10, 24
	s_delay_alu instid0(VALU_DEP_1)
	s_and_b32 vcc_lo, exec_lo, s23
	s_cbranch_vccnz .LBB288_820
; %bb.811:
	v_cmp_gt_i16_e64 s23, s10, 24
	s_delay_alu instid0(VALU_DEP_1)
	s_and_b32 vcc_lo, exec_lo, s23
	s_cbranch_vccz .LBB288_821
; %bb.812:
	global_load_u8 v3, v[0:1], off
	s_mov_b32 s23, 0
	s_mov_b32 s24, exec_lo
                                        ; implicit-def: $sgpr25
	s_waitcnt vmcnt(0)
	v_cmpx_lt_i16_e32 0x7f, v3
	s_xor_b32 s24, exec_lo, s24
	s_cbranch_execz .LBB288_833
; %bb.813:
	v_cmp_ne_u16_e32 vcc_lo, 0x80, v3
	s_mov_b32 s25, 0
	s_and_b32 s23, vcc_lo, exec_lo
	s_or_saveexec_b32 s24, s24
	v_mov_b32_e32 v2, s25
	s_xor_b32 exec_lo, exec_lo, s24
	s_cbranch_execnz .LBB288_834
.LBB288_814:
	s_or_b32 exec_lo, exec_lo, s24
	s_and_saveexec_b32 s24, s23
	s_cbranch_execz .LBB288_816
.LBB288_815:
	v_and_b32_e32 v2, 0xffff, v3
	s_delay_alu instid0(VALU_DEP_1) | instskip(NEXT) | instid1(VALU_DEP_1)
	v_and_b32_e32 v4, 3, v2
	v_clz_i32_u32_e32 v5, v4
	s_delay_alu instid0(VALU_DEP_1) | instskip(NEXT) | instid1(VALU_DEP_1)
	v_min_u32_e32 v5, 32, v5
	v_subrev_nc_u32_e32 v6, 29, v5
	v_sub_nc_u32_e32 v5, 30, v5
	s_delay_alu instid0(VALU_DEP_2) | instskip(SKIP_1) | instid1(VALU_DEP_2)
	v_lshlrev_b32_e32 v6, v6, v2
	v_bfe_u32 v2, v2, 2, 5
	v_and_b32_e32 v6, 3, v6
	s_delay_alu instid0(VALU_DEP_2) | instskip(SKIP_1) | instid1(VALU_DEP_1)
	v_cmp_eq_u32_e32 vcc_lo, 0, v2
	v_dual_cndmask_b32 v2, v2, v5 :: v_dual_lshlrev_b32 v3, 24, v3
	v_dual_cndmask_b32 v4, v4, v6 :: v_dual_and_b32 v3, 0x80000000, v3
	s_delay_alu instid0(VALU_DEP_2) | instskip(NEXT) | instid1(VALU_DEP_2)
	v_lshl_add_u32 v2, v2, 23, 0x37800000
	v_lshlrev_b32_e32 v4, 21, v4
	s_delay_alu instid0(VALU_DEP_1) | instskip(NEXT) | instid1(VALU_DEP_1)
	v_or3_b32 v2, v3, v2, v4
	v_cvt_i32_f32_e32 v2, v2
.LBB288_816:
	s_or_b32 exec_lo, exec_lo, s24
	s_mov_b32 s23, 0
	s_branch .LBB288_822
.LBB288_817:
	s_mov_b32 s23, -1
                                        ; implicit-def: $vgpr2
	s_branch .LBB288_828
.LBB288_818:
	s_or_saveexec_b32 s25, s25
	v_mov_b32_e32 v2, s26
	s_xor_b32 exec_lo, exec_lo, s25
	s_cbranch_execz .LBB288_803
.LBB288_819:
	v_cmp_ne_u16_e32 vcc_lo, 0, v3
	v_mov_b32_e32 v2, 0
	s_and_not1_b32 s24, s24, exec_lo
	s_and_b32 s26, vcc_lo, exec_lo
	s_delay_alu instid0(SALU_CYCLE_1)
	s_or_b32 s24, s24, s26
	s_or_b32 exec_lo, exec_lo, s25
	s_and_saveexec_b32 s25, s24
	s_cbranch_execnz .LBB288_804
	s_branch .LBB288_805
.LBB288_820:
	s_mov_b32 s23, -1
                                        ; implicit-def: $vgpr2
	s_branch .LBB288_825
.LBB288_821:
	s_mov_b32 s23, -1
                                        ; implicit-def: $vgpr2
.LBB288_822:
	s_delay_alu instid0(SALU_CYCLE_1)
	s_and_b32 vcc_lo, exec_lo, s23
	s_cbranch_vccz .LBB288_824
; %bb.823:
	global_load_u8 v2, v[0:1], off
	s_waitcnt vmcnt(0)
	v_lshlrev_b32_e32 v2, 24, v2
	s_delay_alu instid0(VALU_DEP_1) | instskip(NEXT) | instid1(VALU_DEP_1)
	v_and_b32_e32 v3, 0x7f000000, v2
	v_clz_i32_u32_e32 v4, v3
	v_add_nc_u32_e32 v6, 0x1000000, v3
	v_cmp_ne_u32_e32 vcc_lo, 0, v3
	s_delay_alu instid0(VALU_DEP_3) | instskip(NEXT) | instid1(VALU_DEP_1)
	v_min_u32_e32 v4, 32, v4
	v_sub_nc_u32_e64 v4, v4, 4 clamp
	s_delay_alu instid0(VALU_DEP_1) | instskip(SKIP_1) | instid1(VALU_DEP_2)
	v_lshlrev_b32_e32 v5, v4, v3
	v_lshlrev_b32_e32 v4, 23, v4
	v_lshrrev_b32_e32 v5, 4, v5
	s_delay_alu instid0(VALU_DEP_1) | instskip(SKIP_1) | instid1(VALU_DEP_2)
	v_sub_nc_u32_e32 v4, v5, v4
	v_ashrrev_i32_e32 v5, 8, v6
	v_add_nc_u32_e32 v4, 0x3c000000, v4
	s_delay_alu instid0(VALU_DEP_1) | instskip(NEXT) | instid1(VALU_DEP_1)
	v_and_or_b32 v4, 0x7f800000, v5, v4
	v_cndmask_b32_e32 v3, 0, v4, vcc_lo
	s_delay_alu instid0(VALU_DEP_1) | instskip(NEXT) | instid1(VALU_DEP_1)
	v_and_or_b32 v2, 0x80000000, v2, v3
	v_cvt_i32_f32_e32 v2, v2
.LBB288_824:
	s_mov_b32 s23, 0
.LBB288_825:
	s_delay_alu instid0(SALU_CYCLE_1)
	s_and_not1_b32 vcc_lo, exec_lo, s23
	s_cbranch_vccnz .LBB288_827
; %bb.826:
	global_load_u8 v2, v[0:1], off
	s_waitcnt vmcnt(0)
	v_lshlrev_b32_e32 v3, 25, v2
	v_lshlrev_b16 v2, 8, v2
	s_delay_alu instid0(VALU_DEP_2) | instskip(NEXT) | instid1(VALU_DEP_2)
	v_lshrrev_b32_e32 v4, 4, v3
	v_and_or_b32 v5, 0x7f00, v2, 0.5
	v_bfe_i32 v2, v2, 0, 16
	s_delay_alu instid0(VALU_DEP_3) | instskip(NEXT) | instid1(VALU_DEP_1)
	v_or_b32_e32 v4, 0x70000000, v4
	v_dual_add_f32 v5, -0.5, v5 :: v_dual_mul_f32 v4, 0x7800000, v4
	v_cmp_gt_u32_e32 vcc_lo, 0x8000000, v3
	s_delay_alu instid0(VALU_DEP_2) | instskip(NEXT) | instid1(VALU_DEP_1)
	v_cndmask_b32_e32 v3, v4, v5, vcc_lo
	v_and_or_b32 v2, 0x80000000, v2, v3
	s_delay_alu instid0(VALU_DEP_1)
	v_cvt_i32_f32_e32 v2, v2
.LBB288_827:
	s_mov_b32 s23, 0
	s_mov_b32 s24, -1
.LBB288_828:
	s_and_not1_b32 vcc_lo, exec_lo, s23
	s_mov_b32 s23, 0
	s_cbranch_vccnz .LBB288_839
; %bb.829:
	v_cmp_gt_i16_e64 s23, s10, 14
	s_delay_alu instid0(VALU_DEP_1)
	s_and_b32 vcc_lo, exec_lo, s23
	s_cbranch_vccz .LBB288_832
; %bb.830:
	v_cmp_eq_u16_e64 s22, s10, 15
	s_delay_alu instid0(VALU_DEP_1)
	s_and_b32 vcc_lo, exec_lo, s22
	s_cbranch_vccz .LBB288_835
; %bb.831:
	global_load_u16 v2, v[0:1], off
	s_mov_b32 s22, 0
	s_mov_b32 s24, -1
	s_waitcnt vmcnt(0)
	v_lshlrev_b32_e32 v2, 16, v2
	s_delay_alu instid0(VALU_DEP_1)
	v_cvt_i32_f32_e32 v2, v2
	s_branch .LBB288_836
.LBB288_832:
	s_mov_b32 s23, -1
                                        ; implicit-def: $vgpr2
	s_branch .LBB288_837
.LBB288_833:
	s_or_saveexec_b32 s24, s24
	v_mov_b32_e32 v2, s25
	s_xor_b32 exec_lo, exec_lo, s24
	s_cbranch_execz .LBB288_814
.LBB288_834:
	v_cmp_ne_u16_e32 vcc_lo, 0, v3
	v_mov_b32_e32 v2, 0
	s_and_not1_b32 s23, s23, exec_lo
	s_and_b32 s25, vcc_lo, exec_lo
	s_delay_alu instid0(SALU_CYCLE_1)
	s_or_b32 s23, s23, s25
	s_or_b32 exec_lo, exec_lo, s24
	s_and_saveexec_b32 s24, s23
	s_cbranch_execnz .LBB288_815
	s_branch .LBB288_816
.LBB288_835:
	s_mov_b32 s22, -1
                                        ; implicit-def: $vgpr2
.LBB288_836:
	s_mov_b32 s23, 0
.LBB288_837:
	s_delay_alu instid0(SALU_CYCLE_1)
	s_and_b32 vcc_lo, exec_lo, s23
	s_mov_b32 s23, 0
	s_cbranch_vccz .LBB288_839
; %bb.838:
	v_cmp_ne_u16_e64 s23, s10, 11
	s_and_not1_b32 s22, s22, exec_lo
                                        ; implicit-def: $vgpr2
	s_delay_alu instid0(VALU_DEP_1)
	s_and_b32 s25, s23, exec_lo
	s_mov_b32 s23, -1
	s_or_b32 s22, s22, s25
.LBB288_839:
	s_mov_b32 s26, 0
.LBB288_840:
	s_and_b32 s25, s24, exec_lo
	s_and_b32 s24, s26, exec_lo
	s_and_not1_b32 s26, s0, exec_lo
	s_and_b32 s27, s22, exec_lo
	s_and_b32 s22, s23, exec_lo
	s_or_b32 s23, s26, s27
.LBB288_841:
	s_or_b32 exec_lo, exec_lo, s14
	s_delay_alu instid0(SALU_CYCLE_1)
	s_and_not1_b32 s0, s0, exec_lo
	s_and_b32 s14, s23, exec_lo
	s_and_b32 s25, s25, exec_lo
	;; [unrolled: 1-line block ×4, first 2 shown]
	s_or_b32 s0, s0, s14
.LBB288_842:
	s_or_b32 exec_lo, exec_lo, s20
	s_delay_alu instid0(SALU_CYCLE_1)
	s_and_not1_b32 s14, s18, exec_lo
	s_and_b32 s18, s21, exec_lo
	s_and_b32 s0, s0, exec_lo
	s_or_b32 s18, s14, s18
	s_and_not1_b32 s14, s17, exec_lo
	s_and_b32 s22, s25, exec_lo
	s_and_b32 s21, s24, exec_lo
	;; [unrolled: 1-line block ×3, first 2 shown]
	s_or_b32 s17, s14, s0
.LBB288_843:
	s_or_b32 exec_lo, exec_lo, s19
	s_delay_alu instid0(SALU_CYCLE_1)
	s_and_not1_b32 s0, s13, exec_lo
	s_and_b32 s13, s18, exec_lo
	s_and_not1_b32 s14, s15, exec_lo
	s_and_b32 s15, s17, exec_lo
	s_or_b32 s13, s0, s13
	s_and_b32 s0, s22, exec_lo
	s_and_b32 s18, s21, exec_lo
	s_and_b32 s17, s20, exec_lo
	s_or_b32 s15, s14, s15
.LBB288_844:
	s_or_b32 exec_lo, exec_lo, s16
	s_mov_b32 s14, 0
	s_and_saveexec_b32 s16, s15
	s_cbranch_execnz .LBB288_856
; %bb.845:
	s_or_b32 exec_lo, exec_lo, s16
	s_and_saveexec_b32 s15, s17
	s_delay_alu instid0(SALU_CYCLE_1)
	s_xor_b32 s15, exec_lo, s15
	s_cbranch_execz .LBB288_847
.LBB288_846:
	global_load_u8 v2, v[0:1], off
	s_or_b32 s0, s0, exec_lo
	s_waitcnt vmcnt(0)
	v_cmp_ne_u16_e32 vcc_lo, 0, v2
	v_cndmask_b32_e64 v2, 0, 1, vcc_lo
.LBB288_847:
	s_or_b32 exec_lo, exec_lo, s15
	s_and_saveexec_b32 s15, s18
	s_cbranch_execz .LBB288_895
; %bb.848:
	v_cmp_lt_i16_e64 s16, s10, 5
	s_delay_alu instid0(VALU_DEP_1)
	s_and_b32 vcc_lo, exec_lo, s16
	s_cbranch_vccnz .LBB288_853
; %bb.849:
	v_cmp_lt_i16_e64 s16, s10, 8
	s_delay_alu instid0(VALU_DEP_1)
	s_and_b32 vcc_lo, exec_lo, s16
	s_cbranch_vccnz .LBB288_854
	;; [unrolled: 5-line block ×3, first 2 shown]
; %bb.851:
	v_cmp_gt_i16_e64 s16, s10, 9
	s_delay_alu instid0(VALU_DEP_1)
	s_and_b32 vcc_lo, exec_lo, s16
	s_cbranch_vccz .LBB288_858
; %bb.852:
	global_load_b64 v[2:3], v[0:1], off
	s_mov_b32 s16, 0
	s_waitcnt vmcnt(0)
	v_cvt_i32_f64_e32 v2, v[2:3]
	s_branch .LBB288_859
.LBB288_853:
                                        ; implicit-def: $vgpr2
	s_branch .LBB288_876
.LBB288_854:
                                        ; implicit-def: $vgpr2
	s_branch .LBB288_865
.LBB288_855:
	s_mov_b32 s16, -1
                                        ; implicit-def: $vgpr2
	s_branch .LBB288_862
.LBB288_856:
	s_cbranch_execnz .LBB288_904
; %bb.857:
	s_mov_b32 s14, exec_lo
	s_and_not1_b32 s17, s17, exec_lo
                                        ; implicit-def: $vgpr2
	s_or_b32 exec_lo, exec_lo, s16
	s_and_saveexec_b32 s15, s17
	s_delay_alu instid0(SALU_CYCLE_1)
	s_xor_b32 s15, exec_lo, s15
	s_cbranch_execnz .LBB288_846
	s_branch .LBB288_847
.LBB288_858:
	s_mov_b32 s16, -1
                                        ; implicit-def: $vgpr2
.LBB288_859:
	s_delay_alu instid0(SALU_CYCLE_1)
	s_and_not1_b32 vcc_lo, exec_lo, s16
	s_cbranch_vccnz .LBB288_861
; %bb.860:
	global_load_b32 v2, v[0:1], off
	s_waitcnt vmcnt(0)
	v_cvt_i32_f32_e32 v2, v2
.LBB288_861:
	s_mov_b32 s16, 0
.LBB288_862:
	s_delay_alu instid0(SALU_CYCLE_1)
	s_and_not1_b32 vcc_lo, exec_lo, s16
	s_cbranch_vccnz .LBB288_864
; %bb.863:
	global_load_b32 v2, v[0:1], off
	s_waitcnt vmcnt(0)
	v_cvt_i16_f16_e32 v2, v2
.LBB288_864:
	s_cbranch_execnz .LBB288_875
.LBB288_865:
	v_cmp_lt_i16_e64 s16, s10, 6
	s_delay_alu instid0(VALU_DEP_1)
	s_and_b32 vcc_lo, exec_lo, s16
	s_cbranch_vccnz .LBB288_868
; %bb.866:
	v_cmp_gt_i16_e64 s16, s10, 6
	s_delay_alu instid0(VALU_DEP_1)
	s_and_b32 vcc_lo, exec_lo, s16
	s_cbranch_vccz .LBB288_869
; %bb.867:
	global_load_b64 v[2:3], v[0:1], off
	s_mov_b32 s16, 0
	s_waitcnt vmcnt(0)
	v_cvt_i32_f64_e32 v2, v[2:3]
	s_branch .LBB288_870
.LBB288_868:
	s_mov_b32 s16, -1
                                        ; implicit-def: $vgpr2
	s_branch .LBB288_873
.LBB288_869:
	s_mov_b32 s16, -1
                                        ; implicit-def: $vgpr2
.LBB288_870:
	s_delay_alu instid0(SALU_CYCLE_1)
	s_and_not1_b32 vcc_lo, exec_lo, s16
	s_cbranch_vccnz .LBB288_872
; %bb.871:
	global_load_b32 v2, v[0:1], off
	s_waitcnt vmcnt(0)
	v_cvt_i32_f32_e32 v2, v2
.LBB288_872:
	s_mov_b32 s16, 0
.LBB288_873:
	s_delay_alu instid0(SALU_CYCLE_1)
	s_and_not1_b32 vcc_lo, exec_lo, s16
	s_cbranch_vccnz .LBB288_875
; %bb.874:
	global_load_u16 v2, v[0:1], off
	s_waitcnt vmcnt(0)
	v_cvt_i16_f16_e32 v2, v2
.LBB288_875:
	s_cbranch_execnz .LBB288_894
.LBB288_876:
	v_cmp_lt_i16_e64 s16, s10, 2
	s_delay_alu instid0(VALU_DEP_1)
	s_and_b32 vcc_lo, exec_lo, s16
	s_cbranch_vccnz .LBB288_880
; %bb.877:
	v_cmp_lt_i16_e64 s16, s10, 3
	s_delay_alu instid0(VALU_DEP_1)
	s_and_b32 vcc_lo, exec_lo, s16
	s_cbranch_vccnz .LBB288_881
; %bb.878:
	v_cmp_gt_i16_e64 s16, s10, 3
	s_delay_alu instid0(VALU_DEP_1)
	s_and_b32 vcc_lo, exec_lo, s16
	s_cbranch_vccz .LBB288_882
; %bb.879:
	global_load_b64 v[2:3], v[0:1], off
	s_mov_b32 s16, 0
	s_branch .LBB288_883
.LBB288_880:
                                        ; implicit-def: $vgpr2
	s_branch .LBB288_889
.LBB288_881:
	s_mov_b32 s16, -1
                                        ; implicit-def: $vgpr2
	s_branch .LBB288_886
.LBB288_882:
	s_mov_b32 s16, -1
                                        ; implicit-def: $vgpr2
.LBB288_883:
	s_delay_alu instid0(SALU_CYCLE_1)
	s_and_not1_b32 vcc_lo, exec_lo, s16
	s_cbranch_vccnz .LBB288_885
; %bb.884:
	global_load_b32 v2, v[0:1], off
.LBB288_885:
	s_mov_b32 s16, 0
.LBB288_886:
	s_delay_alu instid0(SALU_CYCLE_1)
	s_and_not1_b32 vcc_lo, exec_lo, s16
	s_cbranch_vccnz .LBB288_888
; %bb.887:
	global_load_u16 v2, v[0:1], off
.LBB288_888:
	s_cbranch_execnz .LBB288_894
.LBB288_889:
	v_cmp_gt_i16_e64 s16, s10, 0
	s_delay_alu instid0(VALU_DEP_1)
	s_and_b32 vcc_lo, exec_lo, s16
	s_mov_b32 s16, 0
	s_cbranch_vccz .LBB288_891
; %bb.890:
	global_load_u8 v2, v[0:1], off
	s_branch .LBB288_892
.LBB288_891:
	s_mov_b32 s16, -1
                                        ; implicit-def: $vgpr2
.LBB288_892:
	s_delay_alu instid0(SALU_CYCLE_1)
	s_and_not1_b32 vcc_lo, exec_lo, s16
	s_cbranch_vccnz .LBB288_894
; %bb.893:
	global_load_u8 v2, v[0:1], off
.LBB288_894:
	s_or_b32 s0, s0, exec_lo
.LBB288_895:
	s_or_b32 exec_lo, exec_lo, s15
	s_mov_b32 s17, 0
	s_mov_b32 s16, 0
                                        ; implicit-def: $vgpr4
                                        ; implicit-def: $vgpr0_vgpr1
                                        ; implicit-def: $vgpr3
	s_and_saveexec_b32 s15, s0
	s_cbranch_execz .LBB288_975
; %bb.896:
	v_mul_lo_u32 v1, v9, s2
	s_waitcnt vmcnt(0)
	s_delay_alu instid0(VALU_DEP_2) | instskip(SKIP_2) | instid1(VALU_DEP_2)
	v_bfe_i32 v0, v2, 0, 8
	s_bfe_i32 s0, s8, 0x80000
	v_and_b32_e64 v4, 0xff, s9
	v_max_i16 v0, v0, s0
	s_bfe_i32 s0, s1, 0x80000
	s_delay_alu instid0(VALU_DEP_4) | instskip(NEXT) | instid1(VALU_DEP_3)
	v_ashrrev_i32_e32 v2, 31, v1
	v_cmp_gt_i16_e32 vcc_lo, 11, v4
	s_delay_alu instid0(VALU_DEP_3) | instskip(SKIP_1) | instid1(VALU_DEP_1)
	v_min_i16 v3, v0, s0
	v_add_co_u32 v0, s0, s4, v1
	v_add_co_ci_u32_e64 v1, s0, s5, v2, s0
	s_cbranch_vccnz .LBB288_903
; %bb.897:
	v_cmp_lt_i16_e32 vcc_lo, 25, v4
	s_mov_b32 s16, -1
	s_mov_b32 s0, s13
	s_cbranch_vccz .LBB288_933
; %bb.898:
	v_cmp_lt_i16_e32 vcc_lo, 28, v4
	s_mov_b32 s0, s13
	s_cbranch_vccz .LBB288_917
; %bb.899:
	v_cmp_lt_i16_e32 vcc_lo, 43, v4
	;; [unrolled: 4-line block ×3, first 2 shown]
	s_mov_b32 s0, s13
	s_cbranch_vccz .LBB288_907
; %bb.901:
	v_cmp_eq_u16_e32 vcc_lo, 46, v4
	s_mov_b32 s0, -1
	s_cbranch_vccz .LBB288_906
; %bb.902:
	v_bfe_i32 v2, v3, 0, 16
	s_mov_b32 s0, 0
	s_mov_b32 s16, 0
	s_delay_alu instid0(VALU_DEP_1) | instskip(NEXT) | instid1(VALU_DEP_1)
	v_cvt_f32_i32_e32 v2, v2
	v_bfe_u32 v5, v2, 16, 1
	s_delay_alu instid0(VALU_DEP_1) | instskip(NEXT) | instid1(VALU_DEP_1)
	v_add3_u32 v2, v2, v5, 0x7fff
	v_lshrrev_b32_e32 v2, 16, v2
	global_store_b32 v[0:1], v2, off
	s_branch .LBB288_907
.LBB288_903:
	s_mov_b32 s16, -1
	s_mov_b32 s0, s13
	s_branch .LBB288_974
.LBB288_904:
	s_trap 2
	s_sendmsg_rtn_b32 s0, sendmsg(MSG_RTN_GET_DOORBELL)
	s_mov_b32 ttmp2, m0
	s_waitcnt lgkmcnt(0)
	s_and_b32 s0, s0, 0x3ff
	s_delay_alu instid0(SALU_CYCLE_1) | instskip(NEXT) | instid1(SALU_CYCLE_1)
	s_bitset1_b32 s0, 10
	s_mov_b32 m0, s0
	s_sendmsg sendmsg(MSG_INTERRUPT)
	s_mov_b32 m0, ttmp2
.LBB288_905:                            ; =>This Inner Loop Header: Depth=1
	s_sethalt 5
	s_branch .LBB288_905
.LBB288_906:
	s_mov_b32 s16, 0
.LBB288_907:
	s_delay_alu instid0(SALU_CYCLE_1)
	s_and_b32 vcc_lo, exec_lo, s16
	s_cbranch_vccz .LBB288_912
; %bb.908:
	v_cmp_eq_u16_e32 vcc_lo, 44, v4
	s_mov_b32 s0, -1
	s_cbranch_vccz .LBB288_912
; %bb.909:
	v_bfe_i32 v2, v3, 0, 16
	v_mov_b32_e32 v5, 0xff
	s_mov_b32 s16, exec_lo
	s_delay_alu instid0(VALU_DEP_2) | instskip(NEXT) | instid1(VALU_DEP_1)
	v_cvt_f32_i32_e32 v2, v2
	v_bfe_u32 v6, v2, 23, 8
	s_delay_alu instid0(VALU_DEP_1)
	v_cmpx_ne_u32_e32 0xff, v6
; %bb.910:
	v_and_b32_e32 v5, 0x400000, v2
	v_and_or_b32 v6, 0x3fffff, v2, v6
	v_lshrrev_b32_e32 v2, 23, v2
	s_delay_alu instid0(VALU_DEP_3) | instskip(NEXT) | instid1(VALU_DEP_3)
	v_cmp_ne_u32_e32 vcc_lo, 0, v5
	v_cmp_ne_u32_e64 s0, 0, v6
	s_delay_alu instid0(VALU_DEP_1) | instskip(NEXT) | instid1(SALU_CYCLE_1)
	s_and_b32 s0, vcc_lo, s0
	v_cndmask_b32_e64 v5, 0, 1, s0
	s_delay_alu instid0(VALU_DEP_1)
	v_add_nc_u32_e32 v5, v2, v5
; %bb.911:
	s_or_b32 exec_lo, exec_lo, s16
	s_mov_b32 s0, 0
	global_store_b8 v[0:1], v5, off
.LBB288_912:
	s_mov_b32 s16, 0
.LBB288_913:
	s_delay_alu instid0(SALU_CYCLE_1)
	s_and_b32 vcc_lo, exec_lo, s16
	s_cbranch_vccz .LBB288_916
; %bb.914:
	v_cmp_eq_u16_e32 vcc_lo, 29, v4
	s_mov_b32 s0, -1
	s_cbranch_vccz .LBB288_916
; %bb.915:
	v_bfe_i32 v5, v3, 0, 16
	s_mov_b32 s0, 0
	s_mov_b32 s16, 0
	s_delay_alu instid0(VALU_DEP_1)
	v_ashrrev_i32_e32 v6, 31, v5
	global_store_b64 v[0:1], v[5:6], off
	s_branch .LBB288_917
.LBB288_916:
	s_mov_b32 s16, 0
.LBB288_917:
	s_delay_alu instid0(SALU_CYCLE_1)
	s_and_b32 vcc_lo, exec_lo, s16
	s_cbranch_vccz .LBB288_932
; %bb.918:
	v_cmp_gt_i16_e32 vcc_lo, 27, v4
	s_mov_b32 s16, -1
	s_cbranch_vccnz .LBB288_924
; %bb.919:
	v_cmp_lt_i16_e32 vcc_lo, 27, v4
	s_cbranch_vccz .LBB288_921
; %bb.920:
	v_bfe_i32 v2, v3, 0, 16
	s_mov_b32 s16, 0
	global_store_b32 v[0:1], v2, off
.LBB288_921:
	s_and_not1_b32 vcc_lo, exec_lo, s16
	s_cbranch_vccnz .LBB288_923
; %bb.922:
	global_store_b16 v[0:1], v3, off
.LBB288_923:
	s_mov_b32 s16, 0
.LBB288_924:
	s_delay_alu instid0(SALU_CYCLE_1)
	s_and_not1_b32 vcc_lo, exec_lo, s16
	s_cbranch_vccnz .LBB288_932
; %bb.925:
	v_bfe_i32 v2, v3, 0, 16
	v_mov_b32_e32 v6, 0x80
	s_mov_b32 s16, exec_lo
	s_delay_alu instid0(VALU_DEP_2) | instskip(NEXT) | instid1(VALU_DEP_1)
	v_cvt_f32_i32_e32 v2, v2
	v_and_b32_e32 v5, 0x7fffffff, v2
	s_delay_alu instid0(VALU_DEP_1)
	v_cmpx_gt_u32_e32 0x43800000, v5
	s_cbranch_execz .LBB288_931
; %bb.926:
	v_cmp_lt_u32_e32 vcc_lo, 0x3bffffff, v5
                                        ; implicit-def: $vgpr5
	s_and_saveexec_b32 s18, vcc_lo
	s_delay_alu instid0(SALU_CYCLE_1)
	s_xor_b32 s18, exec_lo, s18
	s_cbranch_execz .LBB288_1161
; %bb.927:
	v_bfe_u32 v5, v2, 20, 1
	s_mov_b32 s17, exec_lo
	s_delay_alu instid0(VALU_DEP_1) | instskip(NEXT) | instid1(VALU_DEP_1)
	v_add3_u32 v5, v2, v5, 0x487ffff
	v_lshrrev_b32_e32 v5, 20, v5
	s_or_saveexec_b32 s18, s18
                                        ; implicit-def: $sgpr19
	s_delay_alu instid0(SALU_CYCLE_1)
	s_xor_b32 exec_lo, exec_lo, s18
	s_cbranch_execnz .LBB288_1162
.LBB288_928:
	s_or_b32 exec_lo, exec_lo, s18
	v_mov_b32_e32 v6, s19
	s_and_saveexec_b32 s18, s17
.LBB288_929:
	v_lshrrev_b32_e32 v2, 24, v2
	s_delay_alu instid0(VALU_DEP_1)
	v_and_or_b32 v6, 0x80, v2, v5
.LBB288_930:
	s_or_b32 exec_lo, exec_lo, s18
.LBB288_931:
	s_delay_alu instid0(SALU_CYCLE_1)
	s_or_b32 exec_lo, exec_lo, s16
	global_store_b8 v[0:1], v6, off
.LBB288_932:
	s_mov_b32 s16, 0
.LBB288_933:
	s_delay_alu instid0(SALU_CYCLE_1)
	s_and_b32 vcc_lo, exec_lo, s16
	s_mov_b32 s16, 0
	s_cbranch_vccz .LBB288_973
; %bb.934:
	v_cmp_lt_i16_e32 vcc_lo, 22, v4
	s_mov_b32 s17, -1
	s_cbranch_vccz .LBB288_966
; %bb.935:
	v_cmp_gt_i16_e32 vcc_lo, 24, v4
	s_cbranch_vccnz .LBB288_955
; %bb.936:
	v_cmp_lt_i16_e32 vcc_lo, 24, v4
	s_cbranch_vccz .LBB288_944
; %bb.937:
	v_bfe_i32 v2, v3, 0, 16
	v_mov_b32_e32 v6, 0x80
	s_mov_b32 s17, exec_lo
	s_delay_alu instid0(VALU_DEP_2) | instskip(NEXT) | instid1(VALU_DEP_1)
	v_cvt_f32_i32_e32 v2, v2
	v_and_b32_e32 v5, 0x7fffffff, v2
	s_delay_alu instid0(VALU_DEP_1)
	v_cmpx_gt_u32_e32 0x47800000, v5
	s_cbranch_execz .LBB288_943
; %bb.938:
	v_cmp_lt_u32_e32 vcc_lo, 0x37ffffff, v5
	s_mov_b32 s18, 0
                                        ; implicit-def: $vgpr5
	s_and_saveexec_b32 s19, vcc_lo
	s_delay_alu instid0(SALU_CYCLE_1)
	s_xor_b32 s19, exec_lo, s19
	s_cbranch_execz .LBB288_1205
; %bb.939:
	v_bfe_u32 v5, v2, 21, 1
	s_mov_b32 s18, exec_lo
	s_delay_alu instid0(VALU_DEP_1) | instskip(NEXT) | instid1(VALU_DEP_1)
	v_add3_u32 v5, v2, v5, 0x88fffff
	v_lshrrev_b32_e32 v5, 21, v5
	s_or_saveexec_b32 s19, s19
                                        ; implicit-def: $sgpr20
	s_delay_alu instid0(SALU_CYCLE_1)
	s_xor_b32 exec_lo, exec_lo, s19
	s_cbranch_execnz .LBB288_1206
.LBB288_940:
	s_or_b32 exec_lo, exec_lo, s19
	v_mov_b32_e32 v6, s20
	s_and_saveexec_b32 s19, s18
.LBB288_941:
	v_lshrrev_b32_e32 v2, 24, v2
	s_delay_alu instid0(VALU_DEP_1)
	v_and_or_b32 v6, 0x80, v2, v5
.LBB288_942:
	s_or_b32 exec_lo, exec_lo, s19
.LBB288_943:
	s_delay_alu instid0(SALU_CYCLE_1)
	s_or_b32 exec_lo, exec_lo, s17
	s_mov_b32 s17, 0
	global_store_b8 v[0:1], v6, off
.LBB288_944:
	s_and_b32 vcc_lo, exec_lo, s17
	s_cbranch_vccz .LBB288_954
; %bb.945:
	v_bfe_i32 v2, v3, 0, 16
	s_mov_b32 s17, exec_lo
                                        ; implicit-def: $vgpr5
	s_delay_alu instid0(VALU_DEP_1) | instskip(NEXT) | instid1(VALU_DEP_1)
	v_cvt_f32_i32_e32 v2, v2
	v_and_b32_e32 v6, 0x7fffffff, v2
	s_delay_alu instid0(VALU_DEP_1)
	v_cmpx_gt_u32_e32 0x43f00000, v6
	s_xor_b32 s17, exec_lo, s17
	s_cbranch_execz .LBB288_951
; %bb.946:
	s_mov_b32 s18, exec_lo
                                        ; implicit-def: $vgpr5
	v_cmpx_lt_u32_e32 0x3c7fffff, v6
	s_xor_b32 s18, exec_lo, s18
; %bb.947:
	v_bfe_u32 v5, v2, 20, 1
	s_delay_alu instid0(VALU_DEP_1) | instskip(NEXT) | instid1(VALU_DEP_1)
	v_add3_u32 v5, v2, v5, 0x407ffff
	v_and_b32_e32 v6, 0xff00000, v5
	v_lshrrev_b32_e32 v5, 20, v5
	s_delay_alu instid0(VALU_DEP_2) | instskip(NEXT) | instid1(VALU_DEP_2)
	v_cmp_ne_u32_e32 vcc_lo, 0x7f00000, v6
	v_cndmask_b32_e32 v5, 0x7e, v5, vcc_lo
; %bb.948:
	s_and_not1_saveexec_b32 s18, s18
; %bb.949:
	v_add_f32_e64 v5, 0x46800000, |v2|
; %bb.950:
	s_or_b32 exec_lo, exec_lo, s18
                                        ; implicit-def: $vgpr6
.LBB288_951:
	s_and_not1_saveexec_b32 s17, s17
; %bb.952:
	v_mov_b32_e32 v5, 0x7f
	v_cmp_lt_u32_e32 vcc_lo, 0x7f800000, v6
	s_delay_alu instid0(VALU_DEP_2)
	v_cndmask_b32_e32 v5, 0x7e, v5, vcc_lo
; %bb.953:
	s_or_b32 exec_lo, exec_lo, s17
	v_lshrrev_b32_e32 v2, 24, v2
	s_delay_alu instid0(VALU_DEP_1)
	v_and_or_b32 v2, 0x80, v2, v5
	global_store_b8 v[0:1], v2, off
.LBB288_954:
	s_mov_b32 s17, 0
.LBB288_955:
	s_delay_alu instid0(SALU_CYCLE_1)
	s_and_not1_b32 vcc_lo, exec_lo, s17
	s_cbranch_vccnz .LBB288_965
; %bb.956:
	v_bfe_i32 v2, v3, 0, 16
	s_mov_b32 s17, exec_lo
                                        ; implicit-def: $vgpr5
	s_delay_alu instid0(VALU_DEP_1) | instskip(NEXT) | instid1(VALU_DEP_1)
	v_cvt_f32_i32_e32 v2, v2
	v_and_b32_e32 v6, 0x7fffffff, v2
	s_delay_alu instid0(VALU_DEP_1)
	v_cmpx_gt_u32_e32 0x47800000, v6
	s_xor_b32 s17, exec_lo, s17
	s_cbranch_execz .LBB288_962
; %bb.957:
	s_mov_b32 s18, exec_lo
                                        ; implicit-def: $vgpr5
	v_cmpx_lt_u32_e32 0x387fffff, v6
	s_xor_b32 s18, exec_lo, s18
; %bb.958:
	v_bfe_u32 v5, v2, 21, 1
	s_delay_alu instid0(VALU_DEP_1) | instskip(NEXT) | instid1(VALU_DEP_1)
	v_add3_u32 v5, v2, v5, 0x80fffff
	v_lshrrev_b32_e32 v5, 21, v5
; %bb.959:
	s_and_not1_saveexec_b32 s18, s18
; %bb.960:
	v_add_f32_e64 v5, 0x43000000, |v2|
; %bb.961:
	s_or_b32 exec_lo, exec_lo, s18
                                        ; implicit-def: $vgpr6
.LBB288_962:
	s_and_not1_saveexec_b32 s17, s17
; %bb.963:
	v_mov_b32_e32 v5, 0x7f
	v_cmp_lt_u32_e32 vcc_lo, 0x7f800000, v6
	s_delay_alu instid0(VALU_DEP_2)
	v_cndmask_b32_e32 v5, 0x7c, v5, vcc_lo
; %bb.964:
	s_or_b32 exec_lo, exec_lo, s17
	v_lshrrev_b32_e32 v2, 24, v2
	s_delay_alu instid0(VALU_DEP_1)
	v_and_or_b32 v2, 0x80, v2, v5
	global_store_b8 v[0:1], v2, off
.LBB288_965:
	s_mov_b32 s17, 0
.LBB288_966:
	s_delay_alu instid0(SALU_CYCLE_1)
	s_and_not1_b32 vcc_lo, exec_lo, s17
	s_mov_b32 s17, 0
	s_cbranch_vccnz .LBB288_974
; %bb.967:
	v_cmp_lt_i16_e32 vcc_lo, 14, v4
	s_mov_b32 s17, -1
	s_cbranch_vccz .LBB288_971
; %bb.968:
	v_cmp_eq_u16_e32 vcc_lo, 15, v4
	s_mov_b32 s0, -1
	s_cbranch_vccz .LBB288_970
; %bb.969:
	v_bfe_i32 v2, v3, 0, 16
	s_mov_b32 s0, 0
	s_delay_alu instid0(VALU_DEP_1) | instskip(NEXT) | instid1(VALU_DEP_1)
	v_cvt_f32_i32_e32 v2, v2
	v_bfe_u32 v5, v2, 16, 1
	s_delay_alu instid0(VALU_DEP_1)
	v_add3_u32 v2, v2, v5, 0x7fff
	global_store_d16_hi_b16 v[0:1], v2, off
.LBB288_970:
	s_mov_b32 s17, 0
.LBB288_971:
	s_delay_alu instid0(SALU_CYCLE_1)
	s_and_b32 vcc_lo, exec_lo, s17
	s_mov_b32 s17, 0
	s_cbranch_vccz .LBB288_974
; %bb.972:
	v_cmp_ne_u16_e32 vcc_lo, 11, v4
	s_and_not1_b32 s0, s0, exec_lo
	s_mov_b32 s17, -1
	s_and_b32 s18, vcc_lo, exec_lo
	s_delay_alu instid0(SALU_CYCLE_1)
	s_or_b32 s0, s0, s18
	s_branch .LBB288_974
.LBB288_973:
	s_mov_b32 s17, 0
.LBB288_974:
	s_and_not1_b32 s13, s13, exec_lo
	s_and_b32 s0, s0, exec_lo
	s_and_b32 s16, s16, exec_lo
	;; [unrolled: 1-line block ×3, first 2 shown]
	s_or_b32 s13, s13, s0
.LBB288_975:
	s_or_b32 exec_lo, exec_lo, s15
	s_and_saveexec_b32 s0, s13
	s_cbranch_execnz .LBB288_1037
; %bb.976:
	s_or_b32 exec_lo, exec_lo, s0
	s_and_saveexec_b32 s0, s17
	s_delay_alu instid0(SALU_CYCLE_1)
	s_xor_b32 s0, exec_lo, s0
	s_cbranch_execz .LBB288_978
.LBB288_977:
	s_waitcnt vmcnt(0)
	v_and_b32_e32 v2, 0xff, v3
	s_delay_alu instid0(VALU_DEP_1)
	v_cmp_ne_u16_e32 vcc_lo, 0, v2
	v_cndmask_b32_e64 v2, 0, 1, vcc_lo
	global_store_b8 v[0:1], v2, off
.LBB288_978:
	s_or_b32 exec_lo, exec_lo, s0
	s_and_saveexec_b32 s0, s16
	s_delay_alu instid0(SALU_CYCLE_1)
	s_xor_b32 s0, exec_lo, s0
	s_cbranch_execz .LBB288_1016
; %bb.979:
	v_cmp_gt_i16_e32 vcc_lo, 5, v4
	s_mov_b32 s13, -1
	s_cbranch_vccnz .LBB288_1000
; %bb.980:
	v_cmp_gt_i16_e32 vcc_lo, 8, v4
	s_cbranch_vccnz .LBB288_990
; %bb.981:
	v_cmp_gt_i16_e32 vcc_lo, 9, v4
	s_cbranch_vccnz .LBB288_987
; %bb.982:
	v_cmp_lt_i16_e32 vcc_lo, 9, v4
	s_cbranch_vccz .LBB288_984
; %bb.983:
	s_waitcnt vmcnt(0)
	v_bfe_i32 v2, v3, 0, 8
	v_mov_b32_e32 v7, 0
	s_mov_b32 s13, 0
	s_delay_alu instid0(VALU_DEP_2) | instskip(NEXT) | instid1(VALU_DEP_2)
	v_bfe_i32 v2, v2, 0, 16
	v_mov_b32_e32 v8, v7
	s_delay_alu instid0(VALU_DEP_2)
	v_cvt_f64_i32_e32 v[5:6], v2
	global_store_b128 v[0:1], v[5:8], off
.LBB288_984:
	s_and_not1_b32 vcc_lo, exec_lo, s13
	s_cbranch_vccnz .LBB288_986
; %bb.985:
	s_waitcnt vmcnt(0)
	v_bfe_i32 v2, v3, 0, 8
	v_mov_b32_e32 v6, 0
	s_delay_alu instid0(VALU_DEP_2) | instskip(NEXT) | instid1(VALU_DEP_1)
	v_bfe_i32 v2, v2, 0, 16
	v_cvt_f32_i32_e32 v5, v2
	global_store_b64 v[0:1], v[5:6], off
.LBB288_986:
	s_mov_b32 s13, 0
.LBB288_987:
	s_delay_alu instid0(SALU_CYCLE_1)
	s_and_not1_b32 vcc_lo, exec_lo, s13
	s_cbranch_vccnz .LBB288_989
; %bb.988:
	s_waitcnt vmcnt(0)
	v_bfe_i32 v2, v3, 0, 8
	s_delay_alu instid0(VALU_DEP_1) | instskip(NEXT) | instid1(VALU_DEP_1)
	v_cvt_f16_i16_e32 v2, v2
	v_and_b32_e32 v2, 0xffff, v2
	global_store_b32 v[0:1], v2, off
.LBB288_989:
	s_mov_b32 s13, 0
.LBB288_990:
	s_delay_alu instid0(SALU_CYCLE_1)
	s_and_not1_b32 vcc_lo, exec_lo, s13
	s_cbranch_vccnz .LBB288_999
; %bb.991:
	v_cmp_gt_i16_e32 vcc_lo, 6, v4
	s_mov_b32 s13, -1
	s_cbranch_vccnz .LBB288_997
; %bb.992:
	v_cmp_lt_i16_e32 vcc_lo, 6, v4
	s_cbranch_vccz .LBB288_994
; %bb.993:
	s_waitcnt vmcnt(0)
	v_bfe_i32 v2, v3, 0, 8
	s_mov_b32 s13, 0
	s_delay_alu instid0(VALU_DEP_1) | instskip(NEXT) | instid1(VALU_DEP_1)
	v_bfe_i32 v2, v2, 0, 16
	v_cvt_f64_i32_e32 v[5:6], v2
	global_store_b64 v[0:1], v[5:6], off
.LBB288_994:
	s_and_not1_b32 vcc_lo, exec_lo, s13
	s_cbranch_vccnz .LBB288_996
; %bb.995:
	s_waitcnt vmcnt(0)
	v_bfe_i32 v2, v3, 0, 8
	s_delay_alu instid0(VALU_DEP_1) | instskip(NEXT) | instid1(VALU_DEP_1)
	v_bfe_i32 v2, v2, 0, 16
	v_cvt_f32_i32_e32 v2, v2
	global_store_b32 v[0:1], v2, off
.LBB288_996:
	s_mov_b32 s13, 0
.LBB288_997:
	s_delay_alu instid0(SALU_CYCLE_1)
	s_and_not1_b32 vcc_lo, exec_lo, s13
	s_cbranch_vccnz .LBB288_999
; %bb.998:
	s_waitcnt vmcnt(0)
	v_bfe_i32 v2, v3, 0, 8
	s_delay_alu instid0(VALU_DEP_1)
	v_cvt_f16_i16_e32 v2, v2
	global_store_b16 v[0:1], v2, off
.LBB288_999:
	s_mov_b32 s13, 0
.LBB288_1000:
	s_delay_alu instid0(SALU_CYCLE_1)
	s_and_not1_b32 vcc_lo, exec_lo, s13
	s_cbranch_vccnz .LBB288_1016
; %bb.1001:
	v_cmp_gt_i16_e32 vcc_lo, 2, v4
	s_mov_b32 s13, -1
	s_cbranch_vccnz .LBB288_1011
; %bb.1002:
	v_cmp_gt_i16_e32 vcc_lo, 3, v4
	s_cbranch_vccnz .LBB288_1008
; %bb.1003:
	v_cmp_lt_i16_e32 vcc_lo, 3, v4
	s_cbranch_vccz .LBB288_1005
; %bb.1004:
	s_waitcnt vmcnt(0)
	v_bfe_i32 v5, v3, 0, 8
	s_mov_b32 s13, 0
	s_delay_alu instid0(VALU_DEP_1)
	v_ashrrev_i32_e32 v6, 31, v5
	global_store_b64 v[0:1], v[5:6], off
.LBB288_1005:
	s_and_not1_b32 vcc_lo, exec_lo, s13
	s_cbranch_vccnz .LBB288_1007
; %bb.1006:
	s_waitcnt vmcnt(0)
	v_bfe_i32 v2, v3, 0, 8
	global_store_b32 v[0:1], v2, off
.LBB288_1007:
	s_mov_b32 s13, 0
.LBB288_1008:
	s_delay_alu instid0(SALU_CYCLE_1)
	s_and_not1_b32 vcc_lo, exec_lo, s13
	s_cbranch_vccnz .LBB288_1010
; %bb.1009:
	s_waitcnt vmcnt(0)
	v_bfe_i32 v2, v3, 0, 8
	global_store_b16 v[0:1], v2, off
.LBB288_1010:
	s_mov_b32 s13, 0
.LBB288_1011:
	s_delay_alu instid0(SALU_CYCLE_1)
	s_and_not1_b32 vcc_lo, exec_lo, s13
	s_cbranch_vccnz .LBB288_1016
; %bb.1012:
	v_cmp_lt_i16_e32 vcc_lo, 0, v4
	s_mov_b32 s13, -1
	s_cbranch_vccz .LBB288_1014
; %bb.1013:
	s_mov_b32 s13, 0
	s_waitcnt vmcnt(0)
	global_store_b8 v[0:1], v3, off
.LBB288_1014:
	s_and_not1_b32 vcc_lo, exec_lo, s13
	s_cbranch_vccnz .LBB288_1016
; %bb.1015:
	s_waitcnt vmcnt(0)
	global_store_b8 v[0:1], v3, off
.LBB288_1016:
	s_or_b32 exec_lo, exec_lo, s0
	s_delay_alu instid0(SALU_CYCLE_1)
	s_and_b32 s13, s14, exec_lo
                                        ; implicit-def: $vgpr9
.LBB288_1017:
	s_or_saveexec_b32 s12, s12
	s_mov_b32 s0, 0
                                        ; implicit-def: $vgpr7
                                        ; implicit-def: $vgpr0_vgpr1
                                        ; implicit-def: $vgpr2
	s_xor_b32 exec_lo, exec_lo, s12
	s_cbranch_execz .LBB288_1965
; %bb.1018:
	s_waitcnt vmcnt(0)
	v_mul_lo_u32 v2, s3, v9
	v_cmp_lt_i16_e64 s0, s10, 11
	s_delay_alu instid0(VALU_DEP_2) | instskip(SKIP_1) | instid1(VALU_DEP_2)
	v_ashrrev_i32_e32 v1, 31, v2
	v_add_co_u32 v0, vcc_lo, s6, v2
	v_add_co_ci_u32_e32 v1, vcc_lo, s7, v1, vcc_lo
	s_delay_alu instid0(VALU_DEP_4)
	s_and_b32 vcc_lo, exec_lo, s0
	s_cbranch_vccnz .LBB288_1025
; %bb.1019:
	v_cmp_gt_i16_e64 s0, s10, 25
	s_mov_b32 s14, 0
	s_delay_alu instid0(VALU_DEP_1)
	s_and_b32 vcc_lo, exec_lo, s0
	s_cbranch_vccz .LBB288_1031
; %bb.1020:
	v_cmp_gt_i16_e64 s0, s10, 28
	s_delay_alu instid0(VALU_DEP_1)
	s_and_b32 vcc_lo, exec_lo, s0
	s_cbranch_vccz .LBB288_1033
; %bb.1021:
	v_cmp_gt_i16_e64 s0, s10, 43
	;; [unrolled: 5-line block ×3, first 2 shown]
	s_delay_alu instid0(VALU_DEP_1)
	s_and_b32 vcc_lo, exec_lo, s0
	s_cbranch_vccz .LBB288_1039
; %bb.1023:
	v_cmp_eq_u16_e64 s0, s10, 46
	s_delay_alu instid0(VALU_DEP_1)
	s_and_b32 vcc_lo, exec_lo, s0
	s_cbranch_vccz .LBB288_1079
; %bb.1024:
	global_load_b32 v3, v[0:1], off
	s_mov_b32 s0, 0
	s_mov_b32 s15, -1
	s_waitcnt vmcnt(0)
	v_lshlrev_b32_e32 v3, 16, v3
	s_delay_alu instid0(VALU_DEP_1)
	v_cvt_i32_f32_e32 v6, v3
	s_branch .LBB288_1081
.LBB288_1025:
	s_mov_b32 s15, 0
	s_mov_b32 s11, s13
                                        ; implicit-def: $vgpr6
	s_cbranch_execz .LBB288_1139
; %bb.1026:
	v_cmp_lt_i16_e64 s0, s10, 5
	s_delay_alu instid0(VALU_DEP_1)
	s_and_b32 vcc_lo, exec_lo, s0
	s_cbranch_vccnz .LBB288_1032
; %bb.1027:
	v_cmp_lt_i16_e64 s0, s10, 8
	s_delay_alu instid0(VALU_DEP_1)
	s_and_b32 vcc_lo, exec_lo, s0
	s_cbranch_vccnz .LBB288_1034
	;; [unrolled: 5-line block ×3, first 2 shown]
; %bb.1029:
	v_cmp_gt_i16_e64 s0, s10, 9
	s_delay_alu instid0(VALU_DEP_1)
	s_and_b32 vcc_lo, exec_lo, s0
	s_cbranch_vccz .LBB288_1040
; %bb.1030:
	global_load_b64 v[3:4], v[0:1], off
	s_mov_b32 s0, 0
	s_waitcnt vmcnt(0)
	v_cvt_i32_f64_e32 v6, v[3:4]
	s_branch .LBB288_1041
.LBB288_1031:
	s_mov_b32 s15, 0
	s_mov_b32 s0, 0
                                        ; implicit-def: $vgpr6
	s_cbranch_execnz .LBB288_1106
	s_branch .LBB288_1135
.LBB288_1032:
                                        ; implicit-def: $vgpr6
	s_branch .LBB288_1058
.LBB288_1033:
	s_mov_b32 s15, 0
	s_mov_b32 s0, 0
                                        ; implicit-def: $vgpr6
	s_cbranch_execz .LBB288_1105
	s_branch .LBB288_1090
.LBB288_1034:
                                        ; implicit-def: $vgpr6
	s_branch .LBB288_1047
.LBB288_1035:
	s_mov_b32 s15, 0
	s_mov_b32 s0, 0
                                        ; implicit-def: $vgpr6
	s_cbranch_execnz .LBB288_1086
	s_branch .LBB288_1089
.LBB288_1036:
	s_mov_b32 s0, -1
                                        ; implicit-def: $vgpr6
	s_branch .LBB288_1044
.LBB288_1037:
	s_cbranch_execnz .LBB288_1077
; %bb.1038:
	s_or_b32 s14, s14, exec_lo
	s_and_not1_b32 s17, s17, exec_lo
	s_or_b32 exec_lo, exec_lo, s0
	s_and_saveexec_b32 s0, s17
	s_delay_alu instid0(SALU_CYCLE_1)
	s_xor_b32 s0, exec_lo, s0
	s_cbranch_execnz .LBB288_977
	s_branch .LBB288_978
.LBB288_1039:
	s_mov_b32 s11, -1
	s_mov_b32 s15, 0
	s_mov_b32 s0, 0
	s_branch .LBB288_1080
.LBB288_1040:
	s_mov_b32 s0, -1
                                        ; implicit-def: $vgpr6
.LBB288_1041:
	s_delay_alu instid0(SALU_CYCLE_1)
	s_and_not1_b32 vcc_lo, exec_lo, s0
	s_cbranch_vccnz .LBB288_1043
; %bb.1042:
	global_load_b32 v3, v[0:1], off
	s_waitcnt vmcnt(0)
	v_cvt_i32_f32_e32 v6, v3
.LBB288_1043:
	s_mov_b32 s0, 0
.LBB288_1044:
	s_delay_alu instid0(SALU_CYCLE_1)
	s_and_not1_b32 vcc_lo, exec_lo, s0
	s_cbranch_vccnz .LBB288_1046
; %bb.1045:
	global_load_b32 v3, v[0:1], off
	s_waitcnt vmcnt(0)
	v_cvt_i16_f16_e32 v6, v3
.LBB288_1046:
	s_cbranch_execnz .LBB288_1057
.LBB288_1047:
	v_cmp_lt_i16_e64 s0, s10, 6
	s_delay_alu instid0(VALU_DEP_1)
	s_and_b32 vcc_lo, exec_lo, s0
	s_cbranch_vccnz .LBB288_1050
; %bb.1048:
	v_cmp_gt_i16_e64 s0, s10, 6
	s_delay_alu instid0(VALU_DEP_1)
	s_and_b32 vcc_lo, exec_lo, s0
	s_cbranch_vccz .LBB288_1051
; %bb.1049:
	global_load_b64 v[3:4], v[0:1], off
	s_mov_b32 s0, 0
	s_waitcnt vmcnt(0)
	v_cvt_i32_f64_e32 v6, v[3:4]
	s_branch .LBB288_1052
.LBB288_1050:
	s_mov_b32 s0, -1
                                        ; implicit-def: $vgpr6
	s_branch .LBB288_1055
.LBB288_1051:
	s_mov_b32 s0, -1
                                        ; implicit-def: $vgpr6
.LBB288_1052:
	s_delay_alu instid0(SALU_CYCLE_1)
	s_and_not1_b32 vcc_lo, exec_lo, s0
	s_cbranch_vccnz .LBB288_1054
; %bb.1053:
	global_load_b32 v3, v[0:1], off
	s_waitcnt vmcnt(0)
	v_cvt_i32_f32_e32 v6, v3
.LBB288_1054:
	s_mov_b32 s0, 0
.LBB288_1055:
	s_delay_alu instid0(SALU_CYCLE_1)
	s_and_not1_b32 vcc_lo, exec_lo, s0
	s_cbranch_vccnz .LBB288_1057
; %bb.1056:
	global_load_u16 v3, v[0:1], off
	s_waitcnt vmcnt(0)
	v_cvt_i16_f16_e32 v6, v3
.LBB288_1057:
	s_cbranch_execnz .LBB288_1076
.LBB288_1058:
	v_cmp_lt_i16_e64 s0, s10, 2
	s_delay_alu instid0(VALU_DEP_1)
	s_and_b32 vcc_lo, exec_lo, s0
	s_cbranch_vccnz .LBB288_1062
; %bb.1059:
	v_cmp_lt_i16_e64 s0, s10, 3
	s_delay_alu instid0(VALU_DEP_1)
	s_and_b32 vcc_lo, exec_lo, s0
	s_cbranch_vccnz .LBB288_1063
; %bb.1060:
	v_cmp_gt_i16_e64 s0, s10, 3
	s_delay_alu instid0(VALU_DEP_1)
	s_and_b32 vcc_lo, exec_lo, s0
	s_cbranch_vccz .LBB288_1064
; %bb.1061:
	global_load_b64 v[6:7], v[0:1], off
	s_mov_b32 s0, 0
	s_branch .LBB288_1065
.LBB288_1062:
                                        ; implicit-def: $vgpr6
	s_branch .LBB288_1071
.LBB288_1063:
	s_mov_b32 s0, -1
                                        ; implicit-def: $vgpr6
	s_branch .LBB288_1068
.LBB288_1064:
	s_mov_b32 s0, -1
                                        ; implicit-def: $vgpr6
.LBB288_1065:
	s_delay_alu instid0(SALU_CYCLE_1)
	s_and_not1_b32 vcc_lo, exec_lo, s0
	s_cbranch_vccnz .LBB288_1067
; %bb.1066:
	global_load_b32 v6, v[0:1], off
.LBB288_1067:
	s_mov_b32 s0, 0
.LBB288_1068:
	s_delay_alu instid0(SALU_CYCLE_1)
	s_and_not1_b32 vcc_lo, exec_lo, s0
	s_cbranch_vccnz .LBB288_1070
; %bb.1069:
	global_load_u16 v6, v[0:1], off
.LBB288_1070:
	s_cbranch_execnz .LBB288_1076
.LBB288_1071:
	v_cmp_gt_i16_e64 s0, s10, 0
	s_delay_alu instid0(VALU_DEP_1)
	s_and_b32 vcc_lo, exec_lo, s0
	s_mov_b32 s0, 0
	s_cbranch_vccz .LBB288_1073
; %bb.1072:
	global_load_u8 v6, v[0:1], off
	s_branch .LBB288_1074
.LBB288_1073:
	s_mov_b32 s0, -1
                                        ; implicit-def: $vgpr6
.LBB288_1074:
	s_delay_alu instid0(SALU_CYCLE_1)
	s_and_not1_b32 vcc_lo, exec_lo, s0
	s_cbranch_vccnz .LBB288_1076
; %bb.1075:
	global_load_u8 v6, v[0:1], off
.LBB288_1076:
	s_branch .LBB288_1140
.LBB288_1077:
	s_trap 2
	s_sendmsg_rtn_b32 s0, sendmsg(MSG_RTN_GET_DOORBELL)
	s_mov_b32 ttmp2, m0
	s_waitcnt lgkmcnt(0)
	s_and_b32 s0, s0, 0x3ff
	s_delay_alu instid0(SALU_CYCLE_1) | instskip(NEXT) | instid1(SALU_CYCLE_1)
	s_bitset1_b32 s0, 10
	s_mov_b32 m0, s0
	s_sendmsg sendmsg(MSG_INTERRUPT)
	s_mov_b32 m0, ttmp2
.LBB288_1078:                           ; =>This Inner Loop Header: Depth=1
	s_sethalt 5
	s_branch .LBB288_1078
.LBB288_1079:
	s_mov_b32 s0, -1
	s_mov_b32 s15, 0
.LBB288_1080:
                                        ; implicit-def: $vgpr6
.LBB288_1081:
	s_and_b32 vcc_lo, exec_lo, s11
	s_cbranch_vccz .LBB288_1084
; %bb.1082:
	v_cmp_eq_u16_e64 s0, s10, 44
	s_delay_alu instid0(VALU_DEP_1)
	s_and_b32 vcc_lo, exec_lo, s0
	s_cbranch_vccz .LBB288_1085
; %bb.1083:
	global_load_u8 v3, v[0:1], off
	s_mov_b32 s0, 0
	s_mov_b32 s15, -1
	s_waitcnt vmcnt(0)
	v_lshlrev_b32_e32 v4, 23, v3
	v_cmp_ne_u32_e32 vcc_lo, 0, v3
	s_delay_alu instid0(VALU_DEP_2) | instskip(NEXT) | instid1(VALU_DEP_1)
	v_cvt_i32_f32_e32 v4, v4
	v_cndmask_b32_e32 v6, 0, v4, vcc_lo
.LBB288_1084:
	s_branch .LBB288_1089
.LBB288_1085:
	s_mov_b32 s0, -1
                                        ; implicit-def: $vgpr6
	s_branch .LBB288_1089
.LBB288_1086:
	v_cmp_eq_u16_e64 s0, s10, 29
	s_delay_alu instid0(VALU_DEP_1)
	s_and_b32 vcc_lo, exec_lo, s0
	s_cbranch_vccz .LBB288_1088
; %bb.1087:
	global_load_b64 v[6:7], v[0:1], off
	s_mov_b32 s0, 0
	s_mov_b32 s15, -1
	s_branch .LBB288_1089
.LBB288_1088:
	s_mov_b32 s0, -1
                                        ; implicit-def: $vgpr6
.LBB288_1089:
	s_branch .LBB288_1105
.LBB288_1090:
	v_cmp_lt_i16_e64 s11, s10, 27
	s_delay_alu instid0(VALU_DEP_1)
	s_and_b32 vcc_lo, exec_lo, s11
	s_cbranch_vccnz .LBB288_1093
; %bb.1091:
	v_cmp_gt_i16_e64 s11, s10, 27
	s_delay_alu instid0(VALU_DEP_1)
	s_and_b32 vcc_lo, exec_lo, s11
	s_cbranch_vccz .LBB288_1094
; %bb.1092:
	global_load_b32 v6, v[0:1], off
	s_mov_b32 s11, 0
	s_branch .LBB288_1095
.LBB288_1093:
	s_mov_b32 s11, -1
                                        ; implicit-def: $vgpr6
	s_branch .LBB288_1098
.LBB288_1094:
	s_mov_b32 s11, -1
                                        ; implicit-def: $vgpr6
.LBB288_1095:
	s_delay_alu instid0(SALU_CYCLE_1)
	s_and_not1_b32 vcc_lo, exec_lo, s11
	s_cbranch_vccnz .LBB288_1097
; %bb.1096:
	global_load_u16 v6, v[0:1], off
.LBB288_1097:
	s_mov_b32 s11, 0
.LBB288_1098:
	s_delay_alu instid0(SALU_CYCLE_1)
	s_and_not1_b32 vcc_lo, exec_lo, s11
	s_cbranch_vccnz .LBB288_1104
; %bb.1099:
	global_load_u8 v3, v[0:1], off
	s_mov_b32 s11, 0
	s_mov_b32 s15, exec_lo
                                        ; implicit-def: $sgpr16
	s_waitcnt vmcnt(0)
	v_cmpx_lt_i16_e32 0x7f, v3
	s_xor_b32 s15, exec_lo, s15
	s_cbranch_execz .LBB288_1115
; %bb.1100:
	v_cmp_ne_u16_e32 vcc_lo, 0x80, v3
	s_mov_b32 s16, 0
	s_and_b32 s11, vcc_lo, exec_lo
	s_or_saveexec_b32 s15, s15
	v_mov_b32_e32 v6, s16
	s_xor_b32 exec_lo, exec_lo, s15
	s_cbranch_execnz .LBB288_1116
.LBB288_1101:
	s_or_b32 exec_lo, exec_lo, s15
	s_and_saveexec_b32 s15, s11
	s_cbranch_execz .LBB288_1103
.LBB288_1102:
	v_and_b32_e32 v4, 0xffff, v3
	v_lshlrev_b32_e32 v3, 24, v3
	s_delay_alu instid0(VALU_DEP_2) | instskip(NEXT) | instid1(VALU_DEP_2)
	v_and_b32_e32 v5, 7, v4
	v_and_b32_e32 v3, 0x80000000, v3
	s_delay_alu instid0(VALU_DEP_2) | instskip(NEXT) | instid1(VALU_DEP_1)
	v_clz_i32_u32_e32 v6, v5
	v_min_u32_e32 v6, 32, v6
	s_delay_alu instid0(VALU_DEP_1) | instskip(SKIP_1) | instid1(VALU_DEP_2)
	v_subrev_nc_u32_e32 v7, 28, v6
	v_sub_nc_u32_e32 v6, 29, v6
	v_lshlrev_b32_e32 v7, v7, v4
	v_bfe_u32 v4, v4, 3, 4
	s_delay_alu instid0(VALU_DEP_2) | instskip(NEXT) | instid1(VALU_DEP_2)
	v_and_b32_e32 v7, 7, v7
	v_cmp_eq_u32_e32 vcc_lo, 0, v4
	s_delay_alu instid0(VALU_DEP_2) | instskip(NEXT) | instid1(VALU_DEP_1)
	v_dual_cndmask_b32 v4, v4, v6 :: v_dual_cndmask_b32 v5, v5, v7
	v_lshl_add_u32 v4, v4, 23, 0x3b800000
	s_delay_alu instid0(VALU_DEP_2) | instskip(NEXT) | instid1(VALU_DEP_1)
	v_lshlrev_b32_e32 v5, 20, v5
	v_or3_b32 v3, v3, v4, v5
	s_delay_alu instid0(VALU_DEP_1)
	v_cvt_i32_f32_e32 v6, v3
.LBB288_1103:
	s_or_b32 exec_lo, exec_lo, s15
.LBB288_1104:
	s_mov_b32 s15, -1
.LBB288_1105:
	s_branch .LBB288_1135
.LBB288_1106:
	v_cmp_gt_i16_e64 s11, s10, 22
	s_delay_alu instid0(VALU_DEP_1)
	s_and_b32 vcc_lo, exec_lo, s11
	s_cbranch_vccz .LBB288_1114
; %bb.1107:
	v_cmp_lt_i16_e64 s11, s10, 24
	s_delay_alu instid0(VALU_DEP_1)
	s_and_b32 vcc_lo, exec_lo, s11
	s_cbranch_vccnz .LBB288_1117
; %bb.1108:
	v_cmp_gt_i16_e64 s11, s10, 24
	s_delay_alu instid0(VALU_DEP_1)
	s_and_b32 vcc_lo, exec_lo, s11
	s_cbranch_vccz .LBB288_1118
; %bb.1109:
	global_load_u8 v3, v[0:1], off
	s_mov_b32 s11, 0
	s_mov_b32 s14, exec_lo
                                        ; implicit-def: $sgpr15
	s_waitcnt vmcnt(0)
	v_cmpx_lt_i16_e32 0x7f, v3
	s_xor_b32 s14, exec_lo, s14
	s_cbranch_execz .LBB288_1129
; %bb.1110:
	v_cmp_ne_u16_e32 vcc_lo, 0x80, v3
	s_mov_b32 s15, 0
	s_and_b32 s11, vcc_lo, exec_lo
	s_or_saveexec_b32 s14, s14
	v_mov_b32_e32 v6, s15
	s_xor_b32 exec_lo, exec_lo, s14
	s_cbranch_execnz .LBB288_1130
.LBB288_1111:
	s_or_b32 exec_lo, exec_lo, s14
	s_and_saveexec_b32 s14, s11
	s_cbranch_execz .LBB288_1113
.LBB288_1112:
	v_and_b32_e32 v4, 0xffff, v3
	v_lshlrev_b32_e32 v3, 24, v3
	s_delay_alu instid0(VALU_DEP_2) | instskip(NEXT) | instid1(VALU_DEP_2)
	v_and_b32_e32 v5, 3, v4
	v_and_b32_e32 v3, 0x80000000, v3
	s_delay_alu instid0(VALU_DEP_2) | instskip(NEXT) | instid1(VALU_DEP_1)
	v_clz_i32_u32_e32 v6, v5
	v_min_u32_e32 v6, 32, v6
	s_delay_alu instid0(VALU_DEP_1) | instskip(SKIP_1) | instid1(VALU_DEP_2)
	v_subrev_nc_u32_e32 v7, 29, v6
	v_sub_nc_u32_e32 v6, 30, v6
	v_lshlrev_b32_e32 v7, v7, v4
	v_bfe_u32 v4, v4, 2, 5
	s_delay_alu instid0(VALU_DEP_2) | instskip(NEXT) | instid1(VALU_DEP_2)
	v_and_b32_e32 v7, 3, v7
	v_cmp_eq_u32_e32 vcc_lo, 0, v4
	s_delay_alu instid0(VALU_DEP_2) | instskip(NEXT) | instid1(VALU_DEP_1)
	v_dual_cndmask_b32 v4, v4, v6 :: v_dual_cndmask_b32 v5, v5, v7
	v_lshl_add_u32 v4, v4, 23, 0x37800000
	s_delay_alu instid0(VALU_DEP_2) | instskip(NEXT) | instid1(VALU_DEP_1)
	v_lshlrev_b32_e32 v5, 21, v5
	v_or3_b32 v3, v3, v4, v5
	s_delay_alu instid0(VALU_DEP_1)
	v_cvt_i32_f32_e32 v6, v3
.LBB288_1113:
	s_or_b32 exec_lo, exec_lo, s14
	s_mov_b32 s11, 0
	s_branch .LBB288_1119
.LBB288_1114:
                                        ; implicit-def: $vgpr6
	s_mov_b32 s14, 0
	s_branch .LBB288_1125
.LBB288_1115:
	s_or_saveexec_b32 s15, s15
	v_mov_b32_e32 v6, s16
	s_xor_b32 exec_lo, exec_lo, s15
	s_cbranch_execz .LBB288_1101
.LBB288_1116:
	v_cmp_ne_u16_e32 vcc_lo, 0, v3
	v_mov_b32_e32 v6, 0
	s_and_not1_b32 s11, s11, exec_lo
	s_and_b32 s16, vcc_lo, exec_lo
	s_delay_alu instid0(SALU_CYCLE_1)
	s_or_b32 s11, s11, s16
	s_or_b32 exec_lo, exec_lo, s15
	s_and_saveexec_b32 s15, s11
	s_cbranch_execnz .LBB288_1102
	s_branch .LBB288_1103
.LBB288_1117:
	s_mov_b32 s11, -1
                                        ; implicit-def: $vgpr6
	s_branch .LBB288_1122
.LBB288_1118:
	s_mov_b32 s11, -1
                                        ; implicit-def: $vgpr6
.LBB288_1119:
	s_delay_alu instid0(SALU_CYCLE_1)
	s_and_b32 vcc_lo, exec_lo, s11
	s_cbranch_vccz .LBB288_1121
; %bb.1120:
	global_load_u8 v3, v[0:1], off
	s_waitcnt vmcnt(0)
	v_lshlrev_b32_e32 v3, 24, v3
	s_delay_alu instid0(VALU_DEP_1) | instskip(NEXT) | instid1(VALU_DEP_1)
	v_and_b32_e32 v4, 0x7f000000, v3
	v_clz_i32_u32_e32 v5, v4
	v_add_nc_u32_e32 v7, 0x1000000, v4
	v_cmp_ne_u32_e32 vcc_lo, 0, v4
	s_delay_alu instid0(VALU_DEP_3) | instskip(NEXT) | instid1(VALU_DEP_1)
	v_min_u32_e32 v5, 32, v5
	v_sub_nc_u32_e64 v5, v5, 4 clamp
	s_delay_alu instid0(VALU_DEP_1) | instskip(SKIP_1) | instid1(VALU_DEP_2)
	v_lshlrev_b32_e32 v6, v5, v4
	v_lshlrev_b32_e32 v5, 23, v5
	v_lshrrev_b32_e32 v6, 4, v6
	s_delay_alu instid0(VALU_DEP_1) | instskip(SKIP_1) | instid1(VALU_DEP_2)
	v_sub_nc_u32_e32 v5, v6, v5
	v_ashrrev_i32_e32 v6, 8, v7
	v_add_nc_u32_e32 v5, 0x3c000000, v5
	s_delay_alu instid0(VALU_DEP_1) | instskip(NEXT) | instid1(VALU_DEP_1)
	v_and_or_b32 v5, 0x7f800000, v6, v5
	v_cndmask_b32_e32 v4, 0, v5, vcc_lo
	s_delay_alu instid0(VALU_DEP_1) | instskip(NEXT) | instid1(VALU_DEP_1)
	v_and_or_b32 v3, 0x80000000, v3, v4
	v_cvt_i32_f32_e32 v6, v3
.LBB288_1121:
	s_mov_b32 s11, 0
.LBB288_1122:
	s_delay_alu instid0(SALU_CYCLE_1)
	s_and_not1_b32 vcc_lo, exec_lo, s11
	s_cbranch_vccnz .LBB288_1124
; %bb.1123:
	global_load_u8 v3, v[0:1], off
	s_waitcnt vmcnt(0)
	v_lshlrev_b32_e32 v4, 25, v3
	v_lshlrev_b16 v3, 8, v3
	s_delay_alu instid0(VALU_DEP_2) | instskip(NEXT) | instid1(VALU_DEP_2)
	v_lshrrev_b32_e32 v5, 4, v4
	v_and_or_b32 v6, 0x7f00, v3, 0.5
	v_bfe_i32 v3, v3, 0, 16
	s_delay_alu instid0(VALU_DEP_3) | instskip(NEXT) | instid1(VALU_DEP_1)
	v_or_b32_e32 v5, 0x70000000, v5
	v_dual_add_f32 v6, -0.5, v6 :: v_dual_mul_f32 v5, 0x7800000, v5
	v_cmp_gt_u32_e32 vcc_lo, 0x8000000, v4
	s_delay_alu instid0(VALU_DEP_2) | instskip(NEXT) | instid1(VALU_DEP_1)
	v_cndmask_b32_e32 v4, v5, v6, vcc_lo
	v_and_or_b32 v3, 0x80000000, v3, v4
	s_delay_alu instid0(VALU_DEP_1)
	v_cvt_i32_f32_e32 v6, v3
.LBB288_1124:
	s_mov_b32 s15, -1
	s_mov_b32 s14, 0
	s_cbranch_execnz .LBB288_1135
.LBB288_1125:
	v_cmp_gt_i16_e64 s11, s10, 14
	s_delay_alu instid0(VALU_DEP_1)
	s_and_b32 vcc_lo, exec_lo, s11
	s_cbranch_vccz .LBB288_1128
; %bb.1126:
	v_cmp_eq_u16_e64 s0, s10, 15
	s_delay_alu instid0(VALU_DEP_1)
	s_and_b32 vcc_lo, exec_lo, s0
	s_cbranch_vccz .LBB288_1131
; %bb.1127:
	global_load_u16 v3, v[0:1], off
	s_mov_b32 s0, 0
	s_mov_b32 s15, -1
	s_waitcnt vmcnt(0)
	v_lshlrev_b32_e32 v3, 16, v3
	s_delay_alu instid0(VALU_DEP_1)
	v_cvt_i32_f32_e32 v6, v3
	s_branch .LBB288_1132
.LBB288_1128:
	s_mov_b32 s11, -1
                                        ; implicit-def: $vgpr6
	s_branch .LBB288_1133
.LBB288_1129:
	s_or_saveexec_b32 s14, s14
	v_mov_b32_e32 v6, s15
	s_xor_b32 exec_lo, exec_lo, s14
	s_cbranch_execz .LBB288_1111
.LBB288_1130:
	v_cmp_ne_u16_e32 vcc_lo, 0, v3
	v_mov_b32_e32 v6, 0
	s_and_not1_b32 s11, s11, exec_lo
	s_and_b32 s15, vcc_lo, exec_lo
	s_delay_alu instid0(SALU_CYCLE_1)
	s_or_b32 s11, s11, s15
	s_or_b32 exec_lo, exec_lo, s14
	s_and_saveexec_b32 s14, s11
	s_cbranch_execnz .LBB288_1112
	s_branch .LBB288_1113
.LBB288_1131:
	s_mov_b32 s0, -1
                                        ; implicit-def: $vgpr6
.LBB288_1132:
	s_mov_b32 s11, 0
.LBB288_1133:
	s_delay_alu instid0(SALU_CYCLE_1)
	s_and_b32 vcc_lo, exec_lo, s11
	s_cbranch_vccz .LBB288_1135
; %bb.1134:
	v_cmp_ne_u16_e64 s0, s10, 11
	s_mov_b32 s14, -1
                                        ; implicit-def: $vgpr6
.LBB288_1135:
	s_delay_alu instid0(VALU_DEP_1)
	s_and_b32 vcc_lo, exec_lo, s0
	s_mov_b32 s11, s13
	s_cbranch_vccnz .LBB288_1159
; %bb.1136:
	s_and_not1_b32 vcc_lo, exec_lo, s14
	s_cbranch_vccnz .LBB288_1138
.LBB288_1137:
	global_load_u8 v3, v[0:1], off
	s_mov_b32 s15, -1
	s_waitcnt vmcnt(0)
	v_cmp_ne_u16_e32 vcc_lo, 0, v3
	v_cndmask_b32_e64 v6, 0, 1, vcc_lo
.LBB288_1138:
.LBB288_1139:
	s_and_not1_b32 vcc_lo, exec_lo, s15
	s_cbranch_vccnz .LBB288_1963
.LBB288_1140:
	s_lshl_b32 s0, s3, 7
	v_cmp_lt_i16_e64 s3, s10, 11
	v_add_nc_u32_e32 v2, s0, v2
	s_delay_alu instid0(VALU_DEP_1) | instskip(SKIP_1) | instid1(VALU_DEP_2)
	v_ashrrev_i32_e32 v1, 31, v2
	v_add_co_u32 v0, vcc_lo, s6, v2
	v_add_co_ci_u32_e32 v1, vcc_lo, s7, v1, vcc_lo
	s_and_b32 vcc_lo, exec_lo, s3
	s_cbranch_vccnz .LBB288_1147
; %bb.1141:
	v_cmp_gt_i16_e64 s3, s10, 25
	s_mov_b32 s14, 0
	s_delay_alu instid0(VALU_DEP_1)
	s_and_b32 vcc_lo, exec_lo, s3
	s_cbranch_vccz .LBB288_1153
; %bb.1142:
	v_cmp_gt_i16_e64 s3, s10, 28
	s_delay_alu instid0(VALU_DEP_1)
	s_and_b32 vcc_lo, exec_lo, s3
	s_cbranch_vccz .LBB288_1155
; %bb.1143:
	v_cmp_gt_i16_e64 s3, s10, 43
	;; [unrolled: 5-line block ×3, first 2 shown]
	s_delay_alu instid0(VALU_DEP_1)
	s_and_b32 vcc_lo, exec_lo, s3
	s_cbranch_vccz .LBB288_1163
; %bb.1145:
	v_cmp_eq_u16_e64 s3, s10, 46
	s_mov_b32 s16, 0
	s_delay_alu instid0(VALU_DEP_1)
	s_and_b32 vcc_lo, exec_lo, s3
	s_cbranch_vccz .LBB288_1207
; %bb.1146:
	global_load_b32 v3, v[0:1], off
	s_mov_b32 s3, 0
	s_mov_b32 s15, -1
	s_waitcnt vmcnt(0)
	v_lshlrev_b32_e32 v3, 16, v3
	s_delay_alu instid0(VALU_DEP_1)
	v_cvt_i32_f32_e32 v4, v3
	s_branch .LBB288_1209
.LBB288_1147:
	s_mov_b32 s15, 0
                                        ; implicit-def: $vgpr4
	s_cbranch_execz .LBB288_1270
; %bb.1148:
	v_cmp_lt_i16_e64 s3, s10, 5
	s_delay_alu instid0(VALU_DEP_1)
	s_and_b32 vcc_lo, exec_lo, s3
	s_cbranch_vccnz .LBB288_1154
; %bb.1149:
	v_cmp_lt_i16_e64 s3, s10, 8
	s_delay_alu instid0(VALU_DEP_1)
	s_and_b32 vcc_lo, exec_lo, s3
	s_cbranch_vccnz .LBB288_1156
; %bb.1150:
	v_cmp_lt_i16_e64 s3, s10, 9
	s_delay_alu instid0(VALU_DEP_1)
	s_and_b32 vcc_lo, exec_lo, s3
	s_cbranch_vccnz .LBB288_1158
; %bb.1151:
	v_cmp_gt_i16_e64 s3, s10, 9
	s_delay_alu instid0(VALU_DEP_1)
	s_and_b32 vcc_lo, exec_lo, s3
	s_cbranch_vccz .LBB288_1164
; %bb.1152:
	global_load_b64 v[3:4], v[0:1], off
	s_mov_b32 s3, 0
	s_waitcnt vmcnt(0)
	v_cvt_i32_f64_e32 v4, v[3:4]
	s_branch .LBB288_1165
.LBB288_1153:
	s_mov_b32 s15, 0
	s_mov_b32 s3, 0
                                        ; implicit-def: $vgpr4
	s_cbranch_execnz .LBB288_1236
	s_branch .LBB288_1266
.LBB288_1154:
                                        ; implicit-def: $vgpr4
	s_branch .LBB288_1183
.LBB288_1155:
	s_mov_b32 s16, -1
	s_mov_b32 s15, 0
	s_mov_b32 s3, 0
                                        ; implicit-def: $vgpr4
	s_branch .LBB288_1219
.LBB288_1156:
	s_mov_b32 s3, -1
                                        ; implicit-def: $vgpr4
	s_branch .LBB288_1171
.LBB288_1157:
	s_mov_b32 s16, -1
	s_mov_b32 s15, 0
	s_mov_b32 s3, 0
                                        ; implicit-def: $vgpr4
	s_branch .LBB288_1214
.LBB288_1158:
	s_mov_b32 s3, -1
                                        ; implicit-def: $vgpr4
	s_branch .LBB288_1168
.LBB288_1159:
	s_cbranch_execnz .LBB288_1203
; %bb.1160:
	s_or_b32 s11, s13, exec_lo
                                        ; implicit-def: $vgpr6
	s_cbranch_execz .LBB288_1137
	s_branch .LBB288_1138
.LBB288_1161:
	s_or_saveexec_b32 s18, s18
                                        ; implicit-def: $sgpr19
	s_delay_alu instid0(SALU_CYCLE_1)
	s_xor_b32 exec_lo, exec_lo, s18
	s_cbranch_execz .LBB288_928
.LBB288_1162:
	v_add_f32_e64 v5, 0x46000000, |v2|
	s_and_not1_b32 s17, s17, exec_lo
	s_mov_b32 s19, 0
	s_delay_alu instid0(VALU_DEP_1) | instskip(NEXT) | instid1(VALU_DEP_1)
	v_and_b32_e32 v5, 0xff, v5
	v_cmp_ne_u32_e32 vcc_lo, 0, v5
	s_and_b32 s20, vcc_lo, exec_lo
	s_delay_alu instid0(SALU_CYCLE_1)
	s_or_b32 s17, s17, s20
	s_or_b32 exec_lo, exec_lo, s18
	v_mov_b32_e32 v6, s19
	s_and_saveexec_b32 s18, s17
	s_cbranch_execnz .LBB288_929
	s_branch .LBB288_930
.LBB288_1163:
	s_mov_b32 s16, -1
	s_mov_b32 s15, 0
	s_mov_b32 s3, 0
	s_branch .LBB288_1208
.LBB288_1164:
	s_mov_b32 s3, -1
                                        ; implicit-def: $vgpr4
.LBB288_1165:
	s_delay_alu instid0(SALU_CYCLE_1)
	s_and_not1_b32 vcc_lo, exec_lo, s3
	s_cbranch_vccnz .LBB288_1167
; %bb.1166:
	global_load_b32 v3, v[0:1], off
	s_waitcnt vmcnt(0)
	v_cvt_i32_f32_e32 v4, v3
.LBB288_1167:
	s_mov_b32 s3, 0
.LBB288_1168:
	s_delay_alu instid0(SALU_CYCLE_1)
	s_and_not1_b32 vcc_lo, exec_lo, s3
	s_cbranch_vccnz .LBB288_1170
; %bb.1169:
	global_load_b32 v3, v[0:1], off
	s_waitcnt vmcnt(0)
	v_cvt_i16_f16_e32 v4, v3
.LBB288_1170:
	s_mov_b32 s3, 0
.LBB288_1171:
	s_delay_alu instid0(SALU_CYCLE_1)
	s_and_not1_b32 vcc_lo, exec_lo, s3
	s_cbranch_vccnz .LBB288_1182
; %bb.1172:
	v_cmp_lt_i16_e64 s3, s10, 6
	s_delay_alu instid0(VALU_DEP_1)
	s_and_b32 vcc_lo, exec_lo, s3
	s_cbranch_vccnz .LBB288_1175
; %bb.1173:
	v_cmp_gt_i16_e64 s3, s10, 6
	s_delay_alu instid0(VALU_DEP_1)
	s_and_b32 vcc_lo, exec_lo, s3
	s_cbranch_vccz .LBB288_1176
; %bb.1174:
	global_load_b64 v[3:4], v[0:1], off
	s_mov_b32 s3, 0
	s_waitcnt vmcnt(0)
	v_cvt_i32_f64_e32 v4, v[3:4]
	s_branch .LBB288_1177
.LBB288_1175:
	s_mov_b32 s3, -1
                                        ; implicit-def: $vgpr4
	s_branch .LBB288_1180
.LBB288_1176:
	s_mov_b32 s3, -1
                                        ; implicit-def: $vgpr4
.LBB288_1177:
	s_delay_alu instid0(SALU_CYCLE_1)
	s_and_not1_b32 vcc_lo, exec_lo, s3
	s_cbranch_vccnz .LBB288_1179
; %bb.1178:
	global_load_b32 v3, v[0:1], off
	s_waitcnt vmcnt(0)
	v_cvt_i32_f32_e32 v4, v3
.LBB288_1179:
	s_mov_b32 s3, 0
.LBB288_1180:
	s_delay_alu instid0(SALU_CYCLE_1)
	s_and_not1_b32 vcc_lo, exec_lo, s3
	s_cbranch_vccnz .LBB288_1182
; %bb.1181:
	global_load_u16 v3, v[0:1], off
	s_waitcnt vmcnt(0)
	v_cvt_i16_f16_e32 v4, v3
.LBB288_1182:
	s_cbranch_execnz .LBB288_1202
.LBB288_1183:
	v_cmp_lt_i16_e64 s3, s10, 2
	s_delay_alu instid0(VALU_DEP_1)
	s_and_b32 vcc_lo, exec_lo, s3
	s_cbranch_vccnz .LBB288_1187
; %bb.1184:
	v_cmp_lt_i16_e64 s3, s10, 3
	s_delay_alu instid0(VALU_DEP_1)
	s_and_b32 vcc_lo, exec_lo, s3
	s_cbranch_vccnz .LBB288_1188
; %bb.1185:
	v_cmp_gt_i16_e64 s3, s10, 3
	s_delay_alu instid0(VALU_DEP_1)
	s_and_b32 vcc_lo, exec_lo, s3
	s_cbranch_vccz .LBB288_1189
; %bb.1186:
	global_load_b64 v[4:5], v[0:1], off
	s_mov_b32 s3, 0
	s_branch .LBB288_1190
.LBB288_1187:
	s_mov_b32 s3, -1
                                        ; implicit-def: $vgpr4
	s_branch .LBB288_1196
.LBB288_1188:
	s_mov_b32 s3, -1
                                        ; implicit-def: $vgpr4
	s_branch .LBB288_1193
.LBB288_1189:
	s_mov_b32 s3, -1
                                        ; implicit-def: $vgpr4
.LBB288_1190:
	s_delay_alu instid0(SALU_CYCLE_1)
	s_and_not1_b32 vcc_lo, exec_lo, s3
	s_cbranch_vccnz .LBB288_1192
; %bb.1191:
	global_load_b32 v4, v[0:1], off
.LBB288_1192:
	s_mov_b32 s3, 0
.LBB288_1193:
	s_delay_alu instid0(SALU_CYCLE_1)
	s_and_not1_b32 vcc_lo, exec_lo, s3
	s_cbranch_vccnz .LBB288_1195
; %bb.1194:
	global_load_u16 v4, v[0:1], off
.LBB288_1195:
	s_mov_b32 s3, 0
.LBB288_1196:
	s_delay_alu instid0(SALU_CYCLE_1)
	s_and_not1_b32 vcc_lo, exec_lo, s3
	s_cbranch_vccnz .LBB288_1202
; %bb.1197:
	v_cmp_gt_i16_e64 s3, s10, 0
	s_delay_alu instid0(VALU_DEP_1)
	s_and_b32 vcc_lo, exec_lo, s3
	s_mov_b32 s3, 0
	s_cbranch_vccz .LBB288_1199
; %bb.1198:
	global_load_u8 v4, v[0:1], off
	s_branch .LBB288_1200
.LBB288_1199:
	s_mov_b32 s3, -1
                                        ; implicit-def: $vgpr4
.LBB288_1200:
	s_delay_alu instid0(SALU_CYCLE_1)
	s_and_not1_b32 vcc_lo, exec_lo, s3
	s_cbranch_vccnz .LBB288_1202
; %bb.1201:
	global_load_u8 v4, v[0:1], off
.LBB288_1202:
	s_branch .LBB288_1271
.LBB288_1203:
	s_trap 2
	s_sendmsg_rtn_b32 s0, sendmsg(MSG_RTN_GET_DOORBELL)
	s_mov_b32 ttmp2, m0
	s_waitcnt lgkmcnt(0)
	s_and_b32 s0, s0, 0x3ff
	s_delay_alu instid0(SALU_CYCLE_1) | instskip(NEXT) | instid1(SALU_CYCLE_1)
	s_bitset1_b32 s0, 10
	s_mov_b32 m0, s0
	s_sendmsg sendmsg(MSG_INTERRUPT)
	s_mov_b32 m0, ttmp2
.LBB288_1204:                           ; =>This Inner Loop Header: Depth=1
	s_sethalt 5
	s_branch .LBB288_1204
.LBB288_1205:
	s_or_saveexec_b32 s19, s19
                                        ; implicit-def: $sgpr20
	s_delay_alu instid0(SALU_CYCLE_1)
	s_xor_b32 exec_lo, exec_lo, s19
	s_cbranch_execz .LBB288_940
.LBB288_1206:
	v_add_f32_e64 v5, 0x42800000, |v2|
	s_and_not1_b32 s18, s18, exec_lo
	s_mov_b32 s20, 0
	s_delay_alu instid0(VALU_DEP_1) | instskip(NEXT) | instid1(VALU_DEP_1)
	v_and_b32_e32 v5, 0xff, v5
	v_cmp_ne_u32_e32 vcc_lo, 0, v5
	s_and_b32 s21, vcc_lo, exec_lo
	s_delay_alu instid0(SALU_CYCLE_1)
	s_or_b32 s18, s18, s21
	s_or_b32 exec_lo, exec_lo, s19
	v_mov_b32_e32 v6, s20
	s_and_saveexec_b32 s19, s18
	s_cbranch_execnz .LBB288_941
	s_branch .LBB288_942
.LBB288_1207:
	s_mov_b32 s3, -1
	s_mov_b32 s15, 0
.LBB288_1208:
                                        ; implicit-def: $vgpr4
.LBB288_1209:
	s_and_b32 vcc_lo, exec_lo, s16
	s_cbranch_vccz .LBB288_1213
; %bb.1210:
	v_cmp_eq_u16_e64 s3, s10, 44
	s_delay_alu instid0(VALU_DEP_1)
	s_and_b32 vcc_lo, exec_lo, s3
	s_cbranch_vccz .LBB288_1212
; %bb.1211:
	global_load_u8 v3, v[0:1], off
	s_mov_b32 s3, 0
	s_mov_b32 s15, -1
	s_waitcnt vmcnt(0)
	v_lshlrev_b32_e32 v4, 23, v3
	v_cmp_ne_u32_e32 vcc_lo, 0, v3
	s_delay_alu instid0(VALU_DEP_2) | instskip(NEXT) | instid1(VALU_DEP_1)
	v_cvt_i32_f32_e32 v4, v4
	v_cndmask_b32_e32 v4, 0, v4, vcc_lo
	s_branch .LBB288_1213
.LBB288_1212:
	s_mov_b32 s3, -1
                                        ; implicit-def: $vgpr4
.LBB288_1213:
	s_mov_b32 s16, 0
.LBB288_1214:
	s_delay_alu instid0(SALU_CYCLE_1)
	s_and_b32 vcc_lo, exec_lo, s16
	s_cbranch_vccz .LBB288_1218
; %bb.1215:
	v_cmp_eq_u16_e64 s3, s10, 29
	s_delay_alu instid0(VALU_DEP_1)
	s_and_b32 vcc_lo, exec_lo, s3
	s_cbranch_vccz .LBB288_1217
; %bb.1216:
	global_load_b64 v[4:5], v[0:1], off
	s_mov_b32 s3, 0
	s_mov_b32 s15, -1
	s_branch .LBB288_1218
.LBB288_1217:
	s_mov_b32 s3, -1
                                        ; implicit-def: $vgpr4
.LBB288_1218:
	s_mov_b32 s16, 0
.LBB288_1219:
	s_delay_alu instid0(SALU_CYCLE_1)
	s_and_b32 vcc_lo, exec_lo, s16
	s_cbranch_vccz .LBB288_1235
; %bb.1220:
	v_cmp_lt_i16_e64 s15, s10, 27
	s_delay_alu instid0(VALU_DEP_1)
	s_and_b32 vcc_lo, exec_lo, s15
	s_cbranch_vccnz .LBB288_1223
; %bb.1221:
	v_cmp_gt_i16_e64 s15, s10, 27
	s_delay_alu instid0(VALU_DEP_1)
	s_and_b32 vcc_lo, exec_lo, s15
	s_cbranch_vccz .LBB288_1224
; %bb.1222:
	global_load_b32 v4, v[0:1], off
	s_mov_b32 s15, 0
	s_branch .LBB288_1225
.LBB288_1223:
	s_mov_b32 s15, -1
                                        ; implicit-def: $vgpr4
	s_branch .LBB288_1228
.LBB288_1224:
	s_mov_b32 s15, -1
                                        ; implicit-def: $vgpr4
.LBB288_1225:
	s_delay_alu instid0(SALU_CYCLE_1)
	s_and_not1_b32 vcc_lo, exec_lo, s15
	s_cbranch_vccnz .LBB288_1227
; %bb.1226:
	global_load_u16 v4, v[0:1], off
.LBB288_1227:
	s_mov_b32 s15, 0
.LBB288_1228:
	s_delay_alu instid0(SALU_CYCLE_1)
	s_and_not1_b32 vcc_lo, exec_lo, s15
	s_cbranch_vccnz .LBB288_1234
; %bb.1229:
	global_load_u8 v3, v[0:1], off
	s_mov_b32 s15, 0
	s_mov_b32 s16, exec_lo
                                        ; implicit-def: $sgpr17
	s_waitcnt vmcnt(0)
	v_cmpx_lt_i16_e32 0x7f, v3
	s_xor_b32 s16, exec_lo, s16
	s_cbranch_execz .LBB288_1245
; %bb.1230:
	v_cmp_ne_u16_e32 vcc_lo, 0x80, v3
	s_mov_b32 s17, 0
	s_and_b32 s15, vcc_lo, exec_lo
	s_or_saveexec_b32 s16, s16
	v_mov_b32_e32 v4, s17
	s_xor_b32 exec_lo, exec_lo, s16
	s_cbranch_execnz .LBB288_1246
.LBB288_1231:
	s_or_b32 exec_lo, exec_lo, s16
	s_and_saveexec_b32 s16, s15
	s_cbranch_execz .LBB288_1233
.LBB288_1232:
	v_and_b32_e32 v4, 0xffff, v3
	v_lshlrev_b32_e32 v3, 24, v3
	s_delay_alu instid0(VALU_DEP_2) | instskip(NEXT) | instid1(VALU_DEP_2)
	v_and_b32_e32 v5, 7, v4
	v_and_b32_e32 v3, 0x80000000, v3
	s_delay_alu instid0(VALU_DEP_2) | instskip(NEXT) | instid1(VALU_DEP_1)
	v_clz_i32_u32_e32 v7, v5
	v_min_u32_e32 v7, 32, v7
	s_delay_alu instid0(VALU_DEP_1) | instskip(SKIP_1) | instid1(VALU_DEP_2)
	v_subrev_nc_u32_e32 v8, 28, v7
	v_sub_nc_u32_e32 v7, 29, v7
	v_lshlrev_b32_e32 v8, v8, v4
	v_bfe_u32 v4, v4, 3, 4
	s_delay_alu instid0(VALU_DEP_2) | instskip(NEXT) | instid1(VALU_DEP_2)
	v_and_b32_e32 v8, 7, v8
	v_cmp_eq_u32_e32 vcc_lo, 0, v4
	s_delay_alu instid0(VALU_DEP_2) | instskip(NEXT) | instid1(VALU_DEP_1)
	v_dual_cndmask_b32 v4, v4, v7 :: v_dual_cndmask_b32 v5, v5, v8
	v_lshl_add_u32 v4, v4, 23, 0x3b800000
	s_delay_alu instid0(VALU_DEP_2) | instskip(NEXT) | instid1(VALU_DEP_1)
	v_lshlrev_b32_e32 v5, 20, v5
	v_or3_b32 v3, v3, v4, v5
	s_delay_alu instid0(VALU_DEP_1)
	v_cvt_i32_f32_e32 v4, v3
.LBB288_1233:
	s_or_b32 exec_lo, exec_lo, s16
.LBB288_1234:
	s_mov_b32 s15, -1
.LBB288_1235:
	s_branch .LBB288_1266
.LBB288_1236:
	v_cmp_gt_i16_e64 s14, s10, 22
	s_delay_alu instid0(VALU_DEP_1)
	s_and_b32 vcc_lo, exec_lo, s14
	s_cbranch_vccz .LBB288_1244
; %bb.1237:
	v_cmp_lt_i16_e64 s14, s10, 24
	s_delay_alu instid0(VALU_DEP_1)
	s_and_b32 vcc_lo, exec_lo, s14
	s_cbranch_vccnz .LBB288_1247
; %bb.1238:
	v_cmp_gt_i16_e64 s14, s10, 24
	s_delay_alu instid0(VALU_DEP_1)
	s_and_b32 vcc_lo, exec_lo, s14
	s_cbranch_vccz .LBB288_1248
; %bb.1239:
	global_load_u8 v3, v[0:1], off
	s_mov_b32 s14, 0
	s_mov_b32 s15, exec_lo
                                        ; implicit-def: $sgpr16
	s_waitcnt vmcnt(0)
	v_cmpx_lt_i16_e32 0x7f, v3
	s_xor_b32 s15, exec_lo, s15
	s_cbranch_execz .LBB288_1260
; %bb.1240:
	v_cmp_ne_u16_e32 vcc_lo, 0x80, v3
	s_mov_b32 s16, 0
	s_and_b32 s14, vcc_lo, exec_lo
	s_or_saveexec_b32 s15, s15
	v_mov_b32_e32 v4, s16
	s_xor_b32 exec_lo, exec_lo, s15
	s_cbranch_execnz .LBB288_1261
.LBB288_1241:
	s_or_b32 exec_lo, exec_lo, s15
	s_and_saveexec_b32 s15, s14
	s_cbranch_execz .LBB288_1243
.LBB288_1242:
	v_and_b32_e32 v4, 0xffff, v3
	v_lshlrev_b32_e32 v3, 24, v3
	s_delay_alu instid0(VALU_DEP_2) | instskip(NEXT) | instid1(VALU_DEP_2)
	v_and_b32_e32 v5, 3, v4
	v_and_b32_e32 v3, 0x80000000, v3
	s_delay_alu instid0(VALU_DEP_2) | instskip(NEXT) | instid1(VALU_DEP_1)
	v_clz_i32_u32_e32 v7, v5
	v_min_u32_e32 v7, 32, v7
	s_delay_alu instid0(VALU_DEP_1) | instskip(SKIP_1) | instid1(VALU_DEP_2)
	v_subrev_nc_u32_e32 v8, 29, v7
	v_sub_nc_u32_e32 v7, 30, v7
	v_lshlrev_b32_e32 v8, v8, v4
	v_bfe_u32 v4, v4, 2, 5
	s_delay_alu instid0(VALU_DEP_2) | instskip(NEXT) | instid1(VALU_DEP_2)
	v_and_b32_e32 v8, 3, v8
	v_cmp_eq_u32_e32 vcc_lo, 0, v4
	s_delay_alu instid0(VALU_DEP_2) | instskip(NEXT) | instid1(VALU_DEP_1)
	v_dual_cndmask_b32 v4, v4, v7 :: v_dual_cndmask_b32 v5, v5, v8
	v_lshl_add_u32 v4, v4, 23, 0x37800000
	s_delay_alu instid0(VALU_DEP_2) | instskip(NEXT) | instid1(VALU_DEP_1)
	v_lshlrev_b32_e32 v5, 21, v5
	v_or3_b32 v3, v3, v4, v5
	s_delay_alu instid0(VALU_DEP_1)
	v_cvt_i32_f32_e32 v4, v3
.LBB288_1243:
	s_or_b32 exec_lo, exec_lo, s15
	s_mov_b32 s14, 0
	s_branch .LBB288_1249
.LBB288_1244:
	s_mov_b32 s14, -1
                                        ; implicit-def: $vgpr4
	s_branch .LBB288_1255
.LBB288_1245:
	s_or_saveexec_b32 s16, s16
	v_mov_b32_e32 v4, s17
	s_xor_b32 exec_lo, exec_lo, s16
	s_cbranch_execz .LBB288_1231
.LBB288_1246:
	v_cmp_ne_u16_e32 vcc_lo, 0, v3
	v_mov_b32_e32 v4, 0
	s_and_not1_b32 s15, s15, exec_lo
	s_and_b32 s17, vcc_lo, exec_lo
	s_delay_alu instid0(SALU_CYCLE_1)
	s_or_b32 s15, s15, s17
	s_or_b32 exec_lo, exec_lo, s16
	s_and_saveexec_b32 s16, s15
	s_cbranch_execnz .LBB288_1232
	s_branch .LBB288_1233
.LBB288_1247:
	s_mov_b32 s14, -1
                                        ; implicit-def: $vgpr4
	s_branch .LBB288_1252
.LBB288_1248:
	s_mov_b32 s14, -1
                                        ; implicit-def: $vgpr4
.LBB288_1249:
	s_delay_alu instid0(SALU_CYCLE_1)
	s_and_b32 vcc_lo, exec_lo, s14
	s_cbranch_vccz .LBB288_1251
; %bb.1250:
	global_load_u8 v3, v[0:1], off
	s_waitcnt vmcnt(0)
	v_lshlrev_b32_e32 v3, 24, v3
	s_delay_alu instid0(VALU_DEP_1) | instskip(NEXT) | instid1(VALU_DEP_1)
	v_and_b32_e32 v4, 0x7f000000, v3
	v_clz_i32_u32_e32 v5, v4
	v_add_nc_u32_e32 v8, 0x1000000, v4
	v_cmp_ne_u32_e32 vcc_lo, 0, v4
	s_delay_alu instid0(VALU_DEP_3) | instskip(NEXT) | instid1(VALU_DEP_1)
	v_min_u32_e32 v5, 32, v5
	v_sub_nc_u32_e64 v5, v5, 4 clamp
	s_delay_alu instid0(VALU_DEP_1) | instskip(SKIP_1) | instid1(VALU_DEP_2)
	v_lshlrev_b32_e32 v7, v5, v4
	v_lshlrev_b32_e32 v5, 23, v5
	v_lshrrev_b32_e32 v7, 4, v7
	s_delay_alu instid0(VALU_DEP_1) | instskip(SKIP_1) | instid1(VALU_DEP_2)
	v_sub_nc_u32_e32 v5, v7, v5
	v_ashrrev_i32_e32 v7, 8, v8
	v_add_nc_u32_e32 v5, 0x3c000000, v5
	s_delay_alu instid0(VALU_DEP_1) | instskip(NEXT) | instid1(VALU_DEP_1)
	v_and_or_b32 v5, 0x7f800000, v7, v5
	v_cndmask_b32_e32 v4, 0, v5, vcc_lo
	s_delay_alu instid0(VALU_DEP_1) | instskip(NEXT) | instid1(VALU_DEP_1)
	v_and_or_b32 v3, 0x80000000, v3, v4
	v_cvt_i32_f32_e32 v4, v3
.LBB288_1251:
	s_mov_b32 s14, 0
.LBB288_1252:
	s_delay_alu instid0(SALU_CYCLE_1)
	s_and_not1_b32 vcc_lo, exec_lo, s14
	s_cbranch_vccnz .LBB288_1254
; %bb.1253:
	global_load_u8 v3, v[0:1], off
	s_waitcnt vmcnt(0)
	v_lshlrev_b32_e32 v4, 25, v3
	v_lshlrev_b16 v3, 8, v3
	s_delay_alu instid0(VALU_DEP_2) | instskip(NEXT) | instid1(VALU_DEP_2)
	v_lshrrev_b32_e32 v5, 4, v4
	v_and_or_b32 v7, 0x7f00, v3, 0.5
	v_bfe_i32 v3, v3, 0, 16
	s_delay_alu instid0(VALU_DEP_3) | instskip(NEXT) | instid1(VALU_DEP_3)
	v_or_b32_e32 v5, 0x70000000, v5
	v_add_f32_e32 v7, -0.5, v7
	s_delay_alu instid0(VALU_DEP_2) | instskip(SKIP_1) | instid1(VALU_DEP_2)
	v_mul_f32_e32 v5, 0x7800000, v5
	v_cmp_gt_u32_e32 vcc_lo, 0x8000000, v4
	v_cndmask_b32_e32 v4, v5, v7, vcc_lo
	s_delay_alu instid0(VALU_DEP_1) | instskip(NEXT) | instid1(VALU_DEP_1)
	v_and_or_b32 v3, 0x80000000, v3, v4
	v_cvt_i32_f32_e32 v4, v3
.LBB288_1254:
	s_mov_b32 s14, 0
	s_mov_b32 s15, -1
.LBB288_1255:
	s_and_not1_b32 vcc_lo, exec_lo, s14
	s_mov_b32 s14, 0
	s_cbranch_vccnz .LBB288_1266
; %bb.1256:
	v_cmp_gt_i16_e64 s14, s10, 14
	s_delay_alu instid0(VALU_DEP_1)
	s_and_b32 vcc_lo, exec_lo, s14
	s_cbranch_vccz .LBB288_1259
; %bb.1257:
	v_cmp_eq_u16_e64 s3, s10, 15
	s_delay_alu instid0(VALU_DEP_1)
	s_and_b32 vcc_lo, exec_lo, s3
	s_cbranch_vccz .LBB288_1262
; %bb.1258:
	global_load_u16 v3, v[0:1], off
	s_mov_b32 s3, 0
	s_mov_b32 s15, -1
	s_waitcnt vmcnt(0)
	v_lshlrev_b32_e32 v3, 16, v3
	s_delay_alu instid0(VALU_DEP_1)
	v_cvt_i32_f32_e32 v4, v3
	s_branch .LBB288_1263
.LBB288_1259:
	s_mov_b32 s14, -1
                                        ; implicit-def: $vgpr4
	s_branch .LBB288_1264
.LBB288_1260:
	s_or_saveexec_b32 s15, s15
	v_mov_b32_e32 v4, s16
	s_xor_b32 exec_lo, exec_lo, s15
	s_cbranch_execz .LBB288_1241
.LBB288_1261:
	v_cmp_ne_u16_e32 vcc_lo, 0, v3
	v_mov_b32_e32 v4, 0
	s_and_not1_b32 s14, s14, exec_lo
	s_and_b32 s16, vcc_lo, exec_lo
	s_delay_alu instid0(SALU_CYCLE_1)
	s_or_b32 s14, s14, s16
	s_or_b32 exec_lo, exec_lo, s15
	s_and_saveexec_b32 s15, s14
	s_cbranch_execnz .LBB288_1242
	s_branch .LBB288_1243
.LBB288_1262:
	s_mov_b32 s3, -1
                                        ; implicit-def: $vgpr4
.LBB288_1263:
	s_mov_b32 s14, 0
.LBB288_1264:
	s_delay_alu instid0(SALU_CYCLE_1)
	s_and_b32 vcc_lo, exec_lo, s14
	s_mov_b32 s14, 0
	s_cbranch_vccz .LBB288_1266
; %bb.1265:
	v_cmp_ne_u16_e64 s3, s10, 11
	s_mov_b32 s14, -1
                                        ; implicit-def: $vgpr4
.LBB288_1266:
	s_delay_alu instid0(VALU_DEP_1)
	s_and_b32 vcc_lo, exec_lo, s3
	s_cbranch_vccnz .LBB288_1290
; %bb.1267:
	s_and_not1_b32 vcc_lo, exec_lo, s14
	s_cbranch_vccnz .LBB288_1269
.LBB288_1268:
	global_load_u8 v3, v[0:1], off
	s_mov_b32 s15, -1
	s_waitcnt vmcnt(0)
	v_cmp_ne_u16_e32 vcc_lo, 0, v3
	v_cndmask_b32_e64 v4, 0, 1, vcc_lo
.LBB288_1269:
.LBB288_1270:
	s_and_not1_b32 vcc_lo, exec_lo, s15
	s_cbranch_vccnz .LBB288_1963
.LBB288_1271:
	s_waitcnt vmcnt(0)
	v_add_nc_u32_e32 v5, s0, v2
	v_cmp_lt_i16_e64 s3, s10, 11
	s_delay_alu instid0(VALU_DEP_2) | instskip(SKIP_1) | instid1(VALU_DEP_2)
	v_ashrrev_i32_e32 v1, 31, v5
	v_add_co_u32 v0, vcc_lo, s6, v5
	v_add_co_ci_u32_e32 v1, vcc_lo, s7, v1, vcc_lo
	s_delay_alu instid0(VALU_DEP_4)
	s_and_b32 vcc_lo, exec_lo, s3
	s_cbranch_vccnz .LBB288_1278
; %bb.1272:
	v_cmp_gt_i16_e64 s3, s10, 25
	s_mov_b32 s14, 0
	s_delay_alu instid0(VALU_DEP_1)
	s_and_b32 vcc_lo, exec_lo, s3
	s_cbranch_vccz .LBB288_1284
; %bb.1273:
	v_cmp_gt_i16_e64 s3, s10, 28
	s_delay_alu instid0(VALU_DEP_1)
	s_and_b32 vcc_lo, exec_lo, s3
	s_cbranch_vccz .LBB288_1286
; %bb.1274:
	v_cmp_gt_i16_e64 s3, s10, 43
	;; [unrolled: 5-line block ×3, first 2 shown]
	s_delay_alu instid0(VALU_DEP_1)
	s_and_b32 vcc_lo, exec_lo, s3
	s_cbranch_vccz .LBB288_1292
; %bb.1276:
	v_cmp_eq_u16_e64 s3, s10, 46
	s_mov_b32 s16, 0
	s_delay_alu instid0(VALU_DEP_1)
	s_and_b32 vcc_lo, exec_lo, s3
	s_cbranch_vccz .LBB288_1335
; %bb.1277:
	global_load_b32 v2, v[0:1], off
	s_mov_b32 s3, 0
	s_mov_b32 s15, -1
	s_waitcnt vmcnt(0)
	v_lshlrev_b32_e32 v2, 16, v2
	s_delay_alu instid0(VALU_DEP_1)
	v_cvt_i32_f32_e32 v2, v2
	s_branch .LBB288_1337
.LBB288_1278:
	s_mov_b32 s15, 0
                                        ; implicit-def: $vgpr2
	s_cbranch_execz .LBB288_1399
; %bb.1279:
	v_cmp_lt_i16_e64 s3, s10, 5
	s_delay_alu instid0(VALU_DEP_1)
	s_and_b32 vcc_lo, exec_lo, s3
	s_cbranch_vccnz .LBB288_1285
; %bb.1280:
	v_cmp_lt_i16_e64 s3, s10, 8
	s_delay_alu instid0(VALU_DEP_1)
	s_and_b32 vcc_lo, exec_lo, s3
	s_cbranch_vccnz .LBB288_1287
	;; [unrolled: 5-line block ×3, first 2 shown]
; %bb.1282:
	v_cmp_gt_i16_e64 s3, s10, 9
	s_delay_alu instid0(VALU_DEP_1)
	s_and_b32 vcc_lo, exec_lo, s3
	s_cbranch_vccz .LBB288_1293
; %bb.1283:
	global_load_b64 v[2:3], v[0:1], off
	s_mov_b32 s3, 0
	s_waitcnt vmcnt(0)
	v_cvt_i32_f64_e32 v2, v[2:3]
	s_branch .LBB288_1294
.LBB288_1284:
	s_mov_b32 s16, -1
	s_mov_b32 s15, 0
	s_mov_b32 s3, 0
                                        ; implicit-def: $vgpr2
	s_branch .LBB288_1364
.LBB288_1285:
	s_mov_b32 s3, -1
                                        ; implicit-def: $vgpr2
	s_branch .LBB288_1312
.LBB288_1286:
	s_mov_b32 s16, -1
	s_mov_b32 s15, 0
	s_mov_b32 s3, 0
                                        ; implicit-def: $vgpr2
	s_branch .LBB288_1347
.LBB288_1287:
	s_mov_b32 s3, -1
                                        ; implicit-def: $vgpr2
	s_branch .LBB288_1300
.LBB288_1288:
	s_mov_b32 s16, -1
	s_mov_b32 s15, 0
	s_mov_b32 s3, 0
                                        ; implicit-def: $vgpr2
	s_branch .LBB288_1342
.LBB288_1289:
	s_mov_b32 s3, -1
                                        ; implicit-def: $vgpr2
	s_branch .LBB288_1297
.LBB288_1290:
	s_cbranch_execnz .LBB288_1333
; %bb.1291:
	s_or_b32 s11, s11, exec_lo
                                        ; implicit-def: $vgpr4
	s_cbranch_execz .LBB288_1268
	s_branch .LBB288_1269
.LBB288_1292:
	s_mov_b32 s16, -1
	s_mov_b32 s15, 0
	s_mov_b32 s3, 0
	s_branch .LBB288_1336
.LBB288_1293:
	s_mov_b32 s3, -1
                                        ; implicit-def: $vgpr2
.LBB288_1294:
	s_delay_alu instid0(SALU_CYCLE_1)
	s_and_not1_b32 vcc_lo, exec_lo, s3
	s_cbranch_vccnz .LBB288_1296
; %bb.1295:
	global_load_b32 v2, v[0:1], off
	s_waitcnt vmcnt(0)
	v_cvt_i32_f32_e32 v2, v2
.LBB288_1296:
	s_mov_b32 s3, 0
.LBB288_1297:
	s_delay_alu instid0(SALU_CYCLE_1)
	s_and_not1_b32 vcc_lo, exec_lo, s3
	s_cbranch_vccnz .LBB288_1299
; %bb.1298:
	global_load_b32 v2, v[0:1], off
	s_waitcnt vmcnt(0)
	v_cvt_i16_f16_e32 v2, v2
.LBB288_1299:
	s_mov_b32 s3, 0
.LBB288_1300:
	s_delay_alu instid0(SALU_CYCLE_1)
	s_and_not1_b32 vcc_lo, exec_lo, s3
	s_cbranch_vccnz .LBB288_1311
; %bb.1301:
	v_cmp_lt_i16_e64 s3, s10, 6
	s_delay_alu instid0(VALU_DEP_1)
	s_and_b32 vcc_lo, exec_lo, s3
	s_cbranch_vccnz .LBB288_1304
; %bb.1302:
	v_cmp_gt_i16_e64 s3, s10, 6
	s_delay_alu instid0(VALU_DEP_1)
	s_and_b32 vcc_lo, exec_lo, s3
	s_cbranch_vccz .LBB288_1305
; %bb.1303:
	global_load_b64 v[2:3], v[0:1], off
	s_mov_b32 s3, 0
	s_waitcnt vmcnt(0)
	v_cvt_i32_f64_e32 v2, v[2:3]
	s_branch .LBB288_1306
.LBB288_1304:
	s_mov_b32 s3, -1
                                        ; implicit-def: $vgpr2
	s_branch .LBB288_1309
.LBB288_1305:
	s_mov_b32 s3, -1
                                        ; implicit-def: $vgpr2
.LBB288_1306:
	s_delay_alu instid0(SALU_CYCLE_1)
	s_and_not1_b32 vcc_lo, exec_lo, s3
	s_cbranch_vccnz .LBB288_1308
; %bb.1307:
	global_load_b32 v2, v[0:1], off
	s_waitcnt vmcnt(0)
	v_cvt_i32_f32_e32 v2, v2
.LBB288_1308:
	s_mov_b32 s3, 0
.LBB288_1309:
	s_delay_alu instid0(SALU_CYCLE_1)
	s_and_not1_b32 vcc_lo, exec_lo, s3
	s_cbranch_vccnz .LBB288_1311
; %bb.1310:
	global_load_u16 v2, v[0:1], off
	s_waitcnt vmcnt(0)
	v_cvt_i16_f16_e32 v2, v2
.LBB288_1311:
	s_mov_b32 s3, 0
.LBB288_1312:
	s_delay_alu instid0(SALU_CYCLE_1)
	s_and_not1_b32 vcc_lo, exec_lo, s3
	s_cbranch_vccnz .LBB288_1332
; %bb.1313:
	v_cmp_lt_i16_e64 s3, s10, 2
	s_delay_alu instid0(VALU_DEP_1)
	s_and_b32 vcc_lo, exec_lo, s3
	s_cbranch_vccnz .LBB288_1317
; %bb.1314:
	v_cmp_lt_i16_e64 s3, s10, 3
	s_delay_alu instid0(VALU_DEP_1)
	s_and_b32 vcc_lo, exec_lo, s3
	s_cbranch_vccnz .LBB288_1318
; %bb.1315:
	v_cmp_gt_i16_e64 s3, s10, 3
	s_delay_alu instid0(VALU_DEP_1)
	s_and_b32 vcc_lo, exec_lo, s3
	s_cbranch_vccz .LBB288_1319
; %bb.1316:
	global_load_b64 v[2:3], v[0:1], off
	s_mov_b32 s3, 0
	s_branch .LBB288_1320
.LBB288_1317:
	s_mov_b32 s3, -1
                                        ; implicit-def: $vgpr2
	s_branch .LBB288_1326
.LBB288_1318:
	s_mov_b32 s3, -1
                                        ; implicit-def: $vgpr2
	s_branch .LBB288_1323
.LBB288_1319:
	s_mov_b32 s3, -1
                                        ; implicit-def: $vgpr2
.LBB288_1320:
	s_delay_alu instid0(SALU_CYCLE_1)
	s_and_not1_b32 vcc_lo, exec_lo, s3
	s_cbranch_vccnz .LBB288_1322
; %bb.1321:
	global_load_b32 v2, v[0:1], off
.LBB288_1322:
	s_mov_b32 s3, 0
.LBB288_1323:
	s_delay_alu instid0(SALU_CYCLE_1)
	s_and_not1_b32 vcc_lo, exec_lo, s3
	s_cbranch_vccnz .LBB288_1325
; %bb.1324:
	global_load_u16 v2, v[0:1], off
.LBB288_1325:
	s_mov_b32 s3, 0
.LBB288_1326:
	s_delay_alu instid0(SALU_CYCLE_1)
	s_and_not1_b32 vcc_lo, exec_lo, s3
	s_cbranch_vccnz .LBB288_1332
; %bb.1327:
	v_cmp_gt_i16_e64 s3, s10, 0
	s_delay_alu instid0(VALU_DEP_1)
	s_and_b32 vcc_lo, exec_lo, s3
	s_mov_b32 s3, 0
	s_cbranch_vccz .LBB288_1329
; %bb.1328:
	global_load_u8 v2, v[0:1], off
	s_branch .LBB288_1330
.LBB288_1329:
	s_mov_b32 s3, -1
                                        ; implicit-def: $vgpr2
.LBB288_1330:
	s_delay_alu instid0(SALU_CYCLE_1)
	s_and_not1_b32 vcc_lo, exec_lo, s3
	s_cbranch_vccnz .LBB288_1332
; %bb.1331:
	global_load_u8 v2, v[0:1], off
.LBB288_1332:
	s_branch .LBB288_1400
.LBB288_1333:
	s_trap 2
	s_sendmsg_rtn_b32 s0, sendmsg(MSG_RTN_GET_DOORBELL)
	s_mov_b32 ttmp2, m0
	s_waitcnt lgkmcnt(0)
	s_and_b32 s0, s0, 0x3ff
	s_delay_alu instid0(SALU_CYCLE_1) | instskip(NEXT) | instid1(SALU_CYCLE_1)
	s_bitset1_b32 s0, 10
	s_mov_b32 m0, s0
	s_sendmsg sendmsg(MSG_INTERRUPT)
	s_mov_b32 m0, ttmp2
.LBB288_1334:                           ; =>This Inner Loop Header: Depth=1
	s_sethalt 5
	s_branch .LBB288_1334
.LBB288_1335:
	s_mov_b32 s3, -1
	s_mov_b32 s15, 0
.LBB288_1336:
                                        ; implicit-def: $vgpr2
.LBB288_1337:
	s_and_b32 vcc_lo, exec_lo, s16
	s_cbranch_vccz .LBB288_1341
; %bb.1338:
	v_cmp_eq_u16_e64 s3, s10, 44
	s_delay_alu instid0(VALU_DEP_1)
	s_and_b32 vcc_lo, exec_lo, s3
	s_cbranch_vccz .LBB288_1340
; %bb.1339:
	global_load_u8 v2, v[0:1], off
	s_mov_b32 s3, 0
	s_mov_b32 s15, -1
	s_waitcnt vmcnt(0)
	v_lshlrev_b32_e32 v3, 23, v2
	v_cmp_ne_u32_e32 vcc_lo, 0, v2
	s_delay_alu instid0(VALU_DEP_2) | instskip(NEXT) | instid1(VALU_DEP_1)
	v_cvt_i32_f32_e32 v3, v3
	v_cndmask_b32_e32 v2, 0, v3, vcc_lo
	s_branch .LBB288_1341
.LBB288_1340:
	s_mov_b32 s3, -1
                                        ; implicit-def: $vgpr2
.LBB288_1341:
	s_mov_b32 s16, 0
.LBB288_1342:
	s_delay_alu instid0(SALU_CYCLE_1)
	s_and_b32 vcc_lo, exec_lo, s16
	s_cbranch_vccz .LBB288_1346
; %bb.1343:
	v_cmp_eq_u16_e64 s3, s10, 29
	s_delay_alu instid0(VALU_DEP_1)
	s_and_b32 vcc_lo, exec_lo, s3
	s_cbranch_vccz .LBB288_1345
; %bb.1344:
	global_load_b64 v[2:3], v[0:1], off
	s_mov_b32 s3, 0
	s_mov_b32 s15, -1
	s_branch .LBB288_1346
.LBB288_1345:
	s_mov_b32 s3, -1
                                        ; implicit-def: $vgpr2
.LBB288_1346:
	s_mov_b32 s16, 0
.LBB288_1347:
	s_delay_alu instid0(SALU_CYCLE_1)
	s_and_b32 vcc_lo, exec_lo, s16
	s_cbranch_vccz .LBB288_1363
; %bb.1348:
	v_cmp_lt_i16_e64 s15, s10, 27
	s_delay_alu instid0(VALU_DEP_1)
	s_and_b32 vcc_lo, exec_lo, s15
	s_cbranch_vccnz .LBB288_1351
; %bb.1349:
	v_cmp_gt_i16_e64 s15, s10, 27
	s_delay_alu instid0(VALU_DEP_1)
	s_and_b32 vcc_lo, exec_lo, s15
	s_cbranch_vccz .LBB288_1352
; %bb.1350:
	global_load_b32 v2, v[0:1], off
	s_mov_b32 s15, 0
	s_branch .LBB288_1353
.LBB288_1351:
	s_mov_b32 s15, -1
                                        ; implicit-def: $vgpr2
	s_branch .LBB288_1356
.LBB288_1352:
	s_mov_b32 s15, -1
                                        ; implicit-def: $vgpr2
.LBB288_1353:
	s_delay_alu instid0(SALU_CYCLE_1)
	s_and_not1_b32 vcc_lo, exec_lo, s15
	s_cbranch_vccnz .LBB288_1355
; %bb.1354:
	global_load_u16 v2, v[0:1], off
.LBB288_1355:
	s_mov_b32 s15, 0
.LBB288_1356:
	s_delay_alu instid0(SALU_CYCLE_1)
	s_and_not1_b32 vcc_lo, exec_lo, s15
	s_cbranch_vccnz .LBB288_1362
; %bb.1357:
	global_load_u8 v3, v[0:1], off
	s_mov_b32 s15, 0
	s_mov_b32 s16, exec_lo
                                        ; implicit-def: $sgpr17
	s_waitcnt vmcnt(0)
	v_cmpx_lt_i16_e32 0x7f, v3
	s_xor_b32 s16, exec_lo, s16
	s_cbranch_execz .LBB288_1374
; %bb.1358:
	v_cmp_ne_u16_e32 vcc_lo, 0x80, v3
	s_mov_b32 s17, 0
	s_and_b32 s15, vcc_lo, exec_lo
	s_or_saveexec_b32 s16, s16
	v_mov_b32_e32 v2, s17
	s_xor_b32 exec_lo, exec_lo, s16
	s_cbranch_execnz .LBB288_1375
.LBB288_1359:
	s_or_b32 exec_lo, exec_lo, s16
	s_and_saveexec_b32 s16, s15
	s_cbranch_execz .LBB288_1361
.LBB288_1360:
	v_and_b32_e32 v2, 0xffff, v3
	v_lshlrev_b32_e32 v3, 24, v3
	s_delay_alu instid0(VALU_DEP_2) | instskip(NEXT) | instid1(VALU_DEP_2)
	v_and_b32_e32 v7, 7, v2
	v_and_b32_e32 v3, 0x80000000, v3
	s_delay_alu instid0(VALU_DEP_2) | instskip(NEXT) | instid1(VALU_DEP_1)
	v_clz_i32_u32_e32 v8, v7
	v_min_u32_e32 v8, 32, v8
	s_delay_alu instid0(VALU_DEP_1) | instskip(SKIP_1) | instid1(VALU_DEP_2)
	v_subrev_nc_u32_e32 v10, 28, v8
	v_sub_nc_u32_e32 v8, 29, v8
	v_lshlrev_b32_e32 v10, v10, v2
	v_bfe_u32 v2, v2, 3, 4
	s_delay_alu instid0(VALU_DEP_2) | instskip(NEXT) | instid1(VALU_DEP_2)
	v_and_b32_e32 v10, 7, v10
	v_cmp_eq_u32_e32 vcc_lo, 0, v2
	s_delay_alu instid0(VALU_DEP_2) | instskip(NEXT) | instid1(VALU_DEP_1)
	v_dual_cndmask_b32 v2, v2, v8 :: v_dual_cndmask_b32 v7, v7, v10
	v_lshl_add_u32 v2, v2, 23, 0x3b800000
	s_delay_alu instid0(VALU_DEP_2) | instskip(NEXT) | instid1(VALU_DEP_1)
	v_lshlrev_b32_e32 v7, 20, v7
	v_or3_b32 v2, v3, v2, v7
	s_delay_alu instid0(VALU_DEP_1)
	v_cvt_i32_f32_e32 v2, v2
.LBB288_1361:
	s_or_b32 exec_lo, exec_lo, s16
.LBB288_1362:
	s_mov_b32 s15, -1
.LBB288_1363:
	s_mov_b32 s16, 0
.LBB288_1364:
	s_delay_alu instid0(SALU_CYCLE_1)
	s_and_b32 vcc_lo, exec_lo, s16
	s_cbranch_vccz .LBB288_1395
; %bb.1365:
	v_cmp_gt_i16_e64 s14, s10, 22
	s_delay_alu instid0(VALU_DEP_1)
	s_and_b32 vcc_lo, exec_lo, s14
	s_cbranch_vccz .LBB288_1373
; %bb.1366:
	v_cmp_lt_i16_e64 s14, s10, 24
	s_delay_alu instid0(VALU_DEP_1)
	s_and_b32 vcc_lo, exec_lo, s14
	s_cbranch_vccnz .LBB288_1376
; %bb.1367:
	v_cmp_gt_i16_e64 s14, s10, 24
	s_delay_alu instid0(VALU_DEP_1)
	s_and_b32 vcc_lo, exec_lo, s14
	s_cbranch_vccz .LBB288_1377
; %bb.1368:
	global_load_u8 v3, v[0:1], off
	s_mov_b32 s14, 0
	s_mov_b32 s15, exec_lo
                                        ; implicit-def: $sgpr16
	s_waitcnt vmcnt(0)
	v_cmpx_lt_i16_e32 0x7f, v3
	s_xor_b32 s15, exec_lo, s15
	s_cbranch_execz .LBB288_1389
; %bb.1369:
	v_cmp_ne_u16_e32 vcc_lo, 0x80, v3
	s_mov_b32 s16, 0
	s_and_b32 s14, vcc_lo, exec_lo
	s_or_saveexec_b32 s15, s15
	v_mov_b32_e32 v2, s16
	s_xor_b32 exec_lo, exec_lo, s15
	s_cbranch_execnz .LBB288_1390
.LBB288_1370:
	s_or_b32 exec_lo, exec_lo, s15
	s_and_saveexec_b32 s15, s14
	s_cbranch_execz .LBB288_1372
.LBB288_1371:
	v_and_b32_e32 v2, 0xffff, v3
	v_lshlrev_b32_e32 v3, 24, v3
	s_delay_alu instid0(VALU_DEP_2) | instskip(NEXT) | instid1(VALU_DEP_2)
	v_and_b32_e32 v7, 3, v2
	v_and_b32_e32 v3, 0x80000000, v3
	s_delay_alu instid0(VALU_DEP_2) | instskip(NEXT) | instid1(VALU_DEP_1)
	v_clz_i32_u32_e32 v8, v7
	v_min_u32_e32 v8, 32, v8
	s_delay_alu instid0(VALU_DEP_1) | instskip(SKIP_1) | instid1(VALU_DEP_2)
	v_subrev_nc_u32_e32 v10, 29, v8
	v_sub_nc_u32_e32 v8, 30, v8
	v_lshlrev_b32_e32 v10, v10, v2
	v_bfe_u32 v2, v2, 2, 5
	s_delay_alu instid0(VALU_DEP_2) | instskip(NEXT) | instid1(VALU_DEP_2)
	v_and_b32_e32 v10, 3, v10
	v_cmp_eq_u32_e32 vcc_lo, 0, v2
	s_delay_alu instid0(VALU_DEP_2) | instskip(NEXT) | instid1(VALU_DEP_1)
	v_dual_cndmask_b32 v2, v2, v8 :: v_dual_cndmask_b32 v7, v7, v10
	v_lshl_add_u32 v2, v2, 23, 0x37800000
	s_delay_alu instid0(VALU_DEP_2) | instskip(NEXT) | instid1(VALU_DEP_1)
	v_lshlrev_b32_e32 v7, 21, v7
	v_or3_b32 v2, v3, v2, v7
	s_delay_alu instid0(VALU_DEP_1)
	v_cvt_i32_f32_e32 v2, v2
.LBB288_1372:
	s_or_b32 exec_lo, exec_lo, s15
	s_mov_b32 s14, 0
	s_branch .LBB288_1378
.LBB288_1373:
	s_mov_b32 s14, -1
                                        ; implicit-def: $vgpr2
	s_branch .LBB288_1384
.LBB288_1374:
	s_or_saveexec_b32 s16, s16
	v_mov_b32_e32 v2, s17
	s_xor_b32 exec_lo, exec_lo, s16
	s_cbranch_execz .LBB288_1359
.LBB288_1375:
	v_cmp_ne_u16_e32 vcc_lo, 0, v3
	v_mov_b32_e32 v2, 0
	s_and_not1_b32 s15, s15, exec_lo
	s_and_b32 s17, vcc_lo, exec_lo
	s_delay_alu instid0(SALU_CYCLE_1)
	s_or_b32 s15, s15, s17
	s_or_b32 exec_lo, exec_lo, s16
	s_and_saveexec_b32 s16, s15
	s_cbranch_execnz .LBB288_1360
	s_branch .LBB288_1361
.LBB288_1376:
	s_mov_b32 s14, -1
                                        ; implicit-def: $vgpr2
	s_branch .LBB288_1381
.LBB288_1377:
	s_mov_b32 s14, -1
                                        ; implicit-def: $vgpr2
.LBB288_1378:
	s_delay_alu instid0(SALU_CYCLE_1)
	s_and_b32 vcc_lo, exec_lo, s14
	s_cbranch_vccz .LBB288_1380
; %bb.1379:
	global_load_u8 v2, v[0:1], off
	s_waitcnt vmcnt(0)
	v_lshlrev_b32_e32 v2, 24, v2
	s_delay_alu instid0(VALU_DEP_1) | instskip(NEXT) | instid1(VALU_DEP_1)
	v_and_b32_e32 v3, 0x7f000000, v2
	v_clz_i32_u32_e32 v7, v3
	v_add_nc_u32_e32 v10, 0x1000000, v3
	v_cmp_ne_u32_e32 vcc_lo, 0, v3
	s_delay_alu instid0(VALU_DEP_3) | instskip(NEXT) | instid1(VALU_DEP_1)
	v_min_u32_e32 v7, 32, v7
	v_sub_nc_u32_e64 v7, v7, 4 clamp
	s_delay_alu instid0(VALU_DEP_1) | instskip(SKIP_1) | instid1(VALU_DEP_2)
	v_lshlrev_b32_e32 v8, v7, v3
	v_lshlrev_b32_e32 v7, 23, v7
	v_lshrrev_b32_e32 v8, 4, v8
	s_delay_alu instid0(VALU_DEP_1) | instskip(SKIP_1) | instid1(VALU_DEP_2)
	v_sub_nc_u32_e32 v7, v8, v7
	v_ashrrev_i32_e32 v8, 8, v10
	v_add_nc_u32_e32 v7, 0x3c000000, v7
	s_delay_alu instid0(VALU_DEP_1) | instskip(NEXT) | instid1(VALU_DEP_1)
	v_and_or_b32 v7, 0x7f800000, v8, v7
	v_cndmask_b32_e32 v3, 0, v7, vcc_lo
	s_delay_alu instid0(VALU_DEP_1) | instskip(NEXT) | instid1(VALU_DEP_1)
	v_and_or_b32 v2, 0x80000000, v2, v3
	v_cvt_i32_f32_e32 v2, v2
.LBB288_1380:
	s_mov_b32 s14, 0
.LBB288_1381:
	s_delay_alu instid0(SALU_CYCLE_1)
	s_and_not1_b32 vcc_lo, exec_lo, s14
	s_cbranch_vccnz .LBB288_1383
; %bb.1382:
	global_load_u8 v2, v[0:1], off
	s_waitcnt vmcnt(0)
	v_lshlrev_b32_e32 v3, 25, v2
	v_lshlrev_b16 v2, 8, v2
	s_delay_alu instid0(VALU_DEP_1) | instskip(SKIP_1) | instid1(VALU_DEP_2)
	v_and_or_b32 v8, 0x7f00, v2, 0.5
	v_bfe_i32 v2, v2, 0, 16
	v_add_f32_e32 v8, -0.5, v8
	v_lshrrev_b32_e32 v7, 4, v3
	v_cmp_gt_u32_e32 vcc_lo, 0x8000000, v3
	s_delay_alu instid0(VALU_DEP_2) | instskip(NEXT) | instid1(VALU_DEP_1)
	v_or_b32_e32 v7, 0x70000000, v7
	v_mul_f32_e32 v7, 0x7800000, v7
	s_delay_alu instid0(VALU_DEP_1) | instskip(NEXT) | instid1(VALU_DEP_1)
	v_cndmask_b32_e32 v3, v7, v8, vcc_lo
	v_and_or_b32 v2, 0x80000000, v2, v3
	s_delay_alu instid0(VALU_DEP_1)
	v_cvt_i32_f32_e32 v2, v2
.LBB288_1383:
	s_mov_b32 s14, 0
	s_mov_b32 s15, -1
.LBB288_1384:
	s_and_not1_b32 vcc_lo, exec_lo, s14
	s_mov_b32 s14, 0
	s_cbranch_vccnz .LBB288_1395
; %bb.1385:
	v_cmp_gt_i16_e64 s14, s10, 14
	s_delay_alu instid0(VALU_DEP_1)
	s_and_b32 vcc_lo, exec_lo, s14
	s_cbranch_vccz .LBB288_1388
; %bb.1386:
	v_cmp_eq_u16_e64 s3, s10, 15
	s_delay_alu instid0(VALU_DEP_1)
	s_and_b32 vcc_lo, exec_lo, s3
	s_cbranch_vccz .LBB288_1391
; %bb.1387:
	global_load_u16 v2, v[0:1], off
	s_mov_b32 s3, 0
	s_mov_b32 s15, -1
	s_waitcnt vmcnt(0)
	v_lshlrev_b32_e32 v2, 16, v2
	s_delay_alu instid0(VALU_DEP_1)
	v_cvt_i32_f32_e32 v2, v2
	s_branch .LBB288_1392
.LBB288_1388:
	s_mov_b32 s14, -1
                                        ; implicit-def: $vgpr2
	s_branch .LBB288_1393
.LBB288_1389:
	s_or_saveexec_b32 s15, s15
	v_mov_b32_e32 v2, s16
	s_xor_b32 exec_lo, exec_lo, s15
	s_cbranch_execz .LBB288_1370
.LBB288_1390:
	v_cmp_ne_u16_e32 vcc_lo, 0, v3
	v_mov_b32_e32 v2, 0
	s_and_not1_b32 s14, s14, exec_lo
	s_and_b32 s16, vcc_lo, exec_lo
	s_delay_alu instid0(SALU_CYCLE_1)
	s_or_b32 s14, s14, s16
	s_or_b32 exec_lo, exec_lo, s15
	s_and_saveexec_b32 s15, s14
	s_cbranch_execnz .LBB288_1371
	s_branch .LBB288_1372
.LBB288_1391:
	s_mov_b32 s3, -1
                                        ; implicit-def: $vgpr2
.LBB288_1392:
	s_mov_b32 s14, 0
.LBB288_1393:
	s_delay_alu instid0(SALU_CYCLE_1)
	s_and_b32 vcc_lo, exec_lo, s14
	s_mov_b32 s14, 0
	s_cbranch_vccz .LBB288_1395
; %bb.1394:
	v_cmp_ne_u16_e64 s3, s10, 11
	s_mov_b32 s14, -1
                                        ; implicit-def: $vgpr2
.LBB288_1395:
	s_delay_alu instid0(VALU_DEP_1)
	s_and_b32 vcc_lo, exec_lo, s3
	s_cbranch_vccnz .LBB288_1411
; %bb.1396:
	s_and_not1_b32 vcc_lo, exec_lo, s14
	s_cbranch_vccnz .LBB288_1398
.LBB288_1397:
	global_load_u8 v2, v[0:1], off
	s_mov_b32 s15, -1
	s_waitcnt vmcnt(0)
	v_cmp_ne_u16_e32 vcc_lo, 0, v2
	v_cndmask_b32_e64 v2, 0, 1, vcc_lo
.LBB288_1398:
.LBB288_1399:
	s_and_not1_b32 vcc_lo, exec_lo, s15
	s_cbranch_vccnz .LBB288_1963
.LBB288_1400:
	v_add_nc_u32_e32 v0, s0, v5
	v_cmp_lt_i16_e64 s0, s10, 11
	s_delay_alu instid0(VALU_DEP_2) | instskip(SKIP_1) | instid1(VALU_DEP_2)
	v_ashrrev_i32_e32 v1, 31, v0
	v_add_co_u32 v7, vcc_lo, s6, v0
	v_add_co_ci_u32_e32 v8, vcc_lo, s7, v1, vcc_lo
	s_delay_alu instid0(VALU_DEP_4)
	s_and_b32 vcc_lo, exec_lo, s0
	s_cbranch_vccnz .LBB288_1407
; %bb.1401:
	v_cmp_gt_i16_e64 s0, s10, 25
	s_mov_b32 s3, 0
	s_delay_alu instid0(VALU_DEP_1)
	s_and_b32 vcc_lo, exec_lo, s0
	s_cbranch_vccz .LBB288_1408
; %bb.1402:
	v_cmp_gt_i16_e64 s0, s10, 28
	s_delay_alu instid0(VALU_DEP_1)
	s_and_b32 vcc_lo, exec_lo, s0
	s_cbranch_vccz .LBB288_1409
; %bb.1403:
	v_cmp_gt_i16_e64 s0, s10, 43
	;; [unrolled: 5-line block ×3, first 2 shown]
	s_delay_alu instid0(VALU_DEP_1)
	s_and_b32 vcc_lo, exec_lo, s0
	s_cbranch_vccz .LBB288_1413
; %bb.1405:
	v_cmp_eq_u16_e64 s0, s10, 46
	s_mov_b32 s7, 0
	s_delay_alu instid0(VALU_DEP_1)
	s_and_b32 vcc_lo, exec_lo, s0
	s_cbranch_vccz .LBB288_1416
; %bb.1406:
	global_load_b32 v0, v[7:8], off
	s_mov_b32 s0, 0
	s_mov_b32 s6, -1
	s_waitcnt vmcnt(0)
	v_lshlrev_b32_e32 v0, 16, v0
	s_delay_alu instid0(VALU_DEP_1)
	v_cvt_i32_f32_e32 v0, v0
	s_branch .LBB288_1418
.LBB288_1407:
	s_mov_b32 s0, -1
	s_mov_b32 s6, 0
                                        ; implicit-def: $vgpr0
	s_branch .LBB288_1480
.LBB288_1408:
	s_mov_b32 s7, -1
	s_mov_b32 s6, 0
	s_mov_b32 s0, 0
                                        ; implicit-def: $vgpr0
	s_branch .LBB288_1445
.LBB288_1409:
	s_mov_b32 s7, -1
	s_mov_b32 s6, 0
	s_mov_b32 s0, 0
                                        ; implicit-def: $vgpr0
	s_branch .LBB288_1428
.LBB288_1410:
	s_mov_b32 s7, -1
	s_mov_b32 s6, 0
	s_mov_b32 s0, 0
                                        ; implicit-def: $vgpr0
	s_branch .LBB288_1423
.LBB288_1411:
	s_cbranch_execnz .LBB288_1414
; %bb.1412:
	s_or_b32 s11, s11, exec_lo
                                        ; implicit-def: $vgpr2
	s_cbranch_execz .LBB288_1397
	s_branch .LBB288_1398
.LBB288_1413:
	s_mov_b32 s7, -1
	s_mov_b32 s6, 0
	s_mov_b32 s0, 0
	s_branch .LBB288_1417
.LBB288_1414:
	s_trap 2
	s_sendmsg_rtn_b32 s0, sendmsg(MSG_RTN_GET_DOORBELL)
	s_mov_b32 ttmp2, m0
	s_waitcnt lgkmcnt(0)
	s_and_b32 s0, s0, 0x3ff
	s_delay_alu instid0(SALU_CYCLE_1) | instskip(NEXT) | instid1(SALU_CYCLE_1)
	s_bitset1_b32 s0, 10
	s_mov_b32 m0, s0
	s_sendmsg sendmsg(MSG_INTERRUPT)
	s_mov_b32 m0, ttmp2
.LBB288_1415:                           ; =>This Inner Loop Header: Depth=1
	s_sethalt 5
	s_branch .LBB288_1415
.LBB288_1416:
	s_mov_b32 s0, -1
	s_mov_b32 s6, 0
.LBB288_1417:
                                        ; implicit-def: $vgpr0
.LBB288_1418:
	s_and_b32 vcc_lo, exec_lo, s7
	s_cbranch_vccz .LBB288_1422
; %bb.1419:
	v_cmp_eq_u16_e64 s0, s10, 44
	s_delay_alu instid0(VALU_DEP_1)
	s_and_b32 vcc_lo, exec_lo, s0
	s_cbranch_vccz .LBB288_1421
; %bb.1420:
	global_load_u8 v0, v[7:8], off
	s_mov_b32 s0, 0
	s_mov_b32 s6, -1
	s_waitcnt vmcnt(0)
	v_lshlrev_b32_e32 v1, 23, v0
	v_cmp_ne_u32_e32 vcc_lo, 0, v0
	s_delay_alu instid0(VALU_DEP_2) | instskip(NEXT) | instid1(VALU_DEP_1)
	v_cvt_i32_f32_e32 v1, v1
	v_cndmask_b32_e32 v0, 0, v1, vcc_lo
	s_branch .LBB288_1422
.LBB288_1421:
	s_mov_b32 s0, -1
                                        ; implicit-def: $vgpr0
.LBB288_1422:
	s_mov_b32 s7, 0
.LBB288_1423:
	s_delay_alu instid0(SALU_CYCLE_1)
	s_and_b32 vcc_lo, exec_lo, s7
	s_cbranch_vccz .LBB288_1427
; %bb.1424:
	v_cmp_eq_u16_e64 s0, s10, 29
	s_delay_alu instid0(VALU_DEP_1)
	s_and_b32 vcc_lo, exec_lo, s0
	s_cbranch_vccz .LBB288_1426
; %bb.1425:
	global_load_b64 v[0:1], v[7:8], off
	s_mov_b32 s0, 0
	s_mov_b32 s6, -1
	s_branch .LBB288_1427
.LBB288_1426:
	s_mov_b32 s0, -1
                                        ; implicit-def: $vgpr0
.LBB288_1427:
	s_mov_b32 s7, 0
.LBB288_1428:
	s_delay_alu instid0(SALU_CYCLE_1)
	s_and_b32 vcc_lo, exec_lo, s7
	s_cbranch_vccz .LBB288_1444
; %bb.1429:
	v_cmp_lt_i16_e64 s6, s10, 27
	s_delay_alu instid0(VALU_DEP_1)
	s_and_b32 vcc_lo, exec_lo, s6
	s_cbranch_vccnz .LBB288_1432
; %bb.1430:
	v_cmp_gt_i16_e64 s6, s10, 27
	s_delay_alu instid0(VALU_DEP_1)
	s_and_b32 vcc_lo, exec_lo, s6
	s_cbranch_vccz .LBB288_1433
; %bb.1431:
	global_load_b32 v0, v[7:8], off
	s_mov_b32 s6, 0
	s_branch .LBB288_1434
.LBB288_1432:
	s_mov_b32 s6, -1
                                        ; implicit-def: $vgpr0
	s_branch .LBB288_1437
.LBB288_1433:
	s_mov_b32 s6, -1
                                        ; implicit-def: $vgpr0
.LBB288_1434:
	s_delay_alu instid0(SALU_CYCLE_1)
	s_and_not1_b32 vcc_lo, exec_lo, s6
	s_cbranch_vccnz .LBB288_1436
; %bb.1435:
	global_load_u16 v0, v[7:8], off
.LBB288_1436:
	s_mov_b32 s6, 0
.LBB288_1437:
	s_delay_alu instid0(SALU_CYCLE_1)
	s_and_not1_b32 vcc_lo, exec_lo, s6
	s_cbranch_vccnz .LBB288_1443
; %bb.1438:
	global_load_u8 v1, v[7:8], off
	s_mov_b32 s6, 0
	s_mov_b32 s7, exec_lo
                                        ; implicit-def: $sgpr14
	s_waitcnt vmcnt(0)
	v_cmpx_lt_i16_e32 0x7f, v1
	s_xor_b32 s7, exec_lo, s7
	s_cbranch_execz .LBB288_1455
; %bb.1439:
	v_cmp_ne_u16_e32 vcc_lo, 0x80, v1
	s_mov_b32 s14, 0
	s_and_b32 s6, vcc_lo, exec_lo
	s_or_saveexec_b32 s7, s7
	v_mov_b32_e32 v0, s14
	s_xor_b32 exec_lo, exec_lo, s7
	s_cbranch_execnz .LBB288_1456
.LBB288_1440:
	s_or_b32 exec_lo, exec_lo, s7
	s_and_saveexec_b32 s7, s6
	s_cbranch_execz .LBB288_1442
.LBB288_1441:
	v_and_b32_e32 v0, 0xffff, v1
	v_lshlrev_b32_e32 v1, 24, v1
	s_delay_alu instid0(VALU_DEP_2) | instskip(NEXT) | instid1(VALU_DEP_2)
	v_and_b32_e32 v3, 7, v0
	v_and_b32_e32 v1, 0x80000000, v1
	s_delay_alu instid0(VALU_DEP_2) | instskip(NEXT) | instid1(VALU_DEP_1)
	v_clz_i32_u32_e32 v5, v3
	v_min_u32_e32 v5, 32, v5
	s_delay_alu instid0(VALU_DEP_1) | instskip(SKIP_1) | instid1(VALU_DEP_2)
	v_subrev_nc_u32_e32 v10, 28, v5
	v_sub_nc_u32_e32 v5, 29, v5
	v_lshlrev_b32_e32 v10, v10, v0
	v_bfe_u32 v0, v0, 3, 4
	s_delay_alu instid0(VALU_DEP_2) | instskip(NEXT) | instid1(VALU_DEP_2)
	v_and_b32_e32 v10, 7, v10
	v_cmp_eq_u32_e32 vcc_lo, 0, v0
	s_delay_alu instid0(VALU_DEP_2) | instskip(NEXT) | instid1(VALU_DEP_1)
	v_dual_cndmask_b32 v0, v0, v5 :: v_dual_cndmask_b32 v3, v3, v10
	v_lshl_add_u32 v0, v0, 23, 0x3b800000
	s_delay_alu instid0(VALU_DEP_2) | instskip(NEXT) | instid1(VALU_DEP_1)
	v_lshlrev_b32_e32 v3, 20, v3
	v_or3_b32 v0, v1, v0, v3
	s_delay_alu instid0(VALU_DEP_1)
	v_cvt_i32_f32_e32 v0, v0
.LBB288_1442:
	s_or_b32 exec_lo, exec_lo, s7
.LBB288_1443:
	s_mov_b32 s6, -1
.LBB288_1444:
	s_mov_b32 s7, 0
.LBB288_1445:
	s_delay_alu instid0(SALU_CYCLE_1)
	s_and_b32 vcc_lo, exec_lo, s7
	s_cbranch_vccz .LBB288_1476
; %bb.1446:
	v_cmp_gt_i16_e64 s3, s10, 22
	s_delay_alu instid0(VALU_DEP_1)
	s_and_b32 vcc_lo, exec_lo, s3
	s_cbranch_vccz .LBB288_1454
; %bb.1447:
	v_cmp_lt_i16_e64 s3, s10, 24
	s_delay_alu instid0(VALU_DEP_1)
	s_and_b32 vcc_lo, exec_lo, s3
	s_cbranch_vccnz .LBB288_1457
; %bb.1448:
	v_cmp_gt_i16_e64 s3, s10, 24
	s_delay_alu instid0(VALU_DEP_1)
	s_and_b32 vcc_lo, exec_lo, s3
	s_cbranch_vccz .LBB288_1458
; %bb.1449:
	global_load_u8 v1, v[7:8], off
	s_mov_b32 s3, 0
	s_mov_b32 s6, exec_lo
                                        ; implicit-def: $sgpr7
	s_waitcnt vmcnt(0)
	v_cmpx_lt_i16_e32 0x7f, v1
	s_xor_b32 s6, exec_lo, s6
	s_cbranch_execz .LBB288_1470
; %bb.1450:
	v_cmp_ne_u16_e32 vcc_lo, 0x80, v1
	s_mov_b32 s7, 0
	s_and_b32 s3, vcc_lo, exec_lo
	s_or_saveexec_b32 s6, s6
	v_mov_b32_e32 v0, s7
	s_xor_b32 exec_lo, exec_lo, s6
	s_cbranch_execnz .LBB288_1471
.LBB288_1451:
	s_or_b32 exec_lo, exec_lo, s6
	s_and_saveexec_b32 s6, s3
	s_cbranch_execz .LBB288_1453
.LBB288_1452:
	v_and_b32_e32 v0, 0xffff, v1
	v_lshlrev_b32_e32 v1, 24, v1
	s_delay_alu instid0(VALU_DEP_2) | instskip(NEXT) | instid1(VALU_DEP_2)
	v_and_b32_e32 v3, 3, v0
	v_and_b32_e32 v1, 0x80000000, v1
	s_delay_alu instid0(VALU_DEP_2) | instskip(NEXT) | instid1(VALU_DEP_1)
	v_clz_i32_u32_e32 v5, v3
	v_min_u32_e32 v5, 32, v5
	s_delay_alu instid0(VALU_DEP_1) | instskip(SKIP_1) | instid1(VALU_DEP_2)
	v_subrev_nc_u32_e32 v10, 29, v5
	v_sub_nc_u32_e32 v5, 30, v5
	v_lshlrev_b32_e32 v10, v10, v0
	v_bfe_u32 v0, v0, 2, 5
	s_delay_alu instid0(VALU_DEP_2) | instskip(NEXT) | instid1(VALU_DEP_2)
	v_and_b32_e32 v10, 3, v10
	v_cmp_eq_u32_e32 vcc_lo, 0, v0
	s_delay_alu instid0(VALU_DEP_2) | instskip(NEXT) | instid1(VALU_DEP_1)
	v_dual_cndmask_b32 v0, v0, v5 :: v_dual_cndmask_b32 v3, v3, v10
	v_lshl_add_u32 v0, v0, 23, 0x37800000
	s_delay_alu instid0(VALU_DEP_2) | instskip(NEXT) | instid1(VALU_DEP_1)
	v_lshlrev_b32_e32 v3, 21, v3
	v_or3_b32 v0, v1, v0, v3
	s_delay_alu instid0(VALU_DEP_1)
	v_cvt_i32_f32_e32 v0, v0
.LBB288_1453:
	s_or_b32 exec_lo, exec_lo, s6
	s_mov_b32 s3, 0
	s_branch .LBB288_1459
.LBB288_1454:
	s_mov_b32 s3, -1
                                        ; implicit-def: $vgpr0
	s_branch .LBB288_1465
.LBB288_1455:
	s_or_saveexec_b32 s7, s7
	v_mov_b32_e32 v0, s14
	s_xor_b32 exec_lo, exec_lo, s7
	s_cbranch_execz .LBB288_1440
.LBB288_1456:
	v_cmp_ne_u16_e32 vcc_lo, 0, v1
	v_mov_b32_e32 v0, 0
	s_and_not1_b32 s6, s6, exec_lo
	s_and_b32 s14, vcc_lo, exec_lo
	s_delay_alu instid0(SALU_CYCLE_1)
	s_or_b32 s6, s6, s14
	s_or_b32 exec_lo, exec_lo, s7
	s_and_saveexec_b32 s7, s6
	s_cbranch_execnz .LBB288_1441
	s_branch .LBB288_1442
.LBB288_1457:
	s_mov_b32 s3, -1
                                        ; implicit-def: $vgpr0
	s_branch .LBB288_1462
.LBB288_1458:
	s_mov_b32 s3, -1
                                        ; implicit-def: $vgpr0
.LBB288_1459:
	s_delay_alu instid0(SALU_CYCLE_1)
	s_and_b32 vcc_lo, exec_lo, s3
	s_cbranch_vccz .LBB288_1461
; %bb.1460:
	global_load_u8 v0, v[7:8], off
	s_waitcnt vmcnt(0)
	v_lshlrev_b32_e32 v0, 24, v0
	s_delay_alu instid0(VALU_DEP_1) | instskip(NEXT) | instid1(VALU_DEP_1)
	v_and_b32_e32 v1, 0x7f000000, v0
	v_clz_i32_u32_e32 v3, v1
	v_add_nc_u32_e32 v10, 0x1000000, v1
	v_cmp_ne_u32_e32 vcc_lo, 0, v1
	s_delay_alu instid0(VALU_DEP_3) | instskip(NEXT) | instid1(VALU_DEP_1)
	v_min_u32_e32 v3, 32, v3
	v_sub_nc_u32_e64 v3, v3, 4 clamp
	s_delay_alu instid0(VALU_DEP_1) | instskip(SKIP_1) | instid1(VALU_DEP_2)
	v_lshlrev_b32_e32 v5, v3, v1
	v_lshlrev_b32_e32 v3, 23, v3
	v_lshrrev_b32_e32 v5, 4, v5
	s_delay_alu instid0(VALU_DEP_1) | instskip(SKIP_1) | instid1(VALU_DEP_2)
	v_sub_nc_u32_e32 v3, v5, v3
	v_ashrrev_i32_e32 v5, 8, v10
	v_add_nc_u32_e32 v3, 0x3c000000, v3
	s_delay_alu instid0(VALU_DEP_1) | instskip(NEXT) | instid1(VALU_DEP_1)
	v_and_or_b32 v3, 0x7f800000, v5, v3
	v_cndmask_b32_e32 v1, 0, v3, vcc_lo
	s_delay_alu instid0(VALU_DEP_1) | instskip(NEXT) | instid1(VALU_DEP_1)
	v_and_or_b32 v0, 0x80000000, v0, v1
	v_cvt_i32_f32_e32 v0, v0
.LBB288_1461:
	s_mov_b32 s3, 0
.LBB288_1462:
	s_delay_alu instid0(SALU_CYCLE_1)
	s_and_not1_b32 vcc_lo, exec_lo, s3
	s_cbranch_vccnz .LBB288_1464
; %bb.1463:
	global_load_u8 v0, v[7:8], off
	s_waitcnt vmcnt(0)
	v_lshlrev_b32_e32 v1, 25, v0
	v_lshlrev_b16 v0, 8, v0
	s_delay_alu instid0(VALU_DEP_2) | instskip(NEXT) | instid1(VALU_DEP_2)
	v_lshrrev_b32_e32 v3, 4, v1
	v_and_or_b32 v5, 0x7f00, v0, 0.5
	v_cmp_gt_u32_e32 vcc_lo, 0x8000000, v1
	v_bfe_i32 v0, v0, 0, 16
	s_delay_alu instid0(VALU_DEP_4) | instskip(NEXT) | instid1(VALU_DEP_4)
	v_or_b32_e32 v3, 0x70000000, v3
	v_add_f32_e32 v5, -0.5, v5
	s_delay_alu instid0(VALU_DEP_2) | instskip(NEXT) | instid1(VALU_DEP_1)
	v_mul_f32_e32 v3, 0x7800000, v3
	v_cndmask_b32_e32 v1, v3, v5, vcc_lo
	s_delay_alu instid0(VALU_DEP_1) | instskip(NEXT) | instid1(VALU_DEP_1)
	v_and_or_b32 v0, 0x80000000, v0, v1
	v_cvt_i32_f32_e32 v0, v0
.LBB288_1464:
	s_mov_b32 s3, 0
	s_mov_b32 s6, -1
.LBB288_1465:
	s_and_not1_b32 vcc_lo, exec_lo, s3
	s_mov_b32 s3, 0
	s_cbranch_vccnz .LBB288_1476
; %bb.1466:
	v_cmp_gt_i16_e64 s3, s10, 14
	s_delay_alu instid0(VALU_DEP_1)
	s_and_b32 vcc_lo, exec_lo, s3
	s_cbranch_vccz .LBB288_1469
; %bb.1467:
	v_cmp_eq_u16_e64 s0, s10, 15
	s_delay_alu instid0(VALU_DEP_1)
	s_and_b32 vcc_lo, exec_lo, s0
	s_cbranch_vccz .LBB288_1472
; %bb.1468:
	global_load_u16 v0, v[7:8], off
	s_mov_b32 s0, 0
	s_mov_b32 s6, -1
	s_waitcnt vmcnt(0)
	v_lshlrev_b32_e32 v0, 16, v0
	s_delay_alu instid0(VALU_DEP_1)
	v_cvt_i32_f32_e32 v0, v0
	s_branch .LBB288_1473
.LBB288_1469:
	s_mov_b32 s3, -1
                                        ; implicit-def: $vgpr0
	s_branch .LBB288_1474
.LBB288_1470:
	s_or_saveexec_b32 s6, s6
	v_mov_b32_e32 v0, s7
	s_xor_b32 exec_lo, exec_lo, s6
	s_cbranch_execz .LBB288_1451
.LBB288_1471:
	v_cmp_ne_u16_e32 vcc_lo, 0, v1
	v_mov_b32_e32 v0, 0
	s_and_not1_b32 s3, s3, exec_lo
	s_and_b32 s7, vcc_lo, exec_lo
	s_delay_alu instid0(SALU_CYCLE_1)
	s_or_b32 s3, s3, s7
	s_or_b32 exec_lo, exec_lo, s6
	s_and_saveexec_b32 s6, s3
	s_cbranch_execnz .LBB288_1452
	s_branch .LBB288_1453
.LBB288_1472:
	s_mov_b32 s0, -1
                                        ; implicit-def: $vgpr0
.LBB288_1473:
	s_mov_b32 s3, 0
.LBB288_1474:
	s_delay_alu instid0(SALU_CYCLE_1)
	s_and_b32 vcc_lo, exec_lo, s3
	s_mov_b32 s3, 0
	s_cbranch_vccz .LBB288_1476
; %bb.1475:
	v_cmp_ne_u16_e64 s0, s10, 11
	s_mov_b32 s3, -1
                                        ; implicit-def: $vgpr0
.LBB288_1476:
	s_delay_alu instid0(VALU_DEP_1)
	s_and_b32 vcc_lo, exec_lo, s0
	s_cbranch_vccnz .LBB288_2009
; %bb.1477:
	s_and_not1_b32 vcc_lo, exec_lo, s3
	s_cbranch_vccnz .LBB288_1479
.LBB288_1478:
	global_load_u8 v0, v[7:8], off
	s_mov_b32 s6, -1
	s_waitcnt vmcnt(0)
	v_cmp_ne_u16_e32 vcc_lo, 0, v0
	v_cndmask_b32_e64 v0, 0, 1, vcc_lo
.LBB288_1479:
	s_mov_b32 s0, 0
.LBB288_1480:
	s_delay_alu instid0(SALU_CYCLE_1)
	s_and_b32 vcc_lo, exec_lo, s0
	s_cbranch_vccz .LBB288_1529
; %bb.1481:
	v_cmp_lt_i16_e64 s0, s10, 5
	s_delay_alu instid0(VALU_DEP_1)
	s_and_b32 vcc_lo, exec_lo, s0
	s_cbranch_vccnz .LBB288_1486
; %bb.1482:
	v_cmp_lt_i16_e64 s0, s10, 8
	s_delay_alu instid0(VALU_DEP_1)
	s_and_b32 vcc_lo, exec_lo, s0
	s_cbranch_vccnz .LBB288_1487
	;; [unrolled: 5-line block ×3, first 2 shown]
; %bb.1484:
	v_cmp_gt_i16_e64 s0, s10, 9
	s_delay_alu instid0(VALU_DEP_1)
	s_and_b32 vcc_lo, exec_lo, s0
	s_cbranch_vccz .LBB288_1489
; %bb.1485:
	global_load_b64 v[0:1], v[7:8], off
	s_mov_b32 s0, 0
	s_waitcnt vmcnt(0)
	v_cvt_i32_f64_e32 v0, v[0:1]
	s_branch .LBB288_1490
.LBB288_1486:
	s_mov_b32 s0, -1
                                        ; implicit-def: $vgpr0
	s_branch .LBB288_1508
.LBB288_1487:
	s_mov_b32 s0, -1
                                        ; implicit-def: $vgpr0
	s_branch .LBB288_1496
.LBB288_1488:
	s_mov_b32 s0, -1
                                        ; implicit-def: $vgpr0
	s_branch .LBB288_1493
.LBB288_1489:
	s_mov_b32 s0, -1
                                        ; implicit-def: $vgpr0
.LBB288_1490:
	s_delay_alu instid0(SALU_CYCLE_1)
	s_and_not1_b32 vcc_lo, exec_lo, s0
	s_cbranch_vccnz .LBB288_1492
; %bb.1491:
	global_load_b32 v0, v[7:8], off
	s_waitcnt vmcnt(0)
	v_cvt_i32_f32_e32 v0, v0
.LBB288_1492:
	s_mov_b32 s0, 0
.LBB288_1493:
	s_delay_alu instid0(SALU_CYCLE_1)
	s_and_not1_b32 vcc_lo, exec_lo, s0
	s_cbranch_vccnz .LBB288_1495
; %bb.1494:
	global_load_b32 v0, v[7:8], off
	s_waitcnt vmcnt(0)
	v_cvt_i16_f16_e32 v0, v0
.LBB288_1495:
	s_mov_b32 s0, 0
.LBB288_1496:
	s_delay_alu instid0(SALU_CYCLE_1)
	s_and_not1_b32 vcc_lo, exec_lo, s0
	s_cbranch_vccnz .LBB288_1507
; %bb.1497:
	v_cmp_lt_i16_e64 s0, s10, 6
	s_delay_alu instid0(VALU_DEP_1)
	s_and_b32 vcc_lo, exec_lo, s0
	s_cbranch_vccnz .LBB288_1500
; %bb.1498:
	v_cmp_gt_i16_e64 s0, s10, 6
	s_delay_alu instid0(VALU_DEP_1)
	s_and_b32 vcc_lo, exec_lo, s0
	s_cbranch_vccz .LBB288_1501
; %bb.1499:
	global_load_b64 v[0:1], v[7:8], off
	s_mov_b32 s0, 0
	s_waitcnt vmcnt(0)
	v_cvt_i32_f64_e32 v0, v[0:1]
	s_branch .LBB288_1502
.LBB288_1500:
	s_mov_b32 s0, -1
                                        ; implicit-def: $vgpr0
	s_branch .LBB288_1505
.LBB288_1501:
	s_mov_b32 s0, -1
                                        ; implicit-def: $vgpr0
.LBB288_1502:
	s_delay_alu instid0(SALU_CYCLE_1)
	s_and_not1_b32 vcc_lo, exec_lo, s0
	s_cbranch_vccnz .LBB288_1504
; %bb.1503:
	global_load_b32 v0, v[7:8], off
	s_waitcnt vmcnt(0)
	v_cvt_i32_f32_e32 v0, v0
.LBB288_1504:
	s_mov_b32 s0, 0
.LBB288_1505:
	s_delay_alu instid0(SALU_CYCLE_1)
	s_and_not1_b32 vcc_lo, exec_lo, s0
	s_cbranch_vccnz .LBB288_1507
; %bb.1506:
	global_load_u16 v0, v[7:8], off
	s_waitcnt vmcnt(0)
	v_cvt_i16_f16_e32 v0, v0
.LBB288_1507:
	s_mov_b32 s0, 0
.LBB288_1508:
	s_delay_alu instid0(SALU_CYCLE_1)
	s_and_not1_b32 vcc_lo, exec_lo, s0
	s_cbranch_vccnz .LBB288_1528
; %bb.1509:
	v_cmp_lt_i16_e64 s0, s10, 2
	s_delay_alu instid0(VALU_DEP_1)
	s_and_b32 vcc_lo, exec_lo, s0
	s_cbranch_vccnz .LBB288_1513
; %bb.1510:
	v_cmp_lt_i16_e64 s0, s10, 3
	s_delay_alu instid0(VALU_DEP_1)
	s_and_b32 vcc_lo, exec_lo, s0
	s_cbranch_vccnz .LBB288_1514
; %bb.1511:
	v_cmp_gt_i16_e64 s0, s10, 3
	s_delay_alu instid0(VALU_DEP_1)
	s_and_b32 vcc_lo, exec_lo, s0
	s_cbranch_vccz .LBB288_1515
; %bb.1512:
	global_load_b64 v[0:1], v[7:8], off
	s_mov_b32 s0, 0
	s_branch .LBB288_1516
.LBB288_1513:
	s_mov_b32 s0, -1
                                        ; implicit-def: $vgpr0
	s_branch .LBB288_1522
.LBB288_1514:
	s_mov_b32 s0, -1
                                        ; implicit-def: $vgpr0
	s_branch .LBB288_1519
.LBB288_1515:
	s_mov_b32 s0, -1
                                        ; implicit-def: $vgpr0
.LBB288_1516:
	s_delay_alu instid0(SALU_CYCLE_1)
	s_and_not1_b32 vcc_lo, exec_lo, s0
	s_cbranch_vccnz .LBB288_1518
; %bb.1517:
	global_load_b32 v0, v[7:8], off
.LBB288_1518:
	s_mov_b32 s0, 0
.LBB288_1519:
	s_delay_alu instid0(SALU_CYCLE_1)
	s_and_not1_b32 vcc_lo, exec_lo, s0
	s_cbranch_vccnz .LBB288_1521
; %bb.1520:
	global_load_u16 v0, v[7:8], off
.LBB288_1521:
	s_mov_b32 s0, 0
.LBB288_1522:
	s_delay_alu instid0(SALU_CYCLE_1)
	s_and_not1_b32 vcc_lo, exec_lo, s0
	s_cbranch_vccnz .LBB288_1528
; %bb.1523:
	v_cmp_gt_i16_e64 s0, s10, 0
	s_delay_alu instid0(VALU_DEP_1)
	s_and_b32 vcc_lo, exec_lo, s0
	s_mov_b32 s0, 0
	s_cbranch_vccz .LBB288_1525
; %bb.1524:
	global_load_u8 v0, v[7:8], off
	s_branch .LBB288_1526
.LBB288_1525:
	s_mov_b32 s0, -1
                                        ; implicit-def: $vgpr0
.LBB288_1526:
	s_delay_alu instid0(SALU_CYCLE_1)
	s_and_not1_b32 vcc_lo, exec_lo, s0
	s_cbranch_vccnz .LBB288_1528
; %bb.1527:
	global_load_u8 v0, v[7:8], off
.LBB288_1528:
	s_mov_b32 s6, -1
.LBB288_1529:
	s_delay_alu instid0(SALU_CYCLE_1)
	s_and_not1_b32 vcc_lo, exec_lo, s6
	s_cbranch_vccnz .LBB288_1963
; %bb.1530:
	s_waitcnt vmcnt(0)
	v_mul_lo_u32 v1, s2, v9
	v_bfe_i32 v3, v6, 0, 8
	s_bfe_i32 s3, s8, 0x80000
	v_and_b32_e64 v7, 0xff, s9
	s_bfe_i32 s1, s1, 0x80000
	s_delay_alu instid0(VALU_DEP_2) | instskip(NEXT) | instid1(VALU_DEP_2)
	v_max_i16 v3, v3, s3
	v_cmp_gt_i16_e32 vcc_lo, 11, v7
	v_ashrrev_i32_e32 v6, 31, v1
	v_add_co_u32 v5, s0, s4, v1
	s_delay_alu instid0(VALU_DEP_4) | instskip(NEXT) | instid1(VALU_DEP_3)
	v_min_i16 v3, v3, s1
	v_add_co_ci_u32_e64 v6, s0, s5, v6, s0
	s_cbranch_vccnz .LBB288_1608
; %bb.1531:
	v_cmp_lt_i16_e32 vcc_lo, 25, v7
	s_mov_b32 s8, -1
	s_mov_b32 s6, 0
	s_mov_b32 s7, 0
	;; [unrolled: 1-line block ×3, first 2 shown]
	s_cbranch_vccz .LBB288_1564
; %bb.1532:
	v_cmp_lt_i16_e32 vcc_lo, 28, v7
	s_cbranch_vccz .LBB288_1547
; %bb.1533:
	v_cmp_lt_i16_e32 vcc_lo, 43, v7
	;; [unrolled: 3-line block ×3, first 2 shown]
	s_cbranch_vccz .LBB288_1537
; %bb.1535:
	v_cmp_eq_u16_e32 vcc_lo, 46, v7
	s_mov_b32 s0, -1
	s_mov_b32 s8, 0
	s_cbranch_vccz .LBB288_1537
; %bb.1536:
	v_bfe_i32 v8, v3, 0, 16
	s_mov_b32 s0, 0
	s_mov_b32 s7, -1
	s_delay_alu instid0(VALU_DEP_1) | instskip(NEXT) | instid1(VALU_DEP_1)
	v_cvt_f32_i32_e32 v8, v8
	v_bfe_u32 v9, v8, 16, 1
	s_delay_alu instid0(VALU_DEP_1) | instskip(NEXT) | instid1(VALU_DEP_1)
	v_add3_u32 v8, v8, v9, 0x7fff
	v_lshrrev_b32_e32 v8, 16, v8
	global_store_b32 v[5:6], v8, off
.LBB288_1537:
	s_and_b32 vcc_lo, exec_lo, s8
	s_cbranch_vccz .LBB288_1542
; %bb.1538:
	v_cmp_eq_u16_e32 vcc_lo, 44, v7
	s_mov_b32 s0, -1
	s_cbranch_vccz .LBB288_1542
; %bb.1539:
	v_bfe_i32 v8, v3, 0, 16
	v_mov_b32_e32 v9, 0xff
	s_mov_b32 s7, exec_lo
	s_delay_alu instid0(VALU_DEP_2) | instskip(NEXT) | instid1(VALU_DEP_1)
	v_cvt_f32_i32_e32 v8, v8
	v_bfe_u32 v10, v8, 23, 8
	s_delay_alu instid0(VALU_DEP_1)
	v_cmpx_ne_u32_e32 0xff, v10
; %bb.1540:
	v_and_b32_e32 v9, 0x400000, v8
	v_and_or_b32 v10, 0x3fffff, v8, v10
	v_lshrrev_b32_e32 v8, 23, v8
	s_delay_alu instid0(VALU_DEP_3) | instskip(NEXT) | instid1(VALU_DEP_3)
	v_cmp_ne_u32_e32 vcc_lo, 0, v9
	v_cmp_ne_u32_e64 s0, 0, v10
	s_delay_alu instid0(VALU_DEP_1) | instskip(NEXT) | instid1(SALU_CYCLE_1)
	s_and_b32 s0, vcc_lo, s0
	v_cndmask_b32_e64 v9, 0, 1, s0
	s_delay_alu instid0(VALU_DEP_1)
	v_add_nc_u32_e32 v9, v8, v9
; %bb.1541:
	s_or_b32 exec_lo, exec_lo, s7
	s_mov_b32 s0, 0
	s_mov_b32 s7, -1
	global_store_b8 v[5:6], v9, off
.LBB288_1542:
	s_mov_b32 s8, 0
.LBB288_1543:
	s_delay_alu instid0(SALU_CYCLE_1)
	s_and_b32 vcc_lo, exec_lo, s8
	s_cbranch_vccz .LBB288_1546
; %bb.1544:
	v_cmp_eq_u16_e32 vcc_lo, 29, v7
	s_mov_b32 s0, -1
	s_cbranch_vccz .LBB288_1546
; %bb.1545:
	v_bfe_i32 v8, v3, 0, 16
	s_mov_b32 s0, 0
	s_mov_b32 s7, -1
	s_delay_alu instid0(VALU_DEP_1)
	v_ashrrev_i32_e32 v9, 31, v8
	global_store_b64 v[5:6], v[8:9], off
.LBB288_1546:
	s_mov_b32 s8, 0
.LBB288_1547:
	s_delay_alu instid0(SALU_CYCLE_1)
	s_and_b32 vcc_lo, exec_lo, s8
	s_cbranch_vccz .LBB288_1563
; %bb.1548:
	v_cmp_gt_i16_e32 vcc_lo, 27, v7
	s_mov_b32 s7, -1
	s_cbranch_vccnz .LBB288_1554
; %bb.1549:
	v_cmp_lt_i16_e32 vcc_lo, 27, v7
	s_cbranch_vccz .LBB288_1551
; %bb.1550:
	v_bfe_i32 v8, v3, 0, 16
	s_mov_b32 s7, 0
	global_store_b32 v[5:6], v8, off
.LBB288_1551:
	s_and_not1_b32 vcc_lo, exec_lo, s7
	s_cbranch_vccnz .LBB288_1553
; %bb.1552:
	global_store_b16 v[5:6], v3, off
.LBB288_1553:
	s_mov_b32 s7, 0
.LBB288_1554:
	s_delay_alu instid0(SALU_CYCLE_1)
	s_and_not1_b32 vcc_lo, exec_lo, s7
	s_cbranch_vccnz .LBB288_1562
; %bb.1555:
	v_bfe_i32 v8, v3, 0, 16
	v_mov_b32_e32 v10, 0x80
	s_mov_b32 s7, exec_lo
	s_delay_alu instid0(VALU_DEP_2) | instskip(NEXT) | instid1(VALU_DEP_1)
	v_cvt_f32_i32_e32 v8, v8
	v_and_b32_e32 v9, 0x7fffffff, v8
	s_delay_alu instid0(VALU_DEP_1)
	v_cmpx_gt_u32_e32 0x43800000, v9
	s_cbranch_execz .LBB288_1561
; %bb.1556:
	v_cmp_lt_u32_e32 vcc_lo, 0x3bffffff, v9
	s_mov_b32 s8, 0
                                        ; implicit-def: $vgpr9
	s_and_saveexec_b32 s9, vcc_lo
	s_delay_alu instid0(SALU_CYCLE_1)
	s_xor_b32 s9, exec_lo, s9
	s_cbranch_execz .LBB288_2011
; %bb.1557:
	v_bfe_u32 v9, v8, 20, 1
	s_mov_b32 s8, exec_lo
	s_delay_alu instid0(VALU_DEP_1) | instskip(NEXT) | instid1(VALU_DEP_1)
	v_add3_u32 v9, v8, v9, 0x487ffff
	v_lshrrev_b32_e32 v9, 20, v9
	s_or_saveexec_b32 s9, s9
                                        ; implicit-def: $sgpr10
	s_delay_alu instid0(SALU_CYCLE_1)
	s_xor_b32 exec_lo, exec_lo, s9
	s_cbranch_execnz .LBB288_2012
.LBB288_1558:
	s_or_b32 exec_lo, exec_lo, s9
	v_mov_b32_e32 v10, s10
	s_and_saveexec_b32 s9, s8
.LBB288_1559:
	v_lshrrev_b32_e32 v8, 24, v8
	s_delay_alu instid0(VALU_DEP_1)
	v_and_or_b32 v10, 0x80, v8, v9
.LBB288_1560:
	s_or_b32 exec_lo, exec_lo, s9
.LBB288_1561:
	s_delay_alu instid0(SALU_CYCLE_1)
	s_or_b32 exec_lo, exec_lo, s7
	global_store_b8 v[5:6], v10, off
.LBB288_1562:
	s_mov_b32 s7, -1
.LBB288_1563:
	s_mov_b32 s8, 0
.LBB288_1564:
	s_delay_alu instid0(SALU_CYCLE_1)
	s_and_b32 vcc_lo, exec_lo, s8
	s_cbranch_vccz .LBB288_1604
; %bb.1565:
	v_cmp_lt_i16_e32 vcc_lo, 22, v7
	s_mov_b32 s6, -1
	s_cbranch_vccz .LBB288_1597
; %bb.1566:
	v_cmp_gt_i16_e32 vcc_lo, 24, v7
	s_cbranch_vccnz .LBB288_1586
; %bb.1567:
	v_cmp_lt_i16_e32 vcc_lo, 24, v7
	s_cbranch_vccz .LBB288_1575
; %bb.1568:
	v_bfe_i32 v8, v3, 0, 16
	v_mov_b32_e32 v10, 0x80
	s_mov_b32 s6, exec_lo
	s_delay_alu instid0(VALU_DEP_2) | instskip(NEXT) | instid1(VALU_DEP_1)
	v_cvt_f32_i32_e32 v8, v8
	v_and_b32_e32 v9, 0x7fffffff, v8
	s_delay_alu instid0(VALU_DEP_1)
	v_cmpx_gt_u32_e32 0x47800000, v9
	s_cbranch_execz .LBB288_1574
; %bb.1569:
	v_cmp_lt_u32_e32 vcc_lo, 0x37ffffff, v9
	s_mov_b32 s7, 0
                                        ; implicit-def: $vgpr9
	s_and_saveexec_b32 s8, vcc_lo
	s_delay_alu instid0(SALU_CYCLE_1)
	s_xor_b32 s8, exec_lo, s8
	s_cbranch_execz .LBB288_2017
; %bb.1570:
	v_bfe_u32 v9, v8, 21, 1
	s_mov_b32 s7, exec_lo
	s_delay_alu instid0(VALU_DEP_1) | instskip(NEXT) | instid1(VALU_DEP_1)
	v_add3_u32 v9, v8, v9, 0x88fffff
	v_lshrrev_b32_e32 v9, 21, v9
	s_or_saveexec_b32 s8, s8
                                        ; implicit-def: $sgpr9
	s_delay_alu instid0(SALU_CYCLE_1)
	s_xor_b32 exec_lo, exec_lo, s8
	s_cbranch_execnz .LBB288_2018
.LBB288_1571:
	s_or_b32 exec_lo, exec_lo, s8
	v_mov_b32_e32 v10, s9
	s_and_saveexec_b32 s8, s7
.LBB288_1572:
	v_lshrrev_b32_e32 v8, 24, v8
	s_delay_alu instid0(VALU_DEP_1)
	v_and_or_b32 v10, 0x80, v8, v9
.LBB288_1573:
	s_or_b32 exec_lo, exec_lo, s8
.LBB288_1574:
	s_delay_alu instid0(SALU_CYCLE_1)
	s_or_b32 exec_lo, exec_lo, s6
	s_mov_b32 s6, 0
	global_store_b8 v[5:6], v10, off
.LBB288_1575:
	s_and_b32 vcc_lo, exec_lo, s6
	s_cbranch_vccz .LBB288_1585
; %bb.1576:
	v_bfe_i32 v8, v3, 0, 16
	s_mov_b32 s6, exec_lo
                                        ; implicit-def: $vgpr9
	s_delay_alu instid0(VALU_DEP_1) | instskip(NEXT) | instid1(VALU_DEP_1)
	v_cvt_f32_i32_e32 v8, v8
	v_and_b32_e32 v10, 0x7fffffff, v8
	s_delay_alu instid0(VALU_DEP_1)
	v_cmpx_gt_u32_e32 0x43f00000, v10
	s_xor_b32 s6, exec_lo, s6
	s_cbranch_execz .LBB288_1582
; %bb.1577:
	s_mov_b32 s7, exec_lo
                                        ; implicit-def: $vgpr9
	v_cmpx_lt_u32_e32 0x3c7fffff, v10
	s_xor_b32 s7, exec_lo, s7
; %bb.1578:
	v_bfe_u32 v9, v8, 20, 1
	s_delay_alu instid0(VALU_DEP_1) | instskip(NEXT) | instid1(VALU_DEP_1)
	v_add3_u32 v9, v8, v9, 0x407ffff
	v_and_b32_e32 v10, 0xff00000, v9
	v_lshrrev_b32_e32 v9, 20, v9
	s_delay_alu instid0(VALU_DEP_2) | instskip(NEXT) | instid1(VALU_DEP_2)
	v_cmp_ne_u32_e32 vcc_lo, 0x7f00000, v10
	v_cndmask_b32_e32 v9, 0x7e, v9, vcc_lo
; %bb.1579:
	s_and_not1_saveexec_b32 s7, s7
; %bb.1580:
	v_add_f32_e64 v9, 0x46800000, |v8|
; %bb.1581:
	s_or_b32 exec_lo, exec_lo, s7
                                        ; implicit-def: $vgpr10
.LBB288_1582:
	s_and_not1_saveexec_b32 s6, s6
; %bb.1583:
	v_mov_b32_e32 v9, 0x7f
	v_cmp_lt_u32_e32 vcc_lo, 0x7f800000, v10
	s_delay_alu instid0(VALU_DEP_2)
	v_cndmask_b32_e32 v9, 0x7e, v9, vcc_lo
; %bb.1584:
	s_or_b32 exec_lo, exec_lo, s6
	v_lshrrev_b32_e32 v8, 24, v8
	s_delay_alu instid0(VALU_DEP_1)
	v_and_or_b32 v8, 0x80, v8, v9
	global_store_b8 v[5:6], v8, off
.LBB288_1585:
	s_mov_b32 s6, 0
.LBB288_1586:
	s_delay_alu instid0(SALU_CYCLE_1)
	s_and_not1_b32 vcc_lo, exec_lo, s6
	s_cbranch_vccnz .LBB288_1596
; %bb.1587:
	v_bfe_i32 v8, v3, 0, 16
	s_mov_b32 s6, exec_lo
                                        ; implicit-def: $vgpr9
	s_delay_alu instid0(VALU_DEP_1) | instskip(NEXT) | instid1(VALU_DEP_1)
	v_cvt_f32_i32_e32 v8, v8
	v_and_b32_e32 v10, 0x7fffffff, v8
	s_delay_alu instid0(VALU_DEP_1)
	v_cmpx_gt_u32_e32 0x47800000, v10
	s_xor_b32 s6, exec_lo, s6
	s_cbranch_execz .LBB288_1593
; %bb.1588:
	s_mov_b32 s7, exec_lo
                                        ; implicit-def: $vgpr9
	v_cmpx_lt_u32_e32 0x387fffff, v10
	s_xor_b32 s7, exec_lo, s7
; %bb.1589:
	v_bfe_u32 v9, v8, 21, 1
	s_delay_alu instid0(VALU_DEP_1) | instskip(NEXT) | instid1(VALU_DEP_1)
	v_add3_u32 v9, v8, v9, 0x80fffff
	v_lshrrev_b32_e32 v9, 21, v9
; %bb.1590:
	s_and_not1_saveexec_b32 s7, s7
; %bb.1591:
	v_add_f32_e64 v9, 0x43000000, |v8|
; %bb.1592:
	s_or_b32 exec_lo, exec_lo, s7
                                        ; implicit-def: $vgpr10
.LBB288_1593:
	s_and_not1_saveexec_b32 s6, s6
; %bb.1594:
	v_mov_b32_e32 v9, 0x7f
	v_cmp_lt_u32_e32 vcc_lo, 0x7f800000, v10
	s_delay_alu instid0(VALU_DEP_2)
	v_cndmask_b32_e32 v9, 0x7c, v9, vcc_lo
; %bb.1595:
	s_or_b32 exec_lo, exec_lo, s6
	v_lshrrev_b32_e32 v8, 24, v8
	s_delay_alu instid0(VALU_DEP_1)
	v_and_or_b32 v8, 0x80, v8, v9
	global_store_b8 v[5:6], v8, off
.LBB288_1596:
	s_mov_b32 s6, 0
	s_mov_b32 s7, -1
.LBB288_1597:
	s_and_not1_b32 vcc_lo, exec_lo, s6
	s_mov_b32 s6, 0
	s_cbranch_vccnz .LBB288_1604
; %bb.1598:
	v_cmp_lt_i16_e32 vcc_lo, 14, v7
	s_mov_b32 s6, -1
	s_cbranch_vccz .LBB288_1602
; %bb.1599:
	v_cmp_eq_u16_e32 vcc_lo, 15, v7
	s_mov_b32 s0, -1
	s_cbranch_vccz .LBB288_1601
; %bb.1600:
	v_bfe_i32 v8, v3, 0, 16
	s_mov_b32 s0, 0
	s_mov_b32 s7, -1
	s_delay_alu instid0(VALU_DEP_1) | instskip(NEXT) | instid1(VALU_DEP_1)
	v_cvt_f32_i32_e32 v8, v8
	v_bfe_u32 v9, v8, 16, 1
	s_delay_alu instid0(VALU_DEP_1)
	v_add3_u32 v8, v8, v9, 0x7fff
	global_store_d16_hi_b16 v[5:6], v8, off
.LBB288_1601:
	s_mov_b32 s6, 0
.LBB288_1602:
	s_delay_alu instid0(SALU_CYCLE_1)
	s_and_b32 vcc_lo, exec_lo, s6
	s_mov_b32 s6, 0
	s_cbranch_vccz .LBB288_1604
; %bb.1603:
	v_cmp_ne_u16_e64 s0, 11, v7
	s_mov_b32 s6, -1
.LBB288_1604:
	s_delay_alu instid0(VALU_DEP_1)
	s_and_b32 vcc_lo, exec_lo, s0
	s_cbranch_vccnz .LBB288_2015
; %bb.1605:
	s_and_not1_b32 vcc_lo, exec_lo, s6
	s_cbranch_vccnz .LBB288_1607
.LBB288_1606:
	v_cmp_ne_u16_e32 vcc_lo, 0, v3
	s_mov_b32 s7, -1
	v_cndmask_b32_e64 v8, 0, 1, vcc_lo
	global_store_b8 v[5:6], v8, off
.LBB288_1607:
	s_mov_b32 s0, 0
	s_branch .LBB288_1609
.LBB288_1608:
	s_mov_b32 s0, -1
	s_mov_b32 s7, 0
.LBB288_1609:
	s_and_b32 vcc_lo, exec_lo, s0
	s_cbranch_vccz .LBB288_1648
; %bb.1610:
	v_cmp_gt_i16_e32 vcc_lo, 5, v7
	s_mov_b32 s0, -1
	s_cbranch_vccnz .LBB288_1631
; %bb.1611:
	v_cmp_gt_i16_e32 vcc_lo, 8, v7
	s_cbranch_vccnz .LBB288_1621
; %bb.1612:
	v_cmp_gt_i16_e32 vcc_lo, 9, v7
	s_cbranch_vccnz .LBB288_1618
; %bb.1613:
	v_cmp_lt_i16_e32 vcc_lo, 9, v7
	s_cbranch_vccz .LBB288_1615
; %bb.1614:
	v_bfe_i32 v8, v3, 0, 16
	v_mov_b32_e32 v10, 0
	s_mov_b32 s0, 0
	s_delay_alu instid0(VALU_DEP_2) | instskip(NEXT) | instid1(VALU_DEP_2)
	v_cvt_f64_i32_e32 v[8:9], v8
	v_mov_b32_e32 v11, v10
	global_store_b128 v[5:6], v[8:11], off
.LBB288_1615:
	s_and_not1_b32 vcc_lo, exec_lo, s0
	s_cbranch_vccnz .LBB288_1617
; %bb.1616:
	v_bfe_i32 v8, v3, 0, 16
	v_mov_b32_e32 v9, 0
	s_delay_alu instid0(VALU_DEP_2)
	v_cvt_f32_i32_e32 v8, v8
	global_store_b64 v[5:6], v[8:9], off
.LBB288_1617:
	s_mov_b32 s0, 0
.LBB288_1618:
	s_delay_alu instid0(SALU_CYCLE_1)
	s_and_not1_b32 vcc_lo, exec_lo, s0
	s_cbranch_vccnz .LBB288_1620
; %bb.1619:
	v_cvt_f16_i16_e32 v8, v3
	s_delay_alu instid0(VALU_DEP_1)
	v_and_b32_e32 v8, 0xffff, v8
	global_store_b32 v[5:6], v8, off
.LBB288_1620:
	s_mov_b32 s0, 0
.LBB288_1621:
	s_delay_alu instid0(SALU_CYCLE_1)
	s_and_not1_b32 vcc_lo, exec_lo, s0
	s_cbranch_vccnz .LBB288_1630
; %bb.1622:
	v_cmp_gt_i16_e32 vcc_lo, 6, v7
	s_mov_b32 s0, -1
	s_cbranch_vccnz .LBB288_1628
; %bb.1623:
	v_cmp_lt_i16_e32 vcc_lo, 6, v7
	s_cbranch_vccz .LBB288_1625
; %bb.1624:
	v_bfe_i32 v8, v3, 0, 16
	s_mov_b32 s0, 0
	s_delay_alu instid0(VALU_DEP_1)
	v_cvt_f64_i32_e32 v[8:9], v8
	global_store_b64 v[5:6], v[8:9], off
.LBB288_1625:
	s_and_not1_b32 vcc_lo, exec_lo, s0
	s_cbranch_vccnz .LBB288_1627
; %bb.1626:
	v_bfe_i32 v8, v3, 0, 16
	s_delay_alu instid0(VALU_DEP_1)
	v_cvt_f32_i32_e32 v8, v8
	global_store_b32 v[5:6], v8, off
.LBB288_1627:
	s_mov_b32 s0, 0
.LBB288_1628:
	s_delay_alu instid0(SALU_CYCLE_1)
	s_and_not1_b32 vcc_lo, exec_lo, s0
	s_cbranch_vccnz .LBB288_1630
; %bb.1629:
	v_cvt_f16_i16_e32 v8, v3
	global_store_b16 v[5:6], v8, off
.LBB288_1630:
	s_mov_b32 s0, 0
.LBB288_1631:
	s_delay_alu instid0(SALU_CYCLE_1)
	s_and_not1_b32 vcc_lo, exec_lo, s0
	s_cbranch_vccnz .LBB288_1647
; %bb.1632:
	v_cmp_gt_i16_e32 vcc_lo, 2, v7
	s_mov_b32 s0, -1
	s_cbranch_vccnz .LBB288_1642
; %bb.1633:
	v_cmp_gt_i16_e32 vcc_lo, 3, v7
	s_cbranch_vccnz .LBB288_1639
; %bb.1634:
	v_cmp_lt_i16_e32 vcc_lo, 3, v7
	s_cbranch_vccz .LBB288_1636
; %bb.1635:
	v_bfe_i32 v8, v3, 0, 16
	s_mov_b32 s0, 0
	s_delay_alu instid0(VALU_DEP_1)
	v_ashrrev_i32_e32 v9, 31, v8
	global_store_b64 v[5:6], v[8:9], off
.LBB288_1636:
	s_and_not1_b32 vcc_lo, exec_lo, s0
	s_cbranch_vccnz .LBB288_1638
; %bb.1637:
	v_bfe_i32 v8, v3, 0, 16
	global_store_b32 v[5:6], v8, off
.LBB288_1638:
	s_mov_b32 s0, 0
.LBB288_1639:
	s_delay_alu instid0(SALU_CYCLE_1)
	s_and_not1_b32 vcc_lo, exec_lo, s0
	s_cbranch_vccnz .LBB288_1641
; %bb.1640:
	global_store_b16 v[5:6], v3, off
.LBB288_1641:
	s_mov_b32 s0, 0
.LBB288_1642:
	s_delay_alu instid0(SALU_CYCLE_1)
	s_and_not1_b32 vcc_lo, exec_lo, s0
	s_cbranch_vccnz .LBB288_1647
; %bb.1643:
	v_cmp_lt_i16_e32 vcc_lo, 0, v7
	s_mov_b32 s0, -1
	s_cbranch_vccz .LBB288_1645
; %bb.1644:
	s_mov_b32 s0, 0
	global_store_b8 v[5:6], v3, off
.LBB288_1645:
	s_and_not1_b32 vcc_lo, exec_lo, s0
	s_cbranch_vccnz .LBB288_1647
; %bb.1646:
	global_store_b8 v[5:6], v3, off
.LBB288_1647:
	s_mov_b32 s7, -1
.LBB288_1648:
	s_delay_alu instid0(SALU_CYCLE_1)
	s_and_not1_b32 vcc_lo, exec_lo, s7
	s_cbranch_vccnz .LBB288_1963
; %bb.1649:
	v_bfe_i32 v3, v4, 0, 8
	s_lshl_b32 s2, s2, 7
	v_cmp_gt_i16_e32 vcc_lo, 11, v7
	v_add_nc_u32_e32 v1, s2, v1
	s_delay_alu instid0(VALU_DEP_3) | instskip(SKIP_1) | instid1(VALU_DEP_2)
	v_max_i16 v3, v3, s3
	s_and_b32 vcc_lo, exec_lo, vcc_lo
	v_ashrrev_i32_e32 v4, 31, v1
	s_delay_alu instid0(VALU_DEP_2) | instskip(SKIP_1) | instid1(VALU_DEP_1)
	v_min_i16 v8, v3, s1
	v_add_co_u32 v3, s0, s4, v1
	v_add_co_ci_u32_e64 v4, s0, s5, v4, s0
	s_cbranch_vccnz .LBB288_1727
; %bb.1650:
	v_cmp_lt_i16_e32 vcc_lo, 25, v7
	s_mov_b32 s8, -1
	s_mov_b32 s6, 0
	s_mov_b32 s7, 0
	s_mov_b32 s0, 0
	s_cbranch_vccz .LBB288_1683
; %bb.1651:
	v_cmp_lt_i16_e32 vcc_lo, 28, v7
	s_cbranch_vccz .LBB288_1666
; %bb.1652:
	v_cmp_lt_i16_e32 vcc_lo, 43, v7
	;; [unrolled: 3-line block ×3, first 2 shown]
	s_cbranch_vccz .LBB288_1656
; %bb.1654:
	v_cmp_eq_u16_e32 vcc_lo, 46, v7
	s_mov_b32 s0, -1
	s_mov_b32 s8, 0
	s_cbranch_vccz .LBB288_1656
; %bb.1655:
	v_bfe_i32 v5, v8, 0, 16
	s_mov_b32 s0, 0
	s_mov_b32 s7, -1
	s_delay_alu instid0(VALU_DEP_1) | instskip(NEXT) | instid1(VALU_DEP_1)
	v_cvt_f32_i32_e32 v5, v5
	v_bfe_u32 v6, v5, 16, 1
	s_delay_alu instid0(VALU_DEP_1) | instskip(NEXT) | instid1(VALU_DEP_1)
	v_add3_u32 v5, v5, v6, 0x7fff
	v_lshrrev_b32_e32 v5, 16, v5
	global_store_b32 v[3:4], v5, off
.LBB288_1656:
	s_and_b32 vcc_lo, exec_lo, s8
	s_cbranch_vccz .LBB288_1661
; %bb.1657:
	v_cmp_eq_u16_e32 vcc_lo, 44, v7
	s_mov_b32 s0, -1
	s_cbranch_vccz .LBB288_1661
; %bb.1658:
	v_bfe_i32 v5, v8, 0, 16
	v_mov_b32_e32 v6, 0xff
	s_mov_b32 s7, exec_lo
	s_delay_alu instid0(VALU_DEP_2) | instskip(NEXT) | instid1(VALU_DEP_1)
	v_cvt_f32_i32_e32 v5, v5
	v_bfe_u32 v9, v5, 23, 8
	s_delay_alu instid0(VALU_DEP_1)
	v_cmpx_ne_u32_e32 0xff, v9
; %bb.1659:
	v_and_b32_e32 v6, 0x400000, v5
	v_and_or_b32 v9, 0x3fffff, v5, v9
	v_lshrrev_b32_e32 v5, 23, v5
	s_delay_alu instid0(VALU_DEP_3) | instskip(NEXT) | instid1(VALU_DEP_3)
	v_cmp_ne_u32_e32 vcc_lo, 0, v6
	v_cmp_ne_u32_e64 s0, 0, v9
	s_delay_alu instid0(VALU_DEP_1) | instskip(NEXT) | instid1(SALU_CYCLE_1)
	s_and_b32 s0, vcc_lo, s0
	v_cndmask_b32_e64 v6, 0, 1, s0
	s_delay_alu instid0(VALU_DEP_1)
	v_add_nc_u32_e32 v6, v5, v6
; %bb.1660:
	s_or_b32 exec_lo, exec_lo, s7
	s_mov_b32 s0, 0
	s_mov_b32 s7, -1
	global_store_b8 v[3:4], v6, off
.LBB288_1661:
	s_mov_b32 s8, 0
.LBB288_1662:
	s_delay_alu instid0(SALU_CYCLE_1)
	s_and_b32 vcc_lo, exec_lo, s8
	s_cbranch_vccz .LBB288_1665
; %bb.1663:
	v_cmp_eq_u16_e32 vcc_lo, 29, v7
	s_mov_b32 s0, -1
	s_cbranch_vccz .LBB288_1665
; %bb.1664:
	v_bfe_i32 v5, v8, 0, 16
	s_mov_b32 s0, 0
	s_mov_b32 s7, -1
	s_delay_alu instid0(VALU_DEP_1)
	v_ashrrev_i32_e32 v6, 31, v5
	global_store_b64 v[3:4], v[5:6], off
.LBB288_1665:
	s_mov_b32 s8, 0
.LBB288_1666:
	s_delay_alu instid0(SALU_CYCLE_1)
	s_and_b32 vcc_lo, exec_lo, s8
	s_cbranch_vccz .LBB288_1682
; %bb.1667:
	v_cmp_gt_i16_e32 vcc_lo, 27, v7
	s_mov_b32 s7, -1
	s_cbranch_vccnz .LBB288_1673
; %bb.1668:
	v_cmp_lt_i16_e32 vcc_lo, 27, v7
	s_cbranch_vccz .LBB288_1670
; %bb.1669:
	v_bfe_i32 v5, v8, 0, 16
	s_mov_b32 s7, 0
	global_store_b32 v[3:4], v5, off
.LBB288_1670:
	s_and_not1_b32 vcc_lo, exec_lo, s7
	s_cbranch_vccnz .LBB288_1672
; %bb.1671:
	global_store_b16 v[3:4], v8, off
.LBB288_1672:
	s_mov_b32 s7, 0
.LBB288_1673:
	s_delay_alu instid0(SALU_CYCLE_1)
	s_and_not1_b32 vcc_lo, exec_lo, s7
	s_cbranch_vccnz .LBB288_1681
; %bb.1674:
	v_bfe_i32 v5, v8, 0, 16
	v_mov_b32_e32 v9, 0x80
	s_mov_b32 s7, exec_lo
	s_delay_alu instid0(VALU_DEP_2) | instskip(NEXT) | instid1(VALU_DEP_1)
	v_cvt_f32_i32_e32 v5, v5
	v_and_b32_e32 v6, 0x7fffffff, v5
	s_delay_alu instid0(VALU_DEP_1)
	v_cmpx_gt_u32_e32 0x43800000, v6
	s_cbranch_execz .LBB288_1680
; %bb.1675:
	v_cmp_lt_u32_e32 vcc_lo, 0x3bffffff, v6
	s_mov_b32 s8, 0
                                        ; implicit-def: $vgpr6
	s_and_saveexec_b32 s9, vcc_lo
	s_delay_alu instid0(SALU_CYCLE_1)
	s_xor_b32 s9, exec_lo, s9
	s_cbranch_execz .LBB288_2019
; %bb.1676:
	v_bfe_u32 v6, v5, 20, 1
	s_mov_b32 s8, exec_lo
	s_delay_alu instid0(VALU_DEP_1) | instskip(NEXT) | instid1(VALU_DEP_1)
	v_add3_u32 v6, v5, v6, 0x487ffff
	v_lshrrev_b32_e32 v6, 20, v6
	s_or_saveexec_b32 s9, s9
                                        ; implicit-def: $sgpr10
	s_delay_alu instid0(SALU_CYCLE_1)
	s_xor_b32 exec_lo, exec_lo, s9
	s_cbranch_execnz .LBB288_2020
.LBB288_1677:
	s_or_b32 exec_lo, exec_lo, s9
	v_mov_b32_e32 v9, s10
	s_and_saveexec_b32 s9, s8
.LBB288_1678:
	v_lshrrev_b32_e32 v5, 24, v5
	s_delay_alu instid0(VALU_DEP_1)
	v_and_or_b32 v9, 0x80, v5, v6
.LBB288_1679:
	s_or_b32 exec_lo, exec_lo, s9
.LBB288_1680:
	s_delay_alu instid0(SALU_CYCLE_1)
	s_or_b32 exec_lo, exec_lo, s7
	global_store_b8 v[3:4], v9, off
.LBB288_1681:
	s_mov_b32 s7, -1
.LBB288_1682:
	s_mov_b32 s8, 0
.LBB288_1683:
	s_delay_alu instid0(SALU_CYCLE_1)
	s_and_b32 vcc_lo, exec_lo, s8
	s_cbranch_vccz .LBB288_1723
; %bb.1684:
	v_cmp_lt_i16_e32 vcc_lo, 22, v7
	s_mov_b32 s6, -1
	s_cbranch_vccz .LBB288_1716
; %bb.1685:
	v_cmp_gt_i16_e32 vcc_lo, 24, v7
	s_cbranch_vccnz .LBB288_1705
; %bb.1686:
	v_cmp_lt_i16_e32 vcc_lo, 24, v7
	s_cbranch_vccz .LBB288_1694
; %bb.1687:
	v_bfe_i32 v5, v8, 0, 16
	v_mov_b32_e32 v9, 0x80
	s_mov_b32 s6, exec_lo
	s_delay_alu instid0(VALU_DEP_2) | instskip(NEXT) | instid1(VALU_DEP_1)
	v_cvt_f32_i32_e32 v5, v5
	v_and_b32_e32 v6, 0x7fffffff, v5
	s_delay_alu instid0(VALU_DEP_1)
	v_cmpx_gt_u32_e32 0x47800000, v6
	s_cbranch_execz .LBB288_1693
; %bb.1688:
	v_cmp_lt_u32_e32 vcc_lo, 0x37ffffff, v6
	s_mov_b32 s7, 0
                                        ; implicit-def: $vgpr6
	s_and_saveexec_b32 s8, vcc_lo
	s_delay_alu instid0(SALU_CYCLE_1)
	s_xor_b32 s8, exec_lo, s8
	s_cbranch_execz .LBB288_2025
; %bb.1689:
	v_bfe_u32 v6, v5, 21, 1
	s_mov_b32 s7, exec_lo
	s_delay_alu instid0(VALU_DEP_1) | instskip(NEXT) | instid1(VALU_DEP_1)
	v_add3_u32 v6, v5, v6, 0x88fffff
	v_lshrrev_b32_e32 v6, 21, v6
	s_or_saveexec_b32 s8, s8
                                        ; implicit-def: $sgpr9
	s_delay_alu instid0(SALU_CYCLE_1)
	s_xor_b32 exec_lo, exec_lo, s8
	s_cbranch_execnz .LBB288_2026
.LBB288_1690:
	s_or_b32 exec_lo, exec_lo, s8
	v_mov_b32_e32 v9, s9
	s_and_saveexec_b32 s8, s7
.LBB288_1691:
	v_lshrrev_b32_e32 v5, 24, v5
	s_delay_alu instid0(VALU_DEP_1)
	v_and_or_b32 v9, 0x80, v5, v6
.LBB288_1692:
	s_or_b32 exec_lo, exec_lo, s8
.LBB288_1693:
	s_delay_alu instid0(SALU_CYCLE_1)
	s_or_b32 exec_lo, exec_lo, s6
	s_mov_b32 s6, 0
	global_store_b8 v[3:4], v9, off
.LBB288_1694:
	s_and_b32 vcc_lo, exec_lo, s6
	s_cbranch_vccz .LBB288_1704
; %bb.1695:
	v_bfe_i32 v5, v8, 0, 16
	s_mov_b32 s6, exec_lo
                                        ; implicit-def: $vgpr6
	s_delay_alu instid0(VALU_DEP_1) | instskip(NEXT) | instid1(VALU_DEP_1)
	v_cvt_f32_i32_e32 v5, v5
	v_and_b32_e32 v9, 0x7fffffff, v5
	s_delay_alu instid0(VALU_DEP_1)
	v_cmpx_gt_u32_e32 0x43f00000, v9
	s_xor_b32 s6, exec_lo, s6
	s_cbranch_execz .LBB288_1701
; %bb.1696:
	s_mov_b32 s7, exec_lo
                                        ; implicit-def: $vgpr6
	v_cmpx_lt_u32_e32 0x3c7fffff, v9
	s_xor_b32 s7, exec_lo, s7
; %bb.1697:
	v_bfe_u32 v6, v5, 20, 1
	s_delay_alu instid0(VALU_DEP_1) | instskip(NEXT) | instid1(VALU_DEP_1)
	v_add3_u32 v6, v5, v6, 0x407ffff
	v_and_b32_e32 v9, 0xff00000, v6
	v_lshrrev_b32_e32 v6, 20, v6
	s_delay_alu instid0(VALU_DEP_2) | instskip(NEXT) | instid1(VALU_DEP_2)
	v_cmp_ne_u32_e32 vcc_lo, 0x7f00000, v9
	v_cndmask_b32_e32 v6, 0x7e, v6, vcc_lo
; %bb.1698:
	s_and_not1_saveexec_b32 s7, s7
; %bb.1699:
	v_add_f32_e64 v6, 0x46800000, |v5|
; %bb.1700:
	s_or_b32 exec_lo, exec_lo, s7
                                        ; implicit-def: $vgpr9
.LBB288_1701:
	s_and_not1_saveexec_b32 s6, s6
; %bb.1702:
	v_mov_b32_e32 v6, 0x7f
	v_cmp_lt_u32_e32 vcc_lo, 0x7f800000, v9
	s_delay_alu instid0(VALU_DEP_2)
	v_cndmask_b32_e32 v6, 0x7e, v6, vcc_lo
; %bb.1703:
	s_or_b32 exec_lo, exec_lo, s6
	v_lshrrev_b32_e32 v5, 24, v5
	s_delay_alu instid0(VALU_DEP_1)
	v_and_or_b32 v5, 0x80, v5, v6
	global_store_b8 v[3:4], v5, off
.LBB288_1704:
	s_mov_b32 s6, 0
.LBB288_1705:
	s_delay_alu instid0(SALU_CYCLE_1)
	s_and_not1_b32 vcc_lo, exec_lo, s6
	s_cbranch_vccnz .LBB288_1715
; %bb.1706:
	v_bfe_i32 v5, v8, 0, 16
	s_mov_b32 s6, exec_lo
                                        ; implicit-def: $vgpr6
	s_delay_alu instid0(VALU_DEP_1) | instskip(NEXT) | instid1(VALU_DEP_1)
	v_cvt_f32_i32_e32 v5, v5
	v_and_b32_e32 v9, 0x7fffffff, v5
	s_delay_alu instid0(VALU_DEP_1)
	v_cmpx_gt_u32_e32 0x47800000, v9
	s_xor_b32 s6, exec_lo, s6
	s_cbranch_execz .LBB288_1712
; %bb.1707:
	s_mov_b32 s7, exec_lo
                                        ; implicit-def: $vgpr6
	v_cmpx_lt_u32_e32 0x387fffff, v9
	s_xor_b32 s7, exec_lo, s7
; %bb.1708:
	v_bfe_u32 v6, v5, 21, 1
	s_delay_alu instid0(VALU_DEP_1) | instskip(NEXT) | instid1(VALU_DEP_1)
	v_add3_u32 v6, v5, v6, 0x80fffff
	v_lshrrev_b32_e32 v6, 21, v6
; %bb.1709:
	s_and_not1_saveexec_b32 s7, s7
; %bb.1710:
	v_add_f32_e64 v6, 0x43000000, |v5|
; %bb.1711:
	s_or_b32 exec_lo, exec_lo, s7
                                        ; implicit-def: $vgpr9
.LBB288_1712:
	s_and_not1_saveexec_b32 s6, s6
; %bb.1713:
	v_mov_b32_e32 v6, 0x7f
	v_cmp_lt_u32_e32 vcc_lo, 0x7f800000, v9
	s_delay_alu instid0(VALU_DEP_2)
	v_cndmask_b32_e32 v6, 0x7c, v6, vcc_lo
; %bb.1714:
	s_or_b32 exec_lo, exec_lo, s6
	v_lshrrev_b32_e32 v5, 24, v5
	s_delay_alu instid0(VALU_DEP_1)
	v_and_or_b32 v5, 0x80, v5, v6
	global_store_b8 v[3:4], v5, off
.LBB288_1715:
	s_mov_b32 s6, 0
	s_mov_b32 s7, -1
.LBB288_1716:
	s_and_not1_b32 vcc_lo, exec_lo, s6
	s_mov_b32 s6, 0
	s_cbranch_vccnz .LBB288_1723
; %bb.1717:
	v_cmp_lt_i16_e32 vcc_lo, 14, v7
	s_mov_b32 s6, -1
	s_cbranch_vccz .LBB288_1721
; %bb.1718:
	v_cmp_eq_u16_e32 vcc_lo, 15, v7
	s_mov_b32 s0, -1
	s_cbranch_vccz .LBB288_1720
; %bb.1719:
	v_bfe_i32 v5, v8, 0, 16
	s_mov_b32 s0, 0
	s_mov_b32 s7, -1
	s_delay_alu instid0(VALU_DEP_1) | instskip(NEXT) | instid1(VALU_DEP_1)
	v_cvt_f32_i32_e32 v5, v5
	v_bfe_u32 v6, v5, 16, 1
	s_delay_alu instid0(VALU_DEP_1)
	v_add3_u32 v5, v5, v6, 0x7fff
	global_store_d16_hi_b16 v[3:4], v5, off
.LBB288_1720:
	s_mov_b32 s6, 0
.LBB288_1721:
	s_delay_alu instid0(SALU_CYCLE_1)
	s_and_b32 vcc_lo, exec_lo, s6
	s_mov_b32 s6, 0
	s_cbranch_vccz .LBB288_1723
; %bb.1722:
	v_cmp_ne_u16_e64 s0, 11, v7
	s_mov_b32 s6, -1
.LBB288_1723:
	s_delay_alu instid0(VALU_DEP_1)
	s_and_b32 vcc_lo, exec_lo, s0
	s_cbranch_vccnz .LBB288_2023
; %bb.1724:
	s_and_not1_b32 vcc_lo, exec_lo, s6
	s_cbranch_vccnz .LBB288_1726
.LBB288_1725:
	v_cmp_ne_u16_e32 vcc_lo, 0, v8
	s_mov_b32 s7, -1
	v_cndmask_b32_e64 v5, 0, 1, vcc_lo
	global_store_b8 v[3:4], v5, off
.LBB288_1726:
	s_mov_b32 s0, 0
	s_branch .LBB288_1728
.LBB288_1727:
	s_mov_b32 s0, -1
	s_mov_b32 s7, 0
.LBB288_1728:
	s_and_b32 vcc_lo, exec_lo, s0
	s_cbranch_vccz .LBB288_1767
; %bb.1729:
	v_cmp_gt_i16_e32 vcc_lo, 5, v7
	s_mov_b32 s0, -1
	s_cbranch_vccnz .LBB288_1750
; %bb.1730:
	v_cmp_gt_i16_e32 vcc_lo, 8, v7
	s_cbranch_vccnz .LBB288_1740
; %bb.1731:
	v_cmp_gt_i16_e32 vcc_lo, 9, v7
	s_cbranch_vccnz .LBB288_1737
; %bb.1732:
	v_cmp_lt_i16_e32 vcc_lo, 9, v7
	s_cbranch_vccz .LBB288_1734
; %bb.1733:
	v_bfe_i32 v5, v8, 0, 16
	v_mov_b32_e32 v11, 0
	s_mov_b32 s0, 0
	s_delay_alu instid0(VALU_DEP_2) | instskip(NEXT) | instid1(VALU_DEP_2)
	v_cvt_f64_i32_e32 v[9:10], v5
	v_mov_b32_e32 v12, v11
	global_store_b128 v[3:4], v[9:12], off
.LBB288_1734:
	s_and_not1_b32 vcc_lo, exec_lo, s0
	s_cbranch_vccnz .LBB288_1736
; %bb.1735:
	v_bfe_i32 v5, v8, 0, 16
	v_mov_b32_e32 v6, 0
	s_delay_alu instid0(VALU_DEP_2)
	v_cvt_f32_i32_e32 v5, v5
	global_store_b64 v[3:4], v[5:6], off
.LBB288_1736:
	s_mov_b32 s0, 0
.LBB288_1737:
	s_delay_alu instid0(SALU_CYCLE_1)
	s_and_not1_b32 vcc_lo, exec_lo, s0
	s_cbranch_vccnz .LBB288_1739
; %bb.1738:
	v_cvt_f16_i16_e32 v5, v8
	s_delay_alu instid0(VALU_DEP_1)
	v_and_b32_e32 v5, 0xffff, v5
	global_store_b32 v[3:4], v5, off
.LBB288_1739:
	s_mov_b32 s0, 0
.LBB288_1740:
	s_delay_alu instid0(SALU_CYCLE_1)
	s_and_not1_b32 vcc_lo, exec_lo, s0
	s_cbranch_vccnz .LBB288_1749
; %bb.1741:
	v_cmp_gt_i16_e32 vcc_lo, 6, v7
	s_mov_b32 s0, -1
	s_cbranch_vccnz .LBB288_1747
; %bb.1742:
	v_cmp_lt_i16_e32 vcc_lo, 6, v7
	s_cbranch_vccz .LBB288_1744
; %bb.1743:
	v_bfe_i32 v5, v8, 0, 16
	s_mov_b32 s0, 0
	s_delay_alu instid0(VALU_DEP_1)
	v_cvt_f64_i32_e32 v[5:6], v5
	global_store_b64 v[3:4], v[5:6], off
.LBB288_1744:
	s_and_not1_b32 vcc_lo, exec_lo, s0
	s_cbranch_vccnz .LBB288_1746
; %bb.1745:
	v_bfe_i32 v5, v8, 0, 16
	s_delay_alu instid0(VALU_DEP_1)
	v_cvt_f32_i32_e32 v5, v5
	global_store_b32 v[3:4], v5, off
.LBB288_1746:
	s_mov_b32 s0, 0
.LBB288_1747:
	s_delay_alu instid0(SALU_CYCLE_1)
	s_and_not1_b32 vcc_lo, exec_lo, s0
	s_cbranch_vccnz .LBB288_1749
; %bb.1748:
	v_cvt_f16_i16_e32 v5, v8
	global_store_b16 v[3:4], v5, off
.LBB288_1749:
	s_mov_b32 s0, 0
.LBB288_1750:
	s_delay_alu instid0(SALU_CYCLE_1)
	s_and_not1_b32 vcc_lo, exec_lo, s0
	s_cbranch_vccnz .LBB288_1766
; %bb.1751:
	v_cmp_gt_i16_e32 vcc_lo, 2, v7
	s_mov_b32 s0, -1
	s_cbranch_vccnz .LBB288_1761
; %bb.1752:
	v_cmp_gt_i16_e32 vcc_lo, 3, v7
	s_cbranch_vccnz .LBB288_1758
; %bb.1753:
	v_cmp_lt_i16_e32 vcc_lo, 3, v7
	v_bfe_i32 v5, v8, 0, 16
	s_cbranch_vccz .LBB288_1755
; %bb.1754:
	s_delay_alu instid0(VALU_DEP_1)
	v_ashrrev_i32_e32 v6, 31, v5
	s_mov_b32 s0, 0
	global_store_b64 v[3:4], v[5:6], off
.LBB288_1755:
	s_and_not1_b32 vcc_lo, exec_lo, s0
	s_cbranch_vccnz .LBB288_1757
; %bb.1756:
	global_store_b32 v[3:4], v5, off
.LBB288_1757:
	s_mov_b32 s0, 0
.LBB288_1758:
	s_delay_alu instid0(SALU_CYCLE_1)
	s_and_not1_b32 vcc_lo, exec_lo, s0
	s_cbranch_vccnz .LBB288_1760
; %bb.1759:
	global_store_b16 v[3:4], v8, off
.LBB288_1760:
	s_mov_b32 s0, 0
.LBB288_1761:
	s_delay_alu instid0(SALU_CYCLE_1)
	s_and_not1_b32 vcc_lo, exec_lo, s0
	s_cbranch_vccnz .LBB288_1766
; %bb.1762:
	v_cmp_lt_i16_e32 vcc_lo, 0, v7
	s_mov_b32 s0, -1
	s_cbranch_vccz .LBB288_1764
; %bb.1763:
	s_mov_b32 s0, 0
	global_store_b8 v[3:4], v8, off
.LBB288_1764:
	s_and_not1_b32 vcc_lo, exec_lo, s0
	s_cbranch_vccnz .LBB288_1766
; %bb.1765:
	global_store_b8 v[3:4], v8, off
.LBB288_1766:
	s_mov_b32 s7, -1
.LBB288_1767:
	s_delay_alu instid0(SALU_CYCLE_1)
	s_and_not1_b32 vcc_lo, exec_lo, s7
	s_cbranch_vccnz .LBB288_1963
; %bb.1768:
	v_bfe_i32 v2, v2, 0, 8
	v_add_nc_u32_e32 v5, s2, v1
	v_cmp_gt_i16_e32 vcc_lo, 11, v7
	s_delay_alu instid0(VALU_DEP_3) | instskip(NEXT) | instid1(VALU_DEP_3)
	v_max_i16 v1, v2, s3
	v_ashrrev_i32_e32 v2, 31, v5
	s_delay_alu instid0(VALU_DEP_2) | instskip(SKIP_1) | instid1(VALU_DEP_1)
	v_min_i16 v6, v1, s1
	v_add_co_u32 v1, s0, s4, v5
	v_add_co_ci_u32_e64 v2, s0, s5, v2, s0
	s_cbranch_vccnz .LBB288_1846
; %bb.1769:
	v_cmp_lt_i16_e32 vcc_lo, 25, v7
	s_mov_b32 s8, -1
	s_mov_b32 s6, 0
	s_mov_b32 s7, 0
	;; [unrolled: 1-line block ×3, first 2 shown]
	s_cbranch_vccz .LBB288_1802
; %bb.1770:
	v_cmp_lt_i16_e32 vcc_lo, 28, v7
	s_cbranch_vccz .LBB288_1785
; %bb.1771:
	v_cmp_lt_i16_e32 vcc_lo, 43, v7
	;; [unrolled: 3-line block ×3, first 2 shown]
	s_cbranch_vccz .LBB288_1775
; %bb.1773:
	v_cmp_eq_u16_e32 vcc_lo, 46, v7
	s_mov_b32 s0, -1
	s_mov_b32 s8, 0
	s_cbranch_vccz .LBB288_1775
; %bb.1774:
	v_bfe_i32 v3, v6, 0, 16
	s_mov_b32 s0, 0
	s_mov_b32 s7, -1
	s_delay_alu instid0(VALU_DEP_1) | instskip(NEXT) | instid1(VALU_DEP_1)
	v_cvt_f32_i32_e32 v3, v3
	v_bfe_u32 v4, v3, 16, 1
	s_delay_alu instid0(VALU_DEP_1) | instskip(NEXT) | instid1(VALU_DEP_1)
	v_add3_u32 v3, v3, v4, 0x7fff
	v_lshrrev_b32_e32 v3, 16, v3
	global_store_b32 v[1:2], v3, off
.LBB288_1775:
	s_and_b32 vcc_lo, exec_lo, s8
	s_cbranch_vccz .LBB288_1780
; %bb.1776:
	v_cmp_eq_u16_e32 vcc_lo, 44, v7
	s_mov_b32 s0, -1
	s_cbranch_vccz .LBB288_1780
; %bb.1777:
	v_bfe_i32 v3, v6, 0, 16
	v_mov_b32_e32 v4, 0xff
	s_mov_b32 s7, exec_lo
	s_delay_alu instid0(VALU_DEP_2) | instskip(NEXT) | instid1(VALU_DEP_1)
	v_cvt_f32_i32_e32 v3, v3
	v_bfe_u32 v8, v3, 23, 8
	s_delay_alu instid0(VALU_DEP_1)
	v_cmpx_ne_u32_e32 0xff, v8
; %bb.1778:
	v_and_b32_e32 v4, 0x400000, v3
	v_and_or_b32 v8, 0x3fffff, v3, v8
	v_lshrrev_b32_e32 v3, 23, v3
	s_delay_alu instid0(VALU_DEP_3) | instskip(NEXT) | instid1(VALU_DEP_3)
	v_cmp_ne_u32_e32 vcc_lo, 0, v4
	v_cmp_ne_u32_e64 s0, 0, v8
	s_delay_alu instid0(VALU_DEP_1) | instskip(NEXT) | instid1(SALU_CYCLE_1)
	s_and_b32 s0, vcc_lo, s0
	v_cndmask_b32_e64 v4, 0, 1, s0
	s_delay_alu instid0(VALU_DEP_1)
	v_add_nc_u32_e32 v4, v3, v4
; %bb.1779:
	s_or_b32 exec_lo, exec_lo, s7
	s_mov_b32 s0, 0
	s_mov_b32 s7, -1
	global_store_b8 v[1:2], v4, off
.LBB288_1780:
	s_mov_b32 s8, 0
.LBB288_1781:
	s_delay_alu instid0(SALU_CYCLE_1)
	s_and_b32 vcc_lo, exec_lo, s8
	s_cbranch_vccz .LBB288_1784
; %bb.1782:
	v_cmp_eq_u16_e32 vcc_lo, 29, v7
	s_mov_b32 s0, -1
	s_cbranch_vccz .LBB288_1784
; %bb.1783:
	v_bfe_i32 v3, v6, 0, 16
	s_mov_b32 s0, 0
	s_mov_b32 s7, -1
	s_delay_alu instid0(VALU_DEP_1)
	v_ashrrev_i32_e32 v4, 31, v3
	global_store_b64 v[1:2], v[3:4], off
.LBB288_1784:
	s_mov_b32 s8, 0
.LBB288_1785:
	s_delay_alu instid0(SALU_CYCLE_1)
	s_and_b32 vcc_lo, exec_lo, s8
	s_cbranch_vccz .LBB288_1801
; %bb.1786:
	v_cmp_gt_i16_e32 vcc_lo, 27, v7
	s_mov_b32 s7, -1
	s_cbranch_vccnz .LBB288_1792
; %bb.1787:
	v_cmp_lt_i16_e32 vcc_lo, 27, v7
	s_cbranch_vccz .LBB288_1789
; %bb.1788:
	v_bfe_i32 v3, v6, 0, 16
	s_mov_b32 s7, 0
	global_store_b32 v[1:2], v3, off
.LBB288_1789:
	s_and_not1_b32 vcc_lo, exec_lo, s7
	s_cbranch_vccnz .LBB288_1791
; %bb.1790:
	global_store_b16 v[1:2], v6, off
.LBB288_1791:
	s_mov_b32 s7, 0
.LBB288_1792:
	s_delay_alu instid0(SALU_CYCLE_1)
	s_and_not1_b32 vcc_lo, exec_lo, s7
	s_cbranch_vccnz .LBB288_1800
; %bb.1793:
	v_bfe_i32 v3, v6, 0, 16
	v_mov_b32_e32 v8, 0x80
	s_mov_b32 s7, exec_lo
	s_delay_alu instid0(VALU_DEP_2) | instskip(NEXT) | instid1(VALU_DEP_1)
	v_cvt_f32_i32_e32 v3, v3
	v_and_b32_e32 v4, 0x7fffffff, v3
	s_delay_alu instid0(VALU_DEP_1)
	v_cmpx_gt_u32_e32 0x43800000, v4
	s_cbranch_execz .LBB288_1799
; %bb.1794:
	v_cmp_lt_u32_e32 vcc_lo, 0x3bffffff, v4
	s_mov_b32 s8, 0
                                        ; implicit-def: $vgpr4
	s_and_saveexec_b32 s9, vcc_lo
	s_delay_alu instid0(SALU_CYCLE_1)
	s_xor_b32 s9, exec_lo, s9
	s_cbranch_execz .LBB288_2027
; %bb.1795:
	v_bfe_u32 v4, v3, 20, 1
	s_mov_b32 s8, exec_lo
	s_delay_alu instid0(VALU_DEP_1) | instskip(NEXT) | instid1(VALU_DEP_1)
	v_add3_u32 v4, v3, v4, 0x487ffff
	v_lshrrev_b32_e32 v4, 20, v4
	s_or_saveexec_b32 s9, s9
                                        ; implicit-def: $sgpr10
	s_delay_alu instid0(SALU_CYCLE_1)
	s_xor_b32 exec_lo, exec_lo, s9
	s_cbranch_execnz .LBB288_2028
.LBB288_1796:
	s_or_b32 exec_lo, exec_lo, s9
	v_mov_b32_e32 v8, s10
	s_and_saveexec_b32 s9, s8
.LBB288_1797:
	v_lshrrev_b32_e32 v3, 24, v3
	s_delay_alu instid0(VALU_DEP_1)
	v_and_or_b32 v8, 0x80, v3, v4
.LBB288_1798:
	s_or_b32 exec_lo, exec_lo, s9
.LBB288_1799:
	s_delay_alu instid0(SALU_CYCLE_1)
	s_or_b32 exec_lo, exec_lo, s7
	global_store_b8 v[1:2], v8, off
.LBB288_1800:
	s_mov_b32 s7, -1
.LBB288_1801:
	s_mov_b32 s8, 0
.LBB288_1802:
	s_delay_alu instid0(SALU_CYCLE_1)
	s_and_b32 vcc_lo, exec_lo, s8
	s_cbranch_vccz .LBB288_1842
; %bb.1803:
	v_cmp_lt_i16_e32 vcc_lo, 22, v7
	s_mov_b32 s6, -1
	s_cbranch_vccz .LBB288_1835
; %bb.1804:
	v_cmp_gt_i16_e32 vcc_lo, 24, v7
	s_cbranch_vccnz .LBB288_1824
; %bb.1805:
	v_cmp_lt_i16_e32 vcc_lo, 24, v7
	s_cbranch_vccz .LBB288_1813
; %bb.1806:
	v_bfe_i32 v3, v6, 0, 16
	v_mov_b32_e32 v8, 0x80
	s_mov_b32 s6, exec_lo
	s_delay_alu instid0(VALU_DEP_2) | instskip(NEXT) | instid1(VALU_DEP_1)
	v_cvt_f32_i32_e32 v3, v3
	v_and_b32_e32 v4, 0x7fffffff, v3
	s_delay_alu instid0(VALU_DEP_1)
	v_cmpx_gt_u32_e32 0x47800000, v4
	s_cbranch_execz .LBB288_1812
; %bb.1807:
	v_cmp_lt_u32_e32 vcc_lo, 0x37ffffff, v4
	s_mov_b32 s7, 0
                                        ; implicit-def: $vgpr4
	s_and_saveexec_b32 s8, vcc_lo
	s_delay_alu instid0(SALU_CYCLE_1)
	s_xor_b32 s8, exec_lo, s8
	s_cbranch_execz .LBB288_2033
; %bb.1808:
	v_bfe_u32 v4, v3, 21, 1
	s_mov_b32 s7, exec_lo
	s_delay_alu instid0(VALU_DEP_1) | instskip(NEXT) | instid1(VALU_DEP_1)
	v_add3_u32 v4, v3, v4, 0x88fffff
	v_lshrrev_b32_e32 v4, 21, v4
	s_or_saveexec_b32 s8, s8
                                        ; implicit-def: $sgpr9
	s_delay_alu instid0(SALU_CYCLE_1)
	s_xor_b32 exec_lo, exec_lo, s8
	s_cbranch_execnz .LBB288_2034
.LBB288_1809:
	s_or_b32 exec_lo, exec_lo, s8
	v_mov_b32_e32 v8, s9
	s_and_saveexec_b32 s8, s7
.LBB288_1810:
	v_lshrrev_b32_e32 v3, 24, v3
	s_delay_alu instid0(VALU_DEP_1)
	v_and_or_b32 v8, 0x80, v3, v4
.LBB288_1811:
	s_or_b32 exec_lo, exec_lo, s8
.LBB288_1812:
	s_delay_alu instid0(SALU_CYCLE_1)
	s_or_b32 exec_lo, exec_lo, s6
	s_mov_b32 s6, 0
	global_store_b8 v[1:2], v8, off
.LBB288_1813:
	s_and_b32 vcc_lo, exec_lo, s6
	s_cbranch_vccz .LBB288_1823
; %bb.1814:
	v_bfe_i32 v3, v6, 0, 16
	s_mov_b32 s6, exec_lo
                                        ; implicit-def: $vgpr4
	s_delay_alu instid0(VALU_DEP_1) | instskip(NEXT) | instid1(VALU_DEP_1)
	v_cvt_f32_i32_e32 v3, v3
	v_and_b32_e32 v8, 0x7fffffff, v3
	s_delay_alu instid0(VALU_DEP_1)
	v_cmpx_gt_u32_e32 0x43f00000, v8
	s_xor_b32 s6, exec_lo, s6
	s_cbranch_execz .LBB288_1820
; %bb.1815:
	s_mov_b32 s7, exec_lo
                                        ; implicit-def: $vgpr4
	v_cmpx_lt_u32_e32 0x3c7fffff, v8
	s_xor_b32 s7, exec_lo, s7
; %bb.1816:
	v_bfe_u32 v4, v3, 20, 1
	s_delay_alu instid0(VALU_DEP_1) | instskip(NEXT) | instid1(VALU_DEP_1)
	v_add3_u32 v4, v3, v4, 0x407ffff
	v_and_b32_e32 v8, 0xff00000, v4
	v_lshrrev_b32_e32 v4, 20, v4
	s_delay_alu instid0(VALU_DEP_2) | instskip(NEXT) | instid1(VALU_DEP_2)
	v_cmp_ne_u32_e32 vcc_lo, 0x7f00000, v8
	v_cndmask_b32_e32 v4, 0x7e, v4, vcc_lo
; %bb.1817:
	s_and_not1_saveexec_b32 s7, s7
; %bb.1818:
	v_add_f32_e64 v4, 0x46800000, |v3|
; %bb.1819:
	s_or_b32 exec_lo, exec_lo, s7
                                        ; implicit-def: $vgpr8
.LBB288_1820:
	s_and_not1_saveexec_b32 s6, s6
; %bb.1821:
	v_mov_b32_e32 v4, 0x7f
	v_cmp_lt_u32_e32 vcc_lo, 0x7f800000, v8
	s_delay_alu instid0(VALU_DEP_2)
	v_cndmask_b32_e32 v4, 0x7e, v4, vcc_lo
; %bb.1822:
	s_or_b32 exec_lo, exec_lo, s6
	v_lshrrev_b32_e32 v3, 24, v3
	s_delay_alu instid0(VALU_DEP_1)
	v_and_or_b32 v3, 0x80, v3, v4
	global_store_b8 v[1:2], v3, off
.LBB288_1823:
	s_mov_b32 s6, 0
.LBB288_1824:
	s_delay_alu instid0(SALU_CYCLE_1)
	s_and_not1_b32 vcc_lo, exec_lo, s6
	s_cbranch_vccnz .LBB288_1834
; %bb.1825:
	v_bfe_i32 v3, v6, 0, 16
	s_mov_b32 s6, exec_lo
                                        ; implicit-def: $vgpr4
	s_delay_alu instid0(VALU_DEP_1) | instskip(NEXT) | instid1(VALU_DEP_1)
	v_cvt_f32_i32_e32 v3, v3
	v_and_b32_e32 v8, 0x7fffffff, v3
	s_delay_alu instid0(VALU_DEP_1)
	v_cmpx_gt_u32_e32 0x47800000, v8
	s_xor_b32 s6, exec_lo, s6
	s_cbranch_execz .LBB288_1831
; %bb.1826:
	s_mov_b32 s7, exec_lo
                                        ; implicit-def: $vgpr4
	v_cmpx_lt_u32_e32 0x387fffff, v8
	s_xor_b32 s7, exec_lo, s7
; %bb.1827:
	v_bfe_u32 v4, v3, 21, 1
	s_delay_alu instid0(VALU_DEP_1) | instskip(NEXT) | instid1(VALU_DEP_1)
	v_add3_u32 v4, v3, v4, 0x80fffff
	v_lshrrev_b32_e32 v4, 21, v4
; %bb.1828:
	s_and_not1_saveexec_b32 s7, s7
; %bb.1829:
	v_add_f32_e64 v4, 0x43000000, |v3|
; %bb.1830:
	s_or_b32 exec_lo, exec_lo, s7
                                        ; implicit-def: $vgpr8
.LBB288_1831:
	s_and_not1_saveexec_b32 s6, s6
; %bb.1832:
	v_mov_b32_e32 v4, 0x7f
	v_cmp_lt_u32_e32 vcc_lo, 0x7f800000, v8
	s_delay_alu instid0(VALU_DEP_2)
	v_cndmask_b32_e32 v4, 0x7c, v4, vcc_lo
; %bb.1833:
	s_or_b32 exec_lo, exec_lo, s6
	v_lshrrev_b32_e32 v3, 24, v3
	s_delay_alu instid0(VALU_DEP_1)
	v_and_or_b32 v3, 0x80, v3, v4
	global_store_b8 v[1:2], v3, off
.LBB288_1834:
	s_mov_b32 s6, 0
	s_mov_b32 s7, -1
.LBB288_1835:
	s_and_not1_b32 vcc_lo, exec_lo, s6
	s_mov_b32 s6, 0
	s_cbranch_vccnz .LBB288_1842
; %bb.1836:
	v_cmp_lt_i16_e32 vcc_lo, 14, v7
	s_mov_b32 s6, -1
	s_cbranch_vccz .LBB288_1840
; %bb.1837:
	v_cmp_eq_u16_e32 vcc_lo, 15, v7
	s_mov_b32 s0, -1
	s_cbranch_vccz .LBB288_1839
; %bb.1838:
	v_bfe_i32 v3, v6, 0, 16
	s_mov_b32 s0, 0
	s_mov_b32 s7, -1
	s_delay_alu instid0(VALU_DEP_1) | instskip(NEXT) | instid1(VALU_DEP_1)
	v_cvt_f32_i32_e32 v3, v3
	v_bfe_u32 v4, v3, 16, 1
	s_delay_alu instid0(VALU_DEP_1)
	v_add3_u32 v3, v3, v4, 0x7fff
	global_store_d16_hi_b16 v[1:2], v3, off
.LBB288_1839:
	s_mov_b32 s6, 0
.LBB288_1840:
	s_delay_alu instid0(SALU_CYCLE_1)
	s_and_b32 vcc_lo, exec_lo, s6
	s_mov_b32 s6, 0
	s_cbranch_vccz .LBB288_1842
; %bb.1841:
	v_cmp_ne_u16_e64 s0, 11, v7
	s_mov_b32 s6, -1
.LBB288_1842:
	s_delay_alu instid0(VALU_DEP_1)
	s_and_b32 vcc_lo, exec_lo, s0
	s_cbranch_vccnz .LBB288_2031
; %bb.1843:
	s_and_not1_b32 vcc_lo, exec_lo, s6
	s_cbranch_vccnz .LBB288_1845
.LBB288_1844:
	v_cmp_ne_u16_e32 vcc_lo, 0, v6
	s_mov_b32 s7, -1
	v_cndmask_b32_e64 v3, 0, 1, vcc_lo
	global_store_b8 v[1:2], v3, off
.LBB288_1845:
	s_mov_b32 s0, 0
	s_branch .LBB288_1847
.LBB288_1846:
	s_mov_b32 s0, -1
	s_mov_b32 s7, 0
.LBB288_1847:
	s_and_b32 vcc_lo, exec_lo, s0
	s_cbranch_vccz .LBB288_1886
; %bb.1848:
	v_cmp_gt_i16_e32 vcc_lo, 5, v7
	s_mov_b32 s0, -1
	s_cbranch_vccnz .LBB288_1869
; %bb.1849:
	v_cmp_gt_i16_e32 vcc_lo, 8, v7
	s_cbranch_vccnz .LBB288_1859
; %bb.1850:
	v_cmp_gt_i16_e32 vcc_lo, 9, v7
	s_cbranch_vccnz .LBB288_1856
; %bb.1851:
	v_cmp_lt_i16_e32 vcc_lo, 9, v7
	s_cbranch_vccz .LBB288_1853
; %bb.1852:
	v_bfe_i32 v3, v6, 0, 16
	v_mov_b32_e32 v10, 0
	s_mov_b32 s0, 0
	s_delay_alu instid0(VALU_DEP_2) | instskip(NEXT) | instid1(VALU_DEP_2)
	v_cvt_f64_i32_e32 v[8:9], v3
	v_mov_b32_e32 v11, v10
	global_store_b128 v[1:2], v[8:11], off
.LBB288_1853:
	s_and_not1_b32 vcc_lo, exec_lo, s0
	s_cbranch_vccnz .LBB288_1855
; %bb.1854:
	v_bfe_i32 v3, v6, 0, 16
	v_mov_b32_e32 v4, 0
	s_delay_alu instid0(VALU_DEP_2)
	v_cvt_f32_i32_e32 v3, v3
	global_store_b64 v[1:2], v[3:4], off
.LBB288_1855:
	s_mov_b32 s0, 0
.LBB288_1856:
	s_delay_alu instid0(SALU_CYCLE_1)
	s_and_not1_b32 vcc_lo, exec_lo, s0
	s_cbranch_vccnz .LBB288_1858
; %bb.1857:
	v_cvt_f16_i16_e32 v3, v6
	s_delay_alu instid0(VALU_DEP_1)
	v_and_b32_e32 v3, 0xffff, v3
	global_store_b32 v[1:2], v3, off
.LBB288_1858:
	s_mov_b32 s0, 0
.LBB288_1859:
	s_delay_alu instid0(SALU_CYCLE_1)
	s_and_not1_b32 vcc_lo, exec_lo, s0
	s_cbranch_vccnz .LBB288_1868
; %bb.1860:
	v_cmp_gt_i16_e32 vcc_lo, 6, v7
	s_mov_b32 s0, -1
	s_cbranch_vccnz .LBB288_1866
; %bb.1861:
	v_cmp_lt_i16_e32 vcc_lo, 6, v7
	s_cbranch_vccz .LBB288_1863
; %bb.1862:
	v_bfe_i32 v3, v6, 0, 16
	s_mov_b32 s0, 0
	s_delay_alu instid0(VALU_DEP_1)
	v_cvt_f64_i32_e32 v[3:4], v3
	global_store_b64 v[1:2], v[3:4], off
.LBB288_1863:
	s_and_not1_b32 vcc_lo, exec_lo, s0
	s_cbranch_vccnz .LBB288_1865
; %bb.1864:
	v_bfe_i32 v3, v6, 0, 16
	s_delay_alu instid0(VALU_DEP_1)
	v_cvt_f32_i32_e32 v3, v3
	global_store_b32 v[1:2], v3, off
.LBB288_1865:
	s_mov_b32 s0, 0
.LBB288_1866:
	s_delay_alu instid0(SALU_CYCLE_1)
	s_and_not1_b32 vcc_lo, exec_lo, s0
	s_cbranch_vccnz .LBB288_1868
; %bb.1867:
	v_cvt_f16_i16_e32 v3, v6
	global_store_b16 v[1:2], v3, off
.LBB288_1868:
	s_mov_b32 s0, 0
.LBB288_1869:
	s_delay_alu instid0(SALU_CYCLE_1)
	s_and_not1_b32 vcc_lo, exec_lo, s0
	s_cbranch_vccnz .LBB288_1885
; %bb.1870:
	v_cmp_gt_i16_e32 vcc_lo, 2, v7
	s_mov_b32 s0, -1
	s_cbranch_vccnz .LBB288_1880
; %bb.1871:
	v_cmp_gt_i16_e32 vcc_lo, 3, v7
	s_cbranch_vccnz .LBB288_1877
; %bb.1872:
	v_cmp_lt_i16_e32 vcc_lo, 3, v7
	v_bfe_i32 v3, v6, 0, 16
	s_cbranch_vccz .LBB288_1874
; %bb.1873:
	s_delay_alu instid0(VALU_DEP_1)
	v_ashrrev_i32_e32 v4, 31, v3
	s_mov_b32 s0, 0
	global_store_b64 v[1:2], v[3:4], off
.LBB288_1874:
	s_and_not1_b32 vcc_lo, exec_lo, s0
	s_cbranch_vccnz .LBB288_1876
; %bb.1875:
	global_store_b32 v[1:2], v3, off
.LBB288_1876:
	s_mov_b32 s0, 0
.LBB288_1877:
	s_delay_alu instid0(SALU_CYCLE_1)
	s_and_not1_b32 vcc_lo, exec_lo, s0
	s_cbranch_vccnz .LBB288_1879
; %bb.1878:
	global_store_b16 v[1:2], v6, off
.LBB288_1879:
	s_mov_b32 s0, 0
.LBB288_1880:
	s_delay_alu instid0(SALU_CYCLE_1)
	s_and_not1_b32 vcc_lo, exec_lo, s0
	s_cbranch_vccnz .LBB288_1885
; %bb.1881:
	v_cmp_lt_i16_e32 vcc_lo, 0, v7
	s_mov_b32 s0, -1
	s_cbranch_vccz .LBB288_1883
; %bb.1882:
	s_mov_b32 s0, 0
	global_store_b8 v[1:2], v6, off
.LBB288_1883:
	s_and_not1_b32 vcc_lo, exec_lo, s0
	s_cbranch_vccnz .LBB288_1885
; %bb.1884:
	global_store_b8 v[1:2], v6, off
.LBB288_1885:
	s_mov_b32 s7, -1
.LBB288_1886:
	s_delay_alu instid0(SALU_CYCLE_1)
	s_and_not1_b32 vcc_lo, exec_lo, s7
	s_cbranch_vccnz .LBB288_1963
; %bb.1887:
	v_bfe_i32 v0, v0, 0, 8
	v_add_nc_u32_e32 v1, s2, v5
	v_cmp_gt_i16_e32 vcc_lo, 11, v7
	s_delay_alu instid0(VALU_DEP_3) | instskip(NEXT) | instid1(VALU_DEP_3)
	v_max_i16 v0, v0, s3
	v_ashrrev_i32_e32 v3, 31, v1
	s_delay_alu instid0(VALU_DEP_2) | instskip(SKIP_1) | instid1(VALU_DEP_1)
	v_min_i16 v2, v0, s1
	v_add_co_u32 v0, s0, s4, v1
	v_add_co_ci_u32_e64 v1, s0, s5, v3, s0
	s_cbranch_vccnz .LBB288_2008
; %bb.1888:
	v_cmp_lt_i16_e32 vcc_lo, 25, v7
	s_mov_b32 s2, -1
	s_mov_b32 s1, 0
	s_mov_b32 s0, 0
	s_cbranch_vccz .LBB288_1921
; %bb.1889:
	v_cmp_lt_i16_e32 vcc_lo, 28, v7
	s_cbranch_vccz .LBB288_1905
; %bb.1890:
	v_cmp_lt_i16_e32 vcc_lo, 43, v7
	;; [unrolled: 3-line block ×3, first 2 shown]
	s_cbranch_vccz .LBB288_1895
; %bb.1892:
	v_cmp_eq_u16_e32 vcc_lo, 46, v7
	s_mov_b32 s0, -1
	s_cbranch_vccz .LBB288_1894
; %bb.1893:
	v_bfe_i32 v3, v2, 0, 16
	s_mov_b32 s0, 0
	s_delay_alu instid0(VALU_DEP_1) | instskip(NEXT) | instid1(VALU_DEP_1)
	v_cvt_f32_i32_e32 v3, v3
	v_bfe_u32 v4, v3, 16, 1
	s_delay_alu instid0(VALU_DEP_1) | instskip(NEXT) | instid1(VALU_DEP_1)
	v_add3_u32 v3, v3, v4, 0x7fff
	v_lshrrev_b32_e32 v3, 16, v3
	global_store_b32 v[0:1], v3, off
.LBB288_1894:
	s_mov_b32 s2, 0
.LBB288_1895:
	s_delay_alu instid0(SALU_CYCLE_1)
	s_and_b32 vcc_lo, exec_lo, s2
	s_cbranch_vccz .LBB288_1900
; %bb.1896:
	v_cmp_eq_u16_e32 vcc_lo, 44, v7
	s_mov_b32 s0, -1
	s_cbranch_vccz .LBB288_1900
; %bb.1897:
	v_bfe_i32 v3, v2, 0, 16
	v_mov_b32_e32 v4, 0xff
	s_mov_b32 s2, exec_lo
	s_delay_alu instid0(VALU_DEP_2) | instskip(NEXT) | instid1(VALU_DEP_1)
	v_cvt_f32_i32_e32 v3, v3
	v_bfe_u32 v5, v3, 23, 8
	s_delay_alu instid0(VALU_DEP_1)
	v_cmpx_ne_u32_e32 0xff, v5
; %bb.1898:
	v_and_b32_e32 v4, 0x400000, v3
	v_and_or_b32 v5, 0x3fffff, v3, v5
	v_lshrrev_b32_e32 v3, 23, v3
	s_delay_alu instid0(VALU_DEP_3) | instskip(NEXT) | instid1(VALU_DEP_3)
	v_cmp_ne_u32_e32 vcc_lo, 0, v4
	v_cmp_ne_u32_e64 s0, 0, v5
	s_delay_alu instid0(VALU_DEP_1) | instskip(NEXT) | instid1(SALU_CYCLE_1)
	s_and_b32 s0, vcc_lo, s0
	v_cndmask_b32_e64 v4, 0, 1, s0
	s_delay_alu instid0(VALU_DEP_1)
	v_add_nc_u32_e32 v4, v3, v4
; %bb.1899:
	s_or_b32 exec_lo, exec_lo, s2
	s_mov_b32 s0, 0
	global_store_b8 v[0:1], v4, off
.LBB288_1900:
	s_mov_b32 s2, 0
.LBB288_1901:
	s_delay_alu instid0(SALU_CYCLE_1)
	s_and_b32 vcc_lo, exec_lo, s2
	s_cbranch_vccz .LBB288_1904
; %bb.1902:
	v_cmp_eq_u16_e32 vcc_lo, 29, v7
	s_mov_b32 s0, -1
	s_cbranch_vccz .LBB288_1904
; %bb.1903:
	v_bfe_i32 v3, v2, 0, 16
	s_mov_b32 s0, 0
	s_delay_alu instid0(VALU_DEP_1)
	v_ashrrev_i32_e32 v4, 31, v3
	global_store_b64 v[0:1], v[3:4], off
.LBB288_1904:
	s_mov_b32 s2, 0
.LBB288_1905:
	s_delay_alu instid0(SALU_CYCLE_1)
	s_and_b32 vcc_lo, exec_lo, s2
	s_cbranch_vccz .LBB288_1920
; %bb.1906:
	v_cmp_gt_i16_e32 vcc_lo, 27, v7
	s_mov_b32 s2, -1
	s_cbranch_vccnz .LBB288_1912
; %bb.1907:
	v_cmp_lt_i16_e32 vcc_lo, 27, v7
	s_cbranch_vccz .LBB288_1909
; %bb.1908:
	v_bfe_i32 v3, v2, 0, 16
	s_mov_b32 s2, 0
	global_store_b32 v[0:1], v3, off
.LBB288_1909:
	s_and_not1_b32 vcc_lo, exec_lo, s2
	s_cbranch_vccnz .LBB288_1911
; %bb.1910:
	global_store_b16 v[0:1], v2, off
.LBB288_1911:
	s_mov_b32 s2, 0
.LBB288_1912:
	s_delay_alu instid0(SALU_CYCLE_1)
	s_and_not1_b32 vcc_lo, exec_lo, s2
	s_cbranch_vccnz .LBB288_1920
; %bb.1913:
	v_bfe_i32 v3, v2, 0, 16
	v_mov_b32_e32 v5, 0x80
	s_mov_b32 s2, exec_lo
	s_delay_alu instid0(VALU_DEP_2) | instskip(NEXT) | instid1(VALU_DEP_1)
	v_cvt_f32_i32_e32 v3, v3
	v_and_b32_e32 v4, 0x7fffffff, v3
	s_delay_alu instid0(VALU_DEP_1)
	v_cmpx_gt_u32_e32 0x43800000, v4
	s_cbranch_execz .LBB288_1919
; %bb.1914:
	v_cmp_lt_u32_e32 vcc_lo, 0x3bffffff, v4
	s_mov_b32 s3, 0
                                        ; implicit-def: $vgpr4
	s_and_saveexec_b32 s4, vcc_lo
	s_delay_alu instid0(SALU_CYCLE_1)
	s_xor_b32 s4, exec_lo, s4
	s_cbranch_execz .LBB288_2035
; %bb.1915:
	v_bfe_u32 v4, v3, 20, 1
	s_mov_b32 s3, exec_lo
	s_delay_alu instid0(VALU_DEP_1) | instskip(NEXT) | instid1(VALU_DEP_1)
	v_add3_u32 v4, v3, v4, 0x487ffff
	v_lshrrev_b32_e32 v4, 20, v4
	s_or_saveexec_b32 s4, s4
                                        ; implicit-def: $sgpr5
	s_delay_alu instid0(SALU_CYCLE_1)
	s_xor_b32 exec_lo, exec_lo, s4
	s_cbranch_execnz .LBB288_2036
.LBB288_1916:
	s_or_b32 exec_lo, exec_lo, s4
	v_mov_b32_e32 v5, s5
	s_and_saveexec_b32 s4, s3
.LBB288_1917:
	v_lshrrev_b32_e32 v3, 24, v3
	s_delay_alu instid0(VALU_DEP_1)
	v_and_or_b32 v5, 0x80, v3, v4
.LBB288_1918:
	s_or_b32 exec_lo, exec_lo, s4
.LBB288_1919:
	s_delay_alu instid0(SALU_CYCLE_1)
	s_or_b32 exec_lo, exec_lo, s2
	global_store_b8 v[0:1], v5, off
.LBB288_1920:
	s_mov_b32 s2, 0
.LBB288_1921:
	s_delay_alu instid0(SALU_CYCLE_1)
	s_and_b32 vcc_lo, exec_lo, s2
	s_cbranch_vccz .LBB288_1961
; %bb.1922:
	v_cmp_lt_i16_e32 vcc_lo, 22, v7
	s_mov_b32 s1, -1
	s_cbranch_vccz .LBB288_1954
; %bb.1923:
	v_cmp_gt_i16_e32 vcc_lo, 24, v7
	s_cbranch_vccnz .LBB288_1943
; %bb.1924:
	v_cmp_lt_i16_e32 vcc_lo, 24, v7
	s_cbranch_vccz .LBB288_1932
; %bb.1925:
	v_bfe_i32 v3, v2, 0, 16
	v_mov_b32_e32 v5, 0x80
	s_mov_b32 s1, exec_lo
	s_delay_alu instid0(VALU_DEP_2) | instskip(NEXT) | instid1(VALU_DEP_1)
	v_cvt_f32_i32_e32 v3, v3
	v_and_b32_e32 v4, 0x7fffffff, v3
	s_delay_alu instid0(VALU_DEP_1)
	v_cmpx_gt_u32_e32 0x47800000, v4
	s_cbranch_execz .LBB288_1931
; %bb.1926:
	v_cmp_lt_u32_e32 vcc_lo, 0x37ffffff, v4
	s_mov_b32 s2, 0
                                        ; implicit-def: $vgpr4
	s_and_saveexec_b32 s3, vcc_lo
	s_delay_alu instid0(SALU_CYCLE_1)
	s_xor_b32 s3, exec_lo, s3
	s_cbranch_execz .LBB288_2041
; %bb.1927:
	v_bfe_u32 v4, v3, 21, 1
	s_mov_b32 s2, exec_lo
	s_delay_alu instid0(VALU_DEP_1) | instskip(NEXT) | instid1(VALU_DEP_1)
	v_add3_u32 v4, v3, v4, 0x88fffff
	v_lshrrev_b32_e32 v4, 21, v4
	s_or_saveexec_b32 s3, s3
                                        ; implicit-def: $sgpr4
	s_delay_alu instid0(SALU_CYCLE_1)
	s_xor_b32 exec_lo, exec_lo, s3
	s_cbranch_execnz .LBB288_2042
.LBB288_1928:
	s_or_b32 exec_lo, exec_lo, s3
	v_mov_b32_e32 v5, s4
	s_and_saveexec_b32 s3, s2
.LBB288_1929:
	v_lshrrev_b32_e32 v3, 24, v3
	s_delay_alu instid0(VALU_DEP_1)
	v_and_or_b32 v5, 0x80, v3, v4
.LBB288_1930:
	s_or_b32 exec_lo, exec_lo, s3
.LBB288_1931:
	s_delay_alu instid0(SALU_CYCLE_1)
	s_or_b32 exec_lo, exec_lo, s1
	s_mov_b32 s1, 0
	global_store_b8 v[0:1], v5, off
.LBB288_1932:
	s_and_b32 vcc_lo, exec_lo, s1
	s_cbranch_vccz .LBB288_1942
; %bb.1933:
	v_bfe_i32 v3, v2, 0, 16
	s_mov_b32 s1, exec_lo
                                        ; implicit-def: $vgpr4
	s_delay_alu instid0(VALU_DEP_1) | instskip(NEXT) | instid1(VALU_DEP_1)
	v_cvt_f32_i32_e32 v3, v3
	v_and_b32_e32 v5, 0x7fffffff, v3
	s_delay_alu instid0(VALU_DEP_1)
	v_cmpx_gt_u32_e32 0x43f00000, v5
	s_xor_b32 s1, exec_lo, s1
	s_cbranch_execz .LBB288_1939
; %bb.1934:
	s_mov_b32 s2, exec_lo
                                        ; implicit-def: $vgpr4
	v_cmpx_lt_u32_e32 0x3c7fffff, v5
	s_xor_b32 s2, exec_lo, s2
; %bb.1935:
	v_bfe_u32 v4, v3, 20, 1
	s_delay_alu instid0(VALU_DEP_1) | instskip(NEXT) | instid1(VALU_DEP_1)
	v_add3_u32 v4, v3, v4, 0x407ffff
	v_and_b32_e32 v5, 0xff00000, v4
	v_lshrrev_b32_e32 v4, 20, v4
	s_delay_alu instid0(VALU_DEP_2) | instskip(NEXT) | instid1(VALU_DEP_2)
	v_cmp_ne_u32_e32 vcc_lo, 0x7f00000, v5
	v_cndmask_b32_e32 v4, 0x7e, v4, vcc_lo
; %bb.1936:
	s_and_not1_saveexec_b32 s2, s2
; %bb.1937:
	v_add_f32_e64 v4, 0x46800000, |v3|
; %bb.1938:
	s_or_b32 exec_lo, exec_lo, s2
                                        ; implicit-def: $vgpr5
.LBB288_1939:
	s_and_not1_saveexec_b32 s1, s1
; %bb.1940:
	v_mov_b32_e32 v4, 0x7f
	v_cmp_lt_u32_e32 vcc_lo, 0x7f800000, v5
	s_delay_alu instid0(VALU_DEP_2)
	v_cndmask_b32_e32 v4, 0x7e, v4, vcc_lo
; %bb.1941:
	s_or_b32 exec_lo, exec_lo, s1
	v_lshrrev_b32_e32 v3, 24, v3
	s_delay_alu instid0(VALU_DEP_1)
	v_and_or_b32 v3, 0x80, v3, v4
	global_store_b8 v[0:1], v3, off
.LBB288_1942:
	s_mov_b32 s1, 0
.LBB288_1943:
	s_delay_alu instid0(SALU_CYCLE_1)
	s_and_not1_b32 vcc_lo, exec_lo, s1
	s_cbranch_vccnz .LBB288_1953
; %bb.1944:
	v_bfe_i32 v3, v2, 0, 16
	s_mov_b32 s1, exec_lo
                                        ; implicit-def: $vgpr4
	s_delay_alu instid0(VALU_DEP_1) | instskip(NEXT) | instid1(VALU_DEP_1)
	v_cvt_f32_i32_e32 v3, v3
	v_and_b32_e32 v5, 0x7fffffff, v3
	s_delay_alu instid0(VALU_DEP_1)
	v_cmpx_gt_u32_e32 0x47800000, v5
	s_xor_b32 s1, exec_lo, s1
	s_cbranch_execz .LBB288_1950
; %bb.1945:
	s_mov_b32 s2, exec_lo
                                        ; implicit-def: $vgpr4
	v_cmpx_lt_u32_e32 0x387fffff, v5
	s_xor_b32 s2, exec_lo, s2
; %bb.1946:
	v_bfe_u32 v4, v3, 21, 1
	s_delay_alu instid0(VALU_DEP_1) | instskip(NEXT) | instid1(VALU_DEP_1)
	v_add3_u32 v4, v3, v4, 0x80fffff
	v_lshrrev_b32_e32 v4, 21, v4
; %bb.1947:
	s_and_not1_saveexec_b32 s2, s2
; %bb.1948:
	v_add_f32_e64 v4, 0x43000000, |v3|
; %bb.1949:
	s_or_b32 exec_lo, exec_lo, s2
                                        ; implicit-def: $vgpr5
.LBB288_1950:
	s_and_not1_saveexec_b32 s1, s1
; %bb.1951:
	v_mov_b32_e32 v4, 0x7f
	v_cmp_lt_u32_e32 vcc_lo, 0x7f800000, v5
	s_delay_alu instid0(VALU_DEP_2)
	v_cndmask_b32_e32 v4, 0x7c, v4, vcc_lo
; %bb.1952:
	s_or_b32 exec_lo, exec_lo, s1
	v_lshrrev_b32_e32 v3, 24, v3
	s_delay_alu instid0(VALU_DEP_1)
	v_and_or_b32 v3, 0x80, v3, v4
	global_store_b8 v[0:1], v3, off
.LBB288_1953:
	s_mov_b32 s1, 0
.LBB288_1954:
	s_delay_alu instid0(SALU_CYCLE_1)
	s_and_not1_b32 vcc_lo, exec_lo, s1
	s_mov_b32 s1, 0
	s_cbranch_vccnz .LBB288_1961
; %bb.1955:
	v_cmp_lt_i16_e32 vcc_lo, 14, v7
	s_mov_b32 s1, -1
	s_cbranch_vccz .LBB288_1959
; %bb.1956:
	v_cmp_eq_u16_e32 vcc_lo, 15, v7
	s_mov_b32 s0, -1
	s_cbranch_vccz .LBB288_1958
; %bb.1957:
	v_bfe_i32 v3, v2, 0, 16
	s_mov_b32 s0, 0
	s_delay_alu instid0(VALU_DEP_1) | instskip(NEXT) | instid1(VALU_DEP_1)
	v_cvt_f32_i32_e32 v3, v3
	v_bfe_u32 v4, v3, 16, 1
	s_delay_alu instid0(VALU_DEP_1)
	v_add3_u32 v3, v3, v4, 0x7fff
	global_store_d16_hi_b16 v[0:1], v3, off
.LBB288_1958:
	s_mov_b32 s1, 0
.LBB288_1959:
	s_delay_alu instid0(SALU_CYCLE_1)
	s_and_b32 vcc_lo, exec_lo, s1
	s_mov_b32 s1, 0
	s_cbranch_vccz .LBB288_1961
; %bb.1960:
	v_cmp_ne_u16_e64 s0, 11, v7
	s_mov_b32 s1, -1
.LBB288_1961:
	s_delay_alu instid0(VALU_DEP_1)
	s_and_b32 vcc_lo, exec_lo, s0
	s_cbranch_vccnz .LBB288_2039
.LBB288_1962:
	s_mov_b32 s0, 0
	s_branch .LBB288_1964
.LBB288_1963:
	s_mov_b32 s0, 0
	s_mov_b32 s1, 0
                                        ; implicit-def: $vgpr7
                                        ; implicit-def: $vgpr0_vgpr1
                                        ; implicit-def: $vgpr2
.LBB288_1964:
	s_and_not1_b32 s2, s13, exec_lo
	s_and_b32 s3, s11, exec_lo
	s_and_b32 s0, s0, exec_lo
	;; [unrolled: 1-line block ×3, first 2 shown]
	s_or_b32 s13, s2, s3
.LBB288_1965:
	s_or_b32 exec_lo, exec_lo, s12
	s_and_saveexec_b32 s1, s13
	s_cbranch_execz .LBB288_1968
; %bb.1966:
	; divergent unreachable
	s_or_b32 exec_lo, exec_lo, s1
	s_and_saveexec_b32 s1, s11
	s_delay_alu instid0(SALU_CYCLE_1)
	s_xor_b32 s1, exec_lo, s1
	s_cbranch_execnz .LBB288_1969
.LBB288_1967:
	s_or_b32 exec_lo, exec_lo, s1
	s_and_saveexec_b32 s1, s0
	s_cbranch_execnz .LBB288_1970
	s_branch .LBB288_2007
.LBB288_1968:
	s_or_b32 exec_lo, exec_lo, s1
	s_and_saveexec_b32 s1, s11
	s_delay_alu instid0(SALU_CYCLE_1)
	s_xor_b32 s1, exec_lo, s1
	s_cbranch_execz .LBB288_1967
.LBB288_1969:
	s_waitcnt vmcnt(0)
	v_and_b32_e32 v3, 0xff, v2
	s_delay_alu instid0(VALU_DEP_1)
	v_cmp_ne_u16_e32 vcc_lo, 0, v3
	v_cndmask_b32_e64 v3, 0, 1, vcc_lo
	global_store_b8 v[0:1], v3, off
	s_or_b32 exec_lo, exec_lo, s1
	s_and_saveexec_b32 s1, s0
	s_cbranch_execz .LBB288_2007
.LBB288_1970:
	s_waitcnt vmcnt(0)
	v_cmp_gt_i16_e32 vcc_lo, 5, v7
	s_mov_b32 s0, -1
	s_cbranch_vccnz .LBB288_1991
; %bb.1971:
	v_cmp_gt_i16_e32 vcc_lo, 8, v7
	s_cbranch_vccnz .LBB288_1981
; %bb.1972:
	v_cmp_gt_i16_e32 vcc_lo, 9, v7
	s_cbranch_vccnz .LBB288_1978
; %bb.1973:
	v_cmp_lt_i16_e32 vcc_lo, 9, v7
	s_cbranch_vccz .LBB288_1975
; %bb.1974:
	v_bfe_i32 v3, v2, 0, 8
	v_mov_b32_e32 v5, 0
	s_mov_b32 s0, 0
	s_delay_alu instid0(VALU_DEP_2) | instskip(NEXT) | instid1(VALU_DEP_2)
	v_bfe_i32 v3, v3, 0, 16
	v_mov_b32_e32 v6, v5
	s_delay_alu instid0(VALU_DEP_2)
	v_cvt_f64_i32_e32 v[3:4], v3
	global_store_b128 v[0:1], v[3:6], off
.LBB288_1975:
	s_and_not1_b32 vcc_lo, exec_lo, s0
	s_cbranch_vccnz .LBB288_1977
; %bb.1976:
	v_bfe_i32 v3, v2, 0, 8
	v_mov_b32_e32 v4, 0
	s_delay_alu instid0(VALU_DEP_2) | instskip(NEXT) | instid1(VALU_DEP_1)
	v_bfe_i32 v3, v3, 0, 16
	v_cvt_f32_i32_e32 v3, v3
	global_store_b64 v[0:1], v[3:4], off
.LBB288_1977:
	s_mov_b32 s0, 0
.LBB288_1978:
	s_delay_alu instid0(SALU_CYCLE_1)
	s_and_not1_b32 vcc_lo, exec_lo, s0
	s_cbranch_vccnz .LBB288_1980
; %bb.1979:
	v_bfe_i32 v3, v2, 0, 8
	s_delay_alu instid0(VALU_DEP_1) | instskip(NEXT) | instid1(VALU_DEP_1)
	v_cvt_f16_i16_e32 v3, v3
	v_and_b32_e32 v3, 0xffff, v3
	global_store_b32 v[0:1], v3, off
.LBB288_1980:
	s_mov_b32 s0, 0
.LBB288_1981:
	s_delay_alu instid0(SALU_CYCLE_1)
	s_and_not1_b32 vcc_lo, exec_lo, s0
	s_cbranch_vccnz .LBB288_1990
; %bb.1982:
	v_cmp_gt_i16_e32 vcc_lo, 6, v7
	s_mov_b32 s0, -1
	s_cbranch_vccnz .LBB288_1988
; %bb.1983:
	v_cmp_lt_i16_e32 vcc_lo, 6, v7
	s_cbranch_vccz .LBB288_1985
; %bb.1984:
	v_bfe_i32 v3, v2, 0, 8
	s_mov_b32 s0, 0
	s_delay_alu instid0(VALU_DEP_1) | instskip(NEXT) | instid1(VALU_DEP_1)
	v_bfe_i32 v3, v3, 0, 16
	v_cvt_f64_i32_e32 v[3:4], v3
	global_store_b64 v[0:1], v[3:4], off
.LBB288_1985:
	s_and_not1_b32 vcc_lo, exec_lo, s0
	s_cbranch_vccnz .LBB288_1987
; %bb.1986:
	v_bfe_i32 v3, v2, 0, 8
	s_delay_alu instid0(VALU_DEP_1) | instskip(NEXT) | instid1(VALU_DEP_1)
	v_bfe_i32 v3, v3, 0, 16
	v_cvt_f32_i32_e32 v3, v3
	global_store_b32 v[0:1], v3, off
.LBB288_1987:
	s_mov_b32 s0, 0
.LBB288_1988:
	s_delay_alu instid0(SALU_CYCLE_1)
	s_and_not1_b32 vcc_lo, exec_lo, s0
	s_cbranch_vccnz .LBB288_1990
; %bb.1989:
	v_bfe_i32 v3, v2, 0, 8
	s_delay_alu instid0(VALU_DEP_1)
	v_cvt_f16_i16_e32 v3, v3
	global_store_b16 v[0:1], v3, off
.LBB288_1990:
	s_mov_b32 s0, 0
.LBB288_1991:
	s_delay_alu instid0(SALU_CYCLE_1)
	s_and_not1_b32 vcc_lo, exec_lo, s0
	s_cbranch_vccnz .LBB288_2007
; %bb.1992:
	v_cmp_gt_i16_e32 vcc_lo, 2, v7
	s_mov_b32 s0, -1
	s_cbranch_vccnz .LBB288_2002
; %bb.1993:
	v_cmp_gt_i16_e32 vcc_lo, 3, v7
	s_cbranch_vccnz .LBB288_1999
; %bb.1994:
	v_cmp_lt_i16_e32 vcc_lo, 3, v7
	s_cbranch_vccz .LBB288_1996
; %bb.1995:
	v_bfe_i32 v3, v2, 0, 8
	s_mov_b32 s0, 0
	s_delay_alu instid0(VALU_DEP_1)
	v_ashrrev_i32_e32 v4, 31, v3
	global_store_b64 v[0:1], v[3:4], off
.LBB288_1996:
	s_and_not1_b32 vcc_lo, exec_lo, s0
	s_cbranch_vccnz .LBB288_1998
; %bb.1997:
	v_bfe_i32 v3, v2, 0, 8
	global_store_b32 v[0:1], v3, off
.LBB288_1998:
	s_mov_b32 s0, 0
.LBB288_1999:
	s_delay_alu instid0(SALU_CYCLE_1)
	s_and_not1_b32 vcc_lo, exec_lo, s0
	s_cbranch_vccnz .LBB288_2001
; %bb.2000:
	v_bfe_i32 v3, v2, 0, 8
	global_store_b16 v[0:1], v3, off
.LBB288_2001:
	s_mov_b32 s0, 0
.LBB288_2002:
	s_delay_alu instid0(SALU_CYCLE_1)
	s_and_not1_b32 vcc_lo, exec_lo, s0
	s_cbranch_vccnz .LBB288_2007
; %bb.2003:
	v_cmp_lt_i16_e32 vcc_lo, 0, v7
	s_mov_b32 s0, -1
	s_cbranch_vccz .LBB288_2005
; %bb.2004:
	s_mov_b32 s0, 0
	global_store_b8 v[0:1], v2, off
.LBB288_2005:
	s_and_not1_b32 vcc_lo, exec_lo, s0
	s_cbranch_vccnz .LBB288_2007
; %bb.2006:
	global_store_b8 v[0:1], v2, off
	s_nop 0
	s_sendmsg sendmsg(MSG_DEALLOC_VGPRS)
	s_endpgm
.LBB288_2007:
	s_nop 0
	s_sendmsg sendmsg(MSG_DEALLOC_VGPRS)
	s_endpgm
.LBB288_2008:
	s_mov_b32 s1, 0
	s_mov_b32 s0, -1
	s_branch .LBB288_1964
.LBB288_2009:
	s_cbranch_execnz .LBB288_2013
; %bb.2010:
	s_or_b32 s11, s11, exec_lo
                                        ; implicit-def: $vgpr0
	s_cbranch_execz .LBB288_1478
	s_branch .LBB288_1479
.LBB288_2011:
	s_or_saveexec_b32 s9, s9
                                        ; implicit-def: $sgpr10
	s_delay_alu instid0(SALU_CYCLE_1)
	s_xor_b32 exec_lo, exec_lo, s9
	s_cbranch_execz .LBB288_1558
.LBB288_2012:
	v_add_f32_e64 v9, 0x46000000, |v8|
	s_and_not1_b32 s8, s8, exec_lo
	s_mov_b32 s10, 0
	s_delay_alu instid0(VALU_DEP_1) | instskip(NEXT) | instid1(VALU_DEP_1)
	v_and_b32_e32 v9, 0xff, v9
	v_cmp_ne_u32_e32 vcc_lo, 0, v9
	s_and_b32 s14, vcc_lo, exec_lo
	s_delay_alu instid0(SALU_CYCLE_1)
	s_or_b32 s8, s8, s14
	s_or_b32 exec_lo, exec_lo, s9
	v_mov_b32_e32 v10, s10
	s_and_saveexec_b32 s9, s8
	s_cbranch_execnz .LBB288_1559
	s_branch .LBB288_1560
.LBB288_2013:
	s_trap 2
	s_sendmsg_rtn_b32 s0, sendmsg(MSG_RTN_GET_DOORBELL)
	s_mov_b32 ttmp2, m0
	s_waitcnt lgkmcnt(0)
	s_and_b32 s0, s0, 0x3ff
	s_delay_alu instid0(SALU_CYCLE_1) | instskip(NEXT) | instid1(SALU_CYCLE_1)
	s_bitset1_b32 s0, 10
	s_mov_b32 m0, s0
	s_sendmsg sendmsg(MSG_INTERRUPT)
	s_mov_b32 m0, ttmp2
.LBB288_2014:                           ; =>This Inner Loop Header: Depth=1
	s_sethalt 5
	s_branch .LBB288_2014
.LBB288_2015:
	s_cbranch_execnz .LBB288_2021
; %bb.2016:
	s_or_b32 s11, s11, exec_lo
	s_cbranch_execz .LBB288_1606
	s_branch .LBB288_1607
.LBB288_2017:
	s_or_saveexec_b32 s8, s8
                                        ; implicit-def: $sgpr9
	s_delay_alu instid0(SALU_CYCLE_1)
	s_xor_b32 exec_lo, exec_lo, s8
	s_cbranch_execz .LBB288_1571
.LBB288_2018:
	v_add_f32_e64 v9, 0x42800000, |v8|
	s_and_not1_b32 s7, s7, exec_lo
	s_mov_b32 s9, 0
	s_delay_alu instid0(VALU_DEP_1) | instskip(NEXT) | instid1(VALU_DEP_1)
	v_and_b32_e32 v9, 0xff, v9
	v_cmp_ne_u32_e32 vcc_lo, 0, v9
	s_and_b32 s10, vcc_lo, exec_lo
	s_delay_alu instid0(SALU_CYCLE_1)
	s_or_b32 s7, s7, s10
	s_or_b32 exec_lo, exec_lo, s8
	v_mov_b32_e32 v10, s9
	s_and_saveexec_b32 s8, s7
	s_cbranch_execnz .LBB288_1572
	s_branch .LBB288_1573
.LBB288_2019:
	s_or_saveexec_b32 s9, s9
                                        ; implicit-def: $sgpr10
	s_delay_alu instid0(SALU_CYCLE_1)
	s_xor_b32 exec_lo, exec_lo, s9
	s_cbranch_execz .LBB288_1677
.LBB288_2020:
	v_add_f32_e64 v6, 0x46000000, |v5|
	s_and_not1_b32 s8, s8, exec_lo
	s_mov_b32 s10, 0
	s_delay_alu instid0(VALU_DEP_1) | instskip(NEXT) | instid1(VALU_DEP_1)
	v_and_b32_e32 v6, 0xff, v6
	v_cmp_ne_u32_e32 vcc_lo, 0, v6
	s_and_b32 s14, vcc_lo, exec_lo
	s_delay_alu instid0(SALU_CYCLE_1)
	s_or_b32 s8, s8, s14
	s_or_b32 exec_lo, exec_lo, s9
	v_mov_b32_e32 v9, s10
	s_and_saveexec_b32 s9, s8
	s_cbranch_execnz .LBB288_1678
	s_branch .LBB288_1679
.LBB288_2021:
	s_trap 2
	s_sendmsg_rtn_b32 s0, sendmsg(MSG_RTN_GET_DOORBELL)
	s_mov_b32 ttmp2, m0
	s_waitcnt lgkmcnt(0)
	s_and_b32 s0, s0, 0x3ff
	s_delay_alu instid0(SALU_CYCLE_1) | instskip(NEXT) | instid1(SALU_CYCLE_1)
	s_bitset1_b32 s0, 10
	s_mov_b32 m0, s0
	s_sendmsg sendmsg(MSG_INTERRUPT)
	s_mov_b32 m0, ttmp2
.LBB288_2022:                           ; =>This Inner Loop Header: Depth=1
	s_sethalt 5
	s_branch .LBB288_2022
.LBB288_2023:
	s_cbranch_execnz .LBB288_2029
; %bb.2024:
	s_or_b32 s11, s11, exec_lo
	s_cbranch_execz .LBB288_1725
	s_branch .LBB288_1726
.LBB288_2025:
	s_or_saveexec_b32 s8, s8
                                        ; implicit-def: $sgpr9
	s_delay_alu instid0(SALU_CYCLE_1)
	s_xor_b32 exec_lo, exec_lo, s8
	s_cbranch_execz .LBB288_1690
.LBB288_2026:
	v_add_f32_e64 v6, 0x42800000, |v5|
	s_and_not1_b32 s7, s7, exec_lo
	s_mov_b32 s9, 0
	s_delay_alu instid0(VALU_DEP_1) | instskip(NEXT) | instid1(VALU_DEP_1)
	v_and_b32_e32 v6, 0xff, v6
	v_cmp_ne_u32_e32 vcc_lo, 0, v6
	s_and_b32 s10, vcc_lo, exec_lo
	s_delay_alu instid0(SALU_CYCLE_1)
	s_or_b32 s7, s7, s10
	s_or_b32 exec_lo, exec_lo, s8
	v_mov_b32_e32 v9, s9
	s_and_saveexec_b32 s8, s7
	s_cbranch_execnz .LBB288_1691
	s_branch .LBB288_1692
.LBB288_2027:
	s_or_saveexec_b32 s9, s9
                                        ; implicit-def: $sgpr10
	s_delay_alu instid0(SALU_CYCLE_1)
	s_xor_b32 exec_lo, exec_lo, s9
	s_cbranch_execz .LBB288_1796
.LBB288_2028:
	v_add_f32_e64 v4, 0x46000000, |v3|
	s_and_not1_b32 s8, s8, exec_lo
	s_mov_b32 s10, 0
	s_delay_alu instid0(VALU_DEP_1) | instskip(NEXT) | instid1(VALU_DEP_1)
	v_and_b32_e32 v4, 0xff, v4
	v_cmp_ne_u32_e32 vcc_lo, 0, v4
	s_and_b32 s14, vcc_lo, exec_lo
	s_delay_alu instid0(SALU_CYCLE_1)
	s_or_b32 s8, s8, s14
	s_or_b32 exec_lo, exec_lo, s9
	v_mov_b32_e32 v8, s10
	s_and_saveexec_b32 s9, s8
	s_cbranch_execnz .LBB288_1797
	s_branch .LBB288_1798
.LBB288_2029:
	s_trap 2
	s_sendmsg_rtn_b32 s0, sendmsg(MSG_RTN_GET_DOORBELL)
	s_mov_b32 ttmp2, m0
	s_waitcnt lgkmcnt(0)
	s_and_b32 s0, s0, 0x3ff
	s_delay_alu instid0(SALU_CYCLE_1) | instskip(NEXT) | instid1(SALU_CYCLE_1)
	s_bitset1_b32 s0, 10
	s_mov_b32 m0, s0
	s_sendmsg sendmsg(MSG_INTERRUPT)
	s_mov_b32 m0, ttmp2
.LBB288_2030:                           ; =>This Inner Loop Header: Depth=1
	s_sethalt 5
	s_branch .LBB288_2030
.LBB288_2031:
	s_cbranch_execnz .LBB288_2037
; %bb.2032:
	s_or_b32 s11, s11, exec_lo
	s_cbranch_execz .LBB288_1844
	s_branch .LBB288_1845
.LBB288_2033:
	s_or_saveexec_b32 s8, s8
                                        ; implicit-def: $sgpr9
	s_delay_alu instid0(SALU_CYCLE_1)
	s_xor_b32 exec_lo, exec_lo, s8
	s_cbranch_execz .LBB288_1809
.LBB288_2034:
	v_add_f32_e64 v4, 0x42800000, |v3|
	s_and_not1_b32 s7, s7, exec_lo
	s_mov_b32 s9, 0
	s_delay_alu instid0(VALU_DEP_1) | instskip(NEXT) | instid1(VALU_DEP_1)
	v_and_b32_e32 v4, 0xff, v4
	v_cmp_ne_u32_e32 vcc_lo, 0, v4
	s_and_b32 s10, vcc_lo, exec_lo
	s_delay_alu instid0(SALU_CYCLE_1)
	s_or_b32 s7, s7, s10
	s_or_b32 exec_lo, exec_lo, s8
	v_mov_b32_e32 v8, s9
	s_and_saveexec_b32 s8, s7
	s_cbranch_execnz .LBB288_1810
	s_branch .LBB288_1811
.LBB288_2035:
	s_or_saveexec_b32 s4, s4
                                        ; implicit-def: $sgpr5
	s_delay_alu instid0(SALU_CYCLE_1)
	s_xor_b32 exec_lo, exec_lo, s4
	s_cbranch_execz .LBB288_1916
.LBB288_2036:
	v_add_f32_e64 v4, 0x46000000, |v3|
	s_and_not1_b32 s3, s3, exec_lo
	s_mov_b32 s5, 0
	s_delay_alu instid0(VALU_DEP_1) | instskip(NEXT) | instid1(VALU_DEP_1)
	v_and_b32_e32 v4, 0xff, v4
	v_cmp_ne_u32_e32 vcc_lo, 0, v4
	s_and_b32 s6, vcc_lo, exec_lo
	s_delay_alu instid0(SALU_CYCLE_1)
	s_or_b32 s3, s3, s6
	s_or_b32 exec_lo, exec_lo, s4
	v_mov_b32_e32 v5, s5
	s_and_saveexec_b32 s4, s3
	s_cbranch_execnz .LBB288_1917
	s_branch .LBB288_1918
.LBB288_2037:
	s_trap 2
	s_sendmsg_rtn_b32 s0, sendmsg(MSG_RTN_GET_DOORBELL)
	s_mov_b32 ttmp2, m0
	s_waitcnt lgkmcnt(0)
	s_and_b32 s0, s0, 0x3ff
	s_delay_alu instid0(SALU_CYCLE_1) | instskip(NEXT) | instid1(SALU_CYCLE_1)
	s_bitset1_b32 s0, 10
	s_mov_b32 m0, s0
	s_sendmsg sendmsg(MSG_INTERRUPT)
	s_mov_b32 m0, ttmp2
.LBB288_2038:                           ; =>This Inner Loop Header: Depth=1
	s_sethalt 5
	s_branch .LBB288_2038
.LBB288_2039:
	s_cbranch_execnz .LBB288_2043
; %bb.2040:
	s_mov_b32 s1, 0
	s_or_b32 s11, s11, exec_lo
	s_branch .LBB288_1962
.LBB288_2041:
	s_or_saveexec_b32 s3, s3
                                        ; implicit-def: $sgpr4
	s_delay_alu instid0(SALU_CYCLE_1)
	s_xor_b32 exec_lo, exec_lo, s3
	s_cbranch_execz .LBB288_1928
.LBB288_2042:
	v_add_f32_e64 v4, 0x42800000, |v3|
	s_and_not1_b32 s2, s2, exec_lo
	s_mov_b32 s4, 0
	s_delay_alu instid0(VALU_DEP_1) | instskip(NEXT) | instid1(VALU_DEP_1)
	v_and_b32_e32 v4, 0xff, v4
	v_cmp_ne_u32_e32 vcc_lo, 0, v4
	s_and_b32 s5, vcc_lo, exec_lo
	s_delay_alu instid0(SALU_CYCLE_1)
	s_or_b32 s2, s2, s5
	s_or_b32 exec_lo, exec_lo, s3
	v_mov_b32_e32 v5, s4
	s_and_saveexec_b32 s3, s2
	s_cbranch_execnz .LBB288_1929
	s_branch .LBB288_1930
.LBB288_2043:
	s_trap 2
	s_sendmsg_rtn_b32 s0, sendmsg(MSG_RTN_GET_DOORBELL)
	s_mov_b32 ttmp2, m0
	s_waitcnt lgkmcnt(0)
	s_and_b32 s0, s0, 0x3ff
	s_delay_alu instid0(SALU_CYCLE_1) | instskip(NEXT) | instid1(SALU_CYCLE_1)
	s_bitset1_b32 s0, 10
	s_mov_b32 m0, s0
	s_sendmsg sendmsg(MSG_INTERRUPT)
	s_mov_b32 m0, ttmp2
.LBB288_2044:                           ; =>This Inner Loop Header: Depth=1
	s_sethalt 5
	s_branch .LBB288_2044
	.section	.rodata,"a",@progbits
	.p2align	6, 0x0
	.amdhsa_kernel _ZN2at6native32elementwise_kernel_manual_unrollILi128ELi4EZNS0_15gpu_kernel_implIZZZNS0_17clamp_kernel_cudaERNS_18TensorIteratorBaseERKN3c106ScalarES8_ENKUlvE_clEvENKUlvE0_clEvEUlaE_EEvS4_RKT_EUlibE_EEviT1_
		.amdhsa_group_segment_fixed_size 0
		.amdhsa_private_segment_fixed_size 0
		.amdhsa_kernarg_size 40
		.amdhsa_user_sgpr_count 15
		.amdhsa_user_sgpr_dispatch_ptr 0
		.amdhsa_user_sgpr_queue_ptr 0
		.amdhsa_user_sgpr_kernarg_segment_ptr 1
		.amdhsa_user_sgpr_dispatch_id 0
		.amdhsa_user_sgpr_private_segment_size 0
		.amdhsa_wavefront_size32 1
		.amdhsa_uses_dynamic_stack 0
		.amdhsa_enable_private_segment 0
		.amdhsa_system_sgpr_workgroup_id_x 1
		.amdhsa_system_sgpr_workgroup_id_y 0
		.amdhsa_system_sgpr_workgroup_id_z 0
		.amdhsa_system_sgpr_workgroup_info 0
		.amdhsa_system_vgpr_workitem_id 0
		.amdhsa_next_free_vgpr 13
		.amdhsa_next_free_sgpr 28
		.amdhsa_reserve_vcc 1
		.amdhsa_float_round_mode_32 0
		.amdhsa_float_round_mode_16_64 0
		.amdhsa_float_denorm_mode_32 3
		.amdhsa_float_denorm_mode_16_64 3
		.amdhsa_dx10_clamp 1
		.amdhsa_ieee_mode 1
		.amdhsa_fp16_overflow 0
		.amdhsa_workgroup_processor_mode 1
		.amdhsa_memory_ordered 1
		.amdhsa_forward_progress 0
		.amdhsa_shared_vgpr_count 0
		.amdhsa_exception_fp_ieee_invalid_op 0
		.amdhsa_exception_fp_denorm_src 0
		.amdhsa_exception_fp_ieee_div_zero 0
		.amdhsa_exception_fp_ieee_overflow 0
		.amdhsa_exception_fp_ieee_underflow 0
		.amdhsa_exception_fp_ieee_inexact 0
		.amdhsa_exception_int_div_zero 0
	.end_amdhsa_kernel
	.section	.text._ZN2at6native32elementwise_kernel_manual_unrollILi128ELi4EZNS0_15gpu_kernel_implIZZZNS0_17clamp_kernel_cudaERNS_18TensorIteratorBaseERKN3c106ScalarES8_ENKUlvE_clEvENKUlvE0_clEvEUlaE_EEvS4_RKT_EUlibE_EEviT1_,"axG",@progbits,_ZN2at6native32elementwise_kernel_manual_unrollILi128ELi4EZNS0_15gpu_kernel_implIZZZNS0_17clamp_kernel_cudaERNS_18TensorIteratorBaseERKN3c106ScalarES8_ENKUlvE_clEvENKUlvE0_clEvEUlaE_EEvS4_RKT_EUlibE_EEviT1_,comdat
.Lfunc_end288:
	.size	_ZN2at6native32elementwise_kernel_manual_unrollILi128ELi4EZNS0_15gpu_kernel_implIZZZNS0_17clamp_kernel_cudaERNS_18TensorIteratorBaseERKN3c106ScalarES8_ENKUlvE_clEvENKUlvE0_clEvEUlaE_EEvS4_RKT_EUlibE_EEviT1_, .Lfunc_end288-_ZN2at6native32elementwise_kernel_manual_unrollILi128ELi4EZNS0_15gpu_kernel_implIZZZNS0_17clamp_kernel_cudaERNS_18TensorIteratorBaseERKN3c106ScalarES8_ENKUlvE_clEvENKUlvE0_clEvEUlaE_EEvS4_RKT_EUlibE_EEviT1_
                                        ; -- End function
	.section	.AMDGPU.csdata,"",@progbits
; Kernel info:
; codeLenInByte = 36572
; NumSgprs: 30
; NumVgprs: 13
; ScratchSize: 0
; MemoryBound: 1
; FloatMode: 240
; IeeeMode: 1
; LDSByteSize: 0 bytes/workgroup (compile time only)
; SGPRBlocks: 3
; VGPRBlocks: 1
; NumSGPRsForWavesPerEU: 30
; NumVGPRsForWavesPerEU: 13
; Occupancy: 16
; WaveLimiterHint : 0
; COMPUTE_PGM_RSRC2:SCRATCH_EN: 0
; COMPUTE_PGM_RSRC2:USER_SGPR: 15
; COMPUTE_PGM_RSRC2:TRAP_HANDLER: 0
; COMPUTE_PGM_RSRC2:TGID_X_EN: 1
; COMPUTE_PGM_RSRC2:TGID_Y_EN: 0
; COMPUTE_PGM_RSRC2:TGID_Z_EN: 0
; COMPUTE_PGM_RSRC2:TIDIG_COMP_CNT: 0
	.section	.text._ZN2at6native32elementwise_kernel_manual_unrollILi128ELi4EZNS0_15gpu_kernel_implIZZZNS0_17clamp_kernel_cudaERNS_18TensorIteratorBaseERKN3c106ScalarES8_ENKUlvE_clEvENKUlvE0_clEvEUlaE_EEvS4_RKT_EUlibE0_EEviT1_,"axG",@progbits,_ZN2at6native32elementwise_kernel_manual_unrollILi128ELi4EZNS0_15gpu_kernel_implIZZZNS0_17clamp_kernel_cudaERNS_18TensorIteratorBaseERKN3c106ScalarES8_ENKUlvE_clEvENKUlvE0_clEvEUlaE_EEvS4_RKT_EUlibE0_EEviT1_,comdat
	.globl	_ZN2at6native32elementwise_kernel_manual_unrollILi128ELi4EZNS0_15gpu_kernel_implIZZZNS0_17clamp_kernel_cudaERNS_18TensorIteratorBaseERKN3c106ScalarES8_ENKUlvE_clEvENKUlvE0_clEvEUlaE_EEvS4_RKT_EUlibE0_EEviT1_ ; -- Begin function _ZN2at6native32elementwise_kernel_manual_unrollILi128ELi4EZNS0_15gpu_kernel_implIZZZNS0_17clamp_kernel_cudaERNS_18TensorIteratorBaseERKN3c106ScalarES8_ENKUlvE_clEvENKUlvE0_clEvEUlaE_EEvS4_RKT_EUlibE0_EEviT1_
	.p2align	8
	.type	_ZN2at6native32elementwise_kernel_manual_unrollILi128ELi4EZNS0_15gpu_kernel_implIZZZNS0_17clamp_kernel_cudaERNS_18TensorIteratorBaseERKN3c106ScalarES8_ENKUlvE_clEvENKUlvE0_clEvEUlaE_EEvS4_RKT_EUlibE0_EEviT1_,@function
_ZN2at6native32elementwise_kernel_manual_unrollILi128ELi4EZNS0_15gpu_kernel_implIZZZNS0_17clamp_kernel_cudaERNS_18TensorIteratorBaseERKN3c106ScalarES8_ENKUlvE_clEvENKUlvE0_clEvEUlaE_EEvS4_RKT_EUlibE0_EEviT1_: ; @_ZN2at6native32elementwise_kernel_manual_unrollILi128ELi4EZNS0_15gpu_kernel_implIZZZNS0_17clamp_kernel_cudaERNS_18TensorIteratorBaseERKN3c106ScalarES8_ENKUlvE_clEvENKUlvE0_clEvEUlaE_EEvS4_RKT_EUlibE0_EEviT1_
; %bb.0:
	s_clause 0x1
	s_load_b32 s24, s[0:1], 0x8
	s_load_b32 s35, s[0:1], 0x0
	v_lshl_or_b32 v5, s15, 9, v0
	s_or_b32 s16, s0, 8
	s_mov_b32 s3, -1
	s_mov_b32 s26, 0
	s_mov_b32 s17, s1
	v_or_b32_e32 v8, 0x180, v5
	s_mov_b32 s8, 0
	s_mov_b32 s2, exec_lo
	s_waitcnt lgkmcnt(0)
	s_add_i32 s25, s24, -1
	s_delay_alu instid0(SALU_CYCLE_1)
	s_cmp_gt_u32 s25, 1
	s_cselect_b32 s27, -1, 0
	v_cmpx_le_i32_e64 s35, v8
	s_xor_b32 s28, exec_lo, s2
	s_cbranch_execz .LBB289_1060
; %bb.1:
	s_clause 0x4
	s_load_b32 s29, s[16:17], 0x158
	s_load_b128 s[12:15], s[16:17], 0x4
	s_load_b64 s[18:19], s[16:17], 0x14
	s_load_b128 s[8:11], s[16:17], 0xc4
	s_load_b128 s[4:7], s[16:17], 0x148
	s_cmp_lg_u32 s24, 0
	s_mov_b32 s41, 0
	s_cselect_b32 s37, -1, 0
	s_add_u32 s20, s16, 0xc4
	s_addc_u32 s21, s17, 0
	s_min_u32 s36, s25, 15
	s_cmp_gt_u32 s24, 1
	s_mov_b32 s39, 0
	s_cselect_b32 s34, -1, 0
	s_mov_b32 s38, 0
	s_mov_b32 s40, exec_lo
	s_waitcnt lgkmcnt(0)
	s_lshr_b32 s31, s29, 16
	s_lshr_b32 s30, s29, 8
	;; [unrolled: 1-line block ×3, first 2 shown]
	v_cmpx_gt_i32_e64 s35, v5
	s_cbranch_execz .LBB289_259
; %bb.2:
	s_and_not1_b32 vcc_lo, exec_lo, s27
	s_cbranch_vccnz .LBB289_7
; %bb.3:
	v_dual_mov_b32 v0, 0 :: v_dual_mov_b32 v1, 0
	s_and_not1_b32 vcc_lo, exec_lo, s37
	s_cbranch_vccnz .LBB289_12
; %bb.4:
	v_mov_b32_e32 v0, 0
	s_add_i32 s42, s36, 1
	s_cmp_eq_u32 s25, 2
	s_cbranch_scc1 .LBB289_8
; %bb.5:
	v_dual_mov_b32 v1, 0 :: v_dual_mov_b32 v0, 0
	v_mov_b32_e32 v2, v5
	s_and_b32 s39, s42, 28
	s_mov_b32 s43, 0
	s_mov_b64 s[2:3], s[20:21]
	s_mov_b64 s[22:23], s[16:17]
.LBB289_6:                              ; =>This Inner Loop Header: Depth=1
	s_clause 0x1
	s_load_b256 s[44:51], s[22:23], 0x4
	s_load_b128 s[60:63], s[22:23], 0x24
	s_load_b256 s[52:59], s[2:3], 0x0
	s_add_u32 s22, s22, 48
	s_addc_u32 s23, s23, 0
	s_add_i32 s43, s43, 4
	s_add_u32 s2, s2, 32
	s_addc_u32 s3, s3, 0
	s_cmp_lg_u32 s39, s43
	s_waitcnt lgkmcnt(0)
	v_mul_hi_u32 v3, s45, v2
	s_delay_alu instid0(VALU_DEP_1) | instskip(NEXT) | instid1(VALU_DEP_1)
	v_add_nc_u32_e32 v3, v2, v3
	v_lshrrev_b32_e32 v3, s46, v3
	s_delay_alu instid0(VALU_DEP_1) | instskip(SKIP_1) | instid1(VALU_DEP_2)
	v_mul_hi_u32 v4, s48, v3
	v_mul_lo_u32 v7, v3, s44
	v_add_nc_u32_e32 v4, v3, v4
	s_delay_alu instid0(VALU_DEP_2) | instskip(NEXT) | instid1(VALU_DEP_2)
	v_sub_nc_u32_e32 v2, v2, v7
	v_lshrrev_b32_e32 v4, s49, v4
	s_delay_alu instid0(VALU_DEP_2) | instskip(SKIP_1) | instid1(VALU_DEP_3)
	v_mul_lo_u32 v7, v2, s52
	v_mul_lo_u32 v9, v2, s53
	v_mul_hi_u32 v6, s51, v4
	s_delay_alu instid0(VALU_DEP_1) | instskip(NEXT) | instid1(VALU_DEP_1)
	v_add_nc_u32_e32 v6, v4, v6
	v_lshrrev_b32_e32 v6, s60, v6
	s_delay_alu instid0(VALU_DEP_1) | instskip(SKIP_1) | instid1(VALU_DEP_2)
	v_mul_hi_u32 v8, s62, v6
	v_mul_lo_u32 v10, v6, s50
	v_add_nc_u32_e32 v2, v6, v8
	v_mul_lo_u32 v8, v4, s47
	s_delay_alu instid0(VALU_DEP_3) | instskip(NEXT) | instid1(VALU_DEP_3)
	v_sub_nc_u32_e32 v4, v4, v10
	v_lshrrev_b32_e32 v2, s63, v2
	s_delay_alu instid0(VALU_DEP_2) | instskip(SKIP_2) | instid1(VALU_DEP_4)
	v_mul_lo_u32 v10, v4, s56
	v_mul_lo_u32 v4, v4, s57
	v_sub_nc_u32_e32 v3, v3, v8
	v_mul_lo_u32 v11, v2, s61
	s_delay_alu instid0(VALU_DEP_2) | instskip(SKIP_1) | instid1(VALU_DEP_3)
	v_mul_lo_u32 v8, v3, s54
	v_mul_lo_u32 v3, v3, s55
	v_sub_nc_u32_e32 v6, v6, v11
	s_delay_alu instid0(VALU_DEP_3) | instskip(NEXT) | instid1(VALU_DEP_2)
	v_add3_u32 v0, v7, v0, v8
	v_mul_lo_u32 v11, v6, s58
	v_mul_lo_u32 v6, v6, s59
	v_add3_u32 v1, v9, v1, v3
	s_delay_alu instid0(VALU_DEP_3) | instskip(NEXT) | instid1(VALU_DEP_2)
	v_add3_u32 v0, v10, v0, v11
	v_add3_u32 v1, v4, v1, v6
	s_cbranch_scc1 .LBB289_6
	s_branch .LBB289_9
.LBB289_7:
	s_mov_b32 s38, -1
                                        ; implicit-def: $vgpr0
                                        ; implicit-def: $vgpr1
	s_branch .LBB289_12
.LBB289_8:
	v_dual_mov_b32 v2, v5 :: v_dual_mov_b32 v1, 0
.LBB289_9:
	s_and_b32 s42, s42, 3
	s_delay_alu instid0(SALU_CYCLE_1)
	s_cmp_eq_u32 s42, 0
	s_cbranch_scc1 .LBB289_12
; %bb.10:
	s_lshl_b32 s2, s39, 3
	s_mul_i32 s22, s39, 12
	s_add_u32 s2, s2, s16
	s_addc_u32 s3, s17, 0
	s_add_u32 s2, s2, 0xc4
	s_addc_u32 s3, s3, 0
	;; [unrolled: 2-line block ×3, first 2 shown]
	.p2align	6
.LBB289_11:                             ; =>This Inner Loop Header: Depth=1
	s_clause 0x1
	s_load_b64 s[44:45], s[22:23], 0x4
	s_load_b32 s39, s[22:23], 0xc
	s_load_b64 s[46:47], s[2:3], 0x0
	s_add_u32 s22, s22, 12
	s_addc_u32 s23, s23, 0
	s_add_u32 s2, s2, 8
	s_addc_u32 s3, s3, 0
	s_add_i32 s42, s42, -1
	s_delay_alu instid0(SALU_CYCLE_1) | instskip(SKIP_2) | instid1(VALU_DEP_1)
	s_cmp_lg_u32 s42, 0
	s_waitcnt lgkmcnt(0)
	v_mul_hi_u32 v3, s45, v2
	v_add_nc_u32_e32 v3, v2, v3
	s_delay_alu instid0(VALU_DEP_1) | instskip(NEXT) | instid1(VALU_DEP_1)
	v_lshrrev_b32_e32 v8, s39, v3
	v_mul_lo_u32 v3, v8, s44
	s_delay_alu instid0(VALU_DEP_1) | instskip(NEXT) | instid1(VALU_DEP_1)
	v_sub_nc_u32_e32 v2, v2, v3
	v_mad_u64_u32 v[3:4], null, v2, s46, v[0:1]
	v_mad_u64_u32 v[6:7], null, v2, s47, v[1:2]
	v_mov_b32_e32 v2, v8
	s_delay_alu instid0(VALU_DEP_2)
	v_dual_mov_b32 v0, v3 :: v_dual_mov_b32 v1, v6
	s_cbranch_scc1 .LBB289_11
.LBB289_12:
	s_and_not1_b32 vcc_lo, exec_lo, s38
	s_cbranch_vccnz .LBB289_15
; %bb.13:
	v_mul_hi_u32 v0, s13, v5
	s_and_not1_b32 vcc_lo, exec_lo, s34
	s_delay_alu instid0(VALU_DEP_1) | instskip(NEXT) | instid1(VALU_DEP_1)
	v_add_nc_u32_e32 v0, v5, v0
	v_lshrrev_b32_e32 v2, s14, v0
	s_delay_alu instid0(VALU_DEP_1) | instskip(NEXT) | instid1(VALU_DEP_1)
	v_mul_lo_u32 v0, v2, s12
	v_sub_nc_u32_e32 v1, v5, v0
	s_delay_alu instid0(VALU_DEP_1)
	v_mul_lo_u32 v0, v1, s8
	v_mul_lo_u32 v1, v1, s9
	s_cbranch_vccnz .LBB289_15
; %bb.14:
	v_mul_hi_u32 v3, s18, v2
	s_delay_alu instid0(VALU_DEP_1) | instskip(NEXT) | instid1(VALU_DEP_1)
	v_add_nc_u32_e32 v3, v2, v3
	v_lshrrev_b32_e32 v3, s19, v3
	s_delay_alu instid0(VALU_DEP_1) | instskip(NEXT) | instid1(VALU_DEP_1)
	v_mul_lo_u32 v3, v3, s15
	v_sub_nc_u32_e32 v6, v2, v3
	s_delay_alu instid0(VALU_DEP_1) | instskip(NEXT) | instid1(VALU_DEP_1)
	v_mad_u64_u32 v[2:3], null, v6, s10, v[0:1]
	v_mad_u64_u32 v[3:4], null, v6, s11, v[1:2]
	s_delay_alu instid0(VALU_DEP_1)
	v_dual_mov_b32 v0, v2 :: v_dual_mov_b32 v1, v3
.LBB289_15:
	v_cmp_lt_i16_e64 s2, s33, 11
	s_delay_alu instid0(VALU_DEP_2) | instskip(NEXT) | instid1(VALU_DEP_1)
	v_add_co_u32 v1, s3, s6, v1
	v_add_co_ci_u32_e64 v2, null, s7, 0, s3
	s_delay_alu instid0(VALU_DEP_3)
	s_and_b32 vcc_lo, exec_lo, s2
	s_mov_b32 s3, 0
	s_cbranch_vccnz .LBB289_22
; %bb.16:
	v_cmp_gt_i16_e64 s2, s33, 25
	s_delay_alu instid0(VALU_DEP_1)
	s_and_b32 vcc_lo, exec_lo, s2
	s_cbranch_vccz .LBB289_141
; %bb.17:
	v_cmp_gt_i16_e64 s2, s33, 28
	s_delay_alu instid0(VALU_DEP_1)
	s_and_b32 vcc_lo, exec_lo, s2
	s_cbranch_vccz .LBB289_142
	;; [unrolled: 5-line block ×4, first 2 shown]
; %bb.20:
	v_cmp_eq_u16_e64 s2, s33, 46
	s_mov_b32 s22, 0
	s_delay_alu instid0(VALU_DEP_1)
	s_and_b32 vcc_lo, exec_lo, s2
	s_cbranch_vccz .LBB289_145
; %bb.21:
	global_load_b32 v3, v[1:2], off
	s_mov_b32 s2, -1
	s_waitcnt vmcnt(0)
	v_lshlrev_b32_e32 v3, 16, v3
	s_delay_alu instid0(VALU_DEP_1)
	v_cvt_i32_f32_e32 v3, v3
	s_branch .LBB289_147
.LBB289_22:
	s_mov_b32 s2, 0
                                        ; implicit-def: $vgpr3
	s_cbranch_execnz .LBB289_209
.LBB289_23:
	s_and_not1_b32 vcc_lo, exec_lo, s2
	s_cbranch_vccnz .LBB289_256
.LBB289_24:
	s_waitcnt vmcnt(0)
	s_delay_alu instid0(VALU_DEP_1)
	v_bfe_i32 v1, v3, 0, 8
	s_bfe_i32 s2, s29, 0x80000
	v_and_b32_e64 v3, 0xff, s31
	s_bfe_i32 s22, s30, 0x80000
	s_mov_b32 s23, -1
	v_max_i16 v1, v1, s2
	s_mov_b32 s2, 0
	v_cmp_gt_i16_e32 vcc_lo, 11, v3
	s_delay_alu instid0(VALU_DEP_2) | instskip(SKIP_1) | instid1(VALU_DEP_1)
	v_min_i16 v2, v1, s22
	v_add_co_u32 v0, s22, s4, v0
	v_add_co_ci_u32_e64 v1, null, s5, 0, s22
	s_mov_b32 s22, 0
	s_cbranch_vccnz .LBB289_101
; %bb.25:
	v_cmp_lt_i16_e32 vcc_lo, 25, v3
	s_cbranch_vccz .LBB289_58
; %bb.26:
	v_cmp_lt_i16_e32 vcc_lo, 28, v3
	s_cbranch_vccz .LBB289_41
	;; [unrolled: 3-line block ×4, first 2 shown]
; %bb.29:
	v_cmp_eq_u16_e32 vcc_lo, 46, v3
	s_mov_b32 s23, 0
	s_mov_b32 s2, -1
	s_cbranch_vccz .LBB289_31
; %bb.30:
	v_bfe_i32 v4, v2, 0, 16
	s_mov_b32 s22, -1
	s_mov_b32 s2, 0
	s_delay_alu instid0(VALU_DEP_1) | instskip(NEXT) | instid1(VALU_DEP_1)
	v_cvt_f32_i32_e32 v4, v4
	v_bfe_u32 v6, v4, 16, 1
	s_delay_alu instid0(VALU_DEP_1) | instskip(NEXT) | instid1(VALU_DEP_1)
	v_add3_u32 v4, v4, v6, 0x7fff
	v_lshrrev_b32_e32 v4, 16, v4
	global_store_b32 v[0:1], v4, off
.LBB289_31:
	s_and_b32 vcc_lo, exec_lo, s23
	s_cbranch_vccz .LBB289_36
; %bb.32:
	v_cmp_eq_u16_e32 vcc_lo, 44, v3
	s_mov_b32 s2, -1
	s_cbranch_vccz .LBB289_36
; %bb.33:
	v_bfe_i32 v4, v2, 0, 16
	v_mov_b32_e32 v6, 0xff
	s_mov_b32 s22, exec_lo
	s_delay_alu instid0(VALU_DEP_2) | instskip(NEXT) | instid1(VALU_DEP_1)
	v_cvt_f32_i32_e32 v4, v4
	v_bfe_u32 v7, v4, 23, 8
	s_delay_alu instid0(VALU_DEP_1)
	v_cmpx_ne_u32_e32 0xff, v7
; %bb.34:
	v_and_b32_e32 v6, 0x400000, v4
	v_and_or_b32 v7, 0x3fffff, v4, v7
	v_lshrrev_b32_e32 v4, 23, v4
	s_delay_alu instid0(VALU_DEP_3) | instskip(NEXT) | instid1(VALU_DEP_3)
	v_cmp_ne_u32_e32 vcc_lo, 0, v6
	v_cmp_ne_u32_e64 s2, 0, v7
	s_delay_alu instid0(VALU_DEP_1) | instskip(NEXT) | instid1(SALU_CYCLE_1)
	s_and_b32 s2, vcc_lo, s2
	v_cndmask_b32_e64 v6, 0, 1, s2
	s_delay_alu instid0(VALU_DEP_1)
	v_add_nc_u32_e32 v6, v4, v6
; %bb.35:
	s_or_b32 exec_lo, exec_lo, s22
	s_mov_b32 s22, -1
	s_mov_b32 s2, 0
	global_store_b8 v[0:1], v6, off
.LBB289_36:
	s_mov_b32 s23, 0
.LBB289_37:
	s_delay_alu instid0(SALU_CYCLE_1)
	s_and_b32 vcc_lo, exec_lo, s23
	s_cbranch_vccz .LBB289_40
; %bb.38:
	v_cmp_eq_u16_e32 vcc_lo, 29, v3
	s_mov_b32 s2, -1
	s_cbranch_vccz .LBB289_40
; %bb.39:
	v_bfe_i32 v6, v2, 0, 16
	s_mov_b32 s2, 0
	s_mov_b32 s22, -1
	s_delay_alu instid0(VALU_DEP_1)
	v_ashrrev_i32_e32 v7, 31, v6
	global_store_b64 v[0:1], v[6:7], off
.LBB289_40:
	s_mov_b32 s23, 0
.LBB289_41:
	s_delay_alu instid0(SALU_CYCLE_1)
	s_and_b32 vcc_lo, exec_lo, s23
	s_cbranch_vccz .LBB289_57
; %bb.42:
	v_cmp_gt_i16_e32 vcc_lo, 27, v3
	s_mov_b32 s22, -1
	s_cbranch_vccnz .LBB289_48
; %bb.43:
	v_cmp_lt_i16_e32 vcc_lo, 27, v3
	s_cbranch_vccz .LBB289_45
; %bb.44:
	v_bfe_i32 v4, v2, 0, 16
	s_mov_b32 s22, 0
	global_store_b32 v[0:1], v4, off
.LBB289_45:
	s_and_not1_b32 vcc_lo, exec_lo, s22
	s_cbranch_vccnz .LBB289_47
; %bb.46:
	global_store_b16 v[0:1], v2, off
.LBB289_47:
	s_mov_b32 s22, 0
.LBB289_48:
	s_delay_alu instid0(SALU_CYCLE_1)
	s_and_not1_b32 vcc_lo, exec_lo, s22
	s_cbranch_vccnz .LBB289_56
; %bb.49:
	v_bfe_i32 v4, v2, 0, 16
	v_mov_b32_e32 v7, 0x80
	s_mov_b32 s22, exec_lo
	s_delay_alu instid0(VALU_DEP_2) | instskip(NEXT) | instid1(VALU_DEP_1)
	v_cvt_f32_i32_e32 v4, v4
	v_and_b32_e32 v6, 0x7fffffff, v4
	s_delay_alu instid0(VALU_DEP_1)
	v_cmpx_gt_u32_e32 0x43800000, v6
	s_cbranch_execz .LBB289_55
; %bb.50:
	v_cmp_lt_u32_e32 vcc_lo, 0x3bffffff, v6
	s_mov_b32 s23, 0
                                        ; implicit-def: $vgpr6
	s_and_saveexec_b32 s38, vcc_lo
	s_delay_alu instid0(SALU_CYCLE_1)
	s_xor_b32 s38, exec_lo, s38
	s_cbranch_execz .LBB289_150
; %bb.51:
	v_bfe_u32 v6, v4, 20, 1
	s_mov_b32 s23, exec_lo
	s_delay_alu instid0(VALU_DEP_1) | instskip(NEXT) | instid1(VALU_DEP_1)
	v_add3_u32 v6, v4, v6, 0x487ffff
	v_lshrrev_b32_e32 v6, 20, v6
	s_or_saveexec_b32 s38, s38
                                        ; implicit-def: $sgpr39
	s_delay_alu instid0(SALU_CYCLE_1)
	s_xor_b32 exec_lo, exec_lo, s38
	s_cbranch_execnz .LBB289_151
.LBB289_52:
	s_or_b32 exec_lo, exec_lo, s38
	v_mov_b32_e32 v7, s39
	s_and_saveexec_b32 s38, s23
.LBB289_53:
	v_lshrrev_b32_e32 v4, 24, v4
	s_delay_alu instid0(VALU_DEP_1)
	v_and_or_b32 v7, 0x80, v4, v6
.LBB289_54:
	s_or_b32 exec_lo, exec_lo, s38
.LBB289_55:
	s_delay_alu instid0(SALU_CYCLE_1)
	s_or_b32 exec_lo, exec_lo, s22
	global_store_b8 v[0:1], v7, off
.LBB289_56:
	s_mov_b32 s22, -1
.LBB289_57:
	s_mov_b32 s23, 0
.LBB289_58:
	s_delay_alu instid0(SALU_CYCLE_1)
	s_and_b32 vcc_lo, exec_lo, s23
	s_cbranch_vccz .LBB289_99
; %bb.59:
	v_cmp_lt_i16_e32 vcc_lo, 22, v3
	s_mov_b32 s23, -1
	s_cbranch_vccz .LBB289_91
; %bb.60:
	v_cmp_gt_i16_e32 vcc_lo, 24, v3
	s_mov_b32 s22, -1
	s_cbranch_vccnz .LBB289_80
; %bb.61:
	v_cmp_lt_i16_e32 vcc_lo, 24, v3
	s_cbranch_vccz .LBB289_69
; %bb.62:
	v_bfe_i32 v4, v2, 0, 16
	v_mov_b32_e32 v7, 0x80
	s_mov_b32 s22, exec_lo
	s_delay_alu instid0(VALU_DEP_2) | instskip(NEXT) | instid1(VALU_DEP_1)
	v_cvt_f32_i32_e32 v4, v4
	v_and_b32_e32 v6, 0x7fffffff, v4
	s_delay_alu instid0(VALU_DEP_1)
	v_cmpx_gt_u32_e32 0x47800000, v6
	s_cbranch_execz .LBB289_68
; %bb.63:
	v_cmp_lt_u32_e32 vcc_lo, 0x37ffffff, v6
	s_mov_b32 s23, 0
                                        ; implicit-def: $vgpr6
	s_and_saveexec_b32 s38, vcc_lo
	s_delay_alu instid0(SALU_CYCLE_1)
	s_xor_b32 s38, exec_lo, s38
	s_cbranch_execz .LBB289_337
; %bb.64:
	v_bfe_u32 v6, v4, 21, 1
	s_mov_b32 s23, exec_lo
	s_delay_alu instid0(VALU_DEP_1) | instskip(NEXT) | instid1(VALU_DEP_1)
	v_add3_u32 v6, v4, v6, 0x88fffff
	v_lshrrev_b32_e32 v6, 21, v6
	s_or_saveexec_b32 s38, s38
                                        ; implicit-def: $sgpr39
	s_delay_alu instid0(SALU_CYCLE_1)
	s_xor_b32 exec_lo, exec_lo, s38
	s_cbranch_execnz .LBB289_338
.LBB289_65:
	s_or_b32 exec_lo, exec_lo, s38
	v_mov_b32_e32 v7, s39
	s_and_saveexec_b32 s38, s23
.LBB289_66:
	v_lshrrev_b32_e32 v4, 24, v4
	s_delay_alu instid0(VALU_DEP_1)
	v_and_or_b32 v7, 0x80, v4, v6
.LBB289_67:
	s_or_b32 exec_lo, exec_lo, s38
.LBB289_68:
	s_delay_alu instid0(SALU_CYCLE_1)
	s_or_b32 exec_lo, exec_lo, s22
	s_mov_b32 s22, 0
	global_store_b8 v[0:1], v7, off
.LBB289_69:
	s_and_b32 vcc_lo, exec_lo, s22
	s_cbranch_vccz .LBB289_79
; %bb.70:
	v_bfe_i32 v4, v2, 0, 16
	s_mov_b32 s22, exec_lo
                                        ; implicit-def: $vgpr6
	s_delay_alu instid0(VALU_DEP_1) | instskip(NEXT) | instid1(VALU_DEP_1)
	v_cvt_f32_i32_e32 v4, v4
	v_and_b32_e32 v7, 0x7fffffff, v4
	s_delay_alu instid0(VALU_DEP_1)
	v_cmpx_gt_u32_e32 0x43f00000, v7
	s_xor_b32 s22, exec_lo, s22
	s_cbranch_execz .LBB289_76
; %bb.71:
	s_mov_b32 s23, exec_lo
                                        ; implicit-def: $vgpr6
	v_cmpx_lt_u32_e32 0x3c7fffff, v7
	s_xor_b32 s23, exec_lo, s23
; %bb.72:
	v_bfe_u32 v6, v4, 20, 1
	s_delay_alu instid0(VALU_DEP_1) | instskip(NEXT) | instid1(VALU_DEP_1)
	v_add3_u32 v6, v4, v6, 0x407ffff
	v_and_b32_e32 v7, 0xff00000, v6
	v_lshrrev_b32_e32 v6, 20, v6
	s_delay_alu instid0(VALU_DEP_2) | instskip(NEXT) | instid1(VALU_DEP_2)
	v_cmp_ne_u32_e32 vcc_lo, 0x7f00000, v7
	v_cndmask_b32_e32 v6, 0x7e, v6, vcc_lo
; %bb.73:
	s_and_not1_saveexec_b32 s23, s23
; %bb.74:
	v_add_f32_e64 v6, 0x46800000, |v4|
; %bb.75:
	s_or_b32 exec_lo, exec_lo, s23
                                        ; implicit-def: $vgpr7
.LBB289_76:
	s_and_not1_saveexec_b32 s22, s22
; %bb.77:
	v_mov_b32_e32 v6, 0x7f
	v_cmp_lt_u32_e32 vcc_lo, 0x7f800000, v7
	s_delay_alu instid0(VALU_DEP_2)
	v_cndmask_b32_e32 v6, 0x7e, v6, vcc_lo
; %bb.78:
	s_or_b32 exec_lo, exec_lo, s22
	v_lshrrev_b32_e32 v4, 24, v4
	s_delay_alu instid0(VALU_DEP_1)
	v_and_or_b32 v4, 0x80, v4, v6
	global_store_b8 v[0:1], v4, off
.LBB289_79:
	s_mov_b32 s22, 0
.LBB289_80:
	s_delay_alu instid0(SALU_CYCLE_1)
	s_and_not1_b32 vcc_lo, exec_lo, s22
	s_cbranch_vccnz .LBB289_90
; %bb.81:
	v_bfe_i32 v4, v2, 0, 16
	s_mov_b32 s22, exec_lo
                                        ; implicit-def: $vgpr6
	s_delay_alu instid0(VALU_DEP_1) | instskip(NEXT) | instid1(VALU_DEP_1)
	v_cvt_f32_i32_e32 v4, v4
	v_and_b32_e32 v7, 0x7fffffff, v4
	s_delay_alu instid0(VALU_DEP_1)
	v_cmpx_gt_u32_e32 0x47800000, v7
	s_xor_b32 s22, exec_lo, s22
	s_cbranch_execz .LBB289_87
; %bb.82:
	s_mov_b32 s23, exec_lo
                                        ; implicit-def: $vgpr6
	v_cmpx_lt_u32_e32 0x387fffff, v7
	s_xor_b32 s23, exec_lo, s23
; %bb.83:
	v_bfe_u32 v6, v4, 21, 1
	s_delay_alu instid0(VALU_DEP_1) | instskip(NEXT) | instid1(VALU_DEP_1)
	v_add3_u32 v6, v4, v6, 0x80fffff
	v_lshrrev_b32_e32 v6, 21, v6
; %bb.84:
	s_and_not1_saveexec_b32 s23, s23
; %bb.85:
	v_add_f32_e64 v6, 0x43000000, |v4|
; %bb.86:
	s_or_b32 exec_lo, exec_lo, s23
                                        ; implicit-def: $vgpr7
.LBB289_87:
	s_and_not1_saveexec_b32 s22, s22
; %bb.88:
	v_mov_b32_e32 v6, 0x7f
	v_cmp_lt_u32_e32 vcc_lo, 0x7f800000, v7
	s_delay_alu instid0(VALU_DEP_2)
	v_cndmask_b32_e32 v6, 0x7c, v6, vcc_lo
; %bb.89:
	s_or_b32 exec_lo, exec_lo, s22
	v_lshrrev_b32_e32 v4, 24, v4
	s_delay_alu instid0(VALU_DEP_1)
	v_and_or_b32 v4, 0x80, v4, v6
	global_store_b8 v[0:1], v4, off
.LBB289_90:
	s_mov_b32 s23, 0
	s_mov_b32 s22, -1
.LBB289_91:
	s_and_not1_b32 vcc_lo, exec_lo, s23
	s_cbranch_vccnz .LBB289_99
; %bb.92:
	v_cmp_lt_i16_e32 vcc_lo, 14, v3
	s_mov_b32 s23, -1
	s_cbranch_vccz .LBB289_96
; %bb.93:
	v_cmp_eq_u16_e32 vcc_lo, 15, v3
	s_mov_b32 s2, -1
	s_cbranch_vccz .LBB289_95
; %bb.94:
	v_bfe_i32 v4, v2, 0, 16
	s_mov_b32 s22, -1
	s_mov_b32 s2, 0
	s_delay_alu instid0(VALU_DEP_1) | instskip(NEXT) | instid1(VALU_DEP_1)
	v_cvt_f32_i32_e32 v4, v4
	v_bfe_u32 v6, v4, 16, 1
	s_delay_alu instid0(VALU_DEP_1)
	v_add3_u32 v4, v4, v6, 0x7fff
	global_store_d16_hi_b16 v[0:1], v4, off
.LBB289_95:
	s_mov_b32 s23, 0
.LBB289_96:
	s_delay_alu instid0(SALU_CYCLE_1)
	s_and_b32 vcc_lo, exec_lo, s23
	s_cbranch_vccz .LBB289_99
; %bb.97:
	v_cmp_eq_u16_e32 vcc_lo, 11, v3
	s_mov_b32 s2, -1
	s_cbranch_vccz .LBB289_99
; %bb.98:
	v_cmp_ne_u16_e32 vcc_lo, 0, v2
	s_mov_b32 s2, 0
	s_mov_b32 s22, -1
	v_cndmask_b32_e64 v4, 0, 1, vcc_lo
	global_store_b8 v[0:1], v4, off
.LBB289_99:
.LBB289_100:
	s_and_not1_b32 vcc_lo, exec_lo, s22
	s_cbranch_vccz .LBB289_140
	s_branch .LBB289_257
.LBB289_101:
	s_and_b32 vcc_lo, exec_lo, s23
	s_cbranch_vccz .LBB289_100
; %bb.102:
	v_cmp_gt_i16_e32 vcc_lo, 5, v3
	s_mov_b32 s22, -1
	s_cbranch_vccnz .LBB289_123
; %bb.103:
	v_cmp_gt_i16_e32 vcc_lo, 8, v3
	s_cbranch_vccnz .LBB289_113
; %bb.104:
	v_cmp_gt_i16_e32 vcc_lo, 9, v3
	s_cbranch_vccnz .LBB289_110
; %bb.105:
	v_cmp_lt_i16_e32 vcc_lo, 9, v3
	s_cbranch_vccz .LBB289_107
; %bb.106:
	v_bfe_i32 v4, v2, 0, 16
	v_mov_b32_e32 v8, 0
	s_mov_b32 s22, 0
	s_delay_alu instid0(VALU_DEP_2) | instskip(NEXT) | instid1(VALU_DEP_2)
	v_cvt_f64_i32_e32 v[6:7], v4
	v_mov_b32_e32 v9, v8
	global_store_b128 v[0:1], v[6:9], off
.LBB289_107:
	s_and_not1_b32 vcc_lo, exec_lo, s22
	s_cbranch_vccnz .LBB289_109
; %bb.108:
	v_bfe_i32 v4, v2, 0, 16
	v_mov_b32_e32 v7, 0
	s_delay_alu instid0(VALU_DEP_2)
	v_cvt_f32_i32_e32 v6, v4
	global_store_b64 v[0:1], v[6:7], off
.LBB289_109:
	s_mov_b32 s22, 0
.LBB289_110:
	s_delay_alu instid0(SALU_CYCLE_1)
	s_and_not1_b32 vcc_lo, exec_lo, s22
	s_cbranch_vccnz .LBB289_112
; %bb.111:
	v_cvt_f16_i16_e32 v4, v2
	s_delay_alu instid0(VALU_DEP_1)
	v_and_b32_e32 v4, 0xffff, v4
	global_store_b32 v[0:1], v4, off
.LBB289_112:
	s_mov_b32 s22, 0
.LBB289_113:
	s_delay_alu instid0(SALU_CYCLE_1)
	s_and_not1_b32 vcc_lo, exec_lo, s22
	s_cbranch_vccnz .LBB289_122
; %bb.114:
	v_cmp_gt_i16_e32 vcc_lo, 6, v3
	s_mov_b32 s22, -1
	s_cbranch_vccnz .LBB289_120
; %bb.115:
	v_cmp_lt_i16_e32 vcc_lo, 6, v3
	s_cbranch_vccz .LBB289_117
; %bb.116:
	v_bfe_i32 v4, v2, 0, 16
	s_mov_b32 s22, 0
	s_delay_alu instid0(VALU_DEP_1)
	v_cvt_f64_i32_e32 v[6:7], v4
	global_store_b64 v[0:1], v[6:7], off
.LBB289_117:
	s_and_not1_b32 vcc_lo, exec_lo, s22
	s_cbranch_vccnz .LBB289_119
; %bb.118:
	v_bfe_i32 v4, v2, 0, 16
	s_delay_alu instid0(VALU_DEP_1)
	v_cvt_f32_i32_e32 v4, v4
	global_store_b32 v[0:1], v4, off
.LBB289_119:
	s_mov_b32 s22, 0
.LBB289_120:
	s_delay_alu instid0(SALU_CYCLE_1)
	s_and_not1_b32 vcc_lo, exec_lo, s22
	s_cbranch_vccnz .LBB289_122
; %bb.121:
	v_cvt_f16_i16_e32 v4, v2
	global_store_b16 v[0:1], v4, off
.LBB289_122:
	s_mov_b32 s22, 0
.LBB289_123:
	s_delay_alu instid0(SALU_CYCLE_1)
	s_and_not1_b32 vcc_lo, exec_lo, s22
	s_cbranch_vccnz .LBB289_139
; %bb.124:
	v_cmp_gt_i16_e32 vcc_lo, 2, v3
	s_mov_b32 s22, -1
	s_cbranch_vccnz .LBB289_134
; %bb.125:
	v_cmp_gt_i16_e32 vcc_lo, 3, v3
	s_cbranch_vccnz .LBB289_131
; %bb.126:
	v_cmp_lt_i16_e32 vcc_lo, 3, v3
	s_cbranch_vccz .LBB289_128
; %bb.127:
	v_bfe_i32 v6, v2, 0, 16
	s_mov_b32 s22, 0
	s_delay_alu instid0(VALU_DEP_1)
	v_ashrrev_i32_e32 v7, 31, v6
	global_store_b64 v[0:1], v[6:7], off
.LBB289_128:
	s_and_not1_b32 vcc_lo, exec_lo, s22
	s_cbranch_vccnz .LBB289_130
; %bb.129:
	v_bfe_i32 v4, v2, 0, 16
	global_store_b32 v[0:1], v4, off
.LBB289_130:
	s_mov_b32 s22, 0
.LBB289_131:
	s_delay_alu instid0(SALU_CYCLE_1)
	s_and_not1_b32 vcc_lo, exec_lo, s22
	s_cbranch_vccnz .LBB289_133
; %bb.132:
	global_store_b16 v[0:1], v2, off
.LBB289_133:
	s_mov_b32 s22, 0
.LBB289_134:
	s_delay_alu instid0(SALU_CYCLE_1)
	s_and_not1_b32 vcc_lo, exec_lo, s22
	s_cbranch_vccnz .LBB289_139
; %bb.135:
	v_cmp_lt_i16_e32 vcc_lo, 0, v3
	s_mov_b32 s22, -1
	s_cbranch_vccz .LBB289_137
; %bb.136:
	s_mov_b32 s22, 0
	global_store_b8 v[0:1], v2, off
.LBB289_137:
	s_and_not1_b32 vcc_lo, exec_lo, s22
	s_cbranch_vccnz .LBB289_139
; %bb.138:
	global_store_b8 v[0:1], v2, off
.LBB289_139:
.LBB289_140:
	v_add_nc_u32_e32 v5, 0x80, v5
	s_mov_b32 s22, -1
	s_branch .LBB289_258
.LBB289_141:
	s_mov_b32 s2, 0
                                        ; implicit-def: $vgpr3
	s_cbranch_execnz .LBB289_176
	s_branch .LBB289_208
.LBB289_142:
	s_mov_b32 s22, -1
	s_mov_b32 s2, 0
                                        ; implicit-def: $vgpr3
	s_branch .LBB289_159
.LBB289_143:
	s_mov_b32 s22, -1
	s_mov_b32 s2, 0
                                        ; implicit-def: $vgpr3
	s_branch .LBB289_154
.LBB289_144:
	s_mov_b32 s22, -1
	s_branch .LBB289_146
.LBB289_145:
	s_mov_b32 s3, -1
.LBB289_146:
	s_mov_b32 s2, 0
                                        ; implicit-def: $vgpr3
.LBB289_147:
	s_and_b32 vcc_lo, exec_lo, s22
	s_cbranch_vccz .LBB289_153
; %bb.148:
	v_cmp_eq_u16_e64 s3, s33, 44
	s_delay_alu instid0(VALU_DEP_1)
	s_and_b32 vcc_lo, exec_lo, s3
	s_cbranch_vccz .LBB289_152
; %bb.149:
	global_load_u8 v3, v[1:2], off
	s_mov_b32 s3, 0
	s_mov_b32 s2, -1
	s_waitcnt vmcnt(0)
	v_lshlrev_b32_e32 v4, 23, v3
	v_cmp_ne_u32_e32 vcc_lo, 0, v3
	s_delay_alu instid0(VALU_DEP_2) | instskip(NEXT) | instid1(VALU_DEP_1)
	v_cvt_i32_f32_e32 v4, v4
	v_cndmask_b32_e32 v3, 0, v4, vcc_lo
	s_branch .LBB289_153
.LBB289_150:
	s_or_saveexec_b32 s38, s38
                                        ; implicit-def: $sgpr39
	s_delay_alu instid0(SALU_CYCLE_1)
	s_xor_b32 exec_lo, exec_lo, s38
	s_cbranch_execz .LBB289_52
.LBB289_151:
	v_add_f32_e64 v6, 0x46000000, |v4|
	s_and_not1_b32 s23, s23, exec_lo
	s_mov_b32 s39, 0
	s_delay_alu instid0(VALU_DEP_1) | instskip(NEXT) | instid1(VALU_DEP_1)
	v_and_b32_e32 v6, 0xff, v6
	v_cmp_ne_u32_e32 vcc_lo, 0, v6
	s_and_b32 s42, vcc_lo, exec_lo
	s_delay_alu instid0(SALU_CYCLE_1)
	s_or_b32 s23, s23, s42
	s_or_b32 exec_lo, exec_lo, s38
	v_mov_b32_e32 v7, s39
	s_and_saveexec_b32 s38, s23
	s_cbranch_execnz .LBB289_53
	s_branch .LBB289_54
.LBB289_152:
	s_mov_b32 s3, -1
                                        ; implicit-def: $vgpr3
.LBB289_153:
	s_mov_b32 s22, 0
.LBB289_154:
	s_delay_alu instid0(SALU_CYCLE_1)
	s_and_b32 vcc_lo, exec_lo, s22
	s_cbranch_vccz .LBB289_158
; %bb.155:
	v_cmp_eq_u16_e64 s3, s33, 29
	s_delay_alu instid0(VALU_DEP_1)
	s_and_b32 vcc_lo, exec_lo, s3
	s_cbranch_vccz .LBB289_157
; %bb.156:
	global_load_b64 v[3:4], v[1:2], off
	s_mov_b32 s2, -1
	s_mov_b32 s3, 0
	s_branch .LBB289_158
.LBB289_157:
	s_mov_b32 s3, -1
                                        ; implicit-def: $vgpr3
.LBB289_158:
	s_mov_b32 s22, 0
.LBB289_159:
	s_delay_alu instid0(SALU_CYCLE_1)
	s_and_b32 vcc_lo, exec_lo, s22
	s_cbranch_vccz .LBB289_175
; %bb.160:
	v_cmp_lt_i16_e64 s2, s33, 27
	s_delay_alu instid0(VALU_DEP_1)
	s_and_b32 vcc_lo, exec_lo, s2
	s_cbranch_vccnz .LBB289_163
; %bb.161:
	v_cmp_gt_i16_e64 s2, s33, 27
	s_delay_alu instid0(VALU_DEP_1)
	s_and_b32 vcc_lo, exec_lo, s2
	s_cbranch_vccz .LBB289_164
; %bb.162:
	global_load_b32 v3, v[1:2], off
	s_mov_b32 s2, 0
	s_branch .LBB289_165
.LBB289_163:
	s_mov_b32 s2, -1
                                        ; implicit-def: $vgpr3
	s_branch .LBB289_168
.LBB289_164:
	s_mov_b32 s2, -1
                                        ; implicit-def: $vgpr3
.LBB289_165:
	s_delay_alu instid0(SALU_CYCLE_1)
	s_and_not1_b32 vcc_lo, exec_lo, s2
	s_cbranch_vccnz .LBB289_167
; %bb.166:
	global_load_u16 v3, v[1:2], off
.LBB289_167:
	s_mov_b32 s2, 0
.LBB289_168:
	s_delay_alu instid0(SALU_CYCLE_1)
	s_and_not1_b32 vcc_lo, exec_lo, s2
	s_cbranch_vccnz .LBB289_174
; %bb.169:
	global_load_u8 v4, v[1:2], off
	s_mov_b32 s2, 0
	s_mov_b32 s22, exec_lo
                                        ; implicit-def: $sgpr23
	s_waitcnt vmcnt(0)
	v_cmpx_lt_i16_e32 0x7f, v4
	s_xor_b32 s22, exec_lo, s22
	s_cbranch_execz .LBB289_185
; %bb.170:
	v_cmp_ne_u16_e32 vcc_lo, 0x80, v4
	s_mov_b32 s23, 0
	s_and_b32 s2, vcc_lo, exec_lo
	s_or_saveexec_b32 s22, s22
	v_mov_b32_e32 v3, s23
	s_xor_b32 exec_lo, exec_lo, s22
	s_cbranch_execnz .LBB289_186
.LBB289_171:
	s_or_b32 exec_lo, exec_lo, s22
	s_and_saveexec_b32 s22, s2
	s_cbranch_execz .LBB289_173
.LBB289_172:
	v_and_b32_e32 v3, 0xffff, v4
	v_lshlrev_b32_e32 v4, 24, v4
	s_delay_alu instid0(VALU_DEP_2) | instskip(NEXT) | instid1(VALU_DEP_2)
	v_and_b32_e32 v6, 7, v3
	v_and_b32_e32 v4, 0x80000000, v4
	s_delay_alu instid0(VALU_DEP_2) | instskip(NEXT) | instid1(VALU_DEP_1)
	v_clz_i32_u32_e32 v7, v6
	v_min_u32_e32 v7, 32, v7
	s_delay_alu instid0(VALU_DEP_1) | instskip(SKIP_1) | instid1(VALU_DEP_2)
	v_subrev_nc_u32_e32 v8, 28, v7
	v_sub_nc_u32_e32 v7, 29, v7
	v_lshlrev_b32_e32 v8, v8, v3
	v_bfe_u32 v3, v3, 3, 4
	s_delay_alu instid0(VALU_DEP_1) | instskip(NEXT) | instid1(VALU_DEP_3)
	v_cmp_eq_u32_e32 vcc_lo, 0, v3
	v_dual_cndmask_b32 v3, v3, v7 :: v_dual_and_b32 v8, 7, v8
	s_delay_alu instid0(VALU_DEP_1) | instskip(NEXT) | instid1(VALU_DEP_2)
	v_cndmask_b32_e32 v6, v6, v8, vcc_lo
	v_lshl_add_u32 v3, v3, 23, 0x3b800000
	s_delay_alu instid0(VALU_DEP_2) | instskip(NEXT) | instid1(VALU_DEP_1)
	v_lshlrev_b32_e32 v6, 20, v6
	v_or3_b32 v3, v4, v3, v6
	s_delay_alu instid0(VALU_DEP_1)
	v_cvt_i32_f32_e32 v3, v3
.LBB289_173:
	s_or_b32 exec_lo, exec_lo, s22
.LBB289_174:
	s_mov_b32 s2, -1
.LBB289_175:
	s_branch .LBB289_208
.LBB289_176:
	v_cmp_gt_i16_e64 s22, s33, 22
	s_delay_alu instid0(VALU_DEP_1)
	s_and_b32 vcc_lo, exec_lo, s22
	s_cbranch_vccz .LBB289_184
; %bb.177:
	v_cmp_lt_i16_e64 s2, s33, 24
	s_delay_alu instid0(VALU_DEP_1)
	s_and_b32 vcc_lo, exec_lo, s2
	s_cbranch_vccnz .LBB289_187
; %bb.178:
	v_cmp_gt_i16_e64 s2, s33, 24
	s_delay_alu instid0(VALU_DEP_1)
	s_and_b32 vcc_lo, exec_lo, s2
	s_cbranch_vccz .LBB289_188
; %bb.179:
	global_load_u8 v4, v[1:2], off
	s_mov_b32 s2, 0
	s_mov_b32 s22, exec_lo
                                        ; implicit-def: $sgpr23
	s_waitcnt vmcnt(0)
	v_cmpx_lt_i16_e32 0x7f, v4
	s_xor_b32 s22, exec_lo, s22
	s_cbranch_execz .LBB289_200
; %bb.180:
	v_cmp_ne_u16_e32 vcc_lo, 0x80, v4
	s_mov_b32 s23, 0
	s_and_b32 s2, vcc_lo, exec_lo
	s_or_saveexec_b32 s22, s22
	v_mov_b32_e32 v3, s23
	s_xor_b32 exec_lo, exec_lo, s22
	s_cbranch_execnz .LBB289_201
.LBB289_181:
	s_or_b32 exec_lo, exec_lo, s22
	s_and_saveexec_b32 s22, s2
	s_cbranch_execz .LBB289_183
.LBB289_182:
	v_and_b32_e32 v3, 0xffff, v4
	v_lshlrev_b32_e32 v4, 24, v4
	s_delay_alu instid0(VALU_DEP_2) | instskip(NEXT) | instid1(VALU_DEP_2)
	v_and_b32_e32 v6, 3, v3
	v_and_b32_e32 v4, 0x80000000, v4
	s_delay_alu instid0(VALU_DEP_2) | instskip(NEXT) | instid1(VALU_DEP_1)
	v_clz_i32_u32_e32 v7, v6
	v_min_u32_e32 v7, 32, v7
	s_delay_alu instid0(VALU_DEP_1) | instskip(SKIP_1) | instid1(VALU_DEP_2)
	v_subrev_nc_u32_e32 v8, 29, v7
	v_sub_nc_u32_e32 v7, 30, v7
	v_lshlrev_b32_e32 v8, v8, v3
	v_bfe_u32 v3, v3, 2, 5
	s_delay_alu instid0(VALU_DEP_1) | instskip(NEXT) | instid1(VALU_DEP_3)
	v_cmp_eq_u32_e32 vcc_lo, 0, v3
	v_dual_cndmask_b32 v3, v3, v7 :: v_dual_and_b32 v8, 3, v8
	s_delay_alu instid0(VALU_DEP_1) | instskip(NEXT) | instid1(VALU_DEP_2)
	v_cndmask_b32_e32 v6, v6, v8, vcc_lo
	v_lshl_add_u32 v3, v3, 23, 0x37800000
	s_delay_alu instid0(VALU_DEP_2) | instskip(NEXT) | instid1(VALU_DEP_1)
	v_lshlrev_b32_e32 v6, 21, v6
	v_or3_b32 v3, v4, v3, v6
	s_delay_alu instid0(VALU_DEP_1)
	v_cvt_i32_f32_e32 v3, v3
.LBB289_183:
	s_or_b32 exec_lo, exec_lo, s22
	s_mov_b32 s2, 0
	s_branch .LBB289_189
.LBB289_184:
	s_mov_b32 s22, -1
                                        ; implicit-def: $vgpr3
	s_branch .LBB289_195
.LBB289_185:
	s_or_saveexec_b32 s22, s22
	v_mov_b32_e32 v3, s23
	s_xor_b32 exec_lo, exec_lo, s22
	s_cbranch_execz .LBB289_171
.LBB289_186:
	v_cmp_ne_u16_e32 vcc_lo, 0, v4
	v_mov_b32_e32 v3, 0
	s_and_not1_b32 s2, s2, exec_lo
	s_and_b32 s23, vcc_lo, exec_lo
	s_delay_alu instid0(SALU_CYCLE_1)
	s_or_b32 s2, s2, s23
	s_or_b32 exec_lo, exec_lo, s22
	s_and_saveexec_b32 s22, s2
	s_cbranch_execnz .LBB289_172
	s_branch .LBB289_173
.LBB289_187:
	s_mov_b32 s2, -1
                                        ; implicit-def: $vgpr3
	s_branch .LBB289_192
.LBB289_188:
	s_mov_b32 s2, -1
                                        ; implicit-def: $vgpr3
.LBB289_189:
	s_delay_alu instid0(SALU_CYCLE_1)
	s_and_b32 vcc_lo, exec_lo, s2
	s_cbranch_vccz .LBB289_191
; %bb.190:
	global_load_u8 v3, v[1:2], off
	s_waitcnt vmcnt(0)
	v_lshlrev_b32_e32 v3, 24, v3
	s_delay_alu instid0(VALU_DEP_1) | instskip(NEXT) | instid1(VALU_DEP_1)
	v_and_b32_e32 v4, 0x7f000000, v3
	v_clz_i32_u32_e32 v6, v4
	v_add_nc_u32_e32 v8, 0x1000000, v4
	v_cmp_ne_u32_e32 vcc_lo, 0, v4
	s_delay_alu instid0(VALU_DEP_3) | instskip(NEXT) | instid1(VALU_DEP_1)
	v_min_u32_e32 v6, 32, v6
	v_sub_nc_u32_e64 v6, v6, 4 clamp
	s_delay_alu instid0(VALU_DEP_1) | instskip(SKIP_1) | instid1(VALU_DEP_2)
	v_lshlrev_b32_e32 v7, v6, v4
	v_lshlrev_b32_e32 v6, 23, v6
	v_lshrrev_b32_e32 v7, 4, v7
	s_delay_alu instid0(VALU_DEP_1) | instskip(SKIP_1) | instid1(VALU_DEP_2)
	v_sub_nc_u32_e32 v6, v7, v6
	v_ashrrev_i32_e32 v7, 8, v8
	v_add_nc_u32_e32 v6, 0x3c000000, v6
	s_delay_alu instid0(VALU_DEP_1) | instskip(NEXT) | instid1(VALU_DEP_1)
	v_and_or_b32 v6, 0x7f800000, v7, v6
	v_cndmask_b32_e32 v4, 0, v6, vcc_lo
	s_delay_alu instid0(VALU_DEP_1) | instskip(NEXT) | instid1(VALU_DEP_1)
	v_and_or_b32 v3, 0x80000000, v3, v4
	v_cvt_i32_f32_e32 v3, v3
.LBB289_191:
	s_mov_b32 s2, 0
.LBB289_192:
	s_delay_alu instid0(SALU_CYCLE_1)
	s_and_not1_b32 vcc_lo, exec_lo, s2
	s_cbranch_vccnz .LBB289_194
; %bb.193:
	global_load_u8 v3, v[1:2], off
	s_waitcnt vmcnt(0)
	v_lshlrev_b32_e32 v4, 25, v3
	v_lshlrev_b16 v3, 8, v3
	s_delay_alu instid0(VALU_DEP_2) | instskip(NEXT) | instid1(VALU_DEP_2)
	v_lshrrev_b32_e32 v6, 4, v4
	v_and_or_b32 v7, 0x7f00, v3, 0.5
	v_cmp_gt_u32_e32 vcc_lo, 0x8000000, v4
	v_bfe_i32 v3, v3, 0, 16
	s_delay_alu instid0(VALU_DEP_4) | instskip(NEXT) | instid1(VALU_DEP_1)
	v_or_b32_e32 v6, 0x70000000, v6
	v_dual_add_f32 v7, -0.5, v7 :: v_dual_mul_f32 v6, 0x7800000, v6
	s_delay_alu instid0(VALU_DEP_1) | instskip(NEXT) | instid1(VALU_DEP_1)
	v_cndmask_b32_e32 v4, v6, v7, vcc_lo
	v_and_or_b32 v3, 0x80000000, v3, v4
	s_delay_alu instid0(VALU_DEP_1)
	v_cvt_i32_f32_e32 v3, v3
.LBB289_194:
	s_mov_b32 s22, 0
	s_mov_b32 s2, -1
.LBB289_195:
	s_and_not1_b32 vcc_lo, exec_lo, s22
	s_cbranch_vccnz .LBB289_208
; %bb.196:
	v_cmp_gt_i16_e64 s22, s33, 14
	s_delay_alu instid0(VALU_DEP_1)
	s_and_b32 vcc_lo, exec_lo, s22
	s_cbranch_vccz .LBB289_199
; %bb.197:
	v_cmp_eq_u16_e64 s3, s33, 15
	s_delay_alu instid0(VALU_DEP_1)
	s_and_b32 vcc_lo, exec_lo, s3
	s_cbranch_vccz .LBB289_202
; %bb.198:
	global_load_u16 v3, v[1:2], off
	s_mov_b32 s2, -1
	s_mov_b32 s3, 0
	s_waitcnt vmcnt(0)
	v_lshlrev_b32_e32 v3, 16, v3
	s_delay_alu instid0(VALU_DEP_1)
	v_cvt_i32_f32_e32 v3, v3
	s_branch .LBB289_203
.LBB289_199:
	s_mov_b32 s22, -1
                                        ; implicit-def: $vgpr3
	s_branch .LBB289_204
.LBB289_200:
	s_or_saveexec_b32 s22, s22
	v_mov_b32_e32 v3, s23
	s_xor_b32 exec_lo, exec_lo, s22
	s_cbranch_execz .LBB289_181
.LBB289_201:
	v_cmp_ne_u16_e32 vcc_lo, 0, v4
	v_mov_b32_e32 v3, 0
	s_and_not1_b32 s2, s2, exec_lo
	s_and_b32 s23, vcc_lo, exec_lo
	s_delay_alu instid0(SALU_CYCLE_1)
	s_or_b32 s2, s2, s23
	s_or_b32 exec_lo, exec_lo, s22
	s_and_saveexec_b32 s22, s2
	s_cbranch_execnz .LBB289_182
	s_branch .LBB289_183
.LBB289_202:
	s_mov_b32 s3, -1
                                        ; implicit-def: $vgpr3
.LBB289_203:
	s_mov_b32 s22, 0
.LBB289_204:
	s_delay_alu instid0(SALU_CYCLE_1)
	s_and_b32 vcc_lo, exec_lo, s22
	s_cbranch_vccz .LBB289_208
; %bb.205:
	v_cmp_eq_u16_e64 s3, s33, 11
	s_delay_alu instid0(VALU_DEP_1)
	s_and_b32 vcc_lo, exec_lo, s3
	s_cbranch_vccz .LBB289_207
; %bb.206:
	global_load_u8 v3, v[1:2], off
	s_mov_b32 s3, 0
	s_mov_b32 s2, -1
	s_waitcnt vmcnt(0)
	v_cmp_ne_u16_e32 vcc_lo, 0, v3
	v_cndmask_b32_e64 v3, 0, 1, vcc_lo
	s_branch .LBB289_208
.LBB289_207:
	s_mov_b32 s3, -1
                                        ; implicit-def: $vgpr3
.LBB289_208:
	s_branch .LBB289_23
.LBB289_209:
	v_cmp_lt_i16_e64 s2, s33, 5
	s_delay_alu instid0(VALU_DEP_1)
	s_and_b32 vcc_lo, exec_lo, s2
	s_cbranch_vccnz .LBB289_214
; %bb.210:
	v_cmp_lt_i16_e64 s2, s33, 8
	s_delay_alu instid0(VALU_DEP_1)
	s_and_b32 vcc_lo, exec_lo, s2
	s_cbranch_vccnz .LBB289_215
; %bb.211:
	;; [unrolled: 5-line block ×3, first 2 shown]
	v_cmp_gt_i16_e64 s2, s33, 9
	s_delay_alu instid0(VALU_DEP_1)
	s_and_b32 vcc_lo, exec_lo, s2
	s_cbranch_vccz .LBB289_217
; %bb.213:
	global_load_b64 v[3:4], v[1:2], off
	s_mov_b32 s2, 0
	s_waitcnt vmcnt(0)
	v_cvt_i32_f64_e32 v3, v[3:4]
	s_branch .LBB289_218
.LBB289_214:
                                        ; implicit-def: $vgpr3
	s_branch .LBB289_236
.LBB289_215:
	s_mov_b32 s2, -1
                                        ; implicit-def: $vgpr3
	s_branch .LBB289_224
.LBB289_216:
	s_mov_b32 s2, -1
                                        ; implicit-def: $vgpr3
	s_branch .LBB289_221
.LBB289_217:
	s_mov_b32 s2, -1
                                        ; implicit-def: $vgpr3
.LBB289_218:
	s_delay_alu instid0(SALU_CYCLE_1)
	s_and_not1_b32 vcc_lo, exec_lo, s2
	s_cbranch_vccnz .LBB289_220
; %bb.219:
	global_load_b32 v3, v[1:2], off
	s_waitcnt vmcnt(0)
	v_cvt_i32_f32_e32 v3, v3
.LBB289_220:
	s_mov_b32 s2, 0
.LBB289_221:
	s_delay_alu instid0(SALU_CYCLE_1)
	s_and_not1_b32 vcc_lo, exec_lo, s2
	s_cbranch_vccnz .LBB289_223
; %bb.222:
	global_load_b32 v3, v[1:2], off
	s_waitcnt vmcnt(0)
	v_cvt_i16_f16_e32 v3, v3
.LBB289_223:
	s_mov_b32 s2, 0
.LBB289_224:
	s_delay_alu instid0(SALU_CYCLE_1)
	s_and_not1_b32 vcc_lo, exec_lo, s2
	s_cbranch_vccnz .LBB289_235
; %bb.225:
	v_cmp_lt_i16_e64 s2, s33, 6
	s_delay_alu instid0(VALU_DEP_1)
	s_and_b32 vcc_lo, exec_lo, s2
	s_cbranch_vccnz .LBB289_228
; %bb.226:
	v_cmp_gt_i16_e64 s2, s33, 6
	s_delay_alu instid0(VALU_DEP_1)
	s_and_b32 vcc_lo, exec_lo, s2
	s_cbranch_vccz .LBB289_229
; %bb.227:
	global_load_b64 v[3:4], v[1:2], off
	s_mov_b32 s2, 0
	s_waitcnt vmcnt(0)
	v_cvt_i32_f64_e32 v3, v[3:4]
	s_branch .LBB289_230
.LBB289_228:
	s_mov_b32 s2, -1
                                        ; implicit-def: $vgpr3
	s_branch .LBB289_233
.LBB289_229:
	s_mov_b32 s2, -1
                                        ; implicit-def: $vgpr3
.LBB289_230:
	s_delay_alu instid0(SALU_CYCLE_1)
	s_and_not1_b32 vcc_lo, exec_lo, s2
	s_cbranch_vccnz .LBB289_232
; %bb.231:
	global_load_b32 v3, v[1:2], off
	s_waitcnt vmcnt(0)
	v_cvt_i32_f32_e32 v3, v3
.LBB289_232:
	s_mov_b32 s2, 0
.LBB289_233:
	s_delay_alu instid0(SALU_CYCLE_1)
	s_and_not1_b32 vcc_lo, exec_lo, s2
	s_cbranch_vccnz .LBB289_235
; %bb.234:
	global_load_u16 v3, v[1:2], off
	s_waitcnt vmcnt(0)
	v_cvt_i16_f16_e32 v3, v3
.LBB289_235:
	s_cbranch_execnz .LBB289_255
.LBB289_236:
	v_cmp_lt_i16_e64 s2, s33, 2
	s_delay_alu instid0(VALU_DEP_1)
	s_and_b32 vcc_lo, exec_lo, s2
	s_cbranch_vccnz .LBB289_240
; %bb.237:
	v_cmp_lt_i16_e64 s2, s33, 3
	s_delay_alu instid0(VALU_DEP_1)
	s_and_b32 vcc_lo, exec_lo, s2
	s_cbranch_vccnz .LBB289_241
; %bb.238:
	v_cmp_gt_i16_e64 s2, s33, 3
	s_delay_alu instid0(VALU_DEP_1)
	s_and_b32 vcc_lo, exec_lo, s2
	s_cbranch_vccz .LBB289_242
; %bb.239:
	global_load_b64 v[3:4], v[1:2], off
	s_mov_b32 s2, 0
	s_branch .LBB289_243
.LBB289_240:
	s_mov_b32 s2, -1
                                        ; implicit-def: $vgpr3
	s_branch .LBB289_249
.LBB289_241:
	s_mov_b32 s2, -1
                                        ; implicit-def: $vgpr3
	s_branch .LBB289_246
.LBB289_242:
	s_mov_b32 s2, -1
                                        ; implicit-def: $vgpr3
.LBB289_243:
	s_delay_alu instid0(SALU_CYCLE_1)
	s_and_not1_b32 vcc_lo, exec_lo, s2
	s_cbranch_vccnz .LBB289_245
; %bb.244:
	global_load_b32 v3, v[1:2], off
.LBB289_245:
	s_mov_b32 s2, 0
.LBB289_246:
	s_delay_alu instid0(SALU_CYCLE_1)
	s_and_not1_b32 vcc_lo, exec_lo, s2
	s_cbranch_vccnz .LBB289_248
; %bb.247:
	global_load_u16 v3, v[1:2], off
.LBB289_248:
	s_mov_b32 s2, 0
.LBB289_249:
	s_delay_alu instid0(SALU_CYCLE_1)
	s_and_not1_b32 vcc_lo, exec_lo, s2
	s_cbranch_vccnz .LBB289_255
; %bb.250:
	v_cmp_gt_i16_e64 s2, s33, 0
	s_delay_alu instid0(VALU_DEP_1)
	s_and_b32 vcc_lo, exec_lo, s2
	s_mov_b32 s2, 0
	s_cbranch_vccz .LBB289_252
; %bb.251:
	global_load_u8 v3, v[1:2], off
	s_branch .LBB289_253
.LBB289_252:
	s_mov_b32 s2, -1
                                        ; implicit-def: $vgpr3
.LBB289_253:
	s_delay_alu instid0(SALU_CYCLE_1)
	s_and_not1_b32 vcc_lo, exec_lo, s2
	s_cbranch_vccnz .LBB289_255
; %bb.254:
	global_load_u8 v3, v[1:2], off
.LBB289_255:
	s_branch .LBB289_24
.LBB289_256:
	s_mov_b32 s2, 0
.LBB289_257:
	s_mov_b32 s22, 0
                                        ; implicit-def: $vgpr5
.LBB289_258:
	s_and_b32 s38, s2, exec_lo
	s_and_b32 s39, s3, exec_lo
	s_or_not1_b32 s3, s22, exec_lo
.LBB289_259:
	s_or_b32 exec_lo, exec_lo, s40
	s_mov_b32 s22, 0
	s_mov_b32 s2, 0
                                        ; implicit-def: $vgpr1_vgpr2
                                        ; implicit-def: $vgpr0
                                        ; implicit-def: $vgpr3
	s_and_saveexec_b32 s40, s3
	s_cbranch_execz .LBB289_890
; %bb.260:
	s_mov_b32 s2, -1
	s_mov_b32 s41, s39
	s_mov_b32 s42, s38
	s_mov_b32 s43, exec_lo
	v_cmpx_gt_i32_e64 s35, v5
	s_cbranch_execz .LBB289_525
; %bb.261:
	s_and_not1_b32 vcc_lo, exec_lo, s27
	s_cbranch_vccnz .LBB289_266
; %bb.262:
	v_dual_mov_b32 v0, 0 :: v_dual_mov_b32 v1, 0
	s_and_not1_b32 vcc_lo, exec_lo, s37
	s_mov_b32 s41, 0
	s_cbranch_vccnz .LBB289_271
; %bb.263:
	v_mov_b32_e32 v0, 0
	s_add_i32 s44, s36, 1
	s_cmp_eq_u32 s25, 2
	s_mov_b32 s42, 0
	s_cbranch_scc1 .LBB289_267
; %bb.264:
	v_dual_mov_b32 v1, 0 :: v_dual_mov_b32 v0, 0
	v_mov_b32_e32 v2, v5
	s_and_b32 s42, s44, 28
	s_mov_b32 s45, 0
	s_mov_b64 s[2:3], s[20:21]
	s_mov_b64 s[22:23], s[16:17]
.LBB289_265:                            ; =>This Inner Loop Header: Depth=1
	s_clause 0x1
	s_load_b256 s[48:55], s[22:23], 0x4
	s_load_b128 s[64:67], s[22:23], 0x24
	s_load_b256 s[56:63], s[2:3], 0x0
	s_add_u32 s22, s22, 48
	s_addc_u32 s23, s23, 0
	s_add_i32 s45, s45, 4
	s_add_u32 s2, s2, 32
	s_addc_u32 s3, s3, 0
	s_cmp_eq_u32 s42, s45
	s_waitcnt vmcnt(0) lgkmcnt(0)
	v_mul_hi_u32 v3, s49, v2
	s_delay_alu instid0(VALU_DEP_1) | instskip(NEXT) | instid1(VALU_DEP_1)
	v_add_nc_u32_e32 v3, v2, v3
	v_lshrrev_b32_e32 v3, s50, v3
	s_delay_alu instid0(VALU_DEP_1) | instskip(SKIP_1) | instid1(VALU_DEP_2)
	v_mul_hi_u32 v4, s52, v3
	v_mul_lo_u32 v7, v3, s48
	v_add_nc_u32_e32 v4, v3, v4
	s_delay_alu instid0(VALU_DEP_2) | instskip(NEXT) | instid1(VALU_DEP_2)
	v_sub_nc_u32_e32 v2, v2, v7
	v_lshrrev_b32_e32 v4, s53, v4
	s_delay_alu instid0(VALU_DEP_2) | instskip(SKIP_1) | instid1(VALU_DEP_3)
	v_mul_lo_u32 v7, v2, s56
	v_mul_lo_u32 v9, v2, s57
	v_mul_hi_u32 v6, s55, v4
	s_delay_alu instid0(VALU_DEP_1) | instskip(NEXT) | instid1(VALU_DEP_1)
	v_add_nc_u32_e32 v6, v4, v6
	v_lshrrev_b32_e32 v6, s64, v6
	s_delay_alu instid0(VALU_DEP_1) | instskip(SKIP_1) | instid1(VALU_DEP_2)
	v_mul_hi_u32 v8, s66, v6
	v_mul_lo_u32 v10, v6, s54
	v_add_nc_u32_e32 v2, v6, v8
	v_mul_lo_u32 v8, v4, s51
	s_delay_alu instid0(VALU_DEP_3) | instskip(NEXT) | instid1(VALU_DEP_3)
	v_sub_nc_u32_e32 v4, v4, v10
	v_lshrrev_b32_e32 v2, s67, v2
	s_delay_alu instid0(VALU_DEP_2) | instskip(SKIP_2) | instid1(VALU_DEP_4)
	v_mul_lo_u32 v10, v4, s60
	v_mul_lo_u32 v4, v4, s61
	v_sub_nc_u32_e32 v3, v3, v8
	v_mul_lo_u32 v11, v2, s65
	s_delay_alu instid0(VALU_DEP_2) | instskip(SKIP_1) | instid1(VALU_DEP_3)
	v_mul_lo_u32 v8, v3, s58
	v_mul_lo_u32 v3, v3, s59
	v_sub_nc_u32_e32 v6, v6, v11
	s_delay_alu instid0(VALU_DEP_3) | instskip(NEXT) | instid1(VALU_DEP_2)
	v_add3_u32 v0, v7, v0, v8
	v_mul_lo_u32 v11, v6, s62
	v_mul_lo_u32 v6, v6, s63
	v_add3_u32 v1, v9, v1, v3
	s_delay_alu instid0(VALU_DEP_3) | instskip(NEXT) | instid1(VALU_DEP_2)
	v_add3_u32 v0, v10, v0, v11
	v_add3_u32 v1, v4, v1, v6
	s_cbranch_scc0 .LBB289_265
	s_branch .LBB289_268
.LBB289_266:
	s_mov_b32 s41, -1
                                        ; implicit-def: $vgpr0
                                        ; implicit-def: $vgpr1
	s_branch .LBB289_271
.LBB289_267:
	v_dual_mov_b32 v2, v5 :: v_dual_mov_b32 v1, 0
.LBB289_268:
	s_and_b32 s44, s44, 3
	s_delay_alu instid0(SALU_CYCLE_1)
	s_cmp_eq_u32 s44, 0
	s_cbranch_scc1 .LBB289_271
; %bb.269:
	s_lshl_b32 s2, s42, 3
	s_mul_i32 s22, s42, 12
	s_add_u32 s2, s2, s16
	s_addc_u32 s3, s17, 0
	s_add_u32 s2, s2, 0xc4
	s_addc_u32 s3, s3, 0
	;; [unrolled: 2-line block ×3, first 2 shown]
	.p2align	6
.LBB289_270:                            ; =>This Inner Loop Header: Depth=1
	s_clause 0x1
	s_load_b64 s[46:47], s[22:23], 0x4
	s_load_b32 s42, s[22:23], 0xc
	s_load_b64 s[48:49], s[2:3], 0x0
	s_add_u32 s22, s22, 12
	s_addc_u32 s23, s23, 0
	s_add_u32 s2, s2, 8
	s_addc_u32 s3, s3, 0
	s_add_i32 s44, s44, -1
	s_delay_alu instid0(SALU_CYCLE_1) | instskip(SKIP_2) | instid1(VALU_DEP_1)
	s_cmp_lg_u32 s44, 0
	s_waitcnt vmcnt(0) lgkmcnt(0)
	v_mul_hi_u32 v3, s47, v2
	v_add_nc_u32_e32 v3, v2, v3
	s_delay_alu instid0(VALU_DEP_1) | instskip(NEXT) | instid1(VALU_DEP_1)
	v_lshrrev_b32_e32 v8, s42, v3
	v_mul_lo_u32 v3, v8, s46
	s_delay_alu instid0(VALU_DEP_1) | instskip(NEXT) | instid1(VALU_DEP_1)
	v_sub_nc_u32_e32 v2, v2, v3
	v_mad_u64_u32 v[3:4], null, v2, s48, v[0:1]
	v_mad_u64_u32 v[6:7], null, v2, s49, v[1:2]
	v_mov_b32_e32 v2, v8
	s_delay_alu instid0(VALU_DEP_2)
	v_dual_mov_b32 v0, v3 :: v_dual_mov_b32 v1, v6
	s_cbranch_scc1 .LBB289_270
.LBB289_271:
	s_and_not1_b32 vcc_lo, exec_lo, s41
	s_cbranch_vccnz .LBB289_274
; %bb.272:
	v_mul_hi_u32 v0, s13, v5
	s_and_not1_b32 vcc_lo, exec_lo, s34
	s_delay_alu instid0(VALU_DEP_1) | instskip(NEXT) | instid1(VALU_DEP_1)
	v_add_nc_u32_e32 v0, v5, v0
	v_lshrrev_b32_e32 v2, s14, v0
	s_delay_alu instid0(VALU_DEP_1) | instskip(NEXT) | instid1(VALU_DEP_1)
	v_mul_lo_u32 v0, v2, s12
	v_sub_nc_u32_e32 v1, v5, v0
	s_delay_alu instid0(VALU_DEP_1)
	v_mul_lo_u32 v0, v1, s8
	v_mul_lo_u32 v1, v1, s9
	s_cbranch_vccnz .LBB289_274
; %bb.273:
	s_waitcnt vmcnt(0)
	v_mul_hi_u32 v3, s18, v2
	s_delay_alu instid0(VALU_DEP_1) | instskip(NEXT) | instid1(VALU_DEP_1)
	v_add_nc_u32_e32 v3, v2, v3
	v_lshrrev_b32_e32 v3, s19, v3
	s_delay_alu instid0(VALU_DEP_1) | instskip(NEXT) | instid1(VALU_DEP_1)
	v_mul_lo_u32 v3, v3, s15
	v_sub_nc_u32_e32 v6, v2, v3
	s_delay_alu instid0(VALU_DEP_1) | instskip(NEXT) | instid1(VALU_DEP_1)
	v_mad_u64_u32 v[2:3], null, v6, s10, v[0:1]
	v_mad_u64_u32 v[3:4], null, v6, s11, v[1:2]
	s_delay_alu instid0(VALU_DEP_1)
	v_dual_mov_b32 v0, v2 :: v_dual_mov_b32 v1, v3
.LBB289_274:
	v_cmp_lt_i16_e64 s2, s33, 11
	s_delay_alu instid0(VALU_DEP_2) | instskip(NEXT) | instid1(VALU_DEP_1)
	v_add_co_u32 v1, s3, s6, v1
	v_add_co_ci_u32_e64 v2, null, s7, 0, s3
	s_delay_alu instid0(VALU_DEP_3)
	s_and_b32 vcc_lo, exec_lo, s2
	s_mov_b32 s2, 0
	s_cbranch_vccnz .LBB289_281
; %bb.275:
	v_cmp_gt_i16_e64 s2, s33, 25
	s_delay_alu instid0(VALU_DEP_1)
	s_and_b32 vcc_lo, exec_lo, s2
	s_cbranch_vccz .LBB289_330
; %bb.276:
	v_cmp_gt_i16_e64 s2, s33, 28
	s_delay_alu instid0(VALU_DEP_1)
	s_and_b32 vcc_lo, exec_lo, s2
	s_cbranch_vccz .LBB289_331
	;; [unrolled: 5-line block ×4, first 2 shown]
; %bb.279:
	v_cmp_eq_u16_e64 s2, s33, 46
	s_mov_b32 s22, 0
	s_delay_alu instid0(VALU_DEP_1)
	s_and_b32 vcc_lo, exec_lo, s2
	s_cbranch_vccz .LBB289_339
; %bb.280:
	global_load_b32 v3, v[1:2], off
	s_mov_b32 s2, -1
	s_mov_b32 s3, 0
	s_waitcnt vmcnt(0)
	v_lshlrev_b32_e32 v3, 16, v3
	s_delay_alu instid0(VALU_DEP_1)
	v_cvt_i32_f32_e32 v3, v3
	s_branch .LBB289_341
.LBB289_281:
	s_mov_b32 s3, s39
                                        ; implicit-def: $vgpr3
	s_cbranch_execnz .LBB289_474
.LBB289_282:
	s_and_not1_b32 vcc_lo, exec_lo, s2
	s_cbranch_vccnz .LBB289_522
.LBB289_283:
	s_waitcnt vmcnt(0)
	s_delay_alu instid0(VALU_DEP_1)
	v_bfe_i32 v1, v3, 0, 8
	s_bfe_i32 s2, s29, 0x80000
	v_and_b32_e64 v3, 0xff, s31
	s_mov_b32 s22, 0
	s_mov_b32 s23, -1
	v_max_i16 v1, v1, s2
	s_bfe_i32 s2, s30, 0x80000
	v_cmp_gt_i16_e32 vcc_lo, 11, v3
	s_delay_alu instid0(VALU_DEP_2) | instskip(SKIP_1) | instid1(VALU_DEP_1)
	v_min_i16 v2, v1, s2
	v_add_co_u32 v0, s2, s4, v0
	v_add_co_ci_u32_e64 v1, null, s5, 0, s2
	s_mov_b32 s2, s38
	s_cbranch_vccnz .LBB289_290
; %bb.284:
	v_cmp_lt_i16_e32 vcc_lo, 25, v3
	s_cbranch_vccz .LBB289_332
; %bb.285:
	v_cmp_lt_i16_e32 vcc_lo, 28, v3
	s_cbranch_vccz .LBB289_334
	;; [unrolled: 3-line block ×4, first 2 shown]
; %bb.288:
	v_cmp_eq_u16_e32 vcc_lo, 46, v3
	s_mov_b32 s23, 0
	s_mov_b32 s2, -1
	s_cbranch_vccz .LBB289_345
; %bb.289:
	v_bfe_i32 v4, v2, 0, 16
	s_mov_b32 s22, -1
	s_mov_b32 s2, 0
	s_delay_alu instid0(VALU_DEP_1) | instskip(NEXT) | instid1(VALU_DEP_1)
	v_cvt_f32_i32_e32 v4, v4
	v_bfe_u32 v6, v4, 16, 1
	s_delay_alu instid0(VALU_DEP_1) | instskip(NEXT) | instid1(VALU_DEP_1)
	v_add3_u32 v4, v4, v6, 0x7fff
	v_lshrrev_b32_e32 v4, 16, v4
	global_store_b32 v[0:1], v4, off
	s_branch .LBB289_345
.LBB289_290:
	s_and_b32 vcc_lo, exec_lo, s23
	s_cbranch_vccz .LBB289_414
; %bb.291:
	v_cmp_gt_i16_e32 vcc_lo, 5, v3
	s_mov_b32 s22, -1
	s_cbranch_vccnz .LBB289_312
; %bb.292:
	v_cmp_gt_i16_e32 vcc_lo, 8, v3
	s_cbranch_vccnz .LBB289_302
; %bb.293:
	v_cmp_gt_i16_e32 vcc_lo, 9, v3
	s_cbranch_vccnz .LBB289_299
; %bb.294:
	v_cmp_lt_i16_e32 vcc_lo, 9, v3
	s_cbranch_vccz .LBB289_296
; %bb.295:
	v_bfe_i32 v4, v2, 0, 16
	v_mov_b32_e32 v8, 0
	s_mov_b32 s22, 0
	s_delay_alu instid0(VALU_DEP_2) | instskip(NEXT) | instid1(VALU_DEP_2)
	v_cvt_f64_i32_e32 v[6:7], v4
	v_mov_b32_e32 v9, v8
	global_store_b128 v[0:1], v[6:9], off
.LBB289_296:
	s_and_not1_b32 vcc_lo, exec_lo, s22
	s_cbranch_vccnz .LBB289_298
; %bb.297:
	v_bfe_i32 v4, v2, 0, 16
	v_mov_b32_e32 v7, 0
	s_delay_alu instid0(VALU_DEP_2)
	v_cvt_f32_i32_e32 v6, v4
	global_store_b64 v[0:1], v[6:7], off
.LBB289_298:
	s_mov_b32 s22, 0
.LBB289_299:
	s_delay_alu instid0(SALU_CYCLE_1)
	s_and_not1_b32 vcc_lo, exec_lo, s22
	s_cbranch_vccnz .LBB289_301
; %bb.300:
	v_cvt_f16_i16_e32 v4, v2
	s_delay_alu instid0(VALU_DEP_1)
	v_and_b32_e32 v4, 0xffff, v4
	global_store_b32 v[0:1], v4, off
.LBB289_301:
	s_mov_b32 s22, 0
.LBB289_302:
	s_delay_alu instid0(SALU_CYCLE_1)
	s_and_not1_b32 vcc_lo, exec_lo, s22
	s_cbranch_vccnz .LBB289_311
; %bb.303:
	v_cmp_gt_i16_e32 vcc_lo, 6, v3
	s_mov_b32 s22, -1
	s_cbranch_vccnz .LBB289_309
; %bb.304:
	v_cmp_lt_i16_e32 vcc_lo, 6, v3
	s_cbranch_vccz .LBB289_306
; %bb.305:
	v_bfe_i32 v4, v2, 0, 16
	s_mov_b32 s22, 0
	s_delay_alu instid0(VALU_DEP_1)
	v_cvt_f64_i32_e32 v[6:7], v4
	global_store_b64 v[0:1], v[6:7], off
.LBB289_306:
	s_and_not1_b32 vcc_lo, exec_lo, s22
	s_cbranch_vccnz .LBB289_308
; %bb.307:
	v_bfe_i32 v4, v2, 0, 16
	s_delay_alu instid0(VALU_DEP_1)
	v_cvt_f32_i32_e32 v4, v4
	global_store_b32 v[0:1], v4, off
.LBB289_308:
	s_mov_b32 s22, 0
.LBB289_309:
	s_delay_alu instid0(SALU_CYCLE_1)
	s_and_not1_b32 vcc_lo, exec_lo, s22
	s_cbranch_vccnz .LBB289_311
; %bb.310:
	v_cvt_f16_i16_e32 v4, v2
	global_store_b16 v[0:1], v4, off
.LBB289_311:
	s_mov_b32 s22, 0
.LBB289_312:
	s_delay_alu instid0(SALU_CYCLE_1)
	s_and_not1_b32 vcc_lo, exec_lo, s22
	s_cbranch_vccnz .LBB289_328
; %bb.313:
	v_cmp_gt_i16_e32 vcc_lo, 2, v3
	s_mov_b32 s22, -1
	s_cbranch_vccnz .LBB289_323
; %bb.314:
	v_cmp_gt_i16_e32 vcc_lo, 3, v3
	s_cbranch_vccnz .LBB289_320
; %bb.315:
	v_cmp_lt_i16_e32 vcc_lo, 3, v3
	s_cbranch_vccz .LBB289_317
; %bb.316:
	v_bfe_i32 v6, v2, 0, 16
	s_mov_b32 s22, 0
	s_delay_alu instid0(VALU_DEP_1)
	v_ashrrev_i32_e32 v7, 31, v6
	global_store_b64 v[0:1], v[6:7], off
.LBB289_317:
	s_and_not1_b32 vcc_lo, exec_lo, s22
	s_cbranch_vccnz .LBB289_319
; %bb.318:
	v_bfe_i32 v4, v2, 0, 16
	global_store_b32 v[0:1], v4, off
.LBB289_319:
	s_mov_b32 s22, 0
.LBB289_320:
	s_delay_alu instid0(SALU_CYCLE_1)
	s_and_not1_b32 vcc_lo, exec_lo, s22
	s_cbranch_vccnz .LBB289_322
; %bb.321:
	global_store_b16 v[0:1], v2, off
.LBB289_322:
	s_mov_b32 s22, 0
.LBB289_323:
	s_delay_alu instid0(SALU_CYCLE_1)
	s_and_not1_b32 vcc_lo, exec_lo, s22
	s_cbranch_vccnz .LBB289_328
; %bb.324:
	v_cmp_lt_i16_e32 vcc_lo, 0, v3
	s_mov_b32 s22, -1
	s_cbranch_vccz .LBB289_326
; %bb.325:
	s_mov_b32 s22, 0
	global_store_b8 v[0:1], v2, off
.LBB289_326:
	s_and_not1_b32 vcc_lo, exec_lo, s22
	s_cbranch_vccnz .LBB289_328
; %bb.327:
	global_store_b8 v[0:1], v2, off
.LBB289_328:
	s_branch .LBB289_415
.LBB289_329:
	s_mov_b32 s22, 0
	s_branch .LBB289_523
.LBB289_330:
	s_mov_b32 s22, -1
	s_mov_b32 s2, 0
	s_mov_b32 s3, s39
                                        ; implicit-def: $vgpr3
	s_branch .LBB289_440
.LBB289_331:
	s_mov_b32 s22, -1
	s_mov_b32 s2, 0
	s_mov_b32 s3, s39
                                        ; implicit-def: $vgpr3
	s_branch .LBB289_423
.LBB289_332:
	s_mov_b32 s2, s38
	s_branch .LBB289_372
.LBB289_333:
	s_mov_b32 s22, -1
	s_mov_b32 s2, 0
	s_mov_b32 s3, s39
                                        ; implicit-def: $vgpr3
	s_branch .LBB289_418
.LBB289_334:
	s_mov_b32 s2, s38
	s_branch .LBB289_355
.LBB289_335:
	s_mov_b32 s22, -1
	s_mov_b32 s2, 0
	s_mov_b32 s3, s39
	s_branch .LBB289_340
.LBB289_336:
	s_mov_b32 s2, s38
	s_branch .LBB289_351
.LBB289_337:
	s_or_saveexec_b32 s38, s38
                                        ; implicit-def: $sgpr39
	s_delay_alu instid0(SALU_CYCLE_1)
	s_xor_b32 exec_lo, exec_lo, s38
	s_cbranch_execz .LBB289_65
.LBB289_338:
	v_add_f32_e64 v6, 0x42800000, |v4|
	s_and_not1_b32 s23, s23, exec_lo
	s_mov_b32 s39, 0
	s_delay_alu instid0(VALU_DEP_1) | instskip(NEXT) | instid1(VALU_DEP_1)
	v_and_b32_e32 v6, 0xff, v6
	v_cmp_ne_u32_e32 vcc_lo, 0, v6
	s_and_b32 s42, vcc_lo, exec_lo
	s_delay_alu instid0(SALU_CYCLE_1)
	s_or_b32 s23, s23, s42
	s_or_b32 exec_lo, exec_lo, s38
	v_mov_b32_e32 v7, s39
	s_and_saveexec_b32 s38, s23
	s_cbranch_execnz .LBB289_66
	s_branch .LBB289_67
.LBB289_339:
	s_mov_b32 s3, -1
	s_mov_b32 s2, 0
.LBB289_340:
                                        ; implicit-def: $vgpr3
.LBB289_341:
	s_and_b32 vcc_lo, exec_lo, s22
	s_cbranch_vccz .LBB289_417
; %bb.342:
	v_cmp_eq_u16_e64 s3, s33, 44
	s_delay_alu instid0(VALU_DEP_1)
	s_and_b32 vcc_lo, exec_lo, s3
	s_cbranch_vccz .LBB289_416
; %bb.343:
	global_load_u8 v3, v[1:2], off
	s_mov_b32 s3, 0
	s_mov_b32 s2, -1
	s_waitcnt vmcnt(0)
	v_lshlrev_b32_e32 v4, 23, v3
	v_cmp_ne_u32_e32 vcc_lo, 0, v3
	s_delay_alu instid0(VALU_DEP_2) | instskip(NEXT) | instid1(VALU_DEP_1)
	v_cvt_i32_f32_e32 v4, v4
	v_cndmask_b32_e32 v3, 0, v4, vcc_lo
	s_branch .LBB289_417
.LBB289_344:
	s_mov_b32 s2, s38
.LBB289_345:
	s_and_b32 vcc_lo, exec_lo, s23
	s_cbranch_vccz .LBB289_350
; %bb.346:
	v_cmp_eq_u16_e32 vcc_lo, 44, v3
	s_mov_b32 s2, -1
	s_cbranch_vccz .LBB289_350
; %bb.347:
	v_bfe_i32 v4, v2, 0, 16
	v_mov_b32_e32 v6, 0xff
	s_mov_b32 s22, exec_lo
	s_delay_alu instid0(VALU_DEP_2) | instskip(NEXT) | instid1(VALU_DEP_1)
	v_cvt_f32_i32_e32 v4, v4
	v_bfe_u32 v7, v4, 23, 8
	s_delay_alu instid0(VALU_DEP_1)
	v_cmpx_ne_u32_e32 0xff, v7
; %bb.348:
	v_and_b32_e32 v6, 0x400000, v4
	v_and_or_b32 v7, 0x3fffff, v4, v7
	v_lshrrev_b32_e32 v4, 23, v4
	s_delay_alu instid0(VALU_DEP_3) | instskip(NEXT) | instid1(VALU_DEP_3)
	v_cmp_ne_u32_e32 vcc_lo, 0, v6
	v_cmp_ne_u32_e64 s2, 0, v7
	s_delay_alu instid0(VALU_DEP_1) | instskip(NEXT) | instid1(SALU_CYCLE_1)
	s_and_b32 s2, vcc_lo, s2
	v_cndmask_b32_e64 v6, 0, 1, s2
	s_delay_alu instid0(VALU_DEP_1)
	v_add_nc_u32_e32 v6, v4, v6
; %bb.349:
	s_or_b32 exec_lo, exec_lo, s22
	s_mov_b32 s22, -1
	s_mov_b32 s2, 0
	global_store_b8 v[0:1], v6, off
.LBB289_350:
	s_mov_b32 s23, 0
.LBB289_351:
	s_delay_alu instid0(SALU_CYCLE_1)
	s_and_b32 vcc_lo, exec_lo, s23
	s_cbranch_vccz .LBB289_354
; %bb.352:
	v_cmp_eq_u16_e32 vcc_lo, 29, v3
	s_mov_b32 s2, -1
	s_cbranch_vccz .LBB289_354
; %bb.353:
	v_bfe_i32 v6, v2, 0, 16
	s_mov_b32 s2, 0
	s_mov_b32 s22, -1
	s_mov_b32 s23, 0
	s_delay_alu instid0(VALU_DEP_1)
	v_ashrrev_i32_e32 v7, 31, v6
	global_store_b64 v[0:1], v[6:7], off
	s_branch .LBB289_355
.LBB289_354:
	s_mov_b32 s23, 0
.LBB289_355:
	s_delay_alu instid0(SALU_CYCLE_1)
	s_and_b32 vcc_lo, exec_lo, s23
	s_cbranch_vccz .LBB289_371
; %bb.356:
	v_cmp_gt_i16_e32 vcc_lo, 27, v3
	s_mov_b32 s22, -1
	s_cbranch_vccnz .LBB289_362
; %bb.357:
	v_cmp_lt_i16_e32 vcc_lo, 27, v3
	s_cbranch_vccz .LBB289_359
; %bb.358:
	v_bfe_i32 v4, v2, 0, 16
	s_mov_b32 s22, 0
	global_store_b32 v[0:1], v4, off
.LBB289_359:
	s_and_not1_b32 vcc_lo, exec_lo, s22
	s_cbranch_vccnz .LBB289_361
; %bb.360:
	global_store_b16 v[0:1], v2, off
.LBB289_361:
	s_mov_b32 s22, 0
.LBB289_362:
	s_delay_alu instid0(SALU_CYCLE_1)
	s_and_not1_b32 vcc_lo, exec_lo, s22
	s_cbranch_vccnz .LBB289_370
; %bb.363:
	v_bfe_i32 v4, v2, 0, 16
	v_mov_b32_e32 v7, 0x80
	s_mov_b32 s22, exec_lo
	s_delay_alu instid0(VALU_DEP_2) | instskip(NEXT) | instid1(VALU_DEP_1)
	v_cvt_f32_i32_e32 v4, v4
	v_and_b32_e32 v6, 0x7fffffff, v4
	s_delay_alu instid0(VALU_DEP_1)
	v_cmpx_gt_u32_e32 0x43800000, v6
	s_cbranch_execz .LBB289_369
; %bb.364:
	v_cmp_lt_u32_e32 vcc_lo, 0x3bffffff, v6
	s_mov_b32 s23, 0
                                        ; implicit-def: $vgpr6
	s_and_saveexec_b32 s41, vcc_lo
	s_delay_alu instid0(SALU_CYCLE_1)
	s_xor_b32 s41, exec_lo, s41
	s_cbranch_execz .LBB289_551
; %bb.365:
	v_bfe_u32 v6, v4, 20, 1
	s_mov_b32 s23, exec_lo
	s_delay_alu instid0(VALU_DEP_1) | instskip(NEXT) | instid1(VALU_DEP_1)
	v_add3_u32 v6, v4, v6, 0x487ffff
	v_lshrrev_b32_e32 v6, 20, v6
	s_or_saveexec_b32 s41, s41
                                        ; implicit-def: $sgpr42
	s_delay_alu instid0(SALU_CYCLE_1)
	s_xor_b32 exec_lo, exec_lo, s41
	s_cbranch_execnz .LBB289_552
.LBB289_366:
	s_or_b32 exec_lo, exec_lo, s41
	v_mov_b32_e32 v7, s42
	s_and_saveexec_b32 s41, s23
.LBB289_367:
	v_lshrrev_b32_e32 v4, 24, v4
	s_delay_alu instid0(VALU_DEP_1)
	v_and_or_b32 v7, 0x80, v4, v6
.LBB289_368:
	s_or_b32 exec_lo, exec_lo, s41
.LBB289_369:
	s_delay_alu instid0(SALU_CYCLE_1)
	s_or_b32 exec_lo, exec_lo, s22
	global_store_b8 v[0:1], v7, off
.LBB289_370:
	s_mov_b32 s22, -1
.LBB289_371:
	s_mov_b32 s23, 0
.LBB289_372:
	s_delay_alu instid0(SALU_CYCLE_1)
	s_and_b32 vcc_lo, exec_lo, s23
	s_cbranch_vccz .LBB289_413
; %bb.373:
	v_cmp_lt_i16_e32 vcc_lo, 22, v3
	s_mov_b32 s23, -1
	s_cbranch_vccz .LBB289_405
; %bb.374:
	v_cmp_gt_i16_e32 vcc_lo, 24, v3
	s_mov_b32 s22, -1
	s_cbranch_vccnz .LBB289_394
; %bb.375:
	v_cmp_lt_i16_e32 vcc_lo, 24, v3
	s_cbranch_vccz .LBB289_383
; %bb.376:
	v_bfe_i32 v4, v2, 0, 16
	v_mov_b32_e32 v7, 0x80
	s_mov_b32 s22, exec_lo
	s_delay_alu instid0(VALU_DEP_2) | instskip(NEXT) | instid1(VALU_DEP_1)
	v_cvt_f32_i32_e32 v4, v4
	v_and_b32_e32 v6, 0x7fffffff, v4
	s_delay_alu instid0(VALU_DEP_1)
	v_cmpx_gt_u32_e32 0x47800000, v6
	s_cbranch_execz .LBB289_382
; %bb.377:
	v_cmp_lt_u32_e32 vcc_lo, 0x37ffffff, v6
	s_mov_b32 s23, 0
                                        ; implicit-def: $vgpr6
	s_and_saveexec_b32 s41, vcc_lo
	s_delay_alu instid0(SALU_CYCLE_1)
	s_xor_b32 s41, exec_lo, s41
	s_cbranch_execz .LBB289_554
; %bb.378:
	v_bfe_u32 v6, v4, 21, 1
	s_mov_b32 s23, exec_lo
	s_delay_alu instid0(VALU_DEP_1) | instskip(NEXT) | instid1(VALU_DEP_1)
	v_add3_u32 v6, v4, v6, 0x88fffff
	v_lshrrev_b32_e32 v6, 21, v6
	s_or_saveexec_b32 s41, s41
                                        ; implicit-def: $sgpr42
	s_delay_alu instid0(SALU_CYCLE_1)
	s_xor_b32 exec_lo, exec_lo, s41
	s_cbranch_execnz .LBB289_555
.LBB289_379:
	s_or_b32 exec_lo, exec_lo, s41
	v_mov_b32_e32 v7, s42
	s_and_saveexec_b32 s41, s23
.LBB289_380:
	v_lshrrev_b32_e32 v4, 24, v4
	s_delay_alu instid0(VALU_DEP_1)
	v_and_or_b32 v7, 0x80, v4, v6
.LBB289_381:
	s_or_b32 exec_lo, exec_lo, s41
.LBB289_382:
	s_delay_alu instid0(SALU_CYCLE_1)
	s_or_b32 exec_lo, exec_lo, s22
	s_mov_b32 s22, 0
	global_store_b8 v[0:1], v7, off
.LBB289_383:
	s_and_b32 vcc_lo, exec_lo, s22
	s_cbranch_vccz .LBB289_393
; %bb.384:
	v_bfe_i32 v4, v2, 0, 16
	s_mov_b32 s22, exec_lo
                                        ; implicit-def: $vgpr6
	s_delay_alu instid0(VALU_DEP_1) | instskip(NEXT) | instid1(VALU_DEP_1)
	v_cvt_f32_i32_e32 v4, v4
	v_and_b32_e32 v7, 0x7fffffff, v4
	s_delay_alu instid0(VALU_DEP_1)
	v_cmpx_gt_u32_e32 0x43f00000, v7
	s_xor_b32 s22, exec_lo, s22
	s_cbranch_execz .LBB289_390
; %bb.385:
	s_mov_b32 s23, exec_lo
                                        ; implicit-def: $vgpr6
	v_cmpx_lt_u32_e32 0x3c7fffff, v7
	s_xor_b32 s23, exec_lo, s23
; %bb.386:
	v_bfe_u32 v6, v4, 20, 1
	s_delay_alu instid0(VALU_DEP_1) | instskip(NEXT) | instid1(VALU_DEP_1)
	v_add3_u32 v6, v4, v6, 0x407ffff
	v_and_b32_e32 v7, 0xff00000, v6
	v_lshrrev_b32_e32 v6, 20, v6
	s_delay_alu instid0(VALU_DEP_2) | instskip(NEXT) | instid1(VALU_DEP_2)
	v_cmp_ne_u32_e32 vcc_lo, 0x7f00000, v7
	v_cndmask_b32_e32 v6, 0x7e, v6, vcc_lo
; %bb.387:
	s_and_not1_saveexec_b32 s23, s23
; %bb.388:
	v_add_f32_e64 v6, 0x46800000, |v4|
; %bb.389:
	s_or_b32 exec_lo, exec_lo, s23
                                        ; implicit-def: $vgpr7
.LBB289_390:
	s_and_not1_saveexec_b32 s22, s22
; %bb.391:
	v_mov_b32_e32 v6, 0x7f
	v_cmp_lt_u32_e32 vcc_lo, 0x7f800000, v7
	s_delay_alu instid0(VALU_DEP_2)
	v_cndmask_b32_e32 v6, 0x7e, v6, vcc_lo
; %bb.392:
	s_or_b32 exec_lo, exec_lo, s22
	v_lshrrev_b32_e32 v4, 24, v4
	s_delay_alu instid0(VALU_DEP_1)
	v_and_or_b32 v4, 0x80, v4, v6
	global_store_b8 v[0:1], v4, off
.LBB289_393:
	s_mov_b32 s22, 0
.LBB289_394:
	s_delay_alu instid0(SALU_CYCLE_1)
	s_and_not1_b32 vcc_lo, exec_lo, s22
	s_cbranch_vccnz .LBB289_404
; %bb.395:
	v_bfe_i32 v4, v2, 0, 16
	s_mov_b32 s22, exec_lo
                                        ; implicit-def: $vgpr6
	s_delay_alu instid0(VALU_DEP_1) | instskip(NEXT) | instid1(VALU_DEP_1)
	v_cvt_f32_i32_e32 v4, v4
	v_and_b32_e32 v7, 0x7fffffff, v4
	s_delay_alu instid0(VALU_DEP_1)
	v_cmpx_gt_u32_e32 0x47800000, v7
	s_xor_b32 s22, exec_lo, s22
	s_cbranch_execz .LBB289_401
; %bb.396:
	s_mov_b32 s23, exec_lo
                                        ; implicit-def: $vgpr6
	v_cmpx_lt_u32_e32 0x387fffff, v7
	s_xor_b32 s23, exec_lo, s23
; %bb.397:
	v_bfe_u32 v6, v4, 21, 1
	s_delay_alu instid0(VALU_DEP_1) | instskip(NEXT) | instid1(VALU_DEP_1)
	v_add3_u32 v6, v4, v6, 0x80fffff
	v_lshrrev_b32_e32 v6, 21, v6
; %bb.398:
	s_and_not1_saveexec_b32 s23, s23
; %bb.399:
	v_add_f32_e64 v6, 0x43000000, |v4|
; %bb.400:
	s_or_b32 exec_lo, exec_lo, s23
                                        ; implicit-def: $vgpr7
.LBB289_401:
	s_and_not1_saveexec_b32 s22, s22
; %bb.402:
	v_mov_b32_e32 v6, 0x7f
	v_cmp_lt_u32_e32 vcc_lo, 0x7f800000, v7
	s_delay_alu instid0(VALU_DEP_2)
	v_cndmask_b32_e32 v6, 0x7c, v6, vcc_lo
; %bb.403:
	s_or_b32 exec_lo, exec_lo, s22
	v_lshrrev_b32_e32 v4, 24, v4
	s_delay_alu instid0(VALU_DEP_1)
	v_and_or_b32 v4, 0x80, v4, v6
	global_store_b8 v[0:1], v4, off
.LBB289_404:
	s_mov_b32 s23, 0
	s_mov_b32 s22, -1
.LBB289_405:
	s_and_not1_b32 vcc_lo, exec_lo, s23
	s_cbranch_vccnz .LBB289_413
; %bb.406:
	v_cmp_lt_i16_e32 vcc_lo, 14, v3
	s_mov_b32 s23, -1
	s_cbranch_vccz .LBB289_410
; %bb.407:
	v_cmp_eq_u16_e32 vcc_lo, 15, v3
	s_mov_b32 s2, -1
	s_cbranch_vccz .LBB289_409
; %bb.408:
	v_bfe_i32 v4, v2, 0, 16
	s_mov_b32 s22, -1
	s_mov_b32 s2, 0
	s_delay_alu instid0(VALU_DEP_1) | instskip(NEXT) | instid1(VALU_DEP_1)
	v_cvt_f32_i32_e32 v4, v4
	v_bfe_u32 v6, v4, 16, 1
	s_delay_alu instid0(VALU_DEP_1)
	v_add3_u32 v4, v4, v6, 0x7fff
	global_store_d16_hi_b16 v[0:1], v4, off
.LBB289_409:
	s_mov_b32 s23, 0
.LBB289_410:
	s_delay_alu instid0(SALU_CYCLE_1)
	s_and_b32 vcc_lo, exec_lo, s23
	s_cbranch_vccz .LBB289_413
; %bb.411:
	v_cmp_eq_u16_e32 vcc_lo, 11, v3
	s_mov_b32 s2, -1
	s_cbranch_vccz .LBB289_413
; %bb.412:
	v_cmp_ne_u16_e32 vcc_lo, 0, v2
	s_mov_b32 s2, 0
	s_mov_b32 s22, -1
	v_cndmask_b32_e64 v4, 0, 1, vcc_lo
	global_store_b8 v[0:1], v4, off
.LBB289_413:
.LBB289_414:
	s_and_not1_b32 vcc_lo, exec_lo, s22
	s_cbranch_vccnz .LBB289_329
.LBB289_415:
	v_add_nc_u32_e32 v5, 0x80, v5
	s_mov_b32 s22, -1
	s_branch .LBB289_524
.LBB289_416:
	s_mov_b32 s3, -1
                                        ; implicit-def: $vgpr3
.LBB289_417:
	s_mov_b32 s22, 0
.LBB289_418:
	s_delay_alu instid0(SALU_CYCLE_1)
	s_and_b32 vcc_lo, exec_lo, s22
	s_cbranch_vccz .LBB289_422
; %bb.419:
	v_cmp_eq_u16_e64 s3, s33, 29
	s_delay_alu instid0(VALU_DEP_1)
	s_and_b32 vcc_lo, exec_lo, s3
	s_cbranch_vccz .LBB289_421
; %bb.420:
	global_load_b64 v[3:4], v[1:2], off
	s_mov_b32 s2, -1
	s_mov_b32 s3, 0
	s_branch .LBB289_422
.LBB289_421:
	s_mov_b32 s3, -1
                                        ; implicit-def: $vgpr3
.LBB289_422:
	s_mov_b32 s22, 0
.LBB289_423:
	s_delay_alu instid0(SALU_CYCLE_1)
	s_and_b32 vcc_lo, exec_lo, s22
	s_cbranch_vccz .LBB289_439
; %bb.424:
	v_cmp_lt_i16_e64 s2, s33, 27
	s_delay_alu instid0(VALU_DEP_1)
	s_and_b32 vcc_lo, exec_lo, s2
	s_cbranch_vccnz .LBB289_427
; %bb.425:
	v_cmp_gt_i16_e64 s2, s33, 27
	s_delay_alu instid0(VALU_DEP_1)
	s_and_b32 vcc_lo, exec_lo, s2
	s_cbranch_vccz .LBB289_428
; %bb.426:
	global_load_b32 v3, v[1:2], off
	s_mov_b32 s2, 0
	s_branch .LBB289_429
.LBB289_427:
	s_mov_b32 s2, -1
                                        ; implicit-def: $vgpr3
	s_branch .LBB289_432
.LBB289_428:
	s_mov_b32 s2, -1
                                        ; implicit-def: $vgpr3
.LBB289_429:
	s_delay_alu instid0(SALU_CYCLE_1)
	s_and_not1_b32 vcc_lo, exec_lo, s2
	s_cbranch_vccnz .LBB289_431
; %bb.430:
	global_load_u16 v3, v[1:2], off
.LBB289_431:
	s_mov_b32 s2, 0
.LBB289_432:
	s_delay_alu instid0(SALU_CYCLE_1)
	s_and_not1_b32 vcc_lo, exec_lo, s2
	s_cbranch_vccnz .LBB289_438
; %bb.433:
	global_load_u8 v4, v[1:2], off
	s_mov_b32 s2, 0
	s_mov_b32 s22, exec_lo
                                        ; implicit-def: $sgpr23
	s_waitcnt vmcnt(0)
	v_cmpx_lt_i16_e32 0x7f, v4
	s_xor_b32 s22, exec_lo, s22
	s_cbranch_execz .LBB289_450
; %bb.434:
	v_cmp_ne_u16_e32 vcc_lo, 0x80, v4
	s_mov_b32 s23, 0
	s_and_b32 s2, vcc_lo, exec_lo
	s_or_saveexec_b32 s22, s22
	v_mov_b32_e32 v3, s23
	s_xor_b32 exec_lo, exec_lo, s22
	s_cbranch_execnz .LBB289_451
.LBB289_435:
	s_or_b32 exec_lo, exec_lo, s22
	s_and_saveexec_b32 s22, s2
	s_cbranch_execz .LBB289_437
.LBB289_436:
	v_and_b32_e32 v3, 0xffff, v4
	v_lshlrev_b32_e32 v4, 24, v4
	s_delay_alu instid0(VALU_DEP_2) | instskip(NEXT) | instid1(VALU_DEP_2)
	v_and_b32_e32 v6, 7, v3
	v_and_b32_e32 v4, 0x80000000, v4
	s_delay_alu instid0(VALU_DEP_2) | instskip(NEXT) | instid1(VALU_DEP_1)
	v_clz_i32_u32_e32 v7, v6
	v_min_u32_e32 v7, 32, v7
	s_delay_alu instid0(VALU_DEP_1) | instskip(SKIP_1) | instid1(VALU_DEP_2)
	v_subrev_nc_u32_e32 v8, 28, v7
	v_sub_nc_u32_e32 v7, 29, v7
	v_lshlrev_b32_e32 v8, v8, v3
	v_bfe_u32 v3, v3, 3, 4
	s_delay_alu instid0(VALU_DEP_1) | instskip(NEXT) | instid1(VALU_DEP_3)
	v_cmp_eq_u32_e32 vcc_lo, 0, v3
	v_dual_cndmask_b32 v3, v3, v7 :: v_dual_and_b32 v8, 7, v8
	s_delay_alu instid0(VALU_DEP_1) | instskip(NEXT) | instid1(VALU_DEP_2)
	v_cndmask_b32_e32 v6, v6, v8, vcc_lo
	v_lshl_add_u32 v3, v3, 23, 0x3b800000
	s_delay_alu instid0(VALU_DEP_2) | instskip(NEXT) | instid1(VALU_DEP_1)
	v_lshlrev_b32_e32 v6, 20, v6
	v_or3_b32 v3, v4, v3, v6
	s_delay_alu instid0(VALU_DEP_1)
	v_cvt_i32_f32_e32 v3, v3
.LBB289_437:
	s_or_b32 exec_lo, exec_lo, s22
.LBB289_438:
	s_mov_b32 s2, -1
.LBB289_439:
	s_mov_b32 s22, 0
.LBB289_440:
	s_delay_alu instid0(SALU_CYCLE_1)
	s_and_b32 vcc_lo, exec_lo, s22
	s_cbranch_vccz .LBB289_473
; %bb.441:
	v_cmp_gt_i16_e64 s22, s33, 22
	s_delay_alu instid0(VALU_DEP_1)
	s_and_b32 vcc_lo, exec_lo, s22
	s_cbranch_vccz .LBB289_449
; %bb.442:
	v_cmp_lt_i16_e64 s2, s33, 24
	s_delay_alu instid0(VALU_DEP_1)
	s_and_b32 vcc_lo, exec_lo, s2
	s_cbranch_vccnz .LBB289_452
; %bb.443:
	v_cmp_gt_i16_e64 s2, s33, 24
	s_delay_alu instid0(VALU_DEP_1)
	s_and_b32 vcc_lo, exec_lo, s2
	s_cbranch_vccz .LBB289_453
; %bb.444:
	global_load_u8 v4, v[1:2], off
	s_mov_b32 s2, 0
	s_mov_b32 s22, exec_lo
                                        ; implicit-def: $sgpr23
	s_waitcnt vmcnt(0)
	v_cmpx_lt_i16_e32 0x7f, v4
	s_xor_b32 s22, exec_lo, s22
	s_cbranch_execz .LBB289_465
; %bb.445:
	v_cmp_ne_u16_e32 vcc_lo, 0x80, v4
	s_mov_b32 s23, 0
	s_and_b32 s2, vcc_lo, exec_lo
	s_or_saveexec_b32 s22, s22
	v_mov_b32_e32 v3, s23
	s_xor_b32 exec_lo, exec_lo, s22
	s_cbranch_execnz .LBB289_466
.LBB289_446:
	s_or_b32 exec_lo, exec_lo, s22
	s_and_saveexec_b32 s22, s2
	s_cbranch_execz .LBB289_448
.LBB289_447:
	v_and_b32_e32 v3, 0xffff, v4
	v_lshlrev_b32_e32 v4, 24, v4
	s_delay_alu instid0(VALU_DEP_2) | instskip(NEXT) | instid1(VALU_DEP_2)
	v_and_b32_e32 v6, 3, v3
	v_and_b32_e32 v4, 0x80000000, v4
	s_delay_alu instid0(VALU_DEP_2) | instskip(NEXT) | instid1(VALU_DEP_1)
	v_clz_i32_u32_e32 v7, v6
	v_min_u32_e32 v7, 32, v7
	s_delay_alu instid0(VALU_DEP_1) | instskip(SKIP_1) | instid1(VALU_DEP_2)
	v_subrev_nc_u32_e32 v8, 29, v7
	v_sub_nc_u32_e32 v7, 30, v7
	v_lshlrev_b32_e32 v8, v8, v3
	v_bfe_u32 v3, v3, 2, 5
	s_delay_alu instid0(VALU_DEP_1) | instskip(NEXT) | instid1(VALU_DEP_3)
	v_cmp_eq_u32_e32 vcc_lo, 0, v3
	v_dual_cndmask_b32 v3, v3, v7 :: v_dual_and_b32 v8, 3, v8
	s_delay_alu instid0(VALU_DEP_1) | instskip(NEXT) | instid1(VALU_DEP_2)
	v_cndmask_b32_e32 v6, v6, v8, vcc_lo
	v_lshl_add_u32 v3, v3, 23, 0x37800000
	s_delay_alu instid0(VALU_DEP_2) | instskip(NEXT) | instid1(VALU_DEP_1)
	v_lshlrev_b32_e32 v6, 21, v6
	v_or3_b32 v3, v4, v3, v6
	s_delay_alu instid0(VALU_DEP_1)
	v_cvt_i32_f32_e32 v3, v3
.LBB289_448:
	s_or_b32 exec_lo, exec_lo, s22
	s_mov_b32 s2, 0
	s_branch .LBB289_454
.LBB289_449:
	s_mov_b32 s22, -1
                                        ; implicit-def: $vgpr3
	s_branch .LBB289_460
.LBB289_450:
	s_or_saveexec_b32 s22, s22
	v_mov_b32_e32 v3, s23
	s_xor_b32 exec_lo, exec_lo, s22
	s_cbranch_execz .LBB289_435
.LBB289_451:
	v_cmp_ne_u16_e32 vcc_lo, 0, v4
	v_mov_b32_e32 v3, 0
	s_and_not1_b32 s2, s2, exec_lo
	s_and_b32 s23, vcc_lo, exec_lo
	s_delay_alu instid0(SALU_CYCLE_1)
	s_or_b32 s2, s2, s23
	s_or_b32 exec_lo, exec_lo, s22
	s_and_saveexec_b32 s22, s2
	s_cbranch_execnz .LBB289_436
	s_branch .LBB289_437
.LBB289_452:
	s_mov_b32 s2, -1
                                        ; implicit-def: $vgpr3
	s_branch .LBB289_457
.LBB289_453:
	s_mov_b32 s2, -1
                                        ; implicit-def: $vgpr3
.LBB289_454:
	s_delay_alu instid0(SALU_CYCLE_1)
	s_and_b32 vcc_lo, exec_lo, s2
	s_cbranch_vccz .LBB289_456
; %bb.455:
	global_load_u8 v3, v[1:2], off
	s_waitcnt vmcnt(0)
	v_lshlrev_b32_e32 v3, 24, v3
	s_delay_alu instid0(VALU_DEP_1) | instskip(NEXT) | instid1(VALU_DEP_1)
	v_and_b32_e32 v4, 0x7f000000, v3
	v_clz_i32_u32_e32 v6, v4
	v_add_nc_u32_e32 v8, 0x1000000, v4
	v_cmp_ne_u32_e32 vcc_lo, 0, v4
	s_delay_alu instid0(VALU_DEP_3) | instskip(NEXT) | instid1(VALU_DEP_1)
	v_min_u32_e32 v6, 32, v6
	v_sub_nc_u32_e64 v6, v6, 4 clamp
	s_delay_alu instid0(VALU_DEP_1) | instskip(SKIP_1) | instid1(VALU_DEP_2)
	v_lshlrev_b32_e32 v7, v6, v4
	v_lshlrev_b32_e32 v6, 23, v6
	v_lshrrev_b32_e32 v7, 4, v7
	s_delay_alu instid0(VALU_DEP_1) | instskip(SKIP_1) | instid1(VALU_DEP_2)
	v_sub_nc_u32_e32 v6, v7, v6
	v_ashrrev_i32_e32 v7, 8, v8
	v_add_nc_u32_e32 v6, 0x3c000000, v6
	s_delay_alu instid0(VALU_DEP_1) | instskip(NEXT) | instid1(VALU_DEP_1)
	v_and_or_b32 v6, 0x7f800000, v7, v6
	v_cndmask_b32_e32 v4, 0, v6, vcc_lo
	s_delay_alu instid0(VALU_DEP_1) | instskip(NEXT) | instid1(VALU_DEP_1)
	v_and_or_b32 v3, 0x80000000, v3, v4
	v_cvt_i32_f32_e32 v3, v3
.LBB289_456:
	s_mov_b32 s2, 0
.LBB289_457:
	s_delay_alu instid0(SALU_CYCLE_1)
	s_and_not1_b32 vcc_lo, exec_lo, s2
	s_cbranch_vccnz .LBB289_459
; %bb.458:
	global_load_u8 v3, v[1:2], off
	s_waitcnt vmcnt(0)
	v_lshlrev_b32_e32 v4, 25, v3
	v_lshlrev_b16 v3, 8, v3
	s_delay_alu instid0(VALU_DEP_2) | instskip(NEXT) | instid1(VALU_DEP_2)
	v_lshrrev_b32_e32 v6, 4, v4
	v_and_or_b32 v7, 0x7f00, v3, 0.5
	v_cmp_gt_u32_e32 vcc_lo, 0x8000000, v4
	v_bfe_i32 v3, v3, 0, 16
	s_delay_alu instid0(VALU_DEP_4) | instskip(NEXT) | instid1(VALU_DEP_1)
	v_or_b32_e32 v6, 0x70000000, v6
	v_dual_add_f32 v7, -0.5, v7 :: v_dual_mul_f32 v6, 0x7800000, v6
	s_delay_alu instid0(VALU_DEP_1) | instskip(NEXT) | instid1(VALU_DEP_1)
	v_cndmask_b32_e32 v4, v6, v7, vcc_lo
	v_and_or_b32 v3, 0x80000000, v3, v4
	s_delay_alu instid0(VALU_DEP_1)
	v_cvt_i32_f32_e32 v3, v3
.LBB289_459:
	s_mov_b32 s22, 0
	s_mov_b32 s2, -1
.LBB289_460:
	s_and_not1_b32 vcc_lo, exec_lo, s22
	s_cbranch_vccnz .LBB289_473
; %bb.461:
	v_cmp_gt_i16_e64 s22, s33, 14
	s_delay_alu instid0(VALU_DEP_1)
	s_and_b32 vcc_lo, exec_lo, s22
	s_cbranch_vccz .LBB289_464
; %bb.462:
	v_cmp_eq_u16_e64 s3, s33, 15
	s_delay_alu instid0(VALU_DEP_1)
	s_and_b32 vcc_lo, exec_lo, s3
	s_cbranch_vccz .LBB289_467
; %bb.463:
	global_load_u16 v3, v[1:2], off
	s_mov_b32 s2, -1
	s_mov_b32 s3, 0
	s_waitcnt vmcnt(0)
	v_lshlrev_b32_e32 v3, 16, v3
	s_delay_alu instid0(VALU_DEP_1)
	v_cvt_i32_f32_e32 v3, v3
	s_branch .LBB289_468
.LBB289_464:
	s_mov_b32 s22, -1
                                        ; implicit-def: $vgpr3
	s_branch .LBB289_469
.LBB289_465:
	s_or_saveexec_b32 s22, s22
	v_mov_b32_e32 v3, s23
	s_xor_b32 exec_lo, exec_lo, s22
	s_cbranch_execz .LBB289_446
.LBB289_466:
	v_cmp_ne_u16_e32 vcc_lo, 0, v4
	v_mov_b32_e32 v3, 0
	s_and_not1_b32 s2, s2, exec_lo
	s_and_b32 s23, vcc_lo, exec_lo
	s_delay_alu instid0(SALU_CYCLE_1)
	s_or_b32 s2, s2, s23
	s_or_b32 exec_lo, exec_lo, s22
	s_and_saveexec_b32 s22, s2
	s_cbranch_execnz .LBB289_447
	s_branch .LBB289_448
.LBB289_467:
	s_mov_b32 s3, -1
                                        ; implicit-def: $vgpr3
.LBB289_468:
	s_mov_b32 s22, 0
.LBB289_469:
	s_delay_alu instid0(SALU_CYCLE_1)
	s_and_b32 vcc_lo, exec_lo, s22
	s_cbranch_vccz .LBB289_473
; %bb.470:
	v_cmp_eq_u16_e64 s3, s33, 11
	s_delay_alu instid0(VALU_DEP_1)
	s_and_b32 vcc_lo, exec_lo, s3
	s_cbranch_vccz .LBB289_472
; %bb.471:
	global_load_u8 v3, v[1:2], off
	s_mov_b32 s3, 0
	s_mov_b32 s2, -1
	s_waitcnt vmcnt(0)
	v_cmp_ne_u16_e32 vcc_lo, 0, v3
	v_cndmask_b32_e64 v3, 0, 1, vcc_lo
	s_branch .LBB289_473
.LBB289_472:
	s_mov_b32 s3, -1
                                        ; implicit-def: $vgpr3
.LBB289_473:
	s_branch .LBB289_282
.LBB289_474:
	v_cmp_lt_i16_e64 s2, s33, 5
	s_delay_alu instid0(VALU_DEP_1)
	s_and_b32 vcc_lo, exec_lo, s2
	s_cbranch_vccnz .LBB289_479
; %bb.475:
	v_cmp_lt_i16_e64 s2, s33, 8
	s_delay_alu instid0(VALU_DEP_1)
	s_and_b32 vcc_lo, exec_lo, s2
	s_cbranch_vccnz .LBB289_480
; %bb.476:
	;; [unrolled: 5-line block ×3, first 2 shown]
	v_cmp_gt_i16_e64 s2, s33, 9
	s_delay_alu instid0(VALU_DEP_1)
	s_and_b32 vcc_lo, exec_lo, s2
	s_cbranch_vccz .LBB289_482
; %bb.478:
	global_load_b64 v[3:4], v[1:2], off
	s_mov_b32 s2, 0
	s_waitcnt vmcnt(0)
	v_cvt_i32_f64_e32 v3, v[3:4]
	s_branch .LBB289_483
.LBB289_479:
	s_mov_b32 s2, -1
                                        ; implicit-def: $vgpr3
	s_branch .LBB289_501
.LBB289_480:
	s_mov_b32 s2, -1
                                        ; implicit-def: $vgpr3
	s_branch .LBB289_489
.LBB289_481:
	s_mov_b32 s2, -1
                                        ; implicit-def: $vgpr3
	s_branch .LBB289_486
.LBB289_482:
	s_mov_b32 s2, -1
                                        ; implicit-def: $vgpr3
.LBB289_483:
	s_delay_alu instid0(SALU_CYCLE_1)
	s_and_not1_b32 vcc_lo, exec_lo, s2
	s_cbranch_vccnz .LBB289_485
; %bb.484:
	global_load_b32 v3, v[1:2], off
	s_waitcnt vmcnt(0)
	v_cvt_i32_f32_e32 v3, v3
.LBB289_485:
	s_mov_b32 s2, 0
.LBB289_486:
	s_delay_alu instid0(SALU_CYCLE_1)
	s_and_not1_b32 vcc_lo, exec_lo, s2
	s_cbranch_vccnz .LBB289_488
; %bb.487:
	global_load_b32 v3, v[1:2], off
	s_waitcnt vmcnt(0)
	v_cvt_i16_f16_e32 v3, v3
.LBB289_488:
	s_mov_b32 s2, 0
.LBB289_489:
	s_delay_alu instid0(SALU_CYCLE_1)
	s_and_not1_b32 vcc_lo, exec_lo, s2
	s_cbranch_vccnz .LBB289_500
; %bb.490:
	v_cmp_lt_i16_e64 s2, s33, 6
	s_delay_alu instid0(VALU_DEP_1)
	s_and_b32 vcc_lo, exec_lo, s2
	s_cbranch_vccnz .LBB289_493
; %bb.491:
	v_cmp_gt_i16_e64 s2, s33, 6
	s_delay_alu instid0(VALU_DEP_1)
	s_and_b32 vcc_lo, exec_lo, s2
	s_cbranch_vccz .LBB289_494
; %bb.492:
	global_load_b64 v[3:4], v[1:2], off
	s_mov_b32 s2, 0
	s_waitcnt vmcnt(0)
	v_cvt_i32_f64_e32 v3, v[3:4]
	s_branch .LBB289_495
.LBB289_493:
	s_mov_b32 s2, -1
                                        ; implicit-def: $vgpr3
	s_branch .LBB289_498
.LBB289_494:
	s_mov_b32 s2, -1
                                        ; implicit-def: $vgpr3
.LBB289_495:
	s_delay_alu instid0(SALU_CYCLE_1)
	s_and_not1_b32 vcc_lo, exec_lo, s2
	s_cbranch_vccnz .LBB289_497
; %bb.496:
	global_load_b32 v3, v[1:2], off
	s_waitcnt vmcnt(0)
	v_cvt_i32_f32_e32 v3, v3
.LBB289_497:
	s_mov_b32 s2, 0
.LBB289_498:
	s_delay_alu instid0(SALU_CYCLE_1)
	s_and_not1_b32 vcc_lo, exec_lo, s2
	s_cbranch_vccnz .LBB289_500
; %bb.499:
	global_load_u16 v3, v[1:2], off
	s_waitcnt vmcnt(0)
	v_cvt_i16_f16_e32 v3, v3
.LBB289_500:
	s_mov_b32 s2, 0
.LBB289_501:
	s_delay_alu instid0(SALU_CYCLE_1)
	s_and_not1_b32 vcc_lo, exec_lo, s2
	s_cbranch_vccnz .LBB289_521
; %bb.502:
	v_cmp_lt_i16_e64 s2, s33, 2
	s_delay_alu instid0(VALU_DEP_1)
	s_and_b32 vcc_lo, exec_lo, s2
	s_cbranch_vccnz .LBB289_506
; %bb.503:
	v_cmp_lt_i16_e64 s2, s33, 3
	s_delay_alu instid0(VALU_DEP_1)
	s_and_b32 vcc_lo, exec_lo, s2
	s_cbranch_vccnz .LBB289_507
; %bb.504:
	v_cmp_gt_i16_e64 s2, s33, 3
	s_delay_alu instid0(VALU_DEP_1)
	s_and_b32 vcc_lo, exec_lo, s2
	s_cbranch_vccz .LBB289_508
; %bb.505:
	global_load_b64 v[3:4], v[1:2], off
	s_mov_b32 s2, 0
	s_branch .LBB289_509
.LBB289_506:
	s_mov_b32 s2, -1
                                        ; implicit-def: $vgpr3
	s_branch .LBB289_515
.LBB289_507:
	s_mov_b32 s2, -1
                                        ; implicit-def: $vgpr3
	s_branch .LBB289_512
.LBB289_508:
	s_mov_b32 s2, -1
                                        ; implicit-def: $vgpr3
.LBB289_509:
	s_delay_alu instid0(SALU_CYCLE_1)
	s_and_not1_b32 vcc_lo, exec_lo, s2
	s_cbranch_vccnz .LBB289_511
; %bb.510:
	global_load_b32 v3, v[1:2], off
.LBB289_511:
	s_mov_b32 s2, 0
.LBB289_512:
	s_delay_alu instid0(SALU_CYCLE_1)
	s_and_not1_b32 vcc_lo, exec_lo, s2
	s_cbranch_vccnz .LBB289_514
; %bb.513:
	global_load_u16 v3, v[1:2], off
.LBB289_514:
	s_mov_b32 s2, 0
.LBB289_515:
	s_delay_alu instid0(SALU_CYCLE_1)
	s_and_not1_b32 vcc_lo, exec_lo, s2
	s_cbranch_vccnz .LBB289_521
; %bb.516:
	v_cmp_gt_i16_e64 s2, s33, 0
	s_delay_alu instid0(VALU_DEP_1)
	s_and_b32 vcc_lo, exec_lo, s2
	s_mov_b32 s2, 0
	s_cbranch_vccz .LBB289_518
; %bb.517:
	global_load_u8 v3, v[1:2], off
	s_branch .LBB289_519
.LBB289_518:
	s_mov_b32 s2, -1
                                        ; implicit-def: $vgpr3
.LBB289_519:
	s_delay_alu instid0(SALU_CYCLE_1)
	s_and_not1_b32 vcc_lo, exec_lo, s2
	s_cbranch_vccnz .LBB289_521
; %bb.520:
	global_load_u8 v3, v[1:2], off
.LBB289_521:
	s_branch .LBB289_283
.LBB289_522:
	s_mov_b32 s22, 0
	s_mov_b32 s2, s38
.LBB289_523:
                                        ; implicit-def: $vgpr5
.LBB289_524:
	s_and_not1_b32 s23, s38, exec_lo
	s_and_b32 s2, s2, exec_lo
	s_and_not1_b32 s41, s39, exec_lo
	s_and_b32 s3, s3, exec_lo
	s_or_b32 s42, s23, s2
	s_or_b32 s41, s41, s3
	s_or_not1_b32 s2, s22, exec_lo
.LBB289_525:
	s_or_b32 exec_lo, exec_lo, s43
	s_mov_b32 s3, 0
	s_mov_b32 s23, 0
	;; [unrolled: 1-line block ×3, first 2 shown]
                                        ; implicit-def: $vgpr1_vgpr2
                                        ; implicit-def: $vgpr0
                                        ; implicit-def: $vgpr3
	s_and_saveexec_b32 s43, s2
	s_cbranch_execz .LBB289_889
; %bb.526:
	s_mov_b32 s46, -1
	s_mov_b32 s22, s41
	s_mov_b32 s23, s42
	s_mov_b32 s44, exec_lo
	v_cmpx_gt_i32_e64 s35, v5
	s_cbranch_execz .LBB289_794
; %bb.527:
	s_and_not1_b32 vcc_lo, exec_lo, s27
	s_cbranch_vccnz .LBB289_532
; %bb.528:
	v_dual_mov_b32 v0, 0 :: v_dual_mov_b32 v1, 0
	s_and_not1_b32 vcc_lo, exec_lo, s37
	s_mov_b32 s45, 0
	s_cbranch_vccnz .LBB289_537
; %bb.529:
	v_mov_b32_e32 v0, 0
	s_add_i32 s47, s36, 1
	s_cmp_eq_u32 s25, 2
	s_mov_b32 s46, 0
	s_cbranch_scc1 .LBB289_533
; %bb.530:
	v_dual_mov_b32 v1, 0 :: v_dual_mov_b32 v0, 0
	v_mov_b32_e32 v2, v5
	s_and_b32 s46, s47, 28
	s_mov_b32 s48, 0
	s_mov_b64 s[2:3], s[20:21]
	s_mov_b64 s[22:23], s[16:17]
.LBB289_531:                            ; =>This Inner Loop Header: Depth=1
	s_clause 0x1
	s_load_b256 s[52:59], s[22:23], 0x4
	s_load_b128 s[68:71], s[22:23], 0x24
	s_load_b256 s[60:67], s[2:3], 0x0
	s_add_u32 s22, s22, 48
	s_addc_u32 s23, s23, 0
	s_add_i32 s48, s48, 4
	s_add_u32 s2, s2, 32
	s_addc_u32 s3, s3, 0
	s_cmp_eq_u32 s46, s48
	s_waitcnt vmcnt(0) lgkmcnt(0)
	v_mul_hi_u32 v3, s53, v2
	s_delay_alu instid0(VALU_DEP_1) | instskip(NEXT) | instid1(VALU_DEP_1)
	v_add_nc_u32_e32 v3, v2, v3
	v_lshrrev_b32_e32 v3, s54, v3
	s_delay_alu instid0(VALU_DEP_1) | instskip(SKIP_1) | instid1(VALU_DEP_2)
	v_mul_hi_u32 v4, s56, v3
	v_mul_lo_u32 v7, v3, s52
	v_add_nc_u32_e32 v4, v3, v4
	s_delay_alu instid0(VALU_DEP_2) | instskip(NEXT) | instid1(VALU_DEP_2)
	v_sub_nc_u32_e32 v2, v2, v7
	v_lshrrev_b32_e32 v4, s57, v4
	s_delay_alu instid0(VALU_DEP_2) | instskip(SKIP_1) | instid1(VALU_DEP_3)
	v_mul_lo_u32 v7, v2, s60
	v_mul_lo_u32 v9, v2, s61
	v_mul_hi_u32 v6, s59, v4
	s_delay_alu instid0(VALU_DEP_1) | instskip(NEXT) | instid1(VALU_DEP_1)
	v_add_nc_u32_e32 v6, v4, v6
	v_lshrrev_b32_e32 v6, s68, v6
	s_delay_alu instid0(VALU_DEP_1) | instskip(SKIP_1) | instid1(VALU_DEP_2)
	v_mul_hi_u32 v8, s70, v6
	v_mul_lo_u32 v10, v6, s58
	v_add_nc_u32_e32 v2, v6, v8
	v_mul_lo_u32 v8, v4, s55
	s_delay_alu instid0(VALU_DEP_3) | instskip(NEXT) | instid1(VALU_DEP_3)
	v_sub_nc_u32_e32 v4, v4, v10
	v_lshrrev_b32_e32 v2, s71, v2
	s_delay_alu instid0(VALU_DEP_2) | instskip(SKIP_2) | instid1(VALU_DEP_4)
	v_mul_lo_u32 v10, v4, s64
	v_mul_lo_u32 v4, v4, s65
	v_sub_nc_u32_e32 v3, v3, v8
	v_mul_lo_u32 v11, v2, s69
	s_delay_alu instid0(VALU_DEP_2) | instskip(SKIP_1) | instid1(VALU_DEP_3)
	v_mul_lo_u32 v8, v3, s62
	v_mul_lo_u32 v3, v3, s63
	v_sub_nc_u32_e32 v6, v6, v11
	s_delay_alu instid0(VALU_DEP_3) | instskip(NEXT) | instid1(VALU_DEP_2)
	v_add3_u32 v0, v7, v0, v8
	v_mul_lo_u32 v11, v6, s66
	v_mul_lo_u32 v6, v6, s67
	v_add3_u32 v1, v9, v1, v3
	s_delay_alu instid0(VALU_DEP_3) | instskip(NEXT) | instid1(VALU_DEP_2)
	v_add3_u32 v0, v10, v0, v11
	v_add3_u32 v1, v4, v1, v6
	s_cbranch_scc0 .LBB289_531
	s_branch .LBB289_534
.LBB289_532:
	s_mov_b32 s45, -1
                                        ; implicit-def: $vgpr0
                                        ; implicit-def: $vgpr1
	s_branch .LBB289_537
.LBB289_533:
	v_dual_mov_b32 v2, v5 :: v_dual_mov_b32 v1, 0
.LBB289_534:
	s_and_b32 s47, s47, 3
	s_delay_alu instid0(SALU_CYCLE_1)
	s_cmp_eq_u32 s47, 0
	s_cbranch_scc1 .LBB289_537
; %bb.535:
	s_lshl_b32 s2, s46, 3
	s_mul_i32 s22, s46, 12
	s_add_u32 s2, s2, s16
	s_addc_u32 s3, s17, 0
	s_add_u32 s2, s2, 0xc4
	s_addc_u32 s3, s3, 0
	;; [unrolled: 2-line block ×3, first 2 shown]
	.p2align	6
.LBB289_536:                            ; =>This Inner Loop Header: Depth=1
	s_clause 0x1
	s_load_b64 s[48:49], s[22:23], 0x4
	s_load_b32 s46, s[22:23], 0xc
	s_load_b64 s[50:51], s[2:3], 0x0
	s_add_u32 s22, s22, 12
	s_addc_u32 s23, s23, 0
	s_add_u32 s2, s2, 8
	s_addc_u32 s3, s3, 0
	s_add_i32 s47, s47, -1
	s_delay_alu instid0(SALU_CYCLE_1) | instskip(SKIP_2) | instid1(VALU_DEP_1)
	s_cmp_lg_u32 s47, 0
	s_waitcnt vmcnt(0) lgkmcnt(0)
	v_mul_hi_u32 v3, s49, v2
	v_add_nc_u32_e32 v3, v2, v3
	s_delay_alu instid0(VALU_DEP_1) | instskip(NEXT) | instid1(VALU_DEP_1)
	v_lshrrev_b32_e32 v8, s46, v3
	v_mul_lo_u32 v3, v8, s48
	s_delay_alu instid0(VALU_DEP_1) | instskip(NEXT) | instid1(VALU_DEP_1)
	v_sub_nc_u32_e32 v2, v2, v3
	v_mad_u64_u32 v[3:4], null, v2, s50, v[0:1]
	v_mad_u64_u32 v[6:7], null, v2, s51, v[1:2]
	v_mov_b32_e32 v2, v8
	s_delay_alu instid0(VALU_DEP_2)
	v_dual_mov_b32 v0, v3 :: v_dual_mov_b32 v1, v6
	s_cbranch_scc1 .LBB289_536
.LBB289_537:
	s_and_not1_b32 vcc_lo, exec_lo, s45
	s_cbranch_vccnz .LBB289_540
; %bb.538:
	v_mul_hi_u32 v0, s13, v5
	s_and_not1_b32 vcc_lo, exec_lo, s34
	s_delay_alu instid0(VALU_DEP_1) | instskip(NEXT) | instid1(VALU_DEP_1)
	v_add_nc_u32_e32 v0, v5, v0
	v_lshrrev_b32_e32 v2, s14, v0
	s_delay_alu instid0(VALU_DEP_1) | instskip(NEXT) | instid1(VALU_DEP_1)
	v_mul_lo_u32 v0, v2, s12
	v_sub_nc_u32_e32 v1, v5, v0
	s_delay_alu instid0(VALU_DEP_1)
	v_mul_lo_u32 v0, v1, s8
	v_mul_lo_u32 v1, v1, s9
	s_cbranch_vccnz .LBB289_540
; %bb.539:
	s_waitcnt vmcnt(0)
	v_mul_hi_u32 v3, s18, v2
	s_delay_alu instid0(VALU_DEP_1) | instskip(NEXT) | instid1(VALU_DEP_1)
	v_add_nc_u32_e32 v3, v2, v3
	v_lshrrev_b32_e32 v3, s19, v3
	s_delay_alu instid0(VALU_DEP_1) | instskip(NEXT) | instid1(VALU_DEP_1)
	v_mul_lo_u32 v3, v3, s15
	v_sub_nc_u32_e32 v6, v2, v3
	s_delay_alu instid0(VALU_DEP_1) | instskip(NEXT) | instid1(VALU_DEP_1)
	v_mad_u64_u32 v[2:3], null, v6, s10, v[0:1]
	v_mad_u64_u32 v[3:4], null, v6, s11, v[1:2]
	s_delay_alu instid0(VALU_DEP_1)
	v_dual_mov_b32 v0, v2 :: v_dual_mov_b32 v1, v3
.LBB289_540:
	v_cmp_lt_i16_e64 s2, s33, 11
	s_delay_alu instid0(VALU_DEP_2) | instskip(NEXT) | instid1(VALU_DEP_1)
	v_add_co_u32 v1, s3, s6, v1
	v_add_co_ci_u32_e64 v2, null, s7, 0, s3
	s_delay_alu instid0(VALU_DEP_3)
	s_and_b32 vcc_lo, exec_lo, s2
	s_mov_b32 s2, 0
	s_cbranch_vccnz .LBB289_547
; %bb.541:
	v_cmp_gt_i16_e64 s2, s33, 25
	s_delay_alu instid0(VALU_DEP_1)
	s_and_b32 vcc_lo, exec_lo, s2
	s_cbranch_vccz .LBB289_548
; %bb.542:
	v_cmp_gt_i16_e64 s2, s33, 28
	s_delay_alu instid0(VALU_DEP_1)
	s_and_b32 vcc_lo, exec_lo, s2
	s_cbranch_vccz .LBB289_549
	;; [unrolled: 5-line block ×4, first 2 shown]
; %bb.545:
	v_cmp_eq_u16_e64 s2, s33, 46
	s_mov_b32 s22, 0
	s_delay_alu instid0(VALU_DEP_1)
	s_and_b32 vcc_lo, exec_lo, s2
	s_cbranch_vccz .LBB289_556
; %bb.546:
	global_load_b32 v3, v[1:2], off
	s_mov_b32 s2, -1
	s_mov_b32 s3, 0
	s_waitcnt vmcnt(0)
	v_lshlrev_b32_e32 v3, 16, v3
	s_delay_alu instid0(VALU_DEP_1)
	v_cvt_i32_f32_e32 v3, v3
	s_branch .LBB289_558
.LBB289_547:
	s_mov_b32 s22, -1
	s_mov_b32 s3, s41
                                        ; implicit-def: $vgpr3
	s_branch .LBB289_619
.LBB289_548:
	s_mov_b32 s22, -1
	s_mov_b32 s2, 0
	s_mov_b32 s3, s41
                                        ; implicit-def: $vgpr3
	s_branch .LBB289_585
.LBB289_549:
	s_mov_b32 s22, -1
	s_mov_b32 s2, 0
	s_mov_b32 s3, s41
                                        ; implicit-def: $vgpr3
	s_branch .LBB289_568
.LBB289_550:
	s_mov_b32 s22, -1
	s_mov_b32 s2, 0
	s_mov_b32 s3, s41
                                        ; implicit-def: $vgpr3
	s_branch .LBB289_563
.LBB289_551:
	s_or_saveexec_b32 s41, s41
                                        ; implicit-def: $sgpr42
	s_delay_alu instid0(SALU_CYCLE_1)
	s_xor_b32 exec_lo, exec_lo, s41
	s_cbranch_execz .LBB289_366
.LBB289_552:
	v_add_f32_e64 v6, 0x46000000, |v4|
	s_and_not1_b32 s23, s23, exec_lo
	s_mov_b32 s42, 0
	s_delay_alu instid0(VALU_DEP_1) | instskip(NEXT) | instid1(VALU_DEP_1)
	v_and_b32_e32 v6, 0xff, v6
	v_cmp_ne_u32_e32 vcc_lo, 0, v6
	s_and_b32 s44, vcc_lo, exec_lo
	s_delay_alu instid0(SALU_CYCLE_1)
	s_or_b32 s23, s23, s44
	s_or_b32 exec_lo, exec_lo, s41
	v_mov_b32_e32 v7, s42
	s_and_saveexec_b32 s41, s23
	s_cbranch_execnz .LBB289_367
	s_branch .LBB289_368
.LBB289_553:
	s_mov_b32 s22, -1
	s_mov_b32 s2, 0
	s_mov_b32 s3, s41
	s_branch .LBB289_557
.LBB289_554:
	s_or_saveexec_b32 s41, s41
                                        ; implicit-def: $sgpr42
	s_delay_alu instid0(SALU_CYCLE_1)
	s_xor_b32 exec_lo, exec_lo, s41
	s_cbranch_execz .LBB289_379
.LBB289_555:
	v_add_f32_e64 v6, 0x42800000, |v4|
	s_and_not1_b32 s23, s23, exec_lo
	s_mov_b32 s42, 0
	s_delay_alu instid0(VALU_DEP_1) | instskip(NEXT) | instid1(VALU_DEP_1)
	v_and_b32_e32 v6, 0xff, v6
	v_cmp_ne_u32_e32 vcc_lo, 0, v6
	s_and_b32 s44, vcc_lo, exec_lo
	s_delay_alu instid0(SALU_CYCLE_1)
	s_or_b32 s23, s23, s44
	s_or_b32 exec_lo, exec_lo, s41
	v_mov_b32_e32 v7, s42
	s_and_saveexec_b32 s41, s23
	s_cbranch_execnz .LBB289_380
	s_branch .LBB289_381
.LBB289_556:
	s_mov_b32 s3, -1
	s_mov_b32 s2, 0
.LBB289_557:
                                        ; implicit-def: $vgpr3
.LBB289_558:
	s_and_b32 vcc_lo, exec_lo, s22
	s_cbranch_vccz .LBB289_562
; %bb.559:
	v_cmp_eq_u16_e64 s3, s33, 44
	s_delay_alu instid0(VALU_DEP_1)
	s_and_b32 vcc_lo, exec_lo, s3
	s_cbranch_vccz .LBB289_561
; %bb.560:
	global_load_u8 v3, v[1:2], off
	s_mov_b32 s3, 0
	s_mov_b32 s2, -1
	s_waitcnt vmcnt(0)
	v_lshlrev_b32_e32 v4, 23, v3
	v_cmp_ne_u32_e32 vcc_lo, 0, v3
	s_delay_alu instid0(VALU_DEP_2) | instskip(NEXT) | instid1(VALU_DEP_1)
	v_cvt_i32_f32_e32 v4, v4
	v_cndmask_b32_e32 v3, 0, v4, vcc_lo
	s_branch .LBB289_562
.LBB289_561:
	s_mov_b32 s3, -1
                                        ; implicit-def: $vgpr3
.LBB289_562:
	s_mov_b32 s22, 0
.LBB289_563:
	s_delay_alu instid0(SALU_CYCLE_1)
	s_and_b32 vcc_lo, exec_lo, s22
	s_cbranch_vccz .LBB289_567
; %bb.564:
	v_cmp_eq_u16_e64 s3, s33, 29
	s_delay_alu instid0(VALU_DEP_1)
	s_and_b32 vcc_lo, exec_lo, s3
	s_cbranch_vccz .LBB289_566
; %bb.565:
	global_load_b64 v[3:4], v[1:2], off
	s_mov_b32 s2, -1
	s_mov_b32 s3, 0
	s_branch .LBB289_567
.LBB289_566:
	s_mov_b32 s3, -1
                                        ; implicit-def: $vgpr3
.LBB289_567:
	s_mov_b32 s22, 0
.LBB289_568:
	s_delay_alu instid0(SALU_CYCLE_1)
	s_and_b32 vcc_lo, exec_lo, s22
	s_cbranch_vccz .LBB289_584
; %bb.569:
	v_cmp_lt_i16_e64 s2, s33, 27
	s_delay_alu instid0(VALU_DEP_1)
	s_and_b32 vcc_lo, exec_lo, s2
	s_cbranch_vccnz .LBB289_572
; %bb.570:
	v_cmp_gt_i16_e64 s2, s33, 27
	s_delay_alu instid0(VALU_DEP_1)
	s_and_b32 vcc_lo, exec_lo, s2
	s_cbranch_vccz .LBB289_573
; %bb.571:
	global_load_b32 v3, v[1:2], off
	s_mov_b32 s2, 0
	s_branch .LBB289_574
.LBB289_572:
	s_mov_b32 s2, -1
                                        ; implicit-def: $vgpr3
	s_branch .LBB289_577
.LBB289_573:
	s_mov_b32 s2, -1
                                        ; implicit-def: $vgpr3
.LBB289_574:
	s_delay_alu instid0(SALU_CYCLE_1)
	s_and_not1_b32 vcc_lo, exec_lo, s2
	s_cbranch_vccnz .LBB289_576
; %bb.575:
	global_load_u16 v3, v[1:2], off
.LBB289_576:
	s_mov_b32 s2, 0
.LBB289_577:
	s_delay_alu instid0(SALU_CYCLE_1)
	s_and_not1_b32 vcc_lo, exec_lo, s2
	s_cbranch_vccnz .LBB289_583
; %bb.578:
	global_load_u8 v4, v[1:2], off
	s_mov_b32 s2, 0
	s_mov_b32 s22, exec_lo
                                        ; implicit-def: $sgpr23
	s_waitcnt vmcnt(0)
	v_cmpx_lt_i16_e32 0x7f, v4
	s_xor_b32 s22, exec_lo, s22
	s_cbranch_execz .LBB289_595
; %bb.579:
	v_cmp_ne_u16_e32 vcc_lo, 0x80, v4
	s_mov_b32 s23, 0
	s_and_b32 s2, vcc_lo, exec_lo
	s_or_saveexec_b32 s22, s22
	v_mov_b32_e32 v3, s23
	s_xor_b32 exec_lo, exec_lo, s22
	s_cbranch_execnz .LBB289_596
.LBB289_580:
	s_or_b32 exec_lo, exec_lo, s22
	s_and_saveexec_b32 s22, s2
	s_cbranch_execz .LBB289_582
.LBB289_581:
	v_and_b32_e32 v3, 0xffff, v4
	v_lshlrev_b32_e32 v4, 24, v4
	s_delay_alu instid0(VALU_DEP_2) | instskip(NEXT) | instid1(VALU_DEP_2)
	v_and_b32_e32 v6, 7, v3
	v_and_b32_e32 v4, 0x80000000, v4
	s_delay_alu instid0(VALU_DEP_2) | instskip(NEXT) | instid1(VALU_DEP_1)
	v_clz_i32_u32_e32 v7, v6
	v_min_u32_e32 v7, 32, v7
	s_delay_alu instid0(VALU_DEP_1) | instskip(SKIP_1) | instid1(VALU_DEP_2)
	v_subrev_nc_u32_e32 v8, 28, v7
	v_sub_nc_u32_e32 v7, 29, v7
	v_lshlrev_b32_e32 v8, v8, v3
	v_bfe_u32 v3, v3, 3, 4
	s_delay_alu instid0(VALU_DEP_1) | instskip(NEXT) | instid1(VALU_DEP_3)
	v_cmp_eq_u32_e32 vcc_lo, 0, v3
	v_dual_cndmask_b32 v3, v3, v7 :: v_dual_and_b32 v8, 7, v8
	s_delay_alu instid0(VALU_DEP_1) | instskip(NEXT) | instid1(VALU_DEP_2)
	v_cndmask_b32_e32 v6, v6, v8, vcc_lo
	v_lshl_add_u32 v3, v3, 23, 0x3b800000
	s_delay_alu instid0(VALU_DEP_2) | instskip(NEXT) | instid1(VALU_DEP_1)
	v_lshlrev_b32_e32 v6, 20, v6
	v_or3_b32 v3, v4, v3, v6
	s_delay_alu instid0(VALU_DEP_1)
	v_cvt_i32_f32_e32 v3, v3
.LBB289_582:
	s_or_b32 exec_lo, exec_lo, s22
.LBB289_583:
	s_mov_b32 s2, -1
.LBB289_584:
	s_mov_b32 s22, 0
.LBB289_585:
	s_delay_alu instid0(SALU_CYCLE_1)
	s_and_b32 vcc_lo, exec_lo, s22
	s_cbranch_vccz .LBB289_618
; %bb.586:
	v_cmp_gt_i16_e64 s22, s33, 22
	s_delay_alu instid0(VALU_DEP_1)
	s_and_b32 vcc_lo, exec_lo, s22
	s_cbranch_vccz .LBB289_594
; %bb.587:
	v_cmp_lt_i16_e64 s2, s33, 24
	s_delay_alu instid0(VALU_DEP_1)
	s_and_b32 vcc_lo, exec_lo, s2
	s_cbranch_vccnz .LBB289_597
; %bb.588:
	v_cmp_gt_i16_e64 s2, s33, 24
	s_delay_alu instid0(VALU_DEP_1)
	s_and_b32 vcc_lo, exec_lo, s2
	s_cbranch_vccz .LBB289_598
; %bb.589:
	global_load_u8 v4, v[1:2], off
	s_mov_b32 s2, 0
	s_mov_b32 s22, exec_lo
                                        ; implicit-def: $sgpr23
	s_waitcnt vmcnt(0)
	v_cmpx_lt_i16_e32 0x7f, v4
	s_xor_b32 s22, exec_lo, s22
	s_cbranch_execz .LBB289_610
; %bb.590:
	v_cmp_ne_u16_e32 vcc_lo, 0x80, v4
	s_mov_b32 s23, 0
	s_and_b32 s2, vcc_lo, exec_lo
	s_or_saveexec_b32 s22, s22
	v_mov_b32_e32 v3, s23
	s_xor_b32 exec_lo, exec_lo, s22
	s_cbranch_execnz .LBB289_611
.LBB289_591:
	s_or_b32 exec_lo, exec_lo, s22
	s_and_saveexec_b32 s22, s2
	s_cbranch_execz .LBB289_593
.LBB289_592:
	v_and_b32_e32 v3, 0xffff, v4
	v_lshlrev_b32_e32 v4, 24, v4
	s_delay_alu instid0(VALU_DEP_2) | instskip(NEXT) | instid1(VALU_DEP_2)
	v_and_b32_e32 v6, 3, v3
	v_and_b32_e32 v4, 0x80000000, v4
	s_delay_alu instid0(VALU_DEP_2) | instskip(NEXT) | instid1(VALU_DEP_1)
	v_clz_i32_u32_e32 v7, v6
	v_min_u32_e32 v7, 32, v7
	s_delay_alu instid0(VALU_DEP_1) | instskip(SKIP_1) | instid1(VALU_DEP_2)
	v_subrev_nc_u32_e32 v8, 29, v7
	v_sub_nc_u32_e32 v7, 30, v7
	v_lshlrev_b32_e32 v8, v8, v3
	v_bfe_u32 v3, v3, 2, 5
	s_delay_alu instid0(VALU_DEP_1) | instskip(NEXT) | instid1(VALU_DEP_3)
	v_cmp_eq_u32_e32 vcc_lo, 0, v3
	v_dual_cndmask_b32 v3, v3, v7 :: v_dual_and_b32 v8, 3, v8
	s_delay_alu instid0(VALU_DEP_1) | instskip(NEXT) | instid1(VALU_DEP_2)
	v_cndmask_b32_e32 v6, v6, v8, vcc_lo
	v_lshl_add_u32 v3, v3, 23, 0x37800000
	s_delay_alu instid0(VALU_DEP_2) | instskip(NEXT) | instid1(VALU_DEP_1)
	v_lshlrev_b32_e32 v6, 21, v6
	v_or3_b32 v3, v4, v3, v6
	s_delay_alu instid0(VALU_DEP_1)
	v_cvt_i32_f32_e32 v3, v3
.LBB289_593:
	s_or_b32 exec_lo, exec_lo, s22
	s_mov_b32 s2, 0
	s_branch .LBB289_599
.LBB289_594:
	s_mov_b32 s22, -1
                                        ; implicit-def: $vgpr3
	s_branch .LBB289_605
.LBB289_595:
	s_or_saveexec_b32 s22, s22
	v_mov_b32_e32 v3, s23
	s_xor_b32 exec_lo, exec_lo, s22
	s_cbranch_execz .LBB289_580
.LBB289_596:
	v_cmp_ne_u16_e32 vcc_lo, 0, v4
	v_mov_b32_e32 v3, 0
	s_and_not1_b32 s2, s2, exec_lo
	s_and_b32 s23, vcc_lo, exec_lo
	s_delay_alu instid0(SALU_CYCLE_1)
	s_or_b32 s2, s2, s23
	s_or_b32 exec_lo, exec_lo, s22
	s_and_saveexec_b32 s22, s2
	s_cbranch_execnz .LBB289_581
	s_branch .LBB289_582
.LBB289_597:
	s_mov_b32 s2, -1
                                        ; implicit-def: $vgpr3
	s_branch .LBB289_602
.LBB289_598:
	s_mov_b32 s2, -1
                                        ; implicit-def: $vgpr3
.LBB289_599:
	s_delay_alu instid0(SALU_CYCLE_1)
	s_and_b32 vcc_lo, exec_lo, s2
	s_cbranch_vccz .LBB289_601
; %bb.600:
	global_load_u8 v3, v[1:2], off
	s_waitcnt vmcnt(0)
	v_lshlrev_b32_e32 v3, 24, v3
	s_delay_alu instid0(VALU_DEP_1) | instskip(NEXT) | instid1(VALU_DEP_1)
	v_and_b32_e32 v4, 0x7f000000, v3
	v_clz_i32_u32_e32 v6, v4
	v_add_nc_u32_e32 v8, 0x1000000, v4
	v_cmp_ne_u32_e32 vcc_lo, 0, v4
	s_delay_alu instid0(VALU_DEP_3) | instskip(NEXT) | instid1(VALU_DEP_1)
	v_min_u32_e32 v6, 32, v6
	v_sub_nc_u32_e64 v6, v6, 4 clamp
	s_delay_alu instid0(VALU_DEP_1) | instskip(SKIP_1) | instid1(VALU_DEP_2)
	v_lshlrev_b32_e32 v7, v6, v4
	v_lshlrev_b32_e32 v6, 23, v6
	v_lshrrev_b32_e32 v7, 4, v7
	s_delay_alu instid0(VALU_DEP_1) | instskip(SKIP_1) | instid1(VALU_DEP_2)
	v_sub_nc_u32_e32 v6, v7, v6
	v_ashrrev_i32_e32 v7, 8, v8
	v_add_nc_u32_e32 v6, 0x3c000000, v6
	s_delay_alu instid0(VALU_DEP_1) | instskip(NEXT) | instid1(VALU_DEP_1)
	v_and_or_b32 v6, 0x7f800000, v7, v6
	v_cndmask_b32_e32 v4, 0, v6, vcc_lo
	s_delay_alu instid0(VALU_DEP_1) | instskip(NEXT) | instid1(VALU_DEP_1)
	v_and_or_b32 v3, 0x80000000, v3, v4
	v_cvt_i32_f32_e32 v3, v3
.LBB289_601:
	s_mov_b32 s2, 0
.LBB289_602:
	s_delay_alu instid0(SALU_CYCLE_1)
	s_and_not1_b32 vcc_lo, exec_lo, s2
	s_cbranch_vccnz .LBB289_604
; %bb.603:
	global_load_u8 v3, v[1:2], off
	s_waitcnt vmcnt(0)
	v_lshlrev_b32_e32 v4, 25, v3
	v_lshlrev_b16 v3, 8, v3
	s_delay_alu instid0(VALU_DEP_2) | instskip(NEXT) | instid1(VALU_DEP_2)
	v_lshrrev_b32_e32 v6, 4, v4
	v_and_or_b32 v7, 0x7f00, v3, 0.5
	v_cmp_gt_u32_e32 vcc_lo, 0x8000000, v4
	v_bfe_i32 v3, v3, 0, 16
	s_delay_alu instid0(VALU_DEP_4) | instskip(NEXT) | instid1(VALU_DEP_1)
	v_or_b32_e32 v6, 0x70000000, v6
	v_dual_add_f32 v7, -0.5, v7 :: v_dual_mul_f32 v6, 0x7800000, v6
	s_delay_alu instid0(VALU_DEP_1) | instskip(NEXT) | instid1(VALU_DEP_1)
	v_cndmask_b32_e32 v4, v6, v7, vcc_lo
	v_and_or_b32 v3, 0x80000000, v3, v4
	s_delay_alu instid0(VALU_DEP_1)
	v_cvt_i32_f32_e32 v3, v3
.LBB289_604:
	s_mov_b32 s22, 0
	s_mov_b32 s2, -1
.LBB289_605:
	s_and_not1_b32 vcc_lo, exec_lo, s22
	s_cbranch_vccnz .LBB289_618
; %bb.606:
	v_cmp_gt_i16_e64 s22, s33, 14
	s_delay_alu instid0(VALU_DEP_1)
	s_and_b32 vcc_lo, exec_lo, s22
	s_cbranch_vccz .LBB289_609
; %bb.607:
	v_cmp_eq_u16_e64 s3, s33, 15
	s_delay_alu instid0(VALU_DEP_1)
	s_and_b32 vcc_lo, exec_lo, s3
	s_cbranch_vccz .LBB289_612
; %bb.608:
	global_load_u16 v3, v[1:2], off
	s_mov_b32 s2, -1
	s_mov_b32 s3, 0
	s_waitcnt vmcnt(0)
	v_lshlrev_b32_e32 v3, 16, v3
	s_delay_alu instid0(VALU_DEP_1)
	v_cvt_i32_f32_e32 v3, v3
	s_branch .LBB289_613
.LBB289_609:
	s_mov_b32 s22, -1
                                        ; implicit-def: $vgpr3
	s_branch .LBB289_614
.LBB289_610:
	s_or_saveexec_b32 s22, s22
	v_mov_b32_e32 v3, s23
	s_xor_b32 exec_lo, exec_lo, s22
	s_cbranch_execz .LBB289_591
.LBB289_611:
	v_cmp_ne_u16_e32 vcc_lo, 0, v4
	v_mov_b32_e32 v3, 0
	s_and_not1_b32 s2, s2, exec_lo
	s_and_b32 s23, vcc_lo, exec_lo
	s_delay_alu instid0(SALU_CYCLE_1)
	s_or_b32 s2, s2, s23
	s_or_b32 exec_lo, exec_lo, s22
	s_and_saveexec_b32 s22, s2
	s_cbranch_execnz .LBB289_592
	s_branch .LBB289_593
.LBB289_612:
	s_mov_b32 s3, -1
                                        ; implicit-def: $vgpr3
.LBB289_613:
	s_mov_b32 s22, 0
.LBB289_614:
	s_delay_alu instid0(SALU_CYCLE_1)
	s_and_b32 vcc_lo, exec_lo, s22
	s_cbranch_vccz .LBB289_618
; %bb.615:
	v_cmp_eq_u16_e64 s3, s33, 11
	s_delay_alu instid0(VALU_DEP_1)
	s_and_b32 vcc_lo, exec_lo, s3
	s_cbranch_vccz .LBB289_617
; %bb.616:
	global_load_u8 v3, v[1:2], off
	s_mov_b32 s3, 0
	s_mov_b32 s2, -1
	s_waitcnt vmcnt(0)
	v_cmp_ne_u16_e32 vcc_lo, 0, v3
	v_cndmask_b32_e64 v3, 0, 1, vcc_lo
	s_branch .LBB289_618
.LBB289_617:
	s_mov_b32 s3, -1
                                        ; implicit-def: $vgpr3
.LBB289_618:
	s_mov_b32 s22, 0
.LBB289_619:
	s_delay_alu instid0(SALU_CYCLE_1)
	s_and_b32 vcc_lo, exec_lo, s22
	s_cbranch_vccz .LBB289_668
; %bb.620:
	v_cmp_lt_i16_e64 s2, s33, 5
	s_delay_alu instid0(VALU_DEP_1)
	s_and_b32 vcc_lo, exec_lo, s2
	s_cbranch_vccnz .LBB289_625
; %bb.621:
	v_cmp_lt_i16_e64 s2, s33, 8
	s_delay_alu instid0(VALU_DEP_1)
	s_and_b32 vcc_lo, exec_lo, s2
	s_cbranch_vccnz .LBB289_626
	;; [unrolled: 5-line block ×3, first 2 shown]
; %bb.623:
	v_cmp_gt_i16_e64 s2, s33, 9
	s_delay_alu instid0(VALU_DEP_1)
	s_and_b32 vcc_lo, exec_lo, s2
	s_cbranch_vccz .LBB289_628
; %bb.624:
	global_load_b64 v[3:4], v[1:2], off
	s_mov_b32 s2, 0
	s_waitcnt vmcnt(0)
	v_cvt_i32_f64_e32 v3, v[3:4]
	s_branch .LBB289_629
.LBB289_625:
	s_mov_b32 s2, -1
                                        ; implicit-def: $vgpr3
	s_branch .LBB289_647
.LBB289_626:
	s_mov_b32 s2, -1
                                        ; implicit-def: $vgpr3
	s_branch .LBB289_635
.LBB289_627:
	s_mov_b32 s2, -1
                                        ; implicit-def: $vgpr3
	s_branch .LBB289_632
.LBB289_628:
	s_mov_b32 s2, -1
                                        ; implicit-def: $vgpr3
.LBB289_629:
	s_delay_alu instid0(SALU_CYCLE_1)
	s_and_not1_b32 vcc_lo, exec_lo, s2
	s_cbranch_vccnz .LBB289_631
; %bb.630:
	global_load_b32 v3, v[1:2], off
	s_waitcnt vmcnt(0)
	v_cvt_i32_f32_e32 v3, v3
.LBB289_631:
	s_mov_b32 s2, 0
.LBB289_632:
	s_delay_alu instid0(SALU_CYCLE_1)
	s_and_not1_b32 vcc_lo, exec_lo, s2
	s_cbranch_vccnz .LBB289_634
; %bb.633:
	global_load_b32 v3, v[1:2], off
	s_waitcnt vmcnt(0)
	v_cvt_i16_f16_e32 v3, v3
.LBB289_634:
	s_mov_b32 s2, 0
.LBB289_635:
	s_delay_alu instid0(SALU_CYCLE_1)
	s_and_not1_b32 vcc_lo, exec_lo, s2
	s_cbranch_vccnz .LBB289_646
; %bb.636:
	v_cmp_lt_i16_e64 s2, s33, 6
	s_delay_alu instid0(VALU_DEP_1)
	s_and_b32 vcc_lo, exec_lo, s2
	s_cbranch_vccnz .LBB289_639
; %bb.637:
	v_cmp_gt_i16_e64 s2, s33, 6
	s_delay_alu instid0(VALU_DEP_1)
	s_and_b32 vcc_lo, exec_lo, s2
	s_cbranch_vccz .LBB289_640
; %bb.638:
	global_load_b64 v[3:4], v[1:2], off
	s_mov_b32 s2, 0
	s_waitcnt vmcnt(0)
	v_cvt_i32_f64_e32 v3, v[3:4]
	s_branch .LBB289_641
.LBB289_639:
	s_mov_b32 s2, -1
                                        ; implicit-def: $vgpr3
	s_branch .LBB289_644
.LBB289_640:
	s_mov_b32 s2, -1
                                        ; implicit-def: $vgpr3
.LBB289_641:
	s_delay_alu instid0(SALU_CYCLE_1)
	s_and_not1_b32 vcc_lo, exec_lo, s2
	s_cbranch_vccnz .LBB289_643
; %bb.642:
	global_load_b32 v3, v[1:2], off
	s_waitcnt vmcnt(0)
	v_cvt_i32_f32_e32 v3, v3
.LBB289_643:
	s_mov_b32 s2, 0
.LBB289_644:
	s_delay_alu instid0(SALU_CYCLE_1)
	s_and_not1_b32 vcc_lo, exec_lo, s2
	s_cbranch_vccnz .LBB289_646
; %bb.645:
	global_load_u16 v3, v[1:2], off
	s_waitcnt vmcnt(0)
	v_cvt_i16_f16_e32 v3, v3
.LBB289_646:
	s_mov_b32 s2, 0
.LBB289_647:
	s_delay_alu instid0(SALU_CYCLE_1)
	s_and_not1_b32 vcc_lo, exec_lo, s2
	s_cbranch_vccnz .LBB289_667
; %bb.648:
	v_cmp_lt_i16_e64 s2, s33, 2
	s_delay_alu instid0(VALU_DEP_1)
	s_and_b32 vcc_lo, exec_lo, s2
	s_cbranch_vccnz .LBB289_652
; %bb.649:
	v_cmp_lt_i16_e64 s2, s33, 3
	s_delay_alu instid0(VALU_DEP_1)
	s_and_b32 vcc_lo, exec_lo, s2
	s_cbranch_vccnz .LBB289_653
; %bb.650:
	v_cmp_gt_i16_e64 s2, s33, 3
	s_delay_alu instid0(VALU_DEP_1)
	s_and_b32 vcc_lo, exec_lo, s2
	s_cbranch_vccz .LBB289_654
; %bb.651:
	global_load_b64 v[3:4], v[1:2], off
	s_mov_b32 s2, 0
	s_branch .LBB289_655
.LBB289_652:
	s_mov_b32 s2, -1
                                        ; implicit-def: $vgpr3
	s_branch .LBB289_661
.LBB289_653:
	s_mov_b32 s2, -1
                                        ; implicit-def: $vgpr3
	s_branch .LBB289_658
.LBB289_654:
	s_mov_b32 s2, -1
                                        ; implicit-def: $vgpr3
.LBB289_655:
	s_delay_alu instid0(SALU_CYCLE_1)
	s_and_not1_b32 vcc_lo, exec_lo, s2
	s_cbranch_vccnz .LBB289_657
; %bb.656:
	global_load_b32 v3, v[1:2], off
.LBB289_657:
	s_mov_b32 s2, 0
.LBB289_658:
	s_delay_alu instid0(SALU_CYCLE_1)
	s_and_not1_b32 vcc_lo, exec_lo, s2
	s_cbranch_vccnz .LBB289_660
; %bb.659:
	global_load_u16 v3, v[1:2], off
.LBB289_660:
	s_mov_b32 s2, 0
.LBB289_661:
	s_delay_alu instid0(SALU_CYCLE_1)
	s_and_not1_b32 vcc_lo, exec_lo, s2
	s_cbranch_vccnz .LBB289_667
; %bb.662:
	v_cmp_gt_i16_e64 s2, s33, 0
	s_delay_alu instid0(VALU_DEP_1)
	s_and_b32 vcc_lo, exec_lo, s2
	s_mov_b32 s2, 0
	s_cbranch_vccz .LBB289_664
; %bb.663:
	global_load_u8 v3, v[1:2], off
	s_branch .LBB289_665
.LBB289_664:
	s_mov_b32 s2, -1
                                        ; implicit-def: $vgpr3
.LBB289_665:
	s_delay_alu instid0(SALU_CYCLE_1)
	s_and_not1_b32 vcc_lo, exec_lo, s2
	s_cbranch_vccnz .LBB289_667
; %bb.666:
	global_load_u8 v3, v[1:2], off
.LBB289_667:
	s_mov_b32 s2, -1
.LBB289_668:
	s_delay_alu instid0(SALU_CYCLE_1)
	s_and_not1_b32 vcc_lo, exec_lo, s2
	s_cbranch_vccnz .LBB289_676
; %bb.669:
	s_waitcnt vmcnt(0)
	s_delay_alu instid0(VALU_DEP_1)
	v_bfe_i32 v1, v3, 0, 8
	s_bfe_i32 s2, s29, 0x80000
	v_and_b32_e64 v3, 0xff, s31
	s_mov_b32 s22, 0
	s_mov_b32 s23, -1
	v_max_i16 v1, v1, s2
	s_bfe_i32 s2, s30, 0x80000
	v_cmp_gt_i16_e32 vcc_lo, 11, v3
	s_delay_alu instid0(VALU_DEP_2) | instskip(SKIP_1) | instid1(VALU_DEP_1)
	v_min_i16 v2, v1, s2
	v_add_co_u32 v0, s2, s4, v0
	v_add_co_ci_u32_e64 v1, null, s5, 0, s2
	s_mov_b32 s2, s42
	s_cbranch_vccnz .LBB289_677
; %bb.670:
	v_cmp_lt_i16_e32 vcc_lo, 25, v3
	s_cbranch_vccz .LBB289_718
; %bb.671:
	v_cmp_lt_i16_e32 vcc_lo, 28, v3
	s_cbranch_vccz .LBB289_719
	;; [unrolled: 3-line block ×4, first 2 shown]
; %bb.674:
	v_cmp_eq_u16_e32 vcc_lo, 46, v3
	s_mov_b32 s23, 0
	s_mov_b32 s2, -1
	s_cbranch_vccz .LBB289_722
; %bb.675:
	v_bfe_i32 v4, v2, 0, 16
	s_mov_b32 s22, -1
	s_mov_b32 s2, 0
	s_delay_alu instid0(VALU_DEP_1) | instskip(NEXT) | instid1(VALU_DEP_1)
	v_cvt_f32_i32_e32 v4, v4
	v_bfe_u32 v6, v4, 16, 1
	s_delay_alu instid0(VALU_DEP_1) | instskip(NEXT) | instid1(VALU_DEP_1)
	v_add3_u32 v4, v4, v6, 0x7fff
	v_lshrrev_b32_e32 v4, 16, v4
	global_store_b32 v[0:1], v4, off
	s_branch .LBB289_722
.LBB289_676:
	s_mov_b32 s45, 0
	s_mov_b32 s2, s42
	s_branch .LBB289_717
.LBB289_677:
	s_and_b32 vcc_lo, exec_lo, s23
	s_cbranch_vccz .LBB289_791
; %bb.678:
	v_cmp_gt_i16_e32 vcc_lo, 5, v3
	s_mov_b32 s22, -1
	s_cbranch_vccnz .LBB289_699
; %bb.679:
	v_cmp_gt_i16_e32 vcc_lo, 8, v3
	s_cbranch_vccnz .LBB289_689
; %bb.680:
	v_cmp_gt_i16_e32 vcc_lo, 9, v3
	s_cbranch_vccnz .LBB289_686
; %bb.681:
	v_cmp_lt_i16_e32 vcc_lo, 9, v3
	s_cbranch_vccz .LBB289_683
; %bb.682:
	v_bfe_i32 v4, v2, 0, 16
	v_mov_b32_e32 v8, 0
	s_mov_b32 s22, 0
	s_delay_alu instid0(VALU_DEP_2) | instskip(NEXT) | instid1(VALU_DEP_2)
	v_cvt_f64_i32_e32 v[6:7], v4
	v_mov_b32_e32 v9, v8
	global_store_b128 v[0:1], v[6:9], off
.LBB289_683:
	s_and_not1_b32 vcc_lo, exec_lo, s22
	s_cbranch_vccnz .LBB289_685
; %bb.684:
	v_bfe_i32 v4, v2, 0, 16
	v_mov_b32_e32 v7, 0
	s_delay_alu instid0(VALU_DEP_2)
	v_cvt_f32_i32_e32 v6, v4
	global_store_b64 v[0:1], v[6:7], off
.LBB289_685:
	s_mov_b32 s22, 0
.LBB289_686:
	s_delay_alu instid0(SALU_CYCLE_1)
	s_and_not1_b32 vcc_lo, exec_lo, s22
	s_cbranch_vccnz .LBB289_688
; %bb.687:
	v_cvt_f16_i16_e32 v4, v2
	s_delay_alu instid0(VALU_DEP_1)
	v_and_b32_e32 v4, 0xffff, v4
	global_store_b32 v[0:1], v4, off
.LBB289_688:
	s_mov_b32 s22, 0
.LBB289_689:
	s_delay_alu instid0(SALU_CYCLE_1)
	s_and_not1_b32 vcc_lo, exec_lo, s22
	s_cbranch_vccnz .LBB289_698
; %bb.690:
	v_cmp_gt_i16_e32 vcc_lo, 6, v3
	s_mov_b32 s22, -1
	s_cbranch_vccnz .LBB289_696
; %bb.691:
	v_cmp_lt_i16_e32 vcc_lo, 6, v3
	s_cbranch_vccz .LBB289_693
; %bb.692:
	v_bfe_i32 v4, v2, 0, 16
	s_mov_b32 s22, 0
	s_delay_alu instid0(VALU_DEP_1)
	v_cvt_f64_i32_e32 v[6:7], v4
	global_store_b64 v[0:1], v[6:7], off
.LBB289_693:
	s_and_not1_b32 vcc_lo, exec_lo, s22
	s_cbranch_vccnz .LBB289_695
; %bb.694:
	v_bfe_i32 v4, v2, 0, 16
	s_delay_alu instid0(VALU_DEP_1)
	v_cvt_f32_i32_e32 v4, v4
	global_store_b32 v[0:1], v4, off
.LBB289_695:
	s_mov_b32 s22, 0
.LBB289_696:
	s_delay_alu instid0(SALU_CYCLE_1)
	s_and_not1_b32 vcc_lo, exec_lo, s22
	s_cbranch_vccnz .LBB289_698
; %bb.697:
	v_cvt_f16_i16_e32 v4, v2
	global_store_b16 v[0:1], v4, off
.LBB289_698:
	s_mov_b32 s22, 0
.LBB289_699:
	s_delay_alu instid0(SALU_CYCLE_1)
	s_and_not1_b32 vcc_lo, exec_lo, s22
	s_cbranch_vccnz .LBB289_715
; %bb.700:
	v_cmp_gt_i16_e32 vcc_lo, 2, v3
	s_mov_b32 s22, -1
	s_cbranch_vccnz .LBB289_710
; %bb.701:
	v_cmp_gt_i16_e32 vcc_lo, 3, v3
	s_cbranch_vccnz .LBB289_707
; %bb.702:
	v_cmp_lt_i16_e32 vcc_lo, 3, v3
	s_cbranch_vccz .LBB289_704
; %bb.703:
	v_bfe_i32 v6, v2, 0, 16
	s_mov_b32 s22, 0
	s_delay_alu instid0(VALU_DEP_1)
	v_ashrrev_i32_e32 v7, 31, v6
	global_store_b64 v[0:1], v[6:7], off
.LBB289_704:
	s_and_not1_b32 vcc_lo, exec_lo, s22
	s_cbranch_vccnz .LBB289_706
; %bb.705:
	v_bfe_i32 v4, v2, 0, 16
	global_store_b32 v[0:1], v4, off
.LBB289_706:
	s_mov_b32 s22, 0
.LBB289_707:
	s_delay_alu instid0(SALU_CYCLE_1)
	s_and_not1_b32 vcc_lo, exec_lo, s22
	s_cbranch_vccnz .LBB289_709
; %bb.708:
	global_store_b16 v[0:1], v2, off
.LBB289_709:
	s_mov_b32 s22, 0
.LBB289_710:
	s_delay_alu instid0(SALU_CYCLE_1)
	s_and_not1_b32 vcc_lo, exec_lo, s22
	s_cbranch_vccnz .LBB289_715
; %bb.711:
	v_cmp_lt_i16_e32 vcc_lo, 0, v3
	s_mov_b32 s22, -1
	s_cbranch_vccz .LBB289_713
; %bb.712:
	s_mov_b32 s22, 0
	global_store_b8 v[0:1], v2, off
.LBB289_713:
	s_and_not1_b32 vcc_lo, exec_lo, s22
	s_cbranch_vccnz .LBB289_715
; %bb.714:
	global_store_b8 v[0:1], v2, off
.LBB289_715:
	s_branch .LBB289_792
.LBB289_716:
	s_mov_b32 s45, 0
.LBB289_717:
                                        ; implicit-def: $vgpr5
	s_branch .LBB289_793
.LBB289_718:
	s_mov_b32 s2, s42
	s_branch .LBB289_749
.LBB289_719:
	s_mov_b32 s2, s42
	s_branch .LBB289_732
.LBB289_720:
	s_mov_b32 s2, s42
	s_branch .LBB289_728
.LBB289_721:
	s_mov_b32 s2, s42
.LBB289_722:
	s_and_b32 vcc_lo, exec_lo, s23
	s_cbranch_vccz .LBB289_727
; %bb.723:
	v_cmp_eq_u16_e32 vcc_lo, 44, v3
	s_mov_b32 s2, -1
	s_cbranch_vccz .LBB289_727
; %bb.724:
	v_bfe_i32 v4, v2, 0, 16
	v_mov_b32_e32 v6, 0xff
	s_mov_b32 s22, exec_lo
	s_delay_alu instid0(VALU_DEP_2) | instskip(NEXT) | instid1(VALU_DEP_1)
	v_cvt_f32_i32_e32 v4, v4
	v_bfe_u32 v7, v4, 23, 8
	s_delay_alu instid0(VALU_DEP_1)
	v_cmpx_ne_u32_e32 0xff, v7
; %bb.725:
	v_and_b32_e32 v6, 0x400000, v4
	v_and_or_b32 v7, 0x3fffff, v4, v7
	v_lshrrev_b32_e32 v4, 23, v4
	s_delay_alu instid0(VALU_DEP_3) | instskip(NEXT) | instid1(VALU_DEP_3)
	v_cmp_ne_u32_e32 vcc_lo, 0, v6
	v_cmp_ne_u32_e64 s2, 0, v7
	s_delay_alu instid0(VALU_DEP_1) | instskip(NEXT) | instid1(SALU_CYCLE_1)
	s_and_b32 s2, vcc_lo, s2
	v_cndmask_b32_e64 v6, 0, 1, s2
	s_delay_alu instid0(VALU_DEP_1)
	v_add_nc_u32_e32 v6, v4, v6
; %bb.726:
	s_or_b32 exec_lo, exec_lo, s22
	s_mov_b32 s22, -1
	s_mov_b32 s2, 0
	global_store_b8 v[0:1], v6, off
.LBB289_727:
	s_mov_b32 s23, 0
.LBB289_728:
	s_delay_alu instid0(SALU_CYCLE_1)
	s_and_b32 vcc_lo, exec_lo, s23
	s_cbranch_vccz .LBB289_731
; %bb.729:
	v_cmp_eq_u16_e32 vcc_lo, 29, v3
	s_mov_b32 s2, -1
	s_cbranch_vccz .LBB289_731
; %bb.730:
	v_bfe_i32 v6, v2, 0, 16
	s_mov_b32 s2, 0
	s_mov_b32 s22, -1
	s_mov_b32 s23, 0
	s_delay_alu instid0(VALU_DEP_1)
	v_ashrrev_i32_e32 v7, 31, v6
	global_store_b64 v[0:1], v[6:7], off
	s_branch .LBB289_732
.LBB289_731:
	s_mov_b32 s23, 0
.LBB289_732:
	s_delay_alu instid0(SALU_CYCLE_1)
	s_and_b32 vcc_lo, exec_lo, s23
	s_cbranch_vccz .LBB289_748
; %bb.733:
	v_cmp_gt_i16_e32 vcc_lo, 27, v3
	s_mov_b32 s22, -1
	s_cbranch_vccnz .LBB289_739
; %bb.734:
	v_cmp_lt_i16_e32 vcc_lo, 27, v3
	s_cbranch_vccz .LBB289_736
; %bb.735:
	v_bfe_i32 v4, v2, 0, 16
	s_mov_b32 s22, 0
	global_store_b32 v[0:1], v4, off
.LBB289_736:
	s_and_not1_b32 vcc_lo, exec_lo, s22
	s_cbranch_vccnz .LBB289_738
; %bb.737:
	global_store_b16 v[0:1], v2, off
.LBB289_738:
	s_mov_b32 s22, 0
.LBB289_739:
	s_delay_alu instid0(SALU_CYCLE_1)
	s_and_not1_b32 vcc_lo, exec_lo, s22
	s_cbranch_vccnz .LBB289_747
; %bb.740:
	v_bfe_i32 v4, v2, 0, 16
	v_mov_b32_e32 v7, 0x80
	s_mov_b32 s22, exec_lo
	s_delay_alu instid0(VALU_DEP_2) | instskip(NEXT) | instid1(VALU_DEP_1)
	v_cvt_f32_i32_e32 v4, v4
	v_and_b32_e32 v6, 0x7fffffff, v4
	s_delay_alu instid0(VALU_DEP_1)
	v_cmpx_gt_u32_e32 0x43800000, v6
	s_cbranch_execz .LBB289_746
; %bb.741:
	v_cmp_lt_u32_e32 vcc_lo, 0x3bffffff, v6
	s_mov_b32 s23, 0
                                        ; implicit-def: $vgpr6
	s_and_saveexec_b32 s45, vcc_lo
	s_delay_alu instid0(SALU_CYCLE_1)
	s_xor_b32 s45, exec_lo, s45
	s_cbranch_execz .LBB289_820
; %bb.742:
	v_bfe_u32 v6, v4, 20, 1
	s_mov_b32 s23, exec_lo
	s_delay_alu instid0(VALU_DEP_1) | instskip(NEXT) | instid1(VALU_DEP_1)
	v_add3_u32 v6, v4, v6, 0x487ffff
	v_lshrrev_b32_e32 v6, 20, v6
	s_or_saveexec_b32 s45, s45
                                        ; implicit-def: $sgpr46
	s_delay_alu instid0(SALU_CYCLE_1)
	s_xor_b32 exec_lo, exec_lo, s45
	s_cbranch_execnz .LBB289_821
.LBB289_743:
	s_or_b32 exec_lo, exec_lo, s45
	v_mov_b32_e32 v7, s46
	s_and_saveexec_b32 s45, s23
.LBB289_744:
	v_lshrrev_b32_e32 v4, 24, v4
	s_delay_alu instid0(VALU_DEP_1)
	v_and_or_b32 v7, 0x80, v4, v6
.LBB289_745:
	s_or_b32 exec_lo, exec_lo, s45
.LBB289_746:
	s_delay_alu instid0(SALU_CYCLE_1)
	s_or_b32 exec_lo, exec_lo, s22
	global_store_b8 v[0:1], v7, off
.LBB289_747:
	s_mov_b32 s22, -1
.LBB289_748:
	s_mov_b32 s23, 0
.LBB289_749:
	s_delay_alu instid0(SALU_CYCLE_1)
	s_and_b32 vcc_lo, exec_lo, s23
	s_cbranch_vccz .LBB289_790
; %bb.750:
	v_cmp_lt_i16_e32 vcc_lo, 22, v3
	s_mov_b32 s23, -1
	s_cbranch_vccz .LBB289_782
; %bb.751:
	v_cmp_gt_i16_e32 vcc_lo, 24, v3
	s_mov_b32 s22, -1
	s_cbranch_vccnz .LBB289_771
; %bb.752:
	v_cmp_lt_i16_e32 vcc_lo, 24, v3
	s_cbranch_vccz .LBB289_760
; %bb.753:
	v_bfe_i32 v4, v2, 0, 16
	v_mov_b32_e32 v7, 0x80
	s_mov_b32 s22, exec_lo
	s_delay_alu instid0(VALU_DEP_2) | instskip(NEXT) | instid1(VALU_DEP_1)
	v_cvt_f32_i32_e32 v4, v4
	v_and_b32_e32 v6, 0x7fffffff, v4
	s_delay_alu instid0(VALU_DEP_1)
	v_cmpx_gt_u32_e32 0x47800000, v6
	s_cbranch_execz .LBB289_759
; %bb.754:
	v_cmp_lt_u32_e32 vcc_lo, 0x37ffffff, v6
	s_mov_b32 s23, 0
                                        ; implicit-def: $vgpr6
	s_and_saveexec_b32 s45, vcc_lo
	s_delay_alu instid0(SALU_CYCLE_1)
	s_xor_b32 s45, exec_lo, s45
	s_cbranch_execz .LBB289_823
; %bb.755:
	v_bfe_u32 v6, v4, 21, 1
	s_mov_b32 s23, exec_lo
	s_delay_alu instid0(VALU_DEP_1) | instskip(NEXT) | instid1(VALU_DEP_1)
	v_add3_u32 v6, v4, v6, 0x88fffff
	v_lshrrev_b32_e32 v6, 21, v6
	s_or_saveexec_b32 s45, s45
                                        ; implicit-def: $sgpr46
	s_delay_alu instid0(SALU_CYCLE_1)
	s_xor_b32 exec_lo, exec_lo, s45
	s_cbranch_execnz .LBB289_824
.LBB289_756:
	s_or_b32 exec_lo, exec_lo, s45
	v_mov_b32_e32 v7, s46
	s_and_saveexec_b32 s45, s23
.LBB289_757:
	v_lshrrev_b32_e32 v4, 24, v4
	s_delay_alu instid0(VALU_DEP_1)
	v_and_or_b32 v7, 0x80, v4, v6
.LBB289_758:
	s_or_b32 exec_lo, exec_lo, s45
.LBB289_759:
	s_delay_alu instid0(SALU_CYCLE_1)
	s_or_b32 exec_lo, exec_lo, s22
	s_mov_b32 s22, 0
	global_store_b8 v[0:1], v7, off
.LBB289_760:
	s_and_b32 vcc_lo, exec_lo, s22
	s_cbranch_vccz .LBB289_770
; %bb.761:
	v_bfe_i32 v4, v2, 0, 16
	s_mov_b32 s22, exec_lo
                                        ; implicit-def: $vgpr6
	s_delay_alu instid0(VALU_DEP_1) | instskip(NEXT) | instid1(VALU_DEP_1)
	v_cvt_f32_i32_e32 v4, v4
	v_and_b32_e32 v7, 0x7fffffff, v4
	s_delay_alu instid0(VALU_DEP_1)
	v_cmpx_gt_u32_e32 0x43f00000, v7
	s_xor_b32 s22, exec_lo, s22
	s_cbranch_execz .LBB289_767
; %bb.762:
	s_mov_b32 s23, exec_lo
                                        ; implicit-def: $vgpr6
	v_cmpx_lt_u32_e32 0x3c7fffff, v7
	s_xor_b32 s23, exec_lo, s23
; %bb.763:
	v_bfe_u32 v6, v4, 20, 1
	s_delay_alu instid0(VALU_DEP_1) | instskip(NEXT) | instid1(VALU_DEP_1)
	v_add3_u32 v6, v4, v6, 0x407ffff
	v_and_b32_e32 v7, 0xff00000, v6
	v_lshrrev_b32_e32 v6, 20, v6
	s_delay_alu instid0(VALU_DEP_2) | instskip(NEXT) | instid1(VALU_DEP_2)
	v_cmp_ne_u32_e32 vcc_lo, 0x7f00000, v7
	v_cndmask_b32_e32 v6, 0x7e, v6, vcc_lo
; %bb.764:
	s_and_not1_saveexec_b32 s23, s23
; %bb.765:
	v_add_f32_e64 v6, 0x46800000, |v4|
; %bb.766:
	s_or_b32 exec_lo, exec_lo, s23
                                        ; implicit-def: $vgpr7
.LBB289_767:
	s_and_not1_saveexec_b32 s22, s22
; %bb.768:
	v_mov_b32_e32 v6, 0x7f
	v_cmp_lt_u32_e32 vcc_lo, 0x7f800000, v7
	s_delay_alu instid0(VALU_DEP_2)
	v_cndmask_b32_e32 v6, 0x7e, v6, vcc_lo
; %bb.769:
	s_or_b32 exec_lo, exec_lo, s22
	v_lshrrev_b32_e32 v4, 24, v4
	s_delay_alu instid0(VALU_DEP_1)
	v_and_or_b32 v4, 0x80, v4, v6
	global_store_b8 v[0:1], v4, off
.LBB289_770:
	s_mov_b32 s22, 0
.LBB289_771:
	s_delay_alu instid0(SALU_CYCLE_1)
	s_and_not1_b32 vcc_lo, exec_lo, s22
	s_cbranch_vccnz .LBB289_781
; %bb.772:
	v_bfe_i32 v4, v2, 0, 16
	s_mov_b32 s22, exec_lo
                                        ; implicit-def: $vgpr6
	s_delay_alu instid0(VALU_DEP_1) | instskip(NEXT) | instid1(VALU_DEP_1)
	v_cvt_f32_i32_e32 v4, v4
	v_and_b32_e32 v7, 0x7fffffff, v4
	s_delay_alu instid0(VALU_DEP_1)
	v_cmpx_gt_u32_e32 0x47800000, v7
	s_xor_b32 s22, exec_lo, s22
	s_cbranch_execz .LBB289_778
; %bb.773:
	s_mov_b32 s23, exec_lo
                                        ; implicit-def: $vgpr6
	v_cmpx_lt_u32_e32 0x387fffff, v7
	s_xor_b32 s23, exec_lo, s23
; %bb.774:
	v_bfe_u32 v6, v4, 21, 1
	s_delay_alu instid0(VALU_DEP_1) | instskip(NEXT) | instid1(VALU_DEP_1)
	v_add3_u32 v6, v4, v6, 0x80fffff
	v_lshrrev_b32_e32 v6, 21, v6
; %bb.775:
	s_and_not1_saveexec_b32 s23, s23
; %bb.776:
	v_add_f32_e64 v6, 0x43000000, |v4|
; %bb.777:
	s_or_b32 exec_lo, exec_lo, s23
                                        ; implicit-def: $vgpr7
.LBB289_778:
	s_and_not1_saveexec_b32 s22, s22
; %bb.779:
	v_mov_b32_e32 v6, 0x7f
	v_cmp_lt_u32_e32 vcc_lo, 0x7f800000, v7
	s_delay_alu instid0(VALU_DEP_2)
	v_cndmask_b32_e32 v6, 0x7c, v6, vcc_lo
; %bb.780:
	s_or_b32 exec_lo, exec_lo, s22
	v_lshrrev_b32_e32 v4, 24, v4
	s_delay_alu instid0(VALU_DEP_1)
	v_and_or_b32 v4, 0x80, v4, v6
	global_store_b8 v[0:1], v4, off
.LBB289_781:
	s_mov_b32 s23, 0
	s_mov_b32 s22, -1
.LBB289_782:
	s_and_not1_b32 vcc_lo, exec_lo, s23
	s_cbranch_vccnz .LBB289_790
; %bb.783:
	v_cmp_lt_i16_e32 vcc_lo, 14, v3
	s_mov_b32 s23, -1
	s_cbranch_vccz .LBB289_787
; %bb.784:
	v_cmp_eq_u16_e32 vcc_lo, 15, v3
	s_mov_b32 s2, -1
	s_cbranch_vccz .LBB289_786
; %bb.785:
	v_bfe_i32 v4, v2, 0, 16
	s_mov_b32 s22, -1
	s_mov_b32 s2, 0
	s_delay_alu instid0(VALU_DEP_1) | instskip(NEXT) | instid1(VALU_DEP_1)
	v_cvt_f32_i32_e32 v4, v4
	v_bfe_u32 v6, v4, 16, 1
	s_delay_alu instid0(VALU_DEP_1)
	v_add3_u32 v4, v4, v6, 0x7fff
	global_store_d16_hi_b16 v[0:1], v4, off
.LBB289_786:
	s_mov_b32 s23, 0
.LBB289_787:
	s_delay_alu instid0(SALU_CYCLE_1)
	s_and_b32 vcc_lo, exec_lo, s23
	s_cbranch_vccz .LBB289_790
; %bb.788:
	v_cmp_eq_u16_e32 vcc_lo, 11, v3
	s_mov_b32 s2, -1
	s_cbranch_vccz .LBB289_790
; %bb.789:
	v_cmp_ne_u16_e32 vcc_lo, 0, v2
	s_mov_b32 s2, 0
	s_mov_b32 s22, -1
	v_cndmask_b32_e64 v4, 0, 1, vcc_lo
	global_store_b8 v[0:1], v4, off
.LBB289_790:
.LBB289_791:
	s_and_not1_b32 vcc_lo, exec_lo, s22
	s_cbranch_vccnz .LBB289_716
.LBB289_792:
	v_add_nc_u32_e32 v5, 0x80, v5
	s_mov_b32 s45, -1
.LBB289_793:
	s_and_not1_b32 s22, s42, exec_lo
	s_and_b32 s2, s2, exec_lo
	s_and_not1_b32 s46, s41, exec_lo
	s_and_b32 s3, s3, exec_lo
	s_or_b32 s23, s22, s2
	s_or_b32 s22, s46, s3
	s_or_not1_b32 s46, s45, exec_lo
.LBB289_794:
	s_or_b32 exec_lo, exec_lo, s44
	s_mov_b32 s2, 0
	s_mov_b32 s3, 0
	;; [unrolled: 1-line block ×3, first 2 shown]
                                        ; implicit-def: $vgpr1_vgpr2
                                        ; implicit-def: $vgpr0
                                        ; implicit-def: $vgpr3
	s_and_saveexec_b32 s44, s46
	s_cbranch_execz .LBB289_888
; %bb.795:
	v_cmp_gt_i32_e32 vcc_lo, s35, v5
	s_mov_b32 s47, s22
	s_mov_b32 s46, 0
                                        ; implicit-def: $vgpr1_vgpr2
                                        ; implicit-def: $vgpr0
                                        ; implicit-def: $vgpr3
	s_and_saveexec_b32 s35, vcc_lo
	s_cbranch_execz .LBB289_887
; %bb.796:
	s_and_not1_b32 vcc_lo, exec_lo, s27
	s_cbranch_vccnz .LBB289_801
; %bb.797:
	v_dual_mov_b32 v0, 0 :: v_dual_mov_b32 v1, 0
	s_and_not1_b32 vcc_lo, exec_lo, s37
	s_mov_b32 s37, 0
	s_cbranch_vccnz .LBB289_806
; %bb.798:
	v_mov_b32_e32 v0, 0
	s_add_i32 s45, s36, 1
	s_cmp_eq_u32 s25, 2
	s_mov_b32 s36, 0
	s_cbranch_scc1 .LBB289_802
; %bb.799:
	v_dual_mov_b32 v1, 0 :: v_dual_mov_b32 v0, 0
	v_mov_b32_e32 v2, v5
	s_and_b32 s36, s45, 28
	s_mov_b64 s[2:3], s[16:17]
.LBB289_800:                            ; =>This Inner Loop Header: Depth=1
	s_clause 0x1
	s_load_b256 s[48:55], s[2:3], 0x4
	s_load_b128 s[64:67], s[2:3], 0x24
	s_load_b256 s[56:63], s[20:21], 0x0
	s_add_u32 s2, s2, 48
	s_addc_u32 s3, s3, 0
	s_add_i32 s46, s46, 4
	s_add_u32 s20, s20, 32
	s_addc_u32 s21, s21, 0
	s_cmp_eq_u32 s36, s46
	s_waitcnt vmcnt(0) lgkmcnt(0)
	v_mul_hi_u32 v3, s49, v2
	s_delay_alu instid0(VALU_DEP_1) | instskip(NEXT) | instid1(VALU_DEP_1)
	v_add_nc_u32_e32 v3, v2, v3
	v_lshrrev_b32_e32 v3, s50, v3
	s_delay_alu instid0(VALU_DEP_1) | instskip(SKIP_1) | instid1(VALU_DEP_2)
	v_mul_hi_u32 v4, s52, v3
	v_mul_lo_u32 v7, v3, s48
	v_add_nc_u32_e32 v4, v3, v4
	s_delay_alu instid0(VALU_DEP_2) | instskip(NEXT) | instid1(VALU_DEP_2)
	v_sub_nc_u32_e32 v2, v2, v7
	v_lshrrev_b32_e32 v4, s53, v4
	s_delay_alu instid0(VALU_DEP_2) | instskip(SKIP_1) | instid1(VALU_DEP_3)
	v_mul_lo_u32 v7, v2, s56
	v_mul_lo_u32 v9, v2, s57
	v_mul_hi_u32 v6, s55, v4
	s_delay_alu instid0(VALU_DEP_1) | instskip(NEXT) | instid1(VALU_DEP_1)
	v_add_nc_u32_e32 v6, v4, v6
	v_lshrrev_b32_e32 v6, s64, v6
	s_delay_alu instid0(VALU_DEP_1) | instskip(SKIP_1) | instid1(VALU_DEP_2)
	v_mul_hi_u32 v8, s66, v6
	v_mul_lo_u32 v10, v6, s54
	v_add_nc_u32_e32 v2, v6, v8
	v_mul_lo_u32 v8, v4, s51
	s_delay_alu instid0(VALU_DEP_3) | instskip(NEXT) | instid1(VALU_DEP_3)
	v_sub_nc_u32_e32 v4, v4, v10
	v_lshrrev_b32_e32 v2, s67, v2
	s_delay_alu instid0(VALU_DEP_2) | instskip(SKIP_2) | instid1(VALU_DEP_4)
	v_mul_lo_u32 v10, v4, s60
	v_mul_lo_u32 v4, v4, s61
	v_sub_nc_u32_e32 v3, v3, v8
	v_mul_lo_u32 v11, v2, s65
	s_delay_alu instid0(VALU_DEP_2) | instskip(SKIP_1) | instid1(VALU_DEP_3)
	v_mul_lo_u32 v8, v3, s58
	v_mul_lo_u32 v3, v3, s59
	v_sub_nc_u32_e32 v6, v6, v11
	s_delay_alu instid0(VALU_DEP_3) | instskip(NEXT) | instid1(VALU_DEP_2)
	v_add3_u32 v0, v7, v0, v8
	v_mul_lo_u32 v11, v6, s62
	v_mul_lo_u32 v6, v6, s63
	v_add3_u32 v1, v9, v1, v3
	s_delay_alu instid0(VALU_DEP_3) | instskip(NEXT) | instid1(VALU_DEP_2)
	v_add3_u32 v0, v10, v0, v11
	v_add3_u32 v1, v4, v1, v6
	s_cbranch_scc0 .LBB289_800
	s_branch .LBB289_803
.LBB289_801:
	s_mov_b32 s37, -1
                                        ; implicit-def: $vgpr0
                                        ; implicit-def: $vgpr1
	s_branch .LBB289_806
.LBB289_802:
	v_dual_mov_b32 v2, v5 :: v_dual_mov_b32 v1, 0
.LBB289_803:
	s_and_b32 s45, s45, 3
	s_delay_alu instid0(SALU_CYCLE_1)
	s_cmp_eq_u32 s45, 0
	s_cbranch_scc1 .LBB289_806
; %bb.804:
	s_lshl_b32 s2, s36, 3
	s_mul_i32 s20, s36, 12
	s_add_u32 s2, s2, s16
	s_addc_u32 s3, s17, 0
	s_add_u32 s2, s2, 0xc4
	s_addc_u32 s3, s3, 0
	;; [unrolled: 2-line block ×3, first 2 shown]
.LBB289_805:                            ; =>This Inner Loop Header: Depth=1
	s_clause 0x1
	s_load_b64 s[46:47], s[20:21], 0x4
	s_load_b32 s36, s[20:21], 0xc
	s_load_b64 s[48:49], s[2:3], 0x0
	s_add_u32 s20, s20, 12
	s_addc_u32 s21, s21, 0
	s_add_u32 s2, s2, 8
	s_addc_u32 s3, s3, 0
	s_add_i32 s45, s45, -1
	s_delay_alu instid0(SALU_CYCLE_1) | instskip(SKIP_2) | instid1(VALU_DEP_1)
	s_cmp_lg_u32 s45, 0
	s_waitcnt vmcnt(0) lgkmcnt(0)
	v_mul_hi_u32 v3, s47, v2
	v_add_nc_u32_e32 v3, v2, v3
	s_delay_alu instid0(VALU_DEP_1) | instskip(NEXT) | instid1(VALU_DEP_1)
	v_lshrrev_b32_e32 v8, s36, v3
	v_mul_lo_u32 v3, v8, s46
	s_delay_alu instid0(VALU_DEP_1) | instskip(NEXT) | instid1(VALU_DEP_1)
	v_sub_nc_u32_e32 v2, v2, v3
	v_mad_u64_u32 v[3:4], null, v2, s48, v[0:1]
	v_mad_u64_u32 v[6:7], null, v2, s49, v[1:2]
	v_mov_b32_e32 v2, v8
	s_delay_alu instid0(VALU_DEP_2)
	v_dual_mov_b32 v0, v3 :: v_dual_mov_b32 v1, v6
	s_cbranch_scc1 .LBB289_805
.LBB289_806:
	s_and_not1_b32 vcc_lo, exec_lo, s37
	s_cbranch_vccnz .LBB289_809
; %bb.807:
	v_mul_hi_u32 v0, s13, v5
	s_and_not1_b32 vcc_lo, exec_lo, s34
	s_delay_alu instid0(VALU_DEP_1) | instskip(NEXT) | instid1(VALU_DEP_1)
	v_add_nc_u32_e32 v0, v5, v0
	v_lshrrev_b32_e32 v2, s14, v0
	s_delay_alu instid0(VALU_DEP_1) | instskip(NEXT) | instid1(VALU_DEP_1)
	v_mul_lo_u32 v0, v2, s12
	v_sub_nc_u32_e32 v1, v5, v0
	s_delay_alu instid0(VALU_DEP_1)
	v_mul_lo_u32 v0, v1, s8
	v_mul_lo_u32 v1, v1, s9
	s_cbranch_vccnz .LBB289_809
; %bb.808:
	s_waitcnt vmcnt(0)
	v_mul_hi_u32 v3, s18, v2
	s_delay_alu instid0(VALU_DEP_1) | instskip(NEXT) | instid1(VALU_DEP_1)
	v_add_nc_u32_e32 v3, v2, v3
	v_lshrrev_b32_e32 v3, s19, v3
	s_delay_alu instid0(VALU_DEP_1) | instskip(NEXT) | instid1(VALU_DEP_1)
	v_mul_lo_u32 v3, v3, s15
	v_sub_nc_u32_e32 v5, v2, v3
	s_delay_alu instid0(VALU_DEP_1) | instskip(NEXT) | instid1(VALU_DEP_1)
	v_mad_u64_u32 v[2:3], null, v5, s10, v[0:1]
	v_mad_u64_u32 v[3:4], null, v5, s11, v[1:2]
	s_delay_alu instid0(VALU_DEP_1)
	v_dual_mov_b32 v0, v2 :: v_dual_mov_b32 v1, v3
.LBB289_809:
	v_cmp_lt_i16_e64 s2, s33, 11
	s_delay_alu instid0(VALU_DEP_2) | instskip(NEXT) | instid1(VALU_DEP_1)
	v_add_co_u32 v1, s3, s6, v1
	v_add_co_ci_u32_e64 v2, null, s7, 0, s3
	s_delay_alu instid0(VALU_DEP_3)
	s_and_b32 vcc_lo, exec_lo, s2
	s_mov_b32 s6, 0
	s_cbranch_vccnz .LBB289_816
; %bb.810:
	v_cmp_gt_i16_e64 s2, s33, 25
	s_mov_b32 s3, 0
	s_delay_alu instid0(VALU_DEP_1)
	s_and_b32 vcc_lo, exec_lo, s2
	s_cbranch_vccz .LBB289_817
; %bb.811:
	v_cmp_gt_i16_e64 s2, s33, 28
	s_delay_alu instid0(VALU_DEP_1)
	s_and_b32 vcc_lo, exec_lo, s2
	s_cbranch_vccz .LBB289_818
; %bb.812:
	v_cmp_gt_i16_e64 s2, s33, 43
	;; [unrolled: 5-line block ×3, first 2 shown]
	s_delay_alu instid0(VALU_DEP_1)
	s_and_b32 vcc_lo, exec_lo, s2
	s_cbranch_vccz .LBB289_822
; %bb.814:
	v_cmp_eq_u16_e64 s2, s33, 46
	s_mov_b32 s7, 0
	s_delay_alu instid0(VALU_DEP_1)
	s_and_b32 vcc_lo, exec_lo, s2
	s_cbranch_vccz .LBB289_825
; %bb.815:
	global_load_b32 v3, v[1:2], off
	s_mov_b32 s2, 0
	s_mov_b32 s6, -1
	s_waitcnt vmcnt(0)
	v_lshlrev_b32_e32 v3, 16, v3
	s_delay_alu instid0(VALU_DEP_1)
	v_cvt_i32_f32_e32 v3, v3
	s_branch .LBB289_827
.LBB289_816:
	s_mov_b32 s7, -1
	s_mov_b32 s3, 0
	s_mov_b32 s2, s22
                                        ; implicit-def: $vgpr3
	s_branch .LBB289_886
.LBB289_817:
	s_mov_b32 s7, -1
	s_mov_b32 s2, s22
                                        ; implicit-def: $vgpr3
	s_branch .LBB289_854
.LBB289_818:
	s_mov_b32 s7, -1
	s_mov_b32 s2, s22
                                        ; implicit-def: $vgpr3
	s_branch .LBB289_837
.LBB289_819:
	s_mov_b32 s7, -1
	s_mov_b32 s2, s22
                                        ; implicit-def: $vgpr3
	s_branch .LBB289_832
.LBB289_820:
	s_or_saveexec_b32 s45, s45
                                        ; implicit-def: $sgpr46
	s_delay_alu instid0(SALU_CYCLE_1)
	s_xor_b32 exec_lo, exec_lo, s45
	s_cbranch_execz .LBB289_743
.LBB289_821:
	v_add_f32_e64 v6, 0x46000000, |v4|
	s_and_not1_b32 s23, s23, exec_lo
	s_mov_b32 s46, 0
	s_delay_alu instid0(VALU_DEP_1) | instskip(NEXT) | instid1(VALU_DEP_1)
	v_and_b32_e32 v6, 0xff, v6
	v_cmp_ne_u32_e32 vcc_lo, 0, v6
	s_and_b32 s47, vcc_lo, exec_lo
	s_delay_alu instid0(SALU_CYCLE_1)
	s_or_b32 s23, s23, s47
	s_or_b32 exec_lo, exec_lo, s45
	v_mov_b32_e32 v7, s46
	s_and_saveexec_b32 s45, s23
	s_cbranch_execnz .LBB289_744
	s_branch .LBB289_745
.LBB289_822:
	s_mov_b32 s7, -1
	s_mov_b32 s2, s22
	s_branch .LBB289_826
.LBB289_823:
	s_or_saveexec_b32 s45, s45
                                        ; implicit-def: $sgpr46
	s_delay_alu instid0(SALU_CYCLE_1)
	s_xor_b32 exec_lo, exec_lo, s45
	s_cbranch_execz .LBB289_756
.LBB289_824:
	v_add_f32_e64 v6, 0x42800000, |v4|
	s_and_not1_b32 s23, s23, exec_lo
	s_mov_b32 s46, 0
	s_delay_alu instid0(VALU_DEP_1) | instskip(NEXT) | instid1(VALU_DEP_1)
	v_and_b32_e32 v6, 0xff, v6
	v_cmp_ne_u32_e32 vcc_lo, 0, v6
	s_and_b32 s47, vcc_lo, exec_lo
	s_delay_alu instid0(SALU_CYCLE_1)
	s_or_b32 s23, s23, s47
	s_or_b32 exec_lo, exec_lo, s45
	v_mov_b32_e32 v7, s46
	s_and_saveexec_b32 s45, s23
	s_cbranch_execnz .LBB289_757
	s_branch .LBB289_758
.LBB289_825:
	s_mov_b32 s2, -1
.LBB289_826:
                                        ; implicit-def: $vgpr3
.LBB289_827:
	s_and_b32 vcc_lo, exec_lo, s7
	s_cbranch_vccz .LBB289_831
; %bb.828:
	v_cmp_eq_u16_e64 s2, s33, 44
	s_delay_alu instid0(VALU_DEP_1)
	s_and_b32 vcc_lo, exec_lo, s2
	s_cbranch_vccz .LBB289_830
; %bb.829:
	global_load_u8 v3, v[1:2], off
	s_mov_b32 s2, 0
	s_mov_b32 s6, -1
	s_waitcnt vmcnt(0)
	v_lshlrev_b32_e32 v4, 23, v3
	v_cmp_ne_u32_e32 vcc_lo, 0, v3
	s_delay_alu instid0(VALU_DEP_2) | instskip(NEXT) | instid1(VALU_DEP_1)
	v_cvt_i32_f32_e32 v4, v4
	v_cndmask_b32_e32 v3, 0, v4, vcc_lo
	s_branch .LBB289_831
.LBB289_830:
	s_mov_b32 s2, -1
                                        ; implicit-def: $vgpr3
.LBB289_831:
	s_mov_b32 s7, 0
.LBB289_832:
	s_delay_alu instid0(SALU_CYCLE_1)
	s_and_b32 vcc_lo, exec_lo, s7
	s_cbranch_vccz .LBB289_836
; %bb.833:
	v_cmp_eq_u16_e64 s2, s33, 29
	s_delay_alu instid0(VALU_DEP_1)
	s_and_b32 vcc_lo, exec_lo, s2
	s_cbranch_vccz .LBB289_835
; %bb.834:
	global_load_b64 v[3:4], v[1:2], off
	s_mov_b32 s2, 0
	s_mov_b32 s6, -1
	s_branch .LBB289_836
.LBB289_835:
	s_mov_b32 s2, -1
                                        ; implicit-def: $vgpr3
.LBB289_836:
	s_mov_b32 s7, 0
.LBB289_837:
	s_delay_alu instid0(SALU_CYCLE_1)
	s_and_b32 vcc_lo, exec_lo, s7
	s_cbranch_vccz .LBB289_853
; %bb.838:
	v_cmp_lt_i16_e64 s6, s33, 27
	s_delay_alu instid0(VALU_DEP_1)
	s_and_b32 vcc_lo, exec_lo, s6
	s_cbranch_vccnz .LBB289_841
; %bb.839:
	v_cmp_gt_i16_e64 s6, s33, 27
	s_delay_alu instid0(VALU_DEP_1)
	s_and_b32 vcc_lo, exec_lo, s6
	s_cbranch_vccz .LBB289_842
; %bb.840:
	global_load_b32 v3, v[1:2], off
	s_mov_b32 s6, 0
	s_branch .LBB289_843
.LBB289_841:
	s_mov_b32 s6, -1
                                        ; implicit-def: $vgpr3
	s_branch .LBB289_846
.LBB289_842:
	s_mov_b32 s6, -1
                                        ; implicit-def: $vgpr3
.LBB289_843:
	s_delay_alu instid0(SALU_CYCLE_1)
	s_and_not1_b32 vcc_lo, exec_lo, s6
	s_cbranch_vccnz .LBB289_845
; %bb.844:
	global_load_u16 v3, v[1:2], off
.LBB289_845:
	s_mov_b32 s6, 0
.LBB289_846:
	s_delay_alu instid0(SALU_CYCLE_1)
	s_and_not1_b32 vcc_lo, exec_lo, s6
	s_cbranch_vccnz .LBB289_852
; %bb.847:
	global_load_u8 v4, v[1:2], off
	s_mov_b32 s6, 0
	s_mov_b32 s7, exec_lo
                                        ; implicit-def: $sgpr8
	s_waitcnt vmcnt(0)
	v_cmpx_lt_i16_e32 0x7f, v4
	s_xor_b32 s7, exec_lo, s7
	s_cbranch_execz .LBB289_864
; %bb.848:
	v_cmp_ne_u16_e32 vcc_lo, 0x80, v4
	s_mov_b32 s8, 0
	s_and_b32 s6, vcc_lo, exec_lo
	s_or_saveexec_b32 s7, s7
	v_mov_b32_e32 v3, s8
	s_xor_b32 exec_lo, exec_lo, s7
	s_cbranch_execnz .LBB289_865
.LBB289_849:
	s_or_b32 exec_lo, exec_lo, s7
	s_and_saveexec_b32 s7, s6
	s_cbranch_execz .LBB289_851
.LBB289_850:
	v_and_b32_e32 v3, 0xffff, v4
	s_delay_alu instid0(VALU_DEP_1) | instskip(NEXT) | instid1(VALU_DEP_1)
	v_and_b32_e32 v5, 7, v3
	v_clz_i32_u32_e32 v6, v5
	s_delay_alu instid0(VALU_DEP_1) | instskip(NEXT) | instid1(VALU_DEP_1)
	v_min_u32_e32 v6, 32, v6
	v_subrev_nc_u32_e32 v7, 28, v6
	v_sub_nc_u32_e32 v6, 29, v6
	s_delay_alu instid0(VALU_DEP_2) | instskip(SKIP_1) | instid1(VALU_DEP_2)
	v_lshlrev_b32_e32 v7, v7, v3
	v_bfe_u32 v3, v3, 3, 4
	v_and_b32_e32 v7, 7, v7
	s_delay_alu instid0(VALU_DEP_2) | instskip(SKIP_1) | instid1(VALU_DEP_1)
	v_cmp_eq_u32_e32 vcc_lo, 0, v3
	v_dual_cndmask_b32 v3, v3, v6 :: v_dual_lshlrev_b32 v4, 24, v4
	v_dual_cndmask_b32 v5, v5, v7 :: v_dual_and_b32 v4, 0x80000000, v4
	s_delay_alu instid0(VALU_DEP_2) | instskip(NEXT) | instid1(VALU_DEP_2)
	v_lshl_add_u32 v3, v3, 23, 0x3b800000
	v_lshlrev_b32_e32 v5, 20, v5
	s_delay_alu instid0(VALU_DEP_1) | instskip(NEXT) | instid1(VALU_DEP_1)
	v_or3_b32 v3, v4, v3, v5
	v_cvt_i32_f32_e32 v3, v3
.LBB289_851:
	s_or_b32 exec_lo, exec_lo, s7
.LBB289_852:
	s_mov_b32 s6, -1
.LBB289_853:
	s_mov_b32 s7, 0
.LBB289_854:
	s_delay_alu instid0(SALU_CYCLE_1)
	s_and_b32 vcc_lo, exec_lo, s7
	s_cbranch_vccz .LBB289_885
; %bb.855:
	v_cmp_gt_i16_e64 s3, s33, 22
	s_delay_alu instid0(VALU_DEP_1)
	s_and_b32 vcc_lo, exec_lo, s3
	s_cbranch_vccz .LBB289_863
; %bb.856:
	v_cmp_lt_i16_e64 s3, s33, 24
	s_delay_alu instid0(VALU_DEP_1)
	s_and_b32 vcc_lo, exec_lo, s3
	s_cbranch_vccnz .LBB289_866
; %bb.857:
	v_cmp_gt_i16_e64 s3, s33, 24
	s_delay_alu instid0(VALU_DEP_1)
	s_and_b32 vcc_lo, exec_lo, s3
	s_cbranch_vccz .LBB289_867
; %bb.858:
	global_load_u8 v4, v[1:2], off
	s_mov_b32 s3, 0
	s_mov_b32 s6, exec_lo
                                        ; implicit-def: $sgpr7
	s_waitcnt vmcnt(0)
	v_cmpx_lt_i16_e32 0x7f, v4
	s_xor_b32 s6, exec_lo, s6
	s_cbranch_execz .LBB289_879
; %bb.859:
	v_cmp_ne_u16_e32 vcc_lo, 0x80, v4
	s_mov_b32 s7, 0
	s_and_b32 s3, vcc_lo, exec_lo
	s_or_saveexec_b32 s6, s6
	v_mov_b32_e32 v3, s7
	s_xor_b32 exec_lo, exec_lo, s6
	s_cbranch_execnz .LBB289_880
.LBB289_860:
	s_or_b32 exec_lo, exec_lo, s6
	s_and_saveexec_b32 s6, s3
	s_cbranch_execz .LBB289_862
.LBB289_861:
	v_and_b32_e32 v3, 0xffff, v4
	s_delay_alu instid0(VALU_DEP_1) | instskip(NEXT) | instid1(VALU_DEP_1)
	v_and_b32_e32 v5, 3, v3
	v_clz_i32_u32_e32 v6, v5
	s_delay_alu instid0(VALU_DEP_1) | instskip(NEXT) | instid1(VALU_DEP_1)
	v_min_u32_e32 v6, 32, v6
	v_subrev_nc_u32_e32 v7, 29, v6
	v_sub_nc_u32_e32 v6, 30, v6
	s_delay_alu instid0(VALU_DEP_2) | instskip(SKIP_1) | instid1(VALU_DEP_2)
	v_lshlrev_b32_e32 v7, v7, v3
	v_bfe_u32 v3, v3, 2, 5
	v_and_b32_e32 v7, 3, v7
	s_delay_alu instid0(VALU_DEP_2) | instskip(SKIP_1) | instid1(VALU_DEP_1)
	v_cmp_eq_u32_e32 vcc_lo, 0, v3
	v_dual_cndmask_b32 v3, v3, v6 :: v_dual_lshlrev_b32 v4, 24, v4
	v_dual_cndmask_b32 v5, v5, v7 :: v_dual_and_b32 v4, 0x80000000, v4
	s_delay_alu instid0(VALU_DEP_2) | instskip(NEXT) | instid1(VALU_DEP_2)
	v_lshl_add_u32 v3, v3, 23, 0x37800000
	v_lshlrev_b32_e32 v5, 21, v5
	s_delay_alu instid0(VALU_DEP_1) | instskip(NEXT) | instid1(VALU_DEP_1)
	v_or3_b32 v3, v4, v3, v5
	v_cvt_i32_f32_e32 v3, v3
.LBB289_862:
	s_or_b32 exec_lo, exec_lo, s6
	s_mov_b32 s3, 0
	s_branch .LBB289_868
.LBB289_863:
	s_mov_b32 s3, -1
                                        ; implicit-def: $vgpr3
	s_branch .LBB289_874
.LBB289_864:
	s_or_saveexec_b32 s7, s7
	v_mov_b32_e32 v3, s8
	s_xor_b32 exec_lo, exec_lo, s7
	s_cbranch_execz .LBB289_849
.LBB289_865:
	v_cmp_ne_u16_e32 vcc_lo, 0, v4
	v_mov_b32_e32 v3, 0
	s_and_not1_b32 s6, s6, exec_lo
	s_and_b32 s8, vcc_lo, exec_lo
	s_delay_alu instid0(SALU_CYCLE_1)
	s_or_b32 s6, s6, s8
	s_or_b32 exec_lo, exec_lo, s7
	s_and_saveexec_b32 s7, s6
	s_cbranch_execnz .LBB289_850
	s_branch .LBB289_851
.LBB289_866:
	s_mov_b32 s3, -1
                                        ; implicit-def: $vgpr3
	s_branch .LBB289_871
.LBB289_867:
	s_mov_b32 s3, -1
                                        ; implicit-def: $vgpr3
.LBB289_868:
	s_delay_alu instid0(SALU_CYCLE_1)
	s_and_b32 vcc_lo, exec_lo, s3
	s_cbranch_vccz .LBB289_870
; %bb.869:
	global_load_u8 v3, v[1:2], off
	s_waitcnt vmcnt(0)
	v_lshlrev_b32_e32 v3, 24, v3
	s_delay_alu instid0(VALU_DEP_1) | instskip(NEXT) | instid1(VALU_DEP_1)
	v_and_b32_e32 v4, 0x7f000000, v3
	v_clz_i32_u32_e32 v5, v4
	v_add_nc_u32_e32 v7, 0x1000000, v4
	v_cmp_ne_u32_e32 vcc_lo, 0, v4
	s_delay_alu instid0(VALU_DEP_3) | instskip(NEXT) | instid1(VALU_DEP_1)
	v_min_u32_e32 v5, 32, v5
	v_sub_nc_u32_e64 v5, v5, 4 clamp
	s_delay_alu instid0(VALU_DEP_1) | instskip(SKIP_1) | instid1(VALU_DEP_2)
	v_lshlrev_b32_e32 v6, v5, v4
	v_lshlrev_b32_e32 v5, 23, v5
	v_lshrrev_b32_e32 v6, 4, v6
	s_delay_alu instid0(VALU_DEP_1) | instskip(SKIP_1) | instid1(VALU_DEP_2)
	v_sub_nc_u32_e32 v5, v6, v5
	v_ashrrev_i32_e32 v6, 8, v7
	v_add_nc_u32_e32 v5, 0x3c000000, v5
	s_delay_alu instid0(VALU_DEP_1) | instskip(NEXT) | instid1(VALU_DEP_1)
	v_and_or_b32 v5, 0x7f800000, v6, v5
	v_cndmask_b32_e32 v4, 0, v5, vcc_lo
	s_delay_alu instid0(VALU_DEP_1) | instskip(NEXT) | instid1(VALU_DEP_1)
	v_and_or_b32 v3, 0x80000000, v3, v4
	v_cvt_i32_f32_e32 v3, v3
.LBB289_870:
	s_mov_b32 s3, 0
.LBB289_871:
	s_delay_alu instid0(SALU_CYCLE_1)
	s_and_not1_b32 vcc_lo, exec_lo, s3
	s_cbranch_vccnz .LBB289_873
; %bb.872:
	global_load_u8 v3, v[1:2], off
	s_waitcnt vmcnt(0)
	v_lshlrev_b32_e32 v4, 25, v3
	v_lshlrev_b16 v3, 8, v3
	s_delay_alu instid0(VALU_DEP_2) | instskip(NEXT) | instid1(VALU_DEP_2)
	v_lshrrev_b32_e32 v5, 4, v4
	v_and_or_b32 v6, 0x7f00, v3, 0.5
	v_bfe_i32 v3, v3, 0, 16
	s_delay_alu instid0(VALU_DEP_3) | instskip(NEXT) | instid1(VALU_DEP_1)
	v_or_b32_e32 v5, 0x70000000, v5
	v_dual_add_f32 v6, -0.5, v6 :: v_dual_mul_f32 v5, 0x7800000, v5
	v_cmp_gt_u32_e32 vcc_lo, 0x8000000, v4
	s_delay_alu instid0(VALU_DEP_2) | instskip(NEXT) | instid1(VALU_DEP_1)
	v_cndmask_b32_e32 v4, v5, v6, vcc_lo
	v_and_or_b32 v3, 0x80000000, v3, v4
	s_delay_alu instid0(VALU_DEP_1)
	v_cvt_i32_f32_e32 v3, v3
.LBB289_873:
	s_mov_b32 s3, 0
	s_mov_b32 s6, -1
.LBB289_874:
	s_and_not1_b32 vcc_lo, exec_lo, s3
	s_mov_b32 s3, 0
	s_cbranch_vccnz .LBB289_885
; %bb.875:
	v_cmp_gt_i16_e64 s3, s33, 14
	s_delay_alu instid0(VALU_DEP_1)
	s_and_b32 vcc_lo, exec_lo, s3
	s_cbranch_vccz .LBB289_878
; %bb.876:
	v_cmp_eq_u16_e64 s2, s33, 15
	s_delay_alu instid0(VALU_DEP_1)
	s_and_b32 vcc_lo, exec_lo, s2
	s_cbranch_vccz .LBB289_881
; %bb.877:
	global_load_u16 v3, v[1:2], off
	s_mov_b32 s2, 0
	s_mov_b32 s6, -1
	s_waitcnt vmcnt(0)
	v_lshlrev_b32_e32 v3, 16, v3
	s_delay_alu instid0(VALU_DEP_1)
	v_cvt_i32_f32_e32 v3, v3
	s_branch .LBB289_882
.LBB289_878:
	s_mov_b32 s3, -1
                                        ; implicit-def: $vgpr3
	s_branch .LBB289_883
.LBB289_879:
	s_or_saveexec_b32 s6, s6
	v_mov_b32_e32 v3, s7
	s_xor_b32 exec_lo, exec_lo, s6
	s_cbranch_execz .LBB289_860
.LBB289_880:
	v_cmp_ne_u16_e32 vcc_lo, 0, v4
	v_mov_b32_e32 v3, 0
	s_and_not1_b32 s3, s3, exec_lo
	s_and_b32 s7, vcc_lo, exec_lo
	s_delay_alu instid0(SALU_CYCLE_1)
	s_or_b32 s3, s3, s7
	s_or_b32 exec_lo, exec_lo, s6
	s_and_saveexec_b32 s6, s3
	s_cbranch_execnz .LBB289_861
	s_branch .LBB289_862
.LBB289_881:
	s_mov_b32 s2, -1
                                        ; implicit-def: $vgpr3
.LBB289_882:
	s_mov_b32 s3, 0
.LBB289_883:
	s_delay_alu instid0(SALU_CYCLE_1)
	s_and_b32 vcc_lo, exec_lo, s3
	s_mov_b32 s3, 0
	s_cbranch_vccz .LBB289_885
; %bb.884:
	v_cmp_ne_u16_e64 s3, s33, 11
	s_and_not1_b32 s2, s2, exec_lo
                                        ; implicit-def: $vgpr3
	s_delay_alu instid0(VALU_DEP_1)
	s_and_b32 s7, s3, exec_lo
	s_mov_b32 s3, -1
	s_or_b32 s2, s2, s7
.LBB289_885:
	s_mov_b32 s7, 0
.LBB289_886:
	s_and_b32 s45, s6, exec_lo
	s_and_b32 s46, s7, exec_lo
	s_and_not1_b32 s6, s22, exec_lo
	s_and_b32 s7, s2, exec_lo
	s_and_b32 s2, s3, exec_lo
	s_or_b32 s47, s6, s7
.LBB289_887:
	s_or_b32 exec_lo, exec_lo, s35
	s_delay_alu instid0(SALU_CYCLE_1)
	s_and_not1_b32 s6, s22, exec_lo
	s_and_b32 s7, s47, exec_lo
	s_and_b32 s45, s45, exec_lo
	;; [unrolled: 1-line block ×4, first 2 shown]
	s_or_b32 s22, s6, s7
.LBB289_888:
	s_or_b32 exec_lo, exec_lo, s44
	s_delay_alu instid0(SALU_CYCLE_1)
	s_and_not1_b32 s6, s42, exec_lo
	s_and_b32 s7, s23, exec_lo
	s_and_b32 s44, s45, exec_lo
	s_or_b32 s42, s6, s7
	s_and_not1_b32 s6, s41, exec_lo
	s_and_b32 s7, s22, exec_lo
	s_and_b32 s23, s3, exec_lo
	s_and_b32 s3, s2, exec_lo
	s_or_b32 s41, s6, s7
.LBB289_889:
	s_or_b32 exec_lo, exec_lo, s43
	s_delay_alu instid0(SALU_CYCLE_1)
	s_and_not1_b32 s2, s38, exec_lo
	s_and_b32 s6, s42, exec_lo
	s_and_b32 s7, s41, exec_lo
	s_or_b32 s38, s2, s6
	s_and_not1_b32 s6, s39, exec_lo
	s_and_b32 s2, s44, exec_lo
	s_and_b32 s22, s23, exec_lo
	;; [unrolled: 1-line block ×3, first 2 shown]
	s_or_b32 s39, s6, s7
.LBB289_890:
	s_or_b32 exec_lo, exec_lo, s40
	s_mov_b32 s3, 0
	s_and_saveexec_b32 s6, s39
	s_cbranch_execnz .LBB289_902
; %bb.891:
	s_or_b32 exec_lo, exec_lo, s6
	s_and_saveexec_b32 s6, s41
	s_delay_alu instid0(SALU_CYCLE_1)
	s_xor_b32 s6, exec_lo, s6
	s_cbranch_execz .LBB289_893
.LBB289_892:
	global_load_u8 v3, v[1:2], off
	s_or_b32 s2, s2, exec_lo
	s_waitcnt vmcnt(0)
	v_cmp_ne_u16_e32 vcc_lo, 0, v3
	v_cndmask_b32_e64 v3, 0, 1, vcc_lo
.LBB289_893:
	s_or_b32 exec_lo, exec_lo, s6
	s_and_saveexec_b32 s6, s22
	s_cbranch_execz .LBB289_941
; %bb.894:
	v_cmp_lt_i16_e64 s7, s33, 5
	s_delay_alu instid0(VALU_DEP_1)
	s_and_b32 vcc_lo, exec_lo, s7
	s_cbranch_vccnz .LBB289_899
; %bb.895:
	v_cmp_lt_i16_e64 s7, s33, 8
	s_delay_alu instid0(VALU_DEP_1)
	s_and_b32 vcc_lo, exec_lo, s7
	s_cbranch_vccnz .LBB289_900
; %bb.896:
	v_cmp_lt_i16_e64 s7, s33, 9
	s_delay_alu instid0(VALU_DEP_1)
	s_and_b32 vcc_lo, exec_lo, s7
	s_cbranch_vccnz .LBB289_901
; %bb.897:
	v_cmp_gt_i16_e64 s7, s33, 9
	s_delay_alu instid0(VALU_DEP_1)
	s_and_b32 vcc_lo, exec_lo, s7
	s_cbranch_vccz .LBB289_904
; %bb.898:
	global_load_b64 v[3:4], v[1:2], off
	s_mov_b32 s7, 0
	s_waitcnt vmcnt(0)
	v_cvt_i32_f64_e32 v3, v[3:4]
	s_branch .LBB289_905
.LBB289_899:
                                        ; implicit-def: $vgpr3
	s_branch .LBB289_922
.LBB289_900:
                                        ; implicit-def: $vgpr3
	s_branch .LBB289_911
.LBB289_901:
	s_mov_b32 s7, -1
                                        ; implicit-def: $vgpr3
	s_branch .LBB289_908
.LBB289_902:
	s_cbranch_execnz .LBB289_1172
; %bb.903:
	s_mov_b32 s3, exec_lo
	s_and_not1_b32 s41, s41, exec_lo
                                        ; implicit-def: $vgpr3
	s_or_b32 exec_lo, exec_lo, s6
	s_and_saveexec_b32 s6, s41
	s_delay_alu instid0(SALU_CYCLE_1)
	s_xor_b32 s6, exec_lo, s6
	s_cbranch_execnz .LBB289_892
	s_branch .LBB289_893
.LBB289_904:
	s_mov_b32 s7, -1
                                        ; implicit-def: $vgpr3
.LBB289_905:
	s_delay_alu instid0(SALU_CYCLE_1)
	s_and_not1_b32 vcc_lo, exec_lo, s7
	s_cbranch_vccnz .LBB289_907
; %bb.906:
	global_load_b32 v3, v[1:2], off
	s_waitcnt vmcnt(0)
	v_cvt_i32_f32_e32 v3, v3
.LBB289_907:
	s_mov_b32 s7, 0
.LBB289_908:
	s_delay_alu instid0(SALU_CYCLE_1)
	s_and_not1_b32 vcc_lo, exec_lo, s7
	s_cbranch_vccnz .LBB289_910
; %bb.909:
	global_load_b32 v3, v[1:2], off
	s_waitcnt vmcnt(0)
	v_cvt_i16_f16_e32 v3, v3
.LBB289_910:
	s_cbranch_execnz .LBB289_921
.LBB289_911:
	v_cmp_lt_i16_e64 s7, s33, 6
	s_delay_alu instid0(VALU_DEP_1)
	s_and_b32 vcc_lo, exec_lo, s7
	s_cbranch_vccnz .LBB289_914
; %bb.912:
	v_cmp_gt_i16_e64 s7, s33, 6
	s_delay_alu instid0(VALU_DEP_1)
	s_and_b32 vcc_lo, exec_lo, s7
	s_cbranch_vccz .LBB289_915
; %bb.913:
	global_load_b64 v[3:4], v[1:2], off
	s_mov_b32 s7, 0
	s_waitcnt vmcnt(0)
	v_cvt_i32_f64_e32 v3, v[3:4]
	s_branch .LBB289_916
.LBB289_914:
	s_mov_b32 s7, -1
                                        ; implicit-def: $vgpr3
	s_branch .LBB289_919
.LBB289_915:
	s_mov_b32 s7, -1
                                        ; implicit-def: $vgpr3
.LBB289_916:
	s_delay_alu instid0(SALU_CYCLE_1)
	s_and_not1_b32 vcc_lo, exec_lo, s7
	s_cbranch_vccnz .LBB289_918
; %bb.917:
	global_load_b32 v3, v[1:2], off
	s_waitcnt vmcnt(0)
	v_cvt_i32_f32_e32 v3, v3
.LBB289_918:
	s_mov_b32 s7, 0
.LBB289_919:
	s_delay_alu instid0(SALU_CYCLE_1)
	s_and_not1_b32 vcc_lo, exec_lo, s7
	s_cbranch_vccnz .LBB289_921
; %bb.920:
	global_load_u16 v3, v[1:2], off
	s_waitcnt vmcnt(0)
	v_cvt_i16_f16_e32 v3, v3
.LBB289_921:
	s_cbranch_execnz .LBB289_940
.LBB289_922:
	v_cmp_lt_i16_e64 s7, s33, 2
	s_delay_alu instid0(VALU_DEP_1)
	s_and_b32 vcc_lo, exec_lo, s7
	s_cbranch_vccnz .LBB289_926
; %bb.923:
	v_cmp_lt_i16_e64 s7, s33, 3
	s_delay_alu instid0(VALU_DEP_1)
	s_and_b32 vcc_lo, exec_lo, s7
	s_cbranch_vccnz .LBB289_927
; %bb.924:
	v_cmp_gt_i16_e64 s7, s33, 3
	s_delay_alu instid0(VALU_DEP_1)
	s_and_b32 vcc_lo, exec_lo, s7
	s_cbranch_vccz .LBB289_928
; %bb.925:
	global_load_b64 v[3:4], v[1:2], off
	s_mov_b32 s7, 0
	s_branch .LBB289_929
.LBB289_926:
                                        ; implicit-def: $vgpr3
	s_branch .LBB289_935
.LBB289_927:
	s_mov_b32 s7, -1
                                        ; implicit-def: $vgpr3
	s_branch .LBB289_932
.LBB289_928:
	s_mov_b32 s7, -1
                                        ; implicit-def: $vgpr3
.LBB289_929:
	s_delay_alu instid0(SALU_CYCLE_1)
	s_and_not1_b32 vcc_lo, exec_lo, s7
	s_cbranch_vccnz .LBB289_931
; %bb.930:
	global_load_b32 v3, v[1:2], off
.LBB289_931:
	s_mov_b32 s7, 0
.LBB289_932:
	s_delay_alu instid0(SALU_CYCLE_1)
	s_and_not1_b32 vcc_lo, exec_lo, s7
	s_cbranch_vccnz .LBB289_934
; %bb.933:
	global_load_u16 v3, v[1:2], off
.LBB289_934:
	s_cbranch_execnz .LBB289_940
.LBB289_935:
	v_cmp_gt_i16_e64 s7, s33, 0
	s_delay_alu instid0(VALU_DEP_1)
	s_and_b32 vcc_lo, exec_lo, s7
	s_mov_b32 s7, 0
	s_cbranch_vccz .LBB289_937
; %bb.936:
	global_load_u8 v3, v[1:2], off
	s_branch .LBB289_938
.LBB289_937:
	s_mov_b32 s7, -1
                                        ; implicit-def: $vgpr3
.LBB289_938:
	s_delay_alu instid0(SALU_CYCLE_1)
	s_and_not1_b32 vcc_lo, exec_lo, s7
	s_cbranch_vccnz .LBB289_940
; %bb.939:
	global_load_u8 v3, v[1:2], off
.LBB289_940:
	s_or_b32 s2, s2, exec_lo
.LBB289_941:
	s_or_b32 exec_lo, exec_lo, s6
	s_mov_b32 s8, 0
	s_mov_b32 s7, 0
                                        ; implicit-def: $vgpr5
                                        ; implicit-def: $vgpr1_vgpr2
                                        ; implicit-def: $vgpr4
	s_and_saveexec_b32 s6, s2
	s_cbranch_execz .LBB289_1018
; %bb.942:
	s_waitcnt vmcnt(0)
	s_delay_alu instid0(VALU_DEP_1) | instskip(SKIP_2) | instid1(VALU_DEP_2)
	v_bfe_i32 v1, v3, 0, 8
	s_bfe_i32 s2, s29, 0x80000
	v_and_b32_e64 v5, 0xff, s31
	v_max_i16 v1, v1, s2
	s_bfe_i32 s2, s30, 0x80000
	s_delay_alu instid0(VALU_DEP_2) | instskip(NEXT) | instid1(VALU_DEP_2)
	v_cmp_gt_i16_e32 vcc_lo, 11, v5
	v_min_i16 v4, v1, s2
	v_add_co_u32 v1, s2, s4, v0
	s_delay_alu instid0(VALU_DEP_1)
	v_add_co_ci_u32_e64 v2, null, s5, 0, s2
	s_mov_b32 s4, -1
	s_mov_b32 s2, s38
	s_cbranch_vccnz .LBB289_1017
; %bb.943:
	v_cmp_lt_i16_e32 vcc_lo, 25, v5
	s_mov_b32 s2, s38
	s_cbranch_vccz .LBB289_976
; %bb.944:
	v_cmp_lt_i16_e32 vcc_lo, 28, v5
	s_mov_b32 s2, s38
	s_cbranch_vccz .LBB289_960
	;; [unrolled: 4-line block ×4, first 2 shown]
; %bb.947:
	v_cmp_eq_u16_e32 vcc_lo, 46, v5
	s_mov_b32 s2, -1
	s_cbranch_vccz .LBB289_949
; %bb.948:
	v_bfe_i32 v0, v4, 0, 16
	s_mov_b32 s2, 0
	s_delay_alu instid0(VALU_DEP_1) | instskip(NEXT) | instid1(VALU_DEP_1)
	v_cvt_f32_i32_e32 v0, v0
	v_bfe_u32 v3, v0, 16, 1
	s_delay_alu instid0(VALU_DEP_1) | instskip(NEXT) | instid1(VALU_DEP_1)
	v_add3_u32 v0, v0, v3, 0x7fff
	v_lshrrev_b32_e32 v0, 16, v0
	global_store_b32 v[1:2], v0, off
.LBB289_949:
	s_mov_b32 s4, 0
.LBB289_950:
	s_delay_alu instid0(SALU_CYCLE_1)
	s_and_b32 vcc_lo, exec_lo, s4
	s_cbranch_vccz .LBB289_955
; %bb.951:
	v_cmp_eq_u16_e32 vcc_lo, 44, v5
	s_mov_b32 s2, -1
	s_cbranch_vccz .LBB289_955
; %bb.952:
	v_bfe_i32 v0, v4, 0, 16
	v_mov_b32_e32 v3, 0xff
	s_mov_b32 s4, exec_lo
	s_delay_alu instid0(VALU_DEP_2) | instskip(NEXT) | instid1(VALU_DEP_1)
	v_cvt_f32_i32_e32 v0, v0
	v_bfe_u32 v6, v0, 23, 8
	s_delay_alu instid0(VALU_DEP_1)
	v_cmpx_ne_u32_e32 0xff, v6
; %bb.953:
	v_and_b32_e32 v3, 0x400000, v0
	v_and_or_b32 v6, 0x3fffff, v0, v6
	v_lshrrev_b32_e32 v0, 23, v0
	s_delay_alu instid0(VALU_DEP_3) | instskip(NEXT) | instid1(VALU_DEP_3)
	v_cmp_ne_u32_e32 vcc_lo, 0, v3
	v_cmp_ne_u32_e64 s2, 0, v6
	s_delay_alu instid0(VALU_DEP_1) | instskip(NEXT) | instid1(SALU_CYCLE_1)
	s_and_b32 s2, vcc_lo, s2
	v_cndmask_b32_e64 v3, 0, 1, s2
	s_delay_alu instid0(VALU_DEP_1)
	v_add_nc_u32_e32 v3, v0, v3
; %bb.954:
	s_or_b32 exec_lo, exec_lo, s4
	s_mov_b32 s2, 0
	global_store_b8 v[1:2], v3, off
.LBB289_955:
	s_mov_b32 s4, 0
.LBB289_956:
	s_delay_alu instid0(SALU_CYCLE_1)
	s_and_b32 vcc_lo, exec_lo, s4
	s_cbranch_vccz .LBB289_959
; %bb.957:
	v_cmp_eq_u16_e32 vcc_lo, 29, v5
	s_mov_b32 s2, -1
	s_cbranch_vccz .LBB289_959
; %bb.958:
	v_bfe_i32 v6, v4, 0, 16
	s_mov_b32 s2, 0
	s_delay_alu instid0(VALU_DEP_1)
	v_ashrrev_i32_e32 v7, 31, v6
	global_store_b64 v[1:2], v[6:7], off
.LBB289_959:
	s_mov_b32 s4, 0
.LBB289_960:
	s_delay_alu instid0(SALU_CYCLE_1)
	s_and_b32 vcc_lo, exec_lo, s4
	s_cbranch_vccz .LBB289_975
; %bb.961:
	v_cmp_gt_i16_e32 vcc_lo, 27, v5
	s_mov_b32 s4, -1
	s_cbranch_vccnz .LBB289_967
; %bb.962:
	v_cmp_lt_i16_e32 vcc_lo, 27, v5
	s_cbranch_vccz .LBB289_964
; %bb.963:
	v_bfe_i32 v0, v4, 0, 16
	s_mov_b32 s4, 0
	global_store_b32 v[1:2], v0, off
.LBB289_964:
	s_and_not1_b32 vcc_lo, exec_lo, s4
	s_cbranch_vccnz .LBB289_966
; %bb.965:
	global_store_b16 v[1:2], v4, off
.LBB289_966:
	s_mov_b32 s4, 0
.LBB289_967:
	s_delay_alu instid0(SALU_CYCLE_1)
	s_and_not1_b32 vcc_lo, exec_lo, s4
	s_cbranch_vccnz .LBB289_975
; %bb.968:
	v_bfe_i32 v0, v4, 0, 16
	v_mov_b32_e32 v6, 0x80
	s_mov_b32 s4, exec_lo
	s_delay_alu instid0(VALU_DEP_2) | instskip(NEXT) | instid1(VALU_DEP_1)
	v_cvt_f32_i32_e32 v0, v0
	v_and_b32_e32 v3, 0x7fffffff, v0
	s_delay_alu instid0(VALU_DEP_1)
	v_cmpx_gt_u32_e32 0x43800000, v3
	s_cbranch_execz .LBB289_974
; %bb.969:
	v_cmp_lt_u32_e32 vcc_lo, 0x3bffffff, v3
	s_mov_b32 s5, 0
                                        ; implicit-def: $vgpr3
	s_and_saveexec_b32 s7, vcc_lo
	s_delay_alu instid0(SALU_CYCLE_1)
	s_xor_b32 s7, exec_lo, s7
	s_cbranch_execz .LBB289_1258
; %bb.970:
	v_bfe_u32 v3, v0, 20, 1
	s_mov_b32 s5, exec_lo
	s_delay_alu instid0(VALU_DEP_1) | instskip(NEXT) | instid1(VALU_DEP_1)
	v_add3_u32 v3, v0, v3, 0x487ffff
	v_lshrrev_b32_e32 v3, 20, v3
	s_or_saveexec_b32 s7, s7
                                        ; implicit-def: $sgpr8
	s_delay_alu instid0(SALU_CYCLE_1)
	s_xor_b32 exec_lo, exec_lo, s7
	s_cbranch_execnz .LBB289_1259
.LBB289_971:
	s_or_b32 exec_lo, exec_lo, s7
	v_mov_b32_e32 v6, s8
	s_and_saveexec_b32 s7, s5
.LBB289_972:
	v_lshrrev_b32_e32 v0, 24, v0
	s_delay_alu instid0(VALU_DEP_1)
	v_and_or_b32 v6, 0x80, v0, v3
.LBB289_973:
	s_or_b32 exec_lo, exec_lo, s7
.LBB289_974:
	s_delay_alu instid0(SALU_CYCLE_1)
	s_or_b32 exec_lo, exec_lo, s4
	global_store_b8 v[1:2], v6, off
.LBB289_975:
	s_mov_b32 s4, 0
.LBB289_976:
	s_delay_alu instid0(SALU_CYCLE_1)
	s_and_b32 vcc_lo, exec_lo, s4
	s_mov_b32 s4, 0
	s_cbranch_vccz .LBB289_1016
; %bb.977:
	v_cmp_lt_i16_e32 vcc_lo, 22, v5
	s_mov_b32 s5, -1
	s_cbranch_vccz .LBB289_1009
; %bb.978:
	v_cmp_gt_i16_e32 vcc_lo, 24, v5
	s_cbranch_vccnz .LBB289_998
; %bb.979:
	v_cmp_lt_i16_e32 vcc_lo, 24, v5
	s_cbranch_vccz .LBB289_987
; %bb.980:
	v_bfe_i32 v0, v4, 0, 16
	v_mov_b32_e32 v6, 0x80
	s_mov_b32 s5, exec_lo
	s_delay_alu instid0(VALU_DEP_2) | instskip(NEXT) | instid1(VALU_DEP_1)
	v_cvt_f32_i32_e32 v0, v0
	v_and_b32_e32 v3, 0x7fffffff, v0
	s_delay_alu instid0(VALU_DEP_1)
	v_cmpx_gt_u32_e32 0x47800000, v3
	s_cbranch_execz .LBB289_986
; %bb.981:
	v_cmp_lt_u32_e32 vcc_lo, 0x37ffffff, v3
	s_mov_b32 s7, 0
                                        ; implicit-def: $vgpr3
	s_and_saveexec_b32 s8, vcc_lo
	s_delay_alu instid0(SALU_CYCLE_1)
	s_xor_b32 s8, exec_lo, s8
	s_cbranch_execz .LBB289_1302
; %bb.982:
	v_bfe_u32 v3, v0, 21, 1
	s_mov_b32 s7, exec_lo
	s_delay_alu instid0(VALU_DEP_1) | instskip(NEXT) | instid1(VALU_DEP_1)
	v_add3_u32 v3, v0, v3, 0x88fffff
	v_lshrrev_b32_e32 v3, 21, v3
	s_or_saveexec_b32 s8, s8
                                        ; implicit-def: $sgpr9
	s_delay_alu instid0(SALU_CYCLE_1)
	s_xor_b32 exec_lo, exec_lo, s8
	s_cbranch_execnz .LBB289_1303
.LBB289_983:
	s_or_b32 exec_lo, exec_lo, s8
	v_mov_b32_e32 v6, s9
	s_and_saveexec_b32 s8, s7
.LBB289_984:
	v_lshrrev_b32_e32 v0, 24, v0
	s_delay_alu instid0(VALU_DEP_1)
	v_and_or_b32 v6, 0x80, v0, v3
.LBB289_985:
	s_or_b32 exec_lo, exec_lo, s8
.LBB289_986:
	s_delay_alu instid0(SALU_CYCLE_1)
	s_or_b32 exec_lo, exec_lo, s5
	s_mov_b32 s5, 0
	global_store_b8 v[1:2], v6, off
.LBB289_987:
	s_and_b32 vcc_lo, exec_lo, s5
	s_cbranch_vccz .LBB289_997
; %bb.988:
	v_bfe_i32 v0, v4, 0, 16
	s_mov_b32 s5, exec_lo
                                        ; implicit-def: $vgpr3
	s_delay_alu instid0(VALU_DEP_1) | instskip(NEXT) | instid1(VALU_DEP_1)
	v_cvt_f32_i32_e32 v0, v0
	v_and_b32_e32 v6, 0x7fffffff, v0
	s_delay_alu instid0(VALU_DEP_1)
	v_cmpx_gt_u32_e32 0x43f00000, v6
	s_xor_b32 s5, exec_lo, s5
	s_cbranch_execz .LBB289_994
; %bb.989:
	s_mov_b32 s7, exec_lo
                                        ; implicit-def: $vgpr3
	v_cmpx_lt_u32_e32 0x3c7fffff, v6
	s_xor_b32 s7, exec_lo, s7
; %bb.990:
	v_bfe_u32 v3, v0, 20, 1
	s_delay_alu instid0(VALU_DEP_1) | instskip(NEXT) | instid1(VALU_DEP_1)
	v_add3_u32 v3, v0, v3, 0x407ffff
	v_and_b32_e32 v6, 0xff00000, v3
	v_lshrrev_b32_e32 v3, 20, v3
	s_delay_alu instid0(VALU_DEP_2) | instskip(NEXT) | instid1(VALU_DEP_2)
	v_cmp_ne_u32_e32 vcc_lo, 0x7f00000, v6
	v_cndmask_b32_e32 v3, 0x7e, v3, vcc_lo
; %bb.991:
	s_and_not1_saveexec_b32 s7, s7
; %bb.992:
	v_add_f32_e64 v3, 0x46800000, |v0|
; %bb.993:
	s_or_b32 exec_lo, exec_lo, s7
                                        ; implicit-def: $vgpr6
.LBB289_994:
	s_and_not1_saveexec_b32 s5, s5
; %bb.995:
	v_mov_b32_e32 v3, 0x7f
	v_cmp_lt_u32_e32 vcc_lo, 0x7f800000, v6
	s_delay_alu instid0(VALU_DEP_2)
	v_cndmask_b32_e32 v3, 0x7e, v3, vcc_lo
; %bb.996:
	s_or_b32 exec_lo, exec_lo, s5
	v_lshrrev_b32_e32 v0, 24, v0
	s_delay_alu instid0(VALU_DEP_1)
	v_and_or_b32 v0, 0x80, v0, v3
	global_store_b8 v[1:2], v0, off
.LBB289_997:
	s_mov_b32 s5, 0
.LBB289_998:
	s_delay_alu instid0(SALU_CYCLE_1)
	s_and_not1_b32 vcc_lo, exec_lo, s5
	s_cbranch_vccnz .LBB289_1008
; %bb.999:
	v_bfe_i32 v0, v4, 0, 16
	s_mov_b32 s5, exec_lo
                                        ; implicit-def: $vgpr3
	s_delay_alu instid0(VALU_DEP_1) | instskip(NEXT) | instid1(VALU_DEP_1)
	v_cvt_f32_i32_e32 v0, v0
	v_and_b32_e32 v6, 0x7fffffff, v0
	s_delay_alu instid0(VALU_DEP_1)
	v_cmpx_gt_u32_e32 0x47800000, v6
	s_xor_b32 s5, exec_lo, s5
	s_cbranch_execz .LBB289_1005
; %bb.1000:
	s_mov_b32 s7, exec_lo
                                        ; implicit-def: $vgpr3
	v_cmpx_lt_u32_e32 0x387fffff, v6
	s_xor_b32 s7, exec_lo, s7
; %bb.1001:
	v_bfe_u32 v3, v0, 21, 1
	s_delay_alu instid0(VALU_DEP_1) | instskip(NEXT) | instid1(VALU_DEP_1)
	v_add3_u32 v3, v0, v3, 0x80fffff
	v_lshrrev_b32_e32 v3, 21, v3
; %bb.1002:
	s_and_not1_saveexec_b32 s7, s7
; %bb.1003:
	v_add_f32_e64 v3, 0x43000000, |v0|
; %bb.1004:
	s_or_b32 exec_lo, exec_lo, s7
                                        ; implicit-def: $vgpr6
.LBB289_1005:
	s_and_not1_saveexec_b32 s5, s5
; %bb.1006:
	v_mov_b32_e32 v3, 0x7f
	v_cmp_lt_u32_e32 vcc_lo, 0x7f800000, v6
	s_delay_alu instid0(VALU_DEP_2)
	v_cndmask_b32_e32 v3, 0x7c, v3, vcc_lo
; %bb.1007:
	s_or_b32 exec_lo, exec_lo, s5
	v_lshrrev_b32_e32 v0, 24, v0
	s_delay_alu instid0(VALU_DEP_1)
	v_and_or_b32 v0, 0x80, v0, v3
	global_store_b8 v[1:2], v0, off
.LBB289_1008:
	s_mov_b32 s5, 0
.LBB289_1009:
	s_delay_alu instid0(SALU_CYCLE_1)
	s_and_not1_b32 vcc_lo, exec_lo, s5
	s_mov_b32 s8, 0
	s_cbranch_vccnz .LBB289_1017
; %bb.1010:
	v_cmp_lt_i16_e32 vcc_lo, 14, v5
	s_mov_b32 s5, -1
	s_cbranch_vccz .LBB289_1014
; %bb.1011:
	v_cmp_eq_u16_e32 vcc_lo, 15, v5
	s_mov_b32 s2, -1
	s_cbranch_vccz .LBB289_1013
; %bb.1012:
	v_bfe_i32 v0, v4, 0, 16
	s_mov_b32 s2, 0
	s_delay_alu instid0(VALU_DEP_1) | instskip(NEXT) | instid1(VALU_DEP_1)
	v_cvt_f32_i32_e32 v0, v0
	v_bfe_u32 v3, v0, 16, 1
	s_delay_alu instid0(VALU_DEP_1)
	v_add3_u32 v0, v0, v3, 0x7fff
	global_store_d16_hi_b16 v[1:2], v0, off
.LBB289_1013:
	s_mov_b32 s5, 0
.LBB289_1014:
	s_delay_alu instid0(SALU_CYCLE_1)
	s_and_b32 vcc_lo, exec_lo, s5
	s_cbranch_vccz .LBB289_1017
; %bb.1015:
	v_cmp_ne_u16_e32 vcc_lo, 11, v5
	s_and_not1_b32 s2, s2, exec_lo
	s_mov_b32 s8, -1
	s_and_b32 s5, vcc_lo, exec_lo
	s_delay_alu instid0(SALU_CYCLE_1)
	s_or_b32 s2, s2, s5
	s_branch .LBB289_1017
.LBB289_1016:
	s_mov_b32 s8, 0
.LBB289_1017:
	s_and_b32 s7, s4, exec_lo
	s_and_not1_b32 s4, s38, exec_lo
	s_and_b32 s2, s2, exec_lo
	s_and_b32 s8, s8, exec_lo
	s_or_b32 s38, s4, s2
.LBB289_1018:
	s_or_b32 exec_lo, exec_lo, s6
	s_and_saveexec_b32 s2, s38
	s_cbranch_execnz .LBB289_1132
; %bb.1019:
	s_or_b32 exec_lo, exec_lo, s2
	s_and_saveexec_b32 s2, s8
	s_delay_alu instid0(SALU_CYCLE_1)
	s_xor_b32 s2, exec_lo, s2
	s_cbranch_execz .LBB289_1021
.LBB289_1020:
	s_waitcnt vmcnt(0)
	v_and_b32_e32 v0, 0xff, v4
	s_delay_alu instid0(VALU_DEP_1)
	v_cmp_ne_u16_e32 vcc_lo, 0, v0
	v_cndmask_b32_e64 v0, 0, 1, vcc_lo
	global_store_b8 v[1:2], v0, off
.LBB289_1021:
	s_or_b32 exec_lo, exec_lo, s2
	s_and_saveexec_b32 s2, s7
	s_delay_alu instid0(SALU_CYCLE_1)
	s_xor_b32 s2, exec_lo, s2
	s_cbranch_execz .LBB289_1059
; %bb.1022:
	v_cmp_gt_i16_e32 vcc_lo, 5, v5
	s_mov_b32 s4, -1
	s_cbranch_vccnz .LBB289_1043
; %bb.1023:
	v_cmp_gt_i16_e32 vcc_lo, 8, v5
	s_cbranch_vccnz .LBB289_1033
; %bb.1024:
	v_cmp_gt_i16_e32 vcc_lo, 9, v5
	s_cbranch_vccnz .LBB289_1030
; %bb.1025:
	v_cmp_lt_i16_e32 vcc_lo, 9, v5
	s_cbranch_vccz .LBB289_1027
; %bb.1026:
	s_waitcnt vmcnt(0)
	v_bfe_i32 v0, v4, 0, 8
	v_mov_b32_e32 v8, 0
	s_mov_b32 s4, 0
	s_delay_alu instid0(VALU_DEP_2) | instskip(NEXT) | instid1(VALU_DEP_2)
	v_bfe_i32 v0, v0, 0, 16
	v_mov_b32_e32 v9, v8
	s_delay_alu instid0(VALU_DEP_2)
	v_cvt_f64_i32_e32 v[6:7], v0
	global_store_b128 v[1:2], v[6:9], off
.LBB289_1027:
	s_and_not1_b32 vcc_lo, exec_lo, s4
	s_cbranch_vccnz .LBB289_1029
; %bb.1028:
	s_waitcnt vmcnt(0)
	v_bfe_i32 v0, v4, 0, 8
	v_mov_b32_e32 v7, 0
	s_delay_alu instid0(VALU_DEP_2) | instskip(NEXT) | instid1(VALU_DEP_1)
	v_bfe_i32 v0, v0, 0, 16
	v_cvt_f32_i32_e32 v6, v0
	global_store_b64 v[1:2], v[6:7], off
.LBB289_1029:
	s_mov_b32 s4, 0
.LBB289_1030:
	s_delay_alu instid0(SALU_CYCLE_1)
	s_and_not1_b32 vcc_lo, exec_lo, s4
	s_cbranch_vccnz .LBB289_1032
; %bb.1031:
	s_waitcnt vmcnt(0)
	v_bfe_i32 v0, v4, 0, 8
	s_delay_alu instid0(VALU_DEP_1) | instskip(NEXT) | instid1(VALU_DEP_1)
	v_cvt_f16_i16_e32 v0, v0
	v_and_b32_e32 v0, 0xffff, v0
	global_store_b32 v[1:2], v0, off
.LBB289_1032:
	s_mov_b32 s4, 0
.LBB289_1033:
	s_delay_alu instid0(SALU_CYCLE_1)
	s_and_not1_b32 vcc_lo, exec_lo, s4
	s_cbranch_vccnz .LBB289_1042
; %bb.1034:
	v_cmp_gt_i16_e32 vcc_lo, 6, v5
	s_mov_b32 s4, -1
	s_cbranch_vccnz .LBB289_1040
; %bb.1035:
	v_cmp_lt_i16_e32 vcc_lo, 6, v5
	s_cbranch_vccz .LBB289_1037
; %bb.1036:
	s_waitcnt vmcnt(0)
	v_bfe_i32 v0, v4, 0, 8
	s_mov_b32 s4, 0
	s_delay_alu instid0(VALU_DEP_1) | instskip(NEXT) | instid1(VALU_DEP_1)
	v_bfe_i32 v0, v0, 0, 16
	v_cvt_f64_i32_e32 v[6:7], v0
	global_store_b64 v[1:2], v[6:7], off
.LBB289_1037:
	s_and_not1_b32 vcc_lo, exec_lo, s4
	s_cbranch_vccnz .LBB289_1039
; %bb.1038:
	s_waitcnt vmcnt(0)
	v_bfe_i32 v0, v4, 0, 8
	s_delay_alu instid0(VALU_DEP_1) | instskip(NEXT) | instid1(VALU_DEP_1)
	v_bfe_i32 v0, v0, 0, 16
	v_cvt_f32_i32_e32 v0, v0
	global_store_b32 v[1:2], v0, off
.LBB289_1039:
	s_mov_b32 s4, 0
.LBB289_1040:
	s_delay_alu instid0(SALU_CYCLE_1)
	s_and_not1_b32 vcc_lo, exec_lo, s4
	s_cbranch_vccnz .LBB289_1042
; %bb.1041:
	s_waitcnt vmcnt(0)
	v_bfe_i32 v0, v4, 0, 8
	s_delay_alu instid0(VALU_DEP_1)
	v_cvt_f16_i16_e32 v0, v0
	global_store_b16 v[1:2], v0, off
.LBB289_1042:
	s_mov_b32 s4, 0
.LBB289_1043:
	s_delay_alu instid0(SALU_CYCLE_1)
	s_and_not1_b32 vcc_lo, exec_lo, s4
	s_cbranch_vccnz .LBB289_1059
; %bb.1044:
	v_cmp_gt_i16_e32 vcc_lo, 2, v5
	s_mov_b32 s4, -1
	s_cbranch_vccnz .LBB289_1054
; %bb.1045:
	v_cmp_gt_i16_e32 vcc_lo, 3, v5
	s_cbranch_vccnz .LBB289_1051
; %bb.1046:
	v_cmp_lt_i16_e32 vcc_lo, 3, v5
	s_cbranch_vccz .LBB289_1048
; %bb.1047:
	s_waitcnt vmcnt(0)
	v_bfe_i32 v6, v4, 0, 8
	s_mov_b32 s4, 0
	s_delay_alu instid0(VALU_DEP_1)
	v_ashrrev_i32_e32 v7, 31, v6
	global_store_b64 v[1:2], v[6:7], off
.LBB289_1048:
	s_and_not1_b32 vcc_lo, exec_lo, s4
	s_cbranch_vccnz .LBB289_1050
; %bb.1049:
	s_waitcnt vmcnt(0)
	v_bfe_i32 v0, v4, 0, 8
	global_store_b32 v[1:2], v0, off
.LBB289_1050:
	s_mov_b32 s4, 0
.LBB289_1051:
	s_delay_alu instid0(SALU_CYCLE_1)
	s_and_not1_b32 vcc_lo, exec_lo, s4
	s_cbranch_vccnz .LBB289_1053
; %bb.1052:
	s_waitcnt vmcnt(0)
	v_bfe_i32 v0, v4, 0, 8
	global_store_b16 v[1:2], v0, off
.LBB289_1053:
	s_mov_b32 s4, 0
.LBB289_1054:
	s_delay_alu instid0(SALU_CYCLE_1)
	s_and_not1_b32 vcc_lo, exec_lo, s4
	s_cbranch_vccnz .LBB289_1059
; %bb.1055:
	v_cmp_lt_i16_e32 vcc_lo, 0, v5
	s_mov_b32 s4, -1
	s_cbranch_vccz .LBB289_1057
; %bb.1056:
	s_mov_b32 s4, 0
	s_waitcnt vmcnt(0)
	global_store_b8 v[1:2], v4, off
.LBB289_1057:
	s_and_not1_b32 vcc_lo, exec_lo, s4
	s_cbranch_vccnz .LBB289_1059
; %bb.1058:
	s_waitcnt vmcnt(0)
	global_store_b8 v[1:2], v4, off
.LBB289_1059:
	s_or_b32 exec_lo, exec_lo, s2
	s_delay_alu instid0(SALU_CYCLE_1)
	s_and_b32 s8, s3, exec_lo
                                        ; implicit-def: $vgpr8
                                        ; implicit-def: $vgpr5
.LBB289_1060:
	s_or_saveexec_b32 s9, s28
	s_mov_b32 s2, 0
                                        ; implicit-def: $vgpr0_vgpr1
                                        ; implicit-def: $vgpr11
                                        ; implicit-def: $vgpr2
	s_xor_b32 exec_lo, exec_lo, s9
	s_cbranch_execz .LBB289_2059
; %bb.1061:
	v_cndmask_b32_e64 v0, 0, 1, s27
	s_and_not1_b32 vcc_lo, exec_lo, s27
	s_cbranch_vccnz .LBB289_1067
; %bb.1062:
	s_waitcnt vmcnt(0)
	v_mov_b32_e32 v3, 0
	v_mov_b32_e32 v7, 0
	s_cmp_lg_u32 s24, 0
	s_mov_b32 s6, 0
	s_cbranch_scc0 .LBB289_1071
; %bb.1063:
	s_min_u32 s7, s25, 15
	v_mov_b32_e32 v3, 0
	s_add_i32 s7, s7, 1
	s_cmp_eq_u32 s25, 2
	s_mov_b32 s10, 0
	s_cbranch_scc1 .LBB289_1068
; %bb.1064:
	v_mov_b32_e32 v7, 0
	v_mov_b32_e32 v3, 0
	;; [unrolled: 1-line block ×3, first 2 shown]
	s_add_u32 s2, s16, 0xc4
	s_addc_u32 s3, s17, 0
	s_and_b32 s10, s7, 28
	s_mov_b32 s11, 0
	s_mov_b64 s[4:5], s[16:17]
.LBB289_1065:                           ; =>This Inner Loop Header: Depth=1
	s_clause 0x1
	s_load_b256 s[36:43], s[4:5], 0x4
	s_load_b128 s[12:15], s[4:5], 0x24
	s_load_b256 s[44:51], s[2:3], 0x0
	s_add_u32 s4, s4, 48
	s_addc_u32 s5, s5, 0
	s_add_i32 s11, s11, 4
	s_add_u32 s2, s2, 32
	s_addc_u32 s3, s3, 0
	s_cmp_lg_u32 s10, s11
	s_waitcnt lgkmcnt(0)
	v_mul_hi_u32 v2, s37, v1
	s_delay_alu instid0(VALU_DEP_1) | instskip(NEXT) | instid1(VALU_DEP_1)
	v_add_nc_u32_e32 v2, v1, v2
	v_lshrrev_b32_e32 v2, s38, v2
	s_delay_alu instid0(VALU_DEP_1) | instskip(SKIP_1) | instid1(VALU_DEP_2)
	v_mul_hi_u32 v4, s40, v2
	v_mul_lo_u32 v9, v2, s36
	v_add_nc_u32_e32 v4, v2, v4
	s_delay_alu instid0(VALU_DEP_2) | instskip(NEXT) | instid1(VALU_DEP_2)
	v_sub_nc_u32_e32 v1, v1, v9
	v_lshrrev_b32_e32 v4, s41, v4
	s_delay_alu instid0(VALU_DEP_2) | instskip(SKIP_1) | instid1(VALU_DEP_3)
	v_mul_lo_u32 v9, v1, s44
	v_mul_lo_u32 v11, v1, s45
	v_mul_hi_u32 v6, s43, v4
	s_delay_alu instid0(VALU_DEP_1) | instskip(NEXT) | instid1(VALU_DEP_1)
	v_add_nc_u32_e32 v6, v4, v6
	v_lshrrev_b32_e32 v6, s12, v6
	s_delay_alu instid0(VALU_DEP_1) | instskip(SKIP_1) | instid1(VALU_DEP_2)
	v_mul_hi_u32 v10, s14, v6
	v_mul_lo_u32 v12, v6, s42
	v_add_nc_u32_e32 v1, v6, v10
	v_mul_lo_u32 v10, v4, s39
	s_delay_alu instid0(VALU_DEP_3) | instskip(NEXT) | instid1(VALU_DEP_3)
	v_sub_nc_u32_e32 v4, v4, v12
	v_lshrrev_b32_e32 v1, s15, v1
	s_delay_alu instid0(VALU_DEP_2) | instskip(SKIP_2) | instid1(VALU_DEP_4)
	v_mul_lo_u32 v12, v4, s48
	v_mul_lo_u32 v4, v4, s49
	v_sub_nc_u32_e32 v2, v2, v10
	v_mul_lo_u32 v13, v1, s13
	s_delay_alu instid0(VALU_DEP_2) | instskip(SKIP_1) | instid1(VALU_DEP_3)
	v_mul_lo_u32 v10, v2, s46
	v_mul_lo_u32 v2, v2, s47
	v_sub_nc_u32_e32 v6, v6, v13
	s_delay_alu instid0(VALU_DEP_3) | instskip(NEXT) | instid1(VALU_DEP_2)
	v_add3_u32 v3, v9, v3, v10
	v_mul_lo_u32 v13, v6, s50
	v_mul_lo_u32 v6, v6, s51
	v_add3_u32 v2, v11, v7, v2
	s_delay_alu instid0(VALU_DEP_3) | instskip(NEXT) | instid1(VALU_DEP_2)
	v_add3_u32 v3, v12, v3, v13
	v_add3_u32 v7, v4, v2, v6
	s_cbranch_scc1 .LBB289_1065
; %bb.1066:
	s_and_b32 s7, s7, 3
	s_delay_alu instid0(SALU_CYCLE_1)
	s_cmp_eq_u32 s7, 0
	s_cbranch_scc0 .LBB289_1069
	s_branch .LBB289_1071
.LBB289_1067:
	s_mov_b32 s6, -1
                                        ; implicit-def: $vgpr3
                                        ; implicit-def: $vgpr7
	s_branch .LBB289_1071
.LBB289_1068:
	v_mov_b32_e32 v1, v5
	v_mov_b32_e32 v7, 0
	s_and_b32 s7, s7, 3
	s_delay_alu instid0(SALU_CYCLE_1)
	s_cmp_eq_u32 s7, 0
	s_cbranch_scc1 .LBB289_1071
.LBB289_1069:
	s_lshl_b32 s2, s10, 3
	s_mul_i32 s4, s10, 12
	s_add_u32 s2, s2, s16
	s_addc_u32 s3, 0, s17
	s_add_u32 s2, s2, 0xc4
	s_addc_u32 s3, s3, 0
	;; [unrolled: 2-line block ×3, first 2 shown]
	.p2align	6
.LBB289_1070:                           ; =>This Inner Loop Header: Depth=1
	s_clause 0x1
	s_load_b64 s[10:11], s[4:5], 0x4
	s_load_b32 s14, s[4:5], 0xc
	s_load_b64 s[12:13], s[2:3], 0x0
	s_add_u32 s4, s4, 12
	s_addc_u32 s5, s5, 0
	s_add_u32 s2, s2, 8
	s_addc_u32 s3, s3, 0
	s_add_i32 s7, s7, -1
	s_delay_alu instid0(SALU_CYCLE_1) | instskip(SKIP_2) | instid1(VALU_DEP_1)
	s_cmp_lg_u32 s7, 0
	s_waitcnt lgkmcnt(0)
	v_mul_hi_u32 v2, s11, v1
	v_add_nc_u32_e32 v2, v1, v2
	s_delay_alu instid0(VALU_DEP_1) | instskip(NEXT) | instid1(VALU_DEP_1)
	v_lshrrev_b32_e32 v4, s14, v2
	v_mul_lo_u32 v2, v4, s10
	s_delay_alu instid0(VALU_DEP_1) | instskip(NEXT) | instid1(VALU_DEP_1)
	v_sub_nc_u32_e32 v1, v1, v2
	v_mad_u64_u32 v[9:10], null, v1, s12, v[3:4]
	v_mad_u64_u32 v[2:3], null, v1, s13, v[7:8]
	v_mov_b32_e32 v1, v4
	s_delay_alu instid0(VALU_DEP_3) | instskip(NEXT) | instid1(VALU_DEP_3)
	v_mov_b32_e32 v3, v9
	v_mov_b32_e32 v7, v2
	s_cbranch_scc1 .LBB289_1070
.LBB289_1071:
	s_and_not1_b32 vcc_lo, exec_lo, s6
	s_cbranch_vccnz .LBB289_1074
; %bb.1072:
	s_clause 0x1
	s_load_b128 s[4:7], s[16:17], 0x4
	s_load_b64 s[2:3], s[16:17], 0xc4
	s_cmp_lt_u32 s24, 2
	s_waitcnt lgkmcnt(0)
	v_mul_hi_u32 v1, s5, v5
	s_delay_alu instid0(VALU_DEP_1) | instskip(NEXT) | instid1(VALU_DEP_1)
	v_add_nc_u32_e32 v1, v5, v1
	v_lshrrev_b32_e32 v1, s6, v1
	s_delay_alu instid0(VALU_DEP_1) | instskip(NEXT) | instid1(VALU_DEP_1)
	v_mul_lo_u32 v2, v1, s4
	v_sub_nc_u32_e32 v2, v5, v2
	s_waitcnt vmcnt(0)
	s_delay_alu instid0(VALU_DEP_1)
	v_mul_lo_u32 v3, v2, s2
	v_mul_lo_u32 v7, v2, s3
	s_cbranch_scc1 .LBB289_1074
; %bb.1073:
	s_clause 0x1
	s_load_b128 s[4:7], s[16:17], 0x10
	s_load_b64 s[2:3], s[16:17], 0xcc
	s_waitcnt lgkmcnt(0)
	v_mul_hi_u32 v2, s5, v1
	s_delay_alu instid0(VALU_DEP_1) | instskip(NEXT) | instid1(VALU_DEP_1)
	v_add_nc_u32_e32 v2, v1, v2
	v_lshrrev_b32_e32 v2, s6, v2
	s_delay_alu instid0(VALU_DEP_1) | instskip(NEXT) | instid1(VALU_DEP_1)
	v_mul_lo_u32 v2, v2, s4
	v_sub_nc_u32_e32 v4, v1, v2
	s_delay_alu instid0(VALU_DEP_1) | instskip(SKIP_1) | instid1(VALU_DEP_2)
	v_mad_u64_u32 v[1:2], null, v4, s2, v[3:4]
	v_mad_u64_u32 v[2:3], null, v4, s3, v[7:8]
	v_mov_b32_e32 v3, v1
	s_delay_alu instid0(VALU_DEP_2)
	v_mov_b32_e32 v7, v2
.LBB289_1074:
	v_cmp_ne_u32_e32 vcc_lo, 1, v0
	v_add_nc_u32_e32 v1, 0x80, v5
	s_cbranch_vccnz .LBB289_1080
; %bb.1075:
	v_mov_b32_e32 v2, 0
	v_mov_b32_e32 v6, 0
	s_cmp_lg_u32 s24, 0
	s_mov_b32 s6, 0
	s_cbranch_scc0 .LBB289_1084
; %bb.1076:
	s_min_u32 s7, s25, 15
	v_mov_b32_e32 v2, 0
	s_add_i32 s7, s7, 1
	s_cmp_eq_u32 s25, 2
	s_mov_b32 s10, 0
	s_cbranch_scc1 .LBB289_1081
; %bb.1077:
	v_mov_b32_e32 v6, 0
	v_mov_b32_e32 v2, 0
	s_waitcnt vmcnt(0)
	v_mov_b32_e32 v4, v1
	s_add_u32 s2, s16, 0xc4
	s_addc_u32 s3, s17, 0
	s_and_b32 s10, s7, 28
	s_mov_b32 s11, 0
	s_mov_b64 s[4:5], s[16:17]
.LBB289_1078:                           ; =>This Inner Loop Header: Depth=1
	s_clause 0x1
	s_load_b256 s[36:43], s[4:5], 0x4
	s_load_b128 s[12:15], s[4:5], 0x24
	s_load_b256 s[44:51], s[2:3], 0x0
	s_add_u32 s4, s4, 48
	s_addc_u32 s5, s5, 0
	s_add_i32 s11, s11, 4
	s_add_u32 s2, s2, 32
	s_addc_u32 s3, s3, 0
	s_cmp_lg_u32 s10, s11
	s_waitcnt lgkmcnt(0)
	v_mul_hi_u32 v9, s37, v4
	s_delay_alu instid0(VALU_DEP_1) | instskip(NEXT) | instid1(VALU_DEP_1)
	v_add_nc_u32_e32 v9, v4, v9
	v_lshrrev_b32_e32 v9, s38, v9
	s_delay_alu instid0(VALU_DEP_1) | instskip(SKIP_1) | instid1(VALU_DEP_2)
	v_mul_hi_u32 v10, s40, v9
	v_mul_lo_u32 v12, v9, s36
	v_add_nc_u32_e32 v10, v9, v10
	s_delay_alu instid0(VALU_DEP_2) | instskip(NEXT) | instid1(VALU_DEP_2)
	v_sub_nc_u32_e32 v4, v4, v12
	v_lshrrev_b32_e32 v10, s41, v10
	s_delay_alu instid0(VALU_DEP_2) | instskip(SKIP_1) | instid1(VALU_DEP_3)
	v_mul_lo_u32 v12, v4, s44
	v_mul_lo_u32 v14, v4, s45
	v_mul_hi_u32 v11, s43, v10
	s_delay_alu instid0(VALU_DEP_1) | instskip(NEXT) | instid1(VALU_DEP_1)
	v_add_nc_u32_e32 v11, v10, v11
	v_lshrrev_b32_e32 v11, s12, v11
	s_delay_alu instid0(VALU_DEP_1) | instskip(SKIP_1) | instid1(VALU_DEP_2)
	v_mul_hi_u32 v13, s14, v11
	v_mul_lo_u32 v15, v11, s42
	v_add_nc_u32_e32 v4, v11, v13
	v_mul_lo_u32 v13, v10, s39
	s_delay_alu instid0(VALU_DEP_3) | instskip(NEXT) | instid1(VALU_DEP_3)
	v_sub_nc_u32_e32 v10, v10, v15
	v_lshrrev_b32_e32 v4, s15, v4
	s_delay_alu instid0(VALU_DEP_2) | instskip(SKIP_2) | instid1(VALU_DEP_4)
	v_mul_lo_u32 v15, v10, s48
	v_mul_lo_u32 v10, v10, s49
	v_sub_nc_u32_e32 v9, v9, v13
	v_mul_lo_u32 v16, v4, s13
	s_delay_alu instid0(VALU_DEP_2) | instskip(SKIP_1) | instid1(VALU_DEP_3)
	v_mul_lo_u32 v13, v9, s46
	v_mul_lo_u32 v9, v9, s47
	v_sub_nc_u32_e32 v11, v11, v16
	s_delay_alu instid0(VALU_DEP_3) | instskip(NEXT) | instid1(VALU_DEP_2)
	v_add3_u32 v2, v12, v2, v13
	v_mul_lo_u32 v16, v11, s50
	v_mul_lo_u32 v11, v11, s51
	v_add3_u32 v6, v14, v6, v9
	s_delay_alu instid0(VALU_DEP_3) | instskip(NEXT) | instid1(VALU_DEP_2)
	v_add3_u32 v2, v15, v2, v16
	v_add3_u32 v6, v10, v6, v11
	s_cbranch_scc1 .LBB289_1078
; %bb.1079:
	s_and_b32 s7, s7, 3
	s_delay_alu instid0(SALU_CYCLE_1)
	s_cmp_eq_u32 s7, 0
	s_cbranch_scc0 .LBB289_1082
	s_branch .LBB289_1084
.LBB289_1080:
	s_mov_b32 s6, -1
                                        ; implicit-def: $vgpr2
                                        ; implicit-def: $vgpr6
	s_branch .LBB289_1084
.LBB289_1081:
	s_waitcnt vmcnt(0)
	v_mov_b32_e32 v4, v1
	v_mov_b32_e32 v6, 0
	s_and_b32 s7, s7, 3
	s_delay_alu instid0(SALU_CYCLE_1)
	s_cmp_eq_u32 s7, 0
	s_cbranch_scc1 .LBB289_1084
.LBB289_1082:
	s_lshl_b32 s2, s10, 3
	s_mul_i32 s4, s10, 12
	s_add_u32 s2, s2, s16
	s_addc_u32 s3, 0, s17
	s_add_u32 s2, s2, 0xc4
	s_addc_u32 s3, s3, 0
	;; [unrolled: 2-line block ×3, first 2 shown]
	.p2align	6
.LBB289_1083:                           ; =>This Inner Loop Header: Depth=1
	s_clause 0x1
	s_load_b64 s[10:11], s[4:5], 0x4
	s_load_b32 s14, s[4:5], 0xc
	s_load_b64 s[12:13], s[2:3], 0x0
	s_add_u32 s4, s4, 12
	s_addc_u32 s5, s5, 0
	s_add_u32 s2, s2, 8
	s_addc_u32 s3, s3, 0
	s_add_i32 s7, s7, -1
	s_delay_alu instid0(SALU_CYCLE_1) | instskip(SKIP_2) | instid1(VALU_DEP_1)
	s_cmp_lg_u32 s7, 0
	s_waitcnt lgkmcnt(0)
	v_mul_hi_u32 v9, s11, v4
	v_add_nc_u32_e32 v9, v4, v9
	s_delay_alu instid0(VALU_DEP_1) | instskip(NEXT) | instid1(VALU_DEP_1)
	v_lshrrev_b32_e32 v12, s14, v9
	v_mul_lo_u32 v9, v12, s10
	s_delay_alu instid0(VALU_DEP_1) | instskip(NEXT) | instid1(VALU_DEP_1)
	v_sub_nc_u32_e32 v4, v4, v9
	v_mad_u64_u32 v[9:10], null, v4, s12, v[2:3]
	v_mad_u64_u32 v[10:11], null, v4, s13, v[6:7]
	v_mov_b32_e32 v4, v12
	s_delay_alu instid0(VALU_DEP_3) | instskip(NEXT) | instid1(VALU_DEP_3)
	v_mov_b32_e32 v2, v9
	v_mov_b32_e32 v6, v10
	s_cbranch_scc1 .LBB289_1083
.LBB289_1084:
	s_and_not1_b32 vcc_lo, exec_lo, s6
	s_cbranch_vccnz .LBB289_1087
; %bb.1085:
	s_clause 0x1
	s_load_b128 s[4:7], s[16:17], 0x4
	s_load_b64 s[2:3], s[16:17], 0xc4
	s_cmp_lt_u32 s24, 2
	s_waitcnt lgkmcnt(0)
	v_mul_hi_u32 v2, s5, v1
	s_delay_alu instid0(VALU_DEP_1) | instskip(SKIP_1) | instid1(VALU_DEP_1)
	v_add_nc_u32_e32 v2, v1, v2
	s_waitcnt vmcnt(0)
	v_lshrrev_b32_e32 v4, s6, v2
	s_delay_alu instid0(VALU_DEP_1) | instskip(NEXT) | instid1(VALU_DEP_1)
	v_mul_lo_u32 v2, v4, s4
	v_sub_nc_u32_e32 v1, v1, v2
	s_delay_alu instid0(VALU_DEP_1)
	v_mul_lo_u32 v2, v1, s2
	v_mul_lo_u32 v6, v1, s3
	s_cbranch_scc1 .LBB289_1087
; %bb.1086:
	s_clause 0x1
	s_load_b128 s[4:7], s[16:17], 0x10
	s_load_b64 s[2:3], s[16:17], 0xcc
	s_waitcnt lgkmcnt(0)
	v_mul_hi_u32 v1, s5, v4
	s_delay_alu instid0(VALU_DEP_1) | instskip(NEXT) | instid1(VALU_DEP_1)
	v_add_nc_u32_e32 v1, v4, v1
	v_lshrrev_b32_e32 v1, s6, v1
	s_delay_alu instid0(VALU_DEP_1) | instskip(NEXT) | instid1(VALU_DEP_1)
	v_mul_lo_u32 v1, v1, s4
	v_sub_nc_u32_e32 v4, v4, v1
	s_delay_alu instid0(VALU_DEP_1) | instskip(SKIP_1) | instid1(VALU_DEP_2)
	v_mad_u64_u32 v[9:10], null, v4, s2, v[2:3]
	v_mad_u64_u32 v[1:2], null, v4, s3, v[6:7]
	v_mov_b32_e32 v2, v9
	s_delay_alu instid0(VALU_DEP_2)
	v_mov_b32_e32 v6, v1
.LBB289_1087:
	v_cmp_ne_u32_e32 vcc_lo, 1, v0
	s_waitcnt vmcnt(0)
	v_add_nc_u32_e32 v4, 0x100, v5
	s_cbranch_vccnz .LBB289_1093
; %bb.1088:
	v_mov_b32_e32 v1, 0
	v_mov_b32_e32 v5, 0
	s_cmp_lg_u32 s24, 0
	s_mov_b32 s6, 0
	s_cbranch_scc0 .LBB289_1097
; %bb.1089:
	s_min_u32 s7, s25, 15
	v_mov_b32_e32 v1, 0
	s_add_i32 s7, s7, 1
	s_cmp_eq_u32 s25, 2
	s_mov_b32 s10, 0
	s_cbranch_scc1 .LBB289_1094
; %bb.1090:
	v_mov_b32_e32 v5, 0
	v_mov_b32_e32 v1, 0
	;; [unrolled: 1-line block ×3, first 2 shown]
	s_add_u32 s2, s16, 0xc4
	s_addc_u32 s3, s17, 0
	s_and_b32 s10, s7, 28
	s_mov_b32 s11, 0
	s_mov_b64 s[4:5], s[16:17]
.LBB289_1091:                           ; =>This Inner Loop Header: Depth=1
	s_clause 0x1
	s_load_b256 s[36:43], s[4:5], 0x4
	s_load_b128 s[12:15], s[4:5], 0x24
	s_load_b256 s[44:51], s[2:3], 0x0
	s_add_u32 s4, s4, 48
	s_addc_u32 s5, s5, 0
	s_add_i32 s11, s11, 4
	s_add_u32 s2, s2, 32
	s_addc_u32 s3, s3, 0
	s_cmp_lg_u32 s10, s11
	s_waitcnt lgkmcnt(0)
	v_mul_hi_u32 v10, s37, v9
	s_delay_alu instid0(VALU_DEP_1) | instskip(NEXT) | instid1(VALU_DEP_1)
	v_add_nc_u32_e32 v10, v9, v10
	v_lshrrev_b32_e32 v10, s38, v10
	s_delay_alu instid0(VALU_DEP_1) | instskip(SKIP_1) | instid1(VALU_DEP_2)
	v_mul_hi_u32 v11, s40, v10
	v_mul_lo_u32 v13, v10, s36
	v_add_nc_u32_e32 v11, v10, v11
	s_delay_alu instid0(VALU_DEP_2) | instskip(NEXT) | instid1(VALU_DEP_2)
	v_sub_nc_u32_e32 v9, v9, v13
	v_lshrrev_b32_e32 v11, s41, v11
	s_delay_alu instid0(VALU_DEP_2) | instskip(SKIP_1) | instid1(VALU_DEP_3)
	v_mul_lo_u32 v13, v9, s44
	v_mul_lo_u32 v15, v9, s45
	v_mul_hi_u32 v12, s43, v11
	s_delay_alu instid0(VALU_DEP_1) | instskip(NEXT) | instid1(VALU_DEP_1)
	v_add_nc_u32_e32 v12, v11, v12
	v_lshrrev_b32_e32 v12, s12, v12
	s_delay_alu instid0(VALU_DEP_1) | instskip(SKIP_1) | instid1(VALU_DEP_2)
	v_mul_hi_u32 v14, s14, v12
	v_mul_lo_u32 v16, v12, s42
	v_add_nc_u32_e32 v9, v12, v14
	v_mul_lo_u32 v14, v11, s39
	s_delay_alu instid0(VALU_DEP_3) | instskip(NEXT) | instid1(VALU_DEP_3)
	v_sub_nc_u32_e32 v11, v11, v16
	v_lshrrev_b32_e32 v9, s15, v9
	s_delay_alu instid0(VALU_DEP_2) | instskip(SKIP_2) | instid1(VALU_DEP_4)
	v_mul_lo_u32 v16, v11, s48
	v_mul_lo_u32 v11, v11, s49
	v_sub_nc_u32_e32 v10, v10, v14
	v_mul_lo_u32 v17, v9, s13
	s_delay_alu instid0(VALU_DEP_2) | instskip(SKIP_1) | instid1(VALU_DEP_3)
	v_mul_lo_u32 v14, v10, s46
	v_mul_lo_u32 v10, v10, s47
	v_sub_nc_u32_e32 v12, v12, v17
	s_delay_alu instid0(VALU_DEP_3) | instskip(NEXT) | instid1(VALU_DEP_2)
	v_add3_u32 v1, v13, v1, v14
	v_mul_lo_u32 v17, v12, s50
	v_mul_lo_u32 v12, v12, s51
	v_add3_u32 v5, v15, v5, v10
	s_delay_alu instid0(VALU_DEP_3) | instskip(NEXT) | instid1(VALU_DEP_2)
	v_add3_u32 v1, v16, v1, v17
	v_add3_u32 v5, v11, v5, v12
	s_cbranch_scc1 .LBB289_1091
; %bb.1092:
	s_and_b32 s7, s7, 3
	s_delay_alu instid0(SALU_CYCLE_1)
	s_cmp_eq_u32 s7, 0
	s_cbranch_scc0 .LBB289_1095
	s_branch .LBB289_1097
.LBB289_1093:
	s_mov_b32 s6, -1
                                        ; implicit-def: $vgpr1
                                        ; implicit-def: $vgpr5
	s_branch .LBB289_1097
.LBB289_1094:
	v_mov_b32_e32 v9, v4
	v_mov_b32_e32 v5, 0
	s_and_b32 s7, s7, 3
	s_delay_alu instid0(SALU_CYCLE_1)
	s_cmp_eq_u32 s7, 0
	s_cbranch_scc1 .LBB289_1097
.LBB289_1095:
	s_lshl_b32 s2, s10, 3
	s_mul_i32 s4, s10, 12
	s_add_u32 s2, s2, s16
	s_addc_u32 s3, 0, s17
	s_add_u32 s2, s2, 0xc4
	s_addc_u32 s3, s3, 0
	s_add_u32 s4, s16, s4
	s_addc_u32 s5, 0, s17
	.p2align	6
.LBB289_1096:                           ; =>This Inner Loop Header: Depth=1
	s_clause 0x1
	s_load_b64 s[10:11], s[4:5], 0x4
	s_load_b32 s14, s[4:5], 0xc
	s_load_b64 s[12:13], s[2:3], 0x0
	s_add_u32 s4, s4, 12
	s_addc_u32 s5, s5, 0
	s_add_u32 s2, s2, 8
	s_addc_u32 s3, s3, 0
	s_add_i32 s7, s7, -1
	s_delay_alu instid0(SALU_CYCLE_1) | instskip(SKIP_2) | instid1(VALU_DEP_1)
	s_cmp_lg_u32 s7, 0
	s_waitcnt lgkmcnt(0)
	v_mul_hi_u32 v10, s11, v9
	v_add_nc_u32_e32 v10, v9, v10
	s_delay_alu instid0(VALU_DEP_1) | instskip(NEXT) | instid1(VALU_DEP_1)
	v_lshrrev_b32_e32 v13, s14, v10
	v_mul_lo_u32 v10, v13, s10
	s_delay_alu instid0(VALU_DEP_1) | instskip(NEXT) | instid1(VALU_DEP_1)
	v_sub_nc_u32_e32 v9, v9, v10
	v_mad_u64_u32 v[10:11], null, v9, s12, v[1:2]
	v_mad_u64_u32 v[11:12], null, v9, s13, v[5:6]
	v_mov_b32_e32 v9, v13
	s_delay_alu instid0(VALU_DEP_3) | instskip(NEXT) | instid1(VALU_DEP_3)
	v_mov_b32_e32 v1, v10
	v_mov_b32_e32 v5, v11
	s_cbranch_scc1 .LBB289_1096
.LBB289_1097:
	s_and_not1_b32 vcc_lo, exec_lo, s6
	s_cbranch_vccnz .LBB289_1100
; %bb.1098:
	s_clause 0x1
	s_load_b128 s[4:7], s[16:17], 0x4
	s_load_b64 s[2:3], s[16:17], 0xc4
	s_cmp_lt_u32 s24, 2
	s_waitcnt lgkmcnt(0)
	v_mul_hi_u32 v1, s5, v4
	s_delay_alu instid0(VALU_DEP_1) | instskip(NEXT) | instid1(VALU_DEP_1)
	v_add_nc_u32_e32 v1, v4, v1
	v_lshrrev_b32_e32 v9, s6, v1
	s_delay_alu instid0(VALU_DEP_1) | instskip(NEXT) | instid1(VALU_DEP_1)
	v_mul_lo_u32 v1, v9, s4
	v_sub_nc_u32_e32 v4, v4, v1
	s_delay_alu instid0(VALU_DEP_1)
	v_mul_lo_u32 v1, v4, s2
	v_mul_lo_u32 v5, v4, s3
	s_cbranch_scc1 .LBB289_1100
; %bb.1099:
	s_clause 0x1
	s_load_b128 s[4:7], s[16:17], 0x10
	s_load_b64 s[2:3], s[16:17], 0xcc
	s_waitcnt lgkmcnt(0)
	v_mul_hi_u32 v4, s5, v9
	s_delay_alu instid0(VALU_DEP_1) | instskip(NEXT) | instid1(VALU_DEP_1)
	v_add_nc_u32_e32 v4, v9, v4
	v_lshrrev_b32_e32 v4, s6, v4
	s_delay_alu instid0(VALU_DEP_1) | instskip(NEXT) | instid1(VALU_DEP_1)
	v_mul_lo_u32 v4, v4, s4
	v_sub_nc_u32_e32 v4, v9, v4
	s_delay_alu instid0(VALU_DEP_1) | instskip(SKIP_1) | instid1(VALU_DEP_2)
	v_mad_u64_u32 v[9:10], null, v4, s2, v[1:2]
	v_mad_u64_u32 v[10:11], null, v4, s3, v[5:6]
	v_mov_b32_e32 v1, v9
	s_delay_alu instid0(VALU_DEP_2)
	v_mov_b32_e32 v5, v10
.LBB289_1100:
	v_cmp_ne_u32_e32 vcc_lo, 1, v0
	s_cbranch_vccnz .LBB289_1106
; %bb.1101:
	v_mov_b32_e32 v0, 0
	v_mov_b32_e32 v4, 0
	s_cmp_lg_u32 s24, 0
	s_mov_b32 s6, 0
	s_cbranch_scc0 .LBB289_1110
; %bb.1102:
	s_min_u32 s7, s25, 15
	v_mov_b32_e32 v0, 0
	s_add_i32 s7, s7, 1
	s_cmp_eq_u32 s25, 2
	s_mov_b32 s10, 0
	s_cbranch_scc1 .LBB289_1107
; %bb.1103:
	v_dual_mov_b32 v4, 0 :: v_dual_mov_b32 v9, v8
	v_mov_b32_e32 v0, 0
	s_add_u32 s2, s16, 0xc4
	s_addc_u32 s3, s17, 0
	s_and_b32 s10, s7, 28
	s_mov_b32 s11, 0
	s_mov_b64 s[4:5], s[16:17]
.LBB289_1104:                           ; =>This Inner Loop Header: Depth=1
	s_clause 0x1
	s_load_b256 s[36:43], s[4:5], 0x4
	s_load_b128 s[12:15], s[4:5], 0x24
	s_load_b256 s[44:51], s[2:3], 0x0
	s_add_u32 s4, s4, 48
	s_addc_u32 s5, s5, 0
	s_add_i32 s11, s11, 4
	s_add_u32 s2, s2, 32
	s_addc_u32 s3, s3, 0
	s_cmp_lg_u32 s10, s11
	s_waitcnt lgkmcnt(0)
	v_mul_hi_u32 v10, s37, v9
	s_delay_alu instid0(VALU_DEP_1) | instskip(NEXT) | instid1(VALU_DEP_1)
	v_add_nc_u32_e32 v10, v9, v10
	v_lshrrev_b32_e32 v10, s38, v10
	s_delay_alu instid0(VALU_DEP_1) | instskip(SKIP_1) | instid1(VALU_DEP_2)
	v_mul_hi_u32 v11, s40, v10
	v_mul_lo_u32 v13, v10, s36
	v_add_nc_u32_e32 v11, v10, v11
	s_delay_alu instid0(VALU_DEP_2) | instskip(NEXT) | instid1(VALU_DEP_2)
	v_sub_nc_u32_e32 v9, v9, v13
	v_lshrrev_b32_e32 v11, s41, v11
	s_delay_alu instid0(VALU_DEP_2) | instskip(SKIP_1) | instid1(VALU_DEP_3)
	v_mul_lo_u32 v13, v9, s44
	v_mul_lo_u32 v15, v9, s45
	v_mul_hi_u32 v12, s43, v11
	s_delay_alu instid0(VALU_DEP_1) | instskip(NEXT) | instid1(VALU_DEP_1)
	v_add_nc_u32_e32 v12, v11, v12
	v_lshrrev_b32_e32 v12, s12, v12
	s_delay_alu instid0(VALU_DEP_1) | instskip(SKIP_1) | instid1(VALU_DEP_2)
	v_mul_hi_u32 v14, s14, v12
	v_mul_lo_u32 v16, v12, s42
	v_add_nc_u32_e32 v9, v12, v14
	v_mul_lo_u32 v14, v11, s39
	s_delay_alu instid0(VALU_DEP_3) | instskip(NEXT) | instid1(VALU_DEP_3)
	v_sub_nc_u32_e32 v11, v11, v16
	v_lshrrev_b32_e32 v9, s15, v9
	s_delay_alu instid0(VALU_DEP_2) | instskip(SKIP_2) | instid1(VALU_DEP_4)
	v_mul_lo_u32 v16, v11, s48
	v_mul_lo_u32 v11, v11, s49
	v_sub_nc_u32_e32 v10, v10, v14
	v_mul_lo_u32 v17, v9, s13
	s_delay_alu instid0(VALU_DEP_2) | instskip(SKIP_1) | instid1(VALU_DEP_3)
	v_mul_lo_u32 v14, v10, s46
	v_mul_lo_u32 v10, v10, s47
	v_sub_nc_u32_e32 v12, v12, v17
	s_delay_alu instid0(VALU_DEP_3) | instskip(NEXT) | instid1(VALU_DEP_2)
	v_add3_u32 v0, v13, v0, v14
	v_mul_lo_u32 v17, v12, s50
	v_mul_lo_u32 v12, v12, s51
	v_add3_u32 v4, v15, v4, v10
	s_delay_alu instid0(VALU_DEP_3) | instskip(NEXT) | instid1(VALU_DEP_2)
	v_add3_u32 v0, v16, v0, v17
	v_add3_u32 v4, v11, v4, v12
	s_cbranch_scc1 .LBB289_1104
; %bb.1105:
	s_and_b32 s7, s7, 3
	s_delay_alu instid0(SALU_CYCLE_1)
	s_cmp_eq_u32 s7, 0
	s_cbranch_scc0 .LBB289_1108
	s_branch .LBB289_1110
.LBB289_1106:
	s_mov_b32 s6, -1
                                        ; implicit-def: $vgpr0
                                        ; implicit-def: $vgpr4
	s_branch .LBB289_1110
.LBB289_1107:
	v_dual_mov_b32 v9, v8 :: v_dual_mov_b32 v4, 0
	s_and_b32 s7, s7, 3
	s_delay_alu instid0(SALU_CYCLE_1)
	s_cmp_eq_u32 s7, 0
	s_cbranch_scc1 .LBB289_1110
.LBB289_1108:
	s_lshl_b32 s2, s10, 3
	s_mul_i32 s4, s10, 12
	s_add_u32 s2, s2, s16
	s_addc_u32 s3, 0, s17
	s_add_u32 s2, s2, 0xc4
	s_addc_u32 s3, s3, 0
	;; [unrolled: 2-line block ×3, first 2 shown]
	.p2align	6
.LBB289_1109:                           ; =>This Inner Loop Header: Depth=1
	s_clause 0x1
	s_load_b64 s[10:11], s[4:5], 0x4
	s_load_b32 s14, s[4:5], 0xc
	s_load_b64 s[12:13], s[2:3], 0x0
	s_add_u32 s4, s4, 12
	s_addc_u32 s5, s5, 0
	s_add_u32 s2, s2, 8
	s_addc_u32 s3, s3, 0
	s_add_i32 s7, s7, -1
	s_delay_alu instid0(SALU_CYCLE_1) | instskip(SKIP_2) | instid1(VALU_DEP_1)
	s_cmp_lg_u32 s7, 0
	s_waitcnt lgkmcnt(0)
	v_mul_hi_u32 v10, s11, v9
	v_add_nc_u32_e32 v10, v9, v10
	s_delay_alu instid0(VALU_DEP_1) | instskip(NEXT) | instid1(VALU_DEP_1)
	v_lshrrev_b32_e32 v13, s14, v10
	v_mul_lo_u32 v10, v13, s10
	s_delay_alu instid0(VALU_DEP_1) | instskip(NEXT) | instid1(VALU_DEP_1)
	v_sub_nc_u32_e32 v9, v9, v10
	v_mad_u64_u32 v[10:11], null, v9, s12, v[0:1]
	v_mad_u64_u32 v[11:12], null, v9, s13, v[4:5]
	s_delay_alu instid0(VALU_DEP_2) | instskip(NEXT) | instid1(VALU_DEP_2)
	v_dual_mov_b32 v9, v13 :: v_dual_mov_b32 v0, v10
	v_mov_b32_e32 v4, v11
	s_cbranch_scc1 .LBB289_1109
.LBB289_1110:
	s_and_not1_b32 vcc_lo, exec_lo, s6
	s_cbranch_vccnz .LBB289_1113
; %bb.1111:
	s_clause 0x1
	s_load_b128 s[4:7], s[16:17], 0x4
	s_load_b64 s[2:3], s[16:17], 0xc4
	s_cmp_lt_u32 s24, 2
	s_waitcnt lgkmcnt(0)
	v_mul_hi_u32 v0, s5, v8
	s_delay_alu instid0(VALU_DEP_1) | instskip(NEXT) | instid1(VALU_DEP_1)
	v_add_nc_u32_e32 v0, v8, v0
	v_lshrrev_b32_e32 v9, s6, v0
	s_delay_alu instid0(VALU_DEP_1) | instskip(NEXT) | instid1(VALU_DEP_1)
	v_mul_lo_u32 v0, v9, s4
	v_sub_nc_u32_e32 v4, v8, v0
	s_delay_alu instid0(VALU_DEP_1)
	v_mul_lo_u32 v0, v4, s2
	v_mul_lo_u32 v4, v4, s3
	s_cbranch_scc1 .LBB289_1113
; %bb.1112:
	s_clause 0x1
	s_load_b128 s[4:7], s[16:17], 0x10
	s_load_b64 s[2:3], s[16:17], 0xcc
	s_waitcnt lgkmcnt(0)
	v_mul_hi_u32 v8, s5, v9
	s_delay_alu instid0(VALU_DEP_1) | instskip(NEXT) | instid1(VALU_DEP_1)
	v_add_nc_u32_e32 v8, v9, v8
	v_lshrrev_b32_e32 v8, s6, v8
	s_delay_alu instid0(VALU_DEP_1) | instskip(NEXT) | instid1(VALU_DEP_1)
	v_mul_lo_u32 v8, v8, s4
	v_sub_nc_u32_e32 v11, v9, v8
	s_delay_alu instid0(VALU_DEP_1) | instskip(SKIP_1) | instid1(VALU_DEP_2)
	v_mad_u64_u32 v[8:9], null, v11, s2, v[0:1]
	v_mad_u64_u32 v[9:10], null, v11, s3, v[4:5]
	v_mov_b32_e32 v0, v8
	s_delay_alu instid0(VALU_DEP_2)
	v_mov_b32_e32 v4, v9
.LBB289_1113:
	s_clause 0x1
	s_load_b32 s0, s[0:1], 0x160
	s_load_b128 s[4:7], s[16:17], 0x148
	s_mov_b32 s10, 0
	s_waitcnt lgkmcnt(0)
	s_lshr_b32 s2, s0, 24
	v_add_co_u32 v7, s3, s6, v7
	v_cmp_lt_i16_e64 s1, s2, 11
	v_add_co_ci_u32_e64 v8, null, s7, 0, s3
	s_delay_alu instid0(VALU_DEP_2)
	s_and_b32 vcc_lo, exec_lo, s1
	s_cbranch_vccnz .LBB289_1120
; %bb.1114:
	v_cmp_gt_i16_e64 s1, s2, 25
	s_mov_b32 s3, 0
	s_delay_alu instid0(VALU_DEP_1)
	s_and_b32 vcc_lo, exec_lo, s1
	s_cbranch_vccz .LBB289_1126
; %bb.1115:
	v_cmp_gt_i16_e64 s1, s2, 28
	s_delay_alu instid0(VALU_DEP_1)
	s_and_b32 vcc_lo, exec_lo, s1
	s_cbranch_vccz .LBB289_1128
; %bb.1116:
	v_cmp_gt_i16_e64 s1, s2, 43
	;; [unrolled: 5-line block ×3, first 2 shown]
	s_delay_alu instid0(VALU_DEP_1)
	s_and_b32 vcc_lo, exec_lo, s1
	s_cbranch_vccz .LBB289_1134
; %bb.1118:
	v_cmp_eq_u16_e64 s1, s2, 46
	s_mov_b32 s11, 0
	s_delay_alu instid0(VALU_DEP_1)
	s_and_b32 vcc_lo, exec_lo, s1
	s_cbranch_vccz .LBB289_1176
; %bb.1119:
	global_load_b32 v9, v[7:8], off
	s_mov_b32 s1, 0
	s_mov_b32 s10, -1
	s_waitcnt vmcnt(0)
	v_lshlrev_b32_e32 v9, 16, v9
	s_delay_alu instid0(VALU_DEP_1)
	v_cvt_i32_f32_e32 v10, v9
	s_branch .LBB289_1178
.LBB289_1120:
	s_mov_b32 s1, s8
                                        ; implicit-def: $vgpr10
	s_cbranch_execz .LBB289_1236
; %bb.1121:
	v_cmp_lt_i16_e64 s3, s2, 5
	s_delay_alu instid0(VALU_DEP_1)
	s_and_b32 vcc_lo, exec_lo, s3
	s_cbranch_vccnz .LBB289_1127
; %bb.1122:
	v_cmp_lt_i16_e64 s3, s2, 8
	s_delay_alu instid0(VALU_DEP_1)
	s_and_b32 vcc_lo, exec_lo, s3
	s_cbranch_vccnz .LBB289_1129
	;; [unrolled: 5-line block ×3, first 2 shown]
; %bb.1124:
	v_cmp_gt_i16_e64 s3, s2, 9
	s_delay_alu instid0(VALU_DEP_1)
	s_and_b32 vcc_lo, exec_lo, s3
	s_cbranch_vccz .LBB289_1135
; %bb.1125:
	global_load_b64 v[9:10], v[7:8], off
	s_mov_b32 s3, 0
	s_waitcnt vmcnt(0)
	v_cvt_i32_f64_e32 v10, v[9:10]
	s_branch .LBB289_1136
.LBB289_1126:
	s_mov_b32 s1, 0
                                        ; implicit-def: $vgpr10
	s_cbranch_execnz .LBB289_1203
	s_branch .LBB289_1232
.LBB289_1127:
                                        ; implicit-def: $vgpr10
	s_branch .LBB289_1153
.LBB289_1128:
	s_mov_b32 s1, 0
                                        ; implicit-def: $vgpr10
	s_cbranch_execz .LBB289_1202
	s_branch .LBB289_1187
.LBB289_1129:
                                        ; implicit-def: $vgpr10
	s_branch .LBB289_1142
.LBB289_1130:
	s_mov_b32 s1, 0
                                        ; implicit-def: $vgpr10
	s_cbranch_execnz .LBB289_1183
	s_branch .LBB289_1186
.LBB289_1131:
	s_mov_b32 s3, -1
                                        ; implicit-def: $vgpr10
	s_branch .LBB289_1139
.LBB289_1132:
	s_cbranch_execnz .LBB289_1174
; %bb.1133:
	s_or_b32 s3, s3, exec_lo
	s_and_not1_b32 s8, s8, exec_lo
	s_or_b32 exec_lo, exec_lo, s2
	s_and_saveexec_b32 s2, s8
	s_delay_alu instid0(SALU_CYCLE_1)
	s_xor_b32 s2, exec_lo, s2
	s_cbranch_execnz .LBB289_1020
	s_branch .LBB289_1021
.LBB289_1134:
	s_mov_b32 s11, -1
	s_mov_b32 s1, 0
	s_branch .LBB289_1177
.LBB289_1135:
	s_mov_b32 s3, -1
                                        ; implicit-def: $vgpr10
.LBB289_1136:
	s_delay_alu instid0(SALU_CYCLE_1)
	s_and_not1_b32 vcc_lo, exec_lo, s3
	s_cbranch_vccnz .LBB289_1138
; %bb.1137:
	global_load_b32 v9, v[7:8], off
	s_waitcnt vmcnt(0)
	v_cvt_i32_f32_e32 v10, v9
.LBB289_1138:
	s_mov_b32 s3, 0
.LBB289_1139:
	s_delay_alu instid0(SALU_CYCLE_1)
	s_and_not1_b32 vcc_lo, exec_lo, s3
	s_cbranch_vccnz .LBB289_1141
; %bb.1140:
	global_load_b32 v9, v[7:8], off
	s_waitcnt vmcnt(0)
	v_cvt_i16_f16_e32 v10, v9
.LBB289_1141:
	s_cbranch_execnz .LBB289_1152
.LBB289_1142:
	v_cmp_lt_i16_e64 s3, s2, 6
	s_delay_alu instid0(VALU_DEP_1)
	s_and_b32 vcc_lo, exec_lo, s3
	s_cbranch_vccnz .LBB289_1145
; %bb.1143:
	v_cmp_gt_i16_e64 s3, s2, 6
	s_delay_alu instid0(VALU_DEP_1)
	s_and_b32 vcc_lo, exec_lo, s3
	s_cbranch_vccz .LBB289_1146
; %bb.1144:
	global_load_b64 v[9:10], v[7:8], off
	s_mov_b32 s3, 0
	s_waitcnt vmcnt(0)
	v_cvt_i32_f64_e32 v10, v[9:10]
	s_branch .LBB289_1147
.LBB289_1145:
	s_mov_b32 s3, -1
                                        ; implicit-def: $vgpr10
	s_branch .LBB289_1150
.LBB289_1146:
	s_mov_b32 s3, -1
                                        ; implicit-def: $vgpr10
.LBB289_1147:
	s_delay_alu instid0(SALU_CYCLE_1)
	s_and_not1_b32 vcc_lo, exec_lo, s3
	s_cbranch_vccnz .LBB289_1149
; %bb.1148:
	global_load_b32 v9, v[7:8], off
	s_waitcnt vmcnt(0)
	v_cvt_i32_f32_e32 v10, v9
.LBB289_1149:
	s_mov_b32 s3, 0
.LBB289_1150:
	s_delay_alu instid0(SALU_CYCLE_1)
	s_and_not1_b32 vcc_lo, exec_lo, s3
	s_cbranch_vccnz .LBB289_1152
; %bb.1151:
	global_load_u16 v9, v[7:8], off
	s_waitcnt vmcnt(0)
	v_cvt_i16_f16_e32 v10, v9
.LBB289_1152:
	s_cbranch_execnz .LBB289_1171
.LBB289_1153:
	v_cmp_lt_i16_e64 s3, s2, 2
	s_delay_alu instid0(VALU_DEP_1)
	s_and_b32 vcc_lo, exec_lo, s3
	s_cbranch_vccnz .LBB289_1157
; %bb.1154:
	v_cmp_lt_i16_e64 s3, s2, 3
	s_delay_alu instid0(VALU_DEP_1)
	s_and_b32 vcc_lo, exec_lo, s3
	s_cbranch_vccnz .LBB289_1158
; %bb.1155:
	v_cmp_gt_i16_e64 s3, s2, 3
	s_delay_alu instid0(VALU_DEP_1)
	s_and_b32 vcc_lo, exec_lo, s3
	s_cbranch_vccz .LBB289_1159
; %bb.1156:
	global_load_b64 v[10:11], v[7:8], off
	s_mov_b32 s3, 0
	s_branch .LBB289_1160
.LBB289_1157:
                                        ; implicit-def: $vgpr10
	s_branch .LBB289_1166
.LBB289_1158:
	s_mov_b32 s3, -1
                                        ; implicit-def: $vgpr10
	s_branch .LBB289_1163
.LBB289_1159:
	s_mov_b32 s3, -1
                                        ; implicit-def: $vgpr10
.LBB289_1160:
	s_delay_alu instid0(SALU_CYCLE_1)
	s_and_not1_b32 vcc_lo, exec_lo, s3
	s_cbranch_vccnz .LBB289_1162
; %bb.1161:
	global_load_b32 v10, v[7:8], off
.LBB289_1162:
	s_mov_b32 s3, 0
.LBB289_1163:
	s_delay_alu instid0(SALU_CYCLE_1)
	s_and_not1_b32 vcc_lo, exec_lo, s3
	s_cbranch_vccnz .LBB289_1165
; %bb.1164:
	global_load_u16 v10, v[7:8], off
.LBB289_1165:
	s_cbranch_execnz .LBB289_1171
.LBB289_1166:
	v_cmp_gt_i16_e64 s3, s2, 0
	s_delay_alu instid0(VALU_DEP_1)
	s_and_b32 vcc_lo, exec_lo, s3
	s_mov_b32 s3, 0
	s_cbranch_vccz .LBB289_1168
; %bb.1167:
	global_load_u8 v10, v[7:8], off
	s_branch .LBB289_1169
.LBB289_1168:
	s_mov_b32 s3, -1
                                        ; implicit-def: $vgpr10
.LBB289_1169:
	s_delay_alu instid0(SALU_CYCLE_1)
	s_and_not1_b32 vcc_lo, exec_lo, s3
	s_cbranch_vccnz .LBB289_1171
; %bb.1170:
	global_load_u8 v10, v[7:8], off
.LBB289_1171:
	s_branch .LBB289_1237
.LBB289_1172:
	s_trap 2
	s_sendmsg_rtn_b32 s0, sendmsg(MSG_RTN_GET_DOORBELL)
	s_mov_b32 ttmp2, m0
	s_waitcnt lgkmcnt(0)
	s_and_b32 s0, s0, 0x3ff
	s_delay_alu instid0(SALU_CYCLE_1) | instskip(NEXT) | instid1(SALU_CYCLE_1)
	s_bitset1_b32 s0, 10
	s_mov_b32 m0, s0
	s_sendmsg sendmsg(MSG_INTERRUPT)
	s_mov_b32 m0, ttmp2
.LBB289_1173:                           ; =>This Inner Loop Header: Depth=1
	s_sethalt 5
	s_branch .LBB289_1173
.LBB289_1174:
	s_trap 2
	s_sendmsg_rtn_b32 s0, sendmsg(MSG_RTN_GET_DOORBELL)
	s_mov_b32 ttmp2, m0
	s_waitcnt lgkmcnt(0)
	s_and_b32 s0, s0, 0x3ff
	s_delay_alu instid0(SALU_CYCLE_1) | instskip(NEXT) | instid1(SALU_CYCLE_1)
	s_bitset1_b32 s0, 10
	s_mov_b32 m0, s0
	s_sendmsg sendmsg(MSG_INTERRUPT)
	s_mov_b32 m0, ttmp2
.LBB289_1175:                           ; =>This Inner Loop Header: Depth=1
	s_sethalt 5
	s_branch .LBB289_1175
.LBB289_1176:
	s_mov_b32 s1, -1
.LBB289_1177:
                                        ; implicit-def: $vgpr10
.LBB289_1178:
	s_and_b32 vcc_lo, exec_lo, s11
	s_cbranch_vccz .LBB289_1181
; %bb.1179:
	v_cmp_eq_u16_e64 s1, s2, 44
	s_delay_alu instid0(VALU_DEP_1)
	s_and_b32 vcc_lo, exec_lo, s1
	s_cbranch_vccz .LBB289_1182
; %bb.1180:
	global_load_u8 v9, v[7:8], off
	s_mov_b32 s1, 0
	s_mov_b32 s10, -1
	s_waitcnt vmcnt(0)
	v_lshlrev_b32_e32 v10, 23, v9
	v_cmp_ne_u32_e32 vcc_lo, 0, v9
	s_delay_alu instid0(VALU_DEP_2) | instskip(NEXT) | instid1(VALU_DEP_1)
	v_cvt_i32_f32_e32 v10, v10
	v_cndmask_b32_e32 v10, 0, v10, vcc_lo
.LBB289_1181:
	s_branch .LBB289_1186
.LBB289_1182:
	s_mov_b32 s1, -1
                                        ; implicit-def: $vgpr10
	s_branch .LBB289_1186
.LBB289_1183:
	v_cmp_eq_u16_e64 s1, s2, 29
	s_delay_alu instid0(VALU_DEP_1)
	s_and_b32 vcc_lo, exec_lo, s1
	s_cbranch_vccz .LBB289_1185
; %bb.1184:
	global_load_b64 v[10:11], v[7:8], off
	s_mov_b32 s1, 0
	s_mov_b32 s10, -1
	s_branch .LBB289_1186
.LBB289_1185:
	s_mov_b32 s1, -1
                                        ; implicit-def: $vgpr10
.LBB289_1186:
	s_branch .LBB289_1202
.LBB289_1187:
	v_cmp_lt_i16_e64 s10, s2, 27
	s_delay_alu instid0(VALU_DEP_1)
	s_and_b32 vcc_lo, exec_lo, s10
	s_cbranch_vccnz .LBB289_1190
; %bb.1188:
	v_cmp_gt_i16_e64 s10, s2, 27
	s_delay_alu instid0(VALU_DEP_1)
	s_and_b32 vcc_lo, exec_lo, s10
	s_cbranch_vccz .LBB289_1191
; %bb.1189:
	global_load_b32 v10, v[7:8], off
	s_mov_b32 s10, 0
	s_branch .LBB289_1192
.LBB289_1190:
	s_mov_b32 s10, -1
                                        ; implicit-def: $vgpr10
	s_branch .LBB289_1195
.LBB289_1191:
	s_mov_b32 s10, -1
                                        ; implicit-def: $vgpr10
.LBB289_1192:
	s_delay_alu instid0(SALU_CYCLE_1)
	s_and_not1_b32 vcc_lo, exec_lo, s10
	s_cbranch_vccnz .LBB289_1194
; %bb.1193:
	global_load_u16 v10, v[7:8], off
.LBB289_1194:
	s_mov_b32 s10, 0
.LBB289_1195:
	s_delay_alu instid0(SALU_CYCLE_1)
	s_and_not1_b32 vcc_lo, exec_lo, s10
	s_cbranch_vccnz .LBB289_1201
; %bb.1196:
	global_load_u8 v9, v[7:8], off
	s_mov_b32 s10, 0
	s_mov_b32 s11, exec_lo
                                        ; implicit-def: $sgpr12
	s_waitcnt vmcnt(0)
	v_cmpx_lt_i16_e32 0x7f, v9
	s_xor_b32 s11, exec_lo, s11
	s_cbranch_execz .LBB289_1212
; %bb.1197:
	v_cmp_ne_u16_e32 vcc_lo, 0x80, v9
	s_mov_b32 s12, 0
	s_and_b32 s10, vcc_lo, exec_lo
	s_or_saveexec_b32 s11, s11
	v_mov_b32_e32 v10, s12
	s_xor_b32 exec_lo, exec_lo, s11
	s_cbranch_execnz .LBB289_1213
.LBB289_1198:
	s_or_b32 exec_lo, exec_lo, s11
	s_and_saveexec_b32 s11, s10
	s_cbranch_execz .LBB289_1200
.LBB289_1199:
	v_and_b32_e32 v10, 0xffff, v9
	v_lshlrev_b32_e32 v9, 24, v9
	s_delay_alu instid0(VALU_DEP_2) | instskip(NEXT) | instid1(VALU_DEP_2)
	v_and_b32_e32 v11, 7, v10
	v_and_b32_e32 v9, 0x80000000, v9
	s_delay_alu instid0(VALU_DEP_2) | instskip(NEXT) | instid1(VALU_DEP_1)
	v_clz_i32_u32_e32 v12, v11
	v_min_u32_e32 v12, 32, v12
	s_delay_alu instid0(VALU_DEP_1) | instskip(SKIP_1) | instid1(VALU_DEP_2)
	v_subrev_nc_u32_e32 v13, 28, v12
	v_sub_nc_u32_e32 v12, 29, v12
	v_lshlrev_b32_e32 v13, v13, v10
	v_bfe_u32 v10, v10, 3, 4
	s_delay_alu instid0(VALU_DEP_2) | instskip(NEXT) | instid1(VALU_DEP_2)
	v_and_b32_e32 v13, 7, v13
	v_cmp_eq_u32_e32 vcc_lo, 0, v10
	s_delay_alu instid0(VALU_DEP_2) | instskip(NEXT) | instid1(VALU_DEP_1)
	v_dual_cndmask_b32 v10, v10, v12 :: v_dual_cndmask_b32 v11, v11, v13
	v_lshl_add_u32 v10, v10, 23, 0x3b800000
	s_delay_alu instid0(VALU_DEP_2) | instskip(NEXT) | instid1(VALU_DEP_1)
	v_lshlrev_b32_e32 v11, 20, v11
	v_or3_b32 v9, v9, v10, v11
	s_delay_alu instid0(VALU_DEP_1)
	v_cvt_i32_f32_e32 v10, v9
.LBB289_1200:
	s_or_b32 exec_lo, exec_lo, s11
.LBB289_1201:
	s_mov_b32 s10, -1
.LBB289_1202:
	s_branch .LBB289_1232
.LBB289_1203:
	v_cmp_gt_i16_e64 s3, s2, 22
	s_delay_alu instid0(VALU_DEP_1)
	s_and_b32 vcc_lo, exec_lo, s3
	s_cbranch_vccz .LBB289_1211
; %bb.1204:
	v_cmp_lt_i16_e64 s3, s2, 24
	s_delay_alu instid0(VALU_DEP_1)
	s_and_b32 vcc_lo, exec_lo, s3
	s_cbranch_vccnz .LBB289_1214
; %bb.1205:
	v_cmp_gt_i16_e64 s3, s2, 24
	s_delay_alu instid0(VALU_DEP_1)
	s_and_b32 vcc_lo, exec_lo, s3
	s_cbranch_vccz .LBB289_1215
; %bb.1206:
	global_load_u8 v9, v[7:8], off
	s_mov_b32 s3, 0
	s_mov_b32 s10, exec_lo
                                        ; implicit-def: $sgpr11
	s_waitcnt vmcnt(0)
	v_cmpx_lt_i16_e32 0x7f, v9
	s_xor_b32 s10, exec_lo, s10
	s_cbranch_execz .LBB289_1226
; %bb.1207:
	v_cmp_ne_u16_e32 vcc_lo, 0x80, v9
	s_mov_b32 s11, 0
	s_and_b32 s3, vcc_lo, exec_lo
	s_or_saveexec_b32 s10, s10
	v_mov_b32_e32 v10, s11
	s_xor_b32 exec_lo, exec_lo, s10
	s_cbranch_execnz .LBB289_1227
.LBB289_1208:
	s_or_b32 exec_lo, exec_lo, s10
	s_and_saveexec_b32 s10, s3
	s_cbranch_execz .LBB289_1210
.LBB289_1209:
	v_and_b32_e32 v10, 0xffff, v9
	v_lshlrev_b32_e32 v9, 24, v9
	s_delay_alu instid0(VALU_DEP_2) | instskip(NEXT) | instid1(VALU_DEP_2)
	v_and_b32_e32 v11, 3, v10
	v_and_b32_e32 v9, 0x80000000, v9
	s_delay_alu instid0(VALU_DEP_2) | instskip(NEXT) | instid1(VALU_DEP_1)
	v_clz_i32_u32_e32 v12, v11
	v_min_u32_e32 v12, 32, v12
	s_delay_alu instid0(VALU_DEP_1) | instskip(SKIP_1) | instid1(VALU_DEP_2)
	v_subrev_nc_u32_e32 v13, 29, v12
	v_sub_nc_u32_e32 v12, 30, v12
	v_lshlrev_b32_e32 v13, v13, v10
	v_bfe_u32 v10, v10, 2, 5
	s_delay_alu instid0(VALU_DEP_2) | instskip(NEXT) | instid1(VALU_DEP_2)
	v_and_b32_e32 v13, 3, v13
	v_cmp_eq_u32_e32 vcc_lo, 0, v10
	s_delay_alu instid0(VALU_DEP_2) | instskip(NEXT) | instid1(VALU_DEP_1)
	v_dual_cndmask_b32 v10, v10, v12 :: v_dual_cndmask_b32 v11, v11, v13
	v_lshl_add_u32 v10, v10, 23, 0x37800000
	s_delay_alu instid0(VALU_DEP_2) | instskip(NEXT) | instid1(VALU_DEP_1)
	v_lshlrev_b32_e32 v11, 21, v11
	v_or3_b32 v9, v9, v10, v11
	s_delay_alu instid0(VALU_DEP_1)
	v_cvt_i32_f32_e32 v10, v9
.LBB289_1210:
	s_or_b32 exec_lo, exec_lo, s10
	s_mov_b32 s3, 0
	s_branch .LBB289_1216
.LBB289_1211:
                                        ; implicit-def: $vgpr10
	s_mov_b32 s3, 0
	s_branch .LBB289_1222
.LBB289_1212:
	s_or_saveexec_b32 s11, s11
	v_mov_b32_e32 v10, s12
	s_xor_b32 exec_lo, exec_lo, s11
	s_cbranch_execz .LBB289_1198
.LBB289_1213:
	v_cmp_ne_u16_e32 vcc_lo, 0, v9
	v_mov_b32_e32 v10, 0
	s_and_not1_b32 s10, s10, exec_lo
	s_and_b32 s12, vcc_lo, exec_lo
	s_delay_alu instid0(SALU_CYCLE_1)
	s_or_b32 s10, s10, s12
	s_or_b32 exec_lo, exec_lo, s11
	s_and_saveexec_b32 s11, s10
	s_cbranch_execnz .LBB289_1199
	s_branch .LBB289_1200
.LBB289_1214:
	s_mov_b32 s3, -1
                                        ; implicit-def: $vgpr10
	s_branch .LBB289_1219
.LBB289_1215:
	s_mov_b32 s3, -1
                                        ; implicit-def: $vgpr10
.LBB289_1216:
	s_delay_alu instid0(SALU_CYCLE_1)
	s_and_b32 vcc_lo, exec_lo, s3
	s_cbranch_vccz .LBB289_1218
; %bb.1217:
	global_load_u8 v9, v[7:8], off
	s_waitcnt vmcnt(0)
	v_lshlrev_b32_e32 v9, 24, v9
	s_delay_alu instid0(VALU_DEP_1) | instskip(NEXT) | instid1(VALU_DEP_1)
	v_and_b32_e32 v10, 0x7f000000, v9
	v_clz_i32_u32_e32 v11, v10
	v_add_nc_u32_e32 v13, 0x1000000, v10
	v_cmp_ne_u32_e32 vcc_lo, 0, v10
	s_delay_alu instid0(VALU_DEP_3) | instskip(NEXT) | instid1(VALU_DEP_1)
	v_min_u32_e32 v11, 32, v11
	v_sub_nc_u32_e64 v11, v11, 4 clamp
	s_delay_alu instid0(VALU_DEP_1) | instskip(SKIP_1) | instid1(VALU_DEP_2)
	v_lshlrev_b32_e32 v12, v11, v10
	v_lshlrev_b32_e32 v11, 23, v11
	v_lshrrev_b32_e32 v12, 4, v12
	s_delay_alu instid0(VALU_DEP_1) | instskip(SKIP_1) | instid1(VALU_DEP_2)
	v_sub_nc_u32_e32 v11, v12, v11
	v_ashrrev_i32_e32 v12, 8, v13
	v_add_nc_u32_e32 v11, 0x3c000000, v11
	s_delay_alu instid0(VALU_DEP_1) | instskip(NEXT) | instid1(VALU_DEP_1)
	v_and_or_b32 v11, 0x7f800000, v12, v11
	v_cndmask_b32_e32 v10, 0, v11, vcc_lo
	s_delay_alu instid0(VALU_DEP_1) | instskip(NEXT) | instid1(VALU_DEP_1)
	v_and_or_b32 v9, 0x80000000, v9, v10
	v_cvt_i32_f32_e32 v10, v9
.LBB289_1218:
	s_mov_b32 s3, 0
.LBB289_1219:
	s_delay_alu instid0(SALU_CYCLE_1)
	s_and_not1_b32 vcc_lo, exec_lo, s3
	s_cbranch_vccnz .LBB289_1221
; %bb.1220:
	global_load_u8 v9, v[7:8], off
	s_waitcnt vmcnt(0)
	v_lshlrev_b32_e32 v10, 25, v9
	v_lshlrev_b16 v9, 8, v9
	s_delay_alu instid0(VALU_DEP_2) | instskip(NEXT) | instid1(VALU_DEP_2)
	v_lshrrev_b32_e32 v11, 4, v10
	v_and_or_b32 v12, 0x7f00, v9, 0.5
	v_bfe_i32 v9, v9, 0, 16
	s_delay_alu instid0(VALU_DEP_3) | instskip(NEXT) | instid1(VALU_DEP_1)
	v_or_b32_e32 v11, 0x70000000, v11
	v_dual_add_f32 v12, -0.5, v12 :: v_dual_mul_f32 v11, 0x7800000, v11
	v_cmp_gt_u32_e32 vcc_lo, 0x8000000, v10
	s_delay_alu instid0(VALU_DEP_2) | instskip(NEXT) | instid1(VALU_DEP_1)
	v_cndmask_b32_e32 v10, v11, v12, vcc_lo
	v_and_or_b32 v9, 0x80000000, v9, v10
	s_delay_alu instid0(VALU_DEP_1)
	v_cvt_i32_f32_e32 v10, v9
.LBB289_1221:
	s_mov_b32 s10, -1
	s_mov_b32 s3, 0
	s_cbranch_execnz .LBB289_1232
.LBB289_1222:
	v_cmp_gt_i16_e64 s3, s2, 14
	s_delay_alu instid0(VALU_DEP_1)
	s_and_b32 vcc_lo, exec_lo, s3
	s_cbranch_vccz .LBB289_1225
; %bb.1223:
	v_cmp_eq_u16_e64 s1, s2, 15
	s_delay_alu instid0(VALU_DEP_1)
	s_and_b32 vcc_lo, exec_lo, s1
	s_cbranch_vccz .LBB289_1228
; %bb.1224:
	global_load_u16 v9, v[7:8], off
	s_mov_b32 s1, 0
	s_mov_b32 s10, -1
	s_waitcnt vmcnt(0)
	v_lshlrev_b32_e32 v9, 16, v9
	s_delay_alu instid0(VALU_DEP_1)
	v_cvt_i32_f32_e32 v10, v9
	s_branch .LBB289_1229
.LBB289_1225:
	s_mov_b32 s3, -1
                                        ; implicit-def: $vgpr10
	s_branch .LBB289_1230
.LBB289_1226:
	s_or_saveexec_b32 s10, s10
	v_mov_b32_e32 v10, s11
	s_xor_b32 exec_lo, exec_lo, s10
	s_cbranch_execz .LBB289_1208
.LBB289_1227:
	v_cmp_ne_u16_e32 vcc_lo, 0, v9
	v_mov_b32_e32 v10, 0
	s_and_not1_b32 s3, s3, exec_lo
	s_and_b32 s11, vcc_lo, exec_lo
	s_delay_alu instid0(SALU_CYCLE_1)
	s_or_b32 s3, s3, s11
	s_or_b32 exec_lo, exec_lo, s10
	s_and_saveexec_b32 s10, s3
	s_cbranch_execnz .LBB289_1209
	s_branch .LBB289_1210
.LBB289_1228:
	s_mov_b32 s1, -1
                                        ; implicit-def: $vgpr10
.LBB289_1229:
	s_mov_b32 s3, 0
.LBB289_1230:
	s_delay_alu instid0(SALU_CYCLE_1)
	s_and_b32 vcc_lo, exec_lo, s3
	s_mov_b32 s3, 0
	s_cbranch_vccz .LBB289_1232
; %bb.1231:
	v_cmp_ne_u16_e64 s1, s2, 11
	s_mov_b32 s3, -1
                                        ; implicit-def: $vgpr10
.LBB289_1232:
	s_delay_alu instid0(VALU_DEP_1)
	s_and_b32 vcc_lo, exec_lo, s1
	s_mov_b32 s1, s8
	s_cbranch_vccnz .LBB289_1256
; %bb.1233:
	s_and_not1_b32 vcc_lo, exec_lo, s3
	s_cbranch_vccnz .LBB289_1235
.LBB289_1234:
	global_load_u8 v9, v[7:8], off
	s_mov_b32 s10, -1
	s_waitcnt vmcnt(0)
	v_cmp_ne_u16_e32 vcc_lo, 0, v9
	v_cndmask_b32_e64 v10, 0, 1, vcc_lo
.LBB289_1235:
.LBB289_1236:
	s_and_not1_b32 vcc_lo, exec_lo, s10
	s_cbranch_vccnz .LBB289_2057
.LBB289_1237:
	v_cmp_lt_i16_e64 s3, s2, 11
	v_add_co_u32 v6, s10, s6, v6
	s_delay_alu instid0(VALU_DEP_1) | instskip(NEXT) | instid1(VALU_DEP_3)
	v_add_co_ci_u32_e64 v7, null, s7, 0, s10
	s_and_b32 vcc_lo, exec_lo, s3
	s_mov_b32 s11, 0
	s_cbranch_vccnz .LBB289_1244
; %bb.1238:
	v_cmp_gt_i16_e64 s3, s2, 25
	s_mov_b32 s10, 0
	s_delay_alu instid0(VALU_DEP_1)
	s_and_b32 vcc_lo, exec_lo, s3
	s_cbranch_vccz .LBB289_1250
; %bb.1239:
	v_cmp_gt_i16_e64 s3, s2, 28
	s_delay_alu instid0(VALU_DEP_1)
	s_and_b32 vcc_lo, exec_lo, s3
	s_cbranch_vccz .LBB289_1252
; %bb.1240:
	v_cmp_gt_i16_e64 s3, s2, 43
	;; [unrolled: 5-line block ×3, first 2 shown]
	s_delay_alu instid0(VALU_DEP_1)
	s_and_b32 vcc_lo, exec_lo, s3
	s_cbranch_vccz .LBB289_1260
; %bb.1242:
	v_cmp_eq_u16_e64 s3, s2, 46
	s_mov_b32 s12, 0
	s_delay_alu instid0(VALU_DEP_1)
	s_and_b32 vcc_lo, exec_lo, s3
	s_cbranch_vccz .LBB289_1304
; %bb.1243:
	global_load_b32 v8, v[6:7], off
	s_mov_b32 s3, 0
	s_mov_b32 s11, -1
	s_waitcnt vmcnt(0)
	v_lshlrev_b32_e32 v8, 16, v8
	s_delay_alu instid0(VALU_DEP_1)
	v_cvt_i32_f32_e32 v8, v8
	s_branch .LBB289_1306
.LBB289_1244:
                                        ; implicit-def: $vgpr8
	s_cbranch_execz .LBB289_1367
; %bb.1245:
	v_cmp_lt_i16_e64 s3, s2, 5
	s_delay_alu instid0(VALU_DEP_1)
	s_and_b32 vcc_lo, exec_lo, s3
	s_cbranch_vccnz .LBB289_1251
; %bb.1246:
	v_cmp_lt_i16_e64 s3, s2, 8
	s_delay_alu instid0(VALU_DEP_1)
	s_and_b32 vcc_lo, exec_lo, s3
	s_cbranch_vccnz .LBB289_1253
	;; [unrolled: 5-line block ×3, first 2 shown]
; %bb.1248:
	v_cmp_gt_i16_e64 s3, s2, 9
	s_delay_alu instid0(VALU_DEP_1)
	s_and_b32 vcc_lo, exec_lo, s3
	s_cbranch_vccz .LBB289_1261
; %bb.1249:
	global_load_b64 v[8:9], v[6:7], off
	s_mov_b32 s3, 0
	s_waitcnt vmcnt(0)
	v_cvt_i32_f64_e32 v8, v[8:9]
	s_branch .LBB289_1262
.LBB289_1250:
	s_mov_b32 s3, 0
                                        ; implicit-def: $vgpr8
	s_cbranch_execnz .LBB289_1333
	s_branch .LBB289_1363
.LBB289_1251:
                                        ; implicit-def: $vgpr8
	s_branch .LBB289_1280
.LBB289_1252:
	s_mov_b32 s12, -1
	s_mov_b32 s3, 0
                                        ; implicit-def: $vgpr8
	s_branch .LBB289_1316
.LBB289_1253:
	s_mov_b32 s3, -1
                                        ; implicit-def: $vgpr8
	s_branch .LBB289_1268
.LBB289_1254:
	s_mov_b32 s12, -1
	s_mov_b32 s3, 0
                                        ; implicit-def: $vgpr8
	s_branch .LBB289_1311
.LBB289_1255:
	s_mov_b32 s3, -1
                                        ; implicit-def: $vgpr8
	s_branch .LBB289_1265
.LBB289_1256:
	s_cbranch_execnz .LBB289_1300
; %bb.1257:
	s_or_b32 s1, s8, exec_lo
                                        ; implicit-def: $vgpr10
	s_cbranch_execz .LBB289_1234
	s_branch .LBB289_1235
.LBB289_1258:
	s_or_saveexec_b32 s7, s7
                                        ; implicit-def: $sgpr8
	s_delay_alu instid0(SALU_CYCLE_1)
	s_xor_b32 exec_lo, exec_lo, s7
	s_cbranch_execz .LBB289_971
.LBB289_1259:
	v_add_f32_e64 v3, 0x46000000, |v0|
	s_and_not1_b32 s5, s5, exec_lo
	s_mov_b32 s8, 0
	s_delay_alu instid0(VALU_DEP_1) | instskip(NEXT) | instid1(VALU_DEP_1)
	v_and_b32_e32 v3, 0xff, v3
	v_cmp_ne_u32_e32 vcc_lo, 0, v3
	s_and_b32 s9, vcc_lo, exec_lo
	s_delay_alu instid0(SALU_CYCLE_1)
	s_or_b32 s5, s5, s9
	s_or_b32 exec_lo, exec_lo, s7
	v_mov_b32_e32 v6, s8
	s_and_saveexec_b32 s7, s5
	s_cbranch_execnz .LBB289_972
	s_branch .LBB289_973
.LBB289_1260:
	s_mov_b32 s12, -1
	s_mov_b32 s3, 0
	s_branch .LBB289_1305
.LBB289_1261:
	s_mov_b32 s3, -1
                                        ; implicit-def: $vgpr8
.LBB289_1262:
	s_delay_alu instid0(SALU_CYCLE_1)
	s_and_not1_b32 vcc_lo, exec_lo, s3
	s_cbranch_vccnz .LBB289_1264
; %bb.1263:
	global_load_b32 v8, v[6:7], off
	s_waitcnt vmcnt(0)
	v_cvt_i32_f32_e32 v8, v8
.LBB289_1264:
	s_mov_b32 s3, 0
.LBB289_1265:
	s_delay_alu instid0(SALU_CYCLE_1)
	s_and_not1_b32 vcc_lo, exec_lo, s3
	s_cbranch_vccnz .LBB289_1267
; %bb.1266:
	global_load_b32 v8, v[6:7], off
	s_waitcnt vmcnt(0)
	v_cvt_i16_f16_e32 v8, v8
.LBB289_1267:
	s_mov_b32 s3, 0
.LBB289_1268:
	s_delay_alu instid0(SALU_CYCLE_1)
	s_and_not1_b32 vcc_lo, exec_lo, s3
	s_cbranch_vccnz .LBB289_1279
; %bb.1269:
	v_cmp_lt_i16_e64 s3, s2, 6
	s_delay_alu instid0(VALU_DEP_1)
	s_and_b32 vcc_lo, exec_lo, s3
	s_cbranch_vccnz .LBB289_1272
; %bb.1270:
	v_cmp_gt_i16_e64 s3, s2, 6
	s_delay_alu instid0(VALU_DEP_1)
	s_and_b32 vcc_lo, exec_lo, s3
	s_cbranch_vccz .LBB289_1273
; %bb.1271:
	global_load_b64 v[8:9], v[6:7], off
	s_mov_b32 s3, 0
	s_waitcnt vmcnt(0)
	v_cvt_i32_f64_e32 v8, v[8:9]
	s_branch .LBB289_1274
.LBB289_1272:
	s_mov_b32 s3, -1
                                        ; implicit-def: $vgpr8
	s_branch .LBB289_1277
.LBB289_1273:
	s_mov_b32 s3, -1
                                        ; implicit-def: $vgpr8
.LBB289_1274:
	s_delay_alu instid0(SALU_CYCLE_1)
	s_and_not1_b32 vcc_lo, exec_lo, s3
	s_cbranch_vccnz .LBB289_1276
; %bb.1275:
	global_load_b32 v8, v[6:7], off
	s_waitcnt vmcnt(0)
	v_cvt_i32_f32_e32 v8, v8
.LBB289_1276:
	s_mov_b32 s3, 0
.LBB289_1277:
	s_delay_alu instid0(SALU_CYCLE_1)
	s_and_not1_b32 vcc_lo, exec_lo, s3
	s_cbranch_vccnz .LBB289_1279
; %bb.1278:
	global_load_u16 v8, v[6:7], off
	s_waitcnt vmcnt(0)
	v_cvt_i16_f16_e32 v8, v8
.LBB289_1279:
	s_cbranch_execnz .LBB289_1299
.LBB289_1280:
	v_cmp_lt_i16_e64 s3, s2, 2
	s_delay_alu instid0(VALU_DEP_1)
	s_and_b32 vcc_lo, exec_lo, s3
	s_cbranch_vccnz .LBB289_1284
; %bb.1281:
	v_cmp_lt_i16_e64 s3, s2, 3
	s_delay_alu instid0(VALU_DEP_1)
	s_and_b32 vcc_lo, exec_lo, s3
	s_cbranch_vccnz .LBB289_1285
; %bb.1282:
	v_cmp_gt_i16_e64 s3, s2, 3
	s_delay_alu instid0(VALU_DEP_1)
	s_and_b32 vcc_lo, exec_lo, s3
	s_cbranch_vccz .LBB289_1286
; %bb.1283:
	global_load_b64 v[8:9], v[6:7], off
	s_mov_b32 s3, 0
	s_branch .LBB289_1287
.LBB289_1284:
	s_mov_b32 s3, -1
                                        ; implicit-def: $vgpr8
	s_branch .LBB289_1293
.LBB289_1285:
	s_mov_b32 s3, -1
                                        ; implicit-def: $vgpr8
	s_branch .LBB289_1290
.LBB289_1286:
	s_mov_b32 s3, -1
                                        ; implicit-def: $vgpr8
.LBB289_1287:
	s_delay_alu instid0(SALU_CYCLE_1)
	s_and_not1_b32 vcc_lo, exec_lo, s3
	s_cbranch_vccnz .LBB289_1289
; %bb.1288:
	global_load_b32 v8, v[6:7], off
.LBB289_1289:
	s_mov_b32 s3, 0
.LBB289_1290:
	s_delay_alu instid0(SALU_CYCLE_1)
	s_and_not1_b32 vcc_lo, exec_lo, s3
	s_cbranch_vccnz .LBB289_1292
; %bb.1291:
	global_load_u16 v8, v[6:7], off
.LBB289_1292:
	s_mov_b32 s3, 0
.LBB289_1293:
	s_delay_alu instid0(SALU_CYCLE_1)
	s_and_not1_b32 vcc_lo, exec_lo, s3
	s_cbranch_vccnz .LBB289_1299
; %bb.1294:
	v_cmp_gt_i16_e64 s3, s2, 0
	s_delay_alu instid0(VALU_DEP_1)
	s_and_b32 vcc_lo, exec_lo, s3
	s_mov_b32 s3, 0
	s_cbranch_vccz .LBB289_1296
; %bb.1295:
	global_load_u8 v8, v[6:7], off
	s_branch .LBB289_1297
.LBB289_1296:
	s_mov_b32 s3, -1
                                        ; implicit-def: $vgpr8
.LBB289_1297:
	s_delay_alu instid0(SALU_CYCLE_1)
	s_and_not1_b32 vcc_lo, exec_lo, s3
	s_cbranch_vccnz .LBB289_1299
; %bb.1298:
	global_load_u8 v8, v[6:7], off
.LBB289_1299:
	s_branch .LBB289_1368
.LBB289_1300:
	s_trap 2
	s_sendmsg_rtn_b32 s0, sendmsg(MSG_RTN_GET_DOORBELL)
	s_mov_b32 ttmp2, m0
	s_waitcnt lgkmcnt(0)
	s_and_b32 s0, s0, 0x3ff
	s_delay_alu instid0(SALU_CYCLE_1) | instskip(NEXT) | instid1(SALU_CYCLE_1)
	s_bitset1_b32 s0, 10
	s_mov_b32 m0, s0
	s_sendmsg sendmsg(MSG_INTERRUPT)
	s_mov_b32 m0, ttmp2
.LBB289_1301:                           ; =>This Inner Loop Header: Depth=1
	s_sethalt 5
	s_branch .LBB289_1301
.LBB289_1302:
	s_or_saveexec_b32 s8, s8
                                        ; implicit-def: $sgpr9
	s_delay_alu instid0(SALU_CYCLE_1)
	s_xor_b32 exec_lo, exec_lo, s8
	s_cbranch_execz .LBB289_983
.LBB289_1303:
	v_add_f32_e64 v3, 0x42800000, |v0|
	s_and_not1_b32 s7, s7, exec_lo
	s_mov_b32 s9, 0
	s_delay_alu instid0(VALU_DEP_1) | instskip(NEXT) | instid1(VALU_DEP_1)
	v_and_b32_e32 v3, 0xff, v3
	v_cmp_ne_u32_e32 vcc_lo, 0, v3
	s_and_b32 s10, vcc_lo, exec_lo
	s_delay_alu instid0(SALU_CYCLE_1)
	s_or_b32 s7, s7, s10
	s_or_b32 exec_lo, exec_lo, s8
	v_mov_b32_e32 v6, s9
	s_and_saveexec_b32 s8, s7
	s_cbranch_execnz .LBB289_984
	s_branch .LBB289_985
.LBB289_1304:
	s_mov_b32 s3, -1
.LBB289_1305:
                                        ; implicit-def: $vgpr8
.LBB289_1306:
	s_and_b32 vcc_lo, exec_lo, s12
	s_cbranch_vccz .LBB289_1310
; %bb.1307:
	v_cmp_eq_u16_e64 s3, s2, 44
	s_delay_alu instid0(VALU_DEP_1)
	s_and_b32 vcc_lo, exec_lo, s3
	s_cbranch_vccz .LBB289_1309
; %bb.1308:
	global_load_u8 v8, v[6:7], off
	s_mov_b32 s3, 0
	s_mov_b32 s11, -1
	s_waitcnt vmcnt(0)
	v_lshlrev_b32_e32 v9, 23, v8
	v_cmp_ne_u32_e32 vcc_lo, 0, v8
	s_delay_alu instid0(VALU_DEP_2) | instskip(NEXT) | instid1(VALU_DEP_1)
	v_cvt_i32_f32_e32 v9, v9
	v_cndmask_b32_e32 v8, 0, v9, vcc_lo
	s_branch .LBB289_1310
.LBB289_1309:
	s_mov_b32 s3, -1
                                        ; implicit-def: $vgpr8
.LBB289_1310:
	s_mov_b32 s12, 0
.LBB289_1311:
	s_delay_alu instid0(SALU_CYCLE_1)
	s_and_b32 vcc_lo, exec_lo, s12
	s_cbranch_vccz .LBB289_1315
; %bb.1312:
	v_cmp_eq_u16_e64 s3, s2, 29
	s_delay_alu instid0(VALU_DEP_1)
	s_and_b32 vcc_lo, exec_lo, s3
	s_cbranch_vccz .LBB289_1314
; %bb.1313:
	global_load_b64 v[8:9], v[6:7], off
	s_mov_b32 s3, 0
	s_mov_b32 s11, -1
	s_branch .LBB289_1315
.LBB289_1314:
	s_mov_b32 s3, -1
                                        ; implicit-def: $vgpr8
.LBB289_1315:
	s_mov_b32 s12, 0
.LBB289_1316:
	s_delay_alu instid0(SALU_CYCLE_1)
	s_and_b32 vcc_lo, exec_lo, s12
	s_cbranch_vccz .LBB289_1332
; %bb.1317:
	v_cmp_lt_i16_e64 s11, s2, 27
	s_delay_alu instid0(VALU_DEP_1)
	s_and_b32 vcc_lo, exec_lo, s11
	s_cbranch_vccnz .LBB289_1320
; %bb.1318:
	v_cmp_gt_i16_e64 s11, s2, 27
	s_delay_alu instid0(VALU_DEP_1)
	s_and_b32 vcc_lo, exec_lo, s11
	s_cbranch_vccz .LBB289_1321
; %bb.1319:
	global_load_b32 v8, v[6:7], off
	s_mov_b32 s11, 0
	s_branch .LBB289_1322
.LBB289_1320:
	s_mov_b32 s11, -1
                                        ; implicit-def: $vgpr8
	s_branch .LBB289_1325
.LBB289_1321:
	s_mov_b32 s11, -1
                                        ; implicit-def: $vgpr8
.LBB289_1322:
	s_delay_alu instid0(SALU_CYCLE_1)
	s_and_not1_b32 vcc_lo, exec_lo, s11
	s_cbranch_vccnz .LBB289_1324
; %bb.1323:
	global_load_u16 v8, v[6:7], off
.LBB289_1324:
	s_mov_b32 s11, 0
.LBB289_1325:
	s_delay_alu instid0(SALU_CYCLE_1)
	s_and_not1_b32 vcc_lo, exec_lo, s11
	s_cbranch_vccnz .LBB289_1331
; %bb.1326:
	global_load_u8 v9, v[6:7], off
	s_mov_b32 s11, 0
	s_mov_b32 s12, exec_lo
                                        ; implicit-def: $sgpr13
	s_waitcnt vmcnt(0)
	v_cmpx_lt_i16_e32 0x7f, v9
	s_xor_b32 s12, exec_lo, s12
	s_cbranch_execz .LBB289_1342
; %bb.1327:
	v_cmp_ne_u16_e32 vcc_lo, 0x80, v9
	s_mov_b32 s13, 0
	s_and_b32 s11, vcc_lo, exec_lo
	s_or_saveexec_b32 s12, s12
	v_mov_b32_e32 v8, s13
	s_xor_b32 exec_lo, exec_lo, s12
	s_cbranch_execnz .LBB289_1343
.LBB289_1328:
	s_or_b32 exec_lo, exec_lo, s12
	s_and_saveexec_b32 s12, s11
	s_cbranch_execz .LBB289_1330
.LBB289_1329:
	v_and_b32_e32 v8, 0xffff, v9
	v_lshlrev_b32_e32 v9, 24, v9
	s_delay_alu instid0(VALU_DEP_2) | instskip(NEXT) | instid1(VALU_DEP_2)
	v_and_b32_e32 v11, 7, v8
	v_and_b32_e32 v9, 0x80000000, v9
	s_delay_alu instid0(VALU_DEP_2) | instskip(NEXT) | instid1(VALU_DEP_1)
	v_clz_i32_u32_e32 v12, v11
	v_min_u32_e32 v12, 32, v12
	s_delay_alu instid0(VALU_DEP_1) | instskip(SKIP_1) | instid1(VALU_DEP_2)
	v_subrev_nc_u32_e32 v13, 28, v12
	v_sub_nc_u32_e32 v12, 29, v12
	v_lshlrev_b32_e32 v13, v13, v8
	v_bfe_u32 v8, v8, 3, 4
	s_delay_alu instid0(VALU_DEP_1) | instskip(NEXT) | instid1(VALU_DEP_3)
	v_cmp_eq_u32_e32 vcc_lo, 0, v8
	v_dual_cndmask_b32 v8, v8, v12 :: v_dual_and_b32 v13, 7, v13
	s_delay_alu instid0(VALU_DEP_1) | instskip(NEXT) | instid1(VALU_DEP_2)
	v_cndmask_b32_e32 v11, v11, v13, vcc_lo
	v_lshl_add_u32 v8, v8, 23, 0x3b800000
	s_delay_alu instid0(VALU_DEP_2) | instskip(NEXT) | instid1(VALU_DEP_1)
	v_lshlrev_b32_e32 v11, 20, v11
	v_or3_b32 v8, v9, v8, v11
	s_delay_alu instid0(VALU_DEP_1)
	v_cvt_i32_f32_e32 v8, v8
.LBB289_1330:
	s_or_b32 exec_lo, exec_lo, s12
.LBB289_1331:
	s_mov_b32 s11, -1
.LBB289_1332:
	s_branch .LBB289_1363
.LBB289_1333:
	v_cmp_gt_i16_e64 s10, s2, 22
	s_delay_alu instid0(VALU_DEP_1)
	s_and_b32 vcc_lo, exec_lo, s10
	s_cbranch_vccz .LBB289_1341
; %bb.1334:
	v_cmp_lt_i16_e64 s10, s2, 24
	s_delay_alu instid0(VALU_DEP_1)
	s_and_b32 vcc_lo, exec_lo, s10
	s_cbranch_vccnz .LBB289_1344
; %bb.1335:
	v_cmp_gt_i16_e64 s10, s2, 24
	s_delay_alu instid0(VALU_DEP_1)
	s_and_b32 vcc_lo, exec_lo, s10
	s_cbranch_vccz .LBB289_1345
; %bb.1336:
	global_load_u8 v9, v[6:7], off
	s_mov_b32 s10, 0
	s_mov_b32 s11, exec_lo
                                        ; implicit-def: $sgpr12
	s_waitcnt vmcnt(0)
	v_cmpx_lt_i16_e32 0x7f, v9
	s_xor_b32 s11, exec_lo, s11
	s_cbranch_execz .LBB289_1357
; %bb.1337:
	v_cmp_ne_u16_e32 vcc_lo, 0x80, v9
	s_mov_b32 s12, 0
	s_and_b32 s10, vcc_lo, exec_lo
	s_or_saveexec_b32 s11, s11
	v_mov_b32_e32 v8, s12
	s_xor_b32 exec_lo, exec_lo, s11
	s_cbranch_execnz .LBB289_1358
.LBB289_1338:
	s_or_b32 exec_lo, exec_lo, s11
	s_and_saveexec_b32 s11, s10
	s_cbranch_execz .LBB289_1340
.LBB289_1339:
	v_and_b32_e32 v8, 0xffff, v9
	v_lshlrev_b32_e32 v9, 24, v9
	s_delay_alu instid0(VALU_DEP_2) | instskip(NEXT) | instid1(VALU_DEP_2)
	v_and_b32_e32 v11, 3, v8
	v_and_b32_e32 v9, 0x80000000, v9
	s_delay_alu instid0(VALU_DEP_2) | instskip(NEXT) | instid1(VALU_DEP_1)
	v_clz_i32_u32_e32 v12, v11
	v_min_u32_e32 v12, 32, v12
	s_delay_alu instid0(VALU_DEP_1) | instskip(SKIP_1) | instid1(VALU_DEP_2)
	v_subrev_nc_u32_e32 v13, 29, v12
	v_sub_nc_u32_e32 v12, 30, v12
	v_lshlrev_b32_e32 v13, v13, v8
	v_bfe_u32 v8, v8, 2, 5
	s_delay_alu instid0(VALU_DEP_1) | instskip(NEXT) | instid1(VALU_DEP_3)
	v_cmp_eq_u32_e32 vcc_lo, 0, v8
	v_dual_cndmask_b32 v8, v8, v12 :: v_dual_and_b32 v13, 3, v13
	s_delay_alu instid0(VALU_DEP_1) | instskip(NEXT) | instid1(VALU_DEP_2)
	v_cndmask_b32_e32 v11, v11, v13, vcc_lo
	v_lshl_add_u32 v8, v8, 23, 0x37800000
	s_delay_alu instid0(VALU_DEP_2) | instskip(NEXT) | instid1(VALU_DEP_1)
	v_lshlrev_b32_e32 v11, 21, v11
	v_or3_b32 v8, v9, v8, v11
	s_delay_alu instid0(VALU_DEP_1)
	v_cvt_i32_f32_e32 v8, v8
.LBB289_1340:
	s_or_b32 exec_lo, exec_lo, s11
	s_mov_b32 s10, 0
	s_branch .LBB289_1346
.LBB289_1341:
	s_mov_b32 s10, -1
                                        ; implicit-def: $vgpr8
	s_branch .LBB289_1352
.LBB289_1342:
	s_or_saveexec_b32 s12, s12
	v_mov_b32_e32 v8, s13
	s_xor_b32 exec_lo, exec_lo, s12
	s_cbranch_execz .LBB289_1328
.LBB289_1343:
	v_cmp_ne_u16_e32 vcc_lo, 0, v9
	v_mov_b32_e32 v8, 0
	s_and_not1_b32 s11, s11, exec_lo
	s_and_b32 s13, vcc_lo, exec_lo
	s_delay_alu instid0(SALU_CYCLE_1)
	s_or_b32 s11, s11, s13
	s_or_b32 exec_lo, exec_lo, s12
	s_and_saveexec_b32 s12, s11
	s_cbranch_execnz .LBB289_1329
	s_branch .LBB289_1330
.LBB289_1344:
	s_mov_b32 s10, -1
                                        ; implicit-def: $vgpr8
	s_branch .LBB289_1349
.LBB289_1345:
	s_mov_b32 s10, -1
                                        ; implicit-def: $vgpr8
.LBB289_1346:
	s_delay_alu instid0(SALU_CYCLE_1)
	s_and_b32 vcc_lo, exec_lo, s10
	s_cbranch_vccz .LBB289_1348
; %bb.1347:
	global_load_u8 v8, v[6:7], off
	s_waitcnt vmcnt(0)
	v_lshlrev_b32_e32 v8, 24, v8
	s_delay_alu instid0(VALU_DEP_1) | instskip(NEXT) | instid1(VALU_DEP_1)
	v_and_b32_e32 v9, 0x7f000000, v8
	v_clz_i32_u32_e32 v11, v9
	v_add_nc_u32_e32 v13, 0x1000000, v9
	v_cmp_ne_u32_e32 vcc_lo, 0, v9
	s_delay_alu instid0(VALU_DEP_3) | instskip(NEXT) | instid1(VALU_DEP_1)
	v_min_u32_e32 v11, 32, v11
	v_sub_nc_u32_e64 v11, v11, 4 clamp
	s_delay_alu instid0(VALU_DEP_1) | instskip(SKIP_1) | instid1(VALU_DEP_2)
	v_lshlrev_b32_e32 v12, v11, v9
	v_lshlrev_b32_e32 v11, 23, v11
	v_lshrrev_b32_e32 v12, 4, v12
	s_delay_alu instid0(VALU_DEP_1) | instskip(SKIP_1) | instid1(VALU_DEP_2)
	v_sub_nc_u32_e32 v11, v12, v11
	v_ashrrev_i32_e32 v12, 8, v13
	v_add_nc_u32_e32 v11, 0x3c000000, v11
	s_delay_alu instid0(VALU_DEP_1) | instskip(NEXT) | instid1(VALU_DEP_1)
	v_and_or_b32 v11, 0x7f800000, v12, v11
	v_cndmask_b32_e32 v9, 0, v11, vcc_lo
	s_delay_alu instid0(VALU_DEP_1) | instskip(NEXT) | instid1(VALU_DEP_1)
	v_and_or_b32 v8, 0x80000000, v8, v9
	v_cvt_i32_f32_e32 v8, v8
.LBB289_1348:
	s_mov_b32 s10, 0
.LBB289_1349:
	s_delay_alu instid0(SALU_CYCLE_1)
	s_and_not1_b32 vcc_lo, exec_lo, s10
	s_cbranch_vccnz .LBB289_1351
; %bb.1350:
	global_load_u8 v8, v[6:7], off
	s_waitcnt vmcnt(0)
	v_lshlrev_b32_e32 v9, 25, v8
	v_lshlrev_b16 v8, 8, v8
	s_delay_alu instid0(VALU_DEP_2) | instskip(NEXT) | instid1(VALU_DEP_2)
	v_lshrrev_b32_e32 v11, 4, v9
	v_and_or_b32 v12, 0x7f00, v8, 0.5
	v_cmp_gt_u32_e32 vcc_lo, 0x8000000, v9
	v_bfe_i32 v8, v8, 0, 16
	s_delay_alu instid0(VALU_DEP_4) | instskip(NEXT) | instid1(VALU_DEP_1)
	v_or_b32_e32 v11, 0x70000000, v11
	v_dual_add_f32 v12, -0.5, v12 :: v_dual_mul_f32 v11, 0x7800000, v11
	s_delay_alu instid0(VALU_DEP_1) | instskip(NEXT) | instid1(VALU_DEP_1)
	v_cndmask_b32_e32 v9, v11, v12, vcc_lo
	v_and_or_b32 v8, 0x80000000, v8, v9
	s_delay_alu instid0(VALU_DEP_1)
	v_cvt_i32_f32_e32 v8, v8
.LBB289_1351:
	s_mov_b32 s10, 0
	s_mov_b32 s11, -1
.LBB289_1352:
	s_and_not1_b32 vcc_lo, exec_lo, s10
	s_mov_b32 s10, 0
	s_cbranch_vccnz .LBB289_1363
; %bb.1353:
	v_cmp_gt_i16_e64 s10, s2, 14
	s_delay_alu instid0(VALU_DEP_1)
	s_and_b32 vcc_lo, exec_lo, s10
	s_cbranch_vccz .LBB289_1356
; %bb.1354:
	v_cmp_eq_u16_e64 s3, s2, 15
	s_delay_alu instid0(VALU_DEP_1)
	s_and_b32 vcc_lo, exec_lo, s3
	s_cbranch_vccz .LBB289_1359
; %bb.1355:
	global_load_u16 v8, v[6:7], off
	s_mov_b32 s3, 0
	s_mov_b32 s11, -1
	s_waitcnt vmcnt(0)
	v_lshlrev_b32_e32 v8, 16, v8
	s_delay_alu instid0(VALU_DEP_1)
	v_cvt_i32_f32_e32 v8, v8
	s_branch .LBB289_1360
.LBB289_1356:
	s_mov_b32 s10, -1
                                        ; implicit-def: $vgpr8
	s_branch .LBB289_1361
.LBB289_1357:
	s_or_saveexec_b32 s11, s11
	v_mov_b32_e32 v8, s12
	s_xor_b32 exec_lo, exec_lo, s11
	s_cbranch_execz .LBB289_1338
.LBB289_1358:
	v_cmp_ne_u16_e32 vcc_lo, 0, v9
	v_mov_b32_e32 v8, 0
	s_and_not1_b32 s10, s10, exec_lo
	s_and_b32 s12, vcc_lo, exec_lo
	s_delay_alu instid0(SALU_CYCLE_1)
	s_or_b32 s10, s10, s12
	s_or_b32 exec_lo, exec_lo, s11
	s_and_saveexec_b32 s11, s10
	s_cbranch_execnz .LBB289_1339
	s_branch .LBB289_1340
.LBB289_1359:
	s_mov_b32 s3, -1
                                        ; implicit-def: $vgpr8
.LBB289_1360:
	s_mov_b32 s10, 0
.LBB289_1361:
	s_delay_alu instid0(SALU_CYCLE_1)
	s_and_b32 vcc_lo, exec_lo, s10
	s_mov_b32 s10, 0
	s_cbranch_vccz .LBB289_1363
; %bb.1362:
	v_cmp_ne_u16_e64 s3, s2, 11
	s_mov_b32 s10, -1
                                        ; implicit-def: $vgpr8
.LBB289_1363:
	s_delay_alu instid0(VALU_DEP_1)
	s_and_b32 vcc_lo, exec_lo, s3
	s_cbranch_vccnz .LBB289_1387
; %bb.1364:
	s_and_not1_b32 vcc_lo, exec_lo, s10
	s_cbranch_vccnz .LBB289_1366
.LBB289_1365:
	global_load_u8 v8, v[6:7], off
	s_mov_b32 s11, -1
	s_waitcnt vmcnt(0)
	v_cmp_ne_u16_e32 vcc_lo, 0, v8
	v_cndmask_b32_e64 v8, 0, 1, vcc_lo
.LBB289_1366:
.LBB289_1367:
	s_and_not1_b32 vcc_lo, exec_lo, s11
	s_cbranch_vccnz .LBB289_2057
.LBB289_1368:
	v_cmp_lt_i16_e64 s3, s2, 11
	s_waitcnt vmcnt(0)
	v_add_co_u32 v11, s10, s6, v5
	s_delay_alu instid0(VALU_DEP_1) | instskip(NEXT) | instid1(VALU_DEP_3)
	v_add_co_ci_u32_e64 v12, null, s7, 0, s10
	s_and_b32 vcc_lo, exec_lo, s3
	s_mov_b32 s11, 0
	s_cbranch_vccnz .LBB289_1375
; %bb.1369:
	v_cmp_gt_i16_e64 s3, s2, 25
	s_mov_b32 s10, 0
	s_delay_alu instid0(VALU_DEP_1)
	s_and_b32 vcc_lo, exec_lo, s3
	s_cbranch_vccz .LBB289_1381
; %bb.1370:
	v_cmp_gt_i16_e64 s3, s2, 28
	s_delay_alu instid0(VALU_DEP_1)
	s_and_b32 vcc_lo, exec_lo, s3
	s_cbranch_vccz .LBB289_1383
; %bb.1371:
	v_cmp_gt_i16_e64 s3, s2, 43
	;; [unrolled: 5-line block ×3, first 2 shown]
	s_delay_alu instid0(VALU_DEP_1)
	s_and_b32 vcc_lo, exec_lo, s3
	s_cbranch_vccz .LBB289_1389
; %bb.1373:
	v_cmp_eq_u16_e64 s3, s2, 46
	s_mov_b32 s12, 0
	s_delay_alu instid0(VALU_DEP_1)
	s_and_b32 vcc_lo, exec_lo, s3
	s_cbranch_vccz .LBB289_1432
; %bb.1374:
	global_load_b32 v5, v[11:12], off
	s_mov_b32 s3, 0
	s_mov_b32 s11, -1
	s_waitcnt vmcnt(0)
	v_lshlrev_b32_e32 v5, 16, v5
	s_delay_alu instid0(VALU_DEP_1)
	v_cvt_i32_f32_e32 v6, v5
	s_branch .LBB289_1434
.LBB289_1375:
                                        ; implicit-def: $vgpr6
	s_cbranch_execz .LBB289_1496
; %bb.1376:
	v_cmp_lt_i16_e64 s3, s2, 5
	s_delay_alu instid0(VALU_DEP_1)
	s_and_b32 vcc_lo, exec_lo, s3
	s_cbranch_vccnz .LBB289_1382
; %bb.1377:
	v_cmp_lt_i16_e64 s3, s2, 8
	s_delay_alu instid0(VALU_DEP_1)
	s_and_b32 vcc_lo, exec_lo, s3
	s_cbranch_vccnz .LBB289_1384
	;; [unrolled: 5-line block ×3, first 2 shown]
; %bb.1379:
	v_cmp_gt_i16_e64 s3, s2, 9
	s_delay_alu instid0(VALU_DEP_1)
	s_and_b32 vcc_lo, exec_lo, s3
	s_cbranch_vccz .LBB289_1390
; %bb.1380:
	global_load_b64 v[5:6], v[11:12], off
	s_mov_b32 s3, 0
	s_waitcnt vmcnt(0)
	v_cvt_i32_f64_e32 v6, v[5:6]
	s_branch .LBB289_1391
.LBB289_1381:
	s_mov_b32 s12, -1
	s_mov_b32 s3, 0
                                        ; implicit-def: $vgpr6
	s_branch .LBB289_1461
.LBB289_1382:
	s_mov_b32 s3, -1
                                        ; implicit-def: $vgpr6
	s_branch .LBB289_1409
.LBB289_1383:
	s_mov_b32 s12, -1
	s_mov_b32 s3, 0
                                        ; implicit-def: $vgpr6
	s_branch .LBB289_1444
.LBB289_1384:
	s_mov_b32 s3, -1
                                        ; implicit-def: $vgpr6
	s_branch .LBB289_1397
.LBB289_1385:
	s_mov_b32 s12, -1
	s_mov_b32 s3, 0
                                        ; implicit-def: $vgpr6
	s_branch .LBB289_1439
.LBB289_1386:
	s_mov_b32 s3, -1
                                        ; implicit-def: $vgpr6
	s_branch .LBB289_1394
.LBB289_1387:
	s_cbranch_execnz .LBB289_1430
; %bb.1388:
	s_or_b32 s1, s1, exec_lo
                                        ; implicit-def: $vgpr8
	s_cbranch_execz .LBB289_1365
	s_branch .LBB289_1366
.LBB289_1389:
	s_mov_b32 s12, -1
	s_mov_b32 s3, 0
	s_branch .LBB289_1433
.LBB289_1390:
	s_mov_b32 s3, -1
                                        ; implicit-def: $vgpr6
.LBB289_1391:
	s_delay_alu instid0(SALU_CYCLE_1)
	s_and_not1_b32 vcc_lo, exec_lo, s3
	s_cbranch_vccnz .LBB289_1393
; %bb.1392:
	global_load_b32 v5, v[11:12], off
	s_waitcnt vmcnt(0)
	v_cvt_i32_f32_e32 v6, v5
.LBB289_1393:
	s_mov_b32 s3, 0
.LBB289_1394:
	s_delay_alu instid0(SALU_CYCLE_1)
	s_and_not1_b32 vcc_lo, exec_lo, s3
	s_cbranch_vccnz .LBB289_1396
; %bb.1395:
	global_load_b32 v5, v[11:12], off
	s_waitcnt vmcnt(0)
	v_cvt_i16_f16_e32 v6, v5
.LBB289_1396:
	s_mov_b32 s3, 0
.LBB289_1397:
	s_delay_alu instid0(SALU_CYCLE_1)
	s_and_not1_b32 vcc_lo, exec_lo, s3
	s_cbranch_vccnz .LBB289_1408
; %bb.1398:
	v_cmp_lt_i16_e64 s3, s2, 6
	s_delay_alu instid0(VALU_DEP_1)
	s_and_b32 vcc_lo, exec_lo, s3
	s_cbranch_vccnz .LBB289_1401
; %bb.1399:
	v_cmp_gt_i16_e64 s3, s2, 6
	s_delay_alu instid0(VALU_DEP_1)
	s_and_b32 vcc_lo, exec_lo, s3
	s_cbranch_vccz .LBB289_1402
; %bb.1400:
	global_load_b64 v[5:6], v[11:12], off
	s_mov_b32 s3, 0
	s_waitcnt vmcnt(0)
	v_cvt_i32_f64_e32 v6, v[5:6]
	s_branch .LBB289_1403
.LBB289_1401:
	s_mov_b32 s3, -1
                                        ; implicit-def: $vgpr6
	s_branch .LBB289_1406
.LBB289_1402:
	s_mov_b32 s3, -1
                                        ; implicit-def: $vgpr6
.LBB289_1403:
	s_delay_alu instid0(SALU_CYCLE_1)
	s_and_not1_b32 vcc_lo, exec_lo, s3
	s_cbranch_vccnz .LBB289_1405
; %bb.1404:
	global_load_b32 v5, v[11:12], off
	s_waitcnt vmcnt(0)
	v_cvt_i32_f32_e32 v6, v5
.LBB289_1405:
	s_mov_b32 s3, 0
.LBB289_1406:
	s_delay_alu instid0(SALU_CYCLE_1)
	s_and_not1_b32 vcc_lo, exec_lo, s3
	s_cbranch_vccnz .LBB289_1408
; %bb.1407:
	global_load_u16 v5, v[11:12], off
	s_waitcnt vmcnt(0)
	v_cvt_i16_f16_e32 v6, v5
.LBB289_1408:
	s_mov_b32 s3, 0
.LBB289_1409:
	s_delay_alu instid0(SALU_CYCLE_1)
	s_and_not1_b32 vcc_lo, exec_lo, s3
	s_cbranch_vccnz .LBB289_1429
; %bb.1410:
	v_cmp_lt_i16_e64 s3, s2, 2
	s_delay_alu instid0(VALU_DEP_1)
	s_and_b32 vcc_lo, exec_lo, s3
	s_cbranch_vccnz .LBB289_1414
; %bb.1411:
	v_cmp_lt_i16_e64 s3, s2, 3
	s_delay_alu instid0(VALU_DEP_1)
	s_and_b32 vcc_lo, exec_lo, s3
	s_cbranch_vccnz .LBB289_1415
; %bb.1412:
	v_cmp_gt_i16_e64 s3, s2, 3
	s_delay_alu instid0(VALU_DEP_1)
	s_and_b32 vcc_lo, exec_lo, s3
	s_cbranch_vccz .LBB289_1416
; %bb.1413:
	global_load_b64 v[6:7], v[11:12], off
	s_mov_b32 s3, 0
	s_branch .LBB289_1417
.LBB289_1414:
	s_mov_b32 s3, -1
                                        ; implicit-def: $vgpr6
	s_branch .LBB289_1423
.LBB289_1415:
	s_mov_b32 s3, -1
                                        ; implicit-def: $vgpr6
	s_branch .LBB289_1420
.LBB289_1416:
	s_mov_b32 s3, -1
                                        ; implicit-def: $vgpr6
.LBB289_1417:
	s_delay_alu instid0(SALU_CYCLE_1)
	s_and_not1_b32 vcc_lo, exec_lo, s3
	s_cbranch_vccnz .LBB289_1419
; %bb.1418:
	global_load_b32 v6, v[11:12], off
.LBB289_1419:
	s_mov_b32 s3, 0
.LBB289_1420:
	s_delay_alu instid0(SALU_CYCLE_1)
	s_and_not1_b32 vcc_lo, exec_lo, s3
	s_cbranch_vccnz .LBB289_1422
; %bb.1421:
	global_load_u16 v6, v[11:12], off
.LBB289_1422:
	s_mov_b32 s3, 0
.LBB289_1423:
	s_delay_alu instid0(SALU_CYCLE_1)
	s_and_not1_b32 vcc_lo, exec_lo, s3
	s_cbranch_vccnz .LBB289_1429
; %bb.1424:
	v_cmp_gt_i16_e64 s3, s2, 0
	s_delay_alu instid0(VALU_DEP_1)
	s_and_b32 vcc_lo, exec_lo, s3
	s_mov_b32 s3, 0
	s_cbranch_vccz .LBB289_1426
; %bb.1425:
	global_load_u8 v6, v[11:12], off
	s_branch .LBB289_1427
.LBB289_1426:
	s_mov_b32 s3, -1
                                        ; implicit-def: $vgpr6
.LBB289_1427:
	s_delay_alu instid0(SALU_CYCLE_1)
	s_and_not1_b32 vcc_lo, exec_lo, s3
	s_cbranch_vccnz .LBB289_1429
; %bb.1428:
	global_load_u8 v6, v[11:12], off
.LBB289_1429:
	s_branch .LBB289_1497
.LBB289_1430:
	s_trap 2
	s_sendmsg_rtn_b32 s0, sendmsg(MSG_RTN_GET_DOORBELL)
	s_mov_b32 ttmp2, m0
	s_waitcnt lgkmcnt(0)
	s_and_b32 s0, s0, 0x3ff
	s_delay_alu instid0(SALU_CYCLE_1) | instskip(NEXT) | instid1(SALU_CYCLE_1)
	s_bitset1_b32 s0, 10
	s_mov_b32 m0, s0
	s_sendmsg sendmsg(MSG_INTERRUPT)
	s_mov_b32 m0, ttmp2
.LBB289_1431:                           ; =>This Inner Loop Header: Depth=1
	s_sethalt 5
	s_branch .LBB289_1431
.LBB289_1432:
	s_mov_b32 s3, -1
.LBB289_1433:
                                        ; implicit-def: $vgpr6
.LBB289_1434:
	s_and_b32 vcc_lo, exec_lo, s12
	s_cbranch_vccz .LBB289_1438
; %bb.1435:
	v_cmp_eq_u16_e64 s3, s2, 44
	s_delay_alu instid0(VALU_DEP_1)
	s_and_b32 vcc_lo, exec_lo, s3
	s_cbranch_vccz .LBB289_1437
; %bb.1436:
	global_load_u8 v5, v[11:12], off
	s_mov_b32 s3, 0
	s_mov_b32 s11, -1
	s_waitcnt vmcnt(0)
	v_lshlrev_b32_e32 v6, 23, v5
	v_cmp_ne_u32_e32 vcc_lo, 0, v5
	s_delay_alu instid0(VALU_DEP_2) | instskip(NEXT) | instid1(VALU_DEP_1)
	v_cvt_i32_f32_e32 v6, v6
	v_cndmask_b32_e32 v6, 0, v6, vcc_lo
	s_branch .LBB289_1438
.LBB289_1437:
	s_mov_b32 s3, -1
                                        ; implicit-def: $vgpr6
.LBB289_1438:
	s_mov_b32 s12, 0
.LBB289_1439:
	s_delay_alu instid0(SALU_CYCLE_1)
	s_and_b32 vcc_lo, exec_lo, s12
	s_cbranch_vccz .LBB289_1443
; %bb.1440:
	v_cmp_eq_u16_e64 s3, s2, 29
	s_delay_alu instid0(VALU_DEP_1)
	s_and_b32 vcc_lo, exec_lo, s3
	s_cbranch_vccz .LBB289_1442
; %bb.1441:
	global_load_b64 v[6:7], v[11:12], off
	s_mov_b32 s3, 0
	s_mov_b32 s11, -1
	s_branch .LBB289_1443
.LBB289_1442:
	s_mov_b32 s3, -1
                                        ; implicit-def: $vgpr6
.LBB289_1443:
	s_mov_b32 s12, 0
.LBB289_1444:
	s_delay_alu instid0(SALU_CYCLE_1)
	s_and_b32 vcc_lo, exec_lo, s12
	s_cbranch_vccz .LBB289_1460
; %bb.1445:
	v_cmp_lt_i16_e64 s11, s2, 27
	s_delay_alu instid0(VALU_DEP_1)
	s_and_b32 vcc_lo, exec_lo, s11
	s_cbranch_vccnz .LBB289_1448
; %bb.1446:
	v_cmp_gt_i16_e64 s11, s2, 27
	s_delay_alu instid0(VALU_DEP_1)
	s_and_b32 vcc_lo, exec_lo, s11
	s_cbranch_vccz .LBB289_1449
; %bb.1447:
	global_load_b32 v6, v[11:12], off
	s_mov_b32 s11, 0
	s_branch .LBB289_1450
.LBB289_1448:
	s_mov_b32 s11, -1
                                        ; implicit-def: $vgpr6
	s_branch .LBB289_1453
.LBB289_1449:
	s_mov_b32 s11, -1
                                        ; implicit-def: $vgpr6
.LBB289_1450:
	s_delay_alu instid0(SALU_CYCLE_1)
	s_and_not1_b32 vcc_lo, exec_lo, s11
	s_cbranch_vccnz .LBB289_1452
; %bb.1451:
	global_load_u16 v6, v[11:12], off
.LBB289_1452:
	s_mov_b32 s11, 0
.LBB289_1453:
	s_delay_alu instid0(SALU_CYCLE_1)
	s_and_not1_b32 vcc_lo, exec_lo, s11
	s_cbranch_vccnz .LBB289_1459
; %bb.1454:
	global_load_u8 v5, v[11:12], off
	s_mov_b32 s11, 0
	s_mov_b32 s12, exec_lo
                                        ; implicit-def: $sgpr13
	s_waitcnt vmcnt(0)
	v_cmpx_lt_i16_e32 0x7f, v5
	s_xor_b32 s12, exec_lo, s12
	s_cbranch_execz .LBB289_1471
; %bb.1455:
	v_cmp_ne_u16_e32 vcc_lo, 0x80, v5
	s_mov_b32 s13, 0
	s_and_b32 s11, vcc_lo, exec_lo
	s_or_saveexec_b32 s12, s12
	v_mov_b32_e32 v6, s13
	s_xor_b32 exec_lo, exec_lo, s12
	s_cbranch_execnz .LBB289_1472
.LBB289_1456:
	s_or_b32 exec_lo, exec_lo, s12
	s_and_saveexec_b32 s12, s11
	s_cbranch_execz .LBB289_1458
.LBB289_1457:
	v_and_b32_e32 v6, 0xffff, v5
	v_lshlrev_b32_e32 v5, 24, v5
	s_delay_alu instid0(VALU_DEP_2) | instskip(NEXT) | instid1(VALU_DEP_2)
	v_and_b32_e32 v7, 7, v6
	v_and_b32_e32 v5, 0x80000000, v5
	s_delay_alu instid0(VALU_DEP_2) | instskip(NEXT) | instid1(VALU_DEP_1)
	v_clz_i32_u32_e32 v9, v7
	v_min_u32_e32 v9, 32, v9
	s_delay_alu instid0(VALU_DEP_1) | instskip(SKIP_1) | instid1(VALU_DEP_2)
	v_subrev_nc_u32_e32 v13, 28, v9
	v_sub_nc_u32_e32 v9, 29, v9
	v_lshlrev_b32_e32 v13, v13, v6
	v_bfe_u32 v6, v6, 3, 4
	s_delay_alu instid0(VALU_DEP_2) | instskip(NEXT) | instid1(VALU_DEP_2)
	v_and_b32_e32 v13, 7, v13
	v_cmp_eq_u32_e32 vcc_lo, 0, v6
	v_cndmask_b32_e32 v6, v6, v9, vcc_lo
	s_delay_alu instid0(VALU_DEP_3) | instskip(NEXT) | instid1(VALU_DEP_2)
	v_cndmask_b32_e32 v7, v7, v13, vcc_lo
	v_lshl_add_u32 v6, v6, 23, 0x3b800000
	s_delay_alu instid0(VALU_DEP_2) | instskip(NEXT) | instid1(VALU_DEP_1)
	v_lshlrev_b32_e32 v7, 20, v7
	v_or3_b32 v5, v5, v6, v7
	s_delay_alu instid0(VALU_DEP_1)
	v_cvt_i32_f32_e32 v6, v5
.LBB289_1458:
	s_or_b32 exec_lo, exec_lo, s12
.LBB289_1459:
	s_mov_b32 s11, -1
.LBB289_1460:
	s_mov_b32 s12, 0
.LBB289_1461:
	s_delay_alu instid0(SALU_CYCLE_1)
	s_and_b32 vcc_lo, exec_lo, s12
	s_cbranch_vccz .LBB289_1492
; %bb.1462:
	v_cmp_gt_i16_e64 s10, s2, 22
	s_delay_alu instid0(VALU_DEP_1)
	s_and_b32 vcc_lo, exec_lo, s10
	s_cbranch_vccz .LBB289_1470
; %bb.1463:
	v_cmp_lt_i16_e64 s10, s2, 24
	s_delay_alu instid0(VALU_DEP_1)
	s_and_b32 vcc_lo, exec_lo, s10
	s_cbranch_vccnz .LBB289_1473
; %bb.1464:
	v_cmp_gt_i16_e64 s10, s2, 24
	s_delay_alu instid0(VALU_DEP_1)
	s_and_b32 vcc_lo, exec_lo, s10
	s_cbranch_vccz .LBB289_1474
; %bb.1465:
	global_load_u8 v5, v[11:12], off
	s_mov_b32 s10, 0
	s_mov_b32 s11, exec_lo
                                        ; implicit-def: $sgpr12
	s_waitcnt vmcnt(0)
	v_cmpx_lt_i16_e32 0x7f, v5
	s_xor_b32 s11, exec_lo, s11
	s_cbranch_execz .LBB289_1486
; %bb.1466:
	v_cmp_ne_u16_e32 vcc_lo, 0x80, v5
	s_mov_b32 s12, 0
	s_and_b32 s10, vcc_lo, exec_lo
	s_or_saveexec_b32 s11, s11
	v_mov_b32_e32 v6, s12
	s_xor_b32 exec_lo, exec_lo, s11
	s_cbranch_execnz .LBB289_1487
.LBB289_1467:
	s_or_b32 exec_lo, exec_lo, s11
	s_and_saveexec_b32 s11, s10
	s_cbranch_execz .LBB289_1469
.LBB289_1468:
	v_and_b32_e32 v6, 0xffff, v5
	v_lshlrev_b32_e32 v5, 24, v5
	s_delay_alu instid0(VALU_DEP_2) | instskip(NEXT) | instid1(VALU_DEP_2)
	v_and_b32_e32 v7, 3, v6
	v_and_b32_e32 v5, 0x80000000, v5
	s_delay_alu instid0(VALU_DEP_2) | instskip(NEXT) | instid1(VALU_DEP_1)
	v_clz_i32_u32_e32 v9, v7
	v_min_u32_e32 v9, 32, v9
	s_delay_alu instid0(VALU_DEP_1) | instskip(SKIP_1) | instid1(VALU_DEP_2)
	v_subrev_nc_u32_e32 v13, 29, v9
	v_sub_nc_u32_e32 v9, 30, v9
	v_lshlrev_b32_e32 v13, v13, v6
	v_bfe_u32 v6, v6, 2, 5
	s_delay_alu instid0(VALU_DEP_2) | instskip(NEXT) | instid1(VALU_DEP_2)
	v_and_b32_e32 v13, 3, v13
	v_cmp_eq_u32_e32 vcc_lo, 0, v6
	v_cndmask_b32_e32 v6, v6, v9, vcc_lo
	s_delay_alu instid0(VALU_DEP_3) | instskip(NEXT) | instid1(VALU_DEP_2)
	v_cndmask_b32_e32 v7, v7, v13, vcc_lo
	v_lshl_add_u32 v6, v6, 23, 0x37800000
	s_delay_alu instid0(VALU_DEP_2) | instskip(NEXT) | instid1(VALU_DEP_1)
	v_lshlrev_b32_e32 v7, 21, v7
	v_or3_b32 v5, v5, v6, v7
	s_delay_alu instid0(VALU_DEP_1)
	v_cvt_i32_f32_e32 v6, v5
.LBB289_1469:
	s_or_b32 exec_lo, exec_lo, s11
	s_mov_b32 s10, 0
	s_branch .LBB289_1475
.LBB289_1470:
	s_mov_b32 s10, -1
                                        ; implicit-def: $vgpr6
	s_branch .LBB289_1481
.LBB289_1471:
	s_or_saveexec_b32 s12, s12
	v_mov_b32_e32 v6, s13
	s_xor_b32 exec_lo, exec_lo, s12
	s_cbranch_execz .LBB289_1456
.LBB289_1472:
	v_cmp_ne_u16_e32 vcc_lo, 0, v5
	v_mov_b32_e32 v6, 0
	s_and_not1_b32 s11, s11, exec_lo
	s_and_b32 s13, vcc_lo, exec_lo
	s_delay_alu instid0(SALU_CYCLE_1)
	s_or_b32 s11, s11, s13
	s_or_b32 exec_lo, exec_lo, s12
	s_and_saveexec_b32 s12, s11
	s_cbranch_execnz .LBB289_1457
	s_branch .LBB289_1458
.LBB289_1473:
	s_mov_b32 s10, -1
                                        ; implicit-def: $vgpr6
	s_branch .LBB289_1478
.LBB289_1474:
	s_mov_b32 s10, -1
                                        ; implicit-def: $vgpr6
.LBB289_1475:
	s_delay_alu instid0(SALU_CYCLE_1)
	s_and_b32 vcc_lo, exec_lo, s10
	s_cbranch_vccz .LBB289_1477
; %bb.1476:
	global_load_u8 v5, v[11:12], off
	s_waitcnt vmcnt(0)
	v_lshlrev_b32_e32 v5, 24, v5
	s_delay_alu instid0(VALU_DEP_1) | instskip(NEXT) | instid1(VALU_DEP_1)
	v_and_b32_e32 v6, 0x7f000000, v5
	v_clz_i32_u32_e32 v7, v6
	v_add_nc_u32_e32 v13, 0x1000000, v6
	v_cmp_ne_u32_e32 vcc_lo, 0, v6
	s_delay_alu instid0(VALU_DEP_3) | instskip(NEXT) | instid1(VALU_DEP_1)
	v_min_u32_e32 v7, 32, v7
	v_sub_nc_u32_e64 v7, v7, 4 clamp
	s_delay_alu instid0(VALU_DEP_1) | instskip(SKIP_1) | instid1(VALU_DEP_2)
	v_lshlrev_b32_e32 v9, v7, v6
	v_lshlrev_b32_e32 v7, 23, v7
	v_lshrrev_b32_e32 v9, 4, v9
	s_delay_alu instid0(VALU_DEP_1) | instskip(SKIP_1) | instid1(VALU_DEP_2)
	v_sub_nc_u32_e32 v7, v9, v7
	v_ashrrev_i32_e32 v9, 8, v13
	v_add_nc_u32_e32 v7, 0x3c000000, v7
	s_delay_alu instid0(VALU_DEP_1) | instskip(NEXT) | instid1(VALU_DEP_1)
	v_and_or_b32 v7, 0x7f800000, v9, v7
	v_cndmask_b32_e32 v6, 0, v7, vcc_lo
	s_delay_alu instid0(VALU_DEP_1) | instskip(NEXT) | instid1(VALU_DEP_1)
	v_and_or_b32 v5, 0x80000000, v5, v6
	v_cvt_i32_f32_e32 v6, v5
.LBB289_1477:
	s_mov_b32 s10, 0
.LBB289_1478:
	s_delay_alu instid0(SALU_CYCLE_1)
	s_and_not1_b32 vcc_lo, exec_lo, s10
	s_cbranch_vccnz .LBB289_1480
; %bb.1479:
	global_load_u8 v5, v[11:12], off
	s_waitcnt vmcnt(0)
	v_lshlrev_b32_e32 v6, 25, v5
	v_lshlrev_b16 v5, 8, v5
	s_delay_alu instid0(VALU_DEP_2) | instskip(NEXT) | instid1(VALU_DEP_2)
	v_lshrrev_b32_e32 v7, 4, v6
	v_and_or_b32 v9, 0x7f00, v5, 0.5
	v_bfe_i32 v5, v5, 0, 16
	s_delay_alu instid0(VALU_DEP_3) | instskip(NEXT) | instid1(VALU_DEP_3)
	v_or_b32_e32 v7, 0x70000000, v7
	v_add_f32_e32 v9, -0.5, v9
	s_delay_alu instid0(VALU_DEP_2) | instskip(SKIP_1) | instid1(VALU_DEP_2)
	v_mul_f32_e32 v7, 0x7800000, v7
	v_cmp_gt_u32_e32 vcc_lo, 0x8000000, v6
	v_cndmask_b32_e32 v6, v7, v9, vcc_lo
	s_delay_alu instid0(VALU_DEP_1) | instskip(NEXT) | instid1(VALU_DEP_1)
	v_and_or_b32 v5, 0x80000000, v5, v6
	v_cvt_i32_f32_e32 v6, v5
.LBB289_1480:
	s_mov_b32 s10, 0
	s_mov_b32 s11, -1
.LBB289_1481:
	s_and_not1_b32 vcc_lo, exec_lo, s10
	s_mov_b32 s10, 0
	s_cbranch_vccnz .LBB289_1492
; %bb.1482:
	v_cmp_gt_i16_e64 s10, s2, 14
	s_delay_alu instid0(VALU_DEP_1)
	s_and_b32 vcc_lo, exec_lo, s10
	s_cbranch_vccz .LBB289_1485
; %bb.1483:
	v_cmp_eq_u16_e64 s3, s2, 15
	s_delay_alu instid0(VALU_DEP_1)
	s_and_b32 vcc_lo, exec_lo, s3
	s_cbranch_vccz .LBB289_1488
; %bb.1484:
	global_load_u16 v5, v[11:12], off
	s_mov_b32 s3, 0
	s_mov_b32 s11, -1
	s_waitcnt vmcnt(0)
	v_lshlrev_b32_e32 v5, 16, v5
	s_delay_alu instid0(VALU_DEP_1)
	v_cvt_i32_f32_e32 v6, v5
	s_branch .LBB289_1489
.LBB289_1485:
	s_mov_b32 s10, -1
                                        ; implicit-def: $vgpr6
	s_branch .LBB289_1490
.LBB289_1486:
	s_or_saveexec_b32 s11, s11
	v_mov_b32_e32 v6, s12
	s_xor_b32 exec_lo, exec_lo, s11
	s_cbranch_execz .LBB289_1467
.LBB289_1487:
	v_cmp_ne_u16_e32 vcc_lo, 0, v5
	v_mov_b32_e32 v6, 0
	s_and_not1_b32 s10, s10, exec_lo
	s_and_b32 s12, vcc_lo, exec_lo
	s_delay_alu instid0(SALU_CYCLE_1)
	s_or_b32 s10, s10, s12
	s_or_b32 exec_lo, exec_lo, s11
	s_and_saveexec_b32 s11, s10
	s_cbranch_execnz .LBB289_1468
	s_branch .LBB289_1469
.LBB289_1488:
	s_mov_b32 s3, -1
                                        ; implicit-def: $vgpr6
.LBB289_1489:
	s_mov_b32 s10, 0
.LBB289_1490:
	s_delay_alu instid0(SALU_CYCLE_1)
	s_and_b32 vcc_lo, exec_lo, s10
	s_mov_b32 s10, 0
	s_cbranch_vccz .LBB289_1492
; %bb.1491:
	v_cmp_ne_u16_e64 s3, s2, 11
	s_mov_b32 s10, -1
                                        ; implicit-def: $vgpr6
.LBB289_1492:
	s_delay_alu instid0(VALU_DEP_1)
	s_and_b32 vcc_lo, exec_lo, s3
	s_cbranch_vccnz .LBB289_1508
; %bb.1493:
	s_and_not1_b32 vcc_lo, exec_lo, s10
	s_cbranch_vccnz .LBB289_1495
.LBB289_1494:
	global_load_u8 v5, v[11:12], off
	s_mov_b32 s11, -1
	s_waitcnt vmcnt(0)
	v_cmp_ne_u16_e32 vcc_lo, 0, v5
	v_cndmask_b32_e64 v6, 0, 1, vcc_lo
.LBB289_1495:
.LBB289_1496:
	s_and_not1_b32 vcc_lo, exec_lo, s11
	s_cbranch_vccnz .LBB289_2057
.LBB289_1497:
	v_cmp_lt_i16_e64 s3, s2, 11
	v_add_co_u32 v11, s6, s6, v4
	s_delay_alu instid0(VALU_DEP_1) | instskip(NEXT) | instid1(VALU_DEP_3)
	v_add_co_ci_u32_e64 v12, null, s7, 0, s6
	s_and_b32 vcc_lo, exec_lo, s3
	s_mov_b32 s7, 0
	s_cbranch_vccnz .LBB289_1504
; %bb.1498:
	v_cmp_gt_i16_e64 s3, s2, 25
	s_mov_b32 s6, 0
	s_delay_alu instid0(VALU_DEP_1)
	s_and_b32 vcc_lo, exec_lo, s3
	s_cbranch_vccz .LBB289_1505
; %bb.1499:
	v_cmp_gt_i16_e64 s3, s2, 28
	s_delay_alu instid0(VALU_DEP_1)
	s_and_b32 vcc_lo, exec_lo, s3
	s_cbranch_vccz .LBB289_1506
; %bb.1500:
	v_cmp_gt_i16_e64 s3, s2, 43
	;; [unrolled: 5-line block ×3, first 2 shown]
	s_delay_alu instid0(VALU_DEP_1)
	s_and_b32 vcc_lo, exec_lo, s3
	s_cbranch_vccz .LBB289_1510
; %bb.1502:
	v_cmp_eq_u16_e64 s3, s2, 46
	s_mov_b32 s10, 0
	s_delay_alu instid0(VALU_DEP_1)
	s_and_b32 vcc_lo, exec_lo, s3
	s_cbranch_vccz .LBB289_1513
; %bb.1503:
	global_load_b32 v4, v[11:12], off
	s_mov_b32 s3, 0
	s_mov_b32 s7, -1
	s_waitcnt vmcnt(0)
	v_lshlrev_b32_e32 v4, 16, v4
	s_delay_alu instid0(VALU_DEP_1)
	v_cvt_i32_f32_e32 v4, v4
	s_branch .LBB289_1515
.LBB289_1504:
	s_mov_b32 s3, -1
                                        ; implicit-def: $vgpr4
	s_branch .LBB289_1577
.LBB289_1505:
	s_mov_b32 s10, -1
	s_mov_b32 s3, 0
                                        ; implicit-def: $vgpr4
	s_branch .LBB289_1542
.LBB289_1506:
	s_mov_b32 s10, -1
	s_mov_b32 s3, 0
                                        ; implicit-def: $vgpr4
	s_branch .LBB289_1525
.LBB289_1507:
	s_mov_b32 s10, -1
	s_mov_b32 s3, 0
                                        ; implicit-def: $vgpr4
	s_branch .LBB289_1520
.LBB289_1508:
	s_cbranch_execnz .LBB289_1511
; %bb.1509:
	s_or_b32 s1, s1, exec_lo
                                        ; implicit-def: $vgpr6
	s_cbranch_execz .LBB289_1494
	s_branch .LBB289_1495
.LBB289_1510:
	s_mov_b32 s10, -1
	s_mov_b32 s3, 0
	s_branch .LBB289_1514
.LBB289_1511:
	s_trap 2
	s_sendmsg_rtn_b32 s0, sendmsg(MSG_RTN_GET_DOORBELL)
	s_mov_b32 ttmp2, m0
	s_waitcnt lgkmcnt(0)
	s_and_b32 s0, s0, 0x3ff
	s_delay_alu instid0(SALU_CYCLE_1) | instskip(NEXT) | instid1(SALU_CYCLE_1)
	s_bitset1_b32 s0, 10
	s_mov_b32 m0, s0
	s_sendmsg sendmsg(MSG_INTERRUPT)
	s_mov_b32 m0, ttmp2
.LBB289_1512:                           ; =>This Inner Loop Header: Depth=1
	s_sethalt 5
	s_branch .LBB289_1512
.LBB289_1513:
	s_mov_b32 s3, -1
.LBB289_1514:
                                        ; implicit-def: $vgpr4
.LBB289_1515:
	s_and_b32 vcc_lo, exec_lo, s10
	s_cbranch_vccz .LBB289_1519
; %bb.1516:
	v_cmp_eq_u16_e64 s3, s2, 44
	s_delay_alu instid0(VALU_DEP_1)
	s_and_b32 vcc_lo, exec_lo, s3
	s_cbranch_vccz .LBB289_1518
; %bb.1517:
	global_load_u8 v4, v[11:12], off
	s_mov_b32 s3, 0
	s_mov_b32 s7, -1
	s_waitcnt vmcnt(0)
	v_lshlrev_b32_e32 v5, 23, v4
	v_cmp_ne_u32_e32 vcc_lo, 0, v4
	s_delay_alu instid0(VALU_DEP_2) | instskip(NEXT) | instid1(VALU_DEP_1)
	v_cvt_i32_f32_e32 v5, v5
	v_cndmask_b32_e32 v4, 0, v5, vcc_lo
	s_branch .LBB289_1519
.LBB289_1518:
	s_mov_b32 s3, -1
                                        ; implicit-def: $vgpr4
.LBB289_1519:
	s_mov_b32 s10, 0
.LBB289_1520:
	s_delay_alu instid0(SALU_CYCLE_1)
	s_and_b32 vcc_lo, exec_lo, s10
	s_cbranch_vccz .LBB289_1524
; %bb.1521:
	v_cmp_eq_u16_e64 s3, s2, 29
	s_delay_alu instid0(VALU_DEP_1)
	s_and_b32 vcc_lo, exec_lo, s3
	s_cbranch_vccz .LBB289_1523
; %bb.1522:
	global_load_b64 v[4:5], v[11:12], off
	s_mov_b32 s3, 0
	s_mov_b32 s7, -1
	s_branch .LBB289_1524
.LBB289_1523:
	s_mov_b32 s3, -1
                                        ; implicit-def: $vgpr4
.LBB289_1524:
	s_mov_b32 s10, 0
.LBB289_1525:
	s_delay_alu instid0(SALU_CYCLE_1)
	s_and_b32 vcc_lo, exec_lo, s10
	s_cbranch_vccz .LBB289_1541
; %bb.1526:
	v_cmp_lt_i16_e64 s7, s2, 27
	s_delay_alu instid0(VALU_DEP_1)
	s_and_b32 vcc_lo, exec_lo, s7
	s_cbranch_vccnz .LBB289_1529
; %bb.1527:
	v_cmp_gt_i16_e64 s7, s2, 27
	s_delay_alu instid0(VALU_DEP_1)
	s_and_b32 vcc_lo, exec_lo, s7
	s_cbranch_vccz .LBB289_1530
; %bb.1528:
	global_load_b32 v4, v[11:12], off
	s_mov_b32 s7, 0
	s_branch .LBB289_1531
.LBB289_1529:
	s_mov_b32 s7, -1
                                        ; implicit-def: $vgpr4
	s_branch .LBB289_1534
.LBB289_1530:
	s_mov_b32 s7, -1
                                        ; implicit-def: $vgpr4
.LBB289_1531:
	s_delay_alu instid0(SALU_CYCLE_1)
	s_and_not1_b32 vcc_lo, exec_lo, s7
	s_cbranch_vccnz .LBB289_1533
; %bb.1532:
	global_load_u16 v4, v[11:12], off
.LBB289_1533:
	s_mov_b32 s7, 0
.LBB289_1534:
	s_delay_alu instid0(SALU_CYCLE_1)
	s_and_not1_b32 vcc_lo, exec_lo, s7
	s_cbranch_vccnz .LBB289_1540
; %bb.1535:
	global_load_u8 v5, v[11:12], off
	s_mov_b32 s7, 0
	s_mov_b32 s10, exec_lo
                                        ; implicit-def: $sgpr11
	s_waitcnt vmcnt(0)
	v_cmpx_lt_i16_e32 0x7f, v5
	s_xor_b32 s10, exec_lo, s10
	s_cbranch_execz .LBB289_1552
; %bb.1536:
	v_cmp_ne_u16_e32 vcc_lo, 0x80, v5
	s_mov_b32 s11, 0
	s_and_b32 s7, vcc_lo, exec_lo
	s_or_saveexec_b32 s10, s10
	v_mov_b32_e32 v4, s11
	s_xor_b32 exec_lo, exec_lo, s10
	s_cbranch_execnz .LBB289_1553
.LBB289_1537:
	s_or_b32 exec_lo, exec_lo, s10
	s_and_saveexec_b32 s10, s7
	s_cbranch_execz .LBB289_1539
.LBB289_1538:
	v_and_b32_e32 v4, 0xffff, v5
	v_lshlrev_b32_e32 v5, 24, v5
	s_delay_alu instid0(VALU_DEP_2) | instskip(NEXT) | instid1(VALU_DEP_2)
	v_and_b32_e32 v7, 7, v4
	v_and_b32_e32 v5, 0x80000000, v5
	s_delay_alu instid0(VALU_DEP_2) | instskip(NEXT) | instid1(VALU_DEP_1)
	v_clz_i32_u32_e32 v9, v7
	v_min_u32_e32 v9, 32, v9
	s_delay_alu instid0(VALU_DEP_1) | instskip(SKIP_1) | instid1(VALU_DEP_2)
	v_subrev_nc_u32_e32 v13, 28, v9
	v_sub_nc_u32_e32 v9, 29, v9
	v_lshlrev_b32_e32 v13, v13, v4
	v_bfe_u32 v4, v4, 3, 4
	s_delay_alu instid0(VALU_DEP_2) | instskip(NEXT) | instid1(VALU_DEP_2)
	v_and_b32_e32 v13, 7, v13
	v_cmp_eq_u32_e32 vcc_lo, 0, v4
	v_cndmask_b32_e32 v4, v4, v9, vcc_lo
	s_delay_alu instid0(VALU_DEP_3) | instskip(NEXT) | instid1(VALU_DEP_2)
	v_cndmask_b32_e32 v7, v7, v13, vcc_lo
	v_lshl_add_u32 v4, v4, 23, 0x3b800000
	s_delay_alu instid0(VALU_DEP_2) | instskip(NEXT) | instid1(VALU_DEP_1)
	v_lshlrev_b32_e32 v7, 20, v7
	v_or3_b32 v4, v5, v4, v7
	s_delay_alu instid0(VALU_DEP_1)
	v_cvt_i32_f32_e32 v4, v4
.LBB289_1539:
	s_or_b32 exec_lo, exec_lo, s10
.LBB289_1540:
	s_mov_b32 s7, -1
.LBB289_1541:
	s_mov_b32 s10, 0
.LBB289_1542:
	s_delay_alu instid0(SALU_CYCLE_1)
	s_and_b32 vcc_lo, exec_lo, s10
	s_cbranch_vccz .LBB289_1573
; %bb.1543:
	v_cmp_gt_i16_e64 s6, s2, 22
	s_delay_alu instid0(VALU_DEP_1)
	s_and_b32 vcc_lo, exec_lo, s6
	s_cbranch_vccz .LBB289_1551
; %bb.1544:
	v_cmp_lt_i16_e64 s6, s2, 24
	s_delay_alu instid0(VALU_DEP_1)
	s_and_b32 vcc_lo, exec_lo, s6
	s_cbranch_vccnz .LBB289_1554
; %bb.1545:
	v_cmp_gt_i16_e64 s6, s2, 24
	s_delay_alu instid0(VALU_DEP_1)
	s_and_b32 vcc_lo, exec_lo, s6
	s_cbranch_vccz .LBB289_1555
; %bb.1546:
	global_load_u8 v5, v[11:12], off
	s_mov_b32 s6, 0
	s_mov_b32 s7, exec_lo
                                        ; implicit-def: $sgpr10
	s_waitcnt vmcnt(0)
	v_cmpx_lt_i16_e32 0x7f, v5
	s_xor_b32 s7, exec_lo, s7
	s_cbranch_execz .LBB289_1567
; %bb.1547:
	v_cmp_ne_u16_e32 vcc_lo, 0x80, v5
	s_mov_b32 s10, 0
	s_and_b32 s6, vcc_lo, exec_lo
	s_or_saveexec_b32 s7, s7
	v_mov_b32_e32 v4, s10
	s_xor_b32 exec_lo, exec_lo, s7
	s_cbranch_execnz .LBB289_1568
.LBB289_1548:
	s_or_b32 exec_lo, exec_lo, s7
	s_and_saveexec_b32 s7, s6
	s_cbranch_execz .LBB289_1550
.LBB289_1549:
	v_and_b32_e32 v4, 0xffff, v5
	v_lshlrev_b32_e32 v5, 24, v5
	s_delay_alu instid0(VALU_DEP_2) | instskip(NEXT) | instid1(VALU_DEP_2)
	v_and_b32_e32 v7, 3, v4
	v_and_b32_e32 v5, 0x80000000, v5
	s_delay_alu instid0(VALU_DEP_2) | instskip(NEXT) | instid1(VALU_DEP_1)
	v_clz_i32_u32_e32 v9, v7
	v_min_u32_e32 v9, 32, v9
	s_delay_alu instid0(VALU_DEP_1) | instskip(SKIP_1) | instid1(VALU_DEP_2)
	v_subrev_nc_u32_e32 v13, 29, v9
	v_sub_nc_u32_e32 v9, 30, v9
	v_lshlrev_b32_e32 v13, v13, v4
	v_bfe_u32 v4, v4, 2, 5
	s_delay_alu instid0(VALU_DEP_2) | instskip(NEXT) | instid1(VALU_DEP_2)
	v_and_b32_e32 v13, 3, v13
	v_cmp_eq_u32_e32 vcc_lo, 0, v4
	v_cndmask_b32_e32 v4, v4, v9, vcc_lo
	s_delay_alu instid0(VALU_DEP_3) | instskip(NEXT) | instid1(VALU_DEP_2)
	v_cndmask_b32_e32 v7, v7, v13, vcc_lo
	v_lshl_add_u32 v4, v4, 23, 0x37800000
	s_delay_alu instid0(VALU_DEP_2) | instskip(NEXT) | instid1(VALU_DEP_1)
	v_lshlrev_b32_e32 v7, 21, v7
	v_or3_b32 v4, v5, v4, v7
	s_delay_alu instid0(VALU_DEP_1)
	v_cvt_i32_f32_e32 v4, v4
.LBB289_1550:
	s_or_b32 exec_lo, exec_lo, s7
	s_mov_b32 s6, 0
	s_branch .LBB289_1556
.LBB289_1551:
	s_mov_b32 s6, -1
                                        ; implicit-def: $vgpr4
	s_branch .LBB289_1562
.LBB289_1552:
	s_or_saveexec_b32 s10, s10
	v_mov_b32_e32 v4, s11
	s_xor_b32 exec_lo, exec_lo, s10
	s_cbranch_execz .LBB289_1537
.LBB289_1553:
	v_cmp_ne_u16_e32 vcc_lo, 0, v5
	v_mov_b32_e32 v4, 0
	s_and_not1_b32 s7, s7, exec_lo
	s_and_b32 s11, vcc_lo, exec_lo
	s_delay_alu instid0(SALU_CYCLE_1)
	s_or_b32 s7, s7, s11
	s_or_b32 exec_lo, exec_lo, s10
	s_and_saveexec_b32 s10, s7
	s_cbranch_execnz .LBB289_1538
	s_branch .LBB289_1539
.LBB289_1554:
	s_mov_b32 s6, -1
                                        ; implicit-def: $vgpr4
	s_branch .LBB289_1559
.LBB289_1555:
	s_mov_b32 s6, -1
                                        ; implicit-def: $vgpr4
.LBB289_1556:
	s_delay_alu instid0(SALU_CYCLE_1)
	s_and_b32 vcc_lo, exec_lo, s6
	s_cbranch_vccz .LBB289_1558
; %bb.1557:
	global_load_u8 v4, v[11:12], off
	s_waitcnt vmcnt(0)
	v_lshlrev_b32_e32 v4, 24, v4
	s_delay_alu instid0(VALU_DEP_1) | instskip(NEXT) | instid1(VALU_DEP_1)
	v_and_b32_e32 v5, 0x7f000000, v4
	v_clz_i32_u32_e32 v7, v5
	v_add_nc_u32_e32 v13, 0x1000000, v5
	v_cmp_ne_u32_e32 vcc_lo, 0, v5
	s_delay_alu instid0(VALU_DEP_3) | instskip(NEXT) | instid1(VALU_DEP_1)
	v_min_u32_e32 v7, 32, v7
	v_sub_nc_u32_e64 v7, v7, 4 clamp
	s_delay_alu instid0(VALU_DEP_1) | instskip(SKIP_1) | instid1(VALU_DEP_2)
	v_lshlrev_b32_e32 v9, v7, v5
	v_lshlrev_b32_e32 v7, 23, v7
	v_lshrrev_b32_e32 v9, 4, v9
	s_delay_alu instid0(VALU_DEP_1) | instskip(SKIP_1) | instid1(VALU_DEP_2)
	v_sub_nc_u32_e32 v7, v9, v7
	v_ashrrev_i32_e32 v9, 8, v13
	v_add_nc_u32_e32 v7, 0x3c000000, v7
	s_delay_alu instid0(VALU_DEP_1) | instskip(NEXT) | instid1(VALU_DEP_1)
	v_and_or_b32 v7, 0x7f800000, v9, v7
	v_cndmask_b32_e32 v5, 0, v7, vcc_lo
	s_delay_alu instid0(VALU_DEP_1) | instskip(NEXT) | instid1(VALU_DEP_1)
	v_and_or_b32 v4, 0x80000000, v4, v5
	v_cvt_i32_f32_e32 v4, v4
.LBB289_1558:
	s_mov_b32 s6, 0
.LBB289_1559:
	s_delay_alu instid0(SALU_CYCLE_1)
	s_and_not1_b32 vcc_lo, exec_lo, s6
	s_cbranch_vccnz .LBB289_1561
; %bb.1560:
	global_load_u8 v4, v[11:12], off
	s_waitcnt vmcnt(0)
	v_lshlrev_b32_e32 v5, 25, v4
	v_lshlrev_b16 v4, 8, v4
	s_delay_alu instid0(VALU_DEP_2) | instskip(NEXT) | instid1(VALU_DEP_2)
	v_lshrrev_b32_e32 v7, 4, v5
	v_and_or_b32 v9, 0x7f00, v4, 0.5
	v_cmp_gt_u32_e32 vcc_lo, 0x8000000, v5
	v_bfe_i32 v4, v4, 0, 16
	s_delay_alu instid0(VALU_DEP_4) | instskip(NEXT) | instid1(VALU_DEP_4)
	v_or_b32_e32 v7, 0x70000000, v7
	v_add_f32_e32 v9, -0.5, v9
	s_delay_alu instid0(VALU_DEP_2) | instskip(NEXT) | instid1(VALU_DEP_1)
	v_mul_f32_e32 v7, 0x7800000, v7
	v_cndmask_b32_e32 v5, v7, v9, vcc_lo
	s_delay_alu instid0(VALU_DEP_1) | instskip(NEXT) | instid1(VALU_DEP_1)
	v_and_or_b32 v4, 0x80000000, v4, v5
	v_cvt_i32_f32_e32 v4, v4
.LBB289_1561:
	s_mov_b32 s6, 0
	s_mov_b32 s7, -1
.LBB289_1562:
	s_and_not1_b32 vcc_lo, exec_lo, s6
	s_mov_b32 s6, 0
	s_cbranch_vccnz .LBB289_1573
; %bb.1563:
	v_cmp_gt_i16_e64 s6, s2, 14
	s_delay_alu instid0(VALU_DEP_1)
	s_and_b32 vcc_lo, exec_lo, s6
	s_cbranch_vccz .LBB289_1566
; %bb.1564:
	v_cmp_eq_u16_e64 s3, s2, 15
	s_delay_alu instid0(VALU_DEP_1)
	s_and_b32 vcc_lo, exec_lo, s3
	s_cbranch_vccz .LBB289_1569
; %bb.1565:
	global_load_u16 v4, v[11:12], off
	s_mov_b32 s3, 0
	s_mov_b32 s7, -1
	s_waitcnt vmcnt(0)
	v_lshlrev_b32_e32 v4, 16, v4
	s_delay_alu instid0(VALU_DEP_1)
	v_cvt_i32_f32_e32 v4, v4
	s_branch .LBB289_1570
.LBB289_1566:
	s_mov_b32 s6, -1
                                        ; implicit-def: $vgpr4
	s_branch .LBB289_1571
.LBB289_1567:
	s_or_saveexec_b32 s7, s7
	v_mov_b32_e32 v4, s10
	s_xor_b32 exec_lo, exec_lo, s7
	s_cbranch_execz .LBB289_1548
.LBB289_1568:
	v_cmp_ne_u16_e32 vcc_lo, 0, v5
	v_mov_b32_e32 v4, 0
	s_and_not1_b32 s6, s6, exec_lo
	s_and_b32 s10, vcc_lo, exec_lo
	s_delay_alu instid0(SALU_CYCLE_1)
	s_or_b32 s6, s6, s10
	s_or_b32 exec_lo, exec_lo, s7
	s_and_saveexec_b32 s7, s6
	s_cbranch_execnz .LBB289_1549
	s_branch .LBB289_1550
.LBB289_1569:
	s_mov_b32 s3, -1
                                        ; implicit-def: $vgpr4
.LBB289_1570:
	s_mov_b32 s6, 0
.LBB289_1571:
	s_delay_alu instid0(SALU_CYCLE_1)
	s_and_b32 vcc_lo, exec_lo, s6
	s_mov_b32 s6, 0
	s_cbranch_vccz .LBB289_1573
; %bb.1572:
	v_cmp_ne_u16_e64 s3, s2, 11
	s_mov_b32 s6, -1
                                        ; implicit-def: $vgpr4
.LBB289_1573:
	s_delay_alu instid0(VALU_DEP_1)
	s_and_b32 vcc_lo, exec_lo, s3
	s_cbranch_vccnz .LBB289_2102
; %bb.1574:
	s_and_not1_b32 vcc_lo, exec_lo, s6
	s_cbranch_vccnz .LBB289_1576
.LBB289_1575:
	global_load_u8 v4, v[11:12], off
	s_mov_b32 s7, -1
	s_waitcnt vmcnt(0)
	v_cmp_ne_u16_e32 vcc_lo, 0, v4
	v_cndmask_b32_e64 v4, 0, 1, vcc_lo
.LBB289_1576:
	s_mov_b32 s3, 0
.LBB289_1577:
	s_delay_alu instid0(SALU_CYCLE_1)
	s_and_b32 vcc_lo, exec_lo, s3
	s_cbranch_vccz .LBB289_1626
; %bb.1578:
	v_cmp_lt_i16_e64 s3, s2, 5
	s_delay_alu instid0(VALU_DEP_1)
	s_and_b32 vcc_lo, exec_lo, s3
	s_cbranch_vccnz .LBB289_1583
; %bb.1579:
	v_cmp_lt_i16_e64 s3, s2, 8
	s_delay_alu instid0(VALU_DEP_1)
	s_and_b32 vcc_lo, exec_lo, s3
	s_cbranch_vccnz .LBB289_1584
	;; [unrolled: 5-line block ×3, first 2 shown]
; %bb.1581:
	v_cmp_gt_i16_e64 s3, s2, 9
	s_delay_alu instid0(VALU_DEP_1)
	s_and_b32 vcc_lo, exec_lo, s3
	s_cbranch_vccz .LBB289_1586
; %bb.1582:
	global_load_b64 v[4:5], v[11:12], off
	s_mov_b32 s3, 0
	s_waitcnt vmcnt(0)
	v_cvt_i32_f64_e32 v4, v[4:5]
	s_branch .LBB289_1587
.LBB289_1583:
	s_mov_b32 s3, -1
                                        ; implicit-def: $vgpr4
	s_branch .LBB289_1605
.LBB289_1584:
	s_mov_b32 s3, -1
                                        ; implicit-def: $vgpr4
	s_branch .LBB289_1593
.LBB289_1585:
	s_mov_b32 s3, -1
                                        ; implicit-def: $vgpr4
	s_branch .LBB289_1590
.LBB289_1586:
	s_mov_b32 s3, -1
                                        ; implicit-def: $vgpr4
.LBB289_1587:
	s_delay_alu instid0(SALU_CYCLE_1)
	s_and_not1_b32 vcc_lo, exec_lo, s3
	s_cbranch_vccnz .LBB289_1589
; %bb.1588:
	global_load_b32 v4, v[11:12], off
	s_waitcnt vmcnt(0)
	v_cvt_i32_f32_e32 v4, v4
.LBB289_1589:
	s_mov_b32 s3, 0
.LBB289_1590:
	s_delay_alu instid0(SALU_CYCLE_1)
	s_and_not1_b32 vcc_lo, exec_lo, s3
	s_cbranch_vccnz .LBB289_1592
; %bb.1591:
	global_load_b32 v4, v[11:12], off
	s_waitcnt vmcnt(0)
	v_cvt_i16_f16_e32 v4, v4
.LBB289_1592:
	s_mov_b32 s3, 0
.LBB289_1593:
	s_delay_alu instid0(SALU_CYCLE_1)
	s_and_not1_b32 vcc_lo, exec_lo, s3
	s_cbranch_vccnz .LBB289_1604
; %bb.1594:
	v_cmp_lt_i16_e64 s3, s2, 6
	s_delay_alu instid0(VALU_DEP_1)
	s_and_b32 vcc_lo, exec_lo, s3
	s_cbranch_vccnz .LBB289_1597
; %bb.1595:
	v_cmp_gt_i16_e64 s3, s2, 6
	s_delay_alu instid0(VALU_DEP_1)
	s_and_b32 vcc_lo, exec_lo, s3
	s_cbranch_vccz .LBB289_1598
; %bb.1596:
	global_load_b64 v[4:5], v[11:12], off
	s_mov_b32 s3, 0
	s_waitcnt vmcnt(0)
	v_cvt_i32_f64_e32 v4, v[4:5]
	s_branch .LBB289_1599
.LBB289_1597:
	s_mov_b32 s3, -1
                                        ; implicit-def: $vgpr4
	s_branch .LBB289_1602
.LBB289_1598:
	s_mov_b32 s3, -1
                                        ; implicit-def: $vgpr4
.LBB289_1599:
	s_delay_alu instid0(SALU_CYCLE_1)
	s_and_not1_b32 vcc_lo, exec_lo, s3
	s_cbranch_vccnz .LBB289_1601
; %bb.1600:
	global_load_b32 v4, v[11:12], off
	s_waitcnt vmcnt(0)
	v_cvt_i32_f32_e32 v4, v4
.LBB289_1601:
	s_mov_b32 s3, 0
.LBB289_1602:
	s_delay_alu instid0(SALU_CYCLE_1)
	s_and_not1_b32 vcc_lo, exec_lo, s3
	s_cbranch_vccnz .LBB289_1604
; %bb.1603:
	global_load_u16 v4, v[11:12], off
	s_waitcnt vmcnt(0)
	v_cvt_i16_f16_e32 v4, v4
.LBB289_1604:
	s_mov_b32 s3, 0
.LBB289_1605:
	s_delay_alu instid0(SALU_CYCLE_1)
	s_and_not1_b32 vcc_lo, exec_lo, s3
	s_cbranch_vccnz .LBB289_1625
; %bb.1606:
	v_cmp_lt_i16_e64 s3, s2, 2
	s_delay_alu instid0(VALU_DEP_1)
	s_and_b32 vcc_lo, exec_lo, s3
	s_cbranch_vccnz .LBB289_1610
; %bb.1607:
	v_cmp_lt_i16_e64 s3, s2, 3
	s_delay_alu instid0(VALU_DEP_1)
	s_and_b32 vcc_lo, exec_lo, s3
	s_cbranch_vccnz .LBB289_1611
; %bb.1608:
	v_cmp_gt_i16_e64 s3, s2, 3
	s_delay_alu instid0(VALU_DEP_1)
	s_and_b32 vcc_lo, exec_lo, s3
	s_cbranch_vccz .LBB289_1612
; %bb.1609:
	global_load_b64 v[4:5], v[11:12], off
	s_mov_b32 s3, 0
	s_branch .LBB289_1613
.LBB289_1610:
	s_mov_b32 s3, -1
                                        ; implicit-def: $vgpr4
	s_branch .LBB289_1619
.LBB289_1611:
	s_mov_b32 s3, -1
                                        ; implicit-def: $vgpr4
	s_branch .LBB289_1616
.LBB289_1612:
	s_mov_b32 s3, -1
                                        ; implicit-def: $vgpr4
.LBB289_1613:
	s_delay_alu instid0(SALU_CYCLE_1)
	s_and_not1_b32 vcc_lo, exec_lo, s3
	s_cbranch_vccnz .LBB289_1615
; %bb.1614:
	global_load_b32 v4, v[11:12], off
.LBB289_1615:
	s_mov_b32 s3, 0
.LBB289_1616:
	s_delay_alu instid0(SALU_CYCLE_1)
	s_and_not1_b32 vcc_lo, exec_lo, s3
	s_cbranch_vccnz .LBB289_1618
; %bb.1617:
	global_load_u16 v4, v[11:12], off
.LBB289_1618:
	s_mov_b32 s3, 0
.LBB289_1619:
	s_delay_alu instid0(SALU_CYCLE_1)
	s_and_not1_b32 vcc_lo, exec_lo, s3
	s_cbranch_vccnz .LBB289_1625
; %bb.1620:
	v_cmp_gt_i16_e64 s2, s2, 0
	s_delay_alu instid0(VALU_DEP_1)
	s_and_b32 vcc_lo, exec_lo, s2
	s_mov_b32 s2, 0
	s_cbranch_vccz .LBB289_1622
; %bb.1621:
	global_load_u8 v4, v[11:12], off
	s_branch .LBB289_1623
.LBB289_1622:
	s_mov_b32 s2, -1
                                        ; implicit-def: $vgpr4
.LBB289_1623:
	s_delay_alu instid0(SALU_CYCLE_1)
	s_and_not1_b32 vcc_lo, exec_lo, s2
	s_cbranch_vccnz .LBB289_1625
; %bb.1624:
	global_load_u8 v4, v[11:12], off
.LBB289_1625:
	s_mov_b32 s7, -1
.LBB289_1626:
	s_delay_alu instid0(SALU_CYCLE_1)
	s_and_not1_b32 vcc_lo, exec_lo, s7
	s_cbranch_vccnz .LBB289_2057
; %bb.1627:
	s_load_b32 s3, s[16:17], 0x158
	s_waitcnt vmcnt(0)
	v_bfe_i32 v5, v10, 0, 8
	s_lshr_b32 s0, s0, 16
	s_mov_b32 s7, 0
	v_and_b32_e64 v11, 0xff, s0
	v_add_co_u32 v9, s0, s4, v3
	s_delay_alu instid0(VALU_DEP_1) | instskip(NEXT) | instid1(VALU_DEP_3)
	v_add_co_ci_u32_e64 v10, null, s5, 0, s0
	v_cmp_gt_i16_e32 vcc_lo, 11, v11
	s_mov_b32 s0, -1
	s_and_b32 vcc_lo, exec_lo, vcc_lo
	s_waitcnt lgkmcnt(0)
	s_bfe_i32 s2, s3, 0x80000
	v_ashrrev_i16 v7, 8, s3
	v_max_i16 v5, v5, s2
	s_delay_alu instid0(VALU_DEP_1)
	v_min_i16 v3, v5, v7
	s_cbranch_vccnz .LBB289_1705
; %bb.1628:
	v_cmp_lt_i16_e32 vcc_lo, 25, v11
	s_mov_b32 s10, -1
	s_mov_b32 s6, 0
	s_mov_b32 s0, 0
	s_cbranch_vccz .LBB289_1661
; %bb.1629:
	v_cmp_lt_i16_e32 vcc_lo, 28, v11
	s_cbranch_vccz .LBB289_1644
; %bb.1630:
	v_cmp_lt_i16_e32 vcc_lo, 43, v11
	s_cbranch_vccz .LBB289_1640
; %bb.1631:
	v_cmp_lt_i16_e32 vcc_lo, 45, v11
	s_cbranch_vccz .LBB289_1634
; %bb.1632:
	v_cmp_eq_u16_e32 vcc_lo, 46, v11
	s_mov_b32 s0, -1
	s_mov_b32 s10, 0
	s_cbranch_vccz .LBB289_1634
; %bb.1633:
	v_bfe_i32 v5, v3, 0, 16
	s_mov_b32 s0, 0
	s_mov_b32 s7, -1
	s_delay_alu instid0(VALU_DEP_1) | instskip(NEXT) | instid1(VALU_DEP_1)
	v_cvt_f32_i32_e32 v5, v5
	v_bfe_u32 v7, v5, 16, 1
	s_delay_alu instid0(VALU_DEP_1) | instskip(NEXT) | instid1(VALU_DEP_1)
	v_add3_u32 v5, v5, v7, 0x7fff
	v_lshrrev_b32_e32 v5, 16, v5
	global_store_b32 v[9:10], v5, off
.LBB289_1634:
	s_and_b32 vcc_lo, exec_lo, s10
	s_cbranch_vccz .LBB289_1639
; %bb.1635:
	v_cmp_eq_u16_e32 vcc_lo, 44, v11
	s_mov_b32 s0, -1
	s_cbranch_vccz .LBB289_1639
; %bb.1636:
	v_bfe_i32 v5, v3, 0, 16
	v_mov_b32_e32 v7, 0xff
	s_mov_b32 s7, exec_lo
	s_delay_alu instid0(VALU_DEP_2) | instskip(NEXT) | instid1(VALU_DEP_1)
	v_cvt_f32_i32_e32 v5, v5
	v_bfe_u32 v12, v5, 23, 8
	s_delay_alu instid0(VALU_DEP_1)
	v_cmpx_ne_u32_e32 0xff, v12
; %bb.1637:
	v_and_b32_e32 v7, 0x400000, v5
	v_and_or_b32 v12, 0x3fffff, v5, v12
	v_lshrrev_b32_e32 v5, 23, v5
	s_delay_alu instid0(VALU_DEP_3) | instskip(NEXT) | instid1(VALU_DEP_3)
	v_cmp_ne_u32_e32 vcc_lo, 0, v7
	v_cmp_ne_u32_e64 s0, 0, v12
	s_delay_alu instid0(VALU_DEP_1) | instskip(NEXT) | instid1(SALU_CYCLE_1)
	s_and_b32 s0, vcc_lo, s0
	v_cndmask_b32_e64 v7, 0, 1, s0
	s_delay_alu instid0(VALU_DEP_1)
	v_add_nc_u32_e32 v7, v5, v7
; %bb.1638:
	s_or_b32 exec_lo, exec_lo, s7
	s_mov_b32 s0, 0
	s_mov_b32 s7, -1
	global_store_b8 v[9:10], v7, off
.LBB289_1639:
	s_mov_b32 s10, 0
.LBB289_1640:
	s_delay_alu instid0(SALU_CYCLE_1)
	s_and_b32 vcc_lo, exec_lo, s10
	s_cbranch_vccz .LBB289_1643
; %bb.1641:
	v_cmp_eq_u16_e32 vcc_lo, 29, v11
	s_mov_b32 s0, -1
	s_cbranch_vccz .LBB289_1643
; %bb.1642:
	v_bfe_i32 v12, v3, 0, 16
	s_mov_b32 s0, 0
	s_mov_b32 s7, -1
	s_delay_alu instid0(VALU_DEP_1)
	v_ashrrev_i32_e32 v13, 31, v12
	global_store_b64 v[9:10], v[12:13], off
.LBB289_1643:
	s_mov_b32 s10, 0
.LBB289_1644:
	s_delay_alu instid0(SALU_CYCLE_1)
	s_and_b32 vcc_lo, exec_lo, s10
	s_cbranch_vccz .LBB289_1660
; %bb.1645:
	v_cmp_gt_i16_e32 vcc_lo, 27, v11
	s_mov_b32 s7, -1
	s_cbranch_vccnz .LBB289_1651
; %bb.1646:
	v_cmp_lt_i16_e32 vcc_lo, 27, v11
	s_cbranch_vccz .LBB289_1648
; %bb.1647:
	v_bfe_i32 v5, v3, 0, 16
	s_mov_b32 s7, 0
	global_store_b32 v[9:10], v5, off
.LBB289_1648:
	s_and_not1_b32 vcc_lo, exec_lo, s7
	s_cbranch_vccnz .LBB289_1650
; %bb.1649:
	global_store_b16 v[9:10], v3, off
.LBB289_1650:
	s_mov_b32 s7, 0
.LBB289_1651:
	s_delay_alu instid0(SALU_CYCLE_1)
	s_and_not1_b32 vcc_lo, exec_lo, s7
	s_cbranch_vccnz .LBB289_1659
; %bb.1652:
	v_bfe_i32 v5, v3, 0, 16
	v_mov_b32_e32 v12, 0x80
	s_mov_b32 s7, exec_lo
	s_delay_alu instid0(VALU_DEP_2) | instskip(NEXT) | instid1(VALU_DEP_1)
	v_cvt_f32_i32_e32 v5, v5
	v_and_b32_e32 v7, 0x7fffffff, v5
	s_delay_alu instid0(VALU_DEP_1)
	v_cmpx_gt_u32_e32 0x43800000, v7
	s_cbranch_execz .LBB289_1658
; %bb.1653:
	v_cmp_lt_u32_e32 vcc_lo, 0x3bffffff, v7
	s_mov_b32 s10, 0
                                        ; implicit-def: $vgpr7
	s_and_saveexec_b32 s11, vcc_lo
	s_delay_alu instid0(SALU_CYCLE_1)
	s_xor_b32 s11, exec_lo, s11
	s_cbranch_execz .LBB289_2104
; %bb.1654:
	v_bfe_u32 v7, v5, 20, 1
	s_mov_b32 s10, exec_lo
	s_delay_alu instid0(VALU_DEP_1) | instskip(NEXT) | instid1(VALU_DEP_1)
	v_add3_u32 v7, v5, v7, 0x487ffff
	v_lshrrev_b32_e32 v7, 20, v7
	s_or_saveexec_b32 s11, s11
                                        ; implicit-def: $sgpr12
	s_delay_alu instid0(SALU_CYCLE_1)
	s_xor_b32 exec_lo, exec_lo, s11
	s_cbranch_execnz .LBB289_2105
.LBB289_1655:
	s_or_b32 exec_lo, exec_lo, s11
	v_mov_b32_e32 v12, s12
	s_and_saveexec_b32 s11, s10
.LBB289_1656:
	v_lshrrev_b32_e32 v5, 24, v5
	s_delay_alu instid0(VALU_DEP_1)
	v_and_or_b32 v12, 0x80, v5, v7
.LBB289_1657:
	s_or_b32 exec_lo, exec_lo, s11
.LBB289_1658:
	s_delay_alu instid0(SALU_CYCLE_1)
	s_or_b32 exec_lo, exec_lo, s7
	global_store_b8 v[9:10], v12, off
.LBB289_1659:
	s_mov_b32 s7, -1
.LBB289_1660:
	s_mov_b32 s10, 0
.LBB289_1661:
	s_delay_alu instid0(SALU_CYCLE_1)
	s_and_b32 vcc_lo, exec_lo, s10
	s_cbranch_vccz .LBB289_1701
; %bb.1662:
	v_cmp_lt_i16_e32 vcc_lo, 22, v11
	s_mov_b32 s6, -1
	s_cbranch_vccz .LBB289_1694
; %bb.1663:
	v_cmp_gt_i16_e32 vcc_lo, 24, v11
	s_cbranch_vccnz .LBB289_1683
; %bb.1664:
	v_cmp_lt_i16_e32 vcc_lo, 24, v11
	s_cbranch_vccz .LBB289_1672
; %bb.1665:
	v_bfe_i32 v5, v3, 0, 16
	v_mov_b32_e32 v12, 0x80
	s_mov_b32 s6, exec_lo
	s_delay_alu instid0(VALU_DEP_2) | instskip(NEXT) | instid1(VALU_DEP_1)
	v_cvt_f32_i32_e32 v5, v5
	v_and_b32_e32 v7, 0x7fffffff, v5
	s_delay_alu instid0(VALU_DEP_1)
	v_cmpx_gt_u32_e32 0x47800000, v7
	s_cbranch_execz .LBB289_1671
; %bb.1666:
	v_cmp_lt_u32_e32 vcc_lo, 0x37ffffff, v7
	s_mov_b32 s7, 0
                                        ; implicit-def: $vgpr7
	s_and_saveexec_b32 s10, vcc_lo
	s_delay_alu instid0(SALU_CYCLE_1)
	s_xor_b32 s10, exec_lo, s10
	s_cbranch_execz .LBB289_2110
; %bb.1667:
	v_bfe_u32 v7, v5, 21, 1
	s_mov_b32 s7, exec_lo
	s_delay_alu instid0(VALU_DEP_1) | instskip(NEXT) | instid1(VALU_DEP_1)
	v_add3_u32 v7, v5, v7, 0x88fffff
	v_lshrrev_b32_e32 v7, 21, v7
	s_or_saveexec_b32 s10, s10
                                        ; implicit-def: $sgpr11
	s_delay_alu instid0(SALU_CYCLE_1)
	s_xor_b32 exec_lo, exec_lo, s10
	s_cbranch_execnz .LBB289_2111
.LBB289_1668:
	s_or_b32 exec_lo, exec_lo, s10
	v_mov_b32_e32 v12, s11
	s_and_saveexec_b32 s10, s7
.LBB289_1669:
	v_lshrrev_b32_e32 v5, 24, v5
	s_delay_alu instid0(VALU_DEP_1)
	v_and_or_b32 v12, 0x80, v5, v7
.LBB289_1670:
	s_or_b32 exec_lo, exec_lo, s10
.LBB289_1671:
	s_delay_alu instid0(SALU_CYCLE_1)
	s_or_b32 exec_lo, exec_lo, s6
	s_mov_b32 s6, 0
	global_store_b8 v[9:10], v12, off
.LBB289_1672:
	s_and_b32 vcc_lo, exec_lo, s6
	s_cbranch_vccz .LBB289_1682
; %bb.1673:
	v_bfe_i32 v5, v3, 0, 16
	s_mov_b32 s6, exec_lo
                                        ; implicit-def: $vgpr7
	s_delay_alu instid0(VALU_DEP_1) | instskip(NEXT) | instid1(VALU_DEP_1)
	v_cvt_f32_i32_e32 v5, v5
	v_and_b32_e32 v12, 0x7fffffff, v5
	s_delay_alu instid0(VALU_DEP_1)
	v_cmpx_gt_u32_e32 0x43f00000, v12
	s_xor_b32 s6, exec_lo, s6
	s_cbranch_execz .LBB289_1679
; %bb.1674:
	s_mov_b32 s7, exec_lo
                                        ; implicit-def: $vgpr7
	v_cmpx_lt_u32_e32 0x3c7fffff, v12
	s_xor_b32 s7, exec_lo, s7
; %bb.1675:
	v_bfe_u32 v7, v5, 20, 1
	s_delay_alu instid0(VALU_DEP_1) | instskip(NEXT) | instid1(VALU_DEP_1)
	v_add3_u32 v7, v5, v7, 0x407ffff
	v_and_b32_e32 v12, 0xff00000, v7
	v_lshrrev_b32_e32 v7, 20, v7
	s_delay_alu instid0(VALU_DEP_2) | instskip(NEXT) | instid1(VALU_DEP_2)
	v_cmp_ne_u32_e32 vcc_lo, 0x7f00000, v12
	v_cndmask_b32_e32 v7, 0x7e, v7, vcc_lo
; %bb.1676:
	s_and_not1_saveexec_b32 s7, s7
; %bb.1677:
	v_add_f32_e64 v7, 0x46800000, |v5|
; %bb.1678:
	s_or_b32 exec_lo, exec_lo, s7
                                        ; implicit-def: $vgpr12
.LBB289_1679:
	s_and_not1_saveexec_b32 s6, s6
; %bb.1680:
	v_mov_b32_e32 v7, 0x7f
	v_cmp_lt_u32_e32 vcc_lo, 0x7f800000, v12
	s_delay_alu instid0(VALU_DEP_2)
	v_cndmask_b32_e32 v7, 0x7e, v7, vcc_lo
; %bb.1681:
	s_or_b32 exec_lo, exec_lo, s6
	v_lshrrev_b32_e32 v5, 24, v5
	s_delay_alu instid0(VALU_DEP_1)
	v_and_or_b32 v5, 0x80, v5, v7
	global_store_b8 v[9:10], v5, off
.LBB289_1682:
	s_mov_b32 s6, 0
.LBB289_1683:
	s_delay_alu instid0(SALU_CYCLE_1)
	s_and_not1_b32 vcc_lo, exec_lo, s6
	s_cbranch_vccnz .LBB289_1693
; %bb.1684:
	v_bfe_i32 v5, v3, 0, 16
	s_mov_b32 s6, exec_lo
                                        ; implicit-def: $vgpr7
	s_delay_alu instid0(VALU_DEP_1) | instskip(NEXT) | instid1(VALU_DEP_1)
	v_cvt_f32_i32_e32 v5, v5
	v_and_b32_e32 v12, 0x7fffffff, v5
	s_delay_alu instid0(VALU_DEP_1)
	v_cmpx_gt_u32_e32 0x47800000, v12
	s_xor_b32 s6, exec_lo, s6
	s_cbranch_execz .LBB289_1690
; %bb.1685:
	s_mov_b32 s7, exec_lo
                                        ; implicit-def: $vgpr7
	v_cmpx_lt_u32_e32 0x387fffff, v12
	s_xor_b32 s7, exec_lo, s7
; %bb.1686:
	v_bfe_u32 v7, v5, 21, 1
	s_delay_alu instid0(VALU_DEP_1) | instskip(NEXT) | instid1(VALU_DEP_1)
	v_add3_u32 v7, v5, v7, 0x80fffff
	v_lshrrev_b32_e32 v7, 21, v7
; %bb.1687:
	s_and_not1_saveexec_b32 s7, s7
; %bb.1688:
	v_add_f32_e64 v7, 0x43000000, |v5|
; %bb.1689:
	s_or_b32 exec_lo, exec_lo, s7
                                        ; implicit-def: $vgpr12
.LBB289_1690:
	s_and_not1_saveexec_b32 s6, s6
; %bb.1691:
	v_mov_b32_e32 v7, 0x7f
	v_cmp_lt_u32_e32 vcc_lo, 0x7f800000, v12
	s_delay_alu instid0(VALU_DEP_2)
	v_cndmask_b32_e32 v7, 0x7c, v7, vcc_lo
; %bb.1692:
	s_or_b32 exec_lo, exec_lo, s6
	v_lshrrev_b32_e32 v5, 24, v5
	s_delay_alu instid0(VALU_DEP_1)
	v_and_or_b32 v5, 0x80, v5, v7
	global_store_b8 v[9:10], v5, off
.LBB289_1693:
	s_mov_b32 s6, 0
	s_mov_b32 s7, -1
.LBB289_1694:
	s_and_not1_b32 vcc_lo, exec_lo, s6
	s_mov_b32 s6, 0
	s_cbranch_vccnz .LBB289_1701
; %bb.1695:
	v_cmp_lt_i16_e32 vcc_lo, 14, v11
	s_mov_b32 s6, -1
	s_cbranch_vccz .LBB289_1699
; %bb.1696:
	v_cmp_eq_u16_e32 vcc_lo, 15, v11
	s_mov_b32 s0, -1
	s_cbranch_vccz .LBB289_1698
; %bb.1697:
	v_bfe_i32 v5, v3, 0, 16
	s_mov_b32 s0, 0
	s_mov_b32 s7, -1
	s_delay_alu instid0(VALU_DEP_1) | instskip(NEXT) | instid1(VALU_DEP_1)
	v_cvt_f32_i32_e32 v5, v5
	v_bfe_u32 v7, v5, 16, 1
	s_delay_alu instid0(VALU_DEP_1)
	v_add3_u32 v5, v5, v7, 0x7fff
	global_store_d16_hi_b16 v[9:10], v5, off
.LBB289_1698:
	s_mov_b32 s6, 0
.LBB289_1699:
	s_delay_alu instid0(SALU_CYCLE_1)
	s_and_b32 vcc_lo, exec_lo, s6
	s_mov_b32 s6, 0
	s_cbranch_vccz .LBB289_1701
; %bb.1700:
	v_cmp_ne_u16_e64 s0, 11, v11
	s_mov_b32 s6, -1
.LBB289_1701:
	s_delay_alu instid0(VALU_DEP_1)
	s_and_b32 vcc_lo, exec_lo, s0
	s_cbranch_vccnz .LBB289_2108
; %bb.1702:
	s_and_not1_b32 vcc_lo, exec_lo, s6
	s_cbranch_vccnz .LBB289_1704
.LBB289_1703:
	v_cmp_ne_u16_e32 vcc_lo, 0, v3
	s_mov_b32 s7, -1
	v_cndmask_b32_e64 v5, 0, 1, vcc_lo
	global_store_b8 v[9:10], v5, off
.LBB289_1704:
	s_mov_b32 s0, 0
.LBB289_1705:
	s_delay_alu instid0(SALU_CYCLE_1)
	s_and_b32 vcc_lo, exec_lo, s0
	s_cbranch_vccz .LBB289_1744
; %bb.1706:
	v_cmp_gt_i16_e32 vcc_lo, 5, v11
	s_mov_b32 s0, -1
	s_cbranch_vccnz .LBB289_1727
; %bb.1707:
	v_cmp_gt_i16_e32 vcc_lo, 8, v11
	s_cbranch_vccnz .LBB289_1717
; %bb.1708:
	v_cmp_gt_i16_e32 vcc_lo, 9, v11
	s_cbranch_vccnz .LBB289_1714
; %bb.1709:
	v_cmp_lt_i16_e32 vcc_lo, 9, v11
	s_cbranch_vccz .LBB289_1711
; %bb.1710:
	v_bfe_i32 v5, v3, 0, 16
	v_mov_b32_e32 v14, 0
	s_mov_b32 s0, 0
	s_delay_alu instid0(VALU_DEP_2) | instskip(NEXT) | instid1(VALU_DEP_2)
	v_cvt_f64_i32_e32 v[12:13], v5
	v_mov_b32_e32 v15, v14
	global_store_b128 v[9:10], v[12:15], off
.LBB289_1711:
	s_and_not1_b32 vcc_lo, exec_lo, s0
	s_cbranch_vccnz .LBB289_1713
; %bb.1712:
	v_bfe_i32 v5, v3, 0, 16
	v_mov_b32_e32 v13, 0
	s_delay_alu instid0(VALU_DEP_2)
	v_cvt_f32_i32_e32 v12, v5
	global_store_b64 v[9:10], v[12:13], off
.LBB289_1713:
	s_mov_b32 s0, 0
.LBB289_1714:
	s_delay_alu instid0(SALU_CYCLE_1)
	s_and_not1_b32 vcc_lo, exec_lo, s0
	s_cbranch_vccnz .LBB289_1716
; %bb.1715:
	v_cvt_f16_i16_e32 v5, v3
	s_delay_alu instid0(VALU_DEP_1)
	v_and_b32_e32 v5, 0xffff, v5
	global_store_b32 v[9:10], v5, off
.LBB289_1716:
	s_mov_b32 s0, 0
.LBB289_1717:
	s_delay_alu instid0(SALU_CYCLE_1)
	s_and_not1_b32 vcc_lo, exec_lo, s0
	s_cbranch_vccnz .LBB289_1726
; %bb.1718:
	v_cmp_gt_i16_e32 vcc_lo, 6, v11
	s_mov_b32 s0, -1
	s_cbranch_vccnz .LBB289_1724
; %bb.1719:
	v_cmp_lt_i16_e32 vcc_lo, 6, v11
	s_cbranch_vccz .LBB289_1721
; %bb.1720:
	v_bfe_i32 v5, v3, 0, 16
	s_mov_b32 s0, 0
	s_delay_alu instid0(VALU_DEP_1)
	v_cvt_f64_i32_e32 v[12:13], v5
	global_store_b64 v[9:10], v[12:13], off
.LBB289_1721:
	s_and_not1_b32 vcc_lo, exec_lo, s0
	s_cbranch_vccnz .LBB289_1723
; %bb.1722:
	v_bfe_i32 v5, v3, 0, 16
	s_delay_alu instid0(VALU_DEP_1)
	v_cvt_f32_i32_e32 v5, v5
	global_store_b32 v[9:10], v5, off
.LBB289_1723:
	s_mov_b32 s0, 0
.LBB289_1724:
	s_delay_alu instid0(SALU_CYCLE_1)
	s_and_not1_b32 vcc_lo, exec_lo, s0
	s_cbranch_vccnz .LBB289_1726
; %bb.1725:
	v_cvt_f16_i16_e32 v5, v3
	global_store_b16 v[9:10], v5, off
.LBB289_1726:
	s_mov_b32 s0, 0
.LBB289_1727:
	s_delay_alu instid0(SALU_CYCLE_1)
	s_and_not1_b32 vcc_lo, exec_lo, s0
	s_cbranch_vccnz .LBB289_1743
; %bb.1728:
	v_cmp_gt_i16_e32 vcc_lo, 2, v11
	s_mov_b32 s0, -1
	s_cbranch_vccnz .LBB289_1738
; %bb.1729:
	v_cmp_gt_i16_e32 vcc_lo, 3, v11
	s_cbranch_vccnz .LBB289_1735
; %bb.1730:
	v_cmp_lt_i16_e32 vcc_lo, 3, v11
	s_cbranch_vccz .LBB289_1732
; %bb.1731:
	v_bfe_i32 v12, v3, 0, 16
	s_mov_b32 s0, 0
	s_delay_alu instid0(VALU_DEP_1)
	v_ashrrev_i32_e32 v13, 31, v12
	global_store_b64 v[9:10], v[12:13], off
.LBB289_1732:
	s_and_not1_b32 vcc_lo, exec_lo, s0
	s_cbranch_vccnz .LBB289_1734
; %bb.1733:
	v_bfe_i32 v5, v3, 0, 16
	global_store_b32 v[9:10], v5, off
.LBB289_1734:
	s_mov_b32 s0, 0
.LBB289_1735:
	s_delay_alu instid0(SALU_CYCLE_1)
	s_and_not1_b32 vcc_lo, exec_lo, s0
	s_cbranch_vccnz .LBB289_1737
; %bb.1736:
	global_store_b16 v[9:10], v3, off
.LBB289_1737:
	s_mov_b32 s0, 0
.LBB289_1738:
	s_delay_alu instid0(SALU_CYCLE_1)
	s_and_not1_b32 vcc_lo, exec_lo, s0
	s_cbranch_vccnz .LBB289_1743
; %bb.1739:
	v_cmp_lt_i16_e32 vcc_lo, 0, v11
	s_mov_b32 s0, -1
	s_cbranch_vccz .LBB289_1741
; %bb.1740:
	s_mov_b32 s0, 0
	global_store_b8 v[9:10], v3, off
.LBB289_1741:
	s_and_not1_b32 vcc_lo, exec_lo, s0
	s_cbranch_vccnz .LBB289_1743
; %bb.1742:
	global_store_b8 v[9:10], v3, off
.LBB289_1743:
	s_mov_b32 s7, -1
.LBB289_1744:
	s_delay_alu instid0(SALU_CYCLE_1)
	s_and_not1_b32 vcc_lo, exec_lo, s7
	s_cbranch_vccnz .LBB289_2057
; %bb.1745:
	v_bfe_i32 v3, v8, 0, 8
	v_lshrrev_b16 v5, 8, s3
	v_cmp_gt_i16_e32 vcc_lo, 11, v11
	v_add_co_u32 v2, s0, s4, v2
	s_delay_alu instid0(VALU_DEP_4) | instskip(NEXT) | instid1(VALU_DEP_4)
	v_max_i16 v7, v3, s2
	v_bfe_i32 v9, v5, 0, 8
	v_add_co_ci_u32_e64 v3, null, s5, 0, s0
	s_mov_b32 s6, 0
	s_delay_alu instid0(VALU_DEP_2)
	v_min_i16 v5, v7, v9
	s_mov_b32 s0, -1
	s_cbranch_vccnz .LBB289_1823
; %bb.1746:
	v_cmp_lt_i16_e32 vcc_lo, 25, v11
	s_mov_b32 s7, -1
	s_mov_b32 s3, 0
	s_mov_b32 s0, 0
	s_cbranch_vccz .LBB289_1779
; %bb.1747:
	v_cmp_lt_i16_e32 vcc_lo, 28, v11
	s_cbranch_vccz .LBB289_1762
; %bb.1748:
	v_cmp_lt_i16_e32 vcc_lo, 43, v11
	;; [unrolled: 3-line block ×3, first 2 shown]
	s_cbranch_vccz .LBB289_1752
; %bb.1750:
	v_cmp_eq_u16_e32 vcc_lo, 46, v11
	s_mov_b32 s0, -1
	s_mov_b32 s7, 0
	s_cbranch_vccz .LBB289_1752
; %bb.1751:
	v_bfe_i32 v7, v5, 0, 16
	s_mov_b32 s0, 0
	s_mov_b32 s6, -1
	s_delay_alu instid0(VALU_DEP_1) | instskip(NEXT) | instid1(VALU_DEP_1)
	v_cvt_f32_i32_e32 v7, v7
	v_bfe_u32 v8, v7, 16, 1
	s_delay_alu instid0(VALU_DEP_1) | instskip(NEXT) | instid1(VALU_DEP_1)
	v_add3_u32 v7, v7, v8, 0x7fff
	v_lshrrev_b32_e32 v7, 16, v7
	global_store_b32 v[2:3], v7, off
.LBB289_1752:
	s_and_b32 vcc_lo, exec_lo, s7
	s_cbranch_vccz .LBB289_1757
; %bb.1753:
	v_cmp_eq_u16_e32 vcc_lo, 44, v11
	s_mov_b32 s0, -1
	s_cbranch_vccz .LBB289_1757
; %bb.1754:
	v_bfe_i32 v7, v5, 0, 16
	v_mov_b32_e32 v8, 0xff
	s_mov_b32 s6, exec_lo
	s_delay_alu instid0(VALU_DEP_2) | instskip(NEXT) | instid1(VALU_DEP_1)
	v_cvt_f32_i32_e32 v7, v7
	v_bfe_u32 v10, v7, 23, 8
	s_delay_alu instid0(VALU_DEP_1)
	v_cmpx_ne_u32_e32 0xff, v10
; %bb.1755:
	v_and_b32_e32 v8, 0x400000, v7
	v_and_or_b32 v10, 0x3fffff, v7, v10
	v_lshrrev_b32_e32 v7, 23, v7
	s_delay_alu instid0(VALU_DEP_3) | instskip(NEXT) | instid1(VALU_DEP_3)
	v_cmp_ne_u32_e32 vcc_lo, 0, v8
	v_cmp_ne_u32_e64 s0, 0, v10
	s_delay_alu instid0(VALU_DEP_1) | instskip(NEXT) | instid1(SALU_CYCLE_1)
	s_and_b32 s0, vcc_lo, s0
	v_cndmask_b32_e64 v8, 0, 1, s0
	s_delay_alu instid0(VALU_DEP_1)
	v_add_nc_u32_e32 v8, v7, v8
; %bb.1756:
	s_or_b32 exec_lo, exec_lo, s6
	s_mov_b32 s0, 0
	s_mov_b32 s6, -1
	global_store_b8 v[2:3], v8, off
.LBB289_1757:
	s_mov_b32 s7, 0
.LBB289_1758:
	s_delay_alu instid0(SALU_CYCLE_1)
	s_and_b32 vcc_lo, exec_lo, s7
	s_cbranch_vccz .LBB289_1761
; %bb.1759:
	v_cmp_eq_u16_e32 vcc_lo, 29, v11
	s_mov_b32 s0, -1
	s_cbranch_vccz .LBB289_1761
; %bb.1760:
	v_bfe_i32 v7, v5, 0, 16
	s_mov_b32 s0, 0
	s_mov_b32 s6, -1
	s_delay_alu instid0(VALU_DEP_1)
	v_ashrrev_i32_e32 v8, 31, v7
	global_store_b64 v[2:3], v[7:8], off
.LBB289_1761:
	s_mov_b32 s7, 0
.LBB289_1762:
	s_delay_alu instid0(SALU_CYCLE_1)
	s_and_b32 vcc_lo, exec_lo, s7
	s_cbranch_vccz .LBB289_1778
; %bb.1763:
	v_cmp_gt_i16_e32 vcc_lo, 27, v11
	s_mov_b32 s6, -1
	s_cbranch_vccnz .LBB289_1769
; %bb.1764:
	v_cmp_lt_i16_e32 vcc_lo, 27, v11
	s_cbranch_vccz .LBB289_1766
; %bb.1765:
	v_bfe_i32 v7, v5, 0, 16
	s_mov_b32 s6, 0
	global_store_b32 v[2:3], v7, off
.LBB289_1766:
	s_and_not1_b32 vcc_lo, exec_lo, s6
	s_cbranch_vccnz .LBB289_1768
; %bb.1767:
	global_store_b16 v[2:3], v5, off
.LBB289_1768:
	s_mov_b32 s6, 0
.LBB289_1769:
	s_delay_alu instid0(SALU_CYCLE_1)
	s_and_not1_b32 vcc_lo, exec_lo, s6
	s_cbranch_vccnz .LBB289_1777
; %bb.1770:
	v_bfe_i32 v7, v5, 0, 16
	v_mov_b32_e32 v10, 0x80
	s_mov_b32 s6, exec_lo
	s_delay_alu instid0(VALU_DEP_2) | instskip(NEXT) | instid1(VALU_DEP_1)
	v_cvt_f32_i32_e32 v7, v7
	v_and_b32_e32 v8, 0x7fffffff, v7
	s_delay_alu instid0(VALU_DEP_1)
	v_cmpx_gt_u32_e32 0x43800000, v8
	s_cbranch_execz .LBB289_1776
; %bb.1771:
	v_cmp_lt_u32_e32 vcc_lo, 0x3bffffff, v8
	s_mov_b32 s7, 0
                                        ; implicit-def: $vgpr8
	s_and_saveexec_b32 s10, vcc_lo
	s_delay_alu instid0(SALU_CYCLE_1)
	s_xor_b32 s10, exec_lo, s10
	s_cbranch_execz .LBB289_2112
; %bb.1772:
	v_bfe_u32 v8, v7, 20, 1
	s_mov_b32 s7, exec_lo
	s_delay_alu instid0(VALU_DEP_1) | instskip(NEXT) | instid1(VALU_DEP_1)
	v_add3_u32 v8, v7, v8, 0x487ffff
	v_lshrrev_b32_e32 v8, 20, v8
	s_or_saveexec_b32 s10, s10
                                        ; implicit-def: $sgpr11
	s_delay_alu instid0(SALU_CYCLE_1)
	s_xor_b32 exec_lo, exec_lo, s10
	s_cbranch_execnz .LBB289_2113
.LBB289_1773:
	s_or_b32 exec_lo, exec_lo, s10
	v_mov_b32_e32 v10, s11
	s_and_saveexec_b32 s10, s7
.LBB289_1774:
	v_lshrrev_b32_e32 v7, 24, v7
	s_delay_alu instid0(VALU_DEP_1)
	v_and_or_b32 v10, 0x80, v7, v8
.LBB289_1775:
	s_or_b32 exec_lo, exec_lo, s10
.LBB289_1776:
	s_delay_alu instid0(SALU_CYCLE_1)
	s_or_b32 exec_lo, exec_lo, s6
	global_store_b8 v[2:3], v10, off
.LBB289_1777:
	s_mov_b32 s6, -1
.LBB289_1778:
	s_mov_b32 s7, 0
.LBB289_1779:
	s_delay_alu instid0(SALU_CYCLE_1)
	s_and_b32 vcc_lo, exec_lo, s7
	s_cbranch_vccz .LBB289_1819
; %bb.1780:
	v_cmp_lt_i16_e32 vcc_lo, 22, v11
	s_mov_b32 s3, -1
	s_cbranch_vccz .LBB289_1812
; %bb.1781:
	v_cmp_gt_i16_e32 vcc_lo, 24, v11
	s_cbranch_vccnz .LBB289_1801
; %bb.1782:
	v_cmp_lt_i16_e32 vcc_lo, 24, v11
	s_cbranch_vccz .LBB289_1790
; %bb.1783:
	v_bfe_i32 v7, v5, 0, 16
	v_mov_b32_e32 v10, 0x80
	s_mov_b32 s3, exec_lo
	s_delay_alu instid0(VALU_DEP_2) | instskip(NEXT) | instid1(VALU_DEP_1)
	v_cvt_f32_i32_e32 v7, v7
	v_and_b32_e32 v8, 0x7fffffff, v7
	s_delay_alu instid0(VALU_DEP_1)
	v_cmpx_gt_u32_e32 0x47800000, v8
	s_cbranch_execz .LBB289_1789
; %bb.1784:
	v_cmp_lt_u32_e32 vcc_lo, 0x37ffffff, v8
	s_mov_b32 s6, 0
                                        ; implicit-def: $vgpr8
	s_and_saveexec_b32 s7, vcc_lo
	s_delay_alu instid0(SALU_CYCLE_1)
	s_xor_b32 s7, exec_lo, s7
	s_cbranch_execz .LBB289_2118
; %bb.1785:
	v_bfe_u32 v8, v7, 21, 1
	s_mov_b32 s6, exec_lo
	s_delay_alu instid0(VALU_DEP_1) | instskip(NEXT) | instid1(VALU_DEP_1)
	v_add3_u32 v8, v7, v8, 0x88fffff
	v_lshrrev_b32_e32 v8, 21, v8
	s_or_saveexec_b32 s7, s7
                                        ; implicit-def: $sgpr10
	s_delay_alu instid0(SALU_CYCLE_1)
	s_xor_b32 exec_lo, exec_lo, s7
	s_cbranch_execnz .LBB289_2119
.LBB289_1786:
	s_or_b32 exec_lo, exec_lo, s7
	v_mov_b32_e32 v10, s10
	s_and_saveexec_b32 s7, s6
.LBB289_1787:
	v_lshrrev_b32_e32 v7, 24, v7
	s_delay_alu instid0(VALU_DEP_1)
	v_and_or_b32 v10, 0x80, v7, v8
.LBB289_1788:
	s_or_b32 exec_lo, exec_lo, s7
.LBB289_1789:
	s_delay_alu instid0(SALU_CYCLE_1)
	s_or_b32 exec_lo, exec_lo, s3
	s_mov_b32 s3, 0
	global_store_b8 v[2:3], v10, off
.LBB289_1790:
	s_and_b32 vcc_lo, exec_lo, s3
	s_cbranch_vccz .LBB289_1800
; %bb.1791:
	v_bfe_i32 v7, v5, 0, 16
	s_mov_b32 s3, exec_lo
                                        ; implicit-def: $vgpr8
	s_delay_alu instid0(VALU_DEP_1) | instskip(NEXT) | instid1(VALU_DEP_1)
	v_cvt_f32_i32_e32 v7, v7
	v_and_b32_e32 v10, 0x7fffffff, v7
	s_delay_alu instid0(VALU_DEP_1)
	v_cmpx_gt_u32_e32 0x43f00000, v10
	s_xor_b32 s3, exec_lo, s3
	s_cbranch_execz .LBB289_1797
; %bb.1792:
	s_mov_b32 s6, exec_lo
                                        ; implicit-def: $vgpr8
	v_cmpx_lt_u32_e32 0x3c7fffff, v10
	s_xor_b32 s6, exec_lo, s6
; %bb.1793:
	v_bfe_u32 v8, v7, 20, 1
	s_delay_alu instid0(VALU_DEP_1) | instskip(NEXT) | instid1(VALU_DEP_1)
	v_add3_u32 v8, v7, v8, 0x407ffff
	v_and_b32_e32 v10, 0xff00000, v8
	v_lshrrev_b32_e32 v8, 20, v8
	s_delay_alu instid0(VALU_DEP_2) | instskip(NEXT) | instid1(VALU_DEP_2)
	v_cmp_ne_u32_e32 vcc_lo, 0x7f00000, v10
	v_cndmask_b32_e32 v8, 0x7e, v8, vcc_lo
; %bb.1794:
	s_and_not1_saveexec_b32 s6, s6
; %bb.1795:
	v_add_f32_e64 v8, 0x46800000, |v7|
; %bb.1796:
	s_or_b32 exec_lo, exec_lo, s6
                                        ; implicit-def: $vgpr10
.LBB289_1797:
	s_and_not1_saveexec_b32 s3, s3
; %bb.1798:
	v_mov_b32_e32 v8, 0x7f
	v_cmp_lt_u32_e32 vcc_lo, 0x7f800000, v10
	s_delay_alu instid0(VALU_DEP_2)
	v_cndmask_b32_e32 v8, 0x7e, v8, vcc_lo
; %bb.1799:
	s_or_b32 exec_lo, exec_lo, s3
	v_lshrrev_b32_e32 v7, 24, v7
	s_delay_alu instid0(VALU_DEP_1)
	v_and_or_b32 v7, 0x80, v7, v8
	global_store_b8 v[2:3], v7, off
.LBB289_1800:
	s_mov_b32 s3, 0
.LBB289_1801:
	s_delay_alu instid0(SALU_CYCLE_1)
	s_and_not1_b32 vcc_lo, exec_lo, s3
	s_cbranch_vccnz .LBB289_1811
; %bb.1802:
	v_bfe_i32 v7, v5, 0, 16
	s_mov_b32 s3, exec_lo
                                        ; implicit-def: $vgpr8
	s_delay_alu instid0(VALU_DEP_1) | instskip(NEXT) | instid1(VALU_DEP_1)
	v_cvt_f32_i32_e32 v7, v7
	v_and_b32_e32 v10, 0x7fffffff, v7
	s_delay_alu instid0(VALU_DEP_1)
	v_cmpx_gt_u32_e32 0x47800000, v10
	s_xor_b32 s3, exec_lo, s3
	s_cbranch_execz .LBB289_1808
; %bb.1803:
	s_mov_b32 s6, exec_lo
                                        ; implicit-def: $vgpr8
	v_cmpx_lt_u32_e32 0x387fffff, v10
	s_xor_b32 s6, exec_lo, s6
; %bb.1804:
	v_bfe_u32 v8, v7, 21, 1
	s_delay_alu instid0(VALU_DEP_1) | instskip(NEXT) | instid1(VALU_DEP_1)
	v_add3_u32 v8, v7, v8, 0x80fffff
	v_lshrrev_b32_e32 v8, 21, v8
; %bb.1805:
	s_and_not1_saveexec_b32 s6, s6
; %bb.1806:
	v_add_f32_e64 v8, 0x43000000, |v7|
; %bb.1807:
	s_or_b32 exec_lo, exec_lo, s6
                                        ; implicit-def: $vgpr10
.LBB289_1808:
	s_and_not1_saveexec_b32 s3, s3
; %bb.1809:
	v_mov_b32_e32 v8, 0x7f
	v_cmp_lt_u32_e32 vcc_lo, 0x7f800000, v10
	s_delay_alu instid0(VALU_DEP_2)
	v_cndmask_b32_e32 v8, 0x7c, v8, vcc_lo
; %bb.1810:
	s_or_b32 exec_lo, exec_lo, s3
	v_lshrrev_b32_e32 v7, 24, v7
	s_delay_alu instid0(VALU_DEP_1)
	v_and_or_b32 v7, 0x80, v7, v8
	global_store_b8 v[2:3], v7, off
.LBB289_1811:
	s_mov_b32 s3, 0
	s_mov_b32 s6, -1
.LBB289_1812:
	s_and_not1_b32 vcc_lo, exec_lo, s3
	s_mov_b32 s3, 0
	s_cbranch_vccnz .LBB289_1819
; %bb.1813:
	v_cmp_lt_i16_e32 vcc_lo, 14, v11
	s_mov_b32 s3, -1
	s_cbranch_vccz .LBB289_1817
; %bb.1814:
	v_cmp_eq_u16_e32 vcc_lo, 15, v11
	s_mov_b32 s0, -1
	s_cbranch_vccz .LBB289_1816
; %bb.1815:
	v_bfe_i32 v7, v5, 0, 16
	s_mov_b32 s0, 0
	s_mov_b32 s6, -1
	s_delay_alu instid0(VALU_DEP_1) | instskip(NEXT) | instid1(VALU_DEP_1)
	v_cvt_f32_i32_e32 v7, v7
	v_bfe_u32 v8, v7, 16, 1
	s_delay_alu instid0(VALU_DEP_1)
	v_add3_u32 v7, v7, v8, 0x7fff
	global_store_d16_hi_b16 v[2:3], v7, off
.LBB289_1816:
	s_mov_b32 s3, 0
.LBB289_1817:
	s_delay_alu instid0(SALU_CYCLE_1)
	s_and_b32 vcc_lo, exec_lo, s3
	s_mov_b32 s3, 0
	s_cbranch_vccz .LBB289_1819
; %bb.1818:
	v_cmp_ne_u16_e64 s0, 11, v11
	s_mov_b32 s3, -1
.LBB289_1819:
	s_delay_alu instid0(VALU_DEP_1)
	s_and_b32 vcc_lo, exec_lo, s0
	s_cbranch_vccnz .LBB289_2116
; %bb.1820:
	s_and_not1_b32 vcc_lo, exec_lo, s3
	s_cbranch_vccnz .LBB289_1822
.LBB289_1821:
	v_cmp_ne_u16_e32 vcc_lo, 0, v5
	s_mov_b32 s6, -1
	v_cndmask_b32_e64 v7, 0, 1, vcc_lo
	global_store_b8 v[2:3], v7, off
.LBB289_1822:
	s_mov_b32 s0, 0
.LBB289_1823:
	s_delay_alu instid0(SALU_CYCLE_1)
	s_and_b32 vcc_lo, exec_lo, s0
	s_cbranch_vccz .LBB289_1862
; %bb.1824:
	v_cmp_gt_i16_e32 vcc_lo, 5, v11
	s_mov_b32 s0, -1
	s_cbranch_vccnz .LBB289_1845
; %bb.1825:
	v_cmp_gt_i16_e32 vcc_lo, 8, v11
	s_cbranch_vccnz .LBB289_1835
; %bb.1826:
	v_cmp_gt_i16_e32 vcc_lo, 9, v11
	s_cbranch_vccnz .LBB289_1832
; %bb.1827:
	v_cmp_lt_i16_e32 vcc_lo, 9, v11
	s_cbranch_vccz .LBB289_1829
; %bb.1828:
	v_bfe_i32 v7, v5, 0, 16
	v_mov_b32_e32 v14, 0
	s_mov_b32 s0, 0
	s_delay_alu instid0(VALU_DEP_2) | instskip(NEXT) | instid1(VALU_DEP_2)
	v_cvt_f64_i32_e32 v[12:13], v7
	v_mov_b32_e32 v15, v14
	global_store_b128 v[2:3], v[12:15], off
.LBB289_1829:
	s_and_not1_b32 vcc_lo, exec_lo, s0
	s_cbranch_vccnz .LBB289_1831
; %bb.1830:
	v_bfe_i32 v7, v5, 0, 16
	v_mov_b32_e32 v8, 0
	s_delay_alu instid0(VALU_DEP_2)
	v_cvt_f32_i32_e32 v7, v7
	global_store_b64 v[2:3], v[7:8], off
.LBB289_1831:
	s_mov_b32 s0, 0
.LBB289_1832:
	s_delay_alu instid0(SALU_CYCLE_1)
	s_and_not1_b32 vcc_lo, exec_lo, s0
	s_cbranch_vccnz .LBB289_1834
; %bb.1833:
	v_cvt_f16_i16_e32 v7, v5
	s_delay_alu instid0(VALU_DEP_1)
	v_and_b32_e32 v7, 0xffff, v7
	global_store_b32 v[2:3], v7, off
.LBB289_1834:
	s_mov_b32 s0, 0
.LBB289_1835:
	s_delay_alu instid0(SALU_CYCLE_1)
	s_and_not1_b32 vcc_lo, exec_lo, s0
	s_cbranch_vccnz .LBB289_1844
; %bb.1836:
	v_cmp_gt_i16_e32 vcc_lo, 6, v11
	s_mov_b32 s0, -1
	s_cbranch_vccnz .LBB289_1842
; %bb.1837:
	v_cmp_lt_i16_e32 vcc_lo, 6, v11
	s_cbranch_vccz .LBB289_1839
; %bb.1838:
	v_bfe_i32 v7, v5, 0, 16
	s_mov_b32 s0, 0
	s_delay_alu instid0(VALU_DEP_1)
	v_cvt_f64_i32_e32 v[7:8], v7
	global_store_b64 v[2:3], v[7:8], off
.LBB289_1839:
	s_and_not1_b32 vcc_lo, exec_lo, s0
	s_cbranch_vccnz .LBB289_1841
; %bb.1840:
	v_bfe_i32 v7, v5, 0, 16
	s_delay_alu instid0(VALU_DEP_1)
	v_cvt_f32_i32_e32 v7, v7
	global_store_b32 v[2:3], v7, off
.LBB289_1841:
	s_mov_b32 s0, 0
.LBB289_1842:
	s_delay_alu instid0(SALU_CYCLE_1)
	s_and_not1_b32 vcc_lo, exec_lo, s0
	s_cbranch_vccnz .LBB289_1844
; %bb.1843:
	v_cvt_f16_i16_e32 v7, v5
	global_store_b16 v[2:3], v7, off
.LBB289_1844:
	s_mov_b32 s0, 0
.LBB289_1845:
	s_delay_alu instid0(SALU_CYCLE_1)
	s_and_not1_b32 vcc_lo, exec_lo, s0
	s_cbranch_vccnz .LBB289_1861
; %bb.1846:
	v_cmp_gt_i16_e32 vcc_lo, 2, v11
	s_mov_b32 s0, -1
	s_cbranch_vccnz .LBB289_1856
; %bb.1847:
	v_cmp_gt_i16_e32 vcc_lo, 3, v11
	s_cbranch_vccnz .LBB289_1853
; %bb.1848:
	v_cmp_lt_i16_e32 vcc_lo, 3, v11
	v_bfe_i32 v7, v5, 0, 16
	s_cbranch_vccz .LBB289_1850
; %bb.1849:
	s_delay_alu instid0(VALU_DEP_1)
	v_ashrrev_i32_e32 v8, 31, v7
	s_mov_b32 s0, 0
	global_store_b64 v[2:3], v[7:8], off
.LBB289_1850:
	s_and_not1_b32 vcc_lo, exec_lo, s0
	s_cbranch_vccnz .LBB289_1852
; %bb.1851:
	global_store_b32 v[2:3], v7, off
.LBB289_1852:
	s_mov_b32 s0, 0
.LBB289_1853:
	s_delay_alu instid0(SALU_CYCLE_1)
	s_and_not1_b32 vcc_lo, exec_lo, s0
	s_cbranch_vccnz .LBB289_1855
; %bb.1854:
	global_store_b16 v[2:3], v5, off
.LBB289_1855:
	s_mov_b32 s0, 0
.LBB289_1856:
	s_delay_alu instid0(SALU_CYCLE_1)
	s_and_not1_b32 vcc_lo, exec_lo, s0
	s_cbranch_vccnz .LBB289_1861
; %bb.1857:
	v_cmp_lt_i16_e32 vcc_lo, 0, v11
	s_mov_b32 s0, -1
	s_cbranch_vccz .LBB289_1859
; %bb.1858:
	s_mov_b32 s0, 0
	global_store_b8 v[2:3], v5, off
.LBB289_1859:
	s_and_not1_b32 vcc_lo, exec_lo, s0
	s_cbranch_vccnz .LBB289_1861
; %bb.1860:
	global_store_b8 v[2:3], v5, off
.LBB289_1861:
	s_mov_b32 s6, -1
.LBB289_1862:
	s_delay_alu instid0(SALU_CYCLE_1)
	s_and_not1_b32 vcc_lo, exec_lo, s6
	s_cbranch_vccnz .LBB289_2057
; %bb.1863:
	v_bfe_i32 v2, v6, 0, 8
	v_cmp_gt_i16_e32 vcc_lo, 11, v11
	v_add_co_u32 v1, s0, s4, v1
	s_mov_b32 s6, 0
	s_delay_alu instid0(VALU_DEP_3) | instskip(SKIP_2) | instid1(VALU_DEP_2)
	v_max_i16 v3, v2, s2
	v_add_co_ci_u32_e64 v2, null, s5, 0, s0
	s_mov_b32 s0, -1
	v_min_i16 v3, v3, v9
	s_cbranch_vccnz .LBB289_1941
; %bb.1864:
	v_cmp_lt_i16_e32 vcc_lo, 25, v11
	s_mov_b32 s7, -1
	s_mov_b32 s3, 0
	s_mov_b32 s0, 0
	s_cbranch_vccz .LBB289_1897
; %bb.1865:
	v_cmp_lt_i16_e32 vcc_lo, 28, v11
	s_cbranch_vccz .LBB289_1880
; %bb.1866:
	v_cmp_lt_i16_e32 vcc_lo, 43, v11
	s_cbranch_vccz .LBB289_1876
; %bb.1867:
	v_cmp_lt_i16_e32 vcc_lo, 45, v11
	s_cbranch_vccz .LBB289_1870
; %bb.1868:
	v_cmp_eq_u16_e32 vcc_lo, 46, v11
	s_mov_b32 s0, -1
	s_mov_b32 s7, 0
	s_cbranch_vccz .LBB289_1870
; %bb.1869:
	v_bfe_i32 v5, v3, 0, 16
	s_mov_b32 s0, 0
	s_mov_b32 s6, -1
	s_delay_alu instid0(VALU_DEP_1) | instskip(NEXT) | instid1(VALU_DEP_1)
	v_cvt_f32_i32_e32 v5, v5
	v_bfe_u32 v6, v5, 16, 1
	s_delay_alu instid0(VALU_DEP_1) | instskip(NEXT) | instid1(VALU_DEP_1)
	v_add3_u32 v5, v5, v6, 0x7fff
	v_lshrrev_b32_e32 v5, 16, v5
	global_store_b32 v[1:2], v5, off
.LBB289_1870:
	s_and_b32 vcc_lo, exec_lo, s7
	s_cbranch_vccz .LBB289_1875
; %bb.1871:
	v_cmp_eq_u16_e32 vcc_lo, 44, v11
	s_mov_b32 s0, -1
	s_cbranch_vccz .LBB289_1875
; %bb.1872:
	v_bfe_i32 v5, v3, 0, 16
	v_mov_b32_e32 v6, 0xff
	s_mov_b32 s6, exec_lo
	s_delay_alu instid0(VALU_DEP_2) | instskip(NEXT) | instid1(VALU_DEP_1)
	v_cvt_f32_i32_e32 v5, v5
	v_bfe_u32 v7, v5, 23, 8
	s_delay_alu instid0(VALU_DEP_1)
	v_cmpx_ne_u32_e32 0xff, v7
; %bb.1873:
	v_and_b32_e32 v6, 0x400000, v5
	v_and_or_b32 v7, 0x3fffff, v5, v7
	v_lshrrev_b32_e32 v5, 23, v5
	s_delay_alu instid0(VALU_DEP_3) | instskip(NEXT) | instid1(VALU_DEP_3)
	v_cmp_ne_u32_e32 vcc_lo, 0, v6
	v_cmp_ne_u32_e64 s0, 0, v7
	s_delay_alu instid0(VALU_DEP_1) | instskip(NEXT) | instid1(SALU_CYCLE_1)
	s_and_b32 s0, vcc_lo, s0
	v_cndmask_b32_e64 v6, 0, 1, s0
	s_delay_alu instid0(VALU_DEP_1)
	v_add_nc_u32_e32 v6, v5, v6
; %bb.1874:
	s_or_b32 exec_lo, exec_lo, s6
	s_mov_b32 s0, 0
	s_mov_b32 s6, -1
	global_store_b8 v[1:2], v6, off
.LBB289_1875:
	s_mov_b32 s7, 0
.LBB289_1876:
	s_delay_alu instid0(SALU_CYCLE_1)
	s_and_b32 vcc_lo, exec_lo, s7
	s_cbranch_vccz .LBB289_1879
; %bb.1877:
	v_cmp_eq_u16_e32 vcc_lo, 29, v11
	s_mov_b32 s0, -1
	s_cbranch_vccz .LBB289_1879
; %bb.1878:
	v_bfe_i32 v5, v3, 0, 16
	s_mov_b32 s0, 0
	s_mov_b32 s6, -1
	s_delay_alu instid0(VALU_DEP_1)
	v_ashrrev_i32_e32 v6, 31, v5
	global_store_b64 v[1:2], v[5:6], off
.LBB289_1879:
	s_mov_b32 s7, 0
.LBB289_1880:
	s_delay_alu instid0(SALU_CYCLE_1)
	s_and_b32 vcc_lo, exec_lo, s7
	s_cbranch_vccz .LBB289_1896
; %bb.1881:
	v_cmp_gt_i16_e32 vcc_lo, 27, v11
	s_mov_b32 s6, -1
	s_cbranch_vccnz .LBB289_1887
; %bb.1882:
	v_cmp_lt_i16_e32 vcc_lo, 27, v11
	s_cbranch_vccz .LBB289_1884
; %bb.1883:
	v_bfe_i32 v5, v3, 0, 16
	s_mov_b32 s6, 0
	global_store_b32 v[1:2], v5, off
.LBB289_1884:
	s_and_not1_b32 vcc_lo, exec_lo, s6
	s_cbranch_vccnz .LBB289_1886
; %bb.1885:
	global_store_b16 v[1:2], v3, off
.LBB289_1886:
	s_mov_b32 s6, 0
.LBB289_1887:
	s_delay_alu instid0(SALU_CYCLE_1)
	s_and_not1_b32 vcc_lo, exec_lo, s6
	s_cbranch_vccnz .LBB289_1895
; %bb.1888:
	v_bfe_i32 v5, v3, 0, 16
	v_mov_b32_e32 v7, 0x80
	s_mov_b32 s6, exec_lo
	s_delay_alu instid0(VALU_DEP_2) | instskip(NEXT) | instid1(VALU_DEP_1)
	v_cvt_f32_i32_e32 v5, v5
	v_and_b32_e32 v6, 0x7fffffff, v5
	s_delay_alu instid0(VALU_DEP_1)
	v_cmpx_gt_u32_e32 0x43800000, v6
	s_cbranch_execz .LBB289_1894
; %bb.1889:
	v_cmp_lt_u32_e32 vcc_lo, 0x3bffffff, v6
	s_mov_b32 s7, 0
                                        ; implicit-def: $vgpr6
	s_and_saveexec_b32 s10, vcc_lo
	s_delay_alu instid0(SALU_CYCLE_1)
	s_xor_b32 s10, exec_lo, s10
	s_cbranch_execz .LBB289_2120
; %bb.1890:
	v_bfe_u32 v6, v5, 20, 1
	s_mov_b32 s7, exec_lo
	s_delay_alu instid0(VALU_DEP_1) | instskip(NEXT) | instid1(VALU_DEP_1)
	v_add3_u32 v6, v5, v6, 0x487ffff
	v_lshrrev_b32_e32 v6, 20, v6
	s_or_saveexec_b32 s10, s10
                                        ; implicit-def: $sgpr11
	s_delay_alu instid0(SALU_CYCLE_1)
	s_xor_b32 exec_lo, exec_lo, s10
	s_cbranch_execnz .LBB289_2121
.LBB289_1891:
	s_or_b32 exec_lo, exec_lo, s10
	v_mov_b32_e32 v7, s11
	s_and_saveexec_b32 s10, s7
.LBB289_1892:
	v_lshrrev_b32_e32 v5, 24, v5
	s_delay_alu instid0(VALU_DEP_1)
	v_and_or_b32 v7, 0x80, v5, v6
.LBB289_1893:
	s_or_b32 exec_lo, exec_lo, s10
.LBB289_1894:
	s_delay_alu instid0(SALU_CYCLE_1)
	s_or_b32 exec_lo, exec_lo, s6
	global_store_b8 v[1:2], v7, off
.LBB289_1895:
	s_mov_b32 s6, -1
.LBB289_1896:
	s_mov_b32 s7, 0
.LBB289_1897:
	s_delay_alu instid0(SALU_CYCLE_1)
	s_and_b32 vcc_lo, exec_lo, s7
	s_cbranch_vccz .LBB289_1937
; %bb.1898:
	v_cmp_lt_i16_e32 vcc_lo, 22, v11
	s_mov_b32 s3, -1
	s_cbranch_vccz .LBB289_1930
; %bb.1899:
	v_cmp_gt_i16_e32 vcc_lo, 24, v11
	s_cbranch_vccnz .LBB289_1919
; %bb.1900:
	v_cmp_lt_i16_e32 vcc_lo, 24, v11
	s_cbranch_vccz .LBB289_1908
; %bb.1901:
	v_bfe_i32 v5, v3, 0, 16
	v_mov_b32_e32 v7, 0x80
	s_mov_b32 s3, exec_lo
	s_delay_alu instid0(VALU_DEP_2) | instskip(NEXT) | instid1(VALU_DEP_1)
	v_cvt_f32_i32_e32 v5, v5
	v_and_b32_e32 v6, 0x7fffffff, v5
	s_delay_alu instid0(VALU_DEP_1)
	v_cmpx_gt_u32_e32 0x47800000, v6
	s_cbranch_execz .LBB289_1907
; %bb.1902:
	v_cmp_lt_u32_e32 vcc_lo, 0x37ffffff, v6
	s_mov_b32 s6, 0
                                        ; implicit-def: $vgpr6
	s_and_saveexec_b32 s7, vcc_lo
	s_delay_alu instid0(SALU_CYCLE_1)
	s_xor_b32 s7, exec_lo, s7
	s_cbranch_execz .LBB289_2126
; %bb.1903:
	v_bfe_u32 v6, v5, 21, 1
	s_mov_b32 s6, exec_lo
	s_delay_alu instid0(VALU_DEP_1) | instskip(NEXT) | instid1(VALU_DEP_1)
	v_add3_u32 v6, v5, v6, 0x88fffff
	v_lshrrev_b32_e32 v6, 21, v6
	s_or_saveexec_b32 s7, s7
                                        ; implicit-def: $sgpr10
	s_delay_alu instid0(SALU_CYCLE_1)
	s_xor_b32 exec_lo, exec_lo, s7
	s_cbranch_execnz .LBB289_2127
.LBB289_1904:
	s_or_b32 exec_lo, exec_lo, s7
	v_mov_b32_e32 v7, s10
	s_and_saveexec_b32 s7, s6
.LBB289_1905:
	v_lshrrev_b32_e32 v5, 24, v5
	s_delay_alu instid0(VALU_DEP_1)
	v_and_or_b32 v7, 0x80, v5, v6
.LBB289_1906:
	s_or_b32 exec_lo, exec_lo, s7
.LBB289_1907:
	s_delay_alu instid0(SALU_CYCLE_1)
	s_or_b32 exec_lo, exec_lo, s3
	s_mov_b32 s3, 0
	global_store_b8 v[1:2], v7, off
.LBB289_1908:
	s_and_b32 vcc_lo, exec_lo, s3
	s_cbranch_vccz .LBB289_1918
; %bb.1909:
	v_bfe_i32 v5, v3, 0, 16
	s_mov_b32 s3, exec_lo
                                        ; implicit-def: $vgpr6
	s_delay_alu instid0(VALU_DEP_1) | instskip(NEXT) | instid1(VALU_DEP_1)
	v_cvt_f32_i32_e32 v5, v5
	v_and_b32_e32 v7, 0x7fffffff, v5
	s_delay_alu instid0(VALU_DEP_1)
	v_cmpx_gt_u32_e32 0x43f00000, v7
	s_xor_b32 s3, exec_lo, s3
	s_cbranch_execz .LBB289_1915
; %bb.1910:
	s_mov_b32 s6, exec_lo
                                        ; implicit-def: $vgpr6
	v_cmpx_lt_u32_e32 0x3c7fffff, v7
	s_xor_b32 s6, exec_lo, s6
; %bb.1911:
	v_bfe_u32 v6, v5, 20, 1
	s_delay_alu instid0(VALU_DEP_1) | instskip(NEXT) | instid1(VALU_DEP_1)
	v_add3_u32 v6, v5, v6, 0x407ffff
	v_and_b32_e32 v7, 0xff00000, v6
	v_lshrrev_b32_e32 v6, 20, v6
	s_delay_alu instid0(VALU_DEP_2) | instskip(NEXT) | instid1(VALU_DEP_2)
	v_cmp_ne_u32_e32 vcc_lo, 0x7f00000, v7
	v_cndmask_b32_e32 v6, 0x7e, v6, vcc_lo
; %bb.1912:
	s_and_not1_saveexec_b32 s6, s6
; %bb.1913:
	v_add_f32_e64 v6, 0x46800000, |v5|
; %bb.1914:
	s_or_b32 exec_lo, exec_lo, s6
                                        ; implicit-def: $vgpr7
.LBB289_1915:
	s_and_not1_saveexec_b32 s3, s3
; %bb.1916:
	v_mov_b32_e32 v6, 0x7f
	v_cmp_lt_u32_e32 vcc_lo, 0x7f800000, v7
	s_delay_alu instid0(VALU_DEP_2)
	v_cndmask_b32_e32 v6, 0x7e, v6, vcc_lo
; %bb.1917:
	s_or_b32 exec_lo, exec_lo, s3
	v_lshrrev_b32_e32 v5, 24, v5
	s_delay_alu instid0(VALU_DEP_1)
	v_and_or_b32 v5, 0x80, v5, v6
	global_store_b8 v[1:2], v5, off
.LBB289_1918:
	s_mov_b32 s3, 0
.LBB289_1919:
	s_delay_alu instid0(SALU_CYCLE_1)
	s_and_not1_b32 vcc_lo, exec_lo, s3
	s_cbranch_vccnz .LBB289_1929
; %bb.1920:
	v_bfe_i32 v5, v3, 0, 16
	s_mov_b32 s3, exec_lo
                                        ; implicit-def: $vgpr6
	s_delay_alu instid0(VALU_DEP_1) | instskip(NEXT) | instid1(VALU_DEP_1)
	v_cvt_f32_i32_e32 v5, v5
	v_and_b32_e32 v7, 0x7fffffff, v5
	s_delay_alu instid0(VALU_DEP_1)
	v_cmpx_gt_u32_e32 0x47800000, v7
	s_xor_b32 s3, exec_lo, s3
	s_cbranch_execz .LBB289_1926
; %bb.1921:
	s_mov_b32 s6, exec_lo
                                        ; implicit-def: $vgpr6
	v_cmpx_lt_u32_e32 0x387fffff, v7
	s_xor_b32 s6, exec_lo, s6
; %bb.1922:
	v_bfe_u32 v6, v5, 21, 1
	s_delay_alu instid0(VALU_DEP_1) | instskip(NEXT) | instid1(VALU_DEP_1)
	v_add3_u32 v6, v5, v6, 0x80fffff
	v_lshrrev_b32_e32 v6, 21, v6
; %bb.1923:
	s_and_not1_saveexec_b32 s6, s6
; %bb.1924:
	v_add_f32_e64 v6, 0x43000000, |v5|
; %bb.1925:
	s_or_b32 exec_lo, exec_lo, s6
                                        ; implicit-def: $vgpr7
.LBB289_1926:
	s_and_not1_saveexec_b32 s3, s3
; %bb.1927:
	v_mov_b32_e32 v6, 0x7f
	v_cmp_lt_u32_e32 vcc_lo, 0x7f800000, v7
	s_delay_alu instid0(VALU_DEP_2)
	v_cndmask_b32_e32 v6, 0x7c, v6, vcc_lo
; %bb.1928:
	s_or_b32 exec_lo, exec_lo, s3
	v_lshrrev_b32_e32 v5, 24, v5
	s_delay_alu instid0(VALU_DEP_1)
	v_and_or_b32 v5, 0x80, v5, v6
	global_store_b8 v[1:2], v5, off
.LBB289_1929:
	s_mov_b32 s3, 0
	s_mov_b32 s6, -1
.LBB289_1930:
	s_and_not1_b32 vcc_lo, exec_lo, s3
	s_mov_b32 s3, 0
	s_cbranch_vccnz .LBB289_1937
; %bb.1931:
	v_cmp_lt_i16_e32 vcc_lo, 14, v11
	s_mov_b32 s3, -1
	s_cbranch_vccz .LBB289_1935
; %bb.1932:
	v_cmp_eq_u16_e32 vcc_lo, 15, v11
	s_mov_b32 s0, -1
	s_cbranch_vccz .LBB289_1934
; %bb.1933:
	v_bfe_i32 v5, v3, 0, 16
	s_mov_b32 s0, 0
	s_mov_b32 s6, -1
	s_delay_alu instid0(VALU_DEP_1) | instskip(NEXT) | instid1(VALU_DEP_1)
	v_cvt_f32_i32_e32 v5, v5
	v_bfe_u32 v6, v5, 16, 1
	s_delay_alu instid0(VALU_DEP_1)
	v_add3_u32 v5, v5, v6, 0x7fff
	global_store_d16_hi_b16 v[1:2], v5, off
.LBB289_1934:
	s_mov_b32 s3, 0
.LBB289_1935:
	s_delay_alu instid0(SALU_CYCLE_1)
	s_and_b32 vcc_lo, exec_lo, s3
	s_mov_b32 s3, 0
	s_cbranch_vccz .LBB289_1937
; %bb.1936:
	v_cmp_ne_u16_e64 s0, 11, v11
	s_mov_b32 s3, -1
.LBB289_1937:
	s_delay_alu instid0(VALU_DEP_1)
	s_and_b32 vcc_lo, exec_lo, s0
	s_cbranch_vccnz .LBB289_2124
; %bb.1938:
	s_and_not1_b32 vcc_lo, exec_lo, s3
	s_cbranch_vccnz .LBB289_1940
.LBB289_1939:
	v_cmp_ne_u16_e32 vcc_lo, 0, v3
	s_mov_b32 s6, -1
	v_cndmask_b32_e64 v5, 0, 1, vcc_lo
	global_store_b8 v[1:2], v5, off
.LBB289_1940:
	s_mov_b32 s0, 0
.LBB289_1941:
	s_delay_alu instid0(SALU_CYCLE_1)
	s_and_b32 vcc_lo, exec_lo, s0
	s_cbranch_vccz .LBB289_1980
; %bb.1942:
	v_cmp_gt_i16_e32 vcc_lo, 5, v11
	s_mov_b32 s0, -1
	s_cbranch_vccnz .LBB289_1963
; %bb.1943:
	v_cmp_gt_i16_e32 vcc_lo, 8, v11
	s_cbranch_vccnz .LBB289_1953
; %bb.1944:
	v_cmp_gt_i16_e32 vcc_lo, 9, v11
	s_cbranch_vccnz .LBB289_1950
; %bb.1945:
	v_cmp_lt_i16_e32 vcc_lo, 9, v11
	s_cbranch_vccz .LBB289_1947
; %bb.1946:
	v_bfe_i32 v5, v3, 0, 16
	v_mov_b32_e32 v7, 0
	s_mov_b32 s0, 0
	s_delay_alu instid0(VALU_DEP_2) | instskip(NEXT) | instid1(VALU_DEP_2)
	v_cvt_f64_i32_e32 v[5:6], v5
	v_mov_b32_e32 v8, v7
	global_store_b128 v[1:2], v[5:8], off
.LBB289_1947:
	s_and_not1_b32 vcc_lo, exec_lo, s0
	s_cbranch_vccnz .LBB289_1949
; %bb.1948:
	v_bfe_i32 v5, v3, 0, 16
	v_mov_b32_e32 v6, 0
	s_delay_alu instid0(VALU_DEP_2)
	v_cvt_f32_i32_e32 v5, v5
	global_store_b64 v[1:2], v[5:6], off
.LBB289_1949:
	s_mov_b32 s0, 0
.LBB289_1950:
	s_delay_alu instid0(SALU_CYCLE_1)
	s_and_not1_b32 vcc_lo, exec_lo, s0
	s_cbranch_vccnz .LBB289_1952
; %bb.1951:
	v_cvt_f16_i16_e32 v5, v3
	s_delay_alu instid0(VALU_DEP_1)
	v_and_b32_e32 v5, 0xffff, v5
	global_store_b32 v[1:2], v5, off
.LBB289_1952:
	s_mov_b32 s0, 0
.LBB289_1953:
	s_delay_alu instid0(SALU_CYCLE_1)
	s_and_not1_b32 vcc_lo, exec_lo, s0
	s_cbranch_vccnz .LBB289_1962
; %bb.1954:
	v_cmp_gt_i16_e32 vcc_lo, 6, v11
	s_mov_b32 s0, -1
	s_cbranch_vccnz .LBB289_1960
; %bb.1955:
	v_cmp_lt_i16_e32 vcc_lo, 6, v11
	s_cbranch_vccz .LBB289_1957
; %bb.1956:
	v_bfe_i32 v5, v3, 0, 16
	s_mov_b32 s0, 0
	s_delay_alu instid0(VALU_DEP_1)
	v_cvt_f64_i32_e32 v[5:6], v5
	global_store_b64 v[1:2], v[5:6], off
.LBB289_1957:
	s_and_not1_b32 vcc_lo, exec_lo, s0
	s_cbranch_vccnz .LBB289_1959
; %bb.1958:
	v_bfe_i32 v5, v3, 0, 16
	s_delay_alu instid0(VALU_DEP_1)
	v_cvt_f32_i32_e32 v5, v5
	global_store_b32 v[1:2], v5, off
.LBB289_1959:
	s_mov_b32 s0, 0
.LBB289_1960:
	s_delay_alu instid0(SALU_CYCLE_1)
	s_and_not1_b32 vcc_lo, exec_lo, s0
	s_cbranch_vccnz .LBB289_1962
; %bb.1961:
	v_cvt_f16_i16_e32 v5, v3
	global_store_b16 v[1:2], v5, off
.LBB289_1962:
	s_mov_b32 s0, 0
.LBB289_1963:
	s_delay_alu instid0(SALU_CYCLE_1)
	s_and_not1_b32 vcc_lo, exec_lo, s0
	s_cbranch_vccnz .LBB289_1979
; %bb.1964:
	v_cmp_gt_i16_e32 vcc_lo, 2, v11
	s_mov_b32 s0, -1
	s_cbranch_vccnz .LBB289_1974
; %bb.1965:
	v_cmp_gt_i16_e32 vcc_lo, 3, v11
	s_cbranch_vccnz .LBB289_1971
; %bb.1966:
	v_cmp_lt_i16_e32 vcc_lo, 3, v11
	v_bfe_i32 v5, v3, 0, 16
	s_cbranch_vccz .LBB289_1968
; %bb.1967:
	s_delay_alu instid0(VALU_DEP_1)
	v_ashrrev_i32_e32 v6, 31, v5
	s_mov_b32 s0, 0
	global_store_b64 v[1:2], v[5:6], off
.LBB289_1968:
	s_and_not1_b32 vcc_lo, exec_lo, s0
	s_cbranch_vccnz .LBB289_1970
; %bb.1969:
	global_store_b32 v[1:2], v5, off
.LBB289_1970:
	s_mov_b32 s0, 0
.LBB289_1971:
	s_delay_alu instid0(SALU_CYCLE_1)
	s_and_not1_b32 vcc_lo, exec_lo, s0
	s_cbranch_vccnz .LBB289_1973
; %bb.1972:
	global_store_b16 v[1:2], v3, off
.LBB289_1973:
	s_mov_b32 s0, 0
.LBB289_1974:
	s_delay_alu instid0(SALU_CYCLE_1)
	s_and_not1_b32 vcc_lo, exec_lo, s0
	s_cbranch_vccnz .LBB289_1979
; %bb.1975:
	v_cmp_lt_i16_e32 vcc_lo, 0, v11
	s_mov_b32 s0, -1
	s_cbranch_vccz .LBB289_1977
; %bb.1976:
	s_mov_b32 s0, 0
	global_store_b8 v[1:2], v3, off
.LBB289_1977:
	s_and_not1_b32 vcc_lo, exec_lo, s0
	s_cbranch_vccnz .LBB289_1979
; %bb.1978:
	global_store_b8 v[1:2], v3, off
.LBB289_1979:
	s_mov_b32 s6, -1
.LBB289_1980:
	s_delay_alu instid0(SALU_CYCLE_1)
	s_and_not1_b32 vcc_lo, exec_lo, s6
	s_cbranch_vccnz .LBB289_2057
; %bb.1981:
	v_bfe_i32 v1, v4, 0, 8
	v_cmp_gt_i16_e32 vcc_lo, 11, v11
	v_add_co_u32 v0, s0, s4, v0
	s_mov_b32 s3, 0
	s_delay_alu instid0(VALU_DEP_3) | instskip(SKIP_2) | instid1(VALU_DEP_2)
	v_max_i16 v2, v1, s2
	v_add_co_ci_u32_e64 v1, null, s5, 0, s0
	s_mov_b32 s0, -1
	v_min_i16 v2, v2, v9
	s_cbranch_vccnz .LBB289_2058
; %bb.1982:
	v_cmp_lt_i16_e32 vcc_lo, 25, v11
	s_mov_b32 s2, -1
	s_mov_b32 s0, 0
	s_cbranch_vccz .LBB289_2015
; %bb.1983:
	v_cmp_lt_i16_e32 vcc_lo, 28, v11
	s_cbranch_vccz .LBB289_1999
; %bb.1984:
	v_cmp_lt_i16_e32 vcc_lo, 43, v11
	;; [unrolled: 3-line block ×3, first 2 shown]
	s_cbranch_vccz .LBB289_1989
; %bb.1986:
	v_cmp_eq_u16_e32 vcc_lo, 46, v11
	s_mov_b32 s0, -1
	s_cbranch_vccz .LBB289_1988
; %bb.1987:
	v_bfe_i32 v3, v2, 0, 16
	s_mov_b32 s0, 0
	s_delay_alu instid0(VALU_DEP_1) | instskip(NEXT) | instid1(VALU_DEP_1)
	v_cvt_f32_i32_e32 v3, v3
	v_bfe_u32 v4, v3, 16, 1
	s_delay_alu instid0(VALU_DEP_1) | instskip(NEXT) | instid1(VALU_DEP_1)
	v_add3_u32 v3, v3, v4, 0x7fff
	v_lshrrev_b32_e32 v3, 16, v3
	global_store_b32 v[0:1], v3, off
.LBB289_1988:
	s_mov_b32 s2, 0
.LBB289_1989:
	s_delay_alu instid0(SALU_CYCLE_1)
	s_and_b32 vcc_lo, exec_lo, s2
	s_cbranch_vccz .LBB289_1994
; %bb.1990:
	v_cmp_eq_u16_e32 vcc_lo, 44, v11
	s_mov_b32 s0, -1
	s_cbranch_vccz .LBB289_1994
; %bb.1991:
	v_bfe_i32 v3, v2, 0, 16
	v_mov_b32_e32 v4, 0xff
	s_mov_b32 s2, exec_lo
	s_delay_alu instid0(VALU_DEP_2) | instskip(NEXT) | instid1(VALU_DEP_1)
	v_cvt_f32_i32_e32 v3, v3
	v_bfe_u32 v5, v3, 23, 8
	s_delay_alu instid0(VALU_DEP_1)
	v_cmpx_ne_u32_e32 0xff, v5
; %bb.1992:
	v_and_b32_e32 v4, 0x400000, v3
	v_and_or_b32 v5, 0x3fffff, v3, v5
	v_lshrrev_b32_e32 v3, 23, v3
	s_delay_alu instid0(VALU_DEP_3) | instskip(NEXT) | instid1(VALU_DEP_3)
	v_cmp_ne_u32_e32 vcc_lo, 0, v4
	v_cmp_ne_u32_e64 s0, 0, v5
	s_delay_alu instid0(VALU_DEP_1) | instskip(NEXT) | instid1(SALU_CYCLE_1)
	s_and_b32 s0, vcc_lo, s0
	v_cndmask_b32_e64 v4, 0, 1, s0
	s_delay_alu instid0(VALU_DEP_1)
	v_add_nc_u32_e32 v4, v3, v4
; %bb.1993:
	s_or_b32 exec_lo, exec_lo, s2
	s_mov_b32 s0, 0
	global_store_b8 v[0:1], v4, off
.LBB289_1994:
	s_mov_b32 s2, 0
.LBB289_1995:
	s_delay_alu instid0(SALU_CYCLE_1)
	s_and_b32 vcc_lo, exec_lo, s2
	s_cbranch_vccz .LBB289_1998
; %bb.1996:
	v_cmp_eq_u16_e32 vcc_lo, 29, v11
	s_mov_b32 s0, -1
	s_cbranch_vccz .LBB289_1998
; %bb.1997:
	v_bfe_i32 v3, v2, 0, 16
	s_mov_b32 s0, 0
	s_delay_alu instid0(VALU_DEP_1)
	v_ashrrev_i32_e32 v4, 31, v3
	global_store_b64 v[0:1], v[3:4], off
.LBB289_1998:
	s_mov_b32 s2, 0
.LBB289_1999:
	s_delay_alu instid0(SALU_CYCLE_1)
	s_and_b32 vcc_lo, exec_lo, s2
	s_cbranch_vccz .LBB289_2014
; %bb.2000:
	v_cmp_gt_i16_e32 vcc_lo, 27, v11
	s_mov_b32 s2, -1
	s_cbranch_vccnz .LBB289_2006
; %bb.2001:
	v_cmp_lt_i16_e32 vcc_lo, 27, v11
	s_cbranch_vccz .LBB289_2003
; %bb.2002:
	v_bfe_i32 v3, v2, 0, 16
	s_mov_b32 s2, 0
	global_store_b32 v[0:1], v3, off
.LBB289_2003:
	s_and_not1_b32 vcc_lo, exec_lo, s2
	s_cbranch_vccnz .LBB289_2005
; %bb.2004:
	global_store_b16 v[0:1], v2, off
.LBB289_2005:
	s_mov_b32 s2, 0
.LBB289_2006:
	s_delay_alu instid0(SALU_CYCLE_1)
	s_and_not1_b32 vcc_lo, exec_lo, s2
	s_cbranch_vccnz .LBB289_2014
; %bb.2007:
	v_bfe_i32 v3, v2, 0, 16
	v_mov_b32_e32 v5, 0x80
	s_mov_b32 s2, exec_lo
	s_delay_alu instid0(VALU_DEP_2) | instskip(NEXT) | instid1(VALU_DEP_1)
	v_cvt_f32_i32_e32 v3, v3
	v_and_b32_e32 v4, 0x7fffffff, v3
	s_delay_alu instid0(VALU_DEP_1)
	v_cmpx_gt_u32_e32 0x43800000, v4
	s_cbranch_execz .LBB289_2013
; %bb.2008:
	v_cmp_lt_u32_e32 vcc_lo, 0x3bffffff, v4
	s_mov_b32 s4, 0
                                        ; implicit-def: $vgpr4
	s_and_saveexec_b32 s5, vcc_lo
	s_delay_alu instid0(SALU_CYCLE_1)
	s_xor_b32 s5, exec_lo, s5
	s_cbranch_execz .LBB289_2128
; %bb.2009:
	v_bfe_u32 v4, v3, 20, 1
	s_mov_b32 s4, exec_lo
	s_delay_alu instid0(VALU_DEP_1) | instskip(NEXT) | instid1(VALU_DEP_1)
	v_add3_u32 v4, v3, v4, 0x487ffff
	v_lshrrev_b32_e32 v4, 20, v4
	s_or_saveexec_b32 s5, s5
                                        ; implicit-def: $sgpr6
	s_delay_alu instid0(SALU_CYCLE_1)
	s_xor_b32 exec_lo, exec_lo, s5
	s_cbranch_execnz .LBB289_2129
.LBB289_2010:
	s_or_b32 exec_lo, exec_lo, s5
	v_mov_b32_e32 v5, s6
	s_and_saveexec_b32 s5, s4
.LBB289_2011:
	v_lshrrev_b32_e32 v3, 24, v3
	s_delay_alu instid0(VALU_DEP_1)
	v_and_or_b32 v5, 0x80, v3, v4
.LBB289_2012:
	s_or_b32 exec_lo, exec_lo, s5
.LBB289_2013:
	s_delay_alu instid0(SALU_CYCLE_1)
	s_or_b32 exec_lo, exec_lo, s2
	global_store_b8 v[0:1], v5, off
.LBB289_2014:
	s_mov_b32 s2, 0
.LBB289_2015:
	s_delay_alu instid0(SALU_CYCLE_1)
	s_and_b32 vcc_lo, exec_lo, s2
	s_cbranch_vccz .LBB289_2055
; %bb.2016:
	v_cmp_lt_i16_e32 vcc_lo, 22, v11
	s_mov_b32 s2, -1
	s_cbranch_vccz .LBB289_2048
; %bb.2017:
	v_cmp_gt_i16_e32 vcc_lo, 24, v11
	s_cbranch_vccnz .LBB289_2037
; %bb.2018:
	v_cmp_lt_i16_e32 vcc_lo, 24, v11
	s_cbranch_vccz .LBB289_2026
; %bb.2019:
	v_bfe_i32 v3, v2, 0, 16
	v_mov_b32_e32 v5, 0x80
	s_mov_b32 s2, exec_lo
	s_delay_alu instid0(VALU_DEP_2) | instskip(NEXT) | instid1(VALU_DEP_1)
	v_cvt_f32_i32_e32 v3, v3
	v_and_b32_e32 v4, 0x7fffffff, v3
	s_delay_alu instid0(VALU_DEP_1)
	v_cmpx_gt_u32_e32 0x47800000, v4
	s_cbranch_execz .LBB289_2025
; %bb.2020:
	v_cmp_lt_u32_e32 vcc_lo, 0x37ffffff, v4
                                        ; implicit-def: $vgpr4
	s_and_saveexec_b32 s4, vcc_lo
	s_delay_alu instid0(SALU_CYCLE_1)
	s_xor_b32 s4, exec_lo, s4
	s_cbranch_execz .LBB289_2134
; %bb.2021:
	v_bfe_u32 v4, v3, 21, 1
	s_mov_b32 s3, exec_lo
	s_delay_alu instid0(VALU_DEP_1) | instskip(NEXT) | instid1(VALU_DEP_1)
	v_add3_u32 v4, v3, v4, 0x88fffff
	v_lshrrev_b32_e32 v4, 21, v4
	s_or_saveexec_b32 s4, s4
                                        ; implicit-def: $sgpr5
	s_delay_alu instid0(SALU_CYCLE_1)
	s_xor_b32 exec_lo, exec_lo, s4
	s_cbranch_execnz .LBB289_2135
.LBB289_2022:
	s_or_b32 exec_lo, exec_lo, s4
	v_mov_b32_e32 v5, s5
	s_and_saveexec_b32 s4, s3
.LBB289_2023:
	v_lshrrev_b32_e32 v3, 24, v3
	s_delay_alu instid0(VALU_DEP_1)
	v_and_or_b32 v5, 0x80, v3, v4
.LBB289_2024:
	s_or_b32 exec_lo, exec_lo, s4
.LBB289_2025:
	s_delay_alu instid0(SALU_CYCLE_1)
	s_or_b32 exec_lo, exec_lo, s2
	s_mov_b32 s2, 0
	global_store_b8 v[0:1], v5, off
.LBB289_2026:
	s_and_b32 vcc_lo, exec_lo, s2
	s_cbranch_vccz .LBB289_2036
; %bb.2027:
	v_bfe_i32 v3, v2, 0, 16
	s_mov_b32 s2, exec_lo
                                        ; implicit-def: $vgpr4
	s_delay_alu instid0(VALU_DEP_1) | instskip(NEXT) | instid1(VALU_DEP_1)
	v_cvt_f32_i32_e32 v3, v3
	v_and_b32_e32 v5, 0x7fffffff, v3
	s_delay_alu instid0(VALU_DEP_1)
	v_cmpx_gt_u32_e32 0x43f00000, v5
	s_xor_b32 s2, exec_lo, s2
	s_cbranch_execz .LBB289_2033
; %bb.2028:
	s_mov_b32 s3, exec_lo
                                        ; implicit-def: $vgpr4
	v_cmpx_lt_u32_e32 0x3c7fffff, v5
	s_xor_b32 s3, exec_lo, s3
; %bb.2029:
	v_bfe_u32 v4, v3, 20, 1
	s_delay_alu instid0(VALU_DEP_1) | instskip(NEXT) | instid1(VALU_DEP_1)
	v_add3_u32 v4, v3, v4, 0x407ffff
	v_and_b32_e32 v5, 0xff00000, v4
	v_lshrrev_b32_e32 v4, 20, v4
	s_delay_alu instid0(VALU_DEP_2) | instskip(NEXT) | instid1(VALU_DEP_2)
	v_cmp_ne_u32_e32 vcc_lo, 0x7f00000, v5
	v_cndmask_b32_e32 v4, 0x7e, v4, vcc_lo
; %bb.2030:
	s_and_not1_saveexec_b32 s3, s3
; %bb.2031:
	v_add_f32_e64 v4, 0x46800000, |v3|
; %bb.2032:
	s_or_b32 exec_lo, exec_lo, s3
                                        ; implicit-def: $vgpr5
.LBB289_2033:
	s_and_not1_saveexec_b32 s2, s2
; %bb.2034:
	v_mov_b32_e32 v4, 0x7f
	v_cmp_lt_u32_e32 vcc_lo, 0x7f800000, v5
	s_delay_alu instid0(VALU_DEP_2)
	v_cndmask_b32_e32 v4, 0x7e, v4, vcc_lo
; %bb.2035:
	s_or_b32 exec_lo, exec_lo, s2
	v_lshrrev_b32_e32 v3, 24, v3
	s_delay_alu instid0(VALU_DEP_1)
	v_and_or_b32 v3, 0x80, v3, v4
	global_store_b8 v[0:1], v3, off
.LBB289_2036:
	s_mov_b32 s2, 0
.LBB289_2037:
	s_delay_alu instid0(SALU_CYCLE_1)
	s_and_not1_b32 vcc_lo, exec_lo, s2
	s_cbranch_vccnz .LBB289_2047
; %bb.2038:
	v_bfe_i32 v3, v2, 0, 16
	s_mov_b32 s2, exec_lo
                                        ; implicit-def: $vgpr4
	s_delay_alu instid0(VALU_DEP_1) | instskip(NEXT) | instid1(VALU_DEP_1)
	v_cvt_f32_i32_e32 v3, v3
	v_and_b32_e32 v5, 0x7fffffff, v3
	s_delay_alu instid0(VALU_DEP_1)
	v_cmpx_gt_u32_e32 0x47800000, v5
	s_xor_b32 s2, exec_lo, s2
	s_cbranch_execz .LBB289_2044
; %bb.2039:
	s_mov_b32 s3, exec_lo
                                        ; implicit-def: $vgpr4
	v_cmpx_lt_u32_e32 0x387fffff, v5
	s_xor_b32 s3, exec_lo, s3
; %bb.2040:
	v_bfe_u32 v4, v3, 21, 1
	s_delay_alu instid0(VALU_DEP_1) | instskip(NEXT) | instid1(VALU_DEP_1)
	v_add3_u32 v4, v3, v4, 0x80fffff
	v_lshrrev_b32_e32 v4, 21, v4
; %bb.2041:
	s_and_not1_saveexec_b32 s3, s3
; %bb.2042:
	v_add_f32_e64 v4, 0x43000000, |v3|
; %bb.2043:
	s_or_b32 exec_lo, exec_lo, s3
                                        ; implicit-def: $vgpr5
.LBB289_2044:
	s_and_not1_saveexec_b32 s2, s2
; %bb.2045:
	v_mov_b32_e32 v4, 0x7f
	v_cmp_lt_u32_e32 vcc_lo, 0x7f800000, v5
	s_delay_alu instid0(VALU_DEP_2)
	v_cndmask_b32_e32 v4, 0x7c, v4, vcc_lo
; %bb.2046:
	s_or_b32 exec_lo, exec_lo, s2
	v_lshrrev_b32_e32 v3, 24, v3
	s_delay_alu instid0(VALU_DEP_1)
	v_and_or_b32 v3, 0x80, v3, v4
	global_store_b8 v[0:1], v3, off
.LBB289_2047:
	s_mov_b32 s2, 0
.LBB289_2048:
	s_delay_alu instid0(SALU_CYCLE_1)
	s_and_not1_b32 vcc_lo, exec_lo, s2
	s_mov_b32 s3, 0
	s_cbranch_vccnz .LBB289_2055
; %bb.2049:
	v_cmp_lt_i16_e32 vcc_lo, 14, v11
	s_mov_b32 s2, -1
	s_cbranch_vccz .LBB289_2053
; %bb.2050:
	v_cmp_eq_u16_e32 vcc_lo, 15, v11
	s_mov_b32 s0, -1
	s_cbranch_vccz .LBB289_2052
; %bb.2051:
	v_bfe_i32 v3, v2, 0, 16
	s_mov_b32 s0, 0
	s_delay_alu instid0(VALU_DEP_1) | instskip(NEXT) | instid1(VALU_DEP_1)
	v_cvt_f32_i32_e32 v3, v3
	v_bfe_u32 v4, v3, 16, 1
	s_delay_alu instid0(VALU_DEP_1)
	v_add3_u32 v3, v3, v4, 0x7fff
	global_store_d16_hi_b16 v[0:1], v3, off
.LBB289_2052:
	s_mov_b32 s2, 0
.LBB289_2053:
	s_delay_alu instid0(SALU_CYCLE_1)
	s_and_b32 vcc_lo, exec_lo, s2
	s_cbranch_vccz .LBB289_2055
; %bb.2054:
	v_cmp_ne_u16_e64 s0, 11, v11
	s_mov_b32 s3, -1
.LBB289_2055:
	s_delay_alu instid0(VALU_DEP_1)
	s_and_b32 vcc_lo, exec_lo, s0
	s_cbranch_vccnz .LBB289_2132
.LBB289_2056:
	s_mov_b32 s0, 0
	s_branch .LBB289_2058
.LBB289_2057:
	s_mov_b32 s0, 0
	s_mov_b32 s3, 0
                                        ; implicit-def: $vgpr0_vgpr1
                                        ; implicit-def: $vgpr11
                                        ; implicit-def: $vgpr2
.LBB289_2058:
	s_and_b32 s2, s0, exec_lo
	s_and_not1_b32 s0, s8, exec_lo
	s_and_b32 s1, s1, exec_lo
	s_and_b32 s26, s3, exec_lo
	s_or_b32 s8, s0, s1
.LBB289_2059:
	s_or_b32 exec_lo, exec_lo, s9
	s_and_saveexec_b32 s0, s8
	s_cbranch_execz .LBB289_2062
; %bb.2060:
	; divergent unreachable
	s_or_b32 exec_lo, exec_lo, s0
	s_and_saveexec_b32 s0, s26
	s_delay_alu instid0(SALU_CYCLE_1)
	s_xor_b32 s0, exec_lo, s0
	s_cbranch_execnz .LBB289_2063
.LBB289_2061:
	s_or_b32 exec_lo, exec_lo, s0
	s_and_saveexec_b32 s0, s2
	s_cbranch_execnz .LBB289_2064
	s_branch .LBB289_2101
.LBB289_2062:
	s_or_b32 exec_lo, exec_lo, s0
	s_and_saveexec_b32 s0, s26
	s_delay_alu instid0(SALU_CYCLE_1)
	s_xor_b32 s0, exec_lo, s0
	s_cbranch_execz .LBB289_2061
.LBB289_2063:
	s_waitcnt vmcnt(0)
	v_and_b32_e32 v3, 0xff, v2
	s_delay_alu instid0(VALU_DEP_1)
	v_cmp_ne_u16_e32 vcc_lo, 0, v3
	v_cndmask_b32_e64 v3, 0, 1, vcc_lo
	global_store_b8 v[0:1], v3, off
	s_or_b32 exec_lo, exec_lo, s0
	s_and_saveexec_b32 s0, s2
	s_cbranch_execz .LBB289_2101
.LBB289_2064:
	s_waitcnt vmcnt(0)
	v_cmp_gt_i16_e32 vcc_lo, 5, v11
	s_mov_b32 s0, -1
	s_cbranch_vccnz .LBB289_2085
; %bb.2065:
	v_cmp_gt_i16_e32 vcc_lo, 8, v11
	s_cbranch_vccnz .LBB289_2075
; %bb.2066:
	v_cmp_gt_i16_e32 vcc_lo, 9, v11
	s_cbranch_vccnz .LBB289_2072
; %bb.2067:
	v_cmp_lt_i16_e32 vcc_lo, 9, v11
	s_cbranch_vccz .LBB289_2069
; %bb.2068:
	v_bfe_i32 v3, v2, 0, 8
	v_mov_b32_e32 v5, 0
	s_mov_b32 s0, 0
	s_delay_alu instid0(VALU_DEP_2) | instskip(NEXT) | instid1(VALU_DEP_2)
	v_bfe_i32 v3, v3, 0, 16
	v_mov_b32_e32 v6, v5
	s_delay_alu instid0(VALU_DEP_2)
	v_cvt_f64_i32_e32 v[3:4], v3
	global_store_b128 v[0:1], v[3:6], off
.LBB289_2069:
	s_and_not1_b32 vcc_lo, exec_lo, s0
	s_cbranch_vccnz .LBB289_2071
; %bb.2070:
	v_bfe_i32 v3, v2, 0, 8
	v_mov_b32_e32 v4, 0
	s_delay_alu instid0(VALU_DEP_2) | instskip(NEXT) | instid1(VALU_DEP_1)
	v_bfe_i32 v3, v3, 0, 16
	v_cvt_f32_i32_e32 v3, v3
	global_store_b64 v[0:1], v[3:4], off
.LBB289_2071:
	s_mov_b32 s0, 0
.LBB289_2072:
	s_delay_alu instid0(SALU_CYCLE_1)
	s_and_not1_b32 vcc_lo, exec_lo, s0
	s_cbranch_vccnz .LBB289_2074
; %bb.2073:
	v_bfe_i32 v3, v2, 0, 8
	s_delay_alu instid0(VALU_DEP_1) | instskip(NEXT) | instid1(VALU_DEP_1)
	v_cvt_f16_i16_e32 v3, v3
	v_and_b32_e32 v3, 0xffff, v3
	global_store_b32 v[0:1], v3, off
.LBB289_2074:
	s_mov_b32 s0, 0
.LBB289_2075:
	s_delay_alu instid0(SALU_CYCLE_1)
	s_and_not1_b32 vcc_lo, exec_lo, s0
	s_cbranch_vccnz .LBB289_2084
; %bb.2076:
	v_cmp_gt_i16_e32 vcc_lo, 6, v11
	s_mov_b32 s0, -1
	s_cbranch_vccnz .LBB289_2082
; %bb.2077:
	v_cmp_lt_i16_e32 vcc_lo, 6, v11
	s_cbranch_vccz .LBB289_2079
; %bb.2078:
	v_bfe_i32 v3, v2, 0, 8
	s_mov_b32 s0, 0
	s_delay_alu instid0(VALU_DEP_1) | instskip(NEXT) | instid1(VALU_DEP_1)
	v_bfe_i32 v3, v3, 0, 16
	v_cvt_f64_i32_e32 v[3:4], v3
	global_store_b64 v[0:1], v[3:4], off
.LBB289_2079:
	s_and_not1_b32 vcc_lo, exec_lo, s0
	s_cbranch_vccnz .LBB289_2081
; %bb.2080:
	v_bfe_i32 v3, v2, 0, 8
	s_delay_alu instid0(VALU_DEP_1) | instskip(NEXT) | instid1(VALU_DEP_1)
	v_bfe_i32 v3, v3, 0, 16
	v_cvt_f32_i32_e32 v3, v3
	global_store_b32 v[0:1], v3, off
.LBB289_2081:
	s_mov_b32 s0, 0
.LBB289_2082:
	s_delay_alu instid0(SALU_CYCLE_1)
	s_and_not1_b32 vcc_lo, exec_lo, s0
	s_cbranch_vccnz .LBB289_2084
; %bb.2083:
	v_bfe_i32 v3, v2, 0, 8
	s_delay_alu instid0(VALU_DEP_1)
	v_cvt_f16_i16_e32 v3, v3
	global_store_b16 v[0:1], v3, off
.LBB289_2084:
	s_mov_b32 s0, 0
.LBB289_2085:
	s_delay_alu instid0(SALU_CYCLE_1)
	s_and_not1_b32 vcc_lo, exec_lo, s0
	s_cbranch_vccnz .LBB289_2101
; %bb.2086:
	v_cmp_gt_i16_e32 vcc_lo, 2, v11
	s_mov_b32 s0, -1
	s_cbranch_vccnz .LBB289_2096
; %bb.2087:
	v_cmp_gt_i16_e32 vcc_lo, 3, v11
	s_cbranch_vccnz .LBB289_2093
; %bb.2088:
	v_cmp_lt_i16_e32 vcc_lo, 3, v11
	s_cbranch_vccz .LBB289_2090
; %bb.2089:
	v_bfe_i32 v3, v2, 0, 8
	s_mov_b32 s0, 0
	s_delay_alu instid0(VALU_DEP_1)
	v_ashrrev_i32_e32 v4, 31, v3
	global_store_b64 v[0:1], v[3:4], off
.LBB289_2090:
	s_and_not1_b32 vcc_lo, exec_lo, s0
	s_cbranch_vccnz .LBB289_2092
; %bb.2091:
	v_bfe_i32 v3, v2, 0, 8
	global_store_b32 v[0:1], v3, off
.LBB289_2092:
	s_mov_b32 s0, 0
.LBB289_2093:
	s_delay_alu instid0(SALU_CYCLE_1)
	s_and_not1_b32 vcc_lo, exec_lo, s0
	s_cbranch_vccnz .LBB289_2095
; %bb.2094:
	v_bfe_i32 v3, v2, 0, 8
	global_store_b16 v[0:1], v3, off
.LBB289_2095:
	s_mov_b32 s0, 0
.LBB289_2096:
	s_delay_alu instid0(SALU_CYCLE_1)
	s_and_not1_b32 vcc_lo, exec_lo, s0
	s_cbranch_vccnz .LBB289_2101
; %bb.2097:
	v_cmp_lt_i16_e32 vcc_lo, 0, v11
	s_mov_b32 s0, -1
	s_cbranch_vccz .LBB289_2099
; %bb.2098:
	s_mov_b32 s0, 0
	global_store_b8 v[0:1], v2, off
.LBB289_2099:
	s_and_not1_b32 vcc_lo, exec_lo, s0
	s_cbranch_vccnz .LBB289_2101
; %bb.2100:
	global_store_b8 v[0:1], v2, off
	s_nop 0
	s_sendmsg sendmsg(MSG_DEALLOC_VGPRS)
	s_endpgm
.LBB289_2101:
	s_nop 0
	s_sendmsg sendmsg(MSG_DEALLOC_VGPRS)
	s_endpgm
.LBB289_2102:
	s_cbranch_execnz .LBB289_2106
; %bb.2103:
	s_or_b32 s1, s1, exec_lo
                                        ; implicit-def: $vgpr4
	s_cbranch_execz .LBB289_1575
	s_branch .LBB289_1576
.LBB289_2104:
	s_or_saveexec_b32 s11, s11
                                        ; implicit-def: $sgpr12
	s_delay_alu instid0(SALU_CYCLE_1)
	s_xor_b32 exec_lo, exec_lo, s11
	s_cbranch_execz .LBB289_1655
.LBB289_2105:
	v_add_f32_e64 v7, 0x46000000, |v5|
	s_and_not1_b32 s10, s10, exec_lo
	s_mov_b32 s12, 0
	s_delay_alu instid0(VALU_DEP_1) | instskip(NEXT) | instid1(VALU_DEP_1)
	v_and_b32_e32 v7, 0xff, v7
	v_cmp_ne_u32_e32 vcc_lo, 0, v7
	s_and_b32 s13, vcc_lo, exec_lo
	s_delay_alu instid0(SALU_CYCLE_1)
	s_or_b32 s10, s10, s13
	s_or_b32 exec_lo, exec_lo, s11
	v_mov_b32_e32 v12, s12
	s_and_saveexec_b32 s11, s10
	s_cbranch_execnz .LBB289_1656
	s_branch .LBB289_1657
.LBB289_2106:
	s_trap 2
	s_sendmsg_rtn_b32 s0, sendmsg(MSG_RTN_GET_DOORBELL)
	s_mov_b32 ttmp2, m0
	s_waitcnt lgkmcnt(0)
	s_and_b32 s0, s0, 0x3ff
	s_delay_alu instid0(SALU_CYCLE_1) | instskip(NEXT) | instid1(SALU_CYCLE_1)
	s_bitset1_b32 s0, 10
	s_mov_b32 m0, s0
	s_sendmsg sendmsg(MSG_INTERRUPT)
	s_mov_b32 m0, ttmp2
.LBB289_2107:                           ; =>This Inner Loop Header: Depth=1
	s_sethalt 5
	s_branch .LBB289_2107
.LBB289_2108:
	s_cbranch_execnz .LBB289_2114
; %bb.2109:
	s_or_b32 s1, s1, exec_lo
	s_cbranch_execz .LBB289_1703
	s_branch .LBB289_1704
.LBB289_2110:
	s_or_saveexec_b32 s10, s10
                                        ; implicit-def: $sgpr11
	s_delay_alu instid0(SALU_CYCLE_1)
	s_xor_b32 exec_lo, exec_lo, s10
	s_cbranch_execz .LBB289_1668
.LBB289_2111:
	v_add_f32_e64 v7, 0x42800000, |v5|
	s_and_not1_b32 s7, s7, exec_lo
	s_mov_b32 s11, 0
	s_delay_alu instid0(VALU_DEP_1) | instskip(NEXT) | instid1(VALU_DEP_1)
	v_and_b32_e32 v7, 0xff, v7
	v_cmp_ne_u32_e32 vcc_lo, 0, v7
	s_and_b32 s12, vcc_lo, exec_lo
	s_delay_alu instid0(SALU_CYCLE_1)
	s_or_b32 s7, s7, s12
	s_or_b32 exec_lo, exec_lo, s10
	v_mov_b32_e32 v12, s11
	s_and_saveexec_b32 s10, s7
	s_cbranch_execnz .LBB289_1669
	s_branch .LBB289_1670
.LBB289_2112:
	s_or_saveexec_b32 s10, s10
                                        ; implicit-def: $sgpr11
	s_delay_alu instid0(SALU_CYCLE_1)
	s_xor_b32 exec_lo, exec_lo, s10
	s_cbranch_execz .LBB289_1773
.LBB289_2113:
	v_add_f32_e64 v8, 0x46000000, |v7|
	s_and_not1_b32 s7, s7, exec_lo
	s_mov_b32 s11, 0
	s_delay_alu instid0(VALU_DEP_1) | instskip(NEXT) | instid1(VALU_DEP_1)
	v_and_b32_e32 v8, 0xff, v8
	v_cmp_ne_u32_e32 vcc_lo, 0, v8
	s_and_b32 s12, vcc_lo, exec_lo
	s_delay_alu instid0(SALU_CYCLE_1)
	s_or_b32 s7, s7, s12
	s_or_b32 exec_lo, exec_lo, s10
	v_mov_b32_e32 v10, s11
	s_and_saveexec_b32 s10, s7
	s_cbranch_execnz .LBB289_1774
	s_branch .LBB289_1775
.LBB289_2114:
	s_trap 2
	s_sendmsg_rtn_b32 s0, sendmsg(MSG_RTN_GET_DOORBELL)
	s_mov_b32 ttmp2, m0
	s_waitcnt lgkmcnt(0)
	s_and_b32 s0, s0, 0x3ff
	s_delay_alu instid0(SALU_CYCLE_1) | instskip(NEXT) | instid1(SALU_CYCLE_1)
	s_bitset1_b32 s0, 10
	s_mov_b32 m0, s0
	s_sendmsg sendmsg(MSG_INTERRUPT)
	s_mov_b32 m0, ttmp2
.LBB289_2115:                           ; =>This Inner Loop Header: Depth=1
	s_sethalt 5
	s_branch .LBB289_2115
.LBB289_2116:
	s_cbranch_execnz .LBB289_2122
; %bb.2117:
	s_or_b32 s1, s1, exec_lo
	s_cbranch_execz .LBB289_1821
	s_branch .LBB289_1822
.LBB289_2118:
	s_or_saveexec_b32 s7, s7
                                        ; implicit-def: $sgpr10
	s_delay_alu instid0(SALU_CYCLE_1)
	s_xor_b32 exec_lo, exec_lo, s7
	s_cbranch_execz .LBB289_1786
.LBB289_2119:
	v_add_f32_e64 v8, 0x42800000, |v7|
	s_and_not1_b32 s6, s6, exec_lo
	s_mov_b32 s10, 0
	s_delay_alu instid0(VALU_DEP_1) | instskip(NEXT) | instid1(VALU_DEP_1)
	v_and_b32_e32 v8, 0xff, v8
	v_cmp_ne_u32_e32 vcc_lo, 0, v8
	s_and_b32 s11, vcc_lo, exec_lo
	s_delay_alu instid0(SALU_CYCLE_1)
	s_or_b32 s6, s6, s11
	s_or_b32 exec_lo, exec_lo, s7
	v_mov_b32_e32 v10, s10
	s_and_saveexec_b32 s7, s6
	s_cbranch_execnz .LBB289_1787
	s_branch .LBB289_1788
.LBB289_2120:
	s_or_saveexec_b32 s10, s10
                                        ; implicit-def: $sgpr11
	s_delay_alu instid0(SALU_CYCLE_1)
	s_xor_b32 exec_lo, exec_lo, s10
	s_cbranch_execz .LBB289_1891
.LBB289_2121:
	v_add_f32_e64 v6, 0x46000000, |v5|
	s_and_not1_b32 s7, s7, exec_lo
	s_mov_b32 s11, 0
	s_delay_alu instid0(VALU_DEP_1) | instskip(NEXT) | instid1(VALU_DEP_1)
	v_and_b32_e32 v6, 0xff, v6
	v_cmp_ne_u32_e32 vcc_lo, 0, v6
	s_and_b32 s12, vcc_lo, exec_lo
	s_delay_alu instid0(SALU_CYCLE_1)
	s_or_b32 s7, s7, s12
	s_or_b32 exec_lo, exec_lo, s10
	v_mov_b32_e32 v7, s11
	s_and_saveexec_b32 s10, s7
	s_cbranch_execnz .LBB289_1892
	s_branch .LBB289_1893
.LBB289_2122:
	s_trap 2
	s_sendmsg_rtn_b32 s0, sendmsg(MSG_RTN_GET_DOORBELL)
	s_mov_b32 ttmp2, m0
	s_waitcnt lgkmcnt(0)
	s_and_b32 s0, s0, 0x3ff
	s_delay_alu instid0(SALU_CYCLE_1) | instskip(NEXT) | instid1(SALU_CYCLE_1)
	s_bitset1_b32 s0, 10
	s_mov_b32 m0, s0
	s_sendmsg sendmsg(MSG_INTERRUPT)
	s_mov_b32 m0, ttmp2
.LBB289_2123:                           ; =>This Inner Loop Header: Depth=1
	s_sethalt 5
	s_branch .LBB289_2123
.LBB289_2124:
	s_cbranch_execnz .LBB289_2130
; %bb.2125:
	s_or_b32 s1, s1, exec_lo
	s_cbranch_execz .LBB289_1939
	s_branch .LBB289_1940
.LBB289_2126:
	s_or_saveexec_b32 s7, s7
                                        ; implicit-def: $sgpr10
	s_delay_alu instid0(SALU_CYCLE_1)
	s_xor_b32 exec_lo, exec_lo, s7
	s_cbranch_execz .LBB289_1904
.LBB289_2127:
	v_add_f32_e64 v6, 0x42800000, |v5|
	s_and_not1_b32 s6, s6, exec_lo
	s_mov_b32 s10, 0
	s_delay_alu instid0(VALU_DEP_1) | instskip(NEXT) | instid1(VALU_DEP_1)
	v_and_b32_e32 v6, 0xff, v6
	v_cmp_ne_u32_e32 vcc_lo, 0, v6
	s_and_b32 s11, vcc_lo, exec_lo
	s_delay_alu instid0(SALU_CYCLE_1)
	s_or_b32 s6, s6, s11
	s_or_b32 exec_lo, exec_lo, s7
	v_mov_b32_e32 v7, s10
	s_and_saveexec_b32 s7, s6
	s_cbranch_execnz .LBB289_1905
	s_branch .LBB289_1906
.LBB289_2128:
	s_or_saveexec_b32 s5, s5
                                        ; implicit-def: $sgpr6
	s_delay_alu instid0(SALU_CYCLE_1)
	s_xor_b32 exec_lo, exec_lo, s5
	s_cbranch_execz .LBB289_2010
.LBB289_2129:
	v_add_f32_e64 v4, 0x46000000, |v3|
	s_and_not1_b32 s4, s4, exec_lo
	s_mov_b32 s6, 0
	s_delay_alu instid0(VALU_DEP_1) | instskip(NEXT) | instid1(VALU_DEP_1)
	v_and_b32_e32 v4, 0xff, v4
	v_cmp_ne_u32_e32 vcc_lo, 0, v4
	s_and_b32 s7, vcc_lo, exec_lo
	s_delay_alu instid0(SALU_CYCLE_1)
	s_or_b32 s4, s4, s7
	s_or_b32 exec_lo, exec_lo, s5
	v_mov_b32_e32 v5, s6
	s_and_saveexec_b32 s5, s4
	s_cbranch_execnz .LBB289_2011
	s_branch .LBB289_2012
.LBB289_2130:
	s_trap 2
	s_sendmsg_rtn_b32 s0, sendmsg(MSG_RTN_GET_DOORBELL)
	s_mov_b32 ttmp2, m0
	s_waitcnt lgkmcnt(0)
	s_and_b32 s0, s0, 0x3ff
	s_delay_alu instid0(SALU_CYCLE_1) | instskip(NEXT) | instid1(SALU_CYCLE_1)
	s_bitset1_b32 s0, 10
	s_mov_b32 m0, s0
	s_sendmsg sendmsg(MSG_INTERRUPT)
	s_mov_b32 m0, ttmp2
.LBB289_2131:                           ; =>This Inner Loop Header: Depth=1
	s_sethalt 5
	s_branch .LBB289_2131
.LBB289_2132:
	s_cbranch_execnz .LBB289_2136
; %bb.2133:
	s_mov_b32 s3, 0
	s_or_b32 s1, s1, exec_lo
	s_branch .LBB289_2056
.LBB289_2134:
	s_or_saveexec_b32 s4, s4
                                        ; implicit-def: $sgpr5
	s_delay_alu instid0(SALU_CYCLE_1)
	s_xor_b32 exec_lo, exec_lo, s4
	s_cbranch_execz .LBB289_2022
.LBB289_2135:
	v_add_f32_e64 v4, 0x42800000, |v3|
	s_and_not1_b32 s3, s3, exec_lo
	s_mov_b32 s5, 0
	s_delay_alu instid0(VALU_DEP_1) | instskip(NEXT) | instid1(VALU_DEP_1)
	v_and_b32_e32 v4, 0xff, v4
	v_cmp_ne_u32_e32 vcc_lo, 0, v4
	s_and_b32 s6, vcc_lo, exec_lo
	s_delay_alu instid0(SALU_CYCLE_1)
	s_or_b32 s3, s3, s6
	s_or_b32 exec_lo, exec_lo, s4
	v_mov_b32_e32 v5, s5
	s_and_saveexec_b32 s4, s3
	s_cbranch_execnz .LBB289_2023
	s_branch .LBB289_2024
.LBB289_2136:
	s_trap 2
	s_sendmsg_rtn_b32 s0, sendmsg(MSG_RTN_GET_DOORBELL)
	s_mov_b32 ttmp2, m0
	s_waitcnt lgkmcnt(0)
	s_and_b32 s0, s0, 0x3ff
	s_delay_alu instid0(SALU_CYCLE_1) | instskip(NEXT) | instid1(SALU_CYCLE_1)
	s_bitset1_b32 s0, 10
	s_mov_b32 m0, s0
	s_sendmsg sendmsg(MSG_INTERRUPT)
	s_mov_b32 m0, ttmp2
.LBB289_2137:                           ; =>This Inner Loop Header: Depth=1
	s_sethalt 5
	s_branch .LBB289_2137
	.section	.rodata,"a",@progbits
	.p2align	6, 0x0
	.amdhsa_kernel _ZN2at6native32elementwise_kernel_manual_unrollILi128ELi4EZNS0_15gpu_kernel_implIZZZNS0_17clamp_kernel_cudaERNS_18TensorIteratorBaseERKN3c106ScalarES8_ENKUlvE_clEvENKUlvE0_clEvEUlaE_EEvS4_RKT_EUlibE0_EEviT1_
		.amdhsa_group_segment_fixed_size 0
		.amdhsa_private_segment_fixed_size 0
		.amdhsa_kernarg_size 360
		.amdhsa_user_sgpr_count 15
		.amdhsa_user_sgpr_dispatch_ptr 0
		.amdhsa_user_sgpr_queue_ptr 0
		.amdhsa_user_sgpr_kernarg_segment_ptr 1
		.amdhsa_user_sgpr_dispatch_id 0
		.amdhsa_user_sgpr_private_segment_size 0
		.amdhsa_wavefront_size32 1
		.amdhsa_uses_dynamic_stack 0
		.amdhsa_enable_private_segment 0
		.amdhsa_system_sgpr_workgroup_id_x 1
		.amdhsa_system_sgpr_workgroup_id_y 0
		.amdhsa_system_sgpr_workgroup_id_z 0
		.amdhsa_system_sgpr_workgroup_info 0
		.amdhsa_system_vgpr_workitem_id 0
		.amdhsa_next_free_vgpr 18
		.amdhsa_next_free_sgpr 72
		.amdhsa_reserve_vcc 1
		.amdhsa_float_round_mode_32 0
		.amdhsa_float_round_mode_16_64 0
		.amdhsa_float_denorm_mode_32 3
		.amdhsa_float_denorm_mode_16_64 3
		.amdhsa_dx10_clamp 1
		.amdhsa_ieee_mode 1
		.amdhsa_fp16_overflow 0
		.amdhsa_workgroup_processor_mode 1
		.amdhsa_memory_ordered 1
		.amdhsa_forward_progress 0
		.amdhsa_shared_vgpr_count 0
		.amdhsa_exception_fp_ieee_invalid_op 0
		.amdhsa_exception_fp_denorm_src 0
		.amdhsa_exception_fp_ieee_div_zero 0
		.amdhsa_exception_fp_ieee_overflow 0
		.amdhsa_exception_fp_ieee_underflow 0
		.amdhsa_exception_fp_ieee_inexact 0
		.amdhsa_exception_int_div_zero 0
	.end_amdhsa_kernel
	.section	.text._ZN2at6native32elementwise_kernel_manual_unrollILi128ELi4EZNS0_15gpu_kernel_implIZZZNS0_17clamp_kernel_cudaERNS_18TensorIteratorBaseERKN3c106ScalarES8_ENKUlvE_clEvENKUlvE0_clEvEUlaE_EEvS4_RKT_EUlibE0_EEviT1_,"axG",@progbits,_ZN2at6native32elementwise_kernel_manual_unrollILi128ELi4EZNS0_15gpu_kernel_implIZZZNS0_17clamp_kernel_cudaERNS_18TensorIteratorBaseERKN3c106ScalarES8_ENKUlvE_clEvENKUlvE0_clEvEUlaE_EEvS4_RKT_EUlibE0_EEviT1_,comdat
.Lfunc_end289:
	.size	_ZN2at6native32elementwise_kernel_manual_unrollILi128ELi4EZNS0_15gpu_kernel_implIZZZNS0_17clamp_kernel_cudaERNS_18TensorIteratorBaseERKN3c106ScalarES8_ENKUlvE_clEvENKUlvE0_clEvEUlaE_EEvS4_RKT_EUlibE0_EEviT1_, .Lfunc_end289-_ZN2at6native32elementwise_kernel_manual_unrollILi128ELi4EZNS0_15gpu_kernel_implIZZZNS0_17clamp_kernel_cudaERNS_18TensorIteratorBaseERKN3c106ScalarES8_ENKUlvE_clEvENKUlvE0_clEvEUlaE_EEvS4_RKT_EUlibE0_EEviT1_
                                        ; -- End function
	.section	.AMDGPU.csdata,"",@progbits
; Kernel info:
; codeLenInByte = 42504
; NumSgprs: 74
; NumVgprs: 18
; ScratchSize: 0
; MemoryBound: 1
; FloatMode: 240
; IeeeMode: 1
; LDSByteSize: 0 bytes/workgroup (compile time only)
; SGPRBlocks: 9
; VGPRBlocks: 2
; NumSGPRsForWavesPerEU: 74
; NumVGPRsForWavesPerEU: 18
; Occupancy: 16
; WaveLimiterHint : 1
; COMPUTE_PGM_RSRC2:SCRATCH_EN: 0
; COMPUTE_PGM_RSRC2:USER_SGPR: 15
; COMPUTE_PGM_RSRC2:TRAP_HANDLER: 0
; COMPUTE_PGM_RSRC2:TGID_X_EN: 1
; COMPUTE_PGM_RSRC2:TGID_Y_EN: 0
; COMPUTE_PGM_RSRC2:TGID_Z_EN: 0
; COMPUTE_PGM_RSRC2:TIDIG_COMP_CNT: 0
	.section	.text._ZN2at6native29vectorized_elementwise_kernelILi16EZZZNS0_17clamp_kernel_cudaERNS_18TensorIteratorBaseERKN3c106ScalarES7_ENKUlvE_clEvENKUlvE1_clEvEUliE_St5arrayIPcLm2EEEEviT0_T1_,"axG",@progbits,_ZN2at6native29vectorized_elementwise_kernelILi16EZZZNS0_17clamp_kernel_cudaERNS_18TensorIteratorBaseERKN3c106ScalarES7_ENKUlvE_clEvENKUlvE1_clEvEUliE_St5arrayIPcLm2EEEEviT0_T1_,comdat
	.globl	_ZN2at6native29vectorized_elementwise_kernelILi16EZZZNS0_17clamp_kernel_cudaERNS_18TensorIteratorBaseERKN3c106ScalarES7_ENKUlvE_clEvENKUlvE1_clEvEUliE_St5arrayIPcLm2EEEEviT0_T1_ ; -- Begin function _ZN2at6native29vectorized_elementwise_kernelILi16EZZZNS0_17clamp_kernel_cudaERNS_18TensorIteratorBaseERKN3c106ScalarES7_ENKUlvE_clEvENKUlvE1_clEvEUliE_St5arrayIPcLm2EEEEviT0_T1_
	.p2align	8
	.type	_ZN2at6native29vectorized_elementwise_kernelILi16EZZZNS0_17clamp_kernel_cudaERNS_18TensorIteratorBaseERKN3c106ScalarES7_ENKUlvE_clEvENKUlvE1_clEvEUliE_St5arrayIPcLm2EEEEviT0_T1_,@function
_ZN2at6native29vectorized_elementwise_kernelILi16EZZZNS0_17clamp_kernel_cudaERNS_18TensorIteratorBaseERKN3c106ScalarES7_ENKUlvE_clEvENKUlvE1_clEvEUliE_St5arrayIPcLm2EEEEviT0_T1_: ; @_ZN2at6native29vectorized_elementwise_kernelILi16EZZZNS0_17clamp_kernel_cudaERNS_18TensorIteratorBaseERKN3c106ScalarES7_ENKUlvE_clEvENKUlvE1_clEvEUliE_St5arrayIPcLm2EEEEviT0_T1_
; %bb.0:
	s_load_b256 s[0:7], s[0:1], 0x0
	s_lshl_b32 s8, s15, 10
	s_waitcnt lgkmcnt(0)
	s_sub_i32 s3, s0, s8
	s_mov_b32 s0, -1
	s_cmpk_gt_i32 s3, 0x3ff
	s_cbranch_scc0 .LBB290_2
; %bb.1:
	s_ashr_i32 s9, s8, 31
	v_lshlrev_b32_e32 v5, 4, v0
	s_lshl_b64 s[10:11], s[8:9], 2
	s_mov_b32 s0, 0
	s_add_u32 s12, s6, s10
	s_addc_u32 s13, s7, s11
	s_add_u32 s10, s4, s10
	global_load_b128 v[1:4], v5, s[12:13]
	s_addc_u32 s11, s5, s11
	s_waitcnt vmcnt(0)
	v_maxmin_i32 v1, v1, s1, s2
	v_maxmin_i32 v2, v2, s1, s2
	;; [unrolled: 1-line block ×4, first 2 shown]
	global_store_b128 v5, v[1:4], s[10:11]
.LBB290_2:
	s_and_not1_b32 vcc_lo, exec_lo, s0
	s_cbranch_vccnz .LBB290_16
; %bb.3:
	v_cmp_gt_i32_e32 vcc_lo, s3, v0
	v_dual_mov_b32 v4, 0 :: v_dual_mov_b32 v5, v0
	v_or_b32_e32 v1, s8, v0
	v_or_b32_e32 v3, 0x100, v0
	v_mov_b32_e32 v2, 0
	s_and_saveexec_b32 s9, vcc_lo
	s_cbranch_execz .LBB290_5
; %bb.4:
	v_mov_b32_e32 v2, 0
	s_delay_alu instid0(VALU_DEP_1) | instskip(NEXT) | instid1(VALU_DEP_1)
	v_lshlrev_b64 v[5:6], 2, v[1:2]
	v_add_co_u32 v5, s0, s6, v5
	s_delay_alu instid0(VALU_DEP_1)
	v_add_co_ci_u32_e64 v6, s0, s7, v6, s0
	global_load_b32 v2, v[5:6], off
	v_or_b32_e32 v5, 0x100, v0
.LBB290_5:
	s_or_b32 exec_lo, exec_lo, s9
	s_delay_alu instid0(SALU_CYCLE_1) | instskip(NEXT) | instid1(VALU_DEP_1)
	s_mov_b32 s9, exec_lo
	v_cmpx_gt_i32_e64 s3, v5
	s_cbranch_execz .LBB290_7
; %bb.6:
	v_dual_mov_b32 v7, 0 :: v_dual_add_nc_u32 v6, s8, v5
	v_add_nc_u32_e32 v5, 0x100, v5
	s_delay_alu instid0(VALU_DEP_2) | instskip(NEXT) | instid1(VALU_DEP_1)
	v_lshlrev_b64 v[6:7], 2, v[6:7]
	v_add_co_u32 v6, s0, s6, v6
	s_delay_alu instid0(VALU_DEP_1)
	v_add_co_ci_u32_e64 v7, s0, s7, v7, s0
	global_load_b32 v4, v[6:7], off
.LBB290_7:
	s_or_b32 exec_lo, exec_lo, s9
	v_dual_mov_b32 v7, 0 :: v_dual_mov_b32 v8, 0
	s_mov_b32 s9, exec_lo
	v_cmpx_gt_i32_e64 s3, v5
	s_cbranch_execz .LBB290_9
; %bb.8:
	v_dual_mov_b32 v9, 0 :: v_dual_add_nc_u32 v8, s8, v5
	v_add_nc_u32_e32 v5, 0x100, v5
	s_delay_alu instid0(VALU_DEP_2) | instskip(NEXT) | instid1(VALU_DEP_1)
	v_lshlrev_b64 v[8:9], 2, v[8:9]
	v_add_co_u32 v8, s0, s6, v8
	s_delay_alu instid0(VALU_DEP_1)
	v_add_co_ci_u32_e64 v9, s0, s7, v9, s0
	global_load_b32 v8, v[8:9], off
.LBB290_9:
	s_or_b32 exec_lo, exec_lo, s9
	s_delay_alu instid0(SALU_CYCLE_1)
	s_mov_b32 s9, exec_lo
	v_cmpx_gt_i32_e64 s3, v5
	s_cbranch_execz .LBB290_11
; %bb.10:
	v_dual_mov_b32 v6, 0 :: v_dual_add_nc_u32 v5, s8, v5
	s_delay_alu instid0(VALU_DEP_1) | instskip(NEXT) | instid1(VALU_DEP_1)
	v_lshlrev_b64 v[5:6], 2, v[5:6]
	v_add_co_u32 v5, s0, s6, v5
	s_delay_alu instid0(VALU_DEP_1)
	v_add_co_ci_u32_e64 v6, s0, s7, v6, s0
	global_load_b32 v7, v[5:6], off
.LBB290_11:
	s_or_b32 exec_lo, exec_lo, s9
	s_waitcnt vmcnt(0)
	v_maxmin_i32 v9, v2, s1, s2
	v_maxmin_i32 v6, v4, s1, s2
	;; [unrolled: 1-line block ×4, first 2 shown]
	s_and_saveexec_b32 s0, vcc_lo
	s_cbranch_execnz .LBB290_17
; %bb.12:
	s_or_b32 exec_lo, exec_lo, s0
	s_delay_alu instid0(SALU_CYCLE_1)
	s_mov_b32 s0, exec_lo
	v_cmpx_gt_i32_e64 s3, v0
	s_cbranch_execnz .LBB290_18
.LBB290_13:
	s_or_b32 exec_lo, exec_lo, s0
	s_delay_alu instid0(SALU_CYCLE_1)
	s_mov_b32 s0, exec_lo
	v_cmpx_gt_i32_e64 s3, v0
	s_cbranch_execnz .LBB290_19
.LBB290_14:
	s_or_b32 exec_lo, exec_lo, s0
	s_delay_alu instid0(SALU_CYCLE_1)
	s_mov_b32 s0, exec_lo
	v_cmpx_gt_i32_e64 s3, v0
	s_cbranch_execz .LBB290_16
.LBB290_15:
	v_dual_mov_b32 v1, 0 :: v_dual_add_nc_u32 v0, s8, v0
	s_delay_alu instid0(VALU_DEP_1) | instskip(NEXT) | instid1(VALU_DEP_1)
	v_lshlrev_b64 v[0:1], 2, v[0:1]
	v_add_co_u32 v0, vcc_lo, s4, v0
	s_delay_alu instid0(VALU_DEP_2)
	v_add_co_ci_u32_e32 v1, vcc_lo, s5, v1, vcc_lo
	global_store_b32 v[0:1], v4, off
.LBB290_16:
	s_nop 0
	s_sendmsg sendmsg(MSG_DEALLOC_VGPRS)
	s_endpgm
.LBB290_17:
	v_mov_b32_e32 v2, 0
	s_delay_alu instid0(VALU_DEP_1) | instskip(NEXT) | instid1(VALU_DEP_1)
	v_lshlrev_b64 v[0:1], 2, v[1:2]
	v_add_co_u32 v7, vcc_lo, s4, v0
	s_delay_alu instid0(VALU_DEP_2) | instskip(SKIP_3) | instid1(SALU_CYCLE_1)
	v_add_co_ci_u32_e32 v8, vcc_lo, s5, v1, vcc_lo
	v_mov_b32_e32 v0, v3
	global_store_b32 v[7:8], v9, off
	s_or_b32 exec_lo, exec_lo, s0
	s_mov_b32 s0, exec_lo
	v_cmpx_gt_i32_e64 s3, v0
	s_cbranch_execz .LBB290_13
.LBB290_18:
	v_dual_mov_b32 v2, 0 :: v_dual_add_nc_u32 v1, s8, v0
	v_add_nc_u32_e32 v0, 0x100, v0
	s_delay_alu instid0(VALU_DEP_2) | instskip(NEXT) | instid1(VALU_DEP_1)
	v_lshlrev_b64 v[1:2], 2, v[1:2]
	v_add_co_u32 v1, vcc_lo, s4, v1
	s_delay_alu instid0(VALU_DEP_2) | instskip(SKIP_2) | instid1(SALU_CYCLE_1)
	v_add_co_ci_u32_e32 v2, vcc_lo, s5, v2, vcc_lo
	global_store_b32 v[1:2], v6, off
	s_or_b32 exec_lo, exec_lo, s0
	s_mov_b32 s0, exec_lo
	v_cmpx_gt_i32_e64 s3, v0
	s_cbranch_execz .LBB290_14
.LBB290_19:
	v_dual_mov_b32 v2, 0 :: v_dual_add_nc_u32 v1, s8, v0
	v_add_nc_u32_e32 v0, 0x100, v0
	s_delay_alu instid0(VALU_DEP_2) | instskip(NEXT) | instid1(VALU_DEP_1)
	v_lshlrev_b64 v[1:2], 2, v[1:2]
	v_add_co_u32 v1, vcc_lo, s4, v1
	s_delay_alu instid0(VALU_DEP_2) | instskip(SKIP_2) | instid1(SALU_CYCLE_1)
	v_add_co_ci_u32_e32 v2, vcc_lo, s5, v2, vcc_lo
	global_store_b32 v[1:2], v5, off
	s_or_b32 exec_lo, exec_lo, s0
	s_mov_b32 s0, exec_lo
	v_cmpx_gt_i32_e64 s3, v0
	s_cbranch_execnz .LBB290_15
	s_branch .LBB290_16
	.section	.rodata,"a",@progbits
	.p2align	6, 0x0
	.amdhsa_kernel _ZN2at6native29vectorized_elementwise_kernelILi16EZZZNS0_17clamp_kernel_cudaERNS_18TensorIteratorBaseERKN3c106ScalarES7_ENKUlvE_clEvENKUlvE1_clEvEUliE_St5arrayIPcLm2EEEEviT0_T1_
		.amdhsa_group_segment_fixed_size 0
		.amdhsa_private_segment_fixed_size 0
		.amdhsa_kernarg_size 32
		.amdhsa_user_sgpr_count 15
		.amdhsa_user_sgpr_dispatch_ptr 0
		.amdhsa_user_sgpr_queue_ptr 0
		.amdhsa_user_sgpr_kernarg_segment_ptr 1
		.amdhsa_user_sgpr_dispatch_id 0
		.amdhsa_user_sgpr_private_segment_size 0
		.amdhsa_wavefront_size32 1
		.amdhsa_uses_dynamic_stack 0
		.amdhsa_enable_private_segment 0
		.amdhsa_system_sgpr_workgroup_id_x 1
		.amdhsa_system_sgpr_workgroup_id_y 0
		.amdhsa_system_sgpr_workgroup_id_z 0
		.amdhsa_system_sgpr_workgroup_info 0
		.amdhsa_system_vgpr_workitem_id 0
		.amdhsa_next_free_vgpr 10
		.amdhsa_next_free_sgpr 16
		.amdhsa_reserve_vcc 1
		.amdhsa_float_round_mode_32 0
		.amdhsa_float_round_mode_16_64 0
		.amdhsa_float_denorm_mode_32 3
		.amdhsa_float_denorm_mode_16_64 3
		.amdhsa_dx10_clamp 1
		.amdhsa_ieee_mode 1
		.amdhsa_fp16_overflow 0
		.amdhsa_workgroup_processor_mode 1
		.amdhsa_memory_ordered 1
		.amdhsa_forward_progress 0
		.amdhsa_shared_vgpr_count 0
		.amdhsa_exception_fp_ieee_invalid_op 0
		.amdhsa_exception_fp_denorm_src 0
		.amdhsa_exception_fp_ieee_div_zero 0
		.amdhsa_exception_fp_ieee_overflow 0
		.amdhsa_exception_fp_ieee_underflow 0
		.amdhsa_exception_fp_ieee_inexact 0
		.amdhsa_exception_int_div_zero 0
	.end_amdhsa_kernel
	.section	.text._ZN2at6native29vectorized_elementwise_kernelILi16EZZZNS0_17clamp_kernel_cudaERNS_18TensorIteratorBaseERKN3c106ScalarES7_ENKUlvE_clEvENKUlvE1_clEvEUliE_St5arrayIPcLm2EEEEviT0_T1_,"axG",@progbits,_ZN2at6native29vectorized_elementwise_kernelILi16EZZZNS0_17clamp_kernel_cudaERNS_18TensorIteratorBaseERKN3c106ScalarES7_ENKUlvE_clEvENKUlvE1_clEvEUliE_St5arrayIPcLm2EEEEviT0_T1_,comdat
.Lfunc_end290:
	.size	_ZN2at6native29vectorized_elementwise_kernelILi16EZZZNS0_17clamp_kernel_cudaERNS_18TensorIteratorBaseERKN3c106ScalarES7_ENKUlvE_clEvENKUlvE1_clEvEUliE_St5arrayIPcLm2EEEEviT0_T1_, .Lfunc_end290-_ZN2at6native29vectorized_elementwise_kernelILi16EZZZNS0_17clamp_kernel_cudaERNS_18TensorIteratorBaseERKN3c106ScalarES7_ENKUlvE_clEvENKUlvE1_clEvEUliE_St5arrayIPcLm2EEEEviT0_T1_
                                        ; -- End function
	.section	.AMDGPU.csdata,"",@progbits
; Kernel info:
; codeLenInByte = 836
; NumSgprs: 18
; NumVgprs: 10
; ScratchSize: 0
; MemoryBound: 0
; FloatMode: 240
; IeeeMode: 1
; LDSByteSize: 0 bytes/workgroup (compile time only)
; SGPRBlocks: 2
; VGPRBlocks: 1
; NumSGPRsForWavesPerEU: 18
; NumVGPRsForWavesPerEU: 10
; Occupancy: 16
; WaveLimiterHint : 0
; COMPUTE_PGM_RSRC2:SCRATCH_EN: 0
; COMPUTE_PGM_RSRC2:USER_SGPR: 15
; COMPUTE_PGM_RSRC2:TRAP_HANDLER: 0
; COMPUTE_PGM_RSRC2:TGID_X_EN: 1
; COMPUTE_PGM_RSRC2:TGID_Y_EN: 0
; COMPUTE_PGM_RSRC2:TGID_Z_EN: 0
; COMPUTE_PGM_RSRC2:TIDIG_COMP_CNT: 0
	.section	.text._ZN2at6native29vectorized_elementwise_kernelILi8EZZZNS0_17clamp_kernel_cudaERNS_18TensorIteratorBaseERKN3c106ScalarES7_ENKUlvE_clEvENKUlvE1_clEvEUliE_St5arrayIPcLm2EEEEviT0_T1_,"axG",@progbits,_ZN2at6native29vectorized_elementwise_kernelILi8EZZZNS0_17clamp_kernel_cudaERNS_18TensorIteratorBaseERKN3c106ScalarES7_ENKUlvE_clEvENKUlvE1_clEvEUliE_St5arrayIPcLm2EEEEviT0_T1_,comdat
	.globl	_ZN2at6native29vectorized_elementwise_kernelILi8EZZZNS0_17clamp_kernel_cudaERNS_18TensorIteratorBaseERKN3c106ScalarES7_ENKUlvE_clEvENKUlvE1_clEvEUliE_St5arrayIPcLm2EEEEviT0_T1_ ; -- Begin function _ZN2at6native29vectorized_elementwise_kernelILi8EZZZNS0_17clamp_kernel_cudaERNS_18TensorIteratorBaseERKN3c106ScalarES7_ENKUlvE_clEvENKUlvE1_clEvEUliE_St5arrayIPcLm2EEEEviT0_T1_
	.p2align	8
	.type	_ZN2at6native29vectorized_elementwise_kernelILi8EZZZNS0_17clamp_kernel_cudaERNS_18TensorIteratorBaseERKN3c106ScalarES7_ENKUlvE_clEvENKUlvE1_clEvEUliE_St5arrayIPcLm2EEEEviT0_T1_,@function
_ZN2at6native29vectorized_elementwise_kernelILi8EZZZNS0_17clamp_kernel_cudaERNS_18TensorIteratorBaseERKN3c106ScalarES7_ENKUlvE_clEvENKUlvE1_clEvEUliE_St5arrayIPcLm2EEEEviT0_T1_: ; @_ZN2at6native29vectorized_elementwise_kernelILi8EZZZNS0_17clamp_kernel_cudaERNS_18TensorIteratorBaseERKN3c106ScalarES7_ENKUlvE_clEvENKUlvE1_clEvEUliE_St5arrayIPcLm2EEEEviT0_T1_
; %bb.0:
	s_load_b256 s[0:7], s[0:1], 0x0
	s_lshl_b32 s8, s15, 10
	s_waitcnt lgkmcnt(0)
	s_sub_i32 s3, s0, s8
	s_mov_b32 s0, -1
	s_cmpk_gt_i32 s3, 0x3ff
	s_cbranch_scc0 .LBB291_2
; %bb.1:
	s_ashr_i32 s9, s8, 31
	v_lshlrev_b32_e32 v5, 4, v0
	s_lshl_b64 s[10:11], s[8:9], 2
	s_mov_b32 s0, 0
	s_add_u32 s12, s6, s10
	s_addc_u32 s13, s7, s11
	s_add_u32 s10, s4, s10
	global_load_b128 v[1:4], v5, s[12:13]
	s_addc_u32 s11, s5, s11
	s_waitcnt vmcnt(0)
	v_maxmin_i32 v1, v1, s1, s2
	v_maxmin_i32 v2, v2, s1, s2
	v_maxmin_i32 v3, v3, s1, s2
	v_maxmin_i32 v4, v4, s1, s2
	global_store_b128 v5, v[1:4], s[10:11]
.LBB291_2:
	s_and_not1_b32 vcc_lo, exec_lo, s0
	s_cbranch_vccnz .LBB291_16
; %bb.3:
	v_cmp_gt_i32_e32 vcc_lo, s3, v0
	v_dual_mov_b32 v4, 0 :: v_dual_mov_b32 v5, v0
	v_or_b32_e32 v1, s8, v0
	v_or_b32_e32 v3, 0x100, v0
	v_mov_b32_e32 v2, 0
	s_and_saveexec_b32 s9, vcc_lo
	s_cbranch_execz .LBB291_5
; %bb.4:
	v_mov_b32_e32 v2, 0
	s_delay_alu instid0(VALU_DEP_1) | instskip(NEXT) | instid1(VALU_DEP_1)
	v_lshlrev_b64 v[5:6], 2, v[1:2]
	v_add_co_u32 v5, s0, s6, v5
	s_delay_alu instid0(VALU_DEP_1)
	v_add_co_ci_u32_e64 v6, s0, s7, v6, s0
	global_load_b32 v2, v[5:6], off
	v_or_b32_e32 v5, 0x100, v0
.LBB291_5:
	s_or_b32 exec_lo, exec_lo, s9
	s_delay_alu instid0(SALU_CYCLE_1) | instskip(NEXT) | instid1(VALU_DEP_1)
	s_mov_b32 s9, exec_lo
	v_cmpx_gt_i32_e64 s3, v5
	s_cbranch_execz .LBB291_7
; %bb.6:
	v_dual_mov_b32 v7, 0 :: v_dual_add_nc_u32 v6, s8, v5
	v_add_nc_u32_e32 v5, 0x100, v5
	s_delay_alu instid0(VALU_DEP_2) | instskip(NEXT) | instid1(VALU_DEP_1)
	v_lshlrev_b64 v[6:7], 2, v[6:7]
	v_add_co_u32 v6, s0, s6, v6
	s_delay_alu instid0(VALU_DEP_1)
	v_add_co_ci_u32_e64 v7, s0, s7, v7, s0
	global_load_b32 v4, v[6:7], off
.LBB291_7:
	s_or_b32 exec_lo, exec_lo, s9
	v_dual_mov_b32 v7, 0 :: v_dual_mov_b32 v8, 0
	s_mov_b32 s9, exec_lo
	v_cmpx_gt_i32_e64 s3, v5
	s_cbranch_execz .LBB291_9
; %bb.8:
	v_dual_mov_b32 v9, 0 :: v_dual_add_nc_u32 v8, s8, v5
	v_add_nc_u32_e32 v5, 0x100, v5
	s_delay_alu instid0(VALU_DEP_2) | instskip(NEXT) | instid1(VALU_DEP_1)
	v_lshlrev_b64 v[8:9], 2, v[8:9]
	v_add_co_u32 v8, s0, s6, v8
	s_delay_alu instid0(VALU_DEP_1)
	v_add_co_ci_u32_e64 v9, s0, s7, v9, s0
	global_load_b32 v8, v[8:9], off
.LBB291_9:
	s_or_b32 exec_lo, exec_lo, s9
	s_delay_alu instid0(SALU_CYCLE_1)
	s_mov_b32 s9, exec_lo
	v_cmpx_gt_i32_e64 s3, v5
	s_cbranch_execz .LBB291_11
; %bb.10:
	v_dual_mov_b32 v6, 0 :: v_dual_add_nc_u32 v5, s8, v5
	s_delay_alu instid0(VALU_DEP_1) | instskip(NEXT) | instid1(VALU_DEP_1)
	v_lshlrev_b64 v[5:6], 2, v[5:6]
	v_add_co_u32 v5, s0, s6, v5
	s_delay_alu instid0(VALU_DEP_1)
	v_add_co_ci_u32_e64 v6, s0, s7, v6, s0
	global_load_b32 v7, v[5:6], off
.LBB291_11:
	s_or_b32 exec_lo, exec_lo, s9
	s_waitcnt vmcnt(0)
	v_maxmin_i32 v9, v2, s1, s2
	v_maxmin_i32 v6, v4, s1, s2
	;; [unrolled: 1-line block ×4, first 2 shown]
	s_and_saveexec_b32 s0, vcc_lo
	s_cbranch_execnz .LBB291_17
; %bb.12:
	s_or_b32 exec_lo, exec_lo, s0
	s_delay_alu instid0(SALU_CYCLE_1)
	s_mov_b32 s0, exec_lo
	v_cmpx_gt_i32_e64 s3, v0
	s_cbranch_execnz .LBB291_18
.LBB291_13:
	s_or_b32 exec_lo, exec_lo, s0
	s_delay_alu instid0(SALU_CYCLE_1)
	s_mov_b32 s0, exec_lo
	v_cmpx_gt_i32_e64 s3, v0
	s_cbranch_execnz .LBB291_19
.LBB291_14:
	s_or_b32 exec_lo, exec_lo, s0
	s_delay_alu instid0(SALU_CYCLE_1)
	s_mov_b32 s0, exec_lo
	v_cmpx_gt_i32_e64 s3, v0
	s_cbranch_execz .LBB291_16
.LBB291_15:
	v_dual_mov_b32 v1, 0 :: v_dual_add_nc_u32 v0, s8, v0
	s_delay_alu instid0(VALU_DEP_1) | instskip(NEXT) | instid1(VALU_DEP_1)
	v_lshlrev_b64 v[0:1], 2, v[0:1]
	v_add_co_u32 v0, vcc_lo, s4, v0
	s_delay_alu instid0(VALU_DEP_2)
	v_add_co_ci_u32_e32 v1, vcc_lo, s5, v1, vcc_lo
	global_store_b32 v[0:1], v4, off
.LBB291_16:
	s_nop 0
	s_sendmsg sendmsg(MSG_DEALLOC_VGPRS)
	s_endpgm
.LBB291_17:
	v_mov_b32_e32 v2, 0
	s_delay_alu instid0(VALU_DEP_1) | instskip(NEXT) | instid1(VALU_DEP_1)
	v_lshlrev_b64 v[0:1], 2, v[1:2]
	v_add_co_u32 v7, vcc_lo, s4, v0
	s_delay_alu instid0(VALU_DEP_2) | instskip(SKIP_3) | instid1(SALU_CYCLE_1)
	v_add_co_ci_u32_e32 v8, vcc_lo, s5, v1, vcc_lo
	v_mov_b32_e32 v0, v3
	global_store_b32 v[7:8], v9, off
	s_or_b32 exec_lo, exec_lo, s0
	s_mov_b32 s0, exec_lo
	v_cmpx_gt_i32_e64 s3, v0
	s_cbranch_execz .LBB291_13
.LBB291_18:
	v_dual_mov_b32 v2, 0 :: v_dual_add_nc_u32 v1, s8, v0
	v_add_nc_u32_e32 v0, 0x100, v0
	s_delay_alu instid0(VALU_DEP_2) | instskip(NEXT) | instid1(VALU_DEP_1)
	v_lshlrev_b64 v[1:2], 2, v[1:2]
	v_add_co_u32 v1, vcc_lo, s4, v1
	s_delay_alu instid0(VALU_DEP_2) | instskip(SKIP_2) | instid1(SALU_CYCLE_1)
	v_add_co_ci_u32_e32 v2, vcc_lo, s5, v2, vcc_lo
	global_store_b32 v[1:2], v6, off
	s_or_b32 exec_lo, exec_lo, s0
	s_mov_b32 s0, exec_lo
	v_cmpx_gt_i32_e64 s3, v0
	s_cbranch_execz .LBB291_14
.LBB291_19:
	v_dual_mov_b32 v2, 0 :: v_dual_add_nc_u32 v1, s8, v0
	v_add_nc_u32_e32 v0, 0x100, v0
	s_delay_alu instid0(VALU_DEP_2) | instskip(NEXT) | instid1(VALU_DEP_1)
	v_lshlrev_b64 v[1:2], 2, v[1:2]
	v_add_co_u32 v1, vcc_lo, s4, v1
	s_delay_alu instid0(VALU_DEP_2) | instskip(SKIP_2) | instid1(SALU_CYCLE_1)
	v_add_co_ci_u32_e32 v2, vcc_lo, s5, v2, vcc_lo
	global_store_b32 v[1:2], v5, off
	s_or_b32 exec_lo, exec_lo, s0
	s_mov_b32 s0, exec_lo
	v_cmpx_gt_i32_e64 s3, v0
	s_cbranch_execnz .LBB291_15
	s_branch .LBB291_16
	.section	.rodata,"a",@progbits
	.p2align	6, 0x0
	.amdhsa_kernel _ZN2at6native29vectorized_elementwise_kernelILi8EZZZNS0_17clamp_kernel_cudaERNS_18TensorIteratorBaseERKN3c106ScalarES7_ENKUlvE_clEvENKUlvE1_clEvEUliE_St5arrayIPcLm2EEEEviT0_T1_
		.amdhsa_group_segment_fixed_size 0
		.amdhsa_private_segment_fixed_size 0
		.amdhsa_kernarg_size 32
		.amdhsa_user_sgpr_count 15
		.amdhsa_user_sgpr_dispatch_ptr 0
		.amdhsa_user_sgpr_queue_ptr 0
		.amdhsa_user_sgpr_kernarg_segment_ptr 1
		.amdhsa_user_sgpr_dispatch_id 0
		.amdhsa_user_sgpr_private_segment_size 0
		.amdhsa_wavefront_size32 1
		.amdhsa_uses_dynamic_stack 0
		.amdhsa_enable_private_segment 0
		.amdhsa_system_sgpr_workgroup_id_x 1
		.amdhsa_system_sgpr_workgroup_id_y 0
		.amdhsa_system_sgpr_workgroup_id_z 0
		.amdhsa_system_sgpr_workgroup_info 0
		.amdhsa_system_vgpr_workitem_id 0
		.amdhsa_next_free_vgpr 10
		.amdhsa_next_free_sgpr 16
		.amdhsa_reserve_vcc 1
		.amdhsa_float_round_mode_32 0
		.amdhsa_float_round_mode_16_64 0
		.amdhsa_float_denorm_mode_32 3
		.amdhsa_float_denorm_mode_16_64 3
		.amdhsa_dx10_clamp 1
		.amdhsa_ieee_mode 1
		.amdhsa_fp16_overflow 0
		.amdhsa_workgroup_processor_mode 1
		.amdhsa_memory_ordered 1
		.amdhsa_forward_progress 0
		.amdhsa_shared_vgpr_count 0
		.amdhsa_exception_fp_ieee_invalid_op 0
		.amdhsa_exception_fp_denorm_src 0
		.amdhsa_exception_fp_ieee_div_zero 0
		.amdhsa_exception_fp_ieee_overflow 0
		.amdhsa_exception_fp_ieee_underflow 0
		.amdhsa_exception_fp_ieee_inexact 0
		.amdhsa_exception_int_div_zero 0
	.end_amdhsa_kernel
	.section	.text._ZN2at6native29vectorized_elementwise_kernelILi8EZZZNS0_17clamp_kernel_cudaERNS_18TensorIteratorBaseERKN3c106ScalarES7_ENKUlvE_clEvENKUlvE1_clEvEUliE_St5arrayIPcLm2EEEEviT0_T1_,"axG",@progbits,_ZN2at6native29vectorized_elementwise_kernelILi8EZZZNS0_17clamp_kernel_cudaERNS_18TensorIteratorBaseERKN3c106ScalarES7_ENKUlvE_clEvENKUlvE1_clEvEUliE_St5arrayIPcLm2EEEEviT0_T1_,comdat
.Lfunc_end291:
	.size	_ZN2at6native29vectorized_elementwise_kernelILi8EZZZNS0_17clamp_kernel_cudaERNS_18TensorIteratorBaseERKN3c106ScalarES7_ENKUlvE_clEvENKUlvE1_clEvEUliE_St5arrayIPcLm2EEEEviT0_T1_, .Lfunc_end291-_ZN2at6native29vectorized_elementwise_kernelILi8EZZZNS0_17clamp_kernel_cudaERNS_18TensorIteratorBaseERKN3c106ScalarES7_ENKUlvE_clEvENKUlvE1_clEvEUliE_St5arrayIPcLm2EEEEviT0_T1_
                                        ; -- End function
	.section	.AMDGPU.csdata,"",@progbits
; Kernel info:
; codeLenInByte = 836
; NumSgprs: 18
; NumVgprs: 10
; ScratchSize: 0
; MemoryBound: 0
; FloatMode: 240
; IeeeMode: 1
; LDSByteSize: 0 bytes/workgroup (compile time only)
; SGPRBlocks: 2
; VGPRBlocks: 1
; NumSGPRsForWavesPerEU: 18
; NumVGPRsForWavesPerEU: 10
; Occupancy: 16
; WaveLimiterHint : 0
; COMPUTE_PGM_RSRC2:SCRATCH_EN: 0
; COMPUTE_PGM_RSRC2:USER_SGPR: 15
; COMPUTE_PGM_RSRC2:TRAP_HANDLER: 0
; COMPUTE_PGM_RSRC2:TGID_X_EN: 1
; COMPUTE_PGM_RSRC2:TGID_Y_EN: 0
; COMPUTE_PGM_RSRC2:TGID_Z_EN: 0
; COMPUTE_PGM_RSRC2:TIDIG_COMP_CNT: 0
	.section	.text._ZN2at6native29vectorized_elementwise_kernelILi4EZZZNS0_17clamp_kernel_cudaERNS_18TensorIteratorBaseERKN3c106ScalarES7_ENKUlvE_clEvENKUlvE1_clEvEUliE_St5arrayIPcLm2EEEEviT0_T1_,"axG",@progbits,_ZN2at6native29vectorized_elementwise_kernelILi4EZZZNS0_17clamp_kernel_cudaERNS_18TensorIteratorBaseERKN3c106ScalarES7_ENKUlvE_clEvENKUlvE1_clEvEUliE_St5arrayIPcLm2EEEEviT0_T1_,comdat
	.globl	_ZN2at6native29vectorized_elementwise_kernelILi4EZZZNS0_17clamp_kernel_cudaERNS_18TensorIteratorBaseERKN3c106ScalarES7_ENKUlvE_clEvENKUlvE1_clEvEUliE_St5arrayIPcLm2EEEEviT0_T1_ ; -- Begin function _ZN2at6native29vectorized_elementwise_kernelILi4EZZZNS0_17clamp_kernel_cudaERNS_18TensorIteratorBaseERKN3c106ScalarES7_ENKUlvE_clEvENKUlvE1_clEvEUliE_St5arrayIPcLm2EEEEviT0_T1_
	.p2align	8
	.type	_ZN2at6native29vectorized_elementwise_kernelILi4EZZZNS0_17clamp_kernel_cudaERNS_18TensorIteratorBaseERKN3c106ScalarES7_ENKUlvE_clEvENKUlvE1_clEvEUliE_St5arrayIPcLm2EEEEviT0_T1_,@function
_ZN2at6native29vectorized_elementwise_kernelILi4EZZZNS0_17clamp_kernel_cudaERNS_18TensorIteratorBaseERKN3c106ScalarES7_ENKUlvE_clEvENKUlvE1_clEvEUliE_St5arrayIPcLm2EEEEviT0_T1_: ; @_ZN2at6native29vectorized_elementwise_kernelILi4EZZZNS0_17clamp_kernel_cudaERNS_18TensorIteratorBaseERKN3c106ScalarES7_ENKUlvE_clEvENKUlvE1_clEvEUliE_St5arrayIPcLm2EEEEviT0_T1_
; %bb.0:
	s_load_b256 s[0:7], s[0:1], 0x0
	s_lshl_b32 s8, s15, 10
	s_waitcnt lgkmcnt(0)
	s_sub_i32 s3, s0, s8
	s_mov_b32 s0, -1
	s_cmpk_gt_i32 s3, 0x3ff
	s_cbranch_scc0 .LBB292_2
; %bb.1:
	s_ashr_i32 s9, s8, 31
	v_lshlrev_b32_e32 v5, 4, v0
	s_lshl_b64 s[10:11], s[8:9], 2
	s_mov_b32 s0, 0
	s_add_u32 s12, s6, s10
	s_addc_u32 s13, s7, s11
	s_add_u32 s10, s4, s10
	global_load_b128 v[1:4], v5, s[12:13]
	s_addc_u32 s11, s5, s11
	s_waitcnt vmcnt(0)
	v_maxmin_i32 v1, v1, s1, s2
	v_maxmin_i32 v2, v2, s1, s2
	;; [unrolled: 1-line block ×4, first 2 shown]
	global_store_b128 v5, v[1:4], s[10:11]
.LBB292_2:
	s_and_not1_b32 vcc_lo, exec_lo, s0
	s_cbranch_vccnz .LBB292_16
; %bb.3:
	v_cmp_gt_i32_e32 vcc_lo, s3, v0
	v_dual_mov_b32 v4, 0 :: v_dual_mov_b32 v5, v0
	v_or_b32_e32 v1, s8, v0
	v_or_b32_e32 v3, 0x100, v0
	v_mov_b32_e32 v2, 0
	s_and_saveexec_b32 s9, vcc_lo
	s_cbranch_execz .LBB292_5
; %bb.4:
	v_mov_b32_e32 v2, 0
	s_delay_alu instid0(VALU_DEP_1) | instskip(NEXT) | instid1(VALU_DEP_1)
	v_lshlrev_b64 v[5:6], 2, v[1:2]
	v_add_co_u32 v5, s0, s6, v5
	s_delay_alu instid0(VALU_DEP_1)
	v_add_co_ci_u32_e64 v6, s0, s7, v6, s0
	global_load_b32 v2, v[5:6], off
	v_or_b32_e32 v5, 0x100, v0
.LBB292_5:
	s_or_b32 exec_lo, exec_lo, s9
	s_delay_alu instid0(SALU_CYCLE_1) | instskip(NEXT) | instid1(VALU_DEP_1)
	s_mov_b32 s9, exec_lo
	v_cmpx_gt_i32_e64 s3, v5
	s_cbranch_execz .LBB292_7
; %bb.6:
	v_dual_mov_b32 v7, 0 :: v_dual_add_nc_u32 v6, s8, v5
	v_add_nc_u32_e32 v5, 0x100, v5
	s_delay_alu instid0(VALU_DEP_2) | instskip(NEXT) | instid1(VALU_DEP_1)
	v_lshlrev_b64 v[6:7], 2, v[6:7]
	v_add_co_u32 v6, s0, s6, v6
	s_delay_alu instid0(VALU_DEP_1)
	v_add_co_ci_u32_e64 v7, s0, s7, v7, s0
	global_load_b32 v4, v[6:7], off
.LBB292_7:
	s_or_b32 exec_lo, exec_lo, s9
	v_dual_mov_b32 v7, 0 :: v_dual_mov_b32 v8, 0
	s_mov_b32 s9, exec_lo
	v_cmpx_gt_i32_e64 s3, v5
	s_cbranch_execz .LBB292_9
; %bb.8:
	v_dual_mov_b32 v9, 0 :: v_dual_add_nc_u32 v8, s8, v5
	v_add_nc_u32_e32 v5, 0x100, v5
	s_delay_alu instid0(VALU_DEP_2) | instskip(NEXT) | instid1(VALU_DEP_1)
	v_lshlrev_b64 v[8:9], 2, v[8:9]
	v_add_co_u32 v8, s0, s6, v8
	s_delay_alu instid0(VALU_DEP_1)
	v_add_co_ci_u32_e64 v9, s0, s7, v9, s0
	global_load_b32 v8, v[8:9], off
.LBB292_9:
	s_or_b32 exec_lo, exec_lo, s9
	s_delay_alu instid0(SALU_CYCLE_1)
	s_mov_b32 s9, exec_lo
	v_cmpx_gt_i32_e64 s3, v5
	s_cbranch_execz .LBB292_11
; %bb.10:
	v_dual_mov_b32 v6, 0 :: v_dual_add_nc_u32 v5, s8, v5
	s_delay_alu instid0(VALU_DEP_1) | instskip(NEXT) | instid1(VALU_DEP_1)
	v_lshlrev_b64 v[5:6], 2, v[5:6]
	v_add_co_u32 v5, s0, s6, v5
	s_delay_alu instid0(VALU_DEP_1)
	v_add_co_ci_u32_e64 v6, s0, s7, v6, s0
	global_load_b32 v7, v[5:6], off
.LBB292_11:
	s_or_b32 exec_lo, exec_lo, s9
	s_waitcnt vmcnt(0)
	v_maxmin_i32 v9, v2, s1, s2
	v_maxmin_i32 v6, v4, s1, s2
	;; [unrolled: 1-line block ×4, first 2 shown]
	s_and_saveexec_b32 s0, vcc_lo
	s_cbranch_execnz .LBB292_17
; %bb.12:
	s_or_b32 exec_lo, exec_lo, s0
	s_delay_alu instid0(SALU_CYCLE_1)
	s_mov_b32 s0, exec_lo
	v_cmpx_gt_i32_e64 s3, v0
	s_cbranch_execnz .LBB292_18
.LBB292_13:
	s_or_b32 exec_lo, exec_lo, s0
	s_delay_alu instid0(SALU_CYCLE_1)
	s_mov_b32 s0, exec_lo
	v_cmpx_gt_i32_e64 s3, v0
	s_cbranch_execnz .LBB292_19
.LBB292_14:
	s_or_b32 exec_lo, exec_lo, s0
	s_delay_alu instid0(SALU_CYCLE_1)
	s_mov_b32 s0, exec_lo
	v_cmpx_gt_i32_e64 s3, v0
	s_cbranch_execz .LBB292_16
.LBB292_15:
	v_dual_mov_b32 v1, 0 :: v_dual_add_nc_u32 v0, s8, v0
	s_delay_alu instid0(VALU_DEP_1) | instskip(NEXT) | instid1(VALU_DEP_1)
	v_lshlrev_b64 v[0:1], 2, v[0:1]
	v_add_co_u32 v0, vcc_lo, s4, v0
	s_delay_alu instid0(VALU_DEP_2)
	v_add_co_ci_u32_e32 v1, vcc_lo, s5, v1, vcc_lo
	global_store_b32 v[0:1], v4, off
.LBB292_16:
	s_nop 0
	s_sendmsg sendmsg(MSG_DEALLOC_VGPRS)
	s_endpgm
.LBB292_17:
	v_mov_b32_e32 v2, 0
	s_delay_alu instid0(VALU_DEP_1) | instskip(NEXT) | instid1(VALU_DEP_1)
	v_lshlrev_b64 v[0:1], 2, v[1:2]
	v_add_co_u32 v7, vcc_lo, s4, v0
	s_delay_alu instid0(VALU_DEP_2) | instskip(SKIP_3) | instid1(SALU_CYCLE_1)
	v_add_co_ci_u32_e32 v8, vcc_lo, s5, v1, vcc_lo
	v_mov_b32_e32 v0, v3
	global_store_b32 v[7:8], v9, off
	s_or_b32 exec_lo, exec_lo, s0
	s_mov_b32 s0, exec_lo
	v_cmpx_gt_i32_e64 s3, v0
	s_cbranch_execz .LBB292_13
.LBB292_18:
	v_dual_mov_b32 v2, 0 :: v_dual_add_nc_u32 v1, s8, v0
	v_add_nc_u32_e32 v0, 0x100, v0
	s_delay_alu instid0(VALU_DEP_2) | instskip(NEXT) | instid1(VALU_DEP_1)
	v_lshlrev_b64 v[1:2], 2, v[1:2]
	v_add_co_u32 v1, vcc_lo, s4, v1
	s_delay_alu instid0(VALU_DEP_2) | instskip(SKIP_2) | instid1(SALU_CYCLE_1)
	v_add_co_ci_u32_e32 v2, vcc_lo, s5, v2, vcc_lo
	global_store_b32 v[1:2], v6, off
	s_or_b32 exec_lo, exec_lo, s0
	s_mov_b32 s0, exec_lo
	v_cmpx_gt_i32_e64 s3, v0
	s_cbranch_execz .LBB292_14
.LBB292_19:
	v_dual_mov_b32 v2, 0 :: v_dual_add_nc_u32 v1, s8, v0
	v_add_nc_u32_e32 v0, 0x100, v0
	s_delay_alu instid0(VALU_DEP_2) | instskip(NEXT) | instid1(VALU_DEP_1)
	v_lshlrev_b64 v[1:2], 2, v[1:2]
	v_add_co_u32 v1, vcc_lo, s4, v1
	s_delay_alu instid0(VALU_DEP_2) | instskip(SKIP_2) | instid1(SALU_CYCLE_1)
	v_add_co_ci_u32_e32 v2, vcc_lo, s5, v2, vcc_lo
	global_store_b32 v[1:2], v5, off
	s_or_b32 exec_lo, exec_lo, s0
	s_mov_b32 s0, exec_lo
	v_cmpx_gt_i32_e64 s3, v0
	s_cbranch_execnz .LBB292_15
	s_branch .LBB292_16
	.section	.rodata,"a",@progbits
	.p2align	6, 0x0
	.amdhsa_kernel _ZN2at6native29vectorized_elementwise_kernelILi4EZZZNS0_17clamp_kernel_cudaERNS_18TensorIteratorBaseERKN3c106ScalarES7_ENKUlvE_clEvENKUlvE1_clEvEUliE_St5arrayIPcLm2EEEEviT0_T1_
		.amdhsa_group_segment_fixed_size 0
		.amdhsa_private_segment_fixed_size 0
		.amdhsa_kernarg_size 32
		.amdhsa_user_sgpr_count 15
		.amdhsa_user_sgpr_dispatch_ptr 0
		.amdhsa_user_sgpr_queue_ptr 0
		.amdhsa_user_sgpr_kernarg_segment_ptr 1
		.amdhsa_user_sgpr_dispatch_id 0
		.amdhsa_user_sgpr_private_segment_size 0
		.amdhsa_wavefront_size32 1
		.amdhsa_uses_dynamic_stack 0
		.amdhsa_enable_private_segment 0
		.amdhsa_system_sgpr_workgroup_id_x 1
		.amdhsa_system_sgpr_workgroup_id_y 0
		.amdhsa_system_sgpr_workgroup_id_z 0
		.amdhsa_system_sgpr_workgroup_info 0
		.amdhsa_system_vgpr_workitem_id 0
		.amdhsa_next_free_vgpr 10
		.amdhsa_next_free_sgpr 16
		.amdhsa_reserve_vcc 1
		.amdhsa_float_round_mode_32 0
		.amdhsa_float_round_mode_16_64 0
		.amdhsa_float_denorm_mode_32 3
		.amdhsa_float_denorm_mode_16_64 3
		.amdhsa_dx10_clamp 1
		.amdhsa_ieee_mode 1
		.amdhsa_fp16_overflow 0
		.amdhsa_workgroup_processor_mode 1
		.amdhsa_memory_ordered 1
		.amdhsa_forward_progress 0
		.amdhsa_shared_vgpr_count 0
		.amdhsa_exception_fp_ieee_invalid_op 0
		.amdhsa_exception_fp_denorm_src 0
		.amdhsa_exception_fp_ieee_div_zero 0
		.amdhsa_exception_fp_ieee_overflow 0
		.amdhsa_exception_fp_ieee_underflow 0
		.amdhsa_exception_fp_ieee_inexact 0
		.amdhsa_exception_int_div_zero 0
	.end_amdhsa_kernel
	.section	.text._ZN2at6native29vectorized_elementwise_kernelILi4EZZZNS0_17clamp_kernel_cudaERNS_18TensorIteratorBaseERKN3c106ScalarES7_ENKUlvE_clEvENKUlvE1_clEvEUliE_St5arrayIPcLm2EEEEviT0_T1_,"axG",@progbits,_ZN2at6native29vectorized_elementwise_kernelILi4EZZZNS0_17clamp_kernel_cudaERNS_18TensorIteratorBaseERKN3c106ScalarES7_ENKUlvE_clEvENKUlvE1_clEvEUliE_St5arrayIPcLm2EEEEviT0_T1_,comdat
.Lfunc_end292:
	.size	_ZN2at6native29vectorized_elementwise_kernelILi4EZZZNS0_17clamp_kernel_cudaERNS_18TensorIteratorBaseERKN3c106ScalarES7_ENKUlvE_clEvENKUlvE1_clEvEUliE_St5arrayIPcLm2EEEEviT0_T1_, .Lfunc_end292-_ZN2at6native29vectorized_elementwise_kernelILi4EZZZNS0_17clamp_kernel_cudaERNS_18TensorIteratorBaseERKN3c106ScalarES7_ENKUlvE_clEvENKUlvE1_clEvEUliE_St5arrayIPcLm2EEEEviT0_T1_
                                        ; -- End function
	.section	.AMDGPU.csdata,"",@progbits
; Kernel info:
; codeLenInByte = 836
; NumSgprs: 18
; NumVgprs: 10
; ScratchSize: 0
; MemoryBound: 0
; FloatMode: 240
; IeeeMode: 1
; LDSByteSize: 0 bytes/workgroup (compile time only)
; SGPRBlocks: 2
; VGPRBlocks: 1
; NumSGPRsForWavesPerEU: 18
; NumVGPRsForWavesPerEU: 10
; Occupancy: 16
; WaveLimiterHint : 0
; COMPUTE_PGM_RSRC2:SCRATCH_EN: 0
; COMPUTE_PGM_RSRC2:USER_SGPR: 15
; COMPUTE_PGM_RSRC2:TRAP_HANDLER: 0
; COMPUTE_PGM_RSRC2:TGID_X_EN: 1
; COMPUTE_PGM_RSRC2:TGID_Y_EN: 0
; COMPUTE_PGM_RSRC2:TGID_Z_EN: 0
; COMPUTE_PGM_RSRC2:TIDIG_COMP_CNT: 0
	.section	.text._ZN2at6native29vectorized_elementwise_kernelILi2EZZZNS0_17clamp_kernel_cudaERNS_18TensorIteratorBaseERKN3c106ScalarES7_ENKUlvE_clEvENKUlvE1_clEvEUliE_St5arrayIPcLm2EEEEviT0_T1_,"axG",@progbits,_ZN2at6native29vectorized_elementwise_kernelILi2EZZZNS0_17clamp_kernel_cudaERNS_18TensorIteratorBaseERKN3c106ScalarES7_ENKUlvE_clEvENKUlvE1_clEvEUliE_St5arrayIPcLm2EEEEviT0_T1_,comdat
	.globl	_ZN2at6native29vectorized_elementwise_kernelILi2EZZZNS0_17clamp_kernel_cudaERNS_18TensorIteratorBaseERKN3c106ScalarES7_ENKUlvE_clEvENKUlvE1_clEvEUliE_St5arrayIPcLm2EEEEviT0_T1_ ; -- Begin function _ZN2at6native29vectorized_elementwise_kernelILi2EZZZNS0_17clamp_kernel_cudaERNS_18TensorIteratorBaseERKN3c106ScalarES7_ENKUlvE_clEvENKUlvE1_clEvEUliE_St5arrayIPcLm2EEEEviT0_T1_
	.p2align	8
	.type	_ZN2at6native29vectorized_elementwise_kernelILi2EZZZNS0_17clamp_kernel_cudaERNS_18TensorIteratorBaseERKN3c106ScalarES7_ENKUlvE_clEvENKUlvE1_clEvEUliE_St5arrayIPcLm2EEEEviT0_T1_,@function
_ZN2at6native29vectorized_elementwise_kernelILi2EZZZNS0_17clamp_kernel_cudaERNS_18TensorIteratorBaseERKN3c106ScalarES7_ENKUlvE_clEvENKUlvE1_clEvEUliE_St5arrayIPcLm2EEEEviT0_T1_: ; @_ZN2at6native29vectorized_elementwise_kernelILi2EZZZNS0_17clamp_kernel_cudaERNS_18TensorIteratorBaseERKN3c106ScalarES7_ENKUlvE_clEvENKUlvE1_clEvEUliE_St5arrayIPcLm2EEEEviT0_T1_
; %bb.0:
	s_load_b256 s[0:7], s[0:1], 0x0
	s_lshl_b32 s8, s15, 10
	s_waitcnt lgkmcnt(0)
	s_sub_i32 s3, s0, s8
	s_mov_b32 s0, -1
	s_cmpk_gt_i32 s3, 0x3ff
	s_cbranch_scc0 .LBB293_2
; %bb.1:
	s_ashr_i32 s9, s8, 31
	v_lshlrev_b32_e32 v5, 3, v0
	s_lshl_b64 s[10:11], s[8:9], 2
	s_mov_b32 s0, 0
	s_add_u32 s12, s6, s10
	s_addc_u32 s13, s7, s11
	s_add_u32 s10, s4, s10
	s_clause 0x1
	global_load_b64 v[1:2], v5, s[12:13]
	global_load_b64 v[3:4], v5, s[12:13] offset:2048
	s_addc_u32 s11, s5, s11
	s_waitcnt vmcnt(1)
	v_maxmin_i32 v1, v1, s1, s2
	v_maxmin_i32 v2, v2, s1, s2
	s_waitcnt vmcnt(0)
	v_maxmin_i32 v3, v3, s1, s2
	v_maxmin_i32 v4, v4, s1, s2
	s_clause 0x1
	global_store_b64 v5, v[1:2], s[10:11]
	global_store_b64 v5, v[3:4], s[10:11] offset:2048
.LBB293_2:
	s_and_not1_b32 vcc_lo, exec_lo, s0
	s_cbranch_vccnz .LBB293_16
; %bb.3:
	v_cmp_gt_i32_e32 vcc_lo, s3, v0
	v_dual_mov_b32 v4, 0 :: v_dual_mov_b32 v5, v0
	v_or_b32_e32 v1, s8, v0
	v_or_b32_e32 v3, 0x100, v0
	v_mov_b32_e32 v2, 0
	s_and_saveexec_b32 s9, vcc_lo
	s_cbranch_execz .LBB293_5
; %bb.4:
	v_mov_b32_e32 v2, 0
	s_delay_alu instid0(VALU_DEP_1) | instskip(NEXT) | instid1(VALU_DEP_1)
	v_lshlrev_b64 v[5:6], 2, v[1:2]
	v_add_co_u32 v5, s0, s6, v5
	s_delay_alu instid0(VALU_DEP_1)
	v_add_co_ci_u32_e64 v6, s0, s7, v6, s0
	global_load_b32 v2, v[5:6], off
	v_or_b32_e32 v5, 0x100, v0
.LBB293_5:
	s_or_b32 exec_lo, exec_lo, s9
	s_delay_alu instid0(SALU_CYCLE_1) | instskip(NEXT) | instid1(VALU_DEP_1)
	s_mov_b32 s9, exec_lo
	v_cmpx_gt_i32_e64 s3, v5
	s_cbranch_execz .LBB293_7
; %bb.6:
	v_dual_mov_b32 v7, 0 :: v_dual_add_nc_u32 v6, s8, v5
	v_add_nc_u32_e32 v5, 0x100, v5
	s_delay_alu instid0(VALU_DEP_2) | instskip(NEXT) | instid1(VALU_DEP_1)
	v_lshlrev_b64 v[6:7], 2, v[6:7]
	v_add_co_u32 v6, s0, s6, v6
	s_delay_alu instid0(VALU_DEP_1)
	v_add_co_ci_u32_e64 v7, s0, s7, v7, s0
	global_load_b32 v4, v[6:7], off
.LBB293_7:
	s_or_b32 exec_lo, exec_lo, s9
	v_dual_mov_b32 v7, 0 :: v_dual_mov_b32 v8, 0
	s_mov_b32 s9, exec_lo
	v_cmpx_gt_i32_e64 s3, v5
	s_cbranch_execz .LBB293_9
; %bb.8:
	v_dual_mov_b32 v9, 0 :: v_dual_add_nc_u32 v8, s8, v5
	v_add_nc_u32_e32 v5, 0x100, v5
	s_delay_alu instid0(VALU_DEP_2) | instskip(NEXT) | instid1(VALU_DEP_1)
	v_lshlrev_b64 v[8:9], 2, v[8:9]
	v_add_co_u32 v8, s0, s6, v8
	s_delay_alu instid0(VALU_DEP_1)
	v_add_co_ci_u32_e64 v9, s0, s7, v9, s0
	global_load_b32 v8, v[8:9], off
.LBB293_9:
	s_or_b32 exec_lo, exec_lo, s9
	s_delay_alu instid0(SALU_CYCLE_1)
	s_mov_b32 s9, exec_lo
	v_cmpx_gt_i32_e64 s3, v5
	s_cbranch_execz .LBB293_11
; %bb.10:
	v_dual_mov_b32 v6, 0 :: v_dual_add_nc_u32 v5, s8, v5
	s_delay_alu instid0(VALU_DEP_1) | instskip(NEXT) | instid1(VALU_DEP_1)
	v_lshlrev_b64 v[5:6], 2, v[5:6]
	v_add_co_u32 v5, s0, s6, v5
	s_delay_alu instid0(VALU_DEP_1)
	v_add_co_ci_u32_e64 v6, s0, s7, v6, s0
	global_load_b32 v7, v[5:6], off
.LBB293_11:
	s_or_b32 exec_lo, exec_lo, s9
	s_waitcnt vmcnt(0)
	v_maxmin_i32 v9, v2, s1, s2
	v_maxmin_i32 v6, v4, s1, s2
	;; [unrolled: 1-line block ×4, first 2 shown]
	s_and_saveexec_b32 s0, vcc_lo
	s_cbranch_execnz .LBB293_17
; %bb.12:
	s_or_b32 exec_lo, exec_lo, s0
	s_delay_alu instid0(SALU_CYCLE_1)
	s_mov_b32 s0, exec_lo
	v_cmpx_gt_i32_e64 s3, v0
	s_cbranch_execnz .LBB293_18
.LBB293_13:
	s_or_b32 exec_lo, exec_lo, s0
	s_delay_alu instid0(SALU_CYCLE_1)
	s_mov_b32 s0, exec_lo
	v_cmpx_gt_i32_e64 s3, v0
	s_cbranch_execnz .LBB293_19
.LBB293_14:
	s_or_b32 exec_lo, exec_lo, s0
	s_delay_alu instid0(SALU_CYCLE_1)
	s_mov_b32 s0, exec_lo
	v_cmpx_gt_i32_e64 s3, v0
	s_cbranch_execz .LBB293_16
.LBB293_15:
	v_dual_mov_b32 v1, 0 :: v_dual_add_nc_u32 v0, s8, v0
	s_delay_alu instid0(VALU_DEP_1) | instskip(NEXT) | instid1(VALU_DEP_1)
	v_lshlrev_b64 v[0:1], 2, v[0:1]
	v_add_co_u32 v0, vcc_lo, s4, v0
	s_delay_alu instid0(VALU_DEP_2)
	v_add_co_ci_u32_e32 v1, vcc_lo, s5, v1, vcc_lo
	global_store_b32 v[0:1], v4, off
.LBB293_16:
	s_nop 0
	s_sendmsg sendmsg(MSG_DEALLOC_VGPRS)
	s_endpgm
.LBB293_17:
	v_mov_b32_e32 v2, 0
	s_delay_alu instid0(VALU_DEP_1) | instskip(NEXT) | instid1(VALU_DEP_1)
	v_lshlrev_b64 v[0:1], 2, v[1:2]
	v_add_co_u32 v7, vcc_lo, s4, v0
	s_delay_alu instid0(VALU_DEP_2) | instskip(SKIP_3) | instid1(SALU_CYCLE_1)
	v_add_co_ci_u32_e32 v8, vcc_lo, s5, v1, vcc_lo
	v_mov_b32_e32 v0, v3
	global_store_b32 v[7:8], v9, off
	s_or_b32 exec_lo, exec_lo, s0
	s_mov_b32 s0, exec_lo
	v_cmpx_gt_i32_e64 s3, v0
	s_cbranch_execz .LBB293_13
.LBB293_18:
	v_dual_mov_b32 v2, 0 :: v_dual_add_nc_u32 v1, s8, v0
	v_add_nc_u32_e32 v0, 0x100, v0
	s_delay_alu instid0(VALU_DEP_2) | instskip(NEXT) | instid1(VALU_DEP_1)
	v_lshlrev_b64 v[1:2], 2, v[1:2]
	v_add_co_u32 v1, vcc_lo, s4, v1
	s_delay_alu instid0(VALU_DEP_2) | instskip(SKIP_2) | instid1(SALU_CYCLE_1)
	v_add_co_ci_u32_e32 v2, vcc_lo, s5, v2, vcc_lo
	global_store_b32 v[1:2], v6, off
	s_or_b32 exec_lo, exec_lo, s0
	s_mov_b32 s0, exec_lo
	v_cmpx_gt_i32_e64 s3, v0
	s_cbranch_execz .LBB293_14
.LBB293_19:
	v_dual_mov_b32 v2, 0 :: v_dual_add_nc_u32 v1, s8, v0
	v_add_nc_u32_e32 v0, 0x100, v0
	s_delay_alu instid0(VALU_DEP_2) | instskip(NEXT) | instid1(VALU_DEP_1)
	v_lshlrev_b64 v[1:2], 2, v[1:2]
	v_add_co_u32 v1, vcc_lo, s4, v1
	s_delay_alu instid0(VALU_DEP_2) | instskip(SKIP_2) | instid1(SALU_CYCLE_1)
	v_add_co_ci_u32_e32 v2, vcc_lo, s5, v2, vcc_lo
	global_store_b32 v[1:2], v5, off
	s_or_b32 exec_lo, exec_lo, s0
	s_mov_b32 s0, exec_lo
	v_cmpx_gt_i32_e64 s3, v0
	s_cbranch_execnz .LBB293_15
	s_branch .LBB293_16
	.section	.rodata,"a",@progbits
	.p2align	6, 0x0
	.amdhsa_kernel _ZN2at6native29vectorized_elementwise_kernelILi2EZZZNS0_17clamp_kernel_cudaERNS_18TensorIteratorBaseERKN3c106ScalarES7_ENKUlvE_clEvENKUlvE1_clEvEUliE_St5arrayIPcLm2EEEEviT0_T1_
		.amdhsa_group_segment_fixed_size 0
		.amdhsa_private_segment_fixed_size 0
		.amdhsa_kernarg_size 32
		.amdhsa_user_sgpr_count 15
		.amdhsa_user_sgpr_dispatch_ptr 0
		.amdhsa_user_sgpr_queue_ptr 0
		.amdhsa_user_sgpr_kernarg_segment_ptr 1
		.amdhsa_user_sgpr_dispatch_id 0
		.amdhsa_user_sgpr_private_segment_size 0
		.amdhsa_wavefront_size32 1
		.amdhsa_uses_dynamic_stack 0
		.amdhsa_enable_private_segment 0
		.amdhsa_system_sgpr_workgroup_id_x 1
		.amdhsa_system_sgpr_workgroup_id_y 0
		.amdhsa_system_sgpr_workgroup_id_z 0
		.amdhsa_system_sgpr_workgroup_info 0
		.amdhsa_system_vgpr_workitem_id 0
		.amdhsa_next_free_vgpr 10
		.amdhsa_next_free_sgpr 16
		.amdhsa_reserve_vcc 1
		.amdhsa_float_round_mode_32 0
		.amdhsa_float_round_mode_16_64 0
		.amdhsa_float_denorm_mode_32 3
		.amdhsa_float_denorm_mode_16_64 3
		.amdhsa_dx10_clamp 1
		.amdhsa_ieee_mode 1
		.amdhsa_fp16_overflow 0
		.amdhsa_workgroup_processor_mode 1
		.amdhsa_memory_ordered 1
		.amdhsa_forward_progress 0
		.amdhsa_shared_vgpr_count 0
		.amdhsa_exception_fp_ieee_invalid_op 0
		.amdhsa_exception_fp_denorm_src 0
		.amdhsa_exception_fp_ieee_div_zero 0
		.amdhsa_exception_fp_ieee_overflow 0
		.amdhsa_exception_fp_ieee_underflow 0
		.amdhsa_exception_fp_ieee_inexact 0
		.amdhsa_exception_int_div_zero 0
	.end_amdhsa_kernel
	.section	.text._ZN2at6native29vectorized_elementwise_kernelILi2EZZZNS0_17clamp_kernel_cudaERNS_18TensorIteratorBaseERKN3c106ScalarES7_ENKUlvE_clEvENKUlvE1_clEvEUliE_St5arrayIPcLm2EEEEviT0_T1_,"axG",@progbits,_ZN2at6native29vectorized_elementwise_kernelILi2EZZZNS0_17clamp_kernel_cudaERNS_18TensorIteratorBaseERKN3c106ScalarES7_ENKUlvE_clEvENKUlvE1_clEvEUliE_St5arrayIPcLm2EEEEviT0_T1_,comdat
.Lfunc_end293:
	.size	_ZN2at6native29vectorized_elementwise_kernelILi2EZZZNS0_17clamp_kernel_cudaERNS_18TensorIteratorBaseERKN3c106ScalarES7_ENKUlvE_clEvENKUlvE1_clEvEUliE_St5arrayIPcLm2EEEEviT0_T1_, .Lfunc_end293-_ZN2at6native29vectorized_elementwise_kernelILi2EZZZNS0_17clamp_kernel_cudaERNS_18TensorIteratorBaseERKN3c106ScalarES7_ENKUlvE_clEvENKUlvE1_clEvEUliE_St5arrayIPcLm2EEEEviT0_T1_
                                        ; -- End function
	.section	.AMDGPU.csdata,"",@progbits
; Kernel info:
; codeLenInByte = 864
; NumSgprs: 18
; NumVgprs: 10
; ScratchSize: 0
; MemoryBound: 0
; FloatMode: 240
; IeeeMode: 1
; LDSByteSize: 0 bytes/workgroup (compile time only)
; SGPRBlocks: 2
; VGPRBlocks: 1
; NumSGPRsForWavesPerEU: 18
; NumVGPRsForWavesPerEU: 10
; Occupancy: 16
; WaveLimiterHint : 1
; COMPUTE_PGM_RSRC2:SCRATCH_EN: 0
; COMPUTE_PGM_RSRC2:USER_SGPR: 15
; COMPUTE_PGM_RSRC2:TRAP_HANDLER: 0
; COMPUTE_PGM_RSRC2:TGID_X_EN: 1
; COMPUTE_PGM_RSRC2:TGID_Y_EN: 0
; COMPUTE_PGM_RSRC2:TGID_Z_EN: 0
; COMPUTE_PGM_RSRC2:TIDIG_COMP_CNT: 0
	.section	.text._ZN2at6native27unrolled_elementwise_kernelIZZZNS0_17clamp_kernel_cudaERNS_18TensorIteratorBaseERKN3c106ScalarES7_ENKUlvE_clEvENKUlvE1_clEvEUliE_St5arrayIPcLm2EELi4E23TrivialOffsetCalculatorILi1EjESF_NS0_6memory15LoadWithoutCastENSG_16StoreWithoutCastEEEviT_T0_T2_T3_T4_T5_,"axG",@progbits,_ZN2at6native27unrolled_elementwise_kernelIZZZNS0_17clamp_kernel_cudaERNS_18TensorIteratorBaseERKN3c106ScalarES7_ENKUlvE_clEvENKUlvE1_clEvEUliE_St5arrayIPcLm2EELi4E23TrivialOffsetCalculatorILi1EjESF_NS0_6memory15LoadWithoutCastENSG_16StoreWithoutCastEEEviT_T0_T2_T3_T4_T5_,comdat
	.globl	_ZN2at6native27unrolled_elementwise_kernelIZZZNS0_17clamp_kernel_cudaERNS_18TensorIteratorBaseERKN3c106ScalarES7_ENKUlvE_clEvENKUlvE1_clEvEUliE_St5arrayIPcLm2EELi4E23TrivialOffsetCalculatorILi1EjESF_NS0_6memory15LoadWithoutCastENSG_16StoreWithoutCastEEEviT_T0_T2_T3_T4_T5_ ; -- Begin function _ZN2at6native27unrolled_elementwise_kernelIZZZNS0_17clamp_kernel_cudaERNS_18TensorIteratorBaseERKN3c106ScalarES7_ENKUlvE_clEvENKUlvE1_clEvEUliE_St5arrayIPcLm2EELi4E23TrivialOffsetCalculatorILi1EjESF_NS0_6memory15LoadWithoutCastENSG_16StoreWithoutCastEEEviT_T0_T2_T3_T4_T5_
	.p2align	8
	.type	_ZN2at6native27unrolled_elementwise_kernelIZZZNS0_17clamp_kernel_cudaERNS_18TensorIteratorBaseERKN3c106ScalarES7_ENKUlvE_clEvENKUlvE1_clEvEUliE_St5arrayIPcLm2EELi4E23TrivialOffsetCalculatorILi1EjESF_NS0_6memory15LoadWithoutCastENSG_16StoreWithoutCastEEEviT_T0_T2_T3_T4_T5_,@function
_ZN2at6native27unrolled_elementwise_kernelIZZZNS0_17clamp_kernel_cudaERNS_18TensorIteratorBaseERKN3c106ScalarES7_ENKUlvE_clEvENKUlvE1_clEvEUliE_St5arrayIPcLm2EELi4E23TrivialOffsetCalculatorILi1EjESF_NS0_6memory15LoadWithoutCastENSG_16StoreWithoutCastEEEviT_T0_T2_T3_T4_T5_: ; @_ZN2at6native27unrolled_elementwise_kernelIZZZNS0_17clamp_kernel_cudaERNS_18TensorIteratorBaseERKN3c106ScalarES7_ENKUlvE_clEvENKUlvE1_clEvEUliE_St5arrayIPcLm2EELi4E23TrivialOffsetCalculatorILi1EjESF_NS0_6memory15LoadWithoutCastENSG_16StoreWithoutCastEEEviT_T0_T2_T3_T4_T5_
; %bb.0:
	s_load_b256 s[0:7], s[0:1], 0x0
	s_waitcnt lgkmcnt(0)
	s_lshl_b32 s3, s15, 10
	v_dual_mov_b32 v4, 0 :: v_dual_mov_b32 v5, v0
	v_mov_b32_e32 v2, 0
	v_or_b32_e32 v1, s3, v0
	v_or_b32_e32 v3, 0x100, v0
	s_sub_i32 s8, s0, s3
	s_delay_alu instid0(SALU_CYCLE_1)
	v_cmp_gt_i32_e32 vcc_lo, s8, v0
	s_and_saveexec_b32 s9, vcc_lo
	s_cbranch_execz .LBB294_2
; %bb.1:
	v_mov_b32_e32 v2, 0
	s_delay_alu instid0(VALU_DEP_1) | instskip(NEXT) | instid1(VALU_DEP_1)
	v_lshlrev_b64 v[5:6], 2, v[1:2]
	v_add_co_u32 v5, s0, s6, v5
	s_delay_alu instid0(VALU_DEP_1)
	v_add_co_ci_u32_e64 v6, s0, s7, v6, s0
	global_load_b32 v2, v[5:6], off
	v_or_b32_e32 v5, 0x100, v0
.LBB294_2:
	s_or_b32 exec_lo, exec_lo, s9
	s_delay_alu instid0(SALU_CYCLE_1) | instskip(NEXT) | instid1(VALU_DEP_1)
	s_mov_b32 s9, exec_lo
	v_cmpx_gt_i32_e64 s8, v5
	s_cbranch_execz .LBB294_4
; %bb.3:
	v_dual_mov_b32 v7, 0 :: v_dual_add_nc_u32 v6, s3, v5
	v_add_nc_u32_e32 v5, 0x100, v5
	s_delay_alu instid0(VALU_DEP_2) | instskip(NEXT) | instid1(VALU_DEP_1)
	v_lshlrev_b64 v[6:7], 2, v[6:7]
	v_add_co_u32 v6, s0, s6, v6
	s_delay_alu instid0(VALU_DEP_1)
	v_add_co_ci_u32_e64 v7, s0, s7, v7, s0
	global_load_b32 v4, v[6:7], off
.LBB294_4:
	s_or_b32 exec_lo, exec_lo, s9
	v_dual_mov_b32 v7, 0 :: v_dual_mov_b32 v8, 0
	s_mov_b32 s9, exec_lo
	v_cmpx_gt_i32_e64 s8, v5
	s_cbranch_execz .LBB294_6
; %bb.5:
	v_dual_mov_b32 v9, 0 :: v_dual_add_nc_u32 v8, s3, v5
	v_add_nc_u32_e32 v5, 0x100, v5
	s_delay_alu instid0(VALU_DEP_2) | instskip(NEXT) | instid1(VALU_DEP_1)
	v_lshlrev_b64 v[8:9], 2, v[8:9]
	v_add_co_u32 v8, s0, s6, v8
	s_delay_alu instid0(VALU_DEP_1)
	v_add_co_ci_u32_e64 v9, s0, s7, v9, s0
	global_load_b32 v8, v[8:9], off
.LBB294_6:
	s_or_b32 exec_lo, exec_lo, s9
	s_delay_alu instid0(SALU_CYCLE_1)
	s_mov_b32 s9, exec_lo
	v_cmpx_gt_i32_e64 s8, v5
	s_cbranch_execz .LBB294_8
; %bb.7:
	v_dual_mov_b32 v6, 0 :: v_dual_add_nc_u32 v5, s3, v5
	s_delay_alu instid0(VALU_DEP_1) | instskip(NEXT) | instid1(VALU_DEP_1)
	v_lshlrev_b64 v[5:6], 2, v[5:6]
	v_add_co_u32 v5, s0, s6, v5
	s_delay_alu instid0(VALU_DEP_1)
	v_add_co_ci_u32_e64 v6, s0, s7, v6, s0
	global_load_b32 v7, v[5:6], off
.LBB294_8:
	s_or_b32 exec_lo, exec_lo, s9
	s_waitcnt vmcnt(0)
	v_maxmin_i32 v9, v2, s1, s2
	v_maxmin_i32 v6, v4, s1, s2
	v_maxmin_i32 v5, v8, s1, s2
	v_maxmin_i32 v4, v7, s1, s2
	s_and_saveexec_b32 s0, vcc_lo
	s_cbranch_execnz .LBB294_13
; %bb.9:
	s_or_b32 exec_lo, exec_lo, s0
	s_delay_alu instid0(SALU_CYCLE_1)
	s_mov_b32 s0, exec_lo
	v_cmpx_gt_i32_e64 s8, v0
	s_cbranch_execnz .LBB294_14
.LBB294_10:
	s_or_b32 exec_lo, exec_lo, s0
	s_delay_alu instid0(SALU_CYCLE_1)
	s_mov_b32 s0, exec_lo
	v_cmpx_gt_i32_e64 s8, v0
	s_cbranch_execnz .LBB294_15
.LBB294_11:
	s_or_b32 exec_lo, exec_lo, s0
	s_delay_alu instid0(SALU_CYCLE_1)
	s_mov_b32 s0, exec_lo
	v_cmpx_gt_i32_e64 s8, v0
	s_cbranch_execnz .LBB294_16
.LBB294_12:
	s_nop 0
	s_sendmsg sendmsg(MSG_DEALLOC_VGPRS)
	s_endpgm
.LBB294_13:
	v_mov_b32_e32 v2, 0
	s_delay_alu instid0(VALU_DEP_1) | instskip(NEXT) | instid1(VALU_DEP_1)
	v_lshlrev_b64 v[0:1], 2, v[1:2]
	v_add_co_u32 v7, vcc_lo, s4, v0
	s_delay_alu instid0(VALU_DEP_2) | instskip(SKIP_3) | instid1(SALU_CYCLE_1)
	v_add_co_ci_u32_e32 v8, vcc_lo, s5, v1, vcc_lo
	v_mov_b32_e32 v0, v3
	global_store_b32 v[7:8], v9, off
	s_or_b32 exec_lo, exec_lo, s0
	s_mov_b32 s0, exec_lo
	v_cmpx_gt_i32_e64 s8, v0
	s_cbranch_execz .LBB294_10
.LBB294_14:
	v_dual_mov_b32 v2, 0 :: v_dual_add_nc_u32 v1, s3, v0
	v_add_nc_u32_e32 v0, 0x100, v0
	s_delay_alu instid0(VALU_DEP_2) | instskip(NEXT) | instid1(VALU_DEP_1)
	v_lshlrev_b64 v[1:2], 2, v[1:2]
	v_add_co_u32 v1, vcc_lo, s4, v1
	s_delay_alu instid0(VALU_DEP_2) | instskip(SKIP_2) | instid1(SALU_CYCLE_1)
	v_add_co_ci_u32_e32 v2, vcc_lo, s5, v2, vcc_lo
	global_store_b32 v[1:2], v6, off
	s_or_b32 exec_lo, exec_lo, s0
	s_mov_b32 s0, exec_lo
	v_cmpx_gt_i32_e64 s8, v0
	s_cbranch_execz .LBB294_11
.LBB294_15:
	v_dual_mov_b32 v2, 0 :: v_dual_add_nc_u32 v1, s3, v0
	v_add_nc_u32_e32 v0, 0x100, v0
	s_delay_alu instid0(VALU_DEP_2) | instskip(NEXT) | instid1(VALU_DEP_1)
	v_lshlrev_b64 v[1:2], 2, v[1:2]
	v_add_co_u32 v1, vcc_lo, s4, v1
	s_delay_alu instid0(VALU_DEP_2) | instskip(SKIP_2) | instid1(SALU_CYCLE_1)
	v_add_co_ci_u32_e32 v2, vcc_lo, s5, v2, vcc_lo
	global_store_b32 v[1:2], v5, off
	s_or_b32 exec_lo, exec_lo, s0
	s_mov_b32 s0, exec_lo
	v_cmpx_gt_i32_e64 s8, v0
	s_cbranch_execz .LBB294_12
.LBB294_16:
	v_dual_mov_b32 v1, 0 :: v_dual_add_nc_u32 v0, s3, v0
	s_delay_alu instid0(VALU_DEP_1) | instskip(NEXT) | instid1(VALU_DEP_1)
	v_lshlrev_b64 v[0:1], 2, v[0:1]
	v_add_co_u32 v0, vcc_lo, s4, v0
	s_delay_alu instid0(VALU_DEP_2)
	v_add_co_ci_u32_e32 v1, vcc_lo, s5, v1, vcc_lo
	global_store_b32 v[0:1], v4, off
	s_nop 0
	s_sendmsg sendmsg(MSG_DEALLOC_VGPRS)
	s_endpgm
	.section	.rodata,"a",@progbits
	.p2align	6, 0x0
	.amdhsa_kernel _ZN2at6native27unrolled_elementwise_kernelIZZZNS0_17clamp_kernel_cudaERNS_18TensorIteratorBaseERKN3c106ScalarES7_ENKUlvE_clEvENKUlvE1_clEvEUliE_St5arrayIPcLm2EELi4E23TrivialOffsetCalculatorILi1EjESF_NS0_6memory15LoadWithoutCastENSG_16StoreWithoutCastEEEviT_T0_T2_T3_T4_T5_
		.amdhsa_group_segment_fixed_size 0
		.amdhsa_private_segment_fixed_size 0
		.amdhsa_kernarg_size 36
		.amdhsa_user_sgpr_count 15
		.amdhsa_user_sgpr_dispatch_ptr 0
		.amdhsa_user_sgpr_queue_ptr 0
		.amdhsa_user_sgpr_kernarg_segment_ptr 1
		.amdhsa_user_sgpr_dispatch_id 0
		.amdhsa_user_sgpr_private_segment_size 0
		.amdhsa_wavefront_size32 1
		.amdhsa_uses_dynamic_stack 0
		.amdhsa_enable_private_segment 0
		.amdhsa_system_sgpr_workgroup_id_x 1
		.amdhsa_system_sgpr_workgroup_id_y 0
		.amdhsa_system_sgpr_workgroup_id_z 0
		.amdhsa_system_sgpr_workgroup_info 0
		.amdhsa_system_vgpr_workitem_id 0
		.amdhsa_next_free_vgpr 10
		.amdhsa_next_free_sgpr 16
		.amdhsa_reserve_vcc 1
		.amdhsa_float_round_mode_32 0
		.amdhsa_float_round_mode_16_64 0
		.amdhsa_float_denorm_mode_32 3
		.amdhsa_float_denorm_mode_16_64 3
		.amdhsa_dx10_clamp 1
		.amdhsa_ieee_mode 1
		.amdhsa_fp16_overflow 0
		.amdhsa_workgroup_processor_mode 1
		.amdhsa_memory_ordered 1
		.amdhsa_forward_progress 0
		.amdhsa_shared_vgpr_count 0
		.amdhsa_exception_fp_ieee_invalid_op 0
		.amdhsa_exception_fp_denorm_src 0
		.amdhsa_exception_fp_ieee_div_zero 0
		.amdhsa_exception_fp_ieee_overflow 0
		.amdhsa_exception_fp_ieee_underflow 0
		.amdhsa_exception_fp_ieee_inexact 0
		.amdhsa_exception_int_div_zero 0
	.end_amdhsa_kernel
	.section	.text._ZN2at6native27unrolled_elementwise_kernelIZZZNS0_17clamp_kernel_cudaERNS_18TensorIteratorBaseERKN3c106ScalarES7_ENKUlvE_clEvENKUlvE1_clEvEUliE_St5arrayIPcLm2EELi4E23TrivialOffsetCalculatorILi1EjESF_NS0_6memory15LoadWithoutCastENSG_16StoreWithoutCastEEEviT_T0_T2_T3_T4_T5_,"axG",@progbits,_ZN2at6native27unrolled_elementwise_kernelIZZZNS0_17clamp_kernel_cudaERNS_18TensorIteratorBaseERKN3c106ScalarES7_ENKUlvE_clEvENKUlvE1_clEvEUliE_St5arrayIPcLm2EELi4E23TrivialOffsetCalculatorILi1EjESF_NS0_6memory15LoadWithoutCastENSG_16StoreWithoutCastEEEviT_T0_T2_T3_T4_T5_,comdat
.Lfunc_end294:
	.size	_ZN2at6native27unrolled_elementwise_kernelIZZZNS0_17clamp_kernel_cudaERNS_18TensorIteratorBaseERKN3c106ScalarES7_ENKUlvE_clEvENKUlvE1_clEvEUliE_St5arrayIPcLm2EELi4E23TrivialOffsetCalculatorILi1EjESF_NS0_6memory15LoadWithoutCastENSG_16StoreWithoutCastEEEviT_T0_T2_T3_T4_T5_, .Lfunc_end294-_ZN2at6native27unrolled_elementwise_kernelIZZZNS0_17clamp_kernel_cudaERNS_18TensorIteratorBaseERKN3c106ScalarES7_ENKUlvE_clEvENKUlvE1_clEvEUliE_St5arrayIPcLm2EELi4E23TrivialOffsetCalculatorILi1EjESF_NS0_6memory15LoadWithoutCastENSG_16StoreWithoutCastEEEviT_T0_T2_T3_T4_T5_
                                        ; -- End function
	.section	.AMDGPU.csdata,"",@progbits
; Kernel info:
; codeLenInByte = 744
; NumSgprs: 18
; NumVgprs: 10
; ScratchSize: 0
; MemoryBound: 0
; FloatMode: 240
; IeeeMode: 1
; LDSByteSize: 0 bytes/workgroup (compile time only)
; SGPRBlocks: 2
; VGPRBlocks: 1
; NumSGPRsForWavesPerEU: 18
; NumVGPRsForWavesPerEU: 10
; Occupancy: 16
; WaveLimiterHint : 0
; COMPUTE_PGM_RSRC2:SCRATCH_EN: 0
; COMPUTE_PGM_RSRC2:USER_SGPR: 15
; COMPUTE_PGM_RSRC2:TRAP_HANDLER: 0
; COMPUTE_PGM_RSRC2:TGID_X_EN: 1
; COMPUTE_PGM_RSRC2:TGID_Y_EN: 0
; COMPUTE_PGM_RSRC2:TGID_Z_EN: 0
; COMPUTE_PGM_RSRC2:TIDIG_COMP_CNT: 0
	.section	.text._ZN2at6native32elementwise_kernel_manual_unrollILi128ELi4EZNS0_22gpu_kernel_impl_nocastIZZZNS0_17clamp_kernel_cudaERNS_18TensorIteratorBaseERKN3c106ScalarES8_ENKUlvE_clEvENKUlvE1_clEvEUliE_EEvS4_RKT_EUlibE_EEviT1_,"axG",@progbits,_ZN2at6native32elementwise_kernel_manual_unrollILi128ELi4EZNS0_22gpu_kernel_impl_nocastIZZZNS0_17clamp_kernel_cudaERNS_18TensorIteratorBaseERKN3c106ScalarES8_ENKUlvE_clEvENKUlvE1_clEvEUliE_EEvS4_RKT_EUlibE_EEviT1_,comdat
	.globl	_ZN2at6native32elementwise_kernel_manual_unrollILi128ELi4EZNS0_22gpu_kernel_impl_nocastIZZZNS0_17clamp_kernel_cudaERNS_18TensorIteratorBaseERKN3c106ScalarES8_ENKUlvE_clEvENKUlvE1_clEvEUliE_EEvS4_RKT_EUlibE_EEviT1_ ; -- Begin function _ZN2at6native32elementwise_kernel_manual_unrollILi128ELi4EZNS0_22gpu_kernel_impl_nocastIZZZNS0_17clamp_kernel_cudaERNS_18TensorIteratorBaseERKN3c106ScalarES8_ENKUlvE_clEvENKUlvE1_clEvEUliE_EEvS4_RKT_EUlibE_EEviT1_
	.p2align	8
	.type	_ZN2at6native32elementwise_kernel_manual_unrollILi128ELi4EZNS0_22gpu_kernel_impl_nocastIZZZNS0_17clamp_kernel_cudaERNS_18TensorIteratorBaseERKN3c106ScalarES8_ENKUlvE_clEvENKUlvE1_clEvEUliE_EEvS4_RKT_EUlibE_EEviT1_,@function
_ZN2at6native32elementwise_kernel_manual_unrollILi128ELi4EZNS0_22gpu_kernel_impl_nocastIZZZNS0_17clamp_kernel_cudaERNS_18TensorIteratorBaseERKN3c106ScalarES8_ENKUlvE_clEvENKUlvE1_clEvEUliE_EEvS4_RKT_EUlibE_EEviT1_: ; @_ZN2at6native32elementwise_kernel_manual_unrollILi128ELi4EZNS0_22gpu_kernel_impl_nocastIZZZNS0_17clamp_kernel_cudaERNS_18TensorIteratorBaseERKN3c106ScalarES8_ENKUlvE_clEvENKUlvE1_clEvEUliE_EEvS4_RKT_EUlibE_EEviT1_
; %bb.0:
	s_clause 0x1
	s_load_b32 s24, s[0:1], 0x8
	s_load_b32 s29, s[0:1], 0x0
	v_lshl_or_b32 v4, s15, 9, v0
	s_or_b32 s0, s0, 8
	s_mov_b32 s2, exec_lo
	s_delay_alu instid0(VALU_DEP_1) | instskip(SKIP_2) | instid1(SALU_CYCLE_1)
	v_or_b32_e32 v8, 0x180, v4
	s_waitcnt lgkmcnt(0)
	s_add_i32 s25, s24, -1
	s_cmp_gt_u32 s25, 1
	s_cselect_b32 s26, -1, 0
	v_cmpx_le_i32_e64 s29, v8
	s_xor_b32 s27, exec_lo, s2
	s_cbranch_execz .LBB295_7
; %bb.1:
	s_clause 0x4
	s_load_b128 s[12:15], s[0:1], 0x4
	s_load_b64 s[16:17], s[0:1], 0x14
	s_load_b128 s[8:11], s[0:1], 0xc4
	s_load_b128 s[4:7], s[0:1], 0x148
	s_load_b64 s[2:3], s[0:1], 0x158
	s_cmp_lg_u32 s24, 0
	s_mov_b32 s33, exec_lo
	s_cselect_b32 s31, -1, 0
	s_add_u32 s18, s0, 0xc4
	s_addc_u32 s19, s1, 0
	s_min_u32 s30, s25, 15
	s_cmp_gt_u32 s24, 1
	s_cselect_b32 s28, -1, 0
	v_cmpx_gt_i32_e64 s29, v4
	s_cbranch_execz .LBB295_14
; %bb.2:
	s_and_not1_b32 vcc_lo, exec_lo, s26
	s_cbranch_vccnz .LBB295_21
; %bb.3:
	v_dual_mov_b32 v0, 0 :: v_dual_mov_b32 v1, 0
	s_and_not1_b32 vcc_lo, exec_lo, s31
	s_mov_b32 s34, 0
	s_cbranch_vccnz .LBB295_73
; %bb.4:
	v_mov_b32_e32 v0, 0
	s_add_i32 s36, s30, 1
	s_cmp_eq_u32 s25, 2
	s_mov_b32 s35, 0
	s_cbranch_scc1 .LBB295_69
; %bb.5:
	v_dual_mov_b32 v1, 0 :: v_dual_mov_b32 v0, 0
	v_mov_b32_e32 v2, v4
	s_and_b32 s35, s36, 28
	s_mov_b32 s37, 0
	s_mov_b64 s[20:21], s[18:19]
	s_mov_b64 s[22:23], s[0:1]
.LBB295_6:                              ; =>This Inner Loop Header: Depth=1
	s_clause 0x1
	s_load_b256 s[40:47], s[22:23], 0x4
	s_load_b128 s[56:59], s[22:23], 0x24
	s_load_b256 s[48:55], s[20:21], 0x0
	s_add_u32 s22, s22, 48
	s_addc_u32 s23, s23, 0
	s_add_i32 s37, s37, 4
	s_add_u32 s20, s20, 32
	s_addc_u32 s21, s21, 0
	s_cmp_lg_u32 s35, s37
	s_waitcnt lgkmcnt(0)
	v_mul_hi_u32 v3, s41, v2
	s_delay_alu instid0(VALU_DEP_1) | instskip(NEXT) | instid1(VALU_DEP_1)
	v_add_nc_u32_e32 v3, v2, v3
	v_lshrrev_b32_e32 v3, s42, v3
	s_delay_alu instid0(VALU_DEP_1) | instskip(SKIP_1) | instid1(VALU_DEP_2)
	v_mul_hi_u32 v5, s44, v3
	v_mul_lo_u32 v7, v3, s40
	v_add_nc_u32_e32 v5, v3, v5
	s_delay_alu instid0(VALU_DEP_2) | instskip(NEXT) | instid1(VALU_DEP_2)
	v_sub_nc_u32_e32 v2, v2, v7
	v_lshrrev_b32_e32 v5, s45, v5
	s_delay_alu instid0(VALU_DEP_2) | instskip(SKIP_1) | instid1(VALU_DEP_3)
	v_mul_lo_u32 v7, v2, s48
	v_mul_lo_u32 v9, v2, s49
	v_mul_hi_u32 v6, s47, v5
	s_delay_alu instid0(VALU_DEP_1) | instskip(NEXT) | instid1(VALU_DEP_1)
	v_add_nc_u32_e32 v6, v5, v6
	v_lshrrev_b32_e32 v6, s56, v6
	s_delay_alu instid0(VALU_DEP_1) | instskip(SKIP_1) | instid1(VALU_DEP_2)
	v_mul_hi_u32 v8, s58, v6
	v_mul_lo_u32 v10, v6, s46
	v_add_nc_u32_e32 v2, v6, v8
	v_mul_lo_u32 v8, v5, s43
	s_delay_alu instid0(VALU_DEP_3) | instskip(NEXT) | instid1(VALU_DEP_3)
	v_sub_nc_u32_e32 v5, v5, v10
	v_lshrrev_b32_e32 v2, s59, v2
	s_delay_alu instid0(VALU_DEP_2) | instskip(SKIP_2) | instid1(VALU_DEP_4)
	v_mul_lo_u32 v10, v5, s52
	v_mul_lo_u32 v5, v5, s53
	v_sub_nc_u32_e32 v3, v3, v8
	v_mul_lo_u32 v11, v2, s57
	s_delay_alu instid0(VALU_DEP_2) | instskip(SKIP_1) | instid1(VALU_DEP_3)
	v_mul_lo_u32 v8, v3, s50
	v_mul_lo_u32 v3, v3, s51
	v_sub_nc_u32_e32 v6, v6, v11
	s_delay_alu instid0(VALU_DEP_3) | instskip(NEXT) | instid1(VALU_DEP_2)
	v_add3_u32 v0, v7, v0, v8
	v_mul_lo_u32 v11, v6, s54
	v_mul_lo_u32 v6, v6, s55
	v_add3_u32 v1, v9, v1, v3
	s_delay_alu instid0(VALU_DEP_3) | instskip(NEXT) | instid1(VALU_DEP_2)
	v_add3_u32 v0, v10, v0, v11
	v_add3_u32 v1, v5, v1, v6
	s_cbranch_scc1 .LBB295_6
	s_branch .LBB295_70
.LBB295_7:
	s_and_not1_saveexec_b32 s2, s27
	s_cbranch_execz .LBB295_94
.LBB295_8:
	v_cndmask_b32_e64 v6, 0, 1, s26
	s_and_not1_b32 vcc_lo, exec_lo, s26
	s_cbranch_vccnz .LBB295_20
; %bb.9:
	v_dual_mov_b32 v0, 0 :: v_dual_mov_b32 v1, 0
	s_cmp_lg_u32 s24, 0
	s_mov_b32 s6, 0
	s_cbranch_scc0 .LBB295_26
; %bb.10:
	s_min_u32 s7, s25, 15
	v_mov_b32_e32 v0, 0
	s_add_i32 s7, s7, 1
	s_cmp_eq_u32 s25, 2
	s_mov_b32 s8, 0
	s_cbranch_scc1 .LBB295_23
; %bb.11:
	v_dual_mov_b32 v1, 0 :: v_dual_mov_b32 v0, 0
	v_mov_b32_e32 v2, v4
	s_add_u32 s2, s0, 0xc4
	s_addc_u32 s3, s1, 0
	s_and_b32 s8, s7, 28
	s_mov_b32 s9, 0
	s_mov_b64 s[4:5], s[0:1]
.LBB295_12:                             ; =>This Inner Loop Header: Depth=1
	s_clause 0x1
	s_load_b256 s[12:19], s[4:5], 0x4
	s_load_b128 s[20:23], s[4:5], 0x24
	s_load_b256 s[36:43], s[2:3], 0x0
	s_add_u32 s4, s4, 48
	s_addc_u32 s5, s5, 0
	s_add_i32 s9, s9, 4
	s_add_u32 s2, s2, 32
	s_addc_u32 s3, s3, 0
	s_cmp_lg_u32 s8, s9
	s_waitcnt lgkmcnt(0)
	v_mul_hi_u32 v3, s13, v2
	s_delay_alu instid0(VALU_DEP_1) | instskip(NEXT) | instid1(VALU_DEP_1)
	v_add_nc_u32_e32 v3, v2, v3
	v_lshrrev_b32_e32 v3, s14, v3
	s_delay_alu instid0(VALU_DEP_1) | instskip(SKIP_1) | instid1(VALU_DEP_2)
	v_mul_hi_u32 v5, s16, v3
	v_mul_lo_u32 v9, v3, s12
	v_add_nc_u32_e32 v5, v3, v5
	s_delay_alu instid0(VALU_DEP_2) | instskip(NEXT) | instid1(VALU_DEP_2)
	v_sub_nc_u32_e32 v2, v2, v9
	v_lshrrev_b32_e32 v5, s17, v5
	s_delay_alu instid0(VALU_DEP_2) | instskip(SKIP_1) | instid1(VALU_DEP_3)
	v_mul_lo_u32 v9, v2, s36
	v_mul_lo_u32 v11, v2, s37
	v_mul_hi_u32 v7, s19, v5
	s_delay_alu instid0(VALU_DEP_1) | instskip(NEXT) | instid1(VALU_DEP_1)
	v_add_nc_u32_e32 v7, v5, v7
	v_lshrrev_b32_e32 v7, s20, v7
	s_delay_alu instid0(VALU_DEP_1) | instskip(SKIP_1) | instid1(VALU_DEP_2)
	v_mul_hi_u32 v10, s22, v7
	v_mul_lo_u32 v12, v7, s18
	v_add_nc_u32_e32 v2, v7, v10
	v_mul_lo_u32 v10, v5, s15
	s_delay_alu instid0(VALU_DEP_3) | instskip(NEXT) | instid1(VALU_DEP_3)
	v_sub_nc_u32_e32 v5, v5, v12
	v_lshrrev_b32_e32 v2, s23, v2
	s_delay_alu instid0(VALU_DEP_2) | instskip(SKIP_2) | instid1(VALU_DEP_4)
	v_mul_lo_u32 v12, v5, s40
	v_mul_lo_u32 v5, v5, s41
	v_sub_nc_u32_e32 v3, v3, v10
	v_mul_lo_u32 v13, v2, s21
	s_delay_alu instid0(VALU_DEP_2) | instskip(SKIP_1) | instid1(VALU_DEP_3)
	v_mul_lo_u32 v10, v3, s38
	v_mul_lo_u32 v3, v3, s39
	v_sub_nc_u32_e32 v7, v7, v13
	s_delay_alu instid0(VALU_DEP_3) | instskip(NEXT) | instid1(VALU_DEP_2)
	v_add3_u32 v0, v9, v0, v10
	v_mul_lo_u32 v13, v7, s42
	v_mul_lo_u32 v7, v7, s43
	v_add3_u32 v1, v11, v1, v3
	s_delay_alu instid0(VALU_DEP_3) | instskip(NEXT) | instid1(VALU_DEP_2)
	v_add3_u32 v0, v12, v0, v13
	v_add3_u32 v1, v5, v1, v7
	s_cbranch_scc1 .LBB295_12
; %bb.13:
	s_and_b32 s7, s7, 3
	s_delay_alu instid0(SALU_CYCLE_1)
	s_cmp_eq_u32 s7, 0
	s_cbranch_scc0 .LBB295_24
	s_branch .LBB295_26
.LBB295_14:
	s_or_b32 exec_lo, exec_lo, s33
	s_delay_alu instid0(SALU_CYCLE_1)
	s_mov_b32 s33, exec_lo
	v_cmpx_gt_i32_e64 s29, v4
	s_cbranch_execz .LBB295_77
.LBB295_15:
	s_and_not1_b32 vcc_lo, exec_lo, s26
	s_cbranch_vccnz .LBB295_22
; %bb.16:
	v_dual_mov_b32 v0, 0 :: v_dual_mov_b32 v1, 0
	s_and_not1_b32 vcc_lo, exec_lo, s31
	s_mov_b32 s34, 0
	s_cbranch_vccnz .LBB295_88
; %bb.17:
	v_mov_b32_e32 v0, 0
	s_add_i32 s36, s30, 1
	s_cmp_eq_u32 s25, 2
	s_mov_b32 s35, 0
	s_cbranch_scc1 .LBB295_84
; %bb.18:
	v_dual_mov_b32 v1, 0 :: v_dual_mov_b32 v0, 0
	v_mov_b32_e32 v2, v4
	s_and_b32 s35, s36, 28
	s_mov_b32 s37, 0
	s_mov_b64 s[20:21], s[18:19]
	s_mov_b64 s[22:23], s[0:1]
.LBB295_19:                             ; =>This Inner Loop Header: Depth=1
	s_clause 0x1
	s_load_b256 s[40:47], s[22:23], 0x4
	s_load_b128 s[56:59], s[22:23], 0x24
	s_load_b256 s[48:55], s[20:21], 0x0
	s_add_u32 s22, s22, 48
	s_addc_u32 s23, s23, 0
	s_add_i32 s37, s37, 4
	s_add_u32 s20, s20, 32
	s_addc_u32 s21, s21, 0
	s_cmp_eq_u32 s35, s37
	s_waitcnt lgkmcnt(0)
	v_mul_hi_u32 v3, s41, v2
	s_delay_alu instid0(VALU_DEP_1) | instskip(NEXT) | instid1(VALU_DEP_1)
	v_add_nc_u32_e32 v3, v2, v3
	v_lshrrev_b32_e32 v3, s42, v3
	s_delay_alu instid0(VALU_DEP_1) | instskip(SKIP_1) | instid1(VALU_DEP_2)
	v_mul_hi_u32 v5, s44, v3
	v_mul_lo_u32 v7, v3, s40
	v_add_nc_u32_e32 v5, v3, v5
	s_delay_alu instid0(VALU_DEP_2) | instskip(NEXT) | instid1(VALU_DEP_2)
	v_sub_nc_u32_e32 v2, v2, v7
	v_lshrrev_b32_e32 v5, s45, v5
	s_delay_alu instid0(VALU_DEP_2) | instskip(SKIP_1) | instid1(VALU_DEP_3)
	v_mul_lo_u32 v7, v2, s48
	v_mul_lo_u32 v9, v2, s49
	v_mul_hi_u32 v6, s47, v5
	s_delay_alu instid0(VALU_DEP_1) | instskip(NEXT) | instid1(VALU_DEP_1)
	v_add_nc_u32_e32 v6, v5, v6
	v_lshrrev_b32_e32 v6, s56, v6
	s_delay_alu instid0(VALU_DEP_1) | instskip(SKIP_1) | instid1(VALU_DEP_2)
	v_mul_hi_u32 v8, s58, v6
	v_mul_lo_u32 v10, v6, s46
	v_add_nc_u32_e32 v2, v6, v8
	v_mul_lo_u32 v8, v5, s43
	s_delay_alu instid0(VALU_DEP_3) | instskip(NEXT) | instid1(VALU_DEP_3)
	v_sub_nc_u32_e32 v5, v5, v10
	v_lshrrev_b32_e32 v2, s59, v2
	s_delay_alu instid0(VALU_DEP_2) | instskip(SKIP_2) | instid1(VALU_DEP_4)
	v_mul_lo_u32 v10, v5, s52
	v_mul_lo_u32 v5, v5, s53
	v_sub_nc_u32_e32 v3, v3, v8
	v_mul_lo_u32 v11, v2, s57
	s_delay_alu instid0(VALU_DEP_2) | instskip(SKIP_1) | instid1(VALU_DEP_3)
	v_mul_lo_u32 v8, v3, s50
	v_mul_lo_u32 v3, v3, s51
	v_sub_nc_u32_e32 v6, v6, v11
	s_delay_alu instid0(VALU_DEP_3) | instskip(NEXT) | instid1(VALU_DEP_2)
	v_add3_u32 v0, v7, v0, v8
	v_mul_lo_u32 v11, v6, s54
	v_mul_lo_u32 v6, v6, s55
	v_add3_u32 v1, v9, v1, v3
	s_delay_alu instid0(VALU_DEP_3) | instskip(NEXT) | instid1(VALU_DEP_2)
	v_add3_u32 v0, v10, v0, v11
	v_add3_u32 v1, v5, v1, v6
	s_cbranch_scc0 .LBB295_19
	s_branch .LBB295_85
.LBB295_20:
	s_mov_b32 s6, -1
                                        ; implicit-def: $vgpr0
                                        ; implicit-def: $vgpr1
	s_branch .LBB295_26
.LBB295_21:
	s_mov_b32 s34, -1
                                        ; implicit-def: $vgpr0
                                        ; implicit-def: $vgpr1
	s_branch .LBB295_73
.LBB295_22:
	s_mov_b32 s34, -1
                                        ; implicit-def: $vgpr0
                                        ; implicit-def: $vgpr1
	s_branch .LBB295_88
.LBB295_23:
	v_dual_mov_b32 v2, v4 :: v_dual_mov_b32 v1, 0
	s_and_b32 s7, s7, 3
	s_delay_alu instid0(SALU_CYCLE_1)
	s_cmp_eq_u32 s7, 0
	s_cbranch_scc1 .LBB295_26
.LBB295_24:
	s_lshl_b32 s2, s8, 3
	s_mul_i32 s4, s8, 12
	s_add_u32 s2, s2, s0
	s_addc_u32 s3, 0, s1
	s_add_u32 s2, s2, 0xc4
	s_addc_u32 s3, s3, 0
	;; [unrolled: 2-line block ×3, first 2 shown]
	.p2align	6
.LBB295_25:                             ; =>This Inner Loop Header: Depth=1
	s_clause 0x1
	s_load_b64 s[8:9], s[4:5], 0x4
	s_load_b32 s12, s[4:5], 0xc
	s_load_b64 s[10:11], s[2:3], 0x0
	s_add_u32 s4, s4, 12
	s_addc_u32 s5, s5, 0
	s_add_u32 s2, s2, 8
	s_addc_u32 s3, s3, 0
	s_add_i32 s7, s7, -1
	s_delay_alu instid0(SALU_CYCLE_1) | instskip(SKIP_2) | instid1(VALU_DEP_1)
	s_cmp_lg_u32 s7, 0
	s_waitcnt lgkmcnt(0)
	v_mul_hi_u32 v3, s9, v2
	v_add_nc_u32_e32 v3, v2, v3
	s_delay_alu instid0(VALU_DEP_1) | instskip(NEXT) | instid1(VALU_DEP_1)
	v_lshrrev_b32_e32 v3, s12, v3
	v_mul_lo_u32 v5, v3, s8
	s_delay_alu instid0(VALU_DEP_1) | instskip(NEXT) | instid1(VALU_DEP_1)
	v_sub_nc_u32_e32 v2, v2, v5
	v_mad_u64_u32 v[9:10], null, v2, s10, v[0:1]
	v_mad_u64_u32 v[10:11], null, v2, s11, v[1:2]
	v_mov_b32_e32 v2, v3
	s_delay_alu instid0(VALU_DEP_2)
	v_dual_mov_b32 v0, v9 :: v_dual_mov_b32 v1, v10
	s_cbranch_scc1 .LBB295_25
.LBB295_26:
	s_and_not1_b32 vcc_lo, exec_lo, s6
	s_cbranch_vccnz .LBB295_29
; %bb.27:
	s_clause 0x1
	s_load_b128 s[4:7], s[0:1], 0x4
	s_load_b64 s[2:3], s[0:1], 0xc4
	s_cmp_lt_u32 s24, 2
	s_waitcnt lgkmcnt(0)
	v_mul_hi_u32 v0, s5, v4
	s_delay_alu instid0(VALU_DEP_1) | instskip(NEXT) | instid1(VALU_DEP_1)
	v_add_nc_u32_e32 v0, v4, v0
	v_lshrrev_b32_e32 v2, s6, v0
	s_delay_alu instid0(VALU_DEP_1) | instskip(NEXT) | instid1(VALU_DEP_1)
	v_mul_lo_u32 v0, v2, s4
	v_sub_nc_u32_e32 v1, v4, v0
	s_delay_alu instid0(VALU_DEP_1)
	v_mul_lo_u32 v0, v1, s2
	v_mul_lo_u32 v1, v1, s3
	s_cbranch_scc1 .LBB295_29
; %bb.28:
	s_clause 0x1
	s_load_b128 s[4:7], s[0:1], 0x10
	s_load_b64 s[2:3], s[0:1], 0xcc
	s_waitcnt lgkmcnt(0)
	v_mul_hi_u32 v3, s5, v2
	s_delay_alu instid0(VALU_DEP_1) | instskip(NEXT) | instid1(VALU_DEP_1)
	v_add_nc_u32_e32 v3, v2, v3
	v_lshrrev_b32_e32 v3, s6, v3
	s_delay_alu instid0(VALU_DEP_1) | instskip(NEXT) | instid1(VALU_DEP_1)
	v_mul_lo_u32 v3, v3, s4
	v_sub_nc_u32_e32 v5, v2, v3
	s_delay_alu instid0(VALU_DEP_1) | instskip(NEXT) | instid1(VALU_DEP_1)
	v_mad_u64_u32 v[2:3], null, v5, s2, v[0:1]
	v_mad_u64_u32 v[9:10], null, v5, s3, v[1:2]
	s_delay_alu instid0(VALU_DEP_1)
	v_dual_mov_b32 v0, v2 :: v_dual_mov_b32 v1, v9
.LBB295_29:
	v_cmp_ne_u32_e32 vcc_lo, 1, v6
	v_add_nc_u32_e32 v5, 0x80, v4
	s_cbranch_vccnz .LBB295_35
; %bb.30:
	v_dual_mov_b32 v2, 0 :: v_dual_mov_b32 v3, 0
	s_cmp_lg_u32 s24, 0
	s_mov_b32 s6, 0
	s_cbranch_scc0 .LBB295_39
; %bb.31:
	s_min_u32 s7, s25, 15
	v_mov_b32_e32 v2, 0
	s_add_i32 s7, s7, 1
	s_cmp_eq_u32 s25, 2
	s_mov_b32 s8, 0
	s_cbranch_scc1 .LBB295_36
; %bb.32:
	v_dual_mov_b32 v3, 0 :: v_dual_mov_b32 v2, 0
	v_mov_b32_e32 v7, v5
	s_add_u32 s2, s0, 0xc4
	s_addc_u32 s3, s1, 0
	s_and_b32 s8, s7, 28
	s_mov_b32 s9, 0
	s_mov_b64 s[4:5], s[0:1]
.LBB295_33:                             ; =>This Inner Loop Header: Depth=1
	s_clause 0x1
	s_load_b256 s[12:19], s[4:5], 0x4
	s_load_b128 s[20:23], s[4:5], 0x24
	s_load_b256 s[36:43], s[2:3], 0x0
	s_add_u32 s4, s4, 48
	s_addc_u32 s5, s5, 0
	s_add_i32 s9, s9, 4
	s_add_u32 s2, s2, 32
	s_addc_u32 s3, s3, 0
	s_cmp_lg_u32 s8, s9
	s_waitcnt lgkmcnt(0)
	v_mul_hi_u32 v9, s13, v7
	s_delay_alu instid0(VALU_DEP_1) | instskip(NEXT) | instid1(VALU_DEP_1)
	v_add_nc_u32_e32 v9, v7, v9
	v_lshrrev_b32_e32 v9, s14, v9
	s_delay_alu instid0(VALU_DEP_1) | instskip(SKIP_1) | instid1(VALU_DEP_2)
	v_mul_hi_u32 v10, s16, v9
	v_mul_lo_u32 v12, v9, s12
	v_add_nc_u32_e32 v10, v9, v10
	s_delay_alu instid0(VALU_DEP_2) | instskip(NEXT) | instid1(VALU_DEP_2)
	v_sub_nc_u32_e32 v7, v7, v12
	v_lshrrev_b32_e32 v10, s17, v10
	s_delay_alu instid0(VALU_DEP_2) | instskip(SKIP_1) | instid1(VALU_DEP_3)
	v_mul_lo_u32 v12, v7, s36
	v_mul_lo_u32 v14, v7, s37
	v_mul_hi_u32 v11, s19, v10
	s_delay_alu instid0(VALU_DEP_1) | instskip(NEXT) | instid1(VALU_DEP_1)
	v_add_nc_u32_e32 v11, v10, v11
	v_lshrrev_b32_e32 v11, s20, v11
	s_delay_alu instid0(VALU_DEP_1) | instskip(SKIP_1) | instid1(VALU_DEP_2)
	v_mul_hi_u32 v13, s22, v11
	v_mul_lo_u32 v15, v11, s18
	v_add_nc_u32_e32 v7, v11, v13
	v_mul_lo_u32 v13, v10, s15
	s_delay_alu instid0(VALU_DEP_3) | instskip(NEXT) | instid1(VALU_DEP_3)
	v_sub_nc_u32_e32 v10, v10, v15
	v_lshrrev_b32_e32 v7, s23, v7
	s_delay_alu instid0(VALU_DEP_2) | instskip(SKIP_2) | instid1(VALU_DEP_4)
	v_mul_lo_u32 v15, v10, s40
	v_mul_lo_u32 v10, v10, s41
	v_sub_nc_u32_e32 v9, v9, v13
	v_mul_lo_u32 v16, v7, s21
	s_delay_alu instid0(VALU_DEP_2) | instskip(SKIP_1) | instid1(VALU_DEP_3)
	v_mul_lo_u32 v13, v9, s38
	v_mul_lo_u32 v9, v9, s39
	v_sub_nc_u32_e32 v11, v11, v16
	s_delay_alu instid0(VALU_DEP_3) | instskip(NEXT) | instid1(VALU_DEP_2)
	v_add3_u32 v2, v12, v2, v13
	v_mul_lo_u32 v16, v11, s42
	v_mul_lo_u32 v11, v11, s43
	v_add3_u32 v3, v14, v3, v9
	s_delay_alu instid0(VALU_DEP_3) | instskip(NEXT) | instid1(VALU_DEP_2)
	v_add3_u32 v2, v15, v2, v16
	v_add3_u32 v3, v10, v3, v11
	s_cbranch_scc1 .LBB295_33
; %bb.34:
	s_and_b32 s7, s7, 3
	s_delay_alu instid0(SALU_CYCLE_1)
	s_cmp_eq_u32 s7, 0
	s_cbranch_scc0 .LBB295_37
	s_branch .LBB295_39
.LBB295_35:
	s_mov_b32 s6, -1
                                        ; implicit-def: $vgpr2
                                        ; implicit-def: $vgpr3
	s_branch .LBB295_39
.LBB295_36:
	v_mov_b32_e32 v7, v5
	v_mov_b32_e32 v3, 0
	s_and_b32 s7, s7, 3
	s_delay_alu instid0(SALU_CYCLE_1)
	s_cmp_eq_u32 s7, 0
	s_cbranch_scc1 .LBB295_39
.LBB295_37:
	s_lshl_b32 s2, s8, 3
	s_mul_i32 s4, s8, 12
	s_add_u32 s2, s2, s0
	s_addc_u32 s3, 0, s1
	s_add_u32 s2, s2, 0xc4
	s_addc_u32 s3, s3, 0
	;; [unrolled: 2-line block ×3, first 2 shown]
	.p2align	6
.LBB295_38:                             ; =>This Inner Loop Header: Depth=1
	s_clause 0x1
	s_load_b64 s[8:9], s[4:5], 0x4
	s_load_b32 s12, s[4:5], 0xc
	s_load_b64 s[10:11], s[2:3], 0x0
	s_add_u32 s4, s4, 12
	s_addc_u32 s5, s5, 0
	s_add_u32 s2, s2, 8
	s_addc_u32 s3, s3, 0
	s_add_i32 s7, s7, -1
	s_delay_alu instid0(SALU_CYCLE_1) | instskip(SKIP_2) | instid1(VALU_DEP_1)
	s_cmp_lg_u32 s7, 0
	s_waitcnt lgkmcnt(0)
	v_mul_hi_u32 v9, s9, v7
	v_add_nc_u32_e32 v9, v7, v9
	s_delay_alu instid0(VALU_DEP_1) | instskip(NEXT) | instid1(VALU_DEP_1)
	v_lshrrev_b32_e32 v12, s12, v9
	v_mul_lo_u32 v9, v12, s8
	s_delay_alu instid0(VALU_DEP_1) | instskip(NEXT) | instid1(VALU_DEP_1)
	v_sub_nc_u32_e32 v7, v7, v9
	v_mad_u64_u32 v[9:10], null, v7, s10, v[2:3]
	v_mad_u64_u32 v[10:11], null, v7, s11, v[3:4]
	s_delay_alu instid0(VALU_DEP_2) | instskip(NEXT) | instid1(VALU_DEP_2)
	v_dual_mov_b32 v7, v12 :: v_dual_mov_b32 v2, v9
	v_mov_b32_e32 v3, v10
	s_cbranch_scc1 .LBB295_38
.LBB295_39:
	s_and_not1_b32 vcc_lo, exec_lo, s6
	s_cbranch_vccnz .LBB295_42
; %bb.40:
	s_clause 0x1
	s_load_b128 s[4:7], s[0:1], 0x4
	s_load_b64 s[2:3], s[0:1], 0xc4
	s_cmp_lt_u32 s24, 2
	s_waitcnt lgkmcnt(0)
	v_mul_hi_u32 v2, s5, v5
	s_delay_alu instid0(VALU_DEP_1) | instskip(NEXT) | instid1(VALU_DEP_1)
	v_add_nc_u32_e32 v2, v5, v2
	v_lshrrev_b32_e32 v7, s6, v2
	s_delay_alu instid0(VALU_DEP_1) | instskip(NEXT) | instid1(VALU_DEP_1)
	v_mul_lo_u32 v2, v7, s4
	v_sub_nc_u32_e32 v3, v5, v2
	s_delay_alu instid0(VALU_DEP_1)
	v_mul_lo_u32 v2, v3, s2
	v_mul_lo_u32 v3, v3, s3
	s_cbranch_scc1 .LBB295_42
; %bb.41:
	s_clause 0x1
	s_load_b128 s[4:7], s[0:1], 0x10
	s_load_b64 s[2:3], s[0:1], 0xcc
	s_waitcnt lgkmcnt(0)
	v_mul_hi_u32 v5, s5, v7
	s_delay_alu instid0(VALU_DEP_1) | instskip(NEXT) | instid1(VALU_DEP_1)
	v_add_nc_u32_e32 v5, v7, v5
	v_lshrrev_b32_e32 v5, s6, v5
	s_delay_alu instid0(VALU_DEP_1) | instskip(NEXT) | instid1(VALU_DEP_1)
	v_mul_lo_u32 v5, v5, s4
	v_sub_nc_u32_e32 v5, v7, v5
	s_delay_alu instid0(VALU_DEP_1) | instskip(SKIP_1) | instid1(VALU_DEP_1)
	v_mad_u64_u32 v[9:10], null, v5, s2, v[2:3]
	v_mad_u64_u32 v[10:11], null, v5, s3, v[3:4]
	v_dual_mov_b32 v2, v9 :: v_dual_mov_b32 v3, v10
.LBB295_42:
	v_cmp_ne_u32_e32 vcc_lo, 1, v6
	v_add_nc_u32_e32 v7, 0x100, v4
	s_cbranch_vccnz .LBB295_48
; %bb.43:
	v_dual_mov_b32 v4, 0 :: v_dual_mov_b32 v5, 0
	s_cmp_lg_u32 s24, 0
	s_mov_b32 s6, 0
	s_cbranch_scc0 .LBB295_52
; %bb.44:
	s_min_u32 s7, s25, 15
	v_mov_b32_e32 v4, 0
	s_add_i32 s7, s7, 1
	s_cmp_eq_u32 s25, 2
	s_mov_b32 s8, 0
	s_cbranch_scc1 .LBB295_49
; %bb.45:
	v_dual_mov_b32 v5, 0 :: v_dual_mov_b32 v4, 0
	v_mov_b32_e32 v9, v7
	s_add_u32 s2, s0, 0xc4
	s_addc_u32 s3, s1, 0
	s_and_b32 s8, s7, 28
	s_mov_b32 s9, 0
	s_mov_b64 s[4:5], s[0:1]
.LBB295_46:                             ; =>This Inner Loop Header: Depth=1
	s_clause 0x1
	s_load_b256 s[12:19], s[4:5], 0x4
	s_load_b128 s[20:23], s[4:5], 0x24
	s_load_b256 s[36:43], s[2:3], 0x0
	s_add_u32 s4, s4, 48
	s_addc_u32 s5, s5, 0
	s_add_i32 s9, s9, 4
	s_add_u32 s2, s2, 32
	s_addc_u32 s3, s3, 0
	s_cmp_lg_u32 s8, s9
	s_waitcnt lgkmcnt(0)
	v_mul_hi_u32 v10, s13, v9
	s_delay_alu instid0(VALU_DEP_1) | instskip(NEXT) | instid1(VALU_DEP_1)
	v_add_nc_u32_e32 v10, v9, v10
	v_lshrrev_b32_e32 v10, s14, v10
	s_delay_alu instid0(VALU_DEP_1) | instskip(SKIP_1) | instid1(VALU_DEP_2)
	v_mul_hi_u32 v11, s16, v10
	v_mul_lo_u32 v13, v10, s12
	v_add_nc_u32_e32 v11, v10, v11
	s_delay_alu instid0(VALU_DEP_2) | instskip(NEXT) | instid1(VALU_DEP_2)
	v_sub_nc_u32_e32 v9, v9, v13
	v_lshrrev_b32_e32 v11, s17, v11
	s_delay_alu instid0(VALU_DEP_2) | instskip(SKIP_1) | instid1(VALU_DEP_3)
	v_mul_lo_u32 v13, v9, s36
	v_mul_lo_u32 v15, v9, s37
	v_mul_hi_u32 v12, s19, v11
	s_delay_alu instid0(VALU_DEP_1) | instskip(NEXT) | instid1(VALU_DEP_1)
	v_add_nc_u32_e32 v12, v11, v12
	v_lshrrev_b32_e32 v12, s20, v12
	s_delay_alu instid0(VALU_DEP_1) | instskip(SKIP_1) | instid1(VALU_DEP_2)
	v_mul_hi_u32 v14, s22, v12
	v_mul_lo_u32 v16, v12, s18
	v_add_nc_u32_e32 v9, v12, v14
	v_mul_lo_u32 v14, v11, s15
	s_delay_alu instid0(VALU_DEP_3) | instskip(NEXT) | instid1(VALU_DEP_3)
	v_sub_nc_u32_e32 v11, v11, v16
	v_lshrrev_b32_e32 v9, s23, v9
	s_delay_alu instid0(VALU_DEP_2) | instskip(SKIP_2) | instid1(VALU_DEP_4)
	v_mul_lo_u32 v16, v11, s40
	v_mul_lo_u32 v11, v11, s41
	v_sub_nc_u32_e32 v10, v10, v14
	v_mul_lo_u32 v17, v9, s21
	s_delay_alu instid0(VALU_DEP_2) | instskip(SKIP_1) | instid1(VALU_DEP_3)
	v_mul_lo_u32 v14, v10, s38
	v_mul_lo_u32 v10, v10, s39
	v_sub_nc_u32_e32 v12, v12, v17
	s_delay_alu instid0(VALU_DEP_3) | instskip(NEXT) | instid1(VALU_DEP_2)
	v_add3_u32 v4, v13, v4, v14
	v_mul_lo_u32 v17, v12, s42
	v_mul_lo_u32 v12, v12, s43
	v_add3_u32 v5, v15, v5, v10
	s_delay_alu instid0(VALU_DEP_3) | instskip(NEXT) | instid1(VALU_DEP_2)
	v_add3_u32 v4, v16, v4, v17
	v_add3_u32 v5, v11, v5, v12
	s_cbranch_scc1 .LBB295_46
; %bb.47:
	s_and_b32 s7, s7, 3
	s_delay_alu instid0(SALU_CYCLE_1)
	s_cmp_eq_u32 s7, 0
	s_cbranch_scc0 .LBB295_50
	s_branch .LBB295_52
.LBB295_48:
	s_mov_b32 s6, -1
                                        ; implicit-def: $vgpr4
                                        ; implicit-def: $vgpr5
	s_branch .LBB295_52
.LBB295_49:
	v_mov_b32_e32 v9, v7
	v_mov_b32_e32 v5, 0
	s_and_b32 s7, s7, 3
	s_delay_alu instid0(SALU_CYCLE_1)
	s_cmp_eq_u32 s7, 0
	s_cbranch_scc1 .LBB295_52
.LBB295_50:
	s_lshl_b32 s2, s8, 3
	s_mul_i32 s4, s8, 12
	s_add_u32 s2, s2, s0
	s_addc_u32 s3, 0, s1
	s_add_u32 s2, s2, 0xc4
	s_addc_u32 s3, s3, 0
	;; [unrolled: 2-line block ×3, first 2 shown]
	.p2align	6
.LBB295_51:                             ; =>This Inner Loop Header: Depth=1
	s_clause 0x1
	s_load_b64 s[8:9], s[4:5], 0x4
	s_load_b32 s12, s[4:5], 0xc
	s_load_b64 s[10:11], s[2:3], 0x0
	s_add_u32 s4, s4, 12
	s_addc_u32 s5, s5, 0
	s_add_u32 s2, s2, 8
	s_addc_u32 s3, s3, 0
	s_add_i32 s7, s7, -1
	s_delay_alu instid0(SALU_CYCLE_1) | instskip(SKIP_2) | instid1(VALU_DEP_1)
	s_cmp_lg_u32 s7, 0
	s_waitcnt lgkmcnt(0)
	v_mul_hi_u32 v10, s9, v9
	v_add_nc_u32_e32 v10, v9, v10
	s_delay_alu instid0(VALU_DEP_1) | instskip(NEXT) | instid1(VALU_DEP_1)
	v_lshrrev_b32_e32 v13, s12, v10
	v_mul_lo_u32 v10, v13, s8
	s_delay_alu instid0(VALU_DEP_1) | instskip(NEXT) | instid1(VALU_DEP_1)
	v_sub_nc_u32_e32 v9, v9, v10
	v_mad_u64_u32 v[10:11], null, v9, s10, v[4:5]
	v_mad_u64_u32 v[11:12], null, v9, s11, v[5:6]
	s_delay_alu instid0(VALU_DEP_2) | instskip(NEXT) | instid1(VALU_DEP_2)
	v_dual_mov_b32 v9, v13 :: v_dual_mov_b32 v4, v10
	v_mov_b32_e32 v5, v11
	s_cbranch_scc1 .LBB295_51
.LBB295_52:
	s_and_not1_b32 vcc_lo, exec_lo, s6
	s_cbranch_vccnz .LBB295_55
; %bb.53:
	s_clause 0x1
	s_load_b128 s[4:7], s[0:1], 0x4
	s_load_b64 s[2:3], s[0:1], 0xc4
	s_cmp_lt_u32 s24, 2
	s_waitcnt lgkmcnt(0)
	v_mul_hi_u32 v4, s5, v7
	s_delay_alu instid0(VALU_DEP_1) | instskip(NEXT) | instid1(VALU_DEP_1)
	v_add_nc_u32_e32 v4, v7, v4
	v_lshrrev_b32_e32 v9, s6, v4
	s_delay_alu instid0(VALU_DEP_1) | instskip(NEXT) | instid1(VALU_DEP_1)
	v_mul_lo_u32 v4, v9, s4
	v_sub_nc_u32_e32 v5, v7, v4
	s_delay_alu instid0(VALU_DEP_1)
	v_mul_lo_u32 v4, v5, s2
	v_mul_lo_u32 v5, v5, s3
	s_cbranch_scc1 .LBB295_55
; %bb.54:
	s_clause 0x1
	s_load_b128 s[4:7], s[0:1], 0x10
	s_load_b64 s[2:3], s[0:1], 0xcc
	s_waitcnt lgkmcnt(0)
	v_mul_hi_u32 v7, s5, v9
	s_delay_alu instid0(VALU_DEP_1) | instskip(NEXT) | instid1(VALU_DEP_1)
	v_add_nc_u32_e32 v7, v9, v7
	v_lshrrev_b32_e32 v7, s6, v7
	s_delay_alu instid0(VALU_DEP_1) | instskip(NEXT) | instid1(VALU_DEP_1)
	v_mul_lo_u32 v7, v7, s4
	v_sub_nc_u32_e32 v7, v9, v7
	s_delay_alu instid0(VALU_DEP_1) | instskip(SKIP_1) | instid1(VALU_DEP_1)
	v_mad_u64_u32 v[9:10], null, v7, s2, v[4:5]
	v_mad_u64_u32 v[10:11], null, v7, s3, v[5:6]
	v_dual_mov_b32 v4, v9 :: v_dual_mov_b32 v5, v10
.LBB295_55:
	v_cmp_ne_u32_e32 vcc_lo, 1, v6
	s_cbranch_vccnz .LBB295_61
; %bb.56:
	v_dual_mov_b32 v6, 0 :: v_dual_mov_b32 v7, 0
	s_cmp_lg_u32 s24, 0
	s_mov_b32 s6, 0
	s_cbranch_scc0 .LBB295_65
; %bb.57:
	s_min_u32 s7, s25, 15
	v_mov_b32_e32 v6, 0
	s_add_i32 s7, s7, 1
	s_cmp_eq_u32 s25, 2
	s_mov_b32 s8, 0
	s_cbranch_scc1 .LBB295_62
; %bb.58:
	v_dual_mov_b32 v7, 0 :: v_dual_mov_b32 v6, 0
	v_mov_b32_e32 v9, v8
	s_add_u32 s2, s0, 0xc4
	s_addc_u32 s3, s1, 0
	s_and_b32 s8, s7, 28
	s_mov_b32 s9, 0
	s_mov_b64 s[4:5], s[0:1]
.LBB295_59:                             ; =>This Inner Loop Header: Depth=1
	s_clause 0x1
	s_load_b256 s[12:19], s[4:5], 0x4
	s_load_b128 s[20:23], s[4:5], 0x24
	s_load_b256 s[36:43], s[2:3], 0x0
	s_add_u32 s4, s4, 48
	s_addc_u32 s5, s5, 0
	s_add_i32 s9, s9, 4
	s_add_u32 s2, s2, 32
	s_addc_u32 s3, s3, 0
	s_cmp_lg_u32 s8, s9
	s_waitcnt lgkmcnt(0)
	v_mul_hi_u32 v10, s13, v9
	s_delay_alu instid0(VALU_DEP_1) | instskip(NEXT) | instid1(VALU_DEP_1)
	v_add_nc_u32_e32 v10, v9, v10
	v_lshrrev_b32_e32 v10, s14, v10
	s_delay_alu instid0(VALU_DEP_1) | instskip(SKIP_1) | instid1(VALU_DEP_2)
	v_mul_hi_u32 v11, s16, v10
	v_mul_lo_u32 v13, v10, s12
	v_add_nc_u32_e32 v11, v10, v11
	s_delay_alu instid0(VALU_DEP_2) | instskip(NEXT) | instid1(VALU_DEP_2)
	v_sub_nc_u32_e32 v9, v9, v13
	v_lshrrev_b32_e32 v11, s17, v11
	s_delay_alu instid0(VALU_DEP_2) | instskip(SKIP_1) | instid1(VALU_DEP_3)
	v_mul_lo_u32 v13, v9, s36
	v_mul_lo_u32 v15, v9, s37
	v_mul_hi_u32 v12, s19, v11
	s_delay_alu instid0(VALU_DEP_1) | instskip(NEXT) | instid1(VALU_DEP_1)
	v_add_nc_u32_e32 v12, v11, v12
	v_lshrrev_b32_e32 v12, s20, v12
	s_delay_alu instid0(VALU_DEP_1) | instskip(SKIP_1) | instid1(VALU_DEP_2)
	v_mul_hi_u32 v14, s22, v12
	v_mul_lo_u32 v16, v12, s18
	v_add_nc_u32_e32 v9, v12, v14
	v_mul_lo_u32 v14, v11, s15
	s_delay_alu instid0(VALU_DEP_3) | instskip(NEXT) | instid1(VALU_DEP_3)
	v_sub_nc_u32_e32 v11, v11, v16
	v_lshrrev_b32_e32 v9, s23, v9
	s_delay_alu instid0(VALU_DEP_2) | instskip(SKIP_2) | instid1(VALU_DEP_4)
	v_mul_lo_u32 v16, v11, s40
	v_mul_lo_u32 v11, v11, s41
	v_sub_nc_u32_e32 v10, v10, v14
	v_mul_lo_u32 v17, v9, s21
	s_delay_alu instid0(VALU_DEP_2) | instskip(SKIP_1) | instid1(VALU_DEP_3)
	v_mul_lo_u32 v14, v10, s38
	v_mul_lo_u32 v10, v10, s39
	v_sub_nc_u32_e32 v12, v12, v17
	s_delay_alu instid0(VALU_DEP_3) | instskip(NEXT) | instid1(VALU_DEP_2)
	v_add3_u32 v6, v13, v6, v14
	v_mul_lo_u32 v17, v12, s42
	v_mul_lo_u32 v12, v12, s43
	v_add3_u32 v7, v15, v7, v10
	s_delay_alu instid0(VALU_DEP_3) | instskip(NEXT) | instid1(VALU_DEP_2)
	v_add3_u32 v6, v16, v6, v17
	v_add3_u32 v7, v11, v7, v12
	s_cbranch_scc1 .LBB295_59
; %bb.60:
	s_and_b32 s7, s7, 3
	s_delay_alu instid0(SALU_CYCLE_1)
	s_cmp_eq_u32 s7, 0
	s_cbranch_scc0 .LBB295_63
	s_branch .LBB295_65
.LBB295_61:
	s_mov_b32 s6, -1
                                        ; implicit-def: $vgpr6
                                        ; implicit-def: $vgpr7
	s_branch .LBB295_65
.LBB295_62:
	v_mov_b32_e32 v9, v8
	v_mov_b32_e32 v7, 0
	s_and_b32 s7, s7, 3
	s_delay_alu instid0(SALU_CYCLE_1)
	s_cmp_eq_u32 s7, 0
	s_cbranch_scc1 .LBB295_65
.LBB295_63:
	s_lshl_b32 s2, s8, 3
	s_mul_i32 s4, s8, 12
	s_add_u32 s2, s2, s0
	s_addc_u32 s3, 0, s1
	s_add_u32 s2, s2, 0xc4
	s_addc_u32 s3, s3, 0
	;; [unrolled: 2-line block ×3, first 2 shown]
	.p2align	6
.LBB295_64:                             ; =>This Inner Loop Header: Depth=1
	s_clause 0x1
	s_load_b64 s[8:9], s[4:5], 0x4
	s_load_b32 s12, s[4:5], 0xc
	s_load_b64 s[10:11], s[2:3], 0x0
	s_add_u32 s4, s4, 12
	s_addc_u32 s5, s5, 0
	s_add_u32 s2, s2, 8
	s_addc_u32 s3, s3, 0
	s_add_i32 s7, s7, -1
	s_delay_alu instid0(SALU_CYCLE_1) | instskip(SKIP_2) | instid1(VALU_DEP_1)
	s_cmp_lg_u32 s7, 0
	s_waitcnt lgkmcnt(0)
	v_mul_hi_u32 v10, s9, v9
	v_add_nc_u32_e32 v10, v9, v10
	s_delay_alu instid0(VALU_DEP_1) | instskip(NEXT) | instid1(VALU_DEP_1)
	v_lshrrev_b32_e32 v13, s12, v10
	v_mul_lo_u32 v10, v13, s8
	s_delay_alu instid0(VALU_DEP_1) | instskip(NEXT) | instid1(VALU_DEP_1)
	v_sub_nc_u32_e32 v9, v9, v10
	v_mad_u64_u32 v[10:11], null, v9, s10, v[6:7]
	v_mad_u64_u32 v[11:12], null, v9, s11, v[7:8]
	s_delay_alu instid0(VALU_DEP_2) | instskip(NEXT) | instid1(VALU_DEP_2)
	v_dual_mov_b32 v9, v13 :: v_dual_mov_b32 v6, v10
	v_mov_b32_e32 v7, v11
	s_cbranch_scc1 .LBB295_64
.LBB295_65:
	s_and_not1_b32 vcc_lo, exec_lo, s6
	s_cbranch_vccnz .LBB295_68
; %bb.66:
	s_clause 0x1
	s_load_b128 s[4:7], s[0:1], 0x4
	s_load_b64 s[2:3], s[0:1], 0xc4
	s_cmp_lt_u32 s24, 2
	s_waitcnt lgkmcnt(0)
	v_mul_hi_u32 v6, s5, v8
	s_delay_alu instid0(VALU_DEP_1) | instskip(NEXT) | instid1(VALU_DEP_1)
	v_add_nc_u32_e32 v6, v8, v6
	v_lshrrev_b32_e32 v9, s6, v6
	s_delay_alu instid0(VALU_DEP_1) | instskip(NEXT) | instid1(VALU_DEP_1)
	v_mul_lo_u32 v6, v9, s4
	v_sub_nc_u32_e32 v7, v8, v6
	s_delay_alu instid0(VALU_DEP_1)
	v_mul_lo_u32 v6, v7, s2
	v_mul_lo_u32 v7, v7, s3
	s_cbranch_scc1 .LBB295_68
; %bb.67:
	s_clause 0x1
	s_load_b128 s[4:7], s[0:1], 0x10
	s_load_b64 s[2:3], s[0:1], 0xcc
	s_waitcnt lgkmcnt(0)
	v_mul_hi_u32 v8, s5, v9
	s_delay_alu instid0(VALU_DEP_1) | instskip(NEXT) | instid1(VALU_DEP_1)
	v_add_nc_u32_e32 v8, v9, v8
	v_lshrrev_b32_e32 v8, s6, v8
	s_delay_alu instid0(VALU_DEP_1) | instskip(NEXT) | instid1(VALU_DEP_1)
	v_mul_lo_u32 v8, v8, s4
	v_sub_nc_u32_e32 v11, v9, v8
	s_delay_alu instid0(VALU_DEP_1) | instskip(NEXT) | instid1(VALU_DEP_1)
	v_mad_u64_u32 v[8:9], null, v11, s2, v[6:7]
	v_mad_u64_u32 v[9:10], null, v11, s3, v[7:8]
	s_delay_alu instid0(VALU_DEP_1)
	v_dual_mov_b32 v6, v8 :: v_dual_mov_b32 v7, v9
.LBB295_68:
	s_clause 0x1
	s_load_b128 s[4:7], s[0:1], 0x148
	s_load_b64 s[0:1], s[0:1], 0x158
	s_waitcnt lgkmcnt(0)
	s_clause 0x3
	global_load_b32 v1, v1, s[6:7]
	global_load_b32 v3, v3, s[6:7]
	;; [unrolled: 1-line block ×4, first 2 shown]
	s_waitcnt vmcnt(3)
	v_maxmin_i32 v1, v1, s0, s1
	s_waitcnt vmcnt(2)
	v_maxmin_i32 v3, v3, s0, s1
	;; [unrolled: 2-line block ×4, first 2 shown]
	s_clause 0x3
	global_store_b32 v0, v1, s[4:5]
	global_store_b32 v2, v3, s[4:5]
	;; [unrolled: 1-line block ×4, first 2 shown]
	s_nop 0
	s_sendmsg sendmsg(MSG_DEALLOC_VGPRS)
	s_endpgm
.LBB295_69:
	v_dual_mov_b32 v2, v4 :: v_dual_mov_b32 v1, 0
.LBB295_70:
	s_and_b32 s36, s36, 3
	s_delay_alu instid0(SALU_CYCLE_1)
	s_cmp_eq_u32 s36, 0
	s_cbranch_scc1 .LBB295_73
; %bb.71:
	s_lshl_b32 s20, s35, 3
	s_mul_i32 s22, s35, 12
	s_add_u32 s20, s20, s0
	s_addc_u32 s21, s1, 0
	s_add_u32 s20, s20, 0xc4
	s_addc_u32 s21, s21, 0
	;; [unrolled: 2-line block ×3, first 2 shown]
	.p2align	6
.LBB295_72:                             ; =>This Inner Loop Header: Depth=1
	s_clause 0x1
	s_load_b64 s[38:39], s[22:23], 0x4
	s_load_b32 s35, s[22:23], 0xc
	s_load_b64 s[40:41], s[20:21], 0x0
	s_add_u32 s22, s22, 12
	s_addc_u32 s23, s23, 0
	s_add_u32 s20, s20, 8
	s_addc_u32 s21, s21, 0
	s_add_i32 s36, s36, -1
	s_delay_alu instid0(SALU_CYCLE_1) | instskip(SKIP_2) | instid1(VALU_DEP_1)
	s_cmp_lg_u32 s36, 0
	s_waitcnt lgkmcnt(0)
	v_mul_hi_u32 v3, s39, v2
	v_add_nc_u32_e32 v3, v2, v3
	s_delay_alu instid0(VALU_DEP_1) | instskip(NEXT) | instid1(VALU_DEP_1)
	v_lshrrev_b32_e32 v3, s35, v3
	v_mul_lo_u32 v5, v3, s38
	s_delay_alu instid0(VALU_DEP_1) | instskip(NEXT) | instid1(VALU_DEP_1)
	v_sub_nc_u32_e32 v2, v2, v5
	v_mad_u64_u32 v[5:6], null, v2, s40, v[0:1]
	v_mad_u64_u32 v[6:7], null, v2, s41, v[1:2]
	v_mov_b32_e32 v2, v3
	s_delay_alu instid0(VALU_DEP_2)
	v_dual_mov_b32 v0, v5 :: v_dual_mov_b32 v1, v6
	s_cbranch_scc1 .LBB295_72
.LBB295_73:
	s_and_not1_b32 vcc_lo, exec_lo, s34
	s_cbranch_vccnz .LBB295_76
; %bb.74:
	s_waitcnt lgkmcnt(0)
	v_mul_hi_u32 v0, s13, v4
	s_and_not1_b32 vcc_lo, exec_lo, s28
	s_delay_alu instid0(VALU_DEP_1) | instskip(NEXT) | instid1(VALU_DEP_1)
	v_add_nc_u32_e32 v0, v4, v0
	v_lshrrev_b32_e32 v2, s14, v0
	s_delay_alu instid0(VALU_DEP_1) | instskip(NEXT) | instid1(VALU_DEP_1)
	v_mul_lo_u32 v0, v2, s12
	v_sub_nc_u32_e32 v1, v4, v0
	s_delay_alu instid0(VALU_DEP_1)
	v_mul_lo_u32 v0, v1, s8
	v_mul_lo_u32 v1, v1, s9
	s_cbranch_vccnz .LBB295_76
; %bb.75:
	v_mul_hi_u32 v3, s16, v2
	s_delay_alu instid0(VALU_DEP_1) | instskip(NEXT) | instid1(VALU_DEP_1)
	v_add_nc_u32_e32 v3, v2, v3
	v_lshrrev_b32_e32 v3, s17, v3
	s_delay_alu instid0(VALU_DEP_1) | instskip(NEXT) | instid1(VALU_DEP_1)
	v_mul_lo_u32 v3, v3, s15
	v_sub_nc_u32_e32 v7, v2, v3
	s_delay_alu instid0(VALU_DEP_1) | instskip(NEXT) | instid1(VALU_DEP_1)
	v_mad_u64_u32 v[2:3], null, v7, s10, v[0:1]
	v_mad_u64_u32 v[5:6], null, v7, s11, v[1:2]
	s_delay_alu instid0(VALU_DEP_1)
	v_dual_mov_b32 v0, v2 :: v_dual_mov_b32 v1, v5
.LBB295_76:
	s_waitcnt lgkmcnt(0)
	global_load_b32 v1, v1, s[6:7]
	v_add_nc_u32_e32 v4, 0x80, v4
	s_waitcnt vmcnt(0)
	v_maxmin_i32 v1, v1, s2, s3
	global_store_b32 v0, v1, s[4:5]
	s_or_b32 exec_lo, exec_lo, s33
	s_delay_alu instid0(SALU_CYCLE_1)
	s_mov_b32 s33, exec_lo
	v_cmpx_gt_i32_e64 s29, v4
	s_cbranch_execnz .LBB295_15
.LBB295_77:
	s_or_b32 exec_lo, exec_lo, s33
	s_delay_alu instid0(SALU_CYCLE_1)
	s_mov_b32 s33, exec_lo
	v_cmpx_gt_i32_e64 s29, v4
	s_cbranch_execz .LBB295_92
.LBB295_78:
	s_and_not1_b32 vcc_lo, exec_lo, s26
	s_cbranch_vccnz .LBB295_83
; %bb.79:
	v_dual_mov_b32 v0, 0 :: v_dual_mov_b32 v1, 0
	s_and_not1_b32 vcc_lo, exec_lo, s31
	s_mov_b32 s34, 0
	s_cbranch_vccnz .LBB295_99
; %bb.80:
	v_mov_b32_e32 v0, 0
	s_add_i32 s36, s30, 1
	s_cmp_eq_u32 s25, 2
	s_mov_b32 s35, 0
	s_cbranch_scc1 .LBB295_95
; %bb.81:
	v_dual_mov_b32 v1, 0 :: v_dual_mov_b32 v0, 0
	v_mov_b32_e32 v2, v4
	s_and_b32 s35, s36, 28
	s_mov_b32 s37, 0
	s_mov_b64 s[20:21], s[18:19]
	s_mov_b64 s[22:23], s[0:1]
.LBB295_82:                             ; =>This Inner Loop Header: Depth=1
	s_clause 0x1
	s_load_b256 s[40:47], s[22:23], 0x4
	s_load_b128 s[56:59], s[22:23], 0x24
	s_load_b256 s[48:55], s[20:21], 0x0
	s_add_u32 s22, s22, 48
	s_addc_u32 s23, s23, 0
	s_add_i32 s37, s37, 4
	s_add_u32 s20, s20, 32
	s_addc_u32 s21, s21, 0
	s_cmp_eq_u32 s35, s37
	s_waitcnt lgkmcnt(0)
	v_mul_hi_u32 v3, s41, v2
	s_delay_alu instid0(VALU_DEP_1) | instskip(NEXT) | instid1(VALU_DEP_1)
	v_add_nc_u32_e32 v3, v2, v3
	v_lshrrev_b32_e32 v3, s42, v3
	s_delay_alu instid0(VALU_DEP_1) | instskip(SKIP_1) | instid1(VALU_DEP_2)
	v_mul_hi_u32 v5, s44, v3
	v_mul_lo_u32 v7, v3, s40
	v_add_nc_u32_e32 v5, v3, v5
	s_delay_alu instid0(VALU_DEP_2) | instskip(NEXT) | instid1(VALU_DEP_2)
	v_sub_nc_u32_e32 v2, v2, v7
	v_lshrrev_b32_e32 v5, s45, v5
	s_delay_alu instid0(VALU_DEP_2) | instskip(SKIP_1) | instid1(VALU_DEP_3)
	v_mul_lo_u32 v7, v2, s48
	v_mul_lo_u32 v9, v2, s49
	v_mul_hi_u32 v6, s47, v5
	s_delay_alu instid0(VALU_DEP_1) | instskip(NEXT) | instid1(VALU_DEP_1)
	v_add_nc_u32_e32 v6, v5, v6
	v_lshrrev_b32_e32 v6, s56, v6
	s_delay_alu instid0(VALU_DEP_1) | instskip(SKIP_1) | instid1(VALU_DEP_2)
	v_mul_hi_u32 v8, s58, v6
	v_mul_lo_u32 v10, v6, s46
	v_add_nc_u32_e32 v2, v6, v8
	v_mul_lo_u32 v8, v5, s43
	s_delay_alu instid0(VALU_DEP_3) | instskip(NEXT) | instid1(VALU_DEP_3)
	v_sub_nc_u32_e32 v5, v5, v10
	v_lshrrev_b32_e32 v2, s59, v2
	s_delay_alu instid0(VALU_DEP_2) | instskip(SKIP_2) | instid1(VALU_DEP_4)
	v_mul_lo_u32 v10, v5, s52
	v_mul_lo_u32 v5, v5, s53
	v_sub_nc_u32_e32 v3, v3, v8
	v_mul_lo_u32 v11, v2, s57
	s_delay_alu instid0(VALU_DEP_2) | instskip(SKIP_1) | instid1(VALU_DEP_3)
	v_mul_lo_u32 v8, v3, s50
	v_mul_lo_u32 v3, v3, s51
	v_sub_nc_u32_e32 v6, v6, v11
	s_delay_alu instid0(VALU_DEP_3) | instskip(NEXT) | instid1(VALU_DEP_2)
	v_add3_u32 v0, v7, v0, v8
	v_mul_lo_u32 v11, v6, s54
	v_mul_lo_u32 v6, v6, s55
	v_add3_u32 v1, v9, v1, v3
	s_delay_alu instid0(VALU_DEP_3) | instskip(NEXT) | instid1(VALU_DEP_2)
	v_add3_u32 v0, v10, v0, v11
	v_add3_u32 v1, v5, v1, v6
	s_cbranch_scc0 .LBB295_82
	s_branch .LBB295_96
.LBB295_83:
	s_mov_b32 s34, -1
                                        ; implicit-def: $vgpr0
                                        ; implicit-def: $vgpr1
	s_branch .LBB295_99
.LBB295_84:
	v_dual_mov_b32 v2, v4 :: v_dual_mov_b32 v1, 0
.LBB295_85:
	s_and_b32 s36, s36, 3
	s_delay_alu instid0(SALU_CYCLE_1)
	s_cmp_eq_u32 s36, 0
	s_cbranch_scc1 .LBB295_88
; %bb.86:
	s_lshl_b32 s20, s35, 3
	s_mul_i32 s22, s35, 12
	s_add_u32 s20, s20, s0
	s_addc_u32 s21, s1, 0
	s_add_u32 s20, s20, 0xc4
	s_addc_u32 s21, s21, 0
	;; [unrolled: 2-line block ×3, first 2 shown]
	.p2align	6
.LBB295_87:                             ; =>This Inner Loop Header: Depth=1
	s_clause 0x1
	s_load_b64 s[38:39], s[22:23], 0x4
	s_load_b32 s35, s[22:23], 0xc
	s_load_b64 s[40:41], s[20:21], 0x0
	s_add_u32 s22, s22, 12
	s_addc_u32 s23, s23, 0
	s_add_u32 s20, s20, 8
	s_addc_u32 s21, s21, 0
	s_add_i32 s36, s36, -1
	s_delay_alu instid0(SALU_CYCLE_1) | instskip(SKIP_2) | instid1(VALU_DEP_1)
	s_cmp_lg_u32 s36, 0
	s_waitcnt lgkmcnt(0)
	v_mul_hi_u32 v3, s39, v2
	v_add_nc_u32_e32 v3, v2, v3
	s_delay_alu instid0(VALU_DEP_1) | instskip(NEXT) | instid1(VALU_DEP_1)
	v_lshrrev_b32_e32 v3, s35, v3
	v_mul_lo_u32 v5, v3, s38
	s_delay_alu instid0(VALU_DEP_1) | instskip(NEXT) | instid1(VALU_DEP_1)
	v_sub_nc_u32_e32 v2, v2, v5
	v_mad_u64_u32 v[5:6], null, v2, s40, v[0:1]
	v_mad_u64_u32 v[6:7], null, v2, s41, v[1:2]
	v_mov_b32_e32 v2, v3
	s_delay_alu instid0(VALU_DEP_2)
	v_dual_mov_b32 v0, v5 :: v_dual_mov_b32 v1, v6
	s_cbranch_scc1 .LBB295_87
.LBB295_88:
	s_and_not1_b32 vcc_lo, exec_lo, s34
	s_cbranch_vccnz .LBB295_91
; %bb.89:
	s_waitcnt lgkmcnt(0)
	v_mul_hi_u32 v0, s13, v4
	s_and_not1_b32 vcc_lo, exec_lo, s28
	s_delay_alu instid0(VALU_DEP_1) | instskip(NEXT) | instid1(VALU_DEP_1)
	v_add_nc_u32_e32 v0, v4, v0
	v_lshrrev_b32_e32 v2, s14, v0
	s_delay_alu instid0(VALU_DEP_1) | instskip(NEXT) | instid1(VALU_DEP_1)
	v_mul_lo_u32 v0, v2, s12
	v_sub_nc_u32_e32 v1, v4, v0
	s_delay_alu instid0(VALU_DEP_1)
	v_mul_lo_u32 v0, v1, s8
	v_mul_lo_u32 v1, v1, s9
	s_cbranch_vccnz .LBB295_91
; %bb.90:
	v_mul_hi_u32 v3, s16, v2
	s_delay_alu instid0(VALU_DEP_1) | instskip(NEXT) | instid1(VALU_DEP_1)
	v_add_nc_u32_e32 v3, v2, v3
	v_lshrrev_b32_e32 v3, s17, v3
	s_delay_alu instid0(VALU_DEP_1) | instskip(NEXT) | instid1(VALU_DEP_1)
	v_mul_lo_u32 v3, v3, s15
	v_sub_nc_u32_e32 v7, v2, v3
	s_delay_alu instid0(VALU_DEP_1) | instskip(NEXT) | instid1(VALU_DEP_1)
	v_mad_u64_u32 v[2:3], null, v7, s10, v[0:1]
	v_mad_u64_u32 v[5:6], null, v7, s11, v[1:2]
	s_delay_alu instid0(VALU_DEP_1)
	v_dual_mov_b32 v0, v2 :: v_dual_mov_b32 v1, v5
.LBB295_91:
	s_waitcnt lgkmcnt(0)
	global_load_b32 v1, v1, s[6:7]
	v_add_nc_u32_e32 v4, 0x80, v4
	s_waitcnt vmcnt(0)
	v_maxmin_i32 v1, v1, s2, s3
	global_store_b32 v0, v1, s[4:5]
	s_or_b32 exec_lo, exec_lo, s33
	s_delay_alu instid0(SALU_CYCLE_1)
	s_mov_b32 s33, exec_lo
	v_cmpx_gt_i32_e64 s29, v4
	s_cbranch_execnz .LBB295_78
.LBB295_92:
	s_or_b32 exec_lo, exec_lo, s33
	s_delay_alu instid0(SALU_CYCLE_1)
	s_mov_b32 s22, exec_lo
	v_cmpx_gt_i32_e64 s29, v4
	s_cbranch_execnz .LBB295_103
.LBB295_93:
	s_or_b32 exec_lo, exec_lo, s22
                                        ; implicit-def: $vgpr8
                                        ; implicit-def: $vgpr4
	s_waitcnt lgkmcnt(0)
	s_and_not1_saveexec_b32 s2, s27
	s_cbranch_execnz .LBB295_8
.LBB295_94:
	s_nop 0
	s_sendmsg sendmsg(MSG_DEALLOC_VGPRS)
	s_endpgm
.LBB295_95:
	v_dual_mov_b32 v2, v4 :: v_dual_mov_b32 v1, 0
.LBB295_96:
	s_and_b32 s36, s36, 3
	s_delay_alu instid0(SALU_CYCLE_1)
	s_cmp_eq_u32 s36, 0
	s_cbranch_scc1 .LBB295_99
; %bb.97:
	s_lshl_b32 s20, s35, 3
	s_mul_i32 s22, s35, 12
	s_add_u32 s20, s20, s0
	s_addc_u32 s21, s1, 0
	s_add_u32 s20, s20, 0xc4
	s_addc_u32 s21, s21, 0
	;; [unrolled: 2-line block ×3, first 2 shown]
	.p2align	6
.LBB295_98:                             ; =>This Inner Loop Header: Depth=1
	s_clause 0x1
	s_load_b64 s[38:39], s[22:23], 0x4
	s_load_b32 s35, s[22:23], 0xc
	s_load_b64 s[40:41], s[20:21], 0x0
	s_add_u32 s22, s22, 12
	s_addc_u32 s23, s23, 0
	s_add_u32 s20, s20, 8
	s_addc_u32 s21, s21, 0
	s_add_i32 s36, s36, -1
	s_delay_alu instid0(SALU_CYCLE_1) | instskip(SKIP_2) | instid1(VALU_DEP_1)
	s_cmp_lg_u32 s36, 0
	s_waitcnt lgkmcnt(0)
	v_mul_hi_u32 v3, s39, v2
	v_add_nc_u32_e32 v3, v2, v3
	s_delay_alu instid0(VALU_DEP_1) | instskip(NEXT) | instid1(VALU_DEP_1)
	v_lshrrev_b32_e32 v3, s35, v3
	v_mul_lo_u32 v5, v3, s38
	s_delay_alu instid0(VALU_DEP_1) | instskip(NEXT) | instid1(VALU_DEP_1)
	v_sub_nc_u32_e32 v2, v2, v5
	v_mad_u64_u32 v[5:6], null, v2, s40, v[0:1]
	v_mad_u64_u32 v[6:7], null, v2, s41, v[1:2]
	v_mov_b32_e32 v2, v3
	s_delay_alu instid0(VALU_DEP_2)
	v_dual_mov_b32 v0, v5 :: v_dual_mov_b32 v1, v6
	s_cbranch_scc1 .LBB295_98
.LBB295_99:
	s_and_not1_b32 vcc_lo, exec_lo, s34
	s_cbranch_vccnz .LBB295_102
; %bb.100:
	s_waitcnt lgkmcnt(0)
	v_mul_hi_u32 v0, s13, v4
	s_and_not1_b32 vcc_lo, exec_lo, s28
	s_delay_alu instid0(VALU_DEP_1) | instskip(NEXT) | instid1(VALU_DEP_1)
	v_add_nc_u32_e32 v0, v4, v0
	v_lshrrev_b32_e32 v2, s14, v0
	s_delay_alu instid0(VALU_DEP_1) | instskip(NEXT) | instid1(VALU_DEP_1)
	v_mul_lo_u32 v0, v2, s12
	v_sub_nc_u32_e32 v1, v4, v0
	s_delay_alu instid0(VALU_DEP_1)
	v_mul_lo_u32 v0, v1, s8
	v_mul_lo_u32 v1, v1, s9
	s_cbranch_vccnz .LBB295_102
; %bb.101:
	v_mul_hi_u32 v3, s16, v2
	s_delay_alu instid0(VALU_DEP_1) | instskip(NEXT) | instid1(VALU_DEP_1)
	v_add_nc_u32_e32 v3, v2, v3
	v_lshrrev_b32_e32 v3, s17, v3
	s_delay_alu instid0(VALU_DEP_1) | instskip(NEXT) | instid1(VALU_DEP_1)
	v_mul_lo_u32 v3, v3, s15
	v_sub_nc_u32_e32 v7, v2, v3
	s_delay_alu instid0(VALU_DEP_1) | instskip(NEXT) | instid1(VALU_DEP_1)
	v_mad_u64_u32 v[2:3], null, v7, s10, v[0:1]
	v_mad_u64_u32 v[5:6], null, v7, s11, v[1:2]
	s_delay_alu instid0(VALU_DEP_1)
	v_dual_mov_b32 v0, v2 :: v_dual_mov_b32 v1, v5
.LBB295_102:
	s_waitcnt lgkmcnt(0)
	global_load_b32 v1, v1, s[6:7]
	v_add_nc_u32_e32 v4, 0x80, v4
	s_waitcnt vmcnt(0)
	v_maxmin_i32 v1, v1, s2, s3
	global_store_b32 v0, v1, s[4:5]
	s_or_b32 exec_lo, exec_lo, s33
	s_delay_alu instid0(SALU_CYCLE_1)
	s_mov_b32 s22, exec_lo
	v_cmpx_gt_i32_e64 s29, v4
	s_cbranch_execz .LBB295_93
.LBB295_103:
	s_and_not1_b32 vcc_lo, exec_lo, s26
	s_cbranch_vccnz .LBB295_108
; %bb.104:
	v_dual_mov_b32 v0, 0 :: v_dual_mov_b32 v1, 0
	s_and_not1_b32 vcc_lo, exec_lo, s31
	s_mov_b32 s23, 0
	s_cbranch_vccnz .LBB295_113
; %bb.105:
	v_mov_b32_e32 v0, 0
	s_add_i32 s30, s30, 1
	s_cmp_eq_u32 s25, 2
	s_mov_b32 s29, 0
	s_cbranch_scc1 .LBB295_109
; %bb.106:
	v_dual_mov_b32 v1, 0 :: v_dual_mov_b32 v0, 0
	v_mov_b32_e32 v2, v4
	s_and_b32 s29, s30, 28
	s_mov_b32 s31, 0
	s_mov_b64 s[20:21], s[0:1]
.LBB295_107:                            ; =>This Inner Loop Header: Depth=1
	s_clause 0x1
	s_load_b256 s[36:43], s[20:21], 0x4
	s_load_b128 s[52:55], s[20:21], 0x24
	s_load_b256 s[44:51], s[18:19], 0x0
	s_add_u32 s20, s20, 48
	s_addc_u32 s21, s21, 0
	s_add_i32 s31, s31, 4
	s_add_u32 s18, s18, 32
	s_addc_u32 s19, s19, 0
	s_cmp_eq_u32 s29, s31
	s_waitcnt lgkmcnt(0)
	v_mul_hi_u32 v3, s37, v2
	s_delay_alu instid0(VALU_DEP_1) | instskip(NEXT) | instid1(VALU_DEP_1)
	v_add_nc_u32_e32 v3, v2, v3
	v_lshrrev_b32_e32 v3, s38, v3
	s_delay_alu instid0(VALU_DEP_1) | instskip(SKIP_1) | instid1(VALU_DEP_2)
	v_mul_hi_u32 v5, s40, v3
	v_mul_lo_u32 v7, v3, s36
	v_add_nc_u32_e32 v5, v3, v5
	s_delay_alu instid0(VALU_DEP_2) | instskip(NEXT) | instid1(VALU_DEP_2)
	v_sub_nc_u32_e32 v2, v2, v7
	v_lshrrev_b32_e32 v5, s41, v5
	s_delay_alu instid0(VALU_DEP_2) | instskip(SKIP_1) | instid1(VALU_DEP_3)
	v_mul_lo_u32 v7, v2, s44
	v_mul_lo_u32 v9, v2, s45
	v_mul_hi_u32 v6, s43, v5
	s_delay_alu instid0(VALU_DEP_1) | instskip(NEXT) | instid1(VALU_DEP_1)
	v_add_nc_u32_e32 v6, v5, v6
	v_lshrrev_b32_e32 v6, s52, v6
	s_delay_alu instid0(VALU_DEP_1) | instskip(SKIP_1) | instid1(VALU_DEP_2)
	v_mul_hi_u32 v8, s54, v6
	v_mul_lo_u32 v10, v6, s42
	v_add_nc_u32_e32 v2, v6, v8
	v_mul_lo_u32 v8, v5, s39
	s_delay_alu instid0(VALU_DEP_3) | instskip(NEXT) | instid1(VALU_DEP_3)
	v_sub_nc_u32_e32 v5, v5, v10
	v_lshrrev_b32_e32 v2, s55, v2
	s_delay_alu instid0(VALU_DEP_2) | instskip(SKIP_2) | instid1(VALU_DEP_4)
	v_mul_lo_u32 v10, v5, s48
	v_mul_lo_u32 v5, v5, s49
	v_sub_nc_u32_e32 v3, v3, v8
	v_mul_lo_u32 v11, v2, s53
	s_delay_alu instid0(VALU_DEP_2) | instskip(SKIP_1) | instid1(VALU_DEP_3)
	v_mul_lo_u32 v8, v3, s46
	v_mul_lo_u32 v3, v3, s47
	v_sub_nc_u32_e32 v6, v6, v11
	s_delay_alu instid0(VALU_DEP_3) | instskip(NEXT) | instid1(VALU_DEP_2)
	v_add3_u32 v0, v7, v0, v8
	v_mul_lo_u32 v11, v6, s50
	v_mul_lo_u32 v6, v6, s51
	v_add3_u32 v1, v9, v1, v3
	s_delay_alu instid0(VALU_DEP_3) | instskip(NEXT) | instid1(VALU_DEP_2)
	v_add3_u32 v0, v10, v0, v11
	v_add3_u32 v1, v5, v1, v6
	s_cbranch_scc0 .LBB295_107
	s_branch .LBB295_110
.LBB295_108:
	s_mov_b32 s23, -1
                                        ; implicit-def: $vgpr0
                                        ; implicit-def: $vgpr1
	s_branch .LBB295_113
.LBB295_109:
	v_dual_mov_b32 v2, v4 :: v_dual_mov_b32 v1, 0
.LBB295_110:
	s_and_b32 s30, s30, 3
	s_delay_alu instid0(SALU_CYCLE_1)
	s_cmp_eq_u32 s30, 0
	s_cbranch_scc1 .LBB295_113
; %bb.111:
	s_lshl_b32 s18, s29, 3
	s_mul_i32 s20, s29, 12
	s_add_u32 s18, s18, s0
	s_addc_u32 s19, s1, 0
	s_add_u32 s18, s18, 0xc4
	s_addc_u32 s19, s19, 0
	;; [unrolled: 2-line block ×3, first 2 shown]
	.p2align	6
.LBB295_112:                            ; =>This Inner Loop Header: Depth=1
	s_clause 0x1
	s_load_b64 s[34:35], s[20:21], 0x4
	s_load_b32 s29, s[20:21], 0xc
	s_load_b64 s[36:37], s[18:19], 0x0
	s_add_u32 s20, s20, 12
	s_addc_u32 s21, s21, 0
	s_add_u32 s18, s18, 8
	s_addc_u32 s19, s19, 0
	s_add_i32 s30, s30, -1
	s_delay_alu instid0(SALU_CYCLE_1) | instskip(SKIP_2) | instid1(VALU_DEP_1)
	s_cmp_lg_u32 s30, 0
	s_waitcnt lgkmcnt(0)
	v_mul_hi_u32 v3, s35, v2
	v_add_nc_u32_e32 v3, v2, v3
	s_delay_alu instid0(VALU_DEP_1) | instskip(NEXT) | instid1(VALU_DEP_1)
	v_lshrrev_b32_e32 v3, s29, v3
	v_mul_lo_u32 v5, v3, s34
	s_delay_alu instid0(VALU_DEP_1) | instskip(NEXT) | instid1(VALU_DEP_1)
	v_sub_nc_u32_e32 v2, v2, v5
	v_mad_u64_u32 v[5:6], null, v2, s36, v[0:1]
	v_mad_u64_u32 v[6:7], null, v2, s37, v[1:2]
	v_mov_b32_e32 v2, v3
	s_delay_alu instid0(VALU_DEP_2)
	v_dual_mov_b32 v0, v5 :: v_dual_mov_b32 v1, v6
	s_cbranch_scc1 .LBB295_112
.LBB295_113:
	s_and_not1_b32 vcc_lo, exec_lo, s23
	s_cbranch_vccnz .LBB295_116
; %bb.114:
	s_waitcnt lgkmcnt(0)
	v_mul_hi_u32 v0, s13, v4
	s_and_not1_b32 vcc_lo, exec_lo, s28
	s_delay_alu instid0(VALU_DEP_1) | instskip(NEXT) | instid1(VALU_DEP_1)
	v_add_nc_u32_e32 v0, v4, v0
	v_lshrrev_b32_e32 v2, s14, v0
	s_delay_alu instid0(VALU_DEP_1) | instskip(NEXT) | instid1(VALU_DEP_1)
	v_mul_lo_u32 v0, v2, s12
	v_sub_nc_u32_e32 v1, v4, v0
	s_delay_alu instid0(VALU_DEP_1)
	v_mul_lo_u32 v0, v1, s8
	v_mul_lo_u32 v1, v1, s9
	s_cbranch_vccnz .LBB295_116
; %bb.115:
	v_mul_hi_u32 v3, s16, v2
	s_delay_alu instid0(VALU_DEP_1) | instskip(NEXT) | instid1(VALU_DEP_1)
	v_add_nc_u32_e32 v3, v2, v3
	v_lshrrev_b32_e32 v3, s17, v3
	s_delay_alu instid0(VALU_DEP_1) | instskip(NEXT) | instid1(VALU_DEP_1)
	v_mul_lo_u32 v3, v3, s15
	v_sub_nc_u32_e32 v5, v2, v3
	s_delay_alu instid0(VALU_DEP_1) | instskip(NEXT) | instid1(VALU_DEP_1)
	v_mad_u64_u32 v[2:3], null, v5, s10, v[0:1]
	v_mad_u64_u32 v[3:4], null, v5, s11, v[1:2]
	s_delay_alu instid0(VALU_DEP_1)
	v_dual_mov_b32 v0, v2 :: v_dual_mov_b32 v1, v3
.LBB295_116:
	s_waitcnt lgkmcnt(0)
	global_load_b32 v1, v1, s[6:7]
	s_waitcnt vmcnt(0)
	v_maxmin_i32 v1, v1, s2, s3
	global_store_b32 v0, v1, s[4:5]
	s_or_b32 exec_lo, exec_lo, s22
                                        ; implicit-def: $vgpr8
                                        ; implicit-def: $vgpr4
	s_and_not1_saveexec_b32 s2, s27
	s_cbranch_execz .LBB295_94
	s_branch .LBB295_8
	.section	.rodata,"a",@progbits
	.p2align	6, 0x0
	.amdhsa_kernel _ZN2at6native32elementwise_kernel_manual_unrollILi128ELi4EZNS0_22gpu_kernel_impl_nocastIZZZNS0_17clamp_kernel_cudaERNS_18TensorIteratorBaseERKN3c106ScalarES8_ENKUlvE_clEvENKUlvE1_clEvEUliE_EEvS4_RKT_EUlibE_EEviT1_
		.amdhsa_group_segment_fixed_size 0
		.amdhsa_private_segment_fixed_size 0
		.amdhsa_kernarg_size 360
		.amdhsa_user_sgpr_count 15
		.amdhsa_user_sgpr_dispatch_ptr 0
		.amdhsa_user_sgpr_queue_ptr 0
		.amdhsa_user_sgpr_kernarg_segment_ptr 1
		.amdhsa_user_sgpr_dispatch_id 0
		.amdhsa_user_sgpr_private_segment_size 0
		.amdhsa_wavefront_size32 1
		.amdhsa_uses_dynamic_stack 0
		.amdhsa_enable_private_segment 0
		.amdhsa_system_sgpr_workgroup_id_x 1
		.amdhsa_system_sgpr_workgroup_id_y 0
		.amdhsa_system_sgpr_workgroup_id_z 0
		.amdhsa_system_sgpr_workgroup_info 0
		.amdhsa_system_vgpr_workitem_id 0
		.amdhsa_next_free_vgpr 18
		.amdhsa_next_free_sgpr 60
		.amdhsa_reserve_vcc 1
		.amdhsa_float_round_mode_32 0
		.amdhsa_float_round_mode_16_64 0
		.amdhsa_float_denorm_mode_32 3
		.amdhsa_float_denorm_mode_16_64 3
		.amdhsa_dx10_clamp 1
		.amdhsa_ieee_mode 1
		.amdhsa_fp16_overflow 0
		.amdhsa_workgroup_processor_mode 1
		.amdhsa_memory_ordered 1
		.amdhsa_forward_progress 0
		.amdhsa_shared_vgpr_count 0
		.amdhsa_exception_fp_ieee_invalid_op 0
		.amdhsa_exception_fp_denorm_src 0
		.amdhsa_exception_fp_ieee_div_zero 0
		.amdhsa_exception_fp_ieee_overflow 0
		.amdhsa_exception_fp_ieee_underflow 0
		.amdhsa_exception_fp_ieee_inexact 0
		.amdhsa_exception_int_div_zero 0
	.end_amdhsa_kernel
	.section	.text._ZN2at6native32elementwise_kernel_manual_unrollILi128ELi4EZNS0_22gpu_kernel_impl_nocastIZZZNS0_17clamp_kernel_cudaERNS_18TensorIteratorBaseERKN3c106ScalarES8_ENKUlvE_clEvENKUlvE1_clEvEUliE_EEvS4_RKT_EUlibE_EEviT1_,"axG",@progbits,_ZN2at6native32elementwise_kernel_manual_unrollILi128ELi4EZNS0_22gpu_kernel_impl_nocastIZZZNS0_17clamp_kernel_cudaERNS_18TensorIteratorBaseERKN3c106ScalarES8_ENKUlvE_clEvENKUlvE1_clEvEUliE_EEvS4_RKT_EUlibE_EEviT1_,comdat
.Lfunc_end295:
	.size	_ZN2at6native32elementwise_kernel_manual_unrollILi128ELi4EZNS0_22gpu_kernel_impl_nocastIZZZNS0_17clamp_kernel_cudaERNS_18TensorIteratorBaseERKN3c106ScalarES8_ENKUlvE_clEvENKUlvE1_clEvEUliE_EEvS4_RKT_EUlibE_EEviT1_, .Lfunc_end295-_ZN2at6native32elementwise_kernel_manual_unrollILi128ELi4EZNS0_22gpu_kernel_impl_nocastIZZZNS0_17clamp_kernel_cudaERNS_18TensorIteratorBaseERKN3c106ScalarES8_ENKUlvE_clEvENKUlvE1_clEvEUliE_EEvS4_RKT_EUlibE_EEviT1_
                                        ; -- End function
	.section	.AMDGPU.csdata,"",@progbits
; Kernel info:
; codeLenInByte = 6864
; NumSgprs: 62
; NumVgprs: 18
; ScratchSize: 0
; MemoryBound: 0
; FloatMode: 240
; IeeeMode: 1
; LDSByteSize: 0 bytes/workgroup (compile time only)
; SGPRBlocks: 7
; VGPRBlocks: 2
; NumSGPRsForWavesPerEU: 62
; NumVGPRsForWavesPerEU: 18
; Occupancy: 16
; WaveLimiterHint : 1
; COMPUTE_PGM_RSRC2:SCRATCH_EN: 0
; COMPUTE_PGM_RSRC2:USER_SGPR: 15
; COMPUTE_PGM_RSRC2:TRAP_HANDLER: 0
; COMPUTE_PGM_RSRC2:TGID_X_EN: 1
; COMPUTE_PGM_RSRC2:TGID_Y_EN: 0
; COMPUTE_PGM_RSRC2:TGID_Z_EN: 0
; COMPUTE_PGM_RSRC2:TIDIG_COMP_CNT: 0
	.section	.text._ZN2at6native32elementwise_kernel_manual_unrollILi128ELi4EZNS0_15gpu_kernel_implIZZZNS0_17clamp_kernel_cudaERNS_18TensorIteratorBaseERKN3c106ScalarES8_ENKUlvE_clEvENKUlvE1_clEvEUliE_EEvS4_RKT_EUlibE_EEviT1_,"axG",@progbits,_ZN2at6native32elementwise_kernel_manual_unrollILi128ELi4EZNS0_15gpu_kernel_implIZZZNS0_17clamp_kernel_cudaERNS_18TensorIteratorBaseERKN3c106ScalarES8_ENKUlvE_clEvENKUlvE1_clEvEUliE_EEvS4_RKT_EUlibE_EEviT1_,comdat
	.globl	_ZN2at6native32elementwise_kernel_manual_unrollILi128ELi4EZNS0_15gpu_kernel_implIZZZNS0_17clamp_kernel_cudaERNS_18TensorIteratorBaseERKN3c106ScalarES8_ENKUlvE_clEvENKUlvE1_clEvEUliE_EEvS4_RKT_EUlibE_EEviT1_ ; -- Begin function _ZN2at6native32elementwise_kernel_manual_unrollILi128ELi4EZNS0_15gpu_kernel_implIZZZNS0_17clamp_kernel_cudaERNS_18TensorIteratorBaseERKN3c106ScalarES8_ENKUlvE_clEvENKUlvE1_clEvEUliE_EEvS4_RKT_EUlibE_EEviT1_
	.p2align	8
	.type	_ZN2at6native32elementwise_kernel_manual_unrollILi128ELi4EZNS0_15gpu_kernel_implIZZZNS0_17clamp_kernel_cudaERNS_18TensorIteratorBaseERKN3c106ScalarES8_ENKUlvE_clEvENKUlvE1_clEvEUliE_EEvS4_RKT_EUlibE_EEviT1_,@function
_ZN2at6native32elementwise_kernel_manual_unrollILi128ELi4EZNS0_15gpu_kernel_implIZZZNS0_17clamp_kernel_cudaERNS_18TensorIteratorBaseERKN3c106ScalarES8_ENKUlvE_clEvENKUlvE1_clEvEUliE_EEvS4_RKT_EUlibE_EEviT1_: ; @_ZN2at6native32elementwise_kernel_manual_unrollILi128ELi4EZNS0_15gpu_kernel_implIZZZNS0_17clamp_kernel_cudaERNS_18TensorIteratorBaseERKN3c106ScalarES8_ENKUlvE_clEvENKUlvE1_clEvEUliE_EEvS4_RKT_EUlibE_EEviT1_
; %bb.0:
	s_clause 0x2
	s_load_b32 s2, s[0:1], 0x28
	s_load_b32 s13, s[0:1], 0x0
	s_load_b256 s[4:11], s[0:1], 0x8
	v_lshl_or_b32 v4, s15, 9, v0
	s_mov_b32 s1, 0
	s_mov_b32 s12, 0
	s_mov_b32 s0, exec_lo
	s_delay_alu instid0(VALU_DEP_1) | instskip(SKIP_2) | instid1(VALU_DEP_2)
	v_or_b32_e32 v0, 0x180, v4
	s_waitcnt lgkmcnt(0)
	v_lshrrev_b16 v5, 8, s2
	v_cmpx_le_i32_e64 s13, v0
	s_xor_b32 s3, exec_lo, s0
	s_cbranch_execz .LBB296_1017
; %bb.1:
	s_mov_b32 s18, -1
	s_mov_b32 s16, 0
	s_mov_b32 s14, 0
	s_mov_b32 s15, exec_lo
	v_cmpx_gt_i32_e64 s13, v4
	s_cbranch_execz .LBB296_248
; %bb.2:
	v_mul_lo_u32 v0, v4, s9
	v_cmp_gt_i16_e32 vcc_lo, 11, v5
	s_delay_alu instid0(VALU_DEP_2) | instskip(SKIP_1) | instid1(VALU_DEP_1)
	v_ashrrev_i32_e32 v1, 31, v0
	v_add_co_u32 v0, s0, s6, v0
	v_add_co_ci_u32_e64 v1, s0, s7, v1, s0
	s_cbranch_vccnz .LBB296_9
; %bb.3:
	v_cmp_lt_i16_e32 vcc_lo, 25, v5
	s_cbranch_vccz .LBB296_18
; %bb.4:
	v_cmp_lt_i16_e32 vcc_lo, 28, v5
	s_cbranch_vccz .LBB296_21
	;; [unrolled: 3-line block ×4, first 2 shown]
; %bb.7:
	v_cmp_eq_u16_e32 vcc_lo, 46, v5
	s_cbranch_vccz .LBB296_27
; %bb.8:
	global_load_b32 v2, v[0:1], off
	s_mov_b32 s0, -1
	s_waitcnt vmcnt(0)
	v_lshlrev_b32_e32 v2, 16, v2
	s_delay_alu instid0(VALU_DEP_1)
	v_cvt_i32_f32_e32 v2, v2
	s_branch .LBB296_29
.LBB296_9:
	s_mov_b32 s0, 0
                                        ; implicit-def: $vgpr2
	s_cbranch_execnz .LBB296_198
.LBB296_10:
	s_and_not1_b32 vcc_lo, exec_lo, s0
	s_cbranch_vccnz .LBB296_245
.LBB296_11:
	v_mul_lo_u32 v1, v4, s8
	v_and_b32_e64 v6, 0xff, s2
	s_waitcnt vmcnt(0)
	s_delay_alu instid0(VALU_DEP_3) | instskip(NEXT) | instid1(VALU_DEP_2)
	v_maxmin_i32 v0, v2, s10, s11
	v_cmp_gt_i16_e32 vcc_lo, 11, v6
	s_delay_alu instid0(VALU_DEP_4) | instskip(SKIP_1) | instid1(VALU_DEP_1)
	v_ashrrev_i32_e32 v3, 31, v1
	v_add_co_u32 v2, s0, s4, v1
	v_add_co_ci_u32_e64 v3, s0, s5, v3, s0
	s_cbranch_vccnz .LBB296_19
; %bb.12:
	v_cmp_lt_i16_e32 vcc_lo, 25, v6
	s_cbranch_vccz .LBB296_22
; %bb.13:
	v_cmp_lt_i16_e32 vcc_lo, 28, v6
	s_cbranch_vccz .LBB296_24
	;; [unrolled: 3-line block ×4, first 2 shown]
; %bb.16:
	v_cmp_eq_u16_e32 vcc_lo, 46, v6
	s_mov_b32 s17, 0
	s_mov_b32 s0, -1
	s_mov_b32 s12, 0
	s_cbranch_vccz .LBB296_33
; %bb.17:
	v_cvt_f32_i32_e32 v1, v0
	s_mov_b32 s12, -1
	s_mov_b32 s0, 0
	s_delay_alu instid0(VALU_DEP_1) | instskip(NEXT) | instid1(VALU_DEP_1)
	v_bfe_u32 v7, v1, 16, 1
	v_add3_u32 v1, v1, v7, 0x7fff
	s_delay_alu instid0(VALU_DEP_1)
	v_lshrrev_b32_e32 v1, 16, v1
	global_store_b32 v[2:3], v1, off
	s_branch .LBB296_33
.LBB296_18:
	s_mov_b32 s0, 0
                                        ; implicit-def: $vgpr2
	s_cbranch_execnz .LBB296_165
	s_branch .LBB296_197
.LBB296_19:
	s_mov_b32 s0, 0
	s_mov_b32 s12, 0
	s_cbranch_execnz .LBB296_102
.LBB296_20:
	s_and_not1_b32 vcc_lo, exec_lo, s12
	s_cbranch_vccnz .LBB296_246
	s_branch .LBB296_140
.LBB296_21:
	s_mov_b32 s12, -1
	s_mov_b32 s0, 0
                                        ; implicit-def: $vgpr2
	s_branch .LBB296_148
.LBB296_22:
	s_mov_b32 s17, -1
	s_mov_b32 s0, 0
	s_mov_b32 s12, 0
	s_branch .LBB296_60
.LBB296_23:
	s_mov_b32 s12, -1
	s_mov_b32 s0, 0
                                        ; implicit-def: $vgpr2
	s_branch .LBB296_143
.LBB296_24:
	s_mov_b32 s17, -1
	s_mov_b32 s0, 0
	s_mov_b32 s12, 0
	s_branch .LBB296_43
.LBB296_25:
	s_mov_b32 s12, -1
	s_branch .LBB296_28
.LBB296_26:
	s_mov_b32 s17, -1
	s_mov_b32 s0, 0
	s_mov_b32 s12, 0
	s_branch .LBB296_39
.LBB296_27:
	s_mov_b32 s14, -1
.LBB296_28:
	s_mov_b32 s0, 0
                                        ; implicit-def: $vgpr2
.LBB296_29:
	s_and_b32 vcc_lo, exec_lo, s12
	s_cbranch_vccz .LBB296_142
; %bb.30:
	v_cmp_eq_u16_e32 vcc_lo, 44, v5
	s_cbranch_vccz .LBB296_141
; %bb.31:
	global_load_u8 v2, v[0:1], off
	s_mov_b32 s14, 0
	s_mov_b32 s0, -1
	s_waitcnt vmcnt(0)
	v_lshlrev_b32_e32 v3, 23, v2
	v_cmp_ne_u32_e32 vcc_lo, 0, v2
	s_delay_alu instid0(VALU_DEP_2) | instskip(NEXT) | instid1(VALU_DEP_1)
	v_cvt_i32_f32_e32 v3, v3
	v_cndmask_b32_e32 v2, 0, v3, vcc_lo
	s_branch .LBB296_142
.LBB296_32:
	s_mov_b32 s17, -1
	s_mov_b32 s0, 0
	s_mov_b32 s12, 0
.LBB296_33:
	s_and_b32 vcc_lo, exec_lo, s17
	s_cbranch_vccz .LBB296_38
; %bb.34:
	v_cmp_eq_u16_e32 vcc_lo, 44, v6
	s_mov_b32 s0, -1
	s_cbranch_vccz .LBB296_38
; %bb.35:
	v_cvt_f32_i32_e32 v1, v0
	v_mov_b32_e32 v7, 0xff
	s_mov_b32 s12, exec_lo
	s_delay_alu instid0(VALU_DEP_2) | instskip(NEXT) | instid1(VALU_DEP_1)
	v_bfe_u32 v8, v1, 23, 8
	v_cmpx_ne_u32_e32 0xff, v8
; %bb.36:
	v_and_b32_e32 v7, 0x400000, v1
	v_and_or_b32 v8, 0x3fffff, v1, v8
	v_lshrrev_b32_e32 v1, 23, v1
	s_delay_alu instid0(VALU_DEP_3) | instskip(NEXT) | instid1(VALU_DEP_3)
	v_cmp_ne_u32_e32 vcc_lo, 0, v7
	v_cmp_ne_u32_e64 s0, 0, v8
	s_delay_alu instid0(VALU_DEP_1) | instskip(NEXT) | instid1(SALU_CYCLE_1)
	s_and_b32 s0, vcc_lo, s0
	v_cndmask_b32_e64 v7, 0, 1, s0
	s_delay_alu instid0(VALU_DEP_1)
	v_add_nc_u32_e32 v7, v1, v7
; %bb.37:
	s_or_b32 exec_lo, exec_lo, s12
	s_mov_b32 s12, -1
	s_mov_b32 s0, 0
	global_store_b8 v[2:3], v7, off
.LBB296_38:
	s_mov_b32 s17, 0
.LBB296_39:
	s_delay_alu instid0(SALU_CYCLE_1)
	s_and_b32 vcc_lo, exec_lo, s17
	s_cbranch_vccz .LBB296_42
; %bb.40:
	v_cmp_eq_u16_e32 vcc_lo, 29, v6
	s_mov_b32 s0, -1
	s_cbranch_vccz .LBB296_42
; %bb.41:
	v_ashrrev_i32_e32 v1, 31, v0
	s_mov_b32 s12, -1
	s_mov_b32 s0, 0
	s_mov_b32 s17, 0
	global_store_b64 v[2:3], v[0:1], off
	s_branch .LBB296_43
.LBB296_42:
	s_mov_b32 s17, 0
.LBB296_43:
	s_delay_alu instid0(SALU_CYCLE_1)
	s_and_b32 vcc_lo, exec_lo, s17
	s_cbranch_vccz .LBB296_59
; %bb.44:
	v_cmp_gt_i16_e32 vcc_lo, 27, v6
	s_mov_b32 s12, -1
	s_cbranch_vccnz .LBB296_50
; %bb.45:
	v_cmp_lt_i16_e32 vcc_lo, 27, v6
	s_cbranch_vccz .LBB296_47
; %bb.46:
	s_mov_b32 s12, 0
	global_store_b32 v[2:3], v0, off
.LBB296_47:
	s_and_not1_b32 vcc_lo, exec_lo, s12
	s_cbranch_vccnz .LBB296_49
; %bb.48:
	global_store_b16 v[2:3], v0, off
.LBB296_49:
	s_mov_b32 s12, 0
.LBB296_50:
	s_delay_alu instid0(SALU_CYCLE_1)
	s_and_not1_b32 vcc_lo, exec_lo, s12
	s_cbranch_vccnz .LBB296_58
; %bb.51:
	v_cvt_f32_i32_e32 v1, v0
	v_mov_b32_e32 v8, 0x80
	s_mov_b32 s12, exec_lo
	s_delay_alu instid0(VALU_DEP_2) | instskip(NEXT) | instid1(VALU_DEP_1)
	v_and_b32_e32 v7, 0x7fffffff, v1
	v_cmpx_gt_u32_e32 0x43800000, v7
	s_cbranch_execz .LBB296_57
; %bb.52:
	v_cmp_lt_u32_e32 vcc_lo, 0x3bffffff, v7
	s_mov_b32 s17, 0
                                        ; implicit-def: $vgpr7
	s_and_saveexec_b32 s18, vcc_lo
	s_delay_alu instid0(SALU_CYCLE_1)
	s_xor_b32 s18, exec_lo, s18
	s_cbranch_execz .LBB296_272
; %bb.53:
	v_bfe_u32 v7, v1, 20, 1
	s_mov_b32 s17, exec_lo
	s_delay_alu instid0(VALU_DEP_1) | instskip(NEXT) | instid1(VALU_DEP_1)
	v_add3_u32 v7, v1, v7, 0x487ffff
	v_lshrrev_b32_e32 v7, 20, v7
	s_or_saveexec_b32 s18, s18
                                        ; implicit-def: $sgpr19
	s_delay_alu instid0(SALU_CYCLE_1)
	s_xor_b32 exec_lo, exec_lo, s18
	s_cbranch_execnz .LBB296_273
.LBB296_54:
	s_or_b32 exec_lo, exec_lo, s18
	v_mov_b32_e32 v8, s19
	s_and_saveexec_b32 s18, s17
.LBB296_55:
	v_lshrrev_b32_e32 v1, 24, v1
	s_delay_alu instid0(VALU_DEP_1)
	v_and_or_b32 v8, 0x80, v1, v7
.LBB296_56:
	s_or_b32 exec_lo, exec_lo, s18
.LBB296_57:
	s_delay_alu instid0(SALU_CYCLE_1)
	s_or_b32 exec_lo, exec_lo, s12
	global_store_b8 v[2:3], v8, off
.LBB296_58:
	s_mov_b32 s12, -1
.LBB296_59:
	s_mov_b32 s17, 0
.LBB296_60:
	s_delay_alu instid0(SALU_CYCLE_1)
	s_and_b32 vcc_lo, exec_lo, s17
	s_cbranch_vccz .LBB296_101
; %bb.61:
	v_cmp_lt_i16_e32 vcc_lo, 22, v6
	s_mov_b32 s17, -1
	s_cbranch_vccz .LBB296_93
; %bb.62:
	v_cmp_gt_i16_e32 vcc_lo, 24, v6
	s_mov_b32 s12, -1
	s_cbranch_vccnz .LBB296_82
; %bb.63:
	v_cmp_lt_i16_e32 vcc_lo, 24, v6
	s_cbranch_vccz .LBB296_71
; %bb.64:
	v_cvt_f32_i32_e32 v1, v0
	v_mov_b32_e32 v8, 0x80
	s_mov_b32 s12, exec_lo
	s_delay_alu instid0(VALU_DEP_2) | instskip(NEXT) | instid1(VALU_DEP_1)
	v_and_b32_e32 v7, 0x7fffffff, v1
	v_cmpx_gt_u32_e32 0x47800000, v7
	s_cbranch_execz .LBB296_70
; %bb.65:
	v_cmp_lt_u32_e32 vcc_lo, 0x37ffffff, v7
	s_mov_b32 s17, 0
                                        ; implicit-def: $vgpr7
	s_and_saveexec_b32 s18, vcc_lo
	s_delay_alu instid0(SALU_CYCLE_1)
	s_xor_b32 s18, exec_lo, s18
	s_cbranch_execz .LBB296_276
; %bb.66:
	v_bfe_u32 v7, v1, 21, 1
	s_mov_b32 s17, exec_lo
	s_delay_alu instid0(VALU_DEP_1) | instskip(NEXT) | instid1(VALU_DEP_1)
	v_add3_u32 v7, v1, v7, 0x88fffff
	v_lshrrev_b32_e32 v7, 21, v7
	s_or_saveexec_b32 s18, s18
                                        ; implicit-def: $sgpr19
	s_delay_alu instid0(SALU_CYCLE_1)
	s_xor_b32 exec_lo, exec_lo, s18
	s_cbranch_execnz .LBB296_277
.LBB296_67:
	s_or_b32 exec_lo, exec_lo, s18
	v_mov_b32_e32 v8, s19
	s_and_saveexec_b32 s18, s17
.LBB296_68:
	v_lshrrev_b32_e32 v1, 24, v1
	s_delay_alu instid0(VALU_DEP_1)
	v_and_or_b32 v8, 0x80, v1, v7
.LBB296_69:
	s_or_b32 exec_lo, exec_lo, s18
.LBB296_70:
	s_delay_alu instid0(SALU_CYCLE_1)
	s_or_b32 exec_lo, exec_lo, s12
	s_mov_b32 s12, 0
	global_store_b8 v[2:3], v8, off
.LBB296_71:
	s_and_b32 vcc_lo, exec_lo, s12
	s_cbranch_vccz .LBB296_81
; %bb.72:
	v_cvt_f32_i32_e32 v1, v0
	s_mov_b32 s12, exec_lo
                                        ; implicit-def: $vgpr7
	s_delay_alu instid0(VALU_DEP_1) | instskip(NEXT) | instid1(VALU_DEP_1)
	v_and_b32_e32 v8, 0x7fffffff, v1
	v_cmpx_gt_u32_e32 0x43f00000, v8
	s_xor_b32 s12, exec_lo, s12
	s_cbranch_execz .LBB296_78
; %bb.73:
	s_mov_b32 s17, exec_lo
                                        ; implicit-def: $vgpr7
	v_cmpx_lt_u32_e32 0x3c7fffff, v8
	s_xor_b32 s17, exec_lo, s17
; %bb.74:
	v_bfe_u32 v7, v1, 20, 1
	s_delay_alu instid0(VALU_DEP_1) | instskip(NEXT) | instid1(VALU_DEP_1)
	v_add3_u32 v7, v1, v7, 0x407ffff
	v_and_b32_e32 v8, 0xff00000, v7
	v_lshrrev_b32_e32 v7, 20, v7
	s_delay_alu instid0(VALU_DEP_2) | instskip(NEXT) | instid1(VALU_DEP_2)
	v_cmp_ne_u32_e32 vcc_lo, 0x7f00000, v8
	v_cndmask_b32_e32 v7, 0x7e, v7, vcc_lo
; %bb.75:
	s_and_not1_saveexec_b32 s17, s17
; %bb.76:
	v_add_f32_e64 v7, 0x46800000, |v1|
; %bb.77:
	s_or_b32 exec_lo, exec_lo, s17
                                        ; implicit-def: $vgpr8
.LBB296_78:
	s_and_not1_saveexec_b32 s12, s12
; %bb.79:
	v_mov_b32_e32 v7, 0x7f
	v_cmp_lt_u32_e32 vcc_lo, 0x7f800000, v8
	s_delay_alu instid0(VALU_DEP_2)
	v_cndmask_b32_e32 v7, 0x7e, v7, vcc_lo
; %bb.80:
	s_or_b32 exec_lo, exec_lo, s12
	v_lshrrev_b32_e32 v1, 24, v1
	s_delay_alu instid0(VALU_DEP_1)
	v_and_or_b32 v1, 0x80, v1, v7
	global_store_b8 v[2:3], v1, off
.LBB296_81:
	s_mov_b32 s12, 0
.LBB296_82:
	s_delay_alu instid0(SALU_CYCLE_1)
	s_and_not1_b32 vcc_lo, exec_lo, s12
	s_cbranch_vccnz .LBB296_92
; %bb.83:
	v_cvt_f32_i32_e32 v1, v0
	s_mov_b32 s12, exec_lo
                                        ; implicit-def: $vgpr7
	s_delay_alu instid0(VALU_DEP_1) | instskip(NEXT) | instid1(VALU_DEP_1)
	v_and_b32_e32 v8, 0x7fffffff, v1
	v_cmpx_gt_u32_e32 0x47800000, v8
	s_xor_b32 s12, exec_lo, s12
	s_cbranch_execz .LBB296_89
; %bb.84:
	s_mov_b32 s17, exec_lo
                                        ; implicit-def: $vgpr7
	v_cmpx_lt_u32_e32 0x387fffff, v8
	s_xor_b32 s17, exec_lo, s17
; %bb.85:
	v_bfe_u32 v7, v1, 21, 1
	s_delay_alu instid0(VALU_DEP_1) | instskip(NEXT) | instid1(VALU_DEP_1)
	v_add3_u32 v7, v1, v7, 0x80fffff
	v_lshrrev_b32_e32 v7, 21, v7
; %bb.86:
	s_and_not1_saveexec_b32 s17, s17
; %bb.87:
	v_add_f32_e64 v7, 0x43000000, |v1|
; %bb.88:
	s_or_b32 exec_lo, exec_lo, s17
                                        ; implicit-def: $vgpr8
.LBB296_89:
	s_and_not1_saveexec_b32 s12, s12
; %bb.90:
	v_mov_b32_e32 v7, 0x7f
	v_cmp_lt_u32_e32 vcc_lo, 0x7f800000, v8
	s_delay_alu instid0(VALU_DEP_2)
	v_cndmask_b32_e32 v7, 0x7c, v7, vcc_lo
; %bb.91:
	s_or_b32 exec_lo, exec_lo, s12
	v_lshrrev_b32_e32 v1, 24, v1
	s_delay_alu instid0(VALU_DEP_1)
	v_and_or_b32 v1, 0x80, v1, v7
	global_store_b8 v[2:3], v1, off
.LBB296_92:
	s_mov_b32 s17, 0
	s_mov_b32 s12, -1
.LBB296_93:
	s_and_not1_b32 vcc_lo, exec_lo, s17
	s_cbranch_vccnz .LBB296_101
; %bb.94:
	v_cmp_lt_i16_e32 vcc_lo, 14, v6
	s_mov_b32 s17, -1
	s_cbranch_vccz .LBB296_98
; %bb.95:
	v_cmp_eq_u16_e32 vcc_lo, 15, v6
	s_mov_b32 s0, -1
	s_cbranch_vccz .LBB296_97
; %bb.96:
	v_cvt_f32_i32_e32 v1, v0
	s_mov_b32 s12, -1
	s_mov_b32 s0, 0
	s_delay_alu instid0(VALU_DEP_1) | instskip(NEXT) | instid1(VALU_DEP_1)
	v_bfe_u32 v7, v1, 16, 1
	v_add3_u32 v1, v1, v7, 0x7fff
	global_store_d16_hi_b16 v[2:3], v1, off
.LBB296_97:
	s_mov_b32 s17, 0
.LBB296_98:
	s_delay_alu instid0(SALU_CYCLE_1)
	s_and_b32 vcc_lo, exec_lo, s17
	s_cbranch_vccz .LBB296_101
; %bb.99:
	v_cmp_eq_u16_e32 vcc_lo, 11, v6
	s_mov_b32 s0, -1
	s_cbranch_vccz .LBB296_101
; %bb.100:
	v_cmp_ne_u32_e32 vcc_lo, 0, v0
	s_mov_b32 s0, 0
	s_mov_b32 s12, -1
	v_cndmask_b32_e64 v1, 0, 1, vcc_lo
	global_store_b8 v[2:3], v1, off
.LBB296_101:
	s_branch .LBB296_20
.LBB296_102:
	v_cmp_gt_i16_e32 vcc_lo, 5, v6
	s_mov_b32 s12, -1
	s_cbranch_vccnz .LBB296_123
; %bb.103:
	v_cmp_gt_i16_e32 vcc_lo, 8, v6
	s_cbranch_vccnz .LBB296_113
; %bb.104:
	v_cmp_gt_i16_e32 vcc_lo, 9, v6
	s_cbranch_vccnz .LBB296_110
; %bb.105:
	v_cmp_lt_i16_e32 vcc_lo, 9, v6
	s_cbranch_vccz .LBB296_107
; %bb.106:
	v_cvt_f64_i32_e32 v[7:8], v0
	v_mov_b32_e32 v9, 0
	s_mov_b32 s12, 0
	s_delay_alu instid0(VALU_DEP_1)
	v_mov_b32_e32 v10, v9
	global_store_b128 v[2:3], v[7:10], off
.LBB296_107:
	s_and_not1_b32 vcc_lo, exec_lo, s12
	s_cbranch_vccnz .LBB296_109
; %bb.108:
	v_cvt_f32_i32_e32 v7, v0
	v_mov_b32_e32 v8, 0
	global_store_b64 v[2:3], v[7:8], off
.LBB296_109:
	s_mov_b32 s12, 0
.LBB296_110:
	s_delay_alu instid0(SALU_CYCLE_1)
	s_and_not1_b32 vcc_lo, exec_lo, s12
	s_cbranch_vccnz .LBB296_112
; %bb.111:
	v_cvt_f32_i32_e32 v1, v0
	s_delay_alu instid0(VALU_DEP_1) | instskip(NEXT) | instid1(VALU_DEP_1)
	v_cvt_f16_f32_e32 v1, v1
	v_and_b32_e32 v1, 0xffff, v1
	global_store_b32 v[2:3], v1, off
.LBB296_112:
	s_mov_b32 s12, 0
.LBB296_113:
	s_delay_alu instid0(SALU_CYCLE_1)
	s_and_not1_b32 vcc_lo, exec_lo, s12
	s_cbranch_vccnz .LBB296_122
; %bb.114:
	v_cmp_gt_i16_e32 vcc_lo, 6, v6
	s_mov_b32 s12, -1
	s_cbranch_vccnz .LBB296_120
; %bb.115:
	v_cmp_lt_i16_e32 vcc_lo, 6, v6
	s_cbranch_vccz .LBB296_117
; %bb.116:
	v_cvt_f64_i32_e32 v[7:8], v0
	s_mov_b32 s12, 0
	global_store_b64 v[2:3], v[7:8], off
.LBB296_117:
	s_and_not1_b32 vcc_lo, exec_lo, s12
	s_cbranch_vccnz .LBB296_119
; %bb.118:
	v_cvt_f32_i32_e32 v1, v0
	global_store_b32 v[2:3], v1, off
.LBB296_119:
	s_mov_b32 s12, 0
.LBB296_120:
	s_delay_alu instid0(SALU_CYCLE_1)
	s_and_not1_b32 vcc_lo, exec_lo, s12
	s_cbranch_vccnz .LBB296_122
; %bb.121:
	v_cvt_f32_i32_e32 v1, v0
	s_delay_alu instid0(VALU_DEP_1)
	v_cvt_f16_f32_e32 v1, v1
	global_store_b16 v[2:3], v1, off
.LBB296_122:
	s_mov_b32 s12, 0
.LBB296_123:
	s_delay_alu instid0(SALU_CYCLE_1)
	s_and_not1_b32 vcc_lo, exec_lo, s12
	s_cbranch_vccnz .LBB296_139
; %bb.124:
	v_cmp_gt_i16_e32 vcc_lo, 2, v6
	s_mov_b32 s12, -1
	s_cbranch_vccnz .LBB296_134
; %bb.125:
	v_cmp_gt_i16_e32 vcc_lo, 3, v6
	s_cbranch_vccnz .LBB296_131
; %bb.126:
	v_cmp_lt_i16_e32 vcc_lo, 3, v6
	s_cbranch_vccz .LBB296_128
; %bb.127:
	v_ashrrev_i32_e32 v1, 31, v0
	s_mov_b32 s12, 0
	global_store_b64 v[2:3], v[0:1], off
.LBB296_128:
	s_and_not1_b32 vcc_lo, exec_lo, s12
	s_cbranch_vccnz .LBB296_130
; %bb.129:
	global_store_b32 v[2:3], v0, off
.LBB296_130:
	s_mov_b32 s12, 0
.LBB296_131:
	s_delay_alu instid0(SALU_CYCLE_1)
	s_and_not1_b32 vcc_lo, exec_lo, s12
	s_cbranch_vccnz .LBB296_133
; %bb.132:
	global_store_b16 v[2:3], v0, off
.LBB296_133:
	s_mov_b32 s12, 0
.LBB296_134:
	s_delay_alu instid0(SALU_CYCLE_1)
	s_and_not1_b32 vcc_lo, exec_lo, s12
	s_cbranch_vccnz .LBB296_139
; %bb.135:
	v_cmp_lt_i16_e32 vcc_lo, 0, v6
	s_mov_b32 s12, -1
	s_cbranch_vccz .LBB296_137
; %bb.136:
	s_mov_b32 s12, 0
	global_store_b8 v[2:3], v0, off
.LBB296_137:
	s_and_not1_b32 vcc_lo, exec_lo, s12
	s_cbranch_vccnz .LBB296_139
; %bb.138:
	global_store_b8 v[2:3], v0, off
.LBB296_139:
.LBB296_140:
	v_add_nc_u32_e32 v4, 0x80, v4
	s_mov_b32 s17, -1
	s_branch .LBB296_247
.LBB296_141:
	s_mov_b32 s14, -1
                                        ; implicit-def: $vgpr2
.LBB296_142:
	s_mov_b32 s12, 0
.LBB296_143:
	s_delay_alu instid0(SALU_CYCLE_1)
	s_and_b32 vcc_lo, exec_lo, s12
	s_cbranch_vccz .LBB296_147
; %bb.144:
	v_cmp_eq_u16_e32 vcc_lo, 29, v5
	s_cbranch_vccz .LBB296_146
; %bb.145:
	global_load_b32 v2, v[0:1], off
	s_mov_b32 s0, -1
	s_mov_b32 s14, 0
	s_branch .LBB296_147
.LBB296_146:
	s_mov_b32 s14, -1
                                        ; implicit-def: $vgpr2
.LBB296_147:
	s_mov_b32 s12, 0
.LBB296_148:
	s_delay_alu instid0(SALU_CYCLE_1)
	s_and_b32 vcc_lo, exec_lo, s12
	s_cbranch_vccz .LBB296_164
; %bb.149:
	v_cmp_gt_i16_e32 vcc_lo, 27, v5
	s_cbranch_vccnz .LBB296_152
; %bb.150:
	v_cmp_lt_i16_e32 vcc_lo, 27, v5
	s_cbranch_vccz .LBB296_153
; %bb.151:
	global_load_b32 v2, v[0:1], off
	s_mov_b32 s0, 0
	s_branch .LBB296_154
.LBB296_152:
	s_mov_b32 s0, -1
                                        ; implicit-def: $vgpr2
	s_branch .LBB296_157
.LBB296_153:
	s_mov_b32 s0, -1
                                        ; implicit-def: $vgpr2
.LBB296_154:
	s_delay_alu instid0(SALU_CYCLE_1)
	s_and_not1_b32 vcc_lo, exec_lo, s0
	s_cbranch_vccnz .LBB296_156
; %bb.155:
	global_load_u16 v2, v[0:1], off
.LBB296_156:
	s_mov_b32 s0, 0
.LBB296_157:
	s_delay_alu instid0(SALU_CYCLE_1)
	s_and_not1_b32 vcc_lo, exec_lo, s0
	s_cbranch_vccnz .LBB296_163
; %bb.158:
	global_load_u8 v3, v[0:1], off
	s_mov_b32 s0, 0
	s_mov_b32 s12, exec_lo
                                        ; implicit-def: $sgpr17
	s_waitcnt vmcnt(0)
	v_cmpx_lt_i16_e32 0x7f, v3
	s_xor_b32 s12, exec_lo, s12
	s_cbranch_execz .LBB296_174
; %bb.159:
	v_cmp_ne_u16_e32 vcc_lo, 0x80, v3
	s_mov_b32 s17, 0
	s_and_b32 s0, vcc_lo, exec_lo
	s_or_saveexec_b32 s12, s12
	v_mov_b32_e32 v2, s17
	s_xor_b32 exec_lo, exec_lo, s12
	s_cbranch_execnz .LBB296_175
.LBB296_160:
	s_or_b32 exec_lo, exec_lo, s12
	s_and_saveexec_b32 s12, s0
	s_cbranch_execz .LBB296_162
.LBB296_161:
	v_and_b32_e32 v2, 0xffff, v3
	s_delay_alu instid0(VALU_DEP_1) | instskip(NEXT) | instid1(VALU_DEP_1)
	v_and_b32_e32 v6, 7, v2
	v_clz_i32_u32_e32 v7, v6
	s_delay_alu instid0(VALU_DEP_1) | instskip(NEXT) | instid1(VALU_DEP_1)
	v_min_u32_e32 v7, 32, v7
	v_subrev_nc_u32_e32 v8, 28, v7
	v_sub_nc_u32_e32 v7, 29, v7
	s_delay_alu instid0(VALU_DEP_2) | instskip(SKIP_1) | instid1(VALU_DEP_2)
	v_lshlrev_b32_e32 v8, v8, v2
	v_bfe_u32 v2, v2, 3, 4
	v_and_b32_e32 v8, 7, v8
	s_delay_alu instid0(VALU_DEP_2) | instskip(NEXT) | instid1(VALU_DEP_2)
	v_cmp_eq_u32_e32 vcc_lo, 0, v2
	v_dual_cndmask_b32 v6, v6, v8 :: v_dual_lshlrev_b32 v3, 24, v3
	v_cndmask_b32_e32 v2, v2, v7, vcc_lo
	s_delay_alu instid0(VALU_DEP_2) | instskip(NEXT) | instid1(VALU_DEP_3)
	v_and_b32_e32 v3, 0x80000000, v3
	v_lshlrev_b32_e32 v6, 20, v6
	s_delay_alu instid0(VALU_DEP_3) | instskip(NEXT) | instid1(VALU_DEP_1)
	v_lshl_add_u32 v2, v2, 23, 0x3b800000
	v_or3_b32 v2, v3, v2, v6
	s_delay_alu instid0(VALU_DEP_1)
	v_cvt_i32_f32_e32 v2, v2
.LBB296_162:
	s_or_b32 exec_lo, exec_lo, s12
.LBB296_163:
	s_mov_b32 s0, -1
.LBB296_164:
	s_branch .LBB296_197
.LBB296_165:
	v_cmp_lt_i16_e32 vcc_lo, 22, v5
	s_cbranch_vccz .LBB296_173
; %bb.166:
	v_cmp_gt_i16_e32 vcc_lo, 24, v5
	s_cbranch_vccnz .LBB296_176
; %bb.167:
	v_cmp_lt_i16_e32 vcc_lo, 24, v5
	s_cbranch_vccz .LBB296_177
; %bb.168:
	global_load_u8 v3, v[0:1], off
	s_mov_b32 s0, 0
	s_mov_b32 s12, exec_lo
                                        ; implicit-def: $sgpr17
	s_waitcnt vmcnt(0)
	v_cmpx_lt_i16_e32 0x7f, v3
	s_xor_b32 s12, exec_lo, s12
	s_cbranch_execz .LBB296_189
; %bb.169:
	v_cmp_ne_u16_e32 vcc_lo, 0x80, v3
	s_mov_b32 s17, 0
	s_and_b32 s0, vcc_lo, exec_lo
	s_or_saveexec_b32 s12, s12
	v_mov_b32_e32 v2, s17
	s_xor_b32 exec_lo, exec_lo, s12
	s_cbranch_execnz .LBB296_190
.LBB296_170:
	s_or_b32 exec_lo, exec_lo, s12
	s_and_saveexec_b32 s12, s0
	s_cbranch_execz .LBB296_172
.LBB296_171:
	v_and_b32_e32 v2, 0xffff, v3
	s_delay_alu instid0(VALU_DEP_1) | instskip(NEXT) | instid1(VALU_DEP_1)
	v_and_b32_e32 v6, 3, v2
	v_clz_i32_u32_e32 v7, v6
	s_delay_alu instid0(VALU_DEP_1) | instskip(NEXT) | instid1(VALU_DEP_1)
	v_min_u32_e32 v7, 32, v7
	v_subrev_nc_u32_e32 v8, 29, v7
	v_sub_nc_u32_e32 v7, 30, v7
	s_delay_alu instid0(VALU_DEP_2) | instskip(SKIP_1) | instid1(VALU_DEP_2)
	v_lshlrev_b32_e32 v8, v8, v2
	v_bfe_u32 v2, v2, 2, 5
	v_and_b32_e32 v8, 3, v8
	s_delay_alu instid0(VALU_DEP_2) | instskip(NEXT) | instid1(VALU_DEP_2)
	v_cmp_eq_u32_e32 vcc_lo, 0, v2
	v_dual_cndmask_b32 v6, v6, v8 :: v_dual_lshlrev_b32 v3, 24, v3
	v_cndmask_b32_e32 v2, v2, v7, vcc_lo
	s_delay_alu instid0(VALU_DEP_2) | instskip(NEXT) | instid1(VALU_DEP_3)
	v_and_b32_e32 v3, 0x80000000, v3
	v_lshlrev_b32_e32 v6, 21, v6
	s_delay_alu instid0(VALU_DEP_3) | instskip(NEXT) | instid1(VALU_DEP_1)
	v_lshl_add_u32 v2, v2, 23, 0x37800000
	v_or3_b32 v2, v3, v2, v6
	s_delay_alu instid0(VALU_DEP_1)
	v_cvt_i32_f32_e32 v2, v2
.LBB296_172:
	s_or_b32 exec_lo, exec_lo, s12
	s_mov_b32 s0, 0
	s_branch .LBB296_178
.LBB296_173:
	s_mov_b32 s12, -1
                                        ; implicit-def: $vgpr2
	s_branch .LBB296_184
.LBB296_174:
	s_or_saveexec_b32 s12, s12
	v_mov_b32_e32 v2, s17
	s_xor_b32 exec_lo, exec_lo, s12
	s_cbranch_execz .LBB296_160
.LBB296_175:
	v_cmp_ne_u16_e32 vcc_lo, 0, v3
	v_mov_b32_e32 v2, 0
	s_and_not1_b32 s0, s0, exec_lo
	s_and_b32 s17, vcc_lo, exec_lo
	s_delay_alu instid0(SALU_CYCLE_1)
	s_or_b32 s0, s0, s17
	s_or_b32 exec_lo, exec_lo, s12
	s_and_saveexec_b32 s12, s0
	s_cbranch_execnz .LBB296_161
	s_branch .LBB296_162
.LBB296_176:
	s_mov_b32 s0, -1
                                        ; implicit-def: $vgpr2
	s_branch .LBB296_181
.LBB296_177:
	s_mov_b32 s0, -1
                                        ; implicit-def: $vgpr2
.LBB296_178:
	s_delay_alu instid0(SALU_CYCLE_1)
	s_and_b32 vcc_lo, exec_lo, s0
	s_cbranch_vccz .LBB296_180
; %bb.179:
	global_load_u8 v2, v[0:1], off
	s_waitcnt vmcnt(0)
	v_lshlrev_b32_e32 v2, 24, v2
	s_delay_alu instid0(VALU_DEP_1) | instskip(NEXT) | instid1(VALU_DEP_1)
	v_and_b32_e32 v3, 0x7f000000, v2
	v_clz_i32_u32_e32 v6, v3
	v_cmp_ne_u32_e32 vcc_lo, 0, v3
	v_add_nc_u32_e32 v8, 0x1000000, v3
	s_delay_alu instid0(VALU_DEP_3) | instskip(NEXT) | instid1(VALU_DEP_1)
	v_min_u32_e32 v6, 32, v6
	v_sub_nc_u32_e64 v6, v6, 4 clamp
	s_delay_alu instid0(VALU_DEP_1) | instskip(SKIP_1) | instid1(VALU_DEP_2)
	v_lshlrev_b32_e32 v7, v6, v3
	v_lshlrev_b32_e32 v6, 23, v6
	v_lshrrev_b32_e32 v7, 4, v7
	s_delay_alu instid0(VALU_DEP_1) | instskip(SKIP_1) | instid1(VALU_DEP_2)
	v_sub_nc_u32_e32 v6, v7, v6
	v_ashrrev_i32_e32 v7, 8, v8
	v_add_nc_u32_e32 v6, 0x3c000000, v6
	s_delay_alu instid0(VALU_DEP_1) | instskip(NEXT) | instid1(VALU_DEP_1)
	v_and_or_b32 v6, 0x7f800000, v7, v6
	v_cndmask_b32_e32 v3, 0, v6, vcc_lo
	s_delay_alu instid0(VALU_DEP_1) | instskip(NEXT) | instid1(VALU_DEP_1)
	v_and_or_b32 v2, 0x80000000, v2, v3
	v_cvt_i32_f32_e32 v2, v2
.LBB296_180:
	s_mov_b32 s0, 0
.LBB296_181:
	s_delay_alu instid0(SALU_CYCLE_1)
	s_and_not1_b32 vcc_lo, exec_lo, s0
	s_cbranch_vccnz .LBB296_183
; %bb.182:
	global_load_u8 v2, v[0:1], off
	s_waitcnt vmcnt(0)
	v_lshlrev_b32_e32 v3, 25, v2
	v_lshlrev_b16 v2, 8, v2
	s_delay_alu instid0(VALU_DEP_2) | instskip(NEXT) | instid1(VALU_DEP_2)
	v_lshrrev_b32_e32 v6, 4, v3
	v_and_or_b32 v7, 0x7f00, v2, 0.5
	v_cmp_gt_u32_e32 vcc_lo, 0x8000000, v3
	v_bfe_i32 v2, v2, 0, 16
	s_delay_alu instid0(VALU_DEP_4) | instskip(NEXT) | instid1(VALU_DEP_1)
	v_or_b32_e32 v6, 0x70000000, v6
	v_dual_add_f32 v7, -0.5, v7 :: v_dual_mul_f32 v6, 0x7800000, v6
	s_delay_alu instid0(VALU_DEP_1) | instskip(NEXT) | instid1(VALU_DEP_1)
	v_cndmask_b32_e32 v3, v6, v7, vcc_lo
	v_and_or_b32 v2, 0x80000000, v2, v3
	s_delay_alu instid0(VALU_DEP_1)
	v_cvt_i32_f32_e32 v2, v2
.LBB296_183:
	s_mov_b32 s12, 0
	s_mov_b32 s0, -1
.LBB296_184:
	s_and_not1_b32 vcc_lo, exec_lo, s12
	s_cbranch_vccnz .LBB296_197
; %bb.185:
	v_cmp_lt_i16_e32 vcc_lo, 14, v5
	s_cbranch_vccz .LBB296_188
; %bb.186:
	v_cmp_eq_u16_e32 vcc_lo, 15, v5
	s_cbranch_vccz .LBB296_191
; %bb.187:
	global_load_u16 v2, v[0:1], off
	s_mov_b32 s0, -1
	s_mov_b32 s14, 0
	s_waitcnt vmcnt(0)
	v_lshlrev_b32_e32 v2, 16, v2
	s_delay_alu instid0(VALU_DEP_1)
	v_cvt_i32_f32_e32 v2, v2
	s_branch .LBB296_192
.LBB296_188:
	s_mov_b32 s12, -1
                                        ; implicit-def: $vgpr2
	s_branch .LBB296_193
.LBB296_189:
	s_or_saveexec_b32 s12, s12
	v_mov_b32_e32 v2, s17
	s_xor_b32 exec_lo, exec_lo, s12
	s_cbranch_execz .LBB296_170
.LBB296_190:
	v_cmp_ne_u16_e32 vcc_lo, 0, v3
	v_mov_b32_e32 v2, 0
	s_and_not1_b32 s0, s0, exec_lo
	s_and_b32 s17, vcc_lo, exec_lo
	s_delay_alu instid0(SALU_CYCLE_1)
	s_or_b32 s0, s0, s17
	s_or_b32 exec_lo, exec_lo, s12
	s_and_saveexec_b32 s12, s0
	s_cbranch_execnz .LBB296_171
	s_branch .LBB296_172
.LBB296_191:
	s_mov_b32 s14, -1
                                        ; implicit-def: $vgpr2
.LBB296_192:
	s_mov_b32 s12, 0
.LBB296_193:
	s_delay_alu instid0(SALU_CYCLE_1)
	s_and_b32 vcc_lo, exec_lo, s12
	s_cbranch_vccz .LBB296_197
; %bb.194:
	v_cmp_eq_u16_e32 vcc_lo, 11, v5
	s_cbranch_vccz .LBB296_196
; %bb.195:
	global_load_u8 v2, v[0:1], off
	s_mov_b32 s14, 0
	s_mov_b32 s0, -1
	s_waitcnt vmcnt(0)
	v_cmp_ne_u16_e32 vcc_lo, 0, v2
	v_cndmask_b32_e64 v2, 0, 1, vcc_lo
	s_branch .LBB296_197
.LBB296_196:
	s_mov_b32 s14, -1
                                        ; implicit-def: $vgpr2
.LBB296_197:
	s_branch .LBB296_10
.LBB296_198:
	v_cmp_gt_i16_e32 vcc_lo, 5, v5
	s_cbranch_vccnz .LBB296_203
; %bb.199:
	v_cmp_gt_i16_e32 vcc_lo, 8, v5
	s_cbranch_vccnz .LBB296_204
; %bb.200:
	;; [unrolled: 3-line block ×3, first 2 shown]
	v_cmp_lt_i16_e32 vcc_lo, 9, v5
	s_cbranch_vccz .LBB296_206
; %bb.202:
	global_load_b64 v[2:3], v[0:1], off
	s_mov_b32 s0, 0
	s_waitcnt vmcnt(0)
	v_cvt_i32_f64_e32 v2, v[2:3]
	s_branch .LBB296_207
.LBB296_203:
                                        ; implicit-def: $vgpr2
	s_branch .LBB296_225
.LBB296_204:
	s_mov_b32 s0, -1
                                        ; implicit-def: $vgpr2
	s_branch .LBB296_213
.LBB296_205:
	s_mov_b32 s0, -1
                                        ; implicit-def: $vgpr2
	s_branch .LBB296_210
.LBB296_206:
	s_mov_b32 s0, -1
                                        ; implicit-def: $vgpr2
.LBB296_207:
	s_delay_alu instid0(SALU_CYCLE_1)
	s_and_not1_b32 vcc_lo, exec_lo, s0
	s_cbranch_vccnz .LBB296_209
; %bb.208:
	global_load_b32 v2, v[0:1], off
	s_waitcnt vmcnt(0)
	v_cvt_i32_f32_e32 v2, v2
.LBB296_209:
	s_mov_b32 s0, 0
.LBB296_210:
	s_delay_alu instid0(SALU_CYCLE_1)
	s_and_not1_b32 vcc_lo, exec_lo, s0
	s_cbranch_vccnz .LBB296_212
; %bb.211:
	global_load_b32 v2, v[0:1], off
	s_waitcnt vmcnt(0)
	v_cvt_f32_f16_e32 v2, v2
	s_delay_alu instid0(VALU_DEP_1)
	v_cvt_i32_f32_e32 v2, v2
.LBB296_212:
	s_mov_b32 s0, 0
.LBB296_213:
	s_delay_alu instid0(SALU_CYCLE_1)
	s_and_not1_b32 vcc_lo, exec_lo, s0
	s_cbranch_vccnz .LBB296_224
; %bb.214:
	v_cmp_gt_i16_e32 vcc_lo, 6, v5
	s_cbranch_vccnz .LBB296_217
; %bb.215:
	v_cmp_lt_i16_e32 vcc_lo, 6, v5
	s_cbranch_vccz .LBB296_218
; %bb.216:
	global_load_b64 v[2:3], v[0:1], off
	s_mov_b32 s0, 0
	s_waitcnt vmcnt(0)
	v_cvt_i32_f64_e32 v2, v[2:3]
	s_branch .LBB296_219
.LBB296_217:
	s_mov_b32 s0, -1
                                        ; implicit-def: $vgpr2
	s_branch .LBB296_222
.LBB296_218:
	s_mov_b32 s0, -1
                                        ; implicit-def: $vgpr2
.LBB296_219:
	s_delay_alu instid0(SALU_CYCLE_1)
	s_and_not1_b32 vcc_lo, exec_lo, s0
	s_cbranch_vccnz .LBB296_221
; %bb.220:
	global_load_b32 v2, v[0:1], off
	s_waitcnt vmcnt(0)
	v_cvt_i32_f32_e32 v2, v2
.LBB296_221:
	s_mov_b32 s0, 0
.LBB296_222:
	s_delay_alu instid0(SALU_CYCLE_1)
	s_and_not1_b32 vcc_lo, exec_lo, s0
	s_cbranch_vccnz .LBB296_224
; %bb.223:
	global_load_u16 v2, v[0:1], off
	s_waitcnt vmcnt(0)
	v_cvt_f32_f16_e32 v2, v2
	s_delay_alu instid0(VALU_DEP_1)
	v_cvt_i32_f32_e32 v2, v2
.LBB296_224:
	s_cbranch_execnz .LBB296_244
.LBB296_225:
	v_cmp_gt_i16_e32 vcc_lo, 2, v5
	s_cbranch_vccnz .LBB296_229
; %bb.226:
	v_cmp_gt_i16_e32 vcc_lo, 3, v5
	s_cbranch_vccnz .LBB296_230
; %bb.227:
	v_cmp_lt_i16_e32 vcc_lo, 3, v5
	s_cbranch_vccz .LBB296_231
; %bb.228:
	global_load_b32 v2, v[0:1], off
	s_mov_b32 s0, 0
	s_branch .LBB296_232
.LBB296_229:
	s_mov_b32 s0, -1
                                        ; implicit-def: $vgpr2
	s_branch .LBB296_238
.LBB296_230:
	s_mov_b32 s0, -1
                                        ; implicit-def: $vgpr2
	s_branch .LBB296_235
.LBB296_231:
	s_mov_b32 s0, -1
                                        ; implicit-def: $vgpr2
.LBB296_232:
	s_delay_alu instid0(SALU_CYCLE_1)
	s_and_not1_b32 vcc_lo, exec_lo, s0
	s_cbranch_vccnz .LBB296_234
; %bb.233:
	global_load_b32 v2, v[0:1], off
.LBB296_234:
	s_mov_b32 s0, 0
.LBB296_235:
	s_delay_alu instid0(SALU_CYCLE_1)
	s_and_not1_b32 vcc_lo, exec_lo, s0
	s_cbranch_vccnz .LBB296_237
; %bb.236:
	global_load_i16 v2, v[0:1], off
.LBB296_237:
	s_mov_b32 s0, 0
.LBB296_238:
	s_delay_alu instid0(SALU_CYCLE_1)
	s_and_not1_b32 vcc_lo, exec_lo, s0
	s_cbranch_vccnz .LBB296_244
; %bb.239:
	v_cmp_lt_i16_e32 vcc_lo, 0, v5
	s_mov_b32 s0, 0
	s_cbranch_vccz .LBB296_241
; %bb.240:
	global_load_i8 v2, v[0:1], off
	s_branch .LBB296_242
.LBB296_241:
	s_mov_b32 s0, -1
                                        ; implicit-def: $vgpr2
.LBB296_242:
	s_delay_alu instid0(SALU_CYCLE_1)
	s_and_not1_b32 vcc_lo, exec_lo, s0
	s_cbranch_vccnz .LBB296_244
; %bb.243:
	global_load_u8 v2, v[0:1], off
.LBB296_244:
	s_branch .LBB296_11
.LBB296_245:
	s_mov_b32 s0, 0
.LBB296_246:
	s_mov_b32 s17, 0
                                        ; implicit-def: $vgpr4
.LBB296_247:
	s_and_b32 s12, s0, exec_lo
	s_and_b32 s14, s14, exec_lo
	s_or_not1_b32 s18, s17, exec_lo
.LBB296_248:
	s_or_b32 exec_lo, exec_lo, s15
	s_mov_b32 s17, 0
	s_mov_b32 s0, 0
                                        ; implicit-def: $vgpr0_vgpr1
                                        ; implicit-def: $vgpr6
	s_and_saveexec_b32 s15, s18
	s_cbranch_execz .LBB296_844
; %bb.249:
	s_mov_b32 s20, -1
	s_mov_b32 s16, s14
	s_mov_b32 s17, s12
	s_mov_b32 s18, exec_lo
	v_cmpx_gt_i32_e64 s13, v4
	s_cbranch_execz .LBB296_504
; %bb.250:
	v_mul_lo_u32 v0, v4, s9
	v_cmp_gt_i16_e32 vcc_lo, 11, v5
	s_delay_alu instid0(VALU_DEP_2) | instskip(SKIP_1) | instid1(VALU_DEP_1)
	v_ashrrev_i32_e32 v1, 31, v0
	v_add_co_u32 v0, s0, s6, v0
	v_add_co_ci_u32_e64 v1, s0, s7, v1, s0
	s_cbranch_vccnz .LBB296_257
; %bb.251:
	v_cmp_lt_i16_e32 vcc_lo, 25, v5
	s_cbranch_vccz .LBB296_266
; %bb.252:
	v_cmp_lt_i16_e32 vcc_lo, 28, v5
	s_cbranch_vccz .LBB296_268
	;; [unrolled: 3-line block ×4, first 2 shown]
; %bb.255:
	v_cmp_eq_u16_e32 vcc_lo, 46, v5
	s_mov_b32 s17, 0
	s_cbranch_vccz .LBB296_278
; %bb.256:
	global_load_b32 v2, v[0:1], off
	s_mov_b32 s0, -1
	s_mov_b32 s16, 0
	s_waitcnt vmcnt(0)
	v_lshlrev_b32_e32 v2, 16, v2
	s_delay_alu instid0(VALU_DEP_1)
	v_cvt_i32_f32_e32 v2, v2
	s_branch .LBB296_280
.LBB296_257:
	s_mov_b32 s0, 0
	s_mov_b32 s16, s14
                                        ; implicit-def: $vgpr2
	s_cbranch_execnz .LBB296_453
.LBB296_258:
	s_and_not1_b32 vcc_lo, exec_lo, s0
	s_cbranch_vccnz .LBB296_501
.LBB296_259:
	v_mul_lo_u32 v1, v4, s8
	v_and_b32_e64 v6, 0xff, s2
	s_waitcnt vmcnt(0)
	s_delay_alu instid0(VALU_DEP_3) | instskip(NEXT) | instid1(VALU_DEP_2)
	v_maxmin_i32 v0, v2, s10, s11
	v_cmp_gt_i16_e32 vcc_lo, 11, v6
	s_delay_alu instid0(VALU_DEP_4) | instskip(SKIP_1) | instid1(VALU_DEP_1)
	v_ashrrev_i32_e32 v3, 31, v1
	v_add_co_u32 v2, s0, s4, v1
	v_add_co_ci_u32_e64 v3, s0, s5, v3, s0
	s_cbranch_vccnz .LBB296_267
; %bb.260:
	v_cmp_lt_i16_e32 vcc_lo, 25, v6
	s_cbranch_vccz .LBB296_269
; %bb.261:
	v_cmp_lt_i16_e32 vcc_lo, 28, v6
	s_cbranch_vccz .LBB296_271
	;; [unrolled: 3-line block ×4, first 2 shown]
; %bb.264:
	v_cmp_eq_u16_e32 vcc_lo, 46, v6
	s_mov_b32 s19, 0
	s_mov_b32 s0, -1
	s_mov_b32 s17, 0
	s_cbranch_vccz .LBB296_284
; %bb.265:
	v_cvt_f32_i32_e32 v1, v0
	s_mov_b32 s17, -1
	s_mov_b32 s0, 0
	s_delay_alu instid0(VALU_DEP_1) | instskip(NEXT) | instid1(VALU_DEP_1)
	v_bfe_u32 v7, v1, 16, 1
	v_add3_u32 v1, v1, v7, 0x7fff
	s_delay_alu instid0(VALU_DEP_1)
	v_lshrrev_b32_e32 v1, 16, v1
	global_store_b32 v[2:3], v1, off
	s_branch .LBB296_284
.LBB296_266:
	s_mov_b32 s17, -1
	s_mov_b32 s0, 0
	s_mov_b32 s16, s14
                                        ; implicit-def: $vgpr2
	s_branch .LBB296_419
.LBB296_267:
	s_mov_b32 s19, -1
	s_mov_b32 s17, 0
	s_mov_b32 s0, s12
	s_branch .LBB296_353
.LBB296_268:
	s_mov_b32 s17, -1
	s_mov_b32 s0, 0
	s_mov_b32 s16, s14
                                        ; implicit-def: $vgpr2
	s_branch .LBB296_402
.LBB296_269:
	s_mov_b32 s19, -1
	s_mov_b32 s17, 0
	s_mov_b32 s0, s12
	s_branch .LBB296_311
.LBB296_270:
	s_mov_b32 s17, -1
	s_mov_b32 s0, 0
	s_mov_b32 s16, s14
                                        ; implicit-def: $vgpr2
	s_branch .LBB296_397
.LBB296_271:
	s_mov_b32 s19, -1
	s_mov_b32 s17, 0
	s_mov_b32 s0, s12
	s_branch .LBB296_294
.LBB296_272:
	s_or_saveexec_b32 s18, s18
                                        ; implicit-def: $sgpr19
	s_delay_alu instid0(SALU_CYCLE_1)
	s_xor_b32 exec_lo, exec_lo, s18
	s_cbranch_execz .LBB296_54
.LBB296_273:
	v_add_f32_e64 v7, 0x46000000, |v1|
	s_and_not1_b32 s17, s17, exec_lo
	s_mov_b32 s19, 0
	s_delay_alu instid0(VALU_DEP_1) | instskip(NEXT) | instid1(VALU_DEP_1)
	v_and_b32_e32 v7, 0xff, v7
	v_cmp_ne_u32_e32 vcc_lo, 0, v7
	s_and_b32 s20, vcc_lo, exec_lo
	s_delay_alu instid0(SALU_CYCLE_1)
	s_or_b32 s17, s17, s20
	s_or_b32 exec_lo, exec_lo, s18
	v_mov_b32_e32 v8, s19
	s_and_saveexec_b32 s18, s17
	s_cbranch_execnz .LBB296_55
	s_branch .LBB296_56
.LBB296_274:
	s_mov_b32 s17, -1
	s_mov_b32 s0, 0
	s_mov_b32 s16, s14
	s_branch .LBB296_279
.LBB296_275:
	s_mov_b32 s19, -1
	s_mov_b32 s17, 0
	s_mov_b32 s0, s12
	s_branch .LBB296_290
.LBB296_276:
	s_or_saveexec_b32 s18, s18
                                        ; implicit-def: $sgpr19
	s_delay_alu instid0(SALU_CYCLE_1)
	s_xor_b32 exec_lo, exec_lo, s18
	s_cbranch_execz .LBB296_67
.LBB296_277:
	v_add_f32_e64 v7, 0x42800000, |v1|
	s_and_not1_b32 s17, s17, exec_lo
	s_mov_b32 s19, 0
	s_delay_alu instid0(VALU_DEP_1) | instskip(NEXT) | instid1(VALU_DEP_1)
	v_and_b32_e32 v7, 0xff, v7
	v_cmp_ne_u32_e32 vcc_lo, 0, v7
	s_and_b32 s20, vcc_lo, exec_lo
	s_delay_alu instid0(SALU_CYCLE_1)
	s_or_b32 s17, s17, s20
	s_or_b32 exec_lo, exec_lo, s18
	v_mov_b32_e32 v8, s19
	s_and_saveexec_b32 s18, s17
	s_cbranch_execnz .LBB296_68
	s_branch .LBB296_69
.LBB296_278:
	s_mov_b32 s16, -1
	s_mov_b32 s0, 0
.LBB296_279:
                                        ; implicit-def: $vgpr2
.LBB296_280:
	s_and_b32 vcc_lo, exec_lo, s17
	s_cbranch_vccz .LBB296_396
; %bb.281:
	v_cmp_eq_u16_e32 vcc_lo, 44, v5
	s_cbranch_vccz .LBB296_395
; %bb.282:
	global_load_u8 v2, v[0:1], off
	s_mov_b32 s16, 0
	s_mov_b32 s0, -1
	s_waitcnt vmcnt(0)
	v_lshlrev_b32_e32 v3, 23, v2
	v_cmp_ne_u32_e32 vcc_lo, 0, v2
	s_delay_alu instid0(VALU_DEP_2) | instskip(NEXT) | instid1(VALU_DEP_1)
	v_cvt_i32_f32_e32 v3, v3
	v_cndmask_b32_e32 v2, 0, v3, vcc_lo
	s_branch .LBB296_396
.LBB296_283:
	s_mov_b32 s19, -1
	s_mov_b32 s17, 0
	s_mov_b32 s0, s12
.LBB296_284:
	s_and_b32 vcc_lo, exec_lo, s19
	s_cbranch_vccz .LBB296_289
; %bb.285:
	v_cmp_eq_u16_e32 vcc_lo, 44, v6
	s_mov_b32 s0, -1
	s_cbranch_vccz .LBB296_289
; %bb.286:
	v_cvt_f32_i32_e32 v1, v0
	v_mov_b32_e32 v7, 0xff
	s_mov_b32 s17, exec_lo
	s_delay_alu instid0(VALU_DEP_2) | instskip(NEXT) | instid1(VALU_DEP_1)
	v_bfe_u32 v8, v1, 23, 8
	v_cmpx_ne_u32_e32 0xff, v8
; %bb.287:
	v_and_b32_e32 v7, 0x400000, v1
	v_and_or_b32 v8, 0x3fffff, v1, v8
	v_lshrrev_b32_e32 v1, 23, v1
	s_delay_alu instid0(VALU_DEP_3) | instskip(NEXT) | instid1(VALU_DEP_3)
	v_cmp_ne_u32_e32 vcc_lo, 0, v7
	v_cmp_ne_u32_e64 s0, 0, v8
	s_delay_alu instid0(VALU_DEP_1) | instskip(NEXT) | instid1(SALU_CYCLE_1)
	s_and_b32 s0, vcc_lo, s0
	v_cndmask_b32_e64 v7, 0, 1, s0
	s_delay_alu instid0(VALU_DEP_1)
	v_add_nc_u32_e32 v7, v1, v7
; %bb.288:
	s_or_b32 exec_lo, exec_lo, s17
	s_mov_b32 s17, -1
	s_mov_b32 s0, 0
	global_store_b8 v[2:3], v7, off
.LBB296_289:
	s_mov_b32 s19, 0
.LBB296_290:
	s_delay_alu instid0(SALU_CYCLE_1)
	s_and_b32 vcc_lo, exec_lo, s19
	s_cbranch_vccz .LBB296_293
; %bb.291:
	v_cmp_eq_u16_e32 vcc_lo, 29, v6
	s_mov_b32 s0, -1
	s_cbranch_vccz .LBB296_293
; %bb.292:
	v_ashrrev_i32_e32 v1, 31, v0
	s_mov_b32 s17, -1
	s_mov_b32 s0, 0
	s_mov_b32 s19, 0
	global_store_b64 v[2:3], v[0:1], off
	s_branch .LBB296_294
.LBB296_293:
	s_mov_b32 s19, 0
.LBB296_294:
	s_delay_alu instid0(SALU_CYCLE_1)
	s_and_b32 vcc_lo, exec_lo, s19
	s_cbranch_vccz .LBB296_310
; %bb.295:
	v_cmp_gt_i16_e32 vcc_lo, 27, v6
	s_mov_b32 s17, -1
	s_cbranch_vccnz .LBB296_301
; %bb.296:
	v_cmp_lt_i16_e32 vcc_lo, 27, v6
	s_cbranch_vccz .LBB296_298
; %bb.297:
	s_mov_b32 s17, 0
	global_store_b32 v[2:3], v0, off
.LBB296_298:
	s_and_not1_b32 vcc_lo, exec_lo, s17
	s_cbranch_vccnz .LBB296_300
; %bb.299:
	global_store_b16 v[2:3], v0, off
.LBB296_300:
	s_mov_b32 s17, 0
.LBB296_301:
	s_delay_alu instid0(SALU_CYCLE_1)
	s_and_not1_b32 vcc_lo, exec_lo, s17
	s_cbranch_vccnz .LBB296_309
; %bb.302:
	v_cvt_f32_i32_e32 v1, v0
	v_mov_b32_e32 v8, 0x80
	s_mov_b32 s17, exec_lo
	s_delay_alu instid0(VALU_DEP_2) | instskip(NEXT) | instid1(VALU_DEP_1)
	v_and_b32_e32 v7, 0x7fffffff, v1
	v_cmpx_gt_u32_e32 0x43800000, v7
	s_cbranch_execz .LBB296_308
; %bb.303:
	v_cmp_lt_u32_e32 vcc_lo, 0x3bffffff, v7
	s_mov_b32 s19, 0
                                        ; implicit-def: $vgpr7
	s_and_saveexec_b32 s20, vcc_lo
	s_delay_alu instid0(SALU_CYCLE_1)
	s_xor_b32 s20, exec_lo, s20
	s_cbranch_execz .LBB296_517
; %bb.304:
	v_bfe_u32 v7, v1, 20, 1
	s_mov_b32 s19, exec_lo
	s_delay_alu instid0(VALU_DEP_1) | instskip(NEXT) | instid1(VALU_DEP_1)
	v_add3_u32 v7, v1, v7, 0x487ffff
	v_lshrrev_b32_e32 v7, 20, v7
	s_or_saveexec_b32 s20, s20
                                        ; implicit-def: $sgpr21
	s_delay_alu instid0(SALU_CYCLE_1)
	s_xor_b32 exec_lo, exec_lo, s20
	s_cbranch_execnz .LBB296_518
.LBB296_305:
	s_or_b32 exec_lo, exec_lo, s20
	v_mov_b32_e32 v8, s21
	s_and_saveexec_b32 s20, s19
.LBB296_306:
	v_lshrrev_b32_e32 v1, 24, v1
	s_delay_alu instid0(VALU_DEP_1)
	v_and_or_b32 v8, 0x80, v1, v7
.LBB296_307:
	s_or_b32 exec_lo, exec_lo, s20
.LBB296_308:
	s_delay_alu instid0(SALU_CYCLE_1)
	s_or_b32 exec_lo, exec_lo, s17
	global_store_b8 v[2:3], v8, off
.LBB296_309:
	s_mov_b32 s17, -1
.LBB296_310:
	s_mov_b32 s19, 0
.LBB296_311:
	s_delay_alu instid0(SALU_CYCLE_1)
	s_and_b32 vcc_lo, exec_lo, s19
	s_cbranch_vccz .LBB296_352
; %bb.312:
	v_cmp_lt_i16_e32 vcc_lo, 22, v6
	s_mov_b32 s19, -1
	s_cbranch_vccz .LBB296_344
; %bb.313:
	v_cmp_gt_i16_e32 vcc_lo, 24, v6
	s_mov_b32 s17, -1
	s_cbranch_vccnz .LBB296_333
; %bb.314:
	v_cmp_lt_i16_e32 vcc_lo, 24, v6
	s_cbranch_vccz .LBB296_322
; %bb.315:
	v_cvt_f32_i32_e32 v1, v0
	v_mov_b32_e32 v8, 0x80
	s_mov_b32 s17, exec_lo
	s_delay_alu instid0(VALU_DEP_2) | instskip(NEXT) | instid1(VALU_DEP_1)
	v_and_b32_e32 v7, 0x7fffffff, v1
	v_cmpx_gt_u32_e32 0x47800000, v7
	s_cbranch_execz .LBB296_321
; %bb.316:
	v_cmp_lt_u32_e32 vcc_lo, 0x37ffffff, v7
	s_mov_b32 s19, 0
                                        ; implicit-def: $vgpr7
	s_and_saveexec_b32 s20, vcc_lo
	s_delay_alu instid0(SALU_CYCLE_1)
	s_xor_b32 s20, exec_lo, s20
	s_cbranch_execz .LBB296_520
; %bb.317:
	v_bfe_u32 v7, v1, 21, 1
	s_mov_b32 s19, exec_lo
	s_delay_alu instid0(VALU_DEP_1) | instskip(NEXT) | instid1(VALU_DEP_1)
	v_add3_u32 v7, v1, v7, 0x88fffff
	v_lshrrev_b32_e32 v7, 21, v7
	s_or_saveexec_b32 s20, s20
                                        ; implicit-def: $sgpr21
	s_delay_alu instid0(SALU_CYCLE_1)
	s_xor_b32 exec_lo, exec_lo, s20
	s_cbranch_execnz .LBB296_521
.LBB296_318:
	s_or_b32 exec_lo, exec_lo, s20
	v_mov_b32_e32 v8, s21
	s_and_saveexec_b32 s20, s19
.LBB296_319:
	v_lshrrev_b32_e32 v1, 24, v1
	s_delay_alu instid0(VALU_DEP_1)
	v_and_or_b32 v8, 0x80, v1, v7
.LBB296_320:
	s_or_b32 exec_lo, exec_lo, s20
.LBB296_321:
	s_delay_alu instid0(SALU_CYCLE_1)
	s_or_b32 exec_lo, exec_lo, s17
	s_mov_b32 s17, 0
	global_store_b8 v[2:3], v8, off
.LBB296_322:
	s_and_b32 vcc_lo, exec_lo, s17
	s_cbranch_vccz .LBB296_332
; %bb.323:
	v_cvt_f32_i32_e32 v1, v0
	s_mov_b32 s17, exec_lo
                                        ; implicit-def: $vgpr7
	s_delay_alu instid0(VALU_DEP_1) | instskip(NEXT) | instid1(VALU_DEP_1)
	v_and_b32_e32 v8, 0x7fffffff, v1
	v_cmpx_gt_u32_e32 0x43f00000, v8
	s_xor_b32 s17, exec_lo, s17
	s_cbranch_execz .LBB296_329
; %bb.324:
	s_mov_b32 s19, exec_lo
                                        ; implicit-def: $vgpr7
	v_cmpx_lt_u32_e32 0x3c7fffff, v8
	s_xor_b32 s19, exec_lo, s19
; %bb.325:
	v_bfe_u32 v7, v1, 20, 1
	s_delay_alu instid0(VALU_DEP_1) | instskip(NEXT) | instid1(VALU_DEP_1)
	v_add3_u32 v7, v1, v7, 0x407ffff
	v_and_b32_e32 v8, 0xff00000, v7
	v_lshrrev_b32_e32 v7, 20, v7
	s_delay_alu instid0(VALU_DEP_2) | instskip(NEXT) | instid1(VALU_DEP_2)
	v_cmp_ne_u32_e32 vcc_lo, 0x7f00000, v8
	v_cndmask_b32_e32 v7, 0x7e, v7, vcc_lo
; %bb.326:
	s_and_not1_saveexec_b32 s19, s19
; %bb.327:
	v_add_f32_e64 v7, 0x46800000, |v1|
; %bb.328:
	s_or_b32 exec_lo, exec_lo, s19
                                        ; implicit-def: $vgpr8
.LBB296_329:
	s_and_not1_saveexec_b32 s17, s17
; %bb.330:
	v_mov_b32_e32 v7, 0x7f
	v_cmp_lt_u32_e32 vcc_lo, 0x7f800000, v8
	s_delay_alu instid0(VALU_DEP_2)
	v_cndmask_b32_e32 v7, 0x7e, v7, vcc_lo
; %bb.331:
	s_or_b32 exec_lo, exec_lo, s17
	v_lshrrev_b32_e32 v1, 24, v1
	s_delay_alu instid0(VALU_DEP_1)
	v_and_or_b32 v1, 0x80, v1, v7
	global_store_b8 v[2:3], v1, off
.LBB296_332:
	s_mov_b32 s17, 0
.LBB296_333:
	s_delay_alu instid0(SALU_CYCLE_1)
	s_and_not1_b32 vcc_lo, exec_lo, s17
	s_cbranch_vccnz .LBB296_343
; %bb.334:
	v_cvt_f32_i32_e32 v1, v0
	s_mov_b32 s17, exec_lo
                                        ; implicit-def: $vgpr7
	s_delay_alu instid0(VALU_DEP_1) | instskip(NEXT) | instid1(VALU_DEP_1)
	v_and_b32_e32 v8, 0x7fffffff, v1
	v_cmpx_gt_u32_e32 0x47800000, v8
	s_xor_b32 s17, exec_lo, s17
	s_cbranch_execz .LBB296_340
; %bb.335:
	s_mov_b32 s19, exec_lo
                                        ; implicit-def: $vgpr7
	v_cmpx_lt_u32_e32 0x387fffff, v8
	s_xor_b32 s19, exec_lo, s19
; %bb.336:
	v_bfe_u32 v7, v1, 21, 1
	s_delay_alu instid0(VALU_DEP_1) | instskip(NEXT) | instid1(VALU_DEP_1)
	v_add3_u32 v7, v1, v7, 0x80fffff
	v_lshrrev_b32_e32 v7, 21, v7
; %bb.337:
	s_and_not1_saveexec_b32 s19, s19
; %bb.338:
	v_add_f32_e64 v7, 0x43000000, |v1|
; %bb.339:
	s_or_b32 exec_lo, exec_lo, s19
                                        ; implicit-def: $vgpr8
.LBB296_340:
	s_and_not1_saveexec_b32 s17, s17
; %bb.341:
	v_mov_b32_e32 v7, 0x7f
	v_cmp_lt_u32_e32 vcc_lo, 0x7f800000, v8
	s_delay_alu instid0(VALU_DEP_2)
	v_cndmask_b32_e32 v7, 0x7c, v7, vcc_lo
; %bb.342:
	s_or_b32 exec_lo, exec_lo, s17
	v_lshrrev_b32_e32 v1, 24, v1
	s_delay_alu instid0(VALU_DEP_1)
	v_and_or_b32 v1, 0x80, v1, v7
	global_store_b8 v[2:3], v1, off
.LBB296_343:
	s_mov_b32 s19, 0
	s_mov_b32 s17, -1
.LBB296_344:
	s_and_not1_b32 vcc_lo, exec_lo, s19
	s_cbranch_vccnz .LBB296_352
; %bb.345:
	v_cmp_lt_i16_e32 vcc_lo, 14, v6
	s_mov_b32 s19, -1
	s_cbranch_vccz .LBB296_349
; %bb.346:
	v_cmp_eq_u16_e32 vcc_lo, 15, v6
	s_mov_b32 s0, -1
	s_cbranch_vccz .LBB296_348
; %bb.347:
	v_cvt_f32_i32_e32 v1, v0
	s_mov_b32 s17, -1
	s_mov_b32 s0, 0
	s_delay_alu instid0(VALU_DEP_1) | instskip(NEXT) | instid1(VALU_DEP_1)
	v_bfe_u32 v7, v1, 16, 1
	v_add3_u32 v1, v1, v7, 0x7fff
	global_store_d16_hi_b16 v[2:3], v1, off
.LBB296_348:
	s_mov_b32 s19, 0
.LBB296_349:
	s_delay_alu instid0(SALU_CYCLE_1)
	s_and_b32 vcc_lo, exec_lo, s19
	s_cbranch_vccz .LBB296_352
; %bb.350:
	v_cmp_eq_u16_e32 vcc_lo, 11, v6
	s_mov_b32 s0, -1
	s_cbranch_vccz .LBB296_352
; %bb.351:
	v_cmp_ne_u32_e32 vcc_lo, 0, v0
	s_mov_b32 s0, 0
	s_mov_b32 s17, -1
	v_cndmask_b32_e64 v1, 0, 1, vcc_lo
	global_store_b8 v[2:3], v1, off
.LBB296_352:
	s_mov_b32 s19, 0
.LBB296_353:
	s_delay_alu instid0(SALU_CYCLE_1)
	s_and_b32 vcc_lo, exec_lo, s19
	s_cbranch_vccz .LBB296_392
; %bb.354:
	v_cmp_gt_i16_e32 vcc_lo, 5, v6
	s_mov_b32 s17, -1
	s_cbranch_vccnz .LBB296_375
; %bb.355:
	v_cmp_gt_i16_e32 vcc_lo, 8, v6
	s_cbranch_vccnz .LBB296_365
; %bb.356:
	v_cmp_gt_i16_e32 vcc_lo, 9, v6
	s_cbranch_vccnz .LBB296_362
; %bb.357:
	v_cmp_lt_i16_e32 vcc_lo, 9, v6
	s_cbranch_vccz .LBB296_359
; %bb.358:
	v_cvt_f64_i32_e32 v[7:8], v0
	v_mov_b32_e32 v9, 0
	s_mov_b32 s17, 0
	s_delay_alu instid0(VALU_DEP_1)
	v_mov_b32_e32 v10, v9
	global_store_b128 v[2:3], v[7:10], off
.LBB296_359:
	s_and_not1_b32 vcc_lo, exec_lo, s17
	s_cbranch_vccnz .LBB296_361
; %bb.360:
	v_cvt_f32_i32_e32 v7, v0
	v_mov_b32_e32 v8, 0
	global_store_b64 v[2:3], v[7:8], off
.LBB296_361:
	s_mov_b32 s17, 0
.LBB296_362:
	s_delay_alu instid0(SALU_CYCLE_1)
	s_and_not1_b32 vcc_lo, exec_lo, s17
	s_cbranch_vccnz .LBB296_364
; %bb.363:
	v_cvt_f32_i32_e32 v1, v0
	s_delay_alu instid0(VALU_DEP_1) | instskip(NEXT) | instid1(VALU_DEP_1)
	v_cvt_f16_f32_e32 v1, v1
	v_and_b32_e32 v1, 0xffff, v1
	global_store_b32 v[2:3], v1, off
.LBB296_364:
	s_mov_b32 s17, 0
.LBB296_365:
	s_delay_alu instid0(SALU_CYCLE_1)
	s_and_not1_b32 vcc_lo, exec_lo, s17
	s_cbranch_vccnz .LBB296_374
; %bb.366:
	v_cmp_gt_i16_e32 vcc_lo, 6, v6
	s_mov_b32 s17, -1
	s_cbranch_vccnz .LBB296_372
; %bb.367:
	v_cmp_lt_i16_e32 vcc_lo, 6, v6
	s_cbranch_vccz .LBB296_369
; %bb.368:
	v_cvt_f64_i32_e32 v[7:8], v0
	s_mov_b32 s17, 0
	global_store_b64 v[2:3], v[7:8], off
.LBB296_369:
	s_and_not1_b32 vcc_lo, exec_lo, s17
	s_cbranch_vccnz .LBB296_371
; %bb.370:
	v_cvt_f32_i32_e32 v1, v0
	global_store_b32 v[2:3], v1, off
.LBB296_371:
	s_mov_b32 s17, 0
.LBB296_372:
	s_delay_alu instid0(SALU_CYCLE_1)
	s_and_not1_b32 vcc_lo, exec_lo, s17
	s_cbranch_vccnz .LBB296_374
; %bb.373:
	v_cvt_f32_i32_e32 v1, v0
	s_delay_alu instid0(VALU_DEP_1)
	v_cvt_f16_f32_e32 v1, v1
	global_store_b16 v[2:3], v1, off
.LBB296_374:
	s_mov_b32 s17, 0
.LBB296_375:
	s_delay_alu instid0(SALU_CYCLE_1)
	s_and_not1_b32 vcc_lo, exec_lo, s17
	s_cbranch_vccnz .LBB296_391
; %bb.376:
	v_cmp_gt_i16_e32 vcc_lo, 2, v6
	s_mov_b32 s17, -1
	s_cbranch_vccnz .LBB296_386
; %bb.377:
	v_cmp_gt_i16_e32 vcc_lo, 3, v6
	s_cbranch_vccnz .LBB296_383
; %bb.378:
	v_cmp_lt_i16_e32 vcc_lo, 3, v6
	s_cbranch_vccz .LBB296_380
; %bb.379:
	v_ashrrev_i32_e32 v1, 31, v0
	s_mov_b32 s17, 0
	global_store_b64 v[2:3], v[0:1], off
.LBB296_380:
	s_and_not1_b32 vcc_lo, exec_lo, s17
	s_cbranch_vccnz .LBB296_382
; %bb.381:
	global_store_b32 v[2:3], v0, off
.LBB296_382:
	s_mov_b32 s17, 0
.LBB296_383:
	s_delay_alu instid0(SALU_CYCLE_1)
	s_and_not1_b32 vcc_lo, exec_lo, s17
	s_cbranch_vccnz .LBB296_385
; %bb.384:
	global_store_b16 v[2:3], v0, off
.LBB296_385:
	s_mov_b32 s17, 0
.LBB296_386:
	s_delay_alu instid0(SALU_CYCLE_1)
	s_and_not1_b32 vcc_lo, exec_lo, s17
	s_cbranch_vccnz .LBB296_391
; %bb.387:
	v_cmp_lt_i16_e32 vcc_lo, 0, v6
	s_mov_b32 s17, -1
	s_cbranch_vccz .LBB296_389
; %bb.388:
	s_mov_b32 s17, 0
	global_store_b8 v[2:3], v0, off
.LBB296_389:
	s_and_not1_b32 vcc_lo, exec_lo, s17
	s_cbranch_vccnz .LBB296_391
; %bb.390:
	global_store_b8 v[2:3], v0, off
.LBB296_391:
	s_mov_b32 s17, -1
.LBB296_392:
	s_delay_alu instid0(SALU_CYCLE_1)
	s_and_not1_b32 vcc_lo, exec_lo, s17
	s_cbranch_vccnz .LBB296_394
; %bb.393:
	v_add_nc_u32_e32 v4, 0x80, v4
	s_mov_b32 s19, -1
	s_branch .LBB296_503
.LBB296_394:
	s_mov_b32 s19, 0
	s_branch .LBB296_502
.LBB296_395:
	s_mov_b32 s16, -1
                                        ; implicit-def: $vgpr2
.LBB296_396:
	s_mov_b32 s17, 0
.LBB296_397:
	s_delay_alu instid0(SALU_CYCLE_1)
	s_and_b32 vcc_lo, exec_lo, s17
	s_cbranch_vccz .LBB296_401
; %bb.398:
	v_cmp_eq_u16_e32 vcc_lo, 29, v5
	s_cbranch_vccz .LBB296_400
; %bb.399:
	global_load_b32 v2, v[0:1], off
	s_mov_b32 s0, -1
	s_mov_b32 s16, 0
	s_branch .LBB296_401
.LBB296_400:
	s_mov_b32 s16, -1
                                        ; implicit-def: $vgpr2
.LBB296_401:
	s_mov_b32 s17, 0
.LBB296_402:
	s_delay_alu instid0(SALU_CYCLE_1)
	s_and_b32 vcc_lo, exec_lo, s17
	s_cbranch_vccz .LBB296_418
; %bb.403:
	v_cmp_gt_i16_e32 vcc_lo, 27, v5
	s_cbranch_vccnz .LBB296_406
; %bb.404:
	v_cmp_lt_i16_e32 vcc_lo, 27, v5
	s_cbranch_vccz .LBB296_407
; %bb.405:
	global_load_b32 v2, v[0:1], off
	s_mov_b32 s0, 0
	s_branch .LBB296_408
.LBB296_406:
	s_mov_b32 s0, -1
                                        ; implicit-def: $vgpr2
	s_branch .LBB296_411
.LBB296_407:
	s_mov_b32 s0, -1
                                        ; implicit-def: $vgpr2
.LBB296_408:
	s_delay_alu instid0(SALU_CYCLE_1)
	s_and_not1_b32 vcc_lo, exec_lo, s0
	s_cbranch_vccnz .LBB296_410
; %bb.409:
	global_load_u16 v2, v[0:1], off
.LBB296_410:
	s_mov_b32 s0, 0
.LBB296_411:
	s_delay_alu instid0(SALU_CYCLE_1)
	s_and_not1_b32 vcc_lo, exec_lo, s0
	s_cbranch_vccnz .LBB296_417
; %bb.412:
	global_load_u8 v3, v[0:1], off
	s_mov_b32 s0, 0
	s_mov_b32 s17, exec_lo
                                        ; implicit-def: $sgpr19
	s_waitcnt vmcnt(0)
	v_cmpx_lt_i16_e32 0x7f, v3
	s_xor_b32 s17, exec_lo, s17
	s_cbranch_execz .LBB296_429
; %bb.413:
	v_cmp_ne_u16_e32 vcc_lo, 0x80, v3
	s_mov_b32 s19, 0
	s_and_b32 s0, vcc_lo, exec_lo
	s_or_saveexec_b32 s17, s17
	v_mov_b32_e32 v2, s19
	s_xor_b32 exec_lo, exec_lo, s17
	s_cbranch_execnz .LBB296_430
.LBB296_414:
	s_or_b32 exec_lo, exec_lo, s17
	s_and_saveexec_b32 s17, s0
	s_cbranch_execz .LBB296_416
.LBB296_415:
	v_and_b32_e32 v2, 0xffff, v3
	s_delay_alu instid0(VALU_DEP_1) | instskip(NEXT) | instid1(VALU_DEP_1)
	v_and_b32_e32 v6, 7, v2
	v_clz_i32_u32_e32 v7, v6
	s_delay_alu instid0(VALU_DEP_1) | instskip(NEXT) | instid1(VALU_DEP_1)
	v_min_u32_e32 v7, 32, v7
	v_subrev_nc_u32_e32 v8, 28, v7
	v_sub_nc_u32_e32 v7, 29, v7
	s_delay_alu instid0(VALU_DEP_2) | instskip(SKIP_1) | instid1(VALU_DEP_2)
	v_lshlrev_b32_e32 v8, v8, v2
	v_bfe_u32 v2, v2, 3, 4
	v_and_b32_e32 v8, 7, v8
	s_delay_alu instid0(VALU_DEP_2) | instskip(NEXT) | instid1(VALU_DEP_2)
	v_cmp_eq_u32_e32 vcc_lo, 0, v2
	v_dual_cndmask_b32 v6, v6, v8 :: v_dual_lshlrev_b32 v3, 24, v3
	v_cndmask_b32_e32 v2, v2, v7, vcc_lo
	s_delay_alu instid0(VALU_DEP_2) | instskip(NEXT) | instid1(VALU_DEP_3)
	v_and_b32_e32 v3, 0x80000000, v3
	v_lshlrev_b32_e32 v6, 20, v6
	s_delay_alu instid0(VALU_DEP_3) | instskip(NEXT) | instid1(VALU_DEP_1)
	v_lshl_add_u32 v2, v2, 23, 0x3b800000
	v_or3_b32 v2, v3, v2, v6
	s_delay_alu instid0(VALU_DEP_1)
	v_cvt_i32_f32_e32 v2, v2
.LBB296_416:
	s_or_b32 exec_lo, exec_lo, s17
.LBB296_417:
	s_mov_b32 s0, -1
.LBB296_418:
	s_mov_b32 s17, 0
.LBB296_419:
	s_delay_alu instid0(SALU_CYCLE_1)
	s_and_b32 vcc_lo, exec_lo, s17
	s_cbranch_vccz .LBB296_452
; %bb.420:
	v_cmp_lt_i16_e32 vcc_lo, 22, v5
	s_cbranch_vccz .LBB296_428
; %bb.421:
	v_cmp_gt_i16_e32 vcc_lo, 24, v5
	s_cbranch_vccnz .LBB296_431
; %bb.422:
	v_cmp_lt_i16_e32 vcc_lo, 24, v5
	s_cbranch_vccz .LBB296_432
; %bb.423:
	global_load_u8 v3, v[0:1], off
	s_mov_b32 s0, 0
	s_mov_b32 s17, exec_lo
                                        ; implicit-def: $sgpr19
	s_waitcnt vmcnt(0)
	v_cmpx_lt_i16_e32 0x7f, v3
	s_xor_b32 s17, exec_lo, s17
	s_cbranch_execz .LBB296_444
; %bb.424:
	v_cmp_ne_u16_e32 vcc_lo, 0x80, v3
	s_mov_b32 s19, 0
	s_and_b32 s0, vcc_lo, exec_lo
	s_or_saveexec_b32 s17, s17
	v_mov_b32_e32 v2, s19
	s_xor_b32 exec_lo, exec_lo, s17
	s_cbranch_execnz .LBB296_445
.LBB296_425:
	s_or_b32 exec_lo, exec_lo, s17
	s_and_saveexec_b32 s17, s0
	s_cbranch_execz .LBB296_427
.LBB296_426:
	v_and_b32_e32 v2, 0xffff, v3
	s_delay_alu instid0(VALU_DEP_1) | instskip(NEXT) | instid1(VALU_DEP_1)
	v_and_b32_e32 v6, 3, v2
	v_clz_i32_u32_e32 v7, v6
	s_delay_alu instid0(VALU_DEP_1) | instskip(NEXT) | instid1(VALU_DEP_1)
	v_min_u32_e32 v7, 32, v7
	v_subrev_nc_u32_e32 v8, 29, v7
	v_sub_nc_u32_e32 v7, 30, v7
	s_delay_alu instid0(VALU_DEP_2) | instskip(SKIP_1) | instid1(VALU_DEP_2)
	v_lshlrev_b32_e32 v8, v8, v2
	v_bfe_u32 v2, v2, 2, 5
	v_and_b32_e32 v8, 3, v8
	s_delay_alu instid0(VALU_DEP_2) | instskip(NEXT) | instid1(VALU_DEP_2)
	v_cmp_eq_u32_e32 vcc_lo, 0, v2
	v_dual_cndmask_b32 v6, v6, v8 :: v_dual_lshlrev_b32 v3, 24, v3
	v_cndmask_b32_e32 v2, v2, v7, vcc_lo
	s_delay_alu instid0(VALU_DEP_2) | instskip(NEXT) | instid1(VALU_DEP_3)
	v_and_b32_e32 v3, 0x80000000, v3
	v_lshlrev_b32_e32 v6, 21, v6
	s_delay_alu instid0(VALU_DEP_3) | instskip(NEXT) | instid1(VALU_DEP_1)
	v_lshl_add_u32 v2, v2, 23, 0x37800000
	v_or3_b32 v2, v3, v2, v6
	s_delay_alu instid0(VALU_DEP_1)
	v_cvt_i32_f32_e32 v2, v2
.LBB296_427:
	s_or_b32 exec_lo, exec_lo, s17
	s_mov_b32 s0, 0
	s_branch .LBB296_433
.LBB296_428:
	s_mov_b32 s17, -1
                                        ; implicit-def: $vgpr2
	s_branch .LBB296_439
.LBB296_429:
	s_or_saveexec_b32 s17, s17
	v_mov_b32_e32 v2, s19
	s_xor_b32 exec_lo, exec_lo, s17
	s_cbranch_execz .LBB296_414
.LBB296_430:
	v_cmp_ne_u16_e32 vcc_lo, 0, v3
	v_mov_b32_e32 v2, 0
	s_and_not1_b32 s0, s0, exec_lo
	s_and_b32 s19, vcc_lo, exec_lo
	s_delay_alu instid0(SALU_CYCLE_1)
	s_or_b32 s0, s0, s19
	s_or_b32 exec_lo, exec_lo, s17
	s_and_saveexec_b32 s17, s0
	s_cbranch_execnz .LBB296_415
	s_branch .LBB296_416
.LBB296_431:
	s_mov_b32 s0, -1
                                        ; implicit-def: $vgpr2
	s_branch .LBB296_436
.LBB296_432:
	s_mov_b32 s0, -1
                                        ; implicit-def: $vgpr2
.LBB296_433:
	s_delay_alu instid0(SALU_CYCLE_1)
	s_and_b32 vcc_lo, exec_lo, s0
	s_cbranch_vccz .LBB296_435
; %bb.434:
	global_load_u8 v2, v[0:1], off
	s_waitcnt vmcnt(0)
	v_lshlrev_b32_e32 v2, 24, v2
	s_delay_alu instid0(VALU_DEP_1) | instskip(NEXT) | instid1(VALU_DEP_1)
	v_and_b32_e32 v3, 0x7f000000, v2
	v_clz_i32_u32_e32 v6, v3
	v_cmp_ne_u32_e32 vcc_lo, 0, v3
	v_add_nc_u32_e32 v8, 0x1000000, v3
	s_delay_alu instid0(VALU_DEP_3) | instskip(NEXT) | instid1(VALU_DEP_1)
	v_min_u32_e32 v6, 32, v6
	v_sub_nc_u32_e64 v6, v6, 4 clamp
	s_delay_alu instid0(VALU_DEP_1) | instskip(SKIP_1) | instid1(VALU_DEP_2)
	v_lshlrev_b32_e32 v7, v6, v3
	v_lshlrev_b32_e32 v6, 23, v6
	v_lshrrev_b32_e32 v7, 4, v7
	s_delay_alu instid0(VALU_DEP_1) | instskip(SKIP_1) | instid1(VALU_DEP_2)
	v_sub_nc_u32_e32 v6, v7, v6
	v_ashrrev_i32_e32 v7, 8, v8
	v_add_nc_u32_e32 v6, 0x3c000000, v6
	s_delay_alu instid0(VALU_DEP_1) | instskip(NEXT) | instid1(VALU_DEP_1)
	v_and_or_b32 v6, 0x7f800000, v7, v6
	v_cndmask_b32_e32 v3, 0, v6, vcc_lo
	s_delay_alu instid0(VALU_DEP_1) | instskip(NEXT) | instid1(VALU_DEP_1)
	v_and_or_b32 v2, 0x80000000, v2, v3
	v_cvt_i32_f32_e32 v2, v2
.LBB296_435:
	s_mov_b32 s0, 0
.LBB296_436:
	s_delay_alu instid0(SALU_CYCLE_1)
	s_and_not1_b32 vcc_lo, exec_lo, s0
	s_cbranch_vccnz .LBB296_438
; %bb.437:
	global_load_u8 v2, v[0:1], off
	s_waitcnt vmcnt(0)
	v_lshlrev_b32_e32 v3, 25, v2
	v_lshlrev_b16 v2, 8, v2
	s_delay_alu instid0(VALU_DEP_2) | instskip(NEXT) | instid1(VALU_DEP_2)
	v_lshrrev_b32_e32 v6, 4, v3
	v_and_or_b32 v7, 0x7f00, v2, 0.5
	v_cmp_gt_u32_e32 vcc_lo, 0x8000000, v3
	v_bfe_i32 v2, v2, 0, 16
	s_delay_alu instid0(VALU_DEP_4) | instskip(NEXT) | instid1(VALU_DEP_1)
	v_or_b32_e32 v6, 0x70000000, v6
	v_dual_add_f32 v7, -0.5, v7 :: v_dual_mul_f32 v6, 0x7800000, v6
	s_delay_alu instid0(VALU_DEP_1) | instskip(NEXT) | instid1(VALU_DEP_1)
	v_cndmask_b32_e32 v3, v6, v7, vcc_lo
	v_and_or_b32 v2, 0x80000000, v2, v3
	s_delay_alu instid0(VALU_DEP_1)
	v_cvt_i32_f32_e32 v2, v2
.LBB296_438:
	s_mov_b32 s17, 0
	s_mov_b32 s0, -1
.LBB296_439:
	s_and_not1_b32 vcc_lo, exec_lo, s17
	s_cbranch_vccnz .LBB296_452
; %bb.440:
	v_cmp_lt_i16_e32 vcc_lo, 14, v5
	s_cbranch_vccz .LBB296_443
; %bb.441:
	v_cmp_eq_u16_e32 vcc_lo, 15, v5
	s_cbranch_vccz .LBB296_446
; %bb.442:
	global_load_u16 v2, v[0:1], off
	s_mov_b32 s0, -1
	s_mov_b32 s16, 0
	s_waitcnt vmcnt(0)
	v_lshlrev_b32_e32 v2, 16, v2
	s_delay_alu instid0(VALU_DEP_1)
	v_cvt_i32_f32_e32 v2, v2
	s_branch .LBB296_447
.LBB296_443:
	s_mov_b32 s17, -1
                                        ; implicit-def: $vgpr2
	s_branch .LBB296_448
.LBB296_444:
	s_or_saveexec_b32 s17, s17
	v_mov_b32_e32 v2, s19
	s_xor_b32 exec_lo, exec_lo, s17
	s_cbranch_execz .LBB296_425
.LBB296_445:
	v_cmp_ne_u16_e32 vcc_lo, 0, v3
	v_mov_b32_e32 v2, 0
	s_and_not1_b32 s0, s0, exec_lo
	s_and_b32 s19, vcc_lo, exec_lo
	s_delay_alu instid0(SALU_CYCLE_1)
	s_or_b32 s0, s0, s19
	s_or_b32 exec_lo, exec_lo, s17
	s_and_saveexec_b32 s17, s0
	s_cbranch_execnz .LBB296_426
	s_branch .LBB296_427
.LBB296_446:
	s_mov_b32 s16, -1
                                        ; implicit-def: $vgpr2
.LBB296_447:
	s_mov_b32 s17, 0
.LBB296_448:
	s_delay_alu instid0(SALU_CYCLE_1)
	s_and_b32 vcc_lo, exec_lo, s17
	s_cbranch_vccz .LBB296_452
; %bb.449:
	v_cmp_eq_u16_e32 vcc_lo, 11, v5
	s_cbranch_vccz .LBB296_451
; %bb.450:
	global_load_u8 v2, v[0:1], off
	s_mov_b32 s16, 0
	s_mov_b32 s0, -1
	s_waitcnt vmcnt(0)
	v_cmp_ne_u16_e32 vcc_lo, 0, v2
	v_cndmask_b32_e64 v2, 0, 1, vcc_lo
	s_branch .LBB296_452
.LBB296_451:
	s_mov_b32 s16, -1
                                        ; implicit-def: $vgpr2
.LBB296_452:
	s_branch .LBB296_258
.LBB296_453:
	v_cmp_gt_i16_e32 vcc_lo, 5, v5
	s_cbranch_vccnz .LBB296_458
; %bb.454:
	v_cmp_gt_i16_e32 vcc_lo, 8, v5
	s_cbranch_vccnz .LBB296_459
; %bb.455:
	;; [unrolled: 3-line block ×3, first 2 shown]
	v_cmp_lt_i16_e32 vcc_lo, 9, v5
	s_cbranch_vccz .LBB296_461
; %bb.457:
	global_load_b64 v[2:3], v[0:1], off
	s_mov_b32 s0, 0
	s_waitcnt vmcnt(0)
	v_cvt_i32_f64_e32 v2, v[2:3]
	s_branch .LBB296_462
.LBB296_458:
	s_mov_b32 s0, -1
                                        ; implicit-def: $vgpr2
	s_branch .LBB296_480
.LBB296_459:
	s_mov_b32 s0, -1
                                        ; implicit-def: $vgpr2
	s_branch .LBB296_468
.LBB296_460:
	s_mov_b32 s0, -1
                                        ; implicit-def: $vgpr2
	s_branch .LBB296_465
.LBB296_461:
	s_mov_b32 s0, -1
                                        ; implicit-def: $vgpr2
.LBB296_462:
	s_delay_alu instid0(SALU_CYCLE_1)
	s_and_not1_b32 vcc_lo, exec_lo, s0
	s_cbranch_vccnz .LBB296_464
; %bb.463:
	global_load_b32 v2, v[0:1], off
	s_waitcnt vmcnt(0)
	v_cvt_i32_f32_e32 v2, v2
.LBB296_464:
	s_mov_b32 s0, 0
.LBB296_465:
	s_delay_alu instid0(SALU_CYCLE_1)
	s_and_not1_b32 vcc_lo, exec_lo, s0
	s_cbranch_vccnz .LBB296_467
; %bb.466:
	global_load_b32 v2, v[0:1], off
	s_waitcnt vmcnt(0)
	v_cvt_f32_f16_e32 v2, v2
	s_delay_alu instid0(VALU_DEP_1)
	v_cvt_i32_f32_e32 v2, v2
.LBB296_467:
	s_mov_b32 s0, 0
.LBB296_468:
	s_delay_alu instid0(SALU_CYCLE_1)
	s_and_not1_b32 vcc_lo, exec_lo, s0
	s_cbranch_vccnz .LBB296_479
; %bb.469:
	v_cmp_gt_i16_e32 vcc_lo, 6, v5
	s_cbranch_vccnz .LBB296_472
; %bb.470:
	v_cmp_lt_i16_e32 vcc_lo, 6, v5
	s_cbranch_vccz .LBB296_473
; %bb.471:
	global_load_b64 v[2:3], v[0:1], off
	s_mov_b32 s0, 0
	s_waitcnt vmcnt(0)
	v_cvt_i32_f64_e32 v2, v[2:3]
	s_branch .LBB296_474
.LBB296_472:
	s_mov_b32 s0, -1
                                        ; implicit-def: $vgpr2
	s_branch .LBB296_477
.LBB296_473:
	s_mov_b32 s0, -1
                                        ; implicit-def: $vgpr2
.LBB296_474:
	s_delay_alu instid0(SALU_CYCLE_1)
	s_and_not1_b32 vcc_lo, exec_lo, s0
	s_cbranch_vccnz .LBB296_476
; %bb.475:
	global_load_b32 v2, v[0:1], off
	s_waitcnt vmcnt(0)
	v_cvt_i32_f32_e32 v2, v2
.LBB296_476:
	s_mov_b32 s0, 0
.LBB296_477:
	s_delay_alu instid0(SALU_CYCLE_1)
	s_and_not1_b32 vcc_lo, exec_lo, s0
	s_cbranch_vccnz .LBB296_479
; %bb.478:
	global_load_u16 v2, v[0:1], off
	s_waitcnt vmcnt(0)
	v_cvt_f32_f16_e32 v2, v2
	s_delay_alu instid0(VALU_DEP_1)
	v_cvt_i32_f32_e32 v2, v2
.LBB296_479:
	s_mov_b32 s0, 0
.LBB296_480:
	s_delay_alu instid0(SALU_CYCLE_1)
	s_and_not1_b32 vcc_lo, exec_lo, s0
	s_cbranch_vccnz .LBB296_500
; %bb.481:
	v_cmp_gt_i16_e32 vcc_lo, 2, v5
	s_cbranch_vccnz .LBB296_485
; %bb.482:
	v_cmp_gt_i16_e32 vcc_lo, 3, v5
	s_cbranch_vccnz .LBB296_486
; %bb.483:
	v_cmp_lt_i16_e32 vcc_lo, 3, v5
	s_cbranch_vccz .LBB296_487
; %bb.484:
	global_load_b32 v2, v[0:1], off
	s_mov_b32 s0, 0
	s_branch .LBB296_488
.LBB296_485:
	s_mov_b32 s0, -1
                                        ; implicit-def: $vgpr2
	s_branch .LBB296_494
.LBB296_486:
	s_mov_b32 s0, -1
                                        ; implicit-def: $vgpr2
	s_branch .LBB296_491
.LBB296_487:
	s_mov_b32 s0, -1
                                        ; implicit-def: $vgpr2
.LBB296_488:
	s_delay_alu instid0(SALU_CYCLE_1)
	s_and_not1_b32 vcc_lo, exec_lo, s0
	s_cbranch_vccnz .LBB296_490
; %bb.489:
	global_load_b32 v2, v[0:1], off
.LBB296_490:
	s_mov_b32 s0, 0
.LBB296_491:
	s_delay_alu instid0(SALU_CYCLE_1)
	s_and_not1_b32 vcc_lo, exec_lo, s0
	s_cbranch_vccnz .LBB296_493
; %bb.492:
	global_load_i16 v2, v[0:1], off
.LBB296_493:
	s_mov_b32 s0, 0
.LBB296_494:
	s_delay_alu instid0(SALU_CYCLE_1)
	s_and_not1_b32 vcc_lo, exec_lo, s0
	s_cbranch_vccnz .LBB296_500
; %bb.495:
	v_cmp_lt_i16_e32 vcc_lo, 0, v5
	s_mov_b32 s0, 0
	s_cbranch_vccz .LBB296_497
; %bb.496:
	global_load_i8 v2, v[0:1], off
	s_branch .LBB296_498
.LBB296_497:
	s_mov_b32 s0, -1
                                        ; implicit-def: $vgpr2
.LBB296_498:
	s_delay_alu instid0(SALU_CYCLE_1)
	s_and_not1_b32 vcc_lo, exec_lo, s0
	s_cbranch_vccnz .LBB296_500
; %bb.499:
	global_load_u8 v2, v[0:1], off
.LBB296_500:
	s_branch .LBB296_259
.LBB296_501:
	s_mov_b32 s19, 0
	s_mov_b32 s0, s12
.LBB296_502:
                                        ; implicit-def: $vgpr4
.LBB296_503:
	s_and_not1_b32 s17, s12, exec_lo
	s_and_b32 s0, s0, exec_lo
	s_and_not1_b32 s20, s14, exec_lo
	s_and_b32 s16, s16, exec_lo
	s_or_b32 s17, s17, s0
	s_or_b32 s16, s20, s16
	s_or_not1_b32 s20, s19, exec_lo
.LBB296_504:
	s_or_b32 exec_lo, exec_lo, s18
	s_mov_b32 s19, 0
	s_mov_b32 s21, 0
	;; [unrolled: 1-line block ×3, first 2 shown]
                                        ; implicit-def: $vgpr0_vgpr1
                                        ; implicit-def: $vgpr6
	s_and_saveexec_b32 s18, s20
	s_cbranch_execz .LBB296_843
; %bb.505:
	s_mov_b32 s0, -1
	s_mov_b32 s20, s16
	s_mov_b32 s21, s17
	s_mov_b32 s19, exec_lo
	v_cmpx_gt_i32_e64 s13, v4
	s_cbranch_execz .LBB296_761
; %bb.506:
	v_mul_lo_u32 v0, v4, s9
	v_cmp_gt_i16_e32 vcc_lo, 11, v5
	s_delay_alu instid0(VALU_DEP_2) | instskip(SKIP_1) | instid1(VALU_DEP_1)
	v_ashrrev_i32_e32 v1, 31, v0
	v_add_co_u32 v0, s0, s6, v0
	v_add_co_ci_u32_e64 v1, s0, s7, v1, s0
	s_cbranch_vccnz .LBB296_513
; %bb.507:
	v_cmp_lt_i16_e32 vcc_lo, 25, v5
	s_cbranch_vccz .LBB296_514
; %bb.508:
	v_cmp_lt_i16_e32 vcc_lo, 28, v5
	s_cbranch_vccz .LBB296_515
	;; [unrolled: 3-line block ×4, first 2 shown]
; %bb.511:
	v_cmp_eq_u16_e32 vcc_lo, 46, v5
	s_mov_b32 s21, 0
	s_cbranch_vccz .LBB296_522
; %bb.512:
	global_load_b32 v2, v[0:1], off
	s_mov_b32 s0, -1
	s_mov_b32 s20, 0
	s_waitcnt vmcnt(0)
	v_lshlrev_b32_e32 v2, 16, v2
	s_delay_alu instid0(VALU_DEP_1)
	v_cvt_i32_f32_e32 v2, v2
	s_branch .LBB296_524
.LBB296_513:
	s_mov_b32 s21, -1
	s_mov_b32 s0, 0
	s_mov_b32 s20, s16
                                        ; implicit-def: $vgpr2
	s_branch .LBB296_585
.LBB296_514:
	s_mov_b32 s21, -1
	s_mov_b32 s0, 0
	s_mov_b32 s20, s16
                                        ; implicit-def: $vgpr2
	s_branch .LBB296_551
.LBB296_515:
	s_mov_b32 s21, -1
	s_mov_b32 s0, 0
	s_mov_b32 s20, s16
                                        ; implicit-def: $vgpr2
	s_branch .LBB296_534
.LBB296_516:
	s_mov_b32 s21, -1
	s_mov_b32 s0, 0
	s_mov_b32 s20, s16
                                        ; implicit-def: $vgpr2
	s_branch .LBB296_529
.LBB296_517:
	s_or_saveexec_b32 s20, s20
                                        ; implicit-def: $sgpr21
	s_delay_alu instid0(SALU_CYCLE_1)
	s_xor_b32 exec_lo, exec_lo, s20
	s_cbranch_execz .LBB296_305
.LBB296_518:
	v_add_f32_e64 v7, 0x46000000, |v1|
	s_and_not1_b32 s19, s19, exec_lo
	s_mov_b32 s21, 0
	s_delay_alu instid0(VALU_DEP_1) | instskip(NEXT) | instid1(VALU_DEP_1)
	v_and_b32_e32 v7, 0xff, v7
	v_cmp_ne_u32_e32 vcc_lo, 0, v7
	s_and_b32 s22, vcc_lo, exec_lo
	s_delay_alu instid0(SALU_CYCLE_1)
	s_or_b32 s19, s19, s22
	s_or_b32 exec_lo, exec_lo, s20
	v_mov_b32_e32 v8, s21
	s_and_saveexec_b32 s20, s19
	s_cbranch_execnz .LBB296_306
	s_branch .LBB296_307
.LBB296_519:
	s_mov_b32 s21, -1
	s_mov_b32 s0, 0
	s_mov_b32 s20, s16
	s_branch .LBB296_523
.LBB296_520:
	s_or_saveexec_b32 s20, s20
                                        ; implicit-def: $sgpr21
	s_delay_alu instid0(SALU_CYCLE_1)
	s_xor_b32 exec_lo, exec_lo, s20
	s_cbranch_execz .LBB296_318
.LBB296_521:
	v_add_f32_e64 v7, 0x42800000, |v1|
	s_and_not1_b32 s19, s19, exec_lo
	s_mov_b32 s21, 0
	s_delay_alu instid0(VALU_DEP_1) | instskip(NEXT) | instid1(VALU_DEP_1)
	v_and_b32_e32 v7, 0xff, v7
	v_cmp_ne_u32_e32 vcc_lo, 0, v7
	s_and_b32 s22, vcc_lo, exec_lo
	s_delay_alu instid0(SALU_CYCLE_1)
	s_or_b32 s19, s19, s22
	s_or_b32 exec_lo, exec_lo, s20
	v_mov_b32_e32 v8, s21
	s_and_saveexec_b32 s20, s19
	s_cbranch_execnz .LBB296_319
	s_branch .LBB296_320
.LBB296_522:
	s_mov_b32 s20, -1
	s_mov_b32 s0, 0
.LBB296_523:
                                        ; implicit-def: $vgpr2
.LBB296_524:
	s_and_b32 vcc_lo, exec_lo, s21
	s_cbranch_vccz .LBB296_528
; %bb.525:
	v_cmp_eq_u16_e32 vcc_lo, 44, v5
	s_cbranch_vccz .LBB296_527
; %bb.526:
	global_load_u8 v2, v[0:1], off
	s_mov_b32 s20, 0
	s_mov_b32 s0, -1
	s_waitcnt vmcnt(0)
	v_lshlrev_b32_e32 v3, 23, v2
	v_cmp_ne_u32_e32 vcc_lo, 0, v2
	s_delay_alu instid0(VALU_DEP_2) | instskip(NEXT) | instid1(VALU_DEP_1)
	v_cvt_i32_f32_e32 v3, v3
	v_cndmask_b32_e32 v2, 0, v3, vcc_lo
	s_branch .LBB296_528
.LBB296_527:
	s_mov_b32 s20, -1
                                        ; implicit-def: $vgpr2
.LBB296_528:
	s_mov_b32 s21, 0
.LBB296_529:
	s_delay_alu instid0(SALU_CYCLE_1)
	s_and_b32 vcc_lo, exec_lo, s21
	s_cbranch_vccz .LBB296_533
; %bb.530:
	v_cmp_eq_u16_e32 vcc_lo, 29, v5
	s_cbranch_vccz .LBB296_532
; %bb.531:
	global_load_b32 v2, v[0:1], off
	s_mov_b32 s0, -1
	s_mov_b32 s20, 0
	s_branch .LBB296_533
.LBB296_532:
	s_mov_b32 s20, -1
                                        ; implicit-def: $vgpr2
.LBB296_533:
	s_mov_b32 s21, 0
.LBB296_534:
	s_delay_alu instid0(SALU_CYCLE_1)
	s_and_b32 vcc_lo, exec_lo, s21
	s_cbranch_vccz .LBB296_550
; %bb.535:
	v_cmp_gt_i16_e32 vcc_lo, 27, v5
	s_cbranch_vccnz .LBB296_538
; %bb.536:
	v_cmp_lt_i16_e32 vcc_lo, 27, v5
	s_cbranch_vccz .LBB296_539
; %bb.537:
	global_load_b32 v2, v[0:1], off
	s_mov_b32 s0, 0
	s_branch .LBB296_540
.LBB296_538:
	s_mov_b32 s0, -1
                                        ; implicit-def: $vgpr2
	s_branch .LBB296_543
.LBB296_539:
	s_mov_b32 s0, -1
                                        ; implicit-def: $vgpr2
.LBB296_540:
	s_delay_alu instid0(SALU_CYCLE_1)
	s_and_not1_b32 vcc_lo, exec_lo, s0
	s_cbranch_vccnz .LBB296_542
; %bb.541:
	global_load_u16 v2, v[0:1], off
.LBB296_542:
	s_mov_b32 s0, 0
.LBB296_543:
	s_delay_alu instid0(SALU_CYCLE_1)
	s_and_not1_b32 vcc_lo, exec_lo, s0
	s_cbranch_vccnz .LBB296_549
; %bb.544:
	global_load_u8 v3, v[0:1], off
	s_mov_b32 s0, 0
	s_mov_b32 s21, exec_lo
                                        ; implicit-def: $sgpr22
	s_waitcnt vmcnt(0)
	v_cmpx_lt_i16_e32 0x7f, v3
	s_xor_b32 s21, exec_lo, s21
	s_cbranch_execz .LBB296_561
; %bb.545:
	v_cmp_ne_u16_e32 vcc_lo, 0x80, v3
	s_mov_b32 s22, 0
	s_and_b32 s0, vcc_lo, exec_lo
	s_or_saveexec_b32 s21, s21
	v_mov_b32_e32 v2, s22
	s_xor_b32 exec_lo, exec_lo, s21
	s_cbranch_execnz .LBB296_562
.LBB296_546:
	s_or_b32 exec_lo, exec_lo, s21
	s_and_saveexec_b32 s21, s0
	s_cbranch_execz .LBB296_548
.LBB296_547:
	v_and_b32_e32 v2, 0xffff, v3
	s_delay_alu instid0(VALU_DEP_1) | instskip(NEXT) | instid1(VALU_DEP_1)
	v_and_b32_e32 v6, 7, v2
	v_clz_i32_u32_e32 v7, v6
	s_delay_alu instid0(VALU_DEP_1) | instskip(NEXT) | instid1(VALU_DEP_1)
	v_min_u32_e32 v7, 32, v7
	v_subrev_nc_u32_e32 v8, 28, v7
	v_sub_nc_u32_e32 v7, 29, v7
	s_delay_alu instid0(VALU_DEP_2) | instskip(SKIP_1) | instid1(VALU_DEP_2)
	v_lshlrev_b32_e32 v8, v8, v2
	v_bfe_u32 v2, v2, 3, 4
	v_and_b32_e32 v8, 7, v8
	s_delay_alu instid0(VALU_DEP_2) | instskip(NEXT) | instid1(VALU_DEP_2)
	v_cmp_eq_u32_e32 vcc_lo, 0, v2
	v_dual_cndmask_b32 v6, v6, v8 :: v_dual_lshlrev_b32 v3, 24, v3
	v_cndmask_b32_e32 v2, v2, v7, vcc_lo
	s_delay_alu instid0(VALU_DEP_2) | instskip(NEXT) | instid1(VALU_DEP_3)
	v_and_b32_e32 v3, 0x80000000, v3
	v_lshlrev_b32_e32 v6, 20, v6
	s_delay_alu instid0(VALU_DEP_3) | instskip(NEXT) | instid1(VALU_DEP_1)
	v_lshl_add_u32 v2, v2, 23, 0x3b800000
	v_or3_b32 v2, v3, v2, v6
	s_delay_alu instid0(VALU_DEP_1)
	v_cvt_i32_f32_e32 v2, v2
.LBB296_548:
	s_or_b32 exec_lo, exec_lo, s21
.LBB296_549:
	s_mov_b32 s0, -1
.LBB296_550:
	s_mov_b32 s21, 0
.LBB296_551:
	s_delay_alu instid0(SALU_CYCLE_1)
	s_and_b32 vcc_lo, exec_lo, s21
	s_cbranch_vccz .LBB296_584
; %bb.552:
	v_cmp_lt_i16_e32 vcc_lo, 22, v5
	s_cbranch_vccz .LBB296_560
; %bb.553:
	v_cmp_gt_i16_e32 vcc_lo, 24, v5
	s_cbranch_vccnz .LBB296_563
; %bb.554:
	v_cmp_lt_i16_e32 vcc_lo, 24, v5
	s_cbranch_vccz .LBB296_564
; %bb.555:
	global_load_u8 v3, v[0:1], off
	s_mov_b32 s0, 0
	s_mov_b32 s21, exec_lo
                                        ; implicit-def: $sgpr22
	s_waitcnt vmcnt(0)
	v_cmpx_lt_i16_e32 0x7f, v3
	s_xor_b32 s21, exec_lo, s21
	s_cbranch_execz .LBB296_576
; %bb.556:
	v_cmp_ne_u16_e32 vcc_lo, 0x80, v3
	s_mov_b32 s22, 0
	s_and_b32 s0, vcc_lo, exec_lo
	s_or_saveexec_b32 s21, s21
	v_mov_b32_e32 v2, s22
	s_xor_b32 exec_lo, exec_lo, s21
	s_cbranch_execnz .LBB296_577
.LBB296_557:
	s_or_b32 exec_lo, exec_lo, s21
	s_and_saveexec_b32 s21, s0
	s_cbranch_execz .LBB296_559
.LBB296_558:
	v_and_b32_e32 v2, 0xffff, v3
	s_delay_alu instid0(VALU_DEP_1) | instskip(NEXT) | instid1(VALU_DEP_1)
	v_and_b32_e32 v6, 3, v2
	v_clz_i32_u32_e32 v7, v6
	s_delay_alu instid0(VALU_DEP_1) | instskip(NEXT) | instid1(VALU_DEP_1)
	v_min_u32_e32 v7, 32, v7
	v_subrev_nc_u32_e32 v8, 29, v7
	v_sub_nc_u32_e32 v7, 30, v7
	s_delay_alu instid0(VALU_DEP_2) | instskip(SKIP_1) | instid1(VALU_DEP_2)
	v_lshlrev_b32_e32 v8, v8, v2
	v_bfe_u32 v2, v2, 2, 5
	v_and_b32_e32 v8, 3, v8
	s_delay_alu instid0(VALU_DEP_2) | instskip(NEXT) | instid1(VALU_DEP_2)
	v_cmp_eq_u32_e32 vcc_lo, 0, v2
	v_dual_cndmask_b32 v6, v6, v8 :: v_dual_lshlrev_b32 v3, 24, v3
	v_cndmask_b32_e32 v2, v2, v7, vcc_lo
	s_delay_alu instid0(VALU_DEP_2) | instskip(NEXT) | instid1(VALU_DEP_3)
	v_and_b32_e32 v3, 0x80000000, v3
	v_lshlrev_b32_e32 v6, 21, v6
	s_delay_alu instid0(VALU_DEP_3) | instskip(NEXT) | instid1(VALU_DEP_1)
	v_lshl_add_u32 v2, v2, 23, 0x37800000
	v_or3_b32 v2, v3, v2, v6
	s_delay_alu instid0(VALU_DEP_1)
	v_cvt_i32_f32_e32 v2, v2
.LBB296_559:
	s_or_b32 exec_lo, exec_lo, s21
	s_mov_b32 s0, 0
	s_branch .LBB296_565
.LBB296_560:
	s_mov_b32 s21, -1
                                        ; implicit-def: $vgpr2
	s_branch .LBB296_571
.LBB296_561:
	s_or_saveexec_b32 s21, s21
	v_mov_b32_e32 v2, s22
	s_xor_b32 exec_lo, exec_lo, s21
	s_cbranch_execz .LBB296_546
.LBB296_562:
	v_cmp_ne_u16_e32 vcc_lo, 0, v3
	v_mov_b32_e32 v2, 0
	s_and_not1_b32 s0, s0, exec_lo
	s_and_b32 s22, vcc_lo, exec_lo
	s_delay_alu instid0(SALU_CYCLE_1)
	s_or_b32 s0, s0, s22
	s_or_b32 exec_lo, exec_lo, s21
	s_and_saveexec_b32 s21, s0
	s_cbranch_execnz .LBB296_547
	s_branch .LBB296_548
.LBB296_563:
	s_mov_b32 s0, -1
                                        ; implicit-def: $vgpr2
	s_branch .LBB296_568
.LBB296_564:
	s_mov_b32 s0, -1
                                        ; implicit-def: $vgpr2
.LBB296_565:
	s_delay_alu instid0(SALU_CYCLE_1)
	s_and_b32 vcc_lo, exec_lo, s0
	s_cbranch_vccz .LBB296_567
; %bb.566:
	global_load_u8 v2, v[0:1], off
	s_waitcnt vmcnt(0)
	v_lshlrev_b32_e32 v2, 24, v2
	s_delay_alu instid0(VALU_DEP_1) | instskip(NEXT) | instid1(VALU_DEP_1)
	v_and_b32_e32 v3, 0x7f000000, v2
	v_clz_i32_u32_e32 v6, v3
	v_cmp_ne_u32_e32 vcc_lo, 0, v3
	v_add_nc_u32_e32 v8, 0x1000000, v3
	s_delay_alu instid0(VALU_DEP_3) | instskip(NEXT) | instid1(VALU_DEP_1)
	v_min_u32_e32 v6, 32, v6
	v_sub_nc_u32_e64 v6, v6, 4 clamp
	s_delay_alu instid0(VALU_DEP_1) | instskip(SKIP_1) | instid1(VALU_DEP_2)
	v_lshlrev_b32_e32 v7, v6, v3
	v_lshlrev_b32_e32 v6, 23, v6
	v_lshrrev_b32_e32 v7, 4, v7
	s_delay_alu instid0(VALU_DEP_1) | instskip(SKIP_1) | instid1(VALU_DEP_2)
	v_sub_nc_u32_e32 v6, v7, v6
	v_ashrrev_i32_e32 v7, 8, v8
	v_add_nc_u32_e32 v6, 0x3c000000, v6
	s_delay_alu instid0(VALU_DEP_1) | instskip(NEXT) | instid1(VALU_DEP_1)
	v_and_or_b32 v6, 0x7f800000, v7, v6
	v_cndmask_b32_e32 v3, 0, v6, vcc_lo
	s_delay_alu instid0(VALU_DEP_1) | instskip(NEXT) | instid1(VALU_DEP_1)
	v_and_or_b32 v2, 0x80000000, v2, v3
	v_cvt_i32_f32_e32 v2, v2
.LBB296_567:
	s_mov_b32 s0, 0
.LBB296_568:
	s_delay_alu instid0(SALU_CYCLE_1)
	s_and_not1_b32 vcc_lo, exec_lo, s0
	s_cbranch_vccnz .LBB296_570
; %bb.569:
	global_load_u8 v2, v[0:1], off
	s_waitcnt vmcnt(0)
	v_lshlrev_b32_e32 v3, 25, v2
	v_lshlrev_b16 v2, 8, v2
	s_delay_alu instid0(VALU_DEP_2) | instskip(NEXT) | instid1(VALU_DEP_2)
	v_lshrrev_b32_e32 v6, 4, v3
	v_and_or_b32 v7, 0x7f00, v2, 0.5
	v_cmp_gt_u32_e32 vcc_lo, 0x8000000, v3
	v_bfe_i32 v2, v2, 0, 16
	s_delay_alu instid0(VALU_DEP_4) | instskip(NEXT) | instid1(VALU_DEP_1)
	v_or_b32_e32 v6, 0x70000000, v6
	v_dual_add_f32 v7, -0.5, v7 :: v_dual_mul_f32 v6, 0x7800000, v6
	s_delay_alu instid0(VALU_DEP_1) | instskip(NEXT) | instid1(VALU_DEP_1)
	v_cndmask_b32_e32 v3, v6, v7, vcc_lo
	v_and_or_b32 v2, 0x80000000, v2, v3
	s_delay_alu instid0(VALU_DEP_1)
	v_cvt_i32_f32_e32 v2, v2
.LBB296_570:
	s_mov_b32 s21, 0
	s_mov_b32 s0, -1
.LBB296_571:
	s_and_not1_b32 vcc_lo, exec_lo, s21
	s_cbranch_vccnz .LBB296_584
; %bb.572:
	v_cmp_lt_i16_e32 vcc_lo, 14, v5
	s_cbranch_vccz .LBB296_575
; %bb.573:
	v_cmp_eq_u16_e32 vcc_lo, 15, v5
	s_cbranch_vccz .LBB296_578
; %bb.574:
	global_load_u16 v2, v[0:1], off
	s_mov_b32 s0, -1
	s_mov_b32 s20, 0
	s_waitcnt vmcnt(0)
	v_lshlrev_b32_e32 v2, 16, v2
	s_delay_alu instid0(VALU_DEP_1)
	v_cvt_i32_f32_e32 v2, v2
	s_branch .LBB296_579
.LBB296_575:
	s_mov_b32 s21, -1
                                        ; implicit-def: $vgpr2
	s_branch .LBB296_580
.LBB296_576:
	s_or_saveexec_b32 s21, s21
	v_mov_b32_e32 v2, s22
	s_xor_b32 exec_lo, exec_lo, s21
	s_cbranch_execz .LBB296_557
.LBB296_577:
	v_cmp_ne_u16_e32 vcc_lo, 0, v3
	v_mov_b32_e32 v2, 0
	s_and_not1_b32 s0, s0, exec_lo
	s_and_b32 s22, vcc_lo, exec_lo
	s_delay_alu instid0(SALU_CYCLE_1)
	s_or_b32 s0, s0, s22
	s_or_b32 exec_lo, exec_lo, s21
	s_and_saveexec_b32 s21, s0
	s_cbranch_execnz .LBB296_558
	s_branch .LBB296_559
.LBB296_578:
	s_mov_b32 s20, -1
                                        ; implicit-def: $vgpr2
.LBB296_579:
	s_mov_b32 s21, 0
.LBB296_580:
	s_delay_alu instid0(SALU_CYCLE_1)
	s_and_b32 vcc_lo, exec_lo, s21
	s_cbranch_vccz .LBB296_584
; %bb.581:
	v_cmp_eq_u16_e32 vcc_lo, 11, v5
	s_cbranch_vccz .LBB296_583
; %bb.582:
	global_load_u8 v2, v[0:1], off
	s_mov_b32 s20, 0
	s_mov_b32 s0, -1
	s_waitcnt vmcnt(0)
	v_cmp_ne_u16_e32 vcc_lo, 0, v2
	v_cndmask_b32_e64 v2, 0, 1, vcc_lo
	s_branch .LBB296_584
.LBB296_583:
	s_mov_b32 s20, -1
                                        ; implicit-def: $vgpr2
.LBB296_584:
	s_mov_b32 s21, 0
.LBB296_585:
	s_delay_alu instid0(SALU_CYCLE_1)
	s_and_b32 vcc_lo, exec_lo, s21
	s_cbranch_vccz .LBB296_634
; %bb.586:
	v_cmp_gt_i16_e32 vcc_lo, 5, v5
	s_cbranch_vccnz .LBB296_591
; %bb.587:
	v_cmp_gt_i16_e32 vcc_lo, 8, v5
	s_cbranch_vccnz .LBB296_592
	;; [unrolled: 3-line block ×3, first 2 shown]
; %bb.589:
	v_cmp_lt_i16_e32 vcc_lo, 9, v5
	s_cbranch_vccz .LBB296_594
; %bb.590:
	global_load_b64 v[2:3], v[0:1], off
	s_mov_b32 s0, 0
	s_waitcnt vmcnt(0)
	v_cvt_i32_f64_e32 v2, v[2:3]
	s_branch .LBB296_595
.LBB296_591:
	s_mov_b32 s0, -1
                                        ; implicit-def: $vgpr2
	s_branch .LBB296_613
.LBB296_592:
	s_mov_b32 s0, -1
                                        ; implicit-def: $vgpr2
	s_branch .LBB296_601
.LBB296_593:
	s_mov_b32 s0, -1
                                        ; implicit-def: $vgpr2
	s_branch .LBB296_598
.LBB296_594:
	s_mov_b32 s0, -1
                                        ; implicit-def: $vgpr2
.LBB296_595:
	s_delay_alu instid0(SALU_CYCLE_1)
	s_and_not1_b32 vcc_lo, exec_lo, s0
	s_cbranch_vccnz .LBB296_597
; %bb.596:
	global_load_b32 v2, v[0:1], off
	s_waitcnt vmcnt(0)
	v_cvt_i32_f32_e32 v2, v2
.LBB296_597:
	s_mov_b32 s0, 0
.LBB296_598:
	s_delay_alu instid0(SALU_CYCLE_1)
	s_and_not1_b32 vcc_lo, exec_lo, s0
	s_cbranch_vccnz .LBB296_600
; %bb.599:
	global_load_b32 v2, v[0:1], off
	s_waitcnt vmcnt(0)
	v_cvt_f32_f16_e32 v2, v2
	s_delay_alu instid0(VALU_DEP_1)
	v_cvt_i32_f32_e32 v2, v2
.LBB296_600:
	s_mov_b32 s0, 0
.LBB296_601:
	s_delay_alu instid0(SALU_CYCLE_1)
	s_and_not1_b32 vcc_lo, exec_lo, s0
	s_cbranch_vccnz .LBB296_612
; %bb.602:
	v_cmp_gt_i16_e32 vcc_lo, 6, v5
	s_cbranch_vccnz .LBB296_605
; %bb.603:
	v_cmp_lt_i16_e32 vcc_lo, 6, v5
	s_cbranch_vccz .LBB296_606
; %bb.604:
	global_load_b64 v[2:3], v[0:1], off
	s_mov_b32 s0, 0
	s_waitcnt vmcnt(0)
	v_cvt_i32_f64_e32 v2, v[2:3]
	s_branch .LBB296_607
.LBB296_605:
	s_mov_b32 s0, -1
                                        ; implicit-def: $vgpr2
	s_branch .LBB296_610
.LBB296_606:
	s_mov_b32 s0, -1
                                        ; implicit-def: $vgpr2
.LBB296_607:
	s_delay_alu instid0(SALU_CYCLE_1)
	s_and_not1_b32 vcc_lo, exec_lo, s0
	s_cbranch_vccnz .LBB296_609
; %bb.608:
	global_load_b32 v2, v[0:1], off
	s_waitcnt vmcnt(0)
	v_cvt_i32_f32_e32 v2, v2
.LBB296_609:
	s_mov_b32 s0, 0
.LBB296_610:
	s_delay_alu instid0(SALU_CYCLE_1)
	s_and_not1_b32 vcc_lo, exec_lo, s0
	s_cbranch_vccnz .LBB296_612
; %bb.611:
	global_load_u16 v2, v[0:1], off
	s_waitcnt vmcnt(0)
	v_cvt_f32_f16_e32 v2, v2
	s_delay_alu instid0(VALU_DEP_1)
	v_cvt_i32_f32_e32 v2, v2
.LBB296_612:
	s_mov_b32 s0, 0
.LBB296_613:
	s_delay_alu instid0(SALU_CYCLE_1)
	s_and_not1_b32 vcc_lo, exec_lo, s0
	s_cbranch_vccnz .LBB296_633
; %bb.614:
	v_cmp_gt_i16_e32 vcc_lo, 2, v5
	s_cbranch_vccnz .LBB296_618
; %bb.615:
	v_cmp_gt_i16_e32 vcc_lo, 3, v5
	s_cbranch_vccnz .LBB296_619
; %bb.616:
	v_cmp_lt_i16_e32 vcc_lo, 3, v5
	s_cbranch_vccz .LBB296_620
; %bb.617:
	global_load_b32 v2, v[0:1], off
	s_mov_b32 s0, 0
	s_branch .LBB296_621
.LBB296_618:
	s_mov_b32 s0, -1
                                        ; implicit-def: $vgpr2
	s_branch .LBB296_627
.LBB296_619:
	s_mov_b32 s0, -1
                                        ; implicit-def: $vgpr2
	s_branch .LBB296_624
.LBB296_620:
	s_mov_b32 s0, -1
                                        ; implicit-def: $vgpr2
.LBB296_621:
	s_delay_alu instid0(SALU_CYCLE_1)
	s_and_not1_b32 vcc_lo, exec_lo, s0
	s_cbranch_vccnz .LBB296_623
; %bb.622:
	global_load_b32 v2, v[0:1], off
.LBB296_623:
	s_mov_b32 s0, 0
.LBB296_624:
	s_delay_alu instid0(SALU_CYCLE_1)
	s_and_not1_b32 vcc_lo, exec_lo, s0
	s_cbranch_vccnz .LBB296_626
; %bb.625:
	global_load_i16 v2, v[0:1], off
.LBB296_626:
	s_mov_b32 s0, 0
.LBB296_627:
	s_delay_alu instid0(SALU_CYCLE_1)
	s_and_not1_b32 vcc_lo, exec_lo, s0
	s_cbranch_vccnz .LBB296_633
; %bb.628:
	v_cmp_lt_i16_e32 vcc_lo, 0, v5
	s_mov_b32 s0, 0
	s_cbranch_vccz .LBB296_630
; %bb.629:
	global_load_i8 v2, v[0:1], off
	s_branch .LBB296_631
.LBB296_630:
	s_mov_b32 s0, -1
                                        ; implicit-def: $vgpr2
.LBB296_631:
	s_delay_alu instid0(SALU_CYCLE_1)
	s_and_not1_b32 vcc_lo, exec_lo, s0
	s_cbranch_vccnz .LBB296_633
; %bb.632:
	global_load_u8 v2, v[0:1], off
.LBB296_633:
	s_mov_b32 s0, -1
.LBB296_634:
	s_delay_alu instid0(SALU_CYCLE_1)
	s_and_not1_b32 vcc_lo, exec_lo, s0
	s_cbranch_vccnz .LBB296_642
; %bb.635:
	v_mul_lo_u32 v1, v4, s8
	v_and_b32_e64 v6, 0xff, s2
	s_waitcnt vmcnt(0)
	s_delay_alu instid0(VALU_DEP_3) | instskip(NEXT) | instid1(VALU_DEP_2)
	v_maxmin_i32 v0, v2, s10, s11
	v_cmp_gt_i16_e32 vcc_lo, 11, v6
	s_delay_alu instid0(VALU_DEP_4) | instskip(SKIP_1) | instid1(VALU_DEP_1)
	v_ashrrev_i32_e32 v3, 31, v1
	v_add_co_u32 v2, s0, s4, v1
	v_add_co_ci_u32_e64 v3, s0, s5, v3, s0
	s_cbranch_vccnz .LBB296_643
; %bb.636:
	v_cmp_lt_i16_e32 vcc_lo, 25, v6
	s_cbranch_vccz .LBB296_644
; %bb.637:
	v_cmp_lt_i16_e32 vcc_lo, 28, v6
	s_cbranch_vccz .LBB296_645
	;; [unrolled: 3-line block ×4, first 2 shown]
; %bb.640:
	v_cmp_eq_u16_e32 vcc_lo, 46, v6
	s_mov_b32 s22, 0
	s_mov_b32 s0, -1
	s_mov_b32 s21, 0
	s_cbranch_vccz .LBB296_648
; %bb.641:
	v_cvt_f32_i32_e32 v1, v0
	s_mov_b32 s21, -1
	s_mov_b32 s0, 0
	s_delay_alu instid0(VALU_DEP_1) | instskip(NEXT) | instid1(VALU_DEP_1)
	v_bfe_u32 v7, v1, 16, 1
	v_add3_u32 v1, v1, v7, 0x7fff
	s_delay_alu instid0(VALU_DEP_1)
	v_lshrrev_b32_e32 v1, 16, v1
	global_store_b32 v[2:3], v1, off
	s_branch .LBB296_648
.LBB296_642:
	s_mov_b32 s22, 0
	s_mov_b32 s0, s17
	s_branch .LBB296_759
.LBB296_643:
	s_mov_b32 s22, -1
	s_mov_b32 s21, 0
	s_mov_b32 s0, s17
	s_branch .LBB296_717
.LBB296_644:
	s_mov_b32 s22, -1
	s_mov_b32 s21, 0
	s_mov_b32 s0, s17
	s_branch .LBB296_675
.LBB296_645:
	s_mov_b32 s22, -1
	s_mov_b32 s21, 0
	s_mov_b32 s0, s17
	s_branch .LBB296_658
.LBB296_646:
	s_mov_b32 s22, -1
	s_mov_b32 s21, 0
	s_mov_b32 s0, s17
	s_branch .LBB296_654
.LBB296_647:
	s_mov_b32 s22, -1
	s_mov_b32 s21, 0
	s_mov_b32 s0, s17
.LBB296_648:
	s_and_b32 vcc_lo, exec_lo, s22
	s_cbranch_vccz .LBB296_653
; %bb.649:
	v_cmp_eq_u16_e32 vcc_lo, 44, v6
	s_mov_b32 s0, -1
	s_cbranch_vccz .LBB296_653
; %bb.650:
	v_cvt_f32_i32_e32 v1, v0
	v_mov_b32_e32 v7, 0xff
	s_mov_b32 s21, exec_lo
	s_delay_alu instid0(VALU_DEP_2) | instskip(NEXT) | instid1(VALU_DEP_1)
	v_bfe_u32 v8, v1, 23, 8
	v_cmpx_ne_u32_e32 0xff, v8
; %bb.651:
	v_and_b32_e32 v7, 0x400000, v1
	v_and_or_b32 v8, 0x3fffff, v1, v8
	v_lshrrev_b32_e32 v1, 23, v1
	s_delay_alu instid0(VALU_DEP_3) | instskip(NEXT) | instid1(VALU_DEP_3)
	v_cmp_ne_u32_e32 vcc_lo, 0, v7
	v_cmp_ne_u32_e64 s0, 0, v8
	s_delay_alu instid0(VALU_DEP_1) | instskip(NEXT) | instid1(SALU_CYCLE_1)
	s_and_b32 s0, vcc_lo, s0
	v_cndmask_b32_e64 v7, 0, 1, s0
	s_delay_alu instid0(VALU_DEP_1)
	v_add_nc_u32_e32 v7, v1, v7
; %bb.652:
	s_or_b32 exec_lo, exec_lo, s21
	s_mov_b32 s21, -1
	s_mov_b32 s0, 0
	global_store_b8 v[2:3], v7, off
.LBB296_653:
	s_mov_b32 s22, 0
.LBB296_654:
	s_delay_alu instid0(SALU_CYCLE_1)
	s_and_b32 vcc_lo, exec_lo, s22
	s_cbranch_vccz .LBB296_657
; %bb.655:
	v_cmp_eq_u16_e32 vcc_lo, 29, v6
	s_mov_b32 s0, -1
	s_cbranch_vccz .LBB296_657
; %bb.656:
	v_ashrrev_i32_e32 v1, 31, v0
	s_mov_b32 s21, -1
	s_mov_b32 s0, 0
	s_mov_b32 s22, 0
	global_store_b64 v[2:3], v[0:1], off
	s_branch .LBB296_658
.LBB296_657:
	s_mov_b32 s22, 0
.LBB296_658:
	s_delay_alu instid0(SALU_CYCLE_1)
	s_and_b32 vcc_lo, exec_lo, s22
	s_cbranch_vccz .LBB296_674
; %bb.659:
	v_cmp_gt_i16_e32 vcc_lo, 27, v6
	s_mov_b32 s21, -1
	s_cbranch_vccnz .LBB296_665
; %bb.660:
	v_cmp_lt_i16_e32 vcc_lo, 27, v6
	s_cbranch_vccz .LBB296_662
; %bb.661:
	s_mov_b32 s21, 0
	global_store_b32 v[2:3], v0, off
.LBB296_662:
	s_and_not1_b32 vcc_lo, exec_lo, s21
	s_cbranch_vccnz .LBB296_664
; %bb.663:
	global_store_b16 v[2:3], v0, off
.LBB296_664:
	s_mov_b32 s21, 0
.LBB296_665:
	s_delay_alu instid0(SALU_CYCLE_1)
	s_and_not1_b32 vcc_lo, exec_lo, s21
	s_cbranch_vccnz .LBB296_673
; %bb.666:
	v_cvt_f32_i32_e32 v1, v0
	v_mov_b32_e32 v8, 0x80
	s_mov_b32 s21, exec_lo
	s_delay_alu instid0(VALU_DEP_2) | instskip(NEXT) | instid1(VALU_DEP_1)
	v_and_b32_e32 v7, 0x7fffffff, v1
	v_cmpx_gt_u32_e32 0x43800000, v7
	s_cbranch_execz .LBB296_672
; %bb.667:
	v_cmp_lt_u32_e32 vcc_lo, 0x3bffffff, v7
	s_mov_b32 s22, 0
                                        ; implicit-def: $vgpr7
	s_and_saveexec_b32 s23, vcc_lo
	s_delay_alu instid0(SALU_CYCLE_1)
	s_xor_b32 s23, exec_lo, s23
	s_cbranch_execz .LBB296_774
; %bb.668:
	v_bfe_u32 v7, v1, 20, 1
	s_mov_b32 s22, exec_lo
	s_delay_alu instid0(VALU_DEP_1) | instskip(NEXT) | instid1(VALU_DEP_1)
	v_add3_u32 v7, v1, v7, 0x487ffff
	v_lshrrev_b32_e32 v7, 20, v7
	s_or_saveexec_b32 s23, s23
                                        ; implicit-def: $sgpr24
	s_delay_alu instid0(SALU_CYCLE_1)
	s_xor_b32 exec_lo, exec_lo, s23
	s_cbranch_execnz .LBB296_775
.LBB296_669:
	s_or_b32 exec_lo, exec_lo, s23
	v_mov_b32_e32 v8, s24
	s_and_saveexec_b32 s23, s22
.LBB296_670:
	v_lshrrev_b32_e32 v1, 24, v1
	s_delay_alu instid0(VALU_DEP_1)
	v_and_or_b32 v8, 0x80, v1, v7
.LBB296_671:
	s_or_b32 exec_lo, exec_lo, s23
.LBB296_672:
	s_delay_alu instid0(SALU_CYCLE_1)
	s_or_b32 exec_lo, exec_lo, s21
	global_store_b8 v[2:3], v8, off
.LBB296_673:
	s_mov_b32 s21, -1
.LBB296_674:
	s_mov_b32 s22, 0
.LBB296_675:
	s_delay_alu instid0(SALU_CYCLE_1)
	s_and_b32 vcc_lo, exec_lo, s22
	s_cbranch_vccz .LBB296_716
; %bb.676:
	v_cmp_lt_i16_e32 vcc_lo, 22, v6
	s_mov_b32 s22, -1
	s_cbranch_vccz .LBB296_708
; %bb.677:
	v_cmp_gt_i16_e32 vcc_lo, 24, v6
	s_mov_b32 s21, -1
	s_cbranch_vccnz .LBB296_697
; %bb.678:
	v_cmp_lt_i16_e32 vcc_lo, 24, v6
	s_cbranch_vccz .LBB296_686
; %bb.679:
	v_cvt_f32_i32_e32 v1, v0
	v_mov_b32_e32 v8, 0x80
	s_mov_b32 s21, exec_lo
	s_delay_alu instid0(VALU_DEP_2) | instskip(NEXT) | instid1(VALU_DEP_1)
	v_and_b32_e32 v7, 0x7fffffff, v1
	v_cmpx_gt_u32_e32 0x47800000, v7
	s_cbranch_execz .LBB296_685
; %bb.680:
	v_cmp_lt_u32_e32 vcc_lo, 0x37ffffff, v7
	s_mov_b32 s22, 0
                                        ; implicit-def: $vgpr7
	s_and_saveexec_b32 s23, vcc_lo
	s_delay_alu instid0(SALU_CYCLE_1)
	s_xor_b32 s23, exec_lo, s23
	s_cbranch_execz .LBB296_777
; %bb.681:
	v_bfe_u32 v7, v1, 21, 1
	s_mov_b32 s22, exec_lo
	s_delay_alu instid0(VALU_DEP_1) | instskip(NEXT) | instid1(VALU_DEP_1)
	v_add3_u32 v7, v1, v7, 0x88fffff
	v_lshrrev_b32_e32 v7, 21, v7
	s_or_saveexec_b32 s23, s23
                                        ; implicit-def: $sgpr24
	s_delay_alu instid0(SALU_CYCLE_1)
	s_xor_b32 exec_lo, exec_lo, s23
	s_cbranch_execnz .LBB296_778
.LBB296_682:
	s_or_b32 exec_lo, exec_lo, s23
	v_mov_b32_e32 v8, s24
	s_and_saveexec_b32 s23, s22
.LBB296_683:
	v_lshrrev_b32_e32 v1, 24, v1
	s_delay_alu instid0(VALU_DEP_1)
	v_and_or_b32 v8, 0x80, v1, v7
.LBB296_684:
	s_or_b32 exec_lo, exec_lo, s23
.LBB296_685:
	s_delay_alu instid0(SALU_CYCLE_1)
	s_or_b32 exec_lo, exec_lo, s21
	s_mov_b32 s21, 0
	global_store_b8 v[2:3], v8, off
.LBB296_686:
	s_and_b32 vcc_lo, exec_lo, s21
	s_cbranch_vccz .LBB296_696
; %bb.687:
	v_cvt_f32_i32_e32 v1, v0
	s_mov_b32 s21, exec_lo
                                        ; implicit-def: $vgpr7
	s_delay_alu instid0(VALU_DEP_1) | instskip(NEXT) | instid1(VALU_DEP_1)
	v_and_b32_e32 v8, 0x7fffffff, v1
	v_cmpx_gt_u32_e32 0x43f00000, v8
	s_xor_b32 s21, exec_lo, s21
	s_cbranch_execz .LBB296_693
; %bb.688:
	s_mov_b32 s22, exec_lo
                                        ; implicit-def: $vgpr7
	v_cmpx_lt_u32_e32 0x3c7fffff, v8
	s_xor_b32 s22, exec_lo, s22
; %bb.689:
	v_bfe_u32 v7, v1, 20, 1
	s_delay_alu instid0(VALU_DEP_1) | instskip(NEXT) | instid1(VALU_DEP_1)
	v_add3_u32 v7, v1, v7, 0x407ffff
	v_and_b32_e32 v8, 0xff00000, v7
	v_lshrrev_b32_e32 v7, 20, v7
	s_delay_alu instid0(VALU_DEP_2) | instskip(NEXT) | instid1(VALU_DEP_2)
	v_cmp_ne_u32_e32 vcc_lo, 0x7f00000, v8
	v_cndmask_b32_e32 v7, 0x7e, v7, vcc_lo
; %bb.690:
	s_and_not1_saveexec_b32 s22, s22
; %bb.691:
	v_add_f32_e64 v7, 0x46800000, |v1|
; %bb.692:
	s_or_b32 exec_lo, exec_lo, s22
                                        ; implicit-def: $vgpr8
.LBB296_693:
	s_and_not1_saveexec_b32 s21, s21
; %bb.694:
	v_mov_b32_e32 v7, 0x7f
	v_cmp_lt_u32_e32 vcc_lo, 0x7f800000, v8
	s_delay_alu instid0(VALU_DEP_2)
	v_cndmask_b32_e32 v7, 0x7e, v7, vcc_lo
; %bb.695:
	s_or_b32 exec_lo, exec_lo, s21
	v_lshrrev_b32_e32 v1, 24, v1
	s_delay_alu instid0(VALU_DEP_1)
	v_and_or_b32 v1, 0x80, v1, v7
	global_store_b8 v[2:3], v1, off
.LBB296_696:
	s_mov_b32 s21, 0
.LBB296_697:
	s_delay_alu instid0(SALU_CYCLE_1)
	s_and_not1_b32 vcc_lo, exec_lo, s21
	s_cbranch_vccnz .LBB296_707
; %bb.698:
	v_cvt_f32_i32_e32 v1, v0
	s_mov_b32 s21, exec_lo
                                        ; implicit-def: $vgpr7
	s_delay_alu instid0(VALU_DEP_1) | instskip(NEXT) | instid1(VALU_DEP_1)
	v_and_b32_e32 v8, 0x7fffffff, v1
	v_cmpx_gt_u32_e32 0x47800000, v8
	s_xor_b32 s21, exec_lo, s21
	s_cbranch_execz .LBB296_704
; %bb.699:
	s_mov_b32 s22, exec_lo
                                        ; implicit-def: $vgpr7
	v_cmpx_lt_u32_e32 0x387fffff, v8
	s_xor_b32 s22, exec_lo, s22
; %bb.700:
	v_bfe_u32 v7, v1, 21, 1
	s_delay_alu instid0(VALU_DEP_1) | instskip(NEXT) | instid1(VALU_DEP_1)
	v_add3_u32 v7, v1, v7, 0x80fffff
	v_lshrrev_b32_e32 v7, 21, v7
; %bb.701:
	s_and_not1_saveexec_b32 s22, s22
; %bb.702:
	v_add_f32_e64 v7, 0x43000000, |v1|
; %bb.703:
	s_or_b32 exec_lo, exec_lo, s22
                                        ; implicit-def: $vgpr8
.LBB296_704:
	s_and_not1_saveexec_b32 s21, s21
; %bb.705:
	v_mov_b32_e32 v7, 0x7f
	v_cmp_lt_u32_e32 vcc_lo, 0x7f800000, v8
	s_delay_alu instid0(VALU_DEP_2)
	v_cndmask_b32_e32 v7, 0x7c, v7, vcc_lo
; %bb.706:
	s_or_b32 exec_lo, exec_lo, s21
	v_lshrrev_b32_e32 v1, 24, v1
	s_delay_alu instid0(VALU_DEP_1)
	v_and_or_b32 v1, 0x80, v1, v7
	global_store_b8 v[2:3], v1, off
.LBB296_707:
	s_mov_b32 s22, 0
	s_mov_b32 s21, -1
.LBB296_708:
	s_and_not1_b32 vcc_lo, exec_lo, s22
	s_cbranch_vccnz .LBB296_716
; %bb.709:
	v_cmp_lt_i16_e32 vcc_lo, 14, v6
	s_mov_b32 s22, -1
	s_cbranch_vccz .LBB296_713
; %bb.710:
	v_cmp_eq_u16_e32 vcc_lo, 15, v6
	s_mov_b32 s0, -1
	s_cbranch_vccz .LBB296_712
; %bb.711:
	v_cvt_f32_i32_e32 v1, v0
	s_mov_b32 s21, -1
	s_mov_b32 s0, 0
	s_delay_alu instid0(VALU_DEP_1) | instskip(NEXT) | instid1(VALU_DEP_1)
	v_bfe_u32 v7, v1, 16, 1
	v_add3_u32 v1, v1, v7, 0x7fff
	global_store_d16_hi_b16 v[2:3], v1, off
.LBB296_712:
	s_mov_b32 s22, 0
.LBB296_713:
	s_delay_alu instid0(SALU_CYCLE_1)
	s_and_b32 vcc_lo, exec_lo, s22
	s_cbranch_vccz .LBB296_716
; %bb.714:
	v_cmp_eq_u16_e32 vcc_lo, 11, v6
	s_mov_b32 s0, -1
	s_cbranch_vccz .LBB296_716
; %bb.715:
	v_cmp_ne_u32_e32 vcc_lo, 0, v0
	s_mov_b32 s0, 0
	s_mov_b32 s21, -1
	v_cndmask_b32_e64 v1, 0, 1, vcc_lo
	global_store_b8 v[2:3], v1, off
.LBB296_716:
	s_mov_b32 s22, 0
.LBB296_717:
	s_delay_alu instid0(SALU_CYCLE_1)
	s_and_b32 vcc_lo, exec_lo, s22
	s_cbranch_vccz .LBB296_756
; %bb.718:
	v_cmp_gt_i16_e32 vcc_lo, 5, v6
	s_mov_b32 s21, -1
	s_cbranch_vccnz .LBB296_739
; %bb.719:
	v_cmp_gt_i16_e32 vcc_lo, 8, v6
	s_cbranch_vccnz .LBB296_729
; %bb.720:
	v_cmp_gt_i16_e32 vcc_lo, 9, v6
	s_cbranch_vccnz .LBB296_726
; %bb.721:
	v_cmp_lt_i16_e32 vcc_lo, 9, v6
	s_cbranch_vccz .LBB296_723
; %bb.722:
	v_cvt_f64_i32_e32 v[7:8], v0
	v_mov_b32_e32 v9, 0
	s_mov_b32 s21, 0
	s_delay_alu instid0(VALU_DEP_1)
	v_mov_b32_e32 v10, v9
	global_store_b128 v[2:3], v[7:10], off
.LBB296_723:
	s_and_not1_b32 vcc_lo, exec_lo, s21
	s_cbranch_vccnz .LBB296_725
; %bb.724:
	v_cvt_f32_i32_e32 v7, v0
	v_mov_b32_e32 v8, 0
	global_store_b64 v[2:3], v[7:8], off
.LBB296_725:
	s_mov_b32 s21, 0
.LBB296_726:
	s_delay_alu instid0(SALU_CYCLE_1)
	s_and_not1_b32 vcc_lo, exec_lo, s21
	s_cbranch_vccnz .LBB296_728
; %bb.727:
	v_cvt_f32_i32_e32 v1, v0
	s_delay_alu instid0(VALU_DEP_1) | instskip(NEXT) | instid1(VALU_DEP_1)
	v_cvt_f16_f32_e32 v1, v1
	v_and_b32_e32 v1, 0xffff, v1
	global_store_b32 v[2:3], v1, off
.LBB296_728:
	s_mov_b32 s21, 0
.LBB296_729:
	s_delay_alu instid0(SALU_CYCLE_1)
	s_and_not1_b32 vcc_lo, exec_lo, s21
	s_cbranch_vccnz .LBB296_738
; %bb.730:
	v_cmp_gt_i16_e32 vcc_lo, 6, v6
	s_mov_b32 s21, -1
	s_cbranch_vccnz .LBB296_736
; %bb.731:
	v_cmp_lt_i16_e32 vcc_lo, 6, v6
	s_cbranch_vccz .LBB296_733
; %bb.732:
	v_cvt_f64_i32_e32 v[7:8], v0
	s_mov_b32 s21, 0
	global_store_b64 v[2:3], v[7:8], off
.LBB296_733:
	s_and_not1_b32 vcc_lo, exec_lo, s21
	s_cbranch_vccnz .LBB296_735
; %bb.734:
	v_cvt_f32_i32_e32 v1, v0
	global_store_b32 v[2:3], v1, off
.LBB296_735:
	s_mov_b32 s21, 0
.LBB296_736:
	s_delay_alu instid0(SALU_CYCLE_1)
	s_and_not1_b32 vcc_lo, exec_lo, s21
	s_cbranch_vccnz .LBB296_738
; %bb.737:
	v_cvt_f32_i32_e32 v1, v0
	s_delay_alu instid0(VALU_DEP_1)
	v_cvt_f16_f32_e32 v1, v1
	global_store_b16 v[2:3], v1, off
.LBB296_738:
	s_mov_b32 s21, 0
.LBB296_739:
	s_delay_alu instid0(SALU_CYCLE_1)
	s_and_not1_b32 vcc_lo, exec_lo, s21
	s_cbranch_vccnz .LBB296_755
; %bb.740:
	v_cmp_gt_i16_e32 vcc_lo, 2, v6
	s_mov_b32 s21, -1
	s_cbranch_vccnz .LBB296_750
; %bb.741:
	v_cmp_gt_i16_e32 vcc_lo, 3, v6
	s_cbranch_vccnz .LBB296_747
; %bb.742:
	v_cmp_lt_i16_e32 vcc_lo, 3, v6
	s_cbranch_vccz .LBB296_744
; %bb.743:
	v_ashrrev_i32_e32 v1, 31, v0
	s_mov_b32 s21, 0
	global_store_b64 v[2:3], v[0:1], off
.LBB296_744:
	s_and_not1_b32 vcc_lo, exec_lo, s21
	s_cbranch_vccnz .LBB296_746
; %bb.745:
	global_store_b32 v[2:3], v0, off
.LBB296_746:
	s_mov_b32 s21, 0
.LBB296_747:
	s_delay_alu instid0(SALU_CYCLE_1)
	s_and_not1_b32 vcc_lo, exec_lo, s21
	s_cbranch_vccnz .LBB296_749
; %bb.748:
	global_store_b16 v[2:3], v0, off
.LBB296_749:
	s_mov_b32 s21, 0
.LBB296_750:
	s_delay_alu instid0(SALU_CYCLE_1)
	s_and_not1_b32 vcc_lo, exec_lo, s21
	s_cbranch_vccnz .LBB296_755
; %bb.751:
	v_cmp_lt_i16_e32 vcc_lo, 0, v6
	s_mov_b32 s21, -1
	s_cbranch_vccz .LBB296_753
; %bb.752:
	s_mov_b32 s21, 0
	global_store_b8 v[2:3], v0, off
.LBB296_753:
	s_and_not1_b32 vcc_lo, exec_lo, s21
	s_cbranch_vccnz .LBB296_755
; %bb.754:
	global_store_b8 v[2:3], v0, off
.LBB296_755:
	s_mov_b32 s21, -1
.LBB296_756:
	s_delay_alu instid0(SALU_CYCLE_1)
	s_and_not1_b32 vcc_lo, exec_lo, s21
	s_cbranch_vccnz .LBB296_758
; %bb.757:
	v_add_nc_u32_e32 v4, 0x80, v4
	s_mov_b32 s22, -1
	s_branch .LBB296_760
.LBB296_758:
	s_mov_b32 s22, 0
.LBB296_759:
                                        ; implicit-def: $vgpr4
.LBB296_760:
	s_and_not1_b32 s21, s17, exec_lo
	s_and_b32 s0, s0, exec_lo
	s_and_not1_b32 s23, s16, exec_lo
	s_and_b32 s20, s20, exec_lo
	s_or_b32 s21, s21, s0
	s_or_b32 s20, s23, s20
	s_or_not1_b32 s0, s22, exec_lo
.LBB296_761:
	s_or_b32 exec_lo, exec_lo, s19
	s_mov_b32 s22, 0
	s_mov_b32 s23, 0
	;; [unrolled: 1-line block ×3, first 2 shown]
                                        ; implicit-def: $vgpr0_vgpr1
                                        ; implicit-def: $vgpr6
	s_and_saveexec_b32 s19, s0
	s_cbranch_execz .LBB296_842
; %bb.762:
	v_cmp_gt_i32_e32 vcc_lo, s13, v4
	s_mov_b32 s0, 0
	s_mov_b32 s22, s20
                                        ; implicit-def: $vgpr0_vgpr1
                                        ; implicit-def: $vgpr6
	s_and_saveexec_b32 s13, vcc_lo
	s_cbranch_execz .LBB296_841
; %bb.763:
	v_mul_lo_u32 v0, v4, s9
	v_cmp_gt_i16_e32 vcc_lo, 11, v5
	s_delay_alu instid0(VALU_DEP_2) | instskip(SKIP_1) | instid1(VALU_DEP_1)
	v_ashrrev_i32_e32 v1, 31, v0
	v_add_co_u32 v0, s0, s6, v0
	v_add_co_ci_u32_e64 v1, s0, s7, v1, s0
	s_cbranch_vccnz .LBB296_770
; %bb.764:
	v_cmp_lt_i16_e32 vcc_lo, 25, v5
	s_mov_b32 s22, 0
	s_cbranch_vccz .LBB296_771
; %bb.765:
	v_cmp_lt_i16_e32 vcc_lo, 28, v5
	s_cbranch_vccz .LBB296_772
; %bb.766:
	v_cmp_lt_i16_e32 vcc_lo, 43, v5
	;; [unrolled: 3-line block ×3, first 2 shown]
	s_cbranch_vccz .LBB296_776
; %bb.768:
	v_cmp_eq_u16_e32 vcc_lo, 46, v5
	s_cbranch_vccz .LBB296_779
; %bb.769:
	global_load_b32 v2, v[0:1], off
	s_mov_b32 s0, 0
	s_mov_b32 s23, -1
	s_waitcnt vmcnt(0)
	v_lshlrev_b32_e32 v2, 16, v2
	s_delay_alu instid0(VALU_DEP_1)
	v_cvt_i32_f32_e32 v6, v2
	s_branch .LBB296_781
.LBB296_770:
	s_mov_b32 s25, -1
	s_mov_b32 s22, 0
	s_mov_b32 s0, s20
                                        ; implicit-def: $vgpr6
	s_branch .LBB296_840
.LBB296_771:
	s_mov_b32 s24, -1
	s_mov_b32 s0, s20
                                        ; implicit-def: $vgpr6
	s_branch .LBB296_808
.LBB296_772:
	s_mov_b32 s24, -1
	s_mov_b32 s0, s20
                                        ; implicit-def: $vgpr6
	s_branch .LBB296_791
.LBB296_773:
	s_mov_b32 s24, -1
	s_mov_b32 s0, s20
                                        ; implicit-def: $vgpr6
	s_branch .LBB296_786
.LBB296_774:
	s_or_saveexec_b32 s23, s23
                                        ; implicit-def: $sgpr24
	s_delay_alu instid0(SALU_CYCLE_1)
	s_xor_b32 exec_lo, exec_lo, s23
	s_cbranch_execz .LBB296_669
.LBB296_775:
	v_add_f32_e64 v7, 0x46000000, |v1|
	s_and_not1_b32 s22, s22, exec_lo
	s_mov_b32 s24, 0
	s_delay_alu instid0(VALU_DEP_1) | instskip(NEXT) | instid1(VALU_DEP_1)
	v_and_b32_e32 v7, 0xff, v7
	v_cmp_ne_u32_e32 vcc_lo, 0, v7
	s_and_b32 s25, vcc_lo, exec_lo
	s_delay_alu instid0(SALU_CYCLE_1)
	s_or_b32 s22, s22, s25
	s_or_b32 exec_lo, exec_lo, s23
	v_mov_b32_e32 v8, s24
	s_and_saveexec_b32 s23, s22
	s_cbranch_execnz .LBB296_670
	s_branch .LBB296_671
.LBB296_776:
	s_mov_b32 s24, -1
	s_mov_b32 s0, s20
	s_branch .LBB296_780
.LBB296_777:
	s_or_saveexec_b32 s23, s23
                                        ; implicit-def: $sgpr24
	s_delay_alu instid0(SALU_CYCLE_1)
	s_xor_b32 exec_lo, exec_lo, s23
	s_cbranch_execz .LBB296_682
.LBB296_778:
	v_add_f32_e64 v7, 0x42800000, |v1|
	s_and_not1_b32 s22, s22, exec_lo
	s_mov_b32 s24, 0
	s_delay_alu instid0(VALU_DEP_1) | instskip(NEXT) | instid1(VALU_DEP_1)
	v_and_b32_e32 v7, 0xff, v7
	v_cmp_ne_u32_e32 vcc_lo, 0, v7
	s_and_b32 s25, vcc_lo, exec_lo
	s_delay_alu instid0(SALU_CYCLE_1)
	s_or_b32 s22, s22, s25
	s_or_b32 exec_lo, exec_lo, s23
	v_mov_b32_e32 v8, s24
	s_and_saveexec_b32 s23, s22
	s_cbranch_execnz .LBB296_683
	s_branch .LBB296_684
.LBB296_779:
	s_mov_b32 s0, -1
.LBB296_780:
                                        ; implicit-def: $vgpr6
.LBB296_781:
	s_and_b32 vcc_lo, exec_lo, s24
	s_cbranch_vccz .LBB296_785
; %bb.782:
	v_cmp_eq_u16_e32 vcc_lo, 44, v5
	s_cbranch_vccz .LBB296_784
; %bb.783:
	global_load_u8 v2, v[0:1], off
	s_mov_b32 s0, 0
	s_mov_b32 s23, -1
	s_waitcnt vmcnt(0)
	v_lshlrev_b32_e32 v3, 23, v2
	v_cmp_ne_u32_e32 vcc_lo, 0, v2
	s_delay_alu instid0(VALU_DEP_2) | instskip(NEXT) | instid1(VALU_DEP_1)
	v_cvt_i32_f32_e32 v3, v3
	v_cndmask_b32_e32 v6, 0, v3, vcc_lo
	s_branch .LBB296_785
.LBB296_784:
	s_mov_b32 s0, -1
                                        ; implicit-def: $vgpr6
.LBB296_785:
	s_mov_b32 s24, 0
.LBB296_786:
	s_delay_alu instid0(SALU_CYCLE_1)
	s_and_b32 vcc_lo, exec_lo, s24
	s_cbranch_vccz .LBB296_790
; %bb.787:
	v_cmp_eq_u16_e32 vcc_lo, 29, v5
	s_cbranch_vccz .LBB296_789
; %bb.788:
	global_load_b32 v6, v[0:1], off
	s_mov_b32 s0, 0
	s_mov_b32 s23, -1
	s_branch .LBB296_790
.LBB296_789:
	s_mov_b32 s0, -1
                                        ; implicit-def: $vgpr6
.LBB296_790:
	s_mov_b32 s24, 0
.LBB296_791:
	s_delay_alu instid0(SALU_CYCLE_1)
	s_and_b32 vcc_lo, exec_lo, s24
	s_cbranch_vccz .LBB296_807
; %bb.792:
	v_cmp_gt_i16_e32 vcc_lo, 27, v5
	s_cbranch_vccnz .LBB296_795
; %bb.793:
	v_cmp_lt_i16_e32 vcc_lo, 27, v5
	s_cbranch_vccz .LBB296_796
; %bb.794:
	global_load_b32 v6, v[0:1], off
	s_mov_b32 s23, 0
	s_branch .LBB296_797
.LBB296_795:
	s_mov_b32 s23, -1
                                        ; implicit-def: $vgpr6
	s_branch .LBB296_800
.LBB296_796:
	s_mov_b32 s23, -1
                                        ; implicit-def: $vgpr6
.LBB296_797:
	s_delay_alu instid0(SALU_CYCLE_1)
	s_and_not1_b32 vcc_lo, exec_lo, s23
	s_cbranch_vccnz .LBB296_799
; %bb.798:
	global_load_u16 v6, v[0:1], off
.LBB296_799:
	s_mov_b32 s23, 0
.LBB296_800:
	s_delay_alu instid0(SALU_CYCLE_1)
	s_and_not1_b32 vcc_lo, exec_lo, s23
	s_cbranch_vccnz .LBB296_806
; %bb.801:
	global_load_u8 v2, v[0:1], off
	s_mov_b32 s23, 0
	s_mov_b32 s24, exec_lo
                                        ; implicit-def: $sgpr25
	s_waitcnt vmcnt(0)
	v_cmpx_lt_i16_e32 0x7f, v2
	s_xor_b32 s24, exec_lo, s24
	s_cbranch_execz .LBB296_818
; %bb.802:
	v_cmp_ne_u16_e32 vcc_lo, 0x80, v2
	s_mov_b32 s25, 0
	s_and_b32 s23, vcc_lo, exec_lo
	s_or_saveexec_b32 s24, s24
	v_mov_b32_e32 v6, s25
	s_xor_b32 exec_lo, exec_lo, s24
	s_cbranch_execnz .LBB296_819
.LBB296_803:
	s_or_b32 exec_lo, exec_lo, s24
	s_and_saveexec_b32 s24, s23
	s_cbranch_execz .LBB296_805
.LBB296_804:
	v_and_b32_e32 v3, 0xffff, v2
	v_lshlrev_b32_e32 v2, 24, v2
	s_delay_alu instid0(VALU_DEP_2) | instskip(NEXT) | instid1(VALU_DEP_2)
	v_and_b32_e32 v6, 7, v3
	v_and_b32_e32 v2, 0x80000000, v2
	s_delay_alu instid0(VALU_DEP_2) | instskip(NEXT) | instid1(VALU_DEP_1)
	v_clz_i32_u32_e32 v7, v6
	v_min_u32_e32 v7, 32, v7
	s_delay_alu instid0(VALU_DEP_1) | instskip(SKIP_1) | instid1(VALU_DEP_2)
	v_subrev_nc_u32_e32 v8, 28, v7
	v_sub_nc_u32_e32 v7, 29, v7
	v_lshlrev_b32_e32 v8, v8, v3
	v_bfe_u32 v3, v3, 3, 4
	s_delay_alu instid0(VALU_DEP_1) | instskip(NEXT) | instid1(VALU_DEP_3)
	v_cmp_eq_u32_e32 vcc_lo, 0, v3
	v_dual_cndmask_b32 v3, v3, v7 :: v_dual_and_b32 v8, 7, v8
	s_delay_alu instid0(VALU_DEP_1) | instskip(NEXT) | instid1(VALU_DEP_2)
	v_cndmask_b32_e32 v6, v6, v8, vcc_lo
	v_lshl_add_u32 v3, v3, 23, 0x3b800000
	s_delay_alu instid0(VALU_DEP_2) | instskip(NEXT) | instid1(VALU_DEP_1)
	v_lshlrev_b32_e32 v6, 20, v6
	v_or3_b32 v2, v2, v3, v6
	s_delay_alu instid0(VALU_DEP_1)
	v_cvt_i32_f32_e32 v6, v2
.LBB296_805:
	s_or_b32 exec_lo, exec_lo, s24
.LBB296_806:
	s_mov_b32 s23, -1
.LBB296_807:
	s_mov_b32 s24, 0
.LBB296_808:
	s_delay_alu instid0(SALU_CYCLE_1)
	s_and_b32 vcc_lo, exec_lo, s24
	s_cbranch_vccz .LBB296_839
; %bb.809:
	v_cmp_lt_i16_e32 vcc_lo, 22, v5
	s_cbranch_vccz .LBB296_817
; %bb.810:
	v_cmp_gt_i16_e32 vcc_lo, 24, v5
	s_cbranch_vccnz .LBB296_820
; %bb.811:
	v_cmp_lt_i16_e32 vcc_lo, 24, v5
	s_cbranch_vccz .LBB296_821
; %bb.812:
	global_load_u8 v2, v[0:1], off
	s_mov_b32 s23, exec_lo
                                        ; implicit-def: $sgpr24
	s_waitcnt vmcnt(0)
	v_cmpx_lt_i16_e32 0x7f, v2
	s_xor_b32 s23, exec_lo, s23
	s_cbranch_execz .LBB296_833
; %bb.813:
	v_cmp_ne_u16_e32 vcc_lo, 0x80, v2
	s_mov_b32 s24, 0
	s_and_b32 s22, vcc_lo, exec_lo
	s_or_saveexec_b32 s23, s23
	v_mov_b32_e32 v6, s24
	s_xor_b32 exec_lo, exec_lo, s23
	s_cbranch_execnz .LBB296_834
.LBB296_814:
	s_or_b32 exec_lo, exec_lo, s23
	s_and_saveexec_b32 s23, s22
	s_cbranch_execz .LBB296_816
.LBB296_815:
	v_and_b32_e32 v3, 0xffff, v2
	v_lshlrev_b32_e32 v2, 24, v2
	s_delay_alu instid0(VALU_DEP_2) | instskip(NEXT) | instid1(VALU_DEP_2)
	v_and_b32_e32 v6, 3, v3
	v_and_b32_e32 v2, 0x80000000, v2
	s_delay_alu instid0(VALU_DEP_2) | instskip(NEXT) | instid1(VALU_DEP_1)
	v_clz_i32_u32_e32 v7, v6
	v_min_u32_e32 v7, 32, v7
	s_delay_alu instid0(VALU_DEP_1) | instskip(SKIP_1) | instid1(VALU_DEP_2)
	v_subrev_nc_u32_e32 v8, 29, v7
	v_sub_nc_u32_e32 v7, 30, v7
	v_lshlrev_b32_e32 v8, v8, v3
	v_bfe_u32 v3, v3, 2, 5
	s_delay_alu instid0(VALU_DEP_1) | instskip(NEXT) | instid1(VALU_DEP_3)
	v_cmp_eq_u32_e32 vcc_lo, 0, v3
	v_dual_cndmask_b32 v3, v3, v7 :: v_dual_and_b32 v8, 3, v8
	s_delay_alu instid0(VALU_DEP_1) | instskip(NEXT) | instid1(VALU_DEP_2)
	v_cndmask_b32_e32 v6, v6, v8, vcc_lo
	v_lshl_add_u32 v3, v3, 23, 0x37800000
	s_delay_alu instid0(VALU_DEP_2) | instskip(NEXT) | instid1(VALU_DEP_1)
	v_lshlrev_b32_e32 v6, 21, v6
	v_or3_b32 v2, v2, v3, v6
	s_delay_alu instid0(VALU_DEP_1)
	v_cvt_i32_f32_e32 v6, v2
.LBB296_816:
	s_or_b32 exec_lo, exec_lo, s23
	s_mov_b32 s22, 0
	s_branch .LBB296_822
.LBB296_817:
	s_mov_b32 s22, -1
                                        ; implicit-def: $vgpr6
	s_branch .LBB296_828
.LBB296_818:
	s_or_saveexec_b32 s24, s24
	v_mov_b32_e32 v6, s25
	s_xor_b32 exec_lo, exec_lo, s24
	s_cbranch_execz .LBB296_803
.LBB296_819:
	v_cmp_ne_u16_e32 vcc_lo, 0, v2
	v_mov_b32_e32 v6, 0
	s_and_not1_b32 s23, s23, exec_lo
	s_and_b32 s25, vcc_lo, exec_lo
	s_delay_alu instid0(SALU_CYCLE_1)
	s_or_b32 s23, s23, s25
	s_or_b32 exec_lo, exec_lo, s24
	s_and_saveexec_b32 s24, s23
	s_cbranch_execnz .LBB296_804
	s_branch .LBB296_805
.LBB296_820:
	s_mov_b32 s22, -1
                                        ; implicit-def: $vgpr6
	s_branch .LBB296_825
.LBB296_821:
	s_mov_b32 s22, -1
                                        ; implicit-def: $vgpr6
.LBB296_822:
	s_delay_alu instid0(SALU_CYCLE_1)
	s_and_b32 vcc_lo, exec_lo, s22
	s_cbranch_vccz .LBB296_824
; %bb.823:
	global_load_u8 v2, v[0:1], off
	s_waitcnt vmcnt(0)
	v_lshlrev_b32_e32 v2, 24, v2
	s_delay_alu instid0(VALU_DEP_1) | instskip(NEXT) | instid1(VALU_DEP_1)
	v_and_b32_e32 v3, 0x7f000000, v2
	v_clz_i32_u32_e32 v6, v3
	v_cmp_ne_u32_e32 vcc_lo, 0, v3
	v_add_nc_u32_e32 v8, 0x1000000, v3
	s_delay_alu instid0(VALU_DEP_3) | instskip(NEXT) | instid1(VALU_DEP_1)
	v_min_u32_e32 v6, 32, v6
	v_sub_nc_u32_e64 v6, v6, 4 clamp
	s_delay_alu instid0(VALU_DEP_1) | instskip(SKIP_1) | instid1(VALU_DEP_2)
	v_lshlrev_b32_e32 v7, v6, v3
	v_lshlrev_b32_e32 v6, 23, v6
	v_lshrrev_b32_e32 v7, 4, v7
	s_delay_alu instid0(VALU_DEP_1) | instskip(SKIP_1) | instid1(VALU_DEP_2)
	v_sub_nc_u32_e32 v6, v7, v6
	v_ashrrev_i32_e32 v7, 8, v8
	v_add_nc_u32_e32 v6, 0x3c000000, v6
	s_delay_alu instid0(VALU_DEP_1) | instskip(NEXT) | instid1(VALU_DEP_1)
	v_and_or_b32 v6, 0x7f800000, v7, v6
	v_cndmask_b32_e32 v3, 0, v6, vcc_lo
	s_delay_alu instid0(VALU_DEP_1) | instskip(NEXT) | instid1(VALU_DEP_1)
	v_and_or_b32 v2, 0x80000000, v2, v3
	v_cvt_i32_f32_e32 v6, v2
.LBB296_824:
	s_mov_b32 s22, 0
.LBB296_825:
	s_delay_alu instid0(SALU_CYCLE_1)
	s_and_not1_b32 vcc_lo, exec_lo, s22
	s_cbranch_vccnz .LBB296_827
; %bb.826:
	global_load_u8 v2, v[0:1], off
	s_waitcnt vmcnt(0)
	v_lshlrev_b32_e32 v3, 25, v2
	v_lshlrev_b16 v2, 8, v2
	s_delay_alu instid0(VALU_DEP_2) | instskip(NEXT) | instid1(VALU_DEP_2)
	v_lshrrev_b32_e32 v6, 4, v3
	v_and_or_b32 v7, 0x7f00, v2, 0.5
	v_cmp_gt_u32_e32 vcc_lo, 0x8000000, v3
	v_bfe_i32 v2, v2, 0, 16
	s_delay_alu instid0(VALU_DEP_4) | instskip(NEXT) | instid1(VALU_DEP_1)
	v_or_b32_e32 v6, 0x70000000, v6
	v_dual_add_f32 v7, -0.5, v7 :: v_dual_mul_f32 v6, 0x7800000, v6
	s_delay_alu instid0(VALU_DEP_1) | instskip(NEXT) | instid1(VALU_DEP_1)
	v_cndmask_b32_e32 v3, v6, v7, vcc_lo
	v_and_or_b32 v2, 0x80000000, v2, v3
	s_delay_alu instid0(VALU_DEP_1)
	v_cvt_i32_f32_e32 v6, v2
.LBB296_827:
	s_mov_b32 s22, 0
	s_mov_b32 s23, -1
.LBB296_828:
	s_and_not1_b32 vcc_lo, exec_lo, s22
	s_mov_b32 s22, 0
	s_cbranch_vccnz .LBB296_839
; %bb.829:
	v_cmp_lt_i16_e32 vcc_lo, 14, v5
	s_cbranch_vccz .LBB296_832
; %bb.830:
	v_cmp_eq_u16_e32 vcc_lo, 15, v5
	s_cbranch_vccz .LBB296_835
; %bb.831:
	global_load_u16 v2, v[0:1], off
	s_mov_b32 s0, 0
	s_mov_b32 s23, -1
	s_waitcnt vmcnt(0)
	v_lshlrev_b32_e32 v2, 16, v2
	s_delay_alu instid0(VALU_DEP_1)
	v_cvt_i32_f32_e32 v6, v2
	s_branch .LBB296_837
.LBB296_832:
	s_mov_b32 s22, -1
	s_branch .LBB296_836
.LBB296_833:
	s_or_saveexec_b32 s23, s23
	v_mov_b32_e32 v6, s24
	s_xor_b32 exec_lo, exec_lo, s23
	s_cbranch_execz .LBB296_814
.LBB296_834:
	v_cmp_ne_u16_e32 vcc_lo, 0, v2
	v_mov_b32_e32 v6, 0
	s_and_not1_b32 s22, s22, exec_lo
	s_and_b32 s24, vcc_lo, exec_lo
	s_delay_alu instid0(SALU_CYCLE_1)
	s_or_b32 s22, s22, s24
	s_or_b32 exec_lo, exec_lo, s23
	s_and_saveexec_b32 s23, s22
	s_cbranch_execnz .LBB296_815
	s_branch .LBB296_816
.LBB296_835:
	s_mov_b32 s0, -1
.LBB296_836:
                                        ; implicit-def: $vgpr6
.LBB296_837:
	s_and_b32 vcc_lo, exec_lo, s22
	s_mov_b32 s22, 0
	s_cbranch_vccz .LBB296_839
; %bb.838:
	v_cmp_ne_u16_e32 vcc_lo, 11, v5
	s_and_not1_b32 s0, s0, exec_lo
	s_mov_b32 s22, -1
                                        ; implicit-def: $vgpr6
	s_and_b32 s24, vcc_lo, exec_lo
	s_delay_alu instid0(SALU_CYCLE_1)
	s_or_b32 s0, s0, s24
.LBB296_839:
	s_mov_b32 s25, 0
.LBB296_840:
	s_and_b32 s24, s23, exec_lo
	s_and_b32 s23, s25, exec_lo
	s_and_not1_b32 s25, s20, exec_lo
	s_and_b32 s26, s0, exec_lo
	s_and_b32 s0, s22, exec_lo
	s_or_b32 s22, s25, s26
.LBB296_841:
	s_or_b32 exec_lo, exec_lo, s13
	s_delay_alu instid0(SALU_CYCLE_1)
	s_and_not1_b32 s13, s20, exec_lo
	s_and_b32 s20, s22, exec_lo
	s_and_b32 s24, s24, exec_lo
	;; [unrolled: 1-line block ×4, first 2 shown]
	s_or_b32 s20, s13, s20
.LBB296_842:
	s_or_b32 exec_lo, exec_lo, s19
	s_delay_alu instid0(SALU_CYCLE_1)
	s_and_not1_b32 s0, s17, exec_lo
	s_and_b32 s13, s21, exec_lo
	s_and_b32 s21, s23, exec_lo
	s_or_b32 s17, s0, s13
	s_and_not1_b32 s13, s16, exec_lo
	s_and_b32 s16, s20, exec_lo
	s_and_b32 s0, s24, exec_lo
	;; [unrolled: 1-line block ×3, first 2 shown]
	s_or_b32 s16, s13, s16
.LBB296_843:
	s_or_b32 exec_lo, exec_lo, s18
	s_delay_alu instid0(SALU_CYCLE_1)
	s_and_not1_b32 s12, s12, exec_lo
	s_and_b32 s13, s17, exec_lo
	s_and_b32 s0, s0, exec_lo
	s_or_b32 s12, s12, s13
	s_and_not1_b32 s13, s14, exec_lo
	s_and_b32 s14, s16, exec_lo
	s_and_b32 s17, s21, exec_lo
	s_and_b32 s16, s19, exec_lo
	s_or_b32 s14, s13, s14
.LBB296_844:
	s_or_b32 exec_lo, exec_lo, s15
	s_mov_b32 s13, 0
	s_and_saveexec_b32 s15, s14
	s_cbranch_execnz .LBB296_856
; %bb.845:
	s_or_b32 exec_lo, exec_lo, s15
	s_and_saveexec_b32 s14, s16
	s_delay_alu instid0(SALU_CYCLE_1)
	s_xor_b32 s14, exec_lo, s14
	s_cbranch_execz .LBB296_847
.LBB296_846:
	global_load_u8 v2, v[0:1], off
	s_or_b32 s0, s0, exec_lo
	s_waitcnt vmcnt(0)
	v_cmp_ne_u16_e32 vcc_lo, 0, v2
	v_cndmask_b32_e64 v6, 0, 1, vcc_lo
.LBB296_847:
	s_or_b32 exec_lo, exec_lo, s14
	s_and_saveexec_b32 s14, s17
	s_cbranch_execz .LBB296_895
; %bb.848:
	v_cmp_gt_i16_e32 vcc_lo, 5, v5
	s_cbranch_vccnz .LBB296_853
; %bb.849:
	v_cmp_gt_i16_e32 vcc_lo, 8, v5
	s_cbranch_vccnz .LBB296_854
	;; [unrolled: 3-line block ×3, first 2 shown]
; %bb.851:
	v_cmp_lt_i16_e32 vcc_lo, 9, v5
	s_cbranch_vccz .LBB296_858
; %bb.852:
	global_load_b64 v[2:3], v[0:1], off
	s_mov_b32 s15, 0
	s_waitcnt vmcnt(0)
	v_cvt_i32_f64_e32 v6, v[2:3]
	s_branch .LBB296_859
.LBB296_853:
                                        ; implicit-def: $vgpr6
	s_branch .LBB296_876
.LBB296_854:
                                        ; implicit-def: $vgpr6
	s_branch .LBB296_865
.LBB296_855:
	s_mov_b32 s15, -1
                                        ; implicit-def: $vgpr6
	s_branch .LBB296_862
.LBB296_856:
	s_cbranch_execnz .LBB296_904
; %bb.857:
	s_mov_b32 s13, exec_lo
	s_and_not1_b32 s16, s16, exec_lo
                                        ; implicit-def: $vgpr6
	s_or_b32 exec_lo, exec_lo, s15
	s_and_saveexec_b32 s14, s16
	s_delay_alu instid0(SALU_CYCLE_1)
	s_xor_b32 s14, exec_lo, s14
	s_cbranch_execnz .LBB296_846
	s_branch .LBB296_847
.LBB296_858:
	s_mov_b32 s15, -1
                                        ; implicit-def: $vgpr6
.LBB296_859:
	s_delay_alu instid0(SALU_CYCLE_1)
	s_and_not1_b32 vcc_lo, exec_lo, s15
	s_cbranch_vccnz .LBB296_861
; %bb.860:
	global_load_b32 v2, v[0:1], off
	s_waitcnt vmcnt(0)
	v_cvt_i32_f32_e32 v6, v2
.LBB296_861:
	s_mov_b32 s15, 0
.LBB296_862:
	s_delay_alu instid0(SALU_CYCLE_1)
	s_and_not1_b32 vcc_lo, exec_lo, s15
	s_cbranch_vccnz .LBB296_864
; %bb.863:
	global_load_b32 v2, v[0:1], off
	s_waitcnt vmcnt(0)
	v_cvt_f32_f16_e32 v2, v2
	s_delay_alu instid0(VALU_DEP_1)
	v_cvt_i32_f32_e32 v6, v2
.LBB296_864:
	s_cbranch_execnz .LBB296_875
.LBB296_865:
	v_cmp_gt_i16_e32 vcc_lo, 6, v5
	s_cbranch_vccnz .LBB296_868
; %bb.866:
	v_cmp_lt_i16_e32 vcc_lo, 6, v5
	s_cbranch_vccz .LBB296_869
; %bb.867:
	global_load_b64 v[2:3], v[0:1], off
	s_mov_b32 s15, 0
	s_waitcnt vmcnt(0)
	v_cvt_i32_f64_e32 v6, v[2:3]
	s_branch .LBB296_870
.LBB296_868:
	s_mov_b32 s15, -1
                                        ; implicit-def: $vgpr6
	s_branch .LBB296_873
.LBB296_869:
	s_mov_b32 s15, -1
                                        ; implicit-def: $vgpr6
.LBB296_870:
	s_delay_alu instid0(SALU_CYCLE_1)
	s_and_not1_b32 vcc_lo, exec_lo, s15
	s_cbranch_vccnz .LBB296_872
; %bb.871:
	global_load_b32 v2, v[0:1], off
	s_waitcnt vmcnt(0)
	v_cvt_i32_f32_e32 v6, v2
.LBB296_872:
	s_mov_b32 s15, 0
.LBB296_873:
	s_delay_alu instid0(SALU_CYCLE_1)
	s_and_not1_b32 vcc_lo, exec_lo, s15
	s_cbranch_vccnz .LBB296_875
; %bb.874:
	global_load_u16 v2, v[0:1], off
	s_waitcnt vmcnt(0)
	v_cvt_f32_f16_e32 v2, v2
	s_delay_alu instid0(VALU_DEP_1)
	v_cvt_i32_f32_e32 v6, v2
.LBB296_875:
	s_cbranch_execnz .LBB296_894
.LBB296_876:
	v_cmp_gt_i16_e32 vcc_lo, 2, v5
	s_cbranch_vccnz .LBB296_880
; %bb.877:
	v_cmp_gt_i16_e32 vcc_lo, 3, v5
	s_cbranch_vccnz .LBB296_881
; %bb.878:
	v_cmp_lt_i16_e32 vcc_lo, 3, v5
	s_cbranch_vccz .LBB296_882
; %bb.879:
	global_load_b32 v6, v[0:1], off
	s_mov_b32 s15, 0
	s_branch .LBB296_883
.LBB296_880:
                                        ; implicit-def: $vgpr6
	s_branch .LBB296_889
.LBB296_881:
	s_mov_b32 s15, -1
                                        ; implicit-def: $vgpr6
	s_branch .LBB296_886
.LBB296_882:
	s_mov_b32 s15, -1
                                        ; implicit-def: $vgpr6
.LBB296_883:
	s_delay_alu instid0(SALU_CYCLE_1)
	s_and_not1_b32 vcc_lo, exec_lo, s15
	s_cbranch_vccnz .LBB296_885
; %bb.884:
	global_load_b32 v6, v[0:1], off
.LBB296_885:
	s_mov_b32 s15, 0
.LBB296_886:
	s_delay_alu instid0(SALU_CYCLE_1)
	s_and_not1_b32 vcc_lo, exec_lo, s15
	s_cbranch_vccnz .LBB296_888
; %bb.887:
	global_load_i16 v6, v[0:1], off
.LBB296_888:
	s_cbranch_execnz .LBB296_894
.LBB296_889:
	v_cmp_lt_i16_e32 vcc_lo, 0, v5
	s_mov_b32 s15, 0
	s_cbranch_vccz .LBB296_891
; %bb.890:
	global_load_i8 v6, v[0:1], off
	s_branch .LBB296_892
.LBB296_891:
	s_mov_b32 s15, -1
                                        ; implicit-def: $vgpr6
.LBB296_892:
	s_delay_alu instid0(SALU_CYCLE_1)
	s_and_not1_b32 vcc_lo, exec_lo, s15
	s_cbranch_vccnz .LBB296_894
; %bb.893:
	global_load_u8 v6, v[0:1], off
.LBB296_894:
	s_or_b32 s0, s0, exec_lo
.LBB296_895:
	s_or_b32 exec_lo, exec_lo, s14
	s_mov_b32 s16, 0
	s_mov_b32 s15, 0
                                        ; implicit-def: $vgpr5
                                        ; implicit-def: $vgpr2_vgpr3
                                        ; implicit-def: $vgpr0
	s_and_saveexec_b32 s14, s0
	s_cbranch_execz .LBB296_975
; %bb.896:
	v_mul_lo_u32 v1, v4, s8
	v_and_b32_e64 v5, 0xff, s2
	s_waitcnt vmcnt(0)
	s_delay_alu instid0(VALU_DEP_3) | instskip(NEXT) | instid1(VALU_DEP_2)
	v_maxmin_i32 v0, v6, s10, s11
	v_cmp_gt_i16_e32 vcc_lo, 11, v5
	s_delay_alu instid0(VALU_DEP_4) | instskip(SKIP_1) | instid1(VALU_DEP_1)
	v_ashrrev_i32_e32 v3, 31, v1
	v_add_co_u32 v2, s0, s4, v1
	v_add_co_ci_u32_e64 v3, s0, s5, v3, s0
	s_cbranch_vccnz .LBB296_903
; %bb.897:
	v_cmp_lt_i16_e32 vcc_lo, 25, v5
	s_mov_b32 s15, -1
	s_mov_b32 s0, s12
	s_cbranch_vccz .LBB296_933
; %bb.898:
	v_cmp_lt_i16_e32 vcc_lo, 28, v5
	s_mov_b32 s0, s12
	s_cbranch_vccz .LBB296_917
; %bb.899:
	v_cmp_lt_i16_e32 vcc_lo, 43, v5
	;; [unrolled: 4-line block ×3, first 2 shown]
	s_mov_b32 s0, s12
	s_cbranch_vccz .LBB296_907
; %bb.901:
	v_cmp_eq_u16_e32 vcc_lo, 46, v5
	s_mov_b32 s0, -1
	s_cbranch_vccz .LBB296_906
; %bb.902:
	v_cvt_f32_i32_e32 v1, v0
	s_mov_b32 s0, 0
	s_mov_b32 s15, 0
	s_delay_alu instid0(VALU_DEP_1) | instskip(NEXT) | instid1(VALU_DEP_1)
	v_bfe_u32 v4, v1, 16, 1
	v_add3_u32 v1, v1, v4, 0x7fff
	s_delay_alu instid0(VALU_DEP_1)
	v_lshrrev_b32_e32 v1, 16, v1
	global_store_b32 v[2:3], v1, off
	s_branch .LBB296_907
.LBB296_903:
	s_mov_b32 s15, -1
	s_mov_b32 s0, s12
	s_branch .LBB296_974
.LBB296_904:
	s_trap 2
	s_sendmsg_rtn_b32 s0, sendmsg(MSG_RTN_GET_DOORBELL)
	s_mov_b32 ttmp2, m0
	s_waitcnt lgkmcnt(0)
	s_and_b32 s0, s0, 0x3ff
	s_delay_alu instid0(SALU_CYCLE_1) | instskip(NEXT) | instid1(SALU_CYCLE_1)
	s_bitset1_b32 s0, 10
	s_mov_b32 m0, s0
	s_sendmsg sendmsg(MSG_INTERRUPT)
	s_mov_b32 m0, ttmp2
.LBB296_905:                            ; =>This Inner Loop Header: Depth=1
	s_sethalt 5
	s_branch .LBB296_905
.LBB296_906:
	s_mov_b32 s15, 0
.LBB296_907:
	s_delay_alu instid0(SALU_CYCLE_1)
	s_and_b32 vcc_lo, exec_lo, s15
	s_cbranch_vccz .LBB296_912
; %bb.908:
	v_cmp_eq_u16_e32 vcc_lo, 44, v5
	s_mov_b32 s0, -1
	s_cbranch_vccz .LBB296_912
; %bb.909:
	v_cvt_f32_i32_e32 v1, v0
	v_mov_b32_e32 v4, 0xff
	s_mov_b32 s15, exec_lo
	s_delay_alu instid0(VALU_DEP_2) | instskip(NEXT) | instid1(VALU_DEP_1)
	v_bfe_u32 v6, v1, 23, 8
	v_cmpx_ne_u32_e32 0xff, v6
; %bb.910:
	v_and_b32_e32 v4, 0x400000, v1
	v_and_or_b32 v6, 0x3fffff, v1, v6
	v_lshrrev_b32_e32 v1, 23, v1
	s_delay_alu instid0(VALU_DEP_3) | instskip(NEXT) | instid1(VALU_DEP_3)
	v_cmp_ne_u32_e32 vcc_lo, 0, v4
	v_cmp_ne_u32_e64 s0, 0, v6
	s_delay_alu instid0(VALU_DEP_1) | instskip(NEXT) | instid1(SALU_CYCLE_1)
	s_and_b32 s0, vcc_lo, s0
	v_cndmask_b32_e64 v4, 0, 1, s0
	s_delay_alu instid0(VALU_DEP_1)
	v_add_nc_u32_e32 v4, v1, v4
; %bb.911:
	s_or_b32 exec_lo, exec_lo, s15
	s_mov_b32 s0, 0
	global_store_b8 v[2:3], v4, off
.LBB296_912:
	s_mov_b32 s15, 0
.LBB296_913:
	s_delay_alu instid0(SALU_CYCLE_1)
	s_and_b32 vcc_lo, exec_lo, s15
	s_cbranch_vccz .LBB296_916
; %bb.914:
	v_cmp_eq_u16_e32 vcc_lo, 29, v5
	s_mov_b32 s0, -1
	s_cbranch_vccz .LBB296_916
; %bb.915:
	v_ashrrev_i32_e32 v1, 31, v0
	s_mov_b32 s0, 0
	s_mov_b32 s15, 0
	global_store_b64 v[2:3], v[0:1], off
	s_branch .LBB296_917
.LBB296_916:
	s_mov_b32 s15, 0
.LBB296_917:
	s_delay_alu instid0(SALU_CYCLE_1)
	s_and_b32 vcc_lo, exec_lo, s15
	s_cbranch_vccz .LBB296_932
; %bb.918:
	v_cmp_gt_i16_e32 vcc_lo, 27, v5
	s_mov_b32 s15, -1
	s_cbranch_vccnz .LBB296_924
; %bb.919:
	v_cmp_lt_i16_e32 vcc_lo, 27, v5
	s_cbranch_vccz .LBB296_921
; %bb.920:
	s_mov_b32 s15, 0
	global_store_b32 v[2:3], v0, off
.LBB296_921:
	s_and_not1_b32 vcc_lo, exec_lo, s15
	s_cbranch_vccnz .LBB296_923
; %bb.922:
	global_store_b16 v[2:3], v0, off
.LBB296_923:
	s_mov_b32 s15, 0
.LBB296_924:
	s_delay_alu instid0(SALU_CYCLE_1)
	s_and_not1_b32 vcc_lo, exec_lo, s15
	s_cbranch_vccnz .LBB296_932
; %bb.925:
	v_cvt_f32_i32_e32 v1, v0
	v_mov_b32_e32 v6, 0x80
	s_mov_b32 s15, exec_lo
	s_delay_alu instid0(VALU_DEP_2) | instskip(NEXT) | instid1(VALU_DEP_1)
	v_and_b32_e32 v4, 0x7fffffff, v1
	v_cmpx_gt_u32_e32 0x43800000, v4
	s_cbranch_execz .LBB296_931
; %bb.926:
	v_cmp_lt_u32_e32 vcc_lo, 0x3bffffff, v4
                                        ; implicit-def: $vgpr4
	s_and_saveexec_b32 s17, vcc_lo
	s_delay_alu instid0(SALU_CYCLE_1)
	s_xor_b32 s17, exec_lo, s17
	s_cbranch_execz .LBB296_1161
; %bb.927:
	v_bfe_u32 v4, v1, 20, 1
	s_mov_b32 s16, exec_lo
	s_delay_alu instid0(VALU_DEP_1) | instskip(NEXT) | instid1(VALU_DEP_1)
	v_add3_u32 v4, v1, v4, 0x487ffff
	v_lshrrev_b32_e32 v4, 20, v4
	s_or_saveexec_b32 s17, s17
                                        ; implicit-def: $sgpr18
	s_delay_alu instid0(SALU_CYCLE_1)
	s_xor_b32 exec_lo, exec_lo, s17
	s_cbranch_execnz .LBB296_1162
.LBB296_928:
	s_or_b32 exec_lo, exec_lo, s17
	v_mov_b32_e32 v6, s18
	s_and_saveexec_b32 s17, s16
.LBB296_929:
	v_lshrrev_b32_e32 v1, 24, v1
	s_delay_alu instid0(VALU_DEP_1)
	v_and_or_b32 v6, 0x80, v1, v4
.LBB296_930:
	s_or_b32 exec_lo, exec_lo, s17
.LBB296_931:
	s_delay_alu instid0(SALU_CYCLE_1)
	s_or_b32 exec_lo, exec_lo, s15
	global_store_b8 v[2:3], v6, off
.LBB296_932:
	s_mov_b32 s15, 0
.LBB296_933:
	s_delay_alu instid0(SALU_CYCLE_1)
	s_and_b32 vcc_lo, exec_lo, s15
	s_mov_b32 s15, 0
	s_cbranch_vccz .LBB296_973
; %bb.934:
	v_cmp_lt_i16_e32 vcc_lo, 22, v5
	s_mov_b32 s16, -1
	s_cbranch_vccz .LBB296_966
; %bb.935:
	v_cmp_gt_i16_e32 vcc_lo, 24, v5
	s_cbranch_vccnz .LBB296_955
; %bb.936:
	v_cmp_lt_i16_e32 vcc_lo, 24, v5
	s_cbranch_vccz .LBB296_944
; %bb.937:
	v_cvt_f32_i32_e32 v1, v0
	v_mov_b32_e32 v6, 0x80
	s_mov_b32 s16, exec_lo
	s_delay_alu instid0(VALU_DEP_2) | instskip(NEXT) | instid1(VALU_DEP_1)
	v_and_b32_e32 v4, 0x7fffffff, v1
	v_cmpx_gt_u32_e32 0x47800000, v4
	s_cbranch_execz .LBB296_943
; %bb.938:
	v_cmp_lt_u32_e32 vcc_lo, 0x37ffffff, v4
	s_mov_b32 s17, 0
                                        ; implicit-def: $vgpr4
	s_and_saveexec_b32 s18, vcc_lo
	s_delay_alu instid0(SALU_CYCLE_1)
	s_xor_b32 s18, exec_lo, s18
	s_cbranch_execz .LBB296_1205
; %bb.939:
	v_bfe_u32 v4, v1, 21, 1
	s_mov_b32 s17, exec_lo
	s_delay_alu instid0(VALU_DEP_1) | instskip(NEXT) | instid1(VALU_DEP_1)
	v_add3_u32 v4, v1, v4, 0x88fffff
	v_lshrrev_b32_e32 v4, 21, v4
	s_or_saveexec_b32 s18, s18
                                        ; implicit-def: $sgpr19
	s_delay_alu instid0(SALU_CYCLE_1)
	s_xor_b32 exec_lo, exec_lo, s18
	s_cbranch_execnz .LBB296_1206
.LBB296_940:
	s_or_b32 exec_lo, exec_lo, s18
	v_mov_b32_e32 v6, s19
	s_and_saveexec_b32 s18, s17
.LBB296_941:
	v_lshrrev_b32_e32 v1, 24, v1
	s_delay_alu instid0(VALU_DEP_1)
	v_and_or_b32 v6, 0x80, v1, v4
.LBB296_942:
	s_or_b32 exec_lo, exec_lo, s18
.LBB296_943:
	s_delay_alu instid0(SALU_CYCLE_1)
	s_or_b32 exec_lo, exec_lo, s16
	s_mov_b32 s16, 0
	global_store_b8 v[2:3], v6, off
.LBB296_944:
	s_and_b32 vcc_lo, exec_lo, s16
	s_cbranch_vccz .LBB296_954
; %bb.945:
	v_cvt_f32_i32_e32 v1, v0
	s_mov_b32 s16, exec_lo
                                        ; implicit-def: $vgpr4
	s_delay_alu instid0(VALU_DEP_1) | instskip(NEXT) | instid1(VALU_DEP_1)
	v_and_b32_e32 v6, 0x7fffffff, v1
	v_cmpx_gt_u32_e32 0x43f00000, v6
	s_xor_b32 s16, exec_lo, s16
	s_cbranch_execz .LBB296_951
; %bb.946:
	s_mov_b32 s17, exec_lo
                                        ; implicit-def: $vgpr4
	v_cmpx_lt_u32_e32 0x3c7fffff, v6
	s_xor_b32 s17, exec_lo, s17
; %bb.947:
	v_bfe_u32 v4, v1, 20, 1
	s_delay_alu instid0(VALU_DEP_1) | instskip(NEXT) | instid1(VALU_DEP_1)
	v_add3_u32 v4, v1, v4, 0x407ffff
	v_and_b32_e32 v6, 0xff00000, v4
	v_lshrrev_b32_e32 v4, 20, v4
	s_delay_alu instid0(VALU_DEP_2) | instskip(NEXT) | instid1(VALU_DEP_2)
	v_cmp_ne_u32_e32 vcc_lo, 0x7f00000, v6
	v_cndmask_b32_e32 v4, 0x7e, v4, vcc_lo
; %bb.948:
	s_and_not1_saveexec_b32 s17, s17
; %bb.949:
	v_add_f32_e64 v4, 0x46800000, |v1|
; %bb.950:
	s_or_b32 exec_lo, exec_lo, s17
                                        ; implicit-def: $vgpr6
.LBB296_951:
	s_and_not1_saveexec_b32 s16, s16
; %bb.952:
	v_mov_b32_e32 v4, 0x7f
	v_cmp_lt_u32_e32 vcc_lo, 0x7f800000, v6
	s_delay_alu instid0(VALU_DEP_2)
	v_cndmask_b32_e32 v4, 0x7e, v4, vcc_lo
; %bb.953:
	s_or_b32 exec_lo, exec_lo, s16
	v_lshrrev_b32_e32 v1, 24, v1
	s_delay_alu instid0(VALU_DEP_1)
	v_and_or_b32 v1, 0x80, v1, v4
	global_store_b8 v[2:3], v1, off
.LBB296_954:
	s_mov_b32 s16, 0
.LBB296_955:
	s_delay_alu instid0(SALU_CYCLE_1)
	s_and_not1_b32 vcc_lo, exec_lo, s16
	s_cbranch_vccnz .LBB296_965
; %bb.956:
	v_cvt_f32_i32_e32 v1, v0
	s_mov_b32 s16, exec_lo
                                        ; implicit-def: $vgpr4
	s_delay_alu instid0(VALU_DEP_1) | instskip(NEXT) | instid1(VALU_DEP_1)
	v_and_b32_e32 v6, 0x7fffffff, v1
	v_cmpx_gt_u32_e32 0x47800000, v6
	s_xor_b32 s16, exec_lo, s16
	s_cbranch_execz .LBB296_962
; %bb.957:
	s_mov_b32 s17, exec_lo
                                        ; implicit-def: $vgpr4
	v_cmpx_lt_u32_e32 0x387fffff, v6
	s_xor_b32 s17, exec_lo, s17
; %bb.958:
	v_bfe_u32 v4, v1, 21, 1
	s_delay_alu instid0(VALU_DEP_1) | instskip(NEXT) | instid1(VALU_DEP_1)
	v_add3_u32 v4, v1, v4, 0x80fffff
	v_lshrrev_b32_e32 v4, 21, v4
; %bb.959:
	s_and_not1_saveexec_b32 s17, s17
; %bb.960:
	v_add_f32_e64 v4, 0x43000000, |v1|
; %bb.961:
	s_or_b32 exec_lo, exec_lo, s17
                                        ; implicit-def: $vgpr6
.LBB296_962:
	s_and_not1_saveexec_b32 s16, s16
; %bb.963:
	v_mov_b32_e32 v4, 0x7f
	v_cmp_lt_u32_e32 vcc_lo, 0x7f800000, v6
	s_delay_alu instid0(VALU_DEP_2)
	v_cndmask_b32_e32 v4, 0x7c, v4, vcc_lo
; %bb.964:
	s_or_b32 exec_lo, exec_lo, s16
	v_lshrrev_b32_e32 v1, 24, v1
	s_delay_alu instid0(VALU_DEP_1)
	v_and_or_b32 v1, 0x80, v1, v4
	global_store_b8 v[2:3], v1, off
.LBB296_965:
	s_mov_b32 s16, 0
.LBB296_966:
	s_delay_alu instid0(SALU_CYCLE_1)
	s_and_not1_b32 vcc_lo, exec_lo, s16
	s_mov_b32 s16, 0
	s_cbranch_vccnz .LBB296_974
; %bb.967:
	v_cmp_lt_i16_e32 vcc_lo, 14, v5
	s_mov_b32 s16, -1
	s_cbranch_vccz .LBB296_971
; %bb.968:
	v_cmp_eq_u16_e32 vcc_lo, 15, v5
	s_mov_b32 s0, -1
	s_cbranch_vccz .LBB296_970
; %bb.969:
	v_cvt_f32_i32_e32 v1, v0
	s_mov_b32 s0, 0
	s_delay_alu instid0(VALU_DEP_1) | instskip(NEXT) | instid1(VALU_DEP_1)
	v_bfe_u32 v4, v1, 16, 1
	v_add3_u32 v1, v1, v4, 0x7fff
	global_store_d16_hi_b16 v[2:3], v1, off
.LBB296_970:
	s_mov_b32 s16, 0
.LBB296_971:
	s_delay_alu instid0(SALU_CYCLE_1)
	s_and_b32 vcc_lo, exec_lo, s16
	s_mov_b32 s16, 0
	s_cbranch_vccz .LBB296_974
; %bb.972:
	v_cmp_ne_u16_e32 vcc_lo, 11, v5
	s_and_not1_b32 s0, s0, exec_lo
	s_mov_b32 s16, -1
	s_and_b32 s17, vcc_lo, exec_lo
	s_delay_alu instid0(SALU_CYCLE_1)
	s_or_b32 s0, s0, s17
	s_branch .LBB296_974
.LBB296_973:
	s_mov_b32 s16, 0
.LBB296_974:
	s_and_not1_b32 s12, s12, exec_lo
	s_and_b32 s0, s0, exec_lo
	s_and_b32 s15, s15, exec_lo
	;; [unrolled: 1-line block ×3, first 2 shown]
	s_or_b32 s12, s12, s0
.LBB296_975:
	s_or_b32 exec_lo, exec_lo, s14
	s_and_saveexec_b32 s0, s12
	s_cbranch_execnz .LBB296_1037
; %bb.976:
	s_or_b32 exec_lo, exec_lo, s0
	s_and_saveexec_b32 s0, s16
	s_delay_alu instid0(SALU_CYCLE_1)
	s_xor_b32 s0, exec_lo, s0
	s_cbranch_execz .LBB296_978
.LBB296_977:
	v_cmp_ne_u32_e32 vcc_lo, 0, v0
	v_cndmask_b32_e64 v1, 0, 1, vcc_lo
	s_waitcnt vmcnt(0)
	global_store_b8 v[2:3], v1, off
.LBB296_978:
	s_or_b32 exec_lo, exec_lo, s0
	s_and_saveexec_b32 s0, s15
	s_delay_alu instid0(SALU_CYCLE_1)
	s_xor_b32 s0, exec_lo, s0
	s_cbranch_execz .LBB296_1016
; %bb.979:
	v_cmp_gt_i16_e32 vcc_lo, 5, v5
	s_mov_b32 s12, -1
	s_cbranch_vccnz .LBB296_1000
; %bb.980:
	v_cmp_gt_i16_e32 vcc_lo, 8, v5
	s_cbranch_vccnz .LBB296_990
; %bb.981:
	v_cmp_gt_i16_e32 vcc_lo, 9, v5
	s_cbranch_vccnz .LBB296_987
; %bb.982:
	v_cmp_lt_i16_e32 vcc_lo, 9, v5
	s_cbranch_vccz .LBB296_984
; %bb.983:
	s_waitcnt vmcnt(0)
	v_cvt_f64_i32_e32 v[6:7], v0
	v_mov_b32_e32 v8, 0
	s_mov_b32 s12, 0
	s_delay_alu instid0(VALU_DEP_1)
	v_mov_b32_e32 v9, v8
	global_store_b128 v[2:3], v[6:9], off
.LBB296_984:
	s_and_not1_b32 vcc_lo, exec_lo, s12
	s_cbranch_vccnz .LBB296_986
; %bb.985:
	s_waitcnt vmcnt(0)
	v_cvt_f32_i32_e32 v6, v0
	v_mov_b32_e32 v7, 0
	global_store_b64 v[2:3], v[6:7], off
.LBB296_986:
	s_mov_b32 s12, 0
.LBB296_987:
	s_delay_alu instid0(SALU_CYCLE_1)
	s_and_not1_b32 vcc_lo, exec_lo, s12
	s_cbranch_vccnz .LBB296_989
; %bb.988:
	v_cvt_f32_i32_e32 v1, v0
	s_delay_alu instid0(VALU_DEP_1) | instskip(NEXT) | instid1(VALU_DEP_1)
	v_cvt_f16_f32_e32 v1, v1
	v_and_b32_e32 v1, 0xffff, v1
	s_waitcnt vmcnt(0)
	global_store_b32 v[2:3], v1, off
.LBB296_989:
	s_mov_b32 s12, 0
.LBB296_990:
	s_delay_alu instid0(SALU_CYCLE_1)
	s_and_not1_b32 vcc_lo, exec_lo, s12
	s_cbranch_vccnz .LBB296_999
; %bb.991:
	v_cmp_gt_i16_e32 vcc_lo, 6, v5
	s_mov_b32 s12, -1
	s_cbranch_vccnz .LBB296_997
; %bb.992:
	v_cmp_lt_i16_e32 vcc_lo, 6, v5
	s_cbranch_vccz .LBB296_994
; %bb.993:
	s_waitcnt vmcnt(0)
	v_cvt_f64_i32_e32 v[6:7], v0
	s_mov_b32 s12, 0
	global_store_b64 v[2:3], v[6:7], off
.LBB296_994:
	s_and_not1_b32 vcc_lo, exec_lo, s12
	s_cbranch_vccnz .LBB296_996
; %bb.995:
	v_cvt_f32_i32_e32 v1, v0
	s_waitcnt vmcnt(0)
	global_store_b32 v[2:3], v1, off
.LBB296_996:
	s_mov_b32 s12, 0
.LBB296_997:
	s_delay_alu instid0(SALU_CYCLE_1)
	s_and_not1_b32 vcc_lo, exec_lo, s12
	s_cbranch_vccnz .LBB296_999
; %bb.998:
	v_cvt_f32_i32_e32 v1, v0
	s_delay_alu instid0(VALU_DEP_1)
	v_cvt_f16_f32_e32 v1, v1
	s_waitcnt vmcnt(0)
	global_store_b16 v[2:3], v1, off
.LBB296_999:
	s_mov_b32 s12, 0
.LBB296_1000:
	s_delay_alu instid0(SALU_CYCLE_1)
	s_and_not1_b32 vcc_lo, exec_lo, s12
	s_cbranch_vccnz .LBB296_1016
; %bb.1001:
	v_cmp_gt_i16_e32 vcc_lo, 2, v5
	s_mov_b32 s12, -1
	s_cbranch_vccnz .LBB296_1011
; %bb.1002:
	v_cmp_gt_i16_e32 vcc_lo, 3, v5
	s_cbranch_vccnz .LBB296_1008
; %bb.1003:
	v_cmp_lt_i16_e32 vcc_lo, 3, v5
	s_cbranch_vccz .LBB296_1005
; %bb.1004:
	v_ashrrev_i32_e32 v1, 31, v0
	s_mov_b32 s12, 0
	s_waitcnt vmcnt(0)
	global_store_b64 v[2:3], v[0:1], off
.LBB296_1005:
	s_and_not1_b32 vcc_lo, exec_lo, s12
	s_cbranch_vccnz .LBB296_1007
; %bb.1006:
	s_waitcnt vmcnt(0)
	global_store_b32 v[2:3], v0, off
.LBB296_1007:
	s_mov_b32 s12, 0
.LBB296_1008:
	s_delay_alu instid0(SALU_CYCLE_1)
	s_and_not1_b32 vcc_lo, exec_lo, s12
	s_cbranch_vccnz .LBB296_1010
; %bb.1009:
	s_waitcnt vmcnt(0)
	global_store_b16 v[2:3], v0, off
.LBB296_1010:
	s_mov_b32 s12, 0
.LBB296_1011:
	s_delay_alu instid0(SALU_CYCLE_1)
	s_and_not1_b32 vcc_lo, exec_lo, s12
	s_cbranch_vccnz .LBB296_1016
; %bb.1012:
	v_cmp_lt_i16_e32 vcc_lo, 0, v5
	s_mov_b32 s12, -1
	s_cbranch_vccz .LBB296_1014
; %bb.1013:
	s_mov_b32 s12, 0
	s_waitcnt vmcnt(0)
	global_store_b8 v[2:3], v0, off
.LBB296_1014:
	s_and_not1_b32 vcc_lo, exec_lo, s12
	s_cbranch_vccnz .LBB296_1016
; %bb.1015:
	s_waitcnt vmcnt(0)
	global_store_b8 v[2:3], v0, off
.LBB296_1016:
	s_or_b32 exec_lo, exec_lo, s0
	s_delay_alu instid0(SALU_CYCLE_1)
	s_and_b32 s12, s13, exec_lo
                                        ; implicit-def: $vgpr4
                                        ; implicit-def: $vgpr5
.LBB296_1017:
	s_or_saveexec_b32 s3, s3
	s_mov_b32 s0, 0
                                        ; implicit-def: $vgpr6
                                        ; implicit-def: $vgpr0_vgpr1
                                        ; implicit-def: $vgpr2
	s_xor_b32 exec_lo, exec_lo, s3
	s_cbranch_execz .LBB296_1965
; %bb.1018:
	v_mul_lo_u32 v3, s9, v4
	v_cmp_gt_i16_e32 vcc_lo, 11, v5
	s_delay_alu instid0(VALU_DEP_2) | instskip(SKIP_1) | instid1(VALU_DEP_1)
	v_ashrrev_i32_e32 v1, 31, v3
	v_add_co_u32 v0, s0, s6, v3
	v_add_co_ci_u32_e64 v1, s0, s7, v1, s0
	s_cbranch_vccnz .LBB296_1025
; %bb.1019:
	v_cmp_lt_i16_e32 vcc_lo, 25, v5
	s_mov_b32 s13, 0
	s_cbranch_vccz .LBB296_1031
; %bb.1020:
	v_cmp_lt_i16_e32 vcc_lo, 28, v5
	s_cbranch_vccz .LBB296_1033
; %bb.1021:
	v_cmp_lt_i16_e32 vcc_lo, 43, v5
	;; [unrolled: 3-line block ×3, first 2 shown]
	s_cbranch_vccz .LBB296_1039
; %bb.1023:
	v_cmp_eq_u16_e32 vcc_lo, 46, v5
	s_cbranch_vccz .LBB296_1079
; %bb.1024:
	global_load_b32 v2, v[0:1], off
	s_mov_b32 s0, 0
	s_mov_b32 s14, -1
	s_waitcnt vmcnt(0)
	v_lshlrev_b32_e32 v2, 16, v2
	s_delay_alu instid0(VALU_DEP_1)
	v_cvt_i32_f32_e32 v2, v2
	s_branch .LBB296_1081
.LBB296_1025:
	s_mov_b32 s14, 0
	s_mov_b32 s1, s12
                                        ; implicit-def: $vgpr2
	s_cbranch_execz .LBB296_1139
; %bb.1026:
	v_cmp_gt_i16_e32 vcc_lo, 5, v5
	s_cbranch_vccnz .LBB296_1032
; %bb.1027:
	v_cmp_gt_i16_e32 vcc_lo, 8, v5
	s_cbranch_vccnz .LBB296_1034
	;; [unrolled: 3-line block ×3, first 2 shown]
; %bb.1029:
	v_cmp_lt_i16_e32 vcc_lo, 9, v5
	s_cbranch_vccz .LBB296_1040
; %bb.1030:
	global_load_b64 v[6:7], v[0:1], off
	s_mov_b32 s0, 0
	s_waitcnt vmcnt(0)
	v_cvt_i32_f64_e32 v2, v[6:7]
	s_branch .LBB296_1041
.LBB296_1031:
	s_mov_b32 s14, 0
	s_mov_b32 s0, 0
                                        ; implicit-def: $vgpr2
	s_cbranch_execnz .LBB296_1106
	s_branch .LBB296_1135
.LBB296_1032:
                                        ; implicit-def: $vgpr2
	s_branch .LBB296_1058
.LBB296_1033:
	s_mov_b32 s14, 0
	s_mov_b32 s0, 0
                                        ; implicit-def: $vgpr2
	s_cbranch_execz .LBB296_1105
	s_branch .LBB296_1090
.LBB296_1034:
                                        ; implicit-def: $vgpr2
	s_branch .LBB296_1047
.LBB296_1035:
	s_mov_b32 s14, 0
	s_mov_b32 s0, 0
                                        ; implicit-def: $vgpr2
	s_cbranch_execnz .LBB296_1086
	s_branch .LBB296_1089
.LBB296_1036:
	s_mov_b32 s0, -1
                                        ; implicit-def: $vgpr2
	s_branch .LBB296_1044
.LBB296_1037:
	s_cbranch_execnz .LBB296_1077
; %bb.1038:
	s_or_b32 s13, s13, exec_lo
	s_and_not1_b32 s16, s16, exec_lo
	s_or_b32 exec_lo, exec_lo, s0
	s_and_saveexec_b32 s0, s16
	s_delay_alu instid0(SALU_CYCLE_1)
	s_xor_b32 s0, exec_lo, s0
	s_cbranch_execnz .LBB296_977
	s_branch .LBB296_978
.LBB296_1039:
	s_mov_b32 s1, -1
	s_mov_b32 s14, 0
	s_mov_b32 s0, 0
	s_branch .LBB296_1080
.LBB296_1040:
	s_mov_b32 s0, -1
                                        ; implicit-def: $vgpr2
.LBB296_1041:
	s_delay_alu instid0(SALU_CYCLE_1)
	s_and_not1_b32 vcc_lo, exec_lo, s0
	s_cbranch_vccnz .LBB296_1043
; %bb.1042:
	global_load_b32 v2, v[0:1], off
	s_waitcnt vmcnt(0)
	v_cvt_i32_f32_e32 v2, v2
.LBB296_1043:
	s_mov_b32 s0, 0
.LBB296_1044:
	s_delay_alu instid0(SALU_CYCLE_1)
	s_and_not1_b32 vcc_lo, exec_lo, s0
	s_cbranch_vccnz .LBB296_1046
; %bb.1045:
	global_load_b32 v2, v[0:1], off
	s_waitcnt vmcnt(0)
	v_cvt_f32_f16_e32 v2, v2
	s_delay_alu instid0(VALU_DEP_1)
	v_cvt_i32_f32_e32 v2, v2
.LBB296_1046:
	s_cbranch_execnz .LBB296_1057
.LBB296_1047:
	v_cmp_gt_i16_e32 vcc_lo, 6, v5
	s_cbranch_vccnz .LBB296_1050
; %bb.1048:
	v_cmp_lt_i16_e32 vcc_lo, 6, v5
	s_cbranch_vccz .LBB296_1051
; %bb.1049:
	global_load_b64 v[6:7], v[0:1], off
	s_mov_b32 s0, 0
	s_waitcnt vmcnt(0)
	v_cvt_i32_f64_e32 v2, v[6:7]
	s_branch .LBB296_1052
.LBB296_1050:
	s_mov_b32 s0, -1
                                        ; implicit-def: $vgpr2
	s_branch .LBB296_1055
.LBB296_1051:
	s_mov_b32 s0, -1
                                        ; implicit-def: $vgpr2
.LBB296_1052:
	s_delay_alu instid0(SALU_CYCLE_1)
	s_and_not1_b32 vcc_lo, exec_lo, s0
	s_cbranch_vccnz .LBB296_1054
; %bb.1053:
	global_load_b32 v2, v[0:1], off
	s_waitcnt vmcnt(0)
	v_cvt_i32_f32_e32 v2, v2
.LBB296_1054:
	s_mov_b32 s0, 0
.LBB296_1055:
	s_delay_alu instid0(SALU_CYCLE_1)
	s_and_not1_b32 vcc_lo, exec_lo, s0
	s_cbranch_vccnz .LBB296_1057
; %bb.1056:
	global_load_u16 v2, v[0:1], off
	s_waitcnt vmcnt(0)
	v_cvt_f32_f16_e32 v2, v2
	s_delay_alu instid0(VALU_DEP_1)
	v_cvt_i32_f32_e32 v2, v2
.LBB296_1057:
	s_cbranch_execnz .LBB296_1076
.LBB296_1058:
	v_cmp_gt_i16_e32 vcc_lo, 2, v5
	s_cbranch_vccnz .LBB296_1062
; %bb.1059:
	v_cmp_gt_i16_e32 vcc_lo, 3, v5
	s_cbranch_vccnz .LBB296_1063
; %bb.1060:
	v_cmp_lt_i16_e32 vcc_lo, 3, v5
	s_cbranch_vccz .LBB296_1064
; %bb.1061:
	global_load_b32 v2, v[0:1], off
	s_mov_b32 s0, 0
	s_branch .LBB296_1065
.LBB296_1062:
                                        ; implicit-def: $vgpr2
	s_branch .LBB296_1071
.LBB296_1063:
	s_mov_b32 s0, -1
                                        ; implicit-def: $vgpr2
	s_branch .LBB296_1068
.LBB296_1064:
	s_mov_b32 s0, -1
                                        ; implicit-def: $vgpr2
.LBB296_1065:
	s_delay_alu instid0(SALU_CYCLE_1)
	s_and_not1_b32 vcc_lo, exec_lo, s0
	s_cbranch_vccnz .LBB296_1067
; %bb.1066:
	global_load_b32 v2, v[0:1], off
.LBB296_1067:
	s_mov_b32 s0, 0
.LBB296_1068:
	s_delay_alu instid0(SALU_CYCLE_1)
	s_and_not1_b32 vcc_lo, exec_lo, s0
	s_cbranch_vccnz .LBB296_1070
; %bb.1069:
	global_load_i16 v2, v[0:1], off
.LBB296_1070:
	s_cbranch_execnz .LBB296_1076
.LBB296_1071:
	v_cmp_lt_i16_e32 vcc_lo, 0, v5
	s_mov_b32 s0, 0
	s_cbranch_vccz .LBB296_1073
; %bb.1072:
	global_load_i8 v2, v[0:1], off
	s_branch .LBB296_1074
.LBB296_1073:
	s_mov_b32 s0, -1
                                        ; implicit-def: $vgpr2
.LBB296_1074:
	s_delay_alu instid0(SALU_CYCLE_1)
	s_and_not1_b32 vcc_lo, exec_lo, s0
	s_cbranch_vccnz .LBB296_1076
; %bb.1075:
	global_load_u8 v2, v[0:1], off
.LBB296_1076:
	s_branch .LBB296_1140
.LBB296_1077:
	s_trap 2
	s_sendmsg_rtn_b32 s0, sendmsg(MSG_RTN_GET_DOORBELL)
	s_mov_b32 ttmp2, m0
	s_waitcnt lgkmcnt(0)
	s_and_b32 s0, s0, 0x3ff
	s_delay_alu instid0(SALU_CYCLE_1) | instskip(NEXT) | instid1(SALU_CYCLE_1)
	s_bitset1_b32 s0, 10
	s_mov_b32 m0, s0
	s_sendmsg sendmsg(MSG_INTERRUPT)
	s_mov_b32 m0, ttmp2
.LBB296_1078:                           ; =>This Inner Loop Header: Depth=1
	s_sethalt 5
	s_branch .LBB296_1078
.LBB296_1079:
	s_mov_b32 s0, -1
	s_mov_b32 s14, 0
.LBB296_1080:
                                        ; implicit-def: $vgpr2
.LBB296_1081:
	s_and_b32 vcc_lo, exec_lo, s1
	s_cbranch_vccz .LBB296_1084
; %bb.1082:
	v_cmp_eq_u16_e32 vcc_lo, 44, v5
	s_cbranch_vccz .LBB296_1085
; %bb.1083:
	global_load_u8 v2, v[0:1], off
	s_mov_b32 s0, 0
	s_mov_b32 s14, -1
	s_waitcnt vmcnt(0)
	v_lshlrev_b32_e32 v6, 23, v2
	v_cmp_ne_u32_e32 vcc_lo, 0, v2
	s_delay_alu instid0(VALU_DEP_2) | instskip(NEXT) | instid1(VALU_DEP_1)
	v_cvt_i32_f32_e32 v6, v6
	v_cndmask_b32_e32 v2, 0, v6, vcc_lo
.LBB296_1084:
	s_branch .LBB296_1089
.LBB296_1085:
	s_mov_b32 s0, -1
                                        ; implicit-def: $vgpr2
	s_branch .LBB296_1089
.LBB296_1086:
	v_cmp_eq_u16_e32 vcc_lo, 29, v5
	s_cbranch_vccz .LBB296_1088
; %bb.1087:
	global_load_b32 v2, v[0:1], off
	s_mov_b32 s0, 0
	s_mov_b32 s14, -1
	s_branch .LBB296_1089
.LBB296_1088:
	s_mov_b32 s0, -1
                                        ; implicit-def: $vgpr2
.LBB296_1089:
	s_branch .LBB296_1105
.LBB296_1090:
	v_cmp_gt_i16_e32 vcc_lo, 27, v5
	s_cbranch_vccnz .LBB296_1093
; %bb.1091:
	v_cmp_lt_i16_e32 vcc_lo, 27, v5
	s_cbranch_vccz .LBB296_1094
; %bb.1092:
	global_load_b32 v2, v[0:1], off
	s_mov_b32 s1, 0
	s_branch .LBB296_1095
.LBB296_1093:
	s_mov_b32 s1, -1
                                        ; implicit-def: $vgpr2
	s_branch .LBB296_1098
.LBB296_1094:
	s_mov_b32 s1, -1
                                        ; implicit-def: $vgpr2
.LBB296_1095:
	s_delay_alu instid0(SALU_CYCLE_1)
	s_and_not1_b32 vcc_lo, exec_lo, s1
	s_cbranch_vccnz .LBB296_1097
; %bb.1096:
	global_load_u16 v2, v[0:1], off
.LBB296_1097:
	s_mov_b32 s1, 0
.LBB296_1098:
	s_delay_alu instid0(SALU_CYCLE_1)
	s_and_not1_b32 vcc_lo, exec_lo, s1
	s_cbranch_vccnz .LBB296_1104
; %bb.1099:
	global_load_u8 v6, v[0:1], off
	s_mov_b32 s1, 0
	s_mov_b32 s14, exec_lo
                                        ; implicit-def: $sgpr15
	s_waitcnt vmcnt(0)
	v_cmpx_lt_i16_e32 0x7f, v6
	s_xor_b32 s14, exec_lo, s14
	s_cbranch_execz .LBB296_1115
; %bb.1100:
	v_cmp_ne_u16_e32 vcc_lo, 0x80, v6
	s_mov_b32 s15, 0
	s_and_b32 s1, vcc_lo, exec_lo
	s_or_saveexec_b32 s14, s14
	v_mov_b32_e32 v2, s15
	s_xor_b32 exec_lo, exec_lo, s14
	s_cbranch_execnz .LBB296_1116
.LBB296_1101:
	s_or_b32 exec_lo, exec_lo, s14
	s_and_saveexec_b32 s14, s1
	s_cbranch_execz .LBB296_1103
.LBB296_1102:
	v_and_b32_e32 v2, 0xffff, v6
	v_lshlrev_b32_e32 v6, 24, v6
	s_delay_alu instid0(VALU_DEP_2) | instskip(NEXT) | instid1(VALU_DEP_2)
	v_and_b32_e32 v7, 7, v2
	v_and_b32_e32 v6, 0x80000000, v6
	s_delay_alu instid0(VALU_DEP_2) | instskip(NEXT) | instid1(VALU_DEP_1)
	v_clz_i32_u32_e32 v8, v7
	v_min_u32_e32 v8, 32, v8
	s_delay_alu instid0(VALU_DEP_1) | instskip(SKIP_1) | instid1(VALU_DEP_2)
	v_subrev_nc_u32_e32 v9, 28, v8
	v_sub_nc_u32_e32 v8, 29, v8
	v_lshlrev_b32_e32 v9, v9, v2
	v_bfe_u32 v2, v2, 3, 4
	s_delay_alu instid0(VALU_DEP_2) | instskip(NEXT) | instid1(VALU_DEP_2)
	v_and_b32_e32 v9, 7, v9
	v_cmp_eq_u32_e32 vcc_lo, 0, v2
	s_delay_alu instid0(VALU_DEP_2) | instskip(NEXT) | instid1(VALU_DEP_1)
	v_dual_cndmask_b32 v2, v2, v8 :: v_dual_cndmask_b32 v7, v7, v9
	v_lshl_add_u32 v2, v2, 23, 0x3b800000
	s_delay_alu instid0(VALU_DEP_2) | instskip(NEXT) | instid1(VALU_DEP_1)
	v_lshlrev_b32_e32 v7, 20, v7
	v_or3_b32 v2, v6, v2, v7
	s_delay_alu instid0(VALU_DEP_1)
	v_cvt_i32_f32_e32 v2, v2
.LBB296_1103:
	s_or_b32 exec_lo, exec_lo, s14
.LBB296_1104:
	s_mov_b32 s14, -1
.LBB296_1105:
	s_branch .LBB296_1135
.LBB296_1106:
	v_cmp_lt_i16_e32 vcc_lo, 22, v5
	s_cbranch_vccz .LBB296_1114
; %bb.1107:
	v_cmp_gt_i16_e32 vcc_lo, 24, v5
	s_cbranch_vccnz .LBB296_1117
; %bb.1108:
	v_cmp_lt_i16_e32 vcc_lo, 24, v5
	s_cbranch_vccz .LBB296_1118
; %bb.1109:
	global_load_u8 v6, v[0:1], off
	s_mov_b32 s1, 0
	s_mov_b32 s13, exec_lo
                                        ; implicit-def: $sgpr14
	s_waitcnt vmcnt(0)
	v_cmpx_lt_i16_e32 0x7f, v6
	s_xor_b32 s13, exec_lo, s13
	s_cbranch_execz .LBB296_1129
; %bb.1110:
	v_cmp_ne_u16_e32 vcc_lo, 0x80, v6
	s_mov_b32 s14, 0
	s_and_b32 s1, vcc_lo, exec_lo
	s_or_saveexec_b32 s13, s13
	v_mov_b32_e32 v2, s14
	s_xor_b32 exec_lo, exec_lo, s13
	s_cbranch_execnz .LBB296_1130
.LBB296_1111:
	s_or_b32 exec_lo, exec_lo, s13
	s_and_saveexec_b32 s13, s1
	s_cbranch_execz .LBB296_1113
.LBB296_1112:
	v_and_b32_e32 v2, 0xffff, v6
	v_lshlrev_b32_e32 v6, 24, v6
	s_delay_alu instid0(VALU_DEP_2) | instskip(NEXT) | instid1(VALU_DEP_2)
	v_and_b32_e32 v7, 3, v2
	v_and_b32_e32 v6, 0x80000000, v6
	s_delay_alu instid0(VALU_DEP_2) | instskip(NEXT) | instid1(VALU_DEP_1)
	v_clz_i32_u32_e32 v8, v7
	v_min_u32_e32 v8, 32, v8
	s_delay_alu instid0(VALU_DEP_1) | instskip(SKIP_1) | instid1(VALU_DEP_2)
	v_subrev_nc_u32_e32 v9, 29, v8
	v_sub_nc_u32_e32 v8, 30, v8
	v_lshlrev_b32_e32 v9, v9, v2
	v_bfe_u32 v2, v2, 2, 5
	s_delay_alu instid0(VALU_DEP_2) | instskip(NEXT) | instid1(VALU_DEP_2)
	v_and_b32_e32 v9, 3, v9
	v_cmp_eq_u32_e32 vcc_lo, 0, v2
	s_delay_alu instid0(VALU_DEP_2) | instskip(NEXT) | instid1(VALU_DEP_1)
	v_dual_cndmask_b32 v2, v2, v8 :: v_dual_cndmask_b32 v7, v7, v9
	v_lshl_add_u32 v2, v2, 23, 0x37800000
	s_delay_alu instid0(VALU_DEP_2) | instskip(NEXT) | instid1(VALU_DEP_1)
	v_lshlrev_b32_e32 v7, 21, v7
	v_or3_b32 v2, v6, v2, v7
	s_delay_alu instid0(VALU_DEP_1)
	v_cvt_i32_f32_e32 v2, v2
.LBB296_1113:
	s_or_b32 exec_lo, exec_lo, s13
	s_mov_b32 s1, 0
	s_branch .LBB296_1119
.LBB296_1114:
                                        ; implicit-def: $vgpr2
	s_mov_b32 s13, 0
	s_branch .LBB296_1125
.LBB296_1115:
	s_or_saveexec_b32 s14, s14
	v_mov_b32_e32 v2, s15
	s_xor_b32 exec_lo, exec_lo, s14
	s_cbranch_execz .LBB296_1101
.LBB296_1116:
	v_cmp_ne_u16_e32 vcc_lo, 0, v6
	v_mov_b32_e32 v2, 0
	s_and_not1_b32 s1, s1, exec_lo
	s_and_b32 s15, vcc_lo, exec_lo
	s_delay_alu instid0(SALU_CYCLE_1)
	s_or_b32 s1, s1, s15
	s_or_b32 exec_lo, exec_lo, s14
	s_and_saveexec_b32 s14, s1
	s_cbranch_execnz .LBB296_1102
	s_branch .LBB296_1103
.LBB296_1117:
	s_mov_b32 s1, -1
                                        ; implicit-def: $vgpr2
	s_branch .LBB296_1122
.LBB296_1118:
	s_mov_b32 s1, -1
                                        ; implicit-def: $vgpr2
.LBB296_1119:
	s_delay_alu instid0(SALU_CYCLE_1)
	s_and_b32 vcc_lo, exec_lo, s1
	s_cbranch_vccz .LBB296_1121
; %bb.1120:
	global_load_u8 v2, v[0:1], off
	s_waitcnt vmcnt(0)
	v_lshlrev_b32_e32 v2, 24, v2
	s_delay_alu instid0(VALU_DEP_1) | instskip(NEXT) | instid1(VALU_DEP_1)
	v_and_b32_e32 v6, 0x7f000000, v2
	v_clz_i32_u32_e32 v7, v6
	v_cmp_ne_u32_e32 vcc_lo, 0, v6
	v_add_nc_u32_e32 v9, 0x1000000, v6
	s_delay_alu instid0(VALU_DEP_3) | instskip(NEXT) | instid1(VALU_DEP_1)
	v_min_u32_e32 v7, 32, v7
	v_sub_nc_u32_e64 v7, v7, 4 clamp
	s_delay_alu instid0(VALU_DEP_1) | instskip(SKIP_1) | instid1(VALU_DEP_2)
	v_lshlrev_b32_e32 v8, v7, v6
	v_lshlrev_b32_e32 v7, 23, v7
	v_lshrrev_b32_e32 v8, 4, v8
	s_delay_alu instid0(VALU_DEP_1) | instskip(SKIP_1) | instid1(VALU_DEP_2)
	v_sub_nc_u32_e32 v7, v8, v7
	v_ashrrev_i32_e32 v8, 8, v9
	v_add_nc_u32_e32 v7, 0x3c000000, v7
	s_delay_alu instid0(VALU_DEP_1) | instskip(NEXT) | instid1(VALU_DEP_1)
	v_and_or_b32 v7, 0x7f800000, v8, v7
	v_cndmask_b32_e32 v6, 0, v7, vcc_lo
	s_delay_alu instid0(VALU_DEP_1) | instskip(NEXT) | instid1(VALU_DEP_1)
	v_and_or_b32 v2, 0x80000000, v2, v6
	v_cvt_i32_f32_e32 v2, v2
.LBB296_1121:
	s_mov_b32 s1, 0
.LBB296_1122:
	s_delay_alu instid0(SALU_CYCLE_1)
	s_and_not1_b32 vcc_lo, exec_lo, s1
	s_cbranch_vccnz .LBB296_1124
; %bb.1123:
	global_load_u8 v2, v[0:1], off
	s_waitcnt vmcnt(0)
	v_lshlrev_b32_e32 v6, 25, v2
	v_lshlrev_b16 v2, 8, v2
	s_delay_alu instid0(VALU_DEP_2) | instskip(NEXT) | instid1(VALU_DEP_2)
	v_lshrrev_b32_e32 v7, 4, v6
	v_and_or_b32 v8, 0x7f00, v2, 0.5
	v_bfe_i32 v2, v2, 0, 16
	s_delay_alu instid0(VALU_DEP_3) | instskip(NEXT) | instid1(VALU_DEP_1)
	v_or_b32_e32 v7, 0x70000000, v7
	v_dual_add_f32 v8, -0.5, v8 :: v_dual_mul_f32 v7, 0x7800000, v7
	v_cmp_gt_u32_e32 vcc_lo, 0x8000000, v6
	s_delay_alu instid0(VALU_DEP_2) | instskip(NEXT) | instid1(VALU_DEP_1)
	v_cndmask_b32_e32 v6, v7, v8, vcc_lo
	v_and_or_b32 v2, 0x80000000, v2, v6
	s_delay_alu instid0(VALU_DEP_1)
	v_cvt_i32_f32_e32 v2, v2
.LBB296_1124:
	s_mov_b32 s14, -1
	s_mov_b32 s13, 0
	s_cbranch_execnz .LBB296_1135
.LBB296_1125:
	v_cmp_lt_i16_e32 vcc_lo, 14, v5
	s_cbranch_vccz .LBB296_1128
; %bb.1126:
	v_cmp_eq_u16_e32 vcc_lo, 15, v5
	s_cbranch_vccz .LBB296_1131
; %bb.1127:
	global_load_u16 v2, v[0:1], off
	s_mov_b32 s0, 0
	s_mov_b32 s14, -1
	s_waitcnt vmcnt(0)
	v_lshlrev_b32_e32 v2, 16, v2
	s_delay_alu instid0(VALU_DEP_1)
	v_cvt_i32_f32_e32 v2, v2
	s_branch .LBB296_1132
.LBB296_1128:
	s_mov_b32 s1, -1
                                        ; implicit-def: $vgpr2
	s_branch .LBB296_1133
.LBB296_1129:
	s_or_saveexec_b32 s13, s13
	v_mov_b32_e32 v2, s14
	s_xor_b32 exec_lo, exec_lo, s13
	s_cbranch_execz .LBB296_1111
.LBB296_1130:
	v_cmp_ne_u16_e32 vcc_lo, 0, v6
	v_mov_b32_e32 v2, 0
	s_and_not1_b32 s1, s1, exec_lo
	s_and_b32 s14, vcc_lo, exec_lo
	s_delay_alu instid0(SALU_CYCLE_1)
	s_or_b32 s1, s1, s14
	s_or_b32 exec_lo, exec_lo, s13
	s_and_saveexec_b32 s13, s1
	s_cbranch_execnz .LBB296_1112
	s_branch .LBB296_1113
.LBB296_1131:
	s_mov_b32 s0, -1
                                        ; implicit-def: $vgpr2
.LBB296_1132:
	s_mov_b32 s1, 0
.LBB296_1133:
	s_delay_alu instid0(SALU_CYCLE_1)
	s_and_b32 vcc_lo, exec_lo, s1
	s_cbranch_vccz .LBB296_1135
; %bb.1134:
	v_cmp_ne_u16_e64 s0, 11, v5
	s_mov_b32 s13, -1
                                        ; implicit-def: $vgpr2
.LBB296_1135:
	s_delay_alu instid0(VALU_DEP_1)
	s_and_b32 vcc_lo, exec_lo, s0
	s_mov_b32 s1, s12
	s_cbranch_vccnz .LBB296_1159
; %bb.1136:
	s_and_not1_b32 vcc_lo, exec_lo, s13
	s_cbranch_vccnz .LBB296_1138
.LBB296_1137:
	global_load_u8 v2, v[0:1], off
	s_mov_b32 s14, -1
	s_waitcnt vmcnt(0)
	v_cmp_ne_u16_e32 vcc_lo, 0, v2
	v_cndmask_b32_e64 v2, 0, 1, vcc_lo
.LBB296_1138:
.LBB296_1139:
	s_and_not1_b32 vcc_lo, exec_lo, s14
	s_cbranch_vccnz .LBB296_1963
.LBB296_1140:
	s_lshl_b32 s9, s9, 7
	v_cmp_gt_i16_e32 vcc_lo, 11, v5
	v_add_nc_u32_e32 v3, s9, v3
	s_delay_alu instid0(VALU_DEP_1) | instskip(SKIP_1) | instid1(VALU_DEP_1)
	v_ashrrev_i32_e32 v1, 31, v3
	v_add_co_u32 v0, s0, s6, v3
	v_add_co_ci_u32_e64 v1, s0, s7, v1, s0
	s_cbranch_vccnz .LBB296_1147
; %bb.1141:
	v_cmp_lt_i16_e32 vcc_lo, 25, v5
	s_mov_b32 s13, 0
	s_cbranch_vccz .LBB296_1153
; %bb.1142:
	v_cmp_lt_i16_e32 vcc_lo, 28, v5
	s_cbranch_vccz .LBB296_1155
; %bb.1143:
	v_cmp_lt_i16_e32 vcc_lo, 43, v5
	;; [unrolled: 3-line block ×3, first 2 shown]
	s_cbranch_vccz .LBB296_1163
; %bb.1145:
	v_cmp_eq_u16_e32 vcc_lo, 46, v5
	s_mov_b32 s15, 0
	s_cbranch_vccz .LBB296_1207
; %bb.1146:
	global_load_b32 v6, v[0:1], off
	s_mov_b32 s0, 0
	s_mov_b32 s14, -1
	s_waitcnt vmcnt(0)
	v_lshlrev_b32_e32 v6, 16, v6
	s_delay_alu instid0(VALU_DEP_1)
	v_cvt_i32_f32_e32 v9, v6
	s_branch .LBB296_1209
.LBB296_1147:
	s_mov_b32 s14, 0
                                        ; implicit-def: $vgpr9
	s_cbranch_execz .LBB296_1270
; %bb.1148:
	v_cmp_gt_i16_e32 vcc_lo, 5, v5
	s_cbranch_vccnz .LBB296_1154
; %bb.1149:
	v_cmp_gt_i16_e32 vcc_lo, 8, v5
	s_cbranch_vccnz .LBB296_1156
; %bb.1150:
	v_cmp_gt_i16_e32 vcc_lo, 9, v5
	s_cbranch_vccnz .LBB296_1158
; %bb.1151:
	v_cmp_lt_i16_e32 vcc_lo, 9, v5
	s_cbranch_vccz .LBB296_1164
; %bb.1152:
	global_load_b64 v[6:7], v[0:1], off
	s_mov_b32 s0, 0
	s_waitcnt vmcnt(0)
	v_cvt_i32_f64_e32 v9, v[6:7]
	s_branch .LBB296_1165
.LBB296_1153:
	s_mov_b32 s14, 0
	s_mov_b32 s0, 0
                                        ; implicit-def: $vgpr9
	s_cbranch_execnz .LBB296_1236
	s_branch .LBB296_1266
.LBB296_1154:
                                        ; implicit-def: $vgpr9
	s_branch .LBB296_1183
.LBB296_1155:
	s_mov_b32 s15, -1
	s_mov_b32 s14, 0
	s_mov_b32 s0, 0
                                        ; implicit-def: $vgpr9
	s_branch .LBB296_1219
.LBB296_1156:
	s_mov_b32 s0, -1
                                        ; implicit-def: $vgpr9
	s_branch .LBB296_1171
.LBB296_1157:
	s_mov_b32 s15, -1
	s_mov_b32 s14, 0
	s_mov_b32 s0, 0
                                        ; implicit-def: $vgpr9
	s_branch .LBB296_1214
.LBB296_1158:
	s_mov_b32 s0, -1
                                        ; implicit-def: $vgpr9
	s_branch .LBB296_1168
.LBB296_1159:
	s_cbranch_execnz .LBB296_1203
; %bb.1160:
	s_or_b32 s1, s12, exec_lo
                                        ; implicit-def: $vgpr2
	s_cbranch_execz .LBB296_1137
	s_branch .LBB296_1138
.LBB296_1161:
	s_or_saveexec_b32 s17, s17
                                        ; implicit-def: $sgpr18
	s_delay_alu instid0(SALU_CYCLE_1)
	s_xor_b32 exec_lo, exec_lo, s17
	s_cbranch_execz .LBB296_928
.LBB296_1162:
	v_add_f32_e64 v4, 0x46000000, |v1|
	s_and_not1_b32 s16, s16, exec_lo
	s_mov_b32 s18, 0
	s_delay_alu instid0(VALU_DEP_1) | instskip(NEXT) | instid1(VALU_DEP_1)
	v_and_b32_e32 v4, 0xff, v4
	v_cmp_ne_u32_e32 vcc_lo, 0, v4
	s_and_b32 s19, vcc_lo, exec_lo
	s_delay_alu instid0(SALU_CYCLE_1)
	s_or_b32 s16, s16, s19
	s_or_b32 exec_lo, exec_lo, s17
	v_mov_b32_e32 v6, s18
	s_and_saveexec_b32 s17, s16
	s_cbranch_execnz .LBB296_929
	s_branch .LBB296_930
.LBB296_1163:
	s_mov_b32 s15, -1
	s_mov_b32 s14, 0
	s_mov_b32 s0, 0
	s_branch .LBB296_1208
.LBB296_1164:
	s_mov_b32 s0, -1
                                        ; implicit-def: $vgpr9
.LBB296_1165:
	s_delay_alu instid0(SALU_CYCLE_1)
	s_and_not1_b32 vcc_lo, exec_lo, s0
	s_cbranch_vccnz .LBB296_1167
; %bb.1166:
	global_load_b32 v6, v[0:1], off
	s_waitcnt vmcnt(0)
	v_cvt_i32_f32_e32 v9, v6
.LBB296_1167:
	s_mov_b32 s0, 0
.LBB296_1168:
	s_delay_alu instid0(SALU_CYCLE_1)
	s_and_not1_b32 vcc_lo, exec_lo, s0
	s_cbranch_vccnz .LBB296_1170
; %bb.1169:
	global_load_b32 v6, v[0:1], off
	s_waitcnt vmcnt(0)
	v_cvt_f32_f16_e32 v6, v6
	s_delay_alu instid0(VALU_DEP_1)
	v_cvt_i32_f32_e32 v9, v6
.LBB296_1170:
	s_mov_b32 s0, 0
.LBB296_1171:
	s_delay_alu instid0(SALU_CYCLE_1)
	s_and_not1_b32 vcc_lo, exec_lo, s0
	s_cbranch_vccnz .LBB296_1182
; %bb.1172:
	v_cmp_gt_i16_e32 vcc_lo, 6, v5
	s_cbranch_vccnz .LBB296_1175
; %bb.1173:
	v_cmp_lt_i16_e32 vcc_lo, 6, v5
	s_cbranch_vccz .LBB296_1176
; %bb.1174:
	global_load_b64 v[6:7], v[0:1], off
	s_mov_b32 s0, 0
	s_waitcnt vmcnt(0)
	v_cvt_i32_f64_e32 v9, v[6:7]
	s_branch .LBB296_1177
.LBB296_1175:
	s_mov_b32 s0, -1
                                        ; implicit-def: $vgpr9
	s_branch .LBB296_1180
.LBB296_1176:
	s_mov_b32 s0, -1
                                        ; implicit-def: $vgpr9
.LBB296_1177:
	s_delay_alu instid0(SALU_CYCLE_1)
	s_and_not1_b32 vcc_lo, exec_lo, s0
	s_cbranch_vccnz .LBB296_1179
; %bb.1178:
	global_load_b32 v6, v[0:1], off
	s_waitcnt vmcnt(0)
	v_cvt_i32_f32_e32 v9, v6
.LBB296_1179:
	s_mov_b32 s0, 0
.LBB296_1180:
	s_delay_alu instid0(SALU_CYCLE_1)
	s_and_not1_b32 vcc_lo, exec_lo, s0
	s_cbranch_vccnz .LBB296_1182
; %bb.1181:
	global_load_u16 v6, v[0:1], off
	s_waitcnt vmcnt(0)
	v_cvt_f32_f16_e32 v6, v6
	s_delay_alu instid0(VALU_DEP_1)
	v_cvt_i32_f32_e32 v9, v6
.LBB296_1182:
	s_cbranch_execnz .LBB296_1202
.LBB296_1183:
	v_cmp_gt_i16_e32 vcc_lo, 2, v5
	s_cbranch_vccnz .LBB296_1187
; %bb.1184:
	v_cmp_gt_i16_e32 vcc_lo, 3, v5
	s_cbranch_vccnz .LBB296_1188
; %bb.1185:
	v_cmp_lt_i16_e32 vcc_lo, 3, v5
	s_cbranch_vccz .LBB296_1189
; %bb.1186:
	global_load_b32 v9, v[0:1], off
	s_mov_b32 s0, 0
	s_branch .LBB296_1190
.LBB296_1187:
	s_mov_b32 s0, -1
                                        ; implicit-def: $vgpr9
	s_branch .LBB296_1196
.LBB296_1188:
	s_mov_b32 s0, -1
                                        ; implicit-def: $vgpr9
	s_branch .LBB296_1193
.LBB296_1189:
	s_mov_b32 s0, -1
                                        ; implicit-def: $vgpr9
.LBB296_1190:
	s_delay_alu instid0(SALU_CYCLE_1)
	s_and_not1_b32 vcc_lo, exec_lo, s0
	s_cbranch_vccnz .LBB296_1192
; %bb.1191:
	global_load_b32 v9, v[0:1], off
.LBB296_1192:
	s_mov_b32 s0, 0
.LBB296_1193:
	s_delay_alu instid0(SALU_CYCLE_1)
	s_and_not1_b32 vcc_lo, exec_lo, s0
	s_cbranch_vccnz .LBB296_1195
; %bb.1194:
	global_load_i16 v9, v[0:1], off
.LBB296_1195:
	s_mov_b32 s0, 0
.LBB296_1196:
	s_delay_alu instid0(SALU_CYCLE_1)
	s_and_not1_b32 vcc_lo, exec_lo, s0
	s_cbranch_vccnz .LBB296_1202
; %bb.1197:
	v_cmp_lt_i16_e32 vcc_lo, 0, v5
	s_mov_b32 s0, 0
	s_cbranch_vccz .LBB296_1199
; %bb.1198:
	global_load_i8 v9, v[0:1], off
	s_branch .LBB296_1200
.LBB296_1199:
	s_mov_b32 s0, -1
                                        ; implicit-def: $vgpr9
.LBB296_1200:
	s_delay_alu instid0(SALU_CYCLE_1)
	s_and_not1_b32 vcc_lo, exec_lo, s0
	s_cbranch_vccnz .LBB296_1202
; %bb.1201:
	global_load_u8 v9, v[0:1], off
.LBB296_1202:
	s_branch .LBB296_1271
.LBB296_1203:
	s_trap 2
	s_sendmsg_rtn_b32 s0, sendmsg(MSG_RTN_GET_DOORBELL)
	s_mov_b32 ttmp2, m0
	s_waitcnt lgkmcnt(0)
	s_and_b32 s0, s0, 0x3ff
	s_delay_alu instid0(SALU_CYCLE_1) | instskip(NEXT) | instid1(SALU_CYCLE_1)
	s_bitset1_b32 s0, 10
	s_mov_b32 m0, s0
	s_sendmsg sendmsg(MSG_INTERRUPT)
	s_mov_b32 m0, ttmp2
.LBB296_1204:                           ; =>This Inner Loop Header: Depth=1
	s_sethalt 5
	s_branch .LBB296_1204
.LBB296_1205:
	s_or_saveexec_b32 s18, s18
                                        ; implicit-def: $sgpr19
	s_delay_alu instid0(SALU_CYCLE_1)
	s_xor_b32 exec_lo, exec_lo, s18
	s_cbranch_execz .LBB296_940
.LBB296_1206:
	v_add_f32_e64 v4, 0x42800000, |v1|
	s_and_not1_b32 s17, s17, exec_lo
	s_mov_b32 s19, 0
	s_delay_alu instid0(VALU_DEP_1) | instskip(NEXT) | instid1(VALU_DEP_1)
	v_and_b32_e32 v4, 0xff, v4
	v_cmp_ne_u32_e32 vcc_lo, 0, v4
	s_and_b32 s20, vcc_lo, exec_lo
	s_delay_alu instid0(SALU_CYCLE_1)
	s_or_b32 s17, s17, s20
	s_or_b32 exec_lo, exec_lo, s18
	v_mov_b32_e32 v6, s19
	s_and_saveexec_b32 s18, s17
	s_cbranch_execnz .LBB296_941
	s_branch .LBB296_942
.LBB296_1207:
	s_mov_b32 s0, -1
	s_mov_b32 s14, 0
.LBB296_1208:
                                        ; implicit-def: $vgpr9
.LBB296_1209:
	s_and_b32 vcc_lo, exec_lo, s15
	s_cbranch_vccz .LBB296_1213
; %bb.1210:
	v_cmp_eq_u16_e32 vcc_lo, 44, v5
	s_cbranch_vccz .LBB296_1212
; %bb.1211:
	global_load_u8 v6, v[0:1], off
	s_mov_b32 s0, 0
	s_mov_b32 s14, -1
	s_waitcnt vmcnt(0)
	v_lshlrev_b32_e32 v7, 23, v6
	v_cmp_ne_u32_e32 vcc_lo, 0, v6
	s_delay_alu instid0(VALU_DEP_2) | instskip(NEXT) | instid1(VALU_DEP_1)
	v_cvt_i32_f32_e32 v7, v7
	v_cndmask_b32_e32 v9, 0, v7, vcc_lo
	s_branch .LBB296_1213
.LBB296_1212:
	s_mov_b32 s0, -1
                                        ; implicit-def: $vgpr9
.LBB296_1213:
	s_mov_b32 s15, 0
.LBB296_1214:
	s_delay_alu instid0(SALU_CYCLE_1)
	s_and_b32 vcc_lo, exec_lo, s15
	s_cbranch_vccz .LBB296_1218
; %bb.1215:
	v_cmp_eq_u16_e32 vcc_lo, 29, v5
	s_cbranch_vccz .LBB296_1217
; %bb.1216:
	global_load_b32 v9, v[0:1], off
	s_mov_b32 s0, 0
	s_mov_b32 s14, -1
	s_branch .LBB296_1218
.LBB296_1217:
	s_mov_b32 s0, -1
                                        ; implicit-def: $vgpr9
.LBB296_1218:
	s_mov_b32 s15, 0
.LBB296_1219:
	s_delay_alu instid0(SALU_CYCLE_1)
	s_and_b32 vcc_lo, exec_lo, s15
	s_cbranch_vccz .LBB296_1235
; %bb.1220:
	v_cmp_gt_i16_e32 vcc_lo, 27, v5
	s_cbranch_vccnz .LBB296_1223
; %bb.1221:
	v_cmp_lt_i16_e32 vcc_lo, 27, v5
	s_cbranch_vccz .LBB296_1224
; %bb.1222:
	global_load_b32 v9, v[0:1], off
	s_mov_b32 s14, 0
	s_branch .LBB296_1225
.LBB296_1223:
	s_mov_b32 s14, -1
                                        ; implicit-def: $vgpr9
	s_branch .LBB296_1228
.LBB296_1224:
	s_mov_b32 s14, -1
                                        ; implicit-def: $vgpr9
.LBB296_1225:
	s_delay_alu instid0(SALU_CYCLE_1)
	s_and_not1_b32 vcc_lo, exec_lo, s14
	s_cbranch_vccnz .LBB296_1227
; %bb.1226:
	global_load_u16 v9, v[0:1], off
.LBB296_1227:
	s_mov_b32 s14, 0
.LBB296_1228:
	s_delay_alu instid0(SALU_CYCLE_1)
	s_and_not1_b32 vcc_lo, exec_lo, s14
	s_cbranch_vccnz .LBB296_1234
; %bb.1229:
	global_load_u8 v6, v[0:1], off
	s_mov_b32 s14, 0
	s_mov_b32 s15, exec_lo
                                        ; implicit-def: $sgpr16
	s_waitcnt vmcnt(0)
	v_cmpx_lt_i16_e32 0x7f, v6
	s_xor_b32 s15, exec_lo, s15
	s_cbranch_execz .LBB296_1245
; %bb.1230:
	v_cmp_ne_u16_e32 vcc_lo, 0x80, v6
	s_mov_b32 s16, 0
	s_and_b32 s14, vcc_lo, exec_lo
	s_or_saveexec_b32 s15, s15
	v_mov_b32_e32 v9, s16
	s_xor_b32 exec_lo, exec_lo, s15
	s_cbranch_execnz .LBB296_1246
.LBB296_1231:
	s_or_b32 exec_lo, exec_lo, s15
	s_and_saveexec_b32 s15, s14
	s_cbranch_execz .LBB296_1233
.LBB296_1232:
	v_and_b32_e32 v7, 0xffff, v6
	v_lshlrev_b32_e32 v6, 24, v6
	s_delay_alu instid0(VALU_DEP_2) | instskip(NEXT) | instid1(VALU_DEP_2)
	v_and_b32_e32 v8, 7, v7
	v_and_b32_e32 v6, 0x80000000, v6
	s_delay_alu instid0(VALU_DEP_2) | instskip(NEXT) | instid1(VALU_DEP_1)
	v_clz_i32_u32_e32 v9, v8
	v_min_u32_e32 v9, 32, v9
	s_delay_alu instid0(VALU_DEP_1) | instskip(SKIP_1) | instid1(VALU_DEP_2)
	v_subrev_nc_u32_e32 v10, 28, v9
	v_sub_nc_u32_e32 v9, 29, v9
	v_lshlrev_b32_e32 v10, v10, v7
	v_bfe_u32 v7, v7, 3, 4
	s_delay_alu instid0(VALU_DEP_2) | instskip(NEXT) | instid1(VALU_DEP_2)
	v_and_b32_e32 v10, 7, v10
	v_cmp_eq_u32_e32 vcc_lo, 0, v7
	s_delay_alu instid0(VALU_DEP_2) | instskip(NEXT) | instid1(VALU_DEP_1)
	v_dual_cndmask_b32 v7, v7, v9 :: v_dual_cndmask_b32 v8, v8, v10
	v_lshl_add_u32 v7, v7, 23, 0x3b800000
	s_delay_alu instid0(VALU_DEP_2) | instskip(NEXT) | instid1(VALU_DEP_1)
	v_lshlrev_b32_e32 v8, 20, v8
	v_or3_b32 v6, v6, v7, v8
	s_delay_alu instid0(VALU_DEP_1)
	v_cvt_i32_f32_e32 v9, v6
.LBB296_1233:
	s_or_b32 exec_lo, exec_lo, s15
.LBB296_1234:
	s_mov_b32 s14, -1
.LBB296_1235:
	s_branch .LBB296_1266
.LBB296_1236:
	v_cmp_lt_i16_e32 vcc_lo, 22, v5
	s_cbranch_vccz .LBB296_1244
; %bb.1237:
	v_cmp_gt_i16_e32 vcc_lo, 24, v5
	s_cbranch_vccnz .LBB296_1247
; %bb.1238:
	v_cmp_lt_i16_e32 vcc_lo, 24, v5
	s_cbranch_vccz .LBB296_1248
; %bb.1239:
	global_load_u8 v6, v[0:1], off
	s_mov_b32 s14, exec_lo
                                        ; implicit-def: $sgpr15
	s_waitcnt vmcnt(0)
	v_cmpx_lt_i16_e32 0x7f, v6
	s_xor_b32 s14, exec_lo, s14
	s_cbranch_execz .LBB296_1260
; %bb.1240:
	v_cmp_ne_u16_e32 vcc_lo, 0x80, v6
	s_mov_b32 s15, 0
	s_and_b32 s13, vcc_lo, exec_lo
	s_or_saveexec_b32 s14, s14
	v_mov_b32_e32 v9, s15
	s_xor_b32 exec_lo, exec_lo, s14
	s_cbranch_execnz .LBB296_1261
.LBB296_1241:
	s_or_b32 exec_lo, exec_lo, s14
	s_and_saveexec_b32 s14, s13
	s_cbranch_execz .LBB296_1243
.LBB296_1242:
	v_and_b32_e32 v7, 0xffff, v6
	v_lshlrev_b32_e32 v6, 24, v6
	s_delay_alu instid0(VALU_DEP_2) | instskip(NEXT) | instid1(VALU_DEP_2)
	v_and_b32_e32 v8, 3, v7
	v_and_b32_e32 v6, 0x80000000, v6
	s_delay_alu instid0(VALU_DEP_2) | instskip(NEXT) | instid1(VALU_DEP_1)
	v_clz_i32_u32_e32 v9, v8
	v_min_u32_e32 v9, 32, v9
	s_delay_alu instid0(VALU_DEP_1) | instskip(SKIP_1) | instid1(VALU_DEP_2)
	v_subrev_nc_u32_e32 v10, 29, v9
	v_sub_nc_u32_e32 v9, 30, v9
	v_lshlrev_b32_e32 v10, v10, v7
	v_bfe_u32 v7, v7, 2, 5
	s_delay_alu instid0(VALU_DEP_2) | instskip(NEXT) | instid1(VALU_DEP_2)
	v_and_b32_e32 v10, 3, v10
	v_cmp_eq_u32_e32 vcc_lo, 0, v7
	s_delay_alu instid0(VALU_DEP_2) | instskip(NEXT) | instid1(VALU_DEP_1)
	v_dual_cndmask_b32 v7, v7, v9 :: v_dual_cndmask_b32 v8, v8, v10
	v_lshl_add_u32 v7, v7, 23, 0x37800000
	s_delay_alu instid0(VALU_DEP_2) | instskip(NEXT) | instid1(VALU_DEP_1)
	v_lshlrev_b32_e32 v8, 21, v8
	v_or3_b32 v6, v6, v7, v8
	s_delay_alu instid0(VALU_DEP_1)
	v_cvt_i32_f32_e32 v9, v6
.LBB296_1243:
	s_or_b32 exec_lo, exec_lo, s14
	s_mov_b32 s13, 0
	s_branch .LBB296_1249
.LBB296_1244:
	s_mov_b32 s13, -1
                                        ; implicit-def: $vgpr9
	s_branch .LBB296_1255
.LBB296_1245:
	s_or_saveexec_b32 s15, s15
	v_mov_b32_e32 v9, s16
	s_xor_b32 exec_lo, exec_lo, s15
	s_cbranch_execz .LBB296_1231
.LBB296_1246:
	v_cmp_ne_u16_e32 vcc_lo, 0, v6
	v_mov_b32_e32 v9, 0
	s_and_not1_b32 s14, s14, exec_lo
	s_and_b32 s16, vcc_lo, exec_lo
	s_delay_alu instid0(SALU_CYCLE_1)
	s_or_b32 s14, s14, s16
	s_or_b32 exec_lo, exec_lo, s15
	s_and_saveexec_b32 s15, s14
	s_cbranch_execnz .LBB296_1232
	s_branch .LBB296_1233
.LBB296_1247:
	s_mov_b32 s13, -1
                                        ; implicit-def: $vgpr9
	s_branch .LBB296_1252
.LBB296_1248:
	s_mov_b32 s13, -1
                                        ; implicit-def: $vgpr9
.LBB296_1249:
	s_delay_alu instid0(SALU_CYCLE_1)
	s_and_b32 vcc_lo, exec_lo, s13
	s_cbranch_vccz .LBB296_1251
; %bb.1250:
	global_load_u8 v6, v[0:1], off
	s_waitcnt vmcnt(0)
	v_lshlrev_b32_e32 v6, 24, v6
	s_delay_alu instid0(VALU_DEP_1) | instskip(NEXT) | instid1(VALU_DEP_1)
	v_and_b32_e32 v7, 0x7f000000, v6
	v_clz_i32_u32_e32 v8, v7
	v_add_nc_u32_e32 v10, 0x1000000, v7
	v_cmp_ne_u32_e32 vcc_lo, 0, v7
	s_delay_alu instid0(VALU_DEP_3) | instskip(NEXT) | instid1(VALU_DEP_1)
	v_min_u32_e32 v8, 32, v8
	v_sub_nc_u32_e64 v8, v8, 4 clamp
	s_delay_alu instid0(VALU_DEP_1) | instskip(SKIP_1) | instid1(VALU_DEP_2)
	v_lshlrev_b32_e32 v9, v8, v7
	v_lshlrev_b32_e32 v8, 23, v8
	v_lshrrev_b32_e32 v9, 4, v9
	s_delay_alu instid0(VALU_DEP_1) | instskip(SKIP_1) | instid1(VALU_DEP_2)
	v_sub_nc_u32_e32 v8, v9, v8
	v_ashrrev_i32_e32 v9, 8, v10
	v_add_nc_u32_e32 v8, 0x3c000000, v8
	s_delay_alu instid0(VALU_DEP_1) | instskip(NEXT) | instid1(VALU_DEP_1)
	v_and_or_b32 v8, 0x7f800000, v9, v8
	v_cndmask_b32_e32 v7, 0, v8, vcc_lo
	s_delay_alu instid0(VALU_DEP_1) | instskip(NEXT) | instid1(VALU_DEP_1)
	v_and_or_b32 v6, 0x80000000, v6, v7
	v_cvt_i32_f32_e32 v9, v6
.LBB296_1251:
	s_mov_b32 s13, 0
.LBB296_1252:
	s_delay_alu instid0(SALU_CYCLE_1)
	s_and_not1_b32 vcc_lo, exec_lo, s13
	s_cbranch_vccnz .LBB296_1254
; %bb.1253:
	global_load_u8 v6, v[0:1], off
	s_waitcnt vmcnt(0)
	v_lshlrev_b32_e32 v7, 25, v6
	v_lshlrev_b16 v6, 8, v6
	s_delay_alu instid0(VALU_DEP_2) | instskip(NEXT) | instid1(VALU_DEP_2)
	v_lshrrev_b32_e32 v8, 4, v7
	v_and_or_b32 v9, 0x7f00, v6, 0.5
	v_bfe_i32 v6, v6, 0, 16
	s_delay_alu instid0(VALU_DEP_3) | instskip(NEXT) | instid1(VALU_DEP_1)
	v_or_b32_e32 v8, 0x70000000, v8
	v_dual_add_f32 v9, -0.5, v9 :: v_dual_mul_f32 v8, 0x7800000, v8
	v_cmp_gt_u32_e32 vcc_lo, 0x8000000, v7
	s_delay_alu instid0(VALU_DEP_2) | instskip(NEXT) | instid1(VALU_DEP_1)
	v_cndmask_b32_e32 v7, v8, v9, vcc_lo
	v_and_or_b32 v6, 0x80000000, v6, v7
	s_delay_alu instid0(VALU_DEP_1)
	v_cvt_i32_f32_e32 v9, v6
.LBB296_1254:
	s_mov_b32 s13, 0
	s_mov_b32 s14, -1
.LBB296_1255:
	s_and_not1_b32 vcc_lo, exec_lo, s13
	s_mov_b32 s13, 0
	s_cbranch_vccnz .LBB296_1266
; %bb.1256:
	v_cmp_lt_i16_e32 vcc_lo, 14, v5
	s_cbranch_vccz .LBB296_1259
; %bb.1257:
	v_cmp_eq_u16_e32 vcc_lo, 15, v5
	s_cbranch_vccz .LBB296_1262
; %bb.1258:
	global_load_u16 v6, v[0:1], off
	s_mov_b32 s0, 0
	s_mov_b32 s14, -1
	s_waitcnt vmcnt(0)
	v_lshlrev_b32_e32 v6, 16, v6
	s_delay_alu instid0(VALU_DEP_1)
	v_cvt_i32_f32_e32 v9, v6
	s_branch .LBB296_1264
.LBB296_1259:
	s_mov_b32 s13, -1
	s_branch .LBB296_1263
.LBB296_1260:
	s_or_saveexec_b32 s14, s14
	v_mov_b32_e32 v9, s15
	s_xor_b32 exec_lo, exec_lo, s14
	s_cbranch_execz .LBB296_1241
.LBB296_1261:
	v_cmp_ne_u16_e32 vcc_lo, 0, v6
	v_mov_b32_e32 v9, 0
	s_and_not1_b32 s13, s13, exec_lo
	s_and_b32 s15, vcc_lo, exec_lo
	s_delay_alu instid0(SALU_CYCLE_1)
	s_or_b32 s13, s13, s15
	s_or_b32 exec_lo, exec_lo, s14
	s_and_saveexec_b32 s14, s13
	s_cbranch_execnz .LBB296_1242
	s_branch .LBB296_1243
.LBB296_1262:
	s_mov_b32 s0, -1
.LBB296_1263:
                                        ; implicit-def: $vgpr9
.LBB296_1264:
	s_and_b32 vcc_lo, exec_lo, s13
	s_mov_b32 s13, 0
	s_cbranch_vccz .LBB296_1266
; %bb.1265:
	v_cmp_ne_u16_e64 s0, 11, v5
	s_mov_b32 s13, -1
                                        ; implicit-def: $vgpr9
.LBB296_1266:
	s_delay_alu instid0(VALU_DEP_1)
	s_and_b32 vcc_lo, exec_lo, s0
	s_cbranch_vccnz .LBB296_1290
; %bb.1267:
	s_and_not1_b32 vcc_lo, exec_lo, s13
	s_cbranch_vccnz .LBB296_1269
.LBB296_1268:
	global_load_u8 v6, v[0:1], off
	s_mov_b32 s14, -1
	s_waitcnt vmcnt(0)
	v_cmp_ne_u16_e32 vcc_lo, 0, v6
	v_cndmask_b32_e64 v9, 0, 1, vcc_lo
.LBB296_1269:
.LBB296_1270:
	s_and_not1_b32 vcc_lo, exec_lo, s14
	s_cbranch_vccnz .LBB296_1963
.LBB296_1271:
	v_add_nc_u32_e32 v3, s9, v3
	v_cmp_gt_i16_e32 vcc_lo, 11, v5
	s_delay_alu instid0(VALU_DEP_2) | instskip(SKIP_1) | instid1(VALU_DEP_1)
	v_ashrrev_i32_e32 v1, 31, v3
	v_add_co_u32 v0, s0, s6, v3
	v_add_co_ci_u32_e64 v1, s0, s7, v1, s0
	s_cbranch_vccnz .LBB296_1278
; %bb.1272:
	v_cmp_lt_i16_e32 vcc_lo, 25, v5
	s_mov_b32 s13, 0
	s_cbranch_vccz .LBB296_1284
; %bb.1273:
	v_cmp_lt_i16_e32 vcc_lo, 28, v5
	s_cbranch_vccz .LBB296_1286
; %bb.1274:
	v_cmp_lt_i16_e32 vcc_lo, 43, v5
	;; [unrolled: 3-line block ×3, first 2 shown]
	s_cbranch_vccz .LBB296_1292
; %bb.1276:
	v_cmp_eq_u16_e32 vcc_lo, 46, v5
	s_mov_b32 s15, 0
	s_cbranch_vccz .LBB296_1335
; %bb.1277:
	global_load_b32 v6, v[0:1], off
	s_mov_b32 s0, 0
	s_mov_b32 s14, -1
	s_waitcnt vmcnt(0)
	v_lshlrev_b32_e32 v6, 16, v6
	s_delay_alu instid0(VALU_DEP_1)
	v_cvt_i32_f32_e32 v8, v6
	s_branch .LBB296_1337
.LBB296_1278:
	s_mov_b32 s14, 0
                                        ; implicit-def: $vgpr8
	s_cbranch_execz .LBB296_1399
; %bb.1279:
	v_cmp_gt_i16_e32 vcc_lo, 5, v5
	s_cbranch_vccnz .LBB296_1285
; %bb.1280:
	v_cmp_gt_i16_e32 vcc_lo, 8, v5
	s_cbranch_vccnz .LBB296_1287
	;; [unrolled: 3-line block ×3, first 2 shown]
; %bb.1282:
	v_cmp_lt_i16_e32 vcc_lo, 9, v5
	s_cbranch_vccz .LBB296_1293
; %bb.1283:
	global_load_b64 v[6:7], v[0:1], off
	s_mov_b32 s0, 0
	s_waitcnt vmcnt(0)
	v_cvt_i32_f64_e32 v8, v[6:7]
	s_branch .LBB296_1294
.LBB296_1284:
	s_mov_b32 s15, -1
	s_mov_b32 s14, 0
	s_mov_b32 s0, 0
                                        ; implicit-def: $vgpr8
	s_branch .LBB296_1364
.LBB296_1285:
	s_mov_b32 s0, -1
                                        ; implicit-def: $vgpr8
	s_branch .LBB296_1312
.LBB296_1286:
	s_mov_b32 s15, -1
	s_mov_b32 s14, 0
	s_mov_b32 s0, 0
                                        ; implicit-def: $vgpr8
	s_branch .LBB296_1347
.LBB296_1287:
	s_mov_b32 s0, -1
                                        ; implicit-def: $vgpr8
	s_branch .LBB296_1300
.LBB296_1288:
	s_mov_b32 s15, -1
	s_mov_b32 s14, 0
	s_mov_b32 s0, 0
                                        ; implicit-def: $vgpr8
	s_branch .LBB296_1342
.LBB296_1289:
	s_mov_b32 s0, -1
                                        ; implicit-def: $vgpr8
	s_branch .LBB296_1297
.LBB296_1290:
	s_cbranch_execnz .LBB296_1333
; %bb.1291:
	s_or_b32 s1, s1, exec_lo
                                        ; implicit-def: $vgpr9
	s_cbranch_execz .LBB296_1268
	s_branch .LBB296_1269
.LBB296_1292:
	s_mov_b32 s15, -1
	s_mov_b32 s14, 0
	s_mov_b32 s0, 0
	s_branch .LBB296_1336
.LBB296_1293:
	s_mov_b32 s0, -1
                                        ; implicit-def: $vgpr8
.LBB296_1294:
	s_delay_alu instid0(SALU_CYCLE_1)
	s_and_not1_b32 vcc_lo, exec_lo, s0
	s_cbranch_vccnz .LBB296_1296
; %bb.1295:
	global_load_b32 v6, v[0:1], off
	s_waitcnt vmcnt(0)
	v_cvt_i32_f32_e32 v8, v6
.LBB296_1296:
	s_mov_b32 s0, 0
.LBB296_1297:
	s_delay_alu instid0(SALU_CYCLE_1)
	s_and_not1_b32 vcc_lo, exec_lo, s0
	s_cbranch_vccnz .LBB296_1299
; %bb.1298:
	global_load_b32 v6, v[0:1], off
	s_waitcnt vmcnt(0)
	v_cvt_f32_f16_e32 v6, v6
	s_delay_alu instid0(VALU_DEP_1)
	v_cvt_i32_f32_e32 v8, v6
.LBB296_1299:
	s_mov_b32 s0, 0
.LBB296_1300:
	s_delay_alu instid0(SALU_CYCLE_1)
	s_and_not1_b32 vcc_lo, exec_lo, s0
	s_cbranch_vccnz .LBB296_1311
; %bb.1301:
	v_cmp_gt_i16_e32 vcc_lo, 6, v5
	s_cbranch_vccnz .LBB296_1304
; %bb.1302:
	v_cmp_lt_i16_e32 vcc_lo, 6, v5
	s_cbranch_vccz .LBB296_1305
; %bb.1303:
	global_load_b64 v[6:7], v[0:1], off
	s_mov_b32 s0, 0
	s_waitcnt vmcnt(0)
	v_cvt_i32_f64_e32 v8, v[6:7]
	s_branch .LBB296_1306
.LBB296_1304:
	s_mov_b32 s0, -1
                                        ; implicit-def: $vgpr8
	s_branch .LBB296_1309
.LBB296_1305:
	s_mov_b32 s0, -1
                                        ; implicit-def: $vgpr8
.LBB296_1306:
	s_delay_alu instid0(SALU_CYCLE_1)
	s_and_not1_b32 vcc_lo, exec_lo, s0
	s_cbranch_vccnz .LBB296_1308
; %bb.1307:
	global_load_b32 v6, v[0:1], off
	s_waitcnt vmcnt(0)
	v_cvt_i32_f32_e32 v8, v6
.LBB296_1308:
	s_mov_b32 s0, 0
.LBB296_1309:
	s_delay_alu instid0(SALU_CYCLE_1)
	s_and_not1_b32 vcc_lo, exec_lo, s0
	s_cbranch_vccnz .LBB296_1311
; %bb.1310:
	global_load_u16 v6, v[0:1], off
	s_waitcnt vmcnt(0)
	v_cvt_f32_f16_e32 v6, v6
	s_delay_alu instid0(VALU_DEP_1)
	v_cvt_i32_f32_e32 v8, v6
.LBB296_1311:
	s_mov_b32 s0, 0
.LBB296_1312:
	s_delay_alu instid0(SALU_CYCLE_1)
	s_and_not1_b32 vcc_lo, exec_lo, s0
	s_cbranch_vccnz .LBB296_1332
; %bb.1313:
	v_cmp_gt_i16_e32 vcc_lo, 2, v5
	s_cbranch_vccnz .LBB296_1317
; %bb.1314:
	v_cmp_gt_i16_e32 vcc_lo, 3, v5
	s_cbranch_vccnz .LBB296_1318
; %bb.1315:
	v_cmp_lt_i16_e32 vcc_lo, 3, v5
	s_cbranch_vccz .LBB296_1319
; %bb.1316:
	global_load_b32 v8, v[0:1], off
	s_mov_b32 s0, 0
	s_branch .LBB296_1320
.LBB296_1317:
	s_mov_b32 s0, -1
                                        ; implicit-def: $vgpr8
	s_branch .LBB296_1326
.LBB296_1318:
	s_mov_b32 s0, -1
                                        ; implicit-def: $vgpr8
	s_branch .LBB296_1323
.LBB296_1319:
	s_mov_b32 s0, -1
                                        ; implicit-def: $vgpr8
.LBB296_1320:
	s_delay_alu instid0(SALU_CYCLE_1)
	s_and_not1_b32 vcc_lo, exec_lo, s0
	s_cbranch_vccnz .LBB296_1322
; %bb.1321:
	global_load_b32 v8, v[0:1], off
.LBB296_1322:
	s_mov_b32 s0, 0
.LBB296_1323:
	s_delay_alu instid0(SALU_CYCLE_1)
	s_and_not1_b32 vcc_lo, exec_lo, s0
	s_cbranch_vccnz .LBB296_1325
; %bb.1324:
	global_load_i16 v8, v[0:1], off
.LBB296_1325:
	s_mov_b32 s0, 0
.LBB296_1326:
	s_delay_alu instid0(SALU_CYCLE_1)
	s_and_not1_b32 vcc_lo, exec_lo, s0
	s_cbranch_vccnz .LBB296_1332
; %bb.1327:
	v_cmp_lt_i16_e32 vcc_lo, 0, v5
	s_mov_b32 s0, 0
	s_cbranch_vccz .LBB296_1329
; %bb.1328:
	global_load_i8 v8, v[0:1], off
	s_branch .LBB296_1330
.LBB296_1329:
	s_mov_b32 s0, -1
                                        ; implicit-def: $vgpr8
.LBB296_1330:
	s_delay_alu instid0(SALU_CYCLE_1)
	s_and_not1_b32 vcc_lo, exec_lo, s0
	s_cbranch_vccnz .LBB296_1332
; %bb.1331:
	global_load_u8 v8, v[0:1], off
.LBB296_1332:
	s_branch .LBB296_1400
.LBB296_1333:
	s_trap 2
	s_sendmsg_rtn_b32 s0, sendmsg(MSG_RTN_GET_DOORBELL)
	s_mov_b32 ttmp2, m0
	s_waitcnt lgkmcnt(0)
	s_and_b32 s0, s0, 0x3ff
	s_delay_alu instid0(SALU_CYCLE_1) | instskip(NEXT) | instid1(SALU_CYCLE_1)
	s_bitset1_b32 s0, 10
	s_mov_b32 m0, s0
	s_sendmsg sendmsg(MSG_INTERRUPT)
	s_mov_b32 m0, ttmp2
.LBB296_1334:                           ; =>This Inner Loop Header: Depth=1
	s_sethalt 5
	s_branch .LBB296_1334
.LBB296_1335:
	s_mov_b32 s0, -1
	s_mov_b32 s14, 0
.LBB296_1336:
                                        ; implicit-def: $vgpr8
.LBB296_1337:
	s_and_b32 vcc_lo, exec_lo, s15
	s_cbranch_vccz .LBB296_1341
; %bb.1338:
	v_cmp_eq_u16_e32 vcc_lo, 44, v5
	s_cbranch_vccz .LBB296_1340
; %bb.1339:
	global_load_u8 v6, v[0:1], off
	s_mov_b32 s0, 0
	s_mov_b32 s14, -1
	s_waitcnt vmcnt(0)
	v_lshlrev_b32_e32 v7, 23, v6
	v_cmp_ne_u32_e32 vcc_lo, 0, v6
	s_delay_alu instid0(VALU_DEP_2) | instskip(NEXT) | instid1(VALU_DEP_1)
	v_cvt_i32_f32_e32 v7, v7
	v_cndmask_b32_e32 v8, 0, v7, vcc_lo
	s_branch .LBB296_1341
.LBB296_1340:
	s_mov_b32 s0, -1
                                        ; implicit-def: $vgpr8
.LBB296_1341:
	s_mov_b32 s15, 0
.LBB296_1342:
	s_delay_alu instid0(SALU_CYCLE_1)
	s_and_b32 vcc_lo, exec_lo, s15
	s_cbranch_vccz .LBB296_1346
; %bb.1343:
	v_cmp_eq_u16_e32 vcc_lo, 29, v5
	s_cbranch_vccz .LBB296_1345
; %bb.1344:
	global_load_b32 v8, v[0:1], off
	s_mov_b32 s0, 0
	s_mov_b32 s14, -1
	s_branch .LBB296_1346
.LBB296_1345:
	s_mov_b32 s0, -1
                                        ; implicit-def: $vgpr8
.LBB296_1346:
	s_mov_b32 s15, 0
.LBB296_1347:
	s_delay_alu instid0(SALU_CYCLE_1)
	s_and_b32 vcc_lo, exec_lo, s15
	s_cbranch_vccz .LBB296_1363
; %bb.1348:
	v_cmp_gt_i16_e32 vcc_lo, 27, v5
	s_cbranch_vccnz .LBB296_1351
; %bb.1349:
	v_cmp_lt_i16_e32 vcc_lo, 27, v5
	s_cbranch_vccz .LBB296_1352
; %bb.1350:
	global_load_b32 v8, v[0:1], off
	s_mov_b32 s14, 0
	s_branch .LBB296_1353
.LBB296_1351:
	s_mov_b32 s14, -1
                                        ; implicit-def: $vgpr8
	s_branch .LBB296_1356
.LBB296_1352:
	s_mov_b32 s14, -1
                                        ; implicit-def: $vgpr8
.LBB296_1353:
	s_delay_alu instid0(SALU_CYCLE_1)
	s_and_not1_b32 vcc_lo, exec_lo, s14
	s_cbranch_vccnz .LBB296_1355
; %bb.1354:
	global_load_u16 v8, v[0:1], off
.LBB296_1355:
	s_mov_b32 s14, 0
.LBB296_1356:
	s_delay_alu instid0(SALU_CYCLE_1)
	s_and_not1_b32 vcc_lo, exec_lo, s14
	s_cbranch_vccnz .LBB296_1362
; %bb.1357:
	global_load_u8 v6, v[0:1], off
	s_mov_b32 s14, 0
	s_mov_b32 s15, exec_lo
                                        ; implicit-def: $sgpr16
	s_waitcnt vmcnt(0)
	v_cmpx_lt_i16_e32 0x7f, v6
	s_xor_b32 s15, exec_lo, s15
	s_cbranch_execz .LBB296_1374
; %bb.1358:
	v_cmp_ne_u16_e32 vcc_lo, 0x80, v6
	s_mov_b32 s16, 0
	s_and_b32 s14, vcc_lo, exec_lo
	s_or_saveexec_b32 s15, s15
	v_mov_b32_e32 v8, s16
	s_xor_b32 exec_lo, exec_lo, s15
	s_cbranch_execnz .LBB296_1375
.LBB296_1359:
	s_or_b32 exec_lo, exec_lo, s15
	s_and_saveexec_b32 s15, s14
	s_cbranch_execz .LBB296_1361
.LBB296_1360:
	v_and_b32_e32 v7, 0xffff, v6
	v_lshlrev_b32_e32 v6, 24, v6
	s_delay_alu instid0(VALU_DEP_2) | instskip(NEXT) | instid1(VALU_DEP_2)
	v_and_b32_e32 v8, 7, v7
	v_and_b32_e32 v6, 0x80000000, v6
	s_delay_alu instid0(VALU_DEP_2) | instskip(NEXT) | instid1(VALU_DEP_1)
	v_clz_i32_u32_e32 v10, v8
	v_min_u32_e32 v10, 32, v10
	s_delay_alu instid0(VALU_DEP_1) | instskip(SKIP_1) | instid1(VALU_DEP_2)
	v_subrev_nc_u32_e32 v11, 28, v10
	v_sub_nc_u32_e32 v10, 29, v10
	v_lshlrev_b32_e32 v11, v11, v7
	v_bfe_u32 v7, v7, 3, 4
	s_delay_alu instid0(VALU_DEP_2) | instskip(NEXT) | instid1(VALU_DEP_2)
	v_and_b32_e32 v11, 7, v11
	v_cmp_eq_u32_e32 vcc_lo, 0, v7
	s_delay_alu instid0(VALU_DEP_2) | instskip(NEXT) | instid1(VALU_DEP_1)
	v_dual_cndmask_b32 v7, v7, v10 :: v_dual_cndmask_b32 v8, v8, v11
	v_lshl_add_u32 v7, v7, 23, 0x3b800000
	s_delay_alu instid0(VALU_DEP_2) | instskip(NEXT) | instid1(VALU_DEP_1)
	v_lshlrev_b32_e32 v8, 20, v8
	v_or3_b32 v6, v6, v7, v8
	s_delay_alu instid0(VALU_DEP_1)
	v_cvt_i32_f32_e32 v8, v6
.LBB296_1361:
	s_or_b32 exec_lo, exec_lo, s15
.LBB296_1362:
	s_mov_b32 s14, -1
.LBB296_1363:
	s_mov_b32 s15, 0
.LBB296_1364:
	s_delay_alu instid0(SALU_CYCLE_1)
	s_and_b32 vcc_lo, exec_lo, s15
	s_cbranch_vccz .LBB296_1395
; %bb.1365:
	v_cmp_lt_i16_e32 vcc_lo, 22, v5
	s_cbranch_vccz .LBB296_1373
; %bb.1366:
	v_cmp_gt_i16_e32 vcc_lo, 24, v5
	s_cbranch_vccnz .LBB296_1376
; %bb.1367:
	v_cmp_lt_i16_e32 vcc_lo, 24, v5
	s_cbranch_vccz .LBB296_1377
; %bb.1368:
	global_load_u8 v6, v[0:1], off
	s_mov_b32 s14, exec_lo
                                        ; implicit-def: $sgpr15
	s_waitcnt vmcnt(0)
	v_cmpx_lt_i16_e32 0x7f, v6
	s_xor_b32 s14, exec_lo, s14
	s_cbranch_execz .LBB296_1389
; %bb.1369:
	v_cmp_ne_u16_e32 vcc_lo, 0x80, v6
	s_mov_b32 s15, 0
	s_and_b32 s13, vcc_lo, exec_lo
	s_or_saveexec_b32 s14, s14
	v_mov_b32_e32 v8, s15
	s_xor_b32 exec_lo, exec_lo, s14
	s_cbranch_execnz .LBB296_1390
.LBB296_1370:
	s_or_b32 exec_lo, exec_lo, s14
	s_and_saveexec_b32 s14, s13
	s_cbranch_execz .LBB296_1372
.LBB296_1371:
	v_and_b32_e32 v7, 0xffff, v6
	v_lshlrev_b32_e32 v6, 24, v6
	s_delay_alu instid0(VALU_DEP_2) | instskip(NEXT) | instid1(VALU_DEP_2)
	v_and_b32_e32 v8, 3, v7
	v_and_b32_e32 v6, 0x80000000, v6
	s_delay_alu instid0(VALU_DEP_2) | instskip(NEXT) | instid1(VALU_DEP_1)
	v_clz_i32_u32_e32 v10, v8
	v_min_u32_e32 v10, 32, v10
	s_delay_alu instid0(VALU_DEP_1) | instskip(SKIP_1) | instid1(VALU_DEP_2)
	v_subrev_nc_u32_e32 v11, 29, v10
	v_sub_nc_u32_e32 v10, 30, v10
	v_lshlrev_b32_e32 v11, v11, v7
	v_bfe_u32 v7, v7, 2, 5
	s_delay_alu instid0(VALU_DEP_2) | instskip(NEXT) | instid1(VALU_DEP_2)
	v_and_b32_e32 v11, 3, v11
	v_cmp_eq_u32_e32 vcc_lo, 0, v7
	s_delay_alu instid0(VALU_DEP_2) | instskip(NEXT) | instid1(VALU_DEP_1)
	v_dual_cndmask_b32 v7, v7, v10 :: v_dual_cndmask_b32 v8, v8, v11
	v_lshl_add_u32 v7, v7, 23, 0x37800000
	s_delay_alu instid0(VALU_DEP_2) | instskip(NEXT) | instid1(VALU_DEP_1)
	v_lshlrev_b32_e32 v8, 21, v8
	v_or3_b32 v6, v6, v7, v8
	s_delay_alu instid0(VALU_DEP_1)
	v_cvt_i32_f32_e32 v8, v6
.LBB296_1372:
	s_or_b32 exec_lo, exec_lo, s14
	s_mov_b32 s13, 0
	s_branch .LBB296_1378
.LBB296_1373:
	s_mov_b32 s13, -1
                                        ; implicit-def: $vgpr8
	s_branch .LBB296_1384
.LBB296_1374:
	s_or_saveexec_b32 s15, s15
	v_mov_b32_e32 v8, s16
	s_xor_b32 exec_lo, exec_lo, s15
	s_cbranch_execz .LBB296_1359
.LBB296_1375:
	v_cmp_ne_u16_e32 vcc_lo, 0, v6
	v_mov_b32_e32 v8, 0
	s_and_not1_b32 s14, s14, exec_lo
	s_and_b32 s16, vcc_lo, exec_lo
	s_delay_alu instid0(SALU_CYCLE_1)
	s_or_b32 s14, s14, s16
	s_or_b32 exec_lo, exec_lo, s15
	s_and_saveexec_b32 s15, s14
	s_cbranch_execnz .LBB296_1360
	s_branch .LBB296_1361
.LBB296_1376:
	s_mov_b32 s13, -1
                                        ; implicit-def: $vgpr8
	s_branch .LBB296_1381
.LBB296_1377:
	s_mov_b32 s13, -1
                                        ; implicit-def: $vgpr8
.LBB296_1378:
	s_delay_alu instid0(SALU_CYCLE_1)
	s_and_b32 vcc_lo, exec_lo, s13
	s_cbranch_vccz .LBB296_1380
; %bb.1379:
	global_load_u8 v6, v[0:1], off
	s_waitcnt vmcnt(0)
	v_lshlrev_b32_e32 v6, 24, v6
	s_delay_alu instid0(VALU_DEP_1) | instskip(NEXT) | instid1(VALU_DEP_1)
	v_and_b32_e32 v7, 0x7f000000, v6
	v_clz_i32_u32_e32 v8, v7
	v_add_nc_u32_e32 v11, 0x1000000, v7
	v_cmp_ne_u32_e32 vcc_lo, 0, v7
	s_delay_alu instid0(VALU_DEP_3) | instskip(NEXT) | instid1(VALU_DEP_1)
	v_min_u32_e32 v8, 32, v8
	v_sub_nc_u32_e64 v8, v8, 4 clamp
	s_delay_alu instid0(VALU_DEP_1) | instskip(SKIP_1) | instid1(VALU_DEP_2)
	v_lshlrev_b32_e32 v10, v8, v7
	v_lshlrev_b32_e32 v8, 23, v8
	v_lshrrev_b32_e32 v10, 4, v10
	s_delay_alu instid0(VALU_DEP_1) | instskip(SKIP_1) | instid1(VALU_DEP_2)
	v_sub_nc_u32_e32 v8, v10, v8
	v_ashrrev_i32_e32 v10, 8, v11
	v_add_nc_u32_e32 v8, 0x3c000000, v8
	s_delay_alu instid0(VALU_DEP_1) | instskip(NEXT) | instid1(VALU_DEP_1)
	v_and_or_b32 v8, 0x7f800000, v10, v8
	v_cndmask_b32_e32 v7, 0, v8, vcc_lo
	s_delay_alu instid0(VALU_DEP_1) | instskip(NEXT) | instid1(VALU_DEP_1)
	v_and_or_b32 v6, 0x80000000, v6, v7
	v_cvt_i32_f32_e32 v8, v6
.LBB296_1380:
	s_mov_b32 s13, 0
.LBB296_1381:
	s_delay_alu instid0(SALU_CYCLE_1)
	s_and_not1_b32 vcc_lo, exec_lo, s13
	s_cbranch_vccnz .LBB296_1383
; %bb.1382:
	global_load_u8 v6, v[0:1], off
	s_waitcnt vmcnt(0)
	v_lshlrev_b32_e32 v7, 25, v6
	v_lshlrev_b16 v6, 8, v6
	s_delay_alu instid0(VALU_DEP_2) | instskip(NEXT) | instid1(VALU_DEP_2)
	v_lshrrev_b32_e32 v8, 4, v7
	v_and_or_b32 v10, 0x7f00, v6, 0.5
	v_bfe_i32 v6, v6, 0, 16
	s_delay_alu instid0(VALU_DEP_3) | instskip(NEXT) | instid1(VALU_DEP_3)
	v_or_b32_e32 v8, 0x70000000, v8
	v_add_f32_e32 v10, -0.5, v10
	s_delay_alu instid0(VALU_DEP_2) | instskip(SKIP_1) | instid1(VALU_DEP_2)
	v_mul_f32_e32 v8, 0x7800000, v8
	v_cmp_gt_u32_e32 vcc_lo, 0x8000000, v7
	v_cndmask_b32_e32 v7, v8, v10, vcc_lo
	s_delay_alu instid0(VALU_DEP_1) | instskip(NEXT) | instid1(VALU_DEP_1)
	v_and_or_b32 v6, 0x80000000, v6, v7
	v_cvt_i32_f32_e32 v8, v6
.LBB296_1383:
	s_mov_b32 s13, 0
	s_mov_b32 s14, -1
.LBB296_1384:
	s_and_not1_b32 vcc_lo, exec_lo, s13
	s_mov_b32 s13, 0
	s_cbranch_vccnz .LBB296_1395
; %bb.1385:
	v_cmp_lt_i16_e32 vcc_lo, 14, v5
	s_cbranch_vccz .LBB296_1388
; %bb.1386:
	v_cmp_eq_u16_e32 vcc_lo, 15, v5
	s_cbranch_vccz .LBB296_1391
; %bb.1387:
	global_load_u16 v6, v[0:1], off
	s_mov_b32 s0, 0
	s_mov_b32 s14, -1
	s_waitcnt vmcnt(0)
	v_lshlrev_b32_e32 v6, 16, v6
	s_delay_alu instid0(VALU_DEP_1)
	v_cvt_i32_f32_e32 v8, v6
	s_branch .LBB296_1393
.LBB296_1388:
	s_mov_b32 s13, -1
	s_branch .LBB296_1392
.LBB296_1389:
	s_or_saveexec_b32 s14, s14
	v_mov_b32_e32 v8, s15
	s_xor_b32 exec_lo, exec_lo, s14
	s_cbranch_execz .LBB296_1370
.LBB296_1390:
	v_cmp_ne_u16_e32 vcc_lo, 0, v6
	v_mov_b32_e32 v8, 0
	s_and_not1_b32 s13, s13, exec_lo
	s_and_b32 s15, vcc_lo, exec_lo
	s_delay_alu instid0(SALU_CYCLE_1)
	s_or_b32 s13, s13, s15
	s_or_b32 exec_lo, exec_lo, s14
	s_and_saveexec_b32 s14, s13
	s_cbranch_execnz .LBB296_1371
	s_branch .LBB296_1372
.LBB296_1391:
	s_mov_b32 s0, -1
.LBB296_1392:
                                        ; implicit-def: $vgpr8
.LBB296_1393:
	s_and_b32 vcc_lo, exec_lo, s13
	s_mov_b32 s13, 0
	s_cbranch_vccz .LBB296_1395
; %bb.1394:
	v_cmp_ne_u16_e64 s0, 11, v5
	s_mov_b32 s13, -1
                                        ; implicit-def: $vgpr8
.LBB296_1395:
	s_delay_alu instid0(VALU_DEP_1)
	s_and_b32 vcc_lo, exec_lo, s0
	s_cbranch_vccnz .LBB296_1411
; %bb.1396:
	s_and_not1_b32 vcc_lo, exec_lo, s13
	s_cbranch_vccnz .LBB296_1398
.LBB296_1397:
	global_load_u8 v6, v[0:1], off
	s_mov_b32 s14, -1
	s_waitcnt vmcnt(0)
	v_cmp_ne_u16_e32 vcc_lo, 0, v6
	v_cndmask_b32_e64 v8, 0, 1, vcc_lo
.LBB296_1398:
.LBB296_1399:
	s_and_not1_b32 vcc_lo, exec_lo, s14
	s_cbranch_vccnz .LBB296_1963
.LBB296_1400:
	v_add_nc_u32_e32 v0, s9, v3
	v_cmp_gt_i16_e32 vcc_lo, 11, v5
	s_delay_alu instid0(VALU_DEP_2) | instskip(SKIP_1) | instid1(VALU_DEP_1)
	v_ashrrev_i32_e32 v1, 31, v0
	v_add_co_u32 v0, s0, s6, v0
	v_add_co_ci_u32_e64 v1, s0, s7, v1, s0
	s_cbranch_vccnz .LBB296_1407
; %bb.1401:
	v_cmp_lt_i16_e32 vcc_lo, 25, v5
	s_mov_b32 s6, 0
	s_cbranch_vccz .LBB296_1408
; %bb.1402:
	v_cmp_lt_i16_e32 vcc_lo, 28, v5
	s_cbranch_vccz .LBB296_1409
; %bb.1403:
	v_cmp_lt_i16_e32 vcc_lo, 43, v5
	s_cbranch_vccz .LBB296_1410
; %bb.1404:
	v_cmp_lt_i16_e32 vcc_lo, 45, v5
	s_cbranch_vccz .LBB296_1413
; %bb.1405:
	v_cmp_eq_u16_e32 vcc_lo, 46, v5
	s_mov_b32 s9, 0
	s_cbranch_vccz .LBB296_1416
; %bb.1406:
	global_load_b32 v3, v[0:1], off
	s_mov_b32 s0, 0
	s_mov_b32 s7, -1
	s_waitcnt vmcnt(0)
	v_lshlrev_b32_e32 v3, 16, v3
	s_delay_alu instid0(VALU_DEP_1)
	v_cvt_i32_f32_e32 v7, v3
	s_branch .LBB296_1418
.LBB296_1407:
	s_mov_b32 s0, -1
	s_mov_b32 s7, 0
                                        ; implicit-def: $vgpr7
	s_branch .LBB296_1480
.LBB296_1408:
	s_mov_b32 s9, -1
	s_mov_b32 s7, 0
	s_mov_b32 s0, 0
                                        ; implicit-def: $vgpr7
	s_branch .LBB296_1445
.LBB296_1409:
	s_mov_b32 s9, -1
	s_mov_b32 s7, 0
	s_mov_b32 s0, 0
                                        ; implicit-def: $vgpr7
	s_branch .LBB296_1428
.LBB296_1410:
	s_mov_b32 s9, -1
	s_mov_b32 s7, 0
	s_mov_b32 s0, 0
                                        ; implicit-def: $vgpr7
	s_branch .LBB296_1423
.LBB296_1411:
	s_cbranch_execnz .LBB296_1414
; %bb.1412:
	s_or_b32 s1, s1, exec_lo
                                        ; implicit-def: $vgpr8
	s_cbranch_execz .LBB296_1397
	s_branch .LBB296_1398
.LBB296_1413:
	s_mov_b32 s9, -1
	s_mov_b32 s7, 0
	s_mov_b32 s0, 0
	s_branch .LBB296_1417
.LBB296_1414:
	s_trap 2
	s_sendmsg_rtn_b32 s0, sendmsg(MSG_RTN_GET_DOORBELL)
	s_mov_b32 ttmp2, m0
	s_waitcnt lgkmcnt(0)
	s_and_b32 s0, s0, 0x3ff
	s_delay_alu instid0(SALU_CYCLE_1) | instskip(NEXT) | instid1(SALU_CYCLE_1)
	s_bitset1_b32 s0, 10
	s_mov_b32 m0, s0
	s_sendmsg sendmsg(MSG_INTERRUPT)
	s_mov_b32 m0, ttmp2
.LBB296_1415:                           ; =>This Inner Loop Header: Depth=1
	s_sethalt 5
	s_branch .LBB296_1415
.LBB296_1416:
	s_mov_b32 s0, -1
	s_mov_b32 s7, 0
.LBB296_1417:
                                        ; implicit-def: $vgpr7
.LBB296_1418:
	s_and_b32 vcc_lo, exec_lo, s9
	s_cbranch_vccz .LBB296_1422
; %bb.1419:
	v_cmp_eq_u16_e32 vcc_lo, 44, v5
	s_cbranch_vccz .LBB296_1421
; %bb.1420:
	global_load_u8 v3, v[0:1], off
	s_mov_b32 s0, 0
	s_mov_b32 s7, -1
	s_waitcnt vmcnt(0)
	v_lshlrev_b32_e32 v6, 23, v3
	v_cmp_ne_u32_e32 vcc_lo, 0, v3
	s_delay_alu instid0(VALU_DEP_2) | instskip(NEXT) | instid1(VALU_DEP_1)
	v_cvt_i32_f32_e32 v6, v6
	v_cndmask_b32_e32 v7, 0, v6, vcc_lo
	s_branch .LBB296_1422
.LBB296_1421:
	s_mov_b32 s0, -1
                                        ; implicit-def: $vgpr7
.LBB296_1422:
	s_mov_b32 s9, 0
.LBB296_1423:
	s_delay_alu instid0(SALU_CYCLE_1)
	s_and_b32 vcc_lo, exec_lo, s9
	s_cbranch_vccz .LBB296_1427
; %bb.1424:
	v_cmp_eq_u16_e32 vcc_lo, 29, v5
	s_cbranch_vccz .LBB296_1426
; %bb.1425:
	global_load_b32 v7, v[0:1], off
	s_mov_b32 s0, 0
	s_mov_b32 s7, -1
	s_branch .LBB296_1427
.LBB296_1426:
	s_mov_b32 s0, -1
                                        ; implicit-def: $vgpr7
.LBB296_1427:
	s_mov_b32 s9, 0
.LBB296_1428:
	s_delay_alu instid0(SALU_CYCLE_1)
	s_and_b32 vcc_lo, exec_lo, s9
	s_cbranch_vccz .LBB296_1444
; %bb.1429:
	v_cmp_gt_i16_e32 vcc_lo, 27, v5
	s_cbranch_vccnz .LBB296_1432
; %bb.1430:
	v_cmp_lt_i16_e32 vcc_lo, 27, v5
	s_cbranch_vccz .LBB296_1433
; %bb.1431:
	global_load_b32 v7, v[0:1], off
	s_mov_b32 s7, 0
	s_branch .LBB296_1434
.LBB296_1432:
	s_mov_b32 s7, -1
                                        ; implicit-def: $vgpr7
	s_branch .LBB296_1437
.LBB296_1433:
	s_mov_b32 s7, -1
                                        ; implicit-def: $vgpr7
.LBB296_1434:
	s_delay_alu instid0(SALU_CYCLE_1)
	s_and_not1_b32 vcc_lo, exec_lo, s7
	s_cbranch_vccnz .LBB296_1436
; %bb.1435:
	global_load_u16 v7, v[0:1], off
.LBB296_1436:
	s_mov_b32 s7, 0
.LBB296_1437:
	s_delay_alu instid0(SALU_CYCLE_1)
	s_and_not1_b32 vcc_lo, exec_lo, s7
	s_cbranch_vccnz .LBB296_1443
; %bb.1438:
	global_load_u8 v3, v[0:1], off
	s_mov_b32 s7, 0
	s_mov_b32 s9, exec_lo
                                        ; implicit-def: $sgpr13
	s_waitcnt vmcnt(0)
	v_cmpx_lt_i16_e32 0x7f, v3
	s_xor_b32 s9, exec_lo, s9
	s_cbranch_execz .LBB296_1455
; %bb.1439:
	v_cmp_ne_u16_e32 vcc_lo, 0x80, v3
	s_mov_b32 s13, 0
	s_and_b32 s7, vcc_lo, exec_lo
	s_or_saveexec_b32 s9, s9
	v_mov_b32_e32 v7, s13
	s_xor_b32 exec_lo, exec_lo, s9
	s_cbranch_execnz .LBB296_1456
.LBB296_1440:
	s_or_b32 exec_lo, exec_lo, s9
	s_and_saveexec_b32 s9, s7
	s_cbranch_execz .LBB296_1442
.LBB296_1441:
	v_and_b32_e32 v6, 0xffff, v3
	v_lshlrev_b32_e32 v3, 24, v3
	s_delay_alu instid0(VALU_DEP_2) | instskip(NEXT) | instid1(VALU_DEP_2)
	v_and_b32_e32 v7, 7, v6
	v_and_b32_e32 v3, 0x80000000, v3
	s_delay_alu instid0(VALU_DEP_2) | instskip(NEXT) | instid1(VALU_DEP_1)
	v_clz_i32_u32_e32 v10, v7
	v_min_u32_e32 v10, 32, v10
	s_delay_alu instid0(VALU_DEP_1) | instskip(SKIP_1) | instid1(VALU_DEP_2)
	v_subrev_nc_u32_e32 v11, 28, v10
	v_sub_nc_u32_e32 v10, 29, v10
	v_lshlrev_b32_e32 v11, v11, v6
	v_bfe_u32 v6, v6, 3, 4
	s_delay_alu instid0(VALU_DEP_1) | instskip(NEXT) | instid1(VALU_DEP_3)
	v_cmp_eq_u32_e32 vcc_lo, 0, v6
	v_dual_cndmask_b32 v6, v6, v10 :: v_dual_and_b32 v11, 7, v11
	s_delay_alu instid0(VALU_DEP_1) | instskip(NEXT) | instid1(VALU_DEP_2)
	v_cndmask_b32_e32 v7, v7, v11, vcc_lo
	v_lshl_add_u32 v6, v6, 23, 0x3b800000
	s_delay_alu instid0(VALU_DEP_2) | instskip(NEXT) | instid1(VALU_DEP_1)
	v_lshlrev_b32_e32 v7, 20, v7
	v_or3_b32 v3, v3, v6, v7
	s_delay_alu instid0(VALU_DEP_1)
	v_cvt_i32_f32_e32 v7, v3
.LBB296_1442:
	s_or_b32 exec_lo, exec_lo, s9
.LBB296_1443:
	s_mov_b32 s7, -1
.LBB296_1444:
	s_mov_b32 s9, 0
.LBB296_1445:
	s_delay_alu instid0(SALU_CYCLE_1)
	s_and_b32 vcc_lo, exec_lo, s9
	s_cbranch_vccz .LBB296_1476
; %bb.1446:
	v_cmp_lt_i16_e32 vcc_lo, 22, v5
	s_cbranch_vccz .LBB296_1454
; %bb.1447:
	v_cmp_gt_i16_e32 vcc_lo, 24, v5
	s_cbranch_vccnz .LBB296_1457
; %bb.1448:
	v_cmp_lt_i16_e32 vcc_lo, 24, v5
	s_cbranch_vccz .LBB296_1458
; %bb.1449:
	global_load_u8 v3, v[0:1], off
	s_mov_b32 s7, exec_lo
                                        ; implicit-def: $sgpr9
	s_waitcnt vmcnt(0)
	v_cmpx_lt_i16_e32 0x7f, v3
	s_xor_b32 s7, exec_lo, s7
	s_cbranch_execz .LBB296_1470
; %bb.1450:
	v_cmp_ne_u16_e32 vcc_lo, 0x80, v3
	s_mov_b32 s9, 0
	s_and_b32 s6, vcc_lo, exec_lo
	s_or_saveexec_b32 s7, s7
	v_mov_b32_e32 v7, s9
	s_xor_b32 exec_lo, exec_lo, s7
	s_cbranch_execnz .LBB296_1471
.LBB296_1451:
	s_or_b32 exec_lo, exec_lo, s7
	s_and_saveexec_b32 s7, s6
	s_cbranch_execz .LBB296_1453
.LBB296_1452:
	v_and_b32_e32 v6, 0xffff, v3
	v_lshlrev_b32_e32 v3, 24, v3
	s_delay_alu instid0(VALU_DEP_2) | instskip(NEXT) | instid1(VALU_DEP_2)
	v_and_b32_e32 v7, 3, v6
	v_and_b32_e32 v3, 0x80000000, v3
	s_delay_alu instid0(VALU_DEP_2) | instskip(NEXT) | instid1(VALU_DEP_1)
	v_clz_i32_u32_e32 v10, v7
	v_min_u32_e32 v10, 32, v10
	s_delay_alu instid0(VALU_DEP_1) | instskip(SKIP_1) | instid1(VALU_DEP_2)
	v_subrev_nc_u32_e32 v11, 29, v10
	v_sub_nc_u32_e32 v10, 30, v10
	v_lshlrev_b32_e32 v11, v11, v6
	v_bfe_u32 v6, v6, 2, 5
	s_delay_alu instid0(VALU_DEP_1) | instskip(NEXT) | instid1(VALU_DEP_3)
	v_cmp_eq_u32_e32 vcc_lo, 0, v6
	v_dual_cndmask_b32 v6, v6, v10 :: v_dual_and_b32 v11, 3, v11
	s_delay_alu instid0(VALU_DEP_1) | instskip(NEXT) | instid1(VALU_DEP_2)
	v_cndmask_b32_e32 v7, v7, v11, vcc_lo
	v_lshl_add_u32 v6, v6, 23, 0x37800000
	s_delay_alu instid0(VALU_DEP_2) | instskip(NEXT) | instid1(VALU_DEP_1)
	v_lshlrev_b32_e32 v7, 21, v7
	v_or3_b32 v3, v3, v6, v7
	s_delay_alu instid0(VALU_DEP_1)
	v_cvt_i32_f32_e32 v7, v3
.LBB296_1453:
	s_or_b32 exec_lo, exec_lo, s7
	s_mov_b32 s6, 0
	s_branch .LBB296_1459
.LBB296_1454:
	s_mov_b32 s6, -1
                                        ; implicit-def: $vgpr7
	s_branch .LBB296_1465
.LBB296_1455:
	s_or_saveexec_b32 s9, s9
	v_mov_b32_e32 v7, s13
	s_xor_b32 exec_lo, exec_lo, s9
	s_cbranch_execz .LBB296_1440
.LBB296_1456:
	v_cmp_ne_u16_e32 vcc_lo, 0, v3
	v_mov_b32_e32 v7, 0
	s_and_not1_b32 s7, s7, exec_lo
	s_and_b32 s13, vcc_lo, exec_lo
	s_delay_alu instid0(SALU_CYCLE_1)
	s_or_b32 s7, s7, s13
	s_or_b32 exec_lo, exec_lo, s9
	s_and_saveexec_b32 s9, s7
	s_cbranch_execnz .LBB296_1441
	s_branch .LBB296_1442
.LBB296_1457:
	s_mov_b32 s6, -1
                                        ; implicit-def: $vgpr7
	s_branch .LBB296_1462
.LBB296_1458:
	s_mov_b32 s6, -1
                                        ; implicit-def: $vgpr7
.LBB296_1459:
	s_delay_alu instid0(SALU_CYCLE_1)
	s_and_b32 vcc_lo, exec_lo, s6
	s_cbranch_vccz .LBB296_1461
; %bb.1460:
	global_load_u8 v3, v[0:1], off
	s_waitcnt vmcnt(0)
	v_lshlrev_b32_e32 v3, 24, v3
	s_delay_alu instid0(VALU_DEP_1) | instskip(NEXT) | instid1(VALU_DEP_1)
	v_and_b32_e32 v6, 0x7f000000, v3
	v_clz_i32_u32_e32 v7, v6
	v_cmp_ne_u32_e32 vcc_lo, 0, v6
	v_add_nc_u32_e32 v11, 0x1000000, v6
	s_delay_alu instid0(VALU_DEP_3) | instskip(NEXT) | instid1(VALU_DEP_1)
	v_min_u32_e32 v7, 32, v7
	v_sub_nc_u32_e64 v7, v7, 4 clamp
	s_delay_alu instid0(VALU_DEP_1) | instskip(SKIP_1) | instid1(VALU_DEP_2)
	v_lshlrev_b32_e32 v10, v7, v6
	v_lshlrev_b32_e32 v7, 23, v7
	v_lshrrev_b32_e32 v10, 4, v10
	s_delay_alu instid0(VALU_DEP_1) | instskip(SKIP_1) | instid1(VALU_DEP_2)
	v_sub_nc_u32_e32 v7, v10, v7
	v_ashrrev_i32_e32 v10, 8, v11
	v_add_nc_u32_e32 v7, 0x3c000000, v7
	s_delay_alu instid0(VALU_DEP_1) | instskip(NEXT) | instid1(VALU_DEP_1)
	v_and_or_b32 v7, 0x7f800000, v10, v7
	v_cndmask_b32_e32 v6, 0, v7, vcc_lo
	s_delay_alu instid0(VALU_DEP_1) | instskip(NEXT) | instid1(VALU_DEP_1)
	v_and_or_b32 v3, 0x80000000, v3, v6
	v_cvt_i32_f32_e32 v7, v3
.LBB296_1461:
	s_mov_b32 s6, 0
.LBB296_1462:
	s_delay_alu instid0(SALU_CYCLE_1)
	s_and_not1_b32 vcc_lo, exec_lo, s6
	s_cbranch_vccnz .LBB296_1464
; %bb.1463:
	global_load_u8 v3, v[0:1], off
	s_waitcnt vmcnt(0)
	v_lshlrev_b32_e32 v6, 25, v3
	v_lshlrev_b16 v3, 8, v3
	s_delay_alu instid0(VALU_DEP_2) | instskip(NEXT) | instid1(VALU_DEP_2)
	v_lshrrev_b32_e32 v7, 4, v6
	v_and_or_b32 v10, 0x7f00, v3, 0.5
	v_cmp_gt_u32_e32 vcc_lo, 0x8000000, v6
	v_bfe_i32 v3, v3, 0, 16
	s_delay_alu instid0(VALU_DEP_4) | instskip(NEXT) | instid1(VALU_DEP_1)
	v_or_b32_e32 v7, 0x70000000, v7
	v_dual_add_f32 v10, -0.5, v10 :: v_dual_mul_f32 v7, 0x7800000, v7
	s_delay_alu instid0(VALU_DEP_1) | instskip(NEXT) | instid1(VALU_DEP_1)
	v_cndmask_b32_e32 v6, v7, v10, vcc_lo
	v_and_or_b32 v3, 0x80000000, v3, v6
	s_delay_alu instid0(VALU_DEP_1)
	v_cvt_i32_f32_e32 v7, v3
.LBB296_1464:
	s_mov_b32 s6, 0
	s_mov_b32 s7, -1
.LBB296_1465:
	s_and_not1_b32 vcc_lo, exec_lo, s6
	s_mov_b32 s6, 0
	s_cbranch_vccnz .LBB296_1476
; %bb.1466:
	v_cmp_lt_i16_e32 vcc_lo, 14, v5
	s_cbranch_vccz .LBB296_1469
; %bb.1467:
	v_cmp_eq_u16_e32 vcc_lo, 15, v5
	s_cbranch_vccz .LBB296_1472
; %bb.1468:
	global_load_u16 v3, v[0:1], off
	s_mov_b32 s0, 0
	s_mov_b32 s7, -1
	s_waitcnt vmcnt(0)
	v_lshlrev_b32_e32 v3, 16, v3
	s_delay_alu instid0(VALU_DEP_1)
	v_cvt_i32_f32_e32 v7, v3
	s_branch .LBB296_1474
.LBB296_1469:
	s_mov_b32 s6, -1
	s_branch .LBB296_1473
.LBB296_1470:
	s_or_saveexec_b32 s7, s7
	v_mov_b32_e32 v7, s9
	s_xor_b32 exec_lo, exec_lo, s7
	s_cbranch_execz .LBB296_1451
.LBB296_1471:
	v_cmp_ne_u16_e32 vcc_lo, 0, v3
	v_mov_b32_e32 v7, 0
	s_and_not1_b32 s6, s6, exec_lo
	s_and_b32 s9, vcc_lo, exec_lo
	s_delay_alu instid0(SALU_CYCLE_1)
	s_or_b32 s6, s6, s9
	s_or_b32 exec_lo, exec_lo, s7
	s_and_saveexec_b32 s7, s6
	s_cbranch_execnz .LBB296_1452
	s_branch .LBB296_1453
.LBB296_1472:
	s_mov_b32 s0, -1
.LBB296_1473:
                                        ; implicit-def: $vgpr7
.LBB296_1474:
	s_and_b32 vcc_lo, exec_lo, s6
	s_mov_b32 s6, 0
	s_cbranch_vccz .LBB296_1476
; %bb.1475:
	v_cmp_ne_u16_e64 s0, 11, v5
	s_mov_b32 s6, -1
                                        ; implicit-def: $vgpr7
.LBB296_1476:
	s_delay_alu instid0(VALU_DEP_1)
	s_and_b32 vcc_lo, exec_lo, s0
	s_cbranch_vccnz .LBB296_2009
; %bb.1477:
	s_and_not1_b32 vcc_lo, exec_lo, s6
	s_cbranch_vccnz .LBB296_1479
.LBB296_1478:
	global_load_u8 v3, v[0:1], off
	s_mov_b32 s7, -1
	s_waitcnt vmcnt(0)
	v_cmp_ne_u16_e32 vcc_lo, 0, v3
	v_cndmask_b32_e64 v7, 0, 1, vcc_lo
.LBB296_1479:
	s_mov_b32 s0, 0
.LBB296_1480:
	s_delay_alu instid0(SALU_CYCLE_1)
	s_and_b32 vcc_lo, exec_lo, s0
	s_cbranch_vccz .LBB296_1529
; %bb.1481:
	v_cmp_gt_i16_e32 vcc_lo, 5, v5
	s_cbranch_vccnz .LBB296_1486
; %bb.1482:
	v_cmp_gt_i16_e32 vcc_lo, 8, v5
	s_cbranch_vccnz .LBB296_1487
	;; [unrolled: 3-line block ×3, first 2 shown]
; %bb.1484:
	v_cmp_lt_i16_e32 vcc_lo, 9, v5
	s_cbranch_vccz .LBB296_1489
; %bb.1485:
	global_load_b64 v[6:7], v[0:1], off
	s_mov_b32 s0, 0
	s_waitcnt vmcnt(0)
	v_cvt_i32_f64_e32 v7, v[6:7]
	s_branch .LBB296_1490
.LBB296_1486:
	s_mov_b32 s0, -1
                                        ; implicit-def: $vgpr7
	s_branch .LBB296_1508
.LBB296_1487:
	s_mov_b32 s0, -1
                                        ; implicit-def: $vgpr7
	s_branch .LBB296_1496
.LBB296_1488:
	s_mov_b32 s0, -1
                                        ; implicit-def: $vgpr7
	s_branch .LBB296_1493
.LBB296_1489:
	s_mov_b32 s0, -1
                                        ; implicit-def: $vgpr7
.LBB296_1490:
	s_delay_alu instid0(SALU_CYCLE_1)
	s_and_not1_b32 vcc_lo, exec_lo, s0
	s_cbranch_vccnz .LBB296_1492
; %bb.1491:
	global_load_b32 v3, v[0:1], off
	s_waitcnt vmcnt(0)
	v_cvt_i32_f32_e32 v7, v3
.LBB296_1492:
	s_mov_b32 s0, 0
.LBB296_1493:
	s_delay_alu instid0(SALU_CYCLE_1)
	s_and_not1_b32 vcc_lo, exec_lo, s0
	s_cbranch_vccnz .LBB296_1495
; %bb.1494:
	global_load_b32 v3, v[0:1], off
	s_waitcnt vmcnt(0)
	v_cvt_f32_f16_e32 v3, v3
	s_delay_alu instid0(VALU_DEP_1)
	v_cvt_i32_f32_e32 v7, v3
.LBB296_1495:
	s_mov_b32 s0, 0
.LBB296_1496:
	s_delay_alu instid0(SALU_CYCLE_1)
	s_and_not1_b32 vcc_lo, exec_lo, s0
	s_cbranch_vccnz .LBB296_1507
; %bb.1497:
	v_cmp_gt_i16_e32 vcc_lo, 6, v5
	s_cbranch_vccnz .LBB296_1500
; %bb.1498:
	v_cmp_lt_i16_e32 vcc_lo, 6, v5
	s_cbranch_vccz .LBB296_1501
; %bb.1499:
	global_load_b64 v[6:7], v[0:1], off
	s_mov_b32 s0, 0
	s_waitcnt vmcnt(0)
	v_cvt_i32_f64_e32 v7, v[6:7]
	s_branch .LBB296_1502
.LBB296_1500:
	s_mov_b32 s0, -1
                                        ; implicit-def: $vgpr7
	s_branch .LBB296_1505
.LBB296_1501:
	s_mov_b32 s0, -1
                                        ; implicit-def: $vgpr7
.LBB296_1502:
	s_delay_alu instid0(SALU_CYCLE_1)
	s_and_not1_b32 vcc_lo, exec_lo, s0
	s_cbranch_vccnz .LBB296_1504
; %bb.1503:
	global_load_b32 v3, v[0:1], off
	s_waitcnt vmcnt(0)
	v_cvt_i32_f32_e32 v7, v3
.LBB296_1504:
	s_mov_b32 s0, 0
.LBB296_1505:
	s_delay_alu instid0(SALU_CYCLE_1)
	s_and_not1_b32 vcc_lo, exec_lo, s0
	s_cbranch_vccnz .LBB296_1507
; %bb.1506:
	global_load_u16 v3, v[0:1], off
	s_waitcnt vmcnt(0)
	v_cvt_f32_f16_e32 v3, v3
	s_delay_alu instid0(VALU_DEP_1)
	v_cvt_i32_f32_e32 v7, v3
.LBB296_1507:
	s_mov_b32 s0, 0
.LBB296_1508:
	s_delay_alu instid0(SALU_CYCLE_1)
	s_and_not1_b32 vcc_lo, exec_lo, s0
	s_cbranch_vccnz .LBB296_1528
; %bb.1509:
	v_cmp_gt_i16_e32 vcc_lo, 2, v5
	s_cbranch_vccnz .LBB296_1513
; %bb.1510:
	v_cmp_gt_i16_e32 vcc_lo, 3, v5
	s_cbranch_vccnz .LBB296_1514
; %bb.1511:
	v_cmp_lt_i16_e32 vcc_lo, 3, v5
	s_cbranch_vccz .LBB296_1515
; %bb.1512:
	global_load_b32 v7, v[0:1], off
	s_mov_b32 s0, 0
	s_branch .LBB296_1516
.LBB296_1513:
	s_mov_b32 s0, -1
                                        ; implicit-def: $vgpr7
	s_branch .LBB296_1522
.LBB296_1514:
	s_mov_b32 s0, -1
                                        ; implicit-def: $vgpr7
	s_branch .LBB296_1519
.LBB296_1515:
	s_mov_b32 s0, -1
                                        ; implicit-def: $vgpr7
.LBB296_1516:
	s_delay_alu instid0(SALU_CYCLE_1)
	s_and_not1_b32 vcc_lo, exec_lo, s0
	s_cbranch_vccnz .LBB296_1518
; %bb.1517:
	global_load_b32 v7, v[0:1], off
.LBB296_1518:
	s_mov_b32 s0, 0
.LBB296_1519:
	s_delay_alu instid0(SALU_CYCLE_1)
	s_and_not1_b32 vcc_lo, exec_lo, s0
	s_cbranch_vccnz .LBB296_1521
; %bb.1520:
	global_load_i16 v7, v[0:1], off
.LBB296_1521:
	s_mov_b32 s0, 0
.LBB296_1522:
	s_delay_alu instid0(SALU_CYCLE_1)
	s_and_not1_b32 vcc_lo, exec_lo, s0
	s_cbranch_vccnz .LBB296_1528
; %bb.1523:
	v_cmp_lt_i16_e32 vcc_lo, 0, v5
	s_mov_b32 s0, 0
	s_cbranch_vccz .LBB296_1525
; %bb.1524:
	global_load_i8 v7, v[0:1], off
	s_branch .LBB296_1526
.LBB296_1525:
	s_mov_b32 s0, -1
                                        ; implicit-def: $vgpr7
.LBB296_1526:
	s_delay_alu instid0(SALU_CYCLE_1)
	s_and_not1_b32 vcc_lo, exec_lo, s0
	s_cbranch_vccnz .LBB296_1528
; %bb.1527:
	global_load_u8 v7, v[0:1], off
.LBB296_1528:
	s_mov_b32 s7, -1
.LBB296_1529:
	s_delay_alu instid0(SALU_CYCLE_1)
	s_and_not1_b32 vcc_lo, exec_lo, s7
	s_cbranch_vccnz .LBB296_1963
; %bb.1530:
	v_mul_lo_u32 v4, s8, v4
	s_waitcnt vmcnt(0)
	v_and_b32_e64 v6, 0xff, s2
	v_maxmin_i32 v0, v2, s10, s11
	s_delay_alu instid0(VALU_DEP_2) | instskip(NEXT) | instid1(VALU_DEP_4)
	v_cmp_gt_i16_e32 vcc_lo, 11, v6
	v_ashrrev_i32_e32 v1, 31, v4
	v_add_co_u32 v2, s0, s4, v4
	s_delay_alu instid0(VALU_DEP_1)
	v_add_co_ci_u32_e64 v3, s0, s5, v1, s0
	s_cbranch_vccnz .LBB296_1608
; %bb.1531:
	v_cmp_lt_i16_e32 vcc_lo, 25, v6
	s_mov_b32 s7, -1
	s_mov_b32 s2, 0
	s_mov_b32 s6, 0
	;; [unrolled: 1-line block ×3, first 2 shown]
	s_cbranch_vccz .LBB296_1564
; %bb.1532:
	v_cmp_lt_i16_e32 vcc_lo, 28, v6
	s_cbranch_vccz .LBB296_1547
; %bb.1533:
	v_cmp_lt_i16_e32 vcc_lo, 43, v6
	;; [unrolled: 3-line block ×3, first 2 shown]
	s_cbranch_vccz .LBB296_1537
; %bb.1535:
	v_cmp_eq_u16_e32 vcc_lo, 46, v6
	s_mov_b32 s0, -1
	s_mov_b32 s7, 0
	s_cbranch_vccz .LBB296_1537
; %bb.1536:
	v_cvt_f32_i32_e32 v1, v0
	s_mov_b32 s0, 0
	s_mov_b32 s6, -1
	s_delay_alu instid0(VALU_DEP_1) | instskip(NEXT) | instid1(VALU_DEP_1)
	v_bfe_u32 v5, v1, 16, 1
	v_add3_u32 v1, v1, v5, 0x7fff
	s_delay_alu instid0(VALU_DEP_1)
	v_lshrrev_b32_e32 v1, 16, v1
	global_store_b32 v[2:3], v1, off
.LBB296_1537:
	s_and_b32 vcc_lo, exec_lo, s7
	s_cbranch_vccz .LBB296_1542
; %bb.1538:
	v_cmp_eq_u16_e32 vcc_lo, 44, v6
	s_mov_b32 s0, -1
	s_cbranch_vccz .LBB296_1542
; %bb.1539:
	v_cvt_f32_i32_e32 v1, v0
	v_mov_b32_e32 v5, 0xff
	s_mov_b32 s6, exec_lo
	s_delay_alu instid0(VALU_DEP_2) | instskip(NEXT) | instid1(VALU_DEP_1)
	v_bfe_u32 v10, v1, 23, 8
	v_cmpx_ne_u32_e32 0xff, v10
; %bb.1540:
	v_and_b32_e32 v5, 0x400000, v1
	v_and_or_b32 v10, 0x3fffff, v1, v10
	v_lshrrev_b32_e32 v1, 23, v1
	s_delay_alu instid0(VALU_DEP_3) | instskip(NEXT) | instid1(VALU_DEP_3)
	v_cmp_ne_u32_e32 vcc_lo, 0, v5
	v_cmp_ne_u32_e64 s0, 0, v10
	s_delay_alu instid0(VALU_DEP_1) | instskip(NEXT) | instid1(SALU_CYCLE_1)
	s_and_b32 s0, vcc_lo, s0
	v_cndmask_b32_e64 v5, 0, 1, s0
	s_delay_alu instid0(VALU_DEP_1)
	v_add_nc_u32_e32 v5, v1, v5
; %bb.1541:
	s_or_b32 exec_lo, exec_lo, s6
	s_mov_b32 s0, 0
	s_mov_b32 s6, -1
	global_store_b8 v[2:3], v5, off
.LBB296_1542:
	s_mov_b32 s7, 0
.LBB296_1543:
	s_delay_alu instid0(SALU_CYCLE_1)
	s_and_b32 vcc_lo, exec_lo, s7
	s_cbranch_vccz .LBB296_1546
; %bb.1544:
	v_cmp_eq_u16_e32 vcc_lo, 29, v6
	s_mov_b32 s0, -1
	s_cbranch_vccz .LBB296_1546
; %bb.1545:
	v_ashrrev_i32_e32 v1, 31, v0
	s_mov_b32 s0, 0
	s_mov_b32 s6, -1
	global_store_b64 v[2:3], v[0:1], off
.LBB296_1546:
	s_mov_b32 s7, 0
.LBB296_1547:
	s_delay_alu instid0(SALU_CYCLE_1)
	s_and_b32 vcc_lo, exec_lo, s7
	s_cbranch_vccz .LBB296_1563
; %bb.1548:
	v_cmp_gt_i16_e32 vcc_lo, 27, v6
	s_mov_b32 s6, -1
	s_cbranch_vccnz .LBB296_1554
; %bb.1549:
	v_cmp_lt_i16_e32 vcc_lo, 27, v6
	s_cbranch_vccz .LBB296_1551
; %bb.1550:
	s_mov_b32 s6, 0
	global_store_b32 v[2:3], v0, off
.LBB296_1551:
	s_and_not1_b32 vcc_lo, exec_lo, s6
	s_cbranch_vccnz .LBB296_1553
; %bb.1552:
	global_store_b16 v[2:3], v0, off
.LBB296_1553:
	s_mov_b32 s6, 0
.LBB296_1554:
	s_delay_alu instid0(SALU_CYCLE_1)
	s_and_not1_b32 vcc_lo, exec_lo, s6
	s_cbranch_vccnz .LBB296_1562
; %bb.1555:
	v_cvt_f32_i32_e32 v1, v0
	v_mov_b32_e32 v10, 0x80
	s_mov_b32 s6, exec_lo
	s_delay_alu instid0(VALU_DEP_2) | instskip(NEXT) | instid1(VALU_DEP_1)
	v_and_b32_e32 v5, 0x7fffffff, v1
	v_cmpx_gt_u32_e32 0x43800000, v5
	s_cbranch_execz .LBB296_1561
; %bb.1556:
	v_cmp_lt_u32_e32 vcc_lo, 0x3bffffff, v5
	s_mov_b32 s7, 0
                                        ; implicit-def: $vgpr5
	s_and_saveexec_b32 s9, vcc_lo
	s_delay_alu instid0(SALU_CYCLE_1)
	s_xor_b32 s9, exec_lo, s9
	s_cbranch_execz .LBB296_2011
; %bb.1557:
	v_bfe_u32 v5, v1, 20, 1
	s_mov_b32 s7, exec_lo
	s_delay_alu instid0(VALU_DEP_1) | instskip(NEXT) | instid1(VALU_DEP_1)
	v_add3_u32 v5, v1, v5, 0x487ffff
	v_lshrrev_b32_e32 v5, 20, v5
	s_or_saveexec_b32 s9, s9
                                        ; implicit-def: $sgpr13
	s_delay_alu instid0(SALU_CYCLE_1)
	s_xor_b32 exec_lo, exec_lo, s9
	s_cbranch_execnz .LBB296_2012
.LBB296_1558:
	s_or_b32 exec_lo, exec_lo, s9
	v_mov_b32_e32 v10, s13
	s_and_saveexec_b32 s9, s7
.LBB296_1559:
	v_lshrrev_b32_e32 v1, 24, v1
	s_delay_alu instid0(VALU_DEP_1)
	v_and_or_b32 v10, 0x80, v1, v5
.LBB296_1560:
	s_or_b32 exec_lo, exec_lo, s9
.LBB296_1561:
	s_delay_alu instid0(SALU_CYCLE_1)
	s_or_b32 exec_lo, exec_lo, s6
	global_store_b8 v[2:3], v10, off
.LBB296_1562:
	s_mov_b32 s6, -1
.LBB296_1563:
	s_mov_b32 s7, 0
.LBB296_1564:
	s_delay_alu instid0(SALU_CYCLE_1)
	s_and_b32 vcc_lo, exec_lo, s7
	s_cbranch_vccz .LBB296_1604
; %bb.1565:
	v_cmp_lt_i16_e32 vcc_lo, 22, v6
	s_mov_b32 s2, -1
	s_cbranch_vccz .LBB296_1597
; %bb.1566:
	v_cmp_gt_i16_e32 vcc_lo, 24, v6
	s_cbranch_vccnz .LBB296_1586
; %bb.1567:
	v_cmp_lt_i16_e32 vcc_lo, 24, v6
	s_cbranch_vccz .LBB296_1575
; %bb.1568:
	v_cvt_f32_i32_e32 v1, v0
	v_mov_b32_e32 v10, 0x80
	s_mov_b32 s2, exec_lo
	s_delay_alu instid0(VALU_DEP_2) | instskip(NEXT) | instid1(VALU_DEP_1)
	v_and_b32_e32 v5, 0x7fffffff, v1
	v_cmpx_gt_u32_e32 0x47800000, v5
	s_cbranch_execz .LBB296_1574
; %bb.1569:
	v_cmp_lt_u32_e32 vcc_lo, 0x37ffffff, v5
	s_mov_b32 s6, 0
                                        ; implicit-def: $vgpr5
	s_and_saveexec_b32 s7, vcc_lo
	s_delay_alu instid0(SALU_CYCLE_1)
	s_xor_b32 s7, exec_lo, s7
	s_cbranch_execz .LBB296_2017
; %bb.1570:
	v_bfe_u32 v5, v1, 21, 1
	s_mov_b32 s6, exec_lo
	s_delay_alu instid0(VALU_DEP_1) | instskip(NEXT) | instid1(VALU_DEP_1)
	v_add3_u32 v5, v1, v5, 0x88fffff
	v_lshrrev_b32_e32 v5, 21, v5
	s_or_saveexec_b32 s7, s7
                                        ; implicit-def: $sgpr9
	s_delay_alu instid0(SALU_CYCLE_1)
	s_xor_b32 exec_lo, exec_lo, s7
	s_cbranch_execnz .LBB296_2018
.LBB296_1571:
	s_or_b32 exec_lo, exec_lo, s7
	v_mov_b32_e32 v10, s9
	s_and_saveexec_b32 s7, s6
.LBB296_1572:
	v_lshrrev_b32_e32 v1, 24, v1
	s_delay_alu instid0(VALU_DEP_1)
	v_and_or_b32 v10, 0x80, v1, v5
.LBB296_1573:
	s_or_b32 exec_lo, exec_lo, s7
.LBB296_1574:
	s_delay_alu instid0(SALU_CYCLE_1)
	s_or_b32 exec_lo, exec_lo, s2
	s_mov_b32 s2, 0
	global_store_b8 v[2:3], v10, off
.LBB296_1575:
	s_and_b32 vcc_lo, exec_lo, s2
	s_cbranch_vccz .LBB296_1585
; %bb.1576:
	v_cvt_f32_i32_e32 v1, v0
	s_mov_b32 s2, exec_lo
                                        ; implicit-def: $vgpr5
	s_delay_alu instid0(VALU_DEP_1) | instskip(NEXT) | instid1(VALU_DEP_1)
	v_and_b32_e32 v10, 0x7fffffff, v1
	v_cmpx_gt_u32_e32 0x43f00000, v10
	s_xor_b32 s2, exec_lo, s2
	s_cbranch_execz .LBB296_1582
; %bb.1577:
	s_mov_b32 s6, exec_lo
                                        ; implicit-def: $vgpr5
	v_cmpx_lt_u32_e32 0x3c7fffff, v10
	s_xor_b32 s6, exec_lo, s6
; %bb.1578:
	v_bfe_u32 v5, v1, 20, 1
	s_delay_alu instid0(VALU_DEP_1) | instskip(NEXT) | instid1(VALU_DEP_1)
	v_add3_u32 v5, v1, v5, 0x407ffff
	v_and_b32_e32 v10, 0xff00000, v5
	v_lshrrev_b32_e32 v5, 20, v5
	s_delay_alu instid0(VALU_DEP_2) | instskip(NEXT) | instid1(VALU_DEP_2)
	v_cmp_ne_u32_e32 vcc_lo, 0x7f00000, v10
	v_cndmask_b32_e32 v5, 0x7e, v5, vcc_lo
; %bb.1579:
	s_and_not1_saveexec_b32 s6, s6
; %bb.1580:
	v_add_f32_e64 v5, 0x46800000, |v1|
; %bb.1581:
	s_or_b32 exec_lo, exec_lo, s6
                                        ; implicit-def: $vgpr10
.LBB296_1582:
	s_and_not1_saveexec_b32 s2, s2
; %bb.1583:
	v_mov_b32_e32 v5, 0x7f
	v_cmp_lt_u32_e32 vcc_lo, 0x7f800000, v10
	s_delay_alu instid0(VALU_DEP_2)
	v_cndmask_b32_e32 v5, 0x7e, v5, vcc_lo
; %bb.1584:
	s_or_b32 exec_lo, exec_lo, s2
	v_lshrrev_b32_e32 v1, 24, v1
	s_delay_alu instid0(VALU_DEP_1)
	v_and_or_b32 v1, 0x80, v1, v5
	global_store_b8 v[2:3], v1, off
.LBB296_1585:
	s_mov_b32 s2, 0
.LBB296_1586:
	s_delay_alu instid0(SALU_CYCLE_1)
	s_and_not1_b32 vcc_lo, exec_lo, s2
	s_cbranch_vccnz .LBB296_1596
; %bb.1587:
	v_cvt_f32_i32_e32 v1, v0
	s_mov_b32 s2, exec_lo
                                        ; implicit-def: $vgpr5
	s_delay_alu instid0(VALU_DEP_1) | instskip(NEXT) | instid1(VALU_DEP_1)
	v_and_b32_e32 v10, 0x7fffffff, v1
	v_cmpx_gt_u32_e32 0x47800000, v10
	s_xor_b32 s2, exec_lo, s2
	s_cbranch_execz .LBB296_1593
; %bb.1588:
	s_mov_b32 s6, exec_lo
                                        ; implicit-def: $vgpr5
	v_cmpx_lt_u32_e32 0x387fffff, v10
	s_xor_b32 s6, exec_lo, s6
; %bb.1589:
	v_bfe_u32 v5, v1, 21, 1
	s_delay_alu instid0(VALU_DEP_1) | instskip(NEXT) | instid1(VALU_DEP_1)
	v_add3_u32 v5, v1, v5, 0x80fffff
	v_lshrrev_b32_e32 v5, 21, v5
; %bb.1590:
	s_and_not1_saveexec_b32 s6, s6
; %bb.1591:
	v_add_f32_e64 v5, 0x43000000, |v1|
; %bb.1592:
	s_or_b32 exec_lo, exec_lo, s6
                                        ; implicit-def: $vgpr10
.LBB296_1593:
	s_and_not1_saveexec_b32 s2, s2
; %bb.1594:
	v_mov_b32_e32 v5, 0x7f
	v_cmp_lt_u32_e32 vcc_lo, 0x7f800000, v10
	s_delay_alu instid0(VALU_DEP_2)
	v_cndmask_b32_e32 v5, 0x7c, v5, vcc_lo
; %bb.1595:
	s_or_b32 exec_lo, exec_lo, s2
	v_lshrrev_b32_e32 v1, 24, v1
	s_delay_alu instid0(VALU_DEP_1)
	v_and_or_b32 v1, 0x80, v1, v5
	global_store_b8 v[2:3], v1, off
.LBB296_1596:
	s_mov_b32 s2, 0
	s_mov_b32 s6, -1
.LBB296_1597:
	s_and_not1_b32 vcc_lo, exec_lo, s2
	s_mov_b32 s2, 0
	s_cbranch_vccnz .LBB296_1604
; %bb.1598:
	v_cmp_lt_i16_e32 vcc_lo, 14, v6
	s_mov_b32 s2, -1
	s_cbranch_vccz .LBB296_1602
; %bb.1599:
	v_cmp_eq_u16_e32 vcc_lo, 15, v6
	s_mov_b32 s0, -1
	s_cbranch_vccz .LBB296_1601
; %bb.1600:
	v_cvt_f32_i32_e32 v1, v0
	s_mov_b32 s0, 0
	s_mov_b32 s6, -1
	s_delay_alu instid0(VALU_DEP_1) | instskip(NEXT) | instid1(VALU_DEP_1)
	v_bfe_u32 v5, v1, 16, 1
	v_add3_u32 v1, v1, v5, 0x7fff
	global_store_d16_hi_b16 v[2:3], v1, off
.LBB296_1601:
	s_mov_b32 s2, 0
.LBB296_1602:
	s_delay_alu instid0(SALU_CYCLE_1)
	s_and_b32 vcc_lo, exec_lo, s2
	s_mov_b32 s2, 0
	s_cbranch_vccz .LBB296_1604
; %bb.1603:
	v_cmp_ne_u16_e64 s0, 11, v6
	s_mov_b32 s2, -1
.LBB296_1604:
	s_delay_alu instid0(VALU_DEP_1)
	s_and_b32 vcc_lo, exec_lo, s0
	s_cbranch_vccnz .LBB296_2015
; %bb.1605:
	s_and_not1_b32 vcc_lo, exec_lo, s2
	s_cbranch_vccnz .LBB296_1607
.LBB296_1606:
	v_cmp_ne_u32_e32 vcc_lo, 0, v0
	s_mov_b32 s6, -1
	v_cndmask_b32_e64 v1, 0, 1, vcc_lo
	global_store_b8 v[2:3], v1, off
.LBB296_1607:
	s_mov_b32 s0, 0
	s_branch .LBB296_1609
.LBB296_1608:
	s_mov_b32 s0, -1
	s_mov_b32 s6, 0
.LBB296_1609:
	s_and_b32 vcc_lo, exec_lo, s0
	s_cbranch_vccz .LBB296_1648
; %bb.1610:
	v_cmp_gt_i16_e32 vcc_lo, 5, v6
	s_mov_b32 s0, -1
	s_cbranch_vccnz .LBB296_1631
; %bb.1611:
	v_cmp_gt_i16_e32 vcc_lo, 8, v6
	s_cbranch_vccnz .LBB296_1621
; %bb.1612:
	v_cmp_gt_i16_e32 vcc_lo, 9, v6
	s_cbranch_vccnz .LBB296_1618
; %bb.1613:
	v_cmp_lt_i16_e32 vcc_lo, 9, v6
	s_cbranch_vccz .LBB296_1615
; %bb.1614:
	v_cvt_f64_i32_e32 v[10:11], v0
	v_mov_b32_e32 v12, 0
	s_mov_b32 s0, 0
	s_delay_alu instid0(VALU_DEP_1)
	v_mov_b32_e32 v13, v12
	global_store_b128 v[2:3], v[10:13], off
.LBB296_1615:
	s_and_not1_b32 vcc_lo, exec_lo, s0
	s_cbranch_vccnz .LBB296_1617
; %bb.1616:
	v_cvt_f32_i32_e32 v10, v0
	v_mov_b32_e32 v11, 0
	global_store_b64 v[2:3], v[10:11], off
.LBB296_1617:
	s_mov_b32 s0, 0
.LBB296_1618:
	s_delay_alu instid0(SALU_CYCLE_1)
	s_and_not1_b32 vcc_lo, exec_lo, s0
	s_cbranch_vccnz .LBB296_1620
; %bb.1619:
	v_cvt_f32_i32_e32 v1, v0
	s_delay_alu instid0(VALU_DEP_1) | instskip(NEXT) | instid1(VALU_DEP_1)
	v_cvt_f16_f32_e32 v1, v1
	v_and_b32_e32 v1, 0xffff, v1
	global_store_b32 v[2:3], v1, off
.LBB296_1620:
	s_mov_b32 s0, 0
.LBB296_1621:
	s_delay_alu instid0(SALU_CYCLE_1)
	s_and_not1_b32 vcc_lo, exec_lo, s0
	s_cbranch_vccnz .LBB296_1630
; %bb.1622:
	v_cmp_gt_i16_e32 vcc_lo, 6, v6
	s_mov_b32 s0, -1
	s_cbranch_vccnz .LBB296_1628
; %bb.1623:
	v_cmp_lt_i16_e32 vcc_lo, 6, v6
	s_cbranch_vccz .LBB296_1625
; %bb.1624:
	v_cvt_f64_i32_e32 v[10:11], v0
	s_mov_b32 s0, 0
	global_store_b64 v[2:3], v[10:11], off
.LBB296_1625:
	s_and_not1_b32 vcc_lo, exec_lo, s0
	s_cbranch_vccnz .LBB296_1627
; %bb.1626:
	v_cvt_f32_i32_e32 v1, v0
	global_store_b32 v[2:3], v1, off
.LBB296_1627:
	s_mov_b32 s0, 0
.LBB296_1628:
	s_delay_alu instid0(SALU_CYCLE_1)
	s_and_not1_b32 vcc_lo, exec_lo, s0
	s_cbranch_vccnz .LBB296_1630
; %bb.1629:
	v_cvt_f32_i32_e32 v1, v0
	s_delay_alu instid0(VALU_DEP_1)
	v_cvt_f16_f32_e32 v1, v1
	global_store_b16 v[2:3], v1, off
.LBB296_1630:
	s_mov_b32 s0, 0
.LBB296_1631:
	s_delay_alu instid0(SALU_CYCLE_1)
	s_and_not1_b32 vcc_lo, exec_lo, s0
	s_cbranch_vccnz .LBB296_1647
; %bb.1632:
	v_cmp_gt_i16_e32 vcc_lo, 2, v6
	s_mov_b32 s0, -1
	s_cbranch_vccnz .LBB296_1642
; %bb.1633:
	v_cmp_gt_i16_e32 vcc_lo, 3, v6
	s_cbranch_vccnz .LBB296_1639
; %bb.1634:
	v_cmp_lt_i16_e32 vcc_lo, 3, v6
	s_cbranch_vccz .LBB296_1636
; %bb.1635:
	v_ashrrev_i32_e32 v1, 31, v0
	s_mov_b32 s0, 0
	global_store_b64 v[2:3], v[0:1], off
.LBB296_1636:
	s_and_not1_b32 vcc_lo, exec_lo, s0
	s_cbranch_vccnz .LBB296_1638
; %bb.1637:
	global_store_b32 v[2:3], v0, off
.LBB296_1638:
	s_mov_b32 s0, 0
.LBB296_1639:
	s_delay_alu instid0(SALU_CYCLE_1)
	s_and_not1_b32 vcc_lo, exec_lo, s0
	s_cbranch_vccnz .LBB296_1641
; %bb.1640:
	global_store_b16 v[2:3], v0, off
.LBB296_1641:
	s_mov_b32 s0, 0
.LBB296_1642:
	s_delay_alu instid0(SALU_CYCLE_1)
	s_and_not1_b32 vcc_lo, exec_lo, s0
	s_cbranch_vccnz .LBB296_1647
; %bb.1643:
	v_cmp_lt_i16_e32 vcc_lo, 0, v6
	s_mov_b32 s0, -1
	s_cbranch_vccz .LBB296_1645
; %bb.1644:
	s_mov_b32 s0, 0
	global_store_b8 v[2:3], v0, off
.LBB296_1645:
	s_and_not1_b32 vcc_lo, exec_lo, s0
	s_cbranch_vccnz .LBB296_1647
; %bb.1646:
	global_store_b8 v[2:3], v0, off
.LBB296_1647:
	s_mov_b32 s6, -1
.LBB296_1648:
	s_delay_alu instid0(SALU_CYCLE_1)
	s_and_not1_b32 vcc_lo, exec_lo, s6
	s_cbranch_vccnz .LBB296_1963
; %bb.1649:
	s_lshl_b32 s2, s8, 7
	v_cmp_gt_i16_e32 vcc_lo, 11, v6
	v_add_nc_u32_e32 v4, s2, v4
	v_maxmin_i32 v0, v9, s10, s11
	s_delay_alu instid0(VALU_DEP_2) | instskip(SKIP_1) | instid1(VALU_DEP_1)
	v_ashrrev_i32_e32 v1, 31, v4
	v_add_co_u32 v2, s0, s4, v4
	v_add_co_ci_u32_e64 v3, s0, s5, v1, s0
	s_cbranch_vccnz .LBB296_1727
; %bb.1650:
	v_cmp_lt_i16_e32 vcc_lo, 25, v6
	s_mov_b32 s8, -1
	s_mov_b32 s6, 0
	s_mov_b32 s7, 0
	;; [unrolled: 1-line block ×3, first 2 shown]
	s_cbranch_vccz .LBB296_1683
; %bb.1651:
	v_cmp_lt_i16_e32 vcc_lo, 28, v6
	s_cbranch_vccz .LBB296_1666
; %bb.1652:
	v_cmp_lt_i16_e32 vcc_lo, 43, v6
	;; [unrolled: 3-line block ×3, first 2 shown]
	s_cbranch_vccz .LBB296_1656
; %bb.1654:
	v_cmp_eq_u16_e32 vcc_lo, 46, v6
	s_mov_b32 s0, -1
	s_mov_b32 s8, 0
	s_cbranch_vccz .LBB296_1656
; %bb.1655:
	v_cvt_f32_i32_e32 v1, v0
	s_mov_b32 s0, 0
	s_mov_b32 s7, -1
	s_delay_alu instid0(VALU_DEP_1) | instskip(NEXT) | instid1(VALU_DEP_1)
	v_bfe_u32 v5, v1, 16, 1
	v_add3_u32 v1, v1, v5, 0x7fff
	s_delay_alu instid0(VALU_DEP_1)
	v_lshrrev_b32_e32 v1, 16, v1
	global_store_b32 v[2:3], v1, off
.LBB296_1656:
	s_and_b32 vcc_lo, exec_lo, s8
	s_cbranch_vccz .LBB296_1661
; %bb.1657:
	v_cmp_eq_u16_e32 vcc_lo, 44, v6
	s_mov_b32 s0, -1
	s_cbranch_vccz .LBB296_1661
; %bb.1658:
	v_cvt_f32_i32_e32 v1, v0
	v_mov_b32_e32 v5, 0xff
	s_mov_b32 s7, exec_lo
	s_delay_alu instid0(VALU_DEP_2) | instskip(NEXT) | instid1(VALU_DEP_1)
	v_bfe_u32 v9, v1, 23, 8
	v_cmpx_ne_u32_e32 0xff, v9
; %bb.1659:
	v_and_b32_e32 v5, 0x400000, v1
	v_and_or_b32 v9, 0x3fffff, v1, v9
	v_lshrrev_b32_e32 v1, 23, v1
	s_delay_alu instid0(VALU_DEP_3) | instskip(NEXT) | instid1(VALU_DEP_3)
	v_cmp_ne_u32_e32 vcc_lo, 0, v5
	v_cmp_ne_u32_e64 s0, 0, v9
	s_delay_alu instid0(VALU_DEP_1) | instskip(NEXT) | instid1(SALU_CYCLE_1)
	s_and_b32 s0, vcc_lo, s0
	v_cndmask_b32_e64 v5, 0, 1, s0
	s_delay_alu instid0(VALU_DEP_1)
	v_add_nc_u32_e32 v5, v1, v5
; %bb.1660:
	s_or_b32 exec_lo, exec_lo, s7
	s_mov_b32 s0, 0
	s_mov_b32 s7, -1
	global_store_b8 v[2:3], v5, off
.LBB296_1661:
	s_mov_b32 s8, 0
.LBB296_1662:
	s_delay_alu instid0(SALU_CYCLE_1)
	s_and_b32 vcc_lo, exec_lo, s8
	s_cbranch_vccz .LBB296_1665
; %bb.1663:
	v_cmp_eq_u16_e32 vcc_lo, 29, v6
	s_mov_b32 s0, -1
	s_cbranch_vccz .LBB296_1665
; %bb.1664:
	v_ashrrev_i32_e32 v1, 31, v0
	s_mov_b32 s0, 0
	s_mov_b32 s7, -1
	global_store_b64 v[2:3], v[0:1], off
.LBB296_1665:
	s_mov_b32 s8, 0
.LBB296_1666:
	s_delay_alu instid0(SALU_CYCLE_1)
	s_and_b32 vcc_lo, exec_lo, s8
	s_cbranch_vccz .LBB296_1682
; %bb.1667:
	v_cmp_gt_i16_e32 vcc_lo, 27, v6
	s_mov_b32 s7, -1
	s_cbranch_vccnz .LBB296_1673
; %bb.1668:
	v_cmp_lt_i16_e32 vcc_lo, 27, v6
	s_cbranch_vccz .LBB296_1670
; %bb.1669:
	s_mov_b32 s7, 0
	global_store_b32 v[2:3], v0, off
.LBB296_1670:
	s_and_not1_b32 vcc_lo, exec_lo, s7
	s_cbranch_vccnz .LBB296_1672
; %bb.1671:
	global_store_b16 v[2:3], v0, off
.LBB296_1672:
	s_mov_b32 s7, 0
.LBB296_1673:
	s_delay_alu instid0(SALU_CYCLE_1)
	s_and_not1_b32 vcc_lo, exec_lo, s7
	s_cbranch_vccnz .LBB296_1681
; %bb.1674:
	v_cvt_f32_i32_e32 v1, v0
	v_mov_b32_e32 v9, 0x80
	s_mov_b32 s7, exec_lo
	s_delay_alu instid0(VALU_DEP_2) | instskip(NEXT) | instid1(VALU_DEP_1)
	v_and_b32_e32 v5, 0x7fffffff, v1
	v_cmpx_gt_u32_e32 0x43800000, v5
	s_cbranch_execz .LBB296_1680
; %bb.1675:
	v_cmp_lt_u32_e32 vcc_lo, 0x3bffffff, v5
	s_mov_b32 s8, 0
                                        ; implicit-def: $vgpr5
	s_and_saveexec_b32 s9, vcc_lo
	s_delay_alu instid0(SALU_CYCLE_1)
	s_xor_b32 s9, exec_lo, s9
	s_cbranch_execz .LBB296_2019
; %bb.1676:
	v_bfe_u32 v5, v1, 20, 1
	s_mov_b32 s8, exec_lo
	s_delay_alu instid0(VALU_DEP_1) | instskip(NEXT) | instid1(VALU_DEP_1)
	v_add3_u32 v5, v1, v5, 0x487ffff
	v_lshrrev_b32_e32 v5, 20, v5
	s_or_saveexec_b32 s9, s9
                                        ; implicit-def: $sgpr13
	s_delay_alu instid0(SALU_CYCLE_1)
	s_xor_b32 exec_lo, exec_lo, s9
	s_cbranch_execnz .LBB296_2020
.LBB296_1677:
	s_or_b32 exec_lo, exec_lo, s9
	v_mov_b32_e32 v9, s13
	s_and_saveexec_b32 s9, s8
.LBB296_1678:
	v_lshrrev_b32_e32 v1, 24, v1
	s_delay_alu instid0(VALU_DEP_1)
	v_and_or_b32 v9, 0x80, v1, v5
.LBB296_1679:
	s_or_b32 exec_lo, exec_lo, s9
.LBB296_1680:
	s_delay_alu instid0(SALU_CYCLE_1)
	s_or_b32 exec_lo, exec_lo, s7
	global_store_b8 v[2:3], v9, off
.LBB296_1681:
	s_mov_b32 s7, -1
.LBB296_1682:
	s_mov_b32 s8, 0
.LBB296_1683:
	s_delay_alu instid0(SALU_CYCLE_1)
	s_and_b32 vcc_lo, exec_lo, s8
	s_cbranch_vccz .LBB296_1723
; %bb.1684:
	v_cmp_lt_i16_e32 vcc_lo, 22, v6
	s_mov_b32 s6, -1
	s_cbranch_vccz .LBB296_1716
; %bb.1685:
	v_cmp_gt_i16_e32 vcc_lo, 24, v6
	s_cbranch_vccnz .LBB296_1705
; %bb.1686:
	v_cmp_lt_i16_e32 vcc_lo, 24, v6
	s_cbranch_vccz .LBB296_1694
; %bb.1687:
	v_cvt_f32_i32_e32 v1, v0
	v_mov_b32_e32 v9, 0x80
	s_mov_b32 s6, exec_lo
	s_delay_alu instid0(VALU_DEP_2) | instskip(NEXT) | instid1(VALU_DEP_1)
	v_and_b32_e32 v5, 0x7fffffff, v1
	v_cmpx_gt_u32_e32 0x47800000, v5
	s_cbranch_execz .LBB296_1693
; %bb.1688:
	v_cmp_lt_u32_e32 vcc_lo, 0x37ffffff, v5
	s_mov_b32 s7, 0
                                        ; implicit-def: $vgpr5
	s_and_saveexec_b32 s8, vcc_lo
	s_delay_alu instid0(SALU_CYCLE_1)
	s_xor_b32 s8, exec_lo, s8
	s_cbranch_execz .LBB296_2025
; %bb.1689:
	v_bfe_u32 v5, v1, 21, 1
	s_mov_b32 s7, exec_lo
	s_delay_alu instid0(VALU_DEP_1) | instskip(NEXT) | instid1(VALU_DEP_1)
	v_add3_u32 v5, v1, v5, 0x88fffff
	v_lshrrev_b32_e32 v5, 21, v5
	s_or_saveexec_b32 s8, s8
                                        ; implicit-def: $sgpr9
	s_delay_alu instid0(SALU_CYCLE_1)
	s_xor_b32 exec_lo, exec_lo, s8
	s_cbranch_execnz .LBB296_2026
.LBB296_1690:
	s_or_b32 exec_lo, exec_lo, s8
	v_mov_b32_e32 v9, s9
	s_and_saveexec_b32 s8, s7
.LBB296_1691:
	v_lshrrev_b32_e32 v1, 24, v1
	s_delay_alu instid0(VALU_DEP_1)
	v_and_or_b32 v9, 0x80, v1, v5
.LBB296_1692:
	s_or_b32 exec_lo, exec_lo, s8
.LBB296_1693:
	s_delay_alu instid0(SALU_CYCLE_1)
	s_or_b32 exec_lo, exec_lo, s6
	s_mov_b32 s6, 0
	global_store_b8 v[2:3], v9, off
.LBB296_1694:
	s_and_b32 vcc_lo, exec_lo, s6
	s_cbranch_vccz .LBB296_1704
; %bb.1695:
	v_cvt_f32_i32_e32 v1, v0
	s_mov_b32 s6, exec_lo
                                        ; implicit-def: $vgpr5
	s_delay_alu instid0(VALU_DEP_1) | instskip(NEXT) | instid1(VALU_DEP_1)
	v_and_b32_e32 v9, 0x7fffffff, v1
	v_cmpx_gt_u32_e32 0x43f00000, v9
	s_xor_b32 s6, exec_lo, s6
	s_cbranch_execz .LBB296_1701
; %bb.1696:
	s_mov_b32 s7, exec_lo
                                        ; implicit-def: $vgpr5
	v_cmpx_lt_u32_e32 0x3c7fffff, v9
	s_xor_b32 s7, exec_lo, s7
; %bb.1697:
	v_bfe_u32 v5, v1, 20, 1
	s_delay_alu instid0(VALU_DEP_1) | instskip(NEXT) | instid1(VALU_DEP_1)
	v_add3_u32 v5, v1, v5, 0x407ffff
	v_and_b32_e32 v9, 0xff00000, v5
	v_lshrrev_b32_e32 v5, 20, v5
	s_delay_alu instid0(VALU_DEP_2) | instskip(NEXT) | instid1(VALU_DEP_2)
	v_cmp_ne_u32_e32 vcc_lo, 0x7f00000, v9
	v_cndmask_b32_e32 v5, 0x7e, v5, vcc_lo
; %bb.1698:
	s_and_not1_saveexec_b32 s7, s7
; %bb.1699:
	v_add_f32_e64 v5, 0x46800000, |v1|
; %bb.1700:
	s_or_b32 exec_lo, exec_lo, s7
                                        ; implicit-def: $vgpr9
.LBB296_1701:
	s_and_not1_saveexec_b32 s6, s6
; %bb.1702:
	v_mov_b32_e32 v5, 0x7f
	v_cmp_lt_u32_e32 vcc_lo, 0x7f800000, v9
	s_delay_alu instid0(VALU_DEP_2)
	v_cndmask_b32_e32 v5, 0x7e, v5, vcc_lo
; %bb.1703:
	s_or_b32 exec_lo, exec_lo, s6
	v_lshrrev_b32_e32 v1, 24, v1
	s_delay_alu instid0(VALU_DEP_1)
	v_and_or_b32 v1, 0x80, v1, v5
	global_store_b8 v[2:3], v1, off
.LBB296_1704:
	s_mov_b32 s6, 0
.LBB296_1705:
	s_delay_alu instid0(SALU_CYCLE_1)
	s_and_not1_b32 vcc_lo, exec_lo, s6
	s_cbranch_vccnz .LBB296_1715
; %bb.1706:
	v_cvt_f32_i32_e32 v1, v0
	s_mov_b32 s6, exec_lo
                                        ; implicit-def: $vgpr5
	s_delay_alu instid0(VALU_DEP_1) | instskip(NEXT) | instid1(VALU_DEP_1)
	v_and_b32_e32 v9, 0x7fffffff, v1
	v_cmpx_gt_u32_e32 0x47800000, v9
	s_xor_b32 s6, exec_lo, s6
	s_cbranch_execz .LBB296_1712
; %bb.1707:
	s_mov_b32 s7, exec_lo
                                        ; implicit-def: $vgpr5
	v_cmpx_lt_u32_e32 0x387fffff, v9
	s_xor_b32 s7, exec_lo, s7
; %bb.1708:
	v_bfe_u32 v5, v1, 21, 1
	s_delay_alu instid0(VALU_DEP_1) | instskip(NEXT) | instid1(VALU_DEP_1)
	v_add3_u32 v5, v1, v5, 0x80fffff
	v_lshrrev_b32_e32 v5, 21, v5
; %bb.1709:
	s_and_not1_saveexec_b32 s7, s7
; %bb.1710:
	v_add_f32_e64 v5, 0x43000000, |v1|
; %bb.1711:
	s_or_b32 exec_lo, exec_lo, s7
                                        ; implicit-def: $vgpr9
.LBB296_1712:
	s_and_not1_saveexec_b32 s6, s6
; %bb.1713:
	v_mov_b32_e32 v5, 0x7f
	v_cmp_lt_u32_e32 vcc_lo, 0x7f800000, v9
	s_delay_alu instid0(VALU_DEP_2)
	v_cndmask_b32_e32 v5, 0x7c, v5, vcc_lo
; %bb.1714:
	s_or_b32 exec_lo, exec_lo, s6
	v_lshrrev_b32_e32 v1, 24, v1
	s_delay_alu instid0(VALU_DEP_1)
	v_and_or_b32 v1, 0x80, v1, v5
	global_store_b8 v[2:3], v1, off
.LBB296_1715:
	s_mov_b32 s6, 0
	s_mov_b32 s7, -1
.LBB296_1716:
	s_and_not1_b32 vcc_lo, exec_lo, s6
	s_mov_b32 s6, 0
	s_cbranch_vccnz .LBB296_1723
; %bb.1717:
	v_cmp_lt_i16_e32 vcc_lo, 14, v6
	s_mov_b32 s6, -1
	s_cbranch_vccz .LBB296_1721
; %bb.1718:
	v_cmp_eq_u16_e32 vcc_lo, 15, v6
	s_mov_b32 s0, -1
	s_cbranch_vccz .LBB296_1720
; %bb.1719:
	v_cvt_f32_i32_e32 v1, v0
	s_mov_b32 s0, 0
	s_mov_b32 s7, -1
	s_delay_alu instid0(VALU_DEP_1) | instskip(NEXT) | instid1(VALU_DEP_1)
	v_bfe_u32 v5, v1, 16, 1
	v_add3_u32 v1, v1, v5, 0x7fff
	global_store_d16_hi_b16 v[2:3], v1, off
.LBB296_1720:
	s_mov_b32 s6, 0
.LBB296_1721:
	s_delay_alu instid0(SALU_CYCLE_1)
	s_and_b32 vcc_lo, exec_lo, s6
	s_mov_b32 s6, 0
	s_cbranch_vccz .LBB296_1723
; %bb.1722:
	v_cmp_ne_u16_e64 s0, 11, v6
	s_mov_b32 s6, -1
.LBB296_1723:
	s_delay_alu instid0(VALU_DEP_1)
	s_and_b32 vcc_lo, exec_lo, s0
	s_cbranch_vccnz .LBB296_2023
; %bb.1724:
	s_and_not1_b32 vcc_lo, exec_lo, s6
	s_cbranch_vccnz .LBB296_1726
.LBB296_1725:
	v_cmp_ne_u32_e32 vcc_lo, 0, v0
	s_mov_b32 s7, -1
	v_cndmask_b32_e64 v1, 0, 1, vcc_lo
	global_store_b8 v[2:3], v1, off
.LBB296_1726:
	s_mov_b32 s0, 0
	s_branch .LBB296_1728
.LBB296_1727:
	s_mov_b32 s0, -1
	s_mov_b32 s7, 0
.LBB296_1728:
	s_and_b32 vcc_lo, exec_lo, s0
	s_cbranch_vccz .LBB296_1767
; %bb.1729:
	v_cmp_gt_i16_e32 vcc_lo, 5, v6
	s_mov_b32 s0, -1
	s_cbranch_vccnz .LBB296_1750
; %bb.1730:
	v_cmp_gt_i16_e32 vcc_lo, 8, v6
	s_cbranch_vccnz .LBB296_1740
; %bb.1731:
	v_cmp_gt_i16_e32 vcc_lo, 9, v6
	s_cbranch_vccnz .LBB296_1737
; %bb.1732:
	v_cmp_lt_i16_e32 vcc_lo, 9, v6
	s_cbranch_vccz .LBB296_1734
; %bb.1733:
	v_cvt_f64_i32_e32 v[9:10], v0
	v_mov_b32_e32 v11, 0
	s_mov_b32 s0, 0
	s_delay_alu instid0(VALU_DEP_1)
	v_mov_b32_e32 v12, v11
	global_store_b128 v[2:3], v[9:12], off
.LBB296_1734:
	s_and_not1_b32 vcc_lo, exec_lo, s0
	s_cbranch_vccnz .LBB296_1736
; %bb.1735:
	v_cvt_f32_i32_e32 v9, v0
	v_mov_b32_e32 v10, 0
	global_store_b64 v[2:3], v[9:10], off
.LBB296_1736:
	s_mov_b32 s0, 0
.LBB296_1737:
	s_delay_alu instid0(SALU_CYCLE_1)
	s_and_not1_b32 vcc_lo, exec_lo, s0
	s_cbranch_vccnz .LBB296_1739
; %bb.1738:
	v_cvt_f32_i32_e32 v1, v0
	s_delay_alu instid0(VALU_DEP_1) | instskip(NEXT) | instid1(VALU_DEP_1)
	v_cvt_f16_f32_e32 v1, v1
	v_and_b32_e32 v1, 0xffff, v1
	global_store_b32 v[2:3], v1, off
.LBB296_1739:
	s_mov_b32 s0, 0
.LBB296_1740:
	s_delay_alu instid0(SALU_CYCLE_1)
	s_and_not1_b32 vcc_lo, exec_lo, s0
	s_cbranch_vccnz .LBB296_1749
; %bb.1741:
	v_cmp_gt_i16_e32 vcc_lo, 6, v6
	s_mov_b32 s0, -1
	s_cbranch_vccnz .LBB296_1747
; %bb.1742:
	v_cmp_lt_i16_e32 vcc_lo, 6, v6
	s_cbranch_vccz .LBB296_1744
; %bb.1743:
	v_cvt_f64_i32_e32 v[9:10], v0
	s_mov_b32 s0, 0
	global_store_b64 v[2:3], v[9:10], off
.LBB296_1744:
	s_and_not1_b32 vcc_lo, exec_lo, s0
	s_cbranch_vccnz .LBB296_1746
; %bb.1745:
	v_cvt_f32_i32_e32 v1, v0
	global_store_b32 v[2:3], v1, off
.LBB296_1746:
	s_mov_b32 s0, 0
.LBB296_1747:
	s_delay_alu instid0(SALU_CYCLE_1)
	s_and_not1_b32 vcc_lo, exec_lo, s0
	s_cbranch_vccnz .LBB296_1749
; %bb.1748:
	v_cvt_f32_i32_e32 v1, v0
	s_delay_alu instid0(VALU_DEP_1)
	v_cvt_f16_f32_e32 v1, v1
	global_store_b16 v[2:3], v1, off
.LBB296_1749:
	s_mov_b32 s0, 0
.LBB296_1750:
	s_delay_alu instid0(SALU_CYCLE_1)
	s_and_not1_b32 vcc_lo, exec_lo, s0
	s_cbranch_vccnz .LBB296_1766
; %bb.1751:
	v_cmp_gt_i16_e32 vcc_lo, 2, v6
	s_mov_b32 s0, -1
	s_cbranch_vccnz .LBB296_1761
; %bb.1752:
	v_cmp_gt_i16_e32 vcc_lo, 3, v6
	s_cbranch_vccnz .LBB296_1758
; %bb.1753:
	v_cmp_lt_i16_e32 vcc_lo, 3, v6
	s_cbranch_vccz .LBB296_1755
; %bb.1754:
	v_ashrrev_i32_e32 v1, 31, v0
	s_mov_b32 s0, 0
	global_store_b64 v[2:3], v[0:1], off
.LBB296_1755:
	s_and_not1_b32 vcc_lo, exec_lo, s0
	s_cbranch_vccnz .LBB296_1757
; %bb.1756:
	global_store_b32 v[2:3], v0, off
.LBB296_1757:
	s_mov_b32 s0, 0
.LBB296_1758:
	s_delay_alu instid0(SALU_CYCLE_1)
	s_and_not1_b32 vcc_lo, exec_lo, s0
	s_cbranch_vccnz .LBB296_1760
; %bb.1759:
	global_store_b16 v[2:3], v0, off
.LBB296_1760:
	s_mov_b32 s0, 0
.LBB296_1761:
	s_delay_alu instid0(SALU_CYCLE_1)
	s_and_not1_b32 vcc_lo, exec_lo, s0
	s_cbranch_vccnz .LBB296_1766
; %bb.1762:
	v_cmp_lt_i16_e32 vcc_lo, 0, v6
	s_mov_b32 s0, -1
	s_cbranch_vccz .LBB296_1764
; %bb.1763:
	s_mov_b32 s0, 0
	global_store_b8 v[2:3], v0, off
.LBB296_1764:
	s_and_not1_b32 vcc_lo, exec_lo, s0
	s_cbranch_vccnz .LBB296_1766
; %bb.1765:
	global_store_b8 v[2:3], v0, off
.LBB296_1766:
	s_mov_b32 s7, -1
.LBB296_1767:
	s_delay_alu instid0(SALU_CYCLE_1)
	s_and_not1_b32 vcc_lo, exec_lo, s7
	s_cbranch_vccnz .LBB296_1963
; %bb.1768:
	v_add_nc_u32_e32 v4, s2, v4
	v_cmp_gt_i16_e32 vcc_lo, 11, v6
	v_maxmin_i32 v0, v8, s10, s11
	s_delay_alu instid0(VALU_DEP_3) | instskip(SKIP_1) | instid1(VALU_DEP_1)
	v_ashrrev_i32_e32 v1, 31, v4
	v_add_co_u32 v2, s0, s4, v4
	v_add_co_ci_u32_e64 v3, s0, s5, v1, s0
	s_cbranch_vccnz .LBB296_1846
; %bb.1769:
	v_cmp_lt_i16_e32 vcc_lo, 25, v6
	s_mov_b32 s8, -1
	s_mov_b32 s6, 0
	s_mov_b32 s7, 0
	;; [unrolled: 1-line block ×3, first 2 shown]
	s_cbranch_vccz .LBB296_1802
; %bb.1770:
	v_cmp_lt_i16_e32 vcc_lo, 28, v6
	s_cbranch_vccz .LBB296_1785
; %bb.1771:
	v_cmp_lt_i16_e32 vcc_lo, 43, v6
	;; [unrolled: 3-line block ×3, first 2 shown]
	s_cbranch_vccz .LBB296_1775
; %bb.1773:
	v_cmp_eq_u16_e32 vcc_lo, 46, v6
	s_mov_b32 s0, -1
	s_mov_b32 s8, 0
	s_cbranch_vccz .LBB296_1775
; %bb.1774:
	v_cvt_f32_i32_e32 v1, v0
	s_mov_b32 s0, 0
	s_mov_b32 s7, -1
	s_delay_alu instid0(VALU_DEP_1) | instskip(NEXT) | instid1(VALU_DEP_1)
	v_bfe_u32 v5, v1, 16, 1
	v_add3_u32 v1, v1, v5, 0x7fff
	s_delay_alu instid0(VALU_DEP_1)
	v_lshrrev_b32_e32 v1, 16, v1
	global_store_b32 v[2:3], v1, off
.LBB296_1775:
	s_and_b32 vcc_lo, exec_lo, s8
	s_cbranch_vccz .LBB296_1780
; %bb.1776:
	v_cmp_eq_u16_e32 vcc_lo, 44, v6
	s_mov_b32 s0, -1
	s_cbranch_vccz .LBB296_1780
; %bb.1777:
	v_cvt_f32_i32_e32 v1, v0
	v_mov_b32_e32 v5, 0xff
	s_mov_b32 s7, exec_lo
	s_delay_alu instid0(VALU_DEP_2) | instskip(NEXT) | instid1(VALU_DEP_1)
	v_bfe_u32 v8, v1, 23, 8
	v_cmpx_ne_u32_e32 0xff, v8
; %bb.1778:
	v_and_b32_e32 v5, 0x400000, v1
	v_and_or_b32 v8, 0x3fffff, v1, v8
	v_lshrrev_b32_e32 v1, 23, v1
	s_delay_alu instid0(VALU_DEP_3) | instskip(NEXT) | instid1(VALU_DEP_3)
	v_cmp_ne_u32_e32 vcc_lo, 0, v5
	v_cmp_ne_u32_e64 s0, 0, v8
	s_delay_alu instid0(VALU_DEP_1) | instskip(NEXT) | instid1(SALU_CYCLE_1)
	s_and_b32 s0, vcc_lo, s0
	v_cndmask_b32_e64 v5, 0, 1, s0
	s_delay_alu instid0(VALU_DEP_1)
	v_add_nc_u32_e32 v5, v1, v5
; %bb.1779:
	s_or_b32 exec_lo, exec_lo, s7
	s_mov_b32 s0, 0
	s_mov_b32 s7, -1
	global_store_b8 v[2:3], v5, off
.LBB296_1780:
	s_mov_b32 s8, 0
.LBB296_1781:
	s_delay_alu instid0(SALU_CYCLE_1)
	s_and_b32 vcc_lo, exec_lo, s8
	s_cbranch_vccz .LBB296_1784
; %bb.1782:
	v_cmp_eq_u16_e32 vcc_lo, 29, v6
	s_mov_b32 s0, -1
	s_cbranch_vccz .LBB296_1784
; %bb.1783:
	v_ashrrev_i32_e32 v1, 31, v0
	s_mov_b32 s0, 0
	s_mov_b32 s7, -1
	global_store_b64 v[2:3], v[0:1], off
.LBB296_1784:
	s_mov_b32 s8, 0
.LBB296_1785:
	s_delay_alu instid0(SALU_CYCLE_1)
	s_and_b32 vcc_lo, exec_lo, s8
	s_cbranch_vccz .LBB296_1801
; %bb.1786:
	v_cmp_gt_i16_e32 vcc_lo, 27, v6
	s_mov_b32 s7, -1
	s_cbranch_vccnz .LBB296_1792
; %bb.1787:
	v_cmp_lt_i16_e32 vcc_lo, 27, v6
	s_cbranch_vccz .LBB296_1789
; %bb.1788:
	s_mov_b32 s7, 0
	global_store_b32 v[2:3], v0, off
.LBB296_1789:
	s_and_not1_b32 vcc_lo, exec_lo, s7
	s_cbranch_vccnz .LBB296_1791
; %bb.1790:
	global_store_b16 v[2:3], v0, off
.LBB296_1791:
	s_mov_b32 s7, 0
.LBB296_1792:
	s_delay_alu instid0(SALU_CYCLE_1)
	s_and_not1_b32 vcc_lo, exec_lo, s7
	s_cbranch_vccnz .LBB296_1800
; %bb.1793:
	v_cvt_f32_i32_e32 v1, v0
	v_mov_b32_e32 v8, 0x80
	s_mov_b32 s7, exec_lo
	s_delay_alu instid0(VALU_DEP_2) | instskip(NEXT) | instid1(VALU_DEP_1)
	v_and_b32_e32 v5, 0x7fffffff, v1
	v_cmpx_gt_u32_e32 0x43800000, v5
	s_cbranch_execz .LBB296_1799
; %bb.1794:
	v_cmp_lt_u32_e32 vcc_lo, 0x3bffffff, v5
	s_mov_b32 s8, 0
                                        ; implicit-def: $vgpr5
	s_and_saveexec_b32 s9, vcc_lo
	s_delay_alu instid0(SALU_CYCLE_1)
	s_xor_b32 s9, exec_lo, s9
	s_cbranch_execz .LBB296_2027
; %bb.1795:
	v_bfe_u32 v5, v1, 20, 1
	s_mov_b32 s8, exec_lo
	s_delay_alu instid0(VALU_DEP_1) | instskip(NEXT) | instid1(VALU_DEP_1)
	v_add3_u32 v5, v1, v5, 0x487ffff
	v_lshrrev_b32_e32 v5, 20, v5
	s_or_saveexec_b32 s9, s9
                                        ; implicit-def: $sgpr13
	s_delay_alu instid0(SALU_CYCLE_1)
	s_xor_b32 exec_lo, exec_lo, s9
	s_cbranch_execnz .LBB296_2028
.LBB296_1796:
	s_or_b32 exec_lo, exec_lo, s9
	v_mov_b32_e32 v8, s13
	s_and_saveexec_b32 s9, s8
.LBB296_1797:
	v_lshrrev_b32_e32 v1, 24, v1
	s_delay_alu instid0(VALU_DEP_1)
	v_and_or_b32 v8, 0x80, v1, v5
.LBB296_1798:
	s_or_b32 exec_lo, exec_lo, s9
.LBB296_1799:
	s_delay_alu instid0(SALU_CYCLE_1)
	s_or_b32 exec_lo, exec_lo, s7
	global_store_b8 v[2:3], v8, off
.LBB296_1800:
	s_mov_b32 s7, -1
.LBB296_1801:
	s_mov_b32 s8, 0
.LBB296_1802:
	s_delay_alu instid0(SALU_CYCLE_1)
	s_and_b32 vcc_lo, exec_lo, s8
	s_cbranch_vccz .LBB296_1842
; %bb.1803:
	v_cmp_lt_i16_e32 vcc_lo, 22, v6
	s_mov_b32 s6, -1
	s_cbranch_vccz .LBB296_1835
; %bb.1804:
	v_cmp_gt_i16_e32 vcc_lo, 24, v6
	s_cbranch_vccnz .LBB296_1824
; %bb.1805:
	v_cmp_lt_i16_e32 vcc_lo, 24, v6
	s_cbranch_vccz .LBB296_1813
; %bb.1806:
	v_cvt_f32_i32_e32 v1, v0
	v_mov_b32_e32 v8, 0x80
	s_mov_b32 s6, exec_lo
	s_delay_alu instid0(VALU_DEP_2) | instskip(NEXT) | instid1(VALU_DEP_1)
	v_and_b32_e32 v5, 0x7fffffff, v1
	v_cmpx_gt_u32_e32 0x47800000, v5
	s_cbranch_execz .LBB296_1812
; %bb.1807:
	v_cmp_lt_u32_e32 vcc_lo, 0x37ffffff, v5
	s_mov_b32 s7, 0
                                        ; implicit-def: $vgpr5
	s_and_saveexec_b32 s8, vcc_lo
	s_delay_alu instid0(SALU_CYCLE_1)
	s_xor_b32 s8, exec_lo, s8
	s_cbranch_execz .LBB296_2033
; %bb.1808:
	v_bfe_u32 v5, v1, 21, 1
	s_mov_b32 s7, exec_lo
	s_delay_alu instid0(VALU_DEP_1) | instskip(NEXT) | instid1(VALU_DEP_1)
	v_add3_u32 v5, v1, v5, 0x88fffff
	v_lshrrev_b32_e32 v5, 21, v5
	s_or_saveexec_b32 s8, s8
                                        ; implicit-def: $sgpr9
	s_delay_alu instid0(SALU_CYCLE_1)
	s_xor_b32 exec_lo, exec_lo, s8
	s_cbranch_execnz .LBB296_2034
.LBB296_1809:
	s_or_b32 exec_lo, exec_lo, s8
	v_mov_b32_e32 v8, s9
	s_and_saveexec_b32 s8, s7
.LBB296_1810:
	v_lshrrev_b32_e32 v1, 24, v1
	s_delay_alu instid0(VALU_DEP_1)
	v_and_or_b32 v8, 0x80, v1, v5
.LBB296_1811:
	s_or_b32 exec_lo, exec_lo, s8
.LBB296_1812:
	s_delay_alu instid0(SALU_CYCLE_1)
	s_or_b32 exec_lo, exec_lo, s6
	s_mov_b32 s6, 0
	global_store_b8 v[2:3], v8, off
.LBB296_1813:
	s_and_b32 vcc_lo, exec_lo, s6
	s_cbranch_vccz .LBB296_1823
; %bb.1814:
	v_cvt_f32_i32_e32 v1, v0
	s_mov_b32 s6, exec_lo
                                        ; implicit-def: $vgpr5
	s_delay_alu instid0(VALU_DEP_1) | instskip(NEXT) | instid1(VALU_DEP_1)
	v_and_b32_e32 v8, 0x7fffffff, v1
	v_cmpx_gt_u32_e32 0x43f00000, v8
	s_xor_b32 s6, exec_lo, s6
	s_cbranch_execz .LBB296_1820
; %bb.1815:
	s_mov_b32 s7, exec_lo
                                        ; implicit-def: $vgpr5
	v_cmpx_lt_u32_e32 0x3c7fffff, v8
	s_xor_b32 s7, exec_lo, s7
; %bb.1816:
	v_bfe_u32 v5, v1, 20, 1
	s_delay_alu instid0(VALU_DEP_1) | instskip(NEXT) | instid1(VALU_DEP_1)
	v_add3_u32 v5, v1, v5, 0x407ffff
	v_and_b32_e32 v8, 0xff00000, v5
	v_lshrrev_b32_e32 v5, 20, v5
	s_delay_alu instid0(VALU_DEP_2) | instskip(NEXT) | instid1(VALU_DEP_2)
	v_cmp_ne_u32_e32 vcc_lo, 0x7f00000, v8
	v_cndmask_b32_e32 v5, 0x7e, v5, vcc_lo
; %bb.1817:
	s_and_not1_saveexec_b32 s7, s7
; %bb.1818:
	v_add_f32_e64 v5, 0x46800000, |v1|
; %bb.1819:
	s_or_b32 exec_lo, exec_lo, s7
                                        ; implicit-def: $vgpr8
.LBB296_1820:
	s_and_not1_saveexec_b32 s6, s6
; %bb.1821:
	v_mov_b32_e32 v5, 0x7f
	v_cmp_lt_u32_e32 vcc_lo, 0x7f800000, v8
	s_delay_alu instid0(VALU_DEP_2)
	v_cndmask_b32_e32 v5, 0x7e, v5, vcc_lo
; %bb.1822:
	s_or_b32 exec_lo, exec_lo, s6
	v_lshrrev_b32_e32 v1, 24, v1
	s_delay_alu instid0(VALU_DEP_1)
	v_and_or_b32 v1, 0x80, v1, v5
	global_store_b8 v[2:3], v1, off
.LBB296_1823:
	s_mov_b32 s6, 0
.LBB296_1824:
	s_delay_alu instid0(SALU_CYCLE_1)
	s_and_not1_b32 vcc_lo, exec_lo, s6
	s_cbranch_vccnz .LBB296_1834
; %bb.1825:
	v_cvt_f32_i32_e32 v1, v0
	s_mov_b32 s6, exec_lo
                                        ; implicit-def: $vgpr5
	s_delay_alu instid0(VALU_DEP_1) | instskip(NEXT) | instid1(VALU_DEP_1)
	v_and_b32_e32 v8, 0x7fffffff, v1
	v_cmpx_gt_u32_e32 0x47800000, v8
	s_xor_b32 s6, exec_lo, s6
	s_cbranch_execz .LBB296_1831
; %bb.1826:
	s_mov_b32 s7, exec_lo
                                        ; implicit-def: $vgpr5
	v_cmpx_lt_u32_e32 0x387fffff, v8
	s_xor_b32 s7, exec_lo, s7
; %bb.1827:
	v_bfe_u32 v5, v1, 21, 1
	s_delay_alu instid0(VALU_DEP_1) | instskip(NEXT) | instid1(VALU_DEP_1)
	v_add3_u32 v5, v1, v5, 0x80fffff
	v_lshrrev_b32_e32 v5, 21, v5
; %bb.1828:
	s_and_not1_saveexec_b32 s7, s7
; %bb.1829:
	v_add_f32_e64 v5, 0x43000000, |v1|
; %bb.1830:
	s_or_b32 exec_lo, exec_lo, s7
                                        ; implicit-def: $vgpr8
.LBB296_1831:
	s_and_not1_saveexec_b32 s6, s6
; %bb.1832:
	v_mov_b32_e32 v5, 0x7f
	v_cmp_lt_u32_e32 vcc_lo, 0x7f800000, v8
	s_delay_alu instid0(VALU_DEP_2)
	v_cndmask_b32_e32 v5, 0x7c, v5, vcc_lo
; %bb.1833:
	s_or_b32 exec_lo, exec_lo, s6
	v_lshrrev_b32_e32 v1, 24, v1
	s_delay_alu instid0(VALU_DEP_1)
	v_and_or_b32 v1, 0x80, v1, v5
	global_store_b8 v[2:3], v1, off
.LBB296_1834:
	s_mov_b32 s6, 0
	s_mov_b32 s7, -1
.LBB296_1835:
	s_and_not1_b32 vcc_lo, exec_lo, s6
	s_mov_b32 s6, 0
	s_cbranch_vccnz .LBB296_1842
; %bb.1836:
	v_cmp_lt_i16_e32 vcc_lo, 14, v6
	s_mov_b32 s6, -1
	s_cbranch_vccz .LBB296_1840
; %bb.1837:
	v_cmp_eq_u16_e32 vcc_lo, 15, v6
	s_mov_b32 s0, -1
	s_cbranch_vccz .LBB296_1839
; %bb.1838:
	v_cvt_f32_i32_e32 v1, v0
	s_mov_b32 s0, 0
	s_mov_b32 s7, -1
	s_delay_alu instid0(VALU_DEP_1) | instskip(NEXT) | instid1(VALU_DEP_1)
	v_bfe_u32 v5, v1, 16, 1
	v_add3_u32 v1, v1, v5, 0x7fff
	global_store_d16_hi_b16 v[2:3], v1, off
.LBB296_1839:
	s_mov_b32 s6, 0
.LBB296_1840:
	s_delay_alu instid0(SALU_CYCLE_1)
	s_and_b32 vcc_lo, exec_lo, s6
	s_mov_b32 s6, 0
	s_cbranch_vccz .LBB296_1842
; %bb.1841:
	v_cmp_ne_u16_e64 s0, 11, v6
	s_mov_b32 s6, -1
.LBB296_1842:
	s_delay_alu instid0(VALU_DEP_1)
	s_and_b32 vcc_lo, exec_lo, s0
	s_cbranch_vccnz .LBB296_2031
; %bb.1843:
	s_and_not1_b32 vcc_lo, exec_lo, s6
	s_cbranch_vccnz .LBB296_1845
.LBB296_1844:
	v_cmp_ne_u32_e32 vcc_lo, 0, v0
	s_mov_b32 s7, -1
	v_cndmask_b32_e64 v1, 0, 1, vcc_lo
	global_store_b8 v[2:3], v1, off
.LBB296_1845:
	s_mov_b32 s0, 0
	s_branch .LBB296_1847
.LBB296_1846:
	s_mov_b32 s0, -1
	s_mov_b32 s7, 0
.LBB296_1847:
	s_and_b32 vcc_lo, exec_lo, s0
	s_cbranch_vccz .LBB296_1886
; %bb.1848:
	v_cmp_gt_i16_e32 vcc_lo, 5, v6
	s_mov_b32 s0, -1
	s_cbranch_vccnz .LBB296_1869
; %bb.1849:
	v_cmp_gt_i16_e32 vcc_lo, 8, v6
	s_cbranch_vccnz .LBB296_1859
; %bb.1850:
	v_cmp_gt_i16_e32 vcc_lo, 9, v6
	s_cbranch_vccnz .LBB296_1856
; %bb.1851:
	v_cmp_lt_i16_e32 vcc_lo, 9, v6
	s_cbranch_vccz .LBB296_1853
; %bb.1852:
	v_cvt_f64_i32_e32 v[8:9], v0
	v_mov_b32_e32 v10, 0
	s_mov_b32 s0, 0
	s_delay_alu instid0(VALU_DEP_1)
	v_mov_b32_e32 v11, v10
	global_store_b128 v[2:3], v[8:11], off
.LBB296_1853:
	s_and_not1_b32 vcc_lo, exec_lo, s0
	s_cbranch_vccnz .LBB296_1855
; %bb.1854:
	v_cvt_f32_i32_e32 v8, v0
	v_mov_b32_e32 v9, 0
	global_store_b64 v[2:3], v[8:9], off
.LBB296_1855:
	s_mov_b32 s0, 0
.LBB296_1856:
	s_delay_alu instid0(SALU_CYCLE_1)
	s_and_not1_b32 vcc_lo, exec_lo, s0
	s_cbranch_vccnz .LBB296_1858
; %bb.1857:
	v_cvt_f32_i32_e32 v1, v0
	s_delay_alu instid0(VALU_DEP_1) | instskip(NEXT) | instid1(VALU_DEP_1)
	v_cvt_f16_f32_e32 v1, v1
	v_and_b32_e32 v1, 0xffff, v1
	global_store_b32 v[2:3], v1, off
.LBB296_1858:
	s_mov_b32 s0, 0
.LBB296_1859:
	s_delay_alu instid0(SALU_CYCLE_1)
	s_and_not1_b32 vcc_lo, exec_lo, s0
	s_cbranch_vccnz .LBB296_1868
; %bb.1860:
	v_cmp_gt_i16_e32 vcc_lo, 6, v6
	s_mov_b32 s0, -1
	s_cbranch_vccnz .LBB296_1866
; %bb.1861:
	v_cmp_lt_i16_e32 vcc_lo, 6, v6
	s_cbranch_vccz .LBB296_1863
; %bb.1862:
	v_cvt_f64_i32_e32 v[8:9], v0
	s_mov_b32 s0, 0
	global_store_b64 v[2:3], v[8:9], off
.LBB296_1863:
	s_and_not1_b32 vcc_lo, exec_lo, s0
	s_cbranch_vccnz .LBB296_1865
; %bb.1864:
	v_cvt_f32_i32_e32 v1, v0
	global_store_b32 v[2:3], v1, off
.LBB296_1865:
	s_mov_b32 s0, 0
.LBB296_1866:
	s_delay_alu instid0(SALU_CYCLE_1)
	s_and_not1_b32 vcc_lo, exec_lo, s0
	s_cbranch_vccnz .LBB296_1868
; %bb.1867:
	v_cvt_f32_i32_e32 v1, v0
	s_delay_alu instid0(VALU_DEP_1)
	v_cvt_f16_f32_e32 v1, v1
	global_store_b16 v[2:3], v1, off
.LBB296_1868:
	s_mov_b32 s0, 0
.LBB296_1869:
	s_delay_alu instid0(SALU_CYCLE_1)
	s_and_not1_b32 vcc_lo, exec_lo, s0
	s_cbranch_vccnz .LBB296_1885
; %bb.1870:
	v_cmp_gt_i16_e32 vcc_lo, 2, v6
	s_mov_b32 s0, -1
	s_cbranch_vccnz .LBB296_1880
; %bb.1871:
	v_cmp_gt_i16_e32 vcc_lo, 3, v6
	s_cbranch_vccnz .LBB296_1877
; %bb.1872:
	v_cmp_lt_i16_e32 vcc_lo, 3, v6
	s_cbranch_vccz .LBB296_1874
; %bb.1873:
	v_ashrrev_i32_e32 v1, 31, v0
	s_mov_b32 s0, 0
	global_store_b64 v[2:3], v[0:1], off
.LBB296_1874:
	s_and_not1_b32 vcc_lo, exec_lo, s0
	s_cbranch_vccnz .LBB296_1876
; %bb.1875:
	global_store_b32 v[2:3], v0, off
.LBB296_1876:
	s_mov_b32 s0, 0
.LBB296_1877:
	s_delay_alu instid0(SALU_CYCLE_1)
	s_and_not1_b32 vcc_lo, exec_lo, s0
	s_cbranch_vccnz .LBB296_1879
; %bb.1878:
	global_store_b16 v[2:3], v0, off
.LBB296_1879:
	s_mov_b32 s0, 0
.LBB296_1880:
	s_delay_alu instid0(SALU_CYCLE_1)
	s_and_not1_b32 vcc_lo, exec_lo, s0
	s_cbranch_vccnz .LBB296_1885
; %bb.1881:
	v_cmp_lt_i16_e32 vcc_lo, 0, v6
	s_mov_b32 s0, -1
	s_cbranch_vccz .LBB296_1883
; %bb.1882:
	s_mov_b32 s0, 0
	global_store_b8 v[2:3], v0, off
.LBB296_1883:
	s_and_not1_b32 vcc_lo, exec_lo, s0
	s_cbranch_vccnz .LBB296_1885
; %bb.1884:
	global_store_b8 v[2:3], v0, off
.LBB296_1885:
	s_mov_b32 s7, -1
.LBB296_1886:
	s_delay_alu instid0(SALU_CYCLE_1)
	s_and_not1_b32 vcc_lo, exec_lo, s7
	s_cbranch_vccnz .LBB296_1963
; %bb.1887:
	v_add_nc_u32_e32 v0, s2, v4
	v_cmp_gt_i16_e32 vcc_lo, 11, v6
	v_maxmin_i32 v2, v7, s10, s11
	s_delay_alu instid0(VALU_DEP_3) | instskip(SKIP_1) | instid1(VALU_DEP_1)
	v_ashrrev_i32_e32 v1, 31, v0
	v_add_co_u32 v0, s0, s4, v0
	v_add_co_ci_u32_e64 v1, s0, s5, v1, s0
	s_cbranch_vccnz .LBB296_2008
; %bb.1888:
	v_cmp_lt_i16_e32 vcc_lo, 25, v6
	s_mov_b32 s4, -1
	s_mov_b32 s2, 0
	s_mov_b32 s0, 0
	s_cbranch_vccz .LBB296_1921
; %bb.1889:
	v_cmp_lt_i16_e32 vcc_lo, 28, v6
	s_cbranch_vccz .LBB296_1905
; %bb.1890:
	v_cmp_lt_i16_e32 vcc_lo, 43, v6
	;; [unrolled: 3-line block ×3, first 2 shown]
	s_cbranch_vccz .LBB296_1895
; %bb.1892:
	v_cmp_eq_u16_e32 vcc_lo, 46, v6
	s_mov_b32 s0, -1
	s_cbranch_vccz .LBB296_1894
; %bb.1893:
	v_cvt_f32_i32_e32 v3, v2
	s_mov_b32 s0, 0
	s_delay_alu instid0(VALU_DEP_1) | instskip(NEXT) | instid1(VALU_DEP_1)
	v_bfe_u32 v4, v3, 16, 1
	v_add3_u32 v3, v3, v4, 0x7fff
	s_delay_alu instid0(VALU_DEP_1)
	v_lshrrev_b32_e32 v3, 16, v3
	global_store_b32 v[0:1], v3, off
.LBB296_1894:
	s_mov_b32 s4, 0
.LBB296_1895:
	s_delay_alu instid0(SALU_CYCLE_1)
	s_and_b32 vcc_lo, exec_lo, s4
	s_cbranch_vccz .LBB296_1900
; %bb.1896:
	v_cmp_eq_u16_e32 vcc_lo, 44, v6
	s_mov_b32 s0, -1
	s_cbranch_vccz .LBB296_1900
; %bb.1897:
	v_cvt_f32_i32_e32 v3, v2
	v_mov_b32_e32 v4, 0xff
	s_mov_b32 s4, exec_lo
	s_delay_alu instid0(VALU_DEP_2) | instskip(NEXT) | instid1(VALU_DEP_1)
	v_bfe_u32 v5, v3, 23, 8
	v_cmpx_ne_u32_e32 0xff, v5
; %bb.1898:
	v_and_b32_e32 v4, 0x400000, v3
	v_and_or_b32 v5, 0x3fffff, v3, v5
	v_lshrrev_b32_e32 v3, 23, v3
	s_delay_alu instid0(VALU_DEP_3) | instskip(NEXT) | instid1(VALU_DEP_3)
	v_cmp_ne_u32_e32 vcc_lo, 0, v4
	v_cmp_ne_u32_e64 s0, 0, v5
	s_delay_alu instid0(VALU_DEP_1) | instskip(NEXT) | instid1(SALU_CYCLE_1)
	s_and_b32 s0, vcc_lo, s0
	v_cndmask_b32_e64 v4, 0, 1, s0
	s_delay_alu instid0(VALU_DEP_1)
	v_add_nc_u32_e32 v4, v3, v4
; %bb.1899:
	s_or_b32 exec_lo, exec_lo, s4
	s_mov_b32 s0, 0
	global_store_b8 v[0:1], v4, off
.LBB296_1900:
	s_mov_b32 s4, 0
.LBB296_1901:
	s_delay_alu instid0(SALU_CYCLE_1)
	s_and_b32 vcc_lo, exec_lo, s4
	s_cbranch_vccz .LBB296_1904
; %bb.1902:
	v_cmp_eq_u16_e32 vcc_lo, 29, v6
	s_mov_b32 s0, -1
	s_cbranch_vccz .LBB296_1904
; %bb.1903:
	v_ashrrev_i32_e32 v3, 31, v2
	s_mov_b32 s0, 0
	global_store_b64 v[0:1], v[2:3], off
.LBB296_1904:
	s_mov_b32 s4, 0
.LBB296_1905:
	s_delay_alu instid0(SALU_CYCLE_1)
	s_and_b32 vcc_lo, exec_lo, s4
	s_cbranch_vccz .LBB296_1920
; %bb.1906:
	v_cmp_gt_i16_e32 vcc_lo, 27, v6
	s_mov_b32 s4, -1
	s_cbranch_vccnz .LBB296_1912
; %bb.1907:
	v_cmp_lt_i16_e32 vcc_lo, 27, v6
	s_cbranch_vccz .LBB296_1909
; %bb.1908:
	s_mov_b32 s4, 0
	global_store_b32 v[0:1], v2, off
.LBB296_1909:
	s_and_not1_b32 vcc_lo, exec_lo, s4
	s_cbranch_vccnz .LBB296_1911
; %bb.1910:
	global_store_b16 v[0:1], v2, off
.LBB296_1911:
	s_mov_b32 s4, 0
.LBB296_1912:
	s_delay_alu instid0(SALU_CYCLE_1)
	s_and_not1_b32 vcc_lo, exec_lo, s4
	s_cbranch_vccnz .LBB296_1920
; %bb.1913:
	v_cvt_f32_i32_e32 v3, v2
	v_mov_b32_e32 v5, 0x80
	s_mov_b32 s4, exec_lo
	s_delay_alu instid0(VALU_DEP_2) | instskip(NEXT) | instid1(VALU_DEP_1)
	v_and_b32_e32 v4, 0x7fffffff, v3
	v_cmpx_gt_u32_e32 0x43800000, v4
	s_cbranch_execz .LBB296_1919
; %bb.1914:
	v_cmp_lt_u32_e32 vcc_lo, 0x3bffffff, v4
	s_mov_b32 s5, 0
                                        ; implicit-def: $vgpr4
	s_and_saveexec_b32 s6, vcc_lo
	s_delay_alu instid0(SALU_CYCLE_1)
	s_xor_b32 s6, exec_lo, s6
	s_cbranch_execz .LBB296_2035
; %bb.1915:
	v_bfe_u32 v4, v3, 20, 1
	s_mov_b32 s5, exec_lo
	s_delay_alu instid0(VALU_DEP_1) | instskip(NEXT) | instid1(VALU_DEP_1)
	v_add3_u32 v4, v3, v4, 0x487ffff
	v_lshrrev_b32_e32 v4, 20, v4
	s_or_saveexec_b32 s6, s6
                                        ; implicit-def: $sgpr7
	s_delay_alu instid0(SALU_CYCLE_1)
	s_xor_b32 exec_lo, exec_lo, s6
	s_cbranch_execnz .LBB296_2036
.LBB296_1916:
	s_or_b32 exec_lo, exec_lo, s6
	v_mov_b32_e32 v5, s7
	s_and_saveexec_b32 s6, s5
.LBB296_1917:
	v_lshrrev_b32_e32 v3, 24, v3
	s_delay_alu instid0(VALU_DEP_1)
	v_and_or_b32 v5, 0x80, v3, v4
.LBB296_1918:
	s_or_b32 exec_lo, exec_lo, s6
.LBB296_1919:
	s_delay_alu instid0(SALU_CYCLE_1)
	s_or_b32 exec_lo, exec_lo, s4
	global_store_b8 v[0:1], v5, off
.LBB296_1920:
	s_mov_b32 s4, 0
.LBB296_1921:
	s_delay_alu instid0(SALU_CYCLE_1)
	s_and_b32 vcc_lo, exec_lo, s4
	s_cbranch_vccz .LBB296_1961
; %bb.1922:
	v_cmp_lt_i16_e32 vcc_lo, 22, v6
	s_mov_b32 s2, -1
	s_cbranch_vccz .LBB296_1954
; %bb.1923:
	v_cmp_gt_i16_e32 vcc_lo, 24, v6
	s_cbranch_vccnz .LBB296_1943
; %bb.1924:
	v_cmp_lt_i16_e32 vcc_lo, 24, v6
	s_cbranch_vccz .LBB296_1932
; %bb.1925:
	v_cvt_f32_i32_e32 v3, v2
	v_mov_b32_e32 v5, 0x80
	s_mov_b32 s2, exec_lo
	s_delay_alu instid0(VALU_DEP_2) | instskip(NEXT) | instid1(VALU_DEP_1)
	v_and_b32_e32 v4, 0x7fffffff, v3
	v_cmpx_gt_u32_e32 0x47800000, v4
	s_cbranch_execz .LBB296_1931
; %bb.1926:
	v_cmp_lt_u32_e32 vcc_lo, 0x37ffffff, v4
	s_mov_b32 s4, 0
                                        ; implicit-def: $vgpr4
	s_and_saveexec_b32 s5, vcc_lo
	s_delay_alu instid0(SALU_CYCLE_1)
	s_xor_b32 s5, exec_lo, s5
	s_cbranch_execz .LBB296_2041
; %bb.1927:
	v_bfe_u32 v4, v3, 21, 1
	s_mov_b32 s4, exec_lo
	s_delay_alu instid0(VALU_DEP_1) | instskip(NEXT) | instid1(VALU_DEP_1)
	v_add3_u32 v4, v3, v4, 0x88fffff
	v_lshrrev_b32_e32 v4, 21, v4
	s_or_saveexec_b32 s5, s5
                                        ; implicit-def: $sgpr6
	s_delay_alu instid0(SALU_CYCLE_1)
	s_xor_b32 exec_lo, exec_lo, s5
	s_cbranch_execnz .LBB296_2042
.LBB296_1928:
	s_or_b32 exec_lo, exec_lo, s5
	v_mov_b32_e32 v5, s6
	s_and_saveexec_b32 s5, s4
.LBB296_1929:
	v_lshrrev_b32_e32 v3, 24, v3
	s_delay_alu instid0(VALU_DEP_1)
	v_and_or_b32 v5, 0x80, v3, v4
.LBB296_1930:
	s_or_b32 exec_lo, exec_lo, s5
.LBB296_1931:
	s_delay_alu instid0(SALU_CYCLE_1)
	s_or_b32 exec_lo, exec_lo, s2
	s_mov_b32 s2, 0
	global_store_b8 v[0:1], v5, off
.LBB296_1932:
	s_and_b32 vcc_lo, exec_lo, s2
	s_cbranch_vccz .LBB296_1942
; %bb.1933:
	v_cvt_f32_i32_e32 v3, v2
	s_mov_b32 s2, exec_lo
                                        ; implicit-def: $vgpr4
	s_delay_alu instid0(VALU_DEP_1) | instskip(NEXT) | instid1(VALU_DEP_1)
	v_and_b32_e32 v5, 0x7fffffff, v3
	v_cmpx_gt_u32_e32 0x43f00000, v5
	s_xor_b32 s2, exec_lo, s2
	s_cbranch_execz .LBB296_1939
; %bb.1934:
	s_mov_b32 s4, exec_lo
                                        ; implicit-def: $vgpr4
	v_cmpx_lt_u32_e32 0x3c7fffff, v5
	s_xor_b32 s4, exec_lo, s4
; %bb.1935:
	v_bfe_u32 v4, v3, 20, 1
	s_delay_alu instid0(VALU_DEP_1) | instskip(NEXT) | instid1(VALU_DEP_1)
	v_add3_u32 v4, v3, v4, 0x407ffff
	v_and_b32_e32 v5, 0xff00000, v4
	v_lshrrev_b32_e32 v4, 20, v4
	s_delay_alu instid0(VALU_DEP_2) | instskip(NEXT) | instid1(VALU_DEP_2)
	v_cmp_ne_u32_e32 vcc_lo, 0x7f00000, v5
	v_cndmask_b32_e32 v4, 0x7e, v4, vcc_lo
; %bb.1936:
	s_and_not1_saveexec_b32 s4, s4
; %bb.1937:
	v_add_f32_e64 v4, 0x46800000, |v3|
; %bb.1938:
	s_or_b32 exec_lo, exec_lo, s4
                                        ; implicit-def: $vgpr5
.LBB296_1939:
	s_and_not1_saveexec_b32 s2, s2
; %bb.1940:
	v_mov_b32_e32 v4, 0x7f
	v_cmp_lt_u32_e32 vcc_lo, 0x7f800000, v5
	s_delay_alu instid0(VALU_DEP_2)
	v_cndmask_b32_e32 v4, 0x7e, v4, vcc_lo
; %bb.1941:
	s_or_b32 exec_lo, exec_lo, s2
	v_lshrrev_b32_e32 v3, 24, v3
	s_delay_alu instid0(VALU_DEP_1)
	v_and_or_b32 v3, 0x80, v3, v4
	global_store_b8 v[0:1], v3, off
.LBB296_1942:
	s_mov_b32 s2, 0
.LBB296_1943:
	s_delay_alu instid0(SALU_CYCLE_1)
	s_and_not1_b32 vcc_lo, exec_lo, s2
	s_cbranch_vccnz .LBB296_1953
; %bb.1944:
	v_cvt_f32_i32_e32 v3, v2
	s_mov_b32 s2, exec_lo
                                        ; implicit-def: $vgpr4
	s_delay_alu instid0(VALU_DEP_1) | instskip(NEXT) | instid1(VALU_DEP_1)
	v_and_b32_e32 v5, 0x7fffffff, v3
	v_cmpx_gt_u32_e32 0x47800000, v5
	s_xor_b32 s2, exec_lo, s2
	s_cbranch_execz .LBB296_1950
; %bb.1945:
	s_mov_b32 s4, exec_lo
                                        ; implicit-def: $vgpr4
	v_cmpx_lt_u32_e32 0x387fffff, v5
	s_xor_b32 s4, exec_lo, s4
; %bb.1946:
	v_bfe_u32 v4, v3, 21, 1
	s_delay_alu instid0(VALU_DEP_1) | instskip(NEXT) | instid1(VALU_DEP_1)
	v_add3_u32 v4, v3, v4, 0x80fffff
	v_lshrrev_b32_e32 v4, 21, v4
; %bb.1947:
	s_and_not1_saveexec_b32 s4, s4
; %bb.1948:
	v_add_f32_e64 v4, 0x43000000, |v3|
; %bb.1949:
	s_or_b32 exec_lo, exec_lo, s4
                                        ; implicit-def: $vgpr5
.LBB296_1950:
	s_and_not1_saveexec_b32 s2, s2
; %bb.1951:
	v_mov_b32_e32 v4, 0x7f
	v_cmp_lt_u32_e32 vcc_lo, 0x7f800000, v5
	s_delay_alu instid0(VALU_DEP_2)
	v_cndmask_b32_e32 v4, 0x7c, v4, vcc_lo
; %bb.1952:
	s_or_b32 exec_lo, exec_lo, s2
	v_lshrrev_b32_e32 v3, 24, v3
	s_delay_alu instid0(VALU_DEP_1)
	v_and_or_b32 v3, 0x80, v3, v4
	global_store_b8 v[0:1], v3, off
.LBB296_1953:
	s_mov_b32 s2, 0
.LBB296_1954:
	s_delay_alu instid0(SALU_CYCLE_1)
	s_and_not1_b32 vcc_lo, exec_lo, s2
	s_mov_b32 s2, 0
	s_cbranch_vccnz .LBB296_1961
; %bb.1955:
	v_cmp_lt_i16_e32 vcc_lo, 14, v6
	s_mov_b32 s2, -1
	s_cbranch_vccz .LBB296_1959
; %bb.1956:
	v_cmp_eq_u16_e32 vcc_lo, 15, v6
	s_mov_b32 s0, -1
	s_cbranch_vccz .LBB296_1958
; %bb.1957:
	v_cvt_f32_i32_e32 v3, v2
	s_mov_b32 s0, 0
	s_delay_alu instid0(VALU_DEP_1) | instskip(NEXT) | instid1(VALU_DEP_1)
	v_bfe_u32 v4, v3, 16, 1
	v_add3_u32 v3, v3, v4, 0x7fff
	global_store_d16_hi_b16 v[0:1], v3, off
.LBB296_1958:
	s_mov_b32 s2, 0
.LBB296_1959:
	s_delay_alu instid0(SALU_CYCLE_1)
	s_and_b32 vcc_lo, exec_lo, s2
	s_mov_b32 s2, 0
	s_cbranch_vccz .LBB296_1961
; %bb.1960:
	v_cmp_ne_u16_e64 s0, 11, v6
	s_mov_b32 s2, -1
.LBB296_1961:
	s_delay_alu instid0(VALU_DEP_1)
	s_and_b32 vcc_lo, exec_lo, s0
	s_cbranch_vccnz .LBB296_2039
.LBB296_1962:
	s_mov_b32 s0, 0
	s_branch .LBB296_1964
.LBB296_1963:
	s_mov_b32 s0, 0
	s_mov_b32 s2, 0
                                        ; implicit-def: $vgpr6
                                        ; implicit-def: $vgpr0_vgpr1
                                        ; implicit-def: $vgpr2
.LBB296_1964:
	s_and_not1_b32 s4, s12, exec_lo
	s_and_b32 s5, s1, exec_lo
	s_and_b32 s0, s0, exec_lo
	;; [unrolled: 1-line block ×3, first 2 shown]
	s_or_b32 s12, s4, s5
.LBB296_1965:
	s_or_b32 exec_lo, exec_lo, s3
	s_and_saveexec_b32 s2, s12
	s_cbranch_execz .LBB296_1968
; %bb.1966:
	; divergent unreachable
	s_or_b32 exec_lo, exec_lo, s2
	s_and_saveexec_b32 s2, s1
	s_delay_alu instid0(SALU_CYCLE_1)
	s_xor_b32 s1, exec_lo, s2
	s_cbranch_execnz .LBB296_1969
.LBB296_1967:
	s_or_b32 exec_lo, exec_lo, s1
	s_and_saveexec_b32 s1, s0
	s_cbranch_execnz .LBB296_1970
	s_branch .LBB296_2007
.LBB296_1968:
	s_or_b32 exec_lo, exec_lo, s2
	s_and_saveexec_b32 s2, s1
	s_delay_alu instid0(SALU_CYCLE_1)
	s_xor_b32 s1, exec_lo, s2
	s_cbranch_execz .LBB296_1967
.LBB296_1969:
	s_waitcnt vmcnt(0)
	v_cmp_ne_u32_e32 vcc_lo, 0, v2
	v_cndmask_b32_e64 v3, 0, 1, vcc_lo
	global_store_b8 v[0:1], v3, off
	s_or_b32 exec_lo, exec_lo, s1
	s_and_saveexec_b32 s1, s0
	s_cbranch_execz .LBB296_2007
.LBB296_1970:
	s_waitcnt vmcnt(0)
	v_cmp_gt_i16_e32 vcc_lo, 5, v6
	s_mov_b32 s0, -1
	s_cbranch_vccnz .LBB296_1991
; %bb.1971:
	v_cmp_gt_i16_e32 vcc_lo, 8, v6
	s_cbranch_vccnz .LBB296_1981
; %bb.1972:
	v_cmp_gt_i16_e32 vcc_lo, 9, v6
	s_cbranch_vccnz .LBB296_1978
; %bb.1973:
	v_cmp_lt_i16_e32 vcc_lo, 9, v6
	s_cbranch_vccz .LBB296_1975
; %bb.1974:
	v_cvt_f64_i32_e32 v[7:8], v2
	v_mov_b32_e32 v9, 0
	s_mov_b32 s0, 0
	s_delay_alu instid0(VALU_DEP_1)
	v_mov_b32_e32 v10, v9
	global_store_b128 v[0:1], v[7:10], off
.LBB296_1975:
	s_and_not1_b32 vcc_lo, exec_lo, s0
	s_cbranch_vccnz .LBB296_1977
; %bb.1976:
	v_cvt_f32_i32_e32 v3, v2
	v_mov_b32_e32 v4, 0
	global_store_b64 v[0:1], v[3:4], off
.LBB296_1977:
	s_mov_b32 s0, 0
.LBB296_1978:
	s_delay_alu instid0(SALU_CYCLE_1)
	s_and_not1_b32 vcc_lo, exec_lo, s0
	s_cbranch_vccnz .LBB296_1980
; %bb.1979:
	v_cvt_f32_i32_e32 v3, v2
	s_delay_alu instid0(VALU_DEP_1) | instskip(NEXT) | instid1(VALU_DEP_1)
	v_cvt_f16_f32_e32 v3, v3
	v_and_b32_e32 v3, 0xffff, v3
	global_store_b32 v[0:1], v3, off
.LBB296_1980:
	s_mov_b32 s0, 0
.LBB296_1981:
	s_delay_alu instid0(SALU_CYCLE_1)
	s_and_not1_b32 vcc_lo, exec_lo, s0
	s_cbranch_vccnz .LBB296_1990
; %bb.1982:
	v_cmp_gt_i16_e32 vcc_lo, 6, v6
	s_mov_b32 s0, -1
	s_cbranch_vccnz .LBB296_1988
; %bb.1983:
	v_cmp_lt_i16_e32 vcc_lo, 6, v6
	s_cbranch_vccz .LBB296_1985
; %bb.1984:
	v_cvt_f64_i32_e32 v[3:4], v2
	s_mov_b32 s0, 0
	global_store_b64 v[0:1], v[3:4], off
.LBB296_1985:
	s_and_not1_b32 vcc_lo, exec_lo, s0
	s_cbranch_vccnz .LBB296_1987
; %bb.1986:
	v_cvt_f32_i32_e32 v3, v2
	global_store_b32 v[0:1], v3, off
.LBB296_1987:
	s_mov_b32 s0, 0
.LBB296_1988:
	s_delay_alu instid0(SALU_CYCLE_1)
	s_and_not1_b32 vcc_lo, exec_lo, s0
	s_cbranch_vccnz .LBB296_1990
; %bb.1989:
	v_cvt_f32_i32_e32 v3, v2
	s_delay_alu instid0(VALU_DEP_1)
	v_cvt_f16_f32_e32 v3, v3
	global_store_b16 v[0:1], v3, off
.LBB296_1990:
	s_mov_b32 s0, 0
.LBB296_1991:
	s_delay_alu instid0(SALU_CYCLE_1)
	s_and_not1_b32 vcc_lo, exec_lo, s0
	s_cbranch_vccnz .LBB296_2007
; %bb.1992:
	v_cmp_gt_i16_e32 vcc_lo, 2, v6
	s_mov_b32 s0, -1
	s_cbranch_vccnz .LBB296_2002
; %bb.1993:
	v_cmp_gt_i16_e32 vcc_lo, 3, v6
	s_cbranch_vccnz .LBB296_1999
; %bb.1994:
	v_cmp_lt_i16_e32 vcc_lo, 3, v6
	s_cbranch_vccz .LBB296_1996
; %bb.1995:
	v_ashrrev_i32_e32 v3, 31, v2
	s_mov_b32 s0, 0
	global_store_b64 v[0:1], v[2:3], off
.LBB296_1996:
	s_and_not1_b32 vcc_lo, exec_lo, s0
	s_cbranch_vccnz .LBB296_1998
; %bb.1997:
	global_store_b32 v[0:1], v2, off
.LBB296_1998:
	s_mov_b32 s0, 0
.LBB296_1999:
	s_delay_alu instid0(SALU_CYCLE_1)
	s_and_not1_b32 vcc_lo, exec_lo, s0
	s_cbranch_vccnz .LBB296_2001
; %bb.2000:
	global_store_b16 v[0:1], v2, off
.LBB296_2001:
	s_mov_b32 s0, 0
.LBB296_2002:
	s_delay_alu instid0(SALU_CYCLE_1)
	s_and_not1_b32 vcc_lo, exec_lo, s0
	s_cbranch_vccnz .LBB296_2007
; %bb.2003:
	v_cmp_lt_i16_e32 vcc_lo, 0, v6
	s_mov_b32 s0, -1
	s_cbranch_vccz .LBB296_2005
; %bb.2004:
	s_mov_b32 s0, 0
	global_store_b8 v[0:1], v2, off
.LBB296_2005:
	s_and_not1_b32 vcc_lo, exec_lo, s0
	s_cbranch_vccnz .LBB296_2007
; %bb.2006:
	global_store_b8 v[0:1], v2, off
	s_nop 0
	s_sendmsg sendmsg(MSG_DEALLOC_VGPRS)
	s_endpgm
.LBB296_2007:
	s_nop 0
	s_sendmsg sendmsg(MSG_DEALLOC_VGPRS)
	s_endpgm
.LBB296_2008:
	s_mov_b32 s2, 0
	s_mov_b32 s0, -1
	s_branch .LBB296_1964
.LBB296_2009:
	s_cbranch_execnz .LBB296_2013
; %bb.2010:
	s_or_b32 s1, s1, exec_lo
                                        ; implicit-def: $vgpr7
	s_cbranch_execz .LBB296_1478
	s_branch .LBB296_1479
.LBB296_2011:
	s_or_saveexec_b32 s9, s9
                                        ; implicit-def: $sgpr13
	s_delay_alu instid0(SALU_CYCLE_1)
	s_xor_b32 exec_lo, exec_lo, s9
	s_cbranch_execz .LBB296_1558
.LBB296_2012:
	v_add_f32_e64 v5, 0x46000000, |v1|
	s_and_not1_b32 s7, s7, exec_lo
	s_mov_b32 s13, 0
	s_delay_alu instid0(VALU_DEP_1) | instskip(NEXT) | instid1(VALU_DEP_1)
	v_and_b32_e32 v5, 0xff, v5
	v_cmp_ne_u32_e32 vcc_lo, 0, v5
	s_and_b32 s14, vcc_lo, exec_lo
	s_delay_alu instid0(SALU_CYCLE_1)
	s_or_b32 s7, s7, s14
	s_or_b32 exec_lo, exec_lo, s9
	v_mov_b32_e32 v10, s13
	s_and_saveexec_b32 s9, s7
	s_cbranch_execnz .LBB296_1559
	s_branch .LBB296_1560
.LBB296_2013:
	s_trap 2
	s_sendmsg_rtn_b32 s0, sendmsg(MSG_RTN_GET_DOORBELL)
	s_mov_b32 ttmp2, m0
	s_waitcnt lgkmcnt(0)
	s_and_b32 s0, s0, 0x3ff
	s_delay_alu instid0(SALU_CYCLE_1) | instskip(NEXT) | instid1(SALU_CYCLE_1)
	s_bitset1_b32 s0, 10
	s_mov_b32 m0, s0
	s_sendmsg sendmsg(MSG_INTERRUPT)
	s_mov_b32 m0, ttmp2
.LBB296_2014:                           ; =>This Inner Loop Header: Depth=1
	s_sethalt 5
	s_branch .LBB296_2014
.LBB296_2015:
	s_cbranch_execnz .LBB296_2021
; %bb.2016:
	s_or_b32 s1, s1, exec_lo
	s_cbranch_execz .LBB296_1606
	s_branch .LBB296_1607
.LBB296_2017:
	s_or_saveexec_b32 s7, s7
                                        ; implicit-def: $sgpr9
	s_delay_alu instid0(SALU_CYCLE_1)
	s_xor_b32 exec_lo, exec_lo, s7
	s_cbranch_execz .LBB296_1571
.LBB296_2018:
	v_add_f32_e64 v5, 0x42800000, |v1|
	s_and_not1_b32 s6, s6, exec_lo
	s_mov_b32 s9, 0
	s_delay_alu instid0(VALU_DEP_1) | instskip(NEXT) | instid1(VALU_DEP_1)
	v_and_b32_e32 v5, 0xff, v5
	v_cmp_ne_u32_e32 vcc_lo, 0, v5
	s_and_b32 s13, vcc_lo, exec_lo
	s_delay_alu instid0(SALU_CYCLE_1)
	s_or_b32 s6, s6, s13
	s_or_b32 exec_lo, exec_lo, s7
	v_mov_b32_e32 v10, s9
	s_and_saveexec_b32 s7, s6
	s_cbranch_execnz .LBB296_1572
	s_branch .LBB296_1573
.LBB296_2019:
	s_or_saveexec_b32 s9, s9
                                        ; implicit-def: $sgpr13
	s_delay_alu instid0(SALU_CYCLE_1)
	s_xor_b32 exec_lo, exec_lo, s9
	s_cbranch_execz .LBB296_1677
.LBB296_2020:
	v_add_f32_e64 v5, 0x46000000, |v1|
	s_and_not1_b32 s8, s8, exec_lo
	s_mov_b32 s13, 0
	s_delay_alu instid0(VALU_DEP_1) | instskip(NEXT) | instid1(VALU_DEP_1)
	v_and_b32_e32 v5, 0xff, v5
	v_cmp_ne_u32_e32 vcc_lo, 0, v5
	s_and_b32 s14, vcc_lo, exec_lo
	s_delay_alu instid0(SALU_CYCLE_1)
	s_or_b32 s8, s8, s14
	s_or_b32 exec_lo, exec_lo, s9
	v_mov_b32_e32 v9, s13
	s_and_saveexec_b32 s9, s8
	s_cbranch_execnz .LBB296_1678
	s_branch .LBB296_1679
.LBB296_2021:
	s_trap 2
	s_sendmsg_rtn_b32 s0, sendmsg(MSG_RTN_GET_DOORBELL)
	s_mov_b32 ttmp2, m0
	s_waitcnt lgkmcnt(0)
	s_and_b32 s0, s0, 0x3ff
	s_delay_alu instid0(SALU_CYCLE_1) | instskip(NEXT) | instid1(SALU_CYCLE_1)
	s_bitset1_b32 s0, 10
	s_mov_b32 m0, s0
	s_sendmsg sendmsg(MSG_INTERRUPT)
	s_mov_b32 m0, ttmp2
.LBB296_2022:                           ; =>This Inner Loop Header: Depth=1
	s_sethalt 5
	s_branch .LBB296_2022
.LBB296_2023:
	s_cbranch_execnz .LBB296_2029
; %bb.2024:
	s_or_b32 s1, s1, exec_lo
	s_cbranch_execz .LBB296_1725
	s_branch .LBB296_1726
.LBB296_2025:
	s_or_saveexec_b32 s8, s8
                                        ; implicit-def: $sgpr9
	s_delay_alu instid0(SALU_CYCLE_1)
	s_xor_b32 exec_lo, exec_lo, s8
	s_cbranch_execz .LBB296_1690
.LBB296_2026:
	v_add_f32_e64 v5, 0x42800000, |v1|
	s_and_not1_b32 s7, s7, exec_lo
	s_mov_b32 s9, 0
	s_delay_alu instid0(VALU_DEP_1) | instskip(NEXT) | instid1(VALU_DEP_1)
	v_and_b32_e32 v5, 0xff, v5
	v_cmp_ne_u32_e32 vcc_lo, 0, v5
	s_and_b32 s13, vcc_lo, exec_lo
	s_delay_alu instid0(SALU_CYCLE_1)
	s_or_b32 s7, s7, s13
	s_or_b32 exec_lo, exec_lo, s8
	v_mov_b32_e32 v9, s9
	s_and_saveexec_b32 s8, s7
	s_cbranch_execnz .LBB296_1691
	s_branch .LBB296_1692
.LBB296_2027:
	s_or_saveexec_b32 s9, s9
                                        ; implicit-def: $sgpr13
	s_delay_alu instid0(SALU_CYCLE_1)
	s_xor_b32 exec_lo, exec_lo, s9
	s_cbranch_execz .LBB296_1796
.LBB296_2028:
	v_add_f32_e64 v5, 0x46000000, |v1|
	s_and_not1_b32 s8, s8, exec_lo
	s_mov_b32 s13, 0
	s_delay_alu instid0(VALU_DEP_1) | instskip(NEXT) | instid1(VALU_DEP_1)
	v_and_b32_e32 v5, 0xff, v5
	v_cmp_ne_u32_e32 vcc_lo, 0, v5
	s_and_b32 s14, vcc_lo, exec_lo
	s_delay_alu instid0(SALU_CYCLE_1)
	s_or_b32 s8, s8, s14
	s_or_b32 exec_lo, exec_lo, s9
	v_mov_b32_e32 v8, s13
	s_and_saveexec_b32 s9, s8
	s_cbranch_execnz .LBB296_1797
	s_branch .LBB296_1798
.LBB296_2029:
	s_trap 2
	s_sendmsg_rtn_b32 s0, sendmsg(MSG_RTN_GET_DOORBELL)
	s_mov_b32 ttmp2, m0
	s_waitcnt lgkmcnt(0)
	s_and_b32 s0, s0, 0x3ff
	s_delay_alu instid0(SALU_CYCLE_1) | instskip(NEXT) | instid1(SALU_CYCLE_1)
	s_bitset1_b32 s0, 10
	s_mov_b32 m0, s0
	s_sendmsg sendmsg(MSG_INTERRUPT)
	s_mov_b32 m0, ttmp2
.LBB296_2030:                           ; =>This Inner Loop Header: Depth=1
	s_sethalt 5
	s_branch .LBB296_2030
.LBB296_2031:
	s_cbranch_execnz .LBB296_2037
; %bb.2032:
	s_or_b32 s1, s1, exec_lo
	s_cbranch_execz .LBB296_1844
	s_branch .LBB296_1845
.LBB296_2033:
	s_or_saveexec_b32 s8, s8
                                        ; implicit-def: $sgpr9
	s_delay_alu instid0(SALU_CYCLE_1)
	s_xor_b32 exec_lo, exec_lo, s8
	s_cbranch_execz .LBB296_1809
.LBB296_2034:
	v_add_f32_e64 v5, 0x42800000, |v1|
	s_and_not1_b32 s7, s7, exec_lo
	s_mov_b32 s9, 0
	s_delay_alu instid0(VALU_DEP_1) | instskip(NEXT) | instid1(VALU_DEP_1)
	v_and_b32_e32 v5, 0xff, v5
	v_cmp_ne_u32_e32 vcc_lo, 0, v5
	s_and_b32 s13, vcc_lo, exec_lo
	s_delay_alu instid0(SALU_CYCLE_1)
	s_or_b32 s7, s7, s13
	s_or_b32 exec_lo, exec_lo, s8
	v_mov_b32_e32 v8, s9
	s_and_saveexec_b32 s8, s7
	s_cbranch_execnz .LBB296_1810
	s_branch .LBB296_1811
.LBB296_2035:
	s_or_saveexec_b32 s6, s6
                                        ; implicit-def: $sgpr7
	s_delay_alu instid0(SALU_CYCLE_1)
	s_xor_b32 exec_lo, exec_lo, s6
	s_cbranch_execz .LBB296_1916
.LBB296_2036:
	v_add_f32_e64 v4, 0x46000000, |v3|
	s_and_not1_b32 s5, s5, exec_lo
	s_mov_b32 s7, 0
	s_delay_alu instid0(VALU_DEP_1) | instskip(NEXT) | instid1(VALU_DEP_1)
	v_and_b32_e32 v4, 0xff, v4
	v_cmp_ne_u32_e32 vcc_lo, 0, v4
	s_and_b32 s8, vcc_lo, exec_lo
	s_delay_alu instid0(SALU_CYCLE_1)
	s_or_b32 s5, s5, s8
	s_or_b32 exec_lo, exec_lo, s6
	v_mov_b32_e32 v5, s7
	s_and_saveexec_b32 s6, s5
	s_cbranch_execnz .LBB296_1917
	s_branch .LBB296_1918
.LBB296_2037:
	s_trap 2
	s_sendmsg_rtn_b32 s0, sendmsg(MSG_RTN_GET_DOORBELL)
	s_mov_b32 ttmp2, m0
	s_waitcnt lgkmcnt(0)
	s_and_b32 s0, s0, 0x3ff
	s_delay_alu instid0(SALU_CYCLE_1) | instskip(NEXT) | instid1(SALU_CYCLE_1)
	s_bitset1_b32 s0, 10
	s_mov_b32 m0, s0
	s_sendmsg sendmsg(MSG_INTERRUPT)
	s_mov_b32 m0, ttmp2
.LBB296_2038:                           ; =>This Inner Loop Header: Depth=1
	s_sethalt 5
	s_branch .LBB296_2038
.LBB296_2039:
	s_cbranch_execnz .LBB296_2043
; %bb.2040:
	s_mov_b32 s2, 0
	s_or_b32 s1, s1, exec_lo
	s_branch .LBB296_1962
.LBB296_2041:
	s_or_saveexec_b32 s5, s5
                                        ; implicit-def: $sgpr6
	s_delay_alu instid0(SALU_CYCLE_1)
	s_xor_b32 exec_lo, exec_lo, s5
	s_cbranch_execz .LBB296_1928
.LBB296_2042:
	v_add_f32_e64 v4, 0x42800000, |v3|
	s_and_not1_b32 s4, s4, exec_lo
	s_mov_b32 s6, 0
	s_delay_alu instid0(VALU_DEP_1) | instskip(NEXT) | instid1(VALU_DEP_1)
	v_and_b32_e32 v4, 0xff, v4
	v_cmp_ne_u32_e32 vcc_lo, 0, v4
	s_and_b32 s7, vcc_lo, exec_lo
	s_delay_alu instid0(SALU_CYCLE_1)
	s_or_b32 s4, s4, s7
	s_or_b32 exec_lo, exec_lo, s5
	v_mov_b32_e32 v5, s6
	s_and_saveexec_b32 s5, s4
	s_cbranch_execnz .LBB296_1929
	s_branch .LBB296_1930
.LBB296_2043:
	s_trap 2
	s_sendmsg_rtn_b32 s0, sendmsg(MSG_RTN_GET_DOORBELL)
	s_mov_b32 ttmp2, m0
	s_waitcnt lgkmcnt(0)
	s_and_b32 s0, s0, 0x3ff
	s_delay_alu instid0(SALU_CYCLE_1) | instskip(NEXT) | instid1(SALU_CYCLE_1)
	s_bitset1_b32 s0, 10
	s_mov_b32 m0, s0
	s_sendmsg sendmsg(MSG_INTERRUPT)
	s_mov_b32 m0, ttmp2
.LBB296_2044:                           ; =>This Inner Loop Header: Depth=1
	s_sethalt 5
	s_branch .LBB296_2044
	.section	.rodata,"a",@progbits
	.p2align	6, 0x0
	.amdhsa_kernel _ZN2at6native32elementwise_kernel_manual_unrollILi128ELi4EZNS0_15gpu_kernel_implIZZZNS0_17clamp_kernel_cudaERNS_18TensorIteratorBaseERKN3c106ScalarES8_ENKUlvE_clEvENKUlvE1_clEvEUliE_EEvS4_RKT_EUlibE_EEviT1_
		.amdhsa_group_segment_fixed_size 0
		.amdhsa_private_segment_fixed_size 0
		.amdhsa_kernarg_size 48
		.amdhsa_user_sgpr_count 15
		.amdhsa_user_sgpr_dispatch_ptr 0
		.amdhsa_user_sgpr_queue_ptr 0
		.amdhsa_user_sgpr_kernarg_segment_ptr 1
		.amdhsa_user_sgpr_dispatch_id 0
		.amdhsa_user_sgpr_private_segment_size 0
		.amdhsa_wavefront_size32 1
		.amdhsa_uses_dynamic_stack 0
		.amdhsa_enable_private_segment 0
		.amdhsa_system_sgpr_workgroup_id_x 1
		.amdhsa_system_sgpr_workgroup_id_y 0
		.amdhsa_system_sgpr_workgroup_id_z 0
		.amdhsa_system_sgpr_workgroup_info 0
		.amdhsa_system_vgpr_workitem_id 0
		.amdhsa_next_free_vgpr 14
		.amdhsa_next_free_sgpr 27
		.amdhsa_reserve_vcc 1
		.amdhsa_float_round_mode_32 0
		.amdhsa_float_round_mode_16_64 0
		.amdhsa_float_denorm_mode_32 3
		.amdhsa_float_denorm_mode_16_64 3
		.amdhsa_dx10_clamp 1
		.amdhsa_ieee_mode 1
		.amdhsa_fp16_overflow 0
		.amdhsa_workgroup_processor_mode 1
		.amdhsa_memory_ordered 1
		.amdhsa_forward_progress 0
		.amdhsa_shared_vgpr_count 0
		.amdhsa_exception_fp_ieee_invalid_op 0
		.amdhsa_exception_fp_denorm_src 0
		.amdhsa_exception_fp_ieee_div_zero 0
		.amdhsa_exception_fp_ieee_overflow 0
		.amdhsa_exception_fp_ieee_underflow 0
		.amdhsa_exception_fp_ieee_inexact 0
		.amdhsa_exception_int_div_zero 0
	.end_amdhsa_kernel
	.section	.text._ZN2at6native32elementwise_kernel_manual_unrollILi128ELi4EZNS0_15gpu_kernel_implIZZZNS0_17clamp_kernel_cudaERNS_18TensorIteratorBaseERKN3c106ScalarES8_ENKUlvE_clEvENKUlvE1_clEvEUliE_EEvS4_RKT_EUlibE_EEviT1_,"axG",@progbits,_ZN2at6native32elementwise_kernel_manual_unrollILi128ELi4EZNS0_15gpu_kernel_implIZZZNS0_17clamp_kernel_cudaERNS_18TensorIteratorBaseERKN3c106ScalarES8_ENKUlvE_clEvENKUlvE1_clEvEUliE_EEvS4_RKT_EUlibE_EEviT1_,comdat
.Lfunc_end296:
	.size	_ZN2at6native32elementwise_kernel_manual_unrollILi128ELi4EZNS0_15gpu_kernel_implIZZZNS0_17clamp_kernel_cudaERNS_18TensorIteratorBaseERKN3c106ScalarES8_ENKUlvE_clEvENKUlvE1_clEvEUliE_EEvS4_RKT_EUlibE_EEviT1_, .Lfunc_end296-_ZN2at6native32elementwise_kernel_manual_unrollILi128ELi4EZNS0_15gpu_kernel_implIZZZNS0_17clamp_kernel_cudaERNS_18TensorIteratorBaseERKN3c106ScalarES8_ENKUlvE_clEvENKUlvE1_clEvEUliE_EEvS4_RKT_EUlibE_EEviT1_
                                        ; -- End function
	.section	.AMDGPU.csdata,"",@progbits
; Kernel info:
; codeLenInByte = 32688
; NumSgprs: 29
; NumVgprs: 14
; ScratchSize: 0
; MemoryBound: 1
; FloatMode: 240
; IeeeMode: 1
; LDSByteSize: 0 bytes/workgroup (compile time only)
; SGPRBlocks: 3
; VGPRBlocks: 1
; NumSGPRsForWavesPerEU: 29
; NumVGPRsForWavesPerEU: 14
; Occupancy: 16
; WaveLimiterHint : 0
; COMPUTE_PGM_RSRC2:SCRATCH_EN: 0
; COMPUTE_PGM_RSRC2:USER_SGPR: 15
; COMPUTE_PGM_RSRC2:TRAP_HANDLER: 0
; COMPUTE_PGM_RSRC2:TGID_X_EN: 1
; COMPUTE_PGM_RSRC2:TGID_Y_EN: 0
; COMPUTE_PGM_RSRC2:TGID_Z_EN: 0
; COMPUTE_PGM_RSRC2:TIDIG_COMP_CNT: 0
	.section	.text._ZN2at6native32elementwise_kernel_manual_unrollILi128ELi4EZNS0_15gpu_kernel_implIZZZNS0_17clamp_kernel_cudaERNS_18TensorIteratorBaseERKN3c106ScalarES8_ENKUlvE_clEvENKUlvE1_clEvEUliE_EEvS4_RKT_EUlibE0_EEviT1_,"axG",@progbits,_ZN2at6native32elementwise_kernel_manual_unrollILi128ELi4EZNS0_15gpu_kernel_implIZZZNS0_17clamp_kernel_cudaERNS_18TensorIteratorBaseERKN3c106ScalarES8_ENKUlvE_clEvENKUlvE1_clEvEUliE_EEvS4_RKT_EUlibE0_EEviT1_,comdat
	.globl	_ZN2at6native32elementwise_kernel_manual_unrollILi128ELi4EZNS0_15gpu_kernel_implIZZZNS0_17clamp_kernel_cudaERNS_18TensorIteratorBaseERKN3c106ScalarES8_ENKUlvE_clEvENKUlvE1_clEvEUliE_EEvS4_RKT_EUlibE0_EEviT1_ ; -- Begin function _ZN2at6native32elementwise_kernel_manual_unrollILi128ELi4EZNS0_15gpu_kernel_implIZZZNS0_17clamp_kernel_cudaERNS_18TensorIteratorBaseERKN3c106ScalarES8_ENKUlvE_clEvENKUlvE1_clEvEUliE_EEvS4_RKT_EUlibE0_EEviT1_
	.p2align	8
	.type	_ZN2at6native32elementwise_kernel_manual_unrollILi128ELi4EZNS0_15gpu_kernel_implIZZZNS0_17clamp_kernel_cudaERNS_18TensorIteratorBaseERKN3c106ScalarES8_ENKUlvE_clEvENKUlvE1_clEvEUliE_EEvS4_RKT_EUlibE0_EEviT1_,@function
_ZN2at6native32elementwise_kernel_manual_unrollILi128ELi4EZNS0_15gpu_kernel_implIZZZNS0_17clamp_kernel_cudaERNS_18TensorIteratorBaseERKN3c106ScalarES8_ENKUlvE_clEvENKUlvE1_clEvEUliE_EEvS4_RKT_EUlibE0_EEviT1_: ; @_ZN2at6native32elementwise_kernel_manual_unrollILi128ELi4EZNS0_15gpu_kernel_implIZZZNS0_17clamp_kernel_cudaERNS_18TensorIteratorBaseERKN3c106ScalarES8_ENKUlvE_clEvENKUlvE1_clEvEUliE_EEvS4_RKT_EUlibE0_EEviT1_
; %bb.0:
	s_clause 0x1
	s_load_b32 s26, s[0:1], 0x8
	s_load_b32 s34, s[0:1], 0x0
	v_lshl_or_b32 v8, s15, 9, v0
	s_or_b32 s16, s0, 8
	s_mov_b32 s3, -1
	s_mov_b32 s28, 0
	s_mov_b32 s17, s1
	v_or_b32_e32 v9, 0x180, v8
	s_mov_b32 s8, 0
	s_mov_b32 s2, exec_lo
	s_waitcnt lgkmcnt(0)
	s_add_i32 s27, s26, -1
	s_delay_alu instid0(SALU_CYCLE_1)
	s_cmp_gt_u32 s27, 1
	s_cselect_b32 s29, -1, 0
	v_cmpx_le_i32_e64 s34, v9
	s_xor_b32 s30, exec_lo, s2
	s_cbranch_execz .LBB297_1060
; %bb.1:
	s_clause 0x5
	s_load_b32 s31, s[16:17], 0x160
	s_load_b64 s[18:19], s[16:17], 0x158
	s_load_b128 s[12:15], s[16:17], 0x4
	s_load_b64 s[20:21], s[16:17], 0x14
	s_load_b128 s[8:11], s[16:17], 0xc4
	s_load_b128 s[4:7], s[16:17], 0x148
	s_cmp_lg_u32 s26, 0
	s_mov_b32 s40, 0
	s_cselect_b32 s36, -1, 0
	s_add_u32 s22, s16, 0xc4
	s_addc_u32 s23, s17, 0
	s_min_u32 s35, s27, 15
	s_cmp_gt_u32 s26, 1
	s_mov_b32 s38, 0
	s_cselect_b32 s33, -1, 0
	s_mov_b32 s37, 0
	s_mov_b32 s39, exec_lo
	s_waitcnt lgkmcnt(0)
	v_lshrrev_b16 v5, 8, s31
	v_cmpx_gt_i32_e64 s34, v8
	s_cbranch_execz .LBB297_259
; %bb.2:
	s_and_not1_b32 vcc_lo, exec_lo, s29
	s_cbranch_vccnz .LBB297_7
; %bb.3:
	v_dual_mov_b32 v0, 0 :: v_dual_mov_b32 v1, 0
	s_and_not1_b32 vcc_lo, exec_lo, s36
	s_cbranch_vccnz .LBB297_12
; %bb.4:
	v_mov_b32_e32 v0, 0
	s_add_i32 s41, s35, 1
	s_cmp_eq_u32 s27, 2
	s_cbranch_scc1 .LBB297_8
; %bb.5:
	v_dual_mov_b32 v1, 0 :: v_dual_mov_b32 v0, 0
	v_mov_b32_e32 v2, v8
	s_and_b32 s38, s41, 28
	s_mov_b32 s42, 0
	s_mov_b64 s[2:3], s[22:23]
	s_mov_b64 s[24:25], s[16:17]
.LBB297_6:                              ; =>This Inner Loop Header: Depth=1
	s_clause 0x1
	s_load_b256 s[44:51], s[24:25], 0x4
	s_load_b128 s[60:63], s[24:25], 0x24
	s_load_b256 s[52:59], s[2:3], 0x0
	s_add_u32 s24, s24, 48
	s_addc_u32 s25, s25, 0
	s_add_i32 s42, s42, 4
	s_add_u32 s2, s2, 32
	s_addc_u32 s3, s3, 0
	s_cmp_lg_u32 s38, s42
	s_waitcnt lgkmcnt(0)
	v_mul_hi_u32 v3, s45, v2
	s_delay_alu instid0(VALU_DEP_1) | instskip(NEXT) | instid1(VALU_DEP_1)
	v_add_nc_u32_e32 v3, v2, v3
	v_lshrrev_b32_e32 v3, s46, v3
	s_delay_alu instid0(VALU_DEP_1) | instskip(SKIP_1) | instid1(VALU_DEP_2)
	v_mul_hi_u32 v4, s48, v3
	v_mul_lo_u32 v7, v3, s44
	v_add_nc_u32_e32 v4, v3, v4
	s_delay_alu instid0(VALU_DEP_2) | instskip(NEXT) | instid1(VALU_DEP_2)
	v_sub_nc_u32_e32 v2, v2, v7
	v_lshrrev_b32_e32 v4, s49, v4
	s_delay_alu instid0(VALU_DEP_2) | instskip(SKIP_1) | instid1(VALU_DEP_3)
	v_mul_lo_u32 v7, v2, s52
	v_mul_lo_u32 v10, v2, s53
	v_mul_hi_u32 v6, s51, v4
	s_delay_alu instid0(VALU_DEP_1) | instskip(NEXT) | instid1(VALU_DEP_1)
	v_add_nc_u32_e32 v6, v4, v6
	v_lshrrev_b32_e32 v6, s60, v6
	s_delay_alu instid0(VALU_DEP_1) | instskip(SKIP_1) | instid1(VALU_DEP_2)
	v_mul_hi_u32 v9, s62, v6
	v_mul_lo_u32 v11, v6, s50
	v_add_nc_u32_e32 v2, v6, v9
	v_mul_lo_u32 v9, v4, s47
	s_delay_alu instid0(VALU_DEP_3) | instskip(NEXT) | instid1(VALU_DEP_3)
	v_sub_nc_u32_e32 v4, v4, v11
	v_lshrrev_b32_e32 v2, s63, v2
	s_delay_alu instid0(VALU_DEP_2) | instskip(SKIP_2) | instid1(VALU_DEP_4)
	v_mul_lo_u32 v11, v4, s56
	v_mul_lo_u32 v4, v4, s57
	v_sub_nc_u32_e32 v3, v3, v9
	v_mul_lo_u32 v12, v2, s61
	s_delay_alu instid0(VALU_DEP_2) | instskip(SKIP_1) | instid1(VALU_DEP_3)
	v_mul_lo_u32 v9, v3, s54
	v_mul_lo_u32 v3, v3, s55
	v_sub_nc_u32_e32 v6, v6, v12
	s_delay_alu instid0(VALU_DEP_3) | instskip(NEXT) | instid1(VALU_DEP_2)
	v_add3_u32 v0, v7, v0, v9
	v_mul_lo_u32 v12, v6, s58
	v_mul_lo_u32 v6, v6, s59
	v_add3_u32 v1, v10, v1, v3
	s_delay_alu instid0(VALU_DEP_3) | instskip(NEXT) | instid1(VALU_DEP_2)
	v_add3_u32 v0, v11, v0, v12
	v_add3_u32 v1, v4, v1, v6
	s_cbranch_scc1 .LBB297_6
	s_branch .LBB297_9
.LBB297_7:
	s_mov_b32 s37, -1
                                        ; implicit-def: $vgpr0
                                        ; implicit-def: $vgpr1
	s_branch .LBB297_12
.LBB297_8:
	v_dual_mov_b32 v2, v8 :: v_dual_mov_b32 v1, 0
.LBB297_9:
	s_and_b32 s41, s41, 3
	s_delay_alu instid0(SALU_CYCLE_1)
	s_cmp_eq_u32 s41, 0
	s_cbranch_scc1 .LBB297_12
; %bb.10:
	s_lshl_b32 s2, s38, 3
	s_mul_i32 s24, s38, 12
	s_add_u32 s2, s2, s16
	s_addc_u32 s3, s17, 0
	s_add_u32 s2, s2, 0xc4
	s_addc_u32 s3, s3, 0
	;; [unrolled: 2-line block ×3, first 2 shown]
	.p2align	6
.LBB297_11:                             ; =>This Inner Loop Header: Depth=1
	s_clause 0x1
	s_load_b64 s[42:43], s[24:25], 0x4
	s_load_b32 s38, s[24:25], 0xc
	s_load_b64 s[44:45], s[2:3], 0x0
	s_add_u32 s24, s24, 12
	s_addc_u32 s25, s25, 0
	s_add_u32 s2, s2, 8
	s_addc_u32 s3, s3, 0
	s_add_i32 s41, s41, -1
	s_delay_alu instid0(SALU_CYCLE_1) | instskip(SKIP_2) | instid1(VALU_DEP_1)
	s_cmp_lg_u32 s41, 0
	s_waitcnt lgkmcnt(0)
	v_mul_hi_u32 v3, s43, v2
	v_add_nc_u32_e32 v3, v2, v3
	s_delay_alu instid0(VALU_DEP_1) | instskip(NEXT) | instid1(VALU_DEP_1)
	v_lshrrev_b32_e32 v9, s38, v3
	v_mul_lo_u32 v3, v9, s42
	s_delay_alu instid0(VALU_DEP_1) | instskip(NEXT) | instid1(VALU_DEP_1)
	v_sub_nc_u32_e32 v2, v2, v3
	v_mad_u64_u32 v[3:4], null, v2, s44, v[0:1]
	v_mad_u64_u32 v[6:7], null, v2, s45, v[1:2]
	v_mov_b32_e32 v2, v9
	s_delay_alu instid0(VALU_DEP_2)
	v_dual_mov_b32 v0, v3 :: v_dual_mov_b32 v1, v6
	s_cbranch_scc1 .LBB297_11
.LBB297_12:
	s_and_not1_b32 vcc_lo, exec_lo, s37
	s_cbranch_vccnz .LBB297_15
; %bb.13:
	v_mul_hi_u32 v0, s13, v8
	s_and_not1_b32 vcc_lo, exec_lo, s33
	s_delay_alu instid0(VALU_DEP_1) | instskip(NEXT) | instid1(VALU_DEP_1)
	v_add_nc_u32_e32 v0, v8, v0
	v_lshrrev_b32_e32 v2, s14, v0
	s_delay_alu instid0(VALU_DEP_1) | instskip(NEXT) | instid1(VALU_DEP_1)
	v_mul_lo_u32 v0, v2, s12
	v_sub_nc_u32_e32 v1, v8, v0
	s_delay_alu instid0(VALU_DEP_1)
	v_mul_lo_u32 v0, v1, s8
	v_mul_lo_u32 v1, v1, s9
	s_cbranch_vccnz .LBB297_15
; %bb.14:
	v_mul_hi_u32 v3, s20, v2
	s_delay_alu instid0(VALU_DEP_1) | instskip(NEXT) | instid1(VALU_DEP_1)
	v_add_nc_u32_e32 v3, v2, v3
	v_lshrrev_b32_e32 v3, s21, v3
	s_delay_alu instid0(VALU_DEP_1) | instskip(NEXT) | instid1(VALU_DEP_1)
	v_mul_lo_u32 v3, v3, s15
	v_sub_nc_u32_e32 v6, v2, v3
	s_delay_alu instid0(VALU_DEP_1) | instskip(NEXT) | instid1(VALU_DEP_1)
	v_mad_u64_u32 v[2:3], null, v6, s10, v[0:1]
	v_mad_u64_u32 v[3:4], null, v6, s11, v[1:2]
	s_delay_alu instid0(VALU_DEP_1)
	v_dual_mov_b32 v0, v2 :: v_dual_mov_b32 v1, v3
.LBB297_15:
	v_cmp_gt_i16_e32 vcc_lo, 11, v5
	s_delay_alu instid0(VALU_DEP_2) | instskip(NEXT) | instid1(VALU_DEP_1)
	v_add_co_u32 v1, s2, s6, v1
	v_add_co_ci_u32_e64 v2, null, s7, 0, s2
	s_mov_b32 s3, 0
	s_cbranch_vccnz .LBB297_22
; %bb.16:
	v_cmp_lt_i16_e32 vcc_lo, 25, v5
	s_cbranch_vccz .LBB297_141
; %bb.17:
	v_cmp_lt_i16_e32 vcc_lo, 28, v5
	s_cbranch_vccz .LBB297_142
	;; [unrolled: 3-line block ×4, first 2 shown]
; %bb.20:
	v_cmp_eq_u16_e32 vcc_lo, 46, v5
	s_mov_b32 s24, 0
	s_cbranch_vccz .LBB297_145
; %bb.21:
	global_load_b32 v3, v[1:2], off
	s_mov_b32 s2, -1
	s_waitcnt vmcnt(0)
	v_lshlrev_b32_e32 v3, 16, v3
	s_delay_alu instid0(VALU_DEP_1)
	v_cvt_i32_f32_e32 v3, v3
	s_branch .LBB297_147
.LBB297_22:
	s_mov_b32 s2, 0
                                        ; implicit-def: $vgpr3
	s_cbranch_execnz .LBB297_209
.LBB297_23:
	s_and_not1_b32 vcc_lo, exec_lo, s2
	s_cbranch_vccnz .LBB297_256
.LBB297_24:
	v_and_b32_e64 v6, 0xff, s31
	s_waitcnt vmcnt(0)
	s_delay_alu instid0(VALU_DEP_2) | instskip(SKIP_1) | instid1(VALU_DEP_1)
	v_maxmin_i32 v1, v3, s18, s19
	v_add_co_u32 v3, s24, s4, v0
	v_add_co_ci_u32_e64 v4, null, s5, 0, s24
	v_cmp_gt_i16_e32 vcc_lo, 11, v6
	s_mov_b32 s2, 0
	s_mov_b32 s25, -1
	s_mov_b32 s24, 0
	s_cbranch_vccnz .LBB297_101
; %bb.25:
	v_cmp_lt_i16_e32 vcc_lo, 25, v6
	s_cbranch_vccz .LBB297_58
; %bb.26:
	v_cmp_lt_i16_e32 vcc_lo, 28, v6
	s_cbranch_vccz .LBB297_41
	;; [unrolled: 3-line block ×4, first 2 shown]
; %bb.29:
	v_cmp_eq_u16_e32 vcc_lo, 46, v6
	s_mov_b32 s25, 0
	s_mov_b32 s2, -1
	s_cbranch_vccz .LBB297_31
; %bb.30:
	v_cvt_f32_i32_e32 v0, v1
	s_mov_b32 s24, -1
	s_mov_b32 s2, 0
	s_delay_alu instid0(VALU_DEP_1) | instskip(NEXT) | instid1(VALU_DEP_1)
	v_bfe_u32 v2, v0, 16, 1
	v_add3_u32 v0, v0, v2, 0x7fff
	s_delay_alu instid0(VALU_DEP_1)
	v_lshrrev_b32_e32 v0, 16, v0
	global_store_b32 v[3:4], v0, off
.LBB297_31:
	s_and_b32 vcc_lo, exec_lo, s25
	s_cbranch_vccz .LBB297_36
; %bb.32:
	v_cmp_eq_u16_e32 vcc_lo, 44, v6
	s_mov_b32 s2, -1
	s_cbranch_vccz .LBB297_36
; %bb.33:
	v_cvt_f32_i32_e32 v0, v1
	v_mov_b32_e32 v2, 0xff
	s_mov_b32 s24, exec_lo
	s_delay_alu instid0(VALU_DEP_2) | instskip(NEXT) | instid1(VALU_DEP_1)
	v_bfe_u32 v7, v0, 23, 8
	v_cmpx_ne_u32_e32 0xff, v7
; %bb.34:
	v_and_b32_e32 v2, 0x400000, v0
	v_and_or_b32 v7, 0x3fffff, v0, v7
	v_lshrrev_b32_e32 v0, 23, v0
	s_delay_alu instid0(VALU_DEP_3) | instskip(NEXT) | instid1(VALU_DEP_3)
	v_cmp_ne_u32_e32 vcc_lo, 0, v2
	v_cmp_ne_u32_e64 s2, 0, v7
	s_delay_alu instid0(VALU_DEP_1) | instskip(NEXT) | instid1(SALU_CYCLE_1)
	s_and_b32 s2, vcc_lo, s2
	v_cndmask_b32_e64 v2, 0, 1, s2
	s_delay_alu instid0(VALU_DEP_1)
	v_add_nc_u32_e32 v2, v0, v2
; %bb.35:
	s_or_b32 exec_lo, exec_lo, s24
	s_mov_b32 s24, -1
	s_mov_b32 s2, 0
	global_store_b8 v[3:4], v2, off
.LBB297_36:
	s_mov_b32 s25, 0
.LBB297_37:
	s_delay_alu instid0(SALU_CYCLE_1)
	s_and_b32 vcc_lo, exec_lo, s25
	s_cbranch_vccz .LBB297_40
; %bb.38:
	v_cmp_eq_u16_e32 vcc_lo, 29, v6
	s_mov_b32 s2, -1
	s_cbranch_vccz .LBB297_40
; %bb.39:
	v_ashrrev_i32_e32 v2, 31, v1
	s_mov_b32 s24, -1
	s_mov_b32 s2, 0
	global_store_b64 v[3:4], v[1:2], off
.LBB297_40:
	s_mov_b32 s25, 0
.LBB297_41:
	s_delay_alu instid0(SALU_CYCLE_1)
	s_and_b32 vcc_lo, exec_lo, s25
	s_cbranch_vccz .LBB297_57
; %bb.42:
	v_cmp_gt_i16_e32 vcc_lo, 27, v6
	s_mov_b32 s24, -1
	s_cbranch_vccnz .LBB297_48
; %bb.43:
	v_cmp_lt_i16_e32 vcc_lo, 27, v6
	s_cbranch_vccz .LBB297_45
; %bb.44:
	s_mov_b32 s24, 0
	global_store_b32 v[3:4], v1, off
.LBB297_45:
	s_and_not1_b32 vcc_lo, exec_lo, s24
	s_cbranch_vccnz .LBB297_47
; %bb.46:
	global_store_b16 v[3:4], v1, off
.LBB297_47:
	s_mov_b32 s24, 0
.LBB297_48:
	s_delay_alu instid0(SALU_CYCLE_1)
	s_and_not1_b32 vcc_lo, exec_lo, s24
	s_cbranch_vccnz .LBB297_56
; %bb.49:
	v_cvt_f32_i32_e32 v0, v1
	v_mov_b32_e32 v7, 0x80
	s_mov_b32 s24, exec_lo
	s_delay_alu instid0(VALU_DEP_2) | instskip(NEXT) | instid1(VALU_DEP_1)
	v_and_b32_e32 v2, 0x7fffffff, v0
	v_cmpx_gt_u32_e32 0x43800000, v2
	s_cbranch_execz .LBB297_55
; %bb.50:
	v_cmp_lt_u32_e32 vcc_lo, 0x3bffffff, v2
	s_mov_b32 s25, 0
                                        ; implicit-def: $vgpr2
	s_and_saveexec_b32 s37, vcc_lo
	s_delay_alu instid0(SALU_CYCLE_1)
	s_xor_b32 s37, exec_lo, s37
	s_cbranch_execz .LBB297_150
; %bb.51:
	v_bfe_u32 v2, v0, 20, 1
	s_mov_b32 s25, exec_lo
	s_delay_alu instid0(VALU_DEP_1) | instskip(NEXT) | instid1(VALU_DEP_1)
	v_add3_u32 v2, v0, v2, 0x487ffff
	v_lshrrev_b32_e32 v2, 20, v2
	s_or_saveexec_b32 s37, s37
                                        ; implicit-def: $sgpr38
	s_delay_alu instid0(SALU_CYCLE_1)
	s_xor_b32 exec_lo, exec_lo, s37
	s_cbranch_execnz .LBB297_151
.LBB297_52:
	s_or_b32 exec_lo, exec_lo, s37
	v_mov_b32_e32 v7, s38
	s_and_saveexec_b32 s37, s25
.LBB297_53:
	v_lshrrev_b32_e32 v0, 24, v0
	s_delay_alu instid0(VALU_DEP_1)
	v_and_or_b32 v7, 0x80, v0, v2
.LBB297_54:
	s_or_b32 exec_lo, exec_lo, s37
.LBB297_55:
	s_delay_alu instid0(SALU_CYCLE_1)
	s_or_b32 exec_lo, exec_lo, s24
	global_store_b8 v[3:4], v7, off
.LBB297_56:
	s_mov_b32 s24, -1
.LBB297_57:
	s_mov_b32 s25, 0
.LBB297_58:
	s_delay_alu instid0(SALU_CYCLE_1)
	s_and_b32 vcc_lo, exec_lo, s25
	s_cbranch_vccz .LBB297_99
; %bb.59:
	v_cmp_lt_i16_e32 vcc_lo, 22, v6
	s_mov_b32 s25, -1
	s_cbranch_vccz .LBB297_91
; %bb.60:
	v_cmp_gt_i16_e32 vcc_lo, 24, v6
	s_mov_b32 s24, -1
	s_cbranch_vccnz .LBB297_80
; %bb.61:
	v_cmp_lt_i16_e32 vcc_lo, 24, v6
	s_cbranch_vccz .LBB297_69
; %bb.62:
	v_cvt_f32_i32_e32 v0, v1
	v_mov_b32_e32 v7, 0x80
	s_mov_b32 s24, exec_lo
	s_delay_alu instid0(VALU_DEP_2) | instskip(NEXT) | instid1(VALU_DEP_1)
	v_and_b32_e32 v2, 0x7fffffff, v0
	v_cmpx_gt_u32_e32 0x47800000, v2
	s_cbranch_execz .LBB297_68
; %bb.63:
	v_cmp_lt_u32_e32 vcc_lo, 0x37ffffff, v2
	s_mov_b32 s25, 0
                                        ; implicit-def: $vgpr2
	s_and_saveexec_b32 s37, vcc_lo
	s_delay_alu instid0(SALU_CYCLE_1)
	s_xor_b32 s37, exec_lo, s37
	s_cbranch_execz .LBB297_337
; %bb.64:
	v_bfe_u32 v2, v0, 21, 1
	s_mov_b32 s25, exec_lo
	s_delay_alu instid0(VALU_DEP_1) | instskip(NEXT) | instid1(VALU_DEP_1)
	v_add3_u32 v2, v0, v2, 0x88fffff
	v_lshrrev_b32_e32 v2, 21, v2
	s_or_saveexec_b32 s37, s37
                                        ; implicit-def: $sgpr38
	s_delay_alu instid0(SALU_CYCLE_1)
	s_xor_b32 exec_lo, exec_lo, s37
	s_cbranch_execnz .LBB297_338
.LBB297_65:
	s_or_b32 exec_lo, exec_lo, s37
	v_mov_b32_e32 v7, s38
	s_and_saveexec_b32 s37, s25
.LBB297_66:
	v_lshrrev_b32_e32 v0, 24, v0
	s_delay_alu instid0(VALU_DEP_1)
	v_and_or_b32 v7, 0x80, v0, v2
.LBB297_67:
	s_or_b32 exec_lo, exec_lo, s37
.LBB297_68:
	s_delay_alu instid0(SALU_CYCLE_1)
	s_or_b32 exec_lo, exec_lo, s24
	s_mov_b32 s24, 0
	global_store_b8 v[3:4], v7, off
.LBB297_69:
	s_and_b32 vcc_lo, exec_lo, s24
	s_cbranch_vccz .LBB297_79
; %bb.70:
	v_cvt_f32_i32_e32 v0, v1
	s_mov_b32 s24, exec_lo
                                        ; implicit-def: $vgpr2
	s_delay_alu instid0(VALU_DEP_1) | instskip(NEXT) | instid1(VALU_DEP_1)
	v_and_b32_e32 v7, 0x7fffffff, v0
	v_cmpx_gt_u32_e32 0x43f00000, v7
	s_xor_b32 s24, exec_lo, s24
	s_cbranch_execz .LBB297_76
; %bb.71:
	s_mov_b32 s25, exec_lo
                                        ; implicit-def: $vgpr2
	v_cmpx_lt_u32_e32 0x3c7fffff, v7
	s_xor_b32 s25, exec_lo, s25
; %bb.72:
	v_bfe_u32 v2, v0, 20, 1
	s_delay_alu instid0(VALU_DEP_1) | instskip(NEXT) | instid1(VALU_DEP_1)
	v_add3_u32 v2, v0, v2, 0x407ffff
	v_and_b32_e32 v7, 0xff00000, v2
	v_lshrrev_b32_e32 v2, 20, v2
	s_delay_alu instid0(VALU_DEP_2) | instskip(NEXT) | instid1(VALU_DEP_2)
	v_cmp_ne_u32_e32 vcc_lo, 0x7f00000, v7
	v_cndmask_b32_e32 v2, 0x7e, v2, vcc_lo
; %bb.73:
	s_and_not1_saveexec_b32 s25, s25
; %bb.74:
	v_add_f32_e64 v2, 0x46800000, |v0|
; %bb.75:
	s_or_b32 exec_lo, exec_lo, s25
                                        ; implicit-def: $vgpr7
.LBB297_76:
	s_and_not1_saveexec_b32 s24, s24
; %bb.77:
	v_mov_b32_e32 v2, 0x7f
	v_cmp_lt_u32_e32 vcc_lo, 0x7f800000, v7
	s_delay_alu instid0(VALU_DEP_2)
	v_cndmask_b32_e32 v2, 0x7e, v2, vcc_lo
; %bb.78:
	s_or_b32 exec_lo, exec_lo, s24
	v_lshrrev_b32_e32 v0, 24, v0
	s_delay_alu instid0(VALU_DEP_1)
	v_and_or_b32 v0, 0x80, v0, v2
	global_store_b8 v[3:4], v0, off
.LBB297_79:
	s_mov_b32 s24, 0
.LBB297_80:
	s_delay_alu instid0(SALU_CYCLE_1)
	s_and_not1_b32 vcc_lo, exec_lo, s24
	s_cbranch_vccnz .LBB297_90
; %bb.81:
	v_cvt_f32_i32_e32 v0, v1
	s_mov_b32 s24, exec_lo
                                        ; implicit-def: $vgpr2
	s_delay_alu instid0(VALU_DEP_1) | instskip(NEXT) | instid1(VALU_DEP_1)
	v_and_b32_e32 v7, 0x7fffffff, v0
	v_cmpx_gt_u32_e32 0x47800000, v7
	s_xor_b32 s24, exec_lo, s24
	s_cbranch_execz .LBB297_87
; %bb.82:
	s_mov_b32 s25, exec_lo
                                        ; implicit-def: $vgpr2
	v_cmpx_lt_u32_e32 0x387fffff, v7
	s_xor_b32 s25, exec_lo, s25
; %bb.83:
	v_bfe_u32 v2, v0, 21, 1
	s_delay_alu instid0(VALU_DEP_1) | instskip(NEXT) | instid1(VALU_DEP_1)
	v_add3_u32 v2, v0, v2, 0x80fffff
	v_lshrrev_b32_e32 v2, 21, v2
; %bb.84:
	s_and_not1_saveexec_b32 s25, s25
; %bb.85:
	v_add_f32_e64 v2, 0x43000000, |v0|
; %bb.86:
	s_or_b32 exec_lo, exec_lo, s25
                                        ; implicit-def: $vgpr7
.LBB297_87:
	s_and_not1_saveexec_b32 s24, s24
; %bb.88:
	v_mov_b32_e32 v2, 0x7f
	v_cmp_lt_u32_e32 vcc_lo, 0x7f800000, v7
	s_delay_alu instid0(VALU_DEP_2)
	v_cndmask_b32_e32 v2, 0x7c, v2, vcc_lo
; %bb.89:
	s_or_b32 exec_lo, exec_lo, s24
	v_lshrrev_b32_e32 v0, 24, v0
	s_delay_alu instid0(VALU_DEP_1)
	v_and_or_b32 v0, 0x80, v0, v2
	global_store_b8 v[3:4], v0, off
.LBB297_90:
	s_mov_b32 s25, 0
	s_mov_b32 s24, -1
.LBB297_91:
	s_and_not1_b32 vcc_lo, exec_lo, s25
	s_cbranch_vccnz .LBB297_99
; %bb.92:
	v_cmp_lt_i16_e32 vcc_lo, 14, v6
	s_mov_b32 s25, -1
	s_cbranch_vccz .LBB297_96
; %bb.93:
	v_cmp_eq_u16_e32 vcc_lo, 15, v6
	s_mov_b32 s2, -1
	s_cbranch_vccz .LBB297_95
; %bb.94:
	v_cvt_f32_i32_e32 v0, v1
	s_mov_b32 s24, -1
	s_mov_b32 s2, 0
	s_delay_alu instid0(VALU_DEP_1) | instskip(NEXT) | instid1(VALU_DEP_1)
	v_bfe_u32 v2, v0, 16, 1
	v_add3_u32 v0, v0, v2, 0x7fff
	global_store_d16_hi_b16 v[3:4], v0, off
.LBB297_95:
	s_mov_b32 s25, 0
.LBB297_96:
	s_delay_alu instid0(SALU_CYCLE_1)
	s_and_b32 vcc_lo, exec_lo, s25
	s_cbranch_vccz .LBB297_99
; %bb.97:
	v_cmp_eq_u16_e32 vcc_lo, 11, v6
	s_mov_b32 s2, -1
	s_cbranch_vccz .LBB297_99
; %bb.98:
	v_cmp_ne_u32_e32 vcc_lo, 0, v1
	s_mov_b32 s2, 0
	s_mov_b32 s24, -1
	v_cndmask_b32_e64 v0, 0, 1, vcc_lo
	global_store_b8 v[3:4], v0, off
.LBB297_99:
.LBB297_100:
	s_and_not1_b32 vcc_lo, exec_lo, s24
	s_cbranch_vccz .LBB297_140
	s_branch .LBB297_257
.LBB297_101:
	s_and_b32 vcc_lo, exec_lo, s25
	s_cbranch_vccz .LBB297_100
; %bb.102:
	v_cmp_gt_i16_e32 vcc_lo, 5, v6
	s_mov_b32 s24, -1
	s_cbranch_vccnz .LBB297_123
; %bb.103:
	v_cmp_gt_i16_e32 vcc_lo, 8, v6
	s_cbranch_vccnz .LBB297_113
; %bb.104:
	v_cmp_gt_i16_e32 vcc_lo, 9, v6
	s_cbranch_vccnz .LBB297_110
; %bb.105:
	v_cmp_lt_i16_e32 vcc_lo, 9, v6
	s_cbranch_vccz .LBB297_107
; %bb.106:
	v_cvt_f64_i32_e32 v[9:10], v1
	v_mov_b32_e32 v11, 0
	s_mov_b32 s24, 0
	s_delay_alu instid0(VALU_DEP_1)
	v_mov_b32_e32 v12, v11
	global_store_b128 v[3:4], v[9:12], off
.LBB297_107:
	s_and_not1_b32 vcc_lo, exec_lo, s24
	s_cbranch_vccnz .LBB297_109
; %bb.108:
	v_cvt_f32_i32_e32 v9, v1
	v_mov_b32_e32 v10, 0
	global_store_b64 v[3:4], v[9:10], off
.LBB297_109:
	s_mov_b32 s24, 0
.LBB297_110:
	s_delay_alu instid0(SALU_CYCLE_1)
	s_and_not1_b32 vcc_lo, exec_lo, s24
	s_cbranch_vccnz .LBB297_112
; %bb.111:
	v_cvt_f32_i32_e32 v0, v1
	s_delay_alu instid0(VALU_DEP_1) | instskip(NEXT) | instid1(VALU_DEP_1)
	v_cvt_f16_f32_e32 v0, v0
	v_and_b32_e32 v0, 0xffff, v0
	global_store_b32 v[3:4], v0, off
.LBB297_112:
	s_mov_b32 s24, 0
.LBB297_113:
	s_delay_alu instid0(SALU_CYCLE_1)
	s_and_not1_b32 vcc_lo, exec_lo, s24
	s_cbranch_vccnz .LBB297_122
; %bb.114:
	v_cmp_gt_i16_e32 vcc_lo, 6, v6
	s_mov_b32 s24, -1
	s_cbranch_vccnz .LBB297_120
; %bb.115:
	v_cmp_lt_i16_e32 vcc_lo, 6, v6
	s_cbranch_vccz .LBB297_117
; %bb.116:
	v_cvt_f64_i32_e32 v[9:10], v1
	s_mov_b32 s24, 0
	global_store_b64 v[3:4], v[9:10], off
.LBB297_117:
	s_and_not1_b32 vcc_lo, exec_lo, s24
	s_cbranch_vccnz .LBB297_119
; %bb.118:
	v_cvt_f32_i32_e32 v0, v1
	global_store_b32 v[3:4], v0, off
.LBB297_119:
	s_mov_b32 s24, 0
.LBB297_120:
	s_delay_alu instid0(SALU_CYCLE_1)
	s_and_not1_b32 vcc_lo, exec_lo, s24
	s_cbranch_vccnz .LBB297_122
; %bb.121:
	v_cvt_f32_i32_e32 v0, v1
	s_delay_alu instid0(VALU_DEP_1)
	v_cvt_f16_f32_e32 v0, v0
	global_store_b16 v[3:4], v0, off
.LBB297_122:
	s_mov_b32 s24, 0
.LBB297_123:
	s_delay_alu instid0(SALU_CYCLE_1)
	s_and_not1_b32 vcc_lo, exec_lo, s24
	s_cbranch_vccnz .LBB297_139
; %bb.124:
	v_cmp_gt_i16_e32 vcc_lo, 2, v6
	s_mov_b32 s24, -1
	s_cbranch_vccnz .LBB297_134
; %bb.125:
	v_cmp_gt_i16_e32 vcc_lo, 3, v6
	s_cbranch_vccnz .LBB297_131
; %bb.126:
	v_cmp_lt_i16_e32 vcc_lo, 3, v6
	s_cbranch_vccz .LBB297_128
; %bb.127:
	v_ashrrev_i32_e32 v2, 31, v1
	s_mov_b32 s24, 0
	global_store_b64 v[3:4], v[1:2], off
.LBB297_128:
	s_and_not1_b32 vcc_lo, exec_lo, s24
	s_cbranch_vccnz .LBB297_130
; %bb.129:
	global_store_b32 v[3:4], v1, off
.LBB297_130:
	s_mov_b32 s24, 0
.LBB297_131:
	s_delay_alu instid0(SALU_CYCLE_1)
	s_and_not1_b32 vcc_lo, exec_lo, s24
	s_cbranch_vccnz .LBB297_133
; %bb.132:
	global_store_b16 v[3:4], v1, off
.LBB297_133:
	s_mov_b32 s24, 0
.LBB297_134:
	s_delay_alu instid0(SALU_CYCLE_1)
	s_and_not1_b32 vcc_lo, exec_lo, s24
	s_cbranch_vccnz .LBB297_139
; %bb.135:
	v_cmp_lt_i16_e32 vcc_lo, 0, v6
	s_mov_b32 s24, -1
	s_cbranch_vccz .LBB297_137
; %bb.136:
	s_mov_b32 s24, 0
	global_store_b8 v[3:4], v1, off
.LBB297_137:
	s_and_not1_b32 vcc_lo, exec_lo, s24
	s_cbranch_vccnz .LBB297_139
; %bb.138:
	global_store_b8 v[3:4], v1, off
.LBB297_139:
.LBB297_140:
	v_add_nc_u32_e32 v8, 0x80, v8
	s_mov_b32 s24, -1
	s_branch .LBB297_258
.LBB297_141:
	s_mov_b32 s2, 0
                                        ; implicit-def: $vgpr3
	s_cbranch_execnz .LBB297_176
	s_branch .LBB297_208
.LBB297_142:
	s_mov_b32 s24, -1
	s_mov_b32 s2, 0
                                        ; implicit-def: $vgpr3
	s_branch .LBB297_159
.LBB297_143:
	s_mov_b32 s24, -1
	s_mov_b32 s2, 0
                                        ; implicit-def: $vgpr3
	s_branch .LBB297_154
.LBB297_144:
	s_mov_b32 s24, -1
	s_branch .LBB297_146
.LBB297_145:
	s_mov_b32 s3, -1
.LBB297_146:
	s_mov_b32 s2, 0
                                        ; implicit-def: $vgpr3
.LBB297_147:
	s_and_b32 vcc_lo, exec_lo, s24
	s_cbranch_vccz .LBB297_153
; %bb.148:
	v_cmp_eq_u16_e32 vcc_lo, 44, v5
	s_cbranch_vccz .LBB297_152
; %bb.149:
	global_load_u8 v3, v[1:2], off
	s_mov_b32 s3, 0
	s_mov_b32 s2, -1
	s_waitcnt vmcnt(0)
	v_lshlrev_b32_e32 v4, 23, v3
	v_cmp_ne_u32_e32 vcc_lo, 0, v3
	s_delay_alu instid0(VALU_DEP_2) | instskip(NEXT) | instid1(VALU_DEP_1)
	v_cvt_i32_f32_e32 v4, v4
	v_cndmask_b32_e32 v3, 0, v4, vcc_lo
	s_branch .LBB297_153
.LBB297_150:
	s_or_saveexec_b32 s37, s37
                                        ; implicit-def: $sgpr38
	s_delay_alu instid0(SALU_CYCLE_1)
	s_xor_b32 exec_lo, exec_lo, s37
	s_cbranch_execz .LBB297_52
.LBB297_151:
	v_add_f32_e64 v2, 0x46000000, |v0|
	s_and_not1_b32 s25, s25, exec_lo
	s_mov_b32 s38, 0
	s_delay_alu instid0(VALU_DEP_1) | instskip(NEXT) | instid1(VALU_DEP_1)
	v_and_b32_e32 v2, 0xff, v2
	v_cmp_ne_u32_e32 vcc_lo, 0, v2
	s_and_b32 s41, vcc_lo, exec_lo
	s_delay_alu instid0(SALU_CYCLE_1)
	s_or_b32 s25, s25, s41
	s_or_b32 exec_lo, exec_lo, s37
	v_mov_b32_e32 v7, s38
	s_and_saveexec_b32 s37, s25
	s_cbranch_execnz .LBB297_53
	s_branch .LBB297_54
.LBB297_152:
	s_mov_b32 s3, -1
                                        ; implicit-def: $vgpr3
.LBB297_153:
	s_mov_b32 s24, 0
.LBB297_154:
	s_delay_alu instid0(SALU_CYCLE_1)
	s_and_b32 vcc_lo, exec_lo, s24
	s_cbranch_vccz .LBB297_158
; %bb.155:
	v_cmp_eq_u16_e32 vcc_lo, 29, v5
	s_cbranch_vccz .LBB297_157
; %bb.156:
	global_load_b32 v3, v[1:2], off
	s_mov_b32 s2, -1
	s_mov_b32 s3, 0
	s_branch .LBB297_158
.LBB297_157:
	s_mov_b32 s3, -1
                                        ; implicit-def: $vgpr3
.LBB297_158:
	s_mov_b32 s24, 0
.LBB297_159:
	s_delay_alu instid0(SALU_CYCLE_1)
	s_and_b32 vcc_lo, exec_lo, s24
	s_cbranch_vccz .LBB297_175
; %bb.160:
	v_cmp_gt_i16_e32 vcc_lo, 27, v5
	s_cbranch_vccnz .LBB297_163
; %bb.161:
	v_cmp_lt_i16_e32 vcc_lo, 27, v5
	s_cbranch_vccz .LBB297_164
; %bb.162:
	global_load_b32 v3, v[1:2], off
	s_mov_b32 s2, 0
	s_branch .LBB297_165
.LBB297_163:
	s_mov_b32 s2, -1
                                        ; implicit-def: $vgpr3
	s_branch .LBB297_168
.LBB297_164:
	s_mov_b32 s2, -1
                                        ; implicit-def: $vgpr3
.LBB297_165:
	s_delay_alu instid0(SALU_CYCLE_1)
	s_and_not1_b32 vcc_lo, exec_lo, s2
	s_cbranch_vccnz .LBB297_167
; %bb.166:
	global_load_u16 v3, v[1:2], off
.LBB297_167:
	s_mov_b32 s2, 0
.LBB297_168:
	s_delay_alu instid0(SALU_CYCLE_1)
	s_and_not1_b32 vcc_lo, exec_lo, s2
	s_cbranch_vccnz .LBB297_174
; %bb.169:
	global_load_u8 v4, v[1:2], off
	s_mov_b32 s2, 0
	s_mov_b32 s24, exec_lo
                                        ; implicit-def: $sgpr25
	s_waitcnt vmcnt(0)
	v_cmpx_lt_i16_e32 0x7f, v4
	s_xor_b32 s24, exec_lo, s24
	s_cbranch_execz .LBB297_185
; %bb.170:
	v_cmp_ne_u16_e32 vcc_lo, 0x80, v4
	s_mov_b32 s25, 0
	s_and_b32 s2, vcc_lo, exec_lo
	s_or_saveexec_b32 s24, s24
	v_mov_b32_e32 v3, s25
	s_xor_b32 exec_lo, exec_lo, s24
	s_cbranch_execnz .LBB297_186
.LBB297_171:
	s_or_b32 exec_lo, exec_lo, s24
	s_and_saveexec_b32 s24, s2
	s_cbranch_execz .LBB297_173
.LBB297_172:
	v_and_b32_e32 v3, 0xffff, v4
	s_delay_alu instid0(VALU_DEP_1) | instskip(NEXT) | instid1(VALU_DEP_1)
	v_and_b32_e32 v6, 7, v3
	v_clz_i32_u32_e32 v7, v6
	s_delay_alu instid0(VALU_DEP_1) | instskip(NEXT) | instid1(VALU_DEP_1)
	v_min_u32_e32 v7, 32, v7
	v_subrev_nc_u32_e32 v9, 28, v7
	v_sub_nc_u32_e32 v7, 29, v7
	s_delay_alu instid0(VALU_DEP_2) | instskip(SKIP_1) | instid1(VALU_DEP_2)
	v_lshlrev_b32_e32 v9, v9, v3
	v_bfe_u32 v3, v3, 3, 4
	v_and_b32_e32 v9, 7, v9
	s_delay_alu instid0(VALU_DEP_2) | instskip(SKIP_1) | instid1(VALU_DEP_3)
	v_cmp_eq_u32_e32 vcc_lo, 0, v3
	v_dual_cndmask_b32 v3, v3, v7 :: v_dual_lshlrev_b32 v4, 24, v4
	v_cndmask_b32_e32 v6, v6, v9, vcc_lo
	s_delay_alu instid0(VALU_DEP_2) | instskip(NEXT) | instid1(VALU_DEP_3)
	v_and_b32_e32 v4, 0x80000000, v4
	v_lshl_add_u32 v3, v3, 23, 0x3b800000
	s_delay_alu instid0(VALU_DEP_3) | instskip(NEXT) | instid1(VALU_DEP_1)
	v_lshlrev_b32_e32 v6, 20, v6
	v_or3_b32 v3, v4, v3, v6
	s_delay_alu instid0(VALU_DEP_1)
	v_cvt_i32_f32_e32 v3, v3
.LBB297_173:
	s_or_b32 exec_lo, exec_lo, s24
.LBB297_174:
	s_mov_b32 s2, -1
.LBB297_175:
	s_branch .LBB297_208
.LBB297_176:
	v_cmp_lt_i16_e32 vcc_lo, 22, v5
	s_cbranch_vccz .LBB297_184
; %bb.177:
	v_cmp_gt_i16_e32 vcc_lo, 24, v5
	s_cbranch_vccnz .LBB297_187
; %bb.178:
	v_cmp_lt_i16_e32 vcc_lo, 24, v5
	s_cbranch_vccz .LBB297_188
; %bb.179:
	global_load_u8 v4, v[1:2], off
	s_mov_b32 s2, 0
	s_mov_b32 s24, exec_lo
                                        ; implicit-def: $sgpr25
	s_waitcnt vmcnt(0)
	v_cmpx_lt_i16_e32 0x7f, v4
	s_xor_b32 s24, exec_lo, s24
	s_cbranch_execz .LBB297_200
; %bb.180:
	v_cmp_ne_u16_e32 vcc_lo, 0x80, v4
	s_mov_b32 s25, 0
	s_and_b32 s2, vcc_lo, exec_lo
	s_or_saveexec_b32 s24, s24
	v_mov_b32_e32 v3, s25
	s_xor_b32 exec_lo, exec_lo, s24
	s_cbranch_execnz .LBB297_201
.LBB297_181:
	s_or_b32 exec_lo, exec_lo, s24
	s_and_saveexec_b32 s24, s2
	s_cbranch_execz .LBB297_183
.LBB297_182:
	v_and_b32_e32 v3, 0xffff, v4
	s_delay_alu instid0(VALU_DEP_1) | instskip(NEXT) | instid1(VALU_DEP_1)
	v_and_b32_e32 v6, 3, v3
	v_clz_i32_u32_e32 v7, v6
	s_delay_alu instid0(VALU_DEP_1) | instskip(NEXT) | instid1(VALU_DEP_1)
	v_min_u32_e32 v7, 32, v7
	v_subrev_nc_u32_e32 v9, 29, v7
	v_sub_nc_u32_e32 v7, 30, v7
	s_delay_alu instid0(VALU_DEP_2) | instskip(SKIP_1) | instid1(VALU_DEP_2)
	v_lshlrev_b32_e32 v9, v9, v3
	v_bfe_u32 v3, v3, 2, 5
	v_and_b32_e32 v9, 3, v9
	s_delay_alu instid0(VALU_DEP_2) | instskip(SKIP_1) | instid1(VALU_DEP_3)
	v_cmp_eq_u32_e32 vcc_lo, 0, v3
	v_dual_cndmask_b32 v3, v3, v7 :: v_dual_lshlrev_b32 v4, 24, v4
	v_cndmask_b32_e32 v6, v6, v9, vcc_lo
	s_delay_alu instid0(VALU_DEP_2) | instskip(NEXT) | instid1(VALU_DEP_3)
	v_and_b32_e32 v4, 0x80000000, v4
	v_lshl_add_u32 v3, v3, 23, 0x37800000
	s_delay_alu instid0(VALU_DEP_3) | instskip(NEXT) | instid1(VALU_DEP_1)
	v_lshlrev_b32_e32 v6, 21, v6
	v_or3_b32 v3, v4, v3, v6
	s_delay_alu instid0(VALU_DEP_1)
	v_cvt_i32_f32_e32 v3, v3
.LBB297_183:
	s_or_b32 exec_lo, exec_lo, s24
	s_mov_b32 s2, 0
	s_branch .LBB297_189
.LBB297_184:
	s_mov_b32 s24, -1
                                        ; implicit-def: $vgpr3
	s_branch .LBB297_195
.LBB297_185:
	s_or_saveexec_b32 s24, s24
	v_mov_b32_e32 v3, s25
	s_xor_b32 exec_lo, exec_lo, s24
	s_cbranch_execz .LBB297_171
.LBB297_186:
	v_cmp_ne_u16_e32 vcc_lo, 0, v4
	v_mov_b32_e32 v3, 0
	s_and_not1_b32 s2, s2, exec_lo
	s_and_b32 s25, vcc_lo, exec_lo
	s_delay_alu instid0(SALU_CYCLE_1)
	s_or_b32 s2, s2, s25
	s_or_b32 exec_lo, exec_lo, s24
	s_and_saveexec_b32 s24, s2
	s_cbranch_execnz .LBB297_172
	s_branch .LBB297_173
.LBB297_187:
	s_mov_b32 s2, -1
                                        ; implicit-def: $vgpr3
	s_branch .LBB297_192
.LBB297_188:
	s_mov_b32 s2, -1
                                        ; implicit-def: $vgpr3
.LBB297_189:
	s_delay_alu instid0(SALU_CYCLE_1)
	s_and_b32 vcc_lo, exec_lo, s2
	s_cbranch_vccz .LBB297_191
; %bb.190:
	global_load_u8 v3, v[1:2], off
	s_waitcnt vmcnt(0)
	v_lshlrev_b32_e32 v3, 24, v3
	s_delay_alu instid0(VALU_DEP_1) | instskip(NEXT) | instid1(VALU_DEP_1)
	v_and_b32_e32 v4, 0x7f000000, v3
	v_clz_i32_u32_e32 v6, v4
	v_add_nc_u32_e32 v9, 0x1000000, v4
	v_cmp_ne_u32_e32 vcc_lo, 0, v4
	s_delay_alu instid0(VALU_DEP_3) | instskip(NEXT) | instid1(VALU_DEP_1)
	v_min_u32_e32 v6, 32, v6
	v_sub_nc_u32_e64 v6, v6, 4 clamp
	s_delay_alu instid0(VALU_DEP_1) | instskip(SKIP_1) | instid1(VALU_DEP_2)
	v_lshlrev_b32_e32 v7, v6, v4
	v_lshlrev_b32_e32 v6, 23, v6
	v_lshrrev_b32_e32 v7, 4, v7
	s_delay_alu instid0(VALU_DEP_1) | instskip(SKIP_1) | instid1(VALU_DEP_2)
	v_sub_nc_u32_e32 v6, v7, v6
	v_ashrrev_i32_e32 v7, 8, v9
	v_add_nc_u32_e32 v6, 0x3c000000, v6
	s_delay_alu instid0(VALU_DEP_1) | instskip(NEXT) | instid1(VALU_DEP_1)
	v_and_or_b32 v6, 0x7f800000, v7, v6
	v_cndmask_b32_e32 v4, 0, v6, vcc_lo
	s_delay_alu instid0(VALU_DEP_1) | instskip(NEXT) | instid1(VALU_DEP_1)
	v_and_or_b32 v3, 0x80000000, v3, v4
	v_cvt_i32_f32_e32 v3, v3
.LBB297_191:
	s_mov_b32 s2, 0
.LBB297_192:
	s_delay_alu instid0(SALU_CYCLE_1)
	s_and_not1_b32 vcc_lo, exec_lo, s2
	s_cbranch_vccnz .LBB297_194
; %bb.193:
	global_load_u8 v3, v[1:2], off
	s_waitcnt vmcnt(0)
	v_lshlrev_b32_e32 v4, 25, v3
	v_lshlrev_b16 v3, 8, v3
	s_delay_alu instid0(VALU_DEP_2) | instskip(NEXT) | instid1(VALU_DEP_2)
	v_lshrrev_b32_e32 v6, 4, v4
	v_and_or_b32 v7, 0x7f00, v3, 0.5
	v_cmp_gt_u32_e32 vcc_lo, 0x8000000, v4
	v_bfe_i32 v3, v3, 0, 16
	s_delay_alu instid0(VALU_DEP_4) | instskip(NEXT) | instid1(VALU_DEP_1)
	v_or_b32_e32 v6, 0x70000000, v6
	v_dual_add_f32 v7, -0.5, v7 :: v_dual_mul_f32 v6, 0x7800000, v6
	s_delay_alu instid0(VALU_DEP_1) | instskip(NEXT) | instid1(VALU_DEP_1)
	v_cndmask_b32_e32 v4, v6, v7, vcc_lo
	v_and_or_b32 v3, 0x80000000, v3, v4
	s_delay_alu instid0(VALU_DEP_1)
	v_cvt_i32_f32_e32 v3, v3
.LBB297_194:
	s_mov_b32 s24, 0
	s_mov_b32 s2, -1
.LBB297_195:
	s_and_not1_b32 vcc_lo, exec_lo, s24
	s_cbranch_vccnz .LBB297_208
; %bb.196:
	v_cmp_lt_i16_e32 vcc_lo, 14, v5
	s_cbranch_vccz .LBB297_199
; %bb.197:
	v_cmp_eq_u16_e32 vcc_lo, 15, v5
	s_cbranch_vccz .LBB297_202
; %bb.198:
	global_load_u16 v3, v[1:2], off
	s_mov_b32 s2, -1
	s_mov_b32 s3, 0
	s_waitcnt vmcnt(0)
	v_lshlrev_b32_e32 v3, 16, v3
	s_delay_alu instid0(VALU_DEP_1)
	v_cvt_i32_f32_e32 v3, v3
	s_branch .LBB297_203
.LBB297_199:
	s_mov_b32 s24, -1
                                        ; implicit-def: $vgpr3
	s_branch .LBB297_204
.LBB297_200:
	s_or_saveexec_b32 s24, s24
	v_mov_b32_e32 v3, s25
	s_xor_b32 exec_lo, exec_lo, s24
	s_cbranch_execz .LBB297_181
.LBB297_201:
	v_cmp_ne_u16_e32 vcc_lo, 0, v4
	v_mov_b32_e32 v3, 0
	s_and_not1_b32 s2, s2, exec_lo
	s_and_b32 s25, vcc_lo, exec_lo
	s_delay_alu instid0(SALU_CYCLE_1)
	s_or_b32 s2, s2, s25
	s_or_b32 exec_lo, exec_lo, s24
	s_and_saveexec_b32 s24, s2
	s_cbranch_execnz .LBB297_182
	s_branch .LBB297_183
.LBB297_202:
	s_mov_b32 s3, -1
                                        ; implicit-def: $vgpr3
.LBB297_203:
	s_mov_b32 s24, 0
.LBB297_204:
	s_delay_alu instid0(SALU_CYCLE_1)
	s_and_b32 vcc_lo, exec_lo, s24
	s_cbranch_vccz .LBB297_208
; %bb.205:
	v_cmp_eq_u16_e32 vcc_lo, 11, v5
	s_cbranch_vccz .LBB297_207
; %bb.206:
	global_load_u8 v3, v[1:2], off
	s_mov_b32 s3, 0
	s_mov_b32 s2, -1
	s_waitcnt vmcnt(0)
	v_cmp_ne_u16_e32 vcc_lo, 0, v3
	v_cndmask_b32_e64 v3, 0, 1, vcc_lo
	s_branch .LBB297_208
.LBB297_207:
	s_mov_b32 s3, -1
                                        ; implicit-def: $vgpr3
.LBB297_208:
	s_branch .LBB297_23
.LBB297_209:
	v_cmp_gt_i16_e32 vcc_lo, 5, v5
	s_cbranch_vccnz .LBB297_214
; %bb.210:
	v_cmp_gt_i16_e32 vcc_lo, 8, v5
	s_cbranch_vccnz .LBB297_215
; %bb.211:
	v_cmp_gt_i16_e32 vcc_lo, 9, v5
	s_cbranch_vccnz .LBB297_216
; %bb.212:
	v_cmp_lt_i16_e32 vcc_lo, 9, v5
	s_cbranch_vccz .LBB297_217
; %bb.213:
	global_load_b64 v[3:4], v[1:2], off
	s_mov_b32 s2, 0
	s_waitcnt vmcnt(0)
	v_cvt_i32_f64_e32 v3, v[3:4]
	s_branch .LBB297_218
.LBB297_214:
                                        ; implicit-def: $vgpr3
	s_branch .LBB297_236
.LBB297_215:
	s_mov_b32 s2, -1
                                        ; implicit-def: $vgpr3
	s_branch .LBB297_224
.LBB297_216:
	s_mov_b32 s2, -1
                                        ; implicit-def: $vgpr3
	s_branch .LBB297_221
.LBB297_217:
	s_mov_b32 s2, -1
                                        ; implicit-def: $vgpr3
.LBB297_218:
	s_delay_alu instid0(SALU_CYCLE_1)
	s_and_not1_b32 vcc_lo, exec_lo, s2
	s_cbranch_vccnz .LBB297_220
; %bb.219:
	global_load_b32 v3, v[1:2], off
	s_waitcnt vmcnt(0)
	v_cvt_i32_f32_e32 v3, v3
.LBB297_220:
	s_mov_b32 s2, 0
.LBB297_221:
	s_delay_alu instid0(SALU_CYCLE_1)
	s_and_not1_b32 vcc_lo, exec_lo, s2
	s_cbranch_vccnz .LBB297_223
; %bb.222:
	global_load_b32 v3, v[1:2], off
	s_waitcnt vmcnt(0)
	v_cvt_f32_f16_e32 v3, v3
	s_delay_alu instid0(VALU_DEP_1)
	v_cvt_i32_f32_e32 v3, v3
.LBB297_223:
	s_mov_b32 s2, 0
.LBB297_224:
	s_delay_alu instid0(SALU_CYCLE_1)
	s_and_not1_b32 vcc_lo, exec_lo, s2
	s_cbranch_vccnz .LBB297_235
; %bb.225:
	v_cmp_gt_i16_e32 vcc_lo, 6, v5
	s_cbranch_vccnz .LBB297_228
; %bb.226:
	v_cmp_lt_i16_e32 vcc_lo, 6, v5
	s_cbranch_vccz .LBB297_229
; %bb.227:
	global_load_b64 v[3:4], v[1:2], off
	s_mov_b32 s2, 0
	s_waitcnt vmcnt(0)
	v_cvt_i32_f64_e32 v3, v[3:4]
	s_branch .LBB297_230
.LBB297_228:
	s_mov_b32 s2, -1
                                        ; implicit-def: $vgpr3
	s_branch .LBB297_233
.LBB297_229:
	s_mov_b32 s2, -1
                                        ; implicit-def: $vgpr3
.LBB297_230:
	s_delay_alu instid0(SALU_CYCLE_1)
	s_and_not1_b32 vcc_lo, exec_lo, s2
	s_cbranch_vccnz .LBB297_232
; %bb.231:
	global_load_b32 v3, v[1:2], off
	s_waitcnt vmcnt(0)
	v_cvt_i32_f32_e32 v3, v3
.LBB297_232:
	s_mov_b32 s2, 0
.LBB297_233:
	s_delay_alu instid0(SALU_CYCLE_1)
	s_and_not1_b32 vcc_lo, exec_lo, s2
	s_cbranch_vccnz .LBB297_235
; %bb.234:
	global_load_u16 v3, v[1:2], off
	s_waitcnt vmcnt(0)
	v_cvt_f32_f16_e32 v3, v3
	s_delay_alu instid0(VALU_DEP_1)
	v_cvt_i32_f32_e32 v3, v3
.LBB297_235:
	s_cbranch_execnz .LBB297_255
.LBB297_236:
	v_cmp_gt_i16_e32 vcc_lo, 2, v5
	s_cbranch_vccnz .LBB297_240
; %bb.237:
	v_cmp_gt_i16_e32 vcc_lo, 3, v5
	s_cbranch_vccnz .LBB297_241
; %bb.238:
	v_cmp_lt_i16_e32 vcc_lo, 3, v5
	s_cbranch_vccz .LBB297_242
; %bb.239:
	global_load_b32 v3, v[1:2], off
	s_mov_b32 s2, 0
	s_branch .LBB297_243
.LBB297_240:
	s_mov_b32 s2, -1
                                        ; implicit-def: $vgpr3
	s_branch .LBB297_249
.LBB297_241:
	s_mov_b32 s2, -1
                                        ; implicit-def: $vgpr3
	s_branch .LBB297_246
.LBB297_242:
	s_mov_b32 s2, -1
                                        ; implicit-def: $vgpr3
.LBB297_243:
	s_delay_alu instid0(SALU_CYCLE_1)
	s_and_not1_b32 vcc_lo, exec_lo, s2
	s_cbranch_vccnz .LBB297_245
; %bb.244:
	global_load_b32 v3, v[1:2], off
.LBB297_245:
	s_mov_b32 s2, 0
.LBB297_246:
	s_delay_alu instid0(SALU_CYCLE_1)
	s_and_not1_b32 vcc_lo, exec_lo, s2
	s_cbranch_vccnz .LBB297_248
; %bb.247:
	global_load_i16 v3, v[1:2], off
.LBB297_248:
	s_mov_b32 s2, 0
.LBB297_249:
	s_delay_alu instid0(SALU_CYCLE_1)
	s_and_not1_b32 vcc_lo, exec_lo, s2
	s_cbranch_vccnz .LBB297_255
; %bb.250:
	v_cmp_lt_i16_e32 vcc_lo, 0, v5
	s_mov_b32 s2, 0
	s_cbranch_vccz .LBB297_252
; %bb.251:
	global_load_i8 v3, v[1:2], off
	s_branch .LBB297_253
.LBB297_252:
	s_mov_b32 s2, -1
                                        ; implicit-def: $vgpr3
.LBB297_253:
	s_delay_alu instid0(SALU_CYCLE_1)
	s_and_not1_b32 vcc_lo, exec_lo, s2
	s_cbranch_vccnz .LBB297_255
; %bb.254:
	global_load_u8 v3, v[1:2], off
.LBB297_255:
	s_branch .LBB297_24
.LBB297_256:
	s_mov_b32 s2, 0
.LBB297_257:
	s_mov_b32 s24, 0
                                        ; implicit-def: $vgpr8
.LBB297_258:
	s_and_b32 s37, s2, exec_lo
	s_and_b32 s38, s3, exec_lo
	s_or_not1_b32 s3, s24, exec_lo
.LBB297_259:
	s_or_b32 exec_lo, exec_lo, s39
	s_mov_b32 s24, 0
	s_mov_b32 s2, 0
                                        ; implicit-def: $vgpr1_vgpr2
                                        ; implicit-def: $vgpr0
                                        ; implicit-def: $vgpr6
	s_and_saveexec_b32 s39, s3
	s_cbranch_execz .LBB297_890
; %bb.260:
	s_mov_b32 s2, -1
	s_mov_b32 s40, s38
	s_mov_b32 s41, s37
	s_mov_b32 s42, exec_lo
	v_cmpx_gt_i32_e64 s34, v8
	s_cbranch_execz .LBB297_525
; %bb.261:
	s_and_not1_b32 vcc_lo, exec_lo, s29
	s_cbranch_vccnz .LBB297_266
; %bb.262:
	v_dual_mov_b32 v0, 0 :: v_dual_mov_b32 v1, 0
	s_and_not1_b32 vcc_lo, exec_lo, s36
	s_mov_b32 s40, 0
	s_cbranch_vccnz .LBB297_271
; %bb.263:
	v_mov_b32_e32 v0, 0
	s_add_i32 s43, s35, 1
	s_cmp_eq_u32 s27, 2
	s_mov_b32 s41, 0
	s_cbranch_scc1 .LBB297_267
; %bb.264:
	v_dual_mov_b32 v1, 0 :: v_dual_mov_b32 v0, 0
	v_mov_b32_e32 v2, v8
	s_and_b32 s41, s43, 28
	s_mov_b32 s44, 0
	s_mov_b64 s[2:3], s[22:23]
	s_mov_b64 s[24:25], s[16:17]
.LBB297_265:                            ; =>This Inner Loop Header: Depth=1
	s_clause 0x1
	s_load_b256 s[48:55], s[24:25], 0x4
	s_load_b128 s[64:67], s[24:25], 0x24
	s_load_b256 s[56:63], s[2:3], 0x0
	s_add_u32 s24, s24, 48
	s_addc_u32 s25, s25, 0
	s_add_i32 s44, s44, 4
	s_add_u32 s2, s2, 32
	s_addc_u32 s3, s3, 0
	s_cmp_eq_u32 s41, s44
	s_waitcnt vmcnt(0) lgkmcnt(0)
	v_mul_hi_u32 v3, s49, v2
	s_delay_alu instid0(VALU_DEP_1) | instskip(NEXT) | instid1(VALU_DEP_1)
	v_add_nc_u32_e32 v3, v2, v3
	v_lshrrev_b32_e32 v3, s50, v3
	s_delay_alu instid0(VALU_DEP_1) | instskip(SKIP_1) | instid1(VALU_DEP_2)
	v_mul_hi_u32 v4, s52, v3
	v_mul_lo_u32 v7, v3, s48
	v_add_nc_u32_e32 v4, v3, v4
	s_delay_alu instid0(VALU_DEP_2) | instskip(NEXT) | instid1(VALU_DEP_2)
	v_sub_nc_u32_e32 v2, v2, v7
	v_lshrrev_b32_e32 v4, s53, v4
	s_delay_alu instid0(VALU_DEP_2) | instskip(SKIP_1) | instid1(VALU_DEP_3)
	v_mul_lo_u32 v7, v2, s56
	v_mul_lo_u32 v10, v2, s57
	v_mul_hi_u32 v6, s55, v4
	s_delay_alu instid0(VALU_DEP_1) | instskip(NEXT) | instid1(VALU_DEP_1)
	v_add_nc_u32_e32 v6, v4, v6
	v_lshrrev_b32_e32 v6, s64, v6
	s_delay_alu instid0(VALU_DEP_1) | instskip(SKIP_1) | instid1(VALU_DEP_2)
	v_mul_hi_u32 v9, s66, v6
	v_mul_lo_u32 v11, v6, s54
	v_add_nc_u32_e32 v2, v6, v9
	v_mul_lo_u32 v9, v4, s51
	s_delay_alu instid0(VALU_DEP_3) | instskip(NEXT) | instid1(VALU_DEP_3)
	v_sub_nc_u32_e32 v4, v4, v11
	v_lshrrev_b32_e32 v2, s67, v2
	s_delay_alu instid0(VALU_DEP_2) | instskip(SKIP_2) | instid1(VALU_DEP_4)
	v_mul_lo_u32 v11, v4, s60
	v_mul_lo_u32 v4, v4, s61
	v_sub_nc_u32_e32 v3, v3, v9
	v_mul_lo_u32 v12, v2, s65
	s_delay_alu instid0(VALU_DEP_2) | instskip(SKIP_1) | instid1(VALU_DEP_3)
	v_mul_lo_u32 v9, v3, s58
	v_mul_lo_u32 v3, v3, s59
	v_sub_nc_u32_e32 v6, v6, v12
	s_delay_alu instid0(VALU_DEP_3) | instskip(NEXT) | instid1(VALU_DEP_2)
	v_add3_u32 v0, v7, v0, v9
	v_mul_lo_u32 v12, v6, s62
	v_mul_lo_u32 v6, v6, s63
	v_add3_u32 v1, v10, v1, v3
	s_delay_alu instid0(VALU_DEP_3) | instskip(NEXT) | instid1(VALU_DEP_2)
	v_add3_u32 v0, v11, v0, v12
	v_add3_u32 v1, v4, v1, v6
	s_cbranch_scc0 .LBB297_265
	s_branch .LBB297_268
.LBB297_266:
	s_mov_b32 s40, -1
                                        ; implicit-def: $vgpr0
                                        ; implicit-def: $vgpr1
	s_branch .LBB297_271
.LBB297_267:
	v_dual_mov_b32 v2, v8 :: v_dual_mov_b32 v1, 0
.LBB297_268:
	s_and_b32 s43, s43, 3
	s_delay_alu instid0(SALU_CYCLE_1)
	s_cmp_eq_u32 s43, 0
	s_cbranch_scc1 .LBB297_271
; %bb.269:
	s_lshl_b32 s2, s41, 3
	s_mul_i32 s24, s41, 12
	s_add_u32 s2, s2, s16
	s_addc_u32 s3, s17, 0
	s_add_u32 s2, s2, 0xc4
	s_addc_u32 s3, s3, 0
	;; [unrolled: 2-line block ×3, first 2 shown]
	.p2align	6
.LBB297_270:                            ; =>This Inner Loop Header: Depth=1
	s_clause 0x1
	s_load_b64 s[44:45], s[24:25], 0x4
	s_load_b32 s41, s[24:25], 0xc
	s_load_b64 s[46:47], s[2:3], 0x0
	s_add_u32 s24, s24, 12
	s_addc_u32 s25, s25, 0
	s_add_u32 s2, s2, 8
	s_addc_u32 s3, s3, 0
	s_add_i32 s43, s43, -1
	s_delay_alu instid0(SALU_CYCLE_1) | instskip(SKIP_2) | instid1(VALU_DEP_1)
	s_cmp_lg_u32 s43, 0
	s_waitcnt vmcnt(0) lgkmcnt(0)
	v_mul_hi_u32 v3, s45, v2
	v_add_nc_u32_e32 v3, v2, v3
	s_delay_alu instid0(VALU_DEP_1) | instskip(NEXT) | instid1(VALU_DEP_1)
	v_lshrrev_b32_e32 v9, s41, v3
	v_mul_lo_u32 v3, v9, s44
	s_delay_alu instid0(VALU_DEP_1) | instskip(NEXT) | instid1(VALU_DEP_1)
	v_sub_nc_u32_e32 v2, v2, v3
	v_mad_u64_u32 v[3:4], null, v2, s46, v[0:1]
	v_mad_u64_u32 v[6:7], null, v2, s47, v[1:2]
	v_mov_b32_e32 v2, v9
	s_delay_alu instid0(VALU_DEP_2)
	v_dual_mov_b32 v0, v3 :: v_dual_mov_b32 v1, v6
	s_cbranch_scc1 .LBB297_270
.LBB297_271:
	s_and_not1_b32 vcc_lo, exec_lo, s40
	s_cbranch_vccnz .LBB297_274
; %bb.272:
	v_mul_hi_u32 v0, s13, v8
	s_and_not1_b32 vcc_lo, exec_lo, s33
	s_delay_alu instid0(VALU_DEP_1) | instskip(NEXT) | instid1(VALU_DEP_1)
	v_add_nc_u32_e32 v0, v8, v0
	v_lshrrev_b32_e32 v2, s14, v0
	s_delay_alu instid0(VALU_DEP_1) | instskip(NEXT) | instid1(VALU_DEP_1)
	v_mul_lo_u32 v0, v2, s12
	v_sub_nc_u32_e32 v1, v8, v0
	s_delay_alu instid0(VALU_DEP_1)
	v_mul_lo_u32 v0, v1, s8
	v_mul_lo_u32 v1, v1, s9
	s_cbranch_vccnz .LBB297_274
; %bb.273:
	s_waitcnt vmcnt(0)
	v_mul_hi_u32 v3, s20, v2
	s_delay_alu instid0(VALU_DEP_1) | instskip(NEXT) | instid1(VALU_DEP_1)
	v_add_nc_u32_e32 v3, v2, v3
	v_lshrrev_b32_e32 v3, s21, v3
	s_delay_alu instid0(VALU_DEP_1) | instskip(NEXT) | instid1(VALU_DEP_1)
	v_mul_lo_u32 v3, v3, s15
	v_sub_nc_u32_e32 v6, v2, v3
	s_delay_alu instid0(VALU_DEP_1) | instskip(NEXT) | instid1(VALU_DEP_1)
	v_mad_u64_u32 v[2:3], null, v6, s10, v[0:1]
	v_mad_u64_u32 v[3:4], null, v6, s11, v[1:2]
	s_delay_alu instid0(VALU_DEP_1)
	v_dual_mov_b32 v0, v2 :: v_dual_mov_b32 v1, v3
.LBB297_274:
	v_cmp_gt_i16_e32 vcc_lo, 11, v5
	s_delay_alu instid0(VALU_DEP_2) | instskip(NEXT) | instid1(VALU_DEP_1)
	v_add_co_u32 v1, s2, s6, v1
	v_add_co_ci_u32_e64 v2, null, s7, 0, s2
	s_mov_b32 s2, 0
	s_cbranch_vccnz .LBB297_281
; %bb.275:
	v_cmp_lt_i16_e32 vcc_lo, 25, v5
	s_cbranch_vccz .LBB297_330
; %bb.276:
	v_cmp_lt_i16_e32 vcc_lo, 28, v5
	s_cbranch_vccz .LBB297_331
	;; [unrolled: 3-line block ×4, first 2 shown]
; %bb.279:
	v_cmp_eq_u16_e32 vcc_lo, 46, v5
	s_mov_b32 s24, 0
	s_cbranch_vccz .LBB297_339
; %bb.280:
	global_load_b32 v3, v[1:2], off
	s_mov_b32 s2, -1
	s_mov_b32 s3, 0
	s_waitcnt vmcnt(0)
	v_lshlrev_b32_e32 v3, 16, v3
	s_delay_alu instid0(VALU_DEP_1)
	v_cvt_i32_f32_e32 v3, v3
	s_branch .LBB297_341
.LBB297_281:
	s_mov_b32 s3, s38
                                        ; implicit-def: $vgpr3
	s_cbranch_execnz .LBB297_474
.LBB297_282:
	s_and_not1_b32 vcc_lo, exec_lo, s2
	s_cbranch_vccnz .LBB297_522
.LBB297_283:
	v_and_b32_e64 v6, 0xff, s31
	s_waitcnt vmcnt(0)
	s_delay_alu instid0(VALU_DEP_2) | instskip(SKIP_1) | instid1(VALU_DEP_1)
	v_maxmin_i32 v1, v3, s18, s19
	v_add_co_u32 v3, s2, s4, v0
	v_add_co_ci_u32_e64 v4, null, s5, 0, s2
	v_cmp_gt_i16_e32 vcc_lo, 11, v6
	s_mov_b32 s24, 0
	s_mov_b32 s25, -1
	s_mov_b32 s2, s37
	s_cbranch_vccnz .LBB297_290
; %bb.284:
	v_cmp_lt_i16_e32 vcc_lo, 25, v6
	s_cbranch_vccz .LBB297_332
; %bb.285:
	v_cmp_lt_i16_e32 vcc_lo, 28, v6
	s_cbranch_vccz .LBB297_334
	;; [unrolled: 3-line block ×4, first 2 shown]
; %bb.288:
	v_cmp_eq_u16_e32 vcc_lo, 46, v6
	s_mov_b32 s25, 0
	s_mov_b32 s2, -1
	s_cbranch_vccz .LBB297_345
; %bb.289:
	v_cvt_f32_i32_e32 v0, v1
	s_mov_b32 s24, -1
	s_mov_b32 s2, 0
	s_delay_alu instid0(VALU_DEP_1) | instskip(NEXT) | instid1(VALU_DEP_1)
	v_bfe_u32 v2, v0, 16, 1
	v_add3_u32 v0, v0, v2, 0x7fff
	s_delay_alu instid0(VALU_DEP_1)
	v_lshrrev_b32_e32 v0, 16, v0
	global_store_b32 v[3:4], v0, off
	s_branch .LBB297_345
.LBB297_290:
	s_and_b32 vcc_lo, exec_lo, s25
	s_cbranch_vccz .LBB297_414
; %bb.291:
	v_cmp_gt_i16_e32 vcc_lo, 5, v6
	s_mov_b32 s24, -1
	s_cbranch_vccnz .LBB297_312
; %bb.292:
	v_cmp_gt_i16_e32 vcc_lo, 8, v6
	s_cbranch_vccnz .LBB297_302
; %bb.293:
	v_cmp_gt_i16_e32 vcc_lo, 9, v6
	s_cbranch_vccnz .LBB297_299
; %bb.294:
	v_cmp_lt_i16_e32 vcc_lo, 9, v6
	s_cbranch_vccz .LBB297_296
; %bb.295:
	v_cvt_f64_i32_e32 v[9:10], v1
	v_mov_b32_e32 v11, 0
	s_mov_b32 s24, 0
	s_delay_alu instid0(VALU_DEP_1)
	v_mov_b32_e32 v12, v11
	global_store_b128 v[3:4], v[9:12], off
.LBB297_296:
	s_and_not1_b32 vcc_lo, exec_lo, s24
	s_cbranch_vccnz .LBB297_298
; %bb.297:
	v_cvt_f32_i32_e32 v9, v1
	v_mov_b32_e32 v10, 0
	global_store_b64 v[3:4], v[9:10], off
.LBB297_298:
	s_mov_b32 s24, 0
.LBB297_299:
	s_delay_alu instid0(SALU_CYCLE_1)
	s_and_not1_b32 vcc_lo, exec_lo, s24
	s_cbranch_vccnz .LBB297_301
; %bb.300:
	v_cvt_f32_i32_e32 v0, v1
	s_delay_alu instid0(VALU_DEP_1) | instskip(NEXT) | instid1(VALU_DEP_1)
	v_cvt_f16_f32_e32 v0, v0
	v_and_b32_e32 v0, 0xffff, v0
	global_store_b32 v[3:4], v0, off
.LBB297_301:
	s_mov_b32 s24, 0
.LBB297_302:
	s_delay_alu instid0(SALU_CYCLE_1)
	s_and_not1_b32 vcc_lo, exec_lo, s24
	s_cbranch_vccnz .LBB297_311
; %bb.303:
	v_cmp_gt_i16_e32 vcc_lo, 6, v6
	s_mov_b32 s24, -1
	s_cbranch_vccnz .LBB297_309
; %bb.304:
	v_cmp_lt_i16_e32 vcc_lo, 6, v6
	s_cbranch_vccz .LBB297_306
; %bb.305:
	v_cvt_f64_i32_e32 v[9:10], v1
	s_mov_b32 s24, 0
	global_store_b64 v[3:4], v[9:10], off
.LBB297_306:
	s_and_not1_b32 vcc_lo, exec_lo, s24
	s_cbranch_vccnz .LBB297_308
; %bb.307:
	v_cvt_f32_i32_e32 v0, v1
	global_store_b32 v[3:4], v0, off
.LBB297_308:
	s_mov_b32 s24, 0
.LBB297_309:
	s_delay_alu instid0(SALU_CYCLE_1)
	s_and_not1_b32 vcc_lo, exec_lo, s24
	s_cbranch_vccnz .LBB297_311
; %bb.310:
	v_cvt_f32_i32_e32 v0, v1
	s_delay_alu instid0(VALU_DEP_1)
	v_cvt_f16_f32_e32 v0, v0
	global_store_b16 v[3:4], v0, off
.LBB297_311:
	s_mov_b32 s24, 0
.LBB297_312:
	s_delay_alu instid0(SALU_CYCLE_1)
	s_and_not1_b32 vcc_lo, exec_lo, s24
	s_cbranch_vccnz .LBB297_328
; %bb.313:
	v_cmp_gt_i16_e32 vcc_lo, 2, v6
	s_mov_b32 s24, -1
	s_cbranch_vccnz .LBB297_323
; %bb.314:
	v_cmp_gt_i16_e32 vcc_lo, 3, v6
	s_cbranch_vccnz .LBB297_320
; %bb.315:
	v_cmp_lt_i16_e32 vcc_lo, 3, v6
	s_cbranch_vccz .LBB297_317
; %bb.316:
	v_ashrrev_i32_e32 v2, 31, v1
	s_mov_b32 s24, 0
	global_store_b64 v[3:4], v[1:2], off
.LBB297_317:
	s_and_not1_b32 vcc_lo, exec_lo, s24
	s_cbranch_vccnz .LBB297_319
; %bb.318:
	global_store_b32 v[3:4], v1, off
.LBB297_319:
	s_mov_b32 s24, 0
.LBB297_320:
	s_delay_alu instid0(SALU_CYCLE_1)
	s_and_not1_b32 vcc_lo, exec_lo, s24
	s_cbranch_vccnz .LBB297_322
; %bb.321:
	global_store_b16 v[3:4], v1, off
.LBB297_322:
	s_mov_b32 s24, 0
.LBB297_323:
	s_delay_alu instid0(SALU_CYCLE_1)
	s_and_not1_b32 vcc_lo, exec_lo, s24
	s_cbranch_vccnz .LBB297_328
; %bb.324:
	v_cmp_lt_i16_e32 vcc_lo, 0, v6
	s_mov_b32 s24, -1
	s_cbranch_vccz .LBB297_326
; %bb.325:
	s_mov_b32 s24, 0
	global_store_b8 v[3:4], v1, off
.LBB297_326:
	s_and_not1_b32 vcc_lo, exec_lo, s24
	s_cbranch_vccnz .LBB297_328
; %bb.327:
	global_store_b8 v[3:4], v1, off
.LBB297_328:
	s_branch .LBB297_415
.LBB297_329:
	s_mov_b32 s24, 0
	s_branch .LBB297_523
.LBB297_330:
	s_mov_b32 s24, -1
	s_mov_b32 s3, s38
                                        ; implicit-def: $vgpr3
	s_branch .LBB297_440
.LBB297_331:
	s_mov_b32 s24, -1
	s_mov_b32 s3, s38
                                        ; implicit-def: $vgpr3
	s_branch .LBB297_423
.LBB297_332:
	s_mov_b32 s2, s37
	s_branch .LBB297_372
.LBB297_333:
	s_mov_b32 s24, -1
	s_mov_b32 s3, s38
                                        ; implicit-def: $vgpr3
	s_branch .LBB297_418
.LBB297_334:
	s_mov_b32 s2, s37
	s_branch .LBB297_355
.LBB297_335:
	s_mov_b32 s24, -1
	s_mov_b32 s3, s38
	s_branch .LBB297_340
.LBB297_336:
	s_mov_b32 s2, s37
	s_branch .LBB297_351
.LBB297_337:
	s_or_saveexec_b32 s37, s37
                                        ; implicit-def: $sgpr38
	s_delay_alu instid0(SALU_CYCLE_1)
	s_xor_b32 exec_lo, exec_lo, s37
	s_cbranch_execz .LBB297_65
.LBB297_338:
	v_add_f32_e64 v2, 0x42800000, |v0|
	s_and_not1_b32 s25, s25, exec_lo
	s_mov_b32 s38, 0
	s_delay_alu instid0(VALU_DEP_1) | instskip(NEXT) | instid1(VALU_DEP_1)
	v_and_b32_e32 v2, 0xff, v2
	v_cmp_ne_u32_e32 vcc_lo, 0, v2
	s_and_b32 s41, vcc_lo, exec_lo
	s_delay_alu instid0(SALU_CYCLE_1)
	s_or_b32 s25, s25, s41
	s_or_b32 exec_lo, exec_lo, s37
	v_mov_b32_e32 v7, s38
	s_and_saveexec_b32 s37, s25
	s_cbranch_execnz .LBB297_66
	s_branch .LBB297_67
.LBB297_339:
	s_mov_b32 s3, -1
.LBB297_340:
                                        ; implicit-def: $vgpr3
.LBB297_341:
	s_and_b32 vcc_lo, exec_lo, s24
	s_cbranch_vccz .LBB297_417
; %bb.342:
	v_cmp_eq_u16_e32 vcc_lo, 44, v5
	s_cbranch_vccz .LBB297_416
; %bb.343:
	global_load_u8 v3, v[1:2], off
	s_mov_b32 s3, 0
	s_mov_b32 s2, -1
	s_waitcnt vmcnt(0)
	v_lshlrev_b32_e32 v4, 23, v3
	v_cmp_ne_u32_e32 vcc_lo, 0, v3
	s_delay_alu instid0(VALU_DEP_2) | instskip(NEXT) | instid1(VALU_DEP_1)
	v_cvt_i32_f32_e32 v4, v4
	v_cndmask_b32_e32 v3, 0, v4, vcc_lo
	s_branch .LBB297_417
.LBB297_344:
	s_mov_b32 s2, s37
.LBB297_345:
	s_and_b32 vcc_lo, exec_lo, s25
	s_cbranch_vccz .LBB297_350
; %bb.346:
	v_cmp_eq_u16_e32 vcc_lo, 44, v6
	s_mov_b32 s2, -1
	s_cbranch_vccz .LBB297_350
; %bb.347:
	v_cvt_f32_i32_e32 v0, v1
	v_mov_b32_e32 v2, 0xff
	s_mov_b32 s24, exec_lo
	s_delay_alu instid0(VALU_DEP_2) | instskip(NEXT) | instid1(VALU_DEP_1)
	v_bfe_u32 v7, v0, 23, 8
	v_cmpx_ne_u32_e32 0xff, v7
; %bb.348:
	v_and_b32_e32 v2, 0x400000, v0
	v_and_or_b32 v7, 0x3fffff, v0, v7
	v_lshrrev_b32_e32 v0, 23, v0
	s_delay_alu instid0(VALU_DEP_3) | instskip(NEXT) | instid1(VALU_DEP_3)
	v_cmp_ne_u32_e32 vcc_lo, 0, v2
	v_cmp_ne_u32_e64 s2, 0, v7
	s_delay_alu instid0(VALU_DEP_1) | instskip(NEXT) | instid1(SALU_CYCLE_1)
	s_and_b32 s2, vcc_lo, s2
	v_cndmask_b32_e64 v2, 0, 1, s2
	s_delay_alu instid0(VALU_DEP_1)
	v_add_nc_u32_e32 v2, v0, v2
; %bb.349:
	s_or_b32 exec_lo, exec_lo, s24
	s_mov_b32 s24, -1
	s_mov_b32 s2, 0
	global_store_b8 v[3:4], v2, off
.LBB297_350:
	s_mov_b32 s25, 0
.LBB297_351:
	s_delay_alu instid0(SALU_CYCLE_1)
	s_and_b32 vcc_lo, exec_lo, s25
	s_cbranch_vccz .LBB297_354
; %bb.352:
	v_cmp_eq_u16_e32 vcc_lo, 29, v6
	s_mov_b32 s2, -1
	s_cbranch_vccz .LBB297_354
; %bb.353:
	v_ashrrev_i32_e32 v2, 31, v1
	s_mov_b32 s24, -1
	s_mov_b32 s2, 0
	s_mov_b32 s25, 0
	global_store_b64 v[3:4], v[1:2], off
	s_branch .LBB297_355
.LBB297_354:
	s_mov_b32 s25, 0
.LBB297_355:
	s_delay_alu instid0(SALU_CYCLE_1)
	s_and_b32 vcc_lo, exec_lo, s25
	s_cbranch_vccz .LBB297_371
; %bb.356:
	v_cmp_gt_i16_e32 vcc_lo, 27, v6
	s_mov_b32 s24, -1
	s_cbranch_vccnz .LBB297_362
; %bb.357:
	v_cmp_lt_i16_e32 vcc_lo, 27, v6
	s_cbranch_vccz .LBB297_359
; %bb.358:
	s_mov_b32 s24, 0
	global_store_b32 v[3:4], v1, off
.LBB297_359:
	s_and_not1_b32 vcc_lo, exec_lo, s24
	s_cbranch_vccnz .LBB297_361
; %bb.360:
	global_store_b16 v[3:4], v1, off
.LBB297_361:
	s_mov_b32 s24, 0
.LBB297_362:
	s_delay_alu instid0(SALU_CYCLE_1)
	s_and_not1_b32 vcc_lo, exec_lo, s24
	s_cbranch_vccnz .LBB297_370
; %bb.363:
	v_cvt_f32_i32_e32 v0, v1
	v_mov_b32_e32 v7, 0x80
	s_mov_b32 s24, exec_lo
	s_delay_alu instid0(VALU_DEP_2) | instskip(NEXT) | instid1(VALU_DEP_1)
	v_and_b32_e32 v2, 0x7fffffff, v0
	v_cmpx_gt_u32_e32 0x43800000, v2
	s_cbranch_execz .LBB297_369
; %bb.364:
	v_cmp_lt_u32_e32 vcc_lo, 0x3bffffff, v2
	s_mov_b32 s25, 0
                                        ; implicit-def: $vgpr2
	s_and_saveexec_b32 s40, vcc_lo
	s_delay_alu instid0(SALU_CYCLE_1)
	s_xor_b32 s40, exec_lo, s40
	s_cbranch_execz .LBB297_551
; %bb.365:
	v_bfe_u32 v2, v0, 20, 1
	s_mov_b32 s25, exec_lo
	s_delay_alu instid0(VALU_DEP_1) | instskip(NEXT) | instid1(VALU_DEP_1)
	v_add3_u32 v2, v0, v2, 0x487ffff
	v_lshrrev_b32_e32 v2, 20, v2
	s_or_saveexec_b32 s40, s40
                                        ; implicit-def: $sgpr41
	s_delay_alu instid0(SALU_CYCLE_1)
	s_xor_b32 exec_lo, exec_lo, s40
	s_cbranch_execnz .LBB297_552
.LBB297_366:
	s_or_b32 exec_lo, exec_lo, s40
	v_mov_b32_e32 v7, s41
	s_and_saveexec_b32 s40, s25
.LBB297_367:
	v_lshrrev_b32_e32 v0, 24, v0
	s_delay_alu instid0(VALU_DEP_1)
	v_and_or_b32 v7, 0x80, v0, v2
.LBB297_368:
	s_or_b32 exec_lo, exec_lo, s40
.LBB297_369:
	s_delay_alu instid0(SALU_CYCLE_1)
	s_or_b32 exec_lo, exec_lo, s24
	global_store_b8 v[3:4], v7, off
.LBB297_370:
	s_mov_b32 s24, -1
.LBB297_371:
	s_mov_b32 s25, 0
.LBB297_372:
	s_delay_alu instid0(SALU_CYCLE_1)
	s_and_b32 vcc_lo, exec_lo, s25
	s_cbranch_vccz .LBB297_413
; %bb.373:
	v_cmp_lt_i16_e32 vcc_lo, 22, v6
	s_mov_b32 s25, -1
	s_cbranch_vccz .LBB297_405
; %bb.374:
	v_cmp_gt_i16_e32 vcc_lo, 24, v6
	s_mov_b32 s24, -1
	s_cbranch_vccnz .LBB297_394
; %bb.375:
	v_cmp_lt_i16_e32 vcc_lo, 24, v6
	s_cbranch_vccz .LBB297_383
; %bb.376:
	v_cvt_f32_i32_e32 v0, v1
	v_mov_b32_e32 v7, 0x80
	s_mov_b32 s24, exec_lo
	s_delay_alu instid0(VALU_DEP_2) | instskip(NEXT) | instid1(VALU_DEP_1)
	v_and_b32_e32 v2, 0x7fffffff, v0
	v_cmpx_gt_u32_e32 0x47800000, v2
	s_cbranch_execz .LBB297_382
; %bb.377:
	v_cmp_lt_u32_e32 vcc_lo, 0x37ffffff, v2
	s_mov_b32 s25, 0
                                        ; implicit-def: $vgpr2
	s_and_saveexec_b32 s40, vcc_lo
	s_delay_alu instid0(SALU_CYCLE_1)
	s_xor_b32 s40, exec_lo, s40
	s_cbranch_execz .LBB297_554
; %bb.378:
	v_bfe_u32 v2, v0, 21, 1
	s_mov_b32 s25, exec_lo
	s_delay_alu instid0(VALU_DEP_1) | instskip(NEXT) | instid1(VALU_DEP_1)
	v_add3_u32 v2, v0, v2, 0x88fffff
	v_lshrrev_b32_e32 v2, 21, v2
	s_or_saveexec_b32 s40, s40
                                        ; implicit-def: $sgpr41
	s_delay_alu instid0(SALU_CYCLE_1)
	s_xor_b32 exec_lo, exec_lo, s40
	s_cbranch_execnz .LBB297_555
.LBB297_379:
	s_or_b32 exec_lo, exec_lo, s40
	v_mov_b32_e32 v7, s41
	s_and_saveexec_b32 s40, s25
.LBB297_380:
	v_lshrrev_b32_e32 v0, 24, v0
	s_delay_alu instid0(VALU_DEP_1)
	v_and_or_b32 v7, 0x80, v0, v2
.LBB297_381:
	s_or_b32 exec_lo, exec_lo, s40
.LBB297_382:
	s_delay_alu instid0(SALU_CYCLE_1)
	s_or_b32 exec_lo, exec_lo, s24
	s_mov_b32 s24, 0
	global_store_b8 v[3:4], v7, off
.LBB297_383:
	s_and_b32 vcc_lo, exec_lo, s24
	s_cbranch_vccz .LBB297_393
; %bb.384:
	v_cvt_f32_i32_e32 v0, v1
	s_mov_b32 s24, exec_lo
                                        ; implicit-def: $vgpr2
	s_delay_alu instid0(VALU_DEP_1) | instskip(NEXT) | instid1(VALU_DEP_1)
	v_and_b32_e32 v7, 0x7fffffff, v0
	v_cmpx_gt_u32_e32 0x43f00000, v7
	s_xor_b32 s24, exec_lo, s24
	s_cbranch_execz .LBB297_390
; %bb.385:
	s_mov_b32 s25, exec_lo
                                        ; implicit-def: $vgpr2
	v_cmpx_lt_u32_e32 0x3c7fffff, v7
	s_xor_b32 s25, exec_lo, s25
; %bb.386:
	v_bfe_u32 v2, v0, 20, 1
	s_delay_alu instid0(VALU_DEP_1) | instskip(NEXT) | instid1(VALU_DEP_1)
	v_add3_u32 v2, v0, v2, 0x407ffff
	v_and_b32_e32 v7, 0xff00000, v2
	v_lshrrev_b32_e32 v2, 20, v2
	s_delay_alu instid0(VALU_DEP_2) | instskip(NEXT) | instid1(VALU_DEP_2)
	v_cmp_ne_u32_e32 vcc_lo, 0x7f00000, v7
	v_cndmask_b32_e32 v2, 0x7e, v2, vcc_lo
; %bb.387:
	s_and_not1_saveexec_b32 s25, s25
; %bb.388:
	v_add_f32_e64 v2, 0x46800000, |v0|
; %bb.389:
	s_or_b32 exec_lo, exec_lo, s25
                                        ; implicit-def: $vgpr7
.LBB297_390:
	s_and_not1_saveexec_b32 s24, s24
; %bb.391:
	v_mov_b32_e32 v2, 0x7f
	v_cmp_lt_u32_e32 vcc_lo, 0x7f800000, v7
	s_delay_alu instid0(VALU_DEP_2)
	v_cndmask_b32_e32 v2, 0x7e, v2, vcc_lo
; %bb.392:
	s_or_b32 exec_lo, exec_lo, s24
	v_lshrrev_b32_e32 v0, 24, v0
	s_delay_alu instid0(VALU_DEP_1)
	v_and_or_b32 v0, 0x80, v0, v2
	global_store_b8 v[3:4], v0, off
.LBB297_393:
	s_mov_b32 s24, 0
.LBB297_394:
	s_delay_alu instid0(SALU_CYCLE_1)
	s_and_not1_b32 vcc_lo, exec_lo, s24
	s_cbranch_vccnz .LBB297_404
; %bb.395:
	v_cvt_f32_i32_e32 v0, v1
	s_mov_b32 s24, exec_lo
                                        ; implicit-def: $vgpr2
	s_delay_alu instid0(VALU_DEP_1) | instskip(NEXT) | instid1(VALU_DEP_1)
	v_and_b32_e32 v7, 0x7fffffff, v0
	v_cmpx_gt_u32_e32 0x47800000, v7
	s_xor_b32 s24, exec_lo, s24
	s_cbranch_execz .LBB297_401
; %bb.396:
	s_mov_b32 s25, exec_lo
                                        ; implicit-def: $vgpr2
	v_cmpx_lt_u32_e32 0x387fffff, v7
	s_xor_b32 s25, exec_lo, s25
; %bb.397:
	v_bfe_u32 v2, v0, 21, 1
	s_delay_alu instid0(VALU_DEP_1) | instskip(NEXT) | instid1(VALU_DEP_1)
	v_add3_u32 v2, v0, v2, 0x80fffff
	v_lshrrev_b32_e32 v2, 21, v2
; %bb.398:
	s_and_not1_saveexec_b32 s25, s25
; %bb.399:
	v_add_f32_e64 v2, 0x43000000, |v0|
; %bb.400:
	s_or_b32 exec_lo, exec_lo, s25
                                        ; implicit-def: $vgpr7
.LBB297_401:
	s_and_not1_saveexec_b32 s24, s24
; %bb.402:
	v_mov_b32_e32 v2, 0x7f
	v_cmp_lt_u32_e32 vcc_lo, 0x7f800000, v7
	s_delay_alu instid0(VALU_DEP_2)
	v_cndmask_b32_e32 v2, 0x7c, v2, vcc_lo
; %bb.403:
	s_or_b32 exec_lo, exec_lo, s24
	v_lshrrev_b32_e32 v0, 24, v0
	s_delay_alu instid0(VALU_DEP_1)
	v_and_or_b32 v0, 0x80, v0, v2
	global_store_b8 v[3:4], v0, off
.LBB297_404:
	s_mov_b32 s25, 0
	s_mov_b32 s24, -1
.LBB297_405:
	s_and_not1_b32 vcc_lo, exec_lo, s25
	s_cbranch_vccnz .LBB297_413
; %bb.406:
	v_cmp_lt_i16_e32 vcc_lo, 14, v6
	s_mov_b32 s25, -1
	s_cbranch_vccz .LBB297_410
; %bb.407:
	v_cmp_eq_u16_e32 vcc_lo, 15, v6
	s_mov_b32 s2, -1
	s_cbranch_vccz .LBB297_409
; %bb.408:
	v_cvt_f32_i32_e32 v0, v1
	s_mov_b32 s24, -1
	s_mov_b32 s2, 0
	s_delay_alu instid0(VALU_DEP_1) | instskip(NEXT) | instid1(VALU_DEP_1)
	v_bfe_u32 v2, v0, 16, 1
	v_add3_u32 v0, v0, v2, 0x7fff
	global_store_d16_hi_b16 v[3:4], v0, off
.LBB297_409:
	s_mov_b32 s25, 0
.LBB297_410:
	s_delay_alu instid0(SALU_CYCLE_1)
	s_and_b32 vcc_lo, exec_lo, s25
	s_cbranch_vccz .LBB297_413
; %bb.411:
	v_cmp_eq_u16_e32 vcc_lo, 11, v6
	s_mov_b32 s2, -1
	s_cbranch_vccz .LBB297_413
; %bb.412:
	v_cmp_ne_u32_e32 vcc_lo, 0, v1
	s_mov_b32 s2, 0
	s_mov_b32 s24, -1
	v_cndmask_b32_e64 v0, 0, 1, vcc_lo
	global_store_b8 v[3:4], v0, off
.LBB297_413:
.LBB297_414:
	s_and_not1_b32 vcc_lo, exec_lo, s24
	s_cbranch_vccnz .LBB297_329
.LBB297_415:
	v_add_nc_u32_e32 v8, 0x80, v8
	s_mov_b32 s24, -1
	s_branch .LBB297_524
.LBB297_416:
	s_mov_b32 s3, -1
                                        ; implicit-def: $vgpr3
.LBB297_417:
	s_mov_b32 s24, 0
.LBB297_418:
	s_delay_alu instid0(SALU_CYCLE_1)
	s_and_b32 vcc_lo, exec_lo, s24
	s_cbranch_vccz .LBB297_422
; %bb.419:
	v_cmp_eq_u16_e32 vcc_lo, 29, v5
	s_cbranch_vccz .LBB297_421
; %bb.420:
	global_load_b32 v3, v[1:2], off
	s_mov_b32 s2, -1
	s_mov_b32 s3, 0
	s_branch .LBB297_422
.LBB297_421:
	s_mov_b32 s3, -1
                                        ; implicit-def: $vgpr3
.LBB297_422:
	s_mov_b32 s24, 0
.LBB297_423:
	s_delay_alu instid0(SALU_CYCLE_1)
	s_and_b32 vcc_lo, exec_lo, s24
	s_cbranch_vccz .LBB297_439
; %bb.424:
	v_cmp_gt_i16_e32 vcc_lo, 27, v5
	s_cbranch_vccnz .LBB297_427
; %bb.425:
	v_cmp_lt_i16_e32 vcc_lo, 27, v5
	s_cbranch_vccz .LBB297_428
; %bb.426:
	global_load_b32 v3, v[1:2], off
	s_mov_b32 s2, 0
	s_branch .LBB297_429
.LBB297_427:
	s_mov_b32 s2, -1
                                        ; implicit-def: $vgpr3
	s_branch .LBB297_432
.LBB297_428:
	s_mov_b32 s2, -1
                                        ; implicit-def: $vgpr3
.LBB297_429:
	s_delay_alu instid0(SALU_CYCLE_1)
	s_and_not1_b32 vcc_lo, exec_lo, s2
	s_cbranch_vccnz .LBB297_431
; %bb.430:
	global_load_u16 v3, v[1:2], off
.LBB297_431:
	s_mov_b32 s2, 0
.LBB297_432:
	s_delay_alu instid0(SALU_CYCLE_1)
	s_and_not1_b32 vcc_lo, exec_lo, s2
	s_cbranch_vccnz .LBB297_438
; %bb.433:
	global_load_u8 v4, v[1:2], off
	s_mov_b32 s2, 0
	s_mov_b32 s24, exec_lo
                                        ; implicit-def: $sgpr25
	s_waitcnt vmcnt(0)
	v_cmpx_lt_i16_e32 0x7f, v4
	s_xor_b32 s24, exec_lo, s24
	s_cbranch_execz .LBB297_450
; %bb.434:
	v_cmp_ne_u16_e32 vcc_lo, 0x80, v4
	s_mov_b32 s25, 0
	s_and_b32 s2, vcc_lo, exec_lo
	s_or_saveexec_b32 s24, s24
	v_mov_b32_e32 v3, s25
	s_xor_b32 exec_lo, exec_lo, s24
	s_cbranch_execnz .LBB297_451
.LBB297_435:
	s_or_b32 exec_lo, exec_lo, s24
	s_and_saveexec_b32 s24, s2
	s_cbranch_execz .LBB297_437
.LBB297_436:
	v_and_b32_e32 v3, 0xffff, v4
	s_delay_alu instid0(VALU_DEP_1) | instskip(NEXT) | instid1(VALU_DEP_1)
	v_and_b32_e32 v6, 7, v3
	v_clz_i32_u32_e32 v7, v6
	s_delay_alu instid0(VALU_DEP_1) | instskip(NEXT) | instid1(VALU_DEP_1)
	v_min_u32_e32 v7, 32, v7
	v_subrev_nc_u32_e32 v9, 28, v7
	v_sub_nc_u32_e32 v7, 29, v7
	s_delay_alu instid0(VALU_DEP_2) | instskip(SKIP_1) | instid1(VALU_DEP_2)
	v_lshlrev_b32_e32 v9, v9, v3
	v_bfe_u32 v3, v3, 3, 4
	v_and_b32_e32 v9, 7, v9
	s_delay_alu instid0(VALU_DEP_2) | instskip(SKIP_1) | instid1(VALU_DEP_3)
	v_cmp_eq_u32_e32 vcc_lo, 0, v3
	v_dual_cndmask_b32 v3, v3, v7 :: v_dual_lshlrev_b32 v4, 24, v4
	v_cndmask_b32_e32 v6, v6, v9, vcc_lo
	s_delay_alu instid0(VALU_DEP_2) | instskip(NEXT) | instid1(VALU_DEP_3)
	v_and_b32_e32 v4, 0x80000000, v4
	v_lshl_add_u32 v3, v3, 23, 0x3b800000
	s_delay_alu instid0(VALU_DEP_3) | instskip(NEXT) | instid1(VALU_DEP_1)
	v_lshlrev_b32_e32 v6, 20, v6
	v_or3_b32 v3, v4, v3, v6
	s_delay_alu instid0(VALU_DEP_1)
	v_cvt_i32_f32_e32 v3, v3
.LBB297_437:
	s_or_b32 exec_lo, exec_lo, s24
.LBB297_438:
	s_mov_b32 s2, -1
.LBB297_439:
	s_mov_b32 s24, 0
.LBB297_440:
	s_delay_alu instid0(SALU_CYCLE_1)
	s_and_b32 vcc_lo, exec_lo, s24
	s_cbranch_vccz .LBB297_473
; %bb.441:
	v_cmp_lt_i16_e32 vcc_lo, 22, v5
	s_cbranch_vccz .LBB297_449
; %bb.442:
	v_cmp_gt_i16_e32 vcc_lo, 24, v5
	s_cbranch_vccnz .LBB297_452
; %bb.443:
	v_cmp_lt_i16_e32 vcc_lo, 24, v5
	s_cbranch_vccz .LBB297_453
; %bb.444:
	global_load_u8 v4, v[1:2], off
	s_mov_b32 s2, 0
	s_mov_b32 s24, exec_lo
                                        ; implicit-def: $sgpr25
	s_waitcnt vmcnt(0)
	v_cmpx_lt_i16_e32 0x7f, v4
	s_xor_b32 s24, exec_lo, s24
	s_cbranch_execz .LBB297_465
; %bb.445:
	v_cmp_ne_u16_e32 vcc_lo, 0x80, v4
	s_mov_b32 s25, 0
	s_and_b32 s2, vcc_lo, exec_lo
	s_or_saveexec_b32 s24, s24
	v_mov_b32_e32 v3, s25
	s_xor_b32 exec_lo, exec_lo, s24
	s_cbranch_execnz .LBB297_466
.LBB297_446:
	s_or_b32 exec_lo, exec_lo, s24
	s_and_saveexec_b32 s24, s2
	s_cbranch_execz .LBB297_448
.LBB297_447:
	v_and_b32_e32 v3, 0xffff, v4
	s_delay_alu instid0(VALU_DEP_1) | instskip(NEXT) | instid1(VALU_DEP_1)
	v_and_b32_e32 v6, 3, v3
	v_clz_i32_u32_e32 v7, v6
	s_delay_alu instid0(VALU_DEP_1) | instskip(NEXT) | instid1(VALU_DEP_1)
	v_min_u32_e32 v7, 32, v7
	v_subrev_nc_u32_e32 v9, 29, v7
	v_sub_nc_u32_e32 v7, 30, v7
	s_delay_alu instid0(VALU_DEP_2) | instskip(SKIP_1) | instid1(VALU_DEP_2)
	v_lshlrev_b32_e32 v9, v9, v3
	v_bfe_u32 v3, v3, 2, 5
	v_and_b32_e32 v9, 3, v9
	s_delay_alu instid0(VALU_DEP_2) | instskip(SKIP_1) | instid1(VALU_DEP_3)
	v_cmp_eq_u32_e32 vcc_lo, 0, v3
	v_dual_cndmask_b32 v3, v3, v7 :: v_dual_lshlrev_b32 v4, 24, v4
	v_cndmask_b32_e32 v6, v6, v9, vcc_lo
	s_delay_alu instid0(VALU_DEP_2) | instskip(NEXT) | instid1(VALU_DEP_3)
	v_and_b32_e32 v4, 0x80000000, v4
	v_lshl_add_u32 v3, v3, 23, 0x37800000
	s_delay_alu instid0(VALU_DEP_3) | instskip(NEXT) | instid1(VALU_DEP_1)
	v_lshlrev_b32_e32 v6, 21, v6
	v_or3_b32 v3, v4, v3, v6
	s_delay_alu instid0(VALU_DEP_1)
	v_cvt_i32_f32_e32 v3, v3
.LBB297_448:
	s_or_b32 exec_lo, exec_lo, s24
	s_mov_b32 s2, 0
	s_branch .LBB297_454
.LBB297_449:
	s_mov_b32 s24, -1
                                        ; implicit-def: $vgpr3
	s_branch .LBB297_460
.LBB297_450:
	s_or_saveexec_b32 s24, s24
	v_mov_b32_e32 v3, s25
	s_xor_b32 exec_lo, exec_lo, s24
	s_cbranch_execz .LBB297_435
.LBB297_451:
	v_cmp_ne_u16_e32 vcc_lo, 0, v4
	v_mov_b32_e32 v3, 0
	s_and_not1_b32 s2, s2, exec_lo
	s_and_b32 s25, vcc_lo, exec_lo
	s_delay_alu instid0(SALU_CYCLE_1)
	s_or_b32 s2, s2, s25
	s_or_b32 exec_lo, exec_lo, s24
	s_and_saveexec_b32 s24, s2
	s_cbranch_execnz .LBB297_436
	s_branch .LBB297_437
.LBB297_452:
	s_mov_b32 s2, -1
                                        ; implicit-def: $vgpr3
	s_branch .LBB297_457
.LBB297_453:
	s_mov_b32 s2, -1
                                        ; implicit-def: $vgpr3
.LBB297_454:
	s_delay_alu instid0(SALU_CYCLE_1)
	s_and_b32 vcc_lo, exec_lo, s2
	s_cbranch_vccz .LBB297_456
; %bb.455:
	global_load_u8 v3, v[1:2], off
	s_waitcnt vmcnt(0)
	v_lshlrev_b32_e32 v3, 24, v3
	s_delay_alu instid0(VALU_DEP_1) | instskip(NEXT) | instid1(VALU_DEP_1)
	v_and_b32_e32 v4, 0x7f000000, v3
	v_clz_i32_u32_e32 v6, v4
	v_add_nc_u32_e32 v9, 0x1000000, v4
	v_cmp_ne_u32_e32 vcc_lo, 0, v4
	s_delay_alu instid0(VALU_DEP_3) | instskip(NEXT) | instid1(VALU_DEP_1)
	v_min_u32_e32 v6, 32, v6
	v_sub_nc_u32_e64 v6, v6, 4 clamp
	s_delay_alu instid0(VALU_DEP_1) | instskip(SKIP_1) | instid1(VALU_DEP_2)
	v_lshlrev_b32_e32 v7, v6, v4
	v_lshlrev_b32_e32 v6, 23, v6
	v_lshrrev_b32_e32 v7, 4, v7
	s_delay_alu instid0(VALU_DEP_1) | instskip(SKIP_1) | instid1(VALU_DEP_2)
	v_sub_nc_u32_e32 v6, v7, v6
	v_ashrrev_i32_e32 v7, 8, v9
	v_add_nc_u32_e32 v6, 0x3c000000, v6
	s_delay_alu instid0(VALU_DEP_1) | instskip(NEXT) | instid1(VALU_DEP_1)
	v_and_or_b32 v6, 0x7f800000, v7, v6
	v_cndmask_b32_e32 v4, 0, v6, vcc_lo
	s_delay_alu instid0(VALU_DEP_1) | instskip(NEXT) | instid1(VALU_DEP_1)
	v_and_or_b32 v3, 0x80000000, v3, v4
	v_cvt_i32_f32_e32 v3, v3
.LBB297_456:
	s_mov_b32 s2, 0
.LBB297_457:
	s_delay_alu instid0(SALU_CYCLE_1)
	s_and_not1_b32 vcc_lo, exec_lo, s2
	s_cbranch_vccnz .LBB297_459
; %bb.458:
	global_load_u8 v3, v[1:2], off
	s_waitcnt vmcnt(0)
	v_lshlrev_b32_e32 v4, 25, v3
	v_lshlrev_b16 v3, 8, v3
	s_delay_alu instid0(VALU_DEP_2) | instskip(NEXT) | instid1(VALU_DEP_2)
	v_lshrrev_b32_e32 v6, 4, v4
	v_and_or_b32 v7, 0x7f00, v3, 0.5
	v_cmp_gt_u32_e32 vcc_lo, 0x8000000, v4
	v_bfe_i32 v3, v3, 0, 16
	s_delay_alu instid0(VALU_DEP_4) | instskip(NEXT) | instid1(VALU_DEP_1)
	v_or_b32_e32 v6, 0x70000000, v6
	v_dual_add_f32 v7, -0.5, v7 :: v_dual_mul_f32 v6, 0x7800000, v6
	s_delay_alu instid0(VALU_DEP_1) | instskip(NEXT) | instid1(VALU_DEP_1)
	v_cndmask_b32_e32 v4, v6, v7, vcc_lo
	v_and_or_b32 v3, 0x80000000, v3, v4
	s_delay_alu instid0(VALU_DEP_1)
	v_cvt_i32_f32_e32 v3, v3
.LBB297_459:
	s_mov_b32 s24, 0
	s_mov_b32 s2, -1
.LBB297_460:
	s_and_not1_b32 vcc_lo, exec_lo, s24
	s_cbranch_vccnz .LBB297_473
; %bb.461:
	v_cmp_lt_i16_e32 vcc_lo, 14, v5
	s_cbranch_vccz .LBB297_464
; %bb.462:
	v_cmp_eq_u16_e32 vcc_lo, 15, v5
	s_cbranch_vccz .LBB297_467
; %bb.463:
	global_load_u16 v3, v[1:2], off
	s_mov_b32 s2, -1
	s_mov_b32 s3, 0
	s_waitcnt vmcnt(0)
	v_lshlrev_b32_e32 v3, 16, v3
	s_delay_alu instid0(VALU_DEP_1)
	v_cvt_i32_f32_e32 v3, v3
	s_branch .LBB297_468
.LBB297_464:
	s_mov_b32 s24, -1
                                        ; implicit-def: $vgpr3
	s_branch .LBB297_469
.LBB297_465:
	s_or_saveexec_b32 s24, s24
	v_mov_b32_e32 v3, s25
	s_xor_b32 exec_lo, exec_lo, s24
	s_cbranch_execz .LBB297_446
.LBB297_466:
	v_cmp_ne_u16_e32 vcc_lo, 0, v4
	v_mov_b32_e32 v3, 0
	s_and_not1_b32 s2, s2, exec_lo
	s_and_b32 s25, vcc_lo, exec_lo
	s_delay_alu instid0(SALU_CYCLE_1)
	s_or_b32 s2, s2, s25
	s_or_b32 exec_lo, exec_lo, s24
	s_and_saveexec_b32 s24, s2
	s_cbranch_execnz .LBB297_447
	s_branch .LBB297_448
.LBB297_467:
	s_mov_b32 s3, -1
                                        ; implicit-def: $vgpr3
.LBB297_468:
	s_mov_b32 s24, 0
.LBB297_469:
	s_delay_alu instid0(SALU_CYCLE_1)
	s_and_b32 vcc_lo, exec_lo, s24
	s_cbranch_vccz .LBB297_473
; %bb.470:
	v_cmp_eq_u16_e32 vcc_lo, 11, v5
	s_cbranch_vccz .LBB297_472
; %bb.471:
	global_load_u8 v3, v[1:2], off
	s_mov_b32 s3, 0
	s_mov_b32 s2, -1
	s_waitcnt vmcnt(0)
	v_cmp_ne_u16_e32 vcc_lo, 0, v3
	v_cndmask_b32_e64 v3, 0, 1, vcc_lo
	s_branch .LBB297_473
.LBB297_472:
	s_mov_b32 s3, -1
                                        ; implicit-def: $vgpr3
.LBB297_473:
	s_branch .LBB297_282
.LBB297_474:
	v_cmp_gt_i16_e32 vcc_lo, 5, v5
	s_cbranch_vccnz .LBB297_479
; %bb.475:
	v_cmp_gt_i16_e32 vcc_lo, 8, v5
	s_cbranch_vccnz .LBB297_480
; %bb.476:
	;; [unrolled: 3-line block ×3, first 2 shown]
	v_cmp_lt_i16_e32 vcc_lo, 9, v5
	s_cbranch_vccz .LBB297_482
; %bb.478:
	global_load_b64 v[3:4], v[1:2], off
	s_mov_b32 s2, 0
	s_waitcnt vmcnt(0)
	v_cvt_i32_f64_e32 v3, v[3:4]
	s_branch .LBB297_483
.LBB297_479:
	s_mov_b32 s2, -1
                                        ; implicit-def: $vgpr3
	s_branch .LBB297_501
.LBB297_480:
	s_mov_b32 s2, -1
                                        ; implicit-def: $vgpr3
	s_branch .LBB297_489
.LBB297_481:
	s_mov_b32 s2, -1
                                        ; implicit-def: $vgpr3
	s_branch .LBB297_486
.LBB297_482:
	s_mov_b32 s2, -1
                                        ; implicit-def: $vgpr3
.LBB297_483:
	s_delay_alu instid0(SALU_CYCLE_1)
	s_and_not1_b32 vcc_lo, exec_lo, s2
	s_cbranch_vccnz .LBB297_485
; %bb.484:
	global_load_b32 v3, v[1:2], off
	s_waitcnt vmcnt(0)
	v_cvt_i32_f32_e32 v3, v3
.LBB297_485:
	s_mov_b32 s2, 0
.LBB297_486:
	s_delay_alu instid0(SALU_CYCLE_1)
	s_and_not1_b32 vcc_lo, exec_lo, s2
	s_cbranch_vccnz .LBB297_488
; %bb.487:
	global_load_b32 v3, v[1:2], off
	s_waitcnt vmcnt(0)
	v_cvt_f32_f16_e32 v3, v3
	s_delay_alu instid0(VALU_DEP_1)
	v_cvt_i32_f32_e32 v3, v3
.LBB297_488:
	s_mov_b32 s2, 0
.LBB297_489:
	s_delay_alu instid0(SALU_CYCLE_1)
	s_and_not1_b32 vcc_lo, exec_lo, s2
	s_cbranch_vccnz .LBB297_500
; %bb.490:
	v_cmp_gt_i16_e32 vcc_lo, 6, v5
	s_cbranch_vccnz .LBB297_493
; %bb.491:
	v_cmp_lt_i16_e32 vcc_lo, 6, v5
	s_cbranch_vccz .LBB297_494
; %bb.492:
	global_load_b64 v[3:4], v[1:2], off
	s_mov_b32 s2, 0
	s_waitcnt vmcnt(0)
	v_cvt_i32_f64_e32 v3, v[3:4]
	s_branch .LBB297_495
.LBB297_493:
	s_mov_b32 s2, -1
                                        ; implicit-def: $vgpr3
	s_branch .LBB297_498
.LBB297_494:
	s_mov_b32 s2, -1
                                        ; implicit-def: $vgpr3
.LBB297_495:
	s_delay_alu instid0(SALU_CYCLE_1)
	s_and_not1_b32 vcc_lo, exec_lo, s2
	s_cbranch_vccnz .LBB297_497
; %bb.496:
	global_load_b32 v3, v[1:2], off
	s_waitcnt vmcnt(0)
	v_cvt_i32_f32_e32 v3, v3
.LBB297_497:
	s_mov_b32 s2, 0
.LBB297_498:
	s_delay_alu instid0(SALU_CYCLE_1)
	s_and_not1_b32 vcc_lo, exec_lo, s2
	s_cbranch_vccnz .LBB297_500
; %bb.499:
	global_load_u16 v3, v[1:2], off
	s_waitcnt vmcnt(0)
	v_cvt_f32_f16_e32 v3, v3
	s_delay_alu instid0(VALU_DEP_1)
	v_cvt_i32_f32_e32 v3, v3
.LBB297_500:
	s_mov_b32 s2, 0
.LBB297_501:
	s_delay_alu instid0(SALU_CYCLE_1)
	s_and_not1_b32 vcc_lo, exec_lo, s2
	s_cbranch_vccnz .LBB297_521
; %bb.502:
	v_cmp_gt_i16_e32 vcc_lo, 2, v5
	s_cbranch_vccnz .LBB297_506
; %bb.503:
	v_cmp_gt_i16_e32 vcc_lo, 3, v5
	s_cbranch_vccnz .LBB297_507
; %bb.504:
	v_cmp_lt_i16_e32 vcc_lo, 3, v5
	s_cbranch_vccz .LBB297_508
; %bb.505:
	global_load_b32 v3, v[1:2], off
	s_mov_b32 s2, 0
	s_branch .LBB297_509
.LBB297_506:
	s_mov_b32 s2, -1
                                        ; implicit-def: $vgpr3
	s_branch .LBB297_515
.LBB297_507:
	s_mov_b32 s2, -1
                                        ; implicit-def: $vgpr3
	s_branch .LBB297_512
.LBB297_508:
	s_mov_b32 s2, -1
                                        ; implicit-def: $vgpr3
.LBB297_509:
	s_delay_alu instid0(SALU_CYCLE_1)
	s_and_not1_b32 vcc_lo, exec_lo, s2
	s_cbranch_vccnz .LBB297_511
; %bb.510:
	global_load_b32 v3, v[1:2], off
.LBB297_511:
	s_mov_b32 s2, 0
.LBB297_512:
	s_delay_alu instid0(SALU_CYCLE_1)
	s_and_not1_b32 vcc_lo, exec_lo, s2
	s_cbranch_vccnz .LBB297_514
; %bb.513:
	global_load_i16 v3, v[1:2], off
.LBB297_514:
	s_mov_b32 s2, 0
.LBB297_515:
	s_delay_alu instid0(SALU_CYCLE_1)
	s_and_not1_b32 vcc_lo, exec_lo, s2
	s_cbranch_vccnz .LBB297_521
; %bb.516:
	v_cmp_lt_i16_e32 vcc_lo, 0, v5
	s_mov_b32 s2, 0
	s_cbranch_vccz .LBB297_518
; %bb.517:
	global_load_i8 v3, v[1:2], off
	s_branch .LBB297_519
.LBB297_518:
	s_mov_b32 s2, -1
                                        ; implicit-def: $vgpr3
.LBB297_519:
	s_delay_alu instid0(SALU_CYCLE_1)
	s_and_not1_b32 vcc_lo, exec_lo, s2
	s_cbranch_vccnz .LBB297_521
; %bb.520:
	global_load_u8 v3, v[1:2], off
.LBB297_521:
	s_branch .LBB297_283
.LBB297_522:
	s_mov_b32 s24, 0
	s_mov_b32 s2, s37
.LBB297_523:
                                        ; implicit-def: $vgpr8
.LBB297_524:
	s_and_not1_b32 s25, s37, exec_lo
	s_and_b32 s2, s2, exec_lo
	s_and_not1_b32 s40, s38, exec_lo
	s_and_b32 s3, s3, exec_lo
	s_or_b32 s41, s25, s2
	s_or_b32 s40, s40, s3
	s_or_not1_b32 s2, s24, exec_lo
.LBB297_525:
	s_or_b32 exec_lo, exec_lo, s42
	s_mov_b32 s3, 0
	s_mov_b32 s25, 0
	;; [unrolled: 1-line block ×3, first 2 shown]
                                        ; implicit-def: $vgpr1_vgpr2
                                        ; implicit-def: $vgpr0
                                        ; implicit-def: $vgpr6
	s_and_saveexec_b32 s42, s2
	s_cbranch_execz .LBB297_889
; %bb.526:
	s_mov_b32 s45, -1
	s_mov_b32 s24, s40
	s_mov_b32 s25, s41
	s_mov_b32 s43, exec_lo
	v_cmpx_gt_i32_e64 s34, v8
	s_cbranch_execz .LBB297_794
; %bb.527:
	s_and_not1_b32 vcc_lo, exec_lo, s29
	s_cbranch_vccnz .LBB297_532
; %bb.528:
	v_dual_mov_b32 v0, 0 :: v_dual_mov_b32 v1, 0
	s_and_not1_b32 vcc_lo, exec_lo, s36
	s_mov_b32 s44, 0
	s_cbranch_vccnz .LBB297_537
; %bb.529:
	v_mov_b32_e32 v0, 0
	s_add_i32 s46, s35, 1
	s_cmp_eq_u32 s27, 2
	s_mov_b32 s45, 0
	s_cbranch_scc1 .LBB297_533
; %bb.530:
	v_dual_mov_b32 v1, 0 :: v_dual_mov_b32 v0, 0
	v_mov_b32_e32 v2, v8
	s_and_b32 s45, s46, 28
	s_mov_b32 s47, 0
	s_mov_b64 s[2:3], s[22:23]
	s_mov_b64 s[24:25], s[16:17]
.LBB297_531:                            ; =>This Inner Loop Header: Depth=1
	s_clause 0x1
	s_load_b256 s[48:55], s[24:25], 0x4
	s_load_b128 s[64:67], s[24:25], 0x24
	s_load_b256 s[56:63], s[2:3], 0x0
	s_add_u32 s24, s24, 48
	s_addc_u32 s25, s25, 0
	s_add_i32 s47, s47, 4
	s_add_u32 s2, s2, 32
	s_addc_u32 s3, s3, 0
	s_cmp_eq_u32 s45, s47
	s_waitcnt vmcnt(0) lgkmcnt(0)
	v_mul_hi_u32 v3, s49, v2
	s_delay_alu instid0(VALU_DEP_1) | instskip(NEXT) | instid1(VALU_DEP_1)
	v_add_nc_u32_e32 v3, v2, v3
	v_lshrrev_b32_e32 v3, s50, v3
	s_delay_alu instid0(VALU_DEP_1) | instskip(SKIP_1) | instid1(VALU_DEP_2)
	v_mul_hi_u32 v4, s52, v3
	v_mul_lo_u32 v7, v3, s48
	v_add_nc_u32_e32 v4, v3, v4
	s_delay_alu instid0(VALU_DEP_2) | instskip(NEXT) | instid1(VALU_DEP_2)
	v_sub_nc_u32_e32 v2, v2, v7
	v_lshrrev_b32_e32 v4, s53, v4
	s_delay_alu instid0(VALU_DEP_2) | instskip(SKIP_1) | instid1(VALU_DEP_3)
	v_mul_lo_u32 v7, v2, s56
	v_mul_lo_u32 v10, v2, s57
	v_mul_hi_u32 v6, s55, v4
	s_delay_alu instid0(VALU_DEP_1) | instskip(NEXT) | instid1(VALU_DEP_1)
	v_add_nc_u32_e32 v6, v4, v6
	v_lshrrev_b32_e32 v6, s64, v6
	s_delay_alu instid0(VALU_DEP_1) | instskip(SKIP_1) | instid1(VALU_DEP_2)
	v_mul_hi_u32 v9, s66, v6
	v_mul_lo_u32 v11, v6, s54
	v_add_nc_u32_e32 v2, v6, v9
	v_mul_lo_u32 v9, v4, s51
	s_delay_alu instid0(VALU_DEP_3) | instskip(NEXT) | instid1(VALU_DEP_3)
	v_sub_nc_u32_e32 v4, v4, v11
	v_lshrrev_b32_e32 v2, s67, v2
	s_delay_alu instid0(VALU_DEP_2) | instskip(SKIP_2) | instid1(VALU_DEP_4)
	v_mul_lo_u32 v11, v4, s60
	v_mul_lo_u32 v4, v4, s61
	v_sub_nc_u32_e32 v3, v3, v9
	v_mul_lo_u32 v12, v2, s65
	s_delay_alu instid0(VALU_DEP_2) | instskip(SKIP_1) | instid1(VALU_DEP_3)
	v_mul_lo_u32 v9, v3, s58
	v_mul_lo_u32 v3, v3, s59
	v_sub_nc_u32_e32 v6, v6, v12
	s_delay_alu instid0(VALU_DEP_3) | instskip(NEXT) | instid1(VALU_DEP_2)
	v_add3_u32 v0, v7, v0, v9
	v_mul_lo_u32 v12, v6, s62
	v_mul_lo_u32 v6, v6, s63
	v_add3_u32 v1, v10, v1, v3
	s_delay_alu instid0(VALU_DEP_3) | instskip(NEXT) | instid1(VALU_DEP_2)
	v_add3_u32 v0, v11, v0, v12
	v_add3_u32 v1, v4, v1, v6
	s_cbranch_scc0 .LBB297_531
	s_branch .LBB297_534
.LBB297_532:
	s_mov_b32 s44, -1
                                        ; implicit-def: $vgpr0
                                        ; implicit-def: $vgpr1
	s_branch .LBB297_537
.LBB297_533:
	v_dual_mov_b32 v2, v8 :: v_dual_mov_b32 v1, 0
.LBB297_534:
	s_and_b32 s46, s46, 3
	s_delay_alu instid0(SALU_CYCLE_1)
	s_cmp_eq_u32 s46, 0
	s_cbranch_scc1 .LBB297_537
; %bb.535:
	s_lshl_b32 s2, s45, 3
	s_mul_i32 s24, s45, 12
	s_add_u32 s2, s2, s16
	s_addc_u32 s3, s17, 0
	s_add_u32 s2, s2, 0xc4
	s_addc_u32 s3, s3, 0
	;; [unrolled: 2-line block ×3, first 2 shown]
	.p2align	6
.LBB297_536:                            ; =>This Inner Loop Header: Depth=1
	s_clause 0x1
	s_load_b64 s[48:49], s[24:25], 0x4
	s_load_b32 s45, s[24:25], 0xc
	s_load_b64 s[50:51], s[2:3], 0x0
	s_add_u32 s24, s24, 12
	s_addc_u32 s25, s25, 0
	s_add_u32 s2, s2, 8
	s_addc_u32 s3, s3, 0
	s_add_i32 s46, s46, -1
	s_delay_alu instid0(SALU_CYCLE_1) | instskip(SKIP_2) | instid1(VALU_DEP_1)
	s_cmp_lg_u32 s46, 0
	s_waitcnt vmcnt(0) lgkmcnt(0)
	v_mul_hi_u32 v3, s49, v2
	v_add_nc_u32_e32 v3, v2, v3
	s_delay_alu instid0(VALU_DEP_1) | instskip(NEXT) | instid1(VALU_DEP_1)
	v_lshrrev_b32_e32 v9, s45, v3
	v_mul_lo_u32 v3, v9, s48
	s_delay_alu instid0(VALU_DEP_1) | instskip(NEXT) | instid1(VALU_DEP_1)
	v_sub_nc_u32_e32 v2, v2, v3
	v_mad_u64_u32 v[3:4], null, v2, s50, v[0:1]
	v_mad_u64_u32 v[6:7], null, v2, s51, v[1:2]
	v_mov_b32_e32 v2, v9
	s_delay_alu instid0(VALU_DEP_2)
	v_dual_mov_b32 v0, v3 :: v_dual_mov_b32 v1, v6
	s_cbranch_scc1 .LBB297_536
.LBB297_537:
	s_and_not1_b32 vcc_lo, exec_lo, s44
	s_cbranch_vccnz .LBB297_540
; %bb.538:
	v_mul_hi_u32 v0, s13, v8
	s_and_not1_b32 vcc_lo, exec_lo, s33
	s_delay_alu instid0(VALU_DEP_1) | instskip(NEXT) | instid1(VALU_DEP_1)
	v_add_nc_u32_e32 v0, v8, v0
	v_lshrrev_b32_e32 v2, s14, v0
	s_delay_alu instid0(VALU_DEP_1) | instskip(NEXT) | instid1(VALU_DEP_1)
	v_mul_lo_u32 v0, v2, s12
	v_sub_nc_u32_e32 v1, v8, v0
	s_delay_alu instid0(VALU_DEP_1)
	v_mul_lo_u32 v0, v1, s8
	v_mul_lo_u32 v1, v1, s9
	s_cbranch_vccnz .LBB297_540
; %bb.539:
	s_waitcnt vmcnt(0)
	v_mul_hi_u32 v3, s20, v2
	s_delay_alu instid0(VALU_DEP_1) | instskip(NEXT) | instid1(VALU_DEP_1)
	v_add_nc_u32_e32 v3, v2, v3
	v_lshrrev_b32_e32 v3, s21, v3
	s_delay_alu instid0(VALU_DEP_1) | instskip(NEXT) | instid1(VALU_DEP_1)
	v_mul_lo_u32 v3, v3, s15
	v_sub_nc_u32_e32 v6, v2, v3
	s_delay_alu instid0(VALU_DEP_1) | instskip(NEXT) | instid1(VALU_DEP_1)
	v_mad_u64_u32 v[2:3], null, v6, s10, v[0:1]
	v_mad_u64_u32 v[3:4], null, v6, s11, v[1:2]
	s_delay_alu instid0(VALU_DEP_1)
	v_dual_mov_b32 v0, v2 :: v_dual_mov_b32 v1, v3
.LBB297_540:
	v_cmp_gt_i16_e32 vcc_lo, 11, v5
	s_delay_alu instid0(VALU_DEP_2) | instskip(NEXT) | instid1(VALU_DEP_1)
	v_add_co_u32 v1, s2, s6, v1
	v_add_co_ci_u32_e64 v2, null, s7, 0, s2
	s_mov_b32 s2, 0
	s_cbranch_vccnz .LBB297_547
; %bb.541:
	v_cmp_lt_i16_e32 vcc_lo, 25, v5
	s_cbranch_vccz .LBB297_548
; %bb.542:
	v_cmp_lt_i16_e32 vcc_lo, 28, v5
	s_cbranch_vccz .LBB297_549
	;; [unrolled: 3-line block ×4, first 2 shown]
; %bb.545:
	v_cmp_eq_u16_e32 vcc_lo, 46, v5
	s_mov_b32 s24, 0
	s_cbranch_vccz .LBB297_556
; %bb.546:
	global_load_b32 v3, v[1:2], off
	s_mov_b32 s2, -1
	s_mov_b32 s3, 0
	s_waitcnt vmcnt(0)
	v_lshlrev_b32_e32 v3, 16, v3
	s_delay_alu instid0(VALU_DEP_1)
	v_cvt_i32_f32_e32 v3, v3
	s_branch .LBB297_558
.LBB297_547:
	s_mov_b32 s24, -1
	s_mov_b32 s3, s40
                                        ; implicit-def: $vgpr3
	s_branch .LBB297_619
.LBB297_548:
	s_mov_b32 s24, -1
	s_mov_b32 s3, s40
                                        ; implicit-def: $vgpr3
	s_branch .LBB297_585
.LBB297_549:
	s_mov_b32 s24, -1
	s_mov_b32 s3, s40
                                        ; implicit-def: $vgpr3
	s_branch .LBB297_568
.LBB297_550:
	s_mov_b32 s24, -1
	s_mov_b32 s3, s40
                                        ; implicit-def: $vgpr3
	s_branch .LBB297_563
.LBB297_551:
	s_or_saveexec_b32 s40, s40
                                        ; implicit-def: $sgpr41
	s_delay_alu instid0(SALU_CYCLE_1)
	s_xor_b32 exec_lo, exec_lo, s40
	s_cbranch_execz .LBB297_366
.LBB297_552:
	v_add_f32_e64 v2, 0x46000000, |v0|
	s_and_not1_b32 s25, s25, exec_lo
	s_mov_b32 s41, 0
	s_delay_alu instid0(VALU_DEP_1) | instskip(NEXT) | instid1(VALU_DEP_1)
	v_and_b32_e32 v2, 0xff, v2
	v_cmp_ne_u32_e32 vcc_lo, 0, v2
	s_and_b32 s43, vcc_lo, exec_lo
	s_delay_alu instid0(SALU_CYCLE_1)
	s_or_b32 s25, s25, s43
	s_or_b32 exec_lo, exec_lo, s40
	v_mov_b32_e32 v7, s41
	s_and_saveexec_b32 s40, s25
	s_cbranch_execnz .LBB297_367
	s_branch .LBB297_368
.LBB297_553:
	s_mov_b32 s24, -1
	s_mov_b32 s3, s40
	s_branch .LBB297_557
.LBB297_554:
	s_or_saveexec_b32 s40, s40
                                        ; implicit-def: $sgpr41
	s_delay_alu instid0(SALU_CYCLE_1)
	s_xor_b32 exec_lo, exec_lo, s40
	s_cbranch_execz .LBB297_379
.LBB297_555:
	v_add_f32_e64 v2, 0x42800000, |v0|
	s_and_not1_b32 s25, s25, exec_lo
	s_mov_b32 s41, 0
	s_delay_alu instid0(VALU_DEP_1) | instskip(NEXT) | instid1(VALU_DEP_1)
	v_and_b32_e32 v2, 0xff, v2
	v_cmp_ne_u32_e32 vcc_lo, 0, v2
	s_and_b32 s43, vcc_lo, exec_lo
	s_delay_alu instid0(SALU_CYCLE_1)
	s_or_b32 s25, s25, s43
	s_or_b32 exec_lo, exec_lo, s40
	v_mov_b32_e32 v7, s41
	s_and_saveexec_b32 s40, s25
	s_cbranch_execnz .LBB297_380
	s_branch .LBB297_381
.LBB297_556:
	s_mov_b32 s3, -1
.LBB297_557:
                                        ; implicit-def: $vgpr3
.LBB297_558:
	s_and_b32 vcc_lo, exec_lo, s24
	s_cbranch_vccz .LBB297_562
; %bb.559:
	v_cmp_eq_u16_e32 vcc_lo, 44, v5
	s_cbranch_vccz .LBB297_561
; %bb.560:
	global_load_u8 v3, v[1:2], off
	s_mov_b32 s3, 0
	s_mov_b32 s2, -1
	s_waitcnt vmcnt(0)
	v_lshlrev_b32_e32 v4, 23, v3
	v_cmp_ne_u32_e32 vcc_lo, 0, v3
	s_delay_alu instid0(VALU_DEP_2) | instskip(NEXT) | instid1(VALU_DEP_1)
	v_cvt_i32_f32_e32 v4, v4
	v_cndmask_b32_e32 v3, 0, v4, vcc_lo
	s_branch .LBB297_562
.LBB297_561:
	s_mov_b32 s3, -1
                                        ; implicit-def: $vgpr3
.LBB297_562:
	s_mov_b32 s24, 0
.LBB297_563:
	s_delay_alu instid0(SALU_CYCLE_1)
	s_and_b32 vcc_lo, exec_lo, s24
	s_cbranch_vccz .LBB297_567
; %bb.564:
	v_cmp_eq_u16_e32 vcc_lo, 29, v5
	s_cbranch_vccz .LBB297_566
; %bb.565:
	global_load_b32 v3, v[1:2], off
	s_mov_b32 s2, -1
	s_mov_b32 s3, 0
	s_branch .LBB297_567
.LBB297_566:
	s_mov_b32 s3, -1
                                        ; implicit-def: $vgpr3
.LBB297_567:
	s_mov_b32 s24, 0
.LBB297_568:
	s_delay_alu instid0(SALU_CYCLE_1)
	s_and_b32 vcc_lo, exec_lo, s24
	s_cbranch_vccz .LBB297_584
; %bb.569:
	v_cmp_gt_i16_e32 vcc_lo, 27, v5
	s_cbranch_vccnz .LBB297_572
; %bb.570:
	v_cmp_lt_i16_e32 vcc_lo, 27, v5
	s_cbranch_vccz .LBB297_573
; %bb.571:
	global_load_b32 v3, v[1:2], off
	s_mov_b32 s2, 0
	s_branch .LBB297_574
.LBB297_572:
	s_mov_b32 s2, -1
                                        ; implicit-def: $vgpr3
	s_branch .LBB297_577
.LBB297_573:
	s_mov_b32 s2, -1
                                        ; implicit-def: $vgpr3
.LBB297_574:
	s_delay_alu instid0(SALU_CYCLE_1)
	s_and_not1_b32 vcc_lo, exec_lo, s2
	s_cbranch_vccnz .LBB297_576
; %bb.575:
	global_load_u16 v3, v[1:2], off
.LBB297_576:
	s_mov_b32 s2, 0
.LBB297_577:
	s_delay_alu instid0(SALU_CYCLE_1)
	s_and_not1_b32 vcc_lo, exec_lo, s2
	s_cbranch_vccnz .LBB297_583
; %bb.578:
	global_load_u8 v4, v[1:2], off
	s_mov_b32 s2, 0
	s_mov_b32 s24, exec_lo
                                        ; implicit-def: $sgpr25
	s_waitcnt vmcnt(0)
	v_cmpx_lt_i16_e32 0x7f, v4
	s_xor_b32 s24, exec_lo, s24
	s_cbranch_execz .LBB297_595
; %bb.579:
	v_cmp_ne_u16_e32 vcc_lo, 0x80, v4
	s_mov_b32 s25, 0
	s_and_b32 s2, vcc_lo, exec_lo
	s_or_saveexec_b32 s24, s24
	v_mov_b32_e32 v3, s25
	s_xor_b32 exec_lo, exec_lo, s24
	s_cbranch_execnz .LBB297_596
.LBB297_580:
	s_or_b32 exec_lo, exec_lo, s24
	s_and_saveexec_b32 s24, s2
	s_cbranch_execz .LBB297_582
.LBB297_581:
	v_and_b32_e32 v3, 0xffff, v4
	s_delay_alu instid0(VALU_DEP_1) | instskip(NEXT) | instid1(VALU_DEP_1)
	v_and_b32_e32 v6, 7, v3
	v_clz_i32_u32_e32 v7, v6
	s_delay_alu instid0(VALU_DEP_1) | instskip(NEXT) | instid1(VALU_DEP_1)
	v_min_u32_e32 v7, 32, v7
	v_subrev_nc_u32_e32 v9, 28, v7
	v_sub_nc_u32_e32 v7, 29, v7
	s_delay_alu instid0(VALU_DEP_2) | instskip(SKIP_1) | instid1(VALU_DEP_2)
	v_lshlrev_b32_e32 v9, v9, v3
	v_bfe_u32 v3, v3, 3, 4
	v_and_b32_e32 v9, 7, v9
	s_delay_alu instid0(VALU_DEP_2) | instskip(SKIP_1) | instid1(VALU_DEP_3)
	v_cmp_eq_u32_e32 vcc_lo, 0, v3
	v_dual_cndmask_b32 v3, v3, v7 :: v_dual_lshlrev_b32 v4, 24, v4
	v_cndmask_b32_e32 v6, v6, v9, vcc_lo
	s_delay_alu instid0(VALU_DEP_2) | instskip(NEXT) | instid1(VALU_DEP_3)
	v_and_b32_e32 v4, 0x80000000, v4
	v_lshl_add_u32 v3, v3, 23, 0x3b800000
	s_delay_alu instid0(VALU_DEP_3) | instskip(NEXT) | instid1(VALU_DEP_1)
	v_lshlrev_b32_e32 v6, 20, v6
	v_or3_b32 v3, v4, v3, v6
	s_delay_alu instid0(VALU_DEP_1)
	v_cvt_i32_f32_e32 v3, v3
.LBB297_582:
	s_or_b32 exec_lo, exec_lo, s24
.LBB297_583:
	s_mov_b32 s2, -1
.LBB297_584:
	s_mov_b32 s24, 0
.LBB297_585:
	s_delay_alu instid0(SALU_CYCLE_1)
	s_and_b32 vcc_lo, exec_lo, s24
	s_cbranch_vccz .LBB297_618
; %bb.586:
	v_cmp_lt_i16_e32 vcc_lo, 22, v5
	s_cbranch_vccz .LBB297_594
; %bb.587:
	v_cmp_gt_i16_e32 vcc_lo, 24, v5
	s_cbranch_vccnz .LBB297_597
; %bb.588:
	v_cmp_lt_i16_e32 vcc_lo, 24, v5
	s_cbranch_vccz .LBB297_598
; %bb.589:
	global_load_u8 v4, v[1:2], off
	s_mov_b32 s2, 0
	s_mov_b32 s24, exec_lo
                                        ; implicit-def: $sgpr25
	s_waitcnt vmcnt(0)
	v_cmpx_lt_i16_e32 0x7f, v4
	s_xor_b32 s24, exec_lo, s24
	s_cbranch_execz .LBB297_610
; %bb.590:
	v_cmp_ne_u16_e32 vcc_lo, 0x80, v4
	s_mov_b32 s25, 0
	s_and_b32 s2, vcc_lo, exec_lo
	s_or_saveexec_b32 s24, s24
	v_mov_b32_e32 v3, s25
	s_xor_b32 exec_lo, exec_lo, s24
	s_cbranch_execnz .LBB297_611
.LBB297_591:
	s_or_b32 exec_lo, exec_lo, s24
	s_and_saveexec_b32 s24, s2
	s_cbranch_execz .LBB297_593
.LBB297_592:
	v_and_b32_e32 v3, 0xffff, v4
	s_delay_alu instid0(VALU_DEP_1) | instskip(NEXT) | instid1(VALU_DEP_1)
	v_and_b32_e32 v6, 3, v3
	v_clz_i32_u32_e32 v7, v6
	s_delay_alu instid0(VALU_DEP_1) | instskip(NEXT) | instid1(VALU_DEP_1)
	v_min_u32_e32 v7, 32, v7
	v_subrev_nc_u32_e32 v9, 29, v7
	v_sub_nc_u32_e32 v7, 30, v7
	s_delay_alu instid0(VALU_DEP_2) | instskip(SKIP_1) | instid1(VALU_DEP_2)
	v_lshlrev_b32_e32 v9, v9, v3
	v_bfe_u32 v3, v3, 2, 5
	v_and_b32_e32 v9, 3, v9
	s_delay_alu instid0(VALU_DEP_2) | instskip(SKIP_1) | instid1(VALU_DEP_3)
	v_cmp_eq_u32_e32 vcc_lo, 0, v3
	v_dual_cndmask_b32 v3, v3, v7 :: v_dual_lshlrev_b32 v4, 24, v4
	v_cndmask_b32_e32 v6, v6, v9, vcc_lo
	s_delay_alu instid0(VALU_DEP_2) | instskip(NEXT) | instid1(VALU_DEP_3)
	v_and_b32_e32 v4, 0x80000000, v4
	v_lshl_add_u32 v3, v3, 23, 0x37800000
	s_delay_alu instid0(VALU_DEP_3) | instskip(NEXT) | instid1(VALU_DEP_1)
	v_lshlrev_b32_e32 v6, 21, v6
	v_or3_b32 v3, v4, v3, v6
	s_delay_alu instid0(VALU_DEP_1)
	v_cvt_i32_f32_e32 v3, v3
.LBB297_593:
	s_or_b32 exec_lo, exec_lo, s24
	s_mov_b32 s2, 0
	s_branch .LBB297_599
.LBB297_594:
	s_mov_b32 s24, -1
                                        ; implicit-def: $vgpr3
	s_branch .LBB297_605
.LBB297_595:
	s_or_saveexec_b32 s24, s24
	v_mov_b32_e32 v3, s25
	s_xor_b32 exec_lo, exec_lo, s24
	s_cbranch_execz .LBB297_580
.LBB297_596:
	v_cmp_ne_u16_e32 vcc_lo, 0, v4
	v_mov_b32_e32 v3, 0
	s_and_not1_b32 s2, s2, exec_lo
	s_and_b32 s25, vcc_lo, exec_lo
	s_delay_alu instid0(SALU_CYCLE_1)
	s_or_b32 s2, s2, s25
	s_or_b32 exec_lo, exec_lo, s24
	s_and_saveexec_b32 s24, s2
	s_cbranch_execnz .LBB297_581
	s_branch .LBB297_582
.LBB297_597:
	s_mov_b32 s2, -1
                                        ; implicit-def: $vgpr3
	s_branch .LBB297_602
.LBB297_598:
	s_mov_b32 s2, -1
                                        ; implicit-def: $vgpr3
.LBB297_599:
	s_delay_alu instid0(SALU_CYCLE_1)
	s_and_b32 vcc_lo, exec_lo, s2
	s_cbranch_vccz .LBB297_601
; %bb.600:
	global_load_u8 v3, v[1:2], off
	s_waitcnt vmcnt(0)
	v_lshlrev_b32_e32 v3, 24, v3
	s_delay_alu instid0(VALU_DEP_1) | instskip(NEXT) | instid1(VALU_DEP_1)
	v_and_b32_e32 v4, 0x7f000000, v3
	v_clz_i32_u32_e32 v6, v4
	v_add_nc_u32_e32 v9, 0x1000000, v4
	v_cmp_ne_u32_e32 vcc_lo, 0, v4
	s_delay_alu instid0(VALU_DEP_3) | instskip(NEXT) | instid1(VALU_DEP_1)
	v_min_u32_e32 v6, 32, v6
	v_sub_nc_u32_e64 v6, v6, 4 clamp
	s_delay_alu instid0(VALU_DEP_1) | instskip(SKIP_1) | instid1(VALU_DEP_2)
	v_lshlrev_b32_e32 v7, v6, v4
	v_lshlrev_b32_e32 v6, 23, v6
	v_lshrrev_b32_e32 v7, 4, v7
	s_delay_alu instid0(VALU_DEP_1) | instskip(SKIP_1) | instid1(VALU_DEP_2)
	v_sub_nc_u32_e32 v6, v7, v6
	v_ashrrev_i32_e32 v7, 8, v9
	v_add_nc_u32_e32 v6, 0x3c000000, v6
	s_delay_alu instid0(VALU_DEP_1) | instskip(NEXT) | instid1(VALU_DEP_1)
	v_and_or_b32 v6, 0x7f800000, v7, v6
	v_cndmask_b32_e32 v4, 0, v6, vcc_lo
	s_delay_alu instid0(VALU_DEP_1) | instskip(NEXT) | instid1(VALU_DEP_1)
	v_and_or_b32 v3, 0x80000000, v3, v4
	v_cvt_i32_f32_e32 v3, v3
.LBB297_601:
	s_mov_b32 s2, 0
.LBB297_602:
	s_delay_alu instid0(SALU_CYCLE_1)
	s_and_not1_b32 vcc_lo, exec_lo, s2
	s_cbranch_vccnz .LBB297_604
; %bb.603:
	global_load_u8 v3, v[1:2], off
	s_waitcnt vmcnt(0)
	v_lshlrev_b32_e32 v4, 25, v3
	v_lshlrev_b16 v3, 8, v3
	s_delay_alu instid0(VALU_DEP_2) | instskip(NEXT) | instid1(VALU_DEP_2)
	v_lshrrev_b32_e32 v6, 4, v4
	v_and_or_b32 v7, 0x7f00, v3, 0.5
	v_cmp_gt_u32_e32 vcc_lo, 0x8000000, v4
	v_bfe_i32 v3, v3, 0, 16
	s_delay_alu instid0(VALU_DEP_4) | instskip(NEXT) | instid1(VALU_DEP_1)
	v_or_b32_e32 v6, 0x70000000, v6
	v_dual_add_f32 v7, -0.5, v7 :: v_dual_mul_f32 v6, 0x7800000, v6
	s_delay_alu instid0(VALU_DEP_1) | instskip(NEXT) | instid1(VALU_DEP_1)
	v_cndmask_b32_e32 v4, v6, v7, vcc_lo
	v_and_or_b32 v3, 0x80000000, v3, v4
	s_delay_alu instid0(VALU_DEP_1)
	v_cvt_i32_f32_e32 v3, v3
.LBB297_604:
	s_mov_b32 s24, 0
	s_mov_b32 s2, -1
.LBB297_605:
	s_and_not1_b32 vcc_lo, exec_lo, s24
	s_cbranch_vccnz .LBB297_618
; %bb.606:
	v_cmp_lt_i16_e32 vcc_lo, 14, v5
	s_cbranch_vccz .LBB297_609
; %bb.607:
	v_cmp_eq_u16_e32 vcc_lo, 15, v5
	s_cbranch_vccz .LBB297_612
; %bb.608:
	global_load_u16 v3, v[1:2], off
	s_mov_b32 s2, -1
	s_mov_b32 s3, 0
	s_waitcnt vmcnt(0)
	v_lshlrev_b32_e32 v3, 16, v3
	s_delay_alu instid0(VALU_DEP_1)
	v_cvt_i32_f32_e32 v3, v3
	s_branch .LBB297_613
.LBB297_609:
	s_mov_b32 s24, -1
                                        ; implicit-def: $vgpr3
	s_branch .LBB297_614
.LBB297_610:
	s_or_saveexec_b32 s24, s24
	v_mov_b32_e32 v3, s25
	s_xor_b32 exec_lo, exec_lo, s24
	s_cbranch_execz .LBB297_591
.LBB297_611:
	v_cmp_ne_u16_e32 vcc_lo, 0, v4
	v_mov_b32_e32 v3, 0
	s_and_not1_b32 s2, s2, exec_lo
	s_and_b32 s25, vcc_lo, exec_lo
	s_delay_alu instid0(SALU_CYCLE_1)
	s_or_b32 s2, s2, s25
	s_or_b32 exec_lo, exec_lo, s24
	s_and_saveexec_b32 s24, s2
	s_cbranch_execnz .LBB297_592
	s_branch .LBB297_593
.LBB297_612:
	s_mov_b32 s3, -1
                                        ; implicit-def: $vgpr3
.LBB297_613:
	s_mov_b32 s24, 0
.LBB297_614:
	s_delay_alu instid0(SALU_CYCLE_1)
	s_and_b32 vcc_lo, exec_lo, s24
	s_cbranch_vccz .LBB297_618
; %bb.615:
	v_cmp_eq_u16_e32 vcc_lo, 11, v5
	s_cbranch_vccz .LBB297_617
; %bb.616:
	global_load_u8 v3, v[1:2], off
	s_mov_b32 s3, 0
	s_mov_b32 s2, -1
	s_waitcnt vmcnt(0)
	v_cmp_ne_u16_e32 vcc_lo, 0, v3
	v_cndmask_b32_e64 v3, 0, 1, vcc_lo
	s_branch .LBB297_618
.LBB297_617:
	s_mov_b32 s3, -1
                                        ; implicit-def: $vgpr3
.LBB297_618:
	s_mov_b32 s24, 0
.LBB297_619:
	s_delay_alu instid0(SALU_CYCLE_1)
	s_and_b32 vcc_lo, exec_lo, s24
	s_cbranch_vccz .LBB297_668
; %bb.620:
	v_cmp_gt_i16_e32 vcc_lo, 5, v5
	s_cbranch_vccnz .LBB297_625
; %bb.621:
	v_cmp_gt_i16_e32 vcc_lo, 8, v5
	s_cbranch_vccnz .LBB297_626
	;; [unrolled: 3-line block ×3, first 2 shown]
; %bb.623:
	v_cmp_lt_i16_e32 vcc_lo, 9, v5
	s_cbranch_vccz .LBB297_628
; %bb.624:
	global_load_b64 v[3:4], v[1:2], off
	s_mov_b32 s2, 0
	s_waitcnt vmcnt(0)
	v_cvt_i32_f64_e32 v3, v[3:4]
	s_branch .LBB297_629
.LBB297_625:
	s_mov_b32 s2, -1
                                        ; implicit-def: $vgpr3
	s_branch .LBB297_647
.LBB297_626:
	s_mov_b32 s2, -1
                                        ; implicit-def: $vgpr3
	s_branch .LBB297_635
.LBB297_627:
	s_mov_b32 s2, -1
                                        ; implicit-def: $vgpr3
	s_branch .LBB297_632
.LBB297_628:
	s_mov_b32 s2, -1
                                        ; implicit-def: $vgpr3
.LBB297_629:
	s_delay_alu instid0(SALU_CYCLE_1)
	s_and_not1_b32 vcc_lo, exec_lo, s2
	s_cbranch_vccnz .LBB297_631
; %bb.630:
	global_load_b32 v3, v[1:2], off
	s_waitcnt vmcnt(0)
	v_cvt_i32_f32_e32 v3, v3
.LBB297_631:
	s_mov_b32 s2, 0
.LBB297_632:
	s_delay_alu instid0(SALU_CYCLE_1)
	s_and_not1_b32 vcc_lo, exec_lo, s2
	s_cbranch_vccnz .LBB297_634
; %bb.633:
	global_load_b32 v3, v[1:2], off
	s_waitcnt vmcnt(0)
	v_cvt_f32_f16_e32 v3, v3
	s_delay_alu instid0(VALU_DEP_1)
	v_cvt_i32_f32_e32 v3, v3
.LBB297_634:
	s_mov_b32 s2, 0
.LBB297_635:
	s_delay_alu instid0(SALU_CYCLE_1)
	s_and_not1_b32 vcc_lo, exec_lo, s2
	s_cbranch_vccnz .LBB297_646
; %bb.636:
	v_cmp_gt_i16_e32 vcc_lo, 6, v5
	s_cbranch_vccnz .LBB297_639
; %bb.637:
	v_cmp_lt_i16_e32 vcc_lo, 6, v5
	s_cbranch_vccz .LBB297_640
; %bb.638:
	global_load_b64 v[3:4], v[1:2], off
	s_mov_b32 s2, 0
	s_waitcnt vmcnt(0)
	v_cvt_i32_f64_e32 v3, v[3:4]
	s_branch .LBB297_641
.LBB297_639:
	s_mov_b32 s2, -1
                                        ; implicit-def: $vgpr3
	s_branch .LBB297_644
.LBB297_640:
	s_mov_b32 s2, -1
                                        ; implicit-def: $vgpr3
.LBB297_641:
	s_delay_alu instid0(SALU_CYCLE_1)
	s_and_not1_b32 vcc_lo, exec_lo, s2
	s_cbranch_vccnz .LBB297_643
; %bb.642:
	global_load_b32 v3, v[1:2], off
	s_waitcnt vmcnt(0)
	v_cvt_i32_f32_e32 v3, v3
.LBB297_643:
	s_mov_b32 s2, 0
.LBB297_644:
	s_delay_alu instid0(SALU_CYCLE_1)
	s_and_not1_b32 vcc_lo, exec_lo, s2
	s_cbranch_vccnz .LBB297_646
; %bb.645:
	global_load_u16 v3, v[1:2], off
	s_waitcnt vmcnt(0)
	v_cvt_f32_f16_e32 v3, v3
	s_delay_alu instid0(VALU_DEP_1)
	v_cvt_i32_f32_e32 v3, v3
.LBB297_646:
	s_mov_b32 s2, 0
.LBB297_647:
	s_delay_alu instid0(SALU_CYCLE_1)
	s_and_not1_b32 vcc_lo, exec_lo, s2
	s_cbranch_vccnz .LBB297_667
; %bb.648:
	v_cmp_gt_i16_e32 vcc_lo, 2, v5
	s_cbranch_vccnz .LBB297_652
; %bb.649:
	v_cmp_gt_i16_e32 vcc_lo, 3, v5
	s_cbranch_vccnz .LBB297_653
; %bb.650:
	v_cmp_lt_i16_e32 vcc_lo, 3, v5
	s_cbranch_vccz .LBB297_654
; %bb.651:
	global_load_b32 v3, v[1:2], off
	s_mov_b32 s2, 0
	s_branch .LBB297_655
.LBB297_652:
	s_mov_b32 s2, -1
                                        ; implicit-def: $vgpr3
	s_branch .LBB297_661
.LBB297_653:
	s_mov_b32 s2, -1
                                        ; implicit-def: $vgpr3
	s_branch .LBB297_658
.LBB297_654:
	s_mov_b32 s2, -1
                                        ; implicit-def: $vgpr3
.LBB297_655:
	s_delay_alu instid0(SALU_CYCLE_1)
	s_and_not1_b32 vcc_lo, exec_lo, s2
	s_cbranch_vccnz .LBB297_657
; %bb.656:
	global_load_b32 v3, v[1:2], off
.LBB297_657:
	s_mov_b32 s2, 0
.LBB297_658:
	s_delay_alu instid0(SALU_CYCLE_1)
	s_and_not1_b32 vcc_lo, exec_lo, s2
	s_cbranch_vccnz .LBB297_660
; %bb.659:
	global_load_i16 v3, v[1:2], off
.LBB297_660:
	s_mov_b32 s2, 0
.LBB297_661:
	s_delay_alu instid0(SALU_CYCLE_1)
	s_and_not1_b32 vcc_lo, exec_lo, s2
	s_cbranch_vccnz .LBB297_667
; %bb.662:
	v_cmp_lt_i16_e32 vcc_lo, 0, v5
	s_mov_b32 s2, 0
	s_cbranch_vccz .LBB297_664
; %bb.663:
	global_load_i8 v3, v[1:2], off
	s_branch .LBB297_665
.LBB297_664:
	s_mov_b32 s2, -1
                                        ; implicit-def: $vgpr3
.LBB297_665:
	s_delay_alu instid0(SALU_CYCLE_1)
	s_and_not1_b32 vcc_lo, exec_lo, s2
	s_cbranch_vccnz .LBB297_667
; %bb.666:
	global_load_u8 v3, v[1:2], off
.LBB297_667:
	s_mov_b32 s2, -1
.LBB297_668:
	s_delay_alu instid0(SALU_CYCLE_1)
	s_and_not1_b32 vcc_lo, exec_lo, s2
	s_cbranch_vccnz .LBB297_676
; %bb.669:
	v_and_b32_e64 v6, 0xff, s31
	s_waitcnt vmcnt(0)
	s_delay_alu instid0(VALU_DEP_2) | instskip(SKIP_1) | instid1(VALU_DEP_1)
	v_maxmin_i32 v1, v3, s18, s19
	v_add_co_u32 v3, s2, s4, v0
	v_add_co_ci_u32_e64 v4, null, s5, 0, s2
	v_cmp_gt_i16_e32 vcc_lo, 11, v6
	s_mov_b32 s24, 0
	s_mov_b32 s25, -1
	s_mov_b32 s2, s41
	s_cbranch_vccnz .LBB297_677
; %bb.670:
	v_cmp_lt_i16_e32 vcc_lo, 25, v6
	s_cbranch_vccz .LBB297_718
; %bb.671:
	v_cmp_lt_i16_e32 vcc_lo, 28, v6
	s_cbranch_vccz .LBB297_719
	;; [unrolled: 3-line block ×4, first 2 shown]
; %bb.674:
	v_cmp_eq_u16_e32 vcc_lo, 46, v6
	s_mov_b32 s25, 0
	s_mov_b32 s2, -1
	s_cbranch_vccz .LBB297_722
; %bb.675:
	v_cvt_f32_i32_e32 v0, v1
	s_mov_b32 s24, -1
	s_mov_b32 s2, 0
	s_delay_alu instid0(VALU_DEP_1) | instskip(NEXT) | instid1(VALU_DEP_1)
	v_bfe_u32 v2, v0, 16, 1
	v_add3_u32 v0, v0, v2, 0x7fff
	s_delay_alu instid0(VALU_DEP_1)
	v_lshrrev_b32_e32 v0, 16, v0
	global_store_b32 v[3:4], v0, off
	s_branch .LBB297_722
.LBB297_676:
	s_mov_b32 s44, 0
	s_mov_b32 s2, s41
	s_branch .LBB297_717
.LBB297_677:
	s_and_b32 vcc_lo, exec_lo, s25
	s_cbranch_vccz .LBB297_791
; %bb.678:
	v_cmp_gt_i16_e32 vcc_lo, 5, v6
	s_mov_b32 s24, -1
	s_cbranch_vccnz .LBB297_699
; %bb.679:
	v_cmp_gt_i16_e32 vcc_lo, 8, v6
	s_cbranch_vccnz .LBB297_689
; %bb.680:
	v_cmp_gt_i16_e32 vcc_lo, 9, v6
	s_cbranch_vccnz .LBB297_686
; %bb.681:
	v_cmp_lt_i16_e32 vcc_lo, 9, v6
	s_cbranch_vccz .LBB297_683
; %bb.682:
	v_cvt_f64_i32_e32 v[9:10], v1
	v_mov_b32_e32 v11, 0
	s_mov_b32 s24, 0
	s_delay_alu instid0(VALU_DEP_1)
	v_mov_b32_e32 v12, v11
	global_store_b128 v[3:4], v[9:12], off
.LBB297_683:
	s_and_not1_b32 vcc_lo, exec_lo, s24
	s_cbranch_vccnz .LBB297_685
; %bb.684:
	v_cvt_f32_i32_e32 v9, v1
	v_mov_b32_e32 v10, 0
	global_store_b64 v[3:4], v[9:10], off
.LBB297_685:
	s_mov_b32 s24, 0
.LBB297_686:
	s_delay_alu instid0(SALU_CYCLE_1)
	s_and_not1_b32 vcc_lo, exec_lo, s24
	s_cbranch_vccnz .LBB297_688
; %bb.687:
	v_cvt_f32_i32_e32 v0, v1
	s_delay_alu instid0(VALU_DEP_1) | instskip(NEXT) | instid1(VALU_DEP_1)
	v_cvt_f16_f32_e32 v0, v0
	v_and_b32_e32 v0, 0xffff, v0
	global_store_b32 v[3:4], v0, off
.LBB297_688:
	s_mov_b32 s24, 0
.LBB297_689:
	s_delay_alu instid0(SALU_CYCLE_1)
	s_and_not1_b32 vcc_lo, exec_lo, s24
	s_cbranch_vccnz .LBB297_698
; %bb.690:
	v_cmp_gt_i16_e32 vcc_lo, 6, v6
	s_mov_b32 s24, -1
	s_cbranch_vccnz .LBB297_696
; %bb.691:
	v_cmp_lt_i16_e32 vcc_lo, 6, v6
	s_cbranch_vccz .LBB297_693
; %bb.692:
	v_cvt_f64_i32_e32 v[9:10], v1
	s_mov_b32 s24, 0
	global_store_b64 v[3:4], v[9:10], off
.LBB297_693:
	s_and_not1_b32 vcc_lo, exec_lo, s24
	s_cbranch_vccnz .LBB297_695
; %bb.694:
	v_cvt_f32_i32_e32 v0, v1
	global_store_b32 v[3:4], v0, off
.LBB297_695:
	s_mov_b32 s24, 0
.LBB297_696:
	s_delay_alu instid0(SALU_CYCLE_1)
	s_and_not1_b32 vcc_lo, exec_lo, s24
	s_cbranch_vccnz .LBB297_698
; %bb.697:
	v_cvt_f32_i32_e32 v0, v1
	s_delay_alu instid0(VALU_DEP_1)
	v_cvt_f16_f32_e32 v0, v0
	global_store_b16 v[3:4], v0, off
.LBB297_698:
	s_mov_b32 s24, 0
.LBB297_699:
	s_delay_alu instid0(SALU_CYCLE_1)
	s_and_not1_b32 vcc_lo, exec_lo, s24
	s_cbranch_vccnz .LBB297_715
; %bb.700:
	v_cmp_gt_i16_e32 vcc_lo, 2, v6
	s_mov_b32 s24, -1
	s_cbranch_vccnz .LBB297_710
; %bb.701:
	v_cmp_gt_i16_e32 vcc_lo, 3, v6
	s_cbranch_vccnz .LBB297_707
; %bb.702:
	v_cmp_lt_i16_e32 vcc_lo, 3, v6
	s_cbranch_vccz .LBB297_704
; %bb.703:
	v_ashrrev_i32_e32 v2, 31, v1
	s_mov_b32 s24, 0
	global_store_b64 v[3:4], v[1:2], off
.LBB297_704:
	s_and_not1_b32 vcc_lo, exec_lo, s24
	s_cbranch_vccnz .LBB297_706
; %bb.705:
	global_store_b32 v[3:4], v1, off
.LBB297_706:
	s_mov_b32 s24, 0
.LBB297_707:
	s_delay_alu instid0(SALU_CYCLE_1)
	s_and_not1_b32 vcc_lo, exec_lo, s24
	s_cbranch_vccnz .LBB297_709
; %bb.708:
	global_store_b16 v[3:4], v1, off
.LBB297_709:
	s_mov_b32 s24, 0
.LBB297_710:
	s_delay_alu instid0(SALU_CYCLE_1)
	s_and_not1_b32 vcc_lo, exec_lo, s24
	s_cbranch_vccnz .LBB297_715
; %bb.711:
	v_cmp_lt_i16_e32 vcc_lo, 0, v6
	s_mov_b32 s24, -1
	s_cbranch_vccz .LBB297_713
; %bb.712:
	s_mov_b32 s24, 0
	global_store_b8 v[3:4], v1, off
.LBB297_713:
	s_and_not1_b32 vcc_lo, exec_lo, s24
	s_cbranch_vccnz .LBB297_715
; %bb.714:
	global_store_b8 v[3:4], v1, off
.LBB297_715:
	s_branch .LBB297_792
.LBB297_716:
	s_mov_b32 s44, 0
.LBB297_717:
                                        ; implicit-def: $vgpr8
	s_branch .LBB297_793
.LBB297_718:
	s_mov_b32 s2, s41
	s_branch .LBB297_749
.LBB297_719:
	s_mov_b32 s2, s41
	s_branch .LBB297_732
.LBB297_720:
	s_mov_b32 s2, s41
	s_branch .LBB297_728
.LBB297_721:
	s_mov_b32 s2, s41
.LBB297_722:
	s_and_b32 vcc_lo, exec_lo, s25
	s_cbranch_vccz .LBB297_727
; %bb.723:
	v_cmp_eq_u16_e32 vcc_lo, 44, v6
	s_mov_b32 s2, -1
	s_cbranch_vccz .LBB297_727
; %bb.724:
	v_cvt_f32_i32_e32 v0, v1
	v_mov_b32_e32 v2, 0xff
	s_mov_b32 s24, exec_lo
	s_delay_alu instid0(VALU_DEP_2) | instskip(NEXT) | instid1(VALU_DEP_1)
	v_bfe_u32 v7, v0, 23, 8
	v_cmpx_ne_u32_e32 0xff, v7
; %bb.725:
	v_and_b32_e32 v2, 0x400000, v0
	v_and_or_b32 v7, 0x3fffff, v0, v7
	v_lshrrev_b32_e32 v0, 23, v0
	s_delay_alu instid0(VALU_DEP_3) | instskip(NEXT) | instid1(VALU_DEP_3)
	v_cmp_ne_u32_e32 vcc_lo, 0, v2
	v_cmp_ne_u32_e64 s2, 0, v7
	s_delay_alu instid0(VALU_DEP_1) | instskip(NEXT) | instid1(SALU_CYCLE_1)
	s_and_b32 s2, vcc_lo, s2
	v_cndmask_b32_e64 v2, 0, 1, s2
	s_delay_alu instid0(VALU_DEP_1)
	v_add_nc_u32_e32 v2, v0, v2
; %bb.726:
	s_or_b32 exec_lo, exec_lo, s24
	s_mov_b32 s24, -1
	s_mov_b32 s2, 0
	global_store_b8 v[3:4], v2, off
.LBB297_727:
	s_mov_b32 s25, 0
.LBB297_728:
	s_delay_alu instid0(SALU_CYCLE_1)
	s_and_b32 vcc_lo, exec_lo, s25
	s_cbranch_vccz .LBB297_731
; %bb.729:
	v_cmp_eq_u16_e32 vcc_lo, 29, v6
	s_mov_b32 s2, -1
	s_cbranch_vccz .LBB297_731
; %bb.730:
	v_ashrrev_i32_e32 v2, 31, v1
	s_mov_b32 s24, -1
	s_mov_b32 s2, 0
	s_mov_b32 s25, 0
	global_store_b64 v[3:4], v[1:2], off
	s_branch .LBB297_732
.LBB297_731:
	s_mov_b32 s25, 0
.LBB297_732:
	s_delay_alu instid0(SALU_CYCLE_1)
	s_and_b32 vcc_lo, exec_lo, s25
	s_cbranch_vccz .LBB297_748
; %bb.733:
	v_cmp_gt_i16_e32 vcc_lo, 27, v6
	s_mov_b32 s24, -1
	s_cbranch_vccnz .LBB297_739
; %bb.734:
	v_cmp_lt_i16_e32 vcc_lo, 27, v6
	s_cbranch_vccz .LBB297_736
; %bb.735:
	s_mov_b32 s24, 0
	global_store_b32 v[3:4], v1, off
.LBB297_736:
	s_and_not1_b32 vcc_lo, exec_lo, s24
	s_cbranch_vccnz .LBB297_738
; %bb.737:
	global_store_b16 v[3:4], v1, off
.LBB297_738:
	s_mov_b32 s24, 0
.LBB297_739:
	s_delay_alu instid0(SALU_CYCLE_1)
	s_and_not1_b32 vcc_lo, exec_lo, s24
	s_cbranch_vccnz .LBB297_747
; %bb.740:
	v_cvt_f32_i32_e32 v0, v1
	v_mov_b32_e32 v7, 0x80
	s_mov_b32 s24, exec_lo
	s_delay_alu instid0(VALU_DEP_2) | instskip(NEXT) | instid1(VALU_DEP_1)
	v_and_b32_e32 v2, 0x7fffffff, v0
	v_cmpx_gt_u32_e32 0x43800000, v2
	s_cbranch_execz .LBB297_746
; %bb.741:
	v_cmp_lt_u32_e32 vcc_lo, 0x3bffffff, v2
	s_mov_b32 s25, 0
                                        ; implicit-def: $vgpr2
	s_and_saveexec_b32 s44, vcc_lo
	s_delay_alu instid0(SALU_CYCLE_1)
	s_xor_b32 s44, exec_lo, s44
	s_cbranch_execz .LBB297_820
; %bb.742:
	v_bfe_u32 v2, v0, 20, 1
	s_mov_b32 s25, exec_lo
	s_delay_alu instid0(VALU_DEP_1) | instskip(NEXT) | instid1(VALU_DEP_1)
	v_add3_u32 v2, v0, v2, 0x487ffff
	v_lshrrev_b32_e32 v2, 20, v2
	s_or_saveexec_b32 s44, s44
                                        ; implicit-def: $sgpr45
	s_delay_alu instid0(SALU_CYCLE_1)
	s_xor_b32 exec_lo, exec_lo, s44
	s_cbranch_execnz .LBB297_821
.LBB297_743:
	s_or_b32 exec_lo, exec_lo, s44
	v_mov_b32_e32 v7, s45
	s_and_saveexec_b32 s44, s25
.LBB297_744:
	v_lshrrev_b32_e32 v0, 24, v0
	s_delay_alu instid0(VALU_DEP_1)
	v_and_or_b32 v7, 0x80, v0, v2
.LBB297_745:
	s_or_b32 exec_lo, exec_lo, s44
.LBB297_746:
	s_delay_alu instid0(SALU_CYCLE_1)
	s_or_b32 exec_lo, exec_lo, s24
	global_store_b8 v[3:4], v7, off
.LBB297_747:
	s_mov_b32 s24, -1
.LBB297_748:
	s_mov_b32 s25, 0
.LBB297_749:
	s_delay_alu instid0(SALU_CYCLE_1)
	s_and_b32 vcc_lo, exec_lo, s25
	s_cbranch_vccz .LBB297_790
; %bb.750:
	v_cmp_lt_i16_e32 vcc_lo, 22, v6
	s_mov_b32 s25, -1
	s_cbranch_vccz .LBB297_782
; %bb.751:
	v_cmp_gt_i16_e32 vcc_lo, 24, v6
	s_mov_b32 s24, -1
	s_cbranch_vccnz .LBB297_771
; %bb.752:
	v_cmp_lt_i16_e32 vcc_lo, 24, v6
	s_cbranch_vccz .LBB297_760
; %bb.753:
	v_cvt_f32_i32_e32 v0, v1
	v_mov_b32_e32 v7, 0x80
	s_mov_b32 s24, exec_lo
	s_delay_alu instid0(VALU_DEP_2) | instskip(NEXT) | instid1(VALU_DEP_1)
	v_and_b32_e32 v2, 0x7fffffff, v0
	v_cmpx_gt_u32_e32 0x47800000, v2
	s_cbranch_execz .LBB297_759
; %bb.754:
	v_cmp_lt_u32_e32 vcc_lo, 0x37ffffff, v2
	s_mov_b32 s25, 0
                                        ; implicit-def: $vgpr2
	s_and_saveexec_b32 s44, vcc_lo
	s_delay_alu instid0(SALU_CYCLE_1)
	s_xor_b32 s44, exec_lo, s44
	s_cbranch_execz .LBB297_823
; %bb.755:
	v_bfe_u32 v2, v0, 21, 1
	s_mov_b32 s25, exec_lo
	s_delay_alu instid0(VALU_DEP_1) | instskip(NEXT) | instid1(VALU_DEP_1)
	v_add3_u32 v2, v0, v2, 0x88fffff
	v_lshrrev_b32_e32 v2, 21, v2
	s_or_saveexec_b32 s44, s44
                                        ; implicit-def: $sgpr45
	s_delay_alu instid0(SALU_CYCLE_1)
	s_xor_b32 exec_lo, exec_lo, s44
	s_cbranch_execnz .LBB297_824
.LBB297_756:
	s_or_b32 exec_lo, exec_lo, s44
	v_mov_b32_e32 v7, s45
	s_and_saveexec_b32 s44, s25
.LBB297_757:
	v_lshrrev_b32_e32 v0, 24, v0
	s_delay_alu instid0(VALU_DEP_1)
	v_and_or_b32 v7, 0x80, v0, v2
.LBB297_758:
	s_or_b32 exec_lo, exec_lo, s44
.LBB297_759:
	s_delay_alu instid0(SALU_CYCLE_1)
	s_or_b32 exec_lo, exec_lo, s24
	s_mov_b32 s24, 0
	global_store_b8 v[3:4], v7, off
.LBB297_760:
	s_and_b32 vcc_lo, exec_lo, s24
	s_cbranch_vccz .LBB297_770
; %bb.761:
	v_cvt_f32_i32_e32 v0, v1
	s_mov_b32 s24, exec_lo
                                        ; implicit-def: $vgpr2
	s_delay_alu instid0(VALU_DEP_1) | instskip(NEXT) | instid1(VALU_DEP_1)
	v_and_b32_e32 v7, 0x7fffffff, v0
	v_cmpx_gt_u32_e32 0x43f00000, v7
	s_xor_b32 s24, exec_lo, s24
	s_cbranch_execz .LBB297_767
; %bb.762:
	s_mov_b32 s25, exec_lo
                                        ; implicit-def: $vgpr2
	v_cmpx_lt_u32_e32 0x3c7fffff, v7
	s_xor_b32 s25, exec_lo, s25
; %bb.763:
	v_bfe_u32 v2, v0, 20, 1
	s_delay_alu instid0(VALU_DEP_1) | instskip(NEXT) | instid1(VALU_DEP_1)
	v_add3_u32 v2, v0, v2, 0x407ffff
	v_and_b32_e32 v7, 0xff00000, v2
	v_lshrrev_b32_e32 v2, 20, v2
	s_delay_alu instid0(VALU_DEP_2) | instskip(NEXT) | instid1(VALU_DEP_2)
	v_cmp_ne_u32_e32 vcc_lo, 0x7f00000, v7
	v_cndmask_b32_e32 v2, 0x7e, v2, vcc_lo
; %bb.764:
	s_and_not1_saveexec_b32 s25, s25
; %bb.765:
	v_add_f32_e64 v2, 0x46800000, |v0|
; %bb.766:
	s_or_b32 exec_lo, exec_lo, s25
                                        ; implicit-def: $vgpr7
.LBB297_767:
	s_and_not1_saveexec_b32 s24, s24
; %bb.768:
	v_mov_b32_e32 v2, 0x7f
	v_cmp_lt_u32_e32 vcc_lo, 0x7f800000, v7
	s_delay_alu instid0(VALU_DEP_2)
	v_cndmask_b32_e32 v2, 0x7e, v2, vcc_lo
; %bb.769:
	s_or_b32 exec_lo, exec_lo, s24
	v_lshrrev_b32_e32 v0, 24, v0
	s_delay_alu instid0(VALU_DEP_1)
	v_and_or_b32 v0, 0x80, v0, v2
	global_store_b8 v[3:4], v0, off
.LBB297_770:
	s_mov_b32 s24, 0
.LBB297_771:
	s_delay_alu instid0(SALU_CYCLE_1)
	s_and_not1_b32 vcc_lo, exec_lo, s24
	s_cbranch_vccnz .LBB297_781
; %bb.772:
	v_cvt_f32_i32_e32 v0, v1
	s_mov_b32 s24, exec_lo
                                        ; implicit-def: $vgpr2
	s_delay_alu instid0(VALU_DEP_1) | instskip(NEXT) | instid1(VALU_DEP_1)
	v_and_b32_e32 v7, 0x7fffffff, v0
	v_cmpx_gt_u32_e32 0x47800000, v7
	s_xor_b32 s24, exec_lo, s24
	s_cbranch_execz .LBB297_778
; %bb.773:
	s_mov_b32 s25, exec_lo
                                        ; implicit-def: $vgpr2
	v_cmpx_lt_u32_e32 0x387fffff, v7
	s_xor_b32 s25, exec_lo, s25
; %bb.774:
	v_bfe_u32 v2, v0, 21, 1
	s_delay_alu instid0(VALU_DEP_1) | instskip(NEXT) | instid1(VALU_DEP_1)
	v_add3_u32 v2, v0, v2, 0x80fffff
	v_lshrrev_b32_e32 v2, 21, v2
; %bb.775:
	s_and_not1_saveexec_b32 s25, s25
; %bb.776:
	v_add_f32_e64 v2, 0x43000000, |v0|
; %bb.777:
	s_or_b32 exec_lo, exec_lo, s25
                                        ; implicit-def: $vgpr7
.LBB297_778:
	s_and_not1_saveexec_b32 s24, s24
; %bb.779:
	v_mov_b32_e32 v2, 0x7f
	v_cmp_lt_u32_e32 vcc_lo, 0x7f800000, v7
	s_delay_alu instid0(VALU_DEP_2)
	v_cndmask_b32_e32 v2, 0x7c, v2, vcc_lo
; %bb.780:
	s_or_b32 exec_lo, exec_lo, s24
	v_lshrrev_b32_e32 v0, 24, v0
	s_delay_alu instid0(VALU_DEP_1)
	v_and_or_b32 v0, 0x80, v0, v2
	global_store_b8 v[3:4], v0, off
.LBB297_781:
	s_mov_b32 s25, 0
	s_mov_b32 s24, -1
.LBB297_782:
	s_and_not1_b32 vcc_lo, exec_lo, s25
	s_cbranch_vccnz .LBB297_790
; %bb.783:
	v_cmp_lt_i16_e32 vcc_lo, 14, v6
	s_mov_b32 s25, -1
	s_cbranch_vccz .LBB297_787
; %bb.784:
	v_cmp_eq_u16_e32 vcc_lo, 15, v6
	s_mov_b32 s2, -1
	s_cbranch_vccz .LBB297_786
; %bb.785:
	v_cvt_f32_i32_e32 v0, v1
	s_mov_b32 s24, -1
	s_mov_b32 s2, 0
	s_delay_alu instid0(VALU_DEP_1) | instskip(NEXT) | instid1(VALU_DEP_1)
	v_bfe_u32 v2, v0, 16, 1
	v_add3_u32 v0, v0, v2, 0x7fff
	global_store_d16_hi_b16 v[3:4], v0, off
.LBB297_786:
	s_mov_b32 s25, 0
.LBB297_787:
	s_delay_alu instid0(SALU_CYCLE_1)
	s_and_b32 vcc_lo, exec_lo, s25
	s_cbranch_vccz .LBB297_790
; %bb.788:
	v_cmp_eq_u16_e32 vcc_lo, 11, v6
	s_mov_b32 s2, -1
	s_cbranch_vccz .LBB297_790
; %bb.789:
	v_cmp_ne_u32_e32 vcc_lo, 0, v1
	s_mov_b32 s2, 0
	s_mov_b32 s24, -1
	v_cndmask_b32_e64 v0, 0, 1, vcc_lo
	global_store_b8 v[3:4], v0, off
.LBB297_790:
.LBB297_791:
	s_and_not1_b32 vcc_lo, exec_lo, s24
	s_cbranch_vccnz .LBB297_716
.LBB297_792:
	v_add_nc_u32_e32 v8, 0x80, v8
	s_mov_b32 s44, -1
.LBB297_793:
	s_and_not1_b32 s24, s41, exec_lo
	s_and_b32 s2, s2, exec_lo
	s_and_not1_b32 s45, s40, exec_lo
	s_and_b32 s3, s3, exec_lo
	s_or_b32 s25, s24, s2
	s_or_b32 s24, s45, s3
	s_or_not1_b32 s45, s44, exec_lo
.LBB297_794:
	s_or_b32 exec_lo, exec_lo, s43
	s_mov_b32 s2, 0
	s_mov_b32 s3, 0
	;; [unrolled: 1-line block ×3, first 2 shown]
                                        ; implicit-def: $vgpr1_vgpr2
                                        ; implicit-def: $vgpr0
                                        ; implicit-def: $vgpr6
	s_and_saveexec_b32 s43, s45
	s_cbranch_execz .LBB297_888
; %bb.795:
	v_cmp_gt_i32_e32 vcc_lo, s34, v8
	s_mov_b32 s46, s24
	s_mov_b32 s45, 0
                                        ; implicit-def: $vgpr1_vgpr2
                                        ; implicit-def: $vgpr0
                                        ; implicit-def: $vgpr6
	s_and_saveexec_b32 s34, vcc_lo
	s_cbranch_execz .LBB297_887
; %bb.796:
	s_and_not1_b32 vcc_lo, exec_lo, s29
	s_cbranch_vccnz .LBB297_801
; %bb.797:
	v_dual_mov_b32 v0, 0 :: v_dual_mov_b32 v1, 0
	s_and_not1_b32 vcc_lo, exec_lo, s36
	s_mov_b32 s36, 0
	s_cbranch_vccnz .LBB297_806
; %bb.798:
	v_mov_b32_e32 v0, 0
	s_add_i32 s44, s35, 1
	s_cmp_eq_u32 s27, 2
	s_mov_b32 s35, 0
	s_cbranch_scc1 .LBB297_802
; %bb.799:
	v_dual_mov_b32 v1, 0 :: v_dual_mov_b32 v0, 0
	v_mov_b32_e32 v2, v8
	s_and_b32 s35, s44, 28
	s_mov_b64 s[2:3], s[16:17]
.LBB297_800:                            ; =>This Inner Loop Header: Depth=1
	s_clause 0x1
	s_load_b256 s[48:55], s[2:3], 0x4
	s_load_b128 s[64:67], s[2:3], 0x24
	s_load_b256 s[56:63], s[22:23], 0x0
	s_add_u32 s2, s2, 48
	s_addc_u32 s3, s3, 0
	s_add_i32 s45, s45, 4
	s_add_u32 s22, s22, 32
	s_addc_u32 s23, s23, 0
	s_cmp_eq_u32 s35, s45
	s_waitcnt vmcnt(0) lgkmcnt(0)
	v_mul_hi_u32 v3, s49, v2
	s_delay_alu instid0(VALU_DEP_1) | instskip(NEXT) | instid1(VALU_DEP_1)
	v_add_nc_u32_e32 v3, v2, v3
	v_lshrrev_b32_e32 v3, s50, v3
	s_delay_alu instid0(VALU_DEP_1) | instskip(SKIP_1) | instid1(VALU_DEP_2)
	v_mul_hi_u32 v4, s52, v3
	v_mul_lo_u32 v7, v3, s48
	v_add_nc_u32_e32 v4, v3, v4
	s_delay_alu instid0(VALU_DEP_2) | instskip(NEXT) | instid1(VALU_DEP_2)
	v_sub_nc_u32_e32 v2, v2, v7
	v_lshrrev_b32_e32 v4, s53, v4
	s_delay_alu instid0(VALU_DEP_2) | instskip(SKIP_1) | instid1(VALU_DEP_3)
	v_mul_lo_u32 v7, v2, s56
	v_mul_lo_u32 v10, v2, s57
	v_mul_hi_u32 v6, s55, v4
	s_delay_alu instid0(VALU_DEP_1) | instskip(NEXT) | instid1(VALU_DEP_1)
	v_add_nc_u32_e32 v6, v4, v6
	v_lshrrev_b32_e32 v6, s64, v6
	s_delay_alu instid0(VALU_DEP_1) | instskip(SKIP_1) | instid1(VALU_DEP_2)
	v_mul_hi_u32 v9, s66, v6
	v_mul_lo_u32 v11, v6, s54
	v_add_nc_u32_e32 v2, v6, v9
	v_mul_lo_u32 v9, v4, s51
	s_delay_alu instid0(VALU_DEP_3) | instskip(NEXT) | instid1(VALU_DEP_3)
	v_sub_nc_u32_e32 v4, v4, v11
	v_lshrrev_b32_e32 v2, s67, v2
	s_delay_alu instid0(VALU_DEP_2) | instskip(SKIP_2) | instid1(VALU_DEP_4)
	v_mul_lo_u32 v11, v4, s60
	v_mul_lo_u32 v4, v4, s61
	v_sub_nc_u32_e32 v3, v3, v9
	v_mul_lo_u32 v12, v2, s65
	s_delay_alu instid0(VALU_DEP_2) | instskip(SKIP_1) | instid1(VALU_DEP_3)
	v_mul_lo_u32 v9, v3, s58
	v_mul_lo_u32 v3, v3, s59
	v_sub_nc_u32_e32 v6, v6, v12
	s_delay_alu instid0(VALU_DEP_3) | instskip(NEXT) | instid1(VALU_DEP_2)
	v_add3_u32 v0, v7, v0, v9
	v_mul_lo_u32 v12, v6, s62
	v_mul_lo_u32 v6, v6, s63
	v_add3_u32 v1, v10, v1, v3
	s_delay_alu instid0(VALU_DEP_3) | instskip(NEXT) | instid1(VALU_DEP_2)
	v_add3_u32 v0, v11, v0, v12
	v_add3_u32 v1, v4, v1, v6
	s_cbranch_scc0 .LBB297_800
	s_branch .LBB297_803
.LBB297_801:
	s_mov_b32 s36, -1
                                        ; implicit-def: $vgpr0
                                        ; implicit-def: $vgpr1
	s_branch .LBB297_806
.LBB297_802:
	v_dual_mov_b32 v2, v8 :: v_dual_mov_b32 v1, 0
.LBB297_803:
	s_and_b32 s44, s44, 3
	s_delay_alu instid0(SALU_CYCLE_1)
	s_cmp_eq_u32 s44, 0
	s_cbranch_scc1 .LBB297_806
; %bb.804:
	s_lshl_b32 s2, s35, 3
	s_mul_i32 s22, s35, 12
	s_add_u32 s2, s2, s16
	s_addc_u32 s3, s17, 0
	s_add_u32 s2, s2, 0xc4
	s_addc_u32 s3, s3, 0
	;; [unrolled: 2-line block ×3, first 2 shown]
.LBB297_805:                            ; =>This Inner Loop Header: Depth=1
	s_clause 0x1
	s_load_b64 s[46:47], s[22:23], 0x4
	s_load_b32 s35, s[22:23], 0xc
	s_load_b64 s[48:49], s[2:3], 0x0
	s_add_u32 s22, s22, 12
	s_addc_u32 s23, s23, 0
	s_add_u32 s2, s2, 8
	s_addc_u32 s3, s3, 0
	s_add_i32 s44, s44, -1
	s_delay_alu instid0(SALU_CYCLE_1) | instskip(SKIP_2) | instid1(VALU_DEP_1)
	s_cmp_lg_u32 s44, 0
	s_waitcnt vmcnt(0) lgkmcnt(0)
	v_mul_hi_u32 v3, s47, v2
	v_add_nc_u32_e32 v3, v2, v3
	s_delay_alu instid0(VALU_DEP_1) | instskip(NEXT) | instid1(VALU_DEP_1)
	v_lshrrev_b32_e32 v9, s35, v3
	v_mul_lo_u32 v3, v9, s46
	s_delay_alu instid0(VALU_DEP_1) | instskip(NEXT) | instid1(VALU_DEP_1)
	v_sub_nc_u32_e32 v2, v2, v3
	v_mad_u64_u32 v[3:4], null, v2, s48, v[0:1]
	v_mad_u64_u32 v[6:7], null, v2, s49, v[1:2]
	v_mov_b32_e32 v2, v9
	s_delay_alu instid0(VALU_DEP_2)
	v_dual_mov_b32 v0, v3 :: v_dual_mov_b32 v1, v6
	s_cbranch_scc1 .LBB297_805
.LBB297_806:
	s_and_not1_b32 vcc_lo, exec_lo, s36
	s_cbranch_vccnz .LBB297_809
; %bb.807:
	v_mul_hi_u32 v0, s13, v8
	s_and_not1_b32 vcc_lo, exec_lo, s33
	s_delay_alu instid0(VALU_DEP_1) | instskip(NEXT) | instid1(VALU_DEP_1)
	v_add_nc_u32_e32 v0, v8, v0
	v_lshrrev_b32_e32 v2, s14, v0
	s_delay_alu instid0(VALU_DEP_1) | instskip(NEXT) | instid1(VALU_DEP_1)
	v_mul_lo_u32 v0, v2, s12
	v_sub_nc_u32_e32 v1, v8, v0
	s_delay_alu instid0(VALU_DEP_1)
	v_mul_lo_u32 v0, v1, s8
	v_mul_lo_u32 v1, v1, s9
	s_cbranch_vccnz .LBB297_809
; %bb.808:
	s_waitcnt vmcnt(0)
	v_mul_hi_u32 v3, s20, v2
	s_delay_alu instid0(VALU_DEP_1) | instskip(NEXT) | instid1(VALU_DEP_1)
	v_add_nc_u32_e32 v3, v2, v3
	v_lshrrev_b32_e32 v3, s21, v3
	s_delay_alu instid0(VALU_DEP_1) | instskip(NEXT) | instid1(VALU_DEP_1)
	v_mul_lo_u32 v3, v3, s15
	v_sub_nc_u32_e32 v6, v2, v3
	s_delay_alu instid0(VALU_DEP_1) | instskip(NEXT) | instid1(VALU_DEP_1)
	v_mad_u64_u32 v[2:3], null, v6, s10, v[0:1]
	v_mad_u64_u32 v[3:4], null, v6, s11, v[1:2]
	s_delay_alu instid0(VALU_DEP_1)
	v_dual_mov_b32 v0, v2 :: v_dual_mov_b32 v1, v3
.LBB297_809:
	v_cmp_gt_i16_e32 vcc_lo, 11, v5
	s_delay_alu instid0(VALU_DEP_2) | instskip(NEXT) | instid1(VALU_DEP_1)
	v_add_co_u32 v1, s2, s6, v1
	v_add_co_ci_u32_e64 v2, null, s7, 0, s2
	s_mov_b32 s6, 0
	s_cbranch_vccnz .LBB297_816
; %bb.810:
	v_cmp_lt_i16_e32 vcc_lo, 25, v5
	s_mov_b32 s3, 0
	s_cbranch_vccz .LBB297_817
; %bb.811:
	v_cmp_lt_i16_e32 vcc_lo, 28, v5
	s_cbranch_vccz .LBB297_818
; %bb.812:
	v_cmp_lt_i16_e32 vcc_lo, 43, v5
	;; [unrolled: 3-line block ×3, first 2 shown]
	s_cbranch_vccz .LBB297_822
; %bb.814:
	v_cmp_eq_u16_e32 vcc_lo, 46, v5
	s_mov_b32 s7, 0
	s_cbranch_vccz .LBB297_825
; %bb.815:
	global_load_b32 v3, v[1:2], off
	s_mov_b32 s2, 0
	s_mov_b32 s6, -1
	s_waitcnt vmcnt(0)
	v_lshlrev_b32_e32 v3, 16, v3
	s_delay_alu instid0(VALU_DEP_1)
	v_cvt_i32_f32_e32 v6, v3
	s_branch .LBB297_827
.LBB297_816:
	s_mov_b32 s7, -1
	s_mov_b32 s3, 0
	s_mov_b32 s2, s24
                                        ; implicit-def: $vgpr6
	s_branch .LBB297_886
.LBB297_817:
	s_mov_b32 s7, -1
	s_mov_b32 s2, s24
                                        ; implicit-def: $vgpr6
	s_branch .LBB297_854
.LBB297_818:
	s_mov_b32 s7, -1
	s_mov_b32 s2, s24
                                        ; implicit-def: $vgpr6
	s_branch .LBB297_837
.LBB297_819:
	s_mov_b32 s7, -1
	s_mov_b32 s2, s24
                                        ; implicit-def: $vgpr6
	s_branch .LBB297_832
.LBB297_820:
	s_or_saveexec_b32 s44, s44
                                        ; implicit-def: $sgpr45
	s_delay_alu instid0(SALU_CYCLE_1)
	s_xor_b32 exec_lo, exec_lo, s44
	s_cbranch_execz .LBB297_743
.LBB297_821:
	v_add_f32_e64 v2, 0x46000000, |v0|
	s_and_not1_b32 s25, s25, exec_lo
	s_mov_b32 s45, 0
	s_delay_alu instid0(VALU_DEP_1) | instskip(NEXT) | instid1(VALU_DEP_1)
	v_and_b32_e32 v2, 0xff, v2
	v_cmp_ne_u32_e32 vcc_lo, 0, v2
	s_and_b32 s46, vcc_lo, exec_lo
	s_delay_alu instid0(SALU_CYCLE_1)
	s_or_b32 s25, s25, s46
	s_or_b32 exec_lo, exec_lo, s44
	v_mov_b32_e32 v7, s45
	s_and_saveexec_b32 s44, s25
	s_cbranch_execnz .LBB297_744
	s_branch .LBB297_745
.LBB297_822:
	s_mov_b32 s7, -1
	s_mov_b32 s2, s24
	s_branch .LBB297_826
.LBB297_823:
	s_or_saveexec_b32 s44, s44
                                        ; implicit-def: $sgpr45
	s_delay_alu instid0(SALU_CYCLE_1)
	s_xor_b32 exec_lo, exec_lo, s44
	s_cbranch_execz .LBB297_756
.LBB297_824:
	v_add_f32_e64 v2, 0x42800000, |v0|
	s_and_not1_b32 s25, s25, exec_lo
	s_mov_b32 s45, 0
	s_delay_alu instid0(VALU_DEP_1) | instskip(NEXT) | instid1(VALU_DEP_1)
	v_and_b32_e32 v2, 0xff, v2
	v_cmp_ne_u32_e32 vcc_lo, 0, v2
	s_and_b32 s46, vcc_lo, exec_lo
	s_delay_alu instid0(SALU_CYCLE_1)
	s_or_b32 s25, s25, s46
	s_or_b32 exec_lo, exec_lo, s44
	v_mov_b32_e32 v7, s45
	s_and_saveexec_b32 s44, s25
	s_cbranch_execnz .LBB297_757
	s_branch .LBB297_758
.LBB297_825:
	s_mov_b32 s2, -1
.LBB297_826:
                                        ; implicit-def: $vgpr6
.LBB297_827:
	s_and_b32 vcc_lo, exec_lo, s7
	s_cbranch_vccz .LBB297_831
; %bb.828:
	v_cmp_eq_u16_e32 vcc_lo, 44, v5
	s_cbranch_vccz .LBB297_830
; %bb.829:
	global_load_u8 v3, v[1:2], off
	s_mov_b32 s2, 0
	s_mov_b32 s6, -1
	s_waitcnt vmcnt(0)
	v_lshlrev_b32_e32 v4, 23, v3
	v_cmp_ne_u32_e32 vcc_lo, 0, v3
	s_delay_alu instid0(VALU_DEP_2) | instskip(NEXT) | instid1(VALU_DEP_1)
	v_cvt_i32_f32_e32 v4, v4
	v_cndmask_b32_e32 v6, 0, v4, vcc_lo
	s_branch .LBB297_831
.LBB297_830:
	s_mov_b32 s2, -1
                                        ; implicit-def: $vgpr6
.LBB297_831:
	s_mov_b32 s7, 0
.LBB297_832:
	s_delay_alu instid0(SALU_CYCLE_1)
	s_and_b32 vcc_lo, exec_lo, s7
	s_cbranch_vccz .LBB297_836
; %bb.833:
	v_cmp_eq_u16_e32 vcc_lo, 29, v5
	s_cbranch_vccz .LBB297_835
; %bb.834:
	global_load_b32 v6, v[1:2], off
	s_mov_b32 s2, 0
	s_mov_b32 s6, -1
	s_branch .LBB297_836
.LBB297_835:
	s_mov_b32 s2, -1
                                        ; implicit-def: $vgpr6
.LBB297_836:
	s_mov_b32 s7, 0
.LBB297_837:
	s_delay_alu instid0(SALU_CYCLE_1)
	s_and_b32 vcc_lo, exec_lo, s7
	s_cbranch_vccz .LBB297_853
; %bb.838:
	v_cmp_gt_i16_e32 vcc_lo, 27, v5
	s_cbranch_vccnz .LBB297_841
; %bb.839:
	v_cmp_lt_i16_e32 vcc_lo, 27, v5
	s_cbranch_vccz .LBB297_842
; %bb.840:
	global_load_b32 v6, v[1:2], off
	s_mov_b32 s6, 0
	s_branch .LBB297_843
.LBB297_841:
	s_mov_b32 s6, -1
                                        ; implicit-def: $vgpr6
	s_branch .LBB297_846
.LBB297_842:
	s_mov_b32 s6, -1
                                        ; implicit-def: $vgpr6
.LBB297_843:
	s_delay_alu instid0(SALU_CYCLE_1)
	s_and_not1_b32 vcc_lo, exec_lo, s6
	s_cbranch_vccnz .LBB297_845
; %bb.844:
	global_load_u16 v6, v[1:2], off
.LBB297_845:
	s_mov_b32 s6, 0
.LBB297_846:
	s_delay_alu instid0(SALU_CYCLE_1)
	s_and_not1_b32 vcc_lo, exec_lo, s6
	s_cbranch_vccnz .LBB297_852
; %bb.847:
	global_load_u8 v3, v[1:2], off
	s_mov_b32 s6, 0
	s_mov_b32 s7, exec_lo
                                        ; implicit-def: $sgpr8
	s_waitcnt vmcnt(0)
	v_cmpx_lt_i16_e32 0x7f, v3
	s_xor_b32 s7, exec_lo, s7
	s_cbranch_execz .LBB297_864
; %bb.848:
	v_cmp_ne_u16_e32 vcc_lo, 0x80, v3
	s_mov_b32 s8, 0
	s_and_b32 s6, vcc_lo, exec_lo
	s_or_saveexec_b32 s7, s7
	v_mov_b32_e32 v6, s8
	s_xor_b32 exec_lo, exec_lo, s7
	s_cbranch_execnz .LBB297_865
.LBB297_849:
	s_or_b32 exec_lo, exec_lo, s7
	s_and_saveexec_b32 s7, s6
	s_cbranch_execz .LBB297_851
.LBB297_850:
	v_and_b32_e32 v4, 0xffff, v3
	s_delay_alu instid0(VALU_DEP_1) | instskip(NEXT) | instid1(VALU_DEP_1)
	v_and_b32_e32 v6, 7, v4
	v_clz_i32_u32_e32 v7, v6
	s_delay_alu instid0(VALU_DEP_1) | instskip(NEXT) | instid1(VALU_DEP_1)
	v_min_u32_e32 v7, 32, v7
	v_subrev_nc_u32_e32 v8, 28, v7
	v_sub_nc_u32_e32 v7, 29, v7
	s_delay_alu instid0(VALU_DEP_2) | instskip(SKIP_1) | instid1(VALU_DEP_2)
	v_lshlrev_b32_e32 v8, v8, v4
	v_bfe_u32 v4, v4, 3, 4
	v_and_b32_e32 v8, 7, v8
	s_delay_alu instid0(VALU_DEP_2) | instskip(NEXT) | instid1(VALU_DEP_2)
	v_cmp_eq_u32_e32 vcc_lo, 0, v4
	v_dual_cndmask_b32 v6, v6, v8 :: v_dual_lshlrev_b32 v3, 24, v3
	v_cndmask_b32_e32 v4, v4, v7, vcc_lo
	s_delay_alu instid0(VALU_DEP_2) | instskip(NEXT) | instid1(VALU_DEP_3)
	v_and_b32_e32 v3, 0x80000000, v3
	v_lshlrev_b32_e32 v6, 20, v6
	s_delay_alu instid0(VALU_DEP_3) | instskip(NEXT) | instid1(VALU_DEP_1)
	v_lshl_add_u32 v4, v4, 23, 0x3b800000
	v_or3_b32 v3, v3, v4, v6
	s_delay_alu instid0(VALU_DEP_1)
	v_cvt_i32_f32_e32 v6, v3
.LBB297_851:
	s_or_b32 exec_lo, exec_lo, s7
.LBB297_852:
	s_mov_b32 s6, -1
.LBB297_853:
	s_mov_b32 s7, 0
.LBB297_854:
	s_delay_alu instid0(SALU_CYCLE_1)
	s_and_b32 vcc_lo, exec_lo, s7
	s_cbranch_vccz .LBB297_885
; %bb.855:
	v_cmp_lt_i16_e32 vcc_lo, 22, v5
	s_cbranch_vccz .LBB297_863
; %bb.856:
	v_cmp_gt_i16_e32 vcc_lo, 24, v5
	s_cbranch_vccnz .LBB297_866
; %bb.857:
	v_cmp_lt_i16_e32 vcc_lo, 24, v5
	s_cbranch_vccz .LBB297_867
; %bb.858:
	global_load_u8 v3, v[1:2], off
	s_mov_b32 s6, exec_lo
                                        ; implicit-def: $sgpr7
	s_waitcnt vmcnt(0)
	v_cmpx_lt_i16_e32 0x7f, v3
	s_xor_b32 s6, exec_lo, s6
	s_cbranch_execz .LBB297_879
; %bb.859:
	v_cmp_ne_u16_e32 vcc_lo, 0x80, v3
	s_mov_b32 s7, 0
	s_and_b32 s3, vcc_lo, exec_lo
	s_or_saveexec_b32 s6, s6
	v_mov_b32_e32 v6, s7
	s_xor_b32 exec_lo, exec_lo, s6
	s_cbranch_execnz .LBB297_880
.LBB297_860:
	s_or_b32 exec_lo, exec_lo, s6
	s_and_saveexec_b32 s6, s3
	s_cbranch_execz .LBB297_862
.LBB297_861:
	v_and_b32_e32 v4, 0xffff, v3
	s_delay_alu instid0(VALU_DEP_1) | instskip(NEXT) | instid1(VALU_DEP_1)
	v_and_b32_e32 v6, 3, v4
	v_clz_i32_u32_e32 v7, v6
	s_delay_alu instid0(VALU_DEP_1) | instskip(NEXT) | instid1(VALU_DEP_1)
	v_min_u32_e32 v7, 32, v7
	v_subrev_nc_u32_e32 v8, 29, v7
	v_sub_nc_u32_e32 v7, 30, v7
	s_delay_alu instid0(VALU_DEP_2) | instskip(SKIP_1) | instid1(VALU_DEP_2)
	v_lshlrev_b32_e32 v8, v8, v4
	v_bfe_u32 v4, v4, 2, 5
	v_and_b32_e32 v8, 3, v8
	s_delay_alu instid0(VALU_DEP_2) | instskip(NEXT) | instid1(VALU_DEP_2)
	v_cmp_eq_u32_e32 vcc_lo, 0, v4
	v_dual_cndmask_b32 v6, v6, v8 :: v_dual_lshlrev_b32 v3, 24, v3
	v_cndmask_b32_e32 v4, v4, v7, vcc_lo
	s_delay_alu instid0(VALU_DEP_2) | instskip(NEXT) | instid1(VALU_DEP_3)
	v_and_b32_e32 v3, 0x80000000, v3
	v_lshlrev_b32_e32 v6, 21, v6
	s_delay_alu instid0(VALU_DEP_3) | instskip(NEXT) | instid1(VALU_DEP_1)
	v_lshl_add_u32 v4, v4, 23, 0x37800000
	v_or3_b32 v3, v3, v4, v6
	s_delay_alu instid0(VALU_DEP_1)
	v_cvt_i32_f32_e32 v6, v3
.LBB297_862:
	s_or_b32 exec_lo, exec_lo, s6
	s_mov_b32 s3, 0
	s_branch .LBB297_868
.LBB297_863:
	s_mov_b32 s3, -1
                                        ; implicit-def: $vgpr6
	s_branch .LBB297_874
.LBB297_864:
	s_or_saveexec_b32 s7, s7
	v_mov_b32_e32 v6, s8
	s_xor_b32 exec_lo, exec_lo, s7
	s_cbranch_execz .LBB297_849
.LBB297_865:
	v_cmp_ne_u16_e32 vcc_lo, 0, v3
	v_mov_b32_e32 v6, 0
	s_and_not1_b32 s6, s6, exec_lo
	s_and_b32 s8, vcc_lo, exec_lo
	s_delay_alu instid0(SALU_CYCLE_1)
	s_or_b32 s6, s6, s8
	s_or_b32 exec_lo, exec_lo, s7
	s_and_saveexec_b32 s7, s6
	s_cbranch_execnz .LBB297_850
	s_branch .LBB297_851
.LBB297_866:
	s_mov_b32 s3, -1
                                        ; implicit-def: $vgpr6
	s_branch .LBB297_871
.LBB297_867:
	s_mov_b32 s3, -1
                                        ; implicit-def: $vgpr6
.LBB297_868:
	s_delay_alu instid0(SALU_CYCLE_1)
	s_and_b32 vcc_lo, exec_lo, s3
	s_cbranch_vccz .LBB297_870
; %bb.869:
	global_load_u8 v3, v[1:2], off
	s_waitcnt vmcnt(0)
	v_lshlrev_b32_e32 v3, 24, v3
	s_delay_alu instid0(VALU_DEP_1) | instskip(NEXT) | instid1(VALU_DEP_1)
	v_and_b32_e32 v4, 0x7f000000, v3
	v_clz_i32_u32_e32 v6, v4
	v_add_nc_u32_e32 v8, 0x1000000, v4
	v_cmp_ne_u32_e32 vcc_lo, 0, v4
	s_delay_alu instid0(VALU_DEP_3) | instskip(NEXT) | instid1(VALU_DEP_1)
	v_min_u32_e32 v6, 32, v6
	v_sub_nc_u32_e64 v6, v6, 4 clamp
	s_delay_alu instid0(VALU_DEP_1) | instskip(SKIP_1) | instid1(VALU_DEP_2)
	v_lshlrev_b32_e32 v7, v6, v4
	v_lshlrev_b32_e32 v6, 23, v6
	v_lshrrev_b32_e32 v7, 4, v7
	s_delay_alu instid0(VALU_DEP_1) | instskip(SKIP_1) | instid1(VALU_DEP_2)
	v_sub_nc_u32_e32 v6, v7, v6
	v_ashrrev_i32_e32 v7, 8, v8
	v_add_nc_u32_e32 v6, 0x3c000000, v6
	s_delay_alu instid0(VALU_DEP_1) | instskip(NEXT) | instid1(VALU_DEP_1)
	v_and_or_b32 v6, 0x7f800000, v7, v6
	v_cndmask_b32_e32 v4, 0, v6, vcc_lo
	s_delay_alu instid0(VALU_DEP_1) | instskip(NEXT) | instid1(VALU_DEP_1)
	v_and_or_b32 v3, 0x80000000, v3, v4
	v_cvt_i32_f32_e32 v6, v3
.LBB297_870:
	s_mov_b32 s3, 0
.LBB297_871:
	s_delay_alu instid0(SALU_CYCLE_1)
	s_and_not1_b32 vcc_lo, exec_lo, s3
	s_cbranch_vccnz .LBB297_873
; %bb.872:
	global_load_u8 v3, v[1:2], off
	s_waitcnt vmcnt(0)
	v_lshlrev_b32_e32 v4, 25, v3
	v_lshlrev_b16 v3, 8, v3
	s_delay_alu instid0(VALU_DEP_2) | instskip(NEXT) | instid1(VALU_DEP_2)
	v_lshrrev_b32_e32 v6, 4, v4
	v_and_or_b32 v7, 0x7f00, v3, 0.5
	v_cmp_gt_u32_e32 vcc_lo, 0x8000000, v4
	v_bfe_i32 v3, v3, 0, 16
	s_delay_alu instid0(VALU_DEP_4) | instskip(NEXT) | instid1(VALU_DEP_1)
	v_or_b32_e32 v6, 0x70000000, v6
	v_dual_add_f32 v7, -0.5, v7 :: v_dual_mul_f32 v6, 0x7800000, v6
	s_delay_alu instid0(VALU_DEP_1) | instskip(NEXT) | instid1(VALU_DEP_1)
	v_cndmask_b32_e32 v4, v6, v7, vcc_lo
	v_and_or_b32 v3, 0x80000000, v3, v4
	s_delay_alu instid0(VALU_DEP_1)
	v_cvt_i32_f32_e32 v6, v3
.LBB297_873:
	s_mov_b32 s3, 0
	s_mov_b32 s6, -1
.LBB297_874:
	s_and_not1_b32 vcc_lo, exec_lo, s3
	s_mov_b32 s3, 0
	s_cbranch_vccnz .LBB297_885
; %bb.875:
	v_cmp_lt_i16_e32 vcc_lo, 14, v5
	s_cbranch_vccz .LBB297_878
; %bb.876:
	v_cmp_eq_u16_e32 vcc_lo, 15, v5
	s_cbranch_vccz .LBB297_881
; %bb.877:
	global_load_u16 v3, v[1:2], off
	s_mov_b32 s2, 0
	s_mov_b32 s6, -1
	s_waitcnt vmcnt(0)
	v_lshlrev_b32_e32 v3, 16, v3
	s_delay_alu instid0(VALU_DEP_1)
	v_cvt_i32_f32_e32 v6, v3
	s_branch .LBB297_883
.LBB297_878:
	s_mov_b32 s3, -1
	s_branch .LBB297_882
.LBB297_879:
	s_or_saveexec_b32 s6, s6
	v_mov_b32_e32 v6, s7
	s_xor_b32 exec_lo, exec_lo, s6
	s_cbranch_execz .LBB297_860
.LBB297_880:
	v_cmp_ne_u16_e32 vcc_lo, 0, v3
	v_mov_b32_e32 v6, 0
	s_and_not1_b32 s3, s3, exec_lo
	s_and_b32 s7, vcc_lo, exec_lo
	s_delay_alu instid0(SALU_CYCLE_1)
	s_or_b32 s3, s3, s7
	s_or_b32 exec_lo, exec_lo, s6
	s_and_saveexec_b32 s6, s3
	s_cbranch_execnz .LBB297_861
	s_branch .LBB297_862
.LBB297_881:
	s_mov_b32 s2, -1
.LBB297_882:
                                        ; implicit-def: $vgpr6
.LBB297_883:
	s_and_b32 vcc_lo, exec_lo, s3
	s_mov_b32 s3, 0
	s_cbranch_vccz .LBB297_885
; %bb.884:
	v_cmp_ne_u16_e32 vcc_lo, 11, v5
	s_and_not1_b32 s2, s2, exec_lo
	s_mov_b32 s3, -1
                                        ; implicit-def: $vgpr6
	s_and_b32 s7, vcc_lo, exec_lo
	s_delay_alu instid0(SALU_CYCLE_1)
	s_or_b32 s2, s2, s7
.LBB297_885:
	s_mov_b32 s7, 0
.LBB297_886:
	s_and_b32 s44, s6, exec_lo
	s_and_b32 s45, s7, exec_lo
	s_and_not1_b32 s6, s24, exec_lo
	s_and_b32 s7, s2, exec_lo
	s_and_b32 s2, s3, exec_lo
	s_or_b32 s46, s6, s7
.LBB297_887:
	s_or_b32 exec_lo, exec_lo, s34
	s_delay_alu instid0(SALU_CYCLE_1)
	s_and_not1_b32 s6, s24, exec_lo
	s_and_b32 s7, s46, exec_lo
	s_and_b32 s44, s44, exec_lo
	;; [unrolled: 1-line block ×4, first 2 shown]
	s_or_b32 s24, s6, s7
.LBB297_888:
	s_or_b32 exec_lo, exec_lo, s43
	s_delay_alu instid0(SALU_CYCLE_1)
	s_and_not1_b32 s6, s41, exec_lo
	s_and_b32 s7, s25, exec_lo
	s_and_b32 s43, s44, exec_lo
	s_or_b32 s41, s6, s7
	s_and_not1_b32 s6, s40, exec_lo
	s_and_b32 s7, s24, exec_lo
	s_and_b32 s25, s3, exec_lo
	;; [unrolled: 1-line block ×3, first 2 shown]
	s_or_b32 s40, s6, s7
.LBB297_889:
	s_or_b32 exec_lo, exec_lo, s42
	s_delay_alu instid0(SALU_CYCLE_1)
	s_and_not1_b32 s2, s37, exec_lo
	s_and_b32 s6, s41, exec_lo
	s_and_b32 s7, s40, exec_lo
	s_or_b32 s37, s2, s6
	s_and_not1_b32 s6, s38, exec_lo
	s_and_b32 s2, s43, exec_lo
	s_and_b32 s24, s25, exec_lo
	;; [unrolled: 1-line block ×3, first 2 shown]
	s_or_b32 s38, s6, s7
.LBB297_890:
	s_or_b32 exec_lo, exec_lo, s39
	s_mov_b32 s3, 0
	s_and_saveexec_b32 s6, s38
	s_cbranch_execnz .LBB297_902
; %bb.891:
	s_or_b32 exec_lo, exec_lo, s6
	s_and_saveexec_b32 s6, s40
	s_delay_alu instid0(SALU_CYCLE_1)
	s_xor_b32 s6, exec_lo, s6
	s_cbranch_execz .LBB297_893
.LBB297_892:
	global_load_u8 v3, v[1:2], off
	s_or_b32 s2, s2, exec_lo
	s_waitcnt vmcnt(0)
	v_cmp_ne_u16_e32 vcc_lo, 0, v3
	v_cndmask_b32_e64 v6, 0, 1, vcc_lo
.LBB297_893:
	s_or_b32 exec_lo, exec_lo, s6
	s_and_saveexec_b32 s6, s24
	s_cbranch_execz .LBB297_941
; %bb.894:
	v_cmp_gt_i16_e32 vcc_lo, 5, v5
	s_cbranch_vccnz .LBB297_899
; %bb.895:
	v_cmp_gt_i16_e32 vcc_lo, 8, v5
	s_cbranch_vccnz .LBB297_900
	;; [unrolled: 3-line block ×3, first 2 shown]
; %bb.897:
	v_cmp_lt_i16_e32 vcc_lo, 9, v5
	s_cbranch_vccz .LBB297_904
; %bb.898:
	global_load_b64 v[3:4], v[1:2], off
	s_mov_b32 s7, 0
	s_waitcnt vmcnt(0)
	v_cvt_i32_f64_e32 v6, v[3:4]
	s_branch .LBB297_905
.LBB297_899:
                                        ; implicit-def: $vgpr6
	s_branch .LBB297_922
.LBB297_900:
                                        ; implicit-def: $vgpr6
	s_branch .LBB297_911
.LBB297_901:
	s_mov_b32 s7, -1
                                        ; implicit-def: $vgpr6
	s_branch .LBB297_908
.LBB297_902:
	s_cbranch_execnz .LBB297_1172
; %bb.903:
	s_mov_b32 s3, exec_lo
	s_and_not1_b32 s40, s40, exec_lo
                                        ; implicit-def: $vgpr6
	s_or_b32 exec_lo, exec_lo, s6
	s_and_saveexec_b32 s6, s40
	s_delay_alu instid0(SALU_CYCLE_1)
	s_xor_b32 s6, exec_lo, s6
	s_cbranch_execnz .LBB297_892
	s_branch .LBB297_893
.LBB297_904:
	s_mov_b32 s7, -1
                                        ; implicit-def: $vgpr6
.LBB297_905:
	s_delay_alu instid0(SALU_CYCLE_1)
	s_and_not1_b32 vcc_lo, exec_lo, s7
	s_cbranch_vccnz .LBB297_907
; %bb.906:
	global_load_b32 v3, v[1:2], off
	s_waitcnt vmcnt(0)
	v_cvt_i32_f32_e32 v6, v3
.LBB297_907:
	s_mov_b32 s7, 0
.LBB297_908:
	s_delay_alu instid0(SALU_CYCLE_1)
	s_and_not1_b32 vcc_lo, exec_lo, s7
	s_cbranch_vccnz .LBB297_910
; %bb.909:
	global_load_b32 v3, v[1:2], off
	s_waitcnt vmcnt(0)
	v_cvt_f32_f16_e32 v3, v3
	s_delay_alu instid0(VALU_DEP_1)
	v_cvt_i32_f32_e32 v6, v3
.LBB297_910:
	s_cbranch_execnz .LBB297_921
.LBB297_911:
	v_cmp_gt_i16_e32 vcc_lo, 6, v5
	s_cbranch_vccnz .LBB297_914
; %bb.912:
	v_cmp_lt_i16_e32 vcc_lo, 6, v5
	s_cbranch_vccz .LBB297_915
; %bb.913:
	global_load_b64 v[3:4], v[1:2], off
	s_mov_b32 s7, 0
	s_waitcnt vmcnt(0)
	v_cvt_i32_f64_e32 v6, v[3:4]
	s_branch .LBB297_916
.LBB297_914:
	s_mov_b32 s7, -1
                                        ; implicit-def: $vgpr6
	s_branch .LBB297_919
.LBB297_915:
	s_mov_b32 s7, -1
                                        ; implicit-def: $vgpr6
.LBB297_916:
	s_delay_alu instid0(SALU_CYCLE_1)
	s_and_not1_b32 vcc_lo, exec_lo, s7
	s_cbranch_vccnz .LBB297_918
; %bb.917:
	global_load_b32 v3, v[1:2], off
	s_waitcnt vmcnt(0)
	v_cvt_i32_f32_e32 v6, v3
.LBB297_918:
	s_mov_b32 s7, 0
.LBB297_919:
	s_delay_alu instid0(SALU_CYCLE_1)
	s_and_not1_b32 vcc_lo, exec_lo, s7
	s_cbranch_vccnz .LBB297_921
; %bb.920:
	global_load_u16 v3, v[1:2], off
	s_waitcnt vmcnt(0)
	v_cvt_f32_f16_e32 v3, v3
	s_delay_alu instid0(VALU_DEP_1)
	v_cvt_i32_f32_e32 v6, v3
.LBB297_921:
	s_cbranch_execnz .LBB297_940
.LBB297_922:
	v_cmp_gt_i16_e32 vcc_lo, 2, v5
	s_cbranch_vccnz .LBB297_926
; %bb.923:
	v_cmp_gt_i16_e32 vcc_lo, 3, v5
	s_cbranch_vccnz .LBB297_927
; %bb.924:
	v_cmp_lt_i16_e32 vcc_lo, 3, v5
	s_cbranch_vccz .LBB297_928
; %bb.925:
	global_load_b32 v6, v[1:2], off
	s_mov_b32 s7, 0
	s_branch .LBB297_929
.LBB297_926:
                                        ; implicit-def: $vgpr6
	s_branch .LBB297_935
.LBB297_927:
	s_mov_b32 s7, -1
                                        ; implicit-def: $vgpr6
	s_branch .LBB297_932
.LBB297_928:
	s_mov_b32 s7, -1
                                        ; implicit-def: $vgpr6
.LBB297_929:
	s_delay_alu instid0(SALU_CYCLE_1)
	s_and_not1_b32 vcc_lo, exec_lo, s7
	s_cbranch_vccnz .LBB297_931
; %bb.930:
	global_load_b32 v6, v[1:2], off
.LBB297_931:
	s_mov_b32 s7, 0
.LBB297_932:
	s_delay_alu instid0(SALU_CYCLE_1)
	s_and_not1_b32 vcc_lo, exec_lo, s7
	s_cbranch_vccnz .LBB297_934
; %bb.933:
	global_load_i16 v6, v[1:2], off
.LBB297_934:
	s_cbranch_execnz .LBB297_940
.LBB297_935:
	v_cmp_lt_i16_e32 vcc_lo, 0, v5
	s_mov_b32 s7, 0
	s_cbranch_vccz .LBB297_937
; %bb.936:
	global_load_i8 v6, v[1:2], off
	s_branch .LBB297_938
.LBB297_937:
	s_mov_b32 s7, -1
                                        ; implicit-def: $vgpr6
.LBB297_938:
	s_delay_alu instid0(SALU_CYCLE_1)
	s_and_not1_b32 vcc_lo, exec_lo, s7
	s_cbranch_vccnz .LBB297_940
; %bb.939:
	global_load_u8 v6, v[1:2], off
.LBB297_940:
	s_or_b32 s2, s2, exec_lo
.LBB297_941:
	s_or_b32 exec_lo, exec_lo, s6
	s_mov_b32 s8, 0
	s_mov_b32 s7, 0
                                        ; implicit-def: $vgpr5
                                        ; implicit-def: $vgpr3_vgpr4
                                        ; implicit-def: $vgpr1
	s_and_saveexec_b32 s6, s2
	s_cbranch_execz .LBB297_1018
; %bb.942:
	v_and_b32_e64 v5, 0xff, s31
	s_waitcnt vmcnt(0)
	v_add_co_u32 v3, s2, s4, v0
	s_delay_alu instid0(VALU_DEP_3)
	v_maxmin_i32 v1, v6, s18, s19
	v_add_co_ci_u32_e64 v4, null, s5, 0, s2
	v_cmp_gt_i16_e32 vcc_lo, 11, v5
	s_mov_b32 s4, -1
	s_mov_b32 s2, s37
	s_cbranch_vccnz .LBB297_1017
; %bb.943:
	v_cmp_lt_i16_e32 vcc_lo, 25, v5
	s_mov_b32 s2, s37
	s_cbranch_vccz .LBB297_976
; %bb.944:
	v_cmp_lt_i16_e32 vcc_lo, 28, v5
	s_mov_b32 s2, s37
	s_cbranch_vccz .LBB297_960
	;; [unrolled: 4-line block ×4, first 2 shown]
; %bb.947:
	v_cmp_eq_u16_e32 vcc_lo, 46, v5
	s_mov_b32 s2, -1
	s_cbranch_vccz .LBB297_949
; %bb.948:
	v_cvt_f32_i32_e32 v0, v1
	s_mov_b32 s2, 0
	s_delay_alu instid0(VALU_DEP_1) | instskip(NEXT) | instid1(VALU_DEP_1)
	v_bfe_u32 v2, v0, 16, 1
	v_add3_u32 v0, v0, v2, 0x7fff
	s_delay_alu instid0(VALU_DEP_1)
	v_lshrrev_b32_e32 v0, 16, v0
	global_store_b32 v[3:4], v0, off
.LBB297_949:
	s_mov_b32 s4, 0
.LBB297_950:
	s_delay_alu instid0(SALU_CYCLE_1)
	s_and_b32 vcc_lo, exec_lo, s4
	s_cbranch_vccz .LBB297_955
; %bb.951:
	v_cmp_eq_u16_e32 vcc_lo, 44, v5
	s_mov_b32 s2, -1
	s_cbranch_vccz .LBB297_955
; %bb.952:
	v_cvt_f32_i32_e32 v0, v1
	v_mov_b32_e32 v2, 0xff
	s_mov_b32 s4, exec_lo
	s_delay_alu instid0(VALU_DEP_2) | instskip(NEXT) | instid1(VALU_DEP_1)
	v_bfe_u32 v6, v0, 23, 8
	v_cmpx_ne_u32_e32 0xff, v6
; %bb.953:
	v_and_b32_e32 v2, 0x400000, v0
	v_and_or_b32 v6, 0x3fffff, v0, v6
	v_lshrrev_b32_e32 v0, 23, v0
	s_delay_alu instid0(VALU_DEP_3) | instskip(NEXT) | instid1(VALU_DEP_3)
	v_cmp_ne_u32_e32 vcc_lo, 0, v2
	v_cmp_ne_u32_e64 s2, 0, v6
	s_delay_alu instid0(VALU_DEP_1) | instskip(NEXT) | instid1(SALU_CYCLE_1)
	s_and_b32 s2, vcc_lo, s2
	v_cndmask_b32_e64 v2, 0, 1, s2
	s_delay_alu instid0(VALU_DEP_1)
	v_add_nc_u32_e32 v2, v0, v2
; %bb.954:
	s_or_b32 exec_lo, exec_lo, s4
	s_mov_b32 s2, 0
	global_store_b8 v[3:4], v2, off
.LBB297_955:
	s_mov_b32 s4, 0
.LBB297_956:
	s_delay_alu instid0(SALU_CYCLE_1)
	s_and_b32 vcc_lo, exec_lo, s4
	s_cbranch_vccz .LBB297_959
; %bb.957:
	v_cmp_eq_u16_e32 vcc_lo, 29, v5
	s_mov_b32 s2, -1
	s_cbranch_vccz .LBB297_959
; %bb.958:
	v_ashrrev_i32_e32 v2, 31, v1
	s_mov_b32 s2, 0
	global_store_b64 v[3:4], v[1:2], off
.LBB297_959:
	s_mov_b32 s4, 0
.LBB297_960:
	s_delay_alu instid0(SALU_CYCLE_1)
	s_and_b32 vcc_lo, exec_lo, s4
	s_cbranch_vccz .LBB297_975
; %bb.961:
	v_cmp_gt_i16_e32 vcc_lo, 27, v5
	s_mov_b32 s4, -1
	s_cbranch_vccnz .LBB297_967
; %bb.962:
	v_cmp_lt_i16_e32 vcc_lo, 27, v5
	s_cbranch_vccz .LBB297_964
; %bb.963:
	s_mov_b32 s4, 0
	global_store_b32 v[3:4], v1, off
.LBB297_964:
	s_and_not1_b32 vcc_lo, exec_lo, s4
	s_cbranch_vccnz .LBB297_966
; %bb.965:
	global_store_b16 v[3:4], v1, off
.LBB297_966:
	s_mov_b32 s4, 0
.LBB297_967:
	s_delay_alu instid0(SALU_CYCLE_1)
	s_and_not1_b32 vcc_lo, exec_lo, s4
	s_cbranch_vccnz .LBB297_975
; %bb.968:
	v_cvt_f32_i32_e32 v0, v1
	v_mov_b32_e32 v6, 0x80
	s_mov_b32 s4, exec_lo
	s_delay_alu instid0(VALU_DEP_2) | instskip(NEXT) | instid1(VALU_DEP_1)
	v_and_b32_e32 v2, 0x7fffffff, v0
	v_cmpx_gt_u32_e32 0x43800000, v2
	s_cbranch_execz .LBB297_974
; %bb.969:
	v_cmp_lt_u32_e32 vcc_lo, 0x3bffffff, v2
	s_mov_b32 s5, 0
                                        ; implicit-def: $vgpr2
	s_and_saveexec_b32 s7, vcc_lo
	s_delay_alu instid0(SALU_CYCLE_1)
	s_xor_b32 s7, exec_lo, s7
	s_cbranch_execz .LBB297_1258
; %bb.970:
	v_bfe_u32 v2, v0, 20, 1
	s_mov_b32 s5, exec_lo
	s_delay_alu instid0(VALU_DEP_1) | instskip(NEXT) | instid1(VALU_DEP_1)
	v_add3_u32 v2, v0, v2, 0x487ffff
	v_lshrrev_b32_e32 v2, 20, v2
	s_or_saveexec_b32 s7, s7
                                        ; implicit-def: $sgpr8
	s_delay_alu instid0(SALU_CYCLE_1)
	s_xor_b32 exec_lo, exec_lo, s7
	s_cbranch_execnz .LBB297_1259
.LBB297_971:
	s_or_b32 exec_lo, exec_lo, s7
	v_mov_b32_e32 v6, s8
	s_and_saveexec_b32 s7, s5
.LBB297_972:
	v_lshrrev_b32_e32 v0, 24, v0
	s_delay_alu instid0(VALU_DEP_1)
	v_and_or_b32 v6, 0x80, v0, v2
.LBB297_973:
	s_or_b32 exec_lo, exec_lo, s7
.LBB297_974:
	s_delay_alu instid0(SALU_CYCLE_1)
	s_or_b32 exec_lo, exec_lo, s4
	global_store_b8 v[3:4], v6, off
.LBB297_975:
	s_mov_b32 s4, 0
.LBB297_976:
	s_delay_alu instid0(SALU_CYCLE_1)
	s_and_b32 vcc_lo, exec_lo, s4
	s_mov_b32 s4, 0
	s_cbranch_vccz .LBB297_1016
; %bb.977:
	v_cmp_lt_i16_e32 vcc_lo, 22, v5
	s_mov_b32 s5, -1
	s_cbranch_vccz .LBB297_1009
; %bb.978:
	v_cmp_gt_i16_e32 vcc_lo, 24, v5
	s_cbranch_vccnz .LBB297_998
; %bb.979:
	v_cmp_lt_i16_e32 vcc_lo, 24, v5
	s_cbranch_vccz .LBB297_987
; %bb.980:
	v_cvt_f32_i32_e32 v0, v1
	v_mov_b32_e32 v6, 0x80
	s_mov_b32 s5, exec_lo
	s_delay_alu instid0(VALU_DEP_2) | instskip(NEXT) | instid1(VALU_DEP_1)
	v_and_b32_e32 v2, 0x7fffffff, v0
	v_cmpx_gt_u32_e32 0x47800000, v2
	s_cbranch_execz .LBB297_986
; %bb.981:
	v_cmp_lt_u32_e32 vcc_lo, 0x37ffffff, v2
	s_mov_b32 s7, 0
                                        ; implicit-def: $vgpr2
	s_and_saveexec_b32 s8, vcc_lo
	s_delay_alu instid0(SALU_CYCLE_1)
	s_xor_b32 s8, exec_lo, s8
	s_cbranch_execz .LBB297_1302
; %bb.982:
	v_bfe_u32 v2, v0, 21, 1
	s_mov_b32 s7, exec_lo
	s_delay_alu instid0(VALU_DEP_1) | instskip(NEXT) | instid1(VALU_DEP_1)
	v_add3_u32 v2, v0, v2, 0x88fffff
	v_lshrrev_b32_e32 v2, 21, v2
	s_or_saveexec_b32 s8, s8
                                        ; implicit-def: $sgpr9
	s_delay_alu instid0(SALU_CYCLE_1)
	s_xor_b32 exec_lo, exec_lo, s8
	s_cbranch_execnz .LBB297_1303
.LBB297_983:
	s_or_b32 exec_lo, exec_lo, s8
	v_mov_b32_e32 v6, s9
	s_and_saveexec_b32 s8, s7
.LBB297_984:
	v_lshrrev_b32_e32 v0, 24, v0
	s_delay_alu instid0(VALU_DEP_1)
	v_and_or_b32 v6, 0x80, v0, v2
.LBB297_985:
	s_or_b32 exec_lo, exec_lo, s8
.LBB297_986:
	s_delay_alu instid0(SALU_CYCLE_1)
	s_or_b32 exec_lo, exec_lo, s5
	s_mov_b32 s5, 0
	global_store_b8 v[3:4], v6, off
.LBB297_987:
	s_and_b32 vcc_lo, exec_lo, s5
	s_cbranch_vccz .LBB297_997
; %bb.988:
	v_cvt_f32_i32_e32 v0, v1
	s_mov_b32 s5, exec_lo
                                        ; implicit-def: $vgpr2
	s_delay_alu instid0(VALU_DEP_1) | instskip(NEXT) | instid1(VALU_DEP_1)
	v_and_b32_e32 v6, 0x7fffffff, v0
	v_cmpx_gt_u32_e32 0x43f00000, v6
	s_xor_b32 s5, exec_lo, s5
	s_cbranch_execz .LBB297_994
; %bb.989:
	s_mov_b32 s7, exec_lo
                                        ; implicit-def: $vgpr2
	v_cmpx_lt_u32_e32 0x3c7fffff, v6
	s_xor_b32 s7, exec_lo, s7
; %bb.990:
	v_bfe_u32 v2, v0, 20, 1
	s_delay_alu instid0(VALU_DEP_1) | instskip(NEXT) | instid1(VALU_DEP_1)
	v_add3_u32 v2, v0, v2, 0x407ffff
	v_and_b32_e32 v6, 0xff00000, v2
	v_lshrrev_b32_e32 v2, 20, v2
	s_delay_alu instid0(VALU_DEP_2) | instskip(NEXT) | instid1(VALU_DEP_2)
	v_cmp_ne_u32_e32 vcc_lo, 0x7f00000, v6
	v_cndmask_b32_e32 v2, 0x7e, v2, vcc_lo
; %bb.991:
	s_and_not1_saveexec_b32 s7, s7
; %bb.992:
	v_add_f32_e64 v2, 0x46800000, |v0|
; %bb.993:
	s_or_b32 exec_lo, exec_lo, s7
                                        ; implicit-def: $vgpr6
.LBB297_994:
	s_and_not1_saveexec_b32 s5, s5
; %bb.995:
	v_mov_b32_e32 v2, 0x7f
	v_cmp_lt_u32_e32 vcc_lo, 0x7f800000, v6
	s_delay_alu instid0(VALU_DEP_2)
	v_cndmask_b32_e32 v2, 0x7e, v2, vcc_lo
; %bb.996:
	s_or_b32 exec_lo, exec_lo, s5
	v_lshrrev_b32_e32 v0, 24, v0
	s_delay_alu instid0(VALU_DEP_1)
	v_and_or_b32 v0, 0x80, v0, v2
	global_store_b8 v[3:4], v0, off
.LBB297_997:
	s_mov_b32 s5, 0
.LBB297_998:
	s_delay_alu instid0(SALU_CYCLE_1)
	s_and_not1_b32 vcc_lo, exec_lo, s5
	s_cbranch_vccnz .LBB297_1008
; %bb.999:
	v_cvt_f32_i32_e32 v0, v1
	s_mov_b32 s5, exec_lo
                                        ; implicit-def: $vgpr2
	s_delay_alu instid0(VALU_DEP_1) | instskip(NEXT) | instid1(VALU_DEP_1)
	v_and_b32_e32 v6, 0x7fffffff, v0
	v_cmpx_gt_u32_e32 0x47800000, v6
	s_xor_b32 s5, exec_lo, s5
	s_cbranch_execz .LBB297_1005
; %bb.1000:
	s_mov_b32 s7, exec_lo
                                        ; implicit-def: $vgpr2
	v_cmpx_lt_u32_e32 0x387fffff, v6
	s_xor_b32 s7, exec_lo, s7
; %bb.1001:
	v_bfe_u32 v2, v0, 21, 1
	s_delay_alu instid0(VALU_DEP_1) | instskip(NEXT) | instid1(VALU_DEP_1)
	v_add3_u32 v2, v0, v2, 0x80fffff
	v_lshrrev_b32_e32 v2, 21, v2
; %bb.1002:
	s_and_not1_saveexec_b32 s7, s7
; %bb.1003:
	v_add_f32_e64 v2, 0x43000000, |v0|
; %bb.1004:
	s_or_b32 exec_lo, exec_lo, s7
                                        ; implicit-def: $vgpr6
.LBB297_1005:
	s_and_not1_saveexec_b32 s5, s5
; %bb.1006:
	v_mov_b32_e32 v2, 0x7f
	v_cmp_lt_u32_e32 vcc_lo, 0x7f800000, v6
	s_delay_alu instid0(VALU_DEP_2)
	v_cndmask_b32_e32 v2, 0x7c, v2, vcc_lo
; %bb.1007:
	s_or_b32 exec_lo, exec_lo, s5
	v_lshrrev_b32_e32 v0, 24, v0
	s_delay_alu instid0(VALU_DEP_1)
	v_and_or_b32 v0, 0x80, v0, v2
	global_store_b8 v[3:4], v0, off
.LBB297_1008:
	s_mov_b32 s5, 0
.LBB297_1009:
	s_delay_alu instid0(SALU_CYCLE_1)
	s_and_not1_b32 vcc_lo, exec_lo, s5
	s_mov_b32 s8, 0
	s_cbranch_vccnz .LBB297_1017
; %bb.1010:
	v_cmp_lt_i16_e32 vcc_lo, 14, v5
	s_mov_b32 s5, -1
	s_cbranch_vccz .LBB297_1014
; %bb.1011:
	v_cmp_eq_u16_e32 vcc_lo, 15, v5
	s_mov_b32 s2, -1
	s_cbranch_vccz .LBB297_1013
; %bb.1012:
	v_cvt_f32_i32_e32 v0, v1
	s_mov_b32 s2, 0
	s_delay_alu instid0(VALU_DEP_1) | instskip(NEXT) | instid1(VALU_DEP_1)
	v_bfe_u32 v2, v0, 16, 1
	v_add3_u32 v0, v0, v2, 0x7fff
	global_store_d16_hi_b16 v[3:4], v0, off
.LBB297_1013:
	s_mov_b32 s5, 0
.LBB297_1014:
	s_delay_alu instid0(SALU_CYCLE_1)
	s_and_b32 vcc_lo, exec_lo, s5
	s_cbranch_vccz .LBB297_1017
; %bb.1015:
	v_cmp_ne_u16_e32 vcc_lo, 11, v5
	s_and_not1_b32 s2, s2, exec_lo
	s_mov_b32 s8, -1
	s_and_b32 s5, vcc_lo, exec_lo
	s_delay_alu instid0(SALU_CYCLE_1)
	s_or_b32 s2, s2, s5
	s_branch .LBB297_1017
.LBB297_1016:
	s_mov_b32 s8, 0
.LBB297_1017:
	s_and_b32 s7, s4, exec_lo
	s_and_not1_b32 s4, s37, exec_lo
	s_and_b32 s2, s2, exec_lo
	s_and_b32 s8, s8, exec_lo
	s_or_b32 s37, s4, s2
.LBB297_1018:
	s_or_b32 exec_lo, exec_lo, s6
	s_and_saveexec_b32 s2, s37
	s_cbranch_execnz .LBB297_1132
; %bb.1019:
	s_or_b32 exec_lo, exec_lo, s2
	s_and_saveexec_b32 s2, s8
	s_delay_alu instid0(SALU_CYCLE_1)
	s_xor_b32 s2, exec_lo, s2
	s_cbranch_execz .LBB297_1021
.LBB297_1020:
	v_cmp_ne_u32_e32 vcc_lo, 0, v1
	v_cndmask_b32_e64 v0, 0, 1, vcc_lo
	s_waitcnt vmcnt(0)
	global_store_b8 v[3:4], v0, off
.LBB297_1021:
	s_or_b32 exec_lo, exec_lo, s2
	s_and_saveexec_b32 s2, s7
	s_delay_alu instid0(SALU_CYCLE_1)
	s_xor_b32 s2, exec_lo, s2
	s_cbranch_execz .LBB297_1059
; %bb.1022:
	v_cmp_gt_i16_e32 vcc_lo, 5, v5
	s_mov_b32 s4, -1
	s_cbranch_vccnz .LBB297_1043
; %bb.1023:
	v_cmp_gt_i16_e32 vcc_lo, 8, v5
	s_cbranch_vccnz .LBB297_1033
; %bb.1024:
	v_cmp_gt_i16_e32 vcc_lo, 9, v5
	s_cbranch_vccnz .LBB297_1030
; %bb.1025:
	v_cmp_lt_i16_e32 vcc_lo, 9, v5
	s_cbranch_vccz .LBB297_1027
; %bb.1026:
	s_waitcnt vmcnt(0)
	v_cvt_f64_i32_e32 v[6:7], v1
	v_mov_b32_e32 v8, 0
	s_mov_b32 s4, 0
	s_delay_alu instid0(VALU_DEP_1)
	v_mov_b32_e32 v9, v8
	global_store_b128 v[3:4], v[6:9], off
.LBB297_1027:
	s_and_not1_b32 vcc_lo, exec_lo, s4
	s_cbranch_vccnz .LBB297_1029
; %bb.1028:
	s_waitcnt vmcnt(0)
	v_cvt_f32_i32_e32 v6, v1
	v_mov_b32_e32 v7, 0
	global_store_b64 v[3:4], v[6:7], off
.LBB297_1029:
	s_mov_b32 s4, 0
.LBB297_1030:
	s_delay_alu instid0(SALU_CYCLE_1)
	s_and_not1_b32 vcc_lo, exec_lo, s4
	s_cbranch_vccnz .LBB297_1032
; %bb.1031:
	v_cvt_f32_i32_e32 v0, v1
	s_delay_alu instid0(VALU_DEP_1) | instskip(NEXT) | instid1(VALU_DEP_1)
	v_cvt_f16_f32_e32 v0, v0
	v_and_b32_e32 v0, 0xffff, v0
	s_waitcnt vmcnt(0)
	global_store_b32 v[3:4], v0, off
.LBB297_1032:
	s_mov_b32 s4, 0
.LBB297_1033:
	s_delay_alu instid0(SALU_CYCLE_1)
	s_and_not1_b32 vcc_lo, exec_lo, s4
	s_cbranch_vccnz .LBB297_1042
; %bb.1034:
	v_cmp_gt_i16_e32 vcc_lo, 6, v5
	s_mov_b32 s4, -1
	s_cbranch_vccnz .LBB297_1040
; %bb.1035:
	v_cmp_lt_i16_e32 vcc_lo, 6, v5
	s_cbranch_vccz .LBB297_1037
; %bb.1036:
	s_waitcnt vmcnt(0)
	v_cvt_f64_i32_e32 v[6:7], v1
	s_mov_b32 s4, 0
	global_store_b64 v[3:4], v[6:7], off
.LBB297_1037:
	s_and_not1_b32 vcc_lo, exec_lo, s4
	s_cbranch_vccnz .LBB297_1039
; %bb.1038:
	v_cvt_f32_i32_e32 v0, v1
	s_waitcnt vmcnt(0)
	global_store_b32 v[3:4], v0, off
.LBB297_1039:
	s_mov_b32 s4, 0
.LBB297_1040:
	s_delay_alu instid0(SALU_CYCLE_1)
	s_and_not1_b32 vcc_lo, exec_lo, s4
	s_cbranch_vccnz .LBB297_1042
; %bb.1041:
	v_cvt_f32_i32_e32 v0, v1
	s_delay_alu instid0(VALU_DEP_1)
	v_cvt_f16_f32_e32 v0, v0
	s_waitcnt vmcnt(0)
	global_store_b16 v[3:4], v0, off
.LBB297_1042:
	s_mov_b32 s4, 0
.LBB297_1043:
	s_delay_alu instid0(SALU_CYCLE_1)
	s_and_not1_b32 vcc_lo, exec_lo, s4
	s_cbranch_vccnz .LBB297_1059
; %bb.1044:
	v_cmp_gt_i16_e32 vcc_lo, 2, v5
	s_mov_b32 s4, -1
	s_cbranch_vccnz .LBB297_1054
; %bb.1045:
	v_cmp_gt_i16_e32 vcc_lo, 3, v5
	s_cbranch_vccnz .LBB297_1051
; %bb.1046:
	v_cmp_lt_i16_e32 vcc_lo, 3, v5
	s_cbranch_vccz .LBB297_1048
; %bb.1047:
	v_ashrrev_i32_e32 v2, 31, v1
	s_mov_b32 s4, 0
	s_waitcnt vmcnt(0)
	global_store_b64 v[3:4], v[1:2], off
.LBB297_1048:
	s_and_not1_b32 vcc_lo, exec_lo, s4
	s_cbranch_vccnz .LBB297_1050
; %bb.1049:
	s_waitcnt vmcnt(0)
	global_store_b32 v[3:4], v1, off
.LBB297_1050:
	s_mov_b32 s4, 0
.LBB297_1051:
	s_delay_alu instid0(SALU_CYCLE_1)
	s_and_not1_b32 vcc_lo, exec_lo, s4
	s_cbranch_vccnz .LBB297_1053
; %bb.1052:
	s_waitcnt vmcnt(0)
	global_store_b16 v[3:4], v1, off
.LBB297_1053:
	s_mov_b32 s4, 0
.LBB297_1054:
	s_delay_alu instid0(SALU_CYCLE_1)
	s_and_not1_b32 vcc_lo, exec_lo, s4
	s_cbranch_vccnz .LBB297_1059
; %bb.1055:
	v_cmp_lt_i16_e32 vcc_lo, 0, v5
	s_mov_b32 s4, -1
	s_cbranch_vccz .LBB297_1057
; %bb.1056:
	s_mov_b32 s4, 0
	s_waitcnt vmcnt(0)
	global_store_b8 v[3:4], v1, off
.LBB297_1057:
	s_and_not1_b32 vcc_lo, exec_lo, s4
	s_cbranch_vccnz .LBB297_1059
; %bb.1058:
	s_waitcnt vmcnt(0)
	global_store_b8 v[3:4], v1, off
.LBB297_1059:
	s_or_b32 exec_lo, exec_lo, s2
	s_delay_alu instid0(SALU_CYCLE_1)
	s_and_b32 s8, s3, exec_lo
                                        ; implicit-def: $vgpr9
                                        ; implicit-def: $vgpr8
.LBB297_1060:
	s_or_saveexec_b32 s9, s30
	s_mov_b32 s3, 0
                                        ; implicit-def: $vgpr0_vgpr1
                                        ; implicit-def: $sgpr6
                                        ; implicit-def: $vgpr2
	s_xor_b32 exec_lo, exec_lo, s9
	s_cbranch_execz .LBB297_2018
; %bb.1061:
	v_cndmask_b32_e64 v0, 0, 1, s29
	s_and_not1_b32 vcc_lo, exec_lo, s29
	s_cbranch_vccnz .LBB297_1067
; %bb.1062:
	s_waitcnt vmcnt(0)
	v_mov_b32_e32 v3, 0
	v_mov_b32_e32 v7, 0
	s_cmp_lg_u32 s26, 0
	s_mov_b32 s6, 0
	s_cbranch_scc0 .LBB297_1071
; %bb.1063:
	s_min_u32 s7, s27, 15
	v_mov_b32_e32 v3, 0
	s_add_i32 s7, s7, 1
	s_cmp_eq_u32 s27, 2
	s_mov_b32 s10, 0
	s_cbranch_scc1 .LBB297_1068
; %bb.1064:
	v_mov_b32_e32 v7, 0
	v_mov_b32_e32 v3, 0
	;; [unrolled: 1-line block ×3, first 2 shown]
	s_add_u32 s2, s16, 0xc4
	s_addc_u32 s3, s17, 0
	s_and_b32 s10, s7, 28
	s_mov_b32 s11, 0
	s_mov_b64 s[4:5], s[16:17]
.LBB297_1065:                           ; =>This Inner Loop Header: Depth=1
	s_clause 0x1
	s_load_b256 s[36:43], s[4:5], 0x4
	s_load_b128 s[12:15], s[4:5], 0x24
	s_load_b256 s[44:51], s[2:3], 0x0
	s_add_u32 s4, s4, 48
	s_addc_u32 s5, s5, 0
	s_add_i32 s11, s11, 4
	s_add_u32 s2, s2, 32
	s_addc_u32 s3, s3, 0
	s_cmp_lg_u32 s10, s11
	s_waitcnt lgkmcnt(0)
	v_mul_hi_u32 v2, s37, v1
	s_delay_alu instid0(VALU_DEP_1) | instskip(NEXT) | instid1(VALU_DEP_1)
	v_add_nc_u32_e32 v2, v1, v2
	v_lshrrev_b32_e32 v2, s38, v2
	s_delay_alu instid0(VALU_DEP_1) | instskip(SKIP_1) | instid1(VALU_DEP_2)
	v_mul_hi_u32 v4, s40, v2
	v_mul_lo_u32 v6, v2, s36
	v_add_nc_u32_e32 v4, v2, v4
	s_delay_alu instid0(VALU_DEP_2) | instskip(NEXT) | instid1(VALU_DEP_2)
	v_sub_nc_u32_e32 v1, v1, v6
	v_lshrrev_b32_e32 v4, s41, v4
	s_delay_alu instid0(VALU_DEP_2) | instskip(SKIP_1) | instid1(VALU_DEP_3)
	v_mul_lo_u32 v6, v1, s44
	v_mul_lo_u32 v11, v1, s45
	v_mul_hi_u32 v5, s43, v4
	s_delay_alu instid0(VALU_DEP_1) | instskip(NEXT) | instid1(VALU_DEP_1)
	v_add_nc_u32_e32 v5, v4, v5
	v_lshrrev_b32_e32 v5, s12, v5
	s_delay_alu instid0(VALU_DEP_1) | instskip(SKIP_1) | instid1(VALU_DEP_2)
	v_mul_hi_u32 v10, s14, v5
	v_mul_lo_u32 v12, v5, s42
	v_add_nc_u32_e32 v1, v5, v10
	v_mul_lo_u32 v10, v4, s39
	s_delay_alu instid0(VALU_DEP_3) | instskip(NEXT) | instid1(VALU_DEP_3)
	v_sub_nc_u32_e32 v4, v4, v12
	v_lshrrev_b32_e32 v1, s15, v1
	s_delay_alu instid0(VALU_DEP_2) | instskip(SKIP_2) | instid1(VALU_DEP_4)
	v_mul_lo_u32 v12, v4, s48
	v_mul_lo_u32 v4, v4, s49
	v_sub_nc_u32_e32 v2, v2, v10
	v_mul_lo_u32 v13, v1, s13
	s_delay_alu instid0(VALU_DEP_2) | instskip(SKIP_1) | instid1(VALU_DEP_3)
	v_mul_lo_u32 v10, v2, s46
	v_mul_lo_u32 v2, v2, s47
	v_sub_nc_u32_e32 v5, v5, v13
	s_delay_alu instid0(VALU_DEP_3) | instskip(NEXT) | instid1(VALU_DEP_2)
	v_add3_u32 v3, v6, v3, v10
	v_mul_lo_u32 v13, v5, s50
	v_mul_lo_u32 v5, v5, s51
	v_add3_u32 v2, v11, v7, v2
	s_delay_alu instid0(VALU_DEP_3) | instskip(NEXT) | instid1(VALU_DEP_2)
	v_add3_u32 v3, v12, v3, v13
	v_add3_u32 v7, v4, v2, v5
	s_cbranch_scc1 .LBB297_1065
; %bb.1066:
	s_and_b32 s7, s7, 3
	s_delay_alu instid0(SALU_CYCLE_1)
	s_cmp_eq_u32 s7, 0
	s_cbranch_scc0 .LBB297_1069
	s_branch .LBB297_1071
.LBB297_1067:
	s_mov_b32 s6, -1
                                        ; implicit-def: $vgpr3
                                        ; implicit-def: $vgpr7
	s_branch .LBB297_1071
.LBB297_1068:
	v_mov_b32_e32 v1, v8
	v_mov_b32_e32 v7, 0
	s_and_b32 s7, s7, 3
	s_delay_alu instid0(SALU_CYCLE_1)
	s_cmp_eq_u32 s7, 0
	s_cbranch_scc1 .LBB297_1071
.LBB297_1069:
	s_lshl_b32 s2, s10, 3
	s_mul_i32 s4, s10, 12
	s_add_u32 s2, s2, s16
	s_addc_u32 s3, 0, s17
	s_add_u32 s2, s2, 0xc4
	s_addc_u32 s3, s3, 0
	;; [unrolled: 2-line block ×3, first 2 shown]
	.p2align	6
.LBB297_1070:                           ; =>This Inner Loop Header: Depth=1
	s_clause 0x1
	s_load_b64 s[10:11], s[4:5], 0x4
	s_load_b32 s14, s[4:5], 0xc
	s_load_b64 s[12:13], s[2:3], 0x0
	s_add_u32 s4, s4, 12
	s_addc_u32 s5, s5, 0
	s_add_u32 s2, s2, 8
	s_addc_u32 s3, s3, 0
	s_add_i32 s7, s7, -1
	s_delay_alu instid0(SALU_CYCLE_1) | instskip(SKIP_2) | instid1(VALU_DEP_1)
	s_cmp_lg_u32 s7, 0
	s_waitcnt lgkmcnt(0)
	v_mul_hi_u32 v2, s11, v1
	v_add_nc_u32_e32 v2, v1, v2
	s_delay_alu instid0(VALU_DEP_1) | instskip(NEXT) | instid1(VALU_DEP_1)
	v_lshrrev_b32_e32 v6, s14, v2
	v_mul_lo_u32 v2, v6, s10
	s_delay_alu instid0(VALU_DEP_1) | instskip(NEXT) | instid1(VALU_DEP_1)
	v_sub_nc_u32_e32 v1, v1, v2
	v_mad_u64_u32 v[4:5], null, v1, s12, v[3:4]
	v_mad_u64_u32 v[2:3], null, v1, s13, v[7:8]
	v_mov_b32_e32 v1, v6
	s_delay_alu instid0(VALU_DEP_3) | instskip(NEXT) | instid1(VALU_DEP_3)
	v_mov_b32_e32 v3, v4
	v_mov_b32_e32 v7, v2
	s_cbranch_scc1 .LBB297_1070
.LBB297_1071:
	s_and_not1_b32 vcc_lo, exec_lo, s6
	s_cbranch_vccnz .LBB297_1074
; %bb.1072:
	s_clause 0x1
	s_load_b128 s[4:7], s[16:17], 0x4
	s_load_b64 s[2:3], s[16:17], 0xc4
	s_cmp_lt_u32 s26, 2
	s_waitcnt lgkmcnt(0)
	v_mul_hi_u32 v1, s5, v8
	s_delay_alu instid0(VALU_DEP_1) | instskip(NEXT) | instid1(VALU_DEP_1)
	v_add_nc_u32_e32 v1, v8, v1
	v_lshrrev_b32_e32 v1, s6, v1
	s_delay_alu instid0(VALU_DEP_1) | instskip(NEXT) | instid1(VALU_DEP_1)
	v_mul_lo_u32 v2, v1, s4
	v_sub_nc_u32_e32 v2, v8, v2
	s_waitcnt vmcnt(0)
	s_delay_alu instid0(VALU_DEP_1)
	v_mul_lo_u32 v3, v2, s2
	v_mul_lo_u32 v7, v2, s3
	s_cbranch_scc1 .LBB297_1074
; %bb.1073:
	s_clause 0x1
	s_load_b128 s[4:7], s[16:17], 0x10
	s_load_b64 s[2:3], s[16:17], 0xcc
	s_waitcnt lgkmcnt(0)
	v_mul_hi_u32 v2, s5, v1
	s_delay_alu instid0(VALU_DEP_1) | instskip(NEXT) | instid1(VALU_DEP_1)
	v_add_nc_u32_e32 v2, v1, v2
	v_lshrrev_b32_e32 v2, s6, v2
	s_delay_alu instid0(VALU_DEP_1) | instskip(NEXT) | instid1(VALU_DEP_1)
	v_mul_lo_u32 v2, v2, s4
	v_sub_nc_u32_e32 v4, v1, v2
	s_delay_alu instid0(VALU_DEP_1) | instskip(SKIP_1) | instid1(VALU_DEP_2)
	v_mad_u64_u32 v[1:2], null, v4, s2, v[3:4]
	v_mad_u64_u32 v[2:3], null, v4, s3, v[7:8]
	v_mov_b32_e32 v3, v1
	s_delay_alu instid0(VALU_DEP_2)
	v_mov_b32_e32 v7, v2
.LBB297_1074:
	v_cmp_ne_u32_e32 vcc_lo, 1, v0
	v_add_nc_u32_e32 v1, 0x80, v8
	s_cbranch_vccnz .LBB297_1080
; %bb.1075:
	v_mov_b32_e32 v2, 0
	s_waitcnt vmcnt(0)
	v_mov_b32_e32 v6, 0
	s_cmp_lg_u32 s26, 0
	s_mov_b32 s6, 0
	s_cbranch_scc0 .LBB297_1084
; %bb.1076:
	s_min_u32 s7, s27, 15
	v_mov_b32_e32 v2, 0
	s_add_i32 s7, s7, 1
	s_cmp_eq_u32 s27, 2
	s_mov_b32 s10, 0
	s_cbranch_scc1 .LBB297_1081
; %bb.1077:
	v_mov_b32_e32 v6, 0
	v_mov_b32_e32 v2, 0
	;; [unrolled: 1-line block ×3, first 2 shown]
	s_add_u32 s2, s16, 0xc4
	s_addc_u32 s3, s17, 0
	s_and_b32 s10, s7, 28
	s_mov_b32 s11, 0
	s_mov_b64 s[4:5], s[16:17]
.LBB297_1078:                           ; =>This Inner Loop Header: Depth=1
	s_clause 0x1
	s_load_b256 s[36:43], s[4:5], 0x4
	s_load_b128 s[12:15], s[4:5], 0x24
	s_load_b256 s[44:51], s[2:3], 0x0
	s_add_u32 s4, s4, 48
	s_addc_u32 s5, s5, 0
	s_add_i32 s11, s11, 4
	s_add_u32 s2, s2, 32
	s_addc_u32 s3, s3, 0
	s_cmp_lg_u32 s10, s11
	s_waitcnt lgkmcnt(0)
	v_mul_hi_u32 v5, s37, v4
	s_delay_alu instid0(VALU_DEP_1) | instskip(NEXT) | instid1(VALU_DEP_1)
	v_add_nc_u32_e32 v5, v4, v5
	v_lshrrev_b32_e32 v5, s38, v5
	s_delay_alu instid0(VALU_DEP_1) | instskip(SKIP_1) | instid1(VALU_DEP_2)
	v_mul_hi_u32 v10, s40, v5
	v_mul_lo_u32 v12, v5, s36
	v_add_nc_u32_e32 v10, v5, v10
	s_delay_alu instid0(VALU_DEP_2) | instskip(NEXT) | instid1(VALU_DEP_2)
	v_sub_nc_u32_e32 v4, v4, v12
	v_lshrrev_b32_e32 v10, s41, v10
	s_delay_alu instid0(VALU_DEP_2) | instskip(SKIP_1) | instid1(VALU_DEP_3)
	v_mul_lo_u32 v12, v4, s44
	v_mul_lo_u32 v14, v4, s45
	v_mul_hi_u32 v11, s43, v10
	s_delay_alu instid0(VALU_DEP_1) | instskip(NEXT) | instid1(VALU_DEP_1)
	v_add_nc_u32_e32 v11, v10, v11
	v_lshrrev_b32_e32 v11, s12, v11
	s_delay_alu instid0(VALU_DEP_1) | instskip(SKIP_1) | instid1(VALU_DEP_2)
	v_mul_hi_u32 v13, s14, v11
	v_mul_lo_u32 v15, v11, s42
	v_add_nc_u32_e32 v4, v11, v13
	v_mul_lo_u32 v13, v10, s39
	s_delay_alu instid0(VALU_DEP_3) | instskip(NEXT) | instid1(VALU_DEP_3)
	v_sub_nc_u32_e32 v10, v10, v15
	v_lshrrev_b32_e32 v4, s15, v4
	s_delay_alu instid0(VALU_DEP_2) | instskip(SKIP_2) | instid1(VALU_DEP_4)
	v_mul_lo_u32 v15, v10, s48
	v_mul_lo_u32 v10, v10, s49
	v_sub_nc_u32_e32 v5, v5, v13
	v_mul_lo_u32 v16, v4, s13
	s_delay_alu instid0(VALU_DEP_2) | instskip(SKIP_1) | instid1(VALU_DEP_3)
	v_mul_lo_u32 v13, v5, s46
	v_mul_lo_u32 v5, v5, s47
	v_sub_nc_u32_e32 v11, v11, v16
	s_delay_alu instid0(VALU_DEP_3) | instskip(NEXT) | instid1(VALU_DEP_2)
	v_add3_u32 v2, v12, v2, v13
	v_mul_lo_u32 v16, v11, s50
	v_mul_lo_u32 v11, v11, s51
	v_add3_u32 v5, v14, v6, v5
	s_delay_alu instid0(VALU_DEP_3) | instskip(NEXT) | instid1(VALU_DEP_2)
	v_add3_u32 v2, v15, v2, v16
	v_add3_u32 v6, v10, v5, v11
	s_cbranch_scc1 .LBB297_1078
; %bb.1079:
	s_and_b32 s7, s7, 3
	s_delay_alu instid0(SALU_CYCLE_1)
	s_cmp_eq_u32 s7, 0
	s_cbranch_scc0 .LBB297_1082
	s_branch .LBB297_1084
.LBB297_1080:
	s_mov_b32 s6, -1
                                        ; implicit-def: $vgpr2
                                        ; implicit-def: $vgpr6
	s_branch .LBB297_1084
.LBB297_1081:
	v_mov_b32_e32 v4, v1
	v_mov_b32_e32 v6, 0
	s_and_b32 s7, s7, 3
	s_delay_alu instid0(SALU_CYCLE_1)
	s_cmp_eq_u32 s7, 0
	s_cbranch_scc1 .LBB297_1084
.LBB297_1082:
	s_lshl_b32 s2, s10, 3
	s_mul_i32 s4, s10, 12
	s_add_u32 s2, s2, s16
	s_addc_u32 s3, 0, s17
	s_add_u32 s2, s2, 0xc4
	s_addc_u32 s3, s3, 0
	;; [unrolled: 2-line block ×3, first 2 shown]
	.p2align	6
.LBB297_1083:                           ; =>This Inner Loop Header: Depth=1
	s_clause 0x1
	s_load_b64 s[10:11], s[4:5], 0x4
	s_load_b32 s14, s[4:5], 0xc
	s_load_b64 s[12:13], s[2:3], 0x0
	s_add_u32 s4, s4, 12
	s_addc_u32 s5, s5, 0
	s_add_u32 s2, s2, 8
	s_addc_u32 s3, s3, 0
	s_add_i32 s7, s7, -1
	s_delay_alu instid0(SALU_CYCLE_1) | instskip(SKIP_2) | instid1(VALU_DEP_1)
	s_cmp_lg_u32 s7, 0
	s_waitcnt lgkmcnt(0)
	v_mul_hi_u32 v5, s11, v4
	v_add_nc_u32_e32 v5, v4, v5
	s_delay_alu instid0(VALU_DEP_1) | instskip(NEXT) | instid1(VALU_DEP_1)
	v_lshrrev_b32_e32 v5, s14, v5
	v_mul_lo_u32 v10, v5, s10
	s_delay_alu instid0(VALU_DEP_1) | instskip(NEXT) | instid1(VALU_DEP_1)
	v_sub_nc_u32_e32 v4, v4, v10
	v_mad_u64_u32 v[10:11], null, v4, s12, v[2:3]
	v_mad_u64_u32 v[11:12], null, v4, s13, v[6:7]
	v_mov_b32_e32 v4, v5
	s_delay_alu instid0(VALU_DEP_3) | instskip(NEXT) | instid1(VALU_DEP_3)
	v_mov_b32_e32 v2, v10
	v_mov_b32_e32 v6, v11
	s_cbranch_scc1 .LBB297_1083
.LBB297_1084:
	s_and_not1_b32 vcc_lo, exec_lo, s6
	s_cbranch_vccnz .LBB297_1087
; %bb.1085:
	s_clause 0x1
	s_load_b128 s[4:7], s[16:17], 0x4
	s_load_b64 s[2:3], s[16:17], 0xc4
	s_cmp_lt_u32 s26, 2
	s_waitcnt lgkmcnt(0)
	v_mul_hi_u32 v2, s5, v1
	s_delay_alu instid0(VALU_DEP_1) | instskip(NEXT) | instid1(VALU_DEP_1)
	v_add_nc_u32_e32 v2, v1, v2
	v_lshrrev_b32_e32 v4, s6, v2
	s_delay_alu instid0(VALU_DEP_1) | instskip(NEXT) | instid1(VALU_DEP_1)
	v_mul_lo_u32 v2, v4, s4
	v_sub_nc_u32_e32 v1, v1, v2
	s_delay_alu instid0(VALU_DEP_1)
	v_mul_lo_u32 v2, v1, s2
	s_waitcnt vmcnt(0)
	v_mul_lo_u32 v6, v1, s3
	s_cbranch_scc1 .LBB297_1087
; %bb.1086:
	s_clause 0x1
	s_load_b128 s[4:7], s[16:17], 0x10
	s_load_b64 s[2:3], s[16:17], 0xcc
	s_waitcnt lgkmcnt(0)
	v_mul_hi_u32 v1, s5, v4
	s_delay_alu instid0(VALU_DEP_1) | instskip(NEXT) | instid1(VALU_DEP_1)
	v_add_nc_u32_e32 v1, v4, v1
	v_lshrrev_b32_e32 v1, s6, v1
	s_delay_alu instid0(VALU_DEP_1) | instskip(NEXT) | instid1(VALU_DEP_1)
	v_mul_lo_u32 v1, v1, s4
	v_sub_nc_u32_e32 v10, v4, v1
	s_delay_alu instid0(VALU_DEP_1) | instskip(SKIP_1) | instid1(VALU_DEP_2)
	v_mad_u64_u32 v[4:5], null, v10, s2, v[2:3]
	v_mad_u64_u32 v[1:2], null, v10, s3, v[6:7]
	v_mov_b32_e32 v2, v4
	s_delay_alu instid0(VALU_DEP_2)
	v_mov_b32_e32 v6, v1
.LBB297_1087:
	v_cmp_ne_u32_e32 vcc_lo, 1, v0
	v_add_nc_u32_e32 v4, 0x100, v8
	s_cbranch_vccnz .LBB297_1093
; %bb.1088:
	v_mov_b32_e32 v1, 0
	v_mov_b32_e32 v5, 0
	s_cmp_lg_u32 s26, 0
	s_mov_b32 s6, 0
	s_cbranch_scc0 .LBB297_1097
; %bb.1089:
	s_min_u32 s7, s27, 15
	v_mov_b32_e32 v1, 0
	s_add_i32 s7, s7, 1
	s_cmp_eq_u32 s27, 2
	s_mov_b32 s10, 0
	s_cbranch_scc1 .LBB297_1094
; %bb.1090:
	v_dual_mov_b32 v5, 0 :: v_dual_mov_b32 v8, v4
	v_mov_b32_e32 v1, 0
	s_add_u32 s2, s16, 0xc4
	s_addc_u32 s3, s17, 0
	s_and_b32 s10, s7, 28
	s_mov_b32 s11, 0
	s_mov_b64 s[4:5], s[16:17]
.LBB297_1091:                           ; =>This Inner Loop Header: Depth=1
	s_clause 0x1
	s_load_b256 s[36:43], s[4:5], 0x4
	s_load_b128 s[12:15], s[4:5], 0x24
	s_load_b256 s[44:51], s[2:3], 0x0
	s_add_u32 s4, s4, 48
	s_addc_u32 s5, s5, 0
	s_add_i32 s11, s11, 4
	s_add_u32 s2, s2, 32
	s_addc_u32 s3, s3, 0
	s_cmp_lg_u32 s10, s11
	s_waitcnt lgkmcnt(0)
	v_mul_hi_u32 v10, s37, v8
	s_delay_alu instid0(VALU_DEP_1) | instskip(NEXT) | instid1(VALU_DEP_1)
	v_add_nc_u32_e32 v10, v8, v10
	v_lshrrev_b32_e32 v10, s38, v10
	s_delay_alu instid0(VALU_DEP_1) | instskip(SKIP_1) | instid1(VALU_DEP_2)
	v_mul_hi_u32 v11, s40, v10
	v_mul_lo_u32 v13, v10, s36
	v_add_nc_u32_e32 v11, v10, v11
	s_delay_alu instid0(VALU_DEP_2) | instskip(NEXT) | instid1(VALU_DEP_2)
	v_sub_nc_u32_e32 v8, v8, v13
	v_lshrrev_b32_e32 v11, s41, v11
	s_delay_alu instid0(VALU_DEP_2) | instskip(SKIP_1) | instid1(VALU_DEP_3)
	v_mul_lo_u32 v13, v8, s44
	v_mul_lo_u32 v15, v8, s45
	v_mul_hi_u32 v12, s43, v11
	s_delay_alu instid0(VALU_DEP_1) | instskip(NEXT) | instid1(VALU_DEP_1)
	v_add_nc_u32_e32 v12, v11, v12
	v_lshrrev_b32_e32 v12, s12, v12
	s_delay_alu instid0(VALU_DEP_1) | instskip(SKIP_1) | instid1(VALU_DEP_2)
	v_mul_hi_u32 v14, s14, v12
	v_mul_lo_u32 v16, v12, s42
	v_add_nc_u32_e32 v8, v12, v14
	v_mul_lo_u32 v14, v11, s39
	s_delay_alu instid0(VALU_DEP_3) | instskip(NEXT) | instid1(VALU_DEP_3)
	v_sub_nc_u32_e32 v11, v11, v16
	v_lshrrev_b32_e32 v8, s15, v8
	s_delay_alu instid0(VALU_DEP_2) | instskip(SKIP_2) | instid1(VALU_DEP_4)
	v_mul_lo_u32 v16, v11, s48
	v_mul_lo_u32 v11, v11, s49
	v_sub_nc_u32_e32 v10, v10, v14
	v_mul_lo_u32 v17, v8, s13
	s_delay_alu instid0(VALU_DEP_2) | instskip(SKIP_1) | instid1(VALU_DEP_3)
	v_mul_lo_u32 v14, v10, s46
	v_mul_lo_u32 v10, v10, s47
	v_sub_nc_u32_e32 v12, v12, v17
	s_delay_alu instid0(VALU_DEP_3) | instskip(NEXT) | instid1(VALU_DEP_2)
	v_add3_u32 v1, v13, v1, v14
	v_mul_lo_u32 v17, v12, s50
	v_mul_lo_u32 v12, v12, s51
	v_add3_u32 v5, v15, v5, v10
	s_delay_alu instid0(VALU_DEP_3) | instskip(NEXT) | instid1(VALU_DEP_2)
	v_add3_u32 v1, v16, v1, v17
	v_add3_u32 v5, v11, v5, v12
	s_cbranch_scc1 .LBB297_1091
; %bb.1092:
	s_and_b32 s7, s7, 3
	s_delay_alu instid0(SALU_CYCLE_1)
	s_cmp_eq_u32 s7, 0
	s_cbranch_scc0 .LBB297_1095
	s_branch .LBB297_1097
.LBB297_1093:
	s_mov_b32 s6, -1
                                        ; implicit-def: $vgpr1
                                        ; implicit-def: $vgpr5
	s_branch .LBB297_1097
.LBB297_1094:
	v_dual_mov_b32 v8, v4 :: v_dual_mov_b32 v5, 0
	s_and_b32 s7, s7, 3
	s_delay_alu instid0(SALU_CYCLE_1)
	s_cmp_eq_u32 s7, 0
	s_cbranch_scc1 .LBB297_1097
.LBB297_1095:
	s_lshl_b32 s2, s10, 3
	s_mul_i32 s4, s10, 12
	s_add_u32 s2, s2, s16
	s_addc_u32 s3, 0, s17
	s_add_u32 s2, s2, 0xc4
	s_addc_u32 s3, s3, 0
	;; [unrolled: 2-line block ×3, first 2 shown]
	.p2align	6
.LBB297_1096:                           ; =>This Inner Loop Header: Depth=1
	s_clause 0x1
	s_load_b64 s[10:11], s[4:5], 0x4
	s_load_b32 s14, s[4:5], 0xc
	s_load_b64 s[12:13], s[2:3], 0x0
	s_add_u32 s4, s4, 12
	s_addc_u32 s5, s5, 0
	s_add_u32 s2, s2, 8
	s_addc_u32 s3, s3, 0
	s_add_i32 s7, s7, -1
	s_delay_alu instid0(SALU_CYCLE_1) | instskip(SKIP_2) | instid1(VALU_DEP_1)
	s_cmp_lg_u32 s7, 0
	s_waitcnt lgkmcnt(0)
	v_mul_hi_u32 v10, s11, v8
	v_add_nc_u32_e32 v10, v8, v10
	s_delay_alu instid0(VALU_DEP_1) | instskip(NEXT) | instid1(VALU_DEP_1)
	v_lshrrev_b32_e32 v13, s14, v10
	v_mul_lo_u32 v10, v13, s10
	s_delay_alu instid0(VALU_DEP_1) | instskip(NEXT) | instid1(VALU_DEP_1)
	v_sub_nc_u32_e32 v8, v8, v10
	v_mad_u64_u32 v[10:11], null, v8, s12, v[1:2]
	s_waitcnt vmcnt(0)
	v_mad_u64_u32 v[11:12], null, v8, s13, v[5:6]
	s_delay_alu instid0(VALU_DEP_2) | instskip(NEXT) | instid1(VALU_DEP_2)
	v_dual_mov_b32 v8, v13 :: v_dual_mov_b32 v1, v10
	v_mov_b32_e32 v5, v11
	s_cbranch_scc1 .LBB297_1096
.LBB297_1097:
	s_and_not1_b32 vcc_lo, exec_lo, s6
	s_cbranch_vccnz .LBB297_1100
; %bb.1098:
	s_clause 0x1
	s_load_b128 s[4:7], s[16:17], 0x4
	s_load_b64 s[2:3], s[16:17], 0xc4
	s_cmp_lt_u32 s26, 2
	s_waitcnt lgkmcnt(0)
	v_mul_hi_u32 v1, s5, v4
	s_delay_alu instid0(VALU_DEP_1) | instskip(NEXT) | instid1(VALU_DEP_1)
	v_add_nc_u32_e32 v1, v4, v1
	v_lshrrev_b32_e32 v8, s6, v1
	s_delay_alu instid0(VALU_DEP_1) | instskip(NEXT) | instid1(VALU_DEP_1)
	v_mul_lo_u32 v1, v8, s4
	v_sub_nc_u32_e32 v4, v4, v1
	s_delay_alu instid0(VALU_DEP_1)
	v_mul_lo_u32 v1, v4, s2
	v_mul_lo_u32 v5, v4, s3
	s_cbranch_scc1 .LBB297_1100
; %bb.1099:
	s_clause 0x1
	s_load_b128 s[4:7], s[16:17], 0x10
	s_load_b64 s[2:3], s[16:17], 0xcc
	s_waitcnt lgkmcnt(0)
	v_mul_hi_u32 v4, s5, v8
	s_delay_alu instid0(VALU_DEP_1) | instskip(NEXT) | instid1(VALU_DEP_1)
	v_add_nc_u32_e32 v4, v8, v4
	v_lshrrev_b32_e32 v4, s6, v4
	s_delay_alu instid0(VALU_DEP_1) | instskip(NEXT) | instid1(VALU_DEP_1)
	v_mul_lo_u32 v4, v4, s4
	v_sub_nc_u32_e32 v4, v8, v4
	s_delay_alu instid0(VALU_DEP_1) | instskip(SKIP_2) | instid1(VALU_DEP_2)
	v_mad_u64_u32 v[10:11], null, v4, s2, v[1:2]
	s_waitcnt vmcnt(0)
	v_mad_u64_u32 v[11:12], null, v4, s3, v[5:6]
	v_mov_b32_e32 v1, v10
	s_delay_alu instid0(VALU_DEP_2)
	v_mov_b32_e32 v5, v11
.LBB297_1100:
	v_cmp_ne_u32_e32 vcc_lo, 1, v0
	s_cbranch_vccnz .LBB297_1106
; %bb.1101:
	v_mov_b32_e32 v0, 0
	v_mov_b32_e32 v4, 0
	s_cmp_lg_u32 s26, 0
	s_mov_b32 s6, 0
	s_cbranch_scc0 .LBB297_1110
; %bb.1102:
	s_min_u32 s7, s27, 15
	v_mov_b32_e32 v0, 0
	s_add_i32 s7, s7, 1
	s_cmp_eq_u32 s27, 2
	s_mov_b32 s10, 0
	s_cbranch_scc1 .LBB297_1107
; %bb.1103:
	v_mov_b32_e32 v4, 0
	v_mov_b32_e32 v0, 0
	;; [unrolled: 1-line block ×3, first 2 shown]
	s_add_u32 s2, s16, 0xc4
	s_addc_u32 s3, s17, 0
	s_and_b32 s10, s7, 28
	s_mov_b32 s11, 0
	s_mov_b64 s[4:5], s[16:17]
.LBB297_1104:                           ; =>This Inner Loop Header: Depth=1
	s_clause 0x1
	s_load_b256 s[36:43], s[4:5], 0x4
	s_load_b128 s[12:15], s[4:5], 0x24
	s_load_b256 s[44:51], s[2:3], 0x0
	s_add_u32 s4, s4, 48
	s_addc_u32 s5, s5, 0
	s_add_i32 s11, s11, 4
	s_add_u32 s2, s2, 32
	s_addc_u32 s3, s3, 0
	s_cmp_lg_u32 s10, s11
	s_waitcnt lgkmcnt(0)
	v_mul_hi_u32 v10, s37, v8
	s_delay_alu instid0(VALU_DEP_1) | instskip(NEXT) | instid1(VALU_DEP_1)
	v_add_nc_u32_e32 v10, v8, v10
	v_lshrrev_b32_e32 v10, s38, v10
	s_delay_alu instid0(VALU_DEP_1) | instskip(SKIP_1) | instid1(VALU_DEP_2)
	v_mul_hi_u32 v11, s40, v10
	v_mul_lo_u32 v13, v10, s36
	v_add_nc_u32_e32 v11, v10, v11
	s_delay_alu instid0(VALU_DEP_2) | instskip(NEXT) | instid1(VALU_DEP_2)
	v_sub_nc_u32_e32 v8, v8, v13
	v_lshrrev_b32_e32 v11, s41, v11
	s_delay_alu instid0(VALU_DEP_2) | instskip(SKIP_1) | instid1(VALU_DEP_3)
	v_mul_lo_u32 v13, v8, s44
	v_mul_lo_u32 v15, v8, s45
	v_mul_hi_u32 v12, s43, v11
	s_delay_alu instid0(VALU_DEP_1) | instskip(NEXT) | instid1(VALU_DEP_1)
	v_add_nc_u32_e32 v12, v11, v12
	v_lshrrev_b32_e32 v12, s12, v12
	s_delay_alu instid0(VALU_DEP_1) | instskip(SKIP_1) | instid1(VALU_DEP_2)
	v_mul_hi_u32 v14, s14, v12
	v_mul_lo_u32 v16, v12, s42
	v_add_nc_u32_e32 v8, v12, v14
	v_mul_lo_u32 v14, v11, s39
	s_delay_alu instid0(VALU_DEP_3) | instskip(NEXT) | instid1(VALU_DEP_3)
	v_sub_nc_u32_e32 v11, v11, v16
	v_lshrrev_b32_e32 v8, s15, v8
	s_delay_alu instid0(VALU_DEP_2) | instskip(SKIP_2) | instid1(VALU_DEP_4)
	v_mul_lo_u32 v16, v11, s48
	v_mul_lo_u32 v11, v11, s49
	v_sub_nc_u32_e32 v10, v10, v14
	v_mul_lo_u32 v17, v8, s13
	s_delay_alu instid0(VALU_DEP_2) | instskip(SKIP_1) | instid1(VALU_DEP_3)
	v_mul_lo_u32 v14, v10, s46
	v_mul_lo_u32 v10, v10, s47
	v_sub_nc_u32_e32 v12, v12, v17
	s_delay_alu instid0(VALU_DEP_3) | instskip(NEXT) | instid1(VALU_DEP_2)
	v_add3_u32 v0, v13, v0, v14
	v_mul_lo_u32 v17, v12, s50
	v_mul_lo_u32 v12, v12, s51
	v_add3_u32 v4, v15, v4, v10
	s_delay_alu instid0(VALU_DEP_3) | instskip(NEXT) | instid1(VALU_DEP_2)
	v_add3_u32 v0, v16, v0, v17
	v_add3_u32 v4, v11, v4, v12
	s_cbranch_scc1 .LBB297_1104
; %bb.1105:
	s_and_b32 s7, s7, 3
	s_delay_alu instid0(SALU_CYCLE_1)
	s_cmp_eq_u32 s7, 0
	s_cbranch_scc0 .LBB297_1108
	s_branch .LBB297_1110
.LBB297_1106:
	s_mov_b32 s6, -1
                                        ; implicit-def: $vgpr0
                                        ; implicit-def: $vgpr4
	s_branch .LBB297_1110
.LBB297_1107:
	v_mov_b32_e32 v8, v9
	v_mov_b32_e32 v4, 0
	s_and_b32 s7, s7, 3
	s_delay_alu instid0(SALU_CYCLE_1)
	s_cmp_eq_u32 s7, 0
	s_cbranch_scc1 .LBB297_1110
.LBB297_1108:
	s_lshl_b32 s2, s10, 3
	s_mul_i32 s4, s10, 12
	s_add_u32 s2, s2, s16
	s_addc_u32 s3, 0, s17
	s_add_u32 s2, s2, 0xc4
	s_addc_u32 s3, s3, 0
	;; [unrolled: 2-line block ×3, first 2 shown]
	.p2align	6
.LBB297_1109:                           ; =>This Inner Loop Header: Depth=1
	s_clause 0x1
	s_load_b64 s[10:11], s[4:5], 0x4
	s_load_b32 s14, s[4:5], 0xc
	s_load_b64 s[12:13], s[2:3], 0x0
	s_add_u32 s4, s4, 12
	s_addc_u32 s5, s5, 0
	s_add_u32 s2, s2, 8
	s_addc_u32 s3, s3, 0
	s_add_i32 s7, s7, -1
	s_delay_alu instid0(SALU_CYCLE_1) | instskip(SKIP_2) | instid1(VALU_DEP_1)
	s_cmp_lg_u32 s7, 0
	s_waitcnt lgkmcnt(0)
	v_mul_hi_u32 v10, s11, v8
	v_add_nc_u32_e32 v10, v8, v10
	s_delay_alu instid0(VALU_DEP_1) | instskip(NEXT) | instid1(VALU_DEP_1)
	v_lshrrev_b32_e32 v13, s14, v10
	v_mul_lo_u32 v10, v13, s10
	s_delay_alu instid0(VALU_DEP_1) | instskip(NEXT) | instid1(VALU_DEP_1)
	v_sub_nc_u32_e32 v8, v8, v10
	v_mad_u64_u32 v[10:11], null, v8, s12, v[0:1]
	v_mad_u64_u32 v[11:12], null, v8, s13, v[4:5]
	v_mov_b32_e32 v8, v13
	s_delay_alu instid0(VALU_DEP_3) | instskip(NEXT) | instid1(VALU_DEP_3)
	v_mov_b32_e32 v0, v10
	v_mov_b32_e32 v4, v11
	s_cbranch_scc1 .LBB297_1109
.LBB297_1110:
	s_and_not1_b32 vcc_lo, exec_lo, s6
	s_cbranch_vccnz .LBB297_1113
; %bb.1111:
	s_clause 0x1
	s_load_b128 s[4:7], s[16:17], 0x4
	s_load_b64 s[2:3], s[16:17], 0xc4
	s_cmp_lt_u32 s26, 2
	s_waitcnt lgkmcnt(0)
	v_mul_hi_u32 v0, s5, v9
	s_delay_alu instid0(VALU_DEP_1) | instskip(NEXT) | instid1(VALU_DEP_1)
	v_add_nc_u32_e32 v0, v9, v0
	v_lshrrev_b32_e32 v8, s6, v0
	s_delay_alu instid0(VALU_DEP_1) | instskip(NEXT) | instid1(VALU_DEP_1)
	v_mul_lo_u32 v0, v8, s4
	v_sub_nc_u32_e32 v4, v9, v0
	s_delay_alu instid0(VALU_DEP_1)
	v_mul_lo_u32 v0, v4, s2
	v_mul_lo_u32 v4, v4, s3
	s_cbranch_scc1 .LBB297_1113
; %bb.1112:
	s_clause 0x1
	s_load_b128 s[4:7], s[16:17], 0x10
	s_load_b64 s[2:3], s[16:17], 0xcc
	s_waitcnt lgkmcnt(0)
	v_mul_hi_u32 v9, s5, v8
	s_delay_alu instid0(VALU_DEP_1) | instskip(NEXT) | instid1(VALU_DEP_1)
	v_add_nc_u32_e32 v9, v8, v9
	v_lshrrev_b32_e32 v9, s6, v9
	s_delay_alu instid0(VALU_DEP_1) | instskip(NEXT) | instid1(VALU_DEP_1)
	v_mul_lo_u32 v9, v9, s4
	v_sub_nc_u32_e32 v11, v8, v9
	s_delay_alu instid0(VALU_DEP_1) | instskip(SKIP_1) | instid1(VALU_DEP_2)
	v_mad_u64_u32 v[8:9], null, v11, s2, v[0:1]
	v_mad_u64_u32 v[9:10], null, v11, s3, v[4:5]
	v_mov_b32_e32 v0, v8
	s_delay_alu instid0(VALU_DEP_2)
	v_mov_b32_e32 v4, v9
.LBB297_1113:
	s_clause 0x1
	s_load_b32 s0, s[0:1], 0x168
	s_load_b128 s[4:7], s[16:17], 0x148
	s_mov_b32 s3, 0
	s_waitcnt lgkmcnt(0)
	s_lshr_b32 s0, s0, 8
	s_delay_alu instid0(SALU_CYCLE_1) | instskip(SKIP_1) | instid1(VALU_DEP_1)
	v_and_b32_e64 v9, 0xff, s0
	v_add_co_u32 v7, s0, s6, v7
	v_add_co_ci_u32_e64 v8, null, s7, 0, s0
	s_delay_alu instid0(VALU_DEP_3)
	v_cmp_gt_i16_e32 vcc_lo, 11, v9
	s_cbranch_vccnz .LBB297_1120
; %bb.1114:
	v_cmp_lt_i16_e32 vcc_lo, 25, v9
	s_mov_b32 s2, 0
	s_cbranch_vccz .LBB297_1126
; %bb.1115:
	v_cmp_lt_i16_e32 vcc_lo, 28, v9
	s_cbranch_vccz .LBB297_1128
; %bb.1116:
	v_cmp_lt_i16_e32 vcc_lo, 43, v9
	;; [unrolled: 3-line block ×3, first 2 shown]
	s_cbranch_vccz .LBB297_1134
; %bb.1118:
	v_cmp_eq_u16_e32 vcc_lo, 46, v9
	s_mov_b32 s1, 0
	s_cbranch_vccz .LBB297_1176
; %bb.1119:
	global_load_b32 v10, v[7:8], off
	s_mov_b32 s0, 0
	s_mov_b32 s3, -1
	s_waitcnt vmcnt(0)
	v_lshlrev_b32_e32 v10, 16, v10
	s_delay_alu instid0(VALU_DEP_1)
	v_cvt_i32_f32_e32 v12, v10
	s_branch .LBB297_1178
.LBB297_1120:
	s_mov_b32 s1, s8
                                        ; implicit-def: $vgpr12
	s_cbranch_execz .LBB297_1236
; %bb.1121:
	v_cmp_gt_i16_e32 vcc_lo, 5, v9
	s_cbranch_vccnz .LBB297_1127
; %bb.1122:
	v_cmp_gt_i16_e32 vcc_lo, 8, v9
	s_cbranch_vccnz .LBB297_1129
	;; [unrolled: 3-line block ×3, first 2 shown]
; %bb.1124:
	v_cmp_lt_i16_e32 vcc_lo, 9, v9
	s_cbranch_vccz .LBB297_1135
; %bb.1125:
	global_load_b64 v[10:11], v[7:8], off
	s_mov_b32 s0, 0
	s_waitcnt vmcnt(0)
	v_cvt_i32_f64_e32 v12, v[10:11]
	s_branch .LBB297_1136
.LBB297_1126:
	s_mov_b32 s0, 0
                                        ; implicit-def: $vgpr12
	s_cbranch_execnz .LBB297_1203
	s_branch .LBB297_1232
.LBB297_1127:
                                        ; implicit-def: $vgpr12
	s_branch .LBB297_1153
.LBB297_1128:
	s_mov_b32 s0, 0
                                        ; implicit-def: $vgpr12
	s_cbranch_execz .LBB297_1202
	s_branch .LBB297_1187
.LBB297_1129:
                                        ; implicit-def: $vgpr12
	s_branch .LBB297_1142
.LBB297_1130:
	s_mov_b32 s0, 0
                                        ; implicit-def: $vgpr12
	s_cbranch_execnz .LBB297_1183
	s_branch .LBB297_1186
.LBB297_1131:
	s_mov_b32 s0, -1
                                        ; implicit-def: $vgpr12
	s_branch .LBB297_1139
.LBB297_1132:
	s_cbranch_execnz .LBB297_1174
; %bb.1133:
	s_or_b32 s3, s3, exec_lo
	s_and_not1_b32 s8, s8, exec_lo
	s_or_b32 exec_lo, exec_lo, s2
	s_and_saveexec_b32 s2, s8
	s_delay_alu instid0(SALU_CYCLE_1)
	s_xor_b32 s2, exec_lo, s2
	s_cbranch_execnz .LBB297_1020
	s_branch .LBB297_1021
.LBB297_1134:
	s_mov_b32 s1, -1
	s_mov_b32 s0, 0
	s_branch .LBB297_1177
.LBB297_1135:
	s_mov_b32 s0, -1
                                        ; implicit-def: $vgpr12
.LBB297_1136:
	s_delay_alu instid0(SALU_CYCLE_1)
	s_and_not1_b32 vcc_lo, exec_lo, s0
	s_cbranch_vccnz .LBB297_1138
; %bb.1137:
	global_load_b32 v10, v[7:8], off
	s_waitcnt vmcnt(0)
	v_cvt_i32_f32_e32 v12, v10
.LBB297_1138:
	s_mov_b32 s0, 0
.LBB297_1139:
	s_delay_alu instid0(SALU_CYCLE_1)
	s_and_not1_b32 vcc_lo, exec_lo, s0
	s_cbranch_vccnz .LBB297_1141
; %bb.1140:
	global_load_b32 v10, v[7:8], off
	s_waitcnt vmcnt(0)
	v_cvt_f32_f16_e32 v10, v10
	s_delay_alu instid0(VALU_DEP_1)
	v_cvt_i32_f32_e32 v12, v10
.LBB297_1141:
	s_cbranch_execnz .LBB297_1152
.LBB297_1142:
	v_cmp_gt_i16_e32 vcc_lo, 6, v9
	s_cbranch_vccnz .LBB297_1145
; %bb.1143:
	v_cmp_lt_i16_e32 vcc_lo, 6, v9
	s_cbranch_vccz .LBB297_1146
; %bb.1144:
	global_load_b64 v[10:11], v[7:8], off
	s_mov_b32 s0, 0
	s_waitcnt vmcnt(0)
	v_cvt_i32_f64_e32 v12, v[10:11]
	s_branch .LBB297_1147
.LBB297_1145:
	s_mov_b32 s0, -1
                                        ; implicit-def: $vgpr12
	s_branch .LBB297_1150
.LBB297_1146:
	s_mov_b32 s0, -1
                                        ; implicit-def: $vgpr12
.LBB297_1147:
	s_delay_alu instid0(SALU_CYCLE_1)
	s_and_not1_b32 vcc_lo, exec_lo, s0
	s_cbranch_vccnz .LBB297_1149
; %bb.1148:
	global_load_b32 v10, v[7:8], off
	s_waitcnt vmcnt(0)
	v_cvt_i32_f32_e32 v12, v10
.LBB297_1149:
	s_mov_b32 s0, 0
.LBB297_1150:
	s_delay_alu instid0(SALU_CYCLE_1)
	s_and_not1_b32 vcc_lo, exec_lo, s0
	s_cbranch_vccnz .LBB297_1152
; %bb.1151:
	global_load_u16 v10, v[7:8], off
	s_waitcnt vmcnt(0)
	v_cvt_f32_f16_e32 v10, v10
	s_delay_alu instid0(VALU_DEP_1)
	v_cvt_i32_f32_e32 v12, v10
.LBB297_1152:
	s_cbranch_execnz .LBB297_1171
.LBB297_1153:
	v_cmp_gt_i16_e32 vcc_lo, 2, v9
	s_cbranch_vccnz .LBB297_1157
; %bb.1154:
	v_cmp_gt_i16_e32 vcc_lo, 3, v9
	s_cbranch_vccnz .LBB297_1158
; %bb.1155:
	v_cmp_lt_i16_e32 vcc_lo, 3, v9
	s_cbranch_vccz .LBB297_1159
; %bb.1156:
	global_load_b32 v12, v[7:8], off
	s_mov_b32 s0, 0
	s_branch .LBB297_1160
.LBB297_1157:
                                        ; implicit-def: $vgpr12
	s_branch .LBB297_1166
.LBB297_1158:
	s_mov_b32 s0, -1
                                        ; implicit-def: $vgpr12
	s_branch .LBB297_1163
.LBB297_1159:
	s_mov_b32 s0, -1
                                        ; implicit-def: $vgpr12
.LBB297_1160:
	s_delay_alu instid0(SALU_CYCLE_1)
	s_and_not1_b32 vcc_lo, exec_lo, s0
	s_cbranch_vccnz .LBB297_1162
; %bb.1161:
	global_load_b32 v12, v[7:8], off
.LBB297_1162:
	s_mov_b32 s0, 0
.LBB297_1163:
	s_delay_alu instid0(SALU_CYCLE_1)
	s_and_not1_b32 vcc_lo, exec_lo, s0
	s_cbranch_vccnz .LBB297_1165
; %bb.1164:
	global_load_i16 v12, v[7:8], off
.LBB297_1165:
	s_cbranch_execnz .LBB297_1171
.LBB297_1166:
	v_cmp_lt_i16_e32 vcc_lo, 0, v9
	s_mov_b32 s0, 0
	s_cbranch_vccz .LBB297_1168
; %bb.1167:
	global_load_i8 v12, v[7:8], off
	s_branch .LBB297_1169
.LBB297_1168:
	s_mov_b32 s0, -1
                                        ; implicit-def: $vgpr12
.LBB297_1169:
	s_delay_alu instid0(SALU_CYCLE_1)
	s_and_not1_b32 vcc_lo, exec_lo, s0
	s_cbranch_vccnz .LBB297_1171
; %bb.1170:
	global_load_u8 v12, v[7:8], off
.LBB297_1171:
	s_branch .LBB297_1237
.LBB297_1172:
	s_trap 2
	s_sendmsg_rtn_b32 s0, sendmsg(MSG_RTN_GET_DOORBELL)
	s_mov_b32 ttmp2, m0
	s_waitcnt lgkmcnt(0)
	s_and_b32 s0, s0, 0x3ff
	s_delay_alu instid0(SALU_CYCLE_1) | instskip(NEXT) | instid1(SALU_CYCLE_1)
	s_bitset1_b32 s0, 10
	s_mov_b32 m0, s0
	s_sendmsg sendmsg(MSG_INTERRUPT)
	s_mov_b32 m0, ttmp2
.LBB297_1173:                           ; =>This Inner Loop Header: Depth=1
	s_sethalt 5
	s_branch .LBB297_1173
.LBB297_1174:
	s_trap 2
	s_sendmsg_rtn_b32 s0, sendmsg(MSG_RTN_GET_DOORBELL)
	s_mov_b32 ttmp2, m0
	s_waitcnt lgkmcnt(0)
	s_and_b32 s0, s0, 0x3ff
	s_delay_alu instid0(SALU_CYCLE_1) | instskip(NEXT) | instid1(SALU_CYCLE_1)
	s_bitset1_b32 s0, 10
	s_mov_b32 m0, s0
	s_sendmsg sendmsg(MSG_INTERRUPT)
	s_mov_b32 m0, ttmp2
.LBB297_1175:                           ; =>This Inner Loop Header: Depth=1
	s_sethalt 5
	s_branch .LBB297_1175
.LBB297_1176:
	s_mov_b32 s0, -1
.LBB297_1177:
                                        ; implicit-def: $vgpr12
.LBB297_1178:
	s_and_b32 vcc_lo, exec_lo, s1
	s_cbranch_vccz .LBB297_1181
; %bb.1179:
	v_cmp_eq_u16_e32 vcc_lo, 44, v9
	s_cbranch_vccz .LBB297_1182
; %bb.1180:
	global_load_u8 v10, v[7:8], off
	s_mov_b32 s0, 0
	s_mov_b32 s3, -1
	s_waitcnt vmcnt(0)
	v_lshlrev_b32_e32 v11, 23, v10
	v_cmp_ne_u32_e32 vcc_lo, 0, v10
	s_delay_alu instid0(VALU_DEP_2) | instskip(NEXT) | instid1(VALU_DEP_1)
	v_cvt_i32_f32_e32 v11, v11
	v_cndmask_b32_e32 v12, 0, v11, vcc_lo
.LBB297_1181:
	s_branch .LBB297_1186
.LBB297_1182:
	s_mov_b32 s0, -1
                                        ; implicit-def: $vgpr12
	s_branch .LBB297_1186
.LBB297_1183:
	v_cmp_eq_u16_e32 vcc_lo, 29, v9
	s_cbranch_vccz .LBB297_1185
; %bb.1184:
	global_load_b32 v12, v[7:8], off
	s_mov_b32 s0, 0
	s_mov_b32 s3, -1
	s_branch .LBB297_1186
.LBB297_1185:
	s_mov_b32 s0, -1
                                        ; implicit-def: $vgpr12
.LBB297_1186:
	s_branch .LBB297_1202
.LBB297_1187:
	v_cmp_gt_i16_e32 vcc_lo, 27, v9
	s_cbranch_vccnz .LBB297_1190
; %bb.1188:
	v_cmp_lt_i16_e32 vcc_lo, 27, v9
	s_cbranch_vccz .LBB297_1191
; %bb.1189:
	global_load_b32 v12, v[7:8], off
	s_mov_b32 s1, 0
	s_branch .LBB297_1192
.LBB297_1190:
	s_mov_b32 s1, -1
                                        ; implicit-def: $vgpr12
	s_branch .LBB297_1195
.LBB297_1191:
	s_mov_b32 s1, -1
                                        ; implicit-def: $vgpr12
.LBB297_1192:
	s_delay_alu instid0(SALU_CYCLE_1)
	s_and_not1_b32 vcc_lo, exec_lo, s1
	s_cbranch_vccnz .LBB297_1194
; %bb.1193:
	global_load_u16 v12, v[7:8], off
.LBB297_1194:
	s_mov_b32 s1, 0
.LBB297_1195:
	s_delay_alu instid0(SALU_CYCLE_1)
	s_and_not1_b32 vcc_lo, exec_lo, s1
	s_cbranch_vccnz .LBB297_1201
; %bb.1196:
	global_load_u8 v10, v[7:8], off
	s_mov_b32 s1, 0
	s_mov_b32 s3, exec_lo
                                        ; implicit-def: $sgpr10
	s_waitcnt vmcnt(0)
	v_cmpx_lt_i16_e32 0x7f, v10
	s_xor_b32 s3, exec_lo, s3
	s_cbranch_execz .LBB297_1212
; %bb.1197:
	v_cmp_ne_u16_e32 vcc_lo, 0x80, v10
	s_mov_b32 s10, 0
	s_and_b32 s1, vcc_lo, exec_lo
	s_or_saveexec_b32 s3, s3
	v_mov_b32_e32 v12, s10
	s_xor_b32 exec_lo, exec_lo, s3
	s_cbranch_execnz .LBB297_1213
.LBB297_1198:
	s_or_b32 exec_lo, exec_lo, s3
	s_and_saveexec_b32 s3, s1
	s_cbranch_execz .LBB297_1200
.LBB297_1199:
	v_and_b32_e32 v11, 0xffff, v10
	v_lshlrev_b32_e32 v10, 24, v10
	s_delay_alu instid0(VALU_DEP_2) | instskip(NEXT) | instid1(VALU_DEP_2)
	v_and_b32_e32 v12, 7, v11
	v_and_b32_e32 v10, 0x80000000, v10
	s_delay_alu instid0(VALU_DEP_2) | instskip(NEXT) | instid1(VALU_DEP_1)
	v_clz_i32_u32_e32 v13, v12
	v_min_u32_e32 v13, 32, v13
	s_delay_alu instid0(VALU_DEP_1) | instskip(SKIP_1) | instid1(VALU_DEP_2)
	v_subrev_nc_u32_e32 v14, 28, v13
	v_sub_nc_u32_e32 v13, 29, v13
	v_lshlrev_b32_e32 v14, v14, v11
	v_bfe_u32 v11, v11, 3, 4
	s_delay_alu instid0(VALU_DEP_2) | instskip(NEXT) | instid1(VALU_DEP_2)
	v_and_b32_e32 v14, 7, v14
	v_cmp_eq_u32_e32 vcc_lo, 0, v11
	s_delay_alu instid0(VALU_DEP_2) | instskip(NEXT) | instid1(VALU_DEP_1)
	v_dual_cndmask_b32 v11, v11, v13 :: v_dual_cndmask_b32 v12, v12, v14
	v_lshl_add_u32 v11, v11, 23, 0x3b800000
	s_delay_alu instid0(VALU_DEP_2) | instskip(NEXT) | instid1(VALU_DEP_1)
	v_lshlrev_b32_e32 v12, 20, v12
	v_or3_b32 v10, v10, v11, v12
	s_delay_alu instid0(VALU_DEP_1)
	v_cvt_i32_f32_e32 v12, v10
.LBB297_1200:
	s_or_b32 exec_lo, exec_lo, s3
.LBB297_1201:
	s_mov_b32 s3, -1
.LBB297_1202:
	s_branch .LBB297_1232
.LBB297_1203:
	v_cmp_lt_i16_e32 vcc_lo, 22, v9
	s_cbranch_vccz .LBB297_1211
; %bb.1204:
	v_cmp_gt_i16_e32 vcc_lo, 24, v9
	s_cbranch_vccnz .LBB297_1214
; %bb.1205:
	v_cmp_lt_i16_e32 vcc_lo, 24, v9
	s_cbranch_vccz .LBB297_1215
; %bb.1206:
	global_load_u8 v10, v[7:8], off
	s_mov_b32 s1, 0
	s_mov_b32 s2, exec_lo
                                        ; implicit-def: $sgpr3
	s_waitcnt vmcnt(0)
	v_cmpx_lt_i16_e32 0x7f, v10
	s_xor_b32 s2, exec_lo, s2
	s_cbranch_execz .LBB297_1226
; %bb.1207:
	v_cmp_ne_u16_e32 vcc_lo, 0x80, v10
	s_mov_b32 s3, 0
	s_and_b32 s1, vcc_lo, exec_lo
	s_or_saveexec_b32 s2, s2
	v_mov_b32_e32 v12, s3
	s_xor_b32 exec_lo, exec_lo, s2
	s_cbranch_execnz .LBB297_1227
.LBB297_1208:
	s_or_b32 exec_lo, exec_lo, s2
	s_and_saveexec_b32 s2, s1
	s_cbranch_execz .LBB297_1210
.LBB297_1209:
	v_and_b32_e32 v11, 0xffff, v10
	v_lshlrev_b32_e32 v10, 24, v10
	s_delay_alu instid0(VALU_DEP_2) | instskip(NEXT) | instid1(VALU_DEP_2)
	v_and_b32_e32 v12, 3, v11
	v_and_b32_e32 v10, 0x80000000, v10
	s_delay_alu instid0(VALU_DEP_2) | instskip(NEXT) | instid1(VALU_DEP_1)
	v_clz_i32_u32_e32 v13, v12
	v_min_u32_e32 v13, 32, v13
	s_delay_alu instid0(VALU_DEP_1) | instskip(SKIP_1) | instid1(VALU_DEP_2)
	v_subrev_nc_u32_e32 v14, 29, v13
	v_sub_nc_u32_e32 v13, 30, v13
	v_lshlrev_b32_e32 v14, v14, v11
	v_bfe_u32 v11, v11, 2, 5
	s_delay_alu instid0(VALU_DEP_2) | instskip(NEXT) | instid1(VALU_DEP_2)
	v_and_b32_e32 v14, 3, v14
	v_cmp_eq_u32_e32 vcc_lo, 0, v11
	s_delay_alu instid0(VALU_DEP_2) | instskip(NEXT) | instid1(VALU_DEP_1)
	v_dual_cndmask_b32 v11, v11, v13 :: v_dual_cndmask_b32 v12, v12, v14
	v_lshl_add_u32 v11, v11, 23, 0x37800000
	s_delay_alu instid0(VALU_DEP_2) | instskip(NEXT) | instid1(VALU_DEP_1)
	v_lshlrev_b32_e32 v12, 21, v12
	v_or3_b32 v10, v10, v11, v12
	s_delay_alu instid0(VALU_DEP_1)
	v_cvt_i32_f32_e32 v12, v10
.LBB297_1210:
	s_or_b32 exec_lo, exec_lo, s2
	s_mov_b32 s1, 0
	s_branch .LBB297_1216
.LBB297_1211:
                                        ; implicit-def: $vgpr12
	s_mov_b32 s2, 0
	s_branch .LBB297_1222
.LBB297_1212:
	s_or_saveexec_b32 s3, s3
	v_mov_b32_e32 v12, s10
	s_xor_b32 exec_lo, exec_lo, s3
	s_cbranch_execz .LBB297_1198
.LBB297_1213:
	v_cmp_ne_u16_e32 vcc_lo, 0, v10
	v_mov_b32_e32 v12, 0
	s_and_not1_b32 s1, s1, exec_lo
	s_and_b32 s10, vcc_lo, exec_lo
	s_delay_alu instid0(SALU_CYCLE_1)
	s_or_b32 s1, s1, s10
	s_or_b32 exec_lo, exec_lo, s3
	s_and_saveexec_b32 s3, s1
	s_cbranch_execnz .LBB297_1199
	s_branch .LBB297_1200
.LBB297_1214:
	s_mov_b32 s1, -1
                                        ; implicit-def: $vgpr12
	s_branch .LBB297_1219
.LBB297_1215:
	s_mov_b32 s1, -1
                                        ; implicit-def: $vgpr12
.LBB297_1216:
	s_delay_alu instid0(SALU_CYCLE_1)
	s_and_b32 vcc_lo, exec_lo, s1
	s_cbranch_vccz .LBB297_1218
; %bb.1217:
	global_load_u8 v10, v[7:8], off
	s_waitcnt vmcnt(0)
	v_lshlrev_b32_e32 v10, 24, v10
	s_delay_alu instid0(VALU_DEP_1) | instskip(NEXT) | instid1(VALU_DEP_1)
	v_and_b32_e32 v11, 0x7f000000, v10
	v_clz_i32_u32_e32 v12, v11
	v_add_nc_u32_e32 v14, 0x1000000, v11
	v_cmp_ne_u32_e32 vcc_lo, 0, v11
	s_delay_alu instid0(VALU_DEP_3) | instskip(NEXT) | instid1(VALU_DEP_1)
	v_min_u32_e32 v12, 32, v12
	v_sub_nc_u32_e64 v12, v12, 4 clamp
	s_delay_alu instid0(VALU_DEP_1) | instskip(SKIP_1) | instid1(VALU_DEP_2)
	v_lshlrev_b32_e32 v13, v12, v11
	v_lshlrev_b32_e32 v12, 23, v12
	v_lshrrev_b32_e32 v13, 4, v13
	s_delay_alu instid0(VALU_DEP_1) | instskip(SKIP_1) | instid1(VALU_DEP_2)
	v_sub_nc_u32_e32 v12, v13, v12
	v_ashrrev_i32_e32 v13, 8, v14
	v_add_nc_u32_e32 v12, 0x3c000000, v12
	s_delay_alu instid0(VALU_DEP_1) | instskip(NEXT) | instid1(VALU_DEP_1)
	v_and_or_b32 v12, 0x7f800000, v13, v12
	v_cndmask_b32_e32 v11, 0, v12, vcc_lo
	s_delay_alu instid0(VALU_DEP_1) | instskip(NEXT) | instid1(VALU_DEP_1)
	v_and_or_b32 v10, 0x80000000, v10, v11
	v_cvt_i32_f32_e32 v12, v10
.LBB297_1218:
	s_mov_b32 s1, 0
.LBB297_1219:
	s_delay_alu instid0(SALU_CYCLE_1)
	s_and_not1_b32 vcc_lo, exec_lo, s1
	s_cbranch_vccnz .LBB297_1221
; %bb.1220:
	global_load_u8 v10, v[7:8], off
	s_waitcnt vmcnt(0)
	v_lshlrev_b32_e32 v11, 25, v10
	v_lshlrev_b16 v10, 8, v10
	s_delay_alu instid0(VALU_DEP_2) | instskip(NEXT) | instid1(VALU_DEP_2)
	v_lshrrev_b32_e32 v12, 4, v11
	v_and_or_b32 v13, 0x7f00, v10, 0.5
	v_bfe_i32 v10, v10, 0, 16
	s_delay_alu instid0(VALU_DEP_3) | instskip(NEXT) | instid1(VALU_DEP_1)
	v_or_b32_e32 v12, 0x70000000, v12
	v_dual_add_f32 v13, -0.5, v13 :: v_dual_mul_f32 v12, 0x7800000, v12
	v_cmp_gt_u32_e32 vcc_lo, 0x8000000, v11
	s_delay_alu instid0(VALU_DEP_2) | instskip(NEXT) | instid1(VALU_DEP_1)
	v_cndmask_b32_e32 v11, v12, v13, vcc_lo
	v_and_or_b32 v10, 0x80000000, v10, v11
	s_delay_alu instid0(VALU_DEP_1)
	v_cvt_i32_f32_e32 v12, v10
.LBB297_1221:
	s_mov_b32 s3, -1
	s_mov_b32 s2, 0
	s_cbranch_execnz .LBB297_1232
.LBB297_1222:
	v_cmp_lt_i16_e32 vcc_lo, 14, v9
	s_cbranch_vccz .LBB297_1225
; %bb.1223:
	v_cmp_eq_u16_e32 vcc_lo, 15, v9
	s_cbranch_vccz .LBB297_1228
; %bb.1224:
	global_load_u16 v10, v[7:8], off
	s_mov_b32 s0, 0
	s_mov_b32 s3, -1
	s_waitcnt vmcnt(0)
	v_lshlrev_b32_e32 v10, 16, v10
	s_delay_alu instid0(VALU_DEP_1)
	v_cvt_i32_f32_e32 v12, v10
	s_branch .LBB297_1229
.LBB297_1225:
	s_mov_b32 s1, -1
                                        ; implicit-def: $vgpr12
	s_branch .LBB297_1230
.LBB297_1226:
	s_or_saveexec_b32 s2, s2
	v_mov_b32_e32 v12, s3
	s_xor_b32 exec_lo, exec_lo, s2
	s_cbranch_execz .LBB297_1208
.LBB297_1227:
	v_cmp_ne_u16_e32 vcc_lo, 0, v10
	v_mov_b32_e32 v12, 0
	s_and_not1_b32 s1, s1, exec_lo
	s_and_b32 s3, vcc_lo, exec_lo
	s_delay_alu instid0(SALU_CYCLE_1)
	s_or_b32 s1, s1, s3
	s_or_b32 exec_lo, exec_lo, s2
	s_and_saveexec_b32 s2, s1
	s_cbranch_execnz .LBB297_1209
	s_branch .LBB297_1210
.LBB297_1228:
	s_mov_b32 s0, -1
                                        ; implicit-def: $vgpr12
.LBB297_1229:
	s_mov_b32 s1, 0
.LBB297_1230:
	s_delay_alu instid0(SALU_CYCLE_1)
	s_and_b32 vcc_lo, exec_lo, s1
	s_cbranch_vccz .LBB297_1232
; %bb.1231:
	v_cmp_ne_u16_e64 s0, 11, v9
	s_mov_b32 s2, -1
                                        ; implicit-def: $vgpr12
.LBB297_1232:
	s_delay_alu instid0(VALU_DEP_1)
	s_and_b32 vcc_lo, exec_lo, s0
	s_mov_b32 s1, s8
	s_cbranch_vccnz .LBB297_1256
; %bb.1233:
	s_and_not1_b32 vcc_lo, exec_lo, s2
	s_cbranch_vccnz .LBB297_1235
.LBB297_1234:
	global_load_u8 v10, v[7:8], off
	s_mov_b32 s3, -1
	s_waitcnt vmcnt(0)
	v_cmp_ne_u16_e32 vcc_lo, 0, v10
	v_cndmask_b32_e64 v12, 0, 1, vcc_lo
.LBB297_1235:
.LBB297_1236:
	s_and_not1_b32 vcc_lo, exec_lo, s3
	s_cbranch_vccnz .LBB297_2016
.LBB297_1237:
	v_cmp_gt_i16_e32 vcc_lo, 11, v9
	s_waitcnt vmcnt(0)
	v_add_co_u32 v6, s0, s6, v6
	s_delay_alu instid0(VALU_DEP_1)
	v_add_co_ci_u32_e64 v7, null, s7, 0, s0
	s_mov_b32 s3, 0
	s_cbranch_vccnz .LBB297_1244
; %bb.1238:
	v_cmp_lt_i16_e32 vcc_lo, 25, v9
	s_mov_b32 s2, 0
	s_cbranch_vccz .LBB297_1250
; %bb.1239:
	v_cmp_lt_i16_e32 vcc_lo, 28, v9
	s_cbranch_vccz .LBB297_1252
; %bb.1240:
	v_cmp_lt_i16_e32 vcc_lo, 43, v9
	;; [unrolled: 3-line block ×3, first 2 shown]
	s_cbranch_vccz .LBB297_1260
; %bb.1242:
	v_cmp_eq_u16_e32 vcc_lo, 46, v9
	s_mov_b32 s10, 0
	s_cbranch_vccz .LBB297_1304
; %bb.1243:
	global_load_b32 v8, v[6:7], off
	s_mov_b32 s0, 0
	s_mov_b32 s3, -1
	s_waitcnt vmcnt(0)
	v_lshlrev_b32_e32 v8, 16, v8
	s_delay_alu instid0(VALU_DEP_1)
	v_cvt_i32_f32_e32 v11, v8
	s_branch .LBB297_1306
.LBB297_1244:
                                        ; implicit-def: $vgpr11
	s_cbranch_execz .LBB297_1367
; %bb.1245:
	v_cmp_gt_i16_e32 vcc_lo, 5, v9
	s_cbranch_vccnz .LBB297_1251
; %bb.1246:
	v_cmp_gt_i16_e32 vcc_lo, 8, v9
	s_cbranch_vccnz .LBB297_1253
	;; [unrolled: 3-line block ×3, first 2 shown]
; %bb.1248:
	v_cmp_lt_i16_e32 vcc_lo, 9, v9
	s_cbranch_vccz .LBB297_1261
; %bb.1249:
	global_load_b64 v[10:11], v[6:7], off
	s_mov_b32 s0, 0
	s_waitcnt vmcnt(0)
	v_cvt_i32_f64_e32 v11, v[10:11]
	s_branch .LBB297_1262
.LBB297_1250:
	s_mov_b32 s0, 0
                                        ; implicit-def: $vgpr11
	s_cbranch_execnz .LBB297_1333
	s_branch .LBB297_1363
.LBB297_1251:
                                        ; implicit-def: $vgpr11
	s_branch .LBB297_1280
.LBB297_1252:
	s_mov_b32 s10, -1
	s_mov_b32 s0, 0
                                        ; implicit-def: $vgpr11
	s_branch .LBB297_1316
.LBB297_1253:
	s_mov_b32 s0, -1
                                        ; implicit-def: $vgpr11
	s_branch .LBB297_1268
.LBB297_1254:
	s_mov_b32 s10, -1
	s_mov_b32 s0, 0
                                        ; implicit-def: $vgpr11
	s_branch .LBB297_1311
.LBB297_1255:
	s_mov_b32 s0, -1
                                        ; implicit-def: $vgpr11
	s_branch .LBB297_1265
.LBB297_1256:
	s_cbranch_execnz .LBB297_1300
; %bb.1257:
	s_or_b32 s1, s8, exec_lo
                                        ; implicit-def: $vgpr12
	s_cbranch_execz .LBB297_1234
	s_branch .LBB297_1235
.LBB297_1258:
	s_or_saveexec_b32 s7, s7
                                        ; implicit-def: $sgpr8
	s_delay_alu instid0(SALU_CYCLE_1)
	s_xor_b32 exec_lo, exec_lo, s7
	s_cbranch_execz .LBB297_971
.LBB297_1259:
	v_add_f32_e64 v2, 0x46000000, |v0|
	s_and_not1_b32 s5, s5, exec_lo
	s_mov_b32 s8, 0
	s_delay_alu instid0(VALU_DEP_1) | instskip(NEXT) | instid1(VALU_DEP_1)
	v_and_b32_e32 v2, 0xff, v2
	v_cmp_ne_u32_e32 vcc_lo, 0, v2
	s_and_b32 s9, vcc_lo, exec_lo
	s_delay_alu instid0(SALU_CYCLE_1)
	s_or_b32 s5, s5, s9
	s_or_b32 exec_lo, exec_lo, s7
	v_mov_b32_e32 v6, s8
	s_and_saveexec_b32 s7, s5
	s_cbranch_execnz .LBB297_972
	s_branch .LBB297_973
.LBB297_1260:
	s_mov_b32 s10, -1
	s_mov_b32 s0, 0
	s_branch .LBB297_1305
.LBB297_1261:
	s_mov_b32 s0, -1
                                        ; implicit-def: $vgpr11
.LBB297_1262:
	s_delay_alu instid0(SALU_CYCLE_1)
	s_and_not1_b32 vcc_lo, exec_lo, s0
	s_cbranch_vccnz .LBB297_1264
; %bb.1263:
	global_load_b32 v8, v[6:7], off
	s_waitcnt vmcnt(0)
	v_cvt_i32_f32_e32 v11, v8
.LBB297_1264:
	s_mov_b32 s0, 0
.LBB297_1265:
	s_delay_alu instid0(SALU_CYCLE_1)
	s_and_not1_b32 vcc_lo, exec_lo, s0
	s_cbranch_vccnz .LBB297_1267
; %bb.1266:
	global_load_b32 v8, v[6:7], off
	s_waitcnt vmcnt(0)
	v_cvt_f32_f16_e32 v8, v8
	s_delay_alu instid0(VALU_DEP_1)
	v_cvt_i32_f32_e32 v11, v8
.LBB297_1267:
	s_mov_b32 s0, 0
.LBB297_1268:
	s_delay_alu instid0(SALU_CYCLE_1)
	s_and_not1_b32 vcc_lo, exec_lo, s0
	s_cbranch_vccnz .LBB297_1279
; %bb.1269:
	v_cmp_gt_i16_e32 vcc_lo, 6, v9
	s_cbranch_vccnz .LBB297_1272
; %bb.1270:
	v_cmp_lt_i16_e32 vcc_lo, 6, v9
	s_cbranch_vccz .LBB297_1273
; %bb.1271:
	global_load_b64 v[10:11], v[6:7], off
	s_mov_b32 s0, 0
	s_waitcnt vmcnt(0)
	v_cvt_i32_f64_e32 v11, v[10:11]
	s_branch .LBB297_1274
.LBB297_1272:
	s_mov_b32 s0, -1
                                        ; implicit-def: $vgpr11
	s_branch .LBB297_1277
.LBB297_1273:
	s_mov_b32 s0, -1
                                        ; implicit-def: $vgpr11
.LBB297_1274:
	s_delay_alu instid0(SALU_CYCLE_1)
	s_and_not1_b32 vcc_lo, exec_lo, s0
	s_cbranch_vccnz .LBB297_1276
; %bb.1275:
	global_load_b32 v8, v[6:7], off
	s_waitcnt vmcnt(0)
	v_cvt_i32_f32_e32 v11, v8
.LBB297_1276:
	s_mov_b32 s0, 0
.LBB297_1277:
	s_delay_alu instid0(SALU_CYCLE_1)
	s_and_not1_b32 vcc_lo, exec_lo, s0
	s_cbranch_vccnz .LBB297_1279
; %bb.1278:
	global_load_u16 v8, v[6:7], off
	s_waitcnt vmcnt(0)
	v_cvt_f32_f16_e32 v8, v8
	s_delay_alu instid0(VALU_DEP_1)
	v_cvt_i32_f32_e32 v11, v8
.LBB297_1279:
	s_cbranch_execnz .LBB297_1299
.LBB297_1280:
	v_cmp_gt_i16_e32 vcc_lo, 2, v9
	s_cbranch_vccnz .LBB297_1284
; %bb.1281:
	v_cmp_gt_i16_e32 vcc_lo, 3, v9
	s_cbranch_vccnz .LBB297_1285
; %bb.1282:
	v_cmp_lt_i16_e32 vcc_lo, 3, v9
	s_cbranch_vccz .LBB297_1286
; %bb.1283:
	global_load_b32 v11, v[6:7], off
	s_mov_b32 s0, 0
	s_branch .LBB297_1287
.LBB297_1284:
	s_mov_b32 s0, -1
                                        ; implicit-def: $vgpr11
	s_branch .LBB297_1293
.LBB297_1285:
	s_mov_b32 s0, -1
                                        ; implicit-def: $vgpr11
	s_branch .LBB297_1290
.LBB297_1286:
	s_mov_b32 s0, -1
                                        ; implicit-def: $vgpr11
.LBB297_1287:
	s_delay_alu instid0(SALU_CYCLE_1)
	s_and_not1_b32 vcc_lo, exec_lo, s0
	s_cbranch_vccnz .LBB297_1289
; %bb.1288:
	global_load_b32 v11, v[6:7], off
.LBB297_1289:
	s_mov_b32 s0, 0
.LBB297_1290:
	s_delay_alu instid0(SALU_CYCLE_1)
	s_and_not1_b32 vcc_lo, exec_lo, s0
	s_cbranch_vccnz .LBB297_1292
; %bb.1291:
	global_load_i16 v11, v[6:7], off
.LBB297_1292:
	s_mov_b32 s0, 0
.LBB297_1293:
	s_delay_alu instid0(SALU_CYCLE_1)
	s_and_not1_b32 vcc_lo, exec_lo, s0
	s_cbranch_vccnz .LBB297_1299
; %bb.1294:
	v_cmp_lt_i16_e32 vcc_lo, 0, v9
	s_mov_b32 s0, 0
	s_cbranch_vccz .LBB297_1296
; %bb.1295:
	global_load_i8 v11, v[6:7], off
	s_branch .LBB297_1297
.LBB297_1296:
	s_mov_b32 s0, -1
                                        ; implicit-def: $vgpr11
.LBB297_1297:
	s_delay_alu instid0(SALU_CYCLE_1)
	s_and_not1_b32 vcc_lo, exec_lo, s0
	s_cbranch_vccnz .LBB297_1299
; %bb.1298:
	global_load_u8 v11, v[6:7], off
.LBB297_1299:
	s_branch .LBB297_1368
.LBB297_1300:
	s_trap 2
	s_sendmsg_rtn_b32 s0, sendmsg(MSG_RTN_GET_DOORBELL)
	s_mov_b32 ttmp2, m0
	s_waitcnt lgkmcnt(0)
	s_and_b32 s0, s0, 0x3ff
	s_delay_alu instid0(SALU_CYCLE_1) | instskip(NEXT) | instid1(SALU_CYCLE_1)
	s_bitset1_b32 s0, 10
	s_mov_b32 m0, s0
	s_sendmsg sendmsg(MSG_INTERRUPT)
	s_mov_b32 m0, ttmp2
.LBB297_1301:                           ; =>This Inner Loop Header: Depth=1
	s_sethalt 5
	s_branch .LBB297_1301
.LBB297_1302:
	s_or_saveexec_b32 s8, s8
                                        ; implicit-def: $sgpr9
	s_delay_alu instid0(SALU_CYCLE_1)
	s_xor_b32 exec_lo, exec_lo, s8
	s_cbranch_execz .LBB297_983
.LBB297_1303:
	v_add_f32_e64 v2, 0x42800000, |v0|
	s_and_not1_b32 s7, s7, exec_lo
	s_mov_b32 s9, 0
	s_delay_alu instid0(VALU_DEP_1) | instskip(NEXT) | instid1(VALU_DEP_1)
	v_and_b32_e32 v2, 0xff, v2
	v_cmp_ne_u32_e32 vcc_lo, 0, v2
	s_and_b32 s10, vcc_lo, exec_lo
	s_delay_alu instid0(SALU_CYCLE_1)
	s_or_b32 s7, s7, s10
	s_or_b32 exec_lo, exec_lo, s8
	v_mov_b32_e32 v6, s9
	s_and_saveexec_b32 s8, s7
	s_cbranch_execnz .LBB297_984
	s_branch .LBB297_985
.LBB297_1304:
	s_mov_b32 s0, -1
.LBB297_1305:
                                        ; implicit-def: $vgpr11
.LBB297_1306:
	s_and_b32 vcc_lo, exec_lo, s10
	s_cbranch_vccz .LBB297_1310
; %bb.1307:
	v_cmp_eq_u16_e32 vcc_lo, 44, v9
	s_cbranch_vccz .LBB297_1309
; %bb.1308:
	global_load_u8 v8, v[6:7], off
	s_mov_b32 s0, 0
	s_mov_b32 s3, -1
	s_waitcnt vmcnt(0)
	v_lshlrev_b32_e32 v10, 23, v8
	v_cmp_ne_u32_e32 vcc_lo, 0, v8
	s_delay_alu instid0(VALU_DEP_2) | instskip(NEXT) | instid1(VALU_DEP_1)
	v_cvt_i32_f32_e32 v10, v10
	v_cndmask_b32_e32 v11, 0, v10, vcc_lo
	s_branch .LBB297_1310
.LBB297_1309:
	s_mov_b32 s0, -1
                                        ; implicit-def: $vgpr11
.LBB297_1310:
	s_mov_b32 s10, 0
.LBB297_1311:
	s_delay_alu instid0(SALU_CYCLE_1)
	s_and_b32 vcc_lo, exec_lo, s10
	s_cbranch_vccz .LBB297_1315
; %bb.1312:
	v_cmp_eq_u16_e32 vcc_lo, 29, v9
	s_cbranch_vccz .LBB297_1314
; %bb.1313:
	global_load_b32 v11, v[6:7], off
	s_mov_b32 s0, 0
	s_mov_b32 s3, -1
	s_branch .LBB297_1315
.LBB297_1314:
	s_mov_b32 s0, -1
                                        ; implicit-def: $vgpr11
.LBB297_1315:
	s_mov_b32 s10, 0
.LBB297_1316:
	s_delay_alu instid0(SALU_CYCLE_1)
	s_and_b32 vcc_lo, exec_lo, s10
	s_cbranch_vccz .LBB297_1332
; %bb.1317:
	v_cmp_gt_i16_e32 vcc_lo, 27, v9
	s_cbranch_vccnz .LBB297_1320
; %bb.1318:
	v_cmp_lt_i16_e32 vcc_lo, 27, v9
	s_cbranch_vccz .LBB297_1321
; %bb.1319:
	global_load_b32 v11, v[6:7], off
	s_mov_b32 s3, 0
	s_branch .LBB297_1322
.LBB297_1320:
	s_mov_b32 s3, -1
                                        ; implicit-def: $vgpr11
	s_branch .LBB297_1325
.LBB297_1321:
	s_mov_b32 s3, -1
                                        ; implicit-def: $vgpr11
.LBB297_1322:
	s_delay_alu instid0(SALU_CYCLE_1)
	s_and_not1_b32 vcc_lo, exec_lo, s3
	s_cbranch_vccnz .LBB297_1324
; %bb.1323:
	global_load_u16 v11, v[6:7], off
.LBB297_1324:
	s_mov_b32 s3, 0
.LBB297_1325:
	s_delay_alu instid0(SALU_CYCLE_1)
	s_and_not1_b32 vcc_lo, exec_lo, s3
	s_cbranch_vccnz .LBB297_1331
; %bb.1326:
	global_load_u8 v8, v[6:7], off
	s_mov_b32 s3, 0
	s_mov_b32 s10, exec_lo
                                        ; implicit-def: $sgpr11
	s_waitcnt vmcnt(0)
	v_cmpx_lt_i16_e32 0x7f, v8
	s_xor_b32 s10, exec_lo, s10
	s_cbranch_execz .LBB297_1342
; %bb.1327:
	v_cmp_ne_u16_e32 vcc_lo, 0x80, v8
	s_mov_b32 s11, 0
	s_and_b32 s3, vcc_lo, exec_lo
	s_or_saveexec_b32 s10, s10
	v_mov_b32_e32 v11, s11
	s_xor_b32 exec_lo, exec_lo, s10
	s_cbranch_execnz .LBB297_1343
.LBB297_1328:
	s_or_b32 exec_lo, exec_lo, s10
	s_and_saveexec_b32 s10, s3
	s_cbranch_execz .LBB297_1330
.LBB297_1329:
	v_and_b32_e32 v10, 0xffff, v8
	v_lshlrev_b32_e32 v8, 24, v8
	s_delay_alu instid0(VALU_DEP_2) | instskip(NEXT) | instid1(VALU_DEP_2)
	v_and_b32_e32 v11, 7, v10
	v_and_b32_e32 v8, 0x80000000, v8
	s_delay_alu instid0(VALU_DEP_2) | instskip(NEXT) | instid1(VALU_DEP_1)
	v_clz_i32_u32_e32 v13, v11
	v_min_u32_e32 v13, 32, v13
	s_delay_alu instid0(VALU_DEP_1) | instskip(SKIP_1) | instid1(VALU_DEP_2)
	v_subrev_nc_u32_e32 v14, 28, v13
	v_sub_nc_u32_e32 v13, 29, v13
	v_lshlrev_b32_e32 v14, v14, v10
	v_bfe_u32 v10, v10, 3, 4
	s_delay_alu instid0(VALU_DEP_2) | instskip(NEXT) | instid1(VALU_DEP_2)
	v_and_b32_e32 v14, 7, v14
	v_cmp_eq_u32_e32 vcc_lo, 0, v10
	s_delay_alu instid0(VALU_DEP_2) | instskip(NEXT) | instid1(VALU_DEP_1)
	v_dual_cndmask_b32 v10, v10, v13 :: v_dual_cndmask_b32 v11, v11, v14
	v_lshl_add_u32 v10, v10, 23, 0x3b800000
	s_delay_alu instid0(VALU_DEP_2) | instskip(NEXT) | instid1(VALU_DEP_1)
	v_lshlrev_b32_e32 v11, 20, v11
	v_or3_b32 v8, v8, v10, v11
	s_delay_alu instid0(VALU_DEP_1)
	v_cvt_i32_f32_e32 v11, v8
.LBB297_1330:
	s_or_b32 exec_lo, exec_lo, s10
.LBB297_1331:
	s_mov_b32 s3, -1
.LBB297_1332:
	s_branch .LBB297_1363
.LBB297_1333:
	v_cmp_lt_i16_e32 vcc_lo, 22, v9
	s_cbranch_vccz .LBB297_1341
; %bb.1334:
	v_cmp_gt_i16_e32 vcc_lo, 24, v9
	s_cbranch_vccnz .LBB297_1344
; %bb.1335:
	v_cmp_lt_i16_e32 vcc_lo, 24, v9
	s_cbranch_vccz .LBB297_1345
; %bb.1336:
	global_load_u8 v8, v[6:7], off
	s_mov_b32 s3, exec_lo
                                        ; implicit-def: $sgpr10
	s_waitcnt vmcnt(0)
	v_cmpx_lt_i16_e32 0x7f, v8
	s_xor_b32 s3, exec_lo, s3
	s_cbranch_execz .LBB297_1357
; %bb.1337:
	v_cmp_ne_u16_e32 vcc_lo, 0x80, v8
	s_mov_b32 s10, 0
	s_and_b32 s2, vcc_lo, exec_lo
	s_or_saveexec_b32 s3, s3
	v_mov_b32_e32 v11, s10
	s_xor_b32 exec_lo, exec_lo, s3
	s_cbranch_execnz .LBB297_1358
.LBB297_1338:
	s_or_b32 exec_lo, exec_lo, s3
	s_and_saveexec_b32 s3, s2
	s_cbranch_execz .LBB297_1340
.LBB297_1339:
	v_and_b32_e32 v10, 0xffff, v8
	v_lshlrev_b32_e32 v8, 24, v8
	s_delay_alu instid0(VALU_DEP_2) | instskip(NEXT) | instid1(VALU_DEP_2)
	v_and_b32_e32 v11, 3, v10
	v_and_b32_e32 v8, 0x80000000, v8
	s_delay_alu instid0(VALU_DEP_2) | instskip(NEXT) | instid1(VALU_DEP_1)
	v_clz_i32_u32_e32 v13, v11
	v_min_u32_e32 v13, 32, v13
	s_delay_alu instid0(VALU_DEP_1) | instskip(SKIP_1) | instid1(VALU_DEP_2)
	v_subrev_nc_u32_e32 v14, 29, v13
	v_sub_nc_u32_e32 v13, 30, v13
	v_lshlrev_b32_e32 v14, v14, v10
	v_bfe_u32 v10, v10, 2, 5
	s_delay_alu instid0(VALU_DEP_2) | instskip(NEXT) | instid1(VALU_DEP_2)
	v_and_b32_e32 v14, 3, v14
	v_cmp_eq_u32_e32 vcc_lo, 0, v10
	s_delay_alu instid0(VALU_DEP_2) | instskip(NEXT) | instid1(VALU_DEP_1)
	v_dual_cndmask_b32 v10, v10, v13 :: v_dual_cndmask_b32 v11, v11, v14
	v_lshl_add_u32 v10, v10, 23, 0x37800000
	s_delay_alu instid0(VALU_DEP_2) | instskip(NEXT) | instid1(VALU_DEP_1)
	v_lshlrev_b32_e32 v11, 21, v11
	v_or3_b32 v8, v8, v10, v11
	s_delay_alu instid0(VALU_DEP_1)
	v_cvt_i32_f32_e32 v11, v8
.LBB297_1340:
	s_or_b32 exec_lo, exec_lo, s3
	s_mov_b32 s2, 0
	s_branch .LBB297_1346
.LBB297_1341:
	s_mov_b32 s2, -1
                                        ; implicit-def: $vgpr11
	s_branch .LBB297_1352
.LBB297_1342:
	s_or_saveexec_b32 s10, s10
	v_mov_b32_e32 v11, s11
	s_xor_b32 exec_lo, exec_lo, s10
	s_cbranch_execz .LBB297_1328
.LBB297_1343:
	v_cmp_ne_u16_e32 vcc_lo, 0, v8
	v_mov_b32_e32 v11, 0
	s_and_not1_b32 s3, s3, exec_lo
	s_and_b32 s11, vcc_lo, exec_lo
	s_delay_alu instid0(SALU_CYCLE_1)
	s_or_b32 s3, s3, s11
	s_or_b32 exec_lo, exec_lo, s10
	s_and_saveexec_b32 s10, s3
	s_cbranch_execnz .LBB297_1329
	s_branch .LBB297_1330
.LBB297_1344:
	s_mov_b32 s2, -1
                                        ; implicit-def: $vgpr11
	s_branch .LBB297_1349
.LBB297_1345:
	s_mov_b32 s2, -1
                                        ; implicit-def: $vgpr11
.LBB297_1346:
	s_delay_alu instid0(SALU_CYCLE_1)
	s_and_b32 vcc_lo, exec_lo, s2
	s_cbranch_vccz .LBB297_1348
; %bb.1347:
	global_load_u8 v8, v[6:7], off
	s_waitcnt vmcnt(0)
	v_lshlrev_b32_e32 v8, 24, v8
	s_delay_alu instid0(VALU_DEP_1) | instskip(NEXT) | instid1(VALU_DEP_1)
	v_and_b32_e32 v10, 0x7f000000, v8
	v_clz_i32_u32_e32 v11, v10
	v_cmp_ne_u32_e32 vcc_lo, 0, v10
	v_add_nc_u32_e32 v14, 0x1000000, v10
	s_delay_alu instid0(VALU_DEP_3) | instskip(NEXT) | instid1(VALU_DEP_1)
	v_min_u32_e32 v11, 32, v11
	v_sub_nc_u32_e64 v11, v11, 4 clamp
	s_delay_alu instid0(VALU_DEP_1) | instskip(SKIP_1) | instid1(VALU_DEP_2)
	v_lshlrev_b32_e32 v13, v11, v10
	v_lshlrev_b32_e32 v11, 23, v11
	v_lshrrev_b32_e32 v13, 4, v13
	s_delay_alu instid0(VALU_DEP_1) | instskip(SKIP_1) | instid1(VALU_DEP_2)
	v_sub_nc_u32_e32 v11, v13, v11
	v_ashrrev_i32_e32 v13, 8, v14
	v_add_nc_u32_e32 v11, 0x3c000000, v11
	s_delay_alu instid0(VALU_DEP_1) | instskip(NEXT) | instid1(VALU_DEP_1)
	v_and_or_b32 v11, 0x7f800000, v13, v11
	v_cndmask_b32_e32 v10, 0, v11, vcc_lo
	s_delay_alu instid0(VALU_DEP_1) | instskip(NEXT) | instid1(VALU_DEP_1)
	v_and_or_b32 v8, 0x80000000, v8, v10
	v_cvt_i32_f32_e32 v11, v8
.LBB297_1348:
	s_mov_b32 s2, 0
.LBB297_1349:
	s_delay_alu instid0(SALU_CYCLE_1)
	s_and_not1_b32 vcc_lo, exec_lo, s2
	s_cbranch_vccnz .LBB297_1351
; %bb.1350:
	global_load_u8 v8, v[6:7], off
	s_waitcnt vmcnt(0)
	v_lshlrev_b32_e32 v10, 25, v8
	v_lshlrev_b16 v8, 8, v8
	s_delay_alu instid0(VALU_DEP_1) | instskip(SKIP_1) | instid1(VALU_DEP_2)
	v_and_or_b32 v13, 0x7f00, v8, 0.5
	v_bfe_i32 v8, v8, 0, 16
	v_add_f32_e32 v13, -0.5, v13
	v_lshrrev_b32_e32 v11, 4, v10
	v_cmp_gt_u32_e32 vcc_lo, 0x8000000, v10
	s_delay_alu instid0(VALU_DEP_2) | instskip(NEXT) | instid1(VALU_DEP_1)
	v_or_b32_e32 v11, 0x70000000, v11
	v_mul_f32_e32 v11, 0x7800000, v11
	s_delay_alu instid0(VALU_DEP_1) | instskip(NEXT) | instid1(VALU_DEP_1)
	v_cndmask_b32_e32 v10, v11, v13, vcc_lo
	v_and_or_b32 v8, 0x80000000, v8, v10
	s_delay_alu instid0(VALU_DEP_1)
	v_cvt_i32_f32_e32 v11, v8
.LBB297_1351:
	s_mov_b32 s2, 0
	s_mov_b32 s3, -1
.LBB297_1352:
	s_and_not1_b32 vcc_lo, exec_lo, s2
	s_mov_b32 s2, 0
	s_cbranch_vccnz .LBB297_1363
; %bb.1353:
	v_cmp_lt_i16_e32 vcc_lo, 14, v9
	s_cbranch_vccz .LBB297_1356
; %bb.1354:
	v_cmp_eq_u16_e32 vcc_lo, 15, v9
	s_cbranch_vccz .LBB297_1359
; %bb.1355:
	global_load_u16 v8, v[6:7], off
	s_mov_b32 s0, 0
	s_mov_b32 s3, -1
	s_waitcnt vmcnt(0)
	v_lshlrev_b32_e32 v8, 16, v8
	s_delay_alu instid0(VALU_DEP_1)
	v_cvt_i32_f32_e32 v11, v8
	s_branch .LBB297_1361
.LBB297_1356:
	s_mov_b32 s2, -1
	s_branch .LBB297_1360
.LBB297_1357:
	s_or_saveexec_b32 s3, s3
	v_mov_b32_e32 v11, s10
	s_xor_b32 exec_lo, exec_lo, s3
	s_cbranch_execz .LBB297_1338
.LBB297_1358:
	v_cmp_ne_u16_e32 vcc_lo, 0, v8
	v_mov_b32_e32 v11, 0
	s_and_not1_b32 s2, s2, exec_lo
	s_and_b32 s10, vcc_lo, exec_lo
	s_delay_alu instid0(SALU_CYCLE_1)
	s_or_b32 s2, s2, s10
	s_or_b32 exec_lo, exec_lo, s3
	s_and_saveexec_b32 s3, s2
	s_cbranch_execnz .LBB297_1339
	s_branch .LBB297_1340
.LBB297_1359:
	s_mov_b32 s0, -1
.LBB297_1360:
                                        ; implicit-def: $vgpr11
.LBB297_1361:
	s_and_b32 vcc_lo, exec_lo, s2
	s_mov_b32 s2, 0
	s_cbranch_vccz .LBB297_1363
; %bb.1362:
	v_cmp_ne_u16_e64 s0, 11, v9
	s_mov_b32 s2, -1
                                        ; implicit-def: $vgpr11
.LBB297_1363:
	s_delay_alu instid0(VALU_DEP_1)
	s_and_b32 vcc_lo, exec_lo, s0
	s_cbranch_vccnz .LBB297_1387
; %bb.1364:
	s_and_not1_b32 vcc_lo, exec_lo, s2
	s_cbranch_vccnz .LBB297_1366
.LBB297_1365:
	global_load_u8 v8, v[6:7], off
	s_mov_b32 s3, -1
	s_waitcnt vmcnt(0)
	v_cmp_ne_u16_e32 vcc_lo, 0, v8
	v_cndmask_b32_e64 v11, 0, 1, vcc_lo
.LBB297_1366:
.LBB297_1367:
	s_and_not1_b32 vcc_lo, exec_lo, s3
	s_cbranch_vccnz .LBB297_2016
.LBB297_1368:
	v_cmp_gt_i16_e32 vcc_lo, 11, v9
	v_add_co_u32 v5, s0, s6, v5
	s_delay_alu instid0(VALU_DEP_1)
	v_add_co_ci_u32_e64 v6, null, s7, 0, s0
	s_mov_b32 s3, 0
	s_cbranch_vccnz .LBB297_1375
; %bb.1369:
	v_cmp_lt_i16_e32 vcc_lo, 25, v9
	s_mov_b32 s2, 0
	s_cbranch_vccz .LBB297_1381
; %bb.1370:
	v_cmp_lt_i16_e32 vcc_lo, 28, v9
	s_cbranch_vccz .LBB297_1383
; %bb.1371:
	v_cmp_lt_i16_e32 vcc_lo, 43, v9
	;; [unrolled: 3-line block ×3, first 2 shown]
	s_cbranch_vccz .LBB297_1389
; %bb.1373:
	v_cmp_eq_u16_e32 vcc_lo, 46, v9
	s_mov_b32 s10, 0
	s_cbranch_vccz .LBB297_1432
; %bb.1374:
	global_load_b32 v7, v[5:6], off
	s_mov_b32 s0, 0
	s_mov_b32 s3, -1
	s_waitcnt vmcnt(0)
	v_lshlrev_b32_e32 v7, 16, v7
	s_delay_alu instid0(VALU_DEP_1)
	v_cvt_i32_f32_e32 v10, v7
	s_branch .LBB297_1434
.LBB297_1375:
                                        ; implicit-def: $vgpr10
	s_cbranch_execz .LBB297_1496
; %bb.1376:
	v_cmp_gt_i16_e32 vcc_lo, 5, v9
	s_cbranch_vccnz .LBB297_1382
; %bb.1377:
	v_cmp_gt_i16_e32 vcc_lo, 8, v9
	s_cbranch_vccnz .LBB297_1384
	;; [unrolled: 3-line block ×3, first 2 shown]
; %bb.1379:
	v_cmp_lt_i16_e32 vcc_lo, 9, v9
	s_cbranch_vccz .LBB297_1390
; %bb.1380:
	global_load_b64 v[7:8], v[5:6], off
	s_mov_b32 s0, 0
	s_waitcnt vmcnt(0)
	v_cvt_i32_f64_e32 v10, v[7:8]
	s_branch .LBB297_1391
.LBB297_1381:
	s_mov_b32 s10, -1
	s_mov_b32 s0, 0
                                        ; implicit-def: $vgpr10
	s_branch .LBB297_1461
.LBB297_1382:
	s_mov_b32 s0, -1
                                        ; implicit-def: $vgpr10
	s_branch .LBB297_1409
.LBB297_1383:
	s_mov_b32 s10, -1
	s_mov_b32 s0, 0
                                        ; implicit-def: $vgpr10
	s_branch .LBB297_1444
.LBB297_1384:
	s_mov_b32 s0, -1
                                        ; implicit-def: $vgpr10
	s_branch .LBB297_1397
.LBB297_1385:
	s_mov_b32 s10, -1
	s_mov_b32 s0, 0
                                        ; implicit-def: $vgpr10
	s_branch .LBB297_1439
.LBB297_1386:
	s_mov_b32 s0, -1
                                        ; implicit-def: $vgpr10
	s_branch .LBB297_1394
.LBB297_1387:
	s_cbranch_execnz .LBB297_1430
; %bb.1388:
	s_or_b32 s1, s1, exec_lo
                                        ; implicit-def: $vgpr11
	s_cbranch_execz .LBB297_1365
	s_branch .LBB297_1366
.LBB297_1389:
	s_mov_b32 s10, -1
	s_mov_b32 s0, 0
	s_branch .LBB297_1433
.LBB297_1390:
	s_mov_b32 s0, -1
                                        ; implicit-def: $vgpr10
.LBB297_1391:
	s_delay_alu instid0(SALU_CYCLE_1)
	s_and_not1_b32 vcc_lo, exec_lo, s0
	s_cbranch_vccnz .LBB297_1393
; %bb.1392:
	global_load_b32 v7, v[5:6], off
	s_waitcnt vmcnt(0)
	v_cvt_i32_f32_e32 v10, v7
.LBB297_1393:
	s_mov_b32 s0, 0
.LBB297_1394:
	s_delay_alu instid0(SALU_CYCLE_1)
	s_and_not1_b32 vcc_lo, exec_lo, s0
	s_cbranch_vccnz .LBB297_1396
; %bb.1395:
	global_load_b32 v7, v[5:6], off
	s_waitcnt vmcnt(0)
	v_cvt_f32_f16_e32 v7, v7
	s_delay_alu instid0(VALU_DEP_1)
	v_cvt_i32_f32_e32 v10, v7
.LBB297_1396:
	s_mov_b32 s0, 0
.LBB297_1397:
	s_delay_alu instid0(SALU_CYCLE_1)
	s_and_not1_b32 vcc_lo, exec_lo, s0
	s_cbranch_vccnz .LBB297_1408
; %bb.1398:
	v_cmp_gt_i16_e32 vcc_lo, 6, v9
	s_cbranch_vccnz .LBB297_1401
; %bb.1399:
	v_cmp_lt_i16_e32 vcc_lo, 6, v9
	s_cbranch_vccz .LBB297_1402
; %bb.1400:
	global_load_b64 v[7:8], v[5:6], off
	s_mov_b32 s0, 0
	s_waitcnt vmcnt(0)
	v_cvt_i32_f64_e32 v10, v[7:8]
	s_branch .LBB297_1403
.LBB297_1401:
	s_mov_b32 s0, -1
                                        ; implicit-def: $vgpr10
	s_branch .LBB297_1406
.LBB297_1402:
	s_mov_b32 s0, -1
                                        ; implicit-def: $vgpr10
.LBB297_1403:
	s_delay_alu instid0(SALU_CYCLE_1)
	s_and_not1_b32 vcc_lo, exec_lo, s0
	s_cbranch_vccnz .LBB297_1405
; %bb.1404:
	global_load_b32 v7, v[5:6], off
	s_waitcnt vmcnt(0)
	v_cvt_i32_f32_e32 v10, v7
.LBB297_1405:
	s_mov_b32 s0, 0
.LBB297_1406:
	s_delay_alu instid0(SALU_CYCLE_1)
	s_and_not1_b32 vcc_lo, exec_lo, s0
	s_cbranch_vccnz .LBB297_1408
; %bb.1407:
	global_load_u16 v7, v[5:6], off
	s_waitcnt vmcnt(0)
	v_cvt_f32_f16_e32 v7, v7
	s_delay_alu instid0(VALU_DEP_1)
	v_cvt_i32_f32_e32 v10, v7
.LBB297_1408:
	s_mov_b32 s0, 0
.LBB297_1409:
	s_delay_alu instid0(SALU_CYCLE_1)
	s_and_not1_b32 vcc_lo, exec_lo, s0
	s_cbranch_vccnz .LBB297_1429
; %bb.1410:
	v_cmp_gt_i16_e32 vcc_lo, 2, v9
	s_cbranch_vccnz .LBB297_1414
; %bb.1411:
	v_cmp_gt_i16_e32 vcc_lo, 3, v9
	s_cbranch_vccnz .LBB297_1415
; %bb.1412:
	v_cmp_lt_i16_e32 vcc_lo, 3, v9
	s_cbranch_vccz .LBB297_1416
; %bb.1413:
	global_load_b32 v10, v[5:6], off
	s_mov_b32 s0, 0
	s_branch .LBB297_1417
.LBB297_1414:
	s_mov_b32 s0, -1
                                        ; implicit-def: $vgpr10
	s_branch .LBB297_1423
.LBB297_1415:
	s_mov_b32 s0, -1
                                        ; implicit-def: $vgpr10
	s_branch .LBB297_1420
.LBB297_1416:
	s_mov_b32 s0, -1
                                        ; implicit-def: $vgpr10
.LBB297_1417:
	s_delay_alu instid0(SALU_CYCLE_1)
	s_and_not1_b32 vcc_lo, exec_lo, s0
	s_cbranch_vccnz .LBB297_1419
; %bb.1418:
	global_load_b32 v10, v[5:6], off
.LBB297_1419:
	s_mov_b32 s0, 0
.LBB297_1420:
	s_delay_alu instid0(SALU_CYCLE_1)
	s_and_not1_b32 vcc_lo, exec_lo, s0
	s_cbranch_vccnz .LBB297_1422
; %bb.1421:
	global_load_i16 v10, v[5:6], off
.LBB297_1422:
	s_mov_b32 s0, 0
.LBB297_1423:
	s_delay_alu instid0(SALU_CYCLE_1)
	s_and_not1_b32 vcc_lo, exec_lo, s0
	s_cbranch_vccnz .LBB297_1429
; %bb.1424:
	v_cmp_lt_i16_e32 vcc_lo, 0, v9
	s_mov_b32 s0, 0
	s_cbranch_vccz .LBB297_1426
; %bb.1425:
	global_load_i8 v10, v[5:6], off
	s_branch .LBB297_1427
.LBB297_1426:
	s_mov_b32 s0, -1
                                        ; implicit-def: $vgpr10
.LBB297_1427:
	s_delay_alu instid0(SALU_CYCLE_1)
	s_and_not1_b32 vcc_lo, exec_lo, s0
	s_cbranch_vccnz .LBB297_1429
; %bb.1428:
	global_load_u8 v10, v[5:6], off
.LBB297_1429:
	s_branch .LBB297_1497
.LBB297_1430:
	s_trap 2
	s_sendmsg_rtn_b32 s0, sendmsg(MSG_RTN_GET_DOORBELL)
	s_mov_b32 ttmp2, m0
	s_waitcnt lgkmcnt(0)
	s_and_b32 s0, s0, 0x3ff
	s_delay_alu instid0(SALU_CYCLE_1) | instskip(NEXT) | instid1(SALU_CYCLE_1)
	s_bitset1_b32 s0, 10
	s_mov_b32 m0, s0
	s_sendmsg sendmsg(MSG_INTERRUPT)
	s_mov_b32 m0, ttmp2
.LBB297_1431:                           ; =>This Inner Loop Header: Depth=1
	s_sethalt 5
	s_branch .LBB297_1431
.LBB297_1432:
	s_mov_b32 s0, -1
.LBB297_1433:
                                        ; implicit-def: $vgpr10
.LBB297_1434:
	s_and_b32 vcc_lo, exec_lo, s10
	s_cbranch_vccz .LBB297_1438
; %bb.1435:
	v_cmp_eq_u16_e32 vcc_lo, 44, v9
	s_cbranch_vccz .LBB297_1437
; %bb.1436:
	global_load_u8 v7, v[5:6], off
	s_mov_b32 s0, 0
	s_mov_b32 s3, -1
	s_waitcnt vmcnt(0)
	v_lshlrev_b32_e32 v8, 23, v7
	v_cmp_ne_u32_e32 vcc_lo, 0, v7
	s_delay_alu instid0(VALU_DEP_2) | instskip(NEXT) | instid1(VALU_DEP_1)
	v_cvt_i32_f32_e32 v8, v8
	v_cndmask_b32_e32 v10, 0, v8, vcc_lo
	s_branch .LBB297_1438
.LBB297_1437:
	s_mov_b32 s0, -1
                                        ; implicit-def: $vgpr10
.LBB297_1438:
	s_mov_b32 s10, 0
.LBB297_1439:
	s_delay_alu instid0(SALU_CYCLE_1)
	s_and_b32 vcc_lo, exec_lo, s10
	s_cbranch_vccz .LBB297_1443
; %bb.1440:
	v_cmp_eq_u16_e32 vcc_lo, 29, v9
	s_cbranch_vccz .LBB297_1442
; %bb.1441:
	global_load_b32 v10, v[5:6], off
	s_mov_b32 s0, 0
	s_mov_b32 s3, -1
	s_branch .LBB297_1443
.LBB297_1442:
	s_mov_b32 s0, -1
                                        ; implicit-def: $vgpr10
.LBB297_1443:
	s_mov_b32 s10, 0
.LBB297_1444:
	s_delay_alu instid0(SALU_CYCLE_1)
	s_and_b32 vcc_lo, exec_lo, s10
	s_cbranch_vccz .LBB297_1460
; %bb.1445:
	v_cmp_gt_i16_e32 vcc_lo, 27, v9
	s_cbranch_vccnz .LBB297_1448
; %bb.1446:
	v_cmp_lt_i16_e32 vcc_lo, 27, v9
	s_cbranch_vccz .LBB297_1449
; %bb.1447:
	global_load_b32 v10, v[5:6], off
	s_mov_b32 s3, 0
	s_branch .LBB297_1450
.LBB297_1448:
	s_mov_b32 s3, -1
                                        ; implicit-def: $vgpr10
	s_branch .LBB297_1453
.LBB297_1449:
	s_mov_b32 s3, -1
                                        ; implicit-def: $vgpr10
.LBB297_1450:
	s_delay_alu instid0(SALU_CYCLE_1)
	s_and_not1_b32 vcc_lo, exec_lo, s3
	s_cbranch_vccnz .LBB297_1452
; %bb.1451:
	global_load_u16 v10, v[5:6], off
.LBB297_1452:
	s_mov_b32 s3, 0
.LBB297_1453:
	s_delay_alu instid0(SALU_CYCLE_1)
	s_and_not1_b32 vcc_lo, exec_lo, s3
	s_cbranch_vccnz .LBB297_1459
; %bb.1454:
	global_load_u8 v7, v[5:6], off
	s_mov_b32 s3, 0
	s_mov_b32 s10, exec_lo
                                        ; implicit-def: $sgpr11
	s_waitcnt vmcnt(0)
	v_cmpx_lt_i16_e32 0x7f, v7
	s_xor_b32 s10, exec_lo, s10
	s_cbranch_execz .LBB297_1471
; %bb.1455:
	v_cmp_ne_u16_e32 vcc_lo, 0x80, v7
	s_mov_b32 s11, 0
	s_and_b32 s3, vcc_lo, exec_lo
	s_or_saveexec_b32 s10, s10
	v_mov_b32_e32 v10, s11
	s_xor_b32 exec_lo, exec_lo, s10
	s_cbranch_execnz .LBB297_1472
.LBB297_1456:
	s_or_b32 exec_lo, exec_lo, s10
	s_and_saveexec_b32 s10, s3
	s_cbranch_execz .LBB297_1458
.LBB297_1457:
	v_and_b32_e32 v8, 0xffff, v7
	s_delay_alu instid0(VALU_DEP_1) | instskip(NEXT) | instid1(VALU_DEP_1)
	v_and_b32_e32 v10, 7, v8
	v_clz_i32_u32_e32 v13, v10
	s_delay_alu instid0(VALU_DEP_1) | instskip(NEXT) | instid1(VALU_DEP_1)
	v_min_u32_e32 v13, 32, v13
	v_subrev_nc_u32_e32 v14, 28, v13
	v_sub_nc_u32_e32 v13, 29, v13
	s_delay_alu instid0(VALU_DEP_2) | instskip(SKIP_1) | instid1(VALU_DEP_2)
	v_lshlrev_b32_e32 v14, v14, v8
	v_bfe_u32 v8, v8, 3, 4
	v_and_b32_e32 v14, 7, v14
	s_delay_alu instid0(VALU_DEP_2) | instskip(SKIP_1) | instid1(VALU_DEP_1)
	v_cmp_eq_u32_e32 vcc_lo, 0, v8
	v_dual_cndmask_b32 v8, v8, v13 :: v_dual_lshlrev_b32 v7, 24, v7
	v_dual_cndmask_b32 v10, v10, v14 :: v_dual_and_b32 v7, 0x80000000, v7
	s_delay_alu instid0(VALU_DEP_2) | instskip(NEXT) | instid1(VALU_DEP_2)
	v_lshl_add_u32 v8, v8, 23, 0x3b800000
	v_lshlrev_b32_e32 v10, 20, v10
	s_delay_alu instid0(VALU_DEP_1) | instskip(NEXT) | instid1(VALU_DEP_1)
	v_or3_b32 v7, v7, v8, v10
	v_cvt_i32_f32_e32 v10, v7
.LBB297_1458:
	s_or_b32 exec_lo, exec_lo, s10
.LBB297_1459:
	s_mov_b32 s3, -1
.LBB297_1460:
	s_mov_b32 s10, 0
.LBB297_1461:
	s_delay_alu instid0(SALU_CYCLE_1)
	s_and_b32 vcc_lo, exec_lo, s10
	s_cbranch_vccz .LBB297_1492
; %bb.1462:
	v_cmp_lt_i16_e32 vcc_lo, 22, v9
	s_cbranch_vccz .LBB297_1470
; %bb.1463:
	v_cmp_gt_i16_e32 vcc_lo, 24, v9
	s_cbranch_vccnz .LBB297_1473
; %bb.1464:
	v_cmp_lt_i16_e32 vcc_lo, 24, v9
	s_cbranch_vccz .LBB297_1474
; %bb.1465:
	global_load_u8 v7, v[5:6], off
	s_mov_b32 s3, exec_lo
                                        ; implicit-def: $sgpr10
	s_waitcnt vmcnt(0)
	v_cmpx_lt_i16_e32 0x7f, v7
	s_xor_b32 s3, exec_lo, s3
	s_cbranch_execz .LBB297_1486
; %bb.1466:
	v_cmp_ne_u16_e32 vcc_lo, 0x80, v7
	s_mov_b32 s10, 0
	s_and_b32 s2, vcc_lo, exec_lo
	s_or_saveexec_b32 s3, s3
	v_mov_b32_e32 v10, s10
	s_xor_b32 exec_lo, exec_lo, s3
	s_cbranch_execnz .LBB297_1487
.LBB297_1467:
	s_or_b32 exec_lo, exec_lo, s3
	s_and_saveexec_b32 s3, s2
	s_cbranch_execz .LBB297_1469
.LBB297_1468:
	v_and_b32_e32 v8, 0xffff, v7
	s_delay_alu instid0(VALU_DEP_1) | instskip(NEXT) | instid1(VALU_DEP_1)
	v_and_b32_e32 v10, 3, v8
	v_clz_i32_u32_e32 v13, v10
	s_delay_alu instid0(VALU_DEP_1) | instskip(NEXT) | instid1(VALU_DEP_1)
	v_min_u32_e32 v13, 32, v13
	v_subrev_nc_u32_e32 v14, 29, v13
	v_sub_nc_u32_e32 v13, 30, v13
	s_delay_alu instid0(VALU_DEP_2) | instskip(SKIP_1) | instid1(VALU_DEP_2)
	v_lshlrev_b32_e32 v14, v14, v8
	v_bfe_u32 v8, v8, 2, 5
	v_and_b32_e32 v14, 3, v14
	s_delay_alu instid0(VALU_DEP_2) | instskip(SKIP_1) | instid1(VALU_DEP_1)
	v_cmp_eq_u32_e32 vcc_lo, 0, v8
	v_dual_cndmask_b32 v8, v8, v13 :: v_dual_lshlrev_b32 v7, 24, v7
	v_dual_cndmask_b32 v10, v10, v14 :: v_dual_and_b32 v7, 0x80000000, v7
	s_delay_alu instid0(VALU_DEP_2) | instskip(NEXT) | instid1(VALU_DEP_2)
	v_lshl_add_u32 v8, v8, 23, 0x37800000
	v_lshlrev_b32_e32 v10, 21, v10
	s_delay_alu instid0(VALU_DEP_1) | instskip(NEXT) | instid1(VALU_DEP_1)
	v_or3_b32 v7, v7, v8, v10
	v_cvt_i32_f32_e32 v10, v7
.LBB297_1469:
	s_or_b32 exec_lo, exec_lo, s3
	s_mov_b32 s2, 0
	s_branch .LBB297_1475
.LBB297_1470:
	s_mov_b32 s2, -1
                                        ; implicit-def: $vgpr10
	s_branch .LBB297_1481
.LBB297_1471:
	s_or_saveexec_b32 s10, s10
	v_mov_b32_e32 v10, s11
	s_xor_b32 exec_lo, exec_lo, s10
	s_cbranch_execz .LBB297_1456
.LBB297_1472:
	v_cmp_ne_u16_e32 vcc_lo, 0, v7
	v_mov_b32_e32 v10, 0
	s_and_not1_b32 s3, s3, exec_lo
	s_and_b32 s11, vcc_lo, exec_lo
	s_delay_alu instid0(SALU_CYCLE_1)
	s_or_b32 s3, s3, s11
	s_or_b32 exec_lo, exec_lo, s10
	s_and_saveexec_b32 s10, s3
	s_cbranch_execnz .LBB297_1457
	s_branch .LBB297_1458
.LBB297_1473:
	s_mov_b32 s2, -1
                                        ; implicit-def: $vgpr10
	s_branch .LBB297_1478
.LBB297_1474:
	s_mov_b32 s2, -1
                                        ; implicit-def: $vgpr10
.LBB297_1475:
	s_delay_alu instid0(SALU_CYCLE_1)
	s_and_b32 vcc_lo, exec_lo, s2
	s_cbranch_vccz .LBB297_1477
; %bb.1476:
	global_load_u8 v7, v[5:6], off
	s_waitcnt vmcnt(0)
	v_lshlrev_b32_e32 v7, 24, v7
	s_delay_alu instid0(VALU_DEP_1) | instskip(NEXT) | instid1(VALU_DEP_1)
	v_and_b32_e32 v8, 0x7f000000, v7
	v_clz_i32_u32_e32 v10, v8
	v_add_nc_u32_e32 v14, 0x1000000, v8
	v_cmp_ne_u32_e32 vcc_lo, 0, v8
	s_delay_alu instid0(VALU_DEP_3) | instskip(NEXT) | instid1(VALU_DEP_1)
	v_min_u32_e32 v10, 32, v10
	v_sub_nc_u32_e64 v10, v10, 4 clamp
	s_delay_alu instid0(VALU_DEP_1) | instskip(SKIP_1) | instid1(VALU_DEP_2)
	v_lshlrev_b32_e32 v13, v10, v8
	v_lshlrev_b32_e32 v10, 23, v10
	v_lshrrev_b32_e32 v13, 4, v13
	s_delay_alu instid0(VALU_DEP_1) | instskip(SKIP_1) | instid1(VALU_DEP_2)
	v_sub_nc_u32_e32 v10, v13, v10
	v_ashrrev_i32_e32 v13, 8, v14
	v_add_nc_u32_e32 v10, 0x3c000000, v10
	s_delay_alu instid0(VALU_DEP_1) | instskip(NEXT) | instid1(VALU_DEP_1)
	v_and_or_b32 v10, 0x7f800000, v13, v10
	v_cndmask_b32_e32 v8, 0, v10, vcc_lo
	s_delay_alu instid0(VALU_DEP_1) | instskip(NEXT) | instid1(VALU_DEP_1)
	v_and_or_b32 v7, 0x80000000, v7, v8
	v_cvt_i32_f32_e32 v10, v7
.LBB297_1477:
	s_mov_b32 s2, 0
.LBB297_1478:
	s_delay_alu instid0(SALU_CYCLE_1)
	s_and_not1_b32 vcc_lo, exec_lo, s2
	s_cbranch_vccnz .LBB297_1480
; %bb.1479:
	global_load_u8 v7, v[5:6], off
	s_waitcnt vmcnt(0)
	v_lshlrev_b32_e32 v8, 25, v7
	v_lshlrev_b16 v7, 8, v7
	s_delay_alu instid0(VALU_DEP_1) | instskip(SKIP_1) | instid1(VALU_DEP_2)
	v_and_or_b32 v13, 0x7f00, v7, 0.5
	v_bfe_i32 v7, v7, 0, 16
	v_add_f32_e32 v13, -0.5, v13
	v_lshrrev_b32_e32 v10, 4, v8
	v_cmp_gt_u32_e32 vcc_lo, 0x8000000, v8
	s_delay_alu instid0(VALU_DEP_2) | instskip(NEXT) | instid1(VALU_DEP_1)
	v_or_b32_e32 v10, 0x70000000, v10
	v_mul_f32_e32 v10, 0x7800000, v10
	s_delay_alu instid0(VALU_DEP_1) | instskip(NEXT) | instid1(VALU_DEP_1)
	v_cndmask_b32_e32 v8, v10, v13, vcc_lo
	v_and_or_b32 v7, 0x80000000, v7, v8
	s_delay_alu instid0(VALU_DEP_1)
	v_cvt_i32_f32_e32 v10, v7
.LBB297_1480:
	s_mov_b32 s2, 0
	s_mov_b32 s3, -1
.LBB297_1481:
	s_and_not1_b32 vcc_lo, exec_lo, s2
	s_mov_b32 s2, 0
	s_cbranch_vccnz .LBB297_1492
; %bb.1482:
	v_cmp_lt_i16_e32 vcc_lo, 14, v9
	s_cbranch_vccz .LBB297_1485
; %bb.1483:
	v_cmp_eq_u16_e32 vcc_lo, 15, v9
	s_cbranch_vccz .LBB297_1488
; %bb.1484:
	global_load_u16 v7, v[5:6], off
	s_mov_b32 s0, 0
	s_mov_b32 s3, -1
	s_waitcnt vmcnt(0)
	v_lshlrev_b32_e32 v7, 16, v7
	s_delay_alu instid0(VALU_DEP_1)
	v_cvt_i32_f32_e32 v10, v7
	s_branch .LBB297_1490
.LBB297_1485:
	s_mov_b32 s2, -1
	s_branch .LBB297_1489
.LBB297_1486:
	s_or_saveexec_b32 s3, s3
	v_mov_b32_e32 v10, s10
	s_xor_b32 exec_lo, exec_lo, s3
	s_cbranch_execz .LBB297_1467
.LBB297_1487:
	v_cmp_ne_u16_e32 vcc_lo, 0, v7
	v_mov_b32_e32 v10, 0
	s_and_not1_b32 s2, s2, exec_lo
	s_and_b32 s10, vcc_lo, exec_lo
	s_delay_alu instid0(SALU_CYCLE_1)
	s_or_b32 s2, s2, s10
	s_or_b32 exec_lo, exec_lo, s3
	s_and_saveexec_b32 s3, s2
	s_cbranch_execnz .LBB297_1468
	s_branch .LBB297_1469
.LBB297_1488:
	s_mov_b32 s0, -1
.LBB297_1489:
                                        ; implicit-def: $vgpr10
.LBB297_1490:
	s_and_b32 vcc_lo, exec_lo, s2
	s_mov_b32 s2, 0
	s_cbranch_vccz .LBB297_1492
; %bb.1491:
	v_cmp_ne_u16_e64 s0, 11, v9
	s_mov_b32 s2, -1
                                        ; implicit-def: $vgpr10
.LBB297_1492:
	s_delay_alu instid0(VALU_DEP_1)
	s_and_b32 vcc_lo, exec_lo, s0
	s_cbranch_vccnz .LBB297_1508
; %bb.1493:
	s_and_not1_b32 vcc_lo, exec_lo, s2
	s_cbranch_vccnz .LBB297_1495
.LBB297_1494:
	global_load_u8 v7, v[5:6], off
	s_mov_b32 s3, -1
	s_waitcnt vmcnt(0)
	v_cmp_ne_u16_e32 vcc_lo, 0, v7
	v_cndmask_b32_e64 v10, 0, 1, vcc_lo
.LBB297_1495:
.LBB297_1496:
	s_and_not1_b32 vcc_lo, exec_lo, s3
	s_cbranch_vccnz .LBB297_2016
.LBB297_1497:
	v_cmp_gt_i16_e32 vcc_lo, 11, v9
	v_add_co_u32 v4, s0, s6, v4
	s_delay_alu instid0(VALU_DEP_1)
	v_add_co_ci_u32_e64 v5, null, s7, 0, s0
	s_mov_b32 s3, 0
	s_cbranch_vccnz .LBB297_1504
; %bb.1498:
	v_cmp_lt_i16_e32 vcc_lo, 25, v9
	s_mov_b32 s2, 0
	s_cbranch_vccz .LBB297_1505
; %bb.1499:
	v_cmp_lt_i16_e32 vcc_lo, 28, v9
	s_cbranch_vccz .LBB297_1506
; %bb.1500:
	v_cmp_lt_i16_e32 vcc_lo, 43, v9
	;; [unrolled: 3-line block ×3, first 2 shown]
	s_cbranch_vccz .LBB297_1510
; %bb.1502:
	v_cmp_eq_u16_e32 vcc_lo, 46, v9
	s_mov_b32 s6, 0
	s_cbranch_vccz .LBB297_1513
; %bb.1503:
	global_load_b32 v6, v[4:5], off
	s_mov_b32 s0, 0
	s_mov_b32 s3, -1
	s_waitcnt vmcnt(0)
	v_lshlrev_b32_e32 v6, 16, v6
	s_delay_alu instid0(VALU_DEP_1)
	v_cvt_i32_f32_e32 v8, v6
	s_branch .LBB297_1515
.LBB297_1504:
	s_mov_b32 s0, -1
                                        ; implicit-def: $vgpr8
	s_branch .LBB297_1577
.LBB297_1505:
	s_mov_b32 s6, -1
	s_mov_b32 s0, 0
                                        ; implicit-def: $vgpr8
	s_branch .LBB297_1542
.LBB297_1506:
	s_mov_b32 s6, -1
	s_mov_b32 s0, 0
                                        ; implicit-def: $vgpr8
	s_branch .LBB297_1525
.LBB297_1507:
	s_mov_b32 s6, -1
	s_mov_b32 s0, 0
                                        ; implicit-def: $vgpr8
	s_branch .LBB297_1520
.LBB297_1508:
	s_cbranch_execnz .LBB297_1511
; %bb.1509:
	s_or_b32 s1, s1, exec_lo
                                        ; implicit-def: $vgpr10
	s_cbranch_execz .LBB297_1494
	s_branch .LBB297_1495
.LBB297_1510:
	s_mov_b32 s6, -1
	s_mov_b32 s0, 0
	s_branch .LBB297_1514
.LBB297_1511:
	s_trap 2
	s_sendmsg_rtn_b32 s0, sendmsg(MSG_RTN_GET_DOORBELL)
	s_mov_b32 ttmp2, m0
	s_waitcnt lgkmcnt(0)
	s_and_b32 s0, s0, 0x3ff
	s_delay_alu instid0(SALU_CYCLE_1) | instskip(NEXT) | instid1(SALU_CYCLE_1)
	s_bitset1_b32 s0, 10
	s_mov_b32 m0, s0
	s_sendmsg sendmsg(MSG_INTERRUPT)
	s_mov_b32 m0, ttmp2
.LBB297_1512:                           ; =>This Inner Loop Header: Depth=1
	s_sethalt 5
	s_branch .LBB297_1512
.LBB297_1513:
	s_mov_b32 s0, -1
.LBB297_1514:
                                        ; implicit-def: $vgpr8
.LBB297_1515:
	s_and_b32 vcc_lo, exec_lo, s6
	s_cbranch_vccz .LBB297_1519
; %bb.1516:
	v_cmp_eq_u16_e32 vcc_lo, 44, v9
	s_cbranch_vccz .LBB297_1518
; %bb.1517:
	global_load_u8 v6, v[4:5], off
	s_mov_b32 s0, 0
	s_mov_b32 s3, -1
	s_waitcnt vmcnt(0)
	v_lshlrev_b32_e32 v7, 23, v6
	v_cmp_ne_u32_e32 vcc_lo, 0, v6
	s_delay_alu instid0(VALU_DEP_2) | instskip(NEXT) | instid1(VALU_DEP_1)
	v_cvt_i32_f32_e32 v7, v7
	v_cndmask_b32_e32 v8, 0, v7, vcc_lo
	s_branch .LBB297_1519
.LBB297_1518:
	s_mov_b32 s0, -1
                                        ; implicit-def: $vgpr8
.LBB297_1519:
	s_mov_b32 s6, 0
.LBB297_1520:
	s_delay_alu instid0(SALU_CYCLE_1)
	s_and_b32 vcc_lo, exec_lo, s6
	s_cbranch_vccz .LBB297_1524
; %bb.1521:
	v_cmp_eq_u16_e32 vcc_lo, 29, v9
	s_cbranch_vccz .LBB297_1523
; %bb.1522:
	global_load_b32 v8, v[4:5], off
	s_mov_b32 s0, 0
	s_mov_b32 s3, -1
	s_branch .LBB297_1524
.LBB297_1523:
	s_mov_b32 s0, -1
                                        ; implicit-def: $vgpr8
.LBB297_1524:
	s_mov_b32 s6, 0
.LBB297_1525:
	s_delay_alu instid0(SALU_CYCLE_1)
	s_and_b32 vcc_lo, exec_lo, s6
	s_cbranch_vccz .LBB297_1541
; %bb.1526:
	v_cmp_gt_i16_e32 vcc_lo, 27, v9
	s_cbranch_vccnz .LBB297_1529
; %bb.1527:
	v_cmp_lt_i16_e32 vcc_lo, 27, v9
	s_cbranch_vccz .LBB297_1530
; %bb.1528:
	global_load_b32 v8, v[4:5], off
	s_mov_b32 s3, 0
	s_branch .LBB297_1531
.LBB297_1529:
	s_mov_b32 s3, -1
                                        ; implicit-def: $vgpr8
	s_branch .LBB297_1534
.LBB297_1530:
	s_mov_b32 s3, -1
                                        ; implicit-def: $vgpr8
.LBB297_1531:
	s_delay_alu instid0(SALU_CYCLE_1)
	s_and_not1_b32 vcc_lo, exec_lo, s3
	s_cbranch_vccnz .LBB297_1533
; %bb.1532:
	global_load_u16 v8, v[4:5], off
.LBB297_1533:
	s_mov_b32 s3, 0
.LBB297_1534:
	s_delay_alu instid0(SALU_CYCLE_1)
	s_and_not1_b32 vcc_lo, exec_lo, s3
	s_cbranch_vccnz .LBB297_1540
; %bb.1535:
	global_load_u8 v6, v[4:5], off
	s_mov_b32 s3, 0
	s_mov_b32 s6, exec_lo
                                        ; implicit-def: $sgpr7
	s_waitcnt vmcnt(0)
	v_cmpx_lt_i16_e32 0x7f, v6
	s_xor_b32 s6, exec_lo, s6
	s_cbranch_execz .LBB297_1552
; %bb.1536:
	v_cmp_ne_u16_e32 vcc_lo, 0x80, v6
	s_mov_b32 s7, 0
	s_and_b32 s3, vcc_lo, exec_lo
	s_or_saveexec_b32 s6, s6
	v_mov_b32_e32 v8, s7
	s_xor_b32 exec_lo, exec_lo, s6
	s_cbranch_execnz .LBB297_1553
.LBB297_1537:
	s_or_b32 exec_lo, exec_lo, s6
	s_and_saveexec_b32 s6, s3
	s_cbranch_execz .LBB297_1539
.LBB297_1538:
	v_and_b32_e32 v7, 0xffff, v6
	v_lshlrev_b32_e32 v6, 24, v6
	s_delay_alu instid0(VALU_DEP_2) | instskip(NEXT) | instid1(VALU_DEP_2)
	v_and_b32_e32 v8, 7, v7
	v_and_b32_e32 v6, 0x80000000, v6
	s_delay_alu instid0(VALU_DEP_2) | instskip(NEXT) | instid1(VALU_DEP_1)
	v_clz_i32_u32_e32 v13, v8
	v_min_u32_e32 v13, 32, v13
	s_delay_alu instid0(VALU_DEP_1) | instskip(SKIP_1) | instid1(VALU_DEP_2)
	v_subrev_nc_u32_e32 v14, 28, v13
	v_sub_nc_u32_e32 v13, 29, v13
	v_lshlrev_b32_e32 v14, v14, v7
	v_bfe_u32 v7, v7, 3, 4
	s_delay_alu instid0(VALU_DEP_2) | instskip(NEXT) | instid1(VALU_DEP_2)
	v_and_b32_e32 v14, 7, v14
	v_cmp_eq_u32_e32 vcc_lo, 0, v7
	s_delay_alu instid0(VALU_DEP_2) | instskip(NEXT) | instid1(VALU_DEP_1)
	v_dual_cndmask_b32 v7, v7, v13 :: v_dual_cndmask_b32 v8, v8, v14
	v_lshl_add_u32 v7, v7, 23, 0x3b800000
	s_delay_alu instid0(VALU_DEP_2) | instskip(NEXT) | instid1(VALU_DEP_1)
	v_lshlrev_b32_e32 v8, 20, v8
	v_or3_b32 v6, v6, v7, v8
	s_delay_alu instid0(VALU_DEP_1)
	v_cvt_i32_f32_e32 v8, v6
.LBB297_1539:
	s_or_b32 exec_lo, exec_lo, s6
.LBB297_1540:
	s_mov_b32 s3, -1
.LBB297_1541:
	s_mov_b32 s6, 0
.LBB297_1542:
	s_delay_alu instid0(SALU_CYCLE_1)
	s_and_b32 vcc_lo, exec_lo, s6
	s_cbranch_vccz .LBB297_1573
; %bb.1543:
	v_cmp_lt_i16_e32 vcc_lo, 22, v9
	s_cbranch_vccz .LBB297_1551
; %bb.1544:
	v_cmp_gt_i16_e32 vcc_lo, 24, v9
	s_cbranch_vccnz .LBB297_1554
; %bb.1545:
	v_cmp_lt_i16_e32 vcc_lo, 24, v9
	s_cbranch_vccz .LBB297_1555
; %bb.1546:
	global_load_u8 v6, v[4:5], off
	s_mov_b32 s3, exec_lo
                                        ; implicit-def: $sgpr6
	s_waitcnt vmcnt(0)
	v_cmpx_lt_i16_e32 0x7f, v6
	s_xor_b32 s3, exec_lo, s3
	s_cbranch_execz .LBB297_1567
; %bb.1547:
	v_cmp_ne_u16_e32 vcc_lo, 0x80, v6
	s_mov_b32 s6, 0
	s_and_b32 s2, vcc_lo, exec_lo
	s_or_saveexec_b32 s3, s3
	v_mov_b32_e32 v8, s6
	s_xor_b32 exec_lo, exec_lo, s3
	s_cbranch_execnz .LBB297_1568
.LBB297_1548:
	s_or_b32 exec_lo, exec_lo, s3
	s_and_saveexec_b32 s3, s2
	s_cbranch_execz .LBB297_1550
.LBB297_1549:
	v_and_b32_e32 v7, 0xffff, v6
	v_lshlrev_b32_e32 v6, 24, v6
	s_delay_alu instid0(VALU_DEP_2) | instskip(NEXT) | instid1(VALU_DEP_2)
	v_and_b32_e32 v8, 3, v7
	v_and_b32_e32 v6, 0x80000000, v6
	s_delay_alu instid0(VALU_DEP_2) | instskip(NEXT) | instid1(VALU_DEP_1)
	v_clz_i32_u32_e32 v13, v8
	v_min_u32_e32 v13, 32, v13
	s_delay_alu instid0(VALU_DEP_1) | instskip(SKIP_1) | instid1(VALU_DEP_2)
	v_subrev_nc_u32_e32 v14, 29, v13
	v_sub_nc_u32_e32 v13, 30, v13
	v_lshlrev_b32_e32 v14, v14, v7
	v_bfe_u32 v7, v7, 2, 5
	s_delay_alu instid0(VALU_DEP_2) | instskip(NEXT) | instid1(VALU_DEP_2)
	v_and_b32_e32 v14, 3, v14
	v_cmp_eq_u32_e32 vcc_lo, 0, v7
	s_delay_alu instid0(VALU_DEP_2) | instskip(NEXT) | instid1(VALU_DEP_1)
	v_dual_cndmask_b32 v7, v7, v13 :: v_dual_cndmask_b32 v8, v8, v14
	v_lshl_add_u32 v7, v7, 23, 0x37800000
	s_delay_alu instid0(VALU_DEP_2) | instskip(NEXT) | instid1(VALU_DEP_1)
	v_lshlrev_b32_e32 v8, 21, v8
	v_or3_b32 v6, v6, v7, v8
	s_delay_alu instid0(VALU_DEP_1)
	v_cvt_i32_f32_e32 v8, v6
.LBB297_1550:
	s_or_b32 exec_lo, exec_lo, s3
	s_mov_b32 s2, 0
	s_branch .LBB297_1556
.LBB297_1551:
	s_mov_b32 s2, -1
                                        ; implicit-def: $vgpr8
	s_branch .LBB297_1562
.LBB297_1552:
	s_or_saveexec_b32 s6, s6
	v_mov_b32_e32 v8, s7
	s_xor_b32 exec_lo, exec_lo, s6
	s_cbranch_execz .LBB297_1537
.LBB297_1553:
	v_cmp_ne_u16_e32 vcc_lo, 0, v6
	v_mov_b32_e32 v8, 0
	s_and_not1_b32 s3, s3, exec_lo
	s_and_b32 s7, vcc_lo, exec_lo
	s_delay_alu instid0(SALU_CYCLE_1)
	s_or_b32 s3, s3, s7
	s_or_b32 exec_lo, exec_lo, s6
	s_and_saveexec_b32 s6, s3
	s_cbranch_execnz .LBB297_1538
	s_branch .LBB297_1539
.LBB297_1554:
	s_mov_b32 s2, -1
                                        ; implicit-def: $vgpr8
	s_branch .LBB297_1559
.LBB297_1555:
	s_mov_b32 s2, -1
                                        ; implicit-def: $vgpr8
.LBB297_1556:
	s_delay_alu instid0(SALU_CYCLE_1)
	s_and_b32 vcc_lo, exec_lo, s2
	s_cbranch_vccz .LBB297_1558
; %bb.1557:
	global_load_u8 v6, v[4:5], off
	s_waitcnt vmcnt(0)
	v_lshlrev_b32_e32 v6, 24, v6
	s_delay_alu instid0(VALU_DEP_1) | instskip(NEXT) | instid1(VALU_DEP_1)
	v_and_b32_e32 v7, 0x7f000000, v6
	v_clz_i32_u32_e32 v8, v7
	v_add_nc_u32_e32 v14, 0x1000000, v7
	v_cmp_ne_u32_e32 vcc_lo, 0, v7
	s_delay_alu instid0(VALU_DEP_3) | instskip(NEXT) | instid1(VALU_DEP_1)
	v_min_u32_e32 v8, 32, v8
	v_sub_nc_u32_e64 v8, v8, 4 clamp
	s_delay_alu instid0(VALU_DEP_1) | instskip(SKIP_1) | instid1(VALU_DEP_2)
	v_lshlrev_b32_e32 v13, v8, v7
	v_lshlrev_b32_e32 v8, 23, v8
	v_lshrrev_b32_e32 v13, 4, v13
	s_delay_alu instid0(VALU_DEP_1) | instskip(SKIP_1) | instid1(VALU_DEP_2)
	v_sub_nc_u32_e32 v8, v13, v8
	v_ashrrev_i32_e32 v13, 8, v14
	v_add_nc_u32_e32 v8, 0x3c000000, v8
	s_delay_alu instid0(VALU_DEP_1) | instskip(NEXT) | instid1(VALU_DEP_1)
	v_and_or_b32 v8, 0x7f800000, v13, v8
	v_cndmask_b32_e32 v7, 0, v8, vcc_lo
	s_delay_alu instid0(VALU_DEP_1) | instskip(NEXT) | instid1(VALU_DEP_1)
	v_and_or_b32 v6, 0x80000000, v6, v7
	v_cvt_i32_f32_e32 v8, v6
.LBB297_1558:
	s_mov_b32 s2, 0
.LBB297_1559:
	s_delay_alu instid0(SALU_CYCLE_1)
	s_and_not1_b32 vcc_lo, exec_lo, s2
	s_cbranch_vccnz .LBB297_1561
; %bb.1560:
	global_load_u8 v6, v[4:5], off
	s_waitcnt vmcnt(0)
	v_lshlrev_b32_e32 v7, 25, v6
	v_lshlrev_b16 v6, 8, v6
	s_delay_alu instid0(VALU_DEP_2) | instskip(NEXT) | instid1(VALU_DEP_2)
	v_lshrrev_b32_e32 v8, 4, v7
	v_and_or_b32 v13, 0x7f00, v6, 0.5
	v_bfe_i32 v6, v6, 0, 16
	s_delay_alu instid0(VALU_DEP_3) | instskip(NEXT) | instid1(VALU_DEP_1)
	v_or_b32_e32 v8, 0x70000000, v8
	v_dual_add_f32 v13, -0.5, v13 :: v_dual_mul_f32 v8, 0x7800000, v8
	v_cmp_gt_u32_e32 vcc_lo, 0x8000000, v7
	s_delay_alu instid0(VALU_DEP_2) | instskip(NEXT) | instid1(VALU_DEP_1)
	v_cndmask_b32_e32 v7, v8, v13, vcc_lo
	v_and_or_b32 v6, 0x80000000, v6, v7
	s_delay_alu instid0(VALU_DEP_1)
	v_cvt_i32_f32_e32 v8, v6
.LBB297_1561:
	s_mov_b32 s2, 0
	s_mov_b32 s3, -1
.LBB297_1562:
	s_and_not1_b32 vcc_lo, exec_lo, s2
	s_mov_b32 s2, 0
	s_cbranch_vccnz .LBB297_1573
; %bb.1563:
	v_cmp_lt_i16_e32 vcc_lo, 14, v9
	s_cbranch_vccz .LBB297_1566
; %bb.1564:
	v_cmp_eq_u16_e32 vcc_lo, 15, v9
	s_cbranch_vccz .LBB297_1569
; %bb.1565:
	global_load_u16 v6, v[4:5], off
	s_mov_b32 s0, 0
	s_mov_b32 s3, -1
	s_waitcnt vmcnt(0)
	v_lshlrev_b32_e32 v6, 16, v6
	s_delay_alu instid0(VALU_DEP_1)
	v_cvt_i32_f32_e32 v8, v6
	s_branch .LBB297_1571
.LBB297_1566:
	s_mov_b32 s2, -1
	s_branch .LBB297_1570
.LBB297_1567:
	s_or_saveexec_b32 s3, s3
	v_mov_b32_e32 v8, s6
	s_xor_b32 exec_lo, exec_lo, s3
	s_cbranch_execz .LBB297_1548
.LBB297_1568:
	v_cmp_ne_u16_e32 vcc_lo, 0, v6
	v_mov_b32_e32 v8, 0
	s_and_not1_b32 s2, s2, exec_lo
	s_and_b32 s6, vcc_lo, exec_lo
	s_delay_alu instid0(SALU_CYCLE_1)
	s_or_b32 s2, s2, s6
	s_or_b32 exec_lo, exec_lo, s3
	s_and_saveexec_b32 s3, s2
	s_cbranch_execnz .LBB297_1549
	s_branch .LBB297_1550
.LBB297_1569:
	s_mov_b32 s0, -1
.LBB297_1570:
                                        ; implicit-def: $vgpr8
.LBB297_1571:
	s_and_b32 vcc_lo, exec_lo, s2
	s_mov_b32 s2, 0
	s_cbranch_vccz .LBB297_1573
; %bb.1572:
	v_cmp_ne_u16_e64 s0, 11, v9
	s_mov_b32 s2, -1
                                        ; implicit-def: $vgpr8
.LBB297_1573:
	s_delay_alu instid0(VALU_DEP_1)
	s_and_b32 vcc_lo, exec_lo, s0
	s_cbranch_vccnz .LBB297_1636
; %bb.1574:
	s_and_not1_b32 vcc_lo, exec_lo, s2
	s_cbranch_vccnz .LBB297_1576
.LBB297_1575:
	global_load_u8 v6, v[4:5], off
	s_mov_b32 s3, -1
	s_waitcnt vmcnt(0)
	v_cmp_ne_u16_e32 vcc_lo, 0, v6
	v_cndmask_b32_e64 v8, 0, 1, vcc_lo
.LBB297_1576:
	s_mov_b32 s0, 0
.LBB297_1577:
	s_delay_alu instid0(SALU_CYCLE_1)
	s_and_b32 vcc_lo, exec_lo, s0
	s_cbranch_vccz .LBB297_1626
; %bb.1578:
	v_cmp_gt_i16_e32 vcc_lo, 5, v9
	s_cbranch_vccnz .LBB297_1583
; %bb.1579:
	v_cmp_gt_i16_e32 vcc_lo, 8, v9
	s_cbranch_vccnz .LBB297_1584
; %bb.1580:
	v_cmp_gt_i16_e32 vcc_lo, 9, v9
	s_cbranch_vccnz .LBB297_1585
; %bb.1581:
	v_cmp_lt_i16_e32 vcc_lo, 9, v9
	s_cbranch_vccz .LBB297_1586
; %bb.1582:
	global_load_b64 v[6:7], v[4:5], off
	s_mov_b32 s0, 0
	s_waitcnt vmcnt(0)
	v_cvt_i32_f64_e32 v8, v[6:7]
	s_branch .LBB297_1587
.LBB297_1583:
	s_mov_b32 s0, -1
                                        ; implicit-def: $vgpr8
	s_branch .LBB297_1605
.LBB297_1584:
	s_mov_b32 s0, -1
                                        ; implicit-def: $vgpr8
	s_branch .LBB297_1593
.LBB297_1585:
	s_mov_b32 s0, -1
                                        ; implicit-def: $vgpr8
	s_branch .LBB297_1590
.LBB297_1586:
	s_mov_b32 s0, -1
                                        ; implicit-def: $vgpr8
.LBB297_1587:
	s_delay_alu instid0(SALU_CYCLE_1)
	s_and_not1_b32 vcc_lo, exec_lo, s0
	s_cbranch_vccnz .LBB297_1589
; %bb.1588:
	global_load_b32 v6, v[4:5], off
	s_waitcnt vmcnt(0)
	v_cvt_i32_f32_e32 v8, v6
.LBB297_1589:
	s_mov_b32 s0, 0
.LBB297_1590:
	s_delay_alu instid0(SALU_CYCLE_1)
	s_and_not1_b32 vcc_lo, exec_lo, s0
	s_cbranch_vccnz .LBB297_1592
; %bb.1591:
	global_load_b32 v6, v[4:5], off
	s_waitcnt vmcnt(0)
	v_cvt_f32_f16_e32 v6, v6
	s_delay_alu instid0(VALU_DEP_1)
	v_cvt_i32_f32_e32 v8, v6
.LBB297_1592:
	s_mov_b32 s0, 0
.LBB297_1593:
	s_delay_alu instid0(SALU_CYCLE_1)
	s_and_not1_b32 vcc_lo, exec_lo, s0
	s_cbranch_vccnz .LBB297_1604
; %bb.1594:
	v_cmp_gt_i16_e32 vcc_lo, 6, v9
	s_cbranch_vccnz .LBB297_1597
; %bb.1595:
	v_cmp_lt_i16_e32 vcc_lo, 6, v9
	s_cbranch_vccz .LBB297_1598
; %bb.1596:
	global_load_b64 v[6:7], v[4:5], off
	s_mov_b32 s0, 0
	s_waitcnt vmcnt(0)
	v_cvt_i32_f64_e32 v8, v[6:7]
	s_branch .LBB297_1599
.LBB297_1597:
	s_mov_b32 s0, -1
                                        ; implicit-def: $vgpr8
	s_branch .LBB297_1602
.LBB297_1598:
	s_mov_b32 s0, -1
                                        ; implicit-def: $vgpr8
.LBB297_1599:
	s_delay_alu instid0(SALU_CYCLE_1)
	s_and_not1_b32 vcc_lo, exec_lo, s0
	s_cbranch_vccnz .LBB297_1601
; %bb.1600:
	global_load_b32 v6, v[4:5], off
	s_waitcnt vmcnt(0)
	v_cvt_i32_f32_e32 v8, v6
.LBB297_1601:
	s_mov_b32 s0, 0
.LBB297_1602:
	s_delay_alu instid0(SALU_CYCLE_1)
	s_and_not1_b32 vcc_lo, exec_lo, s0
	s_cbranch_vccnz .LBB297_1604
; %bb.1603:
	global_load_u16 v6, v[4:5], off
	s_waitcnt vmcnt(0)
	v_cvt_f32_f16_e32 v6, v6
	s_delay_alu instid0(VALU_DEP_1)
	v_cvt_i32_f32_e32 v8, v6
.LBB297_1604:
	s_mov_b32 s0, 0
.LBB297_1605:
	s_delay_alu instid0(SALU_CYCLE_1)
	s_and_not1_b32 vcc_lo, exec_lo, s0
	s_cbranch_vccnz .LBB297_1625
; %bb.1606:
	v_cmp_gt_i16_e32 vcc_lo, 2, v9
	s_cbranch_vccnz .LBB297_1610
; %bb.1607:
	v_cmp_gt_i16_e32 vcc_lo, 3, v9
	s_cbranch_vccnz .LBB297_1611
; %bb.1608:
	v_cmp_lt_i16_e32 vcc_lo, 3, v9
	s_cbranch_vccz .LBB297_1612
; %bb.1609:
	global_load_b32 v8, v[4:5], off
	s_mov_b32 s0, 0
	s_branch .LBB297_1613
.LBB297_1610:
	s_mov_b32 s0, -1
                                        ; implicit-def: $vgpr8
	s_branch .LBB297_1619
.LBB297_1611:
	s_mov_b32 s0, -1
                                        ; implicit-def: $vgpr8
	s_branch .LBB297_1616
.LBB297_1612:
	s_mov_b32 s0, -1
                                        ; implicit-def: $vgpr8
.LBB297_1613:
	s_delay_alu instid0(SALU_CYCLE_1)
	s_and_not1_b32 vcc_lo, exec_lo, s0
	s_cbranch_vccnz .LBB297_1615
; %bb.1614:
	global_load_b32 v8, v[4:5], off
.LBB297_1615:
	s_mov_b32 s0, 0
.LBB297_1616:
	s_delay_alu instid0(SALU_CYCLE_1)
	s_and_not1_b32 vcc_lo, exec_lo, s0
	s_cbranch_vccnz .LBB297_1618
; %bb.1617:
	global_load_i16 v8, v[4:5], off
.LBB297_1618:
	s_mov_b32 s0, 0
.LBB297_1619:
	s_delay_alu instid0(SALU_CYCLE_1)
	s_and_not1_b32 vcc_lo, exec_lo, s0
	s_cbranch_vccnz .LBB297_1625
; %bb.1620:
	v_cmp_lt_i16_e32 vcc_lo, 0, v9
	s_mov_b32 s0, 0
	s_cbranch_vccz .LBB297_1622
; %bb.1621:
	global_load_i8 v8, v[4:5], off
	s_branch .LBB297_1623
.LBB297_1622:
	s_mov_b32 s0, -1
                                        ; implicit-def: $vgpr8
.LBB297_1623:
	s_delay_alu instid0(SALU_CYCLE_1)
	s_and_not1_b32 vcc_lo, exec_lo, s0
	s_cbranch_vccnz .LBB297_1625
; %bb.1624:
	global_load_u8 v8, v[4:5], off
.LBB297_1625:
	s_mov_b32 s3, -1
.LBB297_1626:
	s_delay_alu instid0(SALU_CYCLE_1)
	s_and_not1_b32 vcc_lo, exec_lo, s3
	s_cbranch_vccnz .LBB297_2016
; %bb.1627:
	s_clause 0x1
	s_load_b32 s0, s[16:17], 0x160
	s_load_b64 s[2:3], s[16:17], 0x158
	v_add_co_u32 v6, s7, s4, v3
	s_delay_alu instid0(VALU_DEP_1)
	v_add_co_ci_u32_e64 v7, null, s5, 0, s7
	s_mov_b32 s10, 0
	s_waitcnt lgkmcnt(0)
	s_and_b32 s6, s0, 0xff
	v_maxmin_i32 v4, v12, s2, s3
	v_cmp_lt_i16_e64 s0, s6, 11
	s_delay_alu instid0(VALU_DEP_1)
	s_and_b32 vcc_lo, exec_lo, s0
	s_mov_b32 s0, -1
	s_cbranch_vccnz .LBB297_1710
; %bb.1628:
	v_cmp_gt_i16_e64 s0, s6, 25
	s_mov_b32 s11, -1
	s_mov_b32 s7, 0
	s_delay_alu instid0(VALU_DEP_1)
	s_and_b32 vcc_lo, exec_lo, s0
	s_mov_b32 s0, 0
	s_cbranch_vccz .LBB297_1666
; %bb.1629:
	v_cmp_gt_i16_e64 s0, s6, 28
	s_delay_alu instid0(VALU_DEP_1)
	s_and_b32 vcc_lo, exec_lo, s0
	s_cbranch_vccz .LBB297_1634
; %bb.1630:
	v_cmp_gt_i16_e64 s0, s6, 43
	s_delay_alu instid0(VALU_DEP_1)
	s_and_b32 vcc_lo, exec_lo, s0
	;; [unrolled: 5-line block ×3, first 2 shown]
	s_cbranch_vccz .LBB297_1638
; %bb.1632:
	v_cmp_eq_u16_e64 s10, s6, 46
	s_mov_b32 s0, -1
	s_mov_b32 s11, 0
	s_delay_alu instid0(VALU_DEP_1)
	s_and_b32 vcc_lo, exec_lo, s10
	s_mov_b32 s10, 0
	s_cbranch_vccz .LBB297_1639
; %bb.1633:
	v_cvt_f32_i32_e32 v3, v4
	s_mov_b32 s0, 0
	s_mov_b32 s10, -1
	s_delay_alu instid0(VALU_DEP_1) | instskip(NEXT) | instid1(VALU_DEP_1)
	v_bfe_u32 v5, v3, 16, 1
	v_add3_u32 v3, v3, v5, 0x7fff
	s_delay_alu instid0(VALU_DEP_1)
	v_lshrrev_b32_e32 v3, 16, v3
	global_store_b32 v[6:7], v3, off
	s_branch .LBB297_1639
.LBB297_1634:
	s_mov_b32 s0, 0
	s_branch .LBB297_1649
.LBB297_1635:
	s_mov_b32 s0, 0
	s_branch .LBB297_1645
.LBB297_1636:
	s_cbranch_execnz .LBB297_1761
; %bb.1637:
	s_or_b32 s1, s1, exec_lo
                                        ; implicit-def: $vgpr8
	s_cbranch_execz .LBB297_1575
	s_branch .LBB297_1576
.LBB297_1638:
	s_mov_b32 s0, 0
.LBB297_1639:
	s_and_b32 vcc_lo, exec_lo, s11
	s_cbranch_vccz .LBB297_1644
; %bb.1640:
	v_cmp_eq_u16_e64 s0, s6, 44
	s_delay_alu instid0(VALU_DEP_1)
	s_and_b32 vcc_lo, exec_lo, s0
	s_mov_b32 s0, -1
	s_cbranch_vccz .LBB297_1644
; %bb.1641:
	v_cvt_f32_i32_e32 v3, v4
	v_mov_b32_e32 v5, 0xff
	s_mov_b32 s10, exec_lo
	s_delay_alu instid0(VALU_DEP_2) | instskip(NEXT) | instid1(VALU_DEP_1)
	v_bfe_u32 v9, v3, 23, 8
	v_cmpx_ne_u32_e32 0xff, v9
; %bb.1642:
	v_and_b32_e32 v5, 0x400000, v3
	v_and_or_b32 v9, 0x3fffff, v3, v9
	v_lshrrev_b32_e32 v3, 23, v3
	s_delay_alu instid0(VALU_DEP_3) | instskip(NEXT) | instid1(VALU_DEP_3)
	v_cmp_ne_u32_e32 vcc_lo, 0, v5
	v_cmp_ne_u32_e64 s0, 0, v9
	s_delay_alu instid0(VALU_DEP_1) | instskip(NEXT) | instid1(SALU_CYCLE_1)
	s_and_b32 s0, vcc_lo, s0
	v_cndmask_b32_e64 v5, 0, 1, s0
	s_delay_alu instid0(VALU_DEP_1)
	v_add_nc_u32_e32 v5, v3, v5
; %bb.1643:
	s_or_b32 exec_lo, exec_lo, s10
	s_mov_b32 s0, 0
	s_mov_b32 s10, -1
	global_store_b8 v[6:7], v5, off
.LBB297_1644:
	s_mov_b32 s11, 0
.LBB297_1645:
	s_delay_alu instid0(SALU_CYCLE_1)
	s_and_b32 vcc_lo, exec_lo, s11
	s_cbranch_vccz .LBB297_1648
; %bb.1646:
	v_cmp_eq_u16_e64 s0, s6, 29
	s_delay_alu instid0(VALU_DEP_1)
	s_and_b32 vcc_lo, exec_lo, s0
	s_mov_b32 s0, -1
	s_cbranch_vccz .LBB297_1648
; %bb.1647:
	v_ashrrev_i32_e32 v5, 31, v4
	s_mov_b32 s0, 0
	s_mov_b32 s10, -1
	s_mov_b32 s11, 0
	global_store_b64 v[6:7], v[4:5], off
	s_branch .LBB297_1649
.LBB297_1648:
	s_mov_b32 s11, 0
.LBB297_1649:
	s_delay_alu instid0(SALU_CYCLE_1)
	s_and_b32 vcc_lo, exec_lo, s11
	s_cbranch_vccz .LBB297_1665
; %bb.1650:
	v_cmp_lt_i16_e64 s10, s6, 27
	s_delay_alu instid0(VALU_DEP_1)
	s_and_b32 vcc_lo, exec_lo, s10
	s_mov_b32 s10, -1
	s_cbranch_vccnz .LBB297_1656
; %bb.1651:
	v_cmp_gt_i16_e64 s10, s6, 27
	s_delay_alu instid0(VALU_DEP_1)
	s_and_b32 vcc_lo, exec_lo, s10
	s_mov_b32 s10, -1
	s_cbranch_vccz .LBB297_1653
; %bb.1652:
	s_mov_b32 s10, 0
	global_store_b32 v[6:7], v4, off
.LBB297_1653:
	s_and_not1_b32 vcc_lo, exec_lo, s10
	s_cbranch_vccnz .LBB297_1655
; %bb.1654:
	global_store_b16 v[6:7], v4, off
.LBB297_1655:
	s_mov_b32 s10, 0
.LBB297_1656:
	s_delay_alu instid0(SALU_CYCLE_1)
	s_and_not1_b32 vcc_lo, exec_lo, s10
	s_cbranch_vccnz .LBB297_1664
; %bb.1657:
	v_cvt_f32_i32_e32 v3, v4
	v_mov_b32_e32 v9, 0x80
	s_mov_b32 s10, exec_lo
	s_delay_alu instid0(VALU_DEP_2) | instskip(NEXT) | instid1(VALU_DEP_1)
	v_and_b32_e32 v5, 0x7fffffff, v3
	v_cmpx_gt_u32_e32 0x43800000, v5
	s_cbranch_execz .LBB297_1663
; %bb.1658:
	v_cmp_lt_u32_e32 vcc_lo, 0x3bffffff, v5
	s_mov_b32 s11, 0
                                        ; implicit-def: $vgpr5
	s_and_saveexec_b32 s12, vcc_lo
	s_delay_alu instid0(SALU_CYCLE_1)
	s_xor_b32 s12, exec_lo, s12
	s_cbranch_execz .LBB297_1758
; %bb.1659:
	v_bfe_u32 v5, v3, 20, 1
	s_mov_b32 s11, exec_lo
	s_delay_alu instid0(VALU_DEP_1) | instskip(NEXT) | instid1(VALU_DEP_1)
	v_add3_u32 v5, v3, v5, 0x487ffff
	v_lshrrev_b32_e32 v5, 20, v5
	s_or_saveexec_b32 s12, s12
                                        ; implicit-def: $sgpr13
	s_delay_alu instid0(SALU_CYCLE_1)
	s_xor_b32 exec_lo, exec_lo, s12
	s_cbranch_execnz .LBB297_1759
.LBB297_1660:
	s_or_b32 exec_lo, exec_lo, s12
	v_mov_b32_e32 v9, s13
	s_and_saveexec_b32 s12, s11
.LBB297_1661:
	v_lshrrev_b32_e32 v3, 24, v3
	s_delay_alu instid0(VALU_DEP_1)
	v_and_or_b32 v9, 0x80, v3, v5
.LBB297_1662:
	s_or_b32 exec_lo, exec_lo, s12
.LBB297_1663:
	s_delay_alu instid0(SALU_CYCLE_1)
	s_or_b32 exec_lo, exec_lo, s10
	global_store_b8 v[6:7], v9, off
.LBB297_1664:
	s_mov_b32 s10, -1
.LBB297_1665:
	s_mov_b32 s11, 0
.LBB297_1666:
	s_delay_alu instid0(SALU_CYCLE_1)
	s_and_b32 vcc_lo, exec_lo, s11
	s_cbranch_vccz .LBB297_1706
; %bb.1667:
	v_cmp_gt_i16_e64 s7, s6, 22
	s_delay_alu instid0(VALU_DEP_1)
	s_and_b32 vcc_lo, exec_lo, s7
	s_mov_b32 s7, -1
	s_cbranch_vccz .LBB297_1699
; %bb.1668:
	v_cmp_lt_i16_e64 s7, s6, 24
	s_delay_alu instid0(VALU_DEP_1)
	s_and_b32 vcc_lo, exec_lo, s7
	s_mov_b32 s7, -1
	s_cbranch_vccnz .LBB297_1688
; %bb.1669:
	v_cmp_gt_i16_e64 s7, s6, 24
	s_delay_alu instid0(VALU_DEP_1)
	s_and_b32 vcc_lo, exec_lo, s7
	s_mov_b32 s7, -1
	s_cbranch_vccz .LBB297_1677
; %bb.1670:
	v_cvt_f32_i32_e32 v3, v4
	v_mov_b32_e32 v9, 0x80
	s_mov_b32 s7, exec_lo
	s_delay_alu instid0(VALU_DEP_2) | instskip(NEXT) | instid1(VALU_DEP_1)
	v_and_b32_e32 v5, 0x7fffffff, v3
	v_cmpx_gt_u32_e32 0x47800000, v5
	s_cbranch_execz .LBB297_1676
; %bb.1671:
	v_cmp_lt_u32_e32 vcc_lo, 0x37ffffff, v5
	s_mov_b32 s10, 0
                                        ; implicit-def: $vgpr5
	s_and_saveexec_b32 s11, vcc_lo
	s_delay_alu instid0(SALU_CYCLE_1)
	s_xor_b32 s11, exec_lo, s11
	s_cbranch_execz .LBB297_1765
; %bb.1672:
	v_bfe_u32 v5, v3, 21, 1
	s_mov_b32 s10, exec_lo
	s_delay_alu instid0(VALU_DEP_1) | instskip(NEXT) | instid1(VALU_DEP_1)
	v_add3_u32 v5, v3, v5, 0x88fffff
	v_lshrrev_b32_e32 v5, 21, v5
	s_or_saveexec_b32 s11, s11
                                        ; implicit-def: $sgpr12
	s_delay_alu instid0(SALU_CYCLE_1)
	s_xor_b32 exec_lo, exec_lo, s11
	s_cbranch_execnz .LBB297_1766
.LBB297_1673:
	s_or_b32 exec_lo, exec_lo, s11
	v_mov_b32_e32 v9, s12
	s_and_saveexec_b32 s11, s10
.LBB297_1674:
	v_lshrrev_b32_e32 v3, 24, v3
	s_delay_alu instid0(VALU_DEP_1)
	v_and_or_b32 v9, 0x80, v3, v5
.LBB297_1675:
	s_or_b32 exec_lo, exec_lo, s11
.LBB297_1676:
	s_delay_alu instid0(SALU_CYCLE_1)
	s_or_b32 exec_lo, exec_lo, s7
	s_mov_b32 s7, 0
	global_store_b8 v[6:7], v9, off
.LBB297_1677:
	s_and_b32 vcc_lo, exec_lo, s7
	s_cbranch_vccz .LBB297_1687
; %bb.1678:
	v_cvt_f32_i32_e32 v3, v4
	s_mov_b32 s7, exec_lo
                                        ; implicit-def: $vgpr5
	s_delay_alu instid0(VALU_DEP_1) | instskip(NEXT) | instid1(VALU_DEP_1)
	v_and_b32_e32 v9, 0x7fffffff, v3
	v_cmpx_gt_u32_e32 0x43f00000, v9
	s_xor_b32 s7, exec_lo, s7
	s_cbranch_execz .LBB297_1684
; %bb.1679:
	s_mov_b32 s10, exec_lo
                                        ; implicit-def: $vgpr5
	v_cmpx_lt_u32_e32 0x3c7fffff, v9
	s_xor_b32 s10, exec_lo, s10
; %bb.1680:
	v_bfe_u32 v5, v3, 20, 1
	s_delay_alu instid0(VALU_DEP_1) | instskip(NEXT) | instid1(VALU_DEP_1)
	v_add3_u32 v5, v3, v5, 0x407ffff
	v_and_b32_e32 v9, 0xff00000, v5
	v_lshrrev_b32_e32 v5, 20, v5
	s_delay_alu instid0(VALU_DEP_2) | instskip(NEXT) | instid1(VALU_DEP_2)
	v_cmp_ne_u32_e32 vcc_lo, 0x7f00000, v9
	v_cndmask_b32_e32 v5, 0x7e, v5, vcc_lo
; %bb.1681:
	s_and_not1_saveexec_b32 s10, s10
; %bb.1682:
	v_add_f32_e64 v5, 0x46800000, |v3|
; %bb.1683:
	s_or_b32 exec_lo, exec_lo, s10
                                        ; implicit-def: $vgpr9
.LBB297_1684:
	s_and_not1_saveexec_b32 s7, s7
; %bb.1685:
	v_mov_b32_e32 v5, 0x7f
	v_cmp_lt_u32_e32 vcc_lo, 0x7f800000, v9
	s_delay_alu instid0(VALU_DEP_2)
	v_cndmask_b32_e32 v5, 0x7e, v5, vcc_lo
; %bb.1686:
	s_or_b32 exec_lo, exec_lo, s7
	v_lshrrev_b32_e32 v3, 24, v3
	s_delay_alu instid0(VALU_DEP_1)
	v_and_or_b32 v3, 0x80, v3, v5
	global_store_b8 v[6:7], v3, off
.LBB297_1687:
	s_mov_b32 s7, 0
.LBB297_1688:
	s_delay_alu instid0(SALU_CYCLE_1)
	s_and_not1_b32 vcc_lo, exec_lo, s7
	s_cbranch_vccnz .LBB297_1698
; %bb.1689:
	v_cvt_f32_i32_e32 v3, v4
	s_mov_b32 s7, exec_lo
                                        ; implicit-def: $vgpr5
	s_delay_alu instid0(VALU_DEP_1) | instskip(NEXT) | instid1(VALU_DEP_1)
	v_and_b32_e32 v9, 0x7fffffff, v3
	v_cmpx_gt_u32_e32 0x47800000, v9
	s_xor_b32 s7, exec_lo, s7
	s_cbranch_execz .LBB297_1695
; %bb.1690:
	s_mov_b32 s10, exec_lo
                                        ; implicit-def: $vgpr5
	v_cmpx_lt_u32_e32 0x387fffff, v9
	s_xor_b32 s10, exec_lo, s10
; %bb.1691:
	v_bfe_u32 v5, v3, 21, 1
	s_delay_alu instid0(VALU_DEP_1) | instskip(NEXT) | instid1(VALU_DEP_1)
	v_add3_u32 v5, v3, v5, 0x80fffff
	v_lshrrev_b32_e32 v5, 21, v5
; %bb.1692:
	s_and_not1_saveexec_b32 s10, s10
; %bb.1693:
	v_add_f32_e64 v5, 0x43000000, |v3|
; %bb.1694:
	s_or_b32 exec_lo, exec_lo, s10
                                        ; implicit-def: $vgpr9
.LBB297_1695:
	s_and_not1_saveexec_b32 s7, s7
; %bb.1696:
	v_mov_b32_e32 v5, 0x7f
	v_cmp_lt_u32_e32 vcc_lo, 0x7f800000, v9
	s_delay_alu instid0(VALU_DEP_2)
	v_cndmask_b32_e32 v5, 0x7c, v5, vcc_lo
; %bb.1697:
	s_or_b32 exec_lo, exec_lo, s7
	v_lshrrev_b32_e32 v3, 24, v3
	s_delay_alu instid0(VALU_DEP_1)
	v_and_or_b32 v3, 0x80, v3, v5
	global_store_b8 v[6:7], v3, off
.LBB297_1698:
	s_mov_b32 s7, 0
	s_mov_b32 s10, -1
.LBB297_1699:
	s_and_not1_b32 vcc_lo, exec_lo, s7
	s_mov_b32 s7, 0
	s_cbranch_vccnz .LBB297_1706
; %bb.1700:
	v_cmp_gt_i16_e64 s7, s6, 14
	s_delay_alu instid0(VALU_DEP_1)
	s_and_b32 vcc_lo, exec_lo, s7
	s_mov_b32 s7, -1
	s_cbranch_vccz .LBB297_1704
; %bb.1701:
	v_cmp_eq_u16_e64 s0, s6, 15
	s_delay_alu instid0(VALU_DEP_1)
	s_and_b32 vcc_lo, exec_lo, s0
	s_mov_b32 s0, -1
	s_cbranch_vccz .LBB297_1703
; %bb.1702:
	v_cvt_f32_i32_e32 v3, v4
	s_mov_b32 s0, 0
	s_mov_b32 s10, -1
	s_delay_alu instid0(VALU_DEP_1) | instskip(NEXT) | instid1(VALU_DEP_1)
	v_bfe_u32 v5, v3, 16, 1
	v_add3_u32 v3, v3, v5, 0x7fff
	global_store_d16_hi_b16 v[6:7], v3, off
.LBB297_1703:
	s_mov_b32 s7, 0
.LBB297_1704:
	s_delay_alu instid0(SALU_CYCLE_1)
	s_and_b32 vcc_lo, exec_lo, s7
	s_mov_b32 s7, 0
	s_cbranch_vccz .LBB297_1706
; %bb.1705:
	v_cmp_ne_u16_e64 s0, s6, 11
	s_mov_b32 s7, -1
.LBB297_1706:
	s_delay_alu instid0(VALU_DEP_1)
	s_and_b32 vcc_lo, exec_lo, s0
	s_cbranch_vccnz .LBB297_1763
; %bb.1707:
	s_and_not1_b32 vcc_lo, exec_lo, s7
	s_cbranch_vccnz .LBB297_1709
.LBB297_1708:
	v_cmp_ne_u32_e32 vcc_lo, 0, v4
	s_mov_b32 s10, -1
	v_cndmask_b32_e64 v3, 0, 1, vcc_lo
	global_store_b8 v[6:7], v3, off
.LBB297_1709:
	s_mov_b32 s0, 0
.LBB297_1710:
	s_delay_alu instid0(SALU_CYCLE_1)
	s_and_b32 vcc_lo, exec_lo, s0
	s_cbranch_vccz .LBB297_1749
; %bb.1711:
	v_cmp_lt_i16_e64 s0, s6, 5
	s_delay_alu instid0(VALU_DEP_1)
	s_and_b32 vcc_lo, exec_lo, s0
	s_mov_b32 s0, -1
	s_cbranch_vccnz .LBB297_1732
; %bb.1712:
	v_cmp_lt_i16_e64 s0, s6, 8
	s_delay_alu instid0(VALU_DEP_1)
	s_and_b32 vcc_lo, exec_lo, s0
	s_mov_b32 s0, -1
	s_cbranch_vccnz .LBB297_1722
	;; [unrolled: 6-line block ×3, first 2 shown]
; %bb.1714:
	v_cmp_gt_i16_e64 s0, s6, 9
	s_delay_alu instid0(VALU_DEP_1)
	s_and_b32 vcc_lo, exec_lo, s0
	s_mov_b32 s0, -1
	s_cbranch_vccz .LBB297_1716
; %bb.1715:
	v_cvt_f64_i32_e32 v[12:13], v4
	v_mov_b32_e32 v14, 0
	s_mov_b32 s0, 0
	s_delay_alu instid0(VALU_DEP_1)
	v_mov_b32_e32 v15, v14
	global_store_b128 v[6:7], v[12:15], off
.LBB297_1716:
	s_and_not1_b32 vcc_lo, exec_lo, s0
	s_cbranch_vccnz .LBB297_1718
; %bb.1717:
	v_cvt_f32_i32_e32 v12, v4
	v_mov_b32_e32 v13, 0
	global_store_b64 v[6:7], v[12:13], off
.LBB297_1718:
	s_mov_b32 s0, 0
.LBB297_1719:
	s_delay_alu instid0(SALU_CYCLE_1)
	s_and_not1_b32 vcc_lo, exec_lo, s0
	s_cbranch_vccnz .LBB297_1721
; %bb.1720:
	v_cvt_f32_i32_e32 v3, v4
	s_delay_alu instid0(VALU_DEP_1) | instskip(NEXT) | instid1(VALU_DEP_1)
	v_cvt_f16_f32_e32 v3, v3
	v_and_b32_e32 v3, 0xffff, v3
	global_store_b32 v[6:7], v3, off
.LBB297_1721:
	s_mov_b32 s0, 0
.LBB297_1722:
	s_delay_alu instid0(SALU_CYCLE_1)
	s_and_not1_b32 vcc_lo, exec_lo, s0
	s_cbranch_vccnz .LBB297_1731
; %bb.1723:
	v_cmp_lt_i16_e64 s0, s6, 6
	s_delay_alu instid0(VALU_DEP_1)
	s_and_b32 vcc_lo, exec_lo, s0
	s_mov_b32 s0, -1
	s_cbranch_vccnz .LBB297_1729
; %bb.1724:
	v_cmp_gt_i16_e64 s0, s6, 6
	s_delay_alu instid0(VALU_DEP_1)
	s_and_b32 vcc_lo, exec_lo, s0
	s_mov_b32 s0, -1
	s_cbranch_vccz .LBB297_1726
; %bb.1725:
	v_cvt_f64_i32_e32 v[12:13], v4
	s_mov_b32 s0, 0
	global_store_b64 v[6:7], v[12:13], off
.LBB297_1726:
	s_and_not1_b32 vcc_lo, exec_lo, s0
	s_cbranch_vccnz .LBB297_1728
; %bb.1727:
	v_cvt_f32_i32_e32 v3, v4
	global_store_b32 v[6:7], v3, off
.LBB297_1728:
	s_mov_b32 s0, 0
.LBB297_1729:
	s_delay_alu instid0(SALU_CYCLE_1)
	s_and_not1_b32 vcc_lo, exec_lo, s0
	s_cbranch_vccnz .LBB297_1731
; %bb.1730:
	v_cvt_f32_i32_e32 v3, v4
	s_delay_alu instid0(VALU_DEP_1)
	v_cvt_f16_f32_e32 v3, v3
	global_store_b16 v[6:7], v3, off
.LBB297_1731:
	s_mov_b32 s0, 0
.LBB297_1732:
	s_delay_alu instid0(SALU_CYCLE_1)
	s_and_not1_b32 vcc_lo, exec_lo, s0
	s_cbranch_vccnz .LBB297_1748
; %bb.1733:
	v_cmp_lt_i16_e64 s0, s6, 2
	s_delay_alu instid0(VALU_DEP_1)
	s_and_b32 vcc_lo, exec_lo, s0
	s_mov_b32 s0, -1
	s_cbranch_vccnz .LBB297_1743
; %bb.1734:
	v_cmp_lt_i16_e64 s0, s6, 3
	s_delay_alu instid0(VALU_DEP_1)
	s_and_b32 vcc_lo, exec_lo, s0
	s_mov_b32 s0, -1
	s_cbranch_vccnz .LBB297_1740
; %bb.1735:
	v_cmp_gt_i16_e64 s0, s6, 3
	s_delay_alu instid0(VALU_DEP_1)
	s_and_b32 vcc_lo, exec_lo, s0
	s_mov_b32 s0, -1
	s_cbranch_vccz .LBB297_1737
; %bb.1736:
	v_ashrrev_i32_e32 v5, 31, v4
	s_mov_b32 s0, 0
	global_store_b64 v[6:7], v[4:5], off
.LBB297_1737:
	s_and_not1_b32 vcc_lo, exec_lo, s0
	s_cbranch_vccnz .LBB297_1739
; %bb.1738:
	global_store_b32 v[6:7], v4, off
.LBB297_1739:
	s_mov_b32 s0, 0
.LBB297_1740:
	s_delay_alu instid0(SALU_CYCLE_1)
	s_and_not1_b32 vcc_lo, exec_lo, s0
	s_cbranch_vccnz .LBB297_1742
; %bb.1741:
	global_store_b16 v[6:7], v4, off
.LBB297_1742:
	s_mov_b32 s0, 0
.LBB297_1743:
	s_delay_alu instid0(SALU_CYCLE_1)
	s_and_not1_b32 vcc_lo, exec_lo, s0
	s_cbranch_vccnz .LBB297_1748
; %bb.1744:
	v_cmp_gt_i16_e64 s0, s6, 0
	s_delay_alu instid0(VALU_DEP_1)
	s_and_b32 vcc_lo, exec_lo, s0
	s_mov_b32 s0, -1
	s_cbranch_vccz .LBB297_1746
; %bb.1745:
	s_mov_b32 s0, 0
	global_store_b8 v[6:7], v4, off
.LBB297_1746:
	s_and_not1_b32 vcc_lo, exec_lo, s0
	s_cbranch_vccnz .LBB297_1748
; %bb.1747:
	global_store_b8 v[6:7], v4, off
.LBB297_1748:
	s_mov_b32 s10, -1
.LBB297_1749:
	s_delay_alu instid0(SALU_CYCLE_1)
	s_and_not1_b32 vcc_lo, exec_lo, s10
	s_cbranch_vccnz .LBB297_2016
; %bb.1750:
	v_cmp_lt_i16_e64 s0, s6, 11
	v_add_co_u32 v5, s7, s4, v2
	s_waitcnt vmcnt(0)
	v_maxmin_i32 v3, v11, s2, s3
	v_add_co_ci_u32_e64 v6, null, s5, 0, s7
	s_mov_b32 s10, 0
	s_and_b32 vcc_lo, exec_lo, s0
	s_mov_b32 s0, -1
	s_cbranch_vccnz .LBB297_1839
; %bb.1751:
	v_cmp_gt_i16_e64 s0, s6, 25
	s_mov_b32 s11, -1
	s_mov_b32 s7, 0
	s_delay_alu instid0(VALU_DEP_1)
	s_and_b32 vcc_lo, exec_lo, s0
	s_mov_b32 s0, 0
	s_cbranch_vccz .LBB297_1795
; %bb.1752:
	v_cmp_gt_i16_e64 s0, s6, 28
	s_delay_alu instid0(VALU_DEP_1)
	s_and_b32 vcc_lo, exec_lo, s0
	s_cbranch_vccz .LBB297_1757
; %bb.1753:
	v_cmp_gt_i16_e64 s0, s6, 43
	s_delay_alu instid0(VALU_DEP_1)
	s_and_b32 vcc_lo, exec_lo, s0
	s_cbranch_vccz .LBB297_1760
; %bb.1754:
	v_cmp_gt_i16_e64 s0, s6, 45
	s_delay_alu instid0(VALU_DEP_1)
	s_and_b32 vcc_lo, exec_lo, s0
	s_cbranch_vccz .LBB297_1767
; %bb.1755:
	v_cmp_eq_u16_e64 s10, s6, 46
	s_mov_b32 s0, -1
	s_mov_b32 s11, 0
	s_delay_alu instid0(VALU_DEP_1)
	s_and_b32 vcc_lo, exec_lo, s10
	s_mov_b32 s10, 0
	s_cbranch_vccz .LBB297_1768
; %bb.1756:
	v_cvt_f32_i32_e32 v2, v3
	s_mov_b32 s0, 0
	s_mov_b32 s10, -1
	s_delay_alu instid0(VALU_DEP_1) | instskip(NEXT) | instid1(VALU_DEP_1)
	v_bfe_u32 v4, v2, 16, 1
	v_add3_u32 v2, v2, v4, 0x7fff
	s_delay_alu instid0(VALU_DEP_1)
	v_lshrrev_b32_e32 v2, 16, v2
	global_store_b32 v[5:6], v2, off
	s_branch .LBB297_1768
.LBB297_1757:
	s_mov_b32 s0, 0
	s_branch .LBB297_1778
.LBB297_1758:
	s_or_saveexec_b32 s12, s12
                                        ; implicit-def: $sgpr13
	s_delay_alu instid0(SALU_CYCLE_1)
	s_xor_b32 exec_lo, exec_lo, s12
	s_cbranch_execz .LBB297_1660
.LBB297_1759:
	v_add_f32_e64 v5, 0x46000000, |v3|
	s_and_not1_b32 s11, s11, exec_lo
	s_mov_b32 s13, 0
	s_delay_alu instid0(VALU_DEP_1) | instskip(NEXT) | instid1(VALU_DEP_1)
	v_and_b32_e32 v5, 0xff, v5
	v_cmp_ne_u32_e32 vcc_lo, 0, v5
	s_and_b32 s14, vcc_lo, exec_lo
	s_delay_alu instid0(SALU_CYCLE_1)
	s_or_b32 s11, s11, s14
	s_or_b32 exec_lo, exec_lo, s12
	v_mov_b32_e32 v9, s13
	s_and_saveexec_b32 s12, s11
	s_cbranch_execnz .LBB297_1661
	s_branch .LBB297_1662
.LBB297_1760:
	s_mov_b32 s0, 0
	s_branch .LBB297_1774
.LBB297_1761:
	s_trap 2
	s_sendmsg_rtn_b32 s0, sendmsg(MSG_RTN_GET_DOORBELL)
	s_mov_b32 ttmp2, m0
	s_waitcnt lgkmcnt(0)
	s_and_b32 s0, s0, 0x3ff
	s_delay_alu instid0(SALU_CYCLE_1) | instskip(NEXT) | instid1(SALU_CYCLE_1)
	s_bitset1_b32 s0, 10
	s_mov_b32 m0, s0
	s_sendmsg sendmsg(MSG_INTERRUPT)
	s_mov_b32 m0, ttmp2
.LBB297_1762:                           ; =>This Inner Loop Header: Depth=1
	s_sethalt 5
	s_branch .LBB297_1762
.LBB297_1763:
	s_cbranch_execnz .LBB297_1890
; %bb.1764:
	s_or_b32 s1, s1, exec_lo
	s_cbranch_execz .LBB297_1708
	s_branch .LBB297_1709
.LBB297_1765:
	s_or_saveexec_b32 s11, s11
                                        ; implicit-def: $sgpr12
	s_delay_alu instid0(SALU_CYCLE_1)
	s_xor_b32 exec_lo, exec_lo, s11
	s_cbranch_execz .LBB297_1673
.LBB297_1766:
	v_add_f32_e64 v5, 0x42800000, |v3|
	s_and_not1_b32 s10, s10, exec_lo
	s_mov_b32 s12, 0
	s_delay_alu instid0(VALU_DEP_1) | instskip(NEXT) | instid1(VALU_DEP_1)
	v_and_b32_e32 v5, 0xff, v5
	v_cmp_ne_u32_e32 vcc_lo, 0, v5
	s_and_b32 s13, vcc_lo, exec_lo
	s_delay_alu instid0(SALU_CYCLE_1)
	s_or_b32 s10, s10, s13
	s_or_b32 exec_lo, exec_lo, s11
	v_mov_b32_e32 v9, s12
	s_and_saveexec_b32 s11, s10
	s_cbranch_execnz .LBB297_1674
	s_branch .LBB297_1675
.LBB297_1767:
	s_mov_b32 s0, 0
.LBB297_1768:
	s_and_b32 vcc_lo, exec_lo, s11
	s_cbranch_vccz .LBB297_1773
; %bb.1769:
	v_cmp_eq_u16_e64 s0, s6, 44
	s_delay_alu instid0(VALU_DEP_1)
	s_and_b32 vcc_lo, exec_lo, s0
	s_mov_b32 s0, -1
	s_cbranch_vccz .LBB297_1773
; %bb.1770:
	v_cvt_f32_i32_e32 v2, v3
	v_mov_b32_e32 v4, 0xff
	s_mov_b32 s10, exec_lo
	s_delay_alu instid0(VALU_DEP_2) | instskip(NEXT) | instid1(VALU_DEP_1)
	v_bfe_u32 v7, v2, 23, 8
	v_cmpx_ne_u32_e32 0xff, v7
; %bb.1771:
	v_and_b32_e32 v4, 0x400000, v2
	v_and_or_b32 v7, 0x3fffff, v2, v7
	v_lshrrev_b32_e32 v2, 23, v2
	s_delay_alu instid0(VALU_DEP_3) | instskip(NEXT) | instid1(VALU_DEP_3)
	v_cmp_ne_u32_e32 vcc_lo, 0, v4
	v_cmp_ne_u32_e64 s0, 0, v7
	s_delay_alu instid0(VALU_DEP_1) | instskip(NEXT) | instid1(SALU_CYCLE_1)
	s_and_b32 s0, vcc_lo, s0
	v_cndmask_b32_e64 v4, 0, 1, s0
	s_delay_alu instid0(VALU_DEP_1)
	v_add_nc_u32_e32 v4, v2, v4
; %bb.1772:
	s_or_b32 exec_lo, exec_lo, s10
	s_mov_b32 s0, 0
	s_mov_b32 s10, -1
	global_store_b8 v[5:6], v4, off
.LBB297_1773:
	s_mov_b32 s11, 0
.LBB297_1774:
	s_delay_alu instid0(SALU_CYCLE_1)
	s_and_b32 vcc_lo, exec_lo, s11
	s_cbranch_vccz .LBB297_1777
; %bb.1775:
	v_cmp_eq_u16_e64 s0, s6, 29
	s_delay_alu instid0(VALU_DEP_1)
	s_and_b32 vcc_lo, exec_lo, s0
	s_mov_b32 s0, -1
	s_cbranch_vccz .LBB297_1777
; %bb.1776:
	v_ashrrev_i32_e32 v4, 31, v3
	s_mov_b32 s0, 0
	s_mov_b32 s10, -1
	s_mov_b32 s11, 0
	global_store_b64 v[5:6], v[3:4], off
	s_branch .LBB297_1778
.LBB297_1777:
	s_mov_b32 s11, 0
.LBB297_1778:
	s_delay_alu instid0(SALU_CYCLE_1)
	s_and_b32 vcc_lo, exec_lo, s11
	s_cbranch_vccz .LBB297_1794
; %bb.1779:
	v_cmp_lt_i16_e64 s10, s6, 27
	s_delay_alu instid0(VALU_DEP_1)
	s_and_b32 vcc_lo, exec_lo, s10
	s_mov_b32 s10, -1
	s_cbranch_vccnz .LBB297_1785
; %bb.1780:
	v_cmp_gt_i16_e64 s10, s6, 27
	s_delay_alu instid0(VALU_DEP_1)
	s_and_b32 vcc_lo, exec_lo, s10
	s_mov_b32 s10, -1
	s_cbranch_vccz .LBB297_1782
; %bb.1781:
	s_mov_b32 s10, 0
	global_store_b32 v[5:6], v3, off
.LBB297_1782:
	s_and_not1_b32 vcc_lo, exec_lo, s10
	s_cbranch_vccnz .LBB297_1784
; %bb.1783:
	global_store_b16 v[5:6], v3, off
.LBB297_1784:
	s_mov_b32 s10, 0
.LBB297_1785:
	s_delay_alu instid0(SALU_CYCLE_1)
	s_and_not1_b32 vcc_lo, exec_lo, s10
	s_cbranch_vccnz .LBB297_1793
; %bb.1786:
	v_cvt_f32_i32_e32 v2, v3
	v_mov_b32_e32 v7, 0x80
	s_mov_b32 s10, exec_lo
	s_delay_alu instid0(VALU_DEP_2) | instskip(NEXT) | instid1(VALU_DEP_1)
	v_and_b32_e32 v4, 0x7fffffff, v2
	v_cmpx_gt_u32_e32 0x43800000, v4
	s_cbranch_execz .LBB297_1792
; %bb.1787:
	v_cmp_lt_u32_e32 vcc_lo, 0x3bffffff, v4
	s_mov_b32 s11, 0
                                        ; implicit-def: $vgpr4
	s_and_saveexec_b32 s12, vcc_lo
	s_delay_alu instid0(SALU_CYCLE_1)
	s_xor_b32 s12, exec_lo, s12
	s_cbranch_execz .LBB297_1887
; %bb.1788:
	v_bfe_u32 v4, v2, 20, 1
	s_mov_b32 s11, exec_lo
	s_delay_alu instid0(VALU_DEP_1) | instskip(NEXT) | instid1(VALU_DEP_1)
	v_add3_u32 v4, v2, v4, 0x487ffff
	v_lshrrev_b32_e32 v4, 20, v4
	s_or_saveexec_b32 s12, s12
                                        ; implicit-def: $sgpr13
	s_delay_alu instid0(SALU_CYCLE_1)
	s_xor_b32 exec_lo, exec_lo, s12
	s_cbranch_execnz .LBB297_1888
.LBB297_1789:
	s_or_b32 exec_lo, exec_lo, s12
	v_mov_b32_e32 v7, s13
	s_and_saveexec_b32 s12, s11
.LBB297_1790:
	v_lshrrev_b32_e32 v2, 24, v2
	s_delay_alu instid0(VALU_DEP_1)
	v_and_or_b32 v7, 0x80, v2, v4
.LBB297_1791:
	s_or_b32 exec_lo, exec_lo, s12
.LBB297_1792:
	s_delay_alu instid0(SALU_CYCLE_1)
	s_or_b32 exec_lo, exec_lo, s10
	global_store_b8 v[5:6], v7, off
.LBB297_1793:
	s_mov_b32 s10, -1
.LBB297_1794:
	s_mov_b32 s11, 0
.LBB297_1795:
	s_delay_alu instid0(SALU_CYCLE_1)
	s_and_b32 vcc_lo, exec_lo, s11
	s_cbranch_vccz .LBB297_1835
; %bb.1796:
	v_cmp_gt_i16_e64 s7, s6, 22
	s_delay_alu instid0(VALU_DEP_1)
	s_and_b32 vcc_lo, exec_lo, s7
	s_mov_b32 s7, -1
	s_cbranch_vccz .LBB297_1828
; %bb.1797:
	v_cmp_lt_i16_e64 s7, s6, 24
	s_delay_alu instid0(VALU_DEP_1)
	s_and_b32 vcc_lo, exec_lo, s7
	s_mov_b32 s7, -1
	s_cbranch_vccnz .LBB297_1817
; %bb.1798:
	v_cmp_gt_i16_e64 s7, s6, 24
	s_delay_alu instid0(VALU_DEP_1)
	s_and_b32 vcc_lo, exec_lo, s7
	s_mov_b32 s7, -1
	s_cbranch_vccz .LBB297_1806
; %bb.1799:
	v_cvt_f32_i32_e32 v2, v3
	v_mov_b32_e32 v7, 0x80
	s_mov_b32 s7, exec_lo
	s_delay_alu instid0(VALU_DEP_2) | instskip(NEXT) | instid1(VALU_DEP_1)
	v_and_b32_e32 v4, 0x7fffffff, v2
	v_cmpx_gt_u32_e32 0x47800000, v4
	s_cbranch_execz .LBB297_1805
; %bb.1800:
	v_cmp_lt_u32_e32 vcc_lo, 0x37ffffff, v4
	s_mov_b32 s10, 0
                                        ; implicit-def: $vgpr4
	s_and_saveexec_b32 s11, vcc_lo
	s_delay_alu instid0(SALU_CYCLE_1)
	s_xor_b32 s11, exec_lo, s11
	s_cbranch_execz .LBB297_1894
; %bb.1801:
	v_bfe_u32 v4, v2, 21, 1
	s_mov_b32 s10, exec_lo
	s_delay_alu instid0(VALU_DEP_1) | instskip(NEXT) | instid1(VALU_DEP_1)
	v_add3_u32 v4, v2, v4, 0x88fffff
	v_lshrrev_b32_e32 v4, 21, v4
	s_or_saveexec_b32 s11, s11
                                        ; implicit-def: $sgpr12
	s_delay_alu instid0(SALU_CYCLE_1)
	s_xor_b32 exec_lo, exec_lo, s11
	s_cbranch_execnz .LBB297_1895
.LBB297_1802:
	s_or_b32 exec_lo, exec_lo, s11
	v_mov_b32_e32 v7, s12
	s_and_saveexec_b32 s11, s10
.LBB297_1803:
	v_lshrrev_b32_e32 v2, 24, v2
	s_delay_alu instid0(VALU_DEP_1)
	v_and_or_b32 v7, 0x80, v2, v4
.LBB297_1804:
	s_or_b32 exec_lo, exec_lo, s11
.LBB297_1805:
	s_delay_alu instid0(SALU_CYCLE_1)
	s_or_b32 exec_lo, exec_lo, s7
	s_mov_b32 s7, 0
	global_store_b8 v[5:6], v7, off
.LBB297_1806:
	s_and_b32 vcc_lo, exec_lo, s7
	s_cbranch_vccz .LBB297_1816
; %bb.1807:
	v_cvt_f32_i32_e32 v2, v3
	s_mov_b32 s7, exec_lo
                                        ; implicit-def: $vgpr4
	s_delay_alu instid0(VALU_DEP_1) | instskip(NEXT) | instid1(VALU_DEP_1)
	v_and_b32_e32 v7, 0x7fffffff, v2
	v_cmpx_gt_u32_e32 0x43f00000, v7
	s_xor_b32 s7, exec_lo, s7
	s_cbranch_execz .LBB297_1813
; %bb.1808:
	s_mov_b32 s10, exec_lo
                                        ; implicit-def: $vgpr4
	v_cmpx_lt_u32_e32 0x3c7fffff, v7
	s_xor_b32 s10, exec_lo, s10
; %bb.1809:
	v_bfe_u32 v4, v2, 20, 1
	s_delay_alu instid0(VALU_DEP_1) | instskip(NEXT) | instid1(VALU_DEP_1)
	v_add3_u32 v4, v2, v4, 0x407ffff
	v_and_b32_e32 v7, 0xff00000, v4
	v_lshrrev_b32_e32 v4, 20, v4
	s_delay_alu instid0(VALU_DEP_2) | instskip(NEXT) | instid1(VALU_DEP_2)
	v_cmp_ne_u32_e32 vcc_lo, 0x7f00000, v7
	v_cndmask_b32_e32 v4, 0x7e, v4, vcc_lo
; %bb.1810:
	s_and_not1_saveexec_b32 s10, s10
; %bb.1811:
	v_add_f32_e64 v4, 0x46800000, |v2|
; %bb.1812:
	s_or_b32 exec_lo, exec_lo, s10
                                        ; implicit-def: $vgpr7
.LBB297_1813:
	s_and_not1_saveexec_b32 s7, s7
; %bb.1814:
	v_mov_b32_e32 v4, 0x7f
	v_cmp_lt_u32_e32 vcc_lo, 0x7f800000, v7
	s_delay_alu instid0(VALU_DEP_2)
	v_cndmask_b32_e32 v4, 0x7e, v4, vcc_lo
; %bb.1815:
	s_or_b32 exec_lo, exec_lo, s7
	v_lshrrev_b32_e32 v2, 24, v2
	s_delay_alu instid0(VALU_DEP_1)
	v_and_or_b32 v2, 0x80, v2, v4
	global_store_b8 v[5:6], v2, off
.LBB297_1816:
	s_mov_b32 s7, 0
.LBB297_1817:
	s_delay_alu instid0(SALU_CYCLE_1)
	s_and_not1_b32 vcc_lo, exec_lo, s7
	s_cbranch_vccnz .LBB297_1827
; %bb.1818:
	v_cvt_f32_i32_e32 v2, v3
	s_mov_b32 s7, exec_lo
                                        ; implicit-def: $vgpr4
	s_delay_alu instid0(VALU_DEP_1) | instskip(NEXT) | instid1(VALU_DEP_1)
	v_and_b32_e32 v7, 0x7fffffff, v2
	v_cmpx_gt_u32_e32 0x47800000, v7
	s_xor_b32 s7, exec_lo, s7
	s_cbranch_execz .LBB297_1824
; %bb.1819:
	s_mov_b32 s10, exec_lo
                                        ; implicit-def: $vgpr4
	v_cmpx_lt_u32_e32 0x387fffff, v7
	s_xor_b32 s10, exec_lo, s10
; %bb.1820:
	v_bfe_u32 v4, v2, 21, 1
	s_delay_alu instid0(VALU_DEP_1) | instskip(NEXT) | instid1(VALU_DEP_1)
	v_add3_u32 v4, v2, v4, 0x80fffff
	v_lshrrev_b32_e32 v4, 21, v4
; %bb.1821:
	s_and_not1_saveexec_b32 s10, s10
; %bb.1822:
	v_add_f32_e64 v4, 0x43000000, |v2|
; %bb.1823:
	s_or_b32 exec_lo, exec_lo, s10
                                        ; implicit-def: $vgpr7
.LBB297_1824:
	s_and_not1_saveexec_b32 s7, s7
; %bb.1825:
	v_mov_b32_e32 v4, 0x7f
	v_cmp_lt_u32_e32 vcc_lo, 0x7f800000, v7
	s_delay_alu instid0(VALU_DEP_2)
	v_cndmask_b32_e32 v4, 0x7c, v4, vcc_lo
; %bb.1826:
	s_or_b32 exec_lo, exec_lo, s7
	v_lshrrev_b32_e32 v2, 24, v2
	s_delay_alu instid0(VALU_DEP_1)
	v_and_or_b32 v2, 0x80, v2, v4
	global_store_b8 v[5:6], v2, off
.LBB297_1827:
	s_mov_b32 s7, 0
	s_mov_b32 s10, -1
.LBB297_1828:
	s_and_not1_b32 vcc_lo, exec_lo, s7
	s_mov_b32 s7, 0
	s_cbranch_vccnz .LBB297_1835
; %bb.1829:
	v_cmp_gt_i16_e64 s7, s6, 14
	s_delay_alu instid0(VALU_DEP_1)
	s_and_b32 vcc_lo, exec_lo, s7
	s_mov_b32 s7, -1
	s_cbranch_vccz .LBB297_1833
; %bb.1830:
	v_cmp_eq_u16_e64 s0, s6, 15
	s_delay_alu instid0(VALU_DEP_1)
	s_and_b32 vcc_lo, exec_lo, s0
	s_mov_b32 s0, -1
	s_cbranch_vccz .LBB297_1832
; %bb.1831:
	v_cvt_f32_i32_e32 v2, v3
	s_mov_b32 s0, 0
	s_mov_b32 s10, -1
	s_delay_alu instid0(VALU_DEP_1) | instskip(NEXT) | instid1(VALU_DEP_1)
	v_bfe_u32 v4, v2, 16, 1
	v_add3_u32 v2, v2, v4, 0x7fff
	global_store_d16_hi_b16 v[5:6], v2, off
.LBB297_1832:
	s_mov_b32 s7, 0
.LBB297_1833:
	s_delay_alu instid0(SALU_CYCLE_1)
	s_and_b32 vcc_lo, exec_lo, s7
	s_mov_b32 s7, 0
	s_cbranch_vccz .LBB297_1835
; %bb.1834:
	v_cmp_ne_u16_e64 s0, s6, 11
	s_mov_b32 s7, -1
.LBB297_1835:
	s_delay_alu instid0(VALU_DEP_1)
	s_and_b32 vcc_lo, exec_lo, s0
	s_cbranch_vccnz .LBB297_1892
; %bb.1836:
	s_and_not1_b32 vcc_lo, exec_lo, s7
	s_cbranch_vccnz .LBB297_1838
.LBB297_1837:
	v_cmp_ne_u32_e32 vcc_lo, 0, v3
	s_mov_b32 s10, -1
	v_cndmask_b32_e64 v2, 0, 1, vcc_lo
	global_store_b8 v[5:6], v2, off
.LBB297_1838:
	s_mov_b32 s0, 0
.LBB297_1839:
	s_delay_alu instid0(SALU_CYCLE_1)
	s_and_b32 vcc_lo, exec_lo, s0
	s_cbranch_vccz .LBB297_1878
; %bb.1840:
	v_cmp_lt_i16_e64 s0, s6, 5
	s_delay_alu instid0(VALU_DEP_1)
	s_and_b32 vcc_lo, exec_lo, s0
	s_mov_b32 s0, -1
	s_cbranch_vccnz .LBB297_1861
; %bb.1841:
	v_cmp_lt_i16_e64 s0, s6, 8
	s_delay_alu instid0(VALU_DEP_1)
	s_and_b32 vcc_lo, exec_lo, s0
	s_mov_b32 s0, -1
	s_cbranch_vccnz .LBB297_1851
	;; [unrolled: 6-line block ×3, first 2 shown]
; %bb.1843:
	v_cmp_gt_i16_e64 s0, s6, 9
	s_delay_alu instid0(VALU_DEP_1)
	s_and_b32 vcc_lo, exec_lo, s0
	s_mov_b32 s0, -1
	s_cbranch_vccz .LBB297_1845
; %bb.1844:
	v_cvt_f64_i32_e32 v[11:12], v3
	v_mov_b32_e32 v13, 0
	s_mov_b32 s0, 0
	s_delay_alu instid0(VALU_DEP_1)
	v_mov_b32_e32 v14, v13
	global_store_b128 v[5:6], v[11:14], off
.LBB297_1845:
	s_and_not1_b32 vcc_lo, exec_lo, s0
	s_cbranch_vccnz .LBB297_1847
; %bb.1846:
	v_cvt_f32_i32_e32 v11, v3
	v_mov_b32_e32 v12, 0
	global_store_b64 v[5:6], v[11:12], off
.LBB297_1847:
	s_mov_b32 s0, 0
.LBB297_1848:
	s_delay_alu instid0(SALU_CYCLE_1)
	s_and_not1_b32 vcc_lo, exec_lo, s0
	s_cbranch_vccnz .LBB297_1850
; %bb.1849:
	v_cvt_f32_i32_e32 v2, v3
	s_delay_alu instid0(VALU_DEP_1) | instskip(NEXT) | instid1(VALU_DEP_1)
	v_cvt_f16_f32_e32 v2, v2
	v_and_b32_e32 v2, 0xffff, v2
	global_store_b32 v[5:6], v2, off
.LBB297_1850:
	s_mov_b32 s0, 0
.LBB297_1851:
	s_delay_alu instid0(SALU_CYCLE_1)
	s_and_not1_b32 vcc_lo, exec_lo, s0
	s_cbranch_vccnz .LBB297_1860
; %bb.1852:
	v_cmp_lt_i16_e64 s0, s6, 6
	s_delay_alu instid0(VALU_DEP_1)
	s_and_b32 vcc_lo, exec_lo, s0
	s_mov_b32 s0, -1
	s_cbranch_vccnz .LBB297_1858
; %bb.1853:
	v_cmp_gt_i16_e64 s0, s6, 6
	s_delay_alu instid0(VALU_DEP_1)
	s_and_b32 vcc_lo, exec_lo, s0
	s_mov_b32 s0, -1
	s_cbranch_vccz .LBB297_1855
; %bb.1854:
	v_cvt_f64_i32_e32 v[11:12], v3
	s_mov_b32 s0, 0
	global_store_b64 v[5:6], v[11:12], off
.LBB297_1855:
	s_and_not1_b32 vcc_lo, exec_lo, s0
	s_cbranch_vccnz .LBB297_1857
; %bb.1856:
	v_cvt_f32_i32_e32 v2, v3
	global_store_b32 v[5:6], v2, off
.LBB297_1857:
	s_mov_b32 s0, 0
.LBB297_1858:
	s_delay_alu instid0(SALU_CYCLE_1)
	s_and_not1_b32 vcc_lo, exec_lo, s0
	s_cbranch_vccnz .LBB297_1860
; %bb.1859:
	v_cvt_f32_i32_e32 v2, v3
	s_delay_alu instid0(VALU_DEP_1)
	v_cvt_f16_f32_e32 v2, v2
	global_store_b16 v[5:6], v2, off
.LBB297_1860:
	s_mov_b32 s0, 0
.LBB297_1861:
	s_delay_alu instid0(SALU_CYCLE_1)
	s_and_not1_b32 vcc_lo, exec_lo, s0
	s_cbranch_vccnz .LBB297_1877
; %bb.1862:
	v_cmp_lt_i16_e64 s0, s6, 2
	s_delay_alu instid0(VALU_DEP_1)
	s_and_b32 vcc_lo, exec_lo, s0
	s_mov_b32 s0, -1
	s_cbranch_vccnz .LBB297_1872
; %bb.1863:
	v_cmp_lt_i16_e64 s0, s6, 3
	s_delay_alu instid0(VALU_DEP_1)
	s_and_b32 vcc_lo, exec_lo, s0
	s_mov_b32 s0, -1
	s_cbranch_vccnz .LBB297_1869
; %bb.1864:
	v_cmp_gt_i16_e64 s0, s6, 3
	s_delay_alu instid0(VALU_DEP_1)
	s_and_b32 vcc_lo, exec_lo, s0
	s_mov_b32 s0, -1
	s_cbranch_vccz .LBB297_1866
; %bb.1865:
	v_ashrrev_i32_e32 v4, 31, v3
	s_mov_b32 s0, 0
	global_store_b64 v[5:6], v[3:4], off
.LBB297_1866:
	s_and_not1_b32 vcc_lo, exec_lo, s0
	s_cbranch_vccnz .LBB297_1868
; %bb.1867:
	global_store_b32 v[5:6], v3, off
.LBB297_1868:
	s_mov_b32 s0, 0
.LBB297_1869:
	s_delay_alu instid0(SALU_CYCLE_1)
	s_and_not1_b32 vcc_lo, exec_lo, s0
	s_cbranch_vccnz .LBB297_1871
; %bb.1870:
	global_store_b16 v[5:6], v3, off
.LBB297_1871:
	s_mov_b32 s0, 0
.LBB297_1872:
	s_delay_alu instid0(SALU_CYCLE_1)
	s_and_not1_b32 vcc_lo, exec_lo, s0
	s_cbranch_vccnz .LBB297_1877
; %bb.1873:
	v_cmp_gt_i16_e64 s0, s6, 0
	s_delay_alu instid0(VALU_DEP_1)
	s_and_b32 vcc_lo, exec_lo, s0
	s_mov_b32 s0, -1
	s_cbranch_vccz .LBB297_1875
; %bb.1874:
	s_mov_b32 s0, 0
	global_store_b8 v[5:6], v3, off
.LBB297_1875:
	s_and_not1_b32 vcc_lo, exec_lo, s0
	s_cbranch_vccnz .LBB297_1877
; %bb.1876:
	global_store_b8 v[5:6], v3, off
.LBB297_1877:
	s_mov_b32 s10, -1
.LBB297_1878:
	s_delay_alu instid0(SALU_CYCLE_1)
	s_and_not1_b32 vcc_lo, exec_lo, s10
	s_cbranch_vccnz .LBB297_2016
; %bb.1879:
	v_cmp_lt_i16_e64 s0, s6, 11
	v_add_co_u32 v4, s7, s4, v1
	v_maxmin_i32 v2, v10, s2, s3
	v_add_co_ci_u32_e64 v5, null, s5, 0, s7
	s_mov_b32 s10, 0
	s_and_b32 vcc_lo, exec_lo, s0
	s_mov_b32 s0, -1
	s_cbranch_vccnz .LBB297_1968
; %bb.1880:
	v_cmp_gt_i16_e64 s0, s6, 25
	s_mov_b32 s11, -1
	s_mov_b32 s7, 0
	s_delay_alu instid0(VALU_DEP_1)
	s_and_b32 vcc_lo, exec_lo, s0
	s_mov_b32 s0, 0
	s_cbranch_vccz .LBB297_1924
; %bb.1881:
	v_cmp_gt_i16_e64 s0, s6, 28
	s_delay_alu instid0(VALU_DEP_1)
	s_and_b32 vcc_lo, exec_lo, s0
	s_cbranch_vccz .LBB297_1886
; %bb.1882:
	v_cmp_gt_i16_e64 s0, s6, 43
	s_delay_alu instid0(VALU_DEP_1)
	s_and_b32 vcc_lo, exec_lo, s0
	;; [unrolled: 5-line block ×3, first 2 shown]
	s_cbranch_vccz .LBB297_1896
; %bb.1884:
	v_cmp_eq_u16_e64 s10, s6, 46
	s_mov_b32 s0, -1
	s_mov_b32 s11, 0
	s_delay_alu instid0(VALU_DEP_1)
	s_and_b32 vcc_lo, exec_lo, s10
	s_mov_b32 s10, 0
	s_cbranch_vccz .LBB297_1897
; %bb.1885:
	v_cvt_f32_i32_e32 v1, v2
	s_mov_b32 s0, 0
	s_mov_b32 s10, -1
	s_delay_alu instid0(VALU_DEP_1) | instskip(NEXT) | instid1(VALU_DEP_1)
	v_bfe_u32 v3, v1, 16, 1
	v_add3_u32 v1, v1, v3, 0x7fff
	s_delay_alu instid0(VALU_DEP_1)
	v_lshrrev_b32_e32 v1, 16, v1
	global_store_b32 v[4:5], v1, off
	s_branch .LBB297_1897
.LBB297_1886:
	s_mov_b32 s0, 0
	s_branch .LBB297_1907
.LBB297_1887:
	s_or_saveexec_b32 s12, s12
                                        ; implicit-def: $sgpr13
	s_delay_alu instid0(SALU_CYCLE_1)
	s_xor_b32 exec_lo, exec_lo, s12
	s_cbranch_execz .LBB297_1789
.LBB297_1888:
	v_add_f32_e64 v4, 0x46000000, |v2|
	s_and_not1_b32 s11, s11, exec_lo
	s_mov_b32 s13, 0
	s_delay_alu instid0(VALU_DEP_1) | instskip(NEXT) | instid1(VALU_DEP_1)
	v_and_b32_e32 v4, 0xff, v4
	v_cmp_ne_u32_e32 vcc_lo, 0, v4
	s_and_b32 s14, vcc_lo, exec_lo
	s_delay_alu instid0(SALU_CYCLE_1)
	s_or_b32 s11, s11, s14
	s_or_b32 exec_lo, exec_lo, s12
	v_mov_b32_e32 v7, s13
	s_and_saveexec_b32 s12, s11
	s_cbranch_execnz .LBB297_1790
	s_branch .LBB297_1791
.LBB297_1889:
	s_mov_b32 s0, 0
	s_branch .LBB297_1903
.LBB297_1890:
	s_trap 2
	s_sendmsg_rtn_b32 s0, sendmsg(MSG_RTN_GET_DOORBELL)
	s_mov_b32 ttmp2, m0
	s_waitcnt lgkmcnt(0)
	s_and_b32 s0, s0, 0x3ff
	s_delay_alu instid0(SALU_CYCLE_1) | instskip(NEXT) | instid1(SALU_CYCLE_1)
	s_bitset1_b32 s0, 10
	s_mov_b32 m0, s0
	s_sendmsg sendmsg(MSG_INTERRUPT)
	s_mov_b32 m0, ttmp2
.LBB297_1891:                           ; =>This Inner Loop Header: Depth=1
	s_sethalt 5
	s_branch .LBB297_1891
.LBB297_1892:
	s_cbranch_execnz .LBB297_2065
; %bb.1893:
	s_or_b32 s1, s1, exec_lo
	s_cbranch_execz .LBB297_1837
	s_branch .LBB297_1838
.LBB297_1894:
	s_or_saveexec_b32 s11, s11
                                        ; implicit-def: $sgpr12
	s_delay_alu instid0(SALU_CYCLE_1)
	s_xor_b32 exec_lo, exec_lo, s11
	s_cbranch_execz .LBB297_1802
.LBB297_1895:
	v_add_f32_e64 v4, 0x42800000, |v2|
	s_and_not1_b32 s10, s10, exec_lo
	s_mov_b32 s12, 0
	s_delay_alu instid0(VALU_DEP_1) | instskip(NEXT) | instid1(VALU_DEP_1)
	v_and_b32_e32 v4, 0xff, v4
	v_cmp_ne_u32_e32 vcc_lo, 0, v4
	s_and_b32 s13, vcc_lo, exec_lo
	s_delay_alu instid0(SALU_CYCLE_1)
	s_or_b32 s10, s10, s13
	s_or_b32 exec_lo, exec_lo, s11
	v_mov_b32_e32 v7, s12
	s_and_saveexec_b32 s11, s10
	s_cbranch_execnz .LBB297_1803
	s_branch .LBB297_1804
.LBB297_1896:
	s_mov_b32 s0, 0
.LBB297_1897:
	s_and_b32 vcc_lo, exec_lo, s11
	s_cbranch_vccz .LBB297_1902
; %bb.1898:
	v_cmp_eq_u16_e64 s0, s6, 44
	s_delay_alu instid0(VALU_DEP_1)
	s_and_b32 vcc_lo, exec_lo, s0
	s_mov_b32 s0, -1
	s_cbranch_vccz .LBB297_1902
; %bb.1899:
	v_cvt_f32_i32_e32 v1, v2
	v_mov_b32_e32 v3, 0xff
	s_mov_b32 s10, exec_lo
	s_delay_alu instid0(VALU_DEP_2) | instskip(NEXT) | instid1(VALU_DEP_1)
	v_bfe_u32 v6, v1, 23, 8
	v_cmpx_ne_u32_e32 0xff, v6
; %bb.1900:
	v_and_b32_e32 v3, 0x400000, v1
	v_and_or_b32 v6, 0x3fffff, v1, v6
	v_lshrrev_b32_e32 v1, 23, v1
	s_delay_alu instid0(VALU_DEP_3) | instskip(NEXT) | instid1(VALU_DEP_3)
	v_cmp_ne_u32_e32 vcc_lo, 0, v3
	v_cmp_ne_u32_e64 s0, 0, v6
	s_delay_alu instid0(VALU_DEP_1) | instskip(NEXT) | instid1(SALU_CYCLE_1)
	s_and_b32 s0, vcc_lo, s0
	v_cndmask_b32_e64 v3, 0, 1, s0
	s_delay_alu instid0(VALU_DEP_1)
	v_add_nc_u32_e32 v3, v1, v3
; %bb.1901:
	s_or_b32 exec_lo, exec_lo, s10
	s_mov_b32 s0, 0
	s_mov_b32 s10, -1
	global_store_b8 v[4:5], v3, off
.LBB297_1902:
	s_mov_b32 s11, 0
.LBB297_1903:
	s_delay_alu instid0(SALU_CYCLE_1)
	s_and_b32 vcc_lo, exec_lo, s11
	s_cbranch_vccz .LBB297_1906
; %bb.1904:
	v_cmp_eq_u16_e64 s0, s6, 29
	s_delay_alu instid0(VALU_DEP_1)
	s_and_b32 vcc_lo, exec_lo, s0
	s_mov_b32 s0, -1
	s_cbranch_vccz .LBB297_1906
; %bb.1905:
	v_ashrrev_i32_e32 v3, 31, v2
	s_mov_b32 s0, 0
	s_mov_b32 s10, -1
	s_mov_b32 s11, 0
	global_store_b64 v[4:5], v[2:3], off
	s_branch .LBB297_1907
.LBB297_1906:
	s_mov_b32 s11, 0
.LBB297_1907:
	s_delay_alu instid0(SALU_CYCLE_1)
	s_and_b32 vcc_lo, exec_lo, s11
	s_cbranch_vccz .LBB297_1923
; %bb.1908:
	v_cmp_lt_i16_e64 s10, s6, 27
	s_delay_alu instid0(VALU_DEP_1)
	s_and_b32 vcc_lo, exec_lo, s10
	s_mov_b32 s10, -1
	s_cbranch_vccnz .LBB297_1914
; %bb.1909:
	v_cmp_gt_i16_e64 s10, s6, 27
	s_delay_alu instid0(VALU_DEP_1)
	s_and_b32 vcc_lo, exec_lo, s10
	s_mov_b32 s10, -1
	s_cbranch_vccz .LBB297_1911
; %bb.1910:
	s_mov_b32 s10, 0
	global_store_b32 v[4:5], v2, off
.LBB297_1911:
	s_and_not1_b32 vcc_lo, exec_lo, s10
	s_cbranch_vccnz .LBB297_1913
; %bb.1912:
	global_store_b16 v[4:5], v2, off
.LBB297_1913:
	s_mov_b32 s10, 0
.LBB297_1914:
	s_delay_alu instid0(SALU_CYCLE_1)
	s_and_not1_b32 vcc_lo, exec_lo, s10
	s_cbranch_vccnz .LBB297_1922
; %bb.1915:
	v_cvt_f32_i32_e32 v1, v2
	v_mov_b32_e32 v6, 0x80
	s_mov_b32 s10, exec_lo
	s_delay_alu instid0(VALU_DEP_2) | instskip(NEXT) | instid1(VALU_DEP_1)
	v_and_b32_e32 v3, 0x7fffffff, v1
	v_cmpx_gt_u32_e32 0x43800000, v3
	s_cbranch_execz .LBB297_1921
; %bb.1916:
	v_cmp_lt_u32_e32 vcc_lo, 0x3bffffff, v3
	s_mov_b32 s11, 0
                                        ; implicit-def: $vgpr3
	s_and_saveexec_b32 s12, vcc_lo
	s_delay_alu instid0(SALU_CYCLE_1)
	s_xor_b32 s12, exec_lo, s12
	s_cbranch_execz .LBB297_2062
; %bb.1917:
	v_bfe_u32 v3, v1, 20, 1
	s_mov_b32 s11, exec_lo
	s_delay_alu instid0(VALU_DEP_1) | instskip(NEXT) | instid1(VALU_DEP_1)
	v_add3_u32 v3, v1, v3, 0x487ffff
	v_lshrrev_b32_e32 v3, 20, v3
	s_or_saveexec_b32 s12, s12
                                        ; implicit-def: $sgpr13
	s_delay_alu instid0(SALU_CYCLE_1)
	s_xor_b32 exec_lo, exec_lo, s12
	s_cbranch_execnz .LBB297_2063
.LBB297_1918:
	s_or_b32 exec_lo, exec_lo, s12
	v_mov_b32_e32 v6, s13
	s_and_saveexec_b32 s12, s11
.LBB297_1919:
	v_lshrrev_b32_e32 v1, 24, v1
	s_delay_alu instid0(VALU_DEP_1)
	v_and_or_b32 v6, 0x80, v1, v3
.LBB297_1920:
	s_or_b32 exec_lo, exec_lo, s12
.LBB297_1921:
	s_delay_alu instid0(SALU_CYCLE_1)
	s_or_b32 exec_lo, exec_lo, s10
	global_store_b8 v[4:5], v6, off
.LBB297_1922:
	s_mov_b32 s10, -1
.LBB297_1923:
	s_mov_b32 s11, 0
.LBB297_1924:
	s_delay_alu instid0(SALU_CYCLE_1)
	s_and_b32 vcc_lo, exec_lo, s11
	s_cbranch_vccz .LBB297_1964
; %bb.1925:
	v_cmp_gt_i16_e64 s7, s6, 22
	s_delay_alu instid0(VALU_DEP_1)
	s_and_b32 vcc_lo, exec_lo, s7
	s_mov_b32 s7, -1
	s_cbranch_vccz .LBB297_1957
; %bb.1926:
	v_cmp_lt_i16_e64 s7, s6, 24
	s_delay_alu instid0(VALU_DEP_1)
	s_and_b32 vcc_lo, exec_lo, s7
	s_mov_b32 s7, -1
	s_cbranch_vccnz .LBB297_1946
; %bb.1927:
	v_cmp_gt_i16_e64 s7, s6, 24
	s_delay_alu instid0(VALU_DEP_1)
	s_and_b32 vcc_lo, exec_lo, s7
	s_mov_b32 s7, -1
	s_cbranch_vccz .LBB297_1935
; %bb.1928:
	v_cvt_f32_i32_e32 v1, v2
	v_mov_b32_e32 v6, 0x80
	s_mov_b32 s7, exec_lo
	s_delay_alu instid0(VALU_DEP_2) | instskip(NEXT) | instid1(VALU_DEP_1)
	v_and_b32_e32 v3, 0x7fffffff, v1
	v_cmpx_gt_u32_e32 0x47800000, v3
	s_cbranch_execz .LBB297_1934
; %bb.1929:
	v_cmp_lt_u32_e32 vcc_lo, 0x37ffffff, v3
	s_mov_b32 s10, 0
                                        ; implicit-def: $vgpr3
	s_and_saveexec_b32 s11, vcc_lo
	s_delay_alu instid0(SALU_CYCLE_1)
	s_xor_b32 s11, exec_lo, s11
	s_cbranch_execz .LBB297_2069
; %bb.1930:
	v_bfe_u32 v3, v1, 21, 1
	s_mov_b32 s10, exec_lo
	s_delay_alu instid0(VALU_DEP_1) | instskip(NEXT) | instid1(VALU_DEP_1)
	v_add3_u32 v3, v1, v3, 0x88fffff
	v_lshrrev_b32_e32 v3, 21, v3
	s_or_saveexec_b32 s11, s11
                                        ; implicit-def: $sgpr12
	s_delay_alu instid0(SALU_CYCLE_1)
	s_xor_b32 exec_lo, exec_lo, s11
	s_cbranch_execnz .LBB297_2070
.LBB297_1931:
	s_or_b32 exec_lo, exec_lo, s11
	v_mov_b32_e32 v6, s12
	s_and_saveexec_b32 s11, s10
.LBB297_1932:
	v_lshrrev_b32_e32 v1, 24, v1
	s_delay_alu instid0(VALU_DEP_1)
	v_and_or_b32 v6, 0x80, v1, v3
.LBB297_1933:
	s_or_b32 exec_lo, exec_lo, s11
.LBB297_1934:
	s_delay_alu instid0(SALU_CYCLE_1)
	s_or_b32 exec_lo, exec_lo, s7
	s_mov_b32 s7, 0
	global_store_b8 v[4:5], v6, off
.LBB297_1935:
	s_and_b32 vcc_lo, exec_lo, s7
	s_cbranch_vccz .LBB297_1945
; %bb.1936:
	v_cvt_f32_i32_e32 v1, v2
	s_mov_b32 s7, exec_lo
                                        ; implicit-def: $vgpr3
	s_delay_alu instid0(VALU_DEP_1) | instskip(NEXT) | instid1(VALU_DEP_1)
	v_and_b32_e32 v6, 0x7fffffff, v1
	v_cmpx_gt_u32_e32 0x43f00000, v6
	s_xor_b32 s7, exec_lo, s7
	s_cbranch_execz .LBB297_1942
; %bb.1937:
	s_mov_b32 s10, exec_lo
                                        ; implicit-def: $vgpr3
	v_cmpx_lt_u32_e32 0x3c7fffff, v6
	s_xor_b32 s10, exec_lo, s10
; %bb.1938:
	v_bfe_u32 v3, v1, 20, 1
	s_delay_alu instid0(VALU_DEP_1) | instskip(NEXT) | instid1(VALU_DEP_1)
	v_add3_u32 v3, v1, v3, 0x407ffff
	v_and_b32_e32 v6, 0xff00000, v3
	v_lshrrev_b32_e32 v3, 20, v3
	s_delay_alu instid0(VALU_DEP_2) | instskip(NEXT) | instid1(VALU_DEP_2)
	v_cmp_ne_u32_e32 vcc_lo, 0x7f00000, v6
	v_cndmask_b32_e32 v3, 0x7e, v3, vcc_lo
; %bb.1939:
	s_and_not1_saveexec_b32 s10, s10
; %bb.1940:
	v_add_f32_e64 v3, 0x46800000, |v1|
; %bb.1941:
	s_or_b32 exec_lo, exec_lo, s10
                                        ; implicit-def: $vgpr6
.LBB297_1942:
	s_and_not1_saveexec_b32 s7, s7
; %bb.1943:
	v_mov_b32_e32 v3, 0x7f
	v_cmp_lt_u32_e32 vcc_lo, 0x7f800000, v6
	s_delay_alu instid0(VALU_DEP_2)
	v_cndmask_b32_e32 v3, 0x7e, v3, vcc_lo
; %bb.1944:
	s_or_b32 exec_lo, exec_lo, s7
	v_lshrrev_b32_e32 v1, 24, v1
	s_delay_alu instid0(VALU_DEP_1)
	v_and_or_b32 v1, 0x80, v1, v3
	global_store_b8 v[4:5], v1, off
.LBB297_1945:
	s_mov_b32 s7, 0
.LBB297_1946:
	s_delay_alu instid0(SALU_CYCLE_1)
	s_and_not1_b32 vcc_lo, exec_lo, s7
	s_cbranch_vccnz .LBB297_1956
; %bb.1947:
	v_cvt_f32_i32_e32 v1, v2
	s_mov_b32 s7, exec_lo
                                        ; implicit-def: $vgpr3
	s_delay_alu instid0(VALU_DEP_1) | instskip(NEXT) | instid1(VALU_DEP_1)
	v_and_b32_e32 v6, 0x7fffffff, v1
	v_cmpx_gt_u32_e32 0x47800000, v6
	s_xor_b32 s7, exec_lo, s7
	s_cbranch_execz .LBB297_1953
; %bb.1948:
	s_mov_b32 s10, exec_lo
                                        ; implicit-def: $vgpr3
	v_cmpx_lt_u32_e32 0x387fffff, v6
	s_xor_b32 s10, exec_lo, s10
; %bb.1949:
	v_bfe_u32 v3, v1, 21, 1
	s_delay_alu instid0(VALU_DEP_1) | instskip(NEXT) | instid1(VALU_DEP_1)
	v_add3_u32 v3, v1, v3, 0x80fffff
	v_lshrrev_b32_e32 v3, 21, v3
; %bb.1950:
	s_and_not1_saveexec_b32 s10, s10
; %bb.1951:
	v_add_f32_e64 v3, 0x43000000, |v1|
; %bb.1952:
	s_or_b32 exec_lo, exec_lo, s10
                                        ; implicit-def: $vgpr6
.LBB297_1953:
	s_and_not1_saveexec_b32 s7, s7
; %bb.1954:
	v_mov_b32_e32 v3, 0x7f
	v_cmp_lt_u32_e32 vcc_lo, 0x7f800000, v6
	s_delay_alu instid0(VALU_DEP_2)
	v_cndmask_b32_e32 v3, 0x7c, v3, vcc_lo
; %bb.1955:
	s_or_b32 exec_lo, exec_lo, s7
	v_lshrrev_b32_e32 v1, 24, v1
	s_delay_alu instid0(VALU_DEP_1)
	v_and_or_b32 v1, 0x80, v1, v3
	global_store_b8 v[4:5], v1, off
.LBB297_1956:
	s_mov_b32 s7, 0
	s_mov_b32 s10, -1
.LBB297_1957:
	s_and_not1_b32 vcc_lo, exec_lo, s7
	s_mov_b32 s7, 0
	s_cbranch_vccnz .LBB297_1964
; %bb.1958:
	v_cmp_gt_i16_e64 s7, s6, 14
	s_delay_alu instid0(VALU_DEP_1)
	s_and_b32 vcc_lo, exec_lo, s7
	s_mov_b32 s7, -1
	s_cbranch_vccz .LBB297_1962
; %bb.1959:
	v_cmp_eq_u16_e64 s0, s6, 15
	s_delay_alu instid0(VALU_DEP_1)
	s_and_b32 vcc_lo, exec_lo, s0
	s_mov_b32 s0, -1
	s_cbranch_vccz .LBB297_1961
; %bb.1960:
	v_cvt_f32_i32_e32 v1, v2
	s_mov_b32 s0, 0
	s_mov_b32 s10, -1
	s_delay_alu instid0(VALU_DEP_1) | instskip(NEXT) | instid1(VALU_DEP_1)
	v_bfe_u32 v3, v1, 16, 1
	v_add3_u32 v1, v1, v3, 0x7fff
	global_store_d16_hi_b16 v[4:5], v1, off
.LBB297_1961:
	s_mov_b32 s7, 0
.LBB297_1962:
	s_delay_alu instid0(SALU_CYCLE_1)
	s_and_b32 vcc_lo, exec_lo, s7
	s_mov_b32 s7, 0
	s_cbranch_vccz .LBB297_1964
; %bb.1963:
	v_cmp_ne_u16_e64 s0, s6, 11
	s_mov_b32 s7, -1
.LBB297_1964:
	s_delay_alu instid0(VALU_DEP_1)
	s_and_b32 vcc_lo, exec_lo, s0
	s_cbranch_vccnz .LBB297_2067
; %bb.1965:
	s_and_not1_b32 vcc_lo, exec_lo, s7
	s_cbranch_vccnz .LBB297_1967
.LBB297_1966:
	v_cmp_ne_u32_e32 vcc_lo, 0, v2
	s_mov_b32 s10, -1
	v_cndmask_b32_e64 v1, 0, 1, vcc_lo
	global_store_b8 v[4:5], v1, off
.LBB297_1967:
	s_mov_b32 s0, 0
.LBB297_1968:
	s_delay_alu instid0(SALU_CYCLE_1)
	s_and_b32 vcc_lo, exec_lo, s0
	s_cbranch_vccz .LBB297_2007
; %bb.1969:
	v_cmp_lt_i16_e64 s0, s6, 5
	s_delay_alu instid0(VALU_DEP_1)
	s_and_b32 vcc_lo, exec_lo, s0
	s_mov_b32 s0, -1
	s_cbranch_vccnz .LBB297_1990
; %bb.1970:
	v_cmp_lt_i16_e64 s0, s6, 8
	s_delay_alu instid0(VALU_DEP_1)
	s_and_b32 vcc_lo, exec_lo, s0
	s_mov_b32 s0, -1
	s_cbranch_vccnz .LBB297_1980
	;; [unrolled: 6-line block ×3, first 2 shown]
; %bb.1972:
	v_cmp_gt_i16_e64 s0, s6, 9
	s_delay_alu instid0(VALU_DEP_1)
	s_and_b32 vcc_lo, exec_lo, s0
	s_mov_b32 s0, -1
	s_cbranch_vccz .LBB297_1974
; %bb.1973:
	v_cvt_f64_i32_e32 v[9:10], v2
	v_mov_b32_e32 v11, 0
	s_mov_b32 s0, 0
	s_delay_alu instid0(VALU_DEP_1)
	v_mov_b32_e32 v12, v11
	global_store_b128 v[4:5], v[9:12], off
.LBB297_1974:
	s_and_not1_b32 vcc_lo, exec_lo, s0
	s_cbranch_vccnz .LBB297_1976
; %bb.1975:
	v_cvt_f32_i32_e32 v6, v2
	v_mov_b32_e32 v7, 0
	global_store_b64 v[4:5], v[6:7], off
.LBB297_1976:
	s_mov_b32 s0, 0
.LBB297_1977:
	s_delay_alu instid0(SALU_CYCLE_1)
	s_and_not1_b32 vcc_lo, exec_lo, s0
	s_cbranch_vccnz .LBB297_1979
; %bb.1978:
	v_cvt_f32_i32_e32 v1, v2
	s_delay_alu instid0(VALU_DEP_1) | instskip(NEXT) | instid1(VALU_DEP_1)
	v_cvt_f16_f32_e32 v1, v1
	v_and_b32_e32 v1, 0xffff, v1
	global_store_b32 v[4:5], v1, off
.LBB297_1979:
	s_mov_b32 s0, 0
.LBB297_1980:
	s_delay_alu instid0(SALU_CYCLE_1)
	s_and_not1_b32 vcc_lo, exec_lo, s0
	s_cbranch_vccnz .LBB297_1989
; %bb.1981:
	v_cmp_lt_i16_e64 s0, s6, 6
	s_delay_alu instid0(VALU_DEP_1)
	s_and_b32 vcc_lo, exec_lo, s0
	s_mov_b32 s0, -1
	s_cbranch_vccnz .LBB297_1987
; %bb.1982:
	v_cmp_gt_i16_e64 s0, s6, 6
	s_delay_alu instid0(VALU_DEP_1)
	s_and_b32 vcc_lo, exec_lo, s0
	s_mov_b32 s0, -1
	s_cbranch_vccz .LBB297_1984
; %bb.1983:
	v_cvt_f64_i32_e32 v[6:7], v2
	s_mov_b32 s0, 0
	global_store_b64 v[4:5], v[6:7], off
.LBB297_1984:
	s_and_not1_b32 vcc_lo, exec_lo, s0
	s_cbranch_vccnz .LBB297_1986
; %bb.1985:
	v_cvt_f32_i32_e32 v1, v2
	global_store_b32 v[4:5], v1, off
.LBB297_1986:
	s_mov_b32 s0, 0
.LBB297_1987:
	s_delay_alu instid0(SALU_CYCLE_1)
	s_and_not1_b32 vcc_lo, exec_lo, s0
	s_cbranch_vccnz .LBB297_1989
; %bb.1988:
	v_cvt_f32_i32_e32 v1, v2
	s_delay_alu instid0(VALU_DEP_1)
	v_cvt_f16_f32_e32 v1, v1
	global_store_b16 v[4:5], v1, off
.LBB297_1989:
	s_mov_b32 s0, 0
.LBB297_1990:
	s_delay_alu instid0(SALU_CYCLE_1)
	s_and_not1_b32 vcc_lo, exec_lo, s0
	s_cbranch_vccnz .LBB297_2006
; %bb.1991:
	v_cmp_lt_i16_e64 s0, s6, 2
	s_delay_alu instid0(VALU_DEP_1)
	s_and_b32 vcc_lo, exec_lo, s0
	s_mov_b32 s0, -1
	s_cbranch_vccnz .LBB297_2001
; %bb.1992:
	v_cmp_lt_i16_e64 s0, s6, 3
	s_delay_alu instid0(VALU_DEP_1)
	s_and_b32 vcc_lo, exec_lo, s0
	s_mov_b32 s0, -1
	s_cbranch_vccnz .LBB297_1998
; %bb.1993:
	v_cmp_gt_i16_e64 s0, s6, 3
	s_delay_alu instid0(VALU_DEP_1)
	s_and_b32 vcc_lo, exec_lo, s0
	s_mov_b32 s0, -1
	s_cbranch_vccz .LBB297_1995
; %bb.1994:
	v_ashrrev_i32_e32 v3, 31, v2
	s_mov_b32 s0, 0
	global_store_b64 v[4:5], v[2:3], off
.LBB297_1995:
	s_and_not1_b32 vcc_lo, exec_lo, s0
	s_cbranch_vccnz .LBB297_1997
; %bb.1996:
	global_store_b32 v[4:5], v2, off
.LBB297_1997:
	s_mov_b32 s0, 0
.LBB297_1998:
	s_delay_alu instid0(SALU_CYCLE_1)
	s_and_not1_b32 vcc_lo, exec_lo, s0
	s_cbranch_vccnz .LBB297_2000
; %bb.1999:
	global_store_b16 v[4:5], v2, off
.LBB297_2000:
	s_mov_b32 s0, 0
.LBB297_2001:
	s_delay_alu instid0(SALU_CYCLE_1)
	s_and_not1_b32 vcc_lo, exec_lo, s0
	s_cbranch_vccnz .LBB297_2006
; %bb.2002:
	v_cmp_gt_i16_e64 s0, s6, 0
	s_delay_alu instid0(VALU_DEP_1)
	s_and_b32 vcc_lo, exec_lo, s0
	s_mov_b32 s0, -1
	s_cbranch_vccz .LBB297_2004
; %bb.2003:
	s_mov_b32 s0, 0
	global_store_b8 v[4:5], v2, off
.LBB297_2004:
	s_and_not1_b32 vcc_lo, exec_lo, s0
	s_cbranch_vccnz .LBB297_2006
; %bb.2005:
	global_store_b8 v[4:5], v2, off
.LBB297_2006:
	s_mov_b32 s10, -1
.LBB297_2007:
	s_delay_alu instid0(SALU_CYCLE_1)
	s_and_not1_b32 vcc_lo, exec_lo, s10
	s_cbranch_vccnz .LBB297_2016
; %bb.2008:
	v_maxmin_i32 v2, v8, s2, s3
	v_cmp_lt_i16_e64 s0, s6, 11
	v_add_co_u32 v0, s3, s4, v0
	s_delay_alu instid0(VALU_DEP_1) | instskip(SKIP_1) | instid1(VALU_DEP_3)
	v_add_co_ci_u32_e64 v1, null, s5, 0, s3
	s_mov_b32 s2, 0
	s_and_b32 vcc_lo, exec_lo, s0
	s_mov_b32 s0, -1
	s_cbranch_vccnz .LBB297_2017
; %bb.2009:
	v_cmp_gt_i16_e64 s0, s6, 25
	s_mov_b32 s3, -1
	s_delay_alu instid0(VALU_DEP_1)
	s_and_b32 vcc_lo, exec_lo, s0
	s_mov_b32 s0, 0
	s_cbranch_vccz .LBB297_2098
; %bb.2010:
	v_cmp_gt_i16_e64 s0, s6, 28
	s_delay_alu instid0(VALU_DEP_1)
	s_and_b32 vcc_lo, exec_lo, s0
	s_cbranch_vccz .LBB297_2061
; %bb.2011:
	v_cmp_gt_i16_e64 s0, s6, 43
	s_delay_alu instid0(VALU_DEP_1)
	s_and_b32 vcc_lo, exec_lo, s0
	;; [unrolled: 5-line block ×3, first 2 shown]
	s_cbranch_vccz .LBB297_2071
; %bb.2013:
	v_cmp_eq_u16_e64 s0, s6, 46
	s_delay_alu instid0(VALU_DEP_1)
	s_and_b32 vcc_lo, exec_lo, s0
	s_mov_b32 s0, -1
	s_cbranch_vccz .LBB297_2015
; %bb.2014:
	v_cvt_f32_i32_e32 v3, v2
	s_mov_b32 s0, 0
	s_delay_alu instid0(VALU_DEP_1) | instskip(NEXT) | instid1(VALU_DEP_1)
	v_bfe_u32 v4, v3, 16, 1
	v_add3_u32 v3, v3, v4, 0x7fff
	s_delay_alu instid0(VALU_DEP_1)
	v_lshrrev_b32_e32 v3, 16, v3
	global_store_b32 v[0:1], v3, off
.LBB297_2015:
	s_mov_b32 s3, 0
	s_branch .LBB297_2072
.LBB297_2016:
	s_mov_b32 s0, 0
	s_mov_b32 s2, 0
                                        ; implicit-def: $vgpr0_vgpr1
                                        ; implicit-def: $sgpr6
                                        ; implicit-def: $vgpr2
.LBB297_2017:
	s_and_b32 s3, s0, exec_lo
	s_and_not1_b32 s0, s8, exec_lo
	s_and_b32 s1, s1, exec_lo
	s_and_b32 s28, s2, exec_lo
	s_or_b32 s8, s0, s1
.LBB297_2018:
	s_or_b32 exec_lo, exec_lo, s9
	s_and_saveexec_b32 s0, s8
	s_cbranch_execz .LBB297_2021
; %bb.2019:
	; divergent unreachable
	s_or_b32 exec_lo, exec_lo, s0
	s_and_saveexec_b32 s0, s28
	s_delay_alu instid0(SALU_CYCLE_1)
	s_xor_b32 s0, exec_lo, s0
	s_cbranch_execnz .LBB297_2022
.LBB297_2020:
	s_or_b32 exec_lo, exec_lo, s0
	s_and_saveexec_b32 s0, s3
	s_cbranch_execnz .LBB297_2023
	s_branch .LBB297_2060
.LBB297_2021:
	s_or_b32 exec_lo, exec_lo, s0
	s_and_saveexec_b32 s0, s28
	s_delay_alu instid0(SALU_CYCLE_1)
	s_xor_b32 s0, exec_lo, s0
	s_cbranch_execz .LBB297_2020
.LBB297_2022:
	v_cmp_ne_u32_e32 vcc_lo, 0, v2
	s_waitcnt vmcnt(0)
	v_cndmask_b32_e64 v3, 0, 1, vcc_lo
	global_store_b8 v[0:1], v3, off
	s_or_b32 exec_lo, exec_lo, s0
	s_and_saveexec_b32 s0, s3
	s_cbranch_execz .LBB297_2060
.LBB297_2023:
	v_cmp_lt_i16_e64 s0, s6, 5
	s_delay_alu instid0(VALU_DEP_1)
	s_and_b32 vcc_lo, exec_lo, s0
	s_mov_b32 s0, -1
	s_cbranch_vccnz .LBB297_2044
; %bb.2024:
	v_cmp_lt_i16_e64 s0, s6, 8
	s_delay_alu instid0(VALU_DEP_1)
	s_and_b32 vcc_lo, exec_lo, s0
	s_mov_b32 s0, -1
	s_cbranch_vccnz .LBB297_2034
; %bb.2025:
	;; [unrolled: 6-line block ×3, first 2 shown]
	v_cmp_gt_i16_e64 s0, s6, 9
	s_delay_alu instid0(VALU_DEP_1)
	s_and_b32 vcc_lo, exec_lo, s0
	s_mov_b32 s0, -1
	s_cbranch_vccz .LBB297_2028
; %bb.2027:
	s_waitcnt vmcnt(0)
	v_cvt_f64_i32_e32 v[3:4], v2
	v_mov_b32_e32 v5, 0
	s_mov_b32 s0, 0
	s_delay_alu instid0(VALU_DEP_1)
	v_mov_b32_e32 v6, v5
	global_store_b128 v[0:1], v[3:6], off
.LBB297_2028:
	s_and_not1_b32 vcc_lo, exec_lo, s0
	s_cbranch_vccnz .LBB297_2030
; %bb.2029:
	s_waitcnt vmcnt(0)
	v_cvt_f32_i32_e32 v3, v2
	v_mov_b32_e32 v4, 0
	global_store_b64 v[0:1], v[3:4], off
.LBB297_2030:
	s_mov_b32 s0, 0
.LBB297_2031:
	s_delay_alu instid0(SALU_CYCLE_1)
	s_and_not1_b32 vcc_lo, exec_lo, s0
	s_cbranch_vccnz .LBB297_2033
; %bb.2032:
	s_waitcnt vmcnt(0)
	v_cvt_f32_i32_e32 v3, v2
	s_delay_alu instid0(VALU_DEP_1) | instskip(NEXT) | instid1(VALU_DEP_1)
	v_cvt_f16_f32_e32 v3, v3
	v_and_b32_e32 v3, 0xffff, v3
	global_store_b32 v[0:1], v3, off
.LBB297_2033:
	s_mov_b32 s0, 0
.LBB297_2034:
	s_delay_alu instid0(SALU_CYCLE_1)
	s_and_not1_b32 vcc_lo, exec_lo, s0
	s_cbranch_vccnz .LBB297_2043
; %bb.2035:
	v_cmp_lt_i16_e64 s0, s6, 6
	s_delay_alu instid0(VALU_DEP_1)
	s_and_b32 vcc_lo, exec_lo, s0
	s_mov_b32 s0, -1
	s_cbranch_vccnz .LBB297_2041
; %bb.2036:
	v_cmp_gt_i16_e64 s0, s6, 6
	s_delay_alu instid0(VALU_DEP_1)
	s_and_b32 vcc_lo, exec_lo, s0
	s_mov_b32 s0, -1
	s_cbranch_vccz .LBB297_2038
; %bb.2037:
	s_waitcnt vmcnt(0)
	v_cvt_f64_i32_e32 v[3:4], v2
	s_mov_b32 s0, 0
	global_store_b64 v[0:1], v[3:4], off
.LBB297_2038:
	s_and_not1_b32 vcc_lo, exec_lo, s0
	s_cbranch_vccnz .LBB297_2040
; %bb.2039:
	s_waitcnt vmcnt(0)
	v_cvt_f32_i32_e32 v3, v2
	global_store_b32 v[0:1], v3, off
.LBB297_2040:
	s_mov_b32 s0, 0
.LBB297_2041:
	s_delay_alu instid0(SALU_CYCLE_1)
	s_and_not1_b32 vcc_lo, exec_lo, s0
	s_cbranch_vccnz .LBB297_2043
; %bb.2042:
	s_waitcnt vmcnt(0)
	v_cvt_f32_i32_e32 v3, v2
	s_delay_alu instid0(VALU_DEP_1)
	v_cvt_f16_f32_e32 v3, v3
	global_store_b16 v[0:1], v3, off
.LBB297_2043:
	s_mov_b32 s0, 0
.LBB297_2044:
	s_delay_alu instid0(SALU_CYCLE_1)
	s_and_not1_b32 vcc_lo, exec_lo, s0
	s_cbranch_vccnz .LBB297_2060
; %bb.2045:
	v_cmp_lt_i16_e64 s0, s6, 2
	s_delay_alu instid0(VALU_DEP_1)
	s_and_b32 vcc_lo, exec_lo, s0
	s_mov_b32 s0, -1
	s_cbranch_vccnz .LBB297_2055
; %bb.2046:
	v_cmp_lt_i16_e64 s0, s6, 3
	s_delay_alu instid0(VALU_DEP_1)
	s_and_b32 vcc_lo, exec_lo, s0
	s_mov_b32 s0, -1
	s_cbranch_vccnz .LBB297_2052
; %bb.2047:
	v_cmp_gt_i16_e64 s0, s6, 3
	s_delay_alu instid0(VALU_DEP_1)
	s_and_b32 vcc_lo, exec_lo, s0
	s_mov_b32 s0, -1
	s_cbranch_vccz .LBB297_2049
; %bb.2048:
	s_waitcnt vmcnt(0)
	v_ashrrev_i32_e32 v3, 31, v2
	s_mov_b32 s0, 0
	global_store_b64 v[0:1], v[2:3], off
.LBB297_2049:
	s_and_not1_b32 vcc_lo, exec_lo, s0
	s_cbranch_vccnz .LBB297_2051
; %bb.2050:
	global_store_b32 v[0:1], v2, off
.LBB297_2051:
	s_mov_b32 s0, 0
.LBB297_2052:
	s_delay_alu instid0(SALU_CYCLE_1)
	s_and_not1_b32 vcc_lo, exec_lo, s0
	s_cbranch_vccnz .LBB297_2054
; %bb.2053:
	global_store_b16 v[0:1], v2, off
.LBB297_2054:
	s_mov_b32 s0, 0
.LBB297_2055:
	s_delay_alu instid0(SALU_CYCLE_1)
	s_and_not1_b32 vcc_lo, exec_lo, s0
	s_cbranch_vccnz .LBB297_2060
; %bb.2056:
	v_cmp_gt_i16_e64 s0, s6, 0
	s_delay_alu instid0(VALU_DEP_1)
	s_and_b32 vcc_lo, exec_lo, s0
	s_mov_b32 s0, -1
	s_cbranch_vccz .LBB297_2058
; %bb.2057:
	s_mov_b32 s0, 0
	global_store_b8 v[0:1], v2, off
.LBB297_2058:
	s_and_not1_b32 vcc_lo, exec_lo, s0
	s_cbranch_vccnz .LBB297_2060
; %bb.2059:
	global_store_b8 v[0:1], v2, off
	s_nop 0
	s_sendmsg sendmsg(MSG_DEALLOC_VGPRS)
	s_endpgm
.LBB297_2060:
	s_nop 0
	s_sendmsg sendmsg(MSG_DEALLOC_VGPRS)
	s_endpgm
.LBB297_2061:
	s_mov_b32 s0, 0
	s_branch .LBB297_2082
.LBB297_2062:
	s_or_saveexec_b32 s12, s12
                                        ; implicit-def: $sgpr13
	s_delay_alu instid0(SALU_CYCLE_1)
	s_xor_b32 exec_lo, exec_lo, s12
	s_cbranch_execz .LBB297_1918
.LBB297_2063:
	v_add_f32_e64 v3, 0x46000000, |v1|
	s_and_not1_b32 s11, s11, exec_lo
	s_mov_b32 s13, 0
	s_delay_alu instid0(VALU_DEP_1) | instskip(NEXT) | instid1(VALU_DEP_1)
	v_and_b32_e32 v3, 0xff, v3
	v_cmp_ne_u32_e32 vcc_lo, 0, v3
	s_and_b32 s14, vcc_lo, exec_lo
	s_delay_alu instid0(SALU_CYCLE_1)
	s_or_b32 s11, s11, s14
	s_or_b32 exec_lo, exec_lo, s12
	v_mov_b32_e32 v6, s13
	s_and_saveexec_b32 s12, s11
	s_cbranch_execnz .LBB297_1919
	s_branch .LBB297_1920
.LBB297_2064:
	s_mov_b32 s0, 0
	s_branch .LBB297_2078
.LBB297_2065:
	s_trap 2
	s_sendmsg_rtn_b32 s0, sendmsg(MSG_RTN_GET_DOORBELL)
	s_mov_b32 ttmp2, m0
	s_waitcnt lgkmcnt(0)
	s_and_b32 s0, s0, 0x3ff
	s_delay_alu instid0(SALU_CYCLE_1) | instskip(NEXT) | instid1(SALU_CYCLE_1)
	s_bitset1_b32 s0, 10
	s_mov_b32 m0, s0
	s_sendmsg sendmsg(MSG_INTERRUPT)
	s_mov_b32 m0, ttmp2
.LBB297_2066:                           ; =>This Inner Loop Header: Depth=1
	s_sethalt 5
	s_branch .LBB297_2066
.LBB297_2067:
	s_cbranch_execnz .LBB297_2142
; %bb.2068:
	s_or_b32 s1, s1, exec_lo
	s_cbranch_execz .LBB297_1966
	s_branch .LBB297_1967
.LBB297_2069:
	s_or_saveexec_b32 s11, s11
                                        ; implicit-def: $sgpr12
	s_delay_alu instid0(SALU_CYCLE_1)
	s_xor_b32 exec_lo, exec_lo, s11
	s_cbranch_execz .LBB297_1931
.LBB297_2070:
	v_add_f32_e64 v3, 0x42800000, |v1|
	s_and_not1_b32 s10, s10, exec_lo
	s_mov_b32 s12, 0
	s_delay_alu instid0(VALU_DEP_1) | instskip(NEXT) | instid1(VALU_DEP_1)
	v_and_b32_e32 v3, 0xff, v3
	v_cmp_ne_u32_e32 vcc_lo, 0, v3
	s_and_b32 s13, vcc_lo, exec_lo
	s_delay_alu instid0(SALU_CYCLE_1)
	s_or_b32 s10, s10, s13
	s_or_b32 exec_lo, exec_lo, s11
	v_mov_b32_e32 v6, s12
	s_and_saveexec_b32 s11, s10
	s_cbranch_execnz .LBB297_1932
	s_branch .LBB297_1933
.LBB297_2071:
	s_mov_b32 s0, 0
.LBB297_2072:
	s_and_b32 vcc_lo, exec_lo, s3
	s_cbranch_vccz .LBB297_2077
; %bb.2073:
	v_cmp_eq_u16_e64 s0, s6, 44
	s_delay_alu instid0(VALU_DEP_1)
	s_and_b32 vcc_lo, exec_lo, s0
	s_mov_b32 s0, -1
	s_cbranch_vccz .LBB297_2077
; %bb.2074:
	v_cvt_f32_i32_e32 v3, v2
	v_mov_b32_e32 v4, 0xff
	s_mov_b32 s3, exec_lo
	s_delay_alu instid0(VALU_DEP_2) | instskip(NEXT) | instid1(VALU_DEP_1)
	v_bfe_u32 v5, v3, 23, 8
	v_cmpx_ne_u32_e32 0xff, v5
; %bb.2075:
	v_and_b32_e32 v4, 0x400000, v3
	v_and_or_b32 v5, 0x3fffff, v3, v5
	v_lshrrev_b32_e32 v3, 23, v3
	s_delay_alu instid0(VALU_DEP_3) | instskip(NEXT) | instid1(VALU_DEP_3)
	v_cmp_ne_u32_e32 vcc_lo, 0, v4
	v_cmp_ne_u32_e64 s0, 0, v5
	s_delay_alu instid0(VALU_DEP_1) | instskip(NEXT) | instid1(SALU_CYCLE_1)
	s_and_b32 s0, vcc_lo, s0
	v_cndmask_b32_e64 v4, 0, 1, s0
	s_delay_alu instid0(VALU_DEP_1)
	v_add_nc_u32_e32 v4, v3, v4
; %bb.2076:
	s_or_b32 exec_lo, exec_lo, s3
	s_mov_b32 s0, 0
	global_store_b8 v[0:1], v4, off
.LBB297_2077:
	s_mov_b32 s3, 0
.LBB297_2078:
	s_delay_alu instid0(SALU_CYCLE_1)
	s_and_b32 vcc_lo, exec_lo, s3
	s_cbranch_vccz .LBB297_2081
; %bb.2079:
	v_cmp_eq_u16_e64 s0, s6, 29
	s_delay_alu instid0(VALU_DEP_1)
	s_and_b32 vcc_lo, exec_lo, s0
	s_mov_b32 s0, -1
	s_cbranch_vccz .LBB297_2081
; %bb.2080:
	v_ashrrev_i32_e32 v3, 31, v2
	s_mov_b32 s0, 0
	global_store_b64 v[0:1], v[2:3], off
.LBB297_2081:
	s_mov_b32 s3, 0
.LBB297_2082:
	s_delay_alu instid0(SALU_CYCLE_1)
	s_and_b32 vcc_lo, exec_lo, s3
	s_cbranch_vccz .LBB297_2097
; %bb.2083:
	v_cmp_lt_i16_e64 s3, s6, 27
	s_delay_alu instid0(VALU_DEP_1)
	s_and_b32 vcc_lo, exec_lo, s3
	s_mov_b32 s3, -1
	s_cbranch_vccnz .LBB297_2089
; %bb.2084:
	v_cmp_gt_i16_e64 s3, s6, 27
	s_delay_alu instid0(VALU_DEP_1)
	s_and_b32 vcc_lo, exec_lo, s3
	s_mov_b32 s3, -1
	s_cbranch_vccz .LBB297_2086
; %bb.2085:
	s_mov_b32 s3, 0
	global_store_b32 v[0:1], v2, off
.LBB297_2086:
	s_and_not1_b32 vcc_lo, exec_lo, s3
	s_cbranch_vccnz .LBB297_2088
; %bb.2087:
	global_store_b16 v[0:1], v2, off
.LBB297_2088:
	s_mov_b32 s3, 0
.LBB297_2089:
	s_delay_alu instid0(SALU_CYCLE_1)
	s_and_not1_b32 vcc_lo, exec_lo, s3
	s_cbranch_vccnz .LBB297_2097
; %bb.2090:
	v_cvt_f32_i32_e32 v3, v2
	v_mov_b32_e32 v5, 0x80
	s_mov_b32 s3, exec_lo
	s_delay_alu instid0(VALU_DEP_2) | instskip(NEXT) | instid1(VALU_DEP_1)
	v_and_b32_e32 v4, 0x7fffffff, v3
	v_cmpx_gt_u32_e32 0x43800000, v4
	s_cbranch_execz .LBB297_2096
; %bb.2091:
	v_cmp_lt_u32_e32 vcc_lo, 0x3bffffff, v4
	s_mov_b32 s4, 0
                                        ; implicit-def: $vgpr4
	s_and_saveexec_b32 s5, vcc_lo
	s_delay_alu instid0(SALU_CYCLE_1)
	s_xor_b32 s5, exec_lo, s5
	s_cbranch_execz .LBB297_2140
; %bb.2092:
	v_bfe_u32 v4, v3, 20, 1
	s_mov_b32 s4, exec_lo
	s_delay_alu instid0(VALU_DEP_1) | instskip(NEXT) | instid1(VALU_DEP_1)
	v_add3_u32 v4, v3, v4, 0x487ffff
	v_lshrrev_b32_e32 v4, 20, v4
	s_or_saveexec_b32 s5, s5
                                        ; implicit-def: $sgpr7
	s_delay_alu instid0(SALU_CYCLE_1)
	s_xor_b32 exec_lo, exec_lo, s5
	s_cbranch_execnz .LBB297_2141
.LBB297_2093:
	s_or_b32 exec_lo, exec_lo, s5
	v_mov_b32_e32 v5, s7
	s_and_saveexec_b32 s5, s4
.LBB297_2094:
	v_lshrrev_b32_e32 v3, 24, v3
	s_delay_alu instid0(VALU_DEP_1)
	v_and_or_b32 v5, 0x80, v3, v4
.LBB297_2095:
	s_or_b32 exec_lo, exec_lo, s5
.LBB297_2096:
	s_delay_alu instid0(SALU_CYCLE_1)
	s_or_b32 exec_lo, exec_lo, s3
	global_store_b8 v[0:1], v5, off
.LBB297_2097:
	s_mov_b32 s3, 0
.LBB297_2098:
	s_delay_alu instid0(SALU_CYCLE_1)
	s_and_b32 vcc_lo, exec_lo, s3
	s_cbranch_vccz .LBB297_2138
; %bb.2099:
	v_cmp_gt_i16_e64 s2, s6, 22
	s_delay_alu instid0(VALU_DEP_1)
	s_and_b32 vcc_lo, exec_lo, s2
	s_mov_b32 s2, -1
	s_cbranch_vccz .LBB297_2131
; %bb.2100:
	v_cmp_lt_i16_e64 s2, s6, 24
	s_delay_alu instid0(VALU_DEP_1)
	s_and_b32 vcc_lo, exec_lo, s2
	s_mov_b32 s2, -1
	s_cbranch_vccnz .LBB297_2120
; %bb.2101:
	v_cmp_gt_i16_e64 s2, s6, 24
	s_delay_alu instid0(VALU_DEP_1)
	s_and_b32 vcc_lo, exec_lo, s2
	s_mov_b32 s2, -1
	s_cbranch_vccz .LBB297_2109
; %bb.2102:
	v_cvt_f32_i32_e32 v3, v2
	v_mov_b32_e32 v5, 0x80
	s_mov_b32 s2, exec_lo
	s_delay_alu instid0(VALU_DEP_2) | instskip(NEXT) | instid1(VALU_DEP_1)
	v_and_b32_e32 v4, 0x7fffffff, v3
	v_cmpx_gt_u32_e32 0x47800000, v4
	s_cbranch_execz .LBB297_2108
; %bb.2103:
	v_cmp_lt_u32_e32 vcc_lo, 0x37ffffff, v4
	s_mov_b32 s3, 0
                                        ; implicit-def: $vgpr4
	s_and_saveexec_b32 s4, vcc_lo
	s_delay_alu instid0(SALU_CYCLE_1)
	s_xor_b32 s4, exec_lo, s4
	s_cbranch_execz .LBB297_2146
; %bb.2104:
	v_bfe_u32 v4, v3, 21, 1
	s_mov_b32 s3, exec_lo
	s_delay_alu instid0(VALU_DEP_1) | instskip(NEXT) | instid1(VALU_DEP_1)
	v_add3_u32 v4, v3, v4, 0x88fffff
	v_lshrrev_b32_e32 v4, 21, v4
	s_or_saveexec_b32 s4, s4
                                        ; implicit-def: $sgpr5
	s_delay_alu instid0(SALU_CYCLE_1)
	s_xor_b32 exec_lo, exec_lo, s4
	s_cbranch_execnz .LBB297_2147
.LBB297_2105:
	s_or_b32 exec_lo, exec_lo, s4
	v_mov_b32_e32 v5, s5
	s_and_saveexec_b32 s4, s3
.LBB297_2106:
	v_lshrrev_b32_e32 v3, 24, v3
	s_delay_alu instid0(VALU_DEP_1)
	v_and_or_b32 v5, 0x80, v3, v4
.LBB297_2107:
	s_or_b32 exec_lo, exec_lo, s4
.LBB297_2108:
	s_delay_alu instid0(SALU_CYCLE_1)
	s_or_b32 exec_lo, exec_lo, s2
	s_mov_b32 s2, 0
	global_store_b8 v[0:1], v5, off
.LBB297_2109:
	s_and_b32 vcc_lo, exec_lo, s2
	s_cbranch_vccz .LBB297_2119
; %bb.2110:
	v_cvt_f32_i32_e32 v3, v2
	s_mov_b32 s2, exec_lo
                                        ; implicit-def: $vgpr4
	s_delay_alu instid0(VALU_DEP_1) | instskip(NEXT) | instid1(VALU_DEP_1)
	v_and_b32_e32 v5, 0x7fffffff, v3
	v_cmpx_gt_u32_e32 0x43f00000, v5
	s_xor_b32 s2, exec_lo, s2
	s_cbranch_execz .LBB297_2116
; %bb.2111:
	s_mov_b32 s3, exec_lo
                                        ; implicit-def: $vgpr4
	v_cmpx_lt_u32_e32 0x3c7fffff, v5
	s_xor_b32 s3, exec_lo, s3
; %bb.2112:
	v_bfe_u32 v4, v3, 20, 1
	s_delay_alu instid0(VALU_DEP_1) | instskip(NEXT) | instid1(VALU_DEP_1)
	v_add3_u32 v4, v3, v4, 0x407ffff
	v_and_b32_e32 v5, 0xff00000, v4
	v_lshrrev_b32_e32 v4, 20, v4
	s_delay_alu instid0(VALU_DEP_2) | instskip(NEXT) | instid1(VALU_DEP_2)
	v_cmp_ne_u32_e32 vcc_lo, 0x7f00000, v5
	v_cndmask_b32_e32 v4, 0x7e, v4, vcc_lo
; %bb.2113:
	s_and_not1_saveexec_b32 s3, s3
; %bb.2114:
	v_add_f32_e64 v4, 0x46800000, |v3|
; %bb.2115:
	s_or_b32 exec_lo, exec_lo, s3
                                        ; implicit-def: $vgpr5
.LBB297_2116:
	s_and_not1_saveexec_b32 s2, s2
; %bb.2117:
	v_mov_b32_e32 v4, 0x7f
	v_cmp_lt_u32_e32 vcc_lo, 0x7f800000, v5
	s_delay_alu instid0(VALU_DEP_2)
	v_cndmask_b32_e32 v4, 0x7e, v4, vcc_lo
; %bb.2118:
	s_or_b32 exec_lo, exec_lo, s2
	v_lshrrev_b32_e32 v3, 24, v3
	s_delay_alu instid0(VALU_DEP_1)
	v_and_or_b32 v3, 0x80, v3, v4
	global_store_b8 v[0:1], v3, off
.LBB297_2119:
	s_mov_b32 s2, 0
.LBB297_2120:
	s_delay_alu instid0(SALU_CYCLE_1)
	s_and_not1_b32 vcc_lo, exec_lo, s2
	s_cbranch_vccnz .LBB297_2130
; %bb.2121:
	v_cvt_f32_i32_e32 v3, v2
	s_mov_b32 s2, exec_lo
                                        ; implicit-def: $vgpr4
	s_delay_alu instid0(VALU_DEP_1) | instskip(NEXT) | instid1(VALU_DEP_1)
	v_and_b32_e32 v5, 0x7fffffff, v3
	v_cmpx_gt_u32_e32 0x47800000, v5
	s_xor_b32 s2, exec_lo, s2
	s_cbranch_execz .LBB297_2127
; %bb.2122:
	s_mov_b32 s3, exec_lo
                                        ; implicit-def: $vgpr4
	v_cmpx_lt_u32_e32 0x387fffff, v5
	s_xor_b32 s3, exec_lo, s3
; %bb.2123:
	v_bfe_u32 v4, v3, 21, 1
	s_delay_alu instid0(VALU_DEP_1) | instskip(NEXT) | instid1(VALU_DEP_1)
	v_add3_u32 v4, v3, v4, 0x80fffff
	v_lshrrev_b32_e32 v4, 21, v4
; %bb.2124:
	s_and_not1_saveexec_b32 s3, s3
; %bb.2125:
	v_add_f32_e64 v4, 0x43000000, |v3|
; %bb.2126:
	s_or_b32 exec_lo, exec_lo, s3
                                        ; implicit-def: $vgpr5
.LBB297_2127:
	s_and_not1_saveexec_b32 s2, s2
; %bb.2128:
	v_mov_b32_e32 v4, 0x7f
	v_cmp_lt_u32_e32 vcc_lo, 0x7f800000, v5
	s_delay_alu instid0(VALU_DEP_2)
	v_cndmask_b32_e32 v4, 0x7c, v4, vcc_lo
; %bb.2129:
	s_or_b32 exec_lo, exec_lo, s2
	v_lshrrev_b32_e32 v3, 24, v3
	s_delay_alu instid0(VALU_DEP_1)
	v_and_or_b32 v3, 0x80, v3, v4
	global_store_b8 v[0:1], v3, off
.LBB297_2130:
	s_mov_b32 s2, 0
.LBB297_2131:
	s_delay_alu instid0(SALU_CYCLE_1)
	s_and_not1_b32 vcc_lo, exec_lo, s2
	s_mov_b32 s2, 0
	s_cbranch_vccnz .LBB297_2138
; %bb.2132:
	v_cmp_gt_i16_e64 s2, s6, 14
	s_delay_alu instid0(VALU_DEP_1)
	s_and_b32 vcc_lo, exec_lo, s2
	s_mov_b32 s2, -1
	s_cbranch_vccz .LBB297_2136
; %bb.2133:
	v_cmp_eq_u16_e64 s0, s6, 15
	s_delay_alu instid0(VALU_DEP_1)
	s_and_b32 vcc_lo, exec_lo, s0
	s_mov_b32 s0, -1
	s_cbranch_vccz .LBB297_2135
; %bb.2134:
	v_cvt_f32_i32_e32 v3, v2
	s_mov_b32 s0, 0
	s_delay_alu instid0(VALU_DEP_1) | instskip(NEXT) | instid1(VALU_DEP_1)
	v_bfe_u32 v4, v3, 16, 1
	v_add3_u32 v3, v3, v4, 0x7fff
	global_store_d16_hi_b16 v[0:1], v3, off
.LBB297_2135:
	s_mov_b32 s2, 0
.LBB297_2136:
	s_delay_alu instid0(SALU_CYCLE_1)
	s_and_b32 vcc_lo, exec_lo, s2
	s_mov_b32 s2, 0
	s_cbranch_vccz .LBB297_2138
; %bb.2137:
	v_cmp_ne_u16_e64 s0, s6, 11
	s_mov_b32 s2, -1
.LBB297_2138:
	s_delay_alu instid0(VALU_DEP_1)
	s_and_b32 vcc_lo, exec_lo, s0
	s_cbranch_vccnz .LBB297_2144
.LBB297_2139:
	s_mov_b32 s0, 0
	s_branch .LBB297_2017
.LBB297_2140:
	s_or_saveexec_b32 s5, s5
                                        ; implicit-def: $sgpr7
	s_delay_alu instid0(SALU_CYCLE_1)
	s_xor_b32 exec_lo, exec_lo, s5
	s_cbranch_execz .LBB297_2093
.LBB297_2141:
	v_add_f32_e64 v4, 0x46000000, |v3|
	s_and_not1_b32 s4, s4, exec_lo
	s_mov_b32 s7, 0
	s_delay_alu instid0(VALU_DEP_1) | instskip(NEXT) | instid1(VALU_DEP_1)
	v_and_b32_e32 v4, 0xff, v4
	v_cmp_ne_u32_e32 vcc_lo, 0, v4
	s_and_b32 s10, vcc_lo, exec_lo
	s_delay_alu instid0(SALU_CYCLE_1)
	s_or_b32 s4, s4, s10
	s_or_b32 exec_lo, exec_lo, s5
	v_mov_b32_e32 v5, s7
	s_and_saveexec_b32 s5, s4
	s_cbranch_execnz .LBB297_2094
	s_branch .LBB297_2095
.LBB297_2142:
	s_trap 2
	s_sendmsg_rtn_b32 s0, sendmsg(MSG_RTN_GET_DOORBELL)
	s_mov_b32 ttmp2, m0
	s_waitcnt lgkmcnt(0)
	s_and_b32 s0, s0, 0x3ff
	s_delay_alu instid0(SALU_CYCLE_1) | instskip(NEXT) | instid1(SALU_CYCLE_1)
	s_bitset1_b32 s0, 10
	s_mov_b32 m0, s0
	s_sendmsg sendmsg(MSG_INTERRUPT)
	s_mov_b32 m0, ttmp2
.LBB297_2143:                           ; =>This Inner Loop Header: Depth=1
	s_sethalt 5
	s_branch .LBB297_2143
.LBB297_2144:
	s_cbranch_execnz .LBB297_2148
; %bb.2145:
	s_mov_b32 s2, 0
	s_or_b32 s1, s1, exec_lo
	s_branch .LBB297_2139
.LBB297_2146:
	s_or_saveexec_b32 s4, s4
                                        ; implicit-def: $sgpr5
	s_delay_alu instid0(SALU_CYCLE_1)
	s_xor_b32 exec_lo, exec_lo, s4
	s_cbranch_execz .LBB297_2105
.LBB297_2147:
	v_add_f32_e64 v4, 0x42800000, |v3|
	s_and_not1_b32 s3, s3, exec_lo
	s_mov_b32 s5, 0
	s_delay_alu instid0(VALU_DEP_1) | instskip(NEXT) | instid1(VALU_DEP_1)
	v_and_b32_e32 v4, 0xff, v4
	v_cmp_ne_u32_e32 vcc_lo, 0, v4
	s_and_b32 s7, vcc_lo, exec_lo
	s_delay_alu instid0(SALU_CYCLE_1)
	s_or_b32 s3, s3, s7
	s_or_b32 exec_lo, exec_lo, s4
	v_mov_b32_e32 v5, s5
	s_and_saveexec_b32 s4, s3
	s_cbranch_execnz .LBB297_2106
	s_branch .LBB297_2107
.LBB297_2148:
	s_trap 2
	s_sendmsg_rtn_b32 s0, sendmsg(MSG_RTN_GET_DOORBELL)
	s_mov_b32 ttmp2, m0
	s_waitcnt lgkmcnt(0)
	s_and_b32 s0, s0, 0x3ff
	s_delay_alu instid0(SALU_CYCLE_1) | instskip(NEXT) | instid1(SALU_CYCLE_1)
	s_bitset1_b32 s0, 10
	s_mov_b32 m0, s0
	s_sendmsg sendmsg(MSG_INTERRUPT)
	s_mov_b32 m0, ttmp2
.LBB297_2149:                           ; =>This Inner Loop Header: Depth=1
	s_sethalt 5
	s_branch .LBB297_2149
	.section	.rodata,"a",@progbits
	.p2align	6, 0x0
	.amdhsa_kernel _ZN2at6native32elementwise_kernel_manual_unrollILi128ELi4EZNS0_15gpu_kernel_implIZZZNS0_17clamp_kernel_cudaERNS_18TensorIteratorBaseERKN3c106ScalarES8_ENKUlvE_clEvENKUlvE1_clEvEUliE_EEvS4_RKT_EUlibE0_EEviT1_
		.amdhsa_group_segment_fixed_size 0
		.amdhsa_private_segment_fixed_size 0
		.amdhsa_kernarg_size 368
		.amdhsa_user_sgpr_count 15
		.amdhsa_user_sgpr_dispatch_ptr 0
		.amdhsa_user_sgpr_queue_ptr 0
		.amdhsa_user_sgpr_kernarg_segment_ptr 1
		.amdhsa_user_sgpr_dispatch_id 0
		.amdhsa_user_sgpr_private_segment_size 0
		.amdhsa_wavefront_size32 1
		.amdhsa_uses_dynamic_stack 0
		.amdhsa_enable_private_segment 0
		.amdhsa_system_sgpr_workgroup_id_x 1
		.amdhsa_system_sgpr_workgroup_id_y 0
		.amdhsa_system_sgpr_workgroup_id_z 0
		.amdhsa_system_sgpr_workgroup_info 0
		.amdhsa_system_vgpr_workitem_id 0
		.amdhsa_next_free_vgpr 18
		.amdhsa_next_free_sgpr 68
		.amdhsa_reserve_vcc 1
		.amdhsa_float_round_mode_32 0
		.amdhsa_float_round_mode_16_64 0
		.amdhsa_float_denorm_mode_32 3
		.amdhsa_float_denorm_mode_16_64 3
		.amdhsa_dx10_clamp 1
		.amdhsa_ieee_mode 1
		.amdhsa_fp16_overflow 0
		.amdhsa_workgroup_processor_mode 1
		.amdhsa_memory_ordered 1
		.amdhsa_forward_progress 0
		.amdhsa_shared_vgpr_count 0
		.amdhsa_exception_fp_ieee_invalid_op 0
		.amdhsa_exception_fp_denorm_src 0
		.amdhsa_exception_fp_ieee_div_zero 0
		.amdhsa_exception_fp_ieee_overflow 0
		.amdhsa_exception_fp_ieee_underflow 0
		.amdhsa_exception_fp_ieee_inexact 0
		.amdhsa_exception_int_div_zero 0
	.end_amdhsa_kernel
	.section	.text._ZN2at6native32elementwise_kernel_manual_unrollILi128ELi4EZNS0_15gpu_kernel_implIZZZNS0_17clamp_kernel_cudaERNS_18TensorIteratorBaseERKN3c106ScalarES8_ENKUlvE_clEvENKUlvE1_clEvEUliE_EEvS4_RKT_EUlibE0_EEviT1_,"axG",@progbits,_ZN2at6native32elementwise_kernel_manual_unrollILi128ELi4EZNS0_15gpu_kernel_implIZZZNS0_17clamp_kernel_cudaERNS_18TensorIteratorBaseERKN3c106ScalarES8_ENKUlvE_clEvENKUlvE1_clEvEUliE_EEvS4_RKT_EUlibE0_EEviT1_,comdat
.Lfunc_end297:
	.size	_ZN2at6native32elementwise_kernel_manual_unrollILi128ELi4EZNS0_15gpu_kernel_implIZZZNS0_17clamp_kernel_cudaERNS_18TensorIteratorBaseERKN3c106ScalarES8_ENKUlvE_clEvENKUlvE1_clEvEUliE_EEvS4_RKT_EUlibE0_EEviT1_, .Lfunc_end297-_ZN2at6native32elementwise_kernel_manual_unrollILi128ELi4EZNS0_15gpu_kernel_implIZZZNS0_17clamp_kernel_cudaERNS_18TensorIteratorBaseERKN3c106ScalarES8_ENKUlvE_clEvENKUlvE1_clEvEUliE_EEvS4_RKT_EUlibE0_EEviT1_
                                        ; -- End function
	.section	.AMDGPU.csdata,"",@progbits
; Kernel info:
; codeLenInByte = 40016
; NumSgprs: 70
; NumVgprs: 18
; ScratchSize: 0
; MemoryBound: 1
; FloatMode: 240
; IeeeMode: 1
; LDSByteSize: 0 bytes/workgroup (compile time only)
; SGPRBlocks: 8
; VGPRBlocks: 2
; NumSGPRsForWavesPerEU: 70
; NumVGPRsForWavesPerEU: 18
; Occupancy: 16
; WaveLimiterHint : 1
; COMPUTE_PGM_RSRC2:SCRATCH_EN: 0
; COMPUTE_PGM_RSRC2:USER_SGPR: 15
; COMPUTE_PGM_RSRC2:TRAP_HANDLER: 0
; COMPUTE_PGM_RSRC2:TGID_X_EN: 1
; COMPUTE_PGM_RSRC2:TGID_Y_EN: 0
; COMPUTE_PGM_RSRC2:TGID_Z_EN: 0
; COMPUTE_PGM_RSRC2:TIDIG_COMP_CNT: 0
	.section	.text._ZN2at6native29vectorized_elementwise_kernelILi16EZZZNS0_17clamp_kernel_cudaERNS_18TensorIteratorBaseERKN3c106ScalarES7_ENKUlvE_clEvENKUlvE2_clEvEUllE_St5arrayIPcLm2EEEEviT0_T1_,"axG",@progbits,_ZN2at6native29vectorized_elementwise_kernelILi16EZZZNS0_17clamp_kernel_cudaERNS_18TensorIteratorBaseERKN3c106ScalarES7_ENKUlvE_clEvENKUlvE2_clEvEUllE_St5arrayIPcLm2EEEEviT0_T1_,comdat
	.globl	_ZN2at6native29vectorized_elementwise_kernelILi16EZZZNS0_17clamp_kernel_cudaERNS_18TensorIteratorBaseERKN3c106ScalarES7_ENKUlvE_clEvENKUlvE2_clEvEUllE_St5arrayIPcLm2EEEEviT0_T1_ ; -- Begin function _ZN2at6native29vectorized_elementwise_kernelILi16EZZZNS0_17clamp_kernel_cudaERNS_18TensorIteratorBaseERKN3c106ScalarES7_ENKUlvE_clEvENKUlvE2_clEvEUllE_St5arrayIPcLm2EEEEviT0_T1_
	.p2align	8
	.type	_ZN2at6native29vectorized_elementwise_kernelILi16EZZZNS0_17clamp_kernel_cudaERNS_18TensorIteratorBaseERKN3c106ScalarES7_ENKUlvE_clEvENKUlvE2_clEvEUllE_St5arrayIPcLm2EEEEviT0_T1_,@function
_ZN2at6native29vectorized_elementwise_kernelILi16EZZZNS0_17clamp_kernel_cudaERNS_18TensorIteratorBaseERKN3c106ScalarES7_ENKUlvE_clEvENKUlvE2_clEvEUllE_St5arrayIPcLm2EEEEviT0_T1_: ; @_ZN2at6native29vectorized_elementwise_kernelILi16EZZZNS0_17clamp_kernel_cudaERNS_18TensorIteratorBaseERKN3c106ScalarES7_ENKUlvE_clEvENKUlvE2_clEvEUllE_St5arrayIPcLm2EEEEviT0_T1_
; %bb.0:
	s_clause 0x1
	s_load_b32 s2, s[0:1], 0x0
	s_load_b256 s[4:11], s[0:1], 0x8
	s_lshl_b32 s12, s15, 10
	s_mov_b32 s0, -1
	s_waitcnt lgkmcnt(0)
	s_sub_i32 s14, s2, s12
	s_delay_alu instid0(SALU_CYCLE_1)
	s_cmpk_gt_i32 s14, 0x3ff
	s_cbranch_scc0 .LBB298_2
; %bb.1:
	s_ashr_i32 s13, s12, 31
	v_lshlrev_b32_e32 v9, 5, v0
	s_lshl_b64 s[16:17], s[12:13], 3
	s_delay_alu instid0(SALU_CYCLE_1)
	s_add_u32 s0, s10, s16
	s_addc_u32 s1, s11, s17
	s_clause 0x1
	global_load_b128 v[1:4], v9, s[0:1]
	global_load_b128 v[5:8], v9, s[0:1] offset:16
	s_waitcnt vmcnt(1)
	v_cmp_lt_i64_e32 vcc_lo, s[4:5], v[1:2]
	v_cmp_lt_i64_e64 s0, s[4:5], v[3:4]
	s_waitcnt vmcnt(0)
	v_cmp_lt_i64_e64 s1, s[4:5], v[5:6]
	v_cmp_lt_i64_e64 s2, s[4:5], v[7:8]
	v_cndmask_b32_e32 v2, s5, v2, vcc_lo
	s_delay_alu instid0(VALU_DEP_4)
	v_cndmask_b32_e64 v4, s5, v4, s0
	v_cndmask_b32_e32 v1, s4, v1, vcc_lo
	v_cndmask_b32_e64 v3, s4, v3, s0
	v_cndmask_b32_e64 v6, s5, v6, s1
	;; [unrolled: 1-line block ×5, first 2 shown]
	v_cmp_gt_i64_e32 vcc_lo, s[6:7], v[1:2]
	v_cmp_gt_i64_e64 s0, s[6:7], v[3:4]
	s_delay_alu instid0(VALU_DEP_4) | instskip(NEXT) | instid1(VALU_DEP_4)
	v_cmp_gt_i64_e64 s1, s[6:7], v[5:6]
	v_cmp_gt_i64_e64 s2, s[6:7], v[7:8]
	v_cndmask_b32_e32 v2, s7, v2, vcc_lo
	s_delay_alu instid0(VALU_DEP_4)
	v_cndmask_b32_e64 v4, s7, v4, s0
	v_cndmask_b32_e32 v1, s6, v1, vcc_lo
	v_cndmask_b32_e64 v3, s6, v3, s0
	v_cndmask_b32_e64 v6, s7, v6, s1
	;; [unrolled: 1-line block ×5, first 2 shown]
	s_add_u32 s2, s8, s16
	s_addc_u32 s3, s9, s17
	s_mov_b32 s0, 0
	s_clause 0x1
	global_store_b128 v9, v[1:4], s[2:3]
	global_store_b128 v9, v[5:8], s[2:3] offset:16
.LBB298_2:
	s_and_not1_b32 vcc_lo, exec_lo, s0
	s_cbranch_vccnz .LBB298_16
; %bb.3:
	v_dual_mov_b32 v3, 0 :: v_dual_mov_b32 v2, v0
	v_mov_b32_e32 v4, 0
	v_cmp_gt_i32_e32 vcc_lo, s14, v0
	v_or_b32_e32 v1, s12, v0
	v_or_b32_e32 v11, 0x100, v0
	s_delay_alu instid0(VALU_DEP_4)
	v_dual_mov_b32 v6, v4 :: v_dual_mov_b32 v5, v3
	s_and_saveexec_b32 s1, vcc_lo
	s_cbranch_execz .LBB298_5
; %bb.4:
	v_mov_b32_e32 v2, 0
	s_delay_alu instid0(VALU_DEP_1) | instskip(SKIP_1) | instid1(VALU_DEP_2)
	v_lshlrev_b64 v[5:6], 3, v[1:2]
	v_or_b32_e32 v2, 0x100, v0
	v_add_co_u32 v5, s0, s10, v5
	s_delay_alu instid0(VALU_DEP_1)
	v_add_co_ci_u32_e64 v6, s0, s11, v6, s0
	global_load_b64 v[5:6], v[5:6], off
.LBB298_5:
	s_or_b32 exec_lo, exec_lo, s1
	s_delay_alu instid0(SALU_CYCLE_1)
	s_mov_b32 s1, exec_lo
	v_cmpx_gt_i32_e64 s14, v2
	s_cbranch_execz .LBB298_7
; %bb.6:
	v_dual_mov_b32 v4, 0 :: v_dual_add_nc_u32 v3, s12, v2
	v_add_nc_u32_e32 v2, 0x100, v2
	s_delay_alu instid0(VALU_DEP_2) | instskip(NEXT) | instid1(VALU_DEP_1)
	v_lshlrev_b64 v[3:4], 3, v[3:4]
	v_add_co_u32 v3, s0, s10, v3
	s_delay_alu instid0(VALU_DEP_1)
	v_add_co_ci_u32_e64 v4, s0, s11, v4, s0
	global_load_b64 v[3:4], v[3:4], off
.LBB298_7:
	s_or_b32 exec_lo, exec_lo, s1
	v_mov_b32_e32 v7, 0
	v_mov_b32_e32 v8, 0
	s_mov_b32 s1, exec_lo
	s_delay_alu instid0(VALU_DEP_1)
	v_dual_mov_b32 v10, v8 :: v_dual_mov_b32 v9, v7
	v_cmpx_gt_i32_e64 s14, v2
	s_cbranch_execz .LBB298_9
; %bb.8:
	v_dual_mov_b32 v10, 0 :: v_dual_add_nc_u32 v9, s12, v2
	v_add_nc_u32_e32 v2, 0x100, v2
	s_delay_alu instid0(VALU_DEP_2) | instskip(NEXT) | instid1(VALU_DEP_1)
	v_lshlrev_b64 v[9:10], 3, v[9:10]
	v_add_co_u32 v9, s0, s10, v9
	s_delay_alu instid0(VALU_DEP_1)
	v_add_co_ci_u32_e64 v10, s0, s11, v10, s0
	global_load_b64 v[9:10], v[9:10], off
.LBB298_9:
	s_or_b32 exec_lo, exec_lo, s1
	s_delay_alu instid0(SALU_CYCLE_1)
	s_mov_b32 s1, exec_lo
	v_cmpx_gt_i32_e64 s14, v2
	s_cbranch_execz .LBB298_11
; %bb.10:
	v_dual_mov_b32 v8, 0 :: v_dual_add_nc_u32 v7, s12, v2
	s_delay_alu instid0(VALU_DEP_1) | instskip(NEXT) | instid1(VALU_DEP_1)
	v_lshlrev_b64 v[7:8], 3, v[7:8]
	v_add_co_u32 v7, s0, s10, v7
	s_delay_alu instid0(VALU_DEP_1)
	v_add_co_ci_u32_e64 v8, s0, s11, v8, s0
	global_load_b64 v[7:8], v[7:8], off
.LBB298_11:
	s_or_b32 exec_lo, exec_lo, s1
	s_waitcnt vmcnt(0)
	v_cmp_lt_i64_e64 s0, s[4:5], v[5:6]
	v_cmp_lt_i64_e64 s1, s[4:5], v[3:4]
	;; [unrolled: 1-line block ×4, first 2 shown]
	s_delay_alu instid0(VALU_DEP_4) | instskip(NEXT) | instid1(VALU_DEP_4)
	v_cndmask_b32_e64 v6, s5, v6, s0
	v_cndmask_b32_e64 v4, s5, v4, s1
	;; [unrolled: 1-line block ×8, first 2 shown]
	v_cmp_gt_i64_e64 s0, s[6:7], v[5:6]
	v_cmp_gt_i64_e64 s1, s[6:7], v[3:4]
	;; [unrolled: 1-line block ×3, first 2 shown]
	s_delay_alu instid0(VALU_DEP_4) | instskip(NEXT) | instid1(VALU_DEP_4)
	v_cmp_gt_i64_e64 s3, s[6:7], v[14:15]
	v_cndmask_b32_e64 v10, s7, v6, s0
	v_cndmask_b32_e64 v9, s6, v5, s0
	;; [unrolled: 1-line block ×8, first 2 shown]
	s_and_saveexec_b32 s0, vcc_lo
	s_cbranch_execnz .LBB298_17
; %bb.12:
	s_or_b32 exec_lo, exec_lo, s0
	s_delay_alu instid0(SALU_CYCLE_1)
	s_mov_b32 s0, exec_lo
	v_cmpx_gt_i32_e64 s14, v0
	s_cbranch_execnz .LBB298_18
.LBB298_13:
	s_or_b32 exec_lo, exec_lo, s0
	s_delay_alu instid0(SALU_CYCLE_1)
	s_mov_b32 s0, exec_lo
	v_cmpx_gt_i32_e64 s14, v0
	s_cbranch_execnz .LBB298_19
.LBB298_14:
	s_or_b32 exec_lo, exec_lo, s0
	s_delay_alu instid0(SALU_CYCLE_1)
	s_mov_b32 s0, exec_lo
	v_cmpx_gt_i32_e64 s14, v0
	s_cbranch_execz .LBB298_16
.LBB298_15:
	v_dual_mov_b32 v1, 0 :: v_dual_add_nc_u32 v0, s12, v0
	s_delay_alu instid0(VALU_DEP_1) | instskip(NEXT) | instid1(VALU_DEP_1)
	v_lshlrev_b64 v[0:1], 3, v[0:1]
	v_add_co_u32 v0, vcc_lo, s8, v0
	s_delay_alu instid0(VALU_DEP_2)
	v_add_co_ci_u32_e32 v1, vcc_lo, s9, v1, vcc_lo
	global_store_b64 v[0:1], v[3:4], off
.LBB298_16:
	s_nop 0
	s_sendmsg sendmsg(MSG_DEALLOC_VGPRS)
	s_endpgm
.LBB298_17:
	v_mov_b32_e32 v2, 0
	s_delay_alu instid0(VALU_DEP_1) | instskip(NEXT) | instid1(VALU_DEP_1)
	v_lshlrev_b64 v[0:1], 3, v[1:2]
	v_add_co_u32 v12, vcc_lo, s8, v0
	s_delay_alu instid0(VALU_DEP_2) | instskip(SKIP_3) | instid1(SALU_CYCLE_1)
	v_add_co_ci_u32_e32 v13, vcc_lo, s9, v1, vcc_lo
	v_mov_b32_e32 v0, v11
	global_store_b64 v[12:13], v[9:10], off
	s_or_b32 exec_lo, exec_lo, s0
	s_mov_b32 s0, exec_lo
	v_cmpx_gt_i32_e64 s14, v0
	s_cbranch_execz .LBB298_13
.LBB298_18:
	v_dual_mov_b32 v2, 0 :: v_dual_add_nc_u32 v1, s12, v0
	v_add_nc_u32_e32 v0, 0x100, v0
	s_delay_alu instid0(VALU_DEP_2) | instskip(NEXT) | instid1(VALU_DEP_1)
	v_lshlrev_b64 v[1:2], 3, v[1:2]
	v_add_co_u32 v1, vcc_lo, s8, v1
	s_delay_alu instid0(VALU_DEP_2) | instskip(SKIP_2) | instid1(SALU_CYCLE_1)
	v_add_co_ci_u32_e32 v2, vcc_lo, s9, v2, vcc_lo
	global_store_b64 v[1:2], v[7:8], off
	s_or_b32 exec_lo, exec_lo, s0
	s_mov_b32 s0, exec_lo
	v_cmpx_gt_i32_e64 s14, v0
	s_cbranch_execz .LBB298_14
.LBB298_19:
	v_dual_mov_b32 v2, 0 :: v_dual_add_nc_u32 v1, s12, v0
	v_add_nc_u32_e32 v0, 0x100, v0
	s_delay_alu instid0(VALU_DEP_2) | instskip(NEXT) | instid1(VALU_DEP_1)
	v_lshlrev_b64 v[1:2], 3, v[1:2]
	v_add_co_u32 v1, vcc_lo, s8, v1
	s_delay_alu instid0(VALU_DEP_2) | instskip(SKIP_2) | instid1(SALU_CYCLE_1)
	v_add_co_ci_u32_e32 v2, vcc_lo, s9, v2, vcc_lo
	global_store_b64 v[1:2], v[5:6], off
	s_or_b32 exec_lo, exec_lo, s0
	s_mov_b32 s0, exec_lo
	v_cmpx_gt_i32_e64 s14, v0
	s_cbranch_execnz .LBB298_15
	s_branch .LBB298_16
	.section	.rodata,"a",@progbits
	.p2align	6, 0x0
	.amdhsa_kernel _ZN2at6native29vectorized_elementwise_kernelILi16EZZZNS0_17clamp_kernel_cudaERNS_18TensorIteratorBaseERKN3c106ScalarES7_ENKUlvE_clEvENKUlvE2_clEvEUllE_St5arrayIPcLm2EEEEviT0_T1_
		.amdhsa_group_segment_fixed_size 0
		.amdhsa_private_segment_fixed_size 0
		.amdhsa_kernarg_size 40
		.amdhsa_user_sgpr_count 15
		.amdhsa_user_sgpr_dispatch_ptr 0
		.amdhsa_user_sgpr_queue_ptr 0
		.amdhsa_user_sgpr_kernarg_segment_ptr 1
		.amdhsa_user_sgpr_dispatch_id 0
		.amdhsa_user_sgpr_private_segment_size 0
		.amdhsa_wavefront_size32 1
		.amdhsa_uses_dynamic_stack 0
		.amdhsa_enable_private_segment 0
		.amdhsa_system_sgpr_workgroup_id_x 1
		.amdhsa_system_sgpr_workgroup_id_y 0
		.amdhsa_system_sgpr_workgroup_id_z 0
		.amdhsa_system_sgpr_workgroup_info 0
		.amdhsa_system_vgpr_workitem_id 0
		.amdhsa_next_free_vgpr 16
		.amdhsa_next_free_sgpr 18
		.amdhsa_reserve_vcc 1
		.amdhsa_float_round_mode_32 0
		.amdhsa_float_round_mode_16_64 0
		.amdhsa_float_denorm_mode_32 3
		.amdhsa_float_denorm_mode_16_64 3
		.amdhsa_dx10_clamp 1
		.amdhsa_ieee_mode 1
		.amdhsa_fp16_overflow 0
		.amdhsa_workgroup_processor_mode 1
		.amdhsa_memory_ordered 1
		.amdhsa_forward_progress 0
		.amdhsa_shared_vgpr_count 0
		.amdhsa_exception_fp_ieee_invalid_op 0
		.amdhsa_exception_fp_denorm_src 0
		.amdhsa_exception_fp_ieee_div_zero 0
		.amdhsa_exception_fp_ieee_overflow 0
		.amdhsa_exception_fp_ieee_underflow 0
		.amdhsa_exception_fp_ieee_inexact 0
		.amdhsa_exception_int_div_zero 0
	.end_amdhsa_kernel
	.section	.text._ZN2at6native29vectorized_elementwise_kernelILi16EZZZNS0_17clamp_kernel_cudaERNS_18TensorIteratorBaseERKN3c106ScalarES7_ENKUlvE_clEvENKUlvE2_clEvEUllE_St5arrayIPcLm2EEEEviT0_T1_,"axG",@progbits,_ZN2at6native29vectorized_elementwise_kernelILi16EZZZNS0_17clamp_kernel_cudaERNS_18TensorIteratorBaseERKN3c106ScalarES7_ENKUlvE_clEvENKUlvE2_clEvEUllE_St5arrayIPcLm2EEEEviT0_T1_,comdat
.Lfunc_end298:
	.size	_ZN2at6native29vectorized_elementwise_kernelILi16EZZZNS0_17clamp_kernel_cudaERNS_18TensorIteratorBaseERKN3c106ScalarES7_ENKUlvE_clEvENKUlvE2_clEvEUllE_St5arrayIPcLm2EEEEviT0_T1_, .Lfunc_end298-_ZN2at6native29vectorized_elementwise_kernelILi16EZZZNS0_17clamp_kernel_cudaERNS_18TensorIteratorBaseERKN3c106ScalarES7_ENKUlvE_clEvENKUlvE2_clEvEUllE_St5arrayIPcLm2EEEEviT0_T1_
                                        ; -- End function
	.section	.AMDGPU.csdata,"",@progbits
; Kernel info:
; codeLenInByte = 1224
; NumSgprs: 20
; NumVgprs: 16
; ScratchSize: 0
; MemoryBound: 0
; FloatMode: 240
; IeeeMode: 1
; LDSByteSize: 0 bytes/workgroup (compile time only)
; SGPRBlocks: 2
; VGPRBlocks: 1
; NumSGPRsForWavesPerEU: 20
; NumVGPRsForWavesPerEU: 16
; Occupancy: 16
; WaveLimiterHint : 0
; COMPUTE_PGM_RSRC2:SCRATCH_EN: 0
; COMPUTE_PGM_RSRC2:USER_SGPR: 15
; COMPUTE_PGM_RSRC2:TRAP_HANDLER: 0
; COMPUTE_PGM_RSRC2:TGID_X_EN: 1
; COMPUTE_PGM_RSRC2:TGID_Y_EN: 0
; COMPUTE_PGM_RSRC2:TGID_Z_EN: 0
; COMPUTE_PGM_RSRC2:TIDIG_COMP_CNT: 0
	.section	.text._ZN2at6native29vectorized_elementwise_kernelILi8EZZZNS0_17clamp_kernel_cudaERNS_18TensorIteratorBaseERKN3c106ScalarES7_ENKUlvE_clEvENKUlvE2_clEvEUllE_St5arrayIPcLm2EEEEviT0_T1_,"axG",@progbits,_ZN2at6native29vectorized_elementwise_kernelILi8EZZZNS0_17clamp_kernel_cudaERNS_18TensorIteratorBaseERKN3c106ScalarES7_ENKUlvE_clEvENKUlvE2_clEvEUllE_St5arrayIPcLm2EEEEviT0_T1_,comdat
	.globl	_ZN2at6native29vectorized_elementwise_kernelILi8EZZZNS0_17clamp_kernel_cudaERNS_18TensorIteratorBaseERKN3c106ScalarES7_ENKUlvE_clEvENKUlvE2_clEvEUllE_St5arrayIPcLm2EEEEviT0_T1_ ; -- Begin function _ZN2at6native29vectorized_elementwise_kernelILi8EZZZNS0_17clamp_kernel_cudaERNS_18TensorIteratorBaseERKN3c106ScalarES7_ENKUlvE_clEvENKUlvE2_clEvEUllE_St5arrayIPcLm2EEEEviT0_T1_
	.p2align	8
	.type	_ZN2at6native29vectorized_elementwise_kernelILi8EZZZNS0_17clamp_kernel_cudaERNS_18TensorIteratorBaseERKN3c106ScalarES7_ENKUlvE_clEvENKUlvE2_clEvEUllE_St5arrayIPcLm2EEEEviT0_T1_,@function
_ZN2at6native29vectorized_elementwise_kernelILi8EZZZNS0_17clamp_kernel_cudaERNS_18TensorIteratorBaseERKN3c106ScalarES7_ENKUlvE_clEvENKUlvE2_clEvEUllE_St5arrayIPcLm2EEEEviT0_T1_: ; @_ZN2at6native29vectorized_elementwise_kernelILi8EZZZNS0_17clamp_kernel_cudaERNS_18TensorIteratorBaseERKN3c106ScalarES7_ENKUlvE_clEvENKUlvE2_clEvEUllE_St5arrayIPcLm2EEEEviT0_T1_
; %bb.0:
	s_clause 0x1
	s_load_b32 s2, s[0:1], 0x0
	s_load_b256 s[4:11], s[0:1], 0x8
	s_lshl_b32 s12, s15, 10
	s_mov_b32 s0, -1
	s_waitcnt lgkmcnt(0)
	s_sub_i32 s14, s2, s12
	s_delay_alu instid0(SALU_CYCLE_1)
	s_cmpk_gt_i32 s14, 0x3ff
	s_cbranch_scc0 .LBB299_2
; %bb.1:
	s_ashr_i32 s13, s12, 31
	v_lshlrev_b32_e32 v9, 5, v0
	s_lshl_b64 s[16:17], s[12:13], 3
	s_delay_alu instid0(SALU_CYCLE_1)
	s_add_u32 s0, s10, s16
	s_addc_u32 s1, s11, s17
	s_clause 0x1
	global_load_b128 v[1:4], v9, s[0:1]
	global_load_b128 v[5:8], v9, s[0:1] offset:16
	s_waitcnt vmcnt(1)
	v_cmp_lt_i64_e32 vcc_lo, s[4:5], v[1:2]
	v_cmp_lt_i64_e64 s0, s[4:5], v[3:4]
	s_waitcnt vmcnt(0)
	v_cmp_lt_i64_e64 s1, s[4:5], v[5:6]
	v_cmp_lt_i64_e64 s2, s[4:5], v[7:8]
	v_cndmask_b32_e32 v2, s5, v2, vcc_lo
	s_delay_alu instid0(VALU_DEP_4)
	v_cndmask_b32_e64 v4, s5, v4, s0
	v_cndmask_b32_e32 v1, s4, v1, vcc_lo
	v_cndmask_b32_e64 v3, s4, v3, s0
	v_cndmask_b32_e64 v6, s5, v6, s1
	v_cndmask_b32_e64 v8, s5, v8, s2
	v_cndmask_b32_e64 v5, s4, v5, s1
	v_cndmask_b32_e64 v7, s4, v7, s2
	v_cmp_gt_i64_e32 vcc_lo, s[6:7], v[1:2]
	v_cmp_gt_i64_e64 s0, s[6:7], v[3:4]
	s_delay_alu instid0(VALU_DEP_4) | instskip(NEXT) | instid1(VALU_DEP_4)
	v_cmp_gt_i64_e64 s1, s[6:7], v[5:6]
	v_cmp_gt_i64_e64 s2, s[6:7], v[7:8]
	v_cndmask_b32_e32 v2, s7, v2, vcc_lo
	s_delay_alu instid0(VALU_DEP_4)
	v_cndmask_b32_e64 v4, s7, v4, s0
	v_cndmask_b32_e32 v1, s6, v1, vcc_lo
	v_cndmask_b32_e64 v3, s6, v3, s0
	v_cndmask_b32_e64 v6, s7, v6, s1
	;; [unrolled: 1-line block ×5, first 2 shown]
	s_add_u32 s2, s8, s16
	s_addc_u32 s3, s9, s17
	s_mov_b32 s0, 0
	s_clause 0x1
	global_store_b128 v9, v[1:4], s[2:3]
	global_store_b128 v9, v[5:8], s[2:3] offset:16
.LBB299_2:
	s_and_not1_b32 vcc_lo, exec_lo, s0
	s_cbranch_vccnz .LBB299_16
; %bb.3:
	v_dual_mov_b32 v3, 0 :: v_dual_mov_b32 v2, v0
	v_mov_b32_e32 v4, 0
	v_cmp_gt_i32_e32 vcc_lo, s14, v0
	v_or_b32_e32 v1, s12, v0
	v_or_b32_e32 v11, 0x100, v0
	s_delay_alu instid0(VALU_DEP_4)
	v_dual_mov_b32 v6, v4 :: v_dual_mov_b32 v5, v3
	s_and_saveexec_b32 s1, vcc_lo
	s_cbranch_execz .LBB299_5
; %bb.4:
	v_mov_b32_e32 v2, 0
	s_delay_alu instid0(VALU_DEP_1) | instskip(SKIP_1) | instid1(VALU_DEP_2)
	v_lshlrev_b64 v[5:6], 3, v[1:2]
	v_or_b32_e32 v2, 0x100, v0
	v_add_co_u32 v5, s0, s10, v5
	s_delay_alu instid0(VALU_DEP_1)
	v_add_co_ci_u32_e64 v6, s0, s11, v6, s0
	global_load_b64 v[5:6], v[5:6], off
.LBB299_5:
	s_or_b32 exec_lo, exec_lo, s1
	s_delay_alu instid0(SALU_CYCLE_1)
	s_mov_b32 s1, exec_lo
	v_cmpx_gt_i32_e64 s14, v2
	s_cbranch_execz .LBB299_7
; %bb.6:
	v_dual_mov_b32 v4, 0 :: v_dual_add_nc_u32 v3, s12, v2
	v_add_nc_u32_e32 v2, 0x100, v2
	s_delay_alu instid0(VALU_DEP_2) | instskip(NEXT) | instid1(VALU_DEP_1)
	v_lshlrev_b64 v[3:4], 3, v[3:4]
	v_add_co_u32 v3, s0, s10, v3
	s_delay_alu instid0(VALU_DEP_1)
	v_add_co_ci_u32_e64 v4, s0, s11, v4, s0
	global_load_b64 v[3:4], v[3:4], off
.LBB299_7:
	s_or_b32 exec_lo, exec_lo, s1
	v_mov_b32_e32 v7, 0
	v_mov_b32_e32 v8, 0
	s_mov_b32 s1, exec_lo
	s_delay_alu instid0(VALU_DEP_1)
	v_dual_mov_b32 v10, v8 :: v_dual_mov_b32 v9, v7
	v_cmpx_gt_i32_e64 s14, v2
	s_cbranch_execz .LBB299_9
; %bb.8:
	v_dual_mov_b32 v10, 0 :: v_dual_add_nc_u32 v9, s12, v2
	v_add_nc_u32_e32 v2, 0x100, v2
	s_delay_alu instid0(VALU_DEP_2) | instskip(NEXT) | instid1(VALU_DEP_1)
	v_lshlrev_b64 v[9:10], 3, v[9:10]
	v_add_co_u32 v9, s0, s10, v9
	s_delay_alu instid0(VALU_DEP_1)
	v_add_co_ci_u32_e64 v10, s0, s11, v10, s0
	global_load_b64 v[9:10], v[9:10], off
.LBB299_9:
	s_or_b32 exec_lo, exec_lo, s1
	s_delay_alu instid0(SALU_CYCLE_1)
	s_mov_b32 s1, exec_lo
	v_cmpx_gt_i32_e64 s14, v2
	s_cbranch_execz .LBB299_11
; %bb.10:
	v_dual_mov_b32 v8, 0 :: v_dual_add_nc_u32 v7, s12, v2
	s_delay_alu instid0(VALU_DEP_1) | instskip(NEXT) | instid1(VALU_DEP_1)
	v_lshlrev_b64 v[7:8], 3, v[7:8]
	v_add_co_u32 v7, s0, s10, v7
	s_delay_alu instid0(VALU_DEP_1)
	v_add_co_ci_u32_e64 v8, s0, s11, v8, s0
	global_load_b64 v[7:8], v[7:8], off
.LBB299_11:
	s_or_b32 exec_lo, exec_lo, s1
	s_waitcnt vmcnt(0)
	v_cmp_lt_i64_e64 s0, s[4:5], v[5:6]
	v_cmp_lt_i64_e64 s1, s[4:5], v[3:4]
	;; [unrolled: 1-line block ×4, first 2 shown]
	s_delay_alu instid0(VALU_DEP_4) | instskip(NEXT) | instid1(VALU_DEP_4)
	v_cndmask_b32_e64 v6, s5, v6, s0
	v_cndmask_b32_e64 v4, s5, v4, s1
	;; [unrolled: 1-line block ×8, first 2 shown]
	v_cmp_gt_i64_e64 s0, s[6:7], v[5:6]
	v_cmp_gt_i64_e64 s1, s[6:7], v[3:4]
	;; [unrolled: 1-line block ×3, first 2 shown]
	s_delay_alu instid0(VALU_DEP_4) | instskip(NEXT) | instid1(VALU_DEP_4)
	v_cmp_gt_i64_e64 s3, s[6:7], v[14:15]
	v_cndmask_b32_e64 v10, s7, v6, s0
	v_cndmask_b32_e64 v9, s6, v5, s0
	;; [unrolled: 1-line block ×8, first 2 shown]
	s_and_saveexec_b32 s0, vcc_lo
	s_cbranch_execnz .LBB299_17
; %bb.12:
	s_or_b32 exec_lo, exec_lo, s0
	s_delay_alu instid0(SALU_CYCLE_1)
	s_mov_b32 s0, exec_lo
	v_cmpx_gt_i32_e64 s14, v0
	s_cbranch_execnz .LBB299_18
.LBB299_13:
	s_or_b32 exec_lo, exec_lo, s0
	s_delay_alu instid0(SALU_CYCLE_1)
	s_mov_b32 s0, exec_lo
	v_cmpx_gt_i32_e64 s14, v0
	s_cbranch_execnz .LBB299_19
.LBB299_14:
	s_or_b32 exec_lo, exec_lo, s0
	s_delay_alu instid0(SALU_CYCLE_1)
	s_mov_b32 s0, exec_lo
	v_cmpx_gt_i32_e64 s14, v0
	s_cbranch_execz .LBB299_16
.LBB299_15:
	v_dual_mov_b32 v1, 0 :: v_dual_add_nc_u32 v0, s12, v0
	s_delay_alu instid0(VALU_DEP_1) | instskip(NEXT) | instid1(VALU_DEP_1)
	v_lshlrev_b64 v[0:1], 3, v[0:1]
	v_add_co_u32 v0, vcc_lo, s8, v0
	s_delay_alu instid0(VALU_DEP_2)
	v_add_co_ci_u32_e32 v1, vcc_lo, s9, v1, vcc_lo
	global_store_b64 v[0:1], v[3:4], off
.LBB299_16:
	s_nop 0
	s_sendmsg sendmsg(MSG_DEALLOC_VGPRS)
	s_endpgm
.LBB299_17:
	v_mov_b32_e32 v2, 0
	s_delay_alu instid0(VALU_DEP_1) | instskip(NEXT) | instid1(VALU_DEP_1)
	v_lshlrev_b64 v[0:1], 3, v[1:2]
	v_add_co_u32 v12, vcc_lo, s8, v0
	s_delay_alu instid0(VALU_DEP_2) | instskip(SKIP_3) | instid1(SALU_CYCLE_1)
	v_add_co_ci_u32_e32 v13, vcc_lo, s9, v1, vcc_lo
	v_mov_b32_e32 v0, v11
	global_store_b64 v[12:13], v[9:10], off
	s_or_b32 exec_lo, exec_lo, s0
	s_mov_b32 s0, exec_lo
	v_cmpx_gt_i32_e64 s14, v0
	s_cbranch_execz .LBB299_13
.LBB299_18:
	v_dual_mov_b32 v2, 0 :: v_dual_add_nc_u32 v1, s12, v0
	v_add_nc_u32_e32 v0, 0x100, v0
	s_delay_alu instid0(VALU_DEP_2) | instskip(NEXT) | instid1(VALU_DEP_1)
	v_lshlrev_b64 v[1:2], 3, v[1:2]
	v_add_co_u32 v1, vcc_lo, s8, v1
	s_delay_alu instid0(VALU_DEP_2) | instskip(SKIP_2) | instid1(SALU_CYCLE_1)
	v_add_co_ci_u32_e32 v2, vcc_lo, s9, v2, vcc_lo
	global_store_b64 v[1:2], v[7:8], off
	s_or_b32 exec_lo, exec_lo, s0
	s_mov_b32 s0, exec_lo
	v_cmpx_gt_i32_e64 s14, v0
	s_cbranch_execz .LBB299_14
.LBB299_19:
	v_dual_mov_b32 v2, 0 :: v_dual_add_nc_u32 v1, s12, v0
	v_add_nc_u32_e32 v0, 0x100, v0
	s_delay_alu instid0(VALU_DEP_2) | instskip(NEXT) | instid1(VALU_DEP_1)
	v_lshlrev_b64 v[1:2], 3, v[1:2]
	v_add_co_u32 v1, vcc_lo, s8, v1
	s_delay_alu instid0(VALU_DEP_2) | instskip(SKIP_2) | instid1(SALU_CYCLE_1)
	v_add_co_ci_u32_e32 v2, vcc_lo, s9, v2, vcc_lo
	global_store_b64 v[1:2], v[5:6], off
	s_or_b32 exec_lo, exec_lo, s0
	s_mov_b32 s0, exec_lo
	v_cmpx_gt_i32_e64 s14, v0
	s_cbranch_execnz .LBB299_15
	s_branch .LBB299_16
	.section	.rodata,"a",@progbits
	.p2align	6, 0x0
	.amdhsa_kernel _ZN2at6native29vectorized_elementwise_kernelILi8EZZZNS0_17clamp_kernel_cudaERNS_18TensorIteratorBaseERKN3c106ScalarES7_ENKUlvE_clEvENKUlvE2_clEvEUllE_St5arrayIPcLm2EEEEviT0_T1_
		.amdhsa_group_segment_fixed_size 0
		.amdhsa_private_segment_fixed_size 0
		.amdhsa_kernarg_size 40
		.amdhsa_user_sgpr_count 15
		.amdhsa_user_sgpr_dispatch_ptr 0
		.amdhsa_user_sgpr_queue_ptr 0
		.amdhsa_user_sgpr_kernarg_segment_ptr 1
		.amdhsa_user_sgpr_dispatch_id 0
		.amdhsa_user_sgpr_private_segment_size 0
		.amdhsa_wavefront_size32 1
		.amdhsa_uses_dynamic_stack 0
		.amdhsa_enable_private_segment 0
		.amdhsa_system_sgpr_workgroup_id_x 1
		.amdhsa_system_sgpr_workgroup_id_y 0
		.amdhsa_system_sgpr_workgroup_id_z 0
		.amdhsa_system_sgpr_workgroup_info 0
		.amdhsa_system_vgpr_workitem_id 0
		.amdhsa_next_free_vgpr 16
		.amdhsa_next_free_sgpr 18
		.amdhsa_reserve_vcc 1
		.amdhsa_float_round_mode_32 0
		.amdhsa_float_round_mode_16_64 0
		.amdhsa_float_denorm_mode_32 3
		.amdhsa_float_denorm_mode_16_64 3
		.amdhsa_dx10_clamp 1
		.amdhsa_ieee_mode 1
		.amdhsa_fp16_overflow 0
		.amdhsa_workgroup_processor_mode 1
		.amdhsa_memory_ordered 1
		.amdhsa_forward_progress 0
		.amdhsa_shared_vgpr_count 0
		.amdhsa_exception_fp_ieee_invalid_op 0
		.amdhsa_exception_fp_denorm_src 0
		.amdhsa_exception_fp_ieee_div_zero 0
		.amdhsa_exception_fp_ieee_overflow 0
		.amdhsa_exception_fp_ieee_underflow 0
		.amdhsa_exception_fp_ieee_inexact 0
		.amdhsa_exception_int_div_zero 0
	.end_amdhsa_kernel
	.section	.text._ZN2at6native29vectorized_elementwise_kernelILi8EZZZNS0_17clamp_kernel_cudaERNS_18TensorIteratorBaseERKN3c106ScalarES7_ENKUlvE_clEvENKUlvE2_clEvEUllE_St5arrayIPcLm2EEEEviT0_T1_,"axG",@progbits,_ZN2at6native29vectorized_elementwise_kernelILi8EZZZNS0_17clamp_kernel_cudaERNS_18TensorIteratorBaseERKN3c106ScalarES7_ENKUlvE_clEvENKUlvE2_clEvEUllE_St5arrayIPcLm2EEEEviT0_T1_,comdat
.Lfunc_end299:
	.size	_ZN2at6native29vectorized_elementwise_kernelILi8EZZZNS0_17clamp_kernel_cudaERNS_18TensorIteratorBaseERKN3c106ScalarES7_ENKUlvE_clEvENKUlvE2_clEvEUllE_St5arrayIPcLm2EEEEviT0_T1_, .Lfunc_end299-_ZN2at6native29vectorized_elementwise_kernelILi8EZZZNS0_17clamp_kernel_cudaERNS_18TensorIteratorBaseERKN3c106ScalarES7_ENKUlvE_clEvENKUlvE2_clEvEUllE_St5arrayIPcLm2EEEEviT0_T1_
                                        ; -- End function
	.section	.AMDGPU.csdata,"",@progbits
; Kernel info:
; codeLenInByte = 1224
; NumSgprs: 20
; NumVgprs: 16
; ScratchSize: 0
; MemoryBound: 0
; FloatMode: 240
; IeeeMode: 1
; LDSByteSize: 0 bytes/workgroup (compile time only)
; SGPRBlocks: 2
; VGPRBlocks: 1
; NumSGPRsForWavesPerEU: 20
; NumVGPRsForWavesPerEU: 16
; Occupancy: 16
; WaveLimiterHint : 0
; COMPUTE_PGM_RSRC2:SCRATCH_EN: 0
; COMPUTE_PGM_RSRC2:USER_SGPR: 15
; COMPUTE_PGM_RSRC2:TRAP_HANDLER: 0
; COMPUTE_PGM_RSRC2:TGID_X_EN: 1
; COMPUTE_PGM_RSRC2:TGID_Y_EN: 0
; COMPUTE_PGM_RSRC2:TGID_Z_EN: 0
; COMPUTE_PGM_RSRC2:TIDIG_COMP_CNT: 0
	.section	.text._ZN2at6native29vectorized_elementwise_kernelILi4EZZZNS0_17clamp_kernel_cudaERNS_18TensorIteratorBaseERKN3c106ScalarES7_ENKUlvE_clEvENKUlvE2_clEvEUllE_St5arrayIPcLm2EEEEviT0_T1_,"axG",@progbits,_ZN2at6native29vectorized_elementwise_kernelILi4EZZZNS0_17clamp_kernel_cudaERNS_18TensorIteratorBaseERKN3c106ScalarES7_ENKUlvE_clEvENKUlvE2_clEvEUllE_St5arrayIPcLm2EEEEviT0_T1_,comdat
	.globl	_ZN2at6native29vectorized_elementwise_kernelILi4EZZZNS0_17clamp_kernel_cudaERNS_18TensorIteratorBaseERKN3c106ScalarES7_ENKUlvE_clEvENKUlvE2_clEvEUllE_St5arrayIPcLm2EEEEviT0_T1_ ; -- Begin function _ZN2at6native29vectorized_elementwise_kernelILi4EZZZNS0_17clamp_kernel_cudaERNS_18TensorIteratorBaseERKN3c106ScalarES7_ENKUlvE_clEvENKUlvE2_clEvEUllE_St5arrayIPcLm2EEEEviT0_T1_
	.p2align	8
	.type	_ZN2at6native29vectorized_elementwise_kernelILi4EZZZNS0_17clamp_kernel_cudaERNS_18TensorIteratorBaseERKN3c106ScalarES7_ENKUlvE_clEvENKUlvE2_clEvEUllE_St5arrayIPcLm2EEEEviT0_T1_,@function
_ZN2at6native29vectorized_elementwise_kernelILi4EZZZNS0_17clamp_kernel_cudaERNS_18TensorIteratorBaseERKN3c106ScalarES7_ENKUlvE_clEvENKUlvE2_clEvEUllE_St5arrayIPcLm2EEEEviT0_T1_: ; @_ZN2at6native29vectorized_elementwise_kernelILi4EZZZNS0_17clamp_kernel_cudaERNS_18TensorIteratorBaseERKN3c106ScalarES7_ENKUlvE_clEvENKUlvE2_clEvEUllE_St5arrayIPcLm2EEEEviT0_T1_
; %bb.0:
	s_clause 0x1
	s_load_b32 s2, s[0:1], 0x0
	s_load_b256 s[4:11], s[0:1], 0x8
	s_lshl_b32 s12, s15, 10
	s_mov_b32 s0, -1
	s_waitcnt lgkmcnt(0)
	s_sub_i32 s14, s2, s12
	s_delay_alu instid0(SALU_CYCLE_1)
	s_cmpk_gt_i32 s14, 0x3ff
	s_cbranch_scc0 .LBB300_2
; %bb.1:
	s_ashr_i32 s13, s12, 31
	v_lshlrev_b32_e32 v9, 5, v0
	s_lshl_b64 s[16:17], s[12:13], 3
	s_delay_alu instid0(SALU_CYCLE_1)
	s_add_u32 s0, s10, s16
	s_addc_u32 s1, s11, s17
	s_clause 0x1
	global_load_b128 v[1:4], v9, s[0:1]
	global_load_b128 v[5:8], v9, s[0:1] offset:16
	s_waitcnt vmcnt(1)
	v_cmp_lt_i64_e32 vcc_lo, s[4:5], v[1:2]
	v_cmp_lt_i64_e64 s0, s[4:5], v[3:4]
	s_waitcnt vmcnt(0)
	v_cmp_lt_i64_e64 s1, s[4:5], v[5:6]
	v_cmp_lt_i64_e64 s2, s[4:5], v[7:8]
	v_cndmask_b32_e32 v2, s5, v2, vcc_lo
	s_delay_alu instid0(VALU_DEP_4)
	v_cndmask_b32_e64 v4, s5, v4, s0
	v_cndmask_b32_e32 v1, s4, v1, vcc_lo
	v_cndmask_b32_e64 v3, s4, v3, s0
	v_cndmask_b32_e64 v6, s5, v6, s1
	;; [unrolled: 1-line block ×5, first 2 shown]
	v_cmp_gt_i64_e32 vcc_lo, s[6:7], v[1:2]
	v_cmp_gt_i64_e64 s0, s[6:7], v[3:4]
	s_delay_alu instid0(VALU_DEP_4) | instskip(NEXT) | instid1(VALU_DEP_4)
	v_cmp_gt_i64_e64 s1, s[6:7], v[5:6]
	v_cmp_gt_i64_e64 s2, s[6:7], v[7:8]
	v_cndmask_b32_e32 v2, s7, v2, vcc_lo
	s_delay_alu instid0(VALU_DEP_4)
	v_cndmask_b32_e64 v4, s7, v4, s0
	v_cndmask_b32_e32 v1, s6, v1, vcc_lo
	v_cndmask_b32_e64 v3, s6, v3, s0
	v_cndmask_b32_e64 v6, s7, v6, s1
	;; [unrolled: 1-line block ×5, first 2 shown]
	s_add_u32 s2, s8, s16
	s_addc_u32 s3, s9, s17
	s_mov_b32 s0, 0
	s_clause 0x1
	global_store_b128 v9, v[1:4], s[2:3]
	global_store_b128 v9, v[5:8], s[2:3] offset:16
.LBB300_2:
	s_and_not1_b32 vcc_lo, exec_lo, s0
	s_cbranch_vccnz .LBB300_16
; %bb.3:
	v_dual_mov_b32 v3, 0 :: v_dual_mov_b32 v2, v0
	v_mov_b32_e32 v4, 0
	v_cmp_gt_i32_e32 vcc_lo, s14, v0
	v_or_b32_e32 v1, s12, v0
	v_or_b32_e32 v11, 0x100, v0
	s_delay_alu instid0(VALU_DEP_4)
	v_dual_mov_b32 v6, v4 :: v_dual_mov_b32 v5, v3
	s_and_saveexec_b32 s1, vcc_lo
	s_cbranch_execz .LBB300_5
; %bb.4:
	v_mov_b32_e32 v2, 0
	s_delay_alu instid0(VALU_DEP_1) | instskip(SKIP_1) | instid1(VALU_DEP_2)
	v_lshlrev_b64 v[5:6], 3, v[1:2]
	v_or_b32_e32 v2, 0x100, v0
	v_add_co_u32 v5, s0, s10, v5
	s_delay_alu instid0(VALU_DEP_1)
	v_add_co_ci_u32_e64 v6, s0, s11, v6, s0
	global_load_b64 v[5:6], v[5:6], off
.LBB300_5:
	s_or_b32 exec_lo, exec_lo, s1
	s_delay_alu instid0(SALU_CYCLE_1)
	s_mov_b32 s1, exec_lo
	v_cmpx_gt_i32_e64 s14, v2
	s_cbranch_execz .LBB300_7
; %bb.6:
	v_dual_mov_b32 v4, 0 :: v_dual_add_nc_u32 v3, s12, v2
	v_add_nc_u32_e32 v2, 0x100, v2
	s_delay_alu instid0(VALU_DEP_2) | instskip(NEXT) | instid1(VALU_DEP_1)
	v_lshlrev_b64 v[3:4], 3, v[3:4]
	v_add_co_u32 v3, s0, s10, v3
	s_delay_alu instid0(VALU_DEP_1)
	v_add_co_ci_u32_e64 v4, s0, s11, v4, s0
	global_load_b64 v[3:4], v[3:4], off
.LBB300_7:
	s_or_b32 exec_lo, exec_lo, s1
	v_mov_b32_e32 v7, 0
	v_mov_b32_e32 v8, 0
	s_mov_b32 s1, exec_lo
	s_delay_alu instid0(VALU_DEP_1)
	v_dual_mov_b32 v10, v8 :: v_dual_mov_b32 v9, v7
	v_cmpx_gt_i32_e64 s14, v2
	s_cbranch_execz .LBB300_9
; %bb.8:
	v_dual_mov_b32 v10, 0 :: v_dual_add_nc_u32 v9, s12, v2
	v_add_nc_u32_e32 v2, 0x100, v2
	s_delay_alu instid0(VALU_DEP_2) | instskip(NEXT) | instid1(VALU_DEP_1)
	v_lshlrev_b64 v[9:10], 3, v[9:10]
	v_add_co_u32 v9, s0, s10, v9
	s_delay_alu instid0(VALU_DEP_1)
	v_add_co_ci_u32_e64 v10, s0, s11, v10, s0
	global_load_b64 v[9:10], v[9:10], off
.LBB300_9:
	s_or_b32 exec_lo, exec_lo, s1
	s_delay_alu instid0(SALU_CYCLE_1)
	s_mov_b32 s1, exec_lo
	v_cmpx_gt_i32_e64 s14, v2
	s_cbranch_execz .LBB300_11
; %bb.10:
	v_dual_mov_b32 v8, 0 :: v_dual_add_nc_u32 v7, s12, v2
	s_delay_alu instid0(VALU_DEP_1) | instskip(NEXT) | instid1(VALU_DEP_1)
	v_lshlrev_b64 v[7:8], 3, v[7:8]
	v_add_co_u32 v7, s0, s10, v7
	s_delay_alu instid0(VALU_DEP_1)
	v_add_co_ci_u32_e64 v8, s0, s11, v8, s0
	global_load_b64 v[7:8], v[7:8], off
.LBB300_11:
	s_or_b32 exec_lo, exec_lo, s1
	s_waitcnt vmcnt(0)
	v_cmp_lt_i64_e64 s0, s[4:5], v[5:6]
	v_cmp_lt_i64_e64 s1, s[4:5], v[3:4]
	;; [unrolled: 1-line block ×4, first 2 shown]
	s_delay_alu instid0(VALU_DEP_4) | instskip(NEXT) | instid1(VALU_DEP_4)
	v_cndmask_b32_e64 v6, s5, v6, s0
	v_cndmask_b32_e64 v4, s5, v4, s1
	;; [unrolled: 1-line block ×8, first 2 shown]
	v_cmp_gt_i64_e64 s0, s[6:7], v[5:6]
	v_cmp_gt_i64_e64 s1, s[6:7], v[3:4]
	;; [unrolled: 1-line block ×3, first 2 shown]
	s_delay_alu instid0(VALU_DEP_4) | instskip(NEXT) | instid1(VALU_DEP_4)
	v_cmp_gt_i64_e64 s3, s[6:7], v[14:15]
	v_cndmask_b32_e64 v10, s7, v6, s0
	v_cndmask_b32_e64 v9, s6, v5, s0
	;; [unrolled: 1-line block ×8, first 2 shown]
	s_and_saveexec_b32 s0, vcc_lo
	s_cbranch_execnz .LBB300_17
; %bb.12:
	s_or_b32 exec_lo, exec_lo, s0
	s_delay_alu instid0(SALU_CYCLE_1)
	s_mov_b32 s0, exec_lo
	v_cmpx_gt_i32_e64 s14, v0
	s_cbranch_execnz .LBB300_18
.LBB300_13:
	s_or_b32 exec_lo, exec_lo, s0
	s_delay_alu instid0(SALU_CYCLE_1)
	s_mov_b32 s0, exec_lo
	v_cmpx_gt_i32_e64 s14, v0
	s_cbranch_execnz .LBB300_19
.LBB300_14:
	s_or_b32 exec_lo, exec_lo, s0
	s_delay_alu instid0(SALU_CYCLE_1)
	s_mov_b32 s0, exec_lo
	v_cmpx_gt_i32_e64 s14, v0
	s_cbranch_execz .LBB300_16
.LBB300_15:
	v_dual_mov_b32 v1, 0 :: v_dual_add_nc_u32 v0, s12, v0
	s_delay_alu instid0(VALU_DEP_1) | instskip(NEXT) | instid1(VALU_DEP_1)
	v_lshlrev_b64 v[0:1], 3, v[0:1]
	v_add_co_u32 v0, vcc_lo, s8, v0
	s_delay_alu instid0(VALU_DEP_2)
	v_add_co_ci_u32_e32 v1, vcc_lo, s9, v1, vcc_lo
	global_store_b64 v[0:1], v[3:4], off
.LBB300_16:
	s_nop 0
	s_sendmsg sendmsg(MSG_DEALLOC_VGPRS)
	s_endpgm
.LBB300_17:
	v_mov_b32_e32 v2, 0
	s_delay_alu instid0(VALU_DEP_1) | instskip(NEXT) | instid1(VALU_DEP_1)
	v_lshlrev_b64 v[0:1], 3, v[1:2]
	v_add_co_u32 v12, vcc_lo, s8, v0
	s_delay_alu instid0(VALU_DEP_2) | instskip(SKIP_3) | instid1(SALU_CYCLE_1)
	v_add_co_ci_u32_e32 v13, vcc_lo, s9, v1, vcc_lo
	v_mov_b32_e32 v0, v11
	global_store_b64 v[12:13], v[9:10], off
	s_or_b32 exec_lo, exec_lo, s0
	s_mov_b32 s0, exec_lo
	v_cmpx_gt_i32_e64 s14, v0
	s_cbranch_execz .LBB300_13
.LBB300_18:
	v_dual_mov_b32 v2, 0 :: v_dual_add_nc_u32 v1, s12, v0
	v_add_nc_u32_e32 v0, 0x100, v0
	s_delay_alu instid0(VALU_DEP_2) | instskip(NEXT) | instid1(VALU_DEP_1)
	v_lshlrev_b64 v[1:2], 3, v[1:2]
	v_add_co_u32 v1, vcc_lo, s8, v1
	s_delay_alu instid0(VALU_DEP_2) | instskip(SKIP_2) | instid1(SALU_CYCLE_1)
	v_add_co_ci_u32_e32 v2, vcc_lo, s9, v2, vcc_lo
	global_store_b64 v[1:2], v[7:8], off
	s_or_b32 exec_lo, exec_lo, s0
	s_mov_b32 s0, exec_lo
	v_cmpx_gt_i32_e64 s14, v0
	s_cbranch_execz .LBB300_14
.LBB300_19:
	v_dual_mov_b32 v2, 0 :: v_dual_add_nc_u32 v1, s12, v0
	v_add_nc_u32_e32 v0, 0x100, v0
	s_delay_alu instid0(VALU_DEP_2) | instskip(NEXT) | instid1(VALU_DEP_1)
	v_lshlrev_b64 v[1:2], 3, v[1:2]
	v_add_co_u32 v1, vcc_lo, s8, v1
	s_delay_alu instid0(VALU_DEP_2) | instskip(SKIP_2) | instid1(SALU_CYCLE_1)
	v_add_co_ci_u32_e32 v2, vcc_lo, s9, v2, vcc_lo
	global_store_b64 v[1:2], v[5:6], off
	s_or_b32 exec_lo, exec_lo, s0
	s_mov_b32 s0, exec_lo
	v_cmpx_gt_i32_e64 s14, v0
	s_cbranch_execnz .LBB300_15
	s_branch .LBB300_16
	.section	.rodata,"a",@progbits
	.p2align	6, 0x0
	.amdhsa_kernel _ZN2at6native29vectorized_elementwise_kernelILi4EZZZNS0_17clamp_kernel_cudaERNS_18TensorIteratorBaseERKN3c106ScalarES7_ENKUlvE_clEvENKUlvE2_clEvEUllE_St5arrayIPcLm2EEEEviT0_T1_
		.amdhsa_group_segment_fixed_size 0
		.amdhsa_private_segment_fixed_size 0
		.amdhsa_kernarg_size 40
		.amdhsa_user_sgpr_count 15
		.amdhsa_user_sgpr_dispatch_ptr 0
		.amdhsa_user_sgpr_queue_ptr 0
		.amdhsa_user_sgpr_kernarg_segment_ptr 1
		.amdhsa_user_sgpr_dispatch_id 0
		.amdhsa_user_sgpr_private_segment_size 0
		.amdhsa_wavefront_size32 1
		.amdhsa_uses_dynamic_stack 0
		.amdhsa_enable_private_segment 0
		.amdhsa_system_sgpr_workgroup_id_x 1
		.amdhsa_system_sgpr_workgroup_id_y 0
		.amdhsa_system_sgpr_workgroup_id_z 0
		.amdhsa_system_sgpr_workgroup_info 0
		.amdhsa_system_vgpr_workitem_id 0
		.amdhsa_next_free_vgpr 16
		.amdhsa_next_free_sgpr 18
		.amdhsa_reserve_vcc 1
		.amdhsa_float_round_mode_32 0
		.amdhsa_float_round_mode_16_64 0
		.amdhsa_float_denorm_mode_32 3
		.amdhsa_float_denorm_mode_16_64 3
		.amdhsa_dx10_clamp 1
		.amdhsa_ieee_mode 1
		.amdhsa_fp16_overflow 0
		.amdhsa_workgroup_processor_mode 1
		.amdhsa_memory_ordered 1
		.amdhsa_forward_progress 0
		.amdhsa_shared_vgpr_count 0
		.amdhsa_exception_fp_ieee_invalid_op 0
		.amdhsa_exception_fp_denorm_src 0
		.amdhsa_exception_fp_ieee_div_zero 0
		.amdhsa_exception_fp_ieee_overflow 0
		.amdhsa_exception_fp_ieee_underflow 0
		.amdhsa_exception_fp_ieee_inexact 0
		.amdhsa_exception_int_div_zero 0
	.end_amdhsa_kernel
	.section	.text._ZN2at6native29vectorized_elementwise_kernelILi4EZZZNS0_17clamp_kernel_cudaERNS_18TensorIteratorBaseERKN3c106ScalarES7_ENKUlvE_clEvENKUlvE2_clEvEUllE_St5arrayIPcLm2EEEEviT0_T1_,"axG",@progbits,_ZN2at6native29vectorized_elementwise_kernelILi4EZZZNS0_17clamp_kernel_cudaERNS_18TensorIteratorBaseERKN3c106ScalarES7_ENKUlvE_clEvENKUlvE2_clEvEUllE_St5arrayIPcLm2EEEEviT0_T1_,comdat
.Lfunc_end300:
	.size	_ZN2at6native29vectorized_elementwise_kernelILi4EZZZNS0_17clamp_kernel_cudaERNS_18TensorIteratorBaseERKN3c106ScalarES7_ENKUlvE_clEvENKUlvE2_clEvEUllE_St5arrayIPcLm2EEEEviT0_T1_, .Lfunc_end300-_ZN2at6native29vectorized_elementwise_kernelILi4EZZZNS0_17clamp_kernel_cudaERNS_18TensorIteratorBaseERKN3c106ScalarES7_ENKUlvE_clEvENKUlvE2_clEvEUllE_St5arrayIPcLm2EEEEviT0_T1_
                                        ; -- End function
	.section	.AMDGPU.csdata,"",@progbits
; Kernel info:
; codeLenInByte = 1224
; NumSgprs: 20
; NumVgprs: 16
; ScratchSize: 0
; MemoryBound: 0
; FloatMode: 240
; IeeeMode: 1
; LDSByteSize: 0 bytes/workgroup (compile time only)
; SGPRBlocks: 2
; VGPRBlocks: 1
; NumSGPRsForWavesPerEU: 20
; NumVGPRsForWavesPerEU: 16
; Occupancy: 16
; WaveLimiterHint : 0
; COMPUTE_PGM_RSRC2:SCRATCH_EN: 0
; COMPUTE_PGM_RSRC2:USER_SGPR: 15
; COMPUTE_PGM_RSRC2:TRAP_HANDLER: 0
; COMPUTE_PGM_RSRC2:TGID_X_EN: 1
; COMPUTE_PGM_RSRC2:TGID_Y_EN: 0
; COMPUTE_PGM_RSRC2:TGID_Z_EN: 0
; COMPUTE_PGM_RSRC2:TIDIG_COMP_CNT: 0
	.section	.text._ZN2at6native29vectorized_elementwise_kernelILi2EZZZNS0_17clamp_kernel_cudaERNS_18TensorIteratorBaseERKN3c106ScalarES7_ENKUlvE_clEvENKUlvE2_clEvEUllE_St5arrayIPcLm2EEEEviT0_T1_,"axG",@progbits,_ZN2at6native29vectorized_elementwise_kernelILi2EZZZNS0_17clamp_kernel_cudaERNS_18TensorIteratorBaseERKN3c106ScalarES7_ENKUlvE_clEvENKUlvE2_clEvEUllE_St5arrayIPcLm2EEEEviT0_T1_,comdat
	.globl	_ZN2at6native29vectorized_elementwise_kernelILi2EZZZNS0_17clamp_kernel_cudaERNS_18TensorIteratorBaseERKN3c106ScalarES7_ENKUlvE_clEvENKUlvE2_clEvEUllE_St5arrayIPcLm2EEEEviT0_T1_ ; -- Begin function _ZN2at6native29vectorized_elementwise_kernelILi2EZZZNS0_17clamp_kernel_cudaERNS_18TensorIteratorBaseERKN3c106ScalarES7_ENKUlvE_clEvENKUlvE2_clEvEUllE_St5arrayIPcLm2EEEEviT0_T1_
	.p2align	8
	.type	_ZN2at6native29vectorized_elementwise_kernelILi2EZZZNS0_17clamp_kernel_cudaERNS_18TensorIteratorBaseERKN3c106ScalarES7_ENKUlvE_clEvENKUlvE2_clEvEUllE_St5arrayIPcLm2EEEEviT0_T1_,@function
_ZN2at6native29vectorized_elementwise_kernelILi2EZZZNS0_17clamp_kernel_cudaERNS_18TensorIteratorBaseERKN3c106ScalarES7_ENKUlvE_clEvENKUlvE2_clEvEUllE_St5arrayIPcLm2EEEEviT0_T1_: ; @_ZN2at6native29vectorized_elementwise_kernelILi2EZZZNS0_17clamp_kernel_cudaERNS_18TensorIteratorBaseERKN3c106ScalarES7_ENKUlvE_clEvENKUlvE2_clEvEUllE_St5arrayIPcLm2EEEEviT0_T1_
; %bb.0:
	s_clause 0x1
	s_load_b32 s2, s[0:1], 0x0
	s_load_b256 s[4:11], s[0:1], 0x8
	s_lshl_b32 s12, s15, 10
	s_mov_b32 s0, -1
	s_waitcnt lgkmcnt(0)
	s_sub_i32 s14, s2, s12
	s_delay_alu instid0(SALU_CYCLE_1)
	s_cmpk_gt_i32 s14, 0x3ff
	s_cbranch_scc0 .LBB301_2
; %bb.1:
	s_ashr_i32 s13, s12, 31
	v_lshlrev_b32_e32 v11, 4, v0
	s_lshl_b64 s[0:1], s[12:13], 3
	s_delay_alu instid0(SALU_CYCLE_1) | instskip(SKIP_1) | instid1(VALU_DEP_1)
	s_add_u32 s2, s10, s0
	s_addc_u32 s3, s11, s1
	v_add_co_u32 v1, s13, s2, v11
	s_delay_alu instid0(VALU_DEP_1) | instskip(SKIP_1) | instid1(VALU_DEP_2)
	v_add_co_ci_u32_e64 v2, null, s3, 0, s13
	s_add_u32 s16, s8, s0
	v_add_co_u32 v5, vcc_lo, 0x1000, v1
	s_delay_alu instid0(VALU_DEP_2)
	v_add_co_ci_u32_e32 v6, vcc_lo, 0, v2, vcc_lo
	s_addc_u32 s17, s9, s1
	s_clause 0x1
	global_load_b128 v[1:4], v11, s[2:3]
	global_load_b128 v[5:8], v[5:6], off
	s_waitcnt vmcnt(1)
	v_cmp_lt_i64_e32 vcc_lo, s[4:5], v[1:2]
	s_waitcnt vmcnt(0)
	v_cmp_lt_i64_e64 s1, s[4:5], v[5:6]
	v_cmp_lt_i64_e64 s2, s[4:5], v[7:8]
	v_cndmask_b32_e32 v2, s5, v2, vcc_lo
	v_add_co_u32 v9, s0, s16, v11
	s_delay_alu instid0(VALU_DEP_1)
	v_add_co_ci_u32_e64 v10, null, s17, 0, s0
	v_cmp_lt_i64_e64 s0, s[4:5], v[3:4]
	v_cndmask_b32_e32 v1, s4, v1, vcc_lo
	v_cndmask_b32_e64 v6, s5, v6, s1
	v_cndmask_b32_e64 v8, s5, v8, s2
	;; [unrolled: 1-line block ×6, first 2 shown]
	v_cmp_gt_i64_e32 vcc_lo, s[6:7], v[1:2]
	v_cmp_gt_i64_e64 s1, s[6:7], v[5:6]
	v_cmp_gt_i64_e64 s2, s[6:7], v[7:8]
	s_delay_alu instid0(VALU_DEP_4) | instskip(SKIP_3) | instid1(VALU_DEP_4)
	v_cmp_gt_i64_e64 s0, s[6:7], v[3:4]
	v_cndmask_b32_e32 v2, s7, v2, vcc_lo
	v_cndmask_b32_e32 v1, s6, v1, vcc_lo
	v_add_co_u32 v9, vcc_lo, 0x1000, v9
	v_cndmask_b32_e64 v4, s7, v4, s0
	v_cndmask_b32_e64 v3, s6, v3, s0
	;; [unrolled: 1-line block ×6, first 2 shown]
	v_add_co_ci_u32_e32 v10, vcc_lo, 0, v10, vcc_lo
	s_mov_b32 s0, 0
	s_clause 0x1
	global_store_b128 v11, v[1:4], s[16:17]
	global_store_b128 v[9:10], v[5:8], off
.LBB301_2:
	s_and_not1_b32 vcc_lo, exec_lo, s0
	s_cbranch_vccnz .LBB301_16
; %bb.3:
	v_dual_mov_b32 v3, 0 :: v_dual_mov_b32 v2, v0
	v_mov_b32_e32 v4, 0
	v_cmp_gt_i32_e32 vcc_lo, s14, v0
	v_or_b32_e32 v1, s12, v0
	v_or_b32_e32 v11, 0x100, v0
	s_delay_alu instid0(VALU_DEP_4)
	v_dual_mov_b32 v6, v4 :: v_dual_mov_b32 v5, v3
	s_and_saveexec_b32 s1, vcc_lo
	s_cbranch_execz .LBB301_5
; %bb.4:
	v_mov_b32_e32 v2, 0
	s_delay_alu instid0(VALU_DEP_1) | instskip(SKIP_1) | instid1(VALU_DEP_2)
	v_lshlrev_b64 v[5:6], 3, v[1:2]
	v_or_b32_e32 v2, 0x100, v0
	v_add_co_u32 v5, s0, s10, v5
	s_delay_alu instid0(VALU_DEP_1)
	v_add_co_ci_u32_e64 v6, s0, s11, v6, s0
	global_load_b64 v[5:6], v[5:6], off
.LBB301_5:
	s_or_b32 exec_lo, exec_lo, s1
	s_delay_alu instid0(SALU_CYCLE_1)
	s_mov_b32 s1, exec_lo
	v_cmpx_gt_i32_e64 s14, v2
	s_cbranch_execz .LBB301_7
; %bb.6:
	v_dual_mov_b32 v4, 0 :: v_dual_add_nc_u32 v3, s12, v2
	v_add_nc_u32_e32 v2, 0x100, v2
	s_delay_alu instid0(VALU_DEP_2) | instskip(NEXT) | instid1(VALU_DEP_1)
	v_lshlrev_b64 v[3:4], 3, v[3:4]
	v_add_co_u32 v3, s0, s10, v3
	s_delay_alu instid0(VALU_DEP_1)
	v_add_co_ci_u32_e64 v4, s0, s11, v4, s0
	global_load_b64 v[3:4], v[3:4], off
.LBB301_7:
	s_or_b32 exec_lo, exec_lo, s1
	v_mov_b32_e32 v7, 0
	v_mov_b32_e32 v8, 0
	s_mov_b32 s1, exec_lo
	s_delay_alu instid0(VALU_DEP_1)
	v_dual_mov_b32 v10, v8 :: v_dual_mov_b32 v9, v7
	v_cmpx_gt_i32_e64 s14, v2
	s_cbranch_execz .LBB301_9
; %bb.8:
	v_dual_mov_b32 v10, 0 :: v_dual_add_nc_u32 v9, s12, v2
	v_add_nc_u32_e32 v2, 0x100, v2
	s_delay_alu instid0(VALU_DEP_2) | instskip(NEXT) | instid1(VALU_DEP_1)
	v_lshlrev_b64 v[9:10], 3, v[9:10]
	v_add_co_u32 v9, s0, s10, v9
	s_delay_alu instid0(VALU_DEP_1)
	v_add_co_ci_u32_e64 v10, s0, s11, v10, s0
	global_load_b64 v[9:10], v[9:10], off
.LBB301_9:
	s_or_b32 exec_lo, exec_lo, s1
	s_delay_alu instid0(SALU_CYCLE_1)
	s_mov_b32 s1, exec_lo
	v_cmpx_gt_i32_e64 s14, v2
	s_cbranch_execz .LBB301_11
; %bb.10:
	v_dual_mov_b32 v8, 0 :: v_dual_add_nc_u32 v7, s12, v2
	s_delay_alu instid0(VALU_DEP_1) | instskip(NEXT) | instid1(VALU_DEP_1)
	v_lshlrev_b64 v[7:8], 3, v[7:8]
	v_add_co_u32 v7, s0, s10, v7
	s_delay_alu instid0(VALU_DEP_1)
	v_add_co_ci_u32_e64 v8, s0, s11, v8, s0
	global_load_b64 v[7:8], v[7:8], off
.LBB301_11:
	s_or_b32 exec_lo, exec_lo, s1
	s_waitcnt vmcnt(0)
	v_cmp_lt_i64_e64 s0, s[4:5], v[5:6]
	v_cmp_lt_i64_e64 s1, s[4:5], v[3:4]
	;; [unrolled: 1-line block ×4, first 2 shown]
	s_delay_alu instid0(VALU_DEP_4) | instskip(NEXT) | instid1(VALU_DEP_4)
	v_cndmask_b32_e64 v6, s5, v6, s0
	v_cndmask_b32_e64 v4, s5, v4, s1
	;; [unrolled: 1-line block ×8, first 2 shown]
	v_cmp_gt_i64_e64 s0, s[6:7], v[5:6]
	v_cmp_gt_i64_e64 s1, s[6:7], v[3:4]
	;; [unrolled: 1-line block ×3, first 2 shown]
	s_delay_alu instid0(VALU_DEP_4) | instskip(NEXT) | instid1(VALU_DEP_4)
	v_cmp_gt_i64_e64 s3, s[6:7], v[14:15]
	v_cndmask_b32_e64 v10, s7, v6, s0
	v_cndmask_b32_e64 v9, s6, v5, s0
	;; [unrolled: 1-line block ×8, first 2 shown]
	s_and_saveexec_b32 s0, vcc_lo
	s_cbranch_execnz .LBB301_17
; %bb.12:
	s_or_b32 exec_lo, exec_lo, s0
	s_delay_alu instid0(SALU_CYCLE_1)
	s_mov_b32 s0, exec_lo
	v_cmpx_gt_i32_e64 s14, v0
	s_cbranch_execnz .LBB301_18
.LBB301_13:
	s_or_b32 exec_lo, exec_lo, s0
	s_delay_alu instid0(SALU_CYCLE_1)
	s_mov_b32 s0, exec_lo
	v_cmpx_gt_i32_e64 s14, v0
	s_cbranch_execnz .LBB301_19
.LBB301_14:
	s_or_b32 exec_lo, exec_lo, s0
	s_delay_alu instid0(SALU_CYCLE_1)
	s_mov_b32 s0, exec_lo
	v_cmpx_gt_i32_e64 s14, v0
	s_cbranch_execz .LBB301_16
.LBB301_15:
	v_dual_mov_b32 v1, 0 :: v_dual_add_nc_u32 v0, s12, v0
	s_delay_alu instid0(VALU_DEP_1) | instskip(NEXT) | instid1(VALU_DEP_1)
	v_lshlrev_b64 v[0:1], 3, v[0:1]
	v_add_co_u32 v0, vcc_lo, s8, v0
	s_delay_alu instid0(VALU_DEP_2)
	v_add_co_ci_u32_e32 v1, vcc_lo, s9, v1, vcc_lo
	global_store_b64 v[0:1], v[3:4], off
.LBB301_16:
	s_nop 0
	s_sendmsg sendmsg(MSG_DEALLOC_VGPRS)
	s_endpgm
.LBB301_17:
	v_mov_b32_e32 v2, 0
	s_delay_alu instid0(VALU_DEP_1) | instskip(NEXT) | instid1(VALU_DEP_1)
	v_lshlrev_b64 v[0:1], 3, v[1:2]
	v_add_co_u32 v12, vcc_lo, s8, v0
	s_delay_alu instid0(VALU_DEP_2) | instskip(SKIP_3) | instid1(SALU_CYCLE_1)
	v_add_co_ci_u32_e32 v13, vcc_lo, s9, v1, vcc_lo
	v_mov_b32_e32 v0, v11
	global_store_b64 v[12:13], v[9:10], off
	s_or_b32 exec_lo, exec_lo, s0
	s_mov_b32 s0, exec_lo
	v_cmpx_gt_i32_e64 s14, v0
	s_cbranch_execz .LBB301_13
.LBB301_18:
	v_dual_mov_b32 v2, 0 :: v_dual_add_nc_u32 v1, s12, v0
	v_add_nc_u32_e32 v0, 0x100, v0
	s_delay_alu instid0(VALU_DEP_2) | instskip(NEXT) | instid1(VALU_DEP_1)
	v_lshlrev_b64 v[1:2], 3, v[1:2]
	v_add_co_u32 v1, vcc_lo, s8, v1
	s_delay_alu instid0(VALU_DEP_2) | instskip(SKIP_2) | instid1(SALU_CYCLE_1)
	v_add_co_ci_u32_e32 v2, vcc_lo, s9, v2, vcc_lo
	global_store_b64 v[1:2], v[7:8], off
	s_or_b32 exec_lo, exec_lo, s0
	s_mov_b32 s0, exec_lo
	v_cmpx_gt_i32_e64 s14, v0
	s_cbranch_execz .LBB301_14
.LBB301_19:
	v_dual_mov_b32 v2, 0 :: v_dual_add_nc_u32 v1, s12, v0
	v_add_nc_u32_e32 v0, 0x100, v0
	s_delay_alu instid0(VALU_DEP_2) | instskip(NEXT) | instid1(VALU_DEP_1)
	v_lshlrev_b64 v[1:2], 3, v[1:2]
	v_add_co_u32 v1, vcc_lo, s8, v1
	s_delay_alu instid0(VALU_DEP_2) | instskip(SKIP_2) | instid1(SALU_CYCLE_1)
	v_add_co_ci_u32_e32 v2, vcc_lo, s9, v2, vcc_lo
	global_store_b64 v[1:2], v[5:6], off
	s_or_b32 exec_lo, exec_lo, s0
	s_mov_b32 s0, exec_lo
	v_cmpx_gt_i32_e64 s14, v0
	s_cbranch_execnz .LBB301_15
	s_branch .LBB301_16
	.section	.rodata,"a",@progbits
	.p2align	6, 0x0
	.amdhsa_kernel _ZN2at6native29vectorized_elementwise_kernelILi2EZZZNS0_17clamp_kernel_cudaERNS_18TensorIteratorBaseERKN3c106ScalarES7_ENKUlvE_clEvENKUlvE2_clEvEUllE_St5arrayIPcLm2EEEEviT0_T1_
		.amdhsa_group_segment_fixed_size 0
		.amdhsa_private_segment_fixed_size 0
		.amdhsa_kernarg_size 40
		.amdhsa_user_sgpr_count 15
		.amdhsa_user_sgpr_dispatch_ptr 0
		.amdhsa_user_sgpr_queue_ptr 0
		.amdhsa_user_sgpr_kernarg_segment_ptr 1
		.amdhsa_user_sgpr_dispatch_id 0
		.amdhsa_user_sgpr_private_segment_size 0
		.amdhsa_wavefront_size32 1
		.amdhsa_uses_dynamic_stack 0
		.amdhsa_enable_private_segment 0
		.amdhsa_system_sgpr_workgroup_id_x 1
		.amdhsa_system_sgpr_workgroup_id_y 0
		.amdhsa_system_sgpr_workgroup_id_z 0
		.amdhsa_system_sgpr_workgroup_info 0
		.amdhsa_system_vgpr_workitem_id 0
		.amdhsa_next_free_vgpr 16
		.amdhsa_next_free_sgpr 18
		.amdhsa_reserve_vcc 1
		.amdhsa_float_round_mode_32 0
		.amdhsa_float_round_mode_16_64 0
		.amdhsa_float_denorm_mode_32 3
		.amdhsa_float_denorm_mode_16_64 3
		.amdhsa_dx10_clamp 1
		.amdhsa_ieee_mode 1
		.amdhsa_fp16_overflow 0
		.amdhsa_workgroup_processor_mode 1
		.amdhsa_memory_ordered 1
		.amdhsa_forward_progress 0
		.amdhsa_shared_vgpr_count 0
		.amdhsa_exception_fp_ieee_invalid_op 0
		.amdhsa_exception_fp_denorm_src 0
		.amdhsa_exception_fp_ieee_div_zero 0
		.amdhsa_exception_fp_ieee_overflow 0
		.amdhsa_exception_fp_ieee_underflow 0
		.amdhsa_exception_fp_ieee_inexact 0
		.amdhsa_exception_int_div_zero 0
	.end_amdhsa_kernel
	.section	.text._ZN2at6native29vectorized_elementwise_kernelILi2EZZZNS0_17clamp_kernel_cudaERNS_18TensorIteratorBaseERKN3c106ScalarES7_ENKUlvE_clEvENKUlvE2_clEvEUllE_St5arrayIPcLm2EEEEviT0_T1_,"axG",@progbits,_ZN2at6native29vectorized_elementwise_kernelILi2EZZZNS0_17clamp_kernel_cudaERNS_18TensorIteratorBaseERKN3c106ScalarES7_ENKUlvE_clEvENKUlvE2_clEvEUllE_St5arrayIPcLm2EEEEviT0_T1_,comdat
.Lfunc_end301:
	.size	_ZN2at6native29vectorized_elementwise_kernelILi2EZZZNS0_17clamp_kernel_cudaERNS_18TensorIteratorBaseERKN3c106ScalarES7_ENKUlvE_clEvENKUlvE2_clEvEUllE_St5arrayIPcLm2EEEEviT0_T1_, .Lfunc_end301-_ZN2at6native29vectorized_elementwise_kernelILi2EZZZNS0_17clamp_kernel_cudaERNS_18TensorIteratorBaseERKN3c106ScalarES7_ENKUlvE_clEvENKUlvE2_clEvEUllE_St5arrayIPcLm2EEEEviT0_T1_
                                        ; -- End function
	.section	.AMDGPU.csdata,"",@progbits
; Kernel info:
; codeLenInByte = 1292
; NumSgprs: 20
; NumVgprs: 16
; ScratchSize: 0
; MemoryBound: 0
; FloatMode: 240
; IeeeMode: 1
; LDSByteSize: 0 bytes/workgroup (compile time only)
; SGPRBlocks: 2
; VGPRBlocks: 1
; NumSGPRsForWavesPerEU: 20
; NumVGPRsForWavesPerEU: 16
; Occupancy: 16
; WaveLimiterHint : 1
; COMPUTE_PGM_RSRC2:SCRATCH_EN: 0
; COMPUTE_PGM_RSRC2:USER_SGPR: 15
; COMPUTE_PGM_RSRC2:TRAP_HANDLER: 0
; COMPUTE_PGM_RSRC2:TGID_X_EN: 1
; COMPUTE_PGM_RSRC2:TGID_Y_EN: 0
; COMPUTE_PGM_RSRC2:TGID_Z_EN: 0
; COMPUTE_PGM_RSRC2:TIDIG_COMP_CNT: 0
	.section	.text._ZN2at6native27unrolled_elementwise_kernelIZZZNS0_17clamp_kernel_cudaERNS_18TensorIteratorBaseERKN3c106ScalarES7_ENKUlvE_clEvENKUlvE2_clEvEUllE_St5arrayIPcLm2EELi4E23TrivialOffsetCalculatorILi1EjESF_NS0_6memory15LoadWithoutCastENSG_16StoreWithoutCastEEEviT_T0_T2_T3_T4_T5_,"axG",@progbits,_ZN2at6native27unrolled_elementwise_kernelIZZZNS0_17clamp_kernel_cudaERNS_18TensorIteratorBaseERKN3c106ScalarES7_ENKUlvE_clEvENKUlvE2_clEvEUllE_St5arrayIPcLm2EELi4E23TrivialOffsetCalculatorILi1EjESF_NS0_6memory15LoadWithoutCastENSG_16StoreWithoutCastEEEviT_T0_T2_T3_T4_T5_,comdat
	.globl	_ZN2at6native27unrolled_elementwise_kernelIZZZNS0_17clamp_kernel_cudaERNS_18TensorIteratorBaseERKN3c106ScalarES7_ENKUlvE_clEvENKUlvE2_clEvEUllE_St5arrayIPcLm2EELi4E23TrivialOffsetCalculatorILi1EjESF_NS0_6memory15LoadWithoutCastENSG_16StoreWithoutCastEEEviT_T0_T2_T3_T4_T5_ ; -- Begin function _ZN2at6native27unrolled_elementwise_kernelIZZZNS0_17clamp_kernel_cudaERNS_18TensorIteratorBaseERKN3c106ScalarES7_ENKUlvE_clEvENKUlvE2_clEvEUllE_St5arrayIPcLm2EELi4E23TrivialOffsetCalculatorILi1EjESF_NS0_6memory15LoadWithoutCastENSG_16StoreWithoutCastEEEviT_T0_T2_T3_T4_T5_
	.p2align	8
	.type	_ZN2at6native27unrolled_elementwise_kernelIZZZNS0_17clamp_kernel_cudaERNS_18TensorIteratorBaseERKN3c106ScalarES7_ENKUlvE_clEvENKUlvE2_clEvEUllE_St5arrayIPcLm2EELi4E23TrivialOffsetCalculatorILi1EjESF_NS0_6memory15LoadWithoutCastENSG_16StoreWithoutCastEEEviT_T0_T2_T3_T4_T5_,@function
_ZN2at6native27unrolled_elementwise_kernelIZZZNS0_17clamp_kernel_cudaERNS_18TensorIteratorBaseERKN3c106ScalarES7_ENKUlvE_clEvENKUlvE2_clEvEUllE_St5arrayIPcLm2EELi4E23TrivialOffsetCalculatorILi1EjESF_NS0_6memory15LoadWithoutCastENSG_16StoreWithoutCastEEEviT_T0_T2_T3_T4_T5_: ; @_ZN2at6native27unrolled_elementwise_kernelIZZZNS0_17clamp_kernel_cudaERNS_18TensorIteratorBaseERKN3c106ScalarES7_ENKUlvE_clEvENKUlvE2_clEvEUllE_St5arrayIPcLm2EELi4E23TrivialOffsetCalculatorILi1EjESF_NS0_6memory15LoadWithoutCastENSG_16StoreWithoutCastEEEviT_T0_T2_T3_T4_T5_
; %bb.0:
	s_clause 0x1
	s_load_b32 s2, s[0:1], 0x0
	s_load_b256 s[4:11], s[0:1], 0x8
	v_dual_mov_b32 v3, 0 :: v_dual_mov_b32 v2, v0
	v_mov_b32_e32 v4, 0
	s_lshl_b32 s12, s15, 10
	v_or_b32_e32 v11, 0x100, v0
	v_or_b32_e32 v1, s12, v0
	s_delay_alu instid0(VALU_DEP_3) | instskip(SKIP_2) | instid1(SALU_CYCLE_1)
	v_dual_mov_b32 v6, v4 :: v_dual_mov_b32 v5, v3
	s_waitcnt lgkmcnt(0)
	s_sub_i32 s13, s2, s12
	v_cmp_gt_i32_e32 vcc_lo, s13, v0
	s_and_saveexec_b32 s1, vcc_lo
	s_cbranch_execz .LBB302_2
; %bb.1:
	v_mov_b32_e32 v2, 0
	s_delay_alu instid0(VALU_DEP_1) | instskip(SKIP_1) | instid1(VALU_DEP_2)
	v_lshlrev_b64 v[5:6], 3, v[1:2]
	v_or_b32_e32 v2, 0x100, v0
	v_add_co_u32 v5, s0, s10, v5
	s_delay_alu instid0(VALU_DEP_1)
	v_add_co_ci_u32_e64 v6, s0, s11, v6, s0
	global_load_b64 v[5:6], v[5:6], off
.LBB302_2:
	s_or_b32 exec_lo, exec_lo, s1
	s_delay_alu instid0(SALU_CYCLE_1)
	s_mov_b32 s1, exec_lo
	v_cmpx_gt_i32_e64 s13, v2
	s_cbranch_execz .LBB302_4
; %bb.3:
	v_dual_mov_b32 v4, 0 :: v_dual_add_nc_u32 v3, s12, v2
	v_add_nc_u32_e32 v2, 0x100, v2
	s_delay_alu instid0(VALU_DEP_2) | instskip(NEXT) | instid1(VALU_DEP_1)
	v_lshlrev_b64 v[3:4], 3, v[3:4]
	v_add_co_u32 v3, s0, s10, v3
	s_delay_alu instid0(VALU_DEP_1)
	v_add_co_ci_u32_e64 v4, s0, s11, v4, s0
	global_load_b64 v[3:4], v[3:4], off
.LBB302_4:
	s_or_b32 exec_lo, exec_lo, s1
	v_mov_b32_e32 v7, 0
	v_mov_b32_e32 v8, 0
	s_mov_b32 s1, exec_lo
	s_delay_alu instid0(VALU_DEP_1)
	v_dual_mov_b32 v10, v8 :: v_dual_mov_b32 v9, v7
	v_cmpx_gt_i32_e64 s13, v2
	s_cbranch_execz .LBB302_6
; %bb.5:
	v_dual_mov_b32 v10, 0 :: v_dual_add_nc_u32 v9, s12, v2
	v_add_nc_u32_e32 v2, 0x100, v2
	s_delay_alu instid0(VALU_DEP_2) | instskip(NEXT) | instid1(VALU_DEP_1)
	v_lshlrev_b64 v[9:10], 3, v[9:10]
	v_add_co_u32 v9, s0, s10, v9
	s_delay_alu instid0(VALU_DEP_1)
	v_add_co_ci_u32_e64 v10, s0, s11, v10, s0
	global_load_b64 v[9:10], v[9:10], off
.LBB302_6:
	s_or_b32 exec_lo, exec_lo, s1
	s_delay_alu instid0(SALU_CYCLE_1)
	s_mov_b32 s1, exec_lo
	v_cmpx_gt_i32_e64 s13, v2
	s_cbranch_execz .LBB302_8
; %bb.7:
	v_dual_mov_b32 v8, 0 :: v_dual_add_nc_u32 v7, s12, v2
	s_delay_alu instid0(VALU_DEP_1) | instskip(NEXT) | instid1(VALU_DEP_1)
	v_lshlrev_b64 v[7:8], 3, v[7:8]
	v_add_co_u32 v7, s0, s10, v7
	s_delay_alu instid0(VALU_DEP_1)
	v_add_co_ci_u32_e64 v8, s0, s11, v8, s0
	global_load_b64 v[7:8], v[7:8], off
.LBB302_8:
	s_or_b32 exec_lo, exec_lo, s1
	s_waitcnt vmcnt(0)
	v_cmp_lt_i64_e64 s0, s[4:5], v[5:6]
	v_cmp_lt_i64_e64 s1, s[4:5], v[3:4]
	;; [unrolled: 1-line block ×4, first 2 shown]
	s_delay_alu instid0(VALU_DEP_4) | instskip(NEXT) | instid1(VALU_DEP_4)
	v_cndmask_b32_e64 v6, s5, v6, s0
	v_cndmask_b32_e64 v4, s5, v4, s1
	v_cndmask_b32_e64 v5, s4, v5, s0
	v_cndmask_b32_e64 v3, s4, v3, s1
	v_cndmask_b32_e64 v13, s5, v10, s2
	v_cndmask_b32_e64 v12, s4, v9, s2
	v_cndmask_b32_e64 v15, s5, v8, s3
	v_cndmask_b32_e64 v14, s4, v7, s3
	v_cmp_gt_i64_e64 s0, s[6:7], v[5:6]
	v_cmp_gt_i64_e64 s1, s[6:7], v[3:4]
	;; [unrolled: 1-line block ×3, first 2 shown]
	s_delay_alu instid0(VALU_DEP_4) | instskip(NEXT) | instid1(VALU_DEP_4)
	v_cmp_gt_i64_e64 s3, s[6:7], v[14:15]
	v_cndmask_b32_e64 v10, s7, v6, s0
	v_cndmask_b32_e64 v9, s6, v5, s0
	;; [unrolled: 1-line block ×8, first 2 shown]
	s_and_saveexec_b32 s0, vcc_lo
	s_cbranch_execnz .LBB302_13
; %bb.9:
	s_or_b32 exec_lo, exec_lo, s0
	s_delay_alu instid0(SALU_CYCLE_1)
	s_mov_b32 s0, exec_lo
	v_cmpx_gt_i32_e64 s13, v0
	s_cbranch_execnz .LBB302_14
.LBB302_10:
	s_or_b32 exec_lo, exec_lo, s0
	s_delay_alu instid0(SALU_CYCLE_1)
	s_mov_b32 s0, exec_lo
	v_cmpx_gt_i32_e64 s13, v0
	s_cbranch_execnz .LBB302_15
.LBB302_11:
	s_or_b32 exec_lo, exec_lo, s0
	s_delay_alu instid0(SALU_CYCLE_1)
	s_mov_b32 s0, exec_lo
	v_cmpx_gt_i32_e64 s13, v0
	s_cbranch_execnz .LBB302_16
.LBB302_12:
	s_nop 0
	s_sendmsg sendmsg(MSG_DEALLOC_VGPRS)
	s_endpgm
.LBB302_13:
	v_mov_b32_e32 v2, 0
	s_delay_alu instid0(VALU_DEP_1) | instskip(NEXT) | instid1(VALU_DEP_1)
	v_lshlrev_b64 v[0:1], 3, v[1:2]
	v_add_co_u32 v12, vcc_lo, s8, v0
	s_delay_alu instid0(VALU_DEP_2) | instskip(SKIP_3) | instid1(SALU_CYCLE_1)
	v_add_co_ci_u32_e32 v13, vcc_lo, s9, v1, vcc_lo
	v_mov_b32_e32 v0, v11
	global_store_b64 v[12:13], v[9:10], off
	s_or_b32 exec_lo, exec_lo, s0
	s_mov_b32 s0, exec_lo
	v_cmpx_gt_i32_e64 s13, v0
	s_cbranch_execz .LBB302_10
.LBB302_14:
	v_dual_mov_b32 v2, 0 :: v_dual_add_nc_u32 v1, s12, v0
	v_add_nc_u32_e32 v0, 0x100, v0
	s_delay_alu instid0(VALU_DEP_2) | instskip(NEXT) | instid1(VALU_DEP_1)
	v_lshlrev_b64 v[1:2], 3, v[1:2]
	v_add_co_u32 v1, vcc_lo, s8, v1
	s_delay_alu instid0(VALU_DEP_2) | instskip(SKIP_2) | instid1(SALU_CYCLE_1)
	v_add_co_ci_u32_e32 v2, vcc_lo, s9, v2, vcc_lo
	global_store_b64 v[1:2], v[7:8], off
	s_or_b32 exec_lo, exec_lo, s0
	s_mov_b32 s0, exec_lo
	v_cmpx_gt_i32_e64 s13, v0
	s_cbranch_execz .LBB302_11
.LBB302_15:
	v_dual_mov_b32 v2, 0 :: v_dual_add_nc_u32 v1, s12, v0
	v_add_nc_u32_e32 v0, 0x100, v0
	s_delay_alu instid0(VALU_DEP_2) | instskip(NEXT) | instid1(VALU_DEP_1)
	v_lshlrev_b64 v[1:2], 3, v[1:2]
	v_add_co_u32 v1, vcc_lo, s8, v1
	s_delay_alu instid0(VALU_DEP_2) | instskip(SKIP_2) | instid1(SALU_CYCLE_1)
	v_add_co_ci_u32_e32 v2, vcc_lo, s9, v2, vcc_lo
	global_store_b64 v[1:2], v[5:6], off
	s_or_b32 exec_lo, exec_lo, s0
	s_mov_b32 s0, exec_lo
	v_cmpx_gt_i32_e64 s13, v0
	s_cbranch_execz .LBB302_12
.LBB302_16:
	v_dual_mov_b32 v1, 0 :: v_dual_add_nc_u32 v0, s12, v0
	s_delay_alu instid0(VALU_DEP_1) | instskip(NEXT) | instid1(VALU_DEP_1)
	v_lshlrev_b64 v[0:1], 3, v[0:1]
	v_add_co_u32 v0, vcc_lo, s8, v0
	s_delay_alu instid0(VALU_DEP_2)
	v_add_co_ci_u32_e32 v1, vcc_lo, s9, v1, vcc_lo
	global_store_b64 v[0:1], v[3:4], off
	s_nop 0
	s_sendmsg sendmsg(MSG_DEALLOC_VGPRS)
	s_endpgm
	.section	.rodata,"a",@progbits
	.p2align	6, 0x0
	.amdhsa_kernel _ZN2at6native27unrolled_elementwise_kernelIZZZNS0_17clamp_kernel_cudaERNS_18TensorIteratorBaseERKN3c106ScalarES7_ENKUlvE_clEvENKUlvE2_clEvEUllE_St5arrayIPcLm2EELi4E23TrivialOffsetCalculatorILi1EjESF_NS0_6memory15LoadWithoutCastENSG_16StoreWithoutCastEEEviT_T0_T2_T3_T4_T5_
		.amdhsa_group_segment_fixed_size 0
		.amdhsa_private_segment_fixed_size 0
		.amdhsa_kernarg_size 44
		.amdhsa_user_sgpr_count 15
		.amdhsa_user_sgpr_dispatch_ptr 0
		.amdhsa_user_sgpr_queue_ptr 0
		.amdhsa_user_sgpr_kernarg_segment_ptr 1
		.amdhsa_user_sgpr_dispatch_id 0
		.amdhsa_user_sgpr_private_segment_size 0
		.amdhsa_wavefront_size32 1
		.amdhsa_uses_dynamic_stack 0
		.amdhsa_enable_private_segment 0
		.amdhsa_system_sgpr_workgroup_id_x 1
		.amdhsa_system_sgpr_workgroup_id_y 0
		.amdhsa_system_sgpr_workgroup_id_z 0
		.amdhsa_system_sgpr_workgroup_info 0
		.amdhsa_system_vgpr_workitem_id 0
		.amdhsa_next_free_vgpr 16
		.amdhsa_next_free_sgpr 16
		.amdhsa_reserve_vcc 1
		.amdhsa_float_round_mode_32 0
		.amdhsa_float_round_mode_16_64 0
		.amdhsa_float_denorm_mode_32 3
		.amdhsa_float_denorm_mode_16_64 3
		.amdhsa_dx10_clamp 1
		.amdhsa_ieee_mode 1
		.amdhsa_fp16_overflow 0
		.amdhsa_workgroup_processor_mode 1
		.amdhsa_memory_ordered 1
		.amdhsa_forward_progress 0
		.amdhsa_shared_vgpr_count 0
		.amdhsa_exception_fp_ieee_invalid_op 0
		.amdhsa_exception_fp_denorm_src 0
		.amdhsa_exception_fp_ieee_div_zero 0
		.amdhsa_exception_fp_ieee_overflow 0
		.amdhsa_exception_fp_ieee_underflow 0
		.amdhsa_exception_fp_ieee_inexact 0
		.amdhsa_exception_int_div_zero 0
	.end_amdhsa_kernel
	.section	.text._ZN2at6native27unrolled_elementwise_kernelIZZZNS0_17clamp_kernel_cudaERNS_18TensorIteratorBaseERKN3c106ScalarES7_ENKUlvE_clEvENKUlvE2_clEvEUllE_St5arrayIPcLm2EELi4E23TrivialOffsetCalculatorILi1EjESF_NS0_6memory15LoadWithoutCastENSG_16StoreWithoutCastEEEviT_T0_T2_T3_T4_T5_,"axG",@progbits,_ZN2at6native27unrolled_elementwise_kernelIZZZNS0_17clamp_kernel_cudaERNS_18TensorIteratorBaseERKN3c106ScalarES7_ENKUlvE_clEvENKUlvE2_clEvEUllE_St5arrayIPcLm2EELi4E23TrivialOffsetCalculatorILi1EjESF_NS0_6memory15LoadWithoutCastENSG_16StoreWithoutCastEEEviT_T0_T2_T3_T4_T5_,comdat
.Lfunc_end302:
	.size	_ZN2at6native27unrolled_elementwise_kernelIZZZNS0_17clamp_kernel_cudaERNS_18TensorIteratorBaseERKN3c106ScalarES7_ENKUlvE_clEvENKUlvE2_clEvEUllE_St5arrayIPcLm2EELi4E23TrivialOffsetCalculatorILi1EjESF_NS0_6memory15LoadWithoutCastENSG_16StoreWithoutCastEEEviT_T0_T2_T3_T4_T5_, .Lfunc_end302-_ZN2at6native27unrolled_elementwise_kernelIZZZNS0_17clamp_kernel_cudaERNS_18TensorIteratorBaseERKN3c106ScalarES7_ENKUlvE_clEvENKUlvE2_clEvEUllE_St5arrayIPcLm2EELi4E23TrivialOffsetCalculatorILi1EjESF_NS0_6memory15LoadWithoutCastENSG_16StoreWithoutCastEEEviT_T0_T2_T3_T4_T5_
                                        ; -- End function
	.section	.AMDGPU.csdata,"",@progbits
; Kernel info:
; codeLenInByte = 944
; NumSgprs: 18
; NumVgprs: 16
; ScratchSize: 0
; MemoryBound: 0
; FloatMode: 240
; IeeeMode: 1
; LDSByteSize: 0 bytes/workgroup (compile time only)
; SGPRBlocks: 2
; VGPRBlocks: 1
; NumSGPRsForWavesPerEU: 18
; NumVGPRsForWavesPerEU: 16
; Occupancy: 16
; WaveLimiterHint : 0
; COMPUTE_PGM_RSRC2:SCRATCH_EN: 0
; COMPUTE_PGM_RSRC2:USER_SGPR: 15
; COMPUTE_PGM_RSRC2:TRAP_HANDLER: 0
; COMPUTE_PGM_RSRC2:TGID_X_EN: 1
; COMPUTE_PGM_RSRC2:TGID_Y_EN: 0
; COMPUTE_PGM_RSRC2:TGID_Z_EN: 0
; COMPUTE_PGM_RSRC2:TIDIG_COMP_CNT: 0
	.section	.text._ZN2at6native32elementwise_kernel_manual_unrollILi128ELi4EZNS0_22gpu_kernel_impl_nocastIZZZNS0_17clamp_kernel_cudaERNS_18TensorIteratorBaseERKN3c106ScalarES8_ENKUlvE_clEvENKUlvE2_clEvEUllE_EEvS4_RKT_EUlibE_EEviT1_,"axG",@progbits,_ZN2at6native32elementwise_kernel_manual_unrollILi128ELi4EZNS0_22gpu_kernel_impl_nocastIZZZNS0_17clamp_kernel_cudaERNS_18TensorIteratorBaseERKN3c106ScalarES8_ENKUlvE_clEvENKUlvE2_clEvEUllE_EEvS4_RKT_EUlibE_EEviT1_,comdat
	.globl	_ZN2at6native32elementwise_kernel_manual_unrollILi128ELi4EZNS0_22gpu_kernel_impl_nocastIZZZNS0_17clamp_kernel_cudaERNS_18TensorIteratorBaseERKN3c106ScalarES8_ENKUlvE_clEvENKUlvE2_clEvEUllE_EEvS4_RKT_EUlibE_EEviT1_ ; -- Begin function _ZN2at6native32elementwise_kernel_manual_unrollILi128ELi4EZNS0_22gpu_kernel_impl_nocastIZZZNS0_17clamp_kernel_cudaERNS_18TensorIteratorBaseERKN3c106ScalarES8_ENKUlvE_clEvENKUlvE2_clEvEUllE_EEvS4_RKT_EUlibE_EEviT1_
	.p2align	8
	.type	_ZN2at6native32elementwise_kernel_manual_unrollILi128ELi4EZNS0_22gpu_kernel_impl_nocastIZZZNS0_17clamp_kernel_cudaERNS_18TensorIteratorBaseERKN3c106ScalarES8_ENKUlvE_clEvENKUlvE2_clEvEUllE_EEvS4_RKT_EUlibE_EEviT1_,@function
_ZN2at6native32elementwise_kernel_manual_unrollILi128ELi4EZNS0_22gpu_kernel_impl_nocastIZZZNS0_17clamp_kernel_cudaERNS_18TensorIteratorBaseERKN3c106ScalarES8_ENKUlvE_clEvENKUlvE2_clEvEUllE_EEvS4_RKT_EUlibE_EEviT1_: ; @_ZN2at6native32elementwise_kernel_manual_unrollILi128ELi4EZNS0_22gpu_kernel_impl_nocastIZZZNS0_17clamp_kernel_cudaERNS_18TensorIteratorBaseERKN3c106ScalarES8_ENKUlvE_clEvENKUlvE2_clEvEUllE_EEvS4_RKT_EUlibE_EEviT1_
; %bb.0:
	s_clause 0x1
	s_load_b32 s26, s[0:1], 0x8
	s_load_b32 s31, s[0:1], 0x0
	v_lshl_or_b32 v4, s15, 9, v0
	s_or_b32 s0, s0, 8
	s_mov_b32 s2, exec_lo
	s_delay_alu instid0(VALU_DEP_1) | instskip(SKIP_2) | instid1(SALU_CYCLE_1)
	v_or_b32_e32 v8, 0x180, v4
	s_waitcnt lgkmcnt(0)
	s_add_i32 s27, s26, -1
	s_cmp_gt_u32 s27, 1
	s_cselect_b32 s28, -1, 0
	v_cmpx_le_i32_e64 s31, v8
	s_xor_b32 s29, exec_lo, s2
	s_cbranch_execz .LBB303_7
; %bb.1:
	s_clause 0x3
	s_load_b128 s[16:19], s[0:1], 0x4
	s_load_b64 s[2:3], s[0:1], 0x14
	s_load_b128 s[12:15], s[0:1], 0xc4
	s_load_b256 s[4:11], s[0:1], 0x148
	s_cmp_lg_u32 s26, 0
	s_mov_b32 s35, exec_lo
	s_cselect_b32 s34, -1, 0
	s_add_u32 s20, s0, 0xc4
	s_addc_u32 s21, s1, 0
	s_min_u32 s33, s27, 15
	s_cmp_gt_u32 s26, 1
	s_cselect_b32 s30, -1, 0
	v_cmpx_gt_i32_e64 s31, v4
	s_cbranch_execz .LBB303_14
; %bb.2:
	s_and_not1_b32 vcc_lo, exec_lo, s28
	s_cbranch_vccnz .LBB303_21
; %bb.3:
	v_dual_mov_b32 v0, 0 :: v_dual_mov_b32 v1, 0
	s_and_not1_b32 vcc_lo, exec_lo, s34
	s_mov_b32 s36, 0
	s_cbranch_vccnz .LBB303_73
; %bb.4:
	v_mov_b32_e32 v0, 0
	s_add_i32 s38, s33, 1
	s_cmp_eq_u32 s27, 2
	s_mov_b32 s37, 0
	s_cbranch_scc1 .LBB303_69
; %bb.5:
	v_dual_mov_b32 v1, 0 :: v_dual_mov_b32 v0, 0
	v_mov_b32_e32 v2, v4
	s_and_b32 s37, s38, 28
	s_mov_b32 s39, 0
	s_mov_b64 s[22:23], s[20:21]
	s_mov_b64 s[24:25], s[0:1]
.LBB303_6:                              ; =>This Inner Loop Header: Depth=1
	s_clause 0x1
	s_load_b256 s[40:47], s[24:25], 0x4
	s_load_b128 s[56:59], s[24:25], 0x24
	s_load_b256 s[48:55], s[22:23], 0x0
	s_add_u32 s24, s24, 48
	s_addc_u32 s25, s25, 0
	s_add_i32 s39, s39, 4
	s_add_u32 s22, s22, 32
	s_addc_u32 s23, s23, 0
	s_cmp_lg_u32 s37, s39
	s_waitcnt lgkmcnt(0)
	v_mul_hi_u32 v3, s41, v2
	s_delay_alu instid0(VALU_DEP_1) | instskip(NEXT) | instid1(VALU_DEP_1)
	v_add_nc_u32_e32 v3, v2, v3
	v_lshrrev_b32_e32 v3, s42, v3
	s_delay_alu instid0(VALU_DEP_1) | instskip(SKIP_1) | instid1(VALU_DEP_2)
	v_mul_hi_u32 v5, s44, v3
	v_mul_lo_u32 v7, v3, s40
	v_add_nc_u32_e32 v5, v3, v5
	s_delay_alu instid0(VALU_DEP_2) | instskip(NEXT) | instid1(VALU_DEP_2)
	v_sub_nc_u32_e32 v2, v2, v7
	v_lshrrev_b32_e32 v5, s45, v5
	s_delay_alu instid0(VALU_DEP_2) | instskip(SKIP_1) | instid1(VALU_DEP_3)
	v_mul_lo_u32 v7, v2, s48
	v_mul_lo_u32 v9, v2, s49
	v_mul_hi_u32 v6, s47, v5
	s_delay_alu instid0(VALU_DEP_1) | instskip(NEXT) | instid1(VALU_DEP_1)
	v_add_nc_u32_e32 v6, v5, v6
	v_lshrrev_b32_e32 v6, s56, v6
	s_delay_alu instid0(VALU_DEP_1) | instskip(SKIP_1) | instid1(VALU_DEP_2)
	v_mul_hi_u32 v8, s58, v6
	v_mul_lo_u32 v10, v6, s46
	v_add_nc_u32_e32 v2, v6, v8
	v_mul_lo_u32 v8, v5, s43
	s_delay_alu instid0(VALU_DEP_3) | instskip(NEXT) | instid1(VALU_DEP_3)
	v_sub_nc_u32_e32 v5, v5, v10
	v_lshrrev_b32_e32 v2, s59, v2
	s_delay_alu instid0(VALU_DEP_2) | instskip(SKIP_2) | instid1(VALU_DEP_4)
	v_mul_lo_u32 v10, v5, s52
	v_mul_lo_u32 v5, v5, s53
	v_sub_nc_u32_e32 v3, v3, v8
	v_mul_lo_u32 v11, v2, s57
	s_delay_alu instid0(VALU_DEP_2) | instskip(SKIP_1) | instid1(VALU_DEP_3)
	v_mul_lo_u32 v8, v3, s50
	v_mul_lo_u32 v3, v3, s51
	v_sub_nc_u32_e32 v6, v6, v11
	s_delay_alu instid0(VALU_DEP_3) | instskip(NEXT) | instid1(VALU_DEP_2)
	v_add3_u32 v0, v7, v0, v8
	v_mul_lo_u32 v11, v6, s54
	v_mul_lo_u32 v6, v6, s55
	v_add3_u32 v1, v9, v1, v3
	s_delay_alu instid0(VALU_DEP_3) | instskip(NEXT) | instid1(VALU_DEP_2)
	v_add3_u32 v0, v10, v0, v11
	v_add3_u32 v1, v5, v1, v6
	s_cbranch_scc1 .LBB303_6
	s_branch .LBB303_70
.LBB303_7:
	s_and_not1_saveexec_b32 s2, s29
	s_cbranch_execz .LBB303_94
.LBB303_8:
	v_cndmask_b32_e64 v6, 0, 1, s28
	s_and_not1_b32 vcc_lo, exec_lo, s28
	s_cbranch_vccnz .LBB303_20
; %bb.9:
	v_dual_mov_b32 v0, 0 :: v_dual_mov_b32 v1, 0
	s_cmp_lg_u32 s26, 0
	s_mov_b32 s6, 0
	s_cbranch_scc0 .LBB303_26
; %bb.10:
	s_min_u32 s7, s27, 15
	v_mov_b32_e32 v0, 0
	s_add_i32 s7, s7, 1
	s_cmp_eq_u32 s27, 2
	s_mov_b32 s8, 0
	s_cbranch_scc1 .LBB303_23
; %bb.11:
	v_dual_mov_b32 v1, 0 :: v_dual_mov_b32 v0, 0
	v_mov_b32_e32 v2, v4
	s_add_u32 s2, s0, 0xc4
	s_addc_u32 s3, s1, 0
	s_and_b32 s8, s7, 28
	s_mov_b32 s9, 0
	s_mov_b64 s[4:5], s[0:1]
.LBB303_12:                             ; =>This Inner Loop Header: Depth=1
	s_clause 0x1
	s_load_b256 s[12:19], s[4:5], 0x4
	s_load_b128 s[20:23], s[4:5], 0x24
	s_load_b256 s[36:43], s[2:3], 0x0
	s_add_u32 s4, s4, 48
	s_addc_u32 s5, s5, 0
	s_add_i32 s9, s9, 4
	s_add_u32 s2, s2, 32
	s_addc_u32 s3, s3, 0
	s_cmp_lg_u32 s8, s9
	s_waitcnt lgkmcnt(0)
	v_mul_hi_u32 v3, s13, v2
	s_delay_alu instid0(VALU_DEP_1) | instskip(NEXT) | instid1(VALU_DEP_1)
	v_add_nc_u32_e32 v3, v2, v3
	v_lshrrev_b32_e32 v3, s14, v3
	s_delay_alu instid0(VALU_DEP_1) | instskip(SKIP_1) | instid1(VALU_DEP_2)
	v_mul_hi_u32 v5, s16, v3
	v_mul_lo_u32 v9, v3, s12
	v_add_nc_u32_e32 v5, v3, v5
	s_delay_alu instid0(VALU_DEP_2) | instskip(NEXT) | instid1(VALU_DEP_2)
	v_sub_nc_u32_e32 v2, v2, v9
	v_lshrrev_b32_e32 v5, s17, v5
	s_delay_alu instid0(VALU_DEP_2) | instskip(SKIP_1) | instid1(VALU_DEP_3)
	v_mul_lo_u32 v9, v2, s36
	v_mul_lo_u32 v11, v2, s37
	v_mul_hi_u32 v7, s19, v5
	s_delay_alu instid0(VALU_DEP_1) | instskip(NEXT) | instid1(VALU_DEP_1)
	v_add_nc_u32_e32 v7, v5, v7
	v_lshrrev_b32_e32 v7, s20, v7
	s_delay_alu instid0(VALU_DEP_1) | instskip(SKIP_1) | instid1(VALU_DEP_2)
	v_mul_hi_u32 v10, s22, v7
	v_mul_lo_u32 v12, v7, s18
	v_add_nc_u32_e32 v2, v7, v10
	v_mul_lo_u32 v10, v5, s15
	s_delay_alu instid0(VALU_DEP_3) | instskip(NEXT) | instid1(VALU_DEP_3)
	v_sub_nc_u32_e32 v5, v5, v12
	v_lshrrev_b32_e32 v2, s23, v2
	s_delay_alu instid0(VALU_DEP_2) | instskip(SKIP_2) | instid1(VALU_DEP_4)
	v_mul_lo_u32 v12, v5, s40
	v_mul_lo_u32 v5, v5, s41
	v_sub_nc_u32_e32 v3, v3, v10
	v_mul_lo_u32 v13, v2, s21
	s_delay_alu instid0(VALU_DEP_2) | instskip(SKIP_1) | instid1(VALU_DEP_3)
	v_mul_lo_u32 v10, v3, s38
	v_mul_lo_u32 v3, v3, s39
	v_sub_nc_u32_e32 v7, v7, v13
	s_delay_alu instid0(VALU_DEP_3) | instskip(NEXT) | instid1(VALU_DEP_2)
	v_add3_u32 v0, v9, v0, v10
	v_mul_lo_u32 v13, v7, s42
	v_mul_lo_u32 v7, v7, s43
	v_add3_u32 v1, v11, v1, v3
	s_delay_alu instid0(VALU_DEP_3) | instskip(NEXT) | instid1(VALU_DEP_2)
	v_add3_u32 v0, v12, v0, v13
	v_add3_u32 v1, v5, v1, v7
	s_cbranch_scc1 .LBB303_12
; %bb.13:
	s_and_b32 s7, s7, 3
	s_delay_alu instid0(SALU_CYCLE_1)
	s_cmp_eq_u32 s7, 0
	s_cbranch_scc0 .LBB303_24
	s_branch .LBB303_26
.LBB303_14:
	s_or_b32 exec_lo, exec_lo, s35
	s_delay_alu instid0(SALU_CYCLE_1)
	s_mov_b32 s35, exec_lo
	v_cmpx_gt_i32_e64 s31, v4
	s_cbranch_execz .LBB303_77
.LBB303_15:
	s_and_not1_b32 vcc_lo, exec_lo, s28
	s_cbranch_vccnz .LBB303_22
; %bb.16:
	v_dual_mov_b32 v0, 0 :: v_dual_mov_b32 v1, 0
	s_and_not1_b32 vcc_lo, exec_lo, s34
	s_mov_b32 s36, 0
	s_cbranch_vccnz .LBB303_88
; %bb.17:
	v_mov_b32_e32 v0, 0
	s_add_i32 s38, s33, 1
	s_cmp_eq_u32 s27, 2
	s_mov_b32 s37, 0
	s_cbranch_scc1 .LBB303_84
; %bb.18:
	v_dual_mov_b32 v1, 0 :: v_dual_mov_b32 v0, 0
	v_mov_b32_e32 v2, v4
	s_and_b32 s37, s38, 28
	s_mov_b32 s39, 0
	s_mov_b64 s[22:23], s[20:21]
	s_mov_b64 s[24:25], s[0:1]
.LBB303_19:                             ; =>This Inner Loop Header: Depth=1
	s_clause 0x1
	s_load_b256 s[40:47], s[24:25], 0x4
	s_load_b128 s[56:59], s[24:25], 0x24
	s_load_b256 s[48:55], s[22:23], 0x0
	s_add_u32 s24, s24, 48
	s_addc_u32 s25, s25, 0
	s_add_i32 s39, s39, 4
	s_add_u32 s22, s22, 32
	s_addc_u32 s23, s23, 0
	s_cmp_eq_u32 s37, s39
	s_waitcnt lgkmcnt(0)
	v_mul_hi_u32 v3, s41, v2
	s_delay_alu instid0(VALU_DEP_1) | instskip(NEXT) | instid1(VALU_DEP_1)
	v_add_nc_u32_e32 v3, v2, v3
	v_lshrrev_b32_e32 v3, s42, v3
	s_delay_alu instid0(VALU_DEP_1) | instskip(SKIP_1) | instid1(VALU_DEP_2)
	v_mul_hi_u32 v5, s44, v3
	v_mul_lo_u32 v7, v3, s40
	v_add_nc_u32_e32 v5, v3, v5
	s_delay_alu instid0(VALU_DEP_2) | instskip(NEXT) | instid1(VALU_DEP_2)
	v_sub_nc_u32_e32 v2, v2, v7
	v_lshrrev_b32_e32 v5, s45, v5
	s_delay_alu instid0(VALU_DEP_2) | instskip(SKIP_1) | instid1(VALU_DEP_3)
	v_mul_lo_u32 v7, v2, s48
	v_mul_lo_u32 v9, v2, s49
	v_mul_hi_u32 v6, s47, v5
	s_delay_alu instid0(VALU_DEP_1) | instskip(NEXT) | instid1(VALU_DEP_1)
	v_add_nc_u32_e32 v6, v5, v6
	v_lshrrev_b32_e32 v6, s56, v6
	s_delay_alu instid0(VALU_DEP_1) | instskip(SKIP_1) | instid1(VALU_DEP_2)
	v_mul_hi_u32 v8, s58, v6
	v_mul_lo_u32 v10, v6, s46
	v_add_nc_u32_e32 v2, v6, v8
	v_mul_lo_u32 v8, v5, s43
	s_delay_alu instid0(VALU_DEP_3) | instskip(NEXT) | instid1(VALU_DEP_3)
	v_sub_nc_u32_e32 v5, v5, v10
	v_lshrrev_b32_e32 v2, s59, v2
	s_delay_alu instid0(VALU_DEP_2) | instskip(SKIP_2) | instid1(VALU_DEP_4)
	v_mul_lo_u32 v10, v5, s52
	v_mul_lo_u32 v5, v5, s53
	v_sub_nc_u32_e32 v3, v3, v8
	v_mul_lo_u32 v11, v2, s57
	s_delay_alu instid0(VALU_DEP_2) | instskip(SKIP_1) | instid1(VALU_DEP_3)
	v_mul_lo_u32 v8, v3, s50
	v_mul_lo_u32 v3, v3, s51
	v_sub_nc_u32_e32 v6, v6, v11
	s_delay_alu instid0(VALU_DEP_3) | instskip(NEXT) | instid1(VALU_DEP_2)
	v_add3_u32 v0, v7, v0, v8
	v_mul_lo_u32 v11, v6, s54
	v_mul_lo_u32 v6, v6, s55
	v_add3_u32 v1, v9, v1, v3
	s_delay_alu instid0(VALU_DEP_3) | instskip(NEXT) | instid1(VALU_DEP_2)
	v_add3_u32 v0, v10, v0, v11
	v_add3_u32 v1, v5, v1, v6
	s_cbranch_scc0 .LBB303_19
	s_branch .LBB303_85
.LBB303_20:
	s_mov_b32 s6, -1
                                        ; implicit-def: $vgpr0
                                        ; implicit-def: $vgpr1
	s_branch .LBB303_26
.LBB303_21:
	s_mov_b32 s36, -1
                                        ; implicit-def: $vgpr0
                                        ; implicit-def: $vgpr1
	s_branch .LBB303_73
.LBB303_22:
	s_mov_b32 s36, -1
                                        ; implicit-def: $vgpr0
                                        ; implicit-def: $vgpr1
	s_branch .LBB303_88
.LBB303_23:
	v_dual_mov_b32 v2, v4 :: v_dual_mov_b32 v1, 0
	s_and_b32 s7, s7, 3
	s_delay_alu instid0(SALU_CYCLE_1)
	s_cmp_eq_u32 s7, 0
	s_cbranch_scc1 .LBB303_26
.LBB303_24:
	s_lshl_b32 s2, s8, 3
	s_mul_i32 s4, s8, 12
	s_add_u32 s2, s2, s0
	s_addc_u32 s3, 0, s1
	s_add_u32 s2, s2, 0xc4
	s_addc_u32 s3, s3, 0
	;; [unrolled: 2-line block ×3, first 2 shown]
	.p2align	6
.LBB303_25:                             ; =>This Inner Loop Header: Depth=1
	s_clause 0x1
	s_load_b64 s[8:9], s[4:5], 0x4
	s_load_b32 s12, s[4:5], 0xc
	s_load_b64 s[10:11], s[2:3], 0x0
	s_add_u32 s4, s4, 12
	s_addc_u32 s5, s5, 0
	s_add_u32 s2, s2, 8
	s_addc_u32 s3, s3, 0
	s_add_i32 s7, s7, -1
	s_delay_alu instid0(SALU_CYCLE_1) | instskip(SKIP_2) | instid1(VALU_DEP_1)
	s_cmp_lg_u32 s7, 0
	s_waitcnt lgkmcnt(0)
	v_mul_hi_u32 v3, s9, v2
	v_add_nc_u32_e32 v3, v2, v3
	s_delay_alu instid0(VALU_DEP_1) | instskip(NEXT) | instid1(VALU_DEP_1)
	v_lshrrev_b32_e32 v3, s12, v3
	v_mul_lo_u32 v5, v3, s8
	s_delay_alu instid0(VALU_DEP_1) | instskip(NEXT) | instid1(VALU_DEP_1)
	v_sub_nc_u32_e32 v2, v2, v5
	v_mad_u64_u32 v[9:10], null, v2, s10, v[0:1]
	v_mad_u64_u32 v[10:11], null, v2, s11, v[1:2]
	v_mov_b32_e32 v2, v3
	s_delay_alu instid0(VALU_DEP_2)
	v_dual_mov_b32 v0, v9 :: v_dual_mov_b32 v1, v10
	s_cbranch_scc1 .LBB303_25
.LBB303_26:
	s_and_not1_b32 vcc_lo, exec_lo, s6
	s_cbranch_vccnz .LBB303_29
; %bb.27:
	s_clause 0x1
	s_load_b128 s[4:7], s[0:1], 0x4
	s_load_b64 s[2:3], s[0:1], 0xc4
	s_cmp_lt_u32 s26, 2
	s_waitcnt lgkmcnt(0)
	v_mul_hi_u32 v0, s5, v4
	s_delay_alu instid0(VALU_DEP_1) | instskip(NEXT) | instid1(VALU_DEP_1)
	v_add_nc_u32_e32 v0, v4, v0
	v_lshrrev_b32_e32 v2, s6, v0
	s_delay_alu instid0(VALU_DEP_1) | instskip(NEXT) | instid1(VALU_DEP_1)
	v_mul_lo_u32 v0, v2, s4
	v_sub_nc_u32_e32 v1, v4, v0
	s_delay_alu instid0(VALU_DEP_1)
	v_mul_lo_u32 v0, v1, s2
	v_mul_lo_u32 v1, v1, s3
	s_cbranch_scc1 .LBB303_29
; %bb.28:
	s_clause 0x1
	s_load_b128 s[4:7], s[0:1], 0x10
	s_load_b64 s[2:3], s[0:1], 0xcc
	s_waitcnt lgkmcnt(0)
	v_mul_hi_u32 v3, s5, v2
	s_delay_alu instid0(VALU_DEP_1) | instskip(NEXT) | instid1(VALU_DEP_1)
	v_add_nc_u32_e32 v3, v2, v3
	v_lshrrev_b32_e32 v3, s6, v3
	s_delay_alu instid0(VALU_DEP_1) | instskip(NEXT) | instid1(VALU_DEP_1)
	v_mul_lo_u32 v3, v3, s4
	v_sub_nc_u32_e32 v5, v2, v3
	s_delay_alu instid0(VALU_DEP_1) | instskip(NEXT) | instid1(VALU_DEP_1)
	v_mad_u64_u32 v[2:3], null, v5, s2, v[0:1]
	v_mad_u64_u32 v[9:10], null, v5, s3, v[1:2]
	s_delay_alu instid0(VALU_DEP_1)
	v_dual_mov_b32 v0, v2 :: v_dual_mov_b32 v1, v9
.LBB303_29:
	v_cmp_ne_u32_e32 vcc_lo, 1, v6
	v_add_nc_u32_e32 v5, 0x80, v4
	s_cbranch_vccnz .LBB303_35
; %bb.30:
	v_dual_mov_b32 v2, 0 :: v_dual_mov_b32 v3, 0
	s_cmp_lg_u32 s26, 0
	s_mov_b32 s6, 0
	s_cbranch_scc0 .LBB303_39
; %bb.31:
	s_min_u32 s7, s27, 15
	v_mov_b32_e32 v2, 0
	s_add_i32 s7, s7, 1
	s_cmp_eq_u32 s27, 2
	s_mov_b32 s8, 0
	s_cbranch_scc1 .LBB303_36
; %bb.32:
	v_dual_mov_b32 v3, 0 :: v_dual_mov_b32 v2, 0
	v_mov_b32_e32 v7, v5
	s_add_u32 s2, s0, 0xc4
	s_addc_u32 s3, s1, 0
	s_and_b32 s8, s7, 28
	s_mov_b32 s9, 0
	s_mov_b64 s[4:5], s[0:1]
.LBB303_33:                             ; =>This Inner Loop Header: Depth=1
	s_clause 0x1
	s_load_b256 s[12:19], s[4:5], 0x4
	s_load_b128 s[20:23], s[4:5], 0x24
	s_load_b256 s[36:43], s[2:3], 0x0
	s_add_u32 s4, s4, 48
	s_addc_u32 s5, s5, 0
	s_add_i32 s9, s9, 4
	s_add_u32 s2, s2, 32
	s_addc_u32 s3, s3, 0
	s_cmp_lg_u32 s8, s9
	s_waitcnt lgkmcnt(0)
	v_mul_hi_u32 v9, s13, v7
	s_delay_alu instid0(VALU_DEP_1) | instskip(NEXT) | instid1(VALU_DEP_1)
	v_add_nc_u32_e32 v9, v7, v9
	v_lshrrev_b32_e32 v9, s14, v9
	s_delay_alu instid0(VALU_DEP_1) | instskip(SKIP_1) | instid1(VALU_DEP_2)
	v_mul_hi_u32 v10, s16, v9
	v_mul_lo_u32 v12, v9, s12
	v_add_nc_u32_e32 v10, v9, v10
	s_delay_alu instid0(VALU_DEP_2) | instskip(NEXT) | instid1(VALU_DEP_2)
	v_sub_nc_u32_e32 v7, v7, v12
	v_lshrrev_b32_e32 v10, s17, v10
	s_delay_alu instid0(VALU_DEP_2) | instskip(SKIP_1) | instid1(VALU_DEP_3)
	v_mul_lo_u32 v12, v7, s36
	v_mul_lo_u32 v14, v7, s37
	v_mul_hi_u32 v11, s19, v10
	s_delay_alu instid0(VALU_DEP_1) | instskip(NEXT) | instid1(VALU_DEP_1)
	v_add_nc_u32_e32 v11, v10, v11
	v_lshrrev_b32_e32 v11, s20, v11
	s_delay_alu instid0(VALU_DEP_1) | instskip(SKIP_1) | instid1(VALU_DEP_2)
	v_mul_hi_u32 v13, s22, v11
	v_mul_lo_u32 v15, v11, s18
	v_add_nc_u32_e32 v7, v11, v13
	v_mul_lo_u32 v13, v10, s15
	s_delay_alu instid0(VALU_DEP_3) | instskip(NEXT) | instid1(VALU_DEP_3)
	v_sub_nc_u32_e32 v10, v10, v15
	v_lshrrev_b32_e32 v7, s23, v7
	s_delay_alu instid0(VALU_DEP_2) | instskip(SKIP_2) | instid1(VALU_DEP_4)
	v_mul_lo_u32 v15, v10, s40
	v_mul_lo_u32 v10, v10, s41
	v_sub_nc_u32_e32 v9, v9, v13
	v_mul_lo_u32 v16, v7, s21
	s_delay_alu instid0(VALU_DEP_2) | instskip(SKIP_1) | instid1(VALU_DEP_3)
	v_mul_lo_u32 v13, v9, s38
	v_mul_lo_u32 v9, v9, s39
	v_sub_nc_u32_e32 v11, v11, v16
	s_delay_alu instid0(VALU_DEP_3) | instskip(NEXT) | instid1(VALU_DEP_2)
	v_add3_u32 v2, v12, v2, v13
	v_mul_lo_u32 v16, v11, s42
	v_mul_lo_u32 v11, v11, s43
	v_add3_u32 v3, v14, v3, v9
	s_delay_alu instid0(VALU_DEP_3) | instskip(NEXT) | instid1(VALU_DEP_2)
	v_add3_u32 v2, v15, v2, v16
	v_add3_u32 v3, v10, v3, v11
	s_cbranch_scc1 .LBB303_33
; %bb.34:
	s_and_b32 s7, s7, 3
	s_delay_alu instid0(SALU_CYCLE_1)
	s_cmp_eq_u32 s7, 0
	s_cbranch_scc0 .LBB303_37
	s_branch .LBB303_39
.LBB303_35:
	s_mov_b32 s6, -1
                                        ; implicit-def: $vgpr2
                                        ; implicit-def: $vgpr3
	s_branch .LBB303_39
.LBB303_36:
	v_mov_b32_e32 v7, v5
	v_mov_b32_e32 v3, 0
	s_and_b32 s7, s7, 3
	s_delay_alu instid0(SALU_CYCLE_1)
	s_cmp_eq_u32 s7, 0
	s_cbranch_scc1 .LBB303_39
.LBB303_37:
	s_lshl_b32 s2, s8, 3
	s_mul_i32 s4, s8, 12
	s_add_u32 s2, s2, s0
	s_addc_u32 s3, 0, s1
	s_add_u32 s2, s2, 0xc4
	s_addc_u32 s3, s3, 0
	;; [unrolled: 2-line block ×3, first 2 shown]
	.p2align	6
.LBB303_38:                             ; =>This Inner Loop Header: Depth=1
	s_clause 0x1
	s_load_b64 s[8:9], s[4:5], 0x4
	s_load_b32 s12, s[4:5], 0xc
	s_load_b64 s[10:11], s[2:3], 0x0
	s_add_u32 s4, s4, 12
	s_addc_u32 s5, s5, 0
	s_add_u32 s2, s2, 8
	s_addc_u32 s3, s3, 0
	s_add_i32 s7, s7, -1
	s_delay_alu instid0(SALU_CYCLE_1) | instskip(SKIP_2) | instid1(VALU_DEP_1)
	s_cmp_lg_u32 s7, 0
	s_waitcnt lgkmcnt(0)
	v_mul_hi_u32 v9, s9, v7
	v_add_nc_u32_e32 v9, v7, v9
	s_delay_alu instid0(VALU_DEP_1) | instskip(NEXT) | instid1(VALU_DEP_1)
	v_lshrrev_b32_e32 v12, s12, v9
	v_mul_lo_u32 v9, v12, s8
	s_delay_alu instid0(VALU_DEP_1) | instskip(NEXT) | instid1(VALU_DEP_1)
	v_sub_nc_u32_e32 v7, v7, v9
	v_mad_u64_u32 v[9:10], null, v7, s10, v[2:3]
	v_mad_u64_u32 v[10:11], null, v7, s11, v[3:4]
	s_delay_alu instid0(VALU_DEP_2) | instskip(NEXT) | instid1(VALU_DEP_2)
	v_dual_mov_b32 v7, v12 :: v_dual_mov_b32 v2, v9
	v_mov_b32_e32 v3, v10
	s_cbranch_scc1 .LBB303_38
.LBB303_39:
	s_and_not1_b32 vcc_lo, exec_lo, s6
	s_cbranch_vccnz .LBB303_42
; %bb.40:
	s_clause 0x1
	s_load_b128 s[4:7], s[0:1], 0x4
	s_load_b64 s[2:3], s[0:1], 0xc4
	s_cmp_lt_u32 s26, 2
	s_waitcnt lgkmcnt(0)
	v_mul_hi_u32 v2, s5, v5
	s_delay_alu instid0(VALU_DEP_1) | instskip(NEXT) | instid1(VALU_DEP_1)
	v_add_nc_u32_e32 v2, v5, v2
	v_lshrrev_b32_e32 v7, s6, v2
	s_delay_alu instid0(VALU_DEP_1) | instskip(NEXT) | instid1(VALU_DEP_1)
	v_mul_lo_u32 v2, v7, s4
	v_sub_nc_u32_e32 v3, v5, v2
	s_delay_alu instid0(VALU_DEP_1)
	v_mul_lo_u32 v2, v3, s2
	v_mul_lo_u32 v3, v3, s3
	s_cbranch_scc1 .LBB303_42
; %bb.41:
	s_clause 0x1
	s_load_b128 s[4:7], s[0:1], 0x10
	s_load_b64 s[2:3], s[0:1], 0xcc
	s_waitcnt lgkmcnt(0)
	v_mul_hi_u32 v5, s5, v7
	s_delay_alu instid0(VALU_DEP_1) | instskip(NEXT) | instid1(VALU_DEP_1)
	v_add_nc_u32_e32 v5, v7, v5
	v_lshrrev_b32_e32 v5, s6, v5
	s_delay_alu instid0(VALU_DEP_1) | instskip(NEXT) | instid1(VALU_DEP_1)
	v_mul_lo_u32 v5, v5, s4
	v_sub_nc_u32_e32 v5, v7, v5
	s_delay_alu instid0(VALU_DEP_1) | instskip(SKIP_1) | instid1(VALU_DEP_1)
	v_mad_u64_u32 v[9:10], null, v5, s2, v[2:3]
	v_mad_u64_u32 v[10:11], null, v5, s3, v[3:4]
	v_dual_mov_b32 v2, v9 :: v_dual_mov_b32 v3, v10
.LBB303_42:
	v_cmp_ne_u32_e32 vcc_lo, 1, v6
	v_add_nc_u32_e32 v7, 0x100, v4
	s_cbranch_vccnz .LBB303_48
; %bb.43:
	v_dual_mov_b32 v4, 0 :: v_dual_mov_b32 v5, 0
	s_cmp_lg_u32 s26, 0
	s_mov_b32 s6, 0
	s_cbranch_scc0 .LBB303_52
; %bb.44:
	s_min_u32 s7, s27, 15
	v_mov_b32_e32 v4, 0
	s_add_i32 s7, s7, 1
	s_cmp_eq_u32 s27, 2
	s_mov_b32 s8, 0
	s_cbranch_scc1 .LBB303_49
; %bb.45:
	v_dual_mov_b32 v5, 0 :: v_dual_mov_b32 v4, 0
	v_mov_b32_e32 v9, v7
	s_add_u32 s2, s0, 0xc4
	s_addc_u32 s3, s1, 0
	s_and_b32 s8, s7, 28
	s_mov_b32 s9, 0
	s_mov_b64 s[4:5], s[0:1]
.LBB303_46:                             ; =>This Inner Loop Header: Depth=1
	s_clause 0x1
	s_load_b256 s[12:19], s[4:5], 0x4
	s_load_b128 s[20:23], s[4:5], 0x24
	s_load_b256 s[36:43], s[2:3], 0x0
	s_add_u32 s4, s4, 48
	s_addc_u32 s5, s5, 0
	s_add_i32 s9, s9, 4
	s_add_u32 s2, s2, 32
	s_addc_u32 s3, s3, 0
	s_cmp_lg_u32 s8, s9
	s_waitcnt lgkmcnt(0)
	v_mul_hi_u32 v10, s13, v9
	s_delay_alu instid0(VALU_DEP_1) | instskip(NEXT) | instid1(VALU_DEP_1)
	v_add_nc_u32_e32 v10, v9, v10
	v_lshrrev_b32_e32 v10, s14, v10
	s_delay_alu instid0(VALU_DEP_1) | instskip(SKIP_1) | instid1(VALU_DEP_2)
	v_mul_hi_u32 v11, s16, v10
	v_mul_lo_u32 v13, v10, s12
	v_add_nc_u32_e32 v11, v10, v11
	s_delay_alu instid0(VALU_DEP_2) | instskip(NEXT) | instid1(VALU_DEP_2)
	v_sub_nc_u32_e32 v9, v9, v13
	v_lshrrev_b32_e32 v11, s17, v11
	s_delay_alu instid0(VALU_DEP_2) | instskip(SKIP_1) | instid1(VALU_DEP_3)
	v_mul_lo_u32 v13, v9, s36
	v_mul_lo_u32 v15, v9, s37
	v_mul_hi_u32 v12, s19, v11
	s_delay_alu instid0(VALU_DEP_1) | instskip(NEXT) | instid1(VALU_DEP_1)
	v_add_nc_u32_e32 v12, v11, v12
	v_lshrrev_b32_e32 v12, s20, v12
	s_delay_alu instid0(VALU_DEP_1) | instskip(SKIP_1) | instid1(VALU_DEP_2)
	v_mul_hi_u32 v14, s22, v12
	v_mul_lo_u32 v16, v12, s18
	v_add_nc_u32_e32 v9, v12, v14
	v_mul_lo_u32 v14, v11, s15
	s_delay_alu instid0(VALU_DEP_3) | instskip(NEXT) | instid1(VALU_DEP_3)
	v_sub_nc_u32_e32 v11, v11, v16
	v_lshrrev_b32_e32 v9, s23, v9
	s_delay_alu instid0(VALU_DEP_2) | instskip(SKIP_2) | instid1(VALU_DEP_4)
	v_mul_lo_u32 v16, v11, s40
	v_mul_lo_u32 v11, v11, s41
	v_sub_nc_u32_e32 v10, v10, v14
	v_mul_lo_u32 v17, v9, s21
	s_delay_alu instid0(VALU_DEP_2) | instskip(SKIP_1) | instid1(VALU_DEP_3)
	v_mul_lo_u32 v14, v10, s38
	v_mul_lo_u32 v10, v10, s39
	v_sub_nc_u32_e32 v12, v12, v17
	s_delay_alu instid0(VALU_DEP_3) | instskip(NEXT) | instid1(VALU_DEP_2)
	v_add3_u32 v4, v13, v4, v14
	v_mul_lo_u32 v17, v12, s42
	v_mul_lo_u32 v12, v12, s43
	v_add3_u32 v5, v15, v5, v10
	s_delay_alu instid0(VALU_DEP_3) | instskip(NEXT) | instid1(VALU_DEP_2)
	v_add3_u32 v4, v16, v4, v17
	v_add3_u32 v5, v11, v5, v12
	s_cbranch_scc1 .LBB303_46
; %bb.47:
	s_and_b32 s7, s7, 3
	s_delay_alu instid0(SALU_CYCLE_1)
	s_cmp_eq_u32 s7, 0
	s_cbranch_scc0 .LBB303_50
	s_branch .LBB303_52
.LBB303_48:
	s_mov_b32 s6, -1
                                        ; implicit-def: $vgpr4
                                        ; implicit-def: $vgpr5
	s_branch .LBB303_52
.LBB303_49:
	v_mov_b32_e32 v9, v7
	v_mov_b32_e32 v5, 0
	s_and_b32 s7, s7, 3
	s_delay_alu instid0(SALU_CYCLE_1)
	s_cmp_eq_u32 s7, 0
	s_cbranch_scc1 .LBB303_52
.LBB303_50:
	s_lshl_b32 s2, s8, 3
	s_mul_i32 s4, s8, 12
	s_add_u32 s2, s2, s0
	s_addc_u32 s3, 0, s1
	s_add_u32 s2, s2, 0xc4
	s_addc_u32 s3, s3, 0
	;; [unrolled: 2-line block ×3, first 2 shown]
	.p2align	6
.LBB303_51:                             ; =>This Inner Loop Header: Depth=1
	s_clause 0x1
	s_load_b64 s[8:9], s[4:5], 0x4
	s_load_b32 s12, s[4:5], 0xc
	s_load_b64 s[10:11], s[2:3], 0x0
	s_add_u32 s4, s4, 12
	s_addc_u32 s5, s5, 0
	s_add_u32 s2, s2, 8
	s_addc_u32 s3, s3, 0
	s_add_i32 s7, s7, -1
	s_delay_alu instid0(SALU_CYCLE_1) | instskip(SKIP_2) | instid1(VALU_DEP_1)
	s_cmp_lg_u32 s7, 0
	s_waitcnt lgkmcnt(0)
	v_mul_hi_u32 v10, s9, v9
	v_add_nc_u32_e32 v10, v9, v10
	s_delay_alu instid0(VALU_DEP_1) | instskip(NEXT) | instid1(VALU_DEP_1)
	v_lshrrev_b32_e32 v13, s12, v10
	v_mul_lo_u32 v10, v13, s8
	s_delay_alu instid0(VALU_DEP_1) | instskip(NEXT) | instid1(VALU_DEP_1)
	v_sub_nc_u32_e32 v9, v9, v10
	v_mad_u64_u32 v[10:11], null, v9, s10, v[4:5]
	v_mad_u64_u32 v[11:12], null, v9, s11, v[5:6]
	s_delay_alu instid0(VALU_DEP_2) | instskip(NEXT) | instid1(VALU_DEP_2)
	v_dual_mov_b32 v9, v13 :: v_dual_mov_b32 v4, v10
	v_mov_b32_e32 v5, v11
	s_cbranch_scc1 .LBB303_51
.LBB303_52:
	s_and_not1_b32 vcc_lo, exec_lo, s6
	s_cbranch_vccnz .LBB303_55
; %bb.53:
	s_clause 0x1
	s_load_b128 s[4:7], s[0:1], 0x4
	s_load_b64 s[2:3], s[0:1], 0xc4
	s_cmp_lt_u32 s26, 2
	s_waitcnt lgkmcnt(0)
	v_mul_hi_u32 v4, s5, v7
	s_delay_alu instid0(VALU_DEP_1) | instskip(NEXT) | instid1(VALU_DEP_1)
	v_add_nc_u32_e32 v4, v7, v4
	v_lshrrev_b32_e32 v9, s6, v4
	s_delay_alu instid0(VALU_DEP_1) | instskip(NEXT) | instid1(VALU_DEP_1)
	v_mul_lo_u32 v4, v9, s4
	v_sub_nc_u32_e32 v5, v7, v4
	s_delay_alu instid0(VALU_DEP_1)
	v_mul_lo_u32 v4, v5, s2
	v_mul_lo_u32 v5, v5, s3
	s_cbranch_scc1 .LBB303_55
; %bb.54:
	s_clause 0x1
	s_load_b128 s[4:7], s[0:1], 0x10
	s_load_b64 s[2:3], s[0:1], 0xcc
	s_waitcnt lgkmcnt(0)
	v_mul_hi_u32 v7, s5, v9
	s_delay_alu instid0(VALU_DEP_1) | instskip(NEXT) | instid1(VALU_DEP_1)
	v_add_nc_u32_e32 v7, v9, v7
	v_lshrrev_b32_e32 v7, s6, v7
	s_delay_alu instid0(VALU_DEP_1) | instskip(NEXT) | instid1(VALU_DEP_1)
	v_mul_lo_u32 v7, v7, s4
	v_sub_nc_u32_e32 v7, v9, v7
	s_delay_alu instid0(VALU_DEP_1) | instskip(SKIP_1) | instid1(VALU_DEP_1)
	v_mad_u64_u32 v[9:10], null, v7, s2, v[4:5]
	v_mad_u64_u32 v[10:11], null, v7, s3, v[5:6]
	v_dual_mov_b32 v4, v9 :: v_dual_mov_b32 v5, v10
.LBB303_55:
	v_cmp_ne_u32_e32 vcc_lo, 1, v6
	s_cbranch_vccnz .LBB303_61
; %bb.56:
	v_dual_mov_b32 v6, 0 :: v_dual_mov_b32 v7, 0
	s_cmp_lg_u32 s26, 0
	s_mov_b32 s6, 0
	s_cbranch_scc0 .LBB303_65
; %bb.57:
	s_min_u32 s7, s27, 15
	v_mov_b32_e32 v6, 0
	s_add_i32 s7, s7, 1
	s_cmp_eq_u32 s27, 2
	s_mov_b32 s8, 0
	s_cbranch_scc1 .LBB303_62
; %bb.58:
	v_dual_mov_b32 v7, 0 :: v_dual_mov_b32 v6, 0
	v_mov_b32_e32 v9, v8
	s_add_u32 s2, s0, 0xc4
	s_addc_u32 s3, s1, 0
	s_and_b32 s8, s7, 28
	s_mov_b32 s9, 0
	s_mov_b64 s[4:5], s[0:1]
.LBB303_59:                             ; =>This Inner Loop Header: Depth=1
	s_clause 0x1
	s_load_b256 s[12:19], s[4:5], 0x4
	s_load_b128 s[20:23], s[4:5], 0x24
	s_load_b256 s[36:43], s[2:3], 0x0
	s_add_u32 s4, s4, 48
	s_addc_u32 s5, s5, 0
	s_add_i32 s9, s9, 4
	s_add_u32 s2, s2, 32
	s_addc_u32 s3, s3, 0
	s_cmp_lg_u32 s8, s9
	s_waitcnt lgkmcnt(0)
	v_mul_hi_u32 v10, s13, v9
	s_delay_alu instid0(VALU_DEP_1) | instskip(NEXT) | instid1(VALU_DEP_1)
	v_add_nc_u32_e32 v10, v9, v10
	v_lshrrev_b32_e32 v10, s14, v10
	s_delay_alu instid0(VALU_DEP_1) | instskip(SKIP_1) | instid1(VALU_DEP_2)
	v_mul_hi_u32 v11, s16, v10
	v_mul_lo_u32 v13, v10, s12
	v_add_nc_u32_e32 v11, v10, v11
	s_delay_alu instid0(VALU_DEP_2) | instskip(NEXT) | instid1(VALU_DEP_2)
	v_sub_nc_u32_e32 v9, v9, v13
	v_lshrrev_b32_e32 v11, s17, v11
	s_delay_alu instid0(VALU_DEP_2) | instskip(SKIP_1) | instid1(VALU_DEP_3)
	v_mul_lo_u32 v13, v9, s36
	v_mul_lo_u32 v15, v9, s37
	v_mul_hi_u32 v12, s19, v11
	s_delay_alu instid0(VALU_DEP_1) | instskip(NEXT) | instid1(VALU_DEP_1)
	v_add_nc_u32_e32 v12, v11, v12
	v_lshrrev_b32_e32 v12, s20, v12
	s_delay_alu instid0(VALU_DEP_1) | instskip(SKIP_1) | instid1(VALU_DEP_2)
	v_mul_hi_u32 v14, s22, v12
	v_mul_lo_u32 v16, v12, s18
	v_add_nc_u32_e32 v9, v12, v14
	v_mul_lo_u32 v14, v11, s15
	s_delay_alu instid0(VALU_DEP_3) | instskip(NEXT) | instid1(VALU_DEP_3)
	v_sub_nc_u32_e32 v11, v11, v16
	v_lshrrev_b32_e32 v9, s23, v9
	s_delay_alu instid0(VALU_DEP_2) | instskip(SKIP_2) | instid1(VALU_DEP_4)
	v_mul_lo_u32 v16, v11, s40
	v_mul_lo_u32 v11, v11, s41
	v_sub_nc_u32_e32 v10, v10, v14
	v_mul_lo_u32 v17, v9, s21
	s_delay_alu instid0(VALU_DEP_2) | instskip(SKIP_1) | instid1(VALU_DEP_3)
	v_mul_lo_u32 v14, v10, s38
	v_mul_lo_u32 v10, v10, s39
	v_sub_nc_u32_e32 v12, v12, v17
	s_delay_alu instid0(VALU_DEP_3) | instskip(NEXT) | instid1(VALU_DEP_2)
	v_add3_u32 v6, v13, v6, v14
	v_mul_lo_u32 v17, v12, s42
	v_mul_lo_u32 v12, v12, s43
	v_add3_u32 v7, v15, v7, v10
	s_delay_alu instid0(VALU_DEP_3) | instskip(NEXT) | instid1(VALU_DEP_2)
	v_add3_u32 v6, v16, v6, v17
	v_add3_u32 v7, v11, v7, v12
	s_cbranch_scc1 .LBB303_59
; %bb.60:
	s_and_b32 s7, s7, 3
	s_delay_alu instid0(SALU_CYCLE_1)
	s_cmp_eq_u32 s7, 0
	s_cbranch_scc0 .LBB303_63
	s_branch .LBB303_65
.LBB303_61:
	s_mov_b32 s6, -1
                                        ; implicit-def: $vgpr6
                                        ; implicit-def: $vgpr7
	s_branch .LBB303_65
.LBB303_62:
	v_mov_b32_e32 v9, v8
	v_mov_b32_e32 v7, 0
	s_and_b32 s7, s7, 3
	s_delay_alu instid0(SALU_CYCLE_1)
	s_cmp_eq_u32 s7, 0
	s_cbranch_scc1 .LBB303_65
.LBB303_63:
	s_lshl_b32 s2, s8, 3
	s_mul_i32 s4, s8, 12
	s_add_u32 s2, s2, s0
	s_addc_u32 s3, 0, s1
	s_add_u32 s2, s2, 0xc4
	s_addc_u32 s3, s3, 0
	;; [unrolled: 2-line block ×3, first 2 shown]
	.p2align	6
.LBB303_64:                             ; =>This Inner Loop Header: Depth=1
	s_clause 0x1
	s_load_b64 s[8:9], s[4:5], 0x4
	s_load_b32 s12, s[4:5], 0xc
	s_load_b64 s[10:11], s[2:3], 0x0
	s_add_u32 s4, s4, 12
	s_addc_u32 s5, s5, 0
	s_add_u32 s2, s2, 8
	s_addc_u32 s3, s3, 0
	s_add_i32 s7, s7, -1
	s_delay_alu instid0(SALU_CYCLE_1) | instskip(SKIP_2) | instid1(VALU_DEP_1)
	s_cmp_lg_u32 s7, 0
	s_waitcnt lgkmcnt(0)
	v_mul_hi_u32 v10, s9, v9
	v_add_nc_u32_e32 v10, v9, v10
	s_delay_alu instid0(VALU_DEP_1) | instskip(NEXT) | instid1(VALU_DEP_1)
	v_lshrrev_b32_e32 v13, s12, v10
	v_mul_lo_u32 v10, v13, s8
	s_delay_alu instid0(VALU_DEP_1) | instskip(NEXT) | instid1(VALU_DEP_1)
	v_sub_nc_u32_e32 v9, v9, v10
	v_mad_u64_u32 v[10:11], null, v9, s10, v[6:7]
	v_mad_u64_u32 v[11:12], null, v9, s11, v[7:8]
	s_delay_alu instid0(VALU_DEP_2) | instskip(NEXT) | instid1(VALU_DEP_2)
	v_dual_mov_b32 v9, v13 :: v_dual_mov_b32 v6, v10
	v_mov_b32_e32 v7, v11
	s_cbranch_scc1 .LBB303_64
.LBB303_65:
	s_and_not1_b32 vcc_lo, exec_lo, s6
	s_cbranch_vccnz .LBB303_68
; %bb.66:
	s_clause 0x1
	s_load_b128 s[4:7], s[0:1], 0x4
	s_load_b64 s[2:3], s[0:1], 0xc4
	s_cmp_lt_u32 s26, 2
	s_waitcnt lgkmcnt(0)
	v_mul_hi_u32 v6, s5, v8
	s_delay_alu instid0(VALU_DEP_1) | instskip(NEXT) | instid1(VALU_DEP_1)
	v_add_nc_u32_e32 v6, v8, v6
	v_lshrrev_b32_e32 v9, s6, v6
	s_delay_alu instid0(VALU_DEP_1) | instskip(NEXT) | instid1(VALU_DEP_1)
	v_mul_lo_u32 v6, v9, s4
	v_sub_nc_u32_e32 v7, v8, v6
	s_delay_alu instid0(VALU_DEP_1)
	v_mul_lo_u32 v6, v7, s2
	v_mul_lo_u32 v7, v7, s3
	s_cbranch_scc1 .LBB303_68
; %bb.67:
	s_clause 0x1
	s_load_b128 s[4:7], s[0:1], 0x10
	s_load_b64 s[2:3], s[0:1], 0xcc
	s_waitcnt lgkmcnt(0)
	v_mul_hi_u32 v8, s5, v9
	s_delay_alu instid0(VALU_DEP_1) | instskip(NEXT) | instid1(VALU_DEP_1)
	v_add_nc_u32_e32 v8, v9, v8
	v_lshrrev_b32_e32 v8, s6, v8
	s_delay_alu instid0(VALU_DEP_1) | instskip(NEXT) | instid1(VALU_DEP_1)
	v_mul_lo_u32 v8, v8, s4
	v_sub_nc_u32_e32 v11, v9, v8
	s_delay_alu instid0(VALU_DEP_1) | instskip(NEXT) | instid1(VALU_DEP_1)
	v_mad_u64_u32 v[8:9], null, v11, s2, v[6:7]
	v_mad_u64_u32 v[9:10], null, v11, s3, v[7:8]
	s_delay_alu instid0(VALU_DEP_1)
	v_dual_mov_b32 v6, v8 :: v_dual_mov_b32 v7, v9
.LBB303_68:
	s_load_b256 s[4:11], s[0:1], 0x148
	s_waitcnt lgkmcnt(0)
	s_clause 0x3
	global_load_b64 v[8:9], v1, s[6:7]
	global_load_b64 v[10:11], v3, s[6:7]
	global_load_b64 v[12:13], v5, s[6:7]
	global_load_b64 v[14:15], v7, s[6:7]
	s_waitcnt vmcnt(3)
	v_cmp_lt_i64_e32 vcc_lo, s[8:9], v[8:9]
	s_waitcnt vmcnt(2)
	v_cmp_lt_i64_e64 s0, s[8:9], v[10:11]
	s_waitcnt vmcnt(1)
	v_cmp_lt_i64_e64 s1, s[8:9], v[12:13]
	;; [unrolled: 2-line block ×3, first 2 shown]
	v_cndmask_b32_e32 v9, s9, v9, vcc_lo
	v_cndmask_b32_e32 v8, s8, v8, vcc_lo
	v_cndmask_b32_e64 v11, s9, v11, s0
	v_cndmask_b32_e64 v10, s8, v10, s0
	;; [unrolled: 1-line block ×6, first 2 shown]
	v_cmp_gt_i64_e32 vcc_lo, s[10:11], v[8:9]
	v_cmp_gt_i64_e64 s0, s[10:11], v[10:11]
	v_cmp_gt_i64_e64 s1, s[10:11], v[12:13]
	s_delay_alu instid0(VALU_DEP_4)
	v_cmp_gt_i64_e64 s2, s[10:11], v[14:15]
	v_cndmask_b32_e32 v9, s11, v9, vcc_lo
	v_cndmask_b32_e32 v8, s10, v8, vcc_lo
	v_cndmask_b32_e64 v11, s11, v11, s0
	v_cndmask_b32_e64 v10, s10, v10, s0
	;; [unrolled: 1-line block ×6, first 2 shown]
	s_clause 0x3
	global_store_b64 v0, v[8:9], s[4:5]
	global_store_b64 v2, v[10:11], s[4:5]
	;; [unrolled: 1-line block ×4, first 2 shown]
	s_nop 0
	s_sendmsg sendmsg(MSG_DEALLOC_VGPRS)
	s_endpgm
.LBB303_69:
	v_dual_mov_b32 v2, v4 :: v_dual_mov_b32 v1, 0
.LBB303_70:
	s_and_b32 s38, s38, 3
	s_delay_alu instid0(SALU_CYCLE_1)
	s_cmp_eq_u32 s38, 0
	s_cbranch_scc1 .LBB303_73
; %bb.71:
	s_lshl_b32 s22, s37, 3
	s_mul_i32 s24, s37, 12
	s_add_u32 s22, s22, s0
	s_addc_u32 s23, s1, 0
	s_add_u32 s22, s22, 0xc4
	s_addc_u32 s23, s23, 0
	;; [unrolled: 2-line block ×3, first 2 shown]
	.p2align	6
.LBB303_72:                             ; =>This Inner Loop Header: Depth=1
	s_clause 0x1
	s_load_b64 s[40:41], s[24:25], 0x4
	s_load_b32 s37, s[24:25], 0xc
	s_load_b64 s[42:43], s[22:23], 0x0
	s_add_u32 s24, s24, 12
	s_addc_u32 s25, s25, 0
	s_add_u32 s22, s22, 8
	s_addc_u32 s23, s23, 0
	s_add_i32 s38, s38, -1
	s_delay_alu instid0(SALU_CYCLE_1) | instskip(SKIP_2) | instid1(VALU_DEP_1)
	s_cmp_lg_u32 s38, 0
	s_waitcnt lgkmcnt(0)
	v_mul_hi_u32 v3, s41, v2
	v_add_nc_u32_e32 v3, v2, v3
	s_delay_alu instid0(VALU_DEP_1) | instskip(NEXT) | instid1(VALU_DEP_1)
	v_lshrrev_b32_e32 v3, s37, v3
	v_mul_lo_u32 v5, v3, s40
	s_delay_alu instid0(VALU_DEP_1) | instskip(NEXT) | instid1(VALU_DEP_1)
	v_sub_nc_u32_e32 v2, v2, v5
	v_mad_u64_u32 v[5:6], null, v2, s42, v[0:1]
	v_mad_u64_u32 v[6:7], null, v2, s43, v[1:2]
	v_mov_b32_e32 v2, v3
	s_delay_alu instid0(VALU_DEP_2)
	v_dual_mov_b32 v0, v5 :: v_dual_mov_b32 v1, v6
	s_cbranch_scc1 .LBB303_72
.LBB303_73:
	s_and_not1_b32 vcc_lo, exec_lo, s36
	s_cbranch_vccnz .LBB303_76
; %bb.74:
	s_waitcnt lgkmcnt(0)
	v_mul_hi_u32 v0, s17, v4
	s_and_not1_b32 vcc_lo, exec_lo, s30
	s_delay_alu instid0(VALU_DEP_1) | instskip(NEXT) | instid1(VALU_DEP_1)
	v_add_nc_u32_e32 v0, v4, v0
	v_lshrrev_b32_e32 v2, s18, v0
	s_delay_alu instid0(VALU_DEP_1) | instskip(NEXT) | instid1(VALU_DEP_1)
	v_mul_lo_u32 v0, v2, s16
	v_sub_nc_u32_e32 v1, v4, v0
	s_delay_alu instid0(VALU_DEP_1)
	v_mul_lo_u32 v0, v1, s12
	v_mul_lo_u32 v1, v1, s13
	s_cbranch_vccnz .LBB303_76
; %bb.75:
	v_mul_hi_u32 v3, s2, v2
	s_delay_alu instid0(VALU_DEP_1) | instskip(NEXT) | instid1(VALU_DEP_1)
	v_add_nc_u32_e32 v3, v2, v3
	v_lshrrev_b32_e32 v3, s3, v3
	s_delay_alu instid0(VALU_DEP_1) | instskip(NEXT) | instid1(VALU_DEP_1)
	v_mul_lo_u32 v3, v3, s19
	v_sub_nc_u32_e32 v7, v2, v3
	s_delay_alu instid0(VALU_DEP_1) | instskip(NEXT) | instid1(VALU_DEP_1)
	v_mad_u64_u32 v[2:3], null, v7, s14, v[0:1]
	v_mad_u64_u32 v[5:6], null, v7, s15, v[1:2]
	s_delay_alu instid0(VALU_DEP_1)
	v_dual_mov_b32 v0, v2 :: v_dual_mov_b32 v1, v5
.LBB303_76:
	s_waitcnt lgkmcnt(0)
	global_load_b64 v[1:2], v1, s[6:7]
	v_add_nc_u32_e32 v4, 0x80, v4
	s_waitcnt vmcnt(0)
	v_cmp_lt_i64_e32 vcc_lo, s[8:9], v[1:2]
	v_cndmask_b32_e32 v2, s9, v2, vcc_lo
	v_cndmask_b32_e32 v1, s8, v1, vcc_lo
	s_delay_alu instid0(VALU_DEP_1) | instskip(SKIP_4) | instid1(SALU_CYCLE_1)
	v_cmp_gt_i64_e32 vcc_lo, s[10:11], v[1:2]
	v_cndmask_b32_e32 v2, s11, v2, vcc_lo
	v_cndmask_b32_e32 v1, s10, v1, vcc_lo
	global_store_b64 v0, v[1:2], s[4:5]
	s_or_b32 exec_lo, exec_lo, s35
	s_mov_b32 s35, exec_lo
	v_cmpx_gt_i32_e64 s31, v4
	s_cbranch_execnz .LBB303_15
.LBB303_77:
	s_or_b32 exec_lo, exec_lo, s35
	s_delay_alu instid0(SALU_CYCLE_1)
	s_mov_b32 s35, exec_lo
	v_cmpx_gt_i32_e64 s31, v4
	s_cbranch_execz .LBB303_92
.LBB303_78:
	s_and_not1_b32 vcc_lo, exec_lo, s28
	s_cbranch_vccnz .LBB303_83
; %bb.79:
	v_dual_mov_b32 v0, 0 :: v_dual_mov_b32 v1, 0
	s_and_not1_b32 vcc_lo, exec_lo, s34
	s_mov_b32 s36, 0
	s_cbranch_vccnz .LBB303_99
; %bb.80:
	v_mov_b32_e32 v0, 0
	s_add_i32 s38, s33, 1
	s_cmp_eq_u32 s27, 2
	s_mov_b32 s37, 0
	s_cbranch_scc1 .LBB303_95
; %bb.81:
	v_dual_mov_b32 v1, 0 :: v_dual_mov_b32 v0, 0
	v_mov_b32_e32 v2, v4
	s_and_b32 s37, s38, 28
	s_mov_b32 s39, 0
	s_mov_b64 s[22:23], s[20:21]
	s_mov_b64 s[24:25], s[0:1]
.LBB303_82:                             ; =>This Inner Loop Header: Depth=1
	s_clause 0x1
	s_load_b256 s[40:47], s[24:25], 0x4
	s_load_b128 s[56:59], s[24:25], 0x24
	s_load_b256 s[48:55], s[22:23], 0x0
	s_add_u32 s24, s24, 48
	s_addc_u32 s25, s25, 0
	s_add_i32 s39, s39, 4
	s_add_u32 s22, s22, 32
	s_addc_u32 s23, s23, 0
	s_cmp_eq_u32 s37, s39
	s_waitcnt lgkmcnt(0)
	v_mul_hi_u32 v3, s41, v2
	s_delay_alu instid0(VALU_DEP_1) | instskip(NEXT) | instid1(VALU_DEP_1)
	v_add_nc_u32_e32 v3, v2, v3
	v_lshrrev_b32_e32 v3, s42, v3
	s_delay_alu instid0(VALU_DEP_1) | instskip(SKIP_1) | instid1(VALU_DEP_2)
	v_mul_hi_u32 v5, s44, v3
	v_mul_lo_u32 v7, v3, s40
	v_add_nc_u32_e32 v5, v3, v5
	s_delay_alu instid0(VALU_DEP_2) | instskip(NEXT) | instid1(VALU_DEP_2)
	v_sub_nc_u32_e32 v2, v2, v7
	v_lshrrev_b32_e32 v5, s45, v5
	s_delay_alu instid0(VALU_DEP_2) | instskip(SKIP_1) | instid1(VALU_DEP_3)
	v_mul_lo_u32 v7, v2, s48
	v_mul_lo_u32 v9, v2, s49
	v_mul_hi_u32 v6, s47, v5
	s_delay_alu instid0(VALU_DEP_1) | instskip(NEXT) | instid1(VALU_DEP_1)
	v_add_nc_u32_e32 v6, v5, v6
	v_lshrrev_b32_e32 v6, s56, v6
	s_delay_alu instid0(VALU_DEP_1) | instskip(SKIP_1) | instid1(VALU_DEP_2)
	v_mul_hi_u32 v8, s58, v6
	v_mul_lo_u32 v10, v6, s46
	v_add_nc_u32_e32 v2, v6, v8
	v_mul_lo_u32 v8, v5, s43
	s_delay_alu instid0(VALU_DEP_3) | instskip(NEXT) | instid1(VALU_DEP_3)
	v_sub_nc_u32_e32 v5, v5, v10
	v_lshrrev_b32_e32 v2, s59, v2
	s_delay_alu instid0(VALU_DEP_2) | instskip(SKIP_2) | instid1(VALU_DEP_4)
	v_mul_lo_u32 v10, v5, s52
	v_mul_lo_u32 v5, v5, s53
	v_sub_nc_u32_e32 v3, v3, v8
	v_mul_lo_u32 v11, v2, s57
	s_delay_alu instid0(VALU_DEP_2) | instskip(SKIP_1) | instid1(VALU_DEP_3)
	v_mul_lo_u32 v8, v3, s50
	v_mul_lo_u32 v3, v3, s51
	v_sub_nc_u32_e32 v6, v6, v11
	s_delay_alu instid0(VALU_DEP_3) | instskip(NEXT) | instid1(VALU_DEP_2)
	v_add3_u32 v0, v7, v0, v8
	v_mul_lo_u32 v11, v6, s54
	v_mul_lo_u32 v6, v6, s55
	v_add3_u32 v1, v9, v1, v3
	s_delay_alu instid0(VALU_DEP_3) | instskip(NEXT) | instid1(VALU_DEP_2)
	v_add3_u32 v0, v10, v0, v11
	v_add3_u32 v1, v5, v1, v6
	s_cbranch_scc0 .LBB303_82
	s_branch .LBB303_96
.LBB303_83:
	s_mov_b32 s36, -1
                                        ; implicit-def: $vgpr0
                                        ; implicit-def: $vgpr1
	s_branch .LBB303_99
.LBB303_84:
	v_dual_mov_b32 v2, v4 :: v_dual_mov_b32 v1, 0
.LBB303_85:
	s_and_b32 s38, s38, 3
	s_delay_alu instid0(SALU_CYCLE_1)
	s_cmp_eq_u32 s38, 0
	s_cbranch_scc1 .LBB303_88
; %bb.86:
	s_lshl_b32 s22, s37, 3
	s_mul_i32 s24, s37, 12
	s_add_u32 s22, s22, s0
	s_addc_u32 s23, s1, 0
	s_add_u32 s22, s22, 0xc4
	s_addc_u32 s23, s23, 0
	;; [unrolled: 2-line block ×3, first 2 shown]
	.p2align	6
.LBB303_87:                             ; =>This Inner Loop Header: Depth=1
	s_clause 0x1
	s_load_b64 s[40:41], s[24:25], 0x4
	s_load_b32 s37, s[24:25], 0xc
	s_load_b64 s[42:43], s[22:23], 0x0
	s_add_u32 s24, s24, 12
	s_addc_u32 s25, s25, 0
	s_add_u32 s22, s22, 8
	s_addc_u32 s23, s23, 0
	s_add_i32 s38, s38, -1
	s_delay_alu instid0(SALU_CYCLE_1) | instskip(SKIP_2) | instid1(VALU_DEP_1)
	s_cmp_lg_u32 s38, 0
	s_waitcnt lgkmcnt(0)
	v_mul_hi_u32 v3, s41, v2
	v_add_nc_u32_e32 v3, v2, v3
	s_delay_alu instid0(VALU_DEP_1) | instskip(NEXT) | instid1(VALU_DEP_1)
	v_lshrrev_b32_e32 v3, s37, v3
	v_mul_lo_u32 v5, v3, s40
	s_delay_alu instid0(VALU_DEP_1) | instskip(NEXT) | instid1(VALU_DEP_1)
	v_sub_nc_u32_e32 v2, v2, v5
	v_mad_u64_u32 v[5:6], null, v2, s42, v[0:1]
	v_mad_u64_u32 v[6:7], null, v2, s43, v[1:2]
	v_mov_b32_e32 v2, v3
	s_delay_alu instid0(VALU_DEP_2)
	v_dual_mov_b32 v0, v5 :: v_dual_mov_b32 v1, v6
	s_cbranch_scc1 .LBB303_87
.LBB303_88:
	s_and_not1_b32 vcc_lo, exec_lo, s36
	s_cbranch_vccnz .LBB303_91
; %bb.89:
	s_waitcnt lgkmcnt(0)
	v_mul_hi_u32 v0, s17, v4
	s_and_not1_b32 vcc_lo, exec_lo, s30
	s_delay_alu instid0(VALU_DEP_1) | instskip(NEXT) | instid1(VALU_DEP_1)
	v_add_nc_u32_e32 v0, v4, v0
	v_lshrrev_b32_e32 v2, s18, v0
	s_delay_alu instid0(VALU_DEP_1) | instskip(NEXT) | instid1(VALU_DEP_1)
	v_mul_lo_u32 v0, v2, s16
	v_sub_nc_u32_e32 v1, v4, v0
	s_delay_alu instid0(VALU_DEP_1)
	v_mul_lo_u32 v0, v1, s12
	v_mul_lo_u32 v1, v1, s13
	s_cbranch_vccnz .LBB303_91
; %bb.90:
	v_mul_hi_u32 v3, s2, v2
	s_delay_alu instid0(VALU_DEP_1) | instskip(NEXT) | instid1(VALU_DEP_1)
	v_add_nc_u32_e32 v3, v2, v3
	v_lshrrev_b32_e32 v3, s3, v3
	s_delay_alu instid0(VALU_DEP_1) | instskip(NEXT) | instid1(VALU_DEP_1)
	v_mul_lo_u32 v3, v3, s19
	v_sub_nc_u32_e32 v7, v2, v3
	s_delay_alu instid0(VALU_DEP_1) | instskip(NEXT) | instid1(VALU_DEP_1)
	v_mad_u64_u32 v[2:3], null, v7, s14, v[0:1]
	v_mad_u64_u32 v[5:6], null, v7, s15, v[1:2]
	s_delay_alu instid0(VALU_DEP_1)
	v_dual_mov_b32 v0, v2 :: v_dual_mov_b32 v1, v5
.LBB303_91:
	s_waitcnt lgkmcnt(0)
	global_load_b64 v[1:2], v1, s[6:7]
	v_add_nc_u32_e32 v4, 0x80, v4
	s_waitcnt vmcnt(0)
	v_cmp_lt_i64_e32 vcc_lo, s[8:9], v[1:2]
	v_cndmask_b32_e32 v2, s9, v2, vcc_lo
	v_cndmask_b32_e32 v1, s8, v1, vcc_lo
	s_delay_alu instid0(VALU_DEP_1) | instskip(SKIP_4) | instid1(SALU_CYCLE_1)
	v_cmp_gt_i64_e32 vcc_lo, s[10:11], v[1:2]
	v_cndmask_b32_e32 v2, s11, v2, vcc_lo
	v_cndmask_b32_e32 v1, s10, v1, vcc_lo
	global_store_b64 v0, v[1:2], s[4:5]
	s_or_b32 exec_lo, exec_lo, s35
	s_mov_b32 s35, exec_lo
	v_cmpx_gt_i32_e64 s31, v4
	s_cbranch_execnz .LBB303_78
.LBB303_92:
	s_or_b32 exec_lo, exec_lo, s35
	s_delay_alu instid0(SALU_CYCLE_1)
	s_mov_b32 s24, exec_lo
	v_cmpx_gt_i32_e64 s31, v4
	s_cbranch_execnz .LBB303_103
.LBB303_93:
	s_or_b32 exec_lo, exec_lo, s24
                                        ; implicit-def: $vgpr8
                                        ; implicit-def: $vgpr4
	s_waitcnt lgkmcnt(0)
	s_and_not1_saveexec_b32 s2, s29
	s_cbranch_execnz .LBB303_8
.LBB303_94:
	s_nop 0
	s_sendmsg sendmsg(MSG_DEALLOC_VGPRS)
	s_endpgm
.LBB303_95:
	v_dual_mov_b32 v2, v4 :: v_dual_mov_b32 v1, 0
.LBB303_96:
	s_and_b32 s38, s38, 3
	s_delay_alu instid0(SALU_CYCLE_1)
	s_cmp_eq_u32 s38, 0
	s_cbranch_scc1 .LBB303_99
; %bb.97:
	s_lshl_b32 s22, s37, 3
	s_mul_i32 s24, s37, 12
	s_add_u32 s22, s22, s0
	s_addc_u32 s23, s1, 0
	s_add_u32 s22, s22, 0xc4
	s_addc_u32 s23, s23, 0
	;; [unrolled: 2-line block ×3, first 2 shown]
	.p2align	6
.LBB303_98:                             ; =>This Inner Loop Header: Depth=1
	s_clause 0x1
	s_load_b64 s[40:41], s[24:25], 0x4
	s_load_b32 s37, s[24:25], 0xc
	s_load_b64 s[42:43], s[22:23], 0x0
	s_add_u32 s24, s24, 12
	s_addc_u32 s25, s25, 0
	s_add_u32 s22, s22, 8
	s_addc_u32 s23, s23, 0
	s_add_i32 s38, s38, -1
	s_delay_alu instid0(SALU_CYCLE_1) | instskip(SKIP_2) | instid1(VALU_DEP_1)
	s_cmp_lg_u32 s38, 0
	s_waitcnt lgkmcnt(0)
	v_mul_hi_u32 v3, s41, v2
	v_add_nc_u32_e32 v3, v2, v3
	s_delay_alu instid0(VALU_DEP_1) | instskip(NEXT) | instid1(VALU_DEP_1)
	v_lshrrev_b32_e32 v3, s37, v3
	v_mul_lo_u32 v5, v3, s40
	s_delay_alu instid0(VALU_DEP_1) | instskip(NEXT) | instid1(VALU_DEP_1)
	v_sub_nc_u32_e32 v2, v2, v5
	v_mad_u64_u32 v[5:6], null, v2, s42, v[0:1]
	v_mad_u64_u32 v[6:7], null, v2, s43, v[1:2]
	v_mov_b32_e32 v2, v3
	s_delay_alu instid0(VALU_DEP_2)
	v_dual_mov_b32 v0, v5 :: v_dual_mov_b32 v1, v6
	s_cbranch_scc1 .LBB303_98
.LBB303_99:
	s_and_not1_b32 vcc_lo, exec_lo, s36
	s_cbranch_vccnz .LBB303_102
; %bb.100:
	s_waitcnt lgkmcnt(0)
	v_mul_hi_u32 v0, s17, v4
	s_and_not1_b32 vcc_lo, exec_lo, s30
	s_delay_alu instid0(VALU_DEP_1) | instskip(NEXT) | instid1(VALU_DEP_1)
	v_add_nc_u32_e32 v0, v4, v0
	v_lshrrev_b32_e32 v2, s18, v0
	s_delay_alu instid0(VALU_DEP_1) | instskip(NEXT) | instid1(VALU_DEP_1)
	v_mul_lo_u32 v0, v2, s16
	v_sub_nc_u32_e32 v1, v4, v0
	s_delay_alu instid0(VALU_DEP_1)
	v_mul_lo_u32 v0, v1, s12
	v_mul_lo_u32 v1, v1, s13
	s_cbranch_vccnz .LBB303_102
; %bb.101:
	v_mul_hi_u32 v3, s2, v2
	s_delay_alu instid0(VALU_DEP_1) | instskip(NEXT) | instid1(VALU_DEP_1)
	v_add_nc_u32_e32 v3, v2, v3
	v_lshrrev_b32_e32 v3, s3, v3
	s_delay_alu instid0(VALU_DEP_1) | instskip(NEXT) | instid1(VALU_DEP_1)
	v_mul_lo_u32 v3, v3, s19
	v_sub_nc_u32_e32 v7, v2, v3
	s_delay_alu instid0(VALU_DEP_1) | instskip(NEXT) | instid1(VALU_DEP_1)
	v_mad_u64_u32 v[2:3], null, v7, s14, v[0:1]
	v_mad_u64_u32 v[5:6], null, v7, s15, v[1:2]
	s_delay_alu instid0(VALU_DEP_1)
	v_dual_mov_b32 v0, v2 :: v_dual_mov_b32 v1, v5
.LBB303_102:
	s_waitcnt lgkmcnt(0)
	global_load_b64 v[1:2], v1, s[6:7]
	v_add_nc_u32_e32 v4, 0x80, v4
	s_waitcnt vmcnt(0)
	v_cmp_lt_i64_e32 vcc_lo, s[8:9], v[1:2]
	v_cndmask_b32_e32 v2, s9, v2, vcc_lo
	v_cndmask_b32_e32 v1, s8, v1, vcc_lo
	s_delay_alu instid0(VALU_DEP_1) | instskip(SKIP_4) | instid1(SALU_CYCLE_1)
	v_cmp_gt_i64_e32 vcc_lo, s[10:11], v[1:2]
	v_cndmask_b32_e32 v2, s11, v2, vcc_lo
	v_cndmask_b32_e32 v1, s10, v1, vcc_lo
	global_store_b64 v0, v[1:2], s[4:5]
	s_or_b32 exec_lo, exec_lo, s35
	s_mov_b32 s24, exec_lo
	v_cmpx_gt_i32_e64 s31, v4
	s_cbranch_execz .LBB303_93
.LBB303_103:
	s_and_not1_b32 vcc_lo, exec_lo, s28
	s_cbranch_vccnz .LBB303_108
; %bb.104:
	v_dual_mov_b32 v0, 0 :: v_dual_mov_b32 v1, 0
	s_and_not1_b32 vcc_lo, exec_lo, s34
	s_mov_b32 s25, 0
	s_cbranch_vccnz .LBB303_113
; %bb.105:
	v_mov_b32_e32 v0, 0
	s_add_i32 s33, s33, 1
	s_cmp_eq_u32 s27, 2
	s_mov_b32 s31, 0
	s_cbranch_scc1 .LBB303_109
; %bb.106:
	v_dual_mov_b32 v1, 0 :: v_dual_mov_b32 v0, 0
	v_mov_b32_e32 v2, v4
	s_and_b32 s31, s33, 28
	s_mov_b32 s34, 0
	s_mov_b64 s[22:23], s[0:1]
.LBB303_107:                            ; =>This Inner Loop Header: Depth=1
	s_clause 0x1
	s_load_b256 s[36:43], s[22:23], 0x4
	s_load_b128 s[52:55], s[22:23], 0x24
	s_load_b256 s[44:51], s[20:21], 0x0
	s_add_u32 s22, s22, 48
	s_addc_u32 s23, s23, 0
	s_add_i32 s34, s34, 4
	s_add_u32 s20, s20, 32
	s_addc_u32 s21, s21, 0
	s_cmp_eq_u32 s31, s34
	s_waitcnt lgkmcnt(0)
	v_mul_hi_u32 v3, s37, v2
	s_delay_alu instid0(VALU_DEP_1) | instskip(NEXT) | instid1(VALU_DEP_1)
	v_add_nc_u32_e32 v3, v2, v3
	v_lshrrev_b32_e32 v3, s38, v3
	s_delay_alu instid0(VALU_DEP_1) | instskip(SKIP_1) | instid1(VALU_DEP_2)
	v_mul_hi_u32 v5, s40, v3
	v_mul_lo_u32 v7, v3, s36
	v_add_nc_u32_e32 v5, v3, v5
	s_delay_alu instid0(VALU_DEP_2) | instskip(NEXT) | instid1(VALU_DEP_2)
	v_sub_nc_u32_e32 v2, v2, v7
	v_lshrrev_b32_e32 v5, s41, v5
	s_delay_alu instid0(VALU_DEP_2) | instskip(SKIP_1) | instid1(VALU_DEP_3)
	v_mul_lo_u32 v7, v2, s44
	v_mul_lo_u32 v9, v2, s45
	v_mul_hi_u32 v6, s43, v5
	s_delay_alu instid0(VALU_DEP_1) | instskip(NEXT) | instid1(VALU_DEP_1)
	v_add_nc_u32_e32 v6, v5, v6
	v_lshrrev_b32_e32 v6, s52, v6
	s_delay_alu instid0(VALU_DEP_1) | instskip(SKIP_1) | instid1(VALU_DEP_2)
	v_mul_hi_u32 v8, s54, v6
	v_mul_lo_u32 v10, v6, s42
	v_add_nc_u32_e32 v2, v6, v8
	v_mul_lo_u32 v8, v5, s39
	s_delay_alu instid0(VALU_DEP_3) | instskip(NEXT) | instid1(VALU_DEP_3)
	v_sub_nc_u32_e32 v5, v5, v10
	v_lshrrev_b32_e32 v2, s55, v2
	s_delay_alu instid0(VALU_DEP_2) | instskip(SKIP_2) | instid1(VALU_DEP_4)
	v_mul_lo_u32 v10, v5, s48
	v_mul_lo_u32 v5, v5, s49
	v_sub_nc_u32_e32 v3, v3, v8
	v_mul_lo_u32 v11, v2, s53
	s_delay_alu instid0(VALU_DEP_2) | instskip(SKIP_1) | instid1(VALU_DEP_3)
	v_mul_lo_u32 v8, v3, s46
	v_mul_lo_u32 v3, v3, s47
	v_sub_nc_u32_e32 v6, v6, v11
	s_delay_alu instid0(VALU_DEP_3) | instskip(NEXT) | instid1(VALU_DEP_2)
	v_add3_u32 v0, v7, v0, v8
	v_mul_lo_u32 v11, v6, s50
	v_mul_lo_u32 v6, v6, s51
	v_add3_u32 v1, v9, v1, v3
	s_delay_alu instid0(VALU_DEP_3) | instskip(NEXT) | instid1(VALU_DEP_2)
	v_add3_u32 v0, v10, v0, v11
	v_add3_u32 v1, v5, v1, v6
	s_cbranch_scc0 .LBB303_107
	s_branch .LBB303_110
.LBB303_108:
	s_mov_b32 s25, -1
                                        ; implicit-def: $vgpr0
                                        ; implicit-def: $vgpr1
	s_branch .LBB303_113
.LBB303_109:
	v_dual_mov_b32 v2, v4 :: v_dual_mov_b32 v1, 0
.LBB303_110:
	s_and_b32 s33, s33, 3
	s_delay_alu instid0(SALU_CYCLE_1)
	s_cmp_eq_u32 s33, 0
	s_cbranch_scc1 .LBB303_113
; %bb.111:
	s_lshl_b32 s20, s31, 3
	s_mul_i32 s22, s31, 12
	s_add_u32 s20, s20, s0
	s_addc_u32 s21, s1, 0
	s_add_u32 s20, s20, 0xc4
	s_addc_u32 s21, s21, 0
	;; [unrolled: 2-line block ×3, first 2 shown]
	.p2align	6
.LBB303_112:                            ; =>This Inner Loop Header: Depth=1
	s_clause 0x1
	s_load_b64 s[34:35], s[22:23], 0x4
	s_load_b32 s31, s[22:23], 0xc
	s_load_b64 s[36:37], s[20:21], 0x0
	s_add_u32 s22, s22, 12
	s_addc_u32 s23, s23, 0
	s_add_u32 s20, s20, 8
	s_addc_u32 s21, s21, 0
	s_add_i32 s33, s33, -1
	s_delay_alu instid0(SALU_CYCLE_1) | instskip(SKIP_2) | instid1(VALU_DEP_1)
	s_cmp_lg_u32 s33, 0
	s_waitcnt lgkmcnt(0)
	v_mul_hi_u32 v3, s35, v2
	v_add_nc_u32_e32 v3, v2, v3
	s_delay_alu instid0(VALU_DEP_1) | instskip(NEXT) | instid1(VALU_DEP_1)
	v_lshrrev_b32_e32 v3, s31, v3
	v_mul_lo_u32 v5, v3, s34
	s_delay_alu instid0(VALU_DEP_1) | instskip(NEXT) | instid1(VALU_DEP_1)
	v_sub_nc_u32_e32 v2, v2, v5
	v_mad_u64_u32 v[5:6], null, v2, s36, v[0:1]
	v_mad_u64_u32 v[6:7], null, v2, s37, v[1:2]
	v_mov_b32_e32 v2, v3
	s_delay_alu instid0(VALU_DEP_2)
	v_dual_mov_b32 v0, v5 :: v_dual_mov_b32 v1, v6
	s_cbranch_scc1 .LBB303_112
.LBB303_113:
	s_and_not1_b32 vcc_lo, exec_lo, s25
	s_cbranch_vccnz .LBB303_116
; %bb.114:
	s_waitcnt lgkmcnt(0)
	v_mul_hi_u32 v0, s17, v4
	s_and_not1_b32 vcc_lo, exec_lo, s30
	s_delay_alu instid0(VALU_DEP_1) | instskip(NEXT) | instid1(VALU_DEP_1)
	v_add_nc_u32_e32 v0, v4, v0
	v_lshrrev_b32_e32 v2, s18, v0
	s_delay_alu instid0(VALU_DEP_1) | instskip(NEXT) | instid1(VALU_DEP_1)
	v_mul_lo_u32 v0, v2, s16
	v_sub_nc_u32_e32 v1, v4, v0
	s_delay_alu instid0(VALU_DEP_1)
	v_mul_lo_u32 v0, v1, s12
	v_mul_lo_u32 v1, v1, s13
	s_cbranch_vccnz .LBB303_116
; %bb.115:
	v_mul_hi_u32 v3, s2, v2
	s_delay_alu instid0(VALU_DEP_1) | instskip(NEXT) | instid1(VALU_DEP_1)
	v_add_nc_u32_e32 v3, v2, v3
	v_lshrrev_b32_e32 v3, s3, v3
	s_delay_alu instid0(VALU_DEP_1) | instskip(NEXT) | instid1(VALU_DEP_1)
	v_mul_lo_u32 v3, v3, s19
	v_sub_nc_u32_e32 v5, v2, v3
	s_delay_alu instid0(VALU_DEP_1) | instskip(NEXT) | instid1(VALU_DEP_1)
	v_mad_u64_u32 v[2:3], null, v5, s14, v[0:1]
	v_mad_u64_u32 v[3:4], null, v5, s15, v[1:2]
	s_delay_alu instid0(VALU_DEP_1)
	v_dual_mov_b32 v0, v2 :: v_dual_mov_b32 v1, v3
.LBB303_116:
	s_waitcnt lgkmcnt(0)
	global_load_b64 v[1:2], v1, s[6:7]
	s_waitcnt vmcnt(0)
	v_cmp_lt_i64_e32 vcc_lo, s[8:9], v[1:2]
	v_cndmask_b32_e32 v2, s9, v2, vcc_lo
	v_cndmask_b32_e32 v1, s8, v1, vcc_lo
	s_delay_alu instid0(VALU_DEP_1)
	v_cmp_gt_i64_e32 vcc_lo, s[10:11], v[1:2]
	v_cndmask_b32_e32 v2, s11, v2, vcc_lo
	v_cndmask_b32_e32 v1, s10, v1, vcc_lo
	global_store_b64 v0, v[1:2], s[4:5]
	s_or_b32 exec_lo, exec_lo, s24
                                        ; implicit-def: $vgpr8
                                        ; implicit-def: $vgpr4
	s_and_not1_saveexec_b32 s2, s29
	s_cbranch_execz .LBB303_94
	s_branch .LBB303_8
	.section	.rodata,"a",@progbits
	.p2align	6, 0x0
	.amdhsa_kernel _ZN2at6native32elementwise_kernel_manual_unrollILi128ELi4EZNS0_22gpu_kernel_impl_nocastIZZZNS0_17clamp_kernel_cudaERNS_18TensorIteratorBaseERKN3c106ScalarES8_ENKUlvE_clEvENKUlvE2_clEvEUllE_EEvS4_RKT_EUlibE_EEviT1_
		.amdhsa_group_segment_fixed_size 0
		.amdhsa_private_segment_fixed_size 0
		.amdhsa_kernarg_size 368
		.amdhsa_user_sgpr_count 15
		.amdhsa_user_sgpr_dispatch_ptr 0
		.amdhsa_user_sgpr_queue_ptr 0
		.amdhsa_user_sgpr_kernarg_segment_ptr 1
		.amdhsa_user_sgpr_dispatch_id 0
		.amdhsa_user_sgpr_private_segment_size 0
		.amdhsa_wavefront_size32 1
		.amdhsa_uses_dynamic_stack 0
		.amdhsa_enable_private_segment 0
		.amdhsa_system_sgpr_workgroup_id_x 1
		.amdhsa_system_sgpr_workgroup_id_y 0
		.amdhsa_system_sgpr_workgroup_id_z 0
		.amdhsa_system_sgpr_workgroup_info 0
		.amdhsa_system_vgpr_workitem_id 0
		.amdhsa_next_free_vgpr 18
		.amdhsa_next_free_sgpr 60
		.amdhsa_reserve_vcc 1
		.amdhsa_float_round_mode_32 0
		.amdhsa_float_round_mode_16_64 0
		.amdhsa_float_denorm_mode_32 3
		.amdhsa_float_denorm_mode_16_64 3
		.amdhsa_dx10_clamp 1
		.amdhsa_ieee_mode 1
		.amdhsa_fp16_overflow 0
		.amdhsa_workgroup_processor_mode 1
		.amdhsa_memory_ordered 1
		.amdhsa_forward_progress 0
		.amdhsa_shared_vgpr_count 0
		.amdhsa_exception_fp_ieee_invalid_op 0
		.amdhsa_exception_fp_denorm_src 0
		.amdhsa_exception_fp_ieee_div_zero 0
		.amdhsa_exception_fp_ieee_overflow 0
		.amdhsa_exception_fp_ieee_underflow 0
		.amdhsa_exception_fp_ieee_inexact 0
		.amdhsa_exception_int_div_zero 0
	.end_amdhsa_kernel
	.section	.text._ZN2at6native32elementwise_kernel_manual_unrollILi128ELi4EZNS0_22gpu_kernel_impl_nocastIZZZNS0_17clamp_kernel_cudaERNS_18TensorIteratorBaseERKN3c106ScalarES8_ENKUlvE_clEvENKUlvE2_clEvEUllE_EEvS4_RKT_EUlibE_EEviT1_,"axG",@progbits,_ZN2at6native32elementwise_kernel_manual_unrollILi128ELi4EZNS0_22gpu_kernel_impl_nocastIZZZNS0_17clamp_kernel_cudaERNS_18TensorIteratorBaseERKN3c106ScalarES8_ENKUlvE_clEvENKUlvE2_clEvEUllE_EEvS4_RKT_EUlibE_EEviT1_,comdat
.Lfunc_end303:
	.size	_ZN2at6native32elementwise_kernel_manual_unrollILi128ELi4EZNS0_22gpu_kernel_impl_nocastIZZZNS0_17clamp_kernel_cudaERNS_18TensorIteratorBaseERKN3c106ScalarES8_ENKUlvE_clEvENKUlvE2_clEvEUllE_EEvS4_RKT_EUlibE_EEviT1_, .Lfunc_end303-_ZN2at6native32elementwise_kernel_manual_unrollILi128ELi4EZNS0_22gpu_kernel_impl_nocastIZZZNS0_17clamp_kernel_cudaERNS_18TensorIteratorBaseERKN3c106ScalarES8_ENKUlvE_clEvENKUlvE2_clEvEUllE_EEvS4_RKT_EUlibE_EEviT1_
                                        ; -- End function
	.section	.AMDGPU.csdata,"",@progbits
; Kernel info:
; codeLenInByte = 7052
; NumSgprs: 62
; NumVgprs: 18
; ScratchSize: 0
; MemoryBound: 0
; FloatMode: 240
; IeeeMode: 1
; LDSByteSize: 0 bytes/workgroup (compile time only)
; SGPRBlocks: 7
; VGPRBlocks: 2
; NumSGPRsForWavesPerEU: 62
; NumVGPRsForWavesPerEU: 18
; Occupancy: 16
; WaveLimiterHint : 1
; COMPUTE_PGM_RSRC2:SCRATCH_EN: 0
; COMPUTE_PGM_RSRC2:USER_SGPR: 15
; COMPUTE_PGM_RSRC2:TRAP_HANDLER: 0
; COMPUTE_PGM_RSRC2:TGID_X_EN: 1
; COMPUTE_PGM_RSRC2:TGID_Y_EN: 0
; COMPUTE_PGM_RSRC2:TGID_Z_EN: 0
; COMPUTE_PGM_RSRC2:TIDIG_COMP_CNT: 0
	.section	.text._ZN2at6native32elementwise_kernel_manual_unrollILi128ELi4EZNS0_15gpu_kernel_implIZZZNS0_17clamp_kernel_cudaERNS_18TensorIteratorBaseERKN3c106ScalarES8_ENKUlvE_clEvENKUlvE2_clEvEUllE_EEvS4_RKT_EUlibE_EEviT1_,"axG",@progbits,_ZN2at6native32elementwise_kernel_manual_unrollILi128ELi4EZNS0_15gpu_kernel_implIZZZNS0_17clamp_kernel_cudaERNS_18TensorIteratorBaseERKN3c106ScalarES8_ENKUlvE_clEvENKUlvE2_clEvEUllE_EEvS4_RKT_EUlibE_EEviT1_,comdat
	.globl	_ZN2at6native32elementwise_kernel_manual_unrollILi128ELi4EZNS0_15gpu_kernel_implIZZZNS0_17clamp_kernel_cudaERNS_18TensorIteratorBaseERKN3c106ScalarES8_ENKUlvE_clEvENKUlvE2_clEvEUllE_EEvS4_RKT_EUlibE_EEviT1_ ; -- Begin function _ZN2at6native32elementwise_kernel_manual_unrollILi128ELi4EZNS0_15gpu_kernel_implIZZZNS0_17clamp_kernel_cudaERNS_18TensorIteratorBaseERKN3c106ScalarES8_ENKUlvE_clEvENKUlvE2_clEvEUllE_EEvS4_RKT_EUlibE_EEviT1_
	.p2align	8
	.type	_ZN2at6native32elementwise_kernel_manual_unrollILi128ELi4EZNS0_15gpu_kernel_implIZZZNS0_17clamp_kernel_cudaERNS_18TensorIteratorBaseERKN3c106ScalarES8_ENKUlvE_clEvENKUlvE2_clEvEUllE_EEvS4_RKT_EUlibE_EEviT1_,@function
_ZN2at6native32elementwise_kernel_manual_unrollILi128ELi4EZNS0_15gpu_kernel_implIZZZNS0_17clamp_kernel_cudaERNS_18TensorIteratorBaseERKN3c106ScalarES8_ENKUlvE_clEvENKUlvE2_clEvEUllE_EEvS4_RKT_EUlibE_EEviT1_: ; @_ZN2at6native32elementwise_kernel_manual_unrollILi128ELi4EZNS0_15gpu_kernel_implIZZZNS0_17clamp_kernel_cudaERNS_18TensorIteratorBaseERKN3c106ScalarES8_ENKUlvE_clEvENKUlvE2_clEvEUllE_EEvS4_RKT_EUlibE_EEviT1_
; %bb.0:
	s_clause 0x4
	s_load_b32 s12, s[0:1], 0x30
	s_load_b32 s16, s[0:1], 0x0
	s_load_b128 s[4:7], s[0:1], 0x8
	s_load_b64 s[2:3], s[0:1], 0x18
	s_load_b128 s[8:11], s[0:1], 0x20
	v_lshl_or_b32 v10, s15, 9, v0
	s_mov_b32 s13, 0
	s_mov_b32 s15, 0
	s_mov_b32 s0, exec_lo
	s_delay_alu instid0(VALU_DEP_1) | instskip(SKIP_2) | instid1(VALU_DEP_2)
	v_or_b32_e32 v0, 0x180, v10
	s_waitcnt lgkmcnt(0)
	v_lshrrev_b16 v11, 8, s12
	v_cmpx_le_i32_e64 s16, v0
	s_xor_b32 s14, exec_lo, s0
	s_cbranch_execz .LBB304_1016
; %bb.1:
	s_mov_b32 s1, -1
	s_mov_b32 s19, 0
	s_mov_b32 s17, 0
	s_mov_b32 s18, exec_lo
	v_cmpx_gt_i32_e64 s16, v10
	s_cbranch_execz .LBB304_247
; %bb.2:
	v_mul_lo_u32 v0, v10, s3
	v_cmp_gt_i16_e32 vcc_lo, 11, v11
	s_delay_alu instid0(VALU_DEP_2) | instskip(SKIP_1) | instid1(VALU_DEP_1)
	v_ashrrev_i32_e32 v1, 31, v0
	v_add_co_u32 v0, s0, s6, v0
	v_add_co_ci_u32_e64 v1, s0, s7, v1, s0
	s_cbranch_vccnz .LBB304_9
; %bb.3:
	v_cmp_lt_i16_e32 vcc_lo, 25, v11
	s_cbranch_vccz .LBB304_18
; %bb.4:
	v_cmp_lt_i16_e32 vcc_lo, 28, v11
	s_cbranch_vccz .LBB304_21
	;; [unrolled: 3-line block ×4, first 2 shown]
; %bb.7:
	v_cmp_eq_u16_e32 vcc_lo, 46, v11
	s_mov_b32 s1, 0
	s_cbranch_vccz .LBB304_26
; %bb.8:
	global_load_b32 v2, v[0:1], off
	s_mov_b32 s0, -1
	s_waitcnt vmcnt(0)
	v_lshlrev_b32_e32 v2, 16, v2
	s_delay_alu instid0(VALU_DEP_1) | instskip(NEXT) | instid1(VALU_DEP_1)
	v_trunc_f32_e32 v2, v2
	v_mul_f32_e64 v3, 0x2f800000, |v2|
	v_ashrrev_i32_e32 v5, 31, v2
	s_delay_alu instid0(VALU_DEP_2) | instskip(NEXT) | instid1(VALU_DEP_1)
	v_floor_f32_e32 v3, v3
	v_fma_f32 v4, 0xcf800000, v3, |v2|
	v_cvt_u32_f32_e32 v3, v3
	s_delay_alu instid0(VALU_DEP_2) | instskip(NEXT) | instid1(VALU_DEP_2)
	v_cvt_u32_f32_e32 v2, v4
	v_xor_b32_e32 v3, v3, v5
	s_delay_alu instid0(VALU_DEP_2) | instskip(NEXT) | instid1(VALU_DEP_1)
	v_xor_b32_e32 v2, v2, v5
	v_sub_co_u32 v2, vcc_lo, v2, v5
	s_delay_alu instid0(VALU_DEP_3)
	v_sub_co_ci_u32_e32 v3, vcc_lo, v3, v5, vcc_lo
	s_branch .LBB304_28
.LBB304_9:
	s_mov_b32 s0, 0
                                        ; implicit-def: $vgpr2_vgpr3
	s_and_b32 vcc_lo, exec_lo, s1
	s_cbranch_vccnz .LBB304_197
.LBB304_10:
	s_and_not1_b32 vcc_lo, exec_lo, s0
	s_cbranch_vccnz .LBB304_244
.LBB304_11:
	s_waitcnt vmcnt(0)
	s_delay_alu instid0(VALU_DEP_1) | instskip(SKIP_4) | instid1(VALU_DEP_3)
	v_cmp_lt_i64_e32 vcc_lo, s[8:9], v[2:3]
	v_mul_lo_u32 v5, v10, s2
	v_and_b32_e64 v4, 0xff, s12
	v_cndmask_b32_e32 v1, s9, v3, vcc_lo
	v_cndmask_b32_e32 v0, s8, v2, vcc_lo
	v_cmp_gt_i16_e32 vcc_lo, 11, v4
	v_ashrrev_i32_e32 v3, 31, v5
	v_add_co_u32 v2, s1, s4, v5
	s_delay_alu instid0(VALU_DEP_4) | instskip(NEXT) | instid1(VALU_DEP_3)
	v_cmp_gt_i64_e64 s0, s[10:11], v[0:1]
	v_add_co_ci_u32_e64 v3, s1, s5, v3, s1
	s_delay_alu instid0(VALU_DEP_2)
	v_cndmask_b32_e64 v1, s11, v1, s0
	v_cndmask_b32_e64 v0, s10, v0, s0
	s_cbranch_vccnz .LBB304_19
; %bb.12:
	v_cmp_lt_i16_e32 vcc_lo, 25, v4
	s_cbranch_vccz .LBB304_22
; %bb.13:
	v_cmp_lt_i16_e32 vcc_lo, 28, v4
	s_cbranch_vccz .LBB304_24
; %bb.14:
	v_cmp_lt_i16_e32 vcc_lo, 43, v4
	s_cbranch_vccz .LBB304_25
; %bb.15:
	v_cmp_lt_i16_e32 vcc_lo, 45, v4
	s_cbranch_vccz .LBB304_31
; %bb.16:
	v_cmp_eq_u16_e32 vcc_lo, 46, v4
	s_mov_b32 s15, 0
	s_mov_b32 s0, -1
	s_mov_b32 s1, 0
	s_cbranch_vccz .LBB304_32
; %bb.17:
	v_xor_b32_e32 v5, v0, v1
	v_cls_i32_e32 v6, v1
	s_mov_b32 s1, -1
	s_mov_b32 s0, 0
	s_delay_alu instid0(VALU_DEP_2) | instskip(NEXT) | instid1(VALU_DEP_2)
	v_ashrrev_i32_e32 v5, 31, v5
	v_add_nc_u32_e32 v6, -1, v6
	s_delay_alu instid0(VALU_DEP_2) | instskip(NEXT) | instid1(VALU_DEP_1)
	v_add_nc_u32_e32 v5, 32, v5
	v_min_u32_e32 v7, v6, v5
	s_delay_alu instid0(VALU_DEP_1) | instskip(NEXT) | instid1(VALU_DEP_1)
	v_lshlrev_b64 v[5:6], v7, v[0:1]
	v_min_u32_e32 v5, 1, v5
	s_delay_alu instid0(VALU_DEP_1) | instskip(SKIP_1) | instid1(VALU_DEP_2)
	v_or_b32_e32 v5, v6, v5
	v_sub_nc_u32_e32 v6, 32, v7
	v_cvt_f32_i32_e32 v5, v5
	s_delay_alu instid0(VALU_DEP_1) | instskip(NEXT) | instid1(VALU_DEP_1)
	v_ldexp_f32 v5, v5, v6
	v_bfe_u32 v6, v5, 16, 1
	s_delay_alu instid0(VALU_DEP_1) | instskip(NEXT) | instid1(VALU_DEP_1)
	v_add3_u32 v5, v5, v6, 0x7fff
	v_lshrrev_b32_e32 v5, 16, v5
	global_store_b32 v[2:3], v5, off
	s_branch .LBB304_32
.LBB304_18:
	s_mov_b32 s0, 0
                                        ; implicit-def: $vgpr2_vgpr3
	s_and_b32 vcc_lo, exec_lo, s1
	s_cbranch_vccnz .LBB304_166
	s_branch .LBB304_196
.LBB304_19:
	s_mov_b32 s0, 0
	s_mov_b32 s1, 0
	s_cbranch_execnz .LBB304_101
.LBB304_20:
	s_and_not1_b32 vcc_lo, exec_lo, s1
	s_cbranch_vccnz .LBB304_245
	s_branch .LBB304_139
.LBB304_21:
	s_mov_b32 s0, 0
                                        ; implicit-def: $vgpr2_vgpr3
	s_branch .LBB304_147
.LBB304_22:
	s_mov_b32 s15, -1
	s_mov_b32 s0, 0
	s_mov_b32 s1, 0
	s_branch .LBB304_59
.LBB304_23:
	s_mov_b32 s0, 0
                                        ; implicit-def: $vgpr2_vgpr3
	s_branch .LBB304_142
.LBB304_24:
	s_mov_b32 s15, -1
	s_mov_b32 s0, 0
	s_mov_b32 s1, 0
	s_branch .LBB304_42
.LBB304_25:
	s_mov_b32 s15, -1
	s_mov_b32 s0, 0
	s_mov_b32 s1, 0
	s_branch .LBB304_38
.LBB304_26:
	s_mov_b32 s17, -1
.LBB304_27:
	s_mov_b32 s0, 0
                                        ; implicit-def: $vgpr2_vgpr3
.LBB304_28:
	s_and_b32 vcc_lo, exec_lo, s1
	s_cbranch_vccz .LBB304_141
; %bb.29:
	v_cmp_eq_u16_e32 vcc_lo, 44, v11
	s_cbranch_vccz .LBB304_140
; %bb.30:
	global_load_u8 v2, v[0:1], off
	s_mov_b32 s17, 0
	s_mov_b32 s0, -1
	s_waitcnt vmcnt(0)
	v_lshlrev_b32_e32 v3, 23, v2
	s_delay_alu instid0(VALU_DEP_1) | instskip(NEXT) | instid1(VALU_DEP_1)
	v_trunc_f32_e32 v3, v3
	v_mul_f32_e64 v4, 0x2f800000, |v3|
	s_delay_alu instid0(VALU_DEP_1) | instskip(NEXT) | instid1(VALU_DEP_1)
	v_floor_f32_e32 v4, v4
	v_fma_f32 v5, 0xcf800000, v4, |v3|
	v_ashrrev_i32_e32 v3, 31, v3
	v_cvt_u32_f32_e32 v4, v4
	s_delay_alu instid0(VALU_DEP_3) | instskip(NEXT) | instid1(VALU_DEP_2)
	v_cvt_u32_f32_e32 v5, v5
	v_xor_b32_e32 v4, v4, v3
	s_delay_alu instid0(VALU_DEP_2) | instskip(NEXT) | instid1(VALU_DEP_1)
	v_xor_b32_e32 v5, v5, v3
	v_sub_co_u32 v5, vcc_lo, v5, v3
	s_delay_alu instid0(VALU_DEP_3) | instskip(SKIP_1) | instid1(VALU_DEP_2)
	v_sub_co_ci_u32_e32 v3, vcc_lo, v4, v3, vcc_lo
	v_cmp_ne_u32_e32 vcc_lo, 0, v2
	v_dual_cndmask_b32 v2, 0, v5 :: v_dual_cndmask_b32 v3, 0, v3
	s_branch .LBB304_141
.LBB304_31:
	s_mov_b32 s15, -1
	s_mov_b32 s0, 0
	s_mov_b32 s1, 0
.LBB304_32:
	s_and_b32 vcc_lo, exec_lo, s15
	s_cbranch_vccz .LBB304_37
; %bb.33:
	v_cmp_eq_u16_e32 vcc_lo, 44, v4
	s_mov_b32 s0, -1
	s_cbranch_vccz .LBB304_37
; %bb.34:
	v_xor_b32_e32 v5, v0, v1
	v_cls_i32_e32 v6, v1
	s_mov_b32 s1, -1
	s_mov_b32 s15, exec_lo
	s_delay_alu instid0(VALU_DEP_2) | instskip(NEXT) | instid1(VALU_DEP_2)
	v_ashrrev_i32_e32 v5, 31, v5
	v_add_nc_u32_e32 v6, -1, v6
	s_delay_alu instid0(VALU_DEP_2) | instskip(NEXT) | instid1(VALU_DEP_1)
	v_add_nc_u32_e32 v5, 32, v5
	v_min_u32_e32 v7, v6, v5
	s_delay_alu instid0(VALU_DEP_1) | instskip(NEXT) | instid1(VALU_DEP_1)
	v_lshlrev_b64 v[5:6], v7, v[0:1]
	v_min_u32_e32 v5, 1, v5
	s_delay_alu instid0(VALU_DEP_1) | instskip(SKIP_1) | instid1(VALU_DEP_2)
	v_or_b32_e32 v5, v6, v5
	v_sub_nc_u32_e32 v6, 32, v7
	v_cvt_f32_i32_e32 v5, v5
	s_delay_alu instid0(VALU_DEP_1) | instskip(SKIP_1) | instid1(VALU_DEP_2)
	v_ldexp_f32 v5, v5, v6
	v_mov_b32_e32 v6, 0xff
	v_bfe_u32 v7, v5, 23, 8
	s_delay_alu instid0(VALU_DEP_1)
	v_cmpx_ne_u32_e32 0xff, v7
; %bb.35:
	v_and_b32_e32 v6, 0x400000, v5
	v_and_or_b32 v7, 0x3fffff, v5, v7
	v_lshrrev_b32_e32 v5, 23, v5
	s_delay_alu instid0(VALU_DEP_3) | instskip(NEXT) | instid1(VALU_DEP_3)
	v_cmp_ne_u32_e32 vcc_lo, 0, v6
	v_cmp_ne_u32_e64 s0, 0, v7
	s_delay_alu instid0(VALU_DEP_1) | instskip(NEXT) | instid1(SALU_CYCLE_1)
	s_and_b32 s0, vcc_lo, s0
	v_cndmask_b32_e64 v6, 0, 1, s0
	s_delay_alu instid0(VALU_DEP_1)
	v_add_nc_u32_e32 v6, v5, v6
; %bb.36:
	s_or_b32 exec_lo, exec_lo, s15
	s_mov_b32 s0, 0
	global_store_b8 v[2:3], v6, off
.LBB304_37:
	s_mov_b32 s15, 0
.LBB304_38:
	s_delay_alu instid0(SALU_CYCLE_1)
	s_and_b32 vcc_lo, exec_lo, s15
	s_cbranch_vccz .LBB304_41
; %bb.39:
	v_cmp_eq_u16_e32 vcc_lo, 29, v4
	s_mov_b32 s0, -1
	s_cbranch_vccz .LBB304_41
; %bb.40:
	s_mov_b32 s1, -1
	s_mov_b32 s0, 0
	global_store_b64 v[2:3], v[0:1], off
.LBB304_41:
	s_mov_b32 s15, 0
.LBB304_42:
	s_delay_alu instid0(SALU_CYCLE_1)
	s_and_b32 vcc_lo, exec_lo, s15
	s_cbranch_vccz .LBB304_58
; %bb.43:
	v_cmp_gt_i16_e32 vcc_lo, 27, v4
	s_mov_b32 s1, -1
	s_cbranch_vccnz .LBB304_49
; %bb.44:
	v_cmp_lt_i16_e32 vcc_lo, 27, v4
	s_cbranch_vccz .LBB304_46
; %bb.45:
	s_mov_b32 s1, 0
	global_store_b32 v[2:3], v0, off
.LBB304_46:
	s_and_not1_b32 vcc_lo, exec_lo, s1
	s_cbranch_vccnz .LBB304_48
; %bb.47:
	global_store_b16 v[2:3], v0, off
.LBB304_48:
	s_mov_b32 s1, 0
.LBB304_49:
	s_delay_alu instid0(SALU_CYCLE_1)
	s_and_not1_b32 vcc_lo, exec_lo, s1
	s_cbranch_vccnz .LBB304_57
; %bb.50:
	v_xor_b32_e32 v5, v0, v1
	v_cls_i32_e32 v6, v1
	s_mov_b32 s1, exec_lo
	s_delay_alu instid0(VALU_DEP_2) | instskip(NEXT) | instid1(VALU_DEP_2)
	v_ashrrev_i32_e32 v5, 31, v5
	v_add_nc_u32_e32 v6, -1, v6
	s_delay_alu instid0(VALU_DEP_2) | instskip(NEXT) | instid1(VALU_DEP_1)
	v_add_nc_u32_e32 v5, 32, v5
	v_min_u32_e32 v7, v6, v5
	s_delay_alu instid0(VALU_DEP_1) | instskip(NEXT) | instid1(VALU_DEP_1)
	v_lshlrev_b64 v[5:6], v7, v[0:1]
	v_min_u32_e32 v5, 1, v5
	s_delay_alu instid0(VALU_DEP_1) | instskip(SKIP_2) | instid1(VALU_DEP_3)
	v_or_b32_e32 v5, v6, v5
	v_sub_nc_u32_e32 v6, 32, v7
	v_mov_b32_e32 v7, 0x80
	v_cvt_f32_i32_e32 v5, v5
	s_delay_alu instid0(VALU_DEP_1) | instskip(NEXT) | instid1(VALU_DEP_1)
	v_ldexp_f32 v5, v5, v6
	v_and_b32_e32 v6, 0x7fffffff, v5
	s_delay_alu instid0(VALU_DEP_1)
	v_cmpx_gt_u32_e32 0x43800000, v6
	s_cbranch_execz .LBB304_56
; %bb.51:
	v_cmp_lt_u32_e32 vcc_lo, 0x3bffffff, v6
	s_mov_b32 s15, 0
                                        ; implicit-def: $vgpr6
	s_and_saveexec_b32 s20, vcc_lo
	s_delay_alu instid0(SALU_CYCLE_1)
	s_xor_b32 s20, exec_lo, s20
	s_cbranch_execz .LBB304_271
; %bb.52:
	v_bfe_u32 v6, v5, 20, 1
	s_mov_b32 s15, exec_lo
	s_delay_alu instid0(VALU_DEP_1) | instskip(NEXT) | instid1(VALU_DEP_1)
	v_add3_u32 v6, v5, v6, 0x487ffff
	v_lshrrev_b32_e32 v6, 20, v6
	s_or_saveexec_b32 s20, s20
                                        ; implicit-def: $sgpr21
	s_delay_alu instid0(SALU_CYCLE_1)
	s_xor_b32 exec_lo, exec_lo, s20
	s_cbranch_execnz .LBB304_272
.LBB304_53:
	s_or_b32 exec_lo, exec_lo, s20
	v_mov_b32_e32 v7, s21
	s_and_saveexec_b32 s20, s15
.LBB304_54:
	v_lshrrev_b32_e32 v5, 24, v5
	s_delay_alu instid0(VALU_DEP_1)
	v_and_or_b32 v7, 0x80, v5, v6
.LBB304_55:
	s_or_b32 exec_lo, exec_lo, s20
.LBB304_56:
	s_delay_alu instid0(SALU_CYCLE_1)
	s_or_b32 exec_lo, exec_lo, s1
	global_store_b8 v[2:3], v7, off
.LBB304_57:
	s_mov_b32 s1, -1
.LBB304_58:
	s_mov_b32 s15, 0
.LBB304_59:
	s_delay_alu instid0(SALU_CYCLE_1)
	s_and_b32 vcc_lo, exec_lo, s15
	s_cbranch_vccz .LBB304_100
; %bb.60:
	v_cmp_lt_i16_e32 vcc_lo, 22, v4
	s_mov_b32 s15, -1
	s_cbranch_vccz .LBB304_92
; %bb.61:
	v_cmp_gt_i16_e32 vcc_lo, 24, v4
	s_mov_b32 s1, -1
	s_cbranch_vccnz .LBB304_81
; %bb.62:
	v_cmp_lt_i16_e32 vcc_lo, 24, v4
	s_cbranch_vccz .LBB304_70
; %bb.63:
	v_xor_b32_e32 v5, v0, v1
	v_cls_i32_e32 v6, v1
	s_mov_b32 s1, exec_lo
	s_delay_alu instid0(VALU_DEP_2) | instskip(NEXT) | instid1(VALU_DEP_2)
	v_ashrrev_i32_e32 v5, 31, v5
	v_add_nc_u32_e32 v6, -1, v6
	s_delay_alu instid0(VALU_DEP_2) | instskip(NEXT) | instid1(VALU_DEP_1)
	v_add_nc_u32_e32 v5, 32, v5
	v_min_u32_e32 v7, v6, v5
	s_delay_alu instid0(VALU_DEP_1) | instskip(NEXT) | instid1(VALU_DEP_1)
	v_lshlrev_b64 v[5:6], v7, v[0:1]
	v_min_u32_e32 v5, 1, v5
	s_delay_alu instid0(VALU_DEP_1) | instskip(SKIP_2) | instid1(VALU_DEP_3)
	v_or_b32_e32 v5, v6, v5
	v_sub_nc_u32_e32 v6, 32, v7
	v_mov_b32_e32 v7, 0x80
	v_cvt_f32_i32_e32 v5, v5
	s_delay_alu instid0(VALU_DEP_1) | instskip(NEXT) | instid1(VALU_DEP_1)
	v_ldexp_f32 v5, v5, v6
	v_and_b32_e32 v6, 0x7fffffff, v5
	s_delay_alu instid0(VALU_DEP_1)
	v_cmpx_gt_u32_e32 0x47800000, v6
	s_cbranch_execz .LBB304_69
; %bb.64:
	v_cmp_lt_u32_e32 vcc_lo, 0x37ffffff, v6
	s_mov_b32 s15, 0
                                        ; implicit-def: $vgpr6
	s_and_saveexec_b32 s20, vcc_lo
	s_delay_alu instid0(SALU_CYCLE_1)
	s_xor_b32 s20, exec_lo, s20
	s_cbranch_execz .LBB304_275
; %bb.65:
	v_bfe_u32 v6, v5, 21, 1
	s_mov_b32 s15, exec_lo
	s_delay_alu instid0(VALU_DEP_1) | instskip(NEXT) | instid1(VALU_DEP_1)
	v_add3_u32 v6, v5, v6, 0x88fffff
	v_lshrrev_b32_e32 v6, 21, v6
	s_or_saveexec_b32 s20, s20
                                        ; implicit-def: $sgpr21
	s_delay_alu instid0(SALU_CYCLE_1)
	s_xor_b32 exec_lo, exec_lo, s20
	s_cbranch_execnz .LBB304_276
.LBB304_66:
	s_or_b32 exec_lo, exec_lo, s20
	v_mov_b32_e32 v7, s21
	s_and_saveexec_b32 s20, s15
.LBB304_67:
	v_lshrrev_b32_e32 v5, 24, v5
	s_delay_alu instid0(VALU_DEP_1)
	v_and_or_b32 v7, 0x80, v5, v6
.LBB304_68:
	s_or_b32 exec_lo, exec_lo, s20
.LBB304_69:
	s_delay_alu instid0(SALU_CYCLE_1)
	s_or_b32 exec_lo, exec_lo, s1
	s_mov_b32 s1, 0
	global_store_b8 v[2:3], v7, off
.LBB304_70:
	s_and_b32 vcc_lo, exec_lo, s1
	s_cbranch_vccz .LBB304_80
; %bb.71:
	v_xor_b32_e32 v5, v0, v1
	v_cls_i32_e32 v6, v1
	s_mov_b32 s1, exec_lo
	s_delay_alu instid0(VALU_DEP_2) | instskip(NEXT) | instid1(VALU_DEP_2)
	v_ashrrev_i32_e32 v5, 31, v5
	v_add_nc_u32_e32 v6, -1, v6
	s_delay_alu instid0(VALU_DEP_2) | instskip(NEXT) | instid1(VALU_DEP_1)
	v_add_nc_u32_e32 v5, 32, v5
	v_min_u32_e32 v7, v6, v5
	s_delay_alu instid0(VALU_DEP_1) | instskip(NEXT) | instid1(VALU_DEP_1)
	v_lshlrev_b64 v[5:6], v7, v[0:1]
	v_min_u32_e32 v5, 1, v5
	s_delay_alu instid0(VALU_DEP_1) | instskip(SKIP_1) | instid1(VALU_DEP_2)
	v_or_b32_e32 v5, v6, v5
	v_sub_nc_u32_e32 v6, 32, v7
	v_cvt_f32_i32_e32 v5, v5
	s_delay_alu instid0(VALU_DEP_1) | instskip(NEXT) | instid1(VALU_DEP_1)
	v_ldexp_f32 v5, v5, v6
                                        ; implicit-def: $vgpr6
	v_and_b32_e32 v7, 0x7fffffff, v5
	s_delay_alu instid0(VALU_DEP_1)
	v_cmpx_gt_u32_e32 0x43f00000, v7
	s_xor_b32 s1, exec_lo, s1
	s_cbranch_execz .LBB304_77
; %bb.72:
	s_mov_b32 s15, exec_lo
                                        ; implicit-def: $vgpr6
	v_cmpx_lt_u32_e32 0x3c7fffff, v7
	s_xor_b32 s15, exec_lo, s15
; %bb.73:
	v_bfe_u32 v6, v5, 20, 1
	s_delay_alu instid0(VALU_DEP_1) | instskip(NEXT) | instid1(VALU_DEP_1)
	v_add3_u32 v6, v5, v6, 0x407ffff
	v_and_b32_e32 v7, 0xff00000, v6
	v_lshrrev_b32_e32 v6, 20, v6
	s_delay_alu instid0(VALU_DEP_2) | instskip(NEXT) | instid1(VALU_DEP_2)
	v_cmp_ne_u32_e32 vcc_lo, 0x7f00000, v7
	v_cndmask_b32_e32 v6, 0x7e, v6, vcc_lo
; %bb.74:
	s_and_not1_saveexec_b32 s15, s15
; %bb.75:
	v_add_f32_e64 v6, 0x46800000, |v5|
; %bb.76:
	s_or_b32 exec_lo, exec_lo, s15
                                        ; implicit-def: $vgpr7
.LBB304_77:
	s_and_not1_saveexec_b32 s1, s1
; %bb.78:
	v_mov_b32_e32 v6, 0x7f
	v_cmp_lt_u32_e32 vcc_lo, 0x7f800000, v7
	s_delay_alu instid0(VALU_DEP_2)
	v_cndmask_b32_e32 v6, 0x7e, v6, vcc_lo
; %bb.79:
	s_or_b32 exec_lo, exec_lo, s1
	v_lshrrev_b32_e32 v5, 24, v5
	s_delay_alu instid0(VALU_DEP_1)
	v_and_or_b32 v5, 0x80, v5, v6
	global_store_b8 v[2:3], v5, off
.LBB304_80:
	s_mov_b32 s1, 0
.LBB304_81:
	s_delay_alu instid0(SALU_CYCLE_1)
	s_and_not1_b32 vcc_lo, exec_lo, s1
	s_cbranch_vccnz .LBB304_91
; %bb.82:
	v_xor_b32_e32 v5, v0, v1
	v_cls_i32_e32 v6, v1
	s_mov_b32 s1, exec_lo
	s_delay_alu instid0(VALU_DEP_2) | instskip(NEXT) | instid1(VALU_DEP_2)
	v_ashrrev_i32_e32 v5, 31, v5
	v_add_nc_u32_e32 v6, -1, v6
	s_delay_alu instid0(VALU_DEP_2) | instskip(NEXT) | instid1(VALU_DEP_1)
	v_add_nc_u32_e32 v5, 32, v5
	v_min_u32_e32 v7, v6, v5
	s_delay_alu instid0(VALU_DEP_1) | instskip(NEXT) | instid1(VALU_DEP_1)
	v_lshlrev_b64 v[5:6], v7, v[0:1]
	v_min_u32_e32 v5, 1, v5
	s_delay_alu instid0(VALU_DEP_1) | instskip(SKIP_1) | instid1(VALU_DEP_2)
	v_or_b32_e32 v5, v6, v5
	v_sub_nc_u32_e32 v6, 32, v7
	v_cvt_f32_i32_e32 v5, v5
	s_delay_alu instid0(VALU_DEP_1) | instskip(NEXT) | instid1(VALU_DEP_1)
	v_ldexp_f32 v5, v5, v6
                                        ; implicit-def: $vgpr6
	v_and_b32_e32 v7, 0x7fffffff, v5
	s_delay_alu instid0(VALU_DEP_1)
	v_cmpx_gt_u32_e32 0x47800000, v7
	s_xor_b32 s1, exec_lo, s1
	s_cbranch_execz .LBB304_88
; %bb.83:
	s_mov_b32 s15, exec_lo
                                        ; implicit-def: $vgpr6
	v_cmpx_lt_u32_e32 0x387fffff, v7
	s_xor_b32 s15, exec_lo, s15
; %bb.84:
	v_bfe_u32 v6, v5, 21, 1
	s_delay_alu instid0(VALU_DEP_1) | instskip(NEXT) | instid1(VALU_DEP_1)
	v_add3_u32 v6, v5, v6, 0x80fffff
	v_lshrrev_b32_e32 v6, 21, v6
; %bb.85:
	s_and_not1_saveexec_b32 s15, s15
; %bb.86:
	v_add_f32_e64 v6, 0x43000000, |v5|
; %bb.87:
	s_or_b32 exec_lo, exec_lo, s15
                                        ; implicit-def: $vgpr7
.LBB304_88:
	s_and_not1_saveexec_b32 s1, s1
; %bb.89:
	v_mov_b32_e32 v6, 0x7f
	v_cmp_lt_u32_e32 vcc_lo, 0x7f800000, v7
	s_delay_alu instid0(VALU_DEP_2)
	v_cndmask_b32_e32 v6, 0x7c, v6, vcc_lo
; %bb.90:
	s_or_b32 exec_lo, exec_lo, s1
	v_lshrrev_b32_e32 v5, 24, v5
	s_delay_alu instid0(VALU_DEP_1)
	v_and_or_b32 v5, 0x80, v5, v6
	global_store_b8 v[2:3], v5, off
.LBB304_91:
	s_mov_b32 s15, 0
	s_mov_b32 s1, -1
.LBB304_92:
	s_and_not1_b32 vcc_lo, exec_lo, s15
	s_cbranch_vccnz .LBB304_100
; %bb.93:
	v_cmp_lt_i16_e32 vcc_lo, 14, v4
	s_mov_b32 s15, -1
	s_cbranch_vccz .LBB304_97
; %bb.94:
	v_cmp_eq_u16_e32 vcc_lo, 15, v4
	s_mov_b32 s0, -1
	s_cbranch_vccz .LBB304_96
; %bb.95:
	v_xor_b32_e32 v5, v0, v1
	v_cls_i32_e32 v6, v1
	s_mov_b32 s1, -1
	s_mov_b32 s0, 0
	s_delay_alu instid0(VALU_DEP_2) | instskip(NEXT) | instid1(VALU_DEP_2)
	v_ashrrev_i32_e32 v5, 31, v5
	v_add_nc_u32_e32 v6, -1, v6
	s_delay_alu instid0(VALU_DEP_2) | instskip(NEXT) | instid1(VALU_DEP_1)
	v_add_nc_u32_e32 v5, 32, v5
	v_min_u32_e32 v7, v6, v5
	s_delay_alu instid0(VALU_DEP_1) | instskip(NEXT) | instid1(VALU_DEP_1)
	v_lshlrev_b64 v[5:6], v7, v[0:1]
	v_min_u32_e32 v5, 1, v5
	s_delay_alu instid0(VALU_DEP_1) | instskip(SKIP_1) | instid1(VALU_DEP_2)
	v_or_b32_e32 v5, v6, v5
	v_sub_nc_u32_e32 v6, 32, v7
	v_cvt_f32_i32_e32 v5, v5
	s_delay_alu instid0(VALU_DEP_1) | instskip(NEXT) | instid1(VALU_DEP_1)
	v_ldexp_f32 v5, v5, v6
	v_bfe_u32 v6, v5, 16, 1
	s_delay_alu instid0(VALU_DEP_1)
	v_add3_u32 v5, v5, v6, 0x7fff
	global_store_d16_hi_b16 v[2:3], v5, off
.LBB304_96:
	s_mov_b32 s15, 0
.LBB304_97:
	s_delay_alu instid0(SALU_CYCLE_1)
	s_and_b32 vcc_lo, exec_lo, s15
	s_cbranch_vccz .LBB304_100
; %bb.98:
	v_cmp_eq_u16_e32 vcc_lo, 11, v4
	s_mov_b32 s0, -1
	s_cbranch_vccz .LBB304_100
; %bb.99:
	v_cmp_ne_u64_e32 vcc_lo, 0, v[0:1]
	s_mov_b32 s1, -1
	s_mov_b32 s0, 0
	v_cndmask_b32_e64 v5, 0, 1, vcc_lo
	global_store_b8 v[2:3], v5, off
.LBB304_100:
	s_branch .LBB304_20
.LBB304_101:
	v_cmp_gt_i16_e32 vcc_lo, 5, v4
	s_mov_b32 s1, -1
	s_cbranch_vccnz .LBB304_122
; %bb.102:
	v_cmp_gt_i16_e32 vcc_lo, 8, v4
	s_cbranch_vccnz .LBB304_112
; %bb.103:
	v_cmp_gt_i16_e32 vcc_lo, 9, v4
	s_cbranch_vccnz .LBB304_109
; %bb.104:
	v_cmp_lt_i16_e32 vcc_lo, 9, v4
	s_cbranch_vccz .LBB304_106
; %bb.105:
	v_cvt_f64_i32_e32 v[5:6], v1
	v_cvt_f64_u32_e32 v[7:8], v0
	s_mov_b32 s1, 0
	s_delay_alu instid0(VALU_DEP_2) | instskip(NEXT) | instid1(VALU_DEP_1)
	v_ldexp_f64 v[5:6], v[5:6], 32
	v_add_f64 v[5:6], v[5:6], v[7:8]
	v_mov_b32_e32 v7, 0
	s_delay_alu instid0(VALU_DEP_1)
	v_mov_b32_e32 v8, v7
	global_store_b128 v[2:3], v[5:8], off
.LBB304_106:
	s_and_not1_b32 vcc_lo, exec_lo, s1
	s_cbranch_vccnz .LBB304_108
; %bb.107:
	v_xor_b32_e32 v5, v0, v1
	v_cls_i32_e32 v6, v1
	s_delay_alu instid0(VALU_DEP_2) | instskip(NEXT) | instid1(VALU_DEP_2)
	v_ashrrev_i32_e32 v5, 31, v5
	v_add_nc_u32_e32 v6, -1, v6
	s_delay_alu instid0(VALU_DEP_2) | instskip(NEXT) | instid1(VALU_DEP_1)
	v_add_nc_u32_e32 v5, 32, v5
	v_min_u32_e32 v7, v6, v5
	s_delay_alu instid0(VALU_DEP_1) | instskip(NEXT) | instid1(VALU_DEP_1)
	v_lshlrev_b64 v[5:6], v7, v[0:1]
	v_min_u32_e32 v5, 1, v5
	s_delay_alu instid0(VALU_DEP_1) | instskip(SKIP_1) | instid1(VALU_DEP_2)
	v_or_b32_e32 v5, v6, v5
	v_sub_nc_u32_e32 v6, 32, v7
	v_cvt_f32_i32_e32 v5, v5
	s_delay_alu instid0(VALU_DEP_1)
	v_ldexp_f32 v5, v5, v6
	v_mov_b32_e32 v6, 0
	global_store_b64 v[2:3], v[5:6], off
.LBB304_108:
	s_mov_b32 s1, 0
.LBB304_109:
	s_delay_alu instid0(SALU_CYCLE_1)
	s_and_not1_b32 vcc_lo, exec_lo, s1
	s_cbranch_vccnz .LBB304_111
; %bb.110:
	v_xor_b32_e32 v5, v0, v1
	v_cls_i32_e32 v6, v1
	s_delay_alu instid0(VALU_DEP_2) | instskip(NEXT) | instid1(VALU_DEP_2)
	v_ashrrev_i32_e32 v5, 31, v5
	v_add_nc_u32_e32 v6, -1, v6
	s_delay_alu instid0(VALU_DEP_2) | instskip(NEXT) | instid1(VALU_DEP_1)
	v_add_nc_u32_e32 v5, 32, v5
	v_min_u32_e32 v7, v6, v5
	s_delay_alu instid0(VALU_DEP_1) | instskip(NEXT) | instid1(VALU_DEP_1)
	v_lshlrev_b64 v[5:6], v7, v[0:1]
	v_min_u32_e32 v5, 1, v5
	s_delay_alu instid0(VALU_DEP_1) | instskip(SKIP_1) | instid1(VALU_DEP_2)
	v_or_b32_e32 v5, v6, v5
	v_sub_nc_u32_e32 v6, 32, v7
	v_cvt_f32_i32_e32 v5, v5
	s_delay_alu instid0(VALU_DEP_1) | instskip(NEXT) | instid1(VALU_DEP_1)
	v_ldexp_f32 v5, v5, v6
	v_cvt_f16_f32_e32 v5, v5
	s_delay_alu instid0(VALU_DEP_1)
	v_and_b32_e32 v5, 0xffff, v5
	global_store_b32 v[2:3], v5, off
.LBB304_111:
	s_mov_b32 s1, 0
.LBB304_112:
	s_delay_alu instid0(SALU_CYCLE_1)
	s_and_not1_b32 vcc_lo, exec_lo, s1
	s_cbranch_vccnz .LBB304_121
; %bb.113:
	v_cmp_gt_i16_e32 vcc_lo, 6, v4
	s_mov_b32 s1, -1
	s_cbranch_vccnz .LBB304_119
; %bb.114:
	v_cmp_lt_i16_e32 vcc_lo, 6, v4
	s_cbranch_vccz .LBB304_116
; %bb.115:
	v_cvt_f64_i32_e32 v[5:6], v1
	v_cvt_f64_u32_e32 v[7:8], v0
	s_mov_b32 s1, 0
	s_delay_alu instid0(VALU_DEP_2) | instskip(NEXT) | instid1(VALU_DEP_1)
	v_ldexp_f64 v[5:6], v[5:6], 32
	v_add_f64 v[5:6], v[5:6], v[7:8]
	global_store_b64 v[2:3], v[5:6], off
.LBB304_116:
	s_and_not1_b32 vcc_lo, exec_lo, s1
	s_cbranch_vccnz .LBB304_118
; %bb.117:
	v_xor_b32_e32 v5, v0, v1
	v_cls_i32_e32 v6, v1
	s_delay_alu instid0(VALU_DEP_2) | instskip(NEXT) | instid1(VALU_DEP_2)
	v_ashrrev_i32_e32 v5, 31, v5
	v_add_nc_u32_e32 v6, -1, v6
	s_delay_alu instid0(VALU_DEP_2) | instskip(NEXT) | instid1(VALU_DEP_1)
	v_add_nc_u32_e32 v5, 32, v5
	v_min_u32_e32 v7, v6, v5
	s_delay_alu instid0(VALU_DEP_1) | instskip(NEXT) | instid1(VALU_DEP_1)
	v_lshlrev_b64 v[5:6], v7, v[0:1]
	v_min_u32_e32 v5, 1, v5
	s_delay_alu instid0(VALU_DEP_1) | instskip(SKIP_1) | instid1(VALU_DEP_2)
	v_or_b32_e32 v5, v6, v5
	v_sub_nc_u32_e32 v6, 32, v7
	v_cvt_f32_i32_e32 v5, v5
	s_delay_alu instid0(VALU_DEP_1)
	v_ldexp_f32 v5, v5, v6
	global_store_b32 v[2:3], v5, off
.LBB304_118:
	s_mov_b32 s1, 0
.LBB304_119:
	s_delay_alu instid0(SALU_CYCLE_1)
	s_and_not1_b32 vcc_lo, exec_lo, s1
	s_cbranch_vccnz .LBB304_121
; %bb.120:
	v_xor_b32_e32 v5, v0, v1
	v_cls_i32_e32 v6, v1
	s_delay_alu instid0(VALU_DEP_2) | instskip(NEXT) | instid1(VALU_DEP_2)
	v_ashrrev_i32_e32 v5, 31, v5
	v_add_nc_u32_e32 v6, -1, v6
	s_delay_alu instid0(VALU_DEP_2) | instskip(NEXT) | instid1(VALU_DEP_1)
	v_add_nc_u32_e32 v5, 32, v5
	v_min_u32_e32 v7, v6, v5
	s_delay_alu instid0(VALU_DEP_1) | instskip(NEXT) | instid1(VALU_DEP_1)
	v_lshlrev_b64 v[5:6], v7, v[0:1]
	v_min_u32_e32 v5, 1, v5
	s_delay_alu instid0(VALU_DEP_1) | instskip(SKIP_1) | instid1(VALU_DEP_2)
	v_or_b32_e32 v5, v6, v5
	v_sub_nc_u32_e32 v6, 32, v7
	v_cvt_f32_i32_e32 v5, v5
	s_delay_alu instid0(VALU_DEP_1) | instskip(NEXT) | instid1(VALU_DEP_1)
	v_ldexp_f32 v5, v5, v6
	v_cvt_f16_f32_e32 v5, v5
	global_store_b16 v[2:3], v5, off
.LBB304_121:
	s_mov_b32 s1, 0
.LBB304_122:
	s_delay_alu instid0(SALU_CYCLE_1)
	s_and_not1_b32 vcc_lo, exec_lo, s1
	s_cbranch_vccnz .LBB304_138
; %bb.123:
	v_cmp_gt_i16_e32 vcc_lo, 2, v4
	s_mov_b32 s1, -1
	s_cbranch_vccnz .LBB304_133
; %bb.124:
	v_cmp_gt_i16_e32 vcc_lo, 3, v4
	s_cbranch_vccnz .LBB304_130
; %bb.125:
	v_cmp_lt_i16_e32 vcc_lo, 3, v4
	s_cbranch_vccz .LBB304_127
; %bb.126:
	s_mov_b32 s1, 0
	global_store_b64 v[2:3], v[0:1], off
.LBB304_127:
	s_and_not1_b32 vcc_lo, exec_lo, s1
	s_cbranch_vccnz .LBB304_129
; %bb.128:
	global_store_b32 v[2:3], v0, off
.LBB304_129:
	s_mov_b32 s1, 0
.LBB304_130:
	s_delay_alu instid0(SALU_CYCLE_1)
	s_and_not1_b32 vcc_lo, exec_lo, s1
	s_cbranch_vccnz .LBB304_132
; %bb.131:
	global_store_b16 v[2:3], v0, off
.LBB304_132:
	s_mov_b32 s1, 0
.LBB304_133:
	s_delay_alu instid0(SALU_CYCLE_1)
	s_and_not1_b32 vcc_lo, exec_lo, s1
	s_cbranch_vccnz .LBB304_138
; %bb.134:
	v_cmp_lt_i16_e32 vcc_lo, 0, v4
	s_mov_b32 s1, -1
	s_cbranch_vccz .LBB304_136
; %bb.135:
	s_mov_b32 s1, 0
	global_store_b8 v[2:3], v0, off
.LBB304_136:
	s_and_not1_b32 vcc_lo, exec_lo, s1
	s_cbranch_vccnz .LBB304_138
; %bb.137:
	global_store_b8 v[2:3], v0, off
.LBB304_138:
.LBB304_139:
	v_add_nc_u32_e32 v10, 0x80, v10
	s_mov_b32 s1, -1
	s_branch .LBB304_246
.LBB304_140:
	s_mov_b32 s17, -1
                                        ; implicit-def: $vgpr2_vgpr3
.LBB304_141:
	s_mov_b32 s1, 0
.LBB304_142:
	s_delay_alu instid0(SALU_CYCLE_1)
	s_and_b32 vcc_lo, exec_lo, s1
	s_cbranch_vccz .LBB304_146
; %bb.143:
	v_cmp_eq_u16_e32 vcc_lo, 29, v11
	s_cbranch_vccz .LBB304_145
; %bb.144:
	global_load_b64 v[2:3], v[0:1], off
	s_mov_b32 s0, -1
	s_mov_b32 s17, 0
	s_branch .LBB304_146
.LBB304_145:
	s_mov_b32 s17, -1
                                        ; implicit-def: $vgpr2_vgpr3
.LBB304_146:
	s_mov_b32 s1, 0
.LBB304_147:
	s_delay_alu instid0(SALU_CYCLE_1)
	s_and_b32 vcc_lo, exec_lo, s1
	s_cbranch_vccz .LBB304_165
; %bb.148:
	v_cmp_gt_i16_e32 vcc_lo, 27, v11
	s_cbranch_vccnz .LBB304_151
; %bb.149:
	v_cmp_lt_i16_e32 vcc_lo, 27, v11
	s_cbranch_vccz .LBB304_152
; %bb.150:
	global_load_b32 v2, v[0:1], off
	s_waitcnt vmcnt(1)
	v_mov_b32_e32 v3, 0
	s_mov_b32 s0, 0
	s_branch .LBB304_153
.LBB304_151:
	s_mov_b32 s0, -1
                                        ; implicit-def: $vgpr2_vgpr3
	s_branch .LBB304_156
.LBB304_152:
	s_mov_b32 s0, -1
                                        ; implicit-def: $vgpr2_vgpr3
.LBB304_153:
	s_delay_alu instid0(SALU_CYCLE_1)
	s_and_not1_b32 vcc_lo, exec_lo, s0
	s_cbranch_vccnz .LBB304_155
; %bb.154:
	global_load_u16 v2, v[0:1], off
	s_mov_b32 s0, 0
	s_waitcnt vmcnt(0)
	v_dual_mov_b32 v3, s0 :: v_dual_and_b32 v2, 0xffff, v2
.LBB304_155:
	s_mov_b32 s0, 0
.LBB304_156:
	s_delay_alu instid0(SALU_CYCLE_1)
	s_and_not1_b32 vcc_lo, exec_lo, s0
	s_cbranch_vccnz .LBB304_164
; %bb.157:
	global_load_u8 v4, v[0:1], off
	s_mov_b32 s20, exec_lo
                                        ; implicit-def: $sgpr0_sgpr1
	s_waitcnt vmcnt(0)
	v_cmpx_lt_i16_e32 0x7f, v4
	s_xor_b32 s20, exec_lo, s20
; %bb.158:
	v_cmp_ne_u16_e32 vcc_lo, 0x80, v4
	s_mov_b64 s[0:1], 0
	s_and_b32 s15, vcc_lo, exec_lo
; %bb.159:
	s_or_saveexec_b32 s20, s20
	v_dual_mov_b32 v3, s1 :: v_dual_mov_b32 v2, s0
	s_xor_b32 exec_lo, exec_lo, s20
; %bb.160:
	v_cmp_ne_u16_e32 vcc_lo, 0, v4
	v_mov_b32_e32 v2, 0
	v_mov_b32_e32 v3, 0
	s_and_not1_b32 s0, s15, exec_lo
	s_and_b32 s1, vcc_lo, exec_lo
	s_delay_alu instid0(SALU_CYCLE_1)
	s_or_b32 s15, s0, s1
; %bb.161:
	s_or_b32 exec_lo, exec_lo, s20
	s_and_saveexec_b32 s0, s15
	s_cbranch_execz .LBB304_163
; %bb.162:
	v_and_b32_e32 v2, 0xffff, v4
	v_lshlrev_b32_e32 v4, 24, v4
	s_delay_alu instid0(VALU_DEP_2) | instskip(NEXT) | instid1(VALU_DEP_2)
	v_and_b32_e32 v3, 7, v2
	v_and_b32_e32 v4, 0x80000000, v4
	s_delay_alu instid0(VALU_DEP_2) | instskip(NEXT) | instid1(VALU_DEP_1)
	v_clz_i32_u32_e32 v5, v3
	v_min_u32_e32 v5, 32, v5
	s_delay_alu instid0(VALU_DEP_1) | instskip(SKIP_1) | instid1(VALU_DEP_2)
	v_subrev_nc_u32_e32 v6, 28, v5
	v_sub_nc_u32_e32 v5, 29, v5
	v_lshlrev_b32_e32 v6, v6, v2
	v_bfe_u32 v2, v2, 3, 4
	s_delay_alu instid0(VALU_DEP_2) | instskip(NEXT) | instid1(VALU_DEP_2)
	v_and_b32_e32 v6, 7, v6
	v_cmp_eq_u32_e32 vcc_lo, 0, v2
	s_delay_alu instid0(VALU_DEP_2) | instskip(NEXT) | instid1(VALU_DEP_1)
	v_dual_cndmask_b32 v2, v2, v5 :: v_dual_cndmask_b32 v3, v3, v6
	v_lshl_add_u32 v2, v2, 23, 0x3b800000
	s_delay_alu instid0(VALU_DEP_2) | instskip(NEXT) | instid1(VALU_DEP_1)
	v_lshlrev_b32_e32 v3, 20, v3
	v_or3_b32 v2, v4, v2, v3
	s_delay_alu instid0(VALU_DEP_1) | instskip(NEXT) | instid1(VALU_DEP_1)
	v_trunc_f32_e32 v2, v2
	v_mul_f32_e64 v3, 0x2f800000, |v2|
	v_ashrrev_i32_e32 v5, 31, v2
	s_delay_alu instid0(VALU_DEP_2) | instskip(NEXT) | instid1(VALU_DEP_1)
	v_floor_f32_e32 v3, v3
	v_fma_f32 v4, 0xcf800000, v3, |v2|
	v_cvt_u32_f32_e32 v3, v3
	s_delay_alu instid0(VALU_DEP_2) | instskip(NEXT) | instid1(VALU_DEP_2)
	v_cvt_u32_f32_e32 v2, v4
	v_xor_b32_e32 v3, v3, v5
	s_delay_alu instid0(VALU_DEP_2) | instskip(NEXT) | instid1(VALU_DEP_1)
	v_xor_b32_e32 v2, v2, v5
	v_sub_co_u32 v2, vcc_lo, v2, v5
	s_delay_alu instid0(VALU_DEP_3)
	v_sub_co_ci_u32_e32 v3, vcc_lo, v3, v5, vcc_lo
.LBB304_163:
	s_or_b32 exec_lo, exec_lo, s0
.LBB304_164:
	s_mov_b32 s0, -1
.LBB304_165:
	s_branch .LBB304_196
.LBB304_166:
	v_cmp_lt_i16_e32 vcc_lo, 22, v11
	s_cbranch_vccz .LBB304_176
; %bb.167:
	v_cmp_gt_i16_e32 vcc_lo, 24, v11
	s_cbranch_vccnz .LBB304_177
; %bb.168:
	v_cmp_lt_i16_e32 vcc_lo, 24, v11
	s_cbranch_vccz .LBB304_178
; %bb.169:
	global_load_u8 v4, v[0:1], off
	s_mov_b32 s15, 0
	s_mov_b32 s20, exec_lo
                                        ; implicit-def: $sgpr0_sgpr1
	s_waitcnt vmcnt(0)
	v_cmpx_lt_i16_e32 0x7f, v4
	s_xor_b32 s20, exec_lo, s20
; %bb.170:
	v_cmp_ne_u16_e32 vcc_lo, 0x80, v4
	s_mov_b64 s[0:1], 0
	s_and_b32 s15, vcc_lo, exec_lo
; %bb.171:
	s_or_saveexec_b32 s20, s20
	v_dual_mov_b32 v3, s1 :: v_dual_mov_b32 v2, s0
	s_xor_b32 exec_lo, exec_lo, s20
; %bb.172:
	v_cmp_ne_u16_e32 vcc_lo, 0, v4
	v_mov_b32_e32 v2, 0
	v_mov_b32_e32 v3, 0
	s_and_not1_b32 s0, s15, exec_lo
	s_and_b32 s1, vcc_lo, exec_lo
	s_delay_alu instid0(SALU_CYCLE_1)
	s_or_b32 s15, s0, s1
; %bb.173:
	s_or_b32 exec_lo, exec_lo, s20
	s_and_saveexec_b32 s0, s15
	s_cbranch_execz .LBB304_175
; %bb.174:
	v_and_b32_e32 v2, 0xffff, v4
	v_lshlrev_b32_e32 v4, 24, v4
	s_delay_alu instid0(VALU_DEP_2) | instskip(NEXT) | instid1(VALU_DEP_2)
	v_and_b32_e32 v3, 3, v2
	v_and_b32_e32 v4, 0x80000000, v4
	s_delay_alu instid0(VALU_DEP_2) | instskip(NEXT) | instid1(VALU_DEP_1)
	v_clz_i32_u32_e32 v5, v3
	v_min_u32_e32 v5, 32, v5
	s_delay_alu instid0(VALU_DEP_1) | instskip(SKIP_1) | instid1(VALU_DEP_2)
	v_subrev_nc_u32_e32 v6, 29, v5
	v_sub_nc_u32_e32 v5, 30, v5
	v_lshlrev_b32_e32 v6, v6, v2
	v_bfe_u32 v2, v2, 2, 5
	s_delay_alu instid0(VALU_DEP_2) | instskip(NEXT) | instid1(VALU_DEP_2)
	v_and_b32_e32 v6, 3, v6
	v_cmp_eq_u32_e32 vcc_lo, 0, v2
	s_delay_alu instid0(VALU_DEP_2) | instskip(NEXT) | instid1(VALU_DEP_1)
	v_dual_cndmask_b32 v2, v2, v5 :: v_dual_cndmask_b32 v3, v3, v6
	v_lshl_add_u32 v2, v2, 23, 0x37800000
	s_delay_alu instid0(VALU_DEP_2) | instskip(NEXT) | instid1(VALU_DEP_1)
	v_lshlrev_b32_e32 v3, 21, v3
	v_or3_b32 v2, v4, v2, v3
	s_delay_alu instid0(VALU_DEP_1) | instskip(NEXT) | instid1(VALU_DEP_1)
	v_trunc_f32_e32 v2, v2
	v_mul_f32_e64 v3, 0x2f800000, |v2|
	v_ashrrev_i32_e32 v5, 31, v2
	s_delay_alu instid0(VALU_DEP_2) | instskip(NEXT) | instid1(VALU_DEP_1)
	v_floor_f32_e32 v3, v3
	v_fma_f32 v4, 0xcf800000, v3, |v2|
	v_cvt_u32_f32_e32 v3, v3
	s_delay_alu instid0(VALU_DEP_2) | instskip(NEXT) | instid1(VALU_DEP_2)
	v_cvt_u32_f32_e32 v2, v4
	v_xor_b32_e32 v3, v3, v5
	s_delay_alu instid0(VALU_DEP_2) | instskip(NEXT) | instid1(VALU_DEP_1)
	v_xor_b32_e32 v2, v2, v5
	v_sub_co_u32 v2, vcc_lo, v2, v5
	s_delay_alu instid0(VALU_DEP_3)
	v_sub_co_ci_u32_e32 v3, vcc_lo, v3, v5, vcc_lo
.LBB304_175:
	s_or_b32 exec_lo, exec_lo, s0
	s_mov_b32 s0, 0
	s_branch .LBB304_179
.LBB304_176:
	s_mov_b32 s1, -1
                                        ; implicit-def: $vgpr2_vgpr3
	s_branch .LBB304_185
.LBB304_177:
	s_mov_b32 s0, -1
                                        ; implicit-def: $vgpr2_vgpr3
	s_branch .LBB304_182
.LBB304_178:
	s_mov_b32 s0, -1
                                        ; implicit-def: $vgpr2_vgpr3
.LBB304_179:
	s_delay_alu instid0(SALU_CYCLE_1)
	s_and_b32 vcc_lo, exec_lo, s0
	s_cbranch_vccz .LBB304_181
; %bb.180:
	global_load_u8 v2, v[0:1], off
	s_waitcnt vmcnt(0)
	v_lshlrev_b32_e32 v2, 24, v2
	s_delay_alu instid0(VALU_DEP_1) | instskip(NEXT) | instid1(VALU_DEP_1)
	v_and_b32_e32 v3, 0x7f000000, v2
	v_clz_i32_u32_e32 v4, v3
	v_add_nc_u32_e32 v6, 0x1000000, v3
	v_cmp_ne_u32_e32 vcc_lo, 0, v3
	s_delay_alu instid0(VALU_DEP_3) | instskip(NEXT) | instid1(VALU_DEP_1)
	v_min_u32_e32 v4, 32, v4
	v_sub_nc_u32_e64 v4, v4, 4 clamp
	s_delay_alu instid0(VALU_DEP_1) | instskip(SKIP_1) | instid1(VALU_DEP_2)
	v_lshlrev_b32_e32 v5, v4, v3
	v_lshlrev_b32_e32 v4, 23, v4
	v_lshrrev_b32_e32 v5, 4, v5
	s_delay_alu instid0(VALU_DEP_1) | instskip(SKIP_1) | instid1(VALU_DEP_2)
	v_sub_nc_u32_e32 v4, v5, v4
	v_ashrrev_i32_e32 v5, 8, v6
	v_add_nc_u32_e32 v4, 0x3c000000, v4
	s_delay_alu instid0(VALU_DEP_1) | instskip(NEXT) | instid1(VALU_DEP_1)
	v_and_or_b32 v4, 0x7f800000, v5, v4
	v_cndmask_b32_e32 v3, 0, v4, vcc_lo
	s_delay_alu instid0(VALU_DEP_1) | instskip(NEXT) | instid1(VALU_DEP_1)
	v_and_or_b32 v2, 0x80000000, v2, v3
	v_trunc_f32_e32 v2, v2
	s_delay_alu instid0(VALU_DEP_1) | instskip(SKIP_1) | instid1(VALU_DEP_2)
	v_mul_f32_e64 v3, 0x2f800000, |v2|
	v_ashrrev_i32_e32 v5, 31, v2
	v_floor_f32_e32 v3, v3
	s_delay_alu instid0(VALU_DEP_1) | instskip(SKIP_1) | instid1(VALU_DEP_2)
	v_fma_f32 v4, 0xcf800000, v3, |v2|
	v_cvt_u32_f32_e32 v3, v3
	v_cvt_u32_f32_e32 v2, v4
	s_delay_alu instid0(VALU_DEP_2) | instskip(NEXT) | instid1(VALU_DEP_2)
	v_xor_b32_e32 v3, v3, v5
	v_xor_b32_e32 v2, v2, v5
	s_delay_alu instid0(VALU_DEP_1) | instskip(NEXT) | instid1(VALU_DEP_3)
	v_sub_co_u32 v2, vcc_lo, v2, v5
	v_sub_co_ci_u32_e32 v3, vcc_lo, v3, v5, vcc_lo
.LBB304_181:
	s_mov_b32 s0, 0
.LBB304_182:
	s_delay_alu instid0(SALU_CYCLE_1)
	s_and_not1_b32 vcc_lo, exec_lo, s0
	s_cbranch_vccnz .LBB304_184
; %bb.183:
	global_load_u8 v2, v[0:1], off
	s_waitcnt vmcnt(0)
	v_lshlrev_b32_e32 v3, 25, v2
	v_lshlrev_b16 v2, 8, v2
	s_delay_alu instid0(VALU_DEP_2) | instskip(NEXT) | instid1(VALU_DEP_2)
	v_lshrrev_b32_e32 v4, 4, v3
	v_and_or_b32 v5, 0x7f00, v2, 0.5
	v_bfe_i32 v2, v2, 0, 16
	s_delay_alu instid0(VALU_DEP_3) | instskip(NEXT) | instid1(VALU_DEP_1)
	v_or_b32_e32 v4, 0x70000000, v4
	v_dual_add_f32 v5, -0.5, v5 :: v_dual_mul_f32 v4, 0x7800000, v4
	v_cmp_gt_u32_e32 vcc_lo, 0x8000000, v3
	s_delay_alu instid0(VALU_DEP_2) | instskip(NEXT) | instid1(VALU_DEP_1)
	v_cndmask_b32_e32 v3, v4, v5, vcc_lo
	v_and_or_b32 v2, 0x80000000, v2, v3
	s_delay_alu instid0(VALU_DEP_1) | instskip(NEXT) | instid1(VALU_DEP_1)
	v_trunc_f32_e32 v2, v2
	v_mul_f32_e64 v3, 0x2f800000, |v2|
	v_ashrrev_i32_e32 v5, 31, v2
	s_delay_alu instid0(VALU_DEP_2) | instskip(NEXT) | instid1(VALU_DEP_1)
	v_floor_f32_e32 v3, v3
	v_fma_f32 v4, 0xcf800000, v3, |v2|
	v_cvt_u32_f32_e32 v3, v3
	s_delay_alu instid0(VALU_DEP_2) | instskip(NEXT) | instid1(VALU_DEP_2)
	v_cvt_u32_f32_e32 v2, v4
	v_xor_b32_e32 v3, v3, v5
	s_delay_alu instid0(VALU_DEP_2) | instskip(NEXT) | instid1(VALU_DEP_1)
	v_xor_b32_e32 v2, v2, v5
	v_sub_co_u32 v2, vcc_lo, v2, v5
	s_delay_alu instid0(VALU_DEP_3)
	v_sub_co_ci_u32_e32 v3, vcc_lo, v3, v5, vcc_lo
.LBB304_184:
	s_mov_b32 s1, 0
	s_mov_b32 s0, -1
.LBB304_185:
	s_and_not1_b32 vcc_lo, exec_lo, s1
	s_cbranch_vccnz .LBB304_196
; %bb.186:
	v_cmp_lt_i16_e32 vcc_lo, 14, v11
	s_cbranch_vccz .LBB304_189
; %bb.187:
	v_cmp_eq_u16_e32 vcc_lo, 15, v11
	s_cbranch_vccz .LBB304_190
; %bb.188:
	global_load_u16 v2, v[0:1], off
	s_mov_b32 s0, -1
	s_mov_b32 s17, 0
	s_waitcnt vmcnt(0)
	v_lshlrev_b32_e32 v2, 16, v2
	s_delay_alu instid0(VALU_DEP_1) | instskip(NEXT) | instid1(VALU_DEP_1)
	v_trunc_f32_e32 v2, v2
	v_mul_f32_e64 v3, 0x2f800000, |v2|
	v_ashrrev_i32_e32 v5, 31, v2
	s_delay_alu instid0(VALU_DEP_2) | instskip(NEXT) | instid1(VALU_DEP_1)
	v_floor_f32_e32 v3, v3
	v_fma_f32 v4, 0xcf800000, v3, |v2|
	v_cvt_u32_f32_e32 v3, v3
	s_delay_alu instid0(VALU_DEP_2) | instskip(NEXT) | instid1(VALU_DEP_2)
	v_cvt_u32_f32_e32 v2, v4
	v_xor_b32_e32 v3, v3, v5
	s_delay_alu instid0(VALU_DEP_2) | instskip(NEXT) | instid1(VALU_DEP_1)
	v_xor_b32_e32 v2, v2, v5
	v_sub_co_u32 v2, vcc_lo, v2, v5
	s_delay_alu instid0(VALU_DEP_3)
	v_sub_co_ci_u32_e32 v3, vcc_lo, v3, v5, vcc_lo
	s_branch .LBB304_191
.LBB304_189:
	s_mov_b32 s1, -1
                                        ; implicit-def: $vgpr2_vgpr3
	s_branch .LBB304_192
.LBB304_190:
	s_mov_b32 s17, -1
                                        ; implicit-def: $vgpr2_vgpr3
.LBB304_191:
	s_mov_b32 s1, 0
.LBB304_192:
	s_delay_alu instid0(SALU_CYCLE_1)
	s_and_b32 vcc_lo, exec_lo, s1
	s_cbranch_vccz .LBB304_196
; %bb.193:
	v_cmp_eq_u16_e32 vcc_lo, 11, v11
	s_cbranch_vccz .LBB304_195
; %bb.194:
	global_load_u8 v2, v[0:1], off
	s_mov_b32 s17, 0
	s_mov_b32 s0, -1
	s_waitcnt vmcnt(1)
	v_mov_b32_e32 v3, s17
	s_waitcnt vmcnt(0)
	v_cmp_ne_u16_e32 vcc_lo, 0, v2
	v_cndmask_b32_e64 v2, 0, 1, vcc_lo
	s_branch .LBB304_196
.LBB304_195:
	s_mov_b32 s17, -1
                                        ; implicit-def: $vgpr2_vgpr3
.LBB304_196:
	s_branch .LBB304_10
.LBB304_197:
	v_cmp_gt_i16_e32 vcc_lo, 5, v11
	s_cbranch_vccnz .LBB304_202
; %bb.198:
	v_cmp_gt_i16_e32 vcc_lo, 8, v11
	s_cbranch_vccnz .LBB304_203
; %bb.199:
	;; [unrolled: 3-line block ×3, first 2 shown]
	v_cmp_lt_i16_e32 vcc_lo, 9, v11
	s_cbranch_vccz .LBB304_205
; %bb.201:
	global_load_b64 v[2:3], v[0:1], off
	s_mov_b32 s0, 0
	s_waitcnt vmcnt(0)
	v_trunc_f64_e32 v[2:3], v[2:3]
	s_delay_alu instid0(VALU_DEP_1) | instskip(NEXT) | instid1(VALU_DEP_1)
	v_ldexp_f64 v[4:5], v[2:3], 0xffffffe0
	v_floor_f64_e32 v[4:5], v[4:5]
	s_delay_alu instid0(VALU_DEP_1) | instskip(SKIP_1) | instid1(VALU_DEP_2)
	v_fma_f64 v[6:7], 0xc1f00000, v[4:5], v[2:3]
	v_cvt_i32_f64_e32 v3, v[4:5]
	v_cvt_u32_f64_e32 v2, v[6:7]
	s_branch .LBB304_206
.LBB304_202:
                                        ; implicit-def: $vgpr2_vgpr3
	s_branch .LBB304_224
.LBB304_203:
	s_mov_b32 s0, -1
                                        ; implicit-def: $vgpr2_vgpr3
	s_branch .LBB304_212
.LBB304_204:
	s_mov_b32 s0, -1
                                        ; implicit-def: $vgpr2_vgpr3
	s_branch .LBB304_209
.LBB304_205:
	s_mov_b32 s0, -1
                                        ; implicit-def: $vgpr2_vgpr3
.LBB304_206:
	s_delay_alu instid0(SALU_CYCLE_1)
	s_and_not1_b32 vcc_lo, exec_lo, s0
	s_cbranch_vccnz .LBB304_208
; %bb.207:
	global_load_b32 v2, v[0:1], off
	s_waitcnt vmcnt(0)
	v_trunc_f32_e32 v2, v2
	s_delay_alu instid0(VALU_DEP_1) | instskip(SKIP_1) | instid1(VALU_DEP_2)
	v_mul_f32_e64 v3, 0x2f800000, |v2|
	v_ashrrev_i32_e32 v5, 31, v2
	v_floor_f32_e32 v3, v3
	s_delay_alu instid0(VALU_DEP_1) | instskip(SKIP_1) | instid1(VALU_DEP_2)
	v_fma_f32 v4, 0xcf800000, v3, |v2|
	v_cvt_u32_f32_e32 v3, v3
	v_cvt_u32_f32_e32 v2, v4
	s_delay_alu instid0(VALU_DEP_2) | instskip(NEXT) | instid1(VALU_DEP_2)
	v_xor_b32_e32 v3, v3, v5
	v_xor_b32_e32 v2, v2, v5
	s_delay_alu instid0(VALU_DEP_1) | instskip(NEXT) | instid1(VALU_DEP_3)
	v_sub_co_u32 v2, vcc_lo, v2, v5
	v_sub_co_ci_u32_e32 v3, vcc_lo, v3, v5, vcc_lo
.LBB304_208:
	s_mov_b32 s0, 0
.LBB304_209:
	s_delay_alu instid0(SALU_CYCLE_1)
	s_and_not1_b32 vcc_lo, exec_lo, s0
	s_cbranch_vccnz .LBB304_211
; %bb.210:
	global_load_b32 v2, v[0:1], off
	s_waitcnt vmcnt(0)
	v_cvt_f32_f16_e32 v2, v2
	s_delay_alu instid0(VALU_DEP_1) | instskip(NEXT) | instid1(VALU_DEP_1)
	v_cvt_i32_f32_e32 v2, v2
	v_ashrrev_i32_e32 v3, 31, v2
.LBB304_211:
	s_mov_b32 s0, 0
.LBB304_212:
	s_delay_alu instid0(SALU_CYCLE_1)
	s_and_not1_b32 vcc_lo, exec_lo, s0
	s_cbranch_vccnz .LBB304_223
; %bb.213:
	v_cmp_gt_i16_e32 vcc_lo, 6, v11
	s_cbranch_vccnz .LBB304_216
; %bb.214:
	v_cmp_lt_i16_e32 vcc_lo, 6, v11
	s_cbranch_vccz .LBB304_217
; %bb.215:
	global_load_b64 v[2:3], v[0:1], off
	s_mov_b32 s0, 0
	s_waitcnt vmcnt(0)
	v_trunc_f64_e32 v[2:3], v[2:3]
	s_delay_alu instid0(VALU_DEP_1) | instskip(NEXT) | instid1(VALU_DEP_1)
	v_ldexp_f64 v[4:5], v[2:3], 0xffffffe0
	v_floor_f64_e32 v[4:5], v[4:5]
	s_delay_alu instid0(VALU_DEP_1) | instskip(SKIP_1) | instid1(VALU_DEP_2)
	v_fma_f64 v[6:7], 0xc1f00000, v[4:5], v[2:3]
	v_cvt_i32_f64_e32 v3, v[4:5]
	v_cvt_u32_f64_e32 v2, v[6:7]
	s_branch .LBB304_218
.LBB304_216:
	s_mov_b32 s0, -1
                                        ; implicit-def: $vgpr2_vgpr3
	s_branch .LBB304_221
.LBB304_217:
	s_mov_b32 s0, -1
                                        ; implicit-def: $vgpr2_vgpr3
.LBB304_218:
	s_delay_alu instid0(SALU_CYCLE_1)
	s_and_not1_b32 vcc_lo, exec_lo, s0
	s_cbranch_vccnz .LBB304_220
; %bb.219:
	global_load_b32 v2, v[0:1], off
	s_waitcnt vmcnt(0)
	v_trunc_f32_e32 v2, v2
	s_delay_alu instid0(VALU_DEP_1) | instskip(SKIP_1) | instid1(VALU_DEP_2)
	v_mul_f32_e64 v3, 0x2f800000, |v2|
	v_ashrrev_i32_e32 v5, 31, v2
	v_floor_f32_e32 v3, v3
	s_delay_alu instid0(VALU_DEP_1) | instskip(SKIP_1) | instid1(VALU_DEP_2)
	v_fma_f32 v4, 0xcf800000, v3, |v2|
	v_cvt_u32_f32_e32 v3, v3
	v_cvt_u32_f32_e32 v2, v4
	s_delay_alu instid0(VALU_DEP_2) | instskip(NEXT) | instid1(VALU_DEP_2)
	v_xor_b32_e32 v3, v3, v5
	v_xor_b32_e32 v2, v2, v5
	s_delay_alu instid0(VALU_DEP_1) | instskip(NEXT) | instid1(VALU_DEP_3)
	v_sub_co_u32 v2, vcc_lo, v2, v5
	v_sub_co_ci_u32_e32 v3, vcc_lo, v3, v5, vcc_lo
.LBB304_220:
	s_mov_b32 s0, 0
.LBB304_221:
	s_delay_alu instid0(SALU_CYCLE_1)
	s_and_not1_b32 vcc_lo, exec_lo, s0
	s_cbranch_vccnz .LBB304_223
; %bb.222:
	global_load_u16 v2, v[0:1], off
	s_waitcnt vmcnt(0)
	v_cvt_f32_f16_e32 v2, v2
	s_delay_alu instid0(VALU_DEP_1) | instskip(NEXT) | instid1(VALU_DEP_1)
	v_cvt_i32_f32_e32 v2, v2
	v_ashrrev_i32_e32 v3, 31, v2
.LBB304_223:
	s_cbranch_execnz .LBB304_243
.LBB304_224:
	v_cmp_gt_i16_e32 vcc_lo, 2, v11
	s_cbranch_vccnz .LBB304_228
; %bb.225:
	v_cmp_gt_i16_e32 vcc_lo, 3, v11
	s_cbranch_vccnz .LBB304_229
; %bb.226:
	v_cmp_lt_i16_e32 vcc_lo, 3, v11
	s_cbranch_vccz .LBB304_230
; %bb.227:
	global_load_b64 v[2:3], v[0:1], off
	s_mov_b32 s0, 0
	s_branch .LBB304_231
.LBB304_228:
	s_mov_b32 s0, -1
                                        ; implicit-def: $vgpr2_vgpr3
	s_branch .LBB304_237
.LBB304_229:
	s_mov_b32 s0, -1
                                        ; implicit-def: $vgpr2_vgpr3
	s_branch .LBB304_234
.LBB304_230:
	s_mov_b32 s0, -1
                                        ; implicit-def: $vgpr2_vgpr3
.LBB304_231:
	s_delay_alu instid0(SALU_CYCLE_1)
	s_and_not1_b32 vcc_lo, exec_lo, s0
	s_cbranch_vccnz .LBB304_233
; %bb.232:
	global_load_b32 v2, v[0:1], off
	s_waitcnt vmcnt(0)
	v_ashrrev_i32_e32 v3, 31, v2
.LBB304_233:
	s_mov_b32 s0, 0
.LBB304_234:
	s_delay_alu instid0(SALU_CYCLE_1)
	s_and_not1_b32 vcc_lo, exec_lo, s0
	s_cbranch_vccnz .LBB304_236
; %bb.235:
	global_load_u16 v2, v[0:1], off
	s_waitcnt vmcnt(0)
	v_bfe_i32 v2, v2, 0, 16
	s_delay_alu instid0(VALU_DEP_1)
	v_ashrrev_i32_e32 v3, 31, v2
.LBB304_236:
	s_mov_b32 s0, 0
.LBB304_237:
	s_delay_alu instid0(SALU_CYCLE_1)
	s_and_not1_b32 vcc_lo, exec_lo, s0
	s_cbranch_vccnz .LBB304_243
; %bb.238:
	v_cmp_lt_i16_e32 vcc_lo, 0, v11
	s_mov_b32 s0, 0
	s_cbranch_vccz .LBB304_240
; %bb.239:
	global_load_i8 v2, v[0:1], off
	s_waitcnt vmcnt(0)
	v_bfe_i32 v2, v2, 0, 16
	s_delay_alu instid0(VALU_DEP_1)
	v_ashrrev_i32_e32 v3, 31, v2
	s_branch .LBB304_241
.LBB304_240:
	s_mov_b32 s0, -1
                                        ; implicit-def: $vgpr2_vgpr3
.LBB304_241:
	s_delay_alu instid0(SALU_CYCLE_1)
	s_and_not1_b32 vcc_lo, exec_lo, s0
	s_cbranch_vccnz .LBB304_243
; %bb.242:
	global_load_u8 v0, v[0:1], off
	s_mov_b32 s0, 0
	s_waitcnt vmcnt(0)
	v_dual_mov_b32 v3, s0 :: v_dual_and_b32 v2, 0xffff, v0
.LBB304_243:
	s_branch .LBB304_11
.LBB304_244:
	s_mov_b32 s0, 0
.LBB304_245:
	s_mov_b32 s1, 0
                                        ; implicit-def: $vgpr10
.LBB304_246:
	s_and_b32 s15, s0, exec_lo
	s_and_b32 s17, s17, exec_lo
	s_or_not1_b32 s1, s1, exec_lo
.LBB304_247:
	s_or_b32 exec_lo, exec_lo, s18
	s_mov_b32 s20, 0
	s_mov_b32 s0, 0
                                        ; implicit-def: $vgpr0_vgpr1
                                        ; implicit-def: $vgpr4_vgpr5
	s_and_saveexec_b32 s18, s1
	s_cbranch_execz .LBB304_843
; %bb.248:
	s_mov_b32 s23, -1
	s_mov_b32 s19, s17
	s_mov_b32 s20, s15
	s_mov_b32 s21, exec_lo
	v_cmpx_gt_i32_e64 s16, v10
	s_cbranch_execz .LBB304_503
; %bb.249:
	v_mul_lo_u32 v0, v10, s3
	v_cmp_gt_i16_e32 vcc_lo, 11, v11
	s_delay_alu instid0(VALU_DEP_2) | instskip(SKIP_1) | instid1(VALU_DEP_1)
	v_ashrrev_i32_e32 v1, 31, v0
	v_add_co_u32 v0, s0, s6, v0
	v_add_co_ci_u32_e64 v1, s0, s7, v1, s0
	s_cbranch_vccnz .LBB304_256
; %bb.250:
	v_cmp_lt_i16_e32 vcc_lo, 25, v11
	s_cbranch_vccz .LBB304_265
; %bb.251:
	v_cmp_lt_i16_e32 vcc_lo, 28, v11
	s_cbranch_vccz .LBB304_267
	;; [unrolled: 3-line block ×4, first 2 shown]
; %bb.254:
	v_cmp_eq_u16_e32 vcc_lo, 46, v11
	s_mov_b32 s1, 0
	s_cbranch_vccz .LBB304_277
; %bb.255:
	global_load_b32 v2, v[0:1], off
	s_mov_b32 s0, -1
	s_mov_b32 s19, 0
	s_waitcnt vmcnt(0)
	v_lshlrev_b32_e32 v2, 16, v2
	s_delay_alu instid0(VALU_DEP_1) | instskip(NEXT) | instid1(VALU_DEP_1)
	v_trunc_f32_e32 v2, v2
	v_mul_f32_e64 v3, 0x2f800000, |v2|
	v_ashrrev_i32_e32 v5, 31, v2
	s_delay_alu instid0(VALU_DEP_2) | instskip(NEXT) | instid1(VALU_DEP_1)
	v_floor_f32_e32 v3, v3
	v_fma_f32 v4, 0xcf800000, v3, |v2|
	v_cvt_u32_f32_e32 v3, v3
	s_delay_alu instid0(VALU_DEP_2) | instskip(NEXT) | instid1(VALU_DEP_2)
	v_cvt_u32_f32_e32 v2, v4
	v_xor_b32_e32 v3, v3, v5
	s_delay_alu instid0(VALU_DEP_2) | instskip(NEXT) | instid1(VALU_DEP_1)
	v_xor_b32_e32 v2, v2, v5
	v_sub_co_u32 v2, vcc_lo, v2, v5
	s_delay_alu instid0(VALU_DEP_3)
	v_sub_co_ci_u32_e32 v3, vcc_lo, v3, v5, vcc_lo
	s_branch .LBB304_279
.LBB304_256:
	s_mov_b32 s0, 0
	s_mov_b32 s19, s17
                                        ; implicit-def: $vgpr2_vgpr3
	s_cbranch_execnz .LBB304_452
.LBB304_257:
	s_and_not1_b32 vcc_lo, exec_lo, s0
	s_cbranch_vccnz .LBB304_500
.LBB304_258:
	s_waitcnt vmcnt(0)
	s_delay_alu instid0(VALU_DEP_1) | instskip(SKIP_4) | instid1(VALU_DEP_3)
	v_cmp_lt_i64_e32 vcc_lo, s[8:9], v[2:3]
	v_mul_lo_u32 v5, v10, s2
	v_and_b32_e64 v4, 0xff, s12
	v_cndmask_b32_e32 v1, s9, v3, vcc_lo
	v_cndmask_b32_e32 v0, s8, v2, vcc_lo
	v_cmp_gt_i16_e32 vcc_lo, 11, v4
	v_ashrrev_i32_e32 v3, 31, v5
	v_add_co_u32 v2, s1, s4, v5
	s_delay_alu instid0(VALU_DEP_4) | instskip(NEXT) | instid1(VALU_DEP_3)
	v_cmp_gt_i64_e64 s0, s[10:11], v[0:1]
	v_add_co_ci_u32_e64 v3, s1, s5, v3, s1
	s_delay_alu instid0(VALU_DEP_2)
	v_cndmask_b32_e64 v1, s11, v1, s0
	v_cndmask_b32_e64 v0, s10, v0, s0
	s_cbranch_vccnz .LBB304_266
; %bb.259:
	v_cmp_lt_i16_e32 vcc_lo, 25, v4
	s_cbranch_vccz .LBB304_268
; %bb.260:
	v_cmp_lt_i16_e32 vcc_lo, 28, v4
	s_cbranch_vccz .LBB304_270
	;; [unrolled: 3-line block ×4, first 2 shown]
; %bb.263:
	v_cmp_eq_u16_e32 vcc_lo, 46, v4
	s_mov_b32 s20, 0
	s_mov_b32 s0, -1
	s_mov_b32 s1, 0
	s_cbranch_vccz .LBB304_283
; %bb.264:
	v_xor_b32_e32 v5, v0, v1
	v_cls_i32_e32 v6, v1
	s_mov_b32 s1, -1
	s_mov_b32 s0, 0
	s_delay_alu instid0(VALU_DEP_2) | instskip(NEXT) | instid1(VALU_DEP_2)
	v_ashrrev_i32_e32 v5, 31, v5
	v_add_nc_u32_e32 v6, -1, v6
	s_delay_alu instid0(VALU_DEP_2) | instskip(NEXT) | instid1(VALU_DEP_1)
	v_add_nc_u32_e32 v5, 32, v5
	v_min_u32_e32 v7, v6, v5
	s_delay_alu instid0(VALU_DEP_1) | instskip(NEXT) | instid1(VALU_DEP_1)
	v_lshlrev_b64 v[5:6], v7, v[0:1]
	v_min_u32_e32 v5, 1, v5
	s_delay_alu instid0(VALU_DEP_1) | instskip(SKIP_1) | instid1(VALU_DEP_2)
	v_or_b32_e32 v5, v6, v5
	v_sub_nc_u32_e32 v6, 32, v7
	v_cvt_f32_i32_e32 v5, v5
	s_delay_alu instid0(VALU_DEP_1) | instskip(NEXT) | instid1(VALU_DEP_1)
	v_ldexp_f32 v5, v5, v6
	v_bfe_u32 v6, v5, 16, 1
	s_delay_alu instid0(VALU_DEP_1) | instskip(NEXT) | instid1(VALU_DEP_1)
	v_add3_u32 v5, v5, v6, 0x7fff
	v_lshrrev_b32_e32 v5, 16, v5
	global_store_b32 v[2:3], v5, off
	s_branch .LBB304_283
.LBB304_265:
	s_mov_b32 s1, -1
	s_mov_b32 s0, 0
	s_mov_b32 s19, s17
                                        ; implicit-def: $vgpr2_vgpr3
	s_branch .LBB304_420
.LBB304_266:
	s_mov_b32 s20, -1
	s_mov_b32 s1, 0
	s_mov_b32 s0, s15
	s_branch .LBB304_352
.LBB304_267:
	s_mov_b32 s1, -1
	s_mov_b32 s0, 0
	s_mov_b32 s19, s17
                                        ; implicit-def: $vgpr2_vgpr3
	s_branch .LBB304_401
.LBB304_268:
	s_mov_b32 s20, -1
	s_mov_b32 s1, 0
	s_mov_b32 s0, s15
	s_branch .LBB304_310
.LBB304_269:
	s_mov_b32 s1, -1
	s_mov_b32 s0, 0
	s_mov_b32 s19, s17
                                        ; implicit-def: $vgpr2_vgpr3
	s_branch .LBB304_396
.LBB304_270:
	s_mov_b32 s20, -1
	s_mov_b32 s1, 0
	s_mov_b32 s0, s15
	s_branch .LBB304_293
.LBB304_271:
	s_or_saveexec_b32 s20, s20
                                        ; implicit-def: $sgpr21
	s_delay_alu instid0(SALU_CYCLE_1)
	s_xor_b32 exec_lo, exec_lo, s20
	s_cbranch_execz .LBB304_53
.LBB304_272:
	v_add_f32_e64 v6, 0x46000000, |v5|
	s_and_not1_b32 s15, s15, exec_lo
	s_mov_b32 s21, 0
	s_delay_alu instid0(VALU_DEP_1) | instskip(NEXT) | instid1(VALU_DEP_1)
	v_and_b32_e32 v6, 0xff, v6
	v_cmp_ne_u32_e32 vcc_lo, 0, v6
	s_and_b32 s22, vcc_lo, exec_lo
	s_delay_alu instid0(SALU_CYCLE_1)
	s_or_b32 s15, s15, s22
	s_or_b32 exec_lo, exec_lo, s20
	v_mov_b32_e32 v7, s21
	s_and_saveexec_b32 s20, s15
	s_cbranch_execnz .LBB304_54
	s_branch .LBB304_55
.LBB304_273:
	s_mov_b32 s1, -1
	s_mov_b32 s0, 0
	s_mov_b32 s19, s17
	s_branch .LBB304_278
.LBB304_274:
	s_mov_b32 s20, -1
	s_mov_b32 s1, 0
	s_mov_b32 s0, s15
	s_branch .LBB304_289
.LBB304_275:
	s_or_saveexec_b32 s20, s20
                                        ; implicit-def: $sgpr21
	s_delay_alu instid0(SALU_CYCLE_1)
	s_xor_b32 exec_lo, exec_lo, s20
	s_cbranch_execz .LBB304_66
.LBB304_276:
	v_add_f32_e64 v6, 0x42800000, |v5|
	s_and_not1_b32 s15, s15, exec_lo
	s_mov_b32 s21, 0
	s_delay_alu instid0(VALU_DEP_1) | instskip(NEXT) | instid1(VALU_DEP_1)
	v_and_b32_e32 v6, 0xff, v6
	v_cmp_ne_u32_e32 vcc_lo, 0, v6
	s_and_b32 s22, vcc_lo, exec_lo
	s_delay_alu instid0(SALU_CYCLE_1)
	s_or_b32 s15, s15, s22
	s_or_b32 exec_lo, exec_lo, s20
	v_mov_b32_e32 v7, s21
	s_and_saveexec_b32 s20, s15
	s_cbranch_execnz .LBB304_67
	s_branch .LBB304_68
.LBB304_277:
	s_mov_b32 s19, -1
	s_mov_b32 s0, 0
.LBB304_278:
                                        ; implicit-def: $vgpr2_vgpr3
.LBB304_279:
	s_and_b32 vcc_lo, exec_lo, s1
	s_cbranch_vccz .LBB304_395
; %bb.280:
	v_cmp_eq_u16_e32 vcc_lo, 44, v11
	s_cbranch_vccz .LBB304_394
; %bb.281:
	global_load_u8 v2, v[0:1], off
	s_mov_b32 s19, 0
	s_mov_b32 s0, -1
	s_waitcnt vmcnt(0)
	v_lshlrev_b32_e32 v3, 23, v2
	s_delay_alu instid0(VALU_DEP_1) | instskip(NEXT) | instid1(VALU_DEP_1)
	v_trunc_f32_e32 v3, v3
	v_mul_f32_e64 v4, 0x2f800000, |v3|
	s_delay_alu instid0(VALU_DEP_1) | instskip(NEXT) | instid1(VALU_DEP_1)
	v_floor_f32_e32 v4, v4
	v_fma_f32 v5, 0xcf800000, v4, |v3|
	v_ashrrev_i32_e32 v3, 31, v3
	v_cvt_u32_f32_e32 v4, v4
	s_delay_alu instid0(VALU_DEP_3) | instskip(NEXT) | instid1(VALU_DEP_2)
	v_cvt_u32_f32_e32 v5, v5
	v_xor_b32_e32 v4, v4, v3
	s_delay_alu instid0(VALU_DEP_2) | instskip(NEXT) | instid1(VALU_DEP_1)
	v_xor_b32_e32 v5, v5, v3
	v_sub_co_u32 v5, vcc_lo, v5, v3
	s_delay_alu instid0(VALU_DEP_3) | instskip(SKIP_1) | instid1(VALU_DEP_2)
	v_sub_co_ci_u32_e32 v3, vcc_lo, v4, v3, vcc_lo
	v_cmp_ne_u32_e32 vcc_lo, 0, v2
	v_dual_cndmask_b32 v2, 0, v5 :: v_dual_cndmask_b32 v3, 0, v3
	s_branch .LBB304_395
.LBB304_282:
	s_mov_b32 s20, -1
	s_mov_b32 s1, 0
	s_mov_b32 s0, s15
.LBB304_283:
	s_and_b32 vcc_lo, exec_lo, s20
	s_cbranch_vccz .LBB304_288
; %bb.284:
	v_cmp_eq_u16_e32 vcc_lo, 44, v4
	s_mov_b32 s0, -1
	s_cbranch_vccz .LBB304_288
; %bb.285:
	v_xor_b32_e32 v5, v0, v1
	v_cls_i32_e32 v6, v1
	s_mov_b32 s1, -1
	s_mov_b32 s20, exec_lo
	s_delay_alu instid0(VALU_DEP_2) | instskip(NEXT) | instid1(VALU_DEP_2)
	v_ashrrev_i32_e32 v5, 31, v5
	v_add_nc_u32_e32 v6, -1, v6
	s_delay_alu instid0(VALU_DEP_2) | instskip(NEXT) | instid1(VALU_DEP_1)
	v_add_nc_u32_e32 v5, 32, v5
	v_min_u32_e32 v7, v6, v5
	s_delay_alu instid0(VALU_DEP_1) | instskip(NEXT) | instid1(VALU_DEP_1)
	v_lshlrev_b64 v[5:6], v7, v[0:1]
	v_min_u32_e32 v5, 1, v5
	s_delay_alu instid0(VALU_DEP_1) | instskip(SKIP_1) | instid1(VALU_DEP_2)
	v_or_b32_e32 v5, v6, v5
	v_sub_nc_u32_e32 v6, 32, v7
	v_cvt_f32_i32_e32 v5, v5
	s_delay_alu instid0(VALU_DEP_1) | instskip(SKIP_1) | instid1(VALU_DEP_2)
	v_ldexp_f32 v5, v5, v6
	v_mov_b32_e32 v6, 0xff
	v_bfe_u32 v7, v5, 23, 8
	s_delay_alu instid0(VALU_DEP_1)
	v_cmpx_ne_u32_e32 0xff, v7
; %bb.286:
	v_and_b32_e32 v6, 0x400000, v5
	v_and_or_b32 v7, 0x3fffff, v5, v7
	v_lshrrev_b32_e32 v5, 23, v5
	s_delay_alu instid0(VALU_DEP_3) | instskip(NEXT) | instid1(VALU_DEP_3)
	v_cmp_ne_u32_e32 vcc_lo, 0, v6
	v_cmp_ne_u32_e64 s0, 0, v7
	s_delay_alu instid0(VALU_DEP_1) | instskip(NEXT) | instid1(SALU_CYCLE_1)
	s_and_b32 s0, vcc_lo, s0
	v_cndmask_b32_e64 v6, 0, 1, s0
	s_delay_alu instid0(VALU_DEP_1)
	v_add_nc_u32_e32 v6, v5, v6
; %bb.287:
	s_or_b32 exec_lo, exec_lo, s20
	s_mov_b32 s0, 0
	global_store_b8 v[2:3], v6, off
.LBB304_288:
	s_mov_b32 s20, 0
.LBB304_289:
	s_delay_alu instid0(SALU_CYCLE_1)
	s_and_b32 vcc_lo, exec_lo, s20
	s_cbranch_vccz .LBB304_292
; %bb.290:
	v_cmp_eq_u16_e32 vcc_lo, 29, v4
	s_mov_b32 s0, -1
	s_cbranch_vccz .LBB304_292
; %bb.291:
	s_mov_b32 s1, -1
	s_mov_b32 s0, 0
	global_store_b64 v[2:3], v[0:1], off
.LBB304_292:
	s_mov_b32 s20, 0
.LBB304_293:
	s_delay_alu instid0(SALU_CYCLE_1)
	s_and_b32 vcc_lo, exec_lo, s20
	s_cbranch_vccz .LBB304_309
; %bb.294:
	v_cmp_gt_i16_e32 vcc_lo, 27, v4
	s_mov_b32 s1, -1
	s_cbranch_vccnz .LBB304_300
; %bb.295:
	v_cmp_lt_i16_e32 vcc_lo, 27, v4
	s_cbranch_vccz .LBB304_297
; %bb.296:
	s_mov_b32 s1, 0
	global_store_b32 v[2:3], v0, off
.LBB304_297:
	s_and_not1_b32 vcc_lo, exec_lo, s1
	s_cbranch_vccnz .LBB304_299
; %bb.298:
	global_store_b16 v[2:3], v0, off
.LBB304_299:
	s_mov_b32 s1, 0
.LBB304_300:
	s_delay_alu instid0(SALU_CYCLE_1)
	s_and_not1_b32 vcc_lo, exec_lo, s1
	s_cbranch_vccnz .LBB304_308
; %bb.301:
	v_xor_b32_e32 v5, v0, v1
	v_cls_i32_e32 v6, v1
	s_mov_b32 s1, exec_lo
	s_delay_alu instid0(VALU_DEP_2) | instskip(NEXT) | instid1(VALU_DEP_2)
	v_ashrrev_i32_e32 v5, 31, v5
	v_add_nc_u32_e32 v6, -1, v6
	s_delay_alu instid0(VALU_DEP_2) | instskip(NEXT) | instid1(VALU_DEP_1)
	v_add_nc_u32_e32 v5, 32, v5
	v_min_u32_e32 v7, v6, v5
	s_delay_alu instid0(VALU_DEP_1) | instskip(NEXT) | instid1(VALU_DEP_1)
	v_lshlrev_b64 v[5:6], v7, v[0:1]
	v_min_u32_e32 v5, 1, v5
	s_delay_alu instid0(VALU_DEP_1) | instskip(SKIP_2) | instid1(VALU_DEP_3)
	v_or_b32_e32 v5, v6, v5
	v_sub_nc_u32_e32 v6, 32, v7
	v_mov_b32_e32 v7, 0x80
	v_cvt_f32_i32_e32 v5, v5
	s_delay_alu instid0(VALU_DEP_1) | instskip(NEXT) | instid1(VALU_DEP_1)
	v_ldexp_f32 v5, v5, v6
	v_and_b32_e32 v6, 0x7fffffff, v5
	s_delay_alu instid0(VALU_DEP_1)
	v_cmpx_gt_u32_e32 0x43800000, v6
	s_cbranch_execz .LBB304_307
; %bb.302:
	v_cmp_lt_u32_e32 vcc_lo, 0x3bffffff, v6
	s_mov_b32 s20, 0
                                        ; implicit-def: $vgpr6
	s_and_saveexec_b32 s22, vcc_lo
	s_delay_alu instid0(SALU_CYCLE_1)
	s_xor_b32 s22, exec_lo, s22
	s_cbranch_execz .LBB304_516
; %bb.303:
	v_bfe_u32 v6, v5, 20, 1
	s_mov_b32 s20, exec_lo
	s_delay_alu instid0(VALU_DEP_1) | instskip(NEXT) | instid1(VALU_DEP_1)
	v_add3_u32 v6, v5, v6, 0x487ffff
	v_lshrrev_b32_e32 v6, 20, v6
	s_or_saveexec_b32 s22, s22
                                        ; implicit-def: $sgpr23
	s_delay_alu instid0(SALU_CYCLE_1)
	s_xor_b32 exec_lo, exec_lo, s22
	s_cbranch_execnz .LBB304_517
.LBB304_304:
	s_or_b32 exec_lo, exec_lo, s22
	v_mov_b32_e32 v7, s23
	s_and_saveexec_b32 s22, s20
.LBB304_305:
	v_lshrrev_b32_e32 v5, 24, v5
	s_delay_alu instid0(VALU_DEP_1)
	v_and_or_b32 v7, 0x80, v5, v6
.LBB304_306:
	s_or_b32 exec_lo, exec_lo, s22
.LBB304_307:
	s_delay_alu instid0(SALU_CYCLE_1)
	s_or_b32 exec_lo, exec_lo, s1
	global_store_b8 v[2:3], v7, off
.LBB304_308:
	s_mov_b32 s1, -1
.LBB304_309:
	s_mov_b32 s20, 0
.LBB304_310:
	s_delay_alu instid0(SALU_CYCLE_1)
	s_and_b32 vcc_lo, exec_lo, s20
	s_cbranch_vccz .LBB304_351
; %bb.311:
	v_cmp_lt_i16_e32 vcc_lo, 22, v4
	s_mov_b32 s20, -1
	s_cbranch_vccz .LBB304_343
; %bb.312:
	v_cmp_gt_i16_e32 vcc_lo, 24, v4
	s_mov_b32 s1, -1
	s_cbranch_vccnz .LBB304_332
; %bb.313:
	v_cmp_lt_i16_e32 vcc_lo, 24, v4
	s_cbranch_vccz .LBB304_321
; %bb.314:
	v_xor_b32_e32 v5, v0, v1
	v_cls_i32_e32 v6, v1
	s_mov_b32 s1, exec_lo
	s_delay_alu instid0(VALU_DEP_2) | instskip(NEXT) | instid1(VALU_DEP_2)
	v_ashrrev_i32_e32 v5, 31, v5
	v_add_nc_u32_e32 v6, -1, v6
	s_delay_alu instid0(VALU_DEP_2) | instskip(NEXT) | instid1(VALU_DEP_1)
	v_add_nc_u32_e32 v5, 32, v5
	v_min_u32_e32 v7, v6, v5
	s_delay_alu instid0(VALU_DEP_1) | instskip(NEXT) | instid1(VALU_DEP_1)
	v_lshlrev_b64 v[5:6], v7, v[0:1]
	v_min_u32_e32 v5, 1, v5
	s_delay_alu instid0(VALU_DEP_1) | instskip(SKIP_2) | instid1(VALU_DEP_3)
	v_or_b32_e32 v5, v6, v5
	v_sub_nc_u32_e32 v6, 32, v7
	v_mov_b32_e32 v7, 0x80
	v_cvt_f32_i32_e32 v5, v5
	s_delay_alu instid0(VALU_DEP_1) | instskip(NEXT) | instid1(VALU_DEP_1)
	v_ldexp_f32 v5, v5, v6
	v_and_b32_e32 v6, 0x7fffffff, v5
	s_delay_alu instid0(VALU_DEP_1)
	v_cmpx_gt_u32_e32 0x47800000, v6
	s_cbranch_execz .LBB304_320
; %bb.315:
	v_cmp_lt_u32_e32 vcc_lo, 0x37ffffff, v6
	s_mov_b32 s20, 0
                                        ; implicit-def: $vgpr6
	s_and_saveexec_b32 s22, vcc_lo
	s_delay_alu instid0(SALU_CYCLE_1)
	s_xor_b32 s22, exec_lo, s22
	s_cbranch_execz .LBB304_519
; %bb.316:
	v_bfe_u32 v6, v5, 21, 1
	s_mov_b32 s20, exec_lo
	s_delay_alu instid0(VALU_DEP_1) | instskip(NEXT) | instid1(VALU_DEP_1)
	v_add3_u32 v6, v5, v6, 0x88fffff
	v_lshrrev_b32_e32 v6, 21, v6
	s_or_saveexec_b32 s22, s22
                                        ; implicit-def: $sgpr23
	s_delay_alu instid0(SALU_CYCLE_1)
	s_xor_b32 exec_lo, exec_lo, s22
	s_cbranch_execnz .LBB304_520
.LBB304_317:
	s_or_b32 exec_lo, exec_lo, s22
	v_mov_b32_e32 v7, s23
	s_and_saveexec_b32 s22, s20
.LBB304_318:
	v_lshrrev_b32_e32 v5, 24, v5
	s_delay_alu instid0(VALU_DEP_1)
	v_and_or_b32 v7, 0x80, v5, v6
.LBB304_319:
	s_or_b32 exec_lo, exec_lo, s22
.LBB304_320:
	s_delay_alu instid0(SALU_CYCLE_1)
	s_or_b32 exec_lo, exec_lo, s1
	s_mov_b32 s1, 0
	global_store_b8 v[2:3], v7, off
.LBB304_321:
	s_and_b32 vcc_lo, exec_lo, s1
	s_cbranch_vccz .LBB304_331
; %bb.322:
	v_xor_b32_e32 v5, v0, v1
	v_cls_i32_e32 v6, v1
	s_mov_b32 s1, exec_lo
	s_delay_alu instid0(VALU_DEP_2) | instskip(NEXT) | instid1(VALU_DEP_2)
	v_ashrrev_i32_e32 v5, 31, v5
	v_add_nc_u32_e32 v6, -1, v6
	s_delay_alu instid0(VALU_DEP_2) | instskip(NEXT) | instid1(VALU_DEP_1)
	v_add_nc_u32_e32 v5, 32, v5
	v_min_u32_e32 v7, v6, v5
	s_delay_alu instid0(VALU_DEP_1) | instskip(NEXT) | instid1(VALU_DEP_1)
	v_lshlrev_b64 v[5:6], v7, v[0:1]
	v_min_u32_e32 v5, 1, v5
	s_delay_alu instid0(VALU_DEP_1) | instskip(SKIP_1) | instid1(VALU_DEP_2)
	v_or_b32_e32 v5, v6, v5
	v_sub_nc_u32_e32 v6, 32, v7
	v_cvt_f32_i32_e32 v5, v5
	s_delay_alu instid0(VALU_DEP_1) | instskip(NEXT) | instid1(VALU_DEP_1)
	v_ldexp_f32 v5, v5, v6
                                        ; implicit-def: $vgpr6
	v_and_b32_e32 v7, 0x7fffffff, v5
	s_delay_alu instid0(VALU_DEP_1)
	v_cmpx_gt_u32_e32 0x43f00000, v7
	s_xor_b32 s1, exec_lo, s1
	s_cbranch_execz .LBB304_328
; %bb.323:
	s_mov_b32 s20, exec_lo
                                        ; implicit-def: $vgpr6
	v_cmpx_lt_u32_e32 0x3c7fffff, v7
	s_xor_b32 s20, exec_lo, s20
; %bb.324:
	v_bfe_u32 v6, v5, 20, 1
	s_delay_alu instid0(VALU_DEP_1) | instskip(NEXT) | instid1(VALU_DEP_1)
	v_add3_u32 v6, v5, v6, 0x407ffff
	v_and_b32_e32 v7, 0xff00000, v6
	v_lshrrev_b32_e32 v6, 20, v6
	s_delay_alu instid0(VALU_DEP_2) | instskip(NEXT) | instid1(VALU_DEP_2)
	v_cmp_ne_u32_e32 vcc_lo, 0x7f00000, v7
	v_cndmask_b32_e32 v6, 0x7e, v6, vcc_lo
; %bb.325:
	s_and_not1_saveexec_b32 s20, s20
; %bb.326:
	v_add_f32_e64 v6, 0x46800000, |v5|
; %bb.327:
	s_or_b32 exec_lo, exec_lo, s20
                                        ; implicit-def: $vgpr7
.LBB304_328:
	s_and_not1_saveexec_b32 s1, s1
; %bb.329:
	v_mov_b32_e32 v6, 0x7f
	v_cmp_lt_u32_e32 vcc_lo, 0x7f800000, v7
	s_delay_alu instid0(VALU_DEP_2)
	v_cndmask_b32_e32 v6, 0x7e, v6, vcc_lo
; %bb.330:
	s_or_b32 exec_lo, exec_lo, s1
	v_lshrrev_b32_e32 v5, 24, v5
	s_delay_alu instid0(VALU_DEP_1)
	v_and_or_b32 v5, 0x80, v5, v6
	global_store_b8 v[2:3], v5, off
.LBB304_331:
	s_mov_b32 s1, 0
.LBB304_332:
	s_delay_alu instid0(SALU_CYCLE_1)
	s_and_not1_b32 vcc_lo, exec_lo, s1
	s_cbranch_vccnz .LBB304_342
; %bb.333:
	v_xor_b32_e32 v5, v0, v1
	v_cls_i32_e32 v6, v1
	s_mov_b32 s1, exec_lo
	s_delay_alu instid0(VALU_DEP_2) | instskip(NEXT) | instid1(VALU_DEP_2)
	v_ashrrev_i32_e32 v5, 31, v5
	v_add_nc_u32_e32 v6, -1, v6
	s_delay_alu instid0(VALU_DEP_2) | instskip(NEXT) | instid1(VALU_DEP_1)
	v_add_nc_u32_e32 v5, 32, v5
	v_min_u32_e32 v7, v6, v5
	s_delay_alu instid0(VALU_DEP_1) | instskip(NEXT) | instid1(VALU_DEP_1)
	v_lshlrev_b64 v[5:6], v7, v[0:1]
	v_min_u32_e32 v5, 1, v5
	s_delay_alu instid0(VALU_DEP_1) | instskip(SKIP_1) | instid1(VALU_DEP_2)
	v_or_b32_e32 v5, v6, v5
	v_sub_nc_u32_e32 v6, 32, v7
	v_cvt_f32_i32_e32 v5, v5
	s_delay_alu instid0(VALU_DEP_1) | instskip(NEXT) | instid1(VALU_DEP_1)
	v_ldexp_f32 v5, v5, v6
                                        ; implicit-def: $vgpr6
	v_and_b32_e32 v7, 0x7fffffff, v5
	s_delay_alu instid0(VALU_DEP_1)
	v_cmpx_gt_u32_e32 0x47800000, v7
	s_xor_b32 s1, exec_lo, s1
	s_cbranch_execz .LBB304_339
; %bb.334:
	s_mov_b32 s20, exec_lo
                                        ; implicit-def: $vgpr6
	v_cmpx_lt_u32_e32 0x387fffff, v7
	s_xor_b32 s20, exec_lo, s20
; %bb.335:
	v_bfe_u32 v6, v5, 21, 1
	s_delay_alu instid0(VALU_DEP_1) | instskip(NEXT) | instid1(VALU_DEP_1)
	v_add3_u32 v6, v5, v6, 0x80fffff
	v_lshrrev_b32_e32 v6, 21, v6
; %bb.336:
	s_and_not1_saveexec_b32 s20, s20
; %bb.337:
	v_add_f32_e64 v6, 0x43000000, |v5|
; %bb.338:
	s_or_b32 exec_lo, exec_lo, s20
                                        ; implicit-def: $vgpr7
.LBB304_339:
	s_and_not1_saveexec_b32 s1, s1
; %bb.340:
	v_mov_b32_e32 v6, 0x7f
	v_cmp_lt_u32_e32 vcc_lo, 0x7f800000, v7
	s_delay_alu instid0(VALU_DEP_2)
	v_cndmask_b32_e32 v6, 0x7c, v6, vcc_lo
; %bb.341:
	s_or_b32 exec_lo, exec_lo, s1
	v_lshrrev_b32_e32 v5, 24, v5
	s_delay_alu instid0(VALU_DEP_1)
	v_and_or_b32 v5, 0x80, v5, v6
	global_store_b8 v[2:3], v5, off
.LBB304_342:
	s_mov_b32 s20, 0
	s_mov_b32 s1, -1
.LBB304_343:
	s_and_not1_b32 vcc_lo, exec_lo, s20
	s_cbranch_vccnz .LBB304_351
; %bb.344:
	v_cmp_lt_i16_e32 vcc_lo, 14, v4
	s_mov_b32 s20, -1
	s_cbranch_vccz .LBB304_348
; %bb.345:
	v_cmp_eq_u16_e32 vcc_lo, 15, v4
	s_mov_b32 s0, -1
	s_cbranch_vccz .LBB304_347
; %bb.346:
	v_xor_b32_e32 v5, v0, v1
	v_cls_i32_e32 v6, v1
	s_mov_b32 s1, -1
	s_mov_b32 s0, 0
	s_delay_alu instid0(VALU_DEP_2) | instskip(NEXT) | instid1(VALU_DEP_2)
	v_ashrrev_i32_e32 v5, 31, v5
	v_add_nc_u32_e32 v6, -1, v6
	s_delay_alu instid0(VALU_DEP_2) | instskip(NEXT) | instid1(VALU_DEP_1)
	v_add_nc_u32_e32 v5, 32, v5
	v_min_u32_e32 v7, v6, v5
	s_delay_alu instid0(VALU_DEP_1) | instskip(NEXT) | instid1(VALU_DEP_1)
	v_lshlrev_b64 v[5:6], v7, v[0:1]
	v_min_u32_e32 v5, 1, v5
	s_delay_alu instid0(VALU_DEP_1) | instskip(SKIP_1) | instid1(VALU_DEP_2)
	v_or_b32_e32 v5, v6, v5
	v_sub_nc_u32_e32 v6, 32, v7
	v_cvt_f32_i32_e32 v5, v5
	s_delay_alu instid0(VALU_DEP_1) | instskip(NEXT) | instid1(VALU_DEP_1)
	v_ldexp_f32 v5, v5, v6
	v_bfe_u32 v6, v5, 16, 1
	s_delay_alu instid0(VALU_DEP_1)
	v_add3_u32 v5, v5, v6, 0x7fff
	global_store_d16_hi_b16 v[2:3], v5, off
.LBB304_347:
	s_mov_b32 s20, 0
.LBB304_348:
	s_delay_alu instid0(SALU_CYCLE_1)
	s_and_b32 vcc_lo, exec_lo, s20
	s_cbranch_vccz .LBB304_351
; %bb.349:
	v_cmp_eq_u16_e32 vcc_lo, 11, v4
	s_mov_b32 s0, -1
	s_cbranch_vccz .LBB304_351
; %bb.350:
	v_cmp_ne_u64_e32 vcc_lo, 0, v[0:1]
	s_mov_b32 s1, -1
	s_mov_b32 s0, 0
	v_cndmask_b32_e64 v5, 0, 1, vcc_lo
	global_store_b8 v[2:3], v5, off
.LBB304_351:
	s_mov_b32 s20, 0
.LBB304_352:
	s_delay_alu instid0(SALU_CYCLE_1)
	s_and_b32 vcc_lo, exec_lo, s20
	s_cbranch_vccz .LBB304_391
; %bb.353:
	v_cmp_gt_i16_e32 vcc_lo, 5, v4
	s_mov_b32 s1, -1
	s_cbranch_vccnz .LBB304_374
; %bb.354:
	v_cmp_gt_i16_e32 vcc_lo, 8, v4
	s_cbranch_vccnz .LBB304_364
; %bb.355:
	v_cmp_gt_i16_e32 vcc_lo, 9, v4
	s_cbranch_vccnz .LBB304_361
; %bb.356:
	v_cmp_lt_i16_e32 vcc_lo, 9, v4
	s_cbranch_vccz .LBB304_358
; %bb.357:
	v_cvt_f64_i32_e32 v[5:6], v1
	v_cvt_f64_u32_e32 v[7:8], v0
	s_mov_b32 s1, 0
	s_delay_alu instid0(VALU_DEP_2) | instskip(NEXT) | instid1(VALU_DEP_1)
	v_ldexp_f64 v[5:6], v[5:6], 32
	v_add_f64 v[5:6], v[5:6], v[7:8]
	v_mov_b32_e32 v7, 0
	s_delay_alu instid0(VALU_DEP_1)
	v_mov_b32_e32 v8, v7
	global_store_b128 v[2:3], v[5:8], off
.LBB304_358:
	s_and_not1_b32 vcc_lo, exec_lo, s1
	s_cbranch_vccnz .LBB304_360
; %bb.359:
	v_xor_b32_e32 v5, v0, v1
	v_cls_i32_e32 v6, v1
	s_delay_alu instid0(VALU_DEP_2) | instskip(NEXT) | instid1(VALU_DEP_2)
	v_ashrrev_i32_e32 v5, 31, v5
	v_add_nc_u32_e32 v6, -1, v6
	s_delay_alu instid0(VALU_DEP_2) | instskip(NEXT) | instid1(VALU_DEP_1)
	v_add_nc_u32_e32 v5, 32, v5
	v_min_u32_e32 v7, v6, v5
	s_delay_alu instid0(VALU_DEP_1) | instskip(NEXT) | instid1(VALU_DEP_1)
	v_lshlrev_b64 v[5:6], v7, v[0:1]
	v_min_u32_e32 v5, 1, v5
	s_delay_alu instid0(VALU_DEP_1) | instskip(SKIP_1) | instid1(VALU_DEP_2)
	v_or_b32_e32 v5, v6, v5
	v_sub_nc_u32_e32 v6, 32, v7
	v_cvt_f32_i32_e32 v5, v5
	s_delay_alu instid0(VALU_DEP_1)
	v_ldexp_f32 v5, v5, v6
	v_mov_b32_e32 v6, 0
	global_store_b64 v[2:3], v[5:6], off
.LBB304_360:
	s_mov_b32 s1, 0
.LBB304_361:
	s_delay_alu instid0(SALU_CYCLE_1)
	s_and_not1_b32 vcc_lo, exec_lo, s1
	s_cbranch_vccnz .LBB304_363
; %bb.362:
	v_xor_b32_e32 v5, v0, v1
	v_cls_i32_e32 v6, v1
	s_delay_alu instid0(VALU_DEP_2) | instskip(NEXT) | instid1(VALU_DEP_2)
	v_ashrrev_i32_e32 v5, 31, v5
	v_add_nc_u32_e32 v6, -1, v6
	s_delay_alu instid0(VALU_DEP_2) | instskip(NEXT) | instid1(VALU_DEP_1)
	v_add_nc_u32_e32 v5, 32, v5
	v_min_u32_e32 v7, v6, v5
	s_delay_alu instid0(VALU_DEP_1) | instskip(NEXT) | instid1(VALU_DEP_1)
	v_lshlrev_b64 v[5:6], v7, v[0:1]
	v_min_u32_e32 v5, 1, v5
	s_delay_alu instid0(VALU_DEP_1) | instskip(SKIP_1) | instid1(VALU_DEP_2)
	v_or_b32_e32 v5, v6, v5
	v_sub_nc_u32_e32 v6, 32, v7
	v_cvt_f32_i32_e32 v5, v5
	s_delay_alu instid0(VALU_DEP_1) | instskip(NEXT) | instid1(VALU_DEP_1)
	v_ldexp_f32 v5, v5, v6
	v_cvt_f16_f32_e32 v5, v5
	s_delay_alu instid0(VALU_DEP_1)
	v_and_b32_e32 v5, 0xffff, v5
	global_store_b32 v[2:3], v5, off
.LBB304_363:
	s_mov_b32 s1, 0
.LBB304_364:
	s_delay_alu instid0(SALU_CYCLE_1)
	s_and_not1_b32 vcc_lo, exec_lo, s1
	s_cbranch_vccnz .LBB304_373
; %bb.365:
	v_cmp_gt_i16_e32 vcc_lo, 6, v4
	s_mov_b32 s1, -1
	s_cbranch_vccnz .LBB304_371
; %bb.366:
	v_cmp_lt_i16_e32 vcc_lo, 6, v4
	s_cbranch_vccz .LBB304_368
; %bb.367:
	v_cvt_f64_i32_e32 v[5:6], v1
	v_cvt_f64_u32_e32 v[7:8], v0
	s_mov_b32 s1, 0
	s_delay_alu instid0(VALU_DEP_2) | instskip(NEXT) | instid1(VALU_DEP_1)
	v_ldexp_f64 v[5:6], v[5:6], 32
	v_add_f64 v[5:6], v[5:6], v[7:8]
	global_store_b64 v[2:3], v[5:6], off
.LBB304_368:
	s_and_not1_b32 vcc_lo, exec_lo, s1
	s_cbranch_vccnz .LBB304_370
; %bb.369:
	v_xor_b32_e32 v5, v0, v1
	v_cls_i32_e32 v6, v1
	s_delay_alu instid0(VALU_DEP_2) | instskip(NEXT) | instid1(VALU_DEP_2)
	v_ashrrev_i32_e32 v5, 31, v5
	v_add_nc_u32_e32 v6, -1, v6
	s_delay_alu instid0(VALU_DEP_2) | instskip(NEXT) | instid1(VALU_DEP_1)
	v_add_nc_u32_e32 v5, 32, v5
	v_min_u32_e32 v7, v6, v5
	s_delay_alu instid0(VALU_DEP_1) | instskip(NEXT) | instid1(VALU_DEP_1)
	v_lshlrev_b64 v[5:6], v7, v[0:1]
	v_min_u32_e32 v5, 1, v5
	s_delay_alu instid0(VALU_DEP_1) | instskip(SKIP_1) | instid1(VALU_DEP_2)
	v_or_b32_e32 v5, v6, v5
	v_sub_nc_u32_e32 v6, 32, v7
	v_cvt_f32_i32_e32 v5, v5
	s_delay_alu instid0(VALU_DEP_1)
	v_ldexp_f32 v5, v5, v6
	global_store_b32 v[2:3], v5, off
.LBB304_370:
	s_mov_b32 s1, 0
.LBB304_371:
	s_delay_alu instid0(SALU_CYCLE_1)
	s_and_not1_b32 vcc_lo, exec_lo, s1
	s_cbranch_vccnz .LBB304_373
; %bb.372:
	v_xor_b32_e32 v5, v0, v1
	v_cls_i32_e32 v6, v1
	s_delay_alu instid0(VALU_DEP_2) | instskip(NEXT) | instid1(VALU_DEP_2)
	v_ashrrev_i32_e32 v5, 31, v5
	v_add_nc_u32_e32 v6, -1, v6
	s_delay_alu instid0(VALU_DEP_2) | instskip(NEXT) | instid1(VALU_DEP_1)
	v_add_nc_u32_e32 v5, 32, v5
	v_min_u32_e32 v7, v6, v5
	s_delay_alu instid0(VALU_DEP_1) | instskip(NEXT) | instid1(VALU_DEP_1)
	v_lshlrev_b64 v[5:6], v7, v[0:1]
	v_min_u32_e32 v5, 1, v5
	s_delay_alu instid0(VALU_DEP_1) | instskip(SKIP_1) | instid1(VALU_DEP_2)
	v_or_b32_e32 v5, v6, v5
	v_sub_nc_u32_e32 v6, 32, v7
	v_cvt_f32_i32_e32 v5, v5
	s_delay_alu instid0(VALU_DEP_1) | instskip(NEXT) | instid1(VALU_DEP_1)
	v_ldexp_f32 v5, v5, v6
	v_cvt_f16_f32_e32 v5, v5
	global_store_b16 v[2:3], v5, off
.LBB304_373:
	s_mov_b32 s1, 0
.LBB304_374:
	s_delay_alu instid0(SALU_CYCLE_1)
	s_and_not1_b32 vcc_lo, exec_lo, s1
	s_cbranch_vccnz .LBB304_390
; %bb.375:
	v_cmp_gt_i16_e32 vcc_lo, 2, v4
	s_mov_b32 s1, -1
	s_cbranch_vccnz .LBB304_385
; %bb.376:
	v_cmp_gt_i16_e32 vcc_lo, 3, v4
	s_cbranch_vccnz .LBB304_382
; %bb.377:
	v_cmp_lt_i16_e32 vcc_lo, 3, v4
	s_cbranch_vccz .LBB304_379
; %bb.378:
	s_mov_b32 s1, 0
	global_store_b64 v[2:3], v[0:1], off
.LBB304_379:
	s_and_not1_b32 vcc_lo, exec_lo, s1
	s_cbranch_vccnz .LBB304_381
; %bb.380:
	global_store_b32 v[2:3], v0, off
.LBB304_381:
	s_mov_b32 s1, 0
.LBB304_382:
	s_delay_alu instid0(SALU_CYCLE_1)
	s_and_not1_b32 vcc_lo, exec_lo, s1
	s_cbranch_vccnz .LBB304_384
; %bb.383:
	global_store_b16 v[2:3], v0, off
.LBB304_384:
	s_mov_b32 s1, 0
.LBB304_385:
	s_delay_alu instid0(SALU_CYCLE_1)
	s_and_not1_b32 vcc_lo, exec_lo, s1
	s_cbranch_vccnz .LBB304_390
; %bb.386:
	v_cmp_lt_i16_e32 vcc_lo, 0, v4
	s_mov_b32 s1, -1
	s_cbranch_vccz .LBB304_388
; %bb.387:
	s_mov_b32 s1, 0
	global_store_b8 v[2:3], v0, off
.LBB304_388:
	s_and_not1_b32 vcc_lo, exec_lo, s1
	s_cbranch_vccnz .LBB304_390
; %bb.389:
	global_store_b8 v[2:3], v0, off
.LBB304_390:
	s_mov_b32 s1, -1
.LBB304_391:
	s_delay_alu instid0(SALU_CYCLE_1)
	s_and_not1_b32 vcc_lo, exec_lo, s1
	s_cbranch_vccnz .LBB304_393
; %bb.392:
	v_add_nc_u32_e32 v10, 0x80, v10
	s_mov_b32 s1, -1
	s_branch .LBB304_502
.LBB304_393:
	s_mov_b32 s1, 0
	s_branch .LBB304_501
.LBB304_394:
	s_mov_b32 s19, -1
                                        ; implicit-def: $vgpr2_vgpr3
.LBB304_395:
	s_mov_b32 s1, 0
.LBB304_396:
	s_delay_alu instid0(SALU_CYCLE_1)
	s_and_b32 vcc_lo, exec_lo, s1
	s_cbranch_vccz .LBB304_400
; %bb.397:
	v_cmp_eq_u16_e32 vcc_lo, 29, v11
	s_cbranch_vccz .LBB304_399
; %bb.398:
	global_load_b64 v[2:3], v[0:1], off
	s_mov_b32 s0, -1
	s_mov_b32 s19, 0
	s_branch .LBB304_400
.LBB304_399:
	s_mov_b32 s19, -1
                                        ; implicit-def: $vgpr2_vgpr3
.LBB304_400:
	s_mov_b32 s1, 0
.LBB304_401:
	s_delay_alu instid0(SALU_CYCLE_1)
	s_and_b32 vcc_lo, exec_lo, s1
	s_cbranch_vccz .LBB304_419
; %bb.402:
	v_cmp_gt_i16_e32 vcc_lo, 27, v11
	s_cbranch_vccnz .LBB304_405
; %bb.403:
	v_cmp_lt_i16_e32 vcc_lo, 27, v11
	s_cbranch_vccz .LBB304_406
; %bb.404:
	global_load_b32 v2, v[0:1], off
	s_waitcnt vmcnt(1)
	v_mov_b32_e32 v3, 0
	s_mov_b32 s0, 0
	s_branch .LBB304_407
.LBB304_405:
	s_mov_b32 s0, -1
                                        ; implicit-def: $vgpr2_vgpr3
	s_branch .LBB304_410
.LBB304_406:
	s_mov_b32 s0, -1
                                        ; implicit-def: $vgpr2_vgpr3
.LBB304_407:
	s_delay_alu instid0(SALU_CYCLE_1)
	s_and_not1_b32 vcc_lo, exec_lo, s0
	s_cbranch_vccnz .LBB304_409
; %bb.408:
	global_load_u16 v2, v[0:1], off
	s_mov_b32 s0, 0
	s_waitcnt vmcnt(0)
	v_dual_mov_b32 v3, s0 :: v_dual_and_b32 v2, 0xffff, v2
.LBB304_409:
	s_mov_b32 s0, 0
.LBB304_410:
	s_delay_alu instid0(SALU_CYCLE_1)
	s_and_not1_b32 vcc_lo, exec_lo, s0
	s_cbranch_vccnz .LBB304_418
; %bb.411:
	global_load_u8 v4, v[0:1], off
	s_mov_b32 s20, 0
	s_mov_b32 s22, exec_lo
                                        ; implicit-def: $sgpr0_sgpr1
	s_waitcnt vmcnt(0)
	v_cmpx_lt_i16_e32 0x7f, v4
	s_xor_b32 s22, exec_lo, s22
; %bb.412:
	v_cmp_ne_u16_e32 vcc_lo, 0x80, v4
	s_mov_b64 s[0:1], 0
	s_and_b32 s20, vcc_lo, exec_lo
; %bb.413:
	s_or_saveexec_b32 s22, s22
	v_dual_mov_b32 v3, s1 :: v_dual_mov_b32 v2, s0
	s_xor_b32 exec_lo, exec_lo, s22
; %bb.414:
	v_cmp_ne_u16_e32 vcc_lo, 0, v4
	v_mov_b32_e32 v2, 0
	v_mov_b32_e32 v3, 0
	s_and_not1_b32 s0, s20, exec_lo
	s_and_b32 s1, vcc_lo, exec_lo
	s_delay_alu instid0(SALU_CYCLE_1)
	s_or_b32 s20, s0, s1
; %bb.415:
	s_or_b32 exec_lo, exec_lo, s22
	s_and_saveexec_b32 s0, s20
	s_cbranch_execz .LBB304_417
; %bb.416:
	v_and_b32_e32 v2, 0xffff, v4
	v_lshlrev_b32_e32 v4, 24, v4
	s_delay_alu instid0(VALU_DEP_2) | instskip(NEXT) | instid1(VALU_DEP_2)
	v_and_b32_e32 v3, 7, v2
	v_and_b32_e32 v4, 0x80000000, v4
	s_delay_alu instid0(VALU_DEP_2) | instskip(NEXT) | instid1(VALU_DEP_1)
	v_clz_i32_u32_e32 v5, v3
	v_min_u32_e32 v5, 32, v5
	s_delay_alu instid0(VALU_DEP_1) | instskip(SKIP_1) | instid1(VALU_DEP_2)
	v_subrev_nc_u32_e32 v6, 28, v5
	v_sub_nc_u32_e32 v5, 29, v5
	v_lshlrev_b32_e32 v6, v6, v2
	v_bfe_u32 v2, v2, 3, 4
	s_delay_alu instid0(VALU_DEP_2) | instskip(NEXT) | instid1(VALU_DEP_2)
	v_and_b32_e32 v6, 7, v6
	v_cmp_eq_u32_e32 vcc_lo, 0, v2
	s_delay_alu instid0(VALU_DEP_2) | instskip(NEXT) | instid1(VALU_DEP_1)
	v_dual_cndmask_b32 v2, v2, v5 :: v_dual_cndmask_b32 v3, v3, v6
	v_lshl_add_u32 v2, v2, 23, 0x3b800000
	s_delay_alu instid0(VALU_DEP_2) | instskip(NEXT) | instid1(VALU_DEP_1)
	v_lshlrev_b32_e32 v3, 20, v3
	v_or3_b32 v2, v4, v2, v3
	s_delay_alu instid0(VALU_DEP_1) | instskip(NEXT) | instid1(VALU_DEP_1)
	v_trunc_f32_e32 v2, v2
	v_mul_f32_e64 v3, 0x2f800000, |v2|
	v_ashrrev_i32_e32 v5, 31, v2
	s_delay_alu instid0(VALU_DEP_2) | instskip(NEXT) | instid1(VALU_DEP_1)
	v_floor_f32_e32 v3, v3
	v_fma_f32 v4, 0xcf800000, v3, |v2|
	v_cvt_u32_f32_e32 v3, v3
	s_delay_alu instid0(VALU_DEP_2) | instskip(NEXT) | instid1(VALU_DEP_2)
	v_cvt_u32_f32_e32 v2, v4
	v_xor_b32_e32 v3, v3, v5
	s_delay_alu instid0(VALU_DEP_2) | instskip(NEXT) | instid1(VALU_DEP_1)
	v_xor_b32_e32 v2, v2, v5
	v_sub_co_u32 v2, vcc_lo, v2, v5
	s_delay_alu instid0(VALU_DEP_3)
	v_sub_co_ci_u32_e32 v3, vcc_lo, v3, v5, vcc_lo
.LBB304_417:
	s_or_b32 exec_lo, exec_lo, s0
.LBB304_418:
	s_mov_b32 s0, -1
.LBB304_419:
	s_mov_b32 s1, 0
.LBB304_420:
	s_delay_alu instid0(SALU_CYCLE_1)
	s_and_b32 vcc_lo, exec_lo, s1
	s_cbranch_vccz .LBB304_451
; %bb.421:
	v_cmp_lt_i16_e32 vcc_lo, 22, v11
	s_cbranch_vccz .LBB304_431
; %bb.422:
	v_cmp_gt_i16_e32 vcc_lo, 24, v11
	s_cbranch_vccnz .LBB304_432
; %bb.423:
	v_cmp_lt_i16_e32 vcc_lo, 24, v11
	s_cbranch_vccz .LBB304_433
; %bb.424:
	global_load_u8 v4, v[0:1], off
	s_mov_b32 s20, 0
	s_mov_b32 s22, exec_lo
                                        ; implicit-def: $sgpr0_sgpr1
	s_waitcnt vmcnt(0)
	v_cmpx_lt_i16_e32 0x7f, v4
	s_xor_b32 s22, exec_lo, s22
; %bb.425:
	v_cmp_ne_u16_e32 vcc_lo, 0x80, v4
	s_mov_b64 s[0:1], 0
	s_and_b32 s20, vcc_lo, exec_lo
; %bb.426:
	s_or_saveexec_b32 s22, s22
	v_dual_mov_b32 v3, s1 :: v_dual_mov_b32 v2, s0
	s_xor_b32 exec_lo, exec_lo, s22
; %bb.427:
	v_cmp_ne_u16_e32 vcc_lo, 0, v4
	v_mov_b32_e32 v2, 0
	v_mov_b32_e32 v3, 0
	s_and_not1_b32 s0, s20, exec_lo
	s_and_b32 s1, vcc_lo, exec_lo
	s_delay_alu instid0(SALU_CYCLE_1)
	s_or_b32 s20, s0, s1
; %bb.428:
	s_or_b32 exec_lo, exec_lo, s22
	s_and_saveexec_b32 s0, s20
	s_cbranch_execz .LBB304_430
; %bb.429:
	v_and_b32_e32 v2, 0xffff, v4
	v_lshlrev_b32_e32 v4, 24, v4
	s_delay_alu instid0(VALU_DEP_2) | instskip(NEXT) | instid1(VALU_DEP_2)
	v_and_b32_e32 v3, 3, v2
	v_and_b32_e32 v4, 0x80000000, v4
	s_delay_alu instid0(VALU_DEP_2) | instskip(NEXT) | instid1(VALU_DEP_1)
	v_clz_i32_u32_e32 v5, v3
	v_min_u32_e32 v5, 32, v5
	s_delay_alu instid0(VALU_DEP_1) | instskip(SKIP_1) | instid1(VALU_DEP_2)
	v_subrev_nc_u32_e32 v6, 29, v5
	v_sub_nc_u32_e32 v5, 30, v5
	v_lshlrev_b32_e32 v6, v6, v2
	v_bfe_u32 v2, v2, 2, 5
	s_delay_alu instid0(VALU_DEP_2) | instskip(NEXT) | instid1(VALU_DEP_2)
	v_and_b32_e32 v6, 3, v6
	v_cmp_eq_u32_e32 vcc_lo, 0, v2
	s_delay_alu instid0(VALU_DEP_2) | instskip(NEXT) | instid1(VALU_DEP_1)
	v_dual_cndmask_b32 v2, v2, v5 :: v_dual_cndmask_b32 v3, v3, v6
	v_lshl_add_u32 v2, v2, 23, 0x37800000
	s_delay_alu instid0(VALU_DEP_2) | instskip(NEXT) | instid1(VALU_DEP_1)
	v_lshlrev_b32_e32 v3, 21, v3
	v_or3_b32 v2, v4, v2, v3
	s_delay_alu instid0(VALU_DEP_1) | instskip(NEXT) | instid1(VALU_DEP_1)
	v_trunc_f32_e32 v2, v2
	v_mul_f32_e64 v3, 0x2f800000, |v2|
	v_ashrrev_i32_e32 v5, 31, v2
	s_delay_alu instid0(VALU_DEP_2) | instskip(NEXT) | instid1(VALU_DEP_1)
	v_floor_f32_e32 v3, v3
	v_fma_f32 v4, 0xcf800000, v3, |v2|
	v_cvt_u32_f32_e32 v3, v3
	s_delay_alu instid0(VALU_DEP_2) | instskip(NEXT) | instid1(VALU_DEP_2)
	v_cvt_u32_f32_e32 v2, v4
	v_xor_b32_e32 v3, v3, v5
	s_delay_alu instid0(VALU_DEP_2) | instskip(NEXT) | instid1(VALU_DEP_1)
	v_xor_b32_e32 v2, v2, v5
	v_sub_co_u32 v2, vcc_lo, v2, v5
	s_delay_alu instid0(VALU_DEP_3)
	v_sub_co_ci_u32_e32 v3, vcc_lo, v3, v5, vcc_lo
.LBB304_430:
	s_or_b32 exec_lo, exec_lo, s0
	s_mov_b32 s0, 0
	s_branch .LBB304_434
.LBB304_431:
	s_mov_b32 s1, -1
                                        ; implicit-def: $vgpr2_vgpr3
	s_branch .LBB304_440
.LBB304_432:
	s_mov_b32 s0, -1
                                        ; implicit-def: $vgpr2_vgpr3
	s_branch .LBB304_437
.LBB304_433:
	s_mov_b32 s0, -1
                                        ; implicit-def: $vgpr2_vgpr3
.LBB304_434:
	s_delay_alu instid0(SALU_CYCLE_1)
	s_and_b32 vcc_lo, exec_lo, s0
	s_cbranch_vccz .LBB304_436
; %bb.435:
	global_load_u8 v2, v[0:1], off
	s_waitcnt vmcnt(0)
	v_lshlrev_b32_e32 v2, 24, v2
	s_delay_alu instid0(VALU_DEP_1) | instskip(NEXT) | instid1(VALU_DEP_1)
	v_and_b32_e32 v3, 0x7f000000, v2
	v_clz_i32_u32_e32 v4, v3
	v_add_nc_u32_e32 v6, 0x1000000, v3
	v_cmp_ne_u32_e32 vcc_lo, 0, v3
	s_delay_alu instid0(VALU_DEP_3) | instskip(NEXT) | instid1(VALU_DEP_1)
	v_min_u32_e32 v4, 32, v4
	v_sub_nc_u32_e64 v4, v4, 4 clamp
	s_delay_alu instid0(VALU_DEP_1) | instskip(SKIP_1) | instid1(VALU_DEP_2)
	v_lshlrev_b32_e32 v5, v4, v3
	v_lshlrev_b32_e32 v4, 23, v4
	v_lshrrev_b32_e32 v5, 4, v5
	s_delay_alu instid0(VALU_DEP_1) | instskip(SKIP_1) | instid1(VALU_DEP_2)
	v_sub_nc_u32_e32 v4, v5, v4
	v_ashrrev_i32_e32 v5, 8, v6
	v_add_nc_u32_e32 v4, 0x3c000000, v4
	s_delay_alu instid0(VALU_DEP_1) | instskip(NEXT) | instid1(VALU_DEP_1)
	v_and_or_b32 v4, 0x7f800000, v5, v4
	v_cndmask_b32_e32 v3, 0, v4, vcc_lo
	s_delay_alu instid0(VALU_DEP_1) | instskip(NEXT) | instid1(VALU_DEP_1)
	v_and_or_b32 v2, 0x80000000, v2, v3
	v_trunc_f32_e32 v2, v2
	s_delay_alu instid0(VALU_DEP_1) | instskip(SKIP_1) | instid1(VALU_DEP_2)
	v_mul_f32_e64 v3, 0x2f800000, |v2|
	v_ashrrev_i32_e32 v5, 31, v2
	v_floor_f32_e32 v3, v3
	s_delay_alu instid0(VALU_DEP_1) | instskip(SKIP_1) | instid1(VALU_DEP_2)
	v_fma_f32 v4, 0xcf800000, v3, |v2|
	v_cvt_u32_f32_e32 v3, v3
	v_cvt_u32_f32_e32 v2, v4
	s_delay_alu instid0(VALU_DEP_2) | instskip(NEXT) | instid1(VALU_DEP_2)
	v_xor_b32_e32 v3, v3, v5
	v_xor_b32_e32 v2, v2, v5
	s_delay_alu instid0(VALU_DEP_1) | instskip(NEXT) | instid1(VALU_DEP_3)
	v_sub_co_u32 v2, vcc_lo, v2, v5
	v_sub_co_ci_u32_e32 v3, vcc_lo, v3, v5, vcc_lo
.LBB304_436:
	s_mov_b32 s0, 0
.LBB304_437:
	s_delay_alu instid0(SALU_CYCLE_1)
	s_and_not1_b32 vcc_lo, exec_lo, s0
	s_cbranch_vccnz .LBB304_439
; %bb.438:
	global_load_u8 v2, v[0:1], off
	s_waitcnt vmcnt(0)
	v_lshlrev_b32_e32 v3, 25, v2
	v_lshlrev_b16 v2, 8, v2
	s_delay_alu instid0(VALU_DEP_2) | instskip(NEXT) | instid1(VALU_DEP_2)
	v_lshrrev_b32_e32 v4, 4, v3
	v_and_or_b32 v5, 0x7f00, v2, 0.5
	v_bfe_i32 v2, v2, 0, 16
	s_delay_alu instid0(VALU_DEP_3) | instskip(NEXT) | instid1(VALU_DEP_1)
	v_or_b32_e32 v4, 0x70000000, v4
	v_dual_add_f32 v5, -0.5, v5 :: v_dual_mul_f32 v4, 0x7800000, v4
	v_cmp_gt_u32_e32 vcc_lo, 0x8000000, v3
	s_delay_alu instid0(VALU_DEP_2) | instskip(NEXT) | instid1(VALU_DEP_1)
	v_cndmask_b32_e32 v3, v4, v5, vcc_lo
	v_and_or_b32 v2, 0x80000000, v2, v3
	s_delay_alu instid0(VALU_DEP_1) | instskip(NEXT) | instid1(VALU_DEP_1)
	v_trunc_f32_e32 v2, v2
	v_mul_f32_e64 v3, 0x2f800000, |v2|
	v_ashrrev_i32_e32 v5, 31, v2
	s_delay_alu instid0(VALU_DEP_2) | instskip(NEXT) | instid1(VALU_DEP_1)
	v_floor_f32_e32 v3, v3
	v_fma_f32 v4, 0xcf800000, v3, |v2|
	v_cvt_u32_f32_e32 v3, v3
	s_delay_alu instid0(VALU_DEP_2) | instskip(NEXT) | instid1(VALU_DEP_2)
	v_cvt_u32_f32_e32 v2, v4
	v_xor_b32_e32 v3, v3, v5
	s_delay_alu instid0(VALU_DEP_2) | instskip(NEXT) | instid1(VALU_DEP_1)
	v_xor_b32_e32 v2, v2, v5
	v_sub_co_u32 v2, vcc_lo, v2, v5
	s_delay_alu instid0(VALU_DEP_3)
	v_sub_co_ci_u32_e32 v3, vcc_lo, v3, v5, vcc_lo
.LBB304_439:
	s_mov_b32 s1, 0
	s_mov_b32 s0, -1
.LBB304_440:
	s_and_not1_b32 vcc_lo, exec_lo, s1
	s_cbranch_vccnz .LBB304_451
; %bb.441:
	v_cmp_lt_i16_e32 vcc_lo, 14, v11
	s_cbranch_vccz .LBB304_444
; %bb.442:
	v_cmp_eq_u16_e32 vcc_lo, 15, v11
	s_cbranch_vccz .LBB304_445
; %bb.443:
	global_load_u16 v2, v[0:1], off
	s_mov_b32 s0, -1
	s_mov_b32 s19, 0
	s_waitcnt vmcnt(0)
	v_lshlrev_b32_e32 v2, 16, v2
	s_delay_alu instid0(VALU_DEP_1) | instskip(NEXT) | instid1(VALU_DEP_1)
	v_trunc_f32_e32 v2, v2
	v_mul_f32_e64 v3, 0x2f800000, |v2|
	v_ashrrev_i32_e32 v5, 31, v2
	s_delay_alu instid0(VALU_DEP_2) | instskip(NEXT) | instid1(VALU_DEP_1)
	v_floor_f32_e32 v3, v3
	v_fma_f32 v4, 0xcf800000, v3, |v2|
	v_cvt_u32_f32_e32 v3, v3
	s_delay_alu instid0(VALU_DEP_2) | instskip(NEXT) | instid1(VALU_DEP_2)
	v_cvt_u32_f32_e32 v2, v4
	v_xor_b32_e32 v3, v3, v5
	s_delay_alu instid0(VALU_DEP_2) | instskip(NEXT) | instid1(VALU_DEP_1)
	v_xor_b32_e32 v2, v2, v5
	v_sub_co_u32 v2, vcc_lo, v2, v5
	s_delay_alu instid0(VALU_DEP_3)
	v_sub_co_ci_u32_e32 v3, vcc_lo, v3, v5, vcc_lo
	s_branch .LBB304_446
.LBB304_444:
	s_mov_b32 s1, -1
                                        ; implicit-def: $vgpr2_vgpr3
	s_branch .LBB304_447
.LBB304_445:
	s_mov_b32 s19, -1
                                        ; implicit-def: $vgpr2_vgpr3
.LBB304_446:
	s_mov_b32 s1, 0
.LBB304_447:
	s_delay_alu instid0(SALU_CYCLE_1)
	s_and_b32 vcc_lo, exec_lo, s1
	s_cbranch_vccz .LBB304_451
; %bb.448:
	v_cmp_eq_u16_e32 vcc_lo, 11, v11
	s_cbranch_vccz .LBB304_450
; %bb.449:
	global_load_u8 v2, v[0:1], off
	s_mov_b32 s19, 0
	s_mov_b32 s0, -1
	s_waitcnt vmcnt(1)
	v_mov_b32_e32 v3, s19
	s_waitcnt vmcnt(0)
	v_cmp_ne_u16_e32 vcc_lo, 0, v2
	v_cndmask_b32_e64 v2, 0, 1, vcc_lo
	s_branch .LBB304_451
.LBB304_450:
	s_mov_b32 s19, -1
                                        ; implicit-def: $vgpr2_vgpr3
.LBB304_451:
	s_branch .LBB304_257
.LBB304_452:
	v_cmp_gt_i16_e32 vcc_lo, 5, v11
	s_cbranch_vccnz .LBB304_457
; %bb.453:
	v_cmp_gt_i16_e32 vcc_lo, 8, v11
	s_cbranch_vccnz .LBB304_458
; %bb.454:
	v_cmp_gt_i16_e32 vcc_lo, 9, v11
	s_cbranch_vccnz .LBB304_459
; %bb.455:
	v_cmp_lt_i16_e32 vcc_lo, 9, v11
	s_cbranch_vccz .LBB304_460
; %bb.456:
	global_load_b64 v[2:3], v[0:1], off
	s_mov_b32 s0, 0
	s_waitcnt vmcnt(0)
	v_trunc_f64_e32 v[2:3], v[2:3]
	s_delay_alu instid0(VALU_DEP_1) | instskip(NEXT) | instid1(VALU_DEP_1)
	v_ldexp_f64 v[4:5], v[2:3], 0xffffffe0
	v_floor_f64_e32 v[4:5], v[4:5]
	s_delay_alu instid0(VALU_DEP_1) | instskip(SKIP_1) | instid1(VALU_DEP_2)
	v_fma_f64 v[6:7], 0xc1f00000, v[4:5], v[2:3]
	v_cvt_i32_f64_e32 v3, v[4:5]
	v_cvt_u32_f64_e32 v2, v[6:7]
	s_branch .LBB304_461
.LBB304_457:
	s_mov_b32 s0, -1
                                        ; implicit-def: $vgpr2_vgpr3
	s_branch .LBB304_479
.LBB304_458:
	s_mov_b32 s0, -1
                                        ; implicit-def: $vgpr2_vgpr3
	s_branch .LBB304_467
.LBB304_459:
	s_mov_b32 s0, -1
                                        ; implicit-def: $vgpr2_vgpr3
	s_branch .LBB304_464
.LBB304_460:
	s_mov_b32 s0, -1
                                        ; implicit-def: $vgpr2_vgpr3
.LBB304_461:
	s_delay_alu instid0(SALU_CYCLE_1)
	s_and_not1_b32 vcc_lo, exec_lo, s0
	s_cbranch_vccnz .LBB304_463
; %bb.462:
	global_load_b32 v2, v[0:1], off
	s_waitcnt vmcnt(0)
	v_trunc_f32_e32 v2, v2
	s_delay_alu instid0(VALU_DEP_1) | instskip(SKIP_1) | instid1(VALU_DEP_2)
	v_mul_f32_e64 v3, 0x2f800000, |v2|
	v_ashrrev_i32_e32 v5, 31, v2
	v_floor_f32_e32 v3, v3
	s_delay_alu instid0(VALU_DEP_1) | instskip(SKIP_1) | instid1(VALU_DEP_2)
	v_fma_f32 v4, 0xcf800000, v3, |v2|
	v_cvt_u32_f32_e32 v3, v3
	v_cvt_u32_f32_e32 v2, v4
	s_delay_alu instid0(VALU_DEP_2) | instskip(NEXT) | instid1(VALU_DEP_2)
	v_xor_b32_e32 v3, v3, v5
	v_xor_b32_e32 v2, v2, v5
	s_delay_alu instid0(VALU_DEP_1) | instskip(NEXT) | instid1(VALU_DEP_3)
	v_sub_co_u32 v2, vcc_lo, v2, v5
	v_sub_co_ci_u32_e32 v3, vcc_lo, v3, v5, vcc_lo
.LBB304_463:
	s_mov_b32 s0, 0
.LBB304_464:
	s_delay_alu instid0(SALU_CYCLE_1)
	s_and_not1_b32 vcc_lo, exec_lo, s0
	s_cbranch_vccnz .LBB304_466
; %bb.465:
	global_load_b32 v2, v[0:1], off
	s_waitcnt vmcnt(0)
	v_cvt_f32_f16_e32 v2, v2
	s_delay_alu instid0(VALU_DEP_1) | instskip(NEXT) | instid1(VALU_DEP_1)
	v_cvt_i32_f32_e32 v2, v2
	v_ashrrev_i32_e32 v3, 31, v2
.LBB304_466:
	s_mov_b32 s0, 0
.LBB304_467:
	s_delay_alu instid0(SALU_CYCLE_1)
	s_and_not1_b32 vcc_lo, exec_lo, s0
	s_cbranch_vccnz .LBB304_478
; %bb.468:
	v_cmp_gt_i16_e32 vcc_lo, 6, v11
	s_cbranch_vccnz .LBB304_471
; %bb.469:
	v_cmp_lt_i16_e32 vcc_lo, 6, v11
	s_cbranch_vccz .LBB304_472
; %bb.470:
	global_load_b64 v[2:3], v[0:1], off
	s_mov_b32 s0, 0
	s_waitcnt vmcnt(0)
	v_trunc_f64_e32 v[2:3], v[2:3]
	s_delay_alu instid0(VALU_DEP_1) | instskip(NEXT) | instid1(VALU_DEP_1)
	v_ldexp_f64 v[4:5], v[2:3], 0xffffffe0
	v_floor_f64_e32 v[4:5], v[4:5]
	s_delay_alu instid0(VALU_DEP_1) | instskip(SKIP_1) | instid1(VALU_DEP_2)
	v_fma_f64 v[6:7], 0xc1f00000, v[4:5], v[2:3]
	v_cvt_i32_f64_e32 v3, v[4:5]
	v_cvt_u32_f64_e32 v2, v[6:7]
	s_branch .LBB304_473
.LBB304_471:
	s_mov_b32 s0, -1
                                        ; implicit-def: $vgpr2_vgpr3
	s_branch .LBB304_476
.LBB304_472:
	s_mov_b32 s0, -1
                                        ; implicit-def: $vgpr2_vgpr3
.LBB304_473:
	s_delay_alu instid0(SALU_CYCLE_1)
	s_and_not1_b32 vcc_lo, exec_lo, s0
	s_cbranch_vccnz .LBB304_475
; %bb.474:
	global_load_b32 v2, v[0:1], off
	s_waitcnt vmcnt(0)
	v_trunc_f32_e32 v2, v2
	s_delay_alu instid0(VALU_DEP_1) | instskip(SKIP_1) | instid1(VALU_DEP_2)
	v_mul_f32_e64 v3, 0x2f800000, |v2|
	v_ashrrev_i32_e32 v5, 31, v2
	v_floor_f32_e32 v3, v3
	s_delay_alu instid0(VALU_DEP_1) | instskip(SKIP_1) | instid1(VALU_DEP_2)
	v_fma_f32 v4, 0xcf800000, v3, |v2|
	v_cvt_u32_f32_e32 v3, v3
	v_cvt_u32_f32_e32 v2, v4
	s_delay_alu instid0(VALU_DEP_2) | instskip(NEXT) | instid1(VALU_DEP_2)
	v_xor_b32_e32 v3, v3, v5
	v_xor_b32_e32 v2, v2, v5
	s_delay_alu instid0(VALU_DEP_1) | instskip(NEXT) | instid1(VALU_DEP_3)
	v_sub_co_u32 v2, vcc_lo, v2, v5
	v_sub_co_ci_u32_e32 v3, vcc_lo, v3, v5, vcc_lo
.LBB304_475:
	s_mov_b32 s0, 0
.LBB304_476:
	s_delay_alu instid0(SALU_CYCLE_1)
	s_and_not1_b32 vcc_lo, exec_lo, s0
	s_cbranch_vccnz .LBB304_478
; %bb.477:
	global_load_u16 v2, v[0:1], off
	s_waitcnt vmcnt(0)
	v_cvt_f32_f16_e32 v2, v2
	s_delay_alu instid0(VALU_DEP_1) | instskip(NEXT) | instid1(VALU_DEP_1)
	v_cvt_i32_f32_e32 v2, v2
	v_ashrrev_i32_e32 v3, 31, v2
.LBB304_478:
	s_mov_b32 s0, 0
.LBB304_479:
	s_delay_alu instid0(SALU_CYCLE_1)
	s_and_not1_b32 vcc_lo, exec_lo, s0
	s_cbranch_vccnz .LBB304_499
; %bb.480:
	v_cmp_gt_i16_e32 vcc_lo, 2, v11
	s_cbranch_vccnz .LBB304_484
; %bb.481:
	v_cmp_gt_i16_e32 vcc_lo, 3, v11
	s_cbranch_vccnz .LBB304_485
; %bb.482:
	v_cmp_lt_i16_e32 vcc_lo, 3, v11
	s_cbranch_vccz .LBB304_486
; %bb.483:
	global_load_b64 v[2:3], v[0:1], off
	s_mov_b32 s0, 0
	s_branch .LBB304_487
.LBB304_484:
	s_mov_b32 s0, -1
                                        ; implicit-def: $vgpr2_vgpr3
	s_branch .LBB304_493
.LBB304_485:
	s_mov_b32 s0, -1
                                        ; implicit-def: $vgpr2_vgpr3
	s_branch .LBB304_490
.LBB304_486:
	s_mov_b32 s0, -1
                                        ; implicit-def: $vgpr2_vgpr3
.LBB304_487:
	s_delay_alu instid0(SALU_CYCLE_1)
	s_and_not1_b32 vcc_lo, exec_lo, s0
	s_cbranch_vccnz .LBB304_489
; %bb.488:
	global_load_b32 v2, v[0:1], off
	s_waitcnt vmcnt(0)
	v_ashrrev_i32_e32 v3, 31, v2
.LBB304_489:
	s_mov_b32 s0, 0
.LBB304_490:
	s_delay_alu instid0(SALU_CYCLE_1)
	s_and_not1_b32 vcc_lo, exec_lo, s0
	s_cbranch_vccnz .LBB304_492
; %bb.491:
	global_load_u16 v2, v[0:1], off
	s_waitcnt vmcnt(0)
	v_bfe_i32 v2, v2, 0, 16
	s_delay_alu instid0(VALU_DEP_1)
	v_ashrrev_i32_e32 v3, 31, v2
.LBB304_492:
	s_mov_b32 s0, 0
.LBB304_493:
	s_delay_alu instid0(SALU_CYCLE_1)
	s_and_not1_b32 vcc_lo, exec_lo, s0
	s_cbranch_vccnz .LBB304_499
; %bb.494:
	v_cmp_lt_i16_e32 vcc_lo, 0, v11
	s_mov_b32 s0, 0
	s_cbranch_vccz .LBB304_496
; %bb.495:
	global_load_i8 v2, v[0:1], off
	s_waitcnt vmcnt(0)
	v_bfe_i32 v2, v2, 0, 16
	s_delay_alu instid0(VALU_DEP_1)
	v_ashrrev_i32_e32 v3, 31, v2
	s_branch .LBB304_497
.LBB304_496:
	s_mov_b32 s0, -1
                                        ; implicit-def: $vgpr2_vgpr3
.LBB304_497:
	s_delay_alu instid0(SALU_CYCLE_1)
	s_and_not1_b32 vcc_lo, exec_lo, s0
	s_cbranch_vccnz .LBB304_499
; %bb.498:
	global_load_u8 v0, v[0:1], off
	s_mov_b32 s0, 0
	s_waitcnt vmcnt(0)
	v_dual_mov_b32 v3, s0 :: v_dual_and_b32 v2, 0xffff, v0
.LBB304_499:
	s_branch .LBB304_258
.LBB304_500:
	s_mov_b32 s1, 0
	s_mov_b32 s0, s15
.LBB304_501:
                                        ; implicit-def: $vgpr10
.LBB304_502:
	s_and_not1_b32 s20, s15, exec_lo
	s_and_b32 s0, s0, exec_lo
	s_and_not1_b32 s22, s17, exec_lo
	s_and_b32 s19, s19, exec_lo
	s_or_b32 s20, s20, s0
	s_or_b32 s19, s22, s19
	s_or_not1_b32 s23, s1, exec_lo
.LBB304_503:
	s_or_b32 exec_lo, exec_lo, s21
	s_mov_b32 s1, 0
	s_mov_b32 s22, 0
	;; [unrolled: 1-line block ×3, first 2 shown]
                                        ; implicit-def: $vgpr0_vgpr1
                                        ; implicit-def: $vgpr4_vgpr5
	s_and_saveexec_b32 s21, s23
	s_cbranch_execz .LBB304_842
; %bb.504:
	s_mov_b32 s0, -1
	s_mov_b32 s23, s19
	s_mov_b32 s24, s20
	s_mov_b32 s22, exec_lo
	v_cmpx_gt_i32_e64 s16, v10
	s_cbranch_execz .LBB304_760
; %bb.505:
	v_mul_lo_u32 v0, v10, s3
	v_cmp_gt_i16_e32 vcc_lo, 11, v11
	s_delay_alu instid0(VALU_DEP_2) | instskip(SKIP_1) | instid1(VALU_DEP_1)
	v_ashrrev_i32_e32 v1, 31, v0
	v_add_co_u32 v0, s0, s6, v0
	v_add_co_ci_u32_e64 v1, s0, s7, v1, s0
	s_cbranch_vccnz .LBB304_512
; %bb.506:
	v_cmp_lt_i16_e32 vcc_lo, 25, v11
	s_cbranch_vccz .LBB304_513
; %bb.507:
	v_cmp_lt_i16_e32 vcc_lo, 28, v11
	s_cbranch_vccz .LBB304_514
	;; [unrolled: 3-line block ×4, first 2 shown]
; %bb.510:
	v_cmp_eq_u16_e32 vcc_lo, 46, v11
	s_cbranch_vccz .LBB304_521
; %bb.511:
	global_load_b32 v2, v[0:1], off
	s_mov_b32 s0, -1
	s_mov_b32 s23, 0
	s_waitcnt vmcnt(0)
	v_lshlrev_b32_e32 v2, 16, v2
	s_delay_alu instid0(VALU_DEP_1) | instskip(NEXT) | instid1(VALU_DEP_1)
	v_trunc_f32_e32 v2, v2
	v_mul_f32_e64 v3, 0x2f800000, |v2|
	v_ashrrev_i32_e32 v5, 31, v2
	s_delay_alu instid0(VALU_DEP_2) | instskip(NEXT) | instid1(VALU_DEP_1)
	v_floor_f32_e32 v3, v3
	v_fma_f32 v4, 0xcf800000, v3, |v2|
	v_cvt_u32_f32_e32 v3, v3
	s_delay_alu instid0(VALU_DEP_2) | instskip(NEXT) | instid1(VALU_DEP_2)
	v_cvt_u32_f32_e32 v2, v4
	v_xor_b32_e32 v3, v3, v5
	s_delay_alu instid0(VALU_DEP_2) | instskip(NEXT) | instid1(VALU_DEP_1)
	v_xor_b32_e32 v2, v2, v5
	v_sub_co_u32 v2, vcc_lo, v2, v5
	s_delay_alu instid0(VALU_DEP_3)
	v_sub_co_ci_u32_e32 v3, vcc_lo, v3, v5, vcc_lo
	s_branch .LBB304_523
.LBB304_512:
	s_mov_b32 s1, -1
	s_mov_b32 s0, 0
	s_mov_b32 s23, s19
                                        ; implicit-def: $vgpr2_vgpr3
	s_branch .LBB304_584
.LBB304_513:
	s_mov_b32 s1, -1
	s_mov_b32 s0, 0
	s_mov_b32 s23, s19
                                        ; implicit-def: $vgpr2_vgpr3
	s_branch .LBB304_552
.LBB304_514:
	s_mov_b32 s1, -1
	s_mov_b32 s0, 0
	s_mov_b32 s23, s19
                                        ; implicit-def: $vgpr2_vgpr3
	s_branch .LBB304_533
.LBB304_515:
	s_mov_b32 s1, -1
	s_mov_b32 s0, 0
	s_mov_b32 s23, s19
                                        ; implicit-def: $vgpr2_vgpr3
	s_branch .LBB304_528
.LBB304_516:
	s_or_saveexec_b32 s22, s22
                                        ; implicit-def: $sgpr23
	s_delay_alu instid0(SALU_CYCLE_1)
	s_xor_b32 exec_lo, exec_lo, s22
	s_cbranch_execz .LBB304_304
.LBB304_517:
	v_add_f32_e64 v6, 0x46000000, |v5|
	s_and_not1_b32 s20, s20, exec_lo
	s_mov_b32 s23, 0
	s_delay_alu instid0(VALU_DEP_1) | instskip(NEXT) | instid1(VALU_DEP_1)
	v_and_b32_e32 v6, 0xff, v6
	v_cmp_ne_u32_e32 vcc_lo, 0, v6
	s_and_b32 s24, vcc_lo, exec_lo
	s_delay_alu instid0(SALU_CYCLE_1)
	s_or_b32 s20, s20, s24
	s_or_b32 exec_lo, exec_lo, s22
	v_mov_b32_e32 v7, s23
	s_and_saveexec_b32 s22, s20
	s_cbranch_execnz .LBB304_305
	s_branch .LBB304_306
.LBB304_518:
	s_mov_b32 s1, -1
	s_mov_b32 s0, 0
	s_mov_b32 s23, s19
	s_branch .LBB304_522
.LBB304_519:
	s_or_saveexec_b32 s22, s22
                                        ; implicit-def: $sgpr23
	s_delay_alu instid0(SALU_CYCLE_1)
	s_xor_b32 exec_lo, exec_lo, s22
	s_cbranch_execz .LBB304_317
.LBB304_520:
	v_add_f32_e64 v6, 0x42800000, |v5|
	s_and_not1_b32 s20, s20, exec_lo
	s_mov_b32 s23, 0
	s_delay_alu instid0(VALU_DEP_1) | instskip(NEXT) | instid1(VALU_DEP_1)
	v_and_b32_e32 v6, 0xff, v6
	v_cmp_ne_u32_e32 vcc_lo, 0, v6
	s_and_b32 s24, vcc_lo, exec_lo
	s_delay_alu instid0(SALU_CYCLE_1)
	s_or_b32 s20, s20, s24
	s_or_b32 exec_lo, exec_lo, s22
	v_mov_b32_e32 v7, s23
	s_and_saveexec_b32 s22, s20
	s_cbranch_execnz .LBB304_318
	s_branch .LBB304_319
.LBB304_521:
	s_mov_b32 s23, -1
	s_mov_b32 s0, 0
.LBB304_522:
                                        ; implicit-def: $vgpr2_vgpr3
.LBB304_523:
	s_and_b32 vcc_lo, exec_lo, s1
	s_cbranch_vccz .LBB304_527
; %bb.524:
	v_cmp_eq_u16_e32 vcc_lo, 44, v11
	s_cbranch_vccz .LBB304_526
; %bb.525:
	global_load_u8 v2, v[0:1], off
	s_mov_b32 s23, 0
	s_mov_b32 s0, -1
	s_waitcnt vmcnt(0)
	v_lshlrev_b32_e32 v3, 23, v2
	s_delay_alu instid0(VALU_DEP_1) | instskip(NEXT) | instid1(VALU_DEP_1)
	v_trunc_f32_e32 v3, v3
	v_mul_f32_e64 v4, 0x2f800000, |v3|
	s_delay_alu instid0(VALU_DEP_1) | instskip(NEXT) | instid1(VALU_DEP_1)
	v_floor_f32_e32 v4, v4
	v_fma_f32 v5, 0xcf800000, v4, |v3|
	v_ashrrev_i32_e32 v3, 31, v3
	v_cvt_u32_f32_e32 v4, v4
	s_delay_alu instid0(VALU_DEP_3) | instskip(NEXT) | instid1(VALU_DEP_2)
	v_cvt_u32_f32_e32 v5, v5
	v_xor_b32_e32 v4, v4, v3
	s_delay_alu instid0(VALU_DEP_2) | instskip(NEXT) | instid1(VALU_DEP_1)
	v_xor_b32_e32 v5, v5, v3
	v_sub_co_u32 v5, vcc_lo, v5, v3
	s_delay_alu instid0(VALU_DEP_3) | instskip(SKIP_1) | instid1(VALU_DEP_2)
	v_sub_co_ci_u32_e32 v3, vcc_lo, v4, v3, vcc_lo
	v_cmp_ne_u32_e32 vcc_lo, 0, v2
	v_dual_cndmask_b32 v2, 0, v5 :: v_dual_cndmask_b32 v3, 0, v3
	s_branch .LBB304_527
.LBB304_526:
	s_mov_b32 s23, -1
                                        ; implicit-def: $vgpr2_vgpr3
.LBB304_527:
	s_mov_b32 s1, 0
.LBB304_528:
	s_delay_alu instid0(SALU_CYCLE_1)
	s_and_b32 vcc_lo, exec_lo, s1
	s_cbranch_vccz .LBB304_532
; %bb.529:
	v_cmp_eq_u16_e32 vcc_lo, 29, v11
	s_cbranch_vccz .LBB304_531
; %bb.530:
	global_load_b64 v[2:3], v[0:1], off
	s_mov_b32 s0, -1
	s_mov_b32 s23, 0
	s_branch .LBB304_532
.LBB304_531:
	s_mov_b32 s23, -1
                                        ; implicit-def: $vgpr2_vgpr3
.LBB304_532:
	s_mov_b32 s1, 0
.LBB304_533:
	s_delay_alu instid0(SALU_CYCLE_1)
	s_and_b32 vcc_lo, exec_lo, s1
	s_cbranch_vccz .LBB304_551
; %bb.534:
	v_cmp_gt_i16_e32 vcc_lo, 27, v11
	s_cbranch_vccnz .LBB304_537
; %bb.535:
	v_cmp_lt_i16_e32 vcc_lo, 27, v11
	s_cbranch_vccz .LBB304_538
; %bb.536:
	global_load_b32 v2, v[0:1], off
	s_waitcnt vmcnt(1)
	v_mov_b32_e32 v3, 0
	s_mov_b32 s0, 0
	s_branch .LBB304_539
.LBB304_537:
	s_mov_b32 s0, -1
                                        ; implicit-def: $vgpr2_vgpr3
	s_branch .LBB304_542
.LBB304_538:
	s_mov_b32 s0, -1
                                        ; implicit-def: $vgpr2_vgpr3
.LBB304_539:
	s_delay_alu instid0(SALU_CYCLE_1)
	s_and_not1_b32 vcc_lo, exec_lo, s0
	s_cbranch_vccnz .LBB304_541
; %bb.540:
	global_load_u16 v2, v[0:1], off
	s_mov_b32 s0, 0
	s_waitcnt vmcnt(0)
	v_dual_mov_b32 v3, s0 :: v_dual_and_b32 v2, 0xffff, v2
.LBB304_541:
	s_mov_b32 s0, 0
.LBB304_542:
	s_delay_alu instid0(SALU_CYCLE_1)
	s_and_not1_b32 vcc_lo, exec_lo, s0
	s_cbranch_vccnz .LBB304_550
; %bb.543:
	global_load_u8 v4, v[0:1], off
	s_mov_b32 s24, 0
	s_mov_b32 s25, exec_lo
                                        ; implicit-def: $sgpr0_sgpr1
	s_waitcnt vmcnt(0)
	v_cmpx_lt_i16_e32 0x7f, v4
	s_xor_b32 s25, exec_lo, s25
; %bb.544:
	v_cmp_ne_u16_e32 vcc_lo, 0x80, v4
	s_mov_b64 s[0:1], 0
	s_and_b32 s24, vcc_lo, exec_lo
; %bb.545:
	s_or_saveexec_b32 s25, s25
	v_dual_mov_b32 v3, s1 :: v_dual_mov_b32 v2, s0
	s_xor_b32 exec_lo, exec_lo, s25
; %bb.546:
	v_cmp_ne_u16_e32 vcc_lo, 0, v4
	v_mov_b32_e32 v2, 0
	v_mov_b32_e32 v3, 0
	s_and_not1_b32 s0, s24, exec_lo
	s_and_b32 s1, vcc_lo, exec_lo
	s_delay_alu instid0(SALU_CYCLE_1)
	s_or_b32 s24, s0, s1
; %bb.547:
	s_or_b32 exec_lo, exec_lo, s25
	s_and_saveexec_b32 s0, s24
	s_cbranch_execz .LBB304_549
; %bb.548:
	v_and_b32_e32 v2, 0xffff, v4
	v_lshlrev_b32_e32 v4, 24, v4
	s_delay_alu instid0(VALU_DEP_2) | instskip(NEXT) | instid1(VALU_DEP_2)
	v_and_b32_e32 v3, 7, v2
	v_and_b32_e32 v4, 0x80000000, v4
	s_delay_alu instid0(VALU_DEP_2) | instskip(NEXT) | instid1(VALU_DEP_1)
	v_clz_i32_u32_e32 v5, v3
	v_min_u32_e32 v5, 32, v5
	s_delay_alu instid0(VALU_DEP_1) | instskip(SKIP_1) | instid1(VALU_DEP_2)
	v_subrev_nc_u32_e32 v6, 28, v5
	v_sub_nc_u32_e32 v5, 29, v5
	v_lshlrev_b32_e32 v6, v6, v2
	v_bfe_u32 v2, v2, 3, 4
	s_delay_alu instid0(VALU_DEP_2) | instskip(NEXT) | instid1(VALU_DEP_2)
	v_and_b32_e32 v6, 7, v6
	v_cmp_eq_u32_e32 vcc_lo, 0, v2
	s_delay_alu instid0(VALU_DEP_2) | instskip(NEXT) | instid1(VALU_DEP_1)
	v_dual_cndmask_b32 v2, v2, v5 :: v_dual_cndmask_b32 v3, v3, v6
	v_lshl_add_u32 v2, v2, 23, 0x3b800000
	s_delay_alu instid0(VALU_DEP_2) | instskip(NEXT) | instid1(VALU_DEP_1)
	v_lshlrev_b32_e32 v3, 20, v3
	v_or3_b32 v2, v4, v2, v3
	s_delay_alu instid0(VALU_DEP_1) | instskip(NEXT) | instid1(VALU_DEP_1)
	v_trunc_f32_e32 v2, v2
	v_mul_f32_e64 v3, 0x2f800000, |v2|
	v_ashrrev_i32_e32 v5, 31, v2
	s_delay_alu instid0(VALU_DEP_2) | instskip(NEXT) | instid1(VALU_DEP_1)
	v_floor_f32_e32 v3, v3
	v_fma_f32 v4, 0xcf800000, v3, |v2|
	v_cvt_u32_f32_e32 v3, v3
	s_delay_alu instid0(VALU_DEP_2) | instskip(NEXT) | instid1(VALU_DEP_2)
	v_cvt_u32_f32_e32 v2, v4
	v_xor_b32_e32 v3, v3, v5
	s_delay_alu instid0(VALU_DEP_2) | instskip(NEXT) | instid1(VALU_DEP_1)
	v_xor_b32_e32 v2, v2, v5
	v_sub_co_u32 v2, vcc_lo, v2, v5
	s_delay_alu instid0(VALU_DEP_3)
	v_sub_co_ci_u32_e32 v3, vcc_lo, v3, v5, vcc_lo
.LBB304_549:
	s_or_b32 exec_lo, exec_lo, s0
.LBB304_550:
	s_mov_b32 s0, -1
.LBB304_551:
	s_mov_b32 s1, 0
.LBB304_552:
	s_delay_alu instid0(SALU_CYCLE_1)
	s_and_b32 vcc_lo, exec_lo, s1
	s_cbranch_vccz .LBB304_583
; %bb.553:
	v_cmp_lt_i16_e32 vcc_lo, 22, v11
	s_cbranch_vccz .LBB304_563
; %bb.554:
	v_cmp_gt_i16_e32 vcc_lo, 24, v11
	s_cbranch_vccnz .LBB304_564
; %bb.555:
	v_cmp_lt_i16_e32 vcc_lo, 24, v11
	s_cbranch_vccz .LBB304_565
; %bb.556:
	global_load_u8 v4, v[0:1], off
	s_mov_b32 s24, 0
	s_mov_b32 s25, exec_lo
                                        ; implicit-def: $sgpr0_sgpr1
	s_waitcnt vmcnt(0)
	v_cmpx_lt_i16_e32 0x7f, v4
	s_xor_b32 s25, exec_lo, s25
; %bb.557:
	v_cmp_ne_u16_e32 vcc_lo, 0x80, v4
	s_mov_b64 s[0:1], 0
	s_and_b32 s24, vcc_lo, exec_lo
; %bb.558:
	s_or_saveexec_b32 s25, s25
	v_dual_mov_b32 v3, s1 :: v_dual_mov_b32 v2, s0
	s_xor_b32 exec_lo, exec_lo, s25
; %bb.559:
	v_cmp_ne_u16_e32 vcc_lo, 0, v4
	v_mov_b32_e32 v2, 0
	v_mov_b32_e32 v3, 0
	s_and_not1_b32 s0, s24, exec_lo
	s_and_b32 s1, vcc_lo, exec_lo
	s_delay_alu instid0(SALU_CYCLE_1)
	s_or_b32 s24, s0, s1
; %bb.560:
	s_or_b32 exec_lo, exec_lo, s25
	s_and_saveexec_b32 s0, s24
	s_cbranch_execz .LBB304_562
; %bb.561:
	v_and_b32_e32 v2, 0xffff, v4
	v_lshlrev_b32_e32 v4, 24, v4
	s_delay_alu instid0(VALU_DEP_2) | instskip(NEXT) | instid1(VALU_DEP_2)
	v_and_b32_e32 v3, 3, v2
	v_and_b32_e32 v4, 0x80000000, v4
	s_delay_alu instid0(VALU_DEP_2) | instskip(NEXT) | instid1(VALU_DEP_1)
	v_clz_i32_u32_e32 v5, v3
	v_min_u32_e32 v5, 32, v5
	s_delay_alu instid0(VALU_DEP_1) | instskip(SKIP_1) | instid1(VALU_DEP_2)
	v_subrev_nc_u32_e32 v6, 29, v5
	v_sub_nc_u32_e32 v5, 30, v5
	v_lshlrev_b32_e32 v6, v6, v2
	v_bfe_u32 v2, v2, 2, 5
	s_delay_alu instid0(VALU_DEP_2) | instskip(NEXT) | instid1(VALU_DEP_2)
	v_and_b32_e32 v6, 3, v6
	v_cmp_eq_u32_e32 vcc_lo, 0, v2
	s_delay_alu instid0(VALU_DEP_2) | instskip(NEXT) | instid1(VALU_DEP_1)
	v_dual_cndmask_b32 v2, v2, v5 :: v_dual_cndmask_b32 v3, v3, v6
	v_lshl_add_u32 v2, v2, 23, 0x37800000
	s_delay_alu instid0(VALU_DEP_2) | instskip(NEXT) | instid1(VALU_DEP_1)
	v_lshlrev_b32_e32 v3, 21, v3
	v_or3_b32 v2, v4, v2, v3
	s_delay_alu instid0(VALU_DEP_1) | instskip(NEXT) | instid1(VALU_DEP_1)
	v_trunc_f32_e32 v2, v2
	v_mul_f32_e64 v3, 0x2f800000, |v2|
	v_ashrrev_i32_e32 v5, 31, v2
	s_delay_alu instid0(VALU_DEP_2) | instskip(NEXT) | instid1(VALU_DEP_1)
	v_floor_f32_e32 v3, v3
	v_fma_f32 v4, 0xcf800000, v3, |v2|
	v_cvt_u32_f32_e32 v3, v3
	s_delay_alu instid0(VALU_DEP_2) | instskip(NEXT) | instid1(VALU_DEP_2)
	v_cvt_u32_f32_e32 v2, v4
	v_xor_b32_e32 v3, v3, v5
	s_delay_alu instid0(VALU_DEP_2) | instskip(NEXT) | instid1(VALU_DEP_1)
	v_xor_b32_e32 v2, v2, v5
	v_sub_co_u32 v2, vcc_lo, v2, v5
	s_delay_alu instid0(VALU_DEP_3)
	v_sub_co_ci_u32_e32 v3, vcc_lo, v3, v5, vcc_lo
.LBB304_562:
	s_or_b32 exec_lo, exec_lo, s0
	s_mov_b32 s0, 0
	s_branch .LBB304_566
.LBB304_563:
	s_mov_b32 s1, -1
                                        ; implicit-def: $vgpr2_vgpr3
	s_branch .LBB304_572
.LBB304_564:
	s_mov_b32 s0, -1
                                        ; implicit-def: $vgpr2_vgpr3
	s_branch .LBB304_569
.LBB304_565:
	s_mov_b32 s0, -1
                                        ; implicit-def: $vgpr2_vgpr3
.LBB304_566:
	s_delay_alu instid0(SALU_CYCLE_1)
	s_and_b32 vcc_lo, exec_lo, s0
	s_cbranch_vccz .LBB304_568
; %bb.567:
	global_load_u8 v2, v[0:1], off
	s_waitcnt vmcnt(0)
	v_lshlrev_b32_e32 v2, 24, v2
	s_delay_alu instid0(VALU_DEP_1) | instskip(NEXT) | instid1(VALU_DEP_1)
	v_and_b32_e32 v3, 0x7f000000, v2
	v_clz_i32_u32_e32 v4, v3
	v_add_nc_u32_e32 v6, 0x1000000, v3
	v_cmp_ne_u32_e32 vcc_lo, 0, v3
	s_delay_alu instid0(VALU_DEP_3) | instskip(NEXT) | instid1(VALU_DEP_1)
	v_min_u32_e32 v4, 32, v4
	v_sub_nc_u32_e64 v4, v4, 4 clamp
	s_delay_alu instid0(VALU_DEP_1) | instskip(SKIP_1) | instid1(VALU_DEP_2)
	v_lshlrev_b32_e32 v5, v4, v3
	v_lshlrev_b32_e32 v4, 23, v4
	v_lshrrev_b32_e32 v5, 4, v5
	s_delay_alu instid0(VALU_DEP_1) | instskip(SKIP_1) | instid1(VALU_DEP_2)
	v_sub_nc_u32_e32 v4, v5, v4
	v_ashrrev_i32_e32 v5, 8, v6
	v_add_nc_u32_e32 v4, 0x3c000000, v4
	s_delay_alu instid0(VALU_DEP_1) | instskip(NEXT) | instid1(VALU_DEP_1)
	v_and_or_b32 v4, 0x7f800000, v5, v4
	v_cndmask_b32_e32 v3, 0, v4, vcc_lo
	s_delay_alu instid0(VALU_DEP_1) | instskip(NEXT) | instid1(VALU_DEP_1)
	v_and_or_b32 v2, 0x80000000, v2, v3
	v_trunc_f32_e32 v2, v2
	s_delay_alu instid0(VALU_DEP_1) | instskip(SKIP_1) | instid1(VALU_DEP_2)
	v_mul_f32_e64 v3, 0x2f800000, |v2|
	v_ashrrev_i32_e32 v5, 31, v2
	v_floor_f32_e32 v3, v3
	s_delay_alu instid0(VALU_DEP_1) | instskip(SKIP_1) | instid1(VALU_DEP_2)
	v_fma_f32 v4, 0xcf800000, v3, |v2|
	v_cvt_u32_f32_e32 v3, v3
	v_cvt_u32_f32_e32 v2, v4
	s_delay_alu instid0(VALU_DEP_2) | instskip(NEXT) | instid1(VALU_DEP_2)
	v_xor_b32_e32 v3, v3, v5
	v_xor_b32_e32 v2, v2, v5
	s_delay_alu instid0(VALU_DEP_1) | instskip(NEXT) | instid1(VALU_DEP_3)
	v_sub_co_u32 v2, vcc_lo, v2, v5
	v_sub_co_ci_u32_e32 v3, vcc_lo, v3, v5, vcc_lo
.LBB304_568:
	s_mov_b32 s0, 0
.LBB304_569:
	s_delay_alu instid0(SALU_CYCLE_1)
	s_and_not1_b32 vcc_lo, exec_lo, s0
	s_cbranch_vccnz .LBB304_571
; %bb.570:
	global_load_u8 v2, v[0:1], off
	s_waitcnt vmcnt(0)
	v_lshlrev_b32_e32 v3, 25, v2
	v_lshlrev_b16 v2, 8, v2
	s_delay_alu instid0(VALU_DEP_2) | instskip(NEXT) | instid1(VALU_DEP_2)
	v_lshrrev_b32_e32 v4, 4, v3
	v_and_or_b32 v5, 0x7f00, v2, 0.5
	v_bfe_i32 v2, v2, 0, 16
	s_delay_alu instid0(VALU_DEP_3) | instskip(NEXT) | instid1(VALU_DEP_1)
	v_or_b32_e32 v4, 0x70000000, v4
	v_dual_add_f32 v5, -0.5, v5 :: v_dual_mul_f32 v4, 0x7800000, v4
	v_cmp_gt_u32_e32 vcc_lo, 0x8000000, v3
	s_delay_alu instid0(VALU_DEP_2) | instskip(NEXT) | instid1(VALU_DEP_1)
	v_cndmask_b32_e32 v3, v4, v5, vcc_lo
	v_and_or_b32 v2, 0x80000000, v2, v3
	s_delay_alu instid0(VALU_DEP_1) | instskip(NEXT) | instid1(VALU_DEP_1)
	v_trunc_f32_e32 v2, v2
	v_mul_f32_e64 v3, 0x2f800000, |v2|
	v_ashrrev_i32_e32 v5, 31, v2
	s_delay_alu instid0(VALU_DEP_2) | instskip(NEXT) | instid1(VALU_DEP_1)
	v_floor_f32_e32 v3, v3
	v_fma_f32 v4, 0xcf800000, v3, |v2|
	v_cvt_u32_f32_e32 v3, v3
	s_delay_alu instid0(VALU_DEP_2) | instskip(NEXT) | instid1(VALU_DEP_2)
	v_cvt_u32_f32_e32 v2, v4
	v_xor_b32_e32 v3, v3, v5
	s_delay_alu instid0(VALU_DEP_2) | instskip(NEXT) | instid1(VALU_DEP_1)
	v_xor_b32_e32 v2, v2, v5
	v_sub_co_u32 v2, vcc_lo, v2, v5
	s_delay_alu instid0(VALU_DEP_3)
	v_sub_co_ci_u32_e32 v3, vcc_lo, v3, v5, vcc_lo
.LBB304_571:
	s_mov_b32 s1, 0
	s_mov_b32 s0, -1
.LBB304_572:
	s_and_not1_b32 vcc_lo, exec_lo, s1
	s_cbranch_vccnz .LBB304_583
; %bb.573:
	v_cmp_lt_i16_e32 vcc_lo, 14, v11
	s_cbranch_vccz .LBB304_576
; %bb.574:
	v_cmp_eq_u16_e32 vcc_lo, 15, v11
	s_cbranch_vccz .LBB304_577
; %bb.575:
	global_load_u16 v2, v[0:1], off
	s_mov_b32 s0, -1
	s_mov_b32 s23, 0
	s_waitcnt vmcnt(0)
	v_lshlrev_b32_e32 v2, 16, v2
	s_delay_alu instid0(VALU_DEP_1) | instskip(NEXT) | instid1(VALU_DEP_1)
	v_trunc_f32_e32 v2, v2
	v_mul_f32_e64 v3, 0x2f800000, |v2|
	v_ashrrev_i32_e32 v5, 31, v2
	s_delay_alu instid0(VALU_DEP_2) | instskip(NEXT) | instid1(VALU_DEP_1)
	v_floor_f32_e32 v3, v3
	v_fma_f32 v4, 0xcf800000, v3, |v2|
	v_cvt_u32_f32_e32 v3, v3
	s_delay_alu instid0(VALU_DEP_2) | instskip(NEXT) | instid1(VALU_DEP_2)
	v_cvt_u32_f32_e32 v2, v4
	v_xor_b32_e32 v3, v3, v5
	s_delay_alu instid0(VALU_DEP_2) | instskip(NEXT) | instid1(VALU_DEP_1)
	v_xor_b32_e32 v2, v2, v5
	v_sub_co_u32 v2, vcc_lo, v2, v5
	s_delay_alu instid0(VALU_DEP_3)
	v_sub_co_ci_u32_e32 v3, vcc_lo, v3, v5, vcc_lo
	s_branch .LBB304_578
.LBB304_576:
	s_mov_b32 s1, -1
                                        ; implicit-def: $vgpr2_vgpr3
	s_branch .LBB304_579
.LBB304_577:
	s_mov_b32 s23, -1
                                        ; implicit-def: $vgpr2_vgpr3
.LBB304_578:
	s_mov_b32 s1, 0
.LBB304_579:
	s_delay_alu instid0(SALU_CYCLE_1)
	s_and_b32 vcc_lo, exec_lo, s1
	s_cbranch_vccz .LBB304_583
; %bb.580:
	v_cmp_eq_u16_e32 vcc_lo, 11, v11
	s_cbranch_vccz .LBB304_582
; %bb.581:
	global_load_u8 v2, v[0:1], off
	s_mov_b32 s23, 0
	s_mov_b32 s0, -1
	s_waitcnt vmcnt(1)
	v_mov_b32_e32 v3, s23
	s_waitcnt vmcnt(0)
	v_cmp_ne_u16_e32 vcc_lo, 0, v2
	v_cndmask_b32_e64 v2, 0, 1, vcc_lo
	s_branch .LBB304_583
.LBB304_582:
	s_mov_b32 s23, -1
                                        ; implicit-def: $vgpr2_vgpr3
.LBB304_583:
	s_mov_b32 s1, 0
.LBB304_584:
	s_delay_alu instid0(SALU_CYCLE_1)
	s_and_b32 vcc_lo, exec_lo, s1
	s_cbranch_vccz .LBB304_633
; %bb.585:
	v_cmp_gt_i16_e32 vcc_lo, 5, v11
	s_cbranch_vccnz .LBB304_590
; %bb.586:
	v_cmp_gt_i16_e32 vcc_lo, 8, v11
	s_cbranch_vccnz .LBB304_591
	;; [unrolled: 3-line block ×3, first 2 shown]
; %bb.588:
	v_cmp_lt_i16_e32 vcc_lo, 9, v11
	s_cbranch_vccz .LBB304_593
; %bb.589:
	global_load_b64 v[2:3], v[0:1], off
	s_mov_b32 s0, 0
	s_waitcnt vmcnt(0)
	v_trunc_f64_e32 v[2:3], v[2:3]
	s_delay_alu instid0(VALU_DEP_1) | instskip(NEXT) | instid1(VALU_DEP_1)
	v_ldexp_f64 v[4:5], v[2:3], 0xffffffe0
	v_floor_f64_e32 v[4:5], v[4:5]
	s_delay_alu instid0(VALU_DEP_1) | instskip(SKIP_1) | instid1(VALU_DEP_2)
	v_fma_f64 v[6:7], 0xc1f00000, v[4:5], v[2:3]
	v_cvt_i32_f64_e32 v3, v[4:5]
	v_cvt_u32_f64_e32 v2, v[6:7]
	s_branch .LBB304_594
.LBB304_590:
	s_mov_b32 s0, -1
                                        ; implicit-def: $vgpr2_vgpr3
	s_branch .LBB304_612
.LBB304_591:
	s_mov_b32 s0, -1
                                        ; implicit-def: $vgpr2_vgpr3
	s_branch .LBB304_600
.LBB304_592:
	s_mov_b32 s0, -1
                                        ; implicit-def: $vgpr2_vgpr3
	s_branch .LBB304_597
.LBB304_593:
	s_mov_b32 s0, -1
                                        ; implicit-def: $vgpr2_vgpr3
.LBB304_594:
	s_delay_alu instid0(SALU_CYCLE_1)
	s_and_not1_b32 vcc_lo, exec_lo, s0
	s_cbranch_vccnz .LBB304_596
; %bb.595:
	global_load_b32 v2, v[0:1], off
	s_waitcnt vmcnt(0)
	v_trunc_f32_e32 v2, v2
	s_delay_alu instid0(VALU_DEP_1) | instskip(SKIP_1) | instid1(VALU_DEP_2)
	v_mul_f32_e64 v3, 0x2f800000, |v2|
	v_ashrrev_i32_e32 v5, 31, v2
	v_floor_f32_e32 v3, v3
	s_delay_alu instid0(VALU_DEP_1) | instskip(SKIP_1) | instid1(VALU_DEP_2)
	v_fma_f32 v4, 0xcf800000, v3, |v2|
	v_cvt_u32_f32_e32 v3, v3
	v_cvt_u32_f32_e32 v2, v4
	s_delay_alu instid0(VALU_DEP_2) | instskip(NEXT) | instid1(VALU_DEP_2)
	v_xor_b32_e32 v3, v3, v5
	v_xor_b32_e32 v2, v2, v5
	s_delay_alu instid0(VALU_DEP_1) | instskip(NEXT) | instid1(VALU_DEP_3)
	v_sub_co_u32 v2, vcc_lo, v2, v5
	v_sub_co_ci_u32_e32 v3, vcc_lo, v3, v5, vcc_lo
.LBB304_596:
	s_mov_b32 s0, 0
.LBB304_597:
	s_delay_alu instid0(SALU_CYCLE_1)
	s_and_not1_b32 vcc_lo, exec_lo, s0
	s_cbranch_vccnz .LBB304_599
; %bb.598:
	global_load_b32 v2, v[0:1], off
	s_waitcnt vmcnt(0)
	v_cvt_f32_f16_e32 v2, v2
	s_delay_alu instid0(VALU_DEP_1) | instskip(NEXT) | instid1(VALU_DEP_1)
	v_cvt_i32_f32_e32 v2, v2
	v_ashrrev_i32_e32 v3, 31, v2
.LBB304_599:
	s_mov_b32 s0, 0
.LBB304_600:
	s_delay_alu instid0(SALU_CYCLE_1)
	s_and_not1_b32 vcc_lo, exec_lo, s0
	s_cbranch_vccnz .LBB304_611
; %bb.601:
	v_cmp_gt_i16_e32 vcc_lo, 6, v11
	s_cbranch_vccnz .LBB304_604
; %bb.602:
	v_cmp_lt_i16_e32 vcc_lo, 6, v11
	s_cbranch_vccz .LBB304_605
; %bb.603:
	global_load_b64 v[2:3], v[0:1], off
	s_mov_b32 s0, 0
	s_waitcnt vmcnt(0)
	v_trunc_f64_e32 v[2:3], v[2:3]
	s_delay_alu instid0(VALU_DEP_1) | instskip(NEXT) | instid1(VALU_DEP_1)
	v_ldexp_f64 v[4:5], v[2:3], 0xffffffe0
	v_floor_f64_e32 v[4:5], v[4:5]
	s_delay_alu instid0(VALU_DEP_1) | instskip(SKIP_1) | instid1(VALU_DEP_2)
	v_fma_f64 v[6:7], 0xc1f00000, v[4:5], v[2:3]
	v_cvt_i32_f64_e32 v3, v[4:5]
	v_cvt_u32_f64_e32 v2, v[6:7]
	s_branch .LBB304_606
.LBB304_604:
	s_mov_b32 s0, -1
                                        ; implicit-def: $vgpr2_vgpr3
	s_branch .LBB304_609
.LBB304_605:
	s_mov_b32 s0, -1
                                        ; implicit-def: $vgpr2_vgpr3
.LBB304_606:
	s_delay_alu instid0(SALU_CYCLE_1)
	s_and_not1_b32 vcc_lo, exec_lo, s0
	s_cbranch_vccnz .LBB304_608
; %bb.607:
	global_load_b32 v2, v[0:1], off
	s_waitcnt vmcnt(0)
	v_trunc_f32_e32 v2, v2
	s_delay_alu instid0(VALU_DEP_1) | instskip(SKIP_1) | instid1(VALU_DEP_2)
	v_mul_f32_e64 v3, 0x2f800000, |v2|
	v_ashrrev_i32_e32 v5, 31, v2
	v_floor_f32_e32 v3, v3
	s_delay_alu instid0(VALU_DEP_1) | instskip(SKIP_1) | instid1(VALU_DEP_2)
	v_fma_f32 v4, 0xcf800000, v3, |v2|
	v_cvt_u32_f32_e32 v3, v3
	v_cvt_u32_f32_e32 v2, v4
	s_delay_alu instid0(VALU_DEP_2) | instskip(NEXT) | instid1(VALU_DEP_2)
	v_xor_b32_e32 v3, v3, v5
	v_xor_b32_e32 v2, v2, v5
	s_delay_alu instid0(VALU_DEP_1) | instskip(NEXT) | instid1(VALU_DEP_3)
	v_sub_co_u32 v2, vcc_lo, v2, v5
	v_sub_co_ci_u32_e32 v3, vcc_lo, v3, v5, vcc_lo
.LBB304_608:
	s_mov_b32 s0, 0
.LBB304_609:
	s_delay_alu instid0(SALU_CYCLE_1)
	s_and_not1_b32 vcc_lo, exec_lo, s0
	s_cbranch_vccnz .LBB304_611
; %bb.610:
	global_load_u16 v2, v[0:1], off
	s_waitcnt vmcnt(0)
	v_cvt_f32_f16_e32 v2, v2
	s_delay_alu instid0(VALU_DEP_1) | instskip(NEXT) | instid1(VALU_DEP_1)
	v_cvt_i32_f32_e32 v2, v2
	v_ashrrev_i32_e32 v3, 31, v2
.LBB304_611:
	s_mov_b32 s0, 0
.LBB304_612:
	s_delay_alu instid0(SALU_CYCLE_1)
	s_and_not1_b32 vcc_lo, exec_lo, s0
	s_cbranch_vccnz .LBB304_632
; %bb.613:
	v_cmp_gt_i16_e32 vcc_lo, 2, v11
	s_cbranch_vccnz .LBB304_617
; %bb.614:
	v_cmp_gt_i16_e32 vcc_lo, 3, v11
	s_cbranch_vccnz .LBB304_618
; %bb.615:
	v_cmp_lt_i16_e32 vcc_lo, 3, v11
	s_cbranch_vccz .LBB304_619
; %bb.616:
	global_load_b64 v[2:3], v[0:1], off
	s_mov_b32 s0, 0
	s_branch .LBB304_620
.LBB304_617:
	s_mov_b32 s0, -1
                                        ; implicit-def: $vgpr2_vgpr3
	s_branch .LBB304_626
.LBB304_618:
	s_mov_b32 s0, -1
                                        ; implicit-def: $vgpr2_vgpr3
	s_branch .LBB304_623
.LBB304_619:
	s_mov_b32 s0, -1
                                        ; implicit-def: $vgpr2_vgpr3
.LBB304_620:
	s_delay_alu instid0(SALU_CYCLE_1)
	s_and_not1_b32 vcc_lo, exec_lo, s0
	s_cbranch_vccnz .LBB304_622
; %bb.621:
	global_load_b32 v2, v[0:1], off
	s_waitcnt vmcnt(0)
	v_ashrrev_i32_e32 v3, 31, v2
.LBB304_622:
	s_mov_b32 s0, 0
.LBB304_623:
	s_delay_alu instid0(SALU_CYCLE_1)
	s_and_not1_b32 vcc_lo, exec_lo, s0
	s_cbranch_vccnz .LBB304_625
; %bb.624:
	global_load_u16 v2, v[0:1], off
	s_waitcnt vmcnt(0)
	v_bfe_i32 v2, v2, 0, 16
	s_delay_alu instid0(VALU_DEP_1)
	v_ashrrev_i32_e32 v3, 31, v2
.LBB304_625:
	s_mov_b32 s0, 0
.LBB304_626:
	s_delay_alu instid0(SALU_CYCLE_1)
	s_and_not1_b32 vcc_lo, exec_lo, s0
	s_cbranch_vccnz .LBB304_632
; %bb.627:
	v_cmp_lt_i16_e32 vcc_lo, 0, v11
	s_mov_b32 s0, 0
	s_cbranch_vccz .LBB304_629
; %bb.628:
	global_load_i8 v2, v[0:1], off
	s_waitcnt vmcnt(0)
	v_bfe_i32 v2, v2, 0, 16
	s_delay_alu instid0(VALU_DEP_1)
	v_ashrrev_i32_e32 v3, 31, v2
	s_branch .LBB304_630
.LBB304_629:
	s_mov_b32 s0, -1
                                        ; implicit-def: $vgpr2_vgpr3
.LBB304_630:
	s_delay_alu instid0(SALU_CYCLE_1)
	s_and_not1_b32 vcc_lo, exec_lo, s0
	s_cbranch_vccnz .LBB304_632
; %bb.631:
	global_load_u8 v0, v[0:1], off
	s_mov_b32 s0, 0
	s_waitcnt vmcnt(0)
	v_dual_mov_b32 v3, s0 :: v_dual_and_b32 v2, 0xffff, v0
.LBB304_632:
	s_mov_b32 s0, -1
.LBB304_633:
	s_delay_alu instid0(SALU_CYCLE_1)
	s_and_not1_b32 vcc_lo, exec_lo, s0
	s_cbranch_vccnz .LBB304_641
; %bb.634:
	s_waitcnt vmcnt(0)
	s_delay_alu instid0(VALU_DEP_1) | instskip(SKIP_4) | instid1(VALU_DEP_3)
	v_cmp_lt_i64_e32 vcc_lo, s[8:9], v[2:3]
	v_mul_lo_u32 v5, v10, s2
	v_and_b32_e64 v4, 0xff, s12
	v_cndmask_b32_e32 v1, s9, v3, vcc_lo
	v_cndmask_b32_e32 v0, s8, v2, vcc_lo
	v_cmp_gt_i16_e32 vcc_lo, 11, v4
	v_ashrrev_i32_e32 v3, 31, v5
	v_add_co_u32 v2, s1, s4, v5
	s_delay_alu instid0(VALU_DEP_4) | instskip(NEXT) | instid1(VALU_DEP_3)
	v_cmp_gt_i64_e64 s0, s[10:11], v[0:1]
	v_add_co_ci_u32_e64 v3, s1, s5, v3, s1
	s_delay_alu instid0(VALU_DEP_2)
	v_cndmask_b32_e64 v1, s11, v1, s0
	v_cndmask_b32_e64 v0, s10, v0, s0
	s_cbranch_vccnz .LBB304_642
; %bb.635:
	v_cmp_lt_i16_e32 vcc_lo, 25, v4
	s_cbranch_vccz .LBB304_643
; %bb.636:
	v_cmp_lt_i16_e32 vcc_lo, 28, v4
	s_cbranch_vccz .LBB304_644
	;; [unrolled: 3-line block ×4, first 2 shown]
; %bb.639:
	v_cmp_eq_u16_e32 vcc_lo, 46, v4
	s_mov_b32 s24, 0
	s_mov_b32 s0, -1
	s_mov_b32 s1, 0
	s_cbranch_vccz .LBB304_647
; %bb.640:
	v_xor_b32_e32 v5, v0, v1
	v_cls_i32_e32 v6, v1
	s_mov_b32 s1, -1
	s_mov_b32 s0, 0
	s_delay_alu instid0(VALU_DEP_2) | instskip(NEXT) | instid1(VALU_DEP_2)
	v_ashrrev_i32_e32 v5, 31, v5
	v_add_nc_u32_e32 v6, -1, v6
	s_delay_alu instid0(VALU_DEP_2) | instskip(NEXT) | instid1(VALU_DEP_1)
	v_add_nc_u32_e32 v5, 32, v5
	v_min_u32_e32 v7, v6, v5
	s_delay_alu instid0(VALU_DEP_1) | instskip(NEXT) | instid1(VALU_DEP_1)
	v_lshlrev_b64 v[5:6], v7, v[0:1]
	v_min_u32_e32 v5, 1, v5
	s_delay_alu instid0(VALU_DEP_1) | instskip(SKIP_1) | instid1(VALU_DEP_2)
	v_or_b32_e32 v5, v6, v5
	v_sub_nc_u32_e32 v6, 32, v7
	v_cvt_f32_i32_e32 v5, v5
	s_delay_alu instid0(VALU_DEP_1) | instskip(NEXT) | instid1(VALU_DEP_1)
	v_ldexp_f32 v5, v5, v6
	v_bfe_u32 v6, v5, 16, 1
	s_delay_alu instid0(VALU_DEP_1) | instskip(NEXT) | instid1(VALU_DEP_1)
	v_add3_u32 v5, v5, v6, 0x7fff
	v_lshrrev_b32_e32 v5, 16, v5
	global_store_b32 v[2:3], v5, off
	s_branch .LBB304_647
.LBB304_641:
	s_mov_b32 s1, 0
	s_mov_b32 s0, s20
	s_branch .LBB304_758
.LBB304_642:
	s_mov_b32 s24, -1
	s_mov_b32 s1, 0
	s_mov_b32 s0, s20
	s_branch .LBB304_716
.LBB304_643:
	s_mov_b32 s24, -1
	s_mov_b32 s1, 0
	s_mov_b32 s0, s20
	s_branch .LBB304_674
.LBB304_644:
	s_mov_b32 s24, -1
	s_mov_b32 s1, 0
	s_mov_b32 s0, s20
	s_branch .LBB304_657
.LBB304_645:
	s_mov_b32 s24, -1
	s_mov_b32 s1, 0
	s_mov_b32 s0, s20
	s_branch .LBB304_653
.LBB304_646:
	s_mov_b32 s24, -1
	s_mov_b32 s1, 0
	s_mov_b32 s0, s20
.LBB304_647:
	s_and_b32 vcc_lo, exec_lo, s24
	s_cbranch_vccz .LBB304_652
; %bb.648:
	v_cmp_eq_u16_e32 vcc_lo, 44, v4
	s_mov_b32 s0, -1
	s_cbranch_vccz .LBB304_652
; %bb.649:
	v_xor_b32_e32 v5, v0, v1
	v_cls_i32_e32 v6, v1
	s_mov_b32 s1, -1
	s_mov_b32 s24, exec_lo
	s_delay_alu instid0(VALU_DEP_2) | instskip(NEXT) | instid1(VALU_DEP_2)
	v_ashrrev_i32_e32 v5, 31, v5
	v_add_nc_u32_e32 v6, -1, v6
	s_delay_alu instid0(VALU_DEP_2) | instskip(NEXT) | instid1(VALU_DEP_1)
	v_add_nc_u32_e32 v5, 32, v5
	v_min_u32_e32 v7, v6, v5
	s_delay_alu instid0(VALU_DEP_1) | instskip(NEXT) | instid1(VALU_DEP_1)
	v_lshlrev_b64 v[5:6], v7, v[0:1]
	v_min_u32_e32 v5, 1, v5
	s_delay_alu instid0(VALU_DEP_1) | instskip(SKIP_1) | instid1(VALU_DEP_2)
	v_or_b32_e32 v5, v6, v5
	v_sub_nc_u32_e32 v6, 32, v7
	v_cvt_f32_i32_e32 v5, v5
	s_delay_alu instid0(VALU_DEP_1) | instskip(SKIP_1) | instid1(VALU_DEP_2)
	v_ldexp_f32 v5, v5, v6
	v_mov_b32_e32 v6, 0xff
	v_bfe_u32 v7, v5, 23, 8
	s_delay_alu instid0(VALU_DEP_1)
	v_cmpx_ne_u32_e32 0xff, v7
; %bb.650:
	v_and_b32_e32 v6, 0x400000, v5
	v_and_or_b32 v7, 0x3fffff, v5, v7
	v_lshrrev_b32_e32 v5, 23, v5
	s_delay_alu instid0(VALU_DEP_3) | instskip(NEXT) | instid1(VALU_DEP_3)
	v_cmp_ne_u32_e32 vcc_lo, 0, v6
	v_cmp_ne_u32_e64 s0, 0, v7
	s_delay_alu instid0(VALU_DEP_1) | instskip(NEXT) | instid1(SALU_CYCLE_1)
	s_and_b32 s0, vcc_lo, s0
	v_cndmask_b32_e64 v6, 0, 1, s0
	s_delay_alu instid0(VALU_DEP_1)
	v_add_nc_u32_e32 v6, v5, v6
; %bb.651:
	s_or_b32 exec_lo, exec_lo, s24
	s_mov_b32 s0, 0
	global_store_b8 v[2:3], v6, off
.LBB304_652:
	s_mov_b32 s24, 0
.LBB304_653:
	s_delay_alu instid0(SALU_CYCLE_1)
	s_and_b32 vcc_lo, exec_lo, s24
	s_cbranch_vccz .LBB304_656
; %bb.654:
	v_cmp_eq_u16_e32 vcc_lo, 29, v4
	s_mov_b32 s0, -1
	s_cbranch_vccz .LBB304_656
; %bb.655:
	s_mov_b32 s1, -1
	s_mov_b32 s0, 0
	global_store_b64 v[2:3], v[0:1], off
.LBB304_656:
	s_mov_b32 s24, 0
.LBB304_657:
	s_delay_alu instid0(SALU_CYCLE_1)
	s_and_b32 vcc_lo, exec_lo, s24
	s_cbranch_vccz .LBB304_673
; %bb.658:
	v_cmp_gt_i16_e32 vcc_lo, 27, v4
	s_mov_b32 s1, -1
	s_cbranch_vccnz .LBB304_664
; %bb.659:
	v_cmp_lt_i16_e32 vcc_lo, 27, v4
	s_cbranch_vccz .LBB304_661
; %bb.660:
	s_mov_b32 s1, 0
	global_store_b32 v[2:3], v0, off
.LBB304_661:
	s_and_not1_b32 vcc_lo, exec_lo, s1
	s_cbranch_vccnz .LBB304_663
; %bb.662:
	global_store_b16 v[2:3], v0, off
.LBB304_663:
	s_mov_b32 s1, 0
.LBB304_664:
	s_delay_alu instid0(SALU_CYCLE_1)
	s_and_not1_b32 vcc_lo, exec_lo, s1
	s_cbranch_vccnz .LBB304_672
; %bb.665:
	v_xor_b32_e32 v5, v0, v1
	v_cls_i32_e32 v6, v1
	s_mov_b32 s1, exec_lo
	s_delay_alu instid0(VALU_DEP_2) | instskip(NEXT) | instid1(VALU_DEP_2)
	v_ashrrev_i32_e32 v5, 31, v5
	v_add_nc_u32_e32 v6, -1, v6
	s_delay_alu instid0(VALU_DEP_2) | instskip(NEXT) | instid1(VALU_DEP_1)
	v_add_nc_u32_e32 v5, 32, v5
	v_min_u32_e32 v7, v6, v5
	s_delay_alu instid0(VALU_DEP_1) | instskip(NEXT) | instid1(VALU_DEP_1)
	v_lshlrev_b64 v[5:6], v7, v[0:1]
	v_min_u32_e32 v5, 1, v5
	s_delay_alu instid0(VALU_DEP_1) | instskip(SKIP_2) | instid1(VALU_DEP_3)
	v_or_b32_e32 v5, v6, v5
	v_sub_nc_u32_e32 v6, 32, v7
	v_mov_b32_e32 v7, 0x80
	v_cvt_f32_i32_e32 v5, v5
	s_delay_alu instid0(VALU_DEP_1) | instskip(NEXT) | instid1(VALU_DEP_1)
	v_ldexp_f32 v5, v5, v6
	v_and_b32_e32 v6, 0x7fffffff, v5
	s_delay_alu instid0(VALU_DEP_1)
	v_cmpx_gt_u32_e32 0x43800000, v6
	s_cbranch_execz .LBB304_671
; %bb.666:
	v_cmp_lt_u32_e32 vcc_lo, 0x3bffffff, v6
	s_mov_b32 s24, 0
                                        ; implicit-def: $vgpr6
	s_and_saveexec_b32 s25, vcc_lo
	s_delay_alu instid0(SALU_CYCLE_1)
	s_xor_b32 s25, exec_lo, s25
	s_cbranch_execz .LBB304_773
; %bb.667:
	v_bfe_u32 v6, v5, 20, 1
	s_mov_b32 s24, exec_lo
	s_delay_alu instid0(VALU_DEP_1) | instskip(NEXT) | instid1(VALU_DEP_1)
	v_add3_u32 v6, v5, v6, 0x487ffff
	v_lshrrev_b32_e32 v6, 20, v6
	s_or_saveexec_b32 s25, s25
                                        ; implicit-def: $sgpr26
	s_delay_alu instid0(SALU_CYCLE_1)
	s_xor_b32 exec_lo, exec_lo, s25
	s_cbranch_execnz .LBB304_774
.LBB304_668:
	s_or_b32 exec_lo, exec_lo, s25
	v_mov_b32_e32 v7, s26
	s_and_saveexec_b32 s25, s24
.LBB304_669:
	v_lshrrev_b32_e32 v5, 24, v5
	s_delay_alu instid0(VALU_DEP_1)
	v_and_or_b32 v7, 0x80, v5, v6
.LBB304_670:
	s_or_b32 exec_lo, exec_lo, s25
.LBB304_671:
	s_delay_alu instid0(SALU_CYCLE_1)
	s_or_b32 exec_lo, exec_lo, s1
	global_store_b8 v[2:3], v7, off
.LBB304_672:
	s_mov_b32 s1, -1
.LBB304_673:
	s_mov_b32 s24, 0
.LBB304_674:
	s_delay_alu instid0(SALU_CYCLE_1)
	s_and_b32 vcc_lo, exec_lo, s24
	s_cbranch_vccz .LBB304_715
; %bb.675:
	v_cmp_lt_i16_e32 vcc_lo, 22, v4
	s_mov_b32 s24, -1
	s_cbranch_vccz .LBB304_707
; %bb.676:
	v_cmp_gt_i16_e32 vcc_lo, 24, v4
	s_mov_b32 s1, -1
	s_cbranch_vccnz .LBB304_696
; %bb.677:
	v_cmp_lt_i16_e32 vcc_lo, 24, v4
	s_cbranch_vccz .LBB304_685
; %bb.678:
	v_xor_b32_e32 v5, v0, v1
	v_cls_i32_e32 v6, v1
	s_mov_b32 s1, exec_lo
	s_delay_alu instid0(VALU_DEP_2) | instskip(NEXT) | instid1(VALU_DEP_2)
	v_ashrrev_i32_e32 v5, 31, v5
	v_add_nc_u32_e32 v6, -1, v6
	s_delay_alu instid0(VALU_DEP_2) | instskip(NEXT) | instid1(VALU_DEP_1)
	v_add_nc_u32_e32 v5, 32, v5
	v_min_u32_e32 v7, v6, v5
	s_delay_alu instid0(VALU_DEP_1) | instskip(NEXT) | instid1(VALU_DEP_1)
	v_lshlrev_b64 v[5:6], v7, v[0:1]
	v_min_u32_e32 v5, 1, v5
	s_delay_alu instid0(VALU_DEP_1) | instskip(SKIP_2) | instid1(VALU_DEP_3)
	v_or_b32_e32 v5, v6, v5
	v_sub_nc_u32_e32 v6, 32, v7
	v_mov_b32_e32 v7, 0x80
	v_cvt_f32_i32_e32 v5, v5
	s_delay_alu instid0(VALU_DEP_1) | instskip(NEXT) | instid1(VALU_DEP_1)
	v_ldexp_f32 v5, v5, v6
	v_and_b32_e32 v6, 0x7fffffff, v5
	s_delay_alu instid0(VALU_DEP_1)
	v_cmpx_gt_u32_e32 0x47800000, v6
	s_cbranch_execz .LBB304_684
; %bb.679:
	v_cmp_lt_u32_e32 vcc_lo, 0x37ffffff, v6
	s_mov_b32 s24, 0
                                        ; implicit-def: $vgpr6
	s_and_saveexec_b32 s25, vcc_lo
	s_delay_alu instid0(SALU_CYCLE_1)
	s_xor_b32 s25, exec_lo, s25
	s_cbranch_execz .LBB304_776
; %bb.680:
	v_bfe_u32 v6, v5, 21, 1
	s_mov_b32 s24, exec_lo
	s_delay_alu instid0(VALU_DEP_1) | instskip(NEXT) | instid1(VALU_DEP_1)
	v_add3_u32 v6, v5, v6, 0x88fffff
	v_lshrrev_b32_e32 v6, 21, v6
	s_or_saveexec_b32 s25, s25
                                        ; implicit-def: $sgpr26
	s_delay_alu instid0(SALU_CYCLE_1)
	s_xor_b32 exec_lo, exec_lo, s25
	s_cbranch_execnz .LBB304_777
.LBB304_681:
	s_or_b32 exec_lo, exec_lo, s25
	v_mov_b32_e32 v7, s26
	s_and_saveexec_b32 s25, s24
.LBB304_682:
	v_lshrrev_b32_e32 v5, 24, v5
	s_delay_alu instid0(VALU_DEP_1)
	v_and_or_b32 v7, 0x80, v5, v6
.LBB304_683:
	s_or_b32 exec_lo, exec_lo, s25
.LBB304_684:
	s_delay_alu instid0(SALU_CYCLE_1)
	s_or_b32 exec_lo, exec_lo, s1
	s_mov_b32 s1, 0
	global_store_b8 v[2:3], v7, off
.LBB304_685:
	s_and_b32 vcc_lo, exec_lo, s1
	s_cbranch_vccz .LBB304_695
; %bb.686:
	v_xor_b32_e32 v5, v0, v1
	v_cls_i32_e32 v6, v1
	s_mov_b32 s1, exec_lo
	s_delay_alu instid0(VALU_DEP_2) | instskip(NEXT) | instid1(VALU_DEP_2)
	v_ashrrev_i32_e32 v5, 31, v5
	v_add_nc_u32_e32 v6, -1, v6
	s_delay_alu instid0(VALU_DEP_2) | instskip(NEXT) | instid1(VALU_DEP_1)
	v_add_nc_u32_e32 v5, 32, v5
	v_min_u32_e32 v7, v6, v5
	s_delay_alu instid0(VALU_DEP_1) | instskip(NEXT) | instid1(VALU_DEP_1)
	v_lshlrev_b64 v[5:6], v7, v[0:1]
	v_min_u32_e32 v5, 1, v5
	s_delay_alu instid0(VALU_DEP_1) | instskip(SKIP_1) | instid1(VALU_DEP_2)
	v_or_b32_e32 v5, v6, v5
	v_sub_nc_u32_e32 v6, 32, v7
	v_cvt_f32_i32_e32 v5, v5
	s_delay_alu instid0(VALU_DEP_1) | instskip(NEXT) | instid1(VALU_DEP_1)
	v_ldexp_f32 v5, v5, v6
                                        ; implicit-def: $vgpr6
	v_and_b32_e32 v7, 0x7fffffff, v5
	s_delay_alu instid0(VALU_DEP_1)
	v_cmpx_gt_u32_e32 0x43f00000, v7
	s_xor_b32 s1, exec_lo, s1
	s_cbranch_execz .LBB304_692
; %bb.687:
	s_mov_b32 s24, exec_lo
                                        ; implicit-def: $vgpr6
	v_cmpx_lt_u32_e32 0x3c7fffff, v7
	s_xor_b32 s24, exec_lo, s24
; %bb.688:
	v_bfe_u32 v6, v5, 20, 1
	s_delay_alu instid0(VALU_DEP_1) | instskip(NEXT) | instid1(VALU_DEP_1)
	v_add3_u32 v6, v5, v6, 0x407ffff
	v_and_b32_e32 v7, 0xff00000, v6
	v_lshrrev_b32_e32 v6, 20, v6
	s_delay_alu instid0(VALU_DEP_2) | instskip(NEXT) | instid1(VALU_DEP_2)
	v_cmp_ne_u32_e32 vcc_lo, 0x7f00000, v7
	v_cndmask_b32_e32 v6, 0x7e, v6, vcc_lo
; %bb.689:
	s_and_not1_saveexec_b32 s24, s24
; %bb.690:
	v_add_f32_e64 v6, 0x46800000, |v5|
; %bb.691:
	s_or_b32 exec_lo, exec_lo, s24
                                        ; implicit-def: $vgpr7
.LBB304_692:
	s_and_not1_saveexec_b32 s1, s1
; %bb.693:
	v_mov_b32_e32 v6, 0x7f
	v_cmp_lt_u32_e32 vcc_lo, 0x7f800000, v7
	s_delay_alu instid0(VALU_DEP_2)
	v_cndmask_b32_e32 v6, 0x7e, v6, vcc_lo
; %bb.694:
	s_or_b32 exec_lo, exec_lo, s1
	v_lshrrev_b32_e32 v5, 24, v5
	s_delay_alu instid0(VALU_DEP_1)
	v_and_or_b32 v5, 0x80, v5, v6
	global_store_b8 v[2:3], v5, off
.LBB304_695:
	s_mov_b32 s1, 0
.LBB304_696:
	s_delay_alu instid0(SALU_CYCLE_1)
	s_and_not1_b32 vcc_lo, exec_lo, s1
	s_cbranch_vccnz .LBB304_706
; %bb.697:
	v_xor_b32_e32 v5, v0, v1
	v_cls_i32_e32 v6, v1
	s_mov_b32 s1, exec_lo
	s_delay_alu instid0(VALU_DEP_2) | instskip(NEXT) | instid1(VALU_DEP_2)
	v_ashrrev_i32_e32 v5, 31, v5
	v_add_nc_u32_e32 v6, -1, v6
	s_delay_alu instid0(VALU_DEP_2) | instskip(NEXT) | instid1(VALU_DEP_1)
	v_add_nc_u32_e32 v5, 32, v5
	v_min_u32_e32 v7, v6, v5
	s_delay_alu instid0(VALU_DEP_1) | instskip(NEXT) | instid1(VALU_DEP_1)
	v_lshlrev_b64 v[5:6], v7, v[0:1]
	v_min_u32_e32 v5, 1, v5
	s_delay_alu instid0(VALU_DEP_1) | instskip(SKIP_1) | instid1(VALU_DEP_2)
	v_or_b32_e32 v5, v6, v5
	v_sub_nc_u32_e32 v6, 32, v7
	v_cvt_f32_i32_e32 v5, v5
	s_delay_alu instid0(VALU_DEP_1) | instskip(NEXT) | instid1(VALU_DEP_1)
	v_ldexp_f32 v5, v5, v6
                                        ; implicit-def: $vgpr6
	v_and_b32_e32 v7, 0x7fffffff, v5
	s_delay_alu instid0(VALU_DEP_1)
	v_cmpx_gt_u32_e32 0x47800000, v7
	s_xor_b32 s1, exec_lo, s1
	s_cbranch_execz .LBB304_703
; %bb.698:
	s_mov_b32 s24, exec_lo
                                        ; implicit-def: $vgpr6
	v_cmpx_lt_u32_e32 0x387fffff, v7
	s_xor_b32 s24, exec_lo, s24
; %bb.699:
	v_bfe_u32 v6, v5, 21, 1
	s_delay_alu instid0(VALU_DEP_1) | instskip(NEXT) | instid1(VALU_DEP_1)
	v_add3_u32 v6, v5, v6, 0x80fffff
	v_lshrrev_b32_e32 v6, 21, v6
; %bb.700:
	s_and_not1_saveexec_b32 s24, s24
; %bb.701:
	v_add_f32_e64 v6, 0x43000000, |v5|
; %bb.702:
	s_or_b32 exec_lo, exec_lo, s24
                                        ; implicit-def: $vgpr7
.LBB304_703:
	s_and_not1_saveexec_b32 s1, s1
; %bb.704:
	v_mov_b32_e32 v6, 0x7f
	v_cmp_lt_u32_e32 vcc_lo, 0x7f800000, v7
	s_delay_alu instid0(VALU_DEP_2)
	v_cndmask_b32_e32 v6, 0x7c, v6, vcc_lo
; %bb.705:
	s_or_b32 exec_lo, exec_lo, s1
	v_lshrrev_b32_e32 v5, 24, v5
	s_delay_alu instid0(VALU_DEP_1)
	v_and_or_b32 v5, 0x80, v5, v6
	global_store_b8 v[2:3], v5, off
.LBB304_706:
	s_mov_b32 s24, 0
	s_mov_b32 s1, -1
.LBB304_707:
	s_and_not1_b32 vcc_lo, exec_lo, s24
	s_cbranch_vccnz .LBB304_715
; %bb.708:
	v_cmp_lt_i16_e32 vcc_lo, 14, v4
	s_mov_b32 s24, -1
	s_cbranch_vccz .LBB304_712
; %bb.709:
	v_cmp_eq_u16_e32 vcc_lo, 15, v4
	s_mov_b32 s0, -1
	s_cbranch_vccz .LBB304_711
; %bb.710:
	v_xor_b32_e32 v5, v0, v1
	v_cls_i32_e32 v6, v1
	s_mov_b32 s1, -1
	s_mov_b32 s0, 0
	s_delay_alu instid0(VALU_DEP_2) | instskip(NEXT) | instid1(VALU_DEP_2)
	v_ashrrev_i32_e32 v5, 31, v5
	v_add_nc_u32_e32 v6, -1, v6
	s_delay_alu instid0(VALU_DEP_2) | instskip(NEXT) | instid1(VALU_DEP_1)
	v_add_nc_u32_e32 v5, 32, v5
	v_min_u32_e32 v7, v6, v5
	s_delay_alu instid0(VALU_DEP_1) | instskip(NEXT) | instid1(VALU_DEP_1)
	v_lshlrev_b64 v[5:6], v7, v[0:1]
	v_min_u32_e32 v5, 1, v5
	s_delay_alu instid0(VALU_DEP_1) | instskip(SKIP_1) | instid1(VALU_DEP_2)
	v_or_b32_e32 v5, v6, v5
	v_sub_nc_u32_e32 v6, 32, v7
	v_cvt_f32_i32_e32 v5, v5
	s_delay_alu instid0(VALU_DEP_1) | instskip(NEXT) | instid1(VALU_DEP_1)
	v_ldexp_f32 v5, v5, v6
	v_bfe_u32 v6, v5, 16, 1
	s_delay_alu instid0(VALU_DEP_1)
	v_add3_u32 v5, v5, v6, 0x7fff
	global_store_d16_hi_b16 v[2:3], v5, off
.LBB304_711:
	s_mov_b32 s24, 0
.LBB304_712:
	s_delay_alu instid0(SALU_CYCLE_1)
	s_and_b32 vcc_lo, exec_lo, s24
	s_cbranch_vccz .LBB304_715
; %bb.713:
	v_cmp_eq_u16_e32 vcc_lo, 11, v4
	s_mov_b32 s0, -1
	s_cbranch_vccz .LBB304_715
; %bb.714:
	v_cmp_ne_u64_e32 vcc_lo, 0, v[0:1]
	s_mov_b32 s1, -1
	s_mov_b32 s0, 0
	v_cndmask_b32_e64 v5, 0, 1, vcc_lo
	global_store_b8 v[2:3], v5, off
.LBB304_715:
	s_mov_b32 s24, 0
.LBB304_716:
	s_delay_alu instid0(SALU_CYCLE_1)
	s_and_b32 vcc_lo, exec_lo, s24
	s_cbranch_vccz .LBB304_755
; %bb.717:
	v_cmp_gt_i16_e32 vcc_lo, 5, v4
	s_mov_b32 s1, -1
	s_cbranch_vccnz .LBB304_738
; %bb.718:
	v_cmp_gt_i16_e32 vcc_lo, 8, v4
	s_cbranch_vccnz .LBB304_728
; %bb.719:
	v_cmp_gt_i16_e32 vcc_lo, 9, v4
	s_cbranch_vccnz .LBB304_725
; %bb.720:
	v_cmp_lt_i16_e32 vcc_lo, 9, v4
	s_cbranch_vccz .LBB304_722
; %bb.721:
	v_cvt_f64_i32_e32 v[5:6], v1
	v_cvt_f64_u32_e32 v[7:8], v0
	s_mov_b32 s1, 0
	s_delay_alu instid0(VALU_DEP_2) | instskip(NEXT) | instid1(VALU_DEP_1)
	v_ldexp_f64 v[5:6], v[5:6], 32
	v_add_f64 v[5:6], v[5:6], v[7:8]
	v_mov_b32_e32 v7, 0
	s_delay_alu instid0(VALU_DEP_1)
	v_mov_b32_e32 v8, v7
	global_store_b128 v[2:3], v[5:8], off
.LBB304_722:
	s_and_not1_b32 vcc_lo, exec_lo, s1
	s_cbranch_vccnz .LBB304_724
; %bb.723:
	v_xor_b32_e32 v5, v0, v1
	v_cls_i32_e32 v6, v1
	s_delay_alu instid0(VALU_DEP_2) | instskip(NEXT) | instid1(VALU_DEP_2)
	v_ashrrev_i32_e32 v5, 31, v5
	v_add_nc_u32_e32 v6, -1, v6
	s_delay_alu instid0(VALU_DEP_2) | instskip(NEXT) | instid1(VALU_DEP_1)
	v_add_nc_u32_e32 v5, 32, v5
	v_min_u32_e32 v7, v6, v5
	s_delay_alu instid0(VALU_DEP_1) | instskip(NEXT) | instid1(VALU_DEP_1)
	v_lshlrev_b64 v[5:6], v7, v[0:1]
	v_min_u32_e32 v5, 1, v5
	s_delay_alu instid0(VALU_DEP_1) | instskip(SKIP_1) | instid1(VALU_DEP_2)
	v_or_b32_e32 v5, v6, v5
	v_sub_nc_u32_e32 v6, 32, v7
	v_cvt_f32_i32_e32 v5, v5
	s_delay_alu instid0(VALU_DEP_1)
	v_ldexp_f32 v5, v5, v6
	v_mov_b32_e32 v6, 0
	global_store_b64 v[2:3], v[5:6], off
.LBB304_724:
	s_mov_b32 s1, 0
.LBB304_725:
	s_delay_alu instid0(SALU_CYCLE_1)
	s_and_not1_b32 vcc_lo, exec_lo, s1
	s_cbranch_vccnz .LBB304_727
; %bb.726:
	v_xor_b32_e32 v5, v0, v1
	v_cls_i32_e32 v6, v1
	s_delay_alu instid0(VALU_DEP_2) | instskip(NEXT) | instid1(VALU_DEP_2)
	v_ashrrev_i32_e32 v5, 31, v5
	v_add_nc_u32_e32 v6, -1, v6
	s_delay_alu instid0(VALU_DEP_2) | instskip(NEXT) | instid1(VALU_DEP_1)
	v_add_nc_u32_e32 v5, 32, v5
	v_min_u32_e32 v7, v6, v5
	s_delay_alu instid0(VALU_DEP_1) | instskip(NEXT) | instid1(VALU_DEP_1)
	v_lshlrev_b64 v[5:6], v7, v[0:1]
	v_min_u32_e32 v5, 1, v5
	s_delay_alu instid0(VALU_DEP_1) | instskip(SKIP_1) | instid1(VALU_DEP_2)
	v_or_b32_e32 v5, v6, v5
	v_sub_nc_u32_e32 v6, 32, v7
	v_cvt_f32_i32_e32 v5, v5
	s_delay_alu instid0(VALU_DEP_1) | instskip(NEXT) | instid1(VALU_DEP_1)
	v_ldexp_f32 v5, v5, v6
	v_cvt_f16_f32_e32 v5, v5
	s_delay_alu instid0(VALU_DEP_1)
	v_and_b32_e32 v5, 0xffff, v5
	global_store_b32 v[2:3], v5, off
.LBB304_727:
	s_mov_b32 s1, 0
.LBB304_728:
	s_delay_alu instid0(SALU_CYCLE_1)
	s_and_not1_b32 vcc_lo, exec_lo, s1
	s_cbranch_vccnz .LBB304_737
; %bb.729:
	v_cmp_gt_i16_e32 vcc_lo, 6, v4
	s_mov_b32 s1, -1
	s_cbranch_vccnz .LBB304_735
; %bb.730:
	v_cmp_lt_i16_e32 vcc_lo, 6, v4
	s_cbranch_vccz .LBB304_732
; %bb.731:
	v_cvt_f64_i32_e32 v[5:6], v1
	v_cvt_f64_u32_e32 v[7:8], v0
	s_mov_b32 s1, 0
	s_delay_alu instid0(VALU_DEP_2) | instskip(NEXT) | instid1(VALU_DEP_1)
	v_ldexp_f64 v[5:6], v[5:6], 32
	v_add_f64 v[5:6], v[5:6], v[7:8]
	global_store_b64 v[2:3], v[5:6], off
.LBB304_732:
	s_and_not1_b32 vcc_lo, exec_lo, s1
	s_cbranch_vccnz .LBB304_734
; %bb.733:
	v_xor_b32_e32 v5, v0, v1
	v_cls_i32_e32 v6, v1
	s_delay_alu instid0(VALU_DEP_2) | instskip(NEXT) | instid1(VALU_DEP_2)
	v_ashrrev_i32_e32 v5, 31, v5
	v_add_nc_u32_e32 v6, -1, v6
	s_delay_alu instid0(VALU_DEP_2) | instskip(NEXT) | instid1(VALU_DEP_1)
	v_add_nc_u32_e32 v5, 32, v5
	v_min_u32_e32 v7, v6, v5
	s_delay_alu instid0(VALU_DEP_1) | instskip(NEXT) | instid1(VALU_DEP_1)
	v_lshlrev_b64 v[5:6], v7, v[0:1]
	v_min_u32_e32 v5, 1, v5
	s_delay_alu instid0(VALU_DEP_1) | instskip(SKIP_1) | instid1(VALU_DEP_2)
	v_or_b32_e32 v5, v6, v5
	v_sub_nc_u32_e32 v6, 32, v7
	v_cvt_f32_i32_e32 v5, v5
	s_delay_alu instid0(VALU_DEP_1)
	v_ldexp_f32 v5, v5, v6
	global_store_b32 v[2:3], v5, off
.LBB304_734:
	s_mov_b32 s1, 0
.LBB304_735:
	s_delay_alu instid0(SALU_CYCLE_1)
	s_and_not1_b32 vcc_lo, exec_lo, s1
	s_cbranch_vccnz .LBB304_737
; %bb.736:
	v_xor_b32_e32 v5, v0, v1
	v_cls_i32_e32 v6, v1
	s_delay_alu instid0(VALU_DEP_2) | instskip(NEXT) | instid1(VALU_DEP_2)
	v_ashrrev_i32_e32 v5, 31, v5
	v_add_nc_u32_e32 v6, -1, v6
	s_delay_alu instid0(VALU_DEP_2) | instskip(NEXT) | instid1(VALU_DEP_1)
	v_add_nc_u32_e32 v5, 32, v5
	v_min_u32_e32 v7, v6, v5
	s_delay_alu instid0(VALU_DEP_1) | instskip(NEXT) | instid1(VALU_DEP_1)
	v_lshlrev_b64 v[5:6], v7, v[0:1]
	v_min_u32_e32 v5, 1, v5
	s_delay_alu instid0(VALU_DEP_1) | instskip(SKIP_1) | instid1(VALU_DEP_2)
	v_or_b32_e32 v5, v6, v5
	v_sub_nc_u32_e32 v6, 32, v7
	v_cvt_f32_i32_e32 v5, v5
	s_delay_alu instid0(VALU_DEP_1) | instskip(NEXT) | instid1(VALU_DEP_1)
	v_ldexp_f32 v5, v5, v6
	v_cvt_f16_f32_e32 v5, v5
	global_store_b16 v[2:3], v5, off
.LBB304_737:
	s_mov_b32 s1, 0
.LBB304_738:
	s_delay_alu instid0(SALU_CYCLE_1)
	s_and_not1_b32 vcc_lo, exec_lo, s1
	s_cbranch_vccnz .LBB304_754
; %bb.739:
	v_cmp_gt_i16_e32 vcc_lo, 2, v4
	s_mov_b32 s1, -1
	s_cbranch_vccnz .LBB304_749
; %bb.740:
	v_cmp_gt_i16_e32 vcc_lo, 3, v4
	s_cbranch_vccnz .LBB304_746
; %bb.741:
	v_cmp_lt_i16_e32 vcc_lo, 3, v4
	s_cbranch_vccz .LBB304_743
; %bb.742:
	s_mov_b32 s1, 0
	global_store_b64 v[2:3], v[0:1], off
.LBB304_743:
	s_and_not1_b32 vcc_lo, exec_lo, s1
	s_cbranch_vccnz .LBB304_745
; %bb.744:
	global_store_b32 v[2:3], v0, off
.LBB304_745:
	s_mov_b32 s1, 0
.LBB304_746:
	s_delay_alu instid0(SALU_CYCLE_1)
	s_and_not1_b32 vcc_lo, exec_lo, s1
	s_cbranch_vccnz .LBB304_748
; %bb.747:
	global_store_b16 v[2:3], v0, off
.LBB304_748:
	s_mov_b32 s1, 0
.LBB304_749:
	s_delay_alu instid0(SALU_CYCLE_1)
	s_and_not1_b32 vcc_lo, exec_lo, s1
	s_cbranch_vccnz .LBB304_754
; %bb.750:
	v_cmp_lt_i16_e32 vcc_lo, 0, v4
	s_mov_b32 s1, -1
	s_cbranch_vccz .LBB304_752
; %bb.751:
	s_mov_b32 s1, 0
	global_store_b8 v[2:3], v0, off
.LBB304_752:
	s_and_not1_b32 vcc_lo, exec_lo, s1
	s_cbranch_vccnz .LBB304_754
; %bb.753:
	global_store_b8 v[2:3], v0, off
.LBB304_754:
	s_mov_b32 s1, -1
.LBB304_755:
	s_delay_alu instid0(SALU_CYCLE_1)
	s_and_not1_b32 vcc_lo, exec_lo, s1
	s_cbranch_vccnz .LBB304_757
; %bb.756:
	v_add_nc_u32_e32 v10, 0x80, v10
	s_mov_b32 s1, -1
	s_branch .LBB304_759
.LBB304_757:
	s_mov_b32 s1, 0
.LBB304_758:
                                        ; implicit-def: $vgpr10
.LBB304_759:
	s_and_not1_b32 s24, s20, exec_lo
	s_and_b32 s0, s0, exec_lo
	s_and_not1_b32 s25, s19, exec_lo
	s_and_b32 s23, s23, exec_lo
	s_or_b32 s24, s24, s0
	s_or_b32 s23, s25, s23
	s_or_not1_b32 s0, s1, exec_lo
.LBB304_760:
	s_or_b32 exec_lo, exec_lo, s22
	s_mov_b32 s1, 0
	s_mov_b32 s25, 0
	s_mov_b32 s26, 0
                                        ; implicit-def: $vgpr0_vgpr1
                                        ; implicit-def: $vgpr4_vgpr5
	s_and_saveexec_b32 s22, s0
	s_cbranch_execz .LBB304_841
; %bb.761:
	v_cmp_gt_i32_e32 vcc_lo, s16, v10
	s_mov_b32 s0, 0
	s_mov_b32 s27, s23
	s_mov_b32 s28, 0
                                        ; implicit-def: $vgpr0_vgpr1
                                        ; implicit-def: $vgpr4_vgpr5
	s_and_saveexec_b32 s16, vcc_lo
	s_cbranch_execz .LBB304_840
; %bb.762:
	v_mul_lo_u32 v0, v10, s3
	v_cmp_gt_i16_e32 vcc_lo, 11, v11
	s_delay_alu instid0(VALU_DEP_2) | instskip(SKIP_1) | instid1(VALU_DEP_1)
	v_ashrrev_i32_e32 v1, 31, v0
	v_add_co_u32 v0, s0, s6, v0
	v_add_co_ci_u32_e64 v1, s0, s7, v1, s0
	s_cbranch_vccnz .LBB304_769
; %bb.763:
	v_cmp_lt_i16_e32 vcc_lo, 25, v11
	s_cbranch_vccz .LBB304_770
; %bb.764:
	v_cmp_lt_i16_e32 vcc_lo, 28, v11
	s_cbranch_vccz .LBB304_771
	;; [unrolled: 3-line block ×4, first 2 shown]
; %bb.767:
	v_cmp_eq_u16_e32 vcc_lo, 46, v11
	s_cbranch_vccz .LBB304_778
; %bb.768:
	global_load_b32 v2, v[0:1], off
	s_mov_b32 s0, -1
	s_waitcnt vmcnt(0)
	v_lshlrev_b32_e32 v2, 16, v2
	s_delay_alu instid0(VALU_DEP_1) | instskip(NEXT) | instid1(VALU_DEP_1)
	v_trunc_f32_e32 v2, v2
	v_mul_f32_e64 v3, 0x2f800000, |v2|
	s_delay_alu instid0(VALU_DEP_1) | instskip(NEXT) | instid1(VALU_DEP_1)
	v_floor_f32_e32 v3, v3
	v_fma_f32 v4, 0xcf800000, v3, |v2|
	v_ashrrev_i32_e32 v2, 31, v2
	v_cvt_u32_f32_e32 v3, v3
	s_delay_alu instid0(VALU_DEP_3) | instskip(NEXT) | instid1(VALU_DEP_2)
	v_cvt_u32_f32_e32 v4, v4
	v_xor_b32_e32 v3, v3, v2
	s_delay_alu instid0(VALU_DEP_2) | instskip(NEXT) | instid1(VALU_DEP_1)
	v_xor_b32_e32 v4, v4, v2
	v_sub_co_u32 v4, vcc_lo, v4, v2
	s_delay_alu instid0(VALU_DEP_3)
	v_sub_co_ci_u32_e32 v5, vcc_lo, v3, v2, vcc_lo
	s_branch .LBB304_780
.LBB304_769:
	s_mov_b32 s1, -1
	s_mov_b32 s0, 0
	s_mov_b32 s25, s23
                                        ; implicit-def: $vgpr4_vgpr5
	s_branch .LBB304_839
.LBB304_770:
	s_mov_b32 s1, -1
	s_mov_b32 s0, 0
	s_mov_b32 s25, s23
                                        ; implicit-def: $vgpr4_vgpr5
	s_branch .LBB304_809
.LBB304_771:
	s_mov_b32 s1, -1
	s_mov_b32 s0, 0
	s_mov_b32 s25, s23
                                        ; implicit-def: $vgpr4_vgpr5
	s_branch .LBB304_790
.LBB304_772:
	s_mov_b32 s1, -1
	s_mov_b32 s0, 0
	s_mov_b32 s25, s23
                                        ; implicit-def: $vgpr4_vgpr5
	s_branch .LBB304_785
.LBB304_773:
	s_or_saveexec_b32 s25, s25
                                        ; implicit-def: $sgpr26
	s_delay_alu instid0(SALU_CYCLE_1)
	s_xor_b32 exec_lo, exec_lo, s25
	s_cbranch_execz .LBB304_668
.LBB304_774:
	v_add_f32_e64 v6, 0x46000000, |v5|
	s_and_not1_b32 s24, s24, exec_lo
	s_mov_b32 s26, 0
	s_delay_alu instid0(VALU_DEP_1) | instskip(NEXT) | instid1(VALU_DEP_1)
	v_and_b32_e32 v6, 0xff, v6
	v_cmp_ne_u32_e32 vcc_lo, 0, v6
	s_and_b32 s27, vcc_lo, exec_lo
	s_delay_alu instid0(SALU_CYCLE_1)
	s_or_b32 s24, s24, s27
	s_or_b32 exec_lo, exec_lo, s25
	v_mov_b32_e32 v7, s26
	s_and_saveexec_b32 s25, s24
	s_cbranch_execnz .LBB304_669
	s_branch .LBB304_670
.LBB304_775:
	s_mov_b32 s1, -1
	s_mov_b32 s0, 0
	s_mov_b32 s25, s23
	s_branch .LBB304_779
.LBB304_776:
	s_or_saveexec_b32 s25, s25
                                        ; implicit-def: $sgpr26
	s_delay_alu instid0(SALU_CYCLE_1)
	s_xor_b32 exec_lo, exec_lo, s25
	s_cbranch_execz .LBB304_681
.LBB304_777:
	v_add_f32_e64 v6, 0x42800000, |v5|
	s_and_not1_b32 s24, s24, exec_lo
	s_mov_b32 s26, 0
	s_delay_alu instid0(VALU_DEP_1) | instskip(NEXT) | instid1(VALU_DEP_1)
	v_and_b32_e32 v6, 0xff, v6
	v_cmp_ne_u32_e32 vcc_lo, 0, v6
	s_and_b32 s27, vcc_lo, exec_lo
	s_delay_alu instid0(SALU_CYCLE_1)
	s_or_b32 s24, s24, s27
	s_or_b32 exec_lo, exec_lo, s25
	v_mov_b32_e32 v7, s26
	s_and_saveexec_b32 s25, s24
	s_cbranch_execnz .LBB304_682
	s_branch .LBB304_683
.LBB304_778:
	s_mov_b32 s25, -1
	s_mov_b32 s0, 0
.LBB304_779:
                                        ; implicit-def: $vgpr4_vgpr5
.LBB304_780:
	s_and_b32 vcc_lo, exec_lo, s1
	s_cbranch_vccz .LBB304_784
; %bb.781:
	v_cmp_eq_u16_e32 vcc_lo, 44, v11
	s_cbranch_vccz .LBB304_783
; %bb.782:
	global_load_u8 v2, v[0:1], off
	s_mov_b32 s25, 0
	s_mov_b32 s0, -1
	s_waitcnt vmcnt(0)
	v_lshlrev_b32_e32 v3, 23, v2
	s_delay_alu instid0(VALU_DEP_1) | instskip(NEXT) | instid1(VALU_DEP_1)
	v_trunc_f32_e32 v3, v3
	v_mul_f32_e64 v4, 0x2f800000, |v3|
	s_delay_alu instid0(VALU_DEP_1) | instskip(NEXT) | instid1(VALU_DEP_1)
	v_floor_f32_e32 v4, v4
	v_fma_f32 v5, 0xcf800000, v4, |v3|
	v_ashrrev_i32_e32 v3, 31, v3
	v_cvt_u32_f32_e32 v4, v4
	s_delay_alu instid0(VALU_DEP_3) | instskip(NEXT) | instid1(VALU_DEP_2)
	v_cvt_u32_f32_e32 v5, v5
	v_xor_b32_e32 v4, v4, v3
	s_delay_alu instid0(VALU_DEP_2) | instskip(NEXT) | instid1(VALU_DEP_1)
	v_xor_b32_e32 v5, v5, v3
	v_sub_co_u32 v6, vcc_lo, v5, v3
	s_delay_alu instid0(VALU_DEP_3) | instskip(SKIP_1) | instid1(VALU_DEP_2)
	v_sub_co_ci_u32_e32 v3, vcc_lo, v4, v3, vcc_lo
	v_cmp_ne_u32_e32 vcc_lo, 0, v2
	v_dual_cndmask_b32 v5, 0, v3 :: v_dual_cndmask_b32 v4, 0, v6
	s_branch .LBB304_784
.LBB304_783:
	s_mov_b32 s25, -1
                                        ; implicit-def: $vgpr4_vgpr5
.LBB304_784:
	s_mov_b32 s1, 0
.LBB304_785:
	s_delay_alu instid0(SALU_CYCLE_1)
	s_and_b32 vcc_lo, exec_lo, s1
	s_cbranch_vccz .LBB304_789
; %bb.786:
	v_cmp_eq_u16_e32 vcc_lo, 29, v11
	s_cbranch_vccz .LBB304_788
; %bb.787:
	global_load_b64 v[4:5], v[0:1], off
	s_mov_b32 s25, 0
	s_mov_b32 s0, -1
	s_branch .LBB304_789
.LBB304_788:
	s_mov_b32 s25, -1
                                        ; implicit-def: $vgpr4_vgpr5
.LBB304_789:
	s_mov_b32 s1, 0
.LBB304_790:
	s_delay_alu instid0(SALU_CYCLE_1)
	s_and_b32 vcc_lo, exec_lo, s1
	s_cbranch_vccz .LBB304_808
; %bb.791:
	v_cmp_gt_i16_e32 vcc_lo, 27, v11
	s_cbranch_vccnz .LBB304_794
; %bb.792:
	v_cmp_lt_i16_e32 vcc_lo, 27, v11
	s_cbranch_vccz .LBB304_795
; %bb.793:
	global_load_b32 v4, v[0:1], off
	s_waitcnt vmcnt(1)
	v_mov_b32_e32 v5, 0
	s_mov_b32 s0, 0
	s_branch .LBB304_796
.LBB304_794:
	s_mov_b32 s0, -1
                                        ; implicit-def: $vgpr4_vgpr5
	s_branch .LBB304_799
.LBB304_795:
	s_mov_b32 s0, -1
                                        ; implicit-def: $vgpr4_vgpr5
.LBB304_796:
	s_delay_alu instid0(SALU_CYCLE_1)
	s_and_not1_b32 vcc_lo, exec_lo, s0
	s_cbranch_vccnz .LBB304_798
; %bb.797:
	global_load_u16 v2, v[0:1], off
	s_mov_b32 s0, 0
	s_waitcnt vmcnt(0)
	v_dual_mov_b32 v5, s0 :: v_dual_and_b32 v4, 0xffff, v2
.LBB304_798:
	s_mov_b32 s0, 0
.LBB304_799:
	s_delay_alu instid0(SALU_CYCLE_1)
	s_and_not1_b32 vcc_lo, exec_lo, s0
	s_cbranch_vccnz .LBB304_807
; %bb.800:
	global_load_u8 v2, v[0:1], off
	s_mov_b32 s27, 0
	s_mov_b32 s28, exec_lo
                                        ; implicit-def: $sgpr0_sgpr1
	s_waitcnt vmcnt(0)
	v_cmpx_lt_i16_e32 0x7f, v2
	s_xor_b32 s28, exec_lo, s28
; %bb.801:
	v_cmp_ne_u16_e32 vcc_lo, 0x80, v2
	s_mov_b64 s[0:1], 0
	s_and_b32 s27, vcc_lo, exec_lo
; %bb.802:
	s_or_saveexec_b32 s28, s28
	v_dual_mov_b32 v5, s1 :: v_dual_mov_b32 v4, s0
	s_xor_b32 exec_lo, exec_lo, s28
; %bb.803:
	v_cmp_ne_u16_e32 vcc_lo, 0, v2
	v_mov_b32_e32 v4, 0
	v_mov_b32_e32 v5, 0
	s_and_not1_b32 s0, s27, exec_lo
	s_and_b32 s1, vcc_lo, exec_lo
	s_delay_alu instid0(SALU_CYCLE_1)
	s_or_b32 s27, s0, s1
; %bb.804:
	s_or_b32 exec_lo, exec_lo, s28
	s_and_saveexec_b32 s0, s27
	s_cbranch_execz .LBB304_806
; %bb.805:
	v_and_b32_e32 v3, 0xffff, v2
	v_lshlrev_b32_e32 v2, 24, v2
	s_delay_alu instid0(VALU_DEP_2) | instskip(NEXT) | instid1(VALU_DEP_2)
	v_and_b32_e32 v4, 7, v3
	v_and_b32_e32 v2, 0x80000000, v2
	s_delay_alu instid0(VALU_DEP_2) | instskip(NEXT) | instid1(VALU_DEP_1)
	v_clz_i32_u32_e32 v5, v4
	v_min_u32_e32 v5, 32, v5
	s_delay_alu instid0(VALU_DEP_1) | instskip(SKIP_1) | instid1(VALU_DEP_2)
	v_subrev_nc_u32_e32 v6, 28, v5
	v_sub_nc_u32_e32 v5, 29, v5
	v_lshlrev_b32_e32 v6, v6, v3
	v_bfe_u32 v3, v3, 3, 4
	s_delay_alu instid0(VALU_DEP_2) | instskip(NEXT) | instid1(VALU_DEP_2)
	v_and_b32_e32 v6, 7, v6
	v_cmp_eq_u32_e32 vcc_lo, 0, v3
	s_delay_alu instid0(VALU_DEP_2) | instskip(NEXT) | instid1(VALU_DEP_1)
	v_dual_cndmask_b32 v3, v3, v5 :: v_dual_cndmask_b32 v4, v4, v6
	v_lshl_add_u32 v3, v3, 23, 0x3b800000
	s_delay_alu instid0(VALU_DEP_2) | instskip(NEXT) | instid1(VALU_DEP_1)
	v_lshlrev_b32_e32 v4, 20, v4
	v_or3_b32 v2, v2, v3, v4
	s_delay_alu instid0(VALU_DEP_1) | instskip(NEXT) | instid1(VALU_DEP_1)
	v_trunc_f32_e32 v2, v2
	v_mul_f32_e64 v3, 0x2f800000, |v2|
	s_delay_alu instid0(VALU_DEP_1) | instskip(NEXT) | instid1(VALU_DEP_1)
	v_floor_f32_e32 v3, v3
	v_fma_f32 v4, 0xcf800000, v3, |v2|
	v_ashrrev_i32_e32 v2, 31, v2
	v_cvt_u32_f32_e32 v3, v3
	s_delay_alu instid0(VALU_DEP_3) | instskip(NEXT) | instid1(VALU_DEP_2)
	v_cvt_u32_f32_e32 v4, v4
	v_xor_b32_e32 v3, v3, v2
	s_delay_alu instid0(VALU_DEP_2) | instskip(NEXT) | instid1(VALU_DEP_1)
	v_xor_b32_e32 v4, v4, v2
	v_sub_co_u32 v4, vcc_lo, v4, v2
	s_delay_alu instid0(VALU_DEP_3)
	v_sub_co_ci_u32_e32 v5, vcc_lo, v3, v2, vcc_lo
.LBB304_806:
	s_or_b32 exec_lo, exec_lo, s0
.LBB304_807:
	s_mov_b32 s0, -1
.LBB304_808:
	s_mov_b32 s1, 0
.LBB304_809:
	s_delay_alu instid0(SALU_CYCLE_1)
	s_and_b32 vcc_lo, exec_lo, s1
	s_cbranch_vccz .LBB304_838
; %bb.810:
	v_cmp_lt_i16_e32 vcc_lo, 22, v11
	s_cbranch_vccz .LBB304_820
; %bb.811:
	v_cmp_gt_i16_e32 vcc_lo, 24, v11
	s_cbranch_vccnz .LBB304_821
; %bb.812:
	v_cmp_lt_i16_e32 vcc_lo, 24, v11
	s_cbranch_vccz .LBB304_822
; %bb.813:
	global_load_u8 v2, v[0:1], off
	s_mov_b32 s27, exec_lo
                                        ; implicit-def: $sgpr0_sgpr1
	s_waitcnt vmcnt(0)
	v_cmpx_lt_i16_e32 0x7f, v2
	s_xor_b32 s27, exec_lo, s27
; %bb.814:
	v_cmp_ne_u16_e32 vcc_lo, 0x80, v2
	s_mov_b64 s[0:1], 0
	s_and_b32 s26, vcc_lo, exec_lo
; %bb.815:
	s_or_saveexec_b32 s27, s27
	v_dual_mov_b32 v5, s1 :: v_dual_mov_b32 v4, s0
	s_xor_b32 exec_lo, exec_lo, s27
; %bb.816:
	v_cmp_ne_u16_e32 vcc_lo, 0, v2
	v_mov_b32_e32 v4, 0
	v_mov_b32_e32 v5, 0
	s_and_not1_b32 s0, s26, exec_lo
	s_and_b32 s1, vcc_lo, exec_lo
	s_delay_alu instid0(SALU_CYCLE_1)
	s_or_b32 s26, s0, s1
; %bb.817:
	s_or_b32 exec_lo, exec_lo, s27
	s_and_saveexec_b32 s0, s26
	s_cbranch_execz .LBB304_819
; %bb.818:
	v_and_b32_e32 v3, 0xffff, v2
	v_lshlrev_b32_e32 v2, 24, v2
	s_delay_alu instid0(VALU_DEP_2) | instskip(NEXT) | instid1(VALU_DEP_2)
	v_and_b32_e32 v4, 3, v3
	v_and_b32_e32 v2, 0x80000000, v2
	s_delay_alu instid0(VALU_DEP_2) | instskip(NEXT) | instid1(VALU_DEP_1)
	v_clz_i32_u32_e32 v5, v4
	v_min_u32_e32 v5, 32, v5
	s_delay_alu instid0(VALU_DEP_1) | instskip(SKIP_1) | instid1(VALU_DEP_2)
	v_subrev_nc_u32_e32 v6, 29, v5
	v_sub_nc_u32_e32 v5, 30, v5
	v_lshlrev_b32_e32 v6, v6, v3
	v_bfe_u32 v3, v3, 2, 5
	s_delay_alu instid0(VALU_DEP_2) | instskip(NEXT) | instid1(VALU_DEP_2)
	v_and_b32_e32 v6, 3, v6
	v_cmp_eq_u32_e32 vcc_lo, 0, v3
	s_delay_alu instid0(VALU_DEP_2) | instskip(NEXT) | instid1(VALU_DEP_1)
	v_dual_cndmask_b32 v3, v3, v5 :: v_dual_cndmask_b32 v4, v4, v6
	v_lshl_add_u32 v3, v3, 23, 0x37800000
	s_delay_alu instid0(VALU_DEP_2) | instskip(NEXT) | instid1(VALU_DEP_1)
	v_lshlrev_b32_e32 v4, 21, v4
	v_or3_b32 v2, v2, v3, v4
	s_delay_alu instid0(VALU_DEP_1) | instskip(NEXT) | instid1(VALU_DEP_1)
	v_trunc_f32_e32 v2, v2
	v_mul_f32_e64 v3, 0x2f800000, |v2|
	s_delay_alu instid0(VALU_DEP_1) | instskip(NEXT) | instid1(VALU_DEP_1)
	v_floor_f32_e32 v3, v3
	v_fma_f32 v4, 0xcf800000, v3, |v2|
	v_ashrrev_i32_e32 v2, 31, v2
	v_cvt_u32_f32_e32 v3, v3
	s_delay_alu instid0(VALU_DEP_3) | instskip(NEXT) | instid1(VALU_DEP_2)
	v_cvt_u32_f32_e32 v4, v4
	v_xor_b32_e32 v3, v3, v2
	s_delay_alu instid0(VALU_DEP_2) | instskip(NEXT) | instid1(VALU_DEP_1)
	v_xor_b32_e32 v4, v4, v2
	v_sub_co_u32 v4, vcc_lo, v4, v2
	s_delay_alu instid0(VALU_DEP_3)
	v_sub_co_ci_u32_e32 v5, vcc_lo, v3, v2, vcc_lo
.LBB304_819:
	s_or_b32 exec_lo, exec_lo, s0
	s_mov_b32 s0, 0
	s_branch .LBB304_823
.LBB304_820:
	s_mov_b32 s1, -1
                                        ; implicit-def: $vgpr4_vgpr5
	s_branch .LBB304_829
.LBB304_821:
	s_mov_b32 s0, -1
                                        ; implicit-def: $vgpr4_vgpr5
	s_branch .LBB304_826
.LBB304_822:
	s_mov_b32 s0, -1
                                        ; implicit-def: $vgpr4_vgpr5
.LBB304_823:
	s_delay_alu instid0(SALU_CYCLE_1)
	s_and_b32 vcc_lo, exec_lo, s0
	s_cbranch_vccz .LBB304_825
; %bb.824:
	global_load_u8 v2, v[0:1], off
	s_waitcnt vmcnt(0)
	v_lshlrev_b32_e32 v2, 24, v2
	s_delay_alu instid0(VALU_DEP_1) | instskip(NEXT) | instid1(VALU_DEP_1)
	v_and_b32_e32 v3, 0x7f000000, v2
	v_clz_i32_u32_e32 v4, v3
	v_add_nc_u32_e32 v6, 0x1000000, v3
	v_cmp_ne_u32_e32 vcc_lo, 0, v3
	s_delay_alu instid0(VALU_DEP_3) | instskip(NEXT) | instid1(VALU_DEP_1)
	v_min_u32_e32 v4, 32, v4
	v_sub_nc_u32_e64 v4, v4, 4 clamp
	s_delay_alu instid0(VALU_DEP_1) | instskip(SKIP_1) | instid1(VALU_DEP_2)
	v_lshlrev_b32_e32 v5, v4, v3
	v_lshlrev_b32_e32 v4, 23, v4
	v_lshrrev_b32_e32 v5, 4, v5
	s_delay_alu instid0(VALU_DEP_1) | instskip(SKIP_1) | instid1(VALU_DEP_2)
	v_sub_nc_u32_e32 v4, v5, v4
	v_ashrrev_i32_e32 v5, 8, v6
	v_add_nc_u32_e32 v4, 0x3c000000, v4
	s_delay_alu instid0(VALU_DEP_1) | instskip(NEXT) | instid1(VALU_DEP_1)
	v_and_or_b32 v4, 0x7f800000, v5, v4
	v_cndmask_b32_e32 v3, 0, v4, vcc_lo
	s_delay_alu instid0(VALU_DEP_1) | instskip(NEXT) | instid1(VALU_DEP_1)
	v_and_or_b32 v2, 0x80000000, v2, v3
	v_trunc_f32_e32 v2, v2
	s_delay_alu instid0(VALU_DEP_1) | instskip(NEXT) | instid1(VALU_DEP_1)
	v_mul_f32_e64 v3, 0x2f800000, |v2|
	v_floor_f32_e32 v3, v3
	s_delay_alu instid0(VALU_DEP_1) | instskip(SKIP_2) | instid1(VALU_DEP_3)
	v_fma_f32 v4, 0xcf800000, v3, |v2|
	v_ashrrev_i32_e32 v2, 31, v2
	v_cvt_u32_f32_e32 v3, v3
	v_cvt_u32_f32_e32 v4, v4
	s_delay_alu instid0(VALU_DEP_2) | instskip(NEXT) | instid1(VALU_DEP_2)
	v_xor_b32_e32 v3, v3, v2
	v_xor_b32_e32 v4, v4, v2
	s_delay_alu instid0(VALU_DEP_1) | instskip(NEXT) | instid1(VALU_DEP_3)
	v_sub_co_u32 v4, vcc_lo, v4, v2
	v_sub_co_ci_u32_e32 v5, vcc_lo, v3, v2, vcc_lo
.LBB304_825:
	s_mov_b32 s0, 0
.LBB304_826:
	s_delay_alu instid0(SALU_CYCLE_1)
	s_and_not1_b32 vcc_lo, exec_lo, s0
	s_cbranch_vccnz .LBB304_828
; %bb.827:
	global_load_u8 v2, v[0:1], off
	s_waitcnt vmcnt(0)
	v_lshlrev_b32_e32 v3, 25, v2
	v_lshlrev_b16 v2, 8, v2
	s_delay_alu instid0(VALU_DEP_2) | instskip(NEXT) | instid1(VALU_DEP_2)
	v_lshrrev_b32_e32 v4, 4, v3
	v_and_or_b32 v5, 0x7f00, v2, 0.5
	v_bfe_i32 v2, v2, 0, 16
	s_delay_alu instid0(VALU_DEP_3) | instskip(NEXT) | instid1(VALU_DEP_1)
	v_or_b32_e32 v4, 0x70000000, v4
	v_dual_add_f32 v5, -0.5, v5 :: v_dual_mul_f32 v4, 0x7800000, v4
	v_cmp_gt_u32_e32 vcc_lo, 0x8000000, v3
	s_delay_alu instid0(VALU_DEP_2) | instskip(NEXT) | instid1(VALU_DEP_1)
	v_cndmask_b32_e32 v3, v4, v5, vcc_lo
	v_and_or_b32 v2, 0x80000000, v2, v3
	s_delay_alu instid0(VALU_DEP_1) | instskip(NEXT) | instid1(VALU_DEP_1)
	v_trunc_f32_e32 v2, v2
	v_mul_f32_e64 v3, 0x2f800000, |v2|
	s_delay_alu instid0(VALU_DEP_1) | instskip(NEXT) | instid1(VALU_DEP_1)
	v_floor_f32_e32 v3, v3
	v_fma_f32 v4, 0xcf800000, v3, |v2|
	v_ashrrev_i32_e32 v2, 31, v2
	v_cvt_u32_f32_e32 v3, v3
	s_delay_alu instid0(VALU_DEP_3) | instskip(NEXT) | instid1(VALU_DEP_2)
	v_cvt_u32_f32_e32 v4, v4
	v_xor_b32_e32 v3, v3, v2
	s_delay_alu instid0(VALU_DEP_2) | instskip(NEXT) | instid1(VALU_DEP_1)
	v_xor_b32_e32 v4, v4, v2
	v_sub_co_u32 v4, vcc_lo, v4, v2
	s_delay_alu instid0(VALU_DEP_3)
	v_sub_co_ci_u32_e32 v5, vcc_lo, v3, v2, vcc_lo
.LBB304_828:
	s_mov_b32 s1, 0
	s_mov_b32 s0, -1
.LBB304_829:
	s_and_not1_b32 vcc_lo, exec_lo, s1
	s_mov_b32 s26, 0
	s_cbranch_vccnz .LBB304_838
; %bb.830:
	v_cmp_lt_i16_e32 vcc_lo, 14, v11
	s_cbranch_vccz .LBB304_833
; %bb.831:
	v_cmp_eq_u16_e32 vcc_lo, 15, v11
	s_cbranch_vccz .LBB304_834
; %bb.832:
	global_load_u16 v2, v[0:1], off
	s_mov_b32 s25, 0
	s_mov_b32 s0, -1
	s_waitcnt vmcnt(0)
	v_lshlrev_b32_e32 v2, 16, v2
	s_delay_alu instid0(VALU_DEP_1) | instskip(NEXT) | instid1(VALU_DEP_1)
	v_trunc_f32_e32 v2, v2
	v_mul_f32_e64 v3, 0x2f800000, |v2|
	s_delay_alu instid0(VALU_DEP_1) | instskip(NEXT) | instid1(VALU_DEP_1)
	v_floor_f32_e32 v3, v3
	v_fma_f32 v4, 0xcf800000, v3, |v2|
	v_ashrrev_i32_e32 v2, 31, v2
	v_cvt_u32_f32_e32 v3, v3
	s_delay_alu instid0(VALU_DEP_3) | instskip(NEXT) | instid1(VALU_DEP_2)
	v_cvt_u32_f32_e32 v4, v4
	v_xor_b32_e32 v3, v3, v2
	s_delay_alu instid0(VALU_DEP_2) | instskip(NEXT) | instid1(VALU_DEP_1)
	v_xor_b32_e32 v4, v4, v2
	v_sub_co_u32 v4, vcc_lo, v4, v2
	s_delay_alu instid0(VALU_DEP_3)
	v_sub_co_ci_u32_e32 v5, vcc_lo, v3, v2, vcc_lo
	s_branch .LBB304_835
.LBB304_833:
	s_mov_b32 s1, -1
                                        ; implicit-def: $vgpr4_vgpr5
	s_branch .LBB304_836
.LBB304_834:
	s_mov_b32 s25, -1
                                        ; implicit-def: $vgpr4_vgpr5
.LBB304_835:
	s_mov_b32 s1, 0
.LBB304_836:
	s_delay_alu instid0(SALU_CYCLE_1)
	s_and_b32 vcc_lo, exec_lo, s1
	s_cbranch_vccz .LBB304_838
; %bb.837:
	v_cmp_ne_u16_e32 vcc_lo, 11, v11
	s_and_not1_b32 s1, s25, exec_lo
	s_mov_b32 s26, -1
                                        ; implicit-def: $vgpr4_vgpr5
	s_and_b32 s25, vcc_lo, exec_lo
	s_delay_alu instid0(SALU_CYCLE_1)
	s_or_b32 s25, s1, s25
.LBB304_838:
	s_mov_b32 s1, 0
.LBB304_839:
	s_and_not1_b32 s27, s23, exec_lo
	s_and_b32 s25, s25, exec_lo
	s_and_b32 s28, s0, exec_lo
	;; [unrolled: 1-line block ×4, first 2 shown]
	s_or_b32 s27, s27, s25
.LBB304_840:
	s_or_b32 exec_lo, exec_lo, s16
	s_delay_alu instid0(SALU_CYCLE_1)
	s_and_not1_b32 s16, s23, exec_lo
	s_and_b32 s23, s27, exec_lo
	s_and_b32 s26, s28, exec_lo
	;; [unrolled: 1-line block ×4, first 2 shown]
	s_or_b32 s23, s16, s23
.LBB304_841:
	s_or_b32 exec_lo, exec_lo, s22
	s_delay_alu instid0(SALU_CYCLE_1)
	s_and_not1_b32 s0, s20, exec_lo
	s_and_b32 s16, s24, exec_lo
	s_and_b32 s22, s25, exec_lo
	s_or_b32 s20, s0, s16
	s_and_not1_b32 s16, s19, exec_lo
	s_and_b32 s19, s23, exec_lo
	s_and_b32 s0, s26, exec_lo
	;; [unrolled: 1-line block ×3, first 2 shown]
	s_or_b32 s19, s16, s19
.LBB304_842:
	s_or_b32 exec_lo, exec_lo, s21
	s_delay_alu instid0(SALU_CYCLE_1)
	s_and_not1_b32 s15, s15, exec_lo
	s_and_b32 s16, s20, exec_lo
	s_and_b32 s0, s0, exec_lo
	s_or_b32 s15, s15, s16
	s_and_not1_b32 s16, s17, exec_lo
	s_and_b32 s17, s19, exec_lo
	s_and_b32 s20, s22, exec_lo
	;; [unrolled: 1-line block ×3, first 2 shown]
	s_or_b32 s17, s16, s17
.LBB304_843:
	s_or_b32 exec_lo, exec_lo, s18
	s_mov_b32 s16, 0
	s_and_saveexec_b32 s1, s17
	s_cbranch_execnz .LBB304_855
; %bb.844:
	s_or_b32 exec_lo, exec_lo, s1
	s_and_saveexec_b32 s1, s19
	s_delay_alu instid0(SALU_CYCLE_1)
	s_xor_b32 s1, exec_lo, s1
	s_cbranch_execz .LBB304_846
.LBB304_845:
	global_load_u8 v2, v[0:1], off
	s_mov_b32 s17, 0
	s_or_b32 s0, s0, exec_lo
	s_waitcnt vmcnt(1)
	v_mov_b32_e32 v5, s17
	s_waitcnt vmcnt(0)
	v_cmp_ne_u16_e32 vcc_lo, 0, v2
	v_cndmask_b32_e64 v4, 0, 1, vcc_lo
.LBB304_846:
	s_or_b32 exec_lo, exec_lo, s1
	s_and_saveexec_b32 s1, s20
	s_cbranch_execz .LBB304_894
; %bb.847:
	v_cmp_gt_i16_e32 vcc_lo, 5, v11
	s_cbranch_vccnz .LBB304_852
; %bb.848:
	v_cmp_gt_i16_e32 vcc_lo, 8, v11
	s_cbranch_vccnz .LBB304_853
	;; [unrolled: 3-line block ×3, first 2 shown]
; %bb.850:
	v_cmp_lt_i16_e32 vcc_lo, 9, v11
	s_cbranch_vccz .LBB304_857
; %bb.851:
	global_load_b64 v[2:3], v[0:1], off
	s_mov_b32 s17, 0
	s_waitcnt vmcnt(0)
	v_trunc_f64_e32 v[2:3], v[2:3]
	s_delay_alu instid0(VALU_DEP_1) | instskip(NEXT) | instid1(VALU_DEP_1)
	v_ldexp_f64 v[4:5], v[2:3], 0xffffffe0
	v_floor_f64_e32 v[4:5], v[4:5]
	s_delay_alu instid0(VALU_DEP_1) | instskip(SKIP_1) | instid1(VALU_DEP_2)
	v_fma_f64 v[2:3], 0xc1f00000, v[4:5], v[2:3]
	v_cvt_i32_f64_e32 v5, v[4:5]
	v_cvt_u32_f64_e32 v4, v[2:3]
	s_branch .LBB304_858
.LBB304_852:
                                        ; implicit-def: $vgpr4_vgpr5
	s_branch .LBB304_875
.LBB304_853:
                                        ; implicit-def: $vgpr4_vgpr5
	s_branch .LBB304_864
.LBB304_854:
	s_mov_b32 s17, -1
                                        ; implicit-def: $vgpr4_vgpr5
	s_branch .LBB304_861
.LBB304_855:
	s_cbranch_execnz .LBB304_903
; %bb.856:
	s_mov_b32 s16, exec_lo
	s_and_not1_b32 s19, s19, exec_lo
                                        ; implicit-def: $vgpr4_vgpr5
	s_or_b32 exec_lo, exec_lo, s1
	s_and_saveexec_b32 s1, s19
	s_delay_alu instid0(SALU_CYCLE_1)
	s_xor_b32 s1, exec_lo, s1
	s_cbranch_execnz .LBB304_845
	s_branch .LBB304_846
.LBB304_857:
	s_mov_b32 s17, -1
                                        ; implicit-def: $vgpr4_vgpr5
.LBB304_858:
	s_delay_alu instid0(SALU_CYCLE_1)
	s_and_not1_b32 vcc_lo, exec_lo, s17
	s_cbranch_vccnz .LBB304_860
; %bb.859:
	global_load_b32 v2, v[0:1], off
	s_waitcnt vmcnt(0)
	v_trunc_f32_e32 v2, v2
	s_delay_alu instid0(VALU_DEP_1) | instskip(NEXT) | instid1(VALU_DEP_1)
	v_mul_f32_e64 v3, 0x2f800000, |v2|
	v_floor_f32_e32 v3, v3
	s_delay_alu instid0(VALU_DEP_1) | instskip(SKIP_2) | instid1(VALU_DEP_3)
	v_fma_f32 v4, 0xcf800000, v3, |v2|
	v_ashrrev_i32_e32 v2, 31, v2
	v_cvt_u32_f32_e32 v3, v3
	v_cvt_u32_f32_e32 v4, v4
	s_delay_alu instid0(VALU_DEP_2) | instskip(NEXT) | instid1(VALU_DEP_2)
	v_xor_b32_e32 v3, v3, v2
	v_xor_b32_e32 v4, v4, v2
	s_delay_alu instid0(VALU_DEP_1) | instskip(NEXT) | instid1(VALU_DEP_3)
	v_sub_co_u32 v4, vcc_lo, v4, v2
	v_sub_co_ci_u32_e32 v5, vcc_lo, v3, v2, vcc_lo
.LBB304_860:
	s_mov_b32 s17, 0
.LBB304_861:
	s_delay_alu instid0(SALU_CYCLE_1)
	s_and_not1_b32 vcc_lo, exec_lo, s17
	s_cbranch_vccnz .LBB304_863
; %bb.862:
	global_load_b32 v2, v[0:1], off
	s_waitcnt vmcnt(0)
	v_cvt_f32_f16_e32 v2, v2
	s_delay_alu instid0(VALU_DEP_1) | instskip(NEXT) | instid1(VALU_DEP_1)
	v_cvt_i32_f32_e32 v4, v2
	v_ashrrev_i32_e32 v5, 31, v4
.LBB304_863:
	s_cbranch_execnz .LBB304_874
.LBB304_864:
	v_cmp_gt_i16_e32 vcc_lo, 6, v11
	s_cbranch_vccnz .LBB304_867
; %bb.865:
	v_cmp_lt_i16_e32 vcc_lo, 6, v11
	s_cbranch_vccz .LBB304_868
; %bb.866:
	global_load_b64 v[2:3], v[0:1], off
	s_mov_b32 s17, 0
	s_waitcnt vmcnt(0)
	v_trunc_f64_e32 v[2:3], v[2:3]
	s_delay_alu instid0(VALU_DEP_1) | instskip(NEXT) | instid1(VALU_DEP_1)
	v_ldexp_f64 v[4:5], v[2:3], 0xffffffe0
	v_floor_f64_e32 v[4:5], v[4:5]
	s_delay_alu instid0(VALU_DEP_1) | instskip(SKIP_1) | instid1(VALU_DEP_2)
	v_fma_f64 v[2:3], 0xc1f00000, v[4:5], v[2:3]
	v_cvt_i32_f64_e32 v5, v[4:5]
	v_cvt_u32_f64_e32 v4, v[2:3]
	s_branch .LBB304_869
.LBB304_867:
	s_mov_b32 s17, -1
                                        ; implicit-def: $vgpr4_vgpr5
	s_branch .LBB304_872
.LBB304_868:
	s_mov_b32 s17, -1
                                        ; implicit-def: $vgpr4_vgpr5
.LBB304_869:
	s_delay_alu instid0(SALU_CYCLE_1)
	s_and_not1_b32 vcc_lo, exec_lo, s17
	s_cbranch_vccnz .LBB304_871
; %bb.870:
	global_load_b32 v2, v[0:1], off
	s_waitcnt vmcnt(0)
	v_trunc_f32_e32 v2, v2
	s_delay_alu instid0(VALU_DEP_1) | instskip(NEXT) | instid1(VALU_DEP_1)
	v_mul_f32_e64 v3, 0x2f800000, |v2|
	v_floor_f32_e32 v3, v3
	s_delay_alu instid0(VALU_DEP_1) | instskip(SKIP_2) | instid1(VALU_DEP_3)
	v_fma_f32 v4, 0xcf800000, v3, |v2|
	v_ashrrev_i32_e32 v2, 31, v2
	v_cvt_u32_f32_e32 v3, v3
	v_cvt_u32_f32_e32 v4, v4
	s_delay_alu instid0(VALU_DEP_2) | instskip(NEXT) | instid1(VALU_DEP_2)
	v_xor_b32_e32 v3, v3, v2
	v_xor_b32_e32 v4, v4, v2
	s_delay_alu instid0(VALU_DEP_1) | instskip(NEXT) | instid1(VALU_DEP_3)
	v_sub_co_u32 v4, vcc_lo, v4, v2
	v_sub_co_ci_u32_e32 v5, vcc_lo, v3, v2, vcc_lo
.LBB304_871:
	s_mov_b32 s17, 0
.LBB304_872:
	s_delay_alu instid0(SALU_CYCLE_1)
	s_and_not1_b32 vcc_lo, exec_lo, s17
	s_cbranch_vccnz .LBB304_874
; %bb.873:
	global_load_u16 v2, v[0:1], off
	s_waitcnt vmcnt(0)
	v_cvt_f32_f16_e32 v2, v2
	s_delay_alu instid0(VALU_DEP_1) | instskip(NEXT) | instid1(VALU_DEP_1)
	v_cvt_i32_f32_e32 v4, v2
	v_ashrrev_i32_e32 v5, 31, v4
.LBB304_874:
	s_cbranch_execnz .LBB304_893
.LBB304_875:
	v_cmp_gt_i16_e32 vcc_lo, 2, v11
	s_cbranch_vccnz .LBB304_879
; %bb.876:
	v_cmp_gt_i16_e32 vcc_lo, 3, v11
	s_cbranch_vccnz .LBB304_880
; %bb.877:
	v_cmp_lt_i16_e32 vcc_lo, 3, v11
	s_cbranch_vccz .LBB304_881
; %bb.878:
	global_load_b64 v[4:5], v[0:1], off
	s_mov_b32 s17, 0
	s_branch .LBB304_882
.LBB304_879:
                                        ; implicit-def: $vgpr4_vgpr5
	s_branch .LBB304_888
.LBB304_880:
	s_mov_b32 s17, -1
                                        ; implicit-def: $vgpr4_vgpr5
	s_branch .LBB304_885
.LBB304_881:
	s_mov_b32 s17, -1
                                        ; implicit-def: $vgpr4_vgpr5
.LBB304_882:
	s_delay_alu instid0(SALU_CYCLE_1)
	s_and_not1_b32 vcc_lo, exec_lo, s17
	s_cbranch_vccnz .LBB304_884
; %bb.883:
	global_load_b32 v4, v[0:1], off
	s_waitcnt vmcnt(0)
	v_ashrrev_i32_e32 v5, 31, v4
.LBB304_884:
	s_mov_b32 s17, 0
.LBB304_885:
	s_delay_alu instid0(SALU_CYCLE_1)
	s_and_not1_b32 vcc_lo, exec_lo, s17
	s_cbranch_vccnz .LBB304_887
; %bb.886:
	global_load_u16 v2, v[0:1], off
	s_waitcnt vmcnt(0)
	v_bfe_i32 v4, v2, 0, 16
	s_delay_alu instid0(VALU_DEP_1)
	v_ashrrev_i32_e32 v5, 31, v4
.LBB304_887:
	s_cbranch_execnz .LBB304_893
.LBB304_888:
	v_cmp_lt_i16_e32 vcc_lo, 0, v11
	s_mov_b32 s17, 0
	s_cbranch_vccz .LBB304_890
; %bb.889:
	global_load_i8 v2, v[0:1], off
	s_waitcnt vmcnt(0)
	v_bfe_i32 v4, v2, 0, 16
	s_delay_alu instid0(VALU_DEP_1)
	v_ashrrev_i32_e32 v5, 31, v4
	s_branch .LBB304_891
.LBB304_890:
	s_mov_b32 s17, -1
                                        ; implicit-def: $vgpr4_vgpr5
.LBB304_891:
	s_delay_alu instid0(SALU_CYCLE_1)
	s_and_not1_b32 vcc_lo, exec_lo, s17
	s_cbranch_vccnz .LBB304_893
; %bb.892:
	global_load_u8 v0, v[0:1], off
	s_mov_b32 s17, 0
	s_waitcnt vmcnt(0)
	v_dual_mov_b32 v5, s17 :: v_dual_and_b32 v4, 0xffff, v0
.LBB304_893:
	s_or_b32 s0, s0, exec_lo
.LBB304_894:
	s_or_b32 exec_lo, exec_lo, s1
	s_mov_b32 s18, 0
	s_mov_b32 s1, 0
                                        ; implicit-def: $vgpr6
                                        ; implicit-def: $vgpr0_vgpr1
                                        ; implicit-def: $vgpr2_vgpr3
	s_and_saveexec_b32 s17, s0
	s_cbranch_execz .LBB304_974
; %bb.895:
	s_waitcnt vmcnt(0)
	s_delay_alu instid0(VALU_DEP_1) | instskip(SKIP_4) | instid1(VALU_DEP_3)
	v_cmp_lt_i64_e32 vcc_lo, s[8:9], v[4:5]
	v_mul_lo_u32 v0, v10, s2
	v_and_b32_e64 v6, 0xff, s12
	v_cndmask_b32_e32 v3, s9, v5, vcc_lo
	v_cndmask_b32_e32 v2, s8, v4, vcc_lo
	v_cmp_gt_i16_e32 vcc_lo, 11, v6
	v_ashrrev_i32_e32 v1, 31, v0
	v_add_co_u32 v0, s1, s4, v0
	s_delay_alu instid0(VALU_DEP_4) | instskip(NEXT) | instid1(VALU_DEP_3)
	v_cmp_gt_i64_e64 s0, s[10:11], v[2:3]
	v_add_co_ci_u32_e64 v1, s1, s5, v1, s1
	s_delay_alu instid0(VALU_DEP_2)
	v_cndmask_b32_e64 v3, s11, v3, s0
	v_cndmask_b32_e64 v2, s10, v2, s0
	s_cbranch_vccnz .LBB304_902
; %bb.896:
	v_cmp_lt_i16_e32 vcc_lo, 25, v6
	s_mov_b32 s1, -1
	s_mov_b32 s0, s15
	s_cbranch_vccz .LBB304_932
; %bb.897:
	v_cmp_lt_i16_e32 vcc_lo, 28, v6
	s_mov_b32 s0, s15
	s_cbranch_vccz .LBB304_916
; %bb.898:
	v_cmp_lt_i16_e32 vcc_lo, 43, v6
	;; [unrolled: 4-line block ×3, first 2 shown]
	s_mov_b32 s0, s15
	s_cbranch_vccz .LBB304_906
; %bb.900:
	v_cmp_eq_u16_e32 vcc_lo, 46, v6
	s_mov_b32 s0, -1
	s_cbranch_vccz .LBB304_905
; %bb.901:
	v_xor_b32_e32 v4, v2, v3
	v_cls_i32_e32 v5, v3
	s_mov_b32 s0, 0
	s_mov_b32 s1, 0
	s_delay_alu instid0(VALU_DEP_2) | instskip(NEXT) | instid1(VALU_DEP_2)
	v_ashrrev_i32_e32 v4, 31, v4
	v_add_nc_u32_e32 v5, -1, v5
	s_delay_alu instid0(VALU_DEP_2) | instskip(NEXT) | instid1(VALU_DEP_1)
	v_add_nc_u32_e32 v4, 32, v4
	v_min_u32_e32 v7, v5, v4
	s_delay_alu instid0(VALU_DEP_1) | instskip(NEXT) | instid1(VALU_DEP_1)
	v_lshlrev_b64 v[4:5], v7, v[2:3]
	v_min_u32_e32 v4, 1, v4
	s_delay_alu instid0(VALU_DEP_1) | instskip(SKIP_1) | instid1(VALU_DEP_2)
	v_or_b32_e32 v4, v5, v4
	v_sub_nc_u32_e32 v5, 32, v7
	v_cvt_f32_i32_e32 v4, v4
	s_delay_alu instid0(VALU_DEP_1) | instskip(NEXT) | instid1(VALU_DEP_1)
	v_ldexp_f32 v4, v4, v5
	v_bfe_u32 v5, v4, 16, 1
	s_delay_alu instid0(VALU_DEP_1) | instskip(NEXT) | instid1(VALU_DEP_1)
	v_add3_u32 v4, v4, v5, 0x7fff
	v_lshrrev_b32_e32 v4, 16, v4
	global_store_b32 v[0:1], v4, off
	s_branch .LBB304_906
.LBB304_902:
	s_mov_b32 s1, -1
	s_mov_b32 s0, s15
	s_branch .LBB304_973
.LBB304_903:
	s_trap 2
	s_sendmsg_rtn_b32 s0, sendmsg(MSG_RTN_GET_DOORBELL)
	s_mov_b32 ttmp2, m0
	s_waitcnt lgkmcnt(0)
	s_and_b32 s0, s0, 0x3ff
	s_delay_alu instid0(SALU_CYCLE_1) | instskip(NEXT) | instid1(SALU_CYCLE_1)
	s_bitset1_b32 s0, 10
	s_mov_b32 m0, s0
	s_sendmsg sendmsg(MSG_INTERRUPT)
	s_mov_b32 m0, ttmp2
.LBB304_904:                            ; =>This Inner Loop Header: Depth=1
	s_sethalt 5
	s_branch .LBB304_904
.LBB304_905:
	s_mov_b32 s1, 0
.LBB304_906:
	s_delay_alu instid0(SALU_CYCLE_1)
	s_and_b32 vcc_lo, exec_lo, s1
	s_cbranch_vccz .LBB304_911
; %bb.907:
	v_cmp_eq_u16_e32 vcc_lo, 44, v6
	s_mov_b32 s0, -1
	s_cbranch_vccz .LBB304_911
; %bb.908:
	v_xor_b32_e32 v4, v2, v3
	v_cls_i32_e32 v5, v3
	s_mov_b32 s1, exec_lo
	s_delay_alu instid0(VALU_DEP_2) | instskip(NEXT) | instid1(VALU_DEP_2)
	v_ashrrev_i32_e32 v4, 31, v4
	v_add_nc_u32_e32 v5, -1, v5
	s_delay_alu instid0(VALU_DEP_2) | instskip(NEXT) | instid1(VALU_DEP_1)
	v_add_nc_u32_e32 v4, 32, v4
	v_min_u32_e32 v7, v5, v4
	s_delay_alu instid0(VALU_DEP_1) | instskip(NEXT) | instid1(VALU_DEP_1)
	v_lshlrev_b64 v[4:5], v7, v[2:3]
	v_min_u32_e32 v4, 1, v4
	s_delay_alu instid0(VALU_DEP_1) | instskip(SKIP_1) | instid1(VALU_DEP_2)
	v_or_b32_e32 v4, v5, v4
	v_sub_nc_u32_e32 v5, 32, v7
	v_cvt_f32_i32_e32 v4, v4
	s_delay_alu instid0(VALU_DEP_1) | instskip(SKIP_1) | instid1(VALU_DEP_2)
	v_ldexp_f32 v4, v4, v5
	v_mov_b32_e32 v5, 0xff
	v_bfe_u32 v7, v4, 23, 8
	s_delay_alu instid0(VALU_DEP_1)
	v_cmpx_ne_u32_e32 0xff, v7
; %bb.909:
	v_and_b32_e32 v5, 0x400000, v4
	v_and_or_b32 v7, 0x3fffff, v4, v7
	v_lshrrev_b32_e32 v4, 23, v4
	s_delay_alu instid0(VALU_DEP_3) | instskip(NEXT) | instid1(VALU_DEP_3)
	v_cmp_ne_u32_e32 vcc_lo, 0, v5
	v_cmp_ne_u32_e64 s0, 0, v7
	s_delay_alu instid0(VALU_DEP_1) | instskip(NEXT) | instid1(SALU_CYCLE_1)
	s_and_b32 s0, vcc_lo, s0
	v_cndmask_b32_e64 v5, 0, 1, s0
	s_delay_alu instid0(VALU_DEP_1)
	v_add_nc_u32_e32 v5, v4, v5
; %bb.910:
	s_or_b32 exec_lo, exec_lo, s1
	s_mov_b32 s0, 0
	global_store_b8 v[0:1], v5, off
.LBB304_911:
	s_mov_b32 s1, 0
.LBB304_912:
	s_delay_alu instid0(SALU_CYCLE_1)
	s_and_b32 vcc_lo, exec_lo, s1
	s_cbranch_vccz .LBB304_915
; %bb.913:
	v_cmp_eq_u16_e32 vcc_lo, 29, v6
	s_mov_b32 s0, -1
	s_cbranch_vccz .LBB304_915
; %bb.914:
	s_mov_b32 s0, 0
	global_store_b64 v[0:1], v[2:3], off
.LBB304_915:
	s_mov_b32 s1, 0
.LBB304_916:
	s_delay_alu instid0(SALU_CYCLE_1)
	s_and_b32 vcc_lo, exec_lo, s1
	s_cbranch_vccz .LBB304_931
; %bb.917:
	v_cmp_gt_i16_e32 vcc_lo, 27, v6
	s_mov_b32 s1, -1
	s_cbranch_vccnz .LBB304_923
; %bb.918:
	v_cmp_lt_i16_e32 vcc_lo, 27, v6
	s_cbranch_vccz .LBB304_920
; %bb.919:
	s_mov_b32 s1, 0
	global_store_b32 v[0:1], v2, off
.LBB304_920:
	s_and_not1_b32 vcc_lo, exec_lo, s1
	s_cbranch_vccnz .LBB304_922
; %bb.921:
	global_store_b16 v[0:1], v2, off
.LBB304_922:
	s_mov_b32 s1, 0
.LBB304_923:
	s_delay_alu instid0(SALU_CYCLE_1)
	s_and_not1_b32 vcc_lo, exec_lo, s1
	s_cbranch_vccnz .LBB304_931
; %bb.924:
	v_xor_b32_e32 v4, v2, v3
	v_cls_i32_e32 v5, v3
	s_mov_b32 s1, exec_lo
	s_delay_alu instid0(VALU_DEP_2) | instskip(NEXT) | instid1(VALU_DEP_2)
	v_ashrrev_i32_e32 v4, 31, v4
	v_add_nc_u32_e32 v5, -1, v5
	s_delay_alu instid0(VALU_DEP_2) | instskip(NEXT) | instid1(VALU_DEP_1)
	v_add_nc_u32_e32 v4, 32, v4
	v_min_u32_e32 v7, v5, v4
	s_delay_alu instid0(VALU_DEP_1) | instskip(NEXT) | instid1(VALU_DEP_1)
	v_lshlrev_b64 v[4:5], v7, v[2:3]
	v_min_u32_e32 v4, 1, v4
	s_delay_alu instid0(VALU_DEP_1) | instskip(SKIP_2) | instid1(VALU_DEP_3)
	v_or_b32_e32 v4, v5, v4
	v_sub_nc_u32_e32 v5, 32, v7
	v_mov_b32_e32 v7, 0x80
	v_cvt_f32_i32_e32 v4, v4
	s_delay_alu instid0(VALU_DEP_1) | instskip(NEXT) | instid1(VALU_DEP_1)
	v_ldexp_f32 v4, v4, v5
	v_and_b32_e32 v5, 0x7fffffff, v4
	s_delay_alu instid0(VALU_DEP_1)
	v_cmpx_gt_u32_e32 0x43800000, v5
	s_cbranch_execz .LBB304_930
; %bb.925:
	v_cmp_lt_u32_e32 vcc_lo, 0x3bffffff, v5
                                        ; implicit-def: $vgpr5
	s_and_saveexec_b32 s19, vcc_lo
	s_delay_alu instid0(SALU_CYCLE_1)
	s_xor_b32 s19, exec_lo, s19
	s_cbranch_execz .LBB304_1160
; %bb.926:
	v_bfe_u32 v5, v4, 20, 1
	s_mov_b32 s18, exec_lo
	s_delay_alu instid0(VALU_DEP_1) | instskip(NEXT) | instid1(VALU_DEP_1)
	v_add3_u32 v5, v4, v5, 0x487ffff
	v_lshrrev_b32_e32 v5, 20, v5
	s_or_saveexec_b32 s19, s19
                                        ; implicit-def: $sgpr20
	s_delay_alu instid0(SALU_CYCLE_1)
	s_xor_b32 exec_lo, exec_lo, s19
	s_cbranch_execnz .LBB304_1161
.LBB304_927:
	s_or_b32 exec_lo, exec_lo, s19
	v_mov_b32_e32 v7, s20
	s_and_saveexec_b32 s19, s18
.LBB304_928:
	v_lshrrev_b32_e32 v4, 24, v4
	s_delay_alu instid0(VALU_DEP_1)
	v_and_or_b32 v7, 0x80, v4, v5
.LBB304_929:
	s_or_b32 exec_lo, exec_lo, s19
.LBB304_930:
	s_delay_alu instid0(SALU_CYCLE_1)
	s_or_b32 exec_lo, exec_lo, s1
	global_store_b8 v[0:1], v7, off
.LBB304_931:
	s_mov_b32 s1, 0
.LBB304_932:
	s_delay_alu instid0(SALU_CYCLE_1)
	s_and_b32 vcc_lo, exec_lo, s1
	s_mov_b32 s1, 0
	s_cbranch_vccz .LBB304_972
; %bb.933:
	v_cmp_lt_i16_e32 vcc_lo, 22, v6
	s_mov_b32 s18, -1
	s_cbranch_vccz .LBB304_965
; %bb.934:
	v_cmp_gt_i16_e32 vcc_lo, 24, v6
	s_cbranch_vccnz .LBB304_954
; %bb.935:
	v_cmp_lt_i16_e32 vcc_lo, 24, v6
	s_cbranch_vccz .LBB304_943
; %bb.936:
	v_xor_b32_e32 v4, v2, v3
	v_cls_i32_e32 v5, v3
	s_mov_b32 s18, exec_lo
	s_delay_alu instid0(VALU_DEP_2) | instskip(NEXT) | instid1(VALU_DEP_2)
	v_ashrrev_i32_e32 v4, 31, v4
	v_add_nc_u32_e32 v5, -1, v5
	s_delay_alu instid0(VALU_DEP_2) | instskip(NEXT) | instid1(VALU_DEP_1)
	v_add_nc_u32_e32 v4, 32, v4
	v_min_u32_e32 v7, v5, v4
	s_delay_alu instid0(VALU_DEP_1) | instskip(NEXT) | instid1(VALU_DEP_1)
	v_lshlrev_b64 v[4:5], v7, v[2:3]
	v_min_u32_e32 v4, 1, v4
	s_delay_alu instid0(VALU_DEP_1) | instskip(SKIP_2) | instid1(VALU_DEP_3)
	v_or_b32_e32 v4, v5, v4
	v_sub_nc_u32_e32 v5, 32, v7
	v_mov_b32_e32 v7, 0x80
	v_cvt_f32_i32_e32 v4, v4
	s_delay_alu instid0(VALU_DEP_1) | instskip(NEXT) | instid1(VALU_DEP_1)
	v_ldexp_f32 v4, v4, v5
	v_and_b32_e32 v5, 0x7fffffff, v4
	s_delay_alu instid0(VALU_DEP_1)
	v_cmpx_gt_u32_e32 0x47800000, v5
	s_cbranch_execz .LBB304_942
; %bb.937:
	v_cmp_lt_u32_e32 vcc_lo, 0x37ffffff, v5
	s_mov_b32 s19, 0
                                        ; implicit-def: $vgpr5
	s_and_saveexec_b32 s20, vcc_lo
	s_delay_alu instid0(SALU_CYCLE_1)
	s_xor_b32 s20, exec_lo, s20
	s_cbranch_execz .LBB304_1204
; %bb.938:
	v_bfe_u32 v5, v4, 21, 1
	s_mov_b32 s19, exec_lo
	s_delay_alu instid0(VALU_DEP_1) | instskip(NEXT) | instid1(VALU_DEP_1)
	v_add3_u32 v5, v4, v5, 0x88fffff
	v_lshrrev_b32_e32 v5, 21, v5
	s_or_saveexec_b32 s20, s20
                                        ; implicit-def: $sgpr21
	s_delay_alu instid0(SALU_CYCLE_1)
	s_xor_b32 exec_lo, exec_lo, s20
	s_cbranch_execnz .LBB304_1205
.LBB304_939:
	s_or_b32 exec_lo, exec_lo, s20
	v_mov_b32_e32 v7, s21
	s_and_saveexec_b32 s20, s19
.LBB304_940:
	v_lshrrev_b32_e32 v4, 24, v4
	s_delay_alu instid0(VALU_DEP_1)
	v_and_or_b32 v7, 0x80, v4, v5
.LBB304_941:
	s_or_b32 exec_lo, exec_lo, s20
.LBB304_942:
	s_delay_alu instid0(SALU_CYCLE_1)
	s_or_b32 exec_lo, exec_lo, s18
	s_mov_b32 s18, 0
	global_store_b8 v[0:1], v7, off
.LBB304_943:
	s_and_b32 vcc_lo, exec_lo, s18
	s_cbranch_vccz .LBB304_953
; %bb.944:
	v_xor_b32_e32 v4, v2, v3
	v_cls_i32_e32 v5, v3
	s_mov_b32 s18, exec_lo
	s_delay_alu instid0(VALU_DEP_2) | instskip(NEXT) | instid1(VALU_DEP_2)
	v_ashrrev_i32_e32 v4, 31, v4
	v_add_nc_u32_e32 v5, -1, v5
	s_delay_alu instid0(VALU_DEP_2) | instskip(NEXT) | instid1(VALU_DEP_1)
	v_add_nc_u32_e32 v4, 32, v4
	v_min_u32_e32 v7, v5, v4
	s_delay_alu instid0(VALU_DEP_1) | instskip(NEXT) | instid1(VALU_DEP_1)
	v_lshlrev_b64 v[4:5], v7, v[2:3]
	v_min_u32_e32 v4, 1, v4
	s_delay_alu instid0(VALU_DEP_1) | instskip(SKIP_1) | instid1(VALU_DEP_2)
	v_or_b32_e32 v4, v5, v4
	v_sub_nc_u32_e32 v5, 32, v7
	v_cvt_f32_i32_e32 v4, v4
	s_delay_alu instid0(VALU_DEP_1) | instskip(NEXT) | instid1(VALU_DEP_1)
	v_ldexp_f32 v4, v4, v5
                                        ; implicit-def: $vgpr5
	v_and_b32_e32 v7, 0x7fffffff, v4
	s_delay_alu instid0(VALU_DEP_1)
	v_cmpx_gt_u32_e32 0x43f00000, v7
	s_xor_b32 s18, exec_lo, s18
	s_cbranch_execz .LBB304_950
; %bb.945:
	s_mov_b32 s19, exec_lo
                                        ; implicit-def: $vgpr5
	v_cmpx_lt_u32_e32 0x3c7fffff, v7
	s_xor_b32 s19, exec_lo, s19
; %bb.946:
	v_bfe_u32 v5, v4, 20, 1
	s_delay_alu instid0(VALU_DEP_1) | instskip(NEXT) | instid1(VALU_DEP_1)
	v_add3_u32 v5, v4, v5, 0x407ffff
	v_and_b32_e32 v7, 0xff00000, v5
	v_lshrrev_b32_e32 v5, 20, v5
	s_delay_alu instid0(VALU_DEP_2) | instskip(NEXT) | instid1(VALU_DEP_2)
	v_cmp_ne_u32_e32 vcc_lo, 0x7f00000, v7
	v_cndmask_b32_e32 v5, 0x7e, v5, vcc_lo
; %bb.947:
	s_and_not1_saveexec_b32 s19, s19
; %bb.948:
	v_add_f32_e64 v5, 0x46800000, |v4|
; %bb.949:
	s_or_b32 exec_lo, exec_lo, s19
                                        ; implicit-def: $vgpr7
.LBB304_950:
	s_and_not1_saveexec_b32 s18, s18
; %bb.951:
	v_mov_b32_e32 v5, 0x7f
	v_cmp_lt_u32_e32 vcc_lo, 0x7f800000, v7
	s_delay_alu instid0(VALU_DEP_2)
	v_cndmask_b32_e32 v5, 0x7e, v5, vcc_lo
; %bb.952:
	s_or_b32 exec_lo, exec_lo, s18
	v_lshrrev_b32_e32 v4, 24, v4
	s_delay_alu instid0(VALU_DEP_1)
	v_and_or_b32 v4, 0x80, v4, v5
	global_store_b8 v[0:1], v4, off
.LBB304_953:
	s_mov_b32 s18, 0
.LBB304_954:
	s_delay_alu instid0(SALU_CYCLE_1)
	s_and_not1_b32 vcc_lo, exec_lo, s18
	s_cbranch_vccnz .LBB304_964
; %bb.955:
	v_xor_b32_e32 v4, v2, v3
	v_cls_i32_e32 v5, v3
	s_mov_b32 s18, exec_lo
	s_delay_alu instid0(VALU_DEP_2) | instskip(NEXT) | instid1(VALU_DEP_2)
	v_ashrrev_i32_e32 v4, 31, v4
	v_add_nc_u32_e32 v5, -1, v5
	s_delay_alu instid0(VALU_DEP_2) | instskip(NEXT) | instid1(VALU_DEP_1)
	v_add_nc_u32_e32 v4, 32, v4
	v_min_u32_e32 v7, v5, v4
	s_delay_alu instid0(VALU_DEP_1) | instskip(NEXT) | instid1(VALU_DEP_1)
	v_lshlrev_b64 v[4:5], v7, v[2:3]
	v_min_u32_e32 v4, 1, v4
	s_delay_alu instid0(VALU_DEP_1) | instskip(SKIP_1) | instid1(VALU_DEP_2)
	v_or_b32_e32 v4, v5, v4
	v_sub_nc_u32_e32 v5, 32, v7
	v_cvt_f32_i32_e32 v4, v4
	s_delay_alu instid0(VALU_DEP_1) | instskip(NEXT) | instid1(VALU_DEP_1)
	v_ldexp_f32 v4, v4, v5
                                        ; implicit-def: $vgpr5
	v_and_b32_e32 v7, 0x7fffffff, v4
	s_delay_alu instid0(VALU_DEP_1)
	v_cmpx_gt_u32_e32 0x47800000, v7
	s_xor_b32 s18, exec_lo, s18
	s_cbranch_execz .LBB304_961
; %bb.956:
	s_mov_b32 s19, exec_lo
                                        ; implicit-def: $vgpr5
	v_cmpx_lt_u32_e32 0x387fffff, v7
	s_xor_b32 s19, exec_lo, s19
; %bb.957:
	v_bfe_u32 v5, v4, 21, 1
	s_delay_alu instid0(VALU_DEP_1) | instskip(NEXT) | instid1(VALU_DEP_1)
	v_add3_u32 v5, v4, v5, 0x80fffff
	v_lshrrev_b32_e32 v5, 21, v5
; %bb.958:
	s_and_not1_saveexec_b32 s19, s19
; %bb.959:
	v_add_f32_e64 v5, 0x43000000, |v4|
; %bb.960:
	s_or_b32 exec_lo, exec_lo, s19
                                        ; implicit-def: $vgpr7
.LBB304_961:
	s_and_not1_saveexec_b32 s18, s18
; %bb.962:
	v_mov_b32_e32 v5, 0x7f
	v_cmp_lt_u32_e32 vcc_lo, 0x7f800000, v7
	s_delay_alu instid0(VALU_DEP_2)
	v_cndmask_b32_e32 v5, 0x7c, v5, vcc_lo
; %bb.963:
	s_or_b32 exec_lo, exec_lo, s18
	v_lshrrev_b32_e32 v4, 24, v4
	s_delay_alu instid0(VALU_DEP_1)
	v_and_or_b32 v4, 0x80, v4, v5
	global_store_b8 v[0:1], v4, off
.LBB304_964:
	s_mov_b32 s18, 0
.LBB304_965:
	s_delay_alu instid0(SALU_CYCLE_1)
	s_and_not1_b32 vcc_lo, exec_lo, s18
	s_mov_b32 s18, 0
	s_cbranch_vccnz .LBB304_973
; %bb.966:
	v_cmp_lt_i16_e32 vcc_lo, 14, v6
	s_mov_b32 s18, -1
	s_cbranch_vccz .LBB304_970
; %bb.967:
	v_cmp_eq_u16_e32 vcc_lo, 15, v6
	s_mov_b32 s0, -1
	s_cbranch_vccz .LBB304_969
; %bb.968:
	v_xor_b32_e32 v4, v2, v3
	v_cls_i32_e32 v5, v3
	s_mov_b32 s0, 0
	s_delay_alu instid0(VALU_DEP_2) | instskip(NEXT) | instid1(VALU_DEP_2)
	v_ashrrev_i32_e32 v4, 31, v4
	v_add_nc_u32_e32 v5, -1, v5
	s_delay_alu instid0(VALU_DEP_2) | instskip(NEXT) | instid1(VALU_DEP_1)
	v_add_nc_u32_e32 v4, 32, v4
	v_min_u32_e32 v7, v5, v4
	s_delay_alu instid0(VALU_DEP_1) | instskip(NEXT) | instid1(VALU_DEP_1)
	v_lshlrev_b64 v[4:5], v7, v[2:3]
	v_min_u32_e32 v4, 1, v4
	s_delay_alu instid0(VALU_DEP_1) | instskip(SKIP_1) | instid1(VALU_DEP_2)
	v_or_b32_e32 v4, v5, v4
	v_sub_nc_u32_e32 v5, 32, v7
	v_cvt_f32_i32_e32 v4, v4
	s_delay_alu instid0(VALU_DEP_1) | instskip(NEXT) | instid1(VALU_DEP_1)
	v_ldexp_f32 v4, v4, v5
	v_bfe_u32 v5, v4, 16, 1
	s_delay_alu instid0(VALU_DEP_1)
	v_add3_u32 v4, v4, v5, 0x7fff
	global_store_d16_hi_b16 v[0:1], v4, off
.LBB304_969:
	s_mov_b32 s18, 0
.LBB304_970:
	s_delay_alu instid0(SALU_CYCLE_1)
	s_and_b32 vcc_lo, exec_lo, s18
	s_mov_b32 s18, 0
	s_cbranch_vccz .LBB304_973
; %bb.971:
	v_cmp_ne_u16_e32 vcc_lo, 11, v6
	s_and_not1_b32 s0, s0, exec_lo
	s_mov_b32 s18, -1
	s_and_b32 s19, vcc_lo, exec_lo
	s_delay_alu instid0(SALU_CYCLE_1)
	s_or_b32 s0, s0, s19
	s_branch .LBB304_973
.LBB304_972:
	s_mov_b32 s18, 0
.LBB304_973:
	s_and_not1_b32 s15, s15, exec_lo
	s_and_b32 s0, s0, exec_lo
	s_and_b32 s1, s1, exec_lo
	;; [unrolled: 1-line block ×3, first 2 shown]
	s_or_b32 s15, s15, s0
.LBB304_974:
	s_or_b32 exec_lo, exec_lo, s17
	s_and_saveexec_b32 s0, s15
	s_cbranch_execnz .LBB304_1036
; %bb.975:
	s_or_b32 exec_lo, exec_lo, s0
	s_and_saveexec_b32 s0, s18
	s_delay_alu instid0(SALU_CYCLE_1)
	s_xor_b32 s0, exec_lo, s0
	s_cbranch_execz .LBB304_977
.LBB304_976:
	s_waitcnt vmcnt(0)
	v_cmp_ne_u64_e32 vcc_lo, 0, v[2:3]
	v_cndmask_b32_e64 v4, 0, 1, vcc_lo
	global_store_b8 v[0:1], v4, off
.LBB304_977:
	s_or_b32 exec_lo, exec_lo, s0
	s_and_saveexec_b32 s0, s1
	s_delay_alu instid0(SALU_CYCLE_1)
	s_xor_b32 s0, exec_lo, s0
	s_cbranch_execz .LBB304_1015
; %bb.978:
	v_cmp_gt_i16_e32 vcc_lo, 5, v6
	s_mov_b32 s1, -1
	s_cbranch_vccnz .LBB304_999
; %bb.979:
	v_cmp_gt_i16_e32 vcc_lo, 8, v6
	s_cbranch_vccnz .LBB304_989
; %bb.980:
	v_cmp_gt_i16_e32 vcc_lo, 9, v6
	s_cbranch_vccnz .LBB304_986
; %bb.981:
	v_cmp_lt_i16_e32 vcc_lo, 9, v6
	s_cbranch_vccz .LBB304_983
; %bb.982:
	s_waitcnt vmcnt(0)
	v_cvt_f64_i32_e32 v[4:5], v3
	v_cvt_f64_u32_e32 v[7:8], v2
	v_mov_b32_e32 v9, 0
	s_mov_b32 s1, 0
	s_delay_alu instid0(VALU_DEP_1) | instskip(NEXT) | instid1(VALU_DEP_4)
	v_mov_b32_e32 v10, v9
	v_ldexp_f64 v[4:5], v[4:5], 32
	s_delay_alu instid0(VALU_DEP_1)
	v_add_f64 v[7:8], v[4:5], v[7:8]
	global_store_b128 v[0:1], v[7:10], off
.LBB304_983:
	s_and_not1_b32 vcc_lo, exec_lo, s1
	s_cbranch_vccnz .LBB304_985
; %bb.984:
	s_waitcnt vmcnt(0)
	v_xor_b32_e32 v4, v2, v3
	v_cls_i32_e32 v5, v3
	s_delay_alu instid0(VALU_DEP_2) | instskip(NEXT) | instid1(VALU_DEP_2)
	v_ashrrev_i32_e32 v4, 31, v4
	v_add_nc_u32_e32 v5, -1, v5
	s_delay_alu instid0(VALU_DEP_2) | instskip(NEXT) | instid1(VALU_DEP_1)
	v_add_nc_u32_e32 v4, 32, v4
	v_min_u32_e32 v7, v5, v4
	s_delay_alu instid0(VALU_DEP_1) | instskip(NEXT) | instid1(VALU_DEP_1)
	v_lshlrev_b64 v[4:5], v7, v[2:3]
	v_min_u32_e32 v4, 1, v4
	s_delay_alu instid0(VALU_DEP_1) | instskip(SKIP_1) | instid1(VALU_DEP_2)
	v_or_b32_e32 v4, v5, v4
	v_sub_nc_u32_e32 v5, 32, v7
	v_cvt_f32_i32_e32 v4, v4
	s_delay_alu instid0(VALU_DEP_1)
	v_ldexp_f32 v4, v4, v5
	v_mov_b32_e32 v5, 0
	global_store_b64 v[0:1], v[4:5], off
.LBB304_985:
	s_mov_b32 s1, 0
.LBB304_986:
	s_delay_alu instid0(SALU_CYCLE_1)
	s_and_not1_b32 vcc_lo, exec_lo, s1
	s_cbranch_vccnz .LBB304_988
; %bb.987:
	s_waitcnt vmcnt(0)
	v_xor_b32_e32 v4, v2, v3
	v_cls_i32_e32 v5, v3
	s_delay_alu instid0(VALU_DEP_2) | instskip(NEXT) | instid1(VALU_DEP_2)
	v_ashrrev_i32_e32 v4, 31, v4
	v_add_nc_u32_e32 v5, -1, v5
	s_delay_alu instid0(VALU_DEP_2) | instskip(NEXT) | instid1(VALU_DEP_1)
	v_add_nc_u32_e32 v4, 32, v4
	v_min_u32_e32 v7, v5, v4
	s_delay_alu instid0(VALU_DEP_1) | instskip(NEXT) | instid1(VALU_DEP_1)
	v_lshlrev_b64 v[4:5], v7, v[2:3]
	v_min_u32_e32 v4, 1, v4
	s_delay_alu instid0(VALU_DEP_1) | instskip(SKIP_1) | instid1(VALU_DEP_2)
	v_or_b32_e32 v4, v5, v4
	v_sub_nc_u32_e32 v5, 32, v7
	v_cvt_f32_i32_e32 v4, v4
	s_delay_alu instid0(VALU_DEP_1) | instskip(NEXT) | instid1(VALU_DEP_1)
	v_ldexp_f32 v4, v4, v5
	v_cvt_f16_f32_e32 v4, v4
	s_delay_alu instid0(VALU_DEP_1)
	v_and_b32_e32 v4, 0xffff, v4
	global_store_b32 v[0:1], v4, off
.LBB304_988:
	s_mov_b32 s1, 0
.LBB304_989:
	s_delay_alu instid0(SALU_CYCLE_1)
	s_and_not1_b32 vcc_lo, exec_lo, s1
	s_cbranch_vccnz .LBB304_998
; %bb.990:
	v_cmp_gt_i16_e32 vcc_lo, 6, v6
	s_mov_b32 s1, -1
	s_cbranch_vccnz .LBB304_996
; %bb.991:
	v_cmp_lt_i16_e32 vcc_lo, 6, v6
	s_cbranch_vccz .LBB304_993
; %bb.992:
	s_waitcnt vmcnt(0)
	v_cvt_f64_i32_e32 v[4:5], v3
	v_cvt_f64_u32_e32 v[7:8], v2
	s_mov_b32 s1, 0
	s_delay_alu instid0(VALU_DEP_2) | instskip(NEXT) | instid1(VALU_DEP_1)
	v_ldexp_f64 v[4:5], v[4:5], 32
	v_add_f64 v[4:5], v[4:5], v[7:8]
	global_store_b64 v[0:1], v[4:5], off
.LBB304_993:
	s_and_not1_b32 vcc_lo, exec_lo, s1
	s_cbranch_vccnz .LBB304_995
; %bb.994:
	s_waitcnt vmcnt(0)
	v_xor_b32_e32 v4, v2, v3
	v_cls_i32_e32 v5, v3
	s_delay_alu instid0(VALU_DEP_2) | instskip(NEXT) | instid1(VALU_DEP_2)
	v_ashrrev_i32_e32 v4, 31, v4
	v_add_nc_u32_e32 v5, -1, v5
	s_delay_alu instid0(VALU_DEP_2) | instskip(NEXT) | instid1(VALU_DEP_1)
	v_add_nc_u32_e32 v4, 32, v4
	v_min_u32_e32 v7, v5, v4
	s_delay_alu instid0(VALU_DEP_1) | instskip(NEXT) | instid1(VALU_DEP_1)
	v_lshlrev_b64 v[4:5], v7, v[2:3]
	v_min_u32_e32 v4, 1, v4
	s_delay_alu instid0(VALU_DEP_1) | instskip(SKIP_1) | instid1(VALU_DEP_2)
	v_or_b32_e32 v4, v5, v4
	v_sub_nc_u32_e32 v5, 32, v7
	v_cvt_f32_i32_e32 v4, v4
	s_delay_alu instid0(VALU_DEP_1)
	v_ldexp_f32 v4, v4, v5
	global_store_b32 v[0:1], v4, off
.LBB304_995:
	s_mov_b32 s1, 0
.LBB304_996:
	s_delay_alu instid0(SALU_CYCLE_1)
	s_and_not1_b32 vcc_lo, exec_lo, s1
	s_cbranch_vccnz .LBB304_998
; %bb.997:
	s_waitcnt vmcnt(0)
	v_xor_b32_e32 v4, v2, v3
	v_cls_i32_e32 v5, v3
	s_delay_alu instid0(VALU_DEP_2) | instskip(NEXT) | instid1(VALU_DEP_2)
	v_ashrrev_i32_e32 v4, 31, v4
	v_add_nc_u32_e32 v5, -1, v5
	s_delay_alu instid0(VALU_DEP_2) | instskip(NEXT) | instid1(VALU_DEP_1)
	v_add_nc_u32_e32 v4, 32, v4
	v_min_u32_e32 v7, v5, v4
	s_delay_alu instid0(VALU_DEP_1) | instskip(NEXT) | instid1(VALU_DEP_1)
	v_lshlrev_b64 v[4:5], v7, v[2:3]
	v_min_u32_e32 v4, 1, v4
	s_delay_alu instid0(VALU_DEP_1) | instskip(SKIP_1) | instid1(VALU_DEP_2)
	v_or_b32_e32 v4, v5, v4
	v_sub_nc_u32_e32 v5, 32, v7
	v_cvt_f32_i32_e32 v4, v4
	s_delay_alu instid0(VALU_DEP_1) | instskip(NEXT) | instid1(VALU_DEP_1)
	v_ldexp_f32 v4, v4, v5
	v_cvt_f16_f32_e32 v4, v4
	global_store_b16 v[0:1], v4, off
.LBB304_998:
	s_mov_b32 s1, 0
.LBB304_999:
	s_delay_alu instid0(SALU_CYCLE_1)
	s_and_not1_b32 vcc_lo, exec_lo, s1
	s_cbranch_vccnz .LBB304_1015
; %bb.1000:
	v_cmp_gt_i16_e32 vcc_lo, 2, v6
	s_mov_b32 s1, -1
	s_cbranch_vccnz .LBB304_1010
; %bb.1001:
	v_cmp_gt_i16_e32 vcc_lo, 3, v6
	s_cbranch_vccnz .LBB304_1007
; %bb.1002:
	v_cmp_lt_i16_e32 vcc_lo, 3, v6
	s_cbranch_vccz .LBB304_1004
; %bb.1003:
	s_mov_b32 s1, 0
	s_waitcnt vmcnt(0)
	global_store_b64 v[0:1], v[2:3], off
.LBB304_1004:
	s_and_not1_b32 vcc_lo, exec_lo, s1
	s_cbranch_vccnz .LBB304_1006
; %bb.1005:
	s_waitcnt vmcnt(0)
	global_store_b32 v[0:1], v2, off
.LBB304_1006:
	s_mov_b32 s1, 0
.LBB304_1007:
	s_delay_alu instid0(SALU_CYCLE_1)
	s_and_not1_b32 vcc_lo, exec_lo, s1
	s_cbranch_vccnz .LBB304_1009
; %bb.1008:
	s_waitcnt vmcnt(0)
	global_store_b16 v[0:1], v2, off
.LBB304_1009:
	s_mov_b32 s1, 0
.LBB304_1010:
	s_delay_alu instid0(SALU_CYCLE_1)
	s_and_not1_b32 vcc_lo, exec_lo, s1
	s_cbranch_vccnz .LBB304_1015
; %bb.1011:
	v_cmp_lt_i16_e32 vcc_lo, 0, v6
	s_mov_b32 s1, -1
	s_cbranch_vccz .LBB304_1013
; %bb.1012:
	s_mov_b32 s1, 0
	s_waitcnt vmcnt(0)
	global_store_b8 v[0:1], v2, off
.LBB304_1013:
	s_and_not1_b32 vcc_lo, exec_lo, s1
	s_cbranch_vccnz .LBB304_1015
; %bb.1014:
	s_waitcnt vmcnt(0)
	global_store_b8 v[0:1], v2, off
.LBB304_1015:
	s_or_b32 exec_lo, exec_lo, s0
	s_delay_alu instid0(SALU_CYCLE_1)
	s_and_b32 s15, s16, exec_lo
                                        ; implicit-def: $vgpr10
                                        ; implicit-def: $vgpr11
.LBB304_1016:
	s_or_saveexec_b32 s14, s14
	s_mov_b32 s0, 0
                                        ; implicit-def: $vgpr12
                                        ; implicit-def: $vgpr0_vgpr1
                                        ; implicit-def: $vgpr2_vgpr3
	s_xor_b32 exec_lo, exec_lo, s14
	s_cbranch_execz .LBB304_1964
; %bb.1017:
	s_waitcnt vmcnt(0)
	v_mul_lo_u32 v4, s3, v10
	v_cmp_gt_i16_e32 vcc_lo, 11, v11
	s_delay_alu instid0(VALU_DEP_2) | instskip(SKIP_1) | instid1(VALU_DEP_1)
	v_ashrrev_i32_e32 v0, 31, v4
	v_add_co_u32 v2, s0, s6, v4
	v_add_co_ci_u32_e64 v3, s0, s7, v0, s0
	s_cbranch_vccnz .LBB304_1024
; %bb.1018:
	v_cmp_lt_i16_e32 vcc_lo, 25, v11
	s_mov_b32 s16, 0
	s_cbranch_vccz .LBB304_1030
; %bb.1019:
	v_cmp_lt_i16_e32 vcc_lo, 28, v11
	s_cbranch_vccz .LBB304_1032
; %bb.1020:
	v_cmp_lt_i16_e32 vcc_lo, 43, v11
	;; [unrolled: 3-line block ×3, first 2 shown]
	s_cbranch_vccz .LBB304_1038
; %bb.1022:
	v_cmp_eq_u16_e32 vcc_lo, 46, v11
	s_mov_b32 s1, 0
	s_cbranch_vccz .LBB304_1078
; %bb.1023:
	global_load_b32 v0, v[2:3], off
	s_mov_b32 s0, -1
	s_waitcnt vmcnt(0)
	v_lshlrev_b32_e32 v0, 16, v0
	s_delay_alu instid0(VALU_DEP_1) | instskip(NEXT) | instid1(VALU_DEP_1)
	v_trunc_f32_e32 v0, v0
	v_mul_f32_e64 v1, 0x2f800000, |v0|
	v_ashrrev_i32_e32 v6, 31, v0
	s_delay_alu instid0(VALU_DEP_2) | instskip(NEXT) | instid1(VALU_DEP_1)
	v_floor_f32_e32 v1, v1
	v_fma_f32 v5, 0xcf800000, v1, |v0|
	v_cvt_u32_f32_e32 v1, v1
	s_delay_alu instid0(VALU_DEP_2) | instskip(NEXT) | instid1(VALU_DEP_2)
	v_cvt_u32_f32_e32 v0, v5
	v_xor_b32_e32 v1, v1, v6
	s_delay_alu instid0(VALU_DEP_2) | instskip(NEXT) | instid1(VALU_DEP_1)
	v_xor_b32_e32 v0, v0, v6
	v_sub_co_u32 v0, vcc_lo, v0, v6
	s_delay_alu instid0(VALU_DEP_3)
	v_sub_co_ci_u32_e32 v1, vcc_lo, v1, v6, vcc_lo
	s_branch .LBB304_1080
.LBB304_1024:
	s_mov_b32 s0, 0
	s_mov_b32 s13, s15
                                        ; implicit-def: $vgpr0_vgpr1
	s_cbranch_execz .LBB304_1138
; %bb.1025:
	v_cmp_gt_i16_e32 vcc_lo, 5, v11
	s_cbranch_vccnz .LBB304_1031
; %bb.1026:
	v_cmp_gt_i16_e32 vcc_lo, 8, v11
	s_cbranch_vccnz .LBB304_1033
	;; [unrolled: 3-line block ×3, first 2 shown]
; %bb.1028:
	v_cmp_lt_i16_e32 vcc_lo, 9, v11
	s_cbranch_vccz .LBB304_1039
; %bb.1029:
	global_load_b64 v[0:1], v[2:3], off
	s_mov_b32 s0, 0
	s_waitcnt vmcnt(0)
	v_trunc_f64_e32 v[0:1], v[0:1]
	s_delay_alu instid0(VALU_DEP_1) | instskip(NEXT) | instid1(VALU_DEP_1)
	v_ldexp_f64 v[5:6], v[0:1], 0xffffffe0
	v_floor_f64_e32 v[5:6], v[5:6]
	s_delay_alu instid0(VALU_DEP_1) | instskip(SKIP_1) | instid1(VALU_DEP_2)
	v_fma_f64 v[7:8], 0xc1f00000, v[5:6], v[0:1]
	v_cvt_i32_f64_e32 v1, v[5:6]
	v_cvt_u32_f64_e32 v0, v[7:8]
	s_branch .LBB304_1040
.LBB304_1030:
	s_mov_b32 s0, 0
                                        ; implicit-def: $vgpr0_vgpr1
	s_cbranch_execnz .LBB304_1107
	s_branch .LBB304_1134
.LBB304_1031:
                                        ; implicit-def: $vgpr0_vgpr1
	s_branch .LBB304_1057
.LBB304_1032:
	s_mov_b32 s0, 0
                                        ; implicit-def: $vgpr0_vgpr1
	s_cbranch_execz .LBB304_1106
	s_branch .LBB304_1089
.LBB304_1033:
                                        ; implicit-def: $vgpr0_vgpr1
	s_branch .LBB304_1046
.LBB304_1034:
	s_mov_b32 s0, 0
                                        ; implicit-def: $vgpr0_vgpr1
	s_cbranch_execnz .LBB304_1085
	s_branch .LBB304_1088
.LBB304_1035:
	s_mov_b32 s0, -1
                                        ; implicit-def: $vgpr0_vgpr1
	s_branch .LBB304_1043
.LBB304_1036:
	s_cbranch_execnz .LBB304_1076
; %bb.1037:
	s_or_b32 s16, s16, exec_lo
	s_and_not1_b32 s18, s18, exec_lo
	s_or_b32 exec_lo, exec_lo, s0
	s_and_saveexec_b32 s0, s18
	s_delay_alu instid0(SALU_CYCLE_1)
	s_xor_b32 s0, exec_lo, s0
	s_cbranch_execnz .LBB304_976
	s_branch .LBB304_977
.LBB304_1038:
	s_mov_b32 s1, -1
	s_branch .LBB304_1079
.LBB304_1039:
	s_mov_b32 s0, -1
                                        ; implicit-def: $vgpr0_vgpr1
.LBB304_1040:
	s_delay_alu instid0(SALU_CYCLE_1)
	s_and_not1_b32 vcc_lo, exec_lo, s0
	s_cbranch_vccnz .LBB304_1042
; %bb.1041:
	global_load_b32 v0, v[2:3], off
	s_waitcnt vmcnt(0)
	v_trunc_f32_e32 v0, v0
	s_delay_alu instid0(VALU_DEP_1) | instskip(SKIP_1) | instid1(VALU_DEP_2)
	v_mul_f32_e64 v1, 0x2f800000, |v0|
	v_ashrrev_i32_e32 v6, 31, v0
	v_floor_f32_e32 v1, v1
	s_delay_alu instid0(VALU_DEP_1) | instskip(SKIP_1) | instid1(VALU_DEP_2)
	v_fma_f32 v5, 0xcf800000, v1, |v0|
	v_cvt_u32_f32_e32 v1, v1
	v_cvt_u32_f32_e32 v0, v5
	s_delay_alu instid0(VALU_DEP_2) | instskip(NEXT) | instid1(VALU_DEP_2)
	v_xor_b32_e32 v1, v1, v6
	v_xor_b32_e32 v0, v0, v6
	s_delay_alu instid0(VALU_DEP_1) | instskip(NEXT) | instid1(VALU_DEP_3)
	v_sub_co_u32 v0, vcc_lo, v0, v6
	v_sub_co_ci_u32_e32 v1, vcc_lo, v1, v6, vcc_lo
.LBB304_1042:
	s_mov_b32 s0, 0
.LBB304_1043:
	s_delay_alu instid0(SALU_CYCLE_1)
	s_and_not1_b32 vcc_lo, exec_lo, s0
	s_cbranch_vccnz .LBB304_1045
; %bb.1044:
	global_load_b32 v0, v[2:3], off
	s_waitcnt vmcnt(0)
	v_cvt_f32_f16_e32 v0, v0
	s_delay_alu instid0(VALU_DEP_1) | instskip(NEXT) | instid1(VALU_DEP_1)
	v_cvt_i32_f32_e32 v0, v0
	v_ashrrev_i32_e32 v1, 31, v0
.LBB304_1045:
	s_cbranch_execnz .LBB304_1056
.LBB304_1046:
	v_cmp_gt_i16_e32 vcc_lo, 6, v11
	s_cbranch_vccnz .LBB304_1049
; %bb.1047:
	v_cmp_lt_i16_e32 vcc_lo, 6, v11
	s_cbranch_vccz .LBB304_1050
; %bb.1048:
	global_load_b64 v[0:1], v[2:3], off
	s_mov_b32 s0, 0
	s_waitcnt vmcnt(0)
	v_trunc_f64_e32 v[0:1], v[0:1]
	s_delay_alu instid0(VALU_DEP_1) | instskip(NEXT) | instid1(VALU_DEP_1)
	v_ldexp_f64 v[5:6], v[0:1], 0xffffffe0
	v_floor_f64_e32 v[5:6], v[5:6]
	s_delay_alu instid0(VALU_DEP_1) | instskip(SKIP_1) | instid1(VALU_DEP_2)
	v_fma_f64 v[7:8], 0xc1f00000, v[5:6], v[0:1]
	v_cvt_i32_f64_e32 v1, v[5:6]
	v_cvt_u32_f64_e32 v0, v[7:8]
	s_branch .LBB304_1051
.LBB304_1049:
	s_mov_b32 s0, -1
                                        ; implicit-def: $vgpr0_vgpr1
	s_branch .LBB304_1054
.LBB304_1050:
	s_mov_b32 s0, -1
                                        ; implicit-def: $vgpr0_vgpr1
.LBB304_1051:
	s_delay_alu instid0(SALU_CYCLE_1)
	s_and_not1_b32 vcc_lo, exec_lo, s0
	s_cbranch_vccnz .LBB304_1053
; %bb.1052:
	global_load_b32 v0, v[2:3], off
	s_waitcnt vmcnt(0)
	v_trunc_f32_e32 v0, v0
	s_delay_alu instid0(VALU_DEP_1) | instskip(SKIP_1) | instid1(VALU_DEP_2)
	v_mul_f32_e64 v1, 0x2f800000, |v0|
	v_ashrrev_i32_e32 v6, 31, v0
	v_floor_f32_e32 v1, v1
	s_delay_alu instid0(VALU_DEP_1) | instskip(SKIP_1) | instid1(VALU_DEP_2)
	v_fma_f32 v5, 0xcf800000, v1, |v0|
	v_cvt_u32_f32_e32 v1, v1
	v_cvt_u32_f32_e32 v0, v5
	s_delay_alu instid0(VALU_DEP_2) | instskip(NEXT) | instid1(VALU_DEP_2)
	v_xor_b32_e32 v1, v1, v6
	v_xor_b32_e32 v0, v0, v6
	s_delay_alu instid0(VALU_DEP_1) | instskip(NEXT) | instid1(VALU_DEP_3)
	v_sub_co_u32 v0, vcc_lo, v0, v6
	v_sub_co_ci_u32_e32 v1, vcc_lo, v1, v6, vcc_lo
.LBB304_1053:
	s_mov_b32 s0, 0
.LBB304_1054:
	s_delay_alu instid0(SALU_CYCLE_1)
	s_and_not1_b32 vcc_lo, exec_lo, s0
	s_cbranch_vccnz .LBB304_1056
; %bb.1055:
	global_load_u16 v0, v[2:3], off
	s_waitcnt vmcnt(0)
	v_cvt_f32_f16_e32 v0, v0
	s_delay_alu instid0(VALU_DEP_1) | instskip(NEXT) | instid1(VALU_DEP_1)
	v_cvt_i32_f32_e32 v0, v0
	v_ashrrev_i32_e32 v1, 31, v0
.LBB304_1056:
	s_cbranch_execnz .LBB304_1075
.LBB304_1057:
	v_cmp_gt_i16_e32 vcc_lo, 2, v11
	s_cbranch_vccnz .LBB304_1061
; %bb.1058:
	v_cmp_gt_i16_e32 vcc_lo, 3, v11
	s_cbranch_vccnz .LBB304_1062
; %bb.1059:
	v_cmp_lt_i16_e32 vcc_lo, 3, v11
	s_cbranch_vccz .LBB304_1063
; %bb.1060:
	global_load_b64 v[0:1], v[2:3], off
	s_mov_b32 s0, 0
	s_branch .LBB304_1064
.LBB304_1061:
                                        ; implicit-def: $vgpr0_vgpr1
	s_branch .LBB304_1070
.LBB304_1062:
	s_mov_b32 s0, -1
                                        ; implicit-def: $vgpr0_vgpr1
	s_branch .LBB304_1067
.LBB304_1063:
	s_mov_b32 s0, -1
                                        ; implicit-def: $vgpr0_vgpr1
.LBB304_1064:
	s_delay_alu instid0(SALU_CYCLE_1)
	s_and_not1_b32 vcc_lo, exec_lo, s0
	s_cbranch_vccnz .LBB304_1066
; %bb.1065:
	global_load_b32 v0, v[2:3], off
	s_waitcnt vmcnt(0)
	v_ashrrev_i32_e32 v1, 31, v0
.LBB304_1066:
	s_mov_b32 s0, 0
.LBB304_1067:
	s_delay_alu instid0(SALU_CYCLE_1)
	s_and_not1_b32 vcc_lo, exec_lo, s0
	s_cbranch_vccnz .LBB304_1069
; %bb.1068:
	global_load_u16 v0, v[2:3], off
	s_waitcnt vmcnt(0)
	v_bfe_i32 v0, v0, 0, 16
	s_delay_alu instid0(VALU_DEP_1)
	v_ashrrev_i32_e32 v1, 31, v0
.LBB304_1069:
	s_cbranch_execnz .LBB304_1075
.LBB304_1070:
	v_cmp_lt_i16_e32 vcc_lo, 0, v11
	s_mov_b32 s0, 0
	s_cbranch_vccz .LBB304_1072
; %bb.1071:
	global_load_i8 v0, v[2:3], off
	s_waitcnt vmcnt(0)
	v_bfe_i32 v0, v0, 0, 16
	s_delay_alu instid0(VALU_DEP_1)
	v_ashrrev_i32_e32 v1, 31, v0
	s_branch .LBB304_1073
.LBB304_1072:
	s_mov_b32 s0, -1
                                        ; implicit-def: $vgpr0_vgpr1
.LBB304_1073:
	s_delay_alu instid0(SALU_CYCLE_1)
	s_and_not1_b32 vcc_lo, exec_lo, s0
	s_cbranch_vccnz .LBB304_1075
; %bb.1074:
	global_load_u8 v0, v[2:3], off
	s_mov_b32 s0, 0
	s_waitcnt vmcnt(0)
	v_dual_mov_b32 v1, s0 :: v_dual_and_b32 v0, 0xffff, v0
.LBB304_1075:
	s_branch .LBB304_1139
.LBB304_1076:
	s_trap 2
	s_sendmsg_rtn_b32 s0, sendmsg(MSG_RTN_GET_DOORBELL)
	s_mov_b32 ttmp2, m0
	s_waitcnt lgkmcnt(0)
	s_and_b32 s0, s0, 0x3ff
	s_delay_alu instid0(SALU_CYCLE_1) | instskip(NEXT) | instid1(SALU_CYCLE_1)
	s_bitset1_b32 s0, 10
	s_mov_b32 m0, s0
	s_sendmsg sendmsg(MSG_INTERRUPT)
	s_mov_b32 m0, ttmp2
.LBB304_1077:                           ; =>This Inner Loop Header: Depth=1
	s_sethalt 5
	s_branch .LBB304_1077
.LBB304_1078:
	s_mov_b32 s13, -1
.LBB304_1079:
	s_mov_b32 s0, 0
                                        ; implicit-def: $vgpr0_vgpr1
.LBB304_1080:
	s_and_b32 vcc_lo, exec_lo, s1
	s_cbranch_vccz .LBB304_1083
; %bb.1081:
	v_cmp_eq_u16_e32 vcc_lo, 44, v11
	s_cbranch_vccz .LBB304_1084
; %bb.1082:
	global_load_u8 v0, v[2:3], off
	s_mov_b32 s13, 0
	s_mov_b32 s0, -1
	s_waitcnt vmcnt(0)
	v_lshlrev_b32_e32 v1, 23, v0
	s_delay_alu instid0(VALU_DEP_1) | instskip(NEXT) | instid1(VALU_DEP_1)
	v_trunc_f32_e32 v1, v1
	v_mul_f32_e64 v5, 0x2f800000, |v1|
	s_delay_alu instid0(VALU_DEP_1) | instskip(NEXT) | instid1(VALU_DEP_1)
	v_floor_f32_e32 v5, v5
	v_fma_f32 v6, 0xcf800000, v5, |v1|
	v_ashrrev_i32_e32 v1, 31, v1
	v_cvt_u32_f32_e32 v5, v5
	s_delay_alu instid0(VALU_DEP_3) | instskip(NEXT) | instid1(VALU_DEP_2)
	v_cvt_u32_f32_e32 v6, v6
	v_xor_b32_e32 v5, v5, v1
	s_delay_alu instid0(VALU_DEP_2) | instskip(NEXT) | instid1(VALU_DEP_1)
	v_xor_b32_e32 v6, v6, v1
	v_sub_co_u32 v6, vcc_lo, v6, v1
	s_delay_alu instid0(VALU_DEP_3) | instskip(SKIP_1) | instid1(VALU_DEP_2)
	v_sub_co_ci_u32_e32 v1, vcc_lo, v5, v1, vcc_lo
	v_cmp_ne_u32_e32 vcc_lo, 0, v0
	v_dual_cndmask_b32 v0, 0, v6 :: v_dual_cndmask_b32 v1, 0, v1
.LBB304_1083:
	s_branch .LBB304_1088
.LBB304_1084:
	s_mov_b32 s13, -1
                                        ; implicit-def: $vgpr0_vgpr1
	s_branch .LBB304_1088
.LBB304_1085:
	v_cmp_eq_u16_e32 vcc_lo, 29, v11
	s_cbranch_vccz .LBB304_1087
; %bb.1086:
	global_load_b64 v[0:1], v[2:3], off
	s_mov_b32 s13, 0
	s_mov_b32 s0, -1
	s_branch .LBB304_1088
.LBB304_1087:
	s_mov_b32 s13, -1
                                        ; implicit-def: $vgpr0_vgpr1
.LBB304_1088:
	s_branch .LBB304_1106
.LBB304_1089:
	v_cmp_gt_i16_e32 vcc_lo, 27, v11
	s_cbranch_vccnz .LBB304_1092
; %bb.1090:
	v_cmp_lt_i16_e32 vcc_lo, 27, v11
	s_cbranch_vccz .LBB304_1093
; %bb.1091:
	global_load_b32 v0, v[2:3], off
	s_waitcnt vmcnt(1)
	v_mov_b32_e32 v1, 0
	s_mov_b32 s0, 0
	s_branch .LBB304_1094
.LBB304_1092:
	s_mov_b32 s0, -1
                                        ; implicit-def: $vgpr0_vgpr1
	s_branch .LBB304_1097
.LBB304_1093:
	s_mov_b32 s0, -1
                                        ; implicit-def: $vgpr0_vgpr1
.LBB304_1094:
	s_delay_alu instid0(SALU_CYCLE_1)
	s_and_not1_b32 vcc_lo, exec_lo, s0
	s_cbranch_vccnz .LBB304_1096
; %bb.1095:
	global_load_u16 v0, v[2:3], off
	s_mov_b32 s0, 0
	s_waitcnt vmcnt(0)
	v_dual_mov_b32 v1, s0 :: v_dual_and_b32 v0, 0xffff, v0
.LBB304_1096:
	s_mov_b32 s0, 0
.LBB304_1097:
	s_delay_alu instid0(SALU_CYCLE_1)
	s_and_not1_b32 vcc_lo, exec_lo, s0
	s_cbranch_vccnz .LBB304_1105
; %bb.1098:
	global_load_u8 v5, v[2:3], off
	s_mov_b32 s17, 0
	s_mov_b32 s18, exec_lo
                                        ; implicit-def: $sgpr0_sgpr1
	s_waitcnt vmcnt(0)
	v_cmpx_lt_i16_e32 0x7f, v5
	s_xor_b32 s18, exec_lo, s18
; %bb.1099:
	v_cmp_ne_u16_e32 vcc_lo, 0x80, v5
	s_mov_b64 s[0:1], 0
	s_and_b32 s17, vcc_lo, exec_lo
; %bb.1100:
	s_or_saveexec_b32 s18, s18
	v_dual_mov_b32 v0, s0 :: v_dual_mov_b32 v1, s1
	s_xor_b32 exec_lo, exec_lo, s18
; %bb.1101:
	v_cmp_ne_u16_e32 vcc_lo, 0, v5
	v_mov_b32_e32 v0, 0
	v_mov_b32_e32 v1, 0
	s_and_not1_b32 s0, s17, exec_lo
	s_and_b32 s1, vcc_lo, exec_lo
	s_delay_alu instid0(SALU_CYCLE_1)
	s_or_b32 s17, s0, s1
; %bb.1102:
	s_or_b32 exec_lo, exec_lo, s18
	s_and_saveexec_b32 s0, s17
	s_cbranch_execz .LBB304_1104
; %bb.1103:
	v_and_b32_e32 v0, 0xffff, v5
	v_lshlrev_b32_e32 v5, 24, v5
	s_delay_alu instid0(VALU_DEP_2) | instskip(NEXT) | instid1(VALU_DEP_2)
	v_and_b32_e32 v1, 7, v0
	v_and_b32_e32 v5, 0x80000000, v5
	s_delay_alu instid0(VALU_DEP_2) | instskip(NEXT) | instid1(VALU_DEP_1)
	v_clz_i32_u32_e32 v6, v1
	v_min_u32_e32 v6, 32, v6
	s_delay_alu instid0(VALU_DEP_1) | instskip(SKIP_1) | instid1(VALU_DEP_2)
	v_subrev_nc_u32_e32 v7, 28, v6
	v_sub_nc_u32_e32 v6, 29, v6
	v_lshlrev_b32_e32 v7, v7, v0
	v_bfe_u32 v0, v0, 3, 4
	s_delay_alu instid0(VALU_DEP_2) | instskip(NEXT) | instid1(VALU_DEP_2)
	v_and_b32_e32 v7, 7, v7
	v_cmp_eq_u32_e32 vcc_lo, 0, v0
	s_delay_alu instid0(VALU_DEP_2) | instskip(NEXT) | instid1(VALU_DEP_1)
	v_dual_cndmask_b32 v0, v0, v6 :: v_dual_cndmask_b32 v1, v1, v7
	v_lshl_add_u32 v0, v0, 23, 0x3b800000
	s_delay_alu instid0(VALU_DEP_2) | instskip(NEXT) | instid1(VALU_DEP_1)
	v_lshlrev_b32_e32 v1, 20, v1
	v_or3_b32 v0, v5, v0, v1
	s_delay_alu instid0(VALU_DEP_1) | instskip(NEXT) | instid1(VALU_DEP_1)
	v_trunc_f32_e32 v0, v0
	v_mul_f32_e64 v1, 0x2f800000, |v0|
	v_ashrrev_i32_e32 v6, 31, v0
	s_delay_alu instid0(VALU_DEP_2) | instskip(NEXT) | instid1(VALU_DEP_1)
	v_floor_f32_e32 v1, v1
	v_fma_f32 v5, 0xcf800000, v1, |v0|
	v_cvt_u32_f32_e32 v1, v1
	s_delay_alu instid0(VALU_DEP_2) | instskip(NEXT) | instid1(VALU_DEP_2)
	v_cvt_u32_f32_e32 v0, v5
	v_xor_b32_e32 v1, v1, v6
	s_delay_alu instid0(VALU_DEP_2) | instskip(NEXT) | instid1(VALU_DEP_1)
	v_xor_b32_e32 v0, v0, v6
	v_sub_co_u32 v0, vcc_lo, v0, v6
	s_delay_alu instid0(VALU_DEP_3)
	v_sub_co_ci_u32_e32 v1, vcc_lo, v1, v6, vcc_lo
.LBB304_1104:
	s_or_b32 exec_lo, exec_lo, s0
.LBB304_1105:
	s_mov_b32 s0, -1
.LBB304_1106:
	s_branch .LBB304_1134
.LBB304_1107:
	v_cmp_lt_i16_e32 vcc_lo, 22, v11
	s_cbranch_vccz .LBB304_1117
; %bb.1108:
	v_cmp_gt_i16_e32 vcc_lo, 24, v11
	s_cbranch_vccnz .LBB304_1118
; %bb.1109:
	v_cmp_lt_i16_e32 vcc_lo, 24, v11
	s_cbranch_vccz .LBB304_1119
; %bb.1110:
	global_load_u8 v5, v[2:3], off
	s_mov_b32 s17, exec_lo
                                        ; implicit-def: $sgpr0_sgpr1
	s_waitcnt vmcnt(0)
	v_cmpx_lt_i16_e32 0x7f, v5
	s_xor_b32 s17, exec_lo, s17
; %bb.1111:
	v_cmp_ne_u16_e32 vcc_lo, 0x80, v5
	s_mov_b64 s[0:1], 0
	s_and_b32 s16, vcc_lo, exec_lo
; %bb.1112:
	s_or_saveexec_b32 s17, s17
	v_dual_mov_b32 v0, s0 :: v_dual_mov_b32 v1, s1
	s_xor_b32 exec_lo, exec_lo, s17
; %bb.1113:
	v_cmp_ne_u16_e32 vcc_lo, 0, v5
	v_mov_b32_e32 v0, 0
	v_mov_b32_e32 v1, 0
	s_and_not1_b32 s0, s16, exec_lo
	s_and_b32 s1, vcc_lo, exec_lo
	s_delay_alu instid0(SALU_CYCLE_1)
	s_or_b32 s16, s0, s1
; %bb.1114:
	s_or_b32 exec_lo, exec_lo, s17
	s_and_saveexec_b32 s0, s16
	s_cbranch_execz .LBB304_1116
; %bb.1115:
	v_and_b32_e32 v0, 0xffff, v5
	v_lshlrev_b32_e32 v5, 24, v5
	s_delay_alu instid0(VALU_DEP_2) | instskip(NEXT) | instid1(VALU_DEP_2)
	v_and_b32_e32 v1, 3, v0
	v_and_b32_e32 v5, 0x80000000, v5
	s_delay_alu instid0(VALU_DEP_2) | instskip(NEXT) | instid1(VALU_DEP_1)
	v_clz_i32_u32_e32 v6, v1
	v_min_u32_e32 v6, 32, v6
	s_delay_alu instid0(VALU_DEP_1) | instskip(SKIP_1) | instid1(VALU_DEP_2)
	v_subrev_nc_u32_e32 v7, 29, v6
	v_sub_nc_u32_e32 v6, 30, v6
	v_lshlrev_b32_e32 v7, v7, v0
	v_bfe_u32 v0, v0, 2, 5
	s_delay_alu instid0(VALU_DEP_2) | instskip(NEXT) | instid1(VALU_DEP_2)
	v_and_b32_e32 v7, 3, v7
	v_cmp_eq_u32_e32 vcc_lo, 0, v0
	s_delay_alu instid0(VALU_DEP_2) | instskip(NEXT) | instid1(VALU_DEP_1)
	v_dual_cndmask_b32 v0, v0, v6 :: v_dual_cndmask_b32 v1, v1, v7
	v_lshl_add_u32 v0, v0, 23, 0x37800000
	s_delay_alu instid0(VALU_DEP_2) | instskip(NEXT) | instid1(VALU_DEP_1)
	v_lshlrev_b32_e32 v1, 21, v1
	v_or3_b32 v0, v5, v0, v1
	s_delay_alu instid0(VALU_DEP_1) | instskip(NEXT) | instid1(VALU_DEP_1)
	v_trunc_f32_e32 v0, v0
	v_mul_f32_e64 v1, 0x2f800000, |v0|
	v_ashrrev_i32_e32 v6, 31, v0
	s_delay_alu instid0(VALU_DEP_2) | instskip(NEXT) | instid1(VALU_DEP_1)
	v_floor_f32_e32 v1, v1
	v_fma_f32 v5, 0xcf800000, v1, |v0|
	v_cvt_u32_f32_e32 v1, v1
	s_delay_alu instid0(VALU_DEP_2) | instskip(NEXT) | instid1(VALU_DEP_2)
	v_cvt_u32_f32_e32 v0, v5
	v_xor_b32_e32 v1, v1, v6
	s_delay_alu instid0(VALU_DEP_2) | instskip(NEXT) | instid1(VALU_DEP_1)
	v_xor_b32_e32 v0, v0, v6
	v_sub_co_u32 v0, vcc_lo, v0, v6
	s_delay_alu instid0(VALU_DEP_3)
	v_sub_co_ci_u32_e32 v1, vcc_lo, v1, v6, vcc_lo
.LBB304_1116:
	s_or_b32 exec_lo, exec_lo, s0
	s_mov_b32 s0, 0
	s_branch .LBB304_1120
.LBB304_1117:
                                        ; implicit-def: $vgpr0_vgpr1
	s_mov_b32 s16, 0
	s_branch .LBB304_1126
.LBB304_1118:
	s_mov_b32 s0, -1
                                        ; implicit-def: $vgpr0_vgpr1
	s_branch .LBB304_1123
.LBB304_1119:
	s_mov_b32 s0, -1
                                        ; implicit-def: $vgpr0_vgpr1
.LBB304_1120:
	s_delay_alu instid0(SALU_CYCLE_1)
	s_and_b32 vcc_lo, exec_lo, s0
	s_cbranch_vccz .LBB304_1122
; %bb.1121:
	global_load_u8 v0, v[2:3], off
	s_waitcnt vmcnt(0)
	v_lshlrev_b32_e32 v0, 24, v0
	s_delay_alu instid0(VALU_DEP_1) | instskip(NEXT) | instid1(VALU_DEP_1)
	v_and_b32_e32 v1, 0x7f000000, v0
	v_clz_i32_u32_e32 v5, v1
	v_add_nc_u32_e32 v7, 0x1000000, v1
	v_cmp_ne_u32_e32 vcc_lo, 0, v1
	s_delay_alu instid0(VALU_DEP_3) | instskip(NEXT) | instid1(VALU_DEP_1)
	v_min_u32_e32 v5, 32, v5
	v_sub_nc_u32_e64 v5, v5, 4 clamp
	s_delay_alu instid0(VALU_DEP_1) | instskip(SKIP_1) | instid1(VALU_DEP_2)
	v_lshlrev_b32_e32 v6, v5, v1
	v_lshlrev_b32_e32 v5, 23, v5
	v_lshrrev_b32_e32 v6, 4, v6
	s_delay_alu instid0(VALU_DEP_1) | instskip(SKIP_1) | instid1(VALU_DEP_2)
	v_sub_nc_u32_e32 v5, v6, v5
	v_ashrrev_i32_e32 v6, 8, v7
	v_add_nc_u32_e32 v5, 0x3c000000, v5
	s_delay_alu instid0(VALU_DEP_1) | instskip(NEXT) | instid1(VALU_DEP_1)
	v_and_or_b32 v5, 0x7f800000, v6, v5
	v_cndmask_b32_e32 v1, 0, v5, vcc_lo
	s_delay_alu instid0(VALU_DEP_1) | instskip(NEXT) | instid1(VALU_DEP_1)
	v_and_or_b32 v0, 0x80000000, v0, v1
	v_trunc_f32_e32 v0, v0
	s_delay_alu instid0(VALU_DEP_1) | instskip(SKIP_1) | instid1(VALU_DEP_2)
	v_mul_f32_e64 v1, 0x2f800000, |v0|
	v_ashrrev_i32_e32 v6, 31, v0
	v_floor_f32_e32 v1, v1
	s_delay_alu instid0(VALU_DEP_1) | instskip(SKIP_1) | instid1(VALU_DEP_2)
	v_fma_f32 v5, 0xcf800000, v1, |v0|
	v_cvt_u32_f32_e32 v1, v1
	v_cvt_u32_f32_e32 v0, v5
	s_delay_alu instid0(VALU_DEP_2) | instskip(NEXT) | instid1(VALU_DEP_2)
	v_xor_b32_e32 v1, v1, v6
	v_xor_b32_e32 v0, v0, v6
	s_delay_alu instid0(VALU_DEP_1) | instskip(NEXT) | instid1(VALU_DEP_3)
	v_sub_co_u32 v0, vcc_lo, v0, v6
	v_sub_co_ci_u32_e32 v1, vcc_lo, v1, v6, vcc_lo
.LBB304_1122:
	s_mov_b32 s0, 0
.LBB304_1123:
	s_delay_alu instid0(SALU_CYCLE_1)
	s_and_not1_b32 vcc_lo, exec_lo, s0
	s_cbranch_vccnz .LBB304_1125
; %bb.1124:
	global_load_u8 v0, v[2:3], off
	s_waitcnt vmcnt(0)
	v_lshlrev_b32_e32 v1, 25, v0
	v_lshlrev_b16 v0, 8, v0
	s_delay_alu instid0(VALU_DEP_1) | instskip(SKIP_1) | instid1(VALU_DEP_2)
	v_and_or_b32 v6, 0x7f00, v0, 0.5
	v_bfe_i32 v0, v0, 0, 16
	v_add_f32_e32 v6, -0.5, v6
	v_lshrrev_b32_e32 v5, 4, v1
	v_cmp_gt_u32_e32 vcc_lo, 0x8000000, v1
	s_delay_alu instid0(VALU_DEP_2) | instskip(NEXT) | instid1(VALU_DEP_1)
	v_or_b32_e32 v5, 0x70000000, v5
	v_mul_f32_e32 v5, 0x7800000, v5
	s_delay_alu instid0(VALU_DEP_1) | instskip(NEXT) | instid1(VALU_DEP_1)
	v_cndmask_b32_e32 v1, v5, v6, vcc_lo
	v_and_or_b32 v0, 0x80000000, v0, v1
	s_delay_alu instid0(VALU_DEP_1) | instskip(NEXT) | instid1(VALU_DEP_1)
	v_trunc_f32_e32 v0, v0
	v_mul_f32_e64 v1, 0x2f800000, |v0|
	v_ashrrev_i32_e32 v6, 31, v0
	s_delay_alu instid0(VALU_DEP_2) | instskip(NEXT) | instid1(VALU_DEP_1)
	v_floor_f32_e32 v1, v1
	v_fma_f32 v5, 0xcf800000, v1, |v0|
	v_cvt_u32_f32_e32 v1, v1
	s_delay_alu instid0(VALU_DEP_2) | instskip(NEXT) | instid1(VALU_DEP_2)
	v_cvt_u32_f32_e32 v0, v5
	v_xor_b32_e32 v1, v1, v6
	s_delay_alu instid0(VALU_DEP_2) | instskip(NEXT) | instid1(VALU_DEP_1)
	v_xor_b32_e32 v0, v0, v6
	v_sub_co_u32 v0, vcc_lo, v0, v6
	s_delay_alu instid0(VALU_DEP_3)
	v_sub_co_ci_u32_e32 v1, vcc_lo, v1, v6, vcc_lo
.LBB304_1125:
	s_mov_b32 s0, -1
	s_mov_b32 s16, 0
	s_cbranch_execnz .LBB304_1134
.LBB304_1126:
	v_cmp_lt_i16_e32 vcc_lo, 14, v11
	s_cbranch_vccz .LBB304_1129
; %bb.1127:
	v_cmp_eq_u16_e32 vcc_lo, 15, v11
	s_cbranch_vccz .LBB304_1130
; %bb.1128:
	global_load_u16 v0, v[2:3], off
	s_mov_b32 s13, 0
	s_mov_b32 s0, -1
	s_waitcnt vmcnt(0)
	v_lshlrev_b32_e32 v0, 16, v0
	s_delay_alu instid0(VALU_DEP_1) | instskip(NEXT) | instid1(VALU_DEP_1)
	v_trunc_f32_e32 v0, v0
	v_mul_f32_e64 v1, 0x2f800000, |v0|
	v_ashrrev_i32_e32 v6, 31, v0
	s_delay_alu instid0(VALU_DEP_2) | instskip(NEXT) | instid1(VALU_DEP_1)
	v_floor_f32_e32 v1, v1
	v_fma_f32 v5, 0xcf800000, v1, |v0|
	v_cvt_u32_f32_e32 v1, v1
	s_delay_alu instid0(VALU_DEP_2) | instskip(NEXT) | instid1(VALU_DEP_2)
	v_cvt_u32_f32_e32 v0, v5
	v_xor_b32_e32 v1, v1, v6
	s_delay_alu instid0(VALU_DEP_2) | instskip(NEXT) | instid1(VALU_DEP_1)
	v_xor_b32_e32 v0, v0, v6
	v_sub_co_u32 v0, vcc_lo, v0, v6
	s_delay_alu instid0(VALU_DEP_3)
	v_sub_co_ci_u32_e32 v1, vcc_lo, v1, v6, vcc_lo
	s_branch .LBB304_1131
.LBB304_1129:
	s_mov_b32 s1, -1
                                        ; implicit-def: $vgpr0_vgpr1
	s_branch .LBB304_1132
.LBB304_1130:
	s_mov_b32 s13, -1
                                        ; implicit-def: $vgpr0_vgpr1
.LBB304_1131:
	s_mov_b32 s1, 0
.LBB304_1132:
	s_delay_alu instid0(SALU_CYCLE_1)
	s_and_b32 vcc_lo, exec_lo, s1
	s_cbranch_vccz .LBB304_1134
; %bb.1133:
	v_cmp_ne_u16_e64 s13, 11, v11
	s_mov_b32 s16, -1
                                        ; implicit-def: $vgpr0_vgpr1
.LBB304_1134:
	s_delay_alu instid0(VALU_DEP_1)
	s_and_b32 vcc_lo, exec_lo, s13
	s_mov_b32 s13, s15
	s_cbranch_vccnz .LBB304_1158
; %bb.1135:
	s_and_not1_b32 vcc_lo, exec_lo, s16
	s_cbranch_vccnz .LBB304_1137
.LBB304_1136:
	global_load_u8 v0, v[2:3], off
	s_mov_b32 s0, 0
	s_waitcnt vmcnt(1)
	v_mov_b32_e32 v1, s0
	s_mov_b32 s0, -1
	s_waitcnt vmcnt(0)
	v_cmp_ne_u16_e32 vcc_lo, 0, v0
	v_cndmask_b32_e64 v0, 0, 1, vcc_lo
.LBB304_1137:
.LBB304_1138:
	s_and_not1_b32 vcc_lo, exec_lo, s0
	s_cbranch_vccnz .LBB304_1962
.LBB304_1139:
	s_lshl_b32 s3, s3, 7
	v_cmp_gt_i16_e32 vcc_lo, 11, v11
	v_add_nc_u32_e32 v6, s3, v4
	s_delay_alu instid0(VALU_DEP_1) | instskip(SKIP_1) | instid1(VALU_DEP_1)
	v_ashrrev_i32_e32 v2, 31, v6
	v_add_co_u32 v4, s0, s6, v6
	v_add_co_ci_u32_e64 v5, s0, s7, v2, s0
	s_cbranch_vccnz .LBB304_1146
; %bb.1140:
	v_cmp_lt_i16_e32 vcc_lo, 25, v11
	s_mov_b32 s17, 0
	s_cbranch_vccz .LBB304_1152
; %bb.1141:
	v_cmp_lt_i16_e32 vcc_lo, 28, v11
	s_cbranch_vccz .LBB304_1154
; %bb.1142:
	v_cmp_lt_i16_e32 vcc_lo, 43, v11
	;; [unrolled: 3-line block ×3, first 2 shown]
	s_cbranch_vccz .LBB304_1162
; %bb.1144:
	v_cmp_eq_u16_e32 vcc_lo, 46, v11
	s_mov_b32 s1, 0
	s_cbranch_vccz .LBB304_1206
; %bb.1145:
	global_load_b32 v2, v[4:5], off
	s_mov_b32 s16, 0
	s_mov_b32 s0, -1
	s_waitcnt vmcnt(0)
	v_lshlrev_b32_e32 v2, 16, v2
	s_delay_alu instid0(VALU_DEP_1) | instskip(NEXT) | instid1(VALU_DEP_1)
	v_trunc_f32_e32 v2, v2
	v_mul_f32_e64 v3, 0x2f800000, |v2|
	v_ashrrev_i32_e32 v8, 31, v2
	s_delay_alu instid0(VALU_DEP_2) | instskip(NEXT) | instid1(VALU_DEP_1)
	v_floor_f32_e32 v3, v3
	v_fma_f32 v7, 0xcf800000, v3, |v2|
	v_cvt_u32_f32_e32 v3, v3
	s_delay_alu instid0(VALU_DEP_2) | instskip(NEXT) | instid1(VALU_DEP_2)
	v_cvt_u32_f32_e32 v2, v7
	v_xor_b32_e32 v3, v3, v8
	s_delay_alu instid0(VALU_DEP_2) | instskip(NEXT) | instid1(VALU_DEP_1)
	v_xor_b32_e32 v2, v2, v8
	v_sub_co_u32 v2, vcc_lo, v2, v8
	s_delay_alu instid0(VALU_DEP_3)
	v_sub_co_ci_u32_e32 v3, vcc_lo, v3, v8, vcc_lo
	s_branch .LBB304_1208
.LBB304_1146:
	s_mov_b32 s0, 0
                                        ; implicit-def: $vgpr2_vgpr3
	s_cbranch_execz .LBB304_1269
; %bb.1147:
	v_cmp_gt_i16_e32 vcc_lo, 5, v11
	s_cbranch_vccnz .LBB304_1153
; %bb.1148:
	v_cmp_gt_i16_e32 vcc_lo, 8, v11
	s_cbranch_vccnz .LBB304_1155
	;; [unrolled: 3-line block ×3, first 2 shown]
; %bb.1150:
	v_cmp_lt_i16_e32 vcc_lo, 9, v11
	s_cbranch_vccz .LBB304_1163
; %bb.1151:
	global_load_b64 v[2:3], v[4:5], off
	s_mov_b32 s0, 0
	s_waitcnt vmcnt(0)
	v_trunc_f64_e32 v[2:3], v[2:3]
	s_delay_alu instid0(VALU_DEP_1) | instskip(NEXT) | instid1(VALU_DEP_1)
	v_ldexp_f64 v[7:8], v[2:3], 0xffffffe0
	v_floor_f64_e32 v[7:8], v[7:8]
	s_delay_alu instid0(VALU_DEP_1) | instskip(SKIP_1) | instid1(VALU_DEP_2)
	v_fma_f64 v[12:13], 0xc1f00000, v[7:8], v[2:3]
	v_cvt_i32_f64_e32 v3, v[7:8]
	v_cvt_u32_f64_e32 v2, v[12:13]
	s_branch .LBB304_1164
.LBB304_1152:
	s_mov_b32 s0, 0
	s_mov_b32 s16, 0
                                        ; implicit-def: $vgpr2_vgpr3
	s_cbranch_execnz .LBB304_1237
	s_branch .LBB304_1265
.LBB304_1153:
                                        ; implicit-def: $vgpr2_vgpr3
	s_branch .LBB304_1182
.LBB304_1154:
	s_mov_b32 s1, -1
	s_mov_b32 s0, 0
	s_mov_b32 s16, 0
                                        ; implicit-def: $vgpr2_vgpr3
	s_branch .LBB304_1218
.LBB304_1155:
	s_mov_b32 s0, -1
                                        ; implicit-def: $vgpr2_vgpr3
	s_branch .LBB304_1170
.LBB304_1156:
	s_mov_b32 s1, -1
	s_mov_b32 s0, 0
	s_mov_b32 s16, 0
                                        ; implicit-def: $vgpr2_vgpr3
	s_branch .LBB304_1213
.LBB304_1157:
	s_mov_b32 s0, -1
                                        ; implicit-def: $vgpr2_vgpr3
	s_branch .LBB304_1167
.LBB304_1158:
	s_cbranch_execnz .LBB304_1202
; %bb.1159:
	s_or_b32 s13, s15, exec_lo
                                        ; implicit-def: $vgpr0_vgpr1
	s_cbranch_execz .LBB304_1136
	s_branch .LBB304_1137
.LBB304_1160:
	s_or_saveexec_b32 s19, s19
                                        ; implicit-def: $sgpr20
	s_delay_alu instid0(SALU_CYCLE_1)
	s_xor_b32 exec_lo, exec_lo, s19
	s_cbranch_execz .LBB304_927
.LBB304_1161:
	v_add_f32_e64 v5, 0x46000000, |v4|
	s_and_not1_b32 s18, s18, exec_lo
	s_mov_b32 s20, 0
	s_delay_alu instid0(VALU_DEP_1) | instskip(NEXT) | instid1(VALU_DEP_1)
	v_and_b32_e32 v5, 0xff, v5
	v_cmp_ne_u32_e32 vcc_lo, 0, v5
	s_and_b32 s21, vcc_lo, exec_lo
	s_delay_alu instid0(SALU_CYCLE_1)
	s_or_b32 s18, s18, s21
	s_or_b32 exec_lo, exec_lo, s19
	v_mov_b32_e32 v7, s20
	s_and_saveexec_b32 s19, s18
	s_cbranch_execnz .LBB304_928
	s_branch .LBB304_929
.LBB304_1162:
	s_mov_b32 s1, -1
	s_mov_b32 s0, 0
	s_mov_b32 s16, 0
	s_branch .LBB304_1207
.LBB304_1163:
	s_mov_b32 s0, -1
                                        ; implicit-def: $vgpr2_vgpr3
.LBB304_1164:
	s_delay_alu instid0(SALU_CYCLE_1)
	s_and_not1_b32 vcc_lo, exec_lo, s0
	s_cbranch_vccnz .LBB304_1166
; %bb.1165:
	global_load_b32 v2, v[4:5], off
	s_waitcnt vmcnt(0)
	v_trunc_f32_e32 v2, v2
	s_delay_alu instid0(VALU_DEP_1) | instskip(SKIP_1) | instid1(VALU_DEP_2)
	v_mul_f32_e64 v3, 0x2f800000, |v2|
	v_ashrrev_i32_e32 v8, 31, v2
	v_floor_f32_e32 v3, v3
	s_delay_alu instid0(VALU_DEP_1) | instskip(SKIP_1) | instid1(VALU_DEP_2)
	v_fma_f32 v7, 0xcf800000, v3, |v2|
	v_cvt_u32_f32_e32 v3, v3
	v_cvt_u32_f32_e32 v2, v7
	s_delay_alu instid0(VALU_DEP_2) | instskip(NEXT) | instid1(VALU_DEP_2)
	v_xor_b32_e32 v3, v3, v8
	v_xor_b32_e32 v2, v2, v8
	s_delay_alu instid0(VALU_DEP_1) | instskip(NEXT) | instid1(VALU_DEP_3)
	v_sub_co_u32 v2, vcc_lo, v2, v8
	v_sub_co_ci_u32_e32 v3, vcc_lo, v3, v8, vcc_lo
.LBB304_1166:
	s_mov_b32 s0, 0
.LBB304_1167:
	s_delay_alu instid0(SALU_CYCLE_1)
	s_and_not1_b32 vcc_lo, exec_lo, s0
	s_cbranch_vccnz .LBB304_1169
; %bb.1168:
	global_load_b32 v2, v[4:5], off
	s_waitcnt vmcnt(0)
	v_cvt_f32_f16_e32 v2, v2
	s_delay_alu instid0(VALU_DEP_1) | instskip(NEXT) | instid1(VALU_DEP_1)
	v_cvt_i32_f32_e32 v2, v2
	v_ashrrev_i32_e32 v3, 31, v2
.LBB304_1169:
	s_mov_b32 s0, 0
.LBB304_1170:
	s_delay_alu instid0(SALU_CYCLE_1)
	s_and_not1_b32 vcc_lo, exec_lo, s0
	s_cbranch_vccnz .LBB304_1181
; %bb.1171:
	v_cmp_gt_i16_e32 vcc_lo, 6, v11
	s_cbranch_vccnz .LBB304_1174
; %bb.1172:
	v_cmp_lt_i16_e32 vcc_lo, 6, v11
	s_cbranch_vccz .LBB304_1175
; %bb.1173:
	global_load_b64 v[2:3], v[4:5], off
	s_mov_b32 s0, 0
	s_waitcnt vmcnt(0)
	v_trunc_f64_e32 v[2:3], v[2:3]
	s_delay_alu instid0(VALU_DEP_1) | instskip(NEXT) | instid1(VALU_DEP_1)
	v_ldexp_f64 v[7:8], v[2:3], 0xffffffe0
	v_floor_f64_e32 v[7:8], v[7:8]
	s_delay_alu instid0(VALU_DEP_1) | instskip(SKIP_1) | instid1(VALU_DEP_2)
	v_fma_f64 v[12:13], 0xc1f00000, v[7:8], v[2:3]
	v_cvt_i32_f64_e32 v3, v[7:8]
	v_cvt_u32_f64_e32 v2, v[12:13]
	s_branch .LBB304_1176
.LBB304_1174:
	s_mov_b32 s0, -1
                                        ; implicit-def: $vgpr2_vgpr3
	s_branch .LBB304_1179
.LBB304_1175:
	s_mov_b32 s0, -1
                                        ; implicit-def: $vgpr2_vgpr3
.LBB304_1176:
	s_delay_alu instid0(SALU_CYCLE_1)
	s_and_not1_b32 vcc_lo, exec_lo, s0
	s_cbranch_vccnz .LBB304_1178
; %bb.1177:
	global_load_b32 v2, v[4:5], off
	s_waitcnt vmcnt(0)
	v_trunc_f32_e32 v2, v2
	s_delay_alu instid0(VALU_DEP_1) | instskip(SKIP_1) | instid1(VALU_DEP_2)
	v_mul_f32_e64 v3, 0x2f800000, |v2|
	v_ashrrev_i32_e32 v8, 31, v2
	v_floor_f32_e32 v3, v3
	s_delay_alu instid0(VALU_DEP_1) | instskip(SKIP_1) | instid1(VALU_DEP_2)
	v_fma_f32 v7, 0xcf800000, v3, |v2|
	v_cvt_u32_f32_e32 v3, v3
	v_cvt_u32_f32_e32 v2, v7
	s_delay_alu instid0(VALU_DEP_2) | instskip(NEXT) | instid1(VALU_DEP_2)
	v_xor_b32_e32 v3, v3, v8
	v_xor_b32_e32 v2, v2, v8
	s_delay_alu instid0(VALU_DEP_1) | instskip(NEXT) | instid1(VALU_DEP_3)
	v_sub_co_u32 v2, vcc_lo, v2, v8
	v_sub_co_ci_u32_e32 v3, vcc_lo, v3, v8, vcc_lo
.LBB304_1178:
	s_mov_b32 s0, 0
.LBB304_1179:
	s_delay_alu instid0(SALU_CYCLE_1)
	s_and_not1_b32 vcc_lo, exec_lo, s0
	s_cbranch_vccnz .LBB304_1181
; %bb.1180:
	global_load_u16 v2, v[4:5], off
	s_waitcnt vmcnt(0)
	v_cvt_f32_f16_e32 v2, v2
	s_delay_alu instid0(VALU_DEP_1) | instskip(NEXT) | instid1(VALU_DEP_1)
	v_cvt_i32_f32_e32 v2, v2
	v_ashrrev_i32_e32 v3, 31, v2
.LBB304_1181:
	s_cbranch_execnz .LBB304_1201
.LBB304_1182:
	v_cmp_gt_i16_e32 vcc_lo, 2, v11
	s_cbranch_vccnz .LBB304_1186
; %bb.1183:
	v_cmp_gt_i16_e32 vcc_lo, 3, v11
	s_cbranch_vccnz .LBB304_1187
; %bb.1184:
	v_cmp_lt_i16_e32 vcc_lo, 3, v11
	s_cbranch_vccz .LBB304_1188
; %bb.1185:
	global_load_b64 v[2:3], v[4:5], off
	s_mov_b32 s0, 0
	s_branch .LBB304_1189
.LBB304_1186:
	s_mov_b32 s0, -1
                                        ; implicit-def: $vgpr2_vgpr3
	s_branch .LBB304_1195
.LBB304_1187:
	s_mov_b32 s0, -1
                                        ; implicit-def: $vgpr2_vgpr3
	s_branch .LBB304_1192
.LBB304_1188:
	s_mov_b32 s0, -1
                                        ; implicit-def: $vgpr2_vgpr3
.LBB304_1189:
	s_delay_alu instid0(SALU_CYCLE_1)
	s_and_not1_b32 vcc_lo, exec_lo, s0
	s_cbranch_vccnz .LBB304_1191
; %bb.1190:
	global_load_b32 v2, v[4:5], off
	s_waitcnt vmcnt(0)
	v_ashrrev_i32_e32 v3, 31, v2
.LBB304_1191:
	s_mov_b32 s0, 0
.LBB304_1192:
	s_delay_alu instid0(SALU_CYCLE_1)
	s_and_not1_b32 vcc_lo, exec_lo, s0
	s_cbranch_vccnz .LBB304_1194
; %bb.1193:
	global_load_u16 v2, v[4:5], off
	s_waitcnt vmcnt(0)
	v_bfe_i32 v2, v2, 0, 16
	s_delay_alu instid0(VALU_DEP_1)
	v_ashrrev_i32_e32 v3, 31, v2
.LBB304_1194:
	s_mov_b32 s0, 0
.LBB304_1195:
	s_delay_alu instid0(SALU_CYCLE_1)
	s_and_not1_b32 vcc_lo, exec_lo, s0
	s_cbranch_vccnz .LBB304_1201
; %bb.1196:
	v_cmp_lt_i16_e32 vcc_lo, 0, v11
	s_mov_b32 s0, 0
	s_cbranch_vccz .LBB304_1198
; %bb.1197:
	global_load_i8 v2, v[4:5], off
	s_waitcnt vmcnt(0)
	v_bfe_i32 v2, v2, 0, 16
	s_delay_alu instid0(VALU_DEP_1)
	v_ashrrev_i32_e32 v3, 31, v2
	s_branch .LBB304_1199
.LBB304_1198:
	s_mov_b32 s0, -1
                                        ; implicit-def: $vgpr2_vgpr3
.LBB304_1199:
	s_delay_alu instid0(SALU_CYCLE_1)
	s_and_not1_b32 vcc_lo, exec_lo, s0
	s_cbranch_vccnz .LBB304_1201
; %bb.1200:
	global_load_u8 v2, v[4:5], off
	s_mov_b32 s0, 0
	s_waitcnt vmcnt(0)
	v_dual_mov_b32 v3, s0 :: v_dual_and_b32 v2, 0xffff, v2
.LBB304_1201:
	s_branch .LBB304_1270
.LBB304_1202:
	s_trap 2
	s_sendmsg_rtn_b32 s0, sendmsg(MSG_RTN_GET_DOORBELL)
	s_mov_b32 ttmp2, m0
	s_waitcnt lgkmcnt(0)
	s_and_b32 s0, s0, 0x3ff
	s_delay_alu instid0(SALU_CYCLE_1) | instskip(NEXT) | instid1(SALU_CYCLE_1)
	s_bitset1_b32 s0, 10
	s_mov_b32 m0, s0
	s_sendmsg sendmsg(MSG_INTERRUPT)
	s_mov_b32 m0, ttmp2
.LBB304_1203:                           ; =>This Inner Loop Header: Depth=1
	s_sethalt 5
	s_branch .LBB304_1203
.LBB304_1204:
	s_or_saveexec_b32 s20, s20
                                        ; implicit-def: $sgpr21
	s_delay_alu instid0(SALU_CYCLE_1)
	s_xor_b32 exec_lo, exec_lo, s20
	s_cbranch_execz .LBB304_939
.LBB304_1205:
	v_add_f32_e64 v5, 0x42800000, |v4|
	s_and_not1_b32 s19, s19, exec_lo
	s_mov_b32 s21, 0
	s_delay_alu instid0(VALU_DEP_1) | instskip(NEXT) | instid1(VALU_DEP_1)
	v_and_b32_e32 v5, 0xff, v5
	v_cmp_ne_u32_e32 vcc_lo, 0, v5
	s_and_b32 s22, vcc_lo, exec_lo
	s_delay_alu instid0(SALU_CYCLE_1)
	s_or_b32 s19, s19, s22
	s_or_b32 exec_lo, exec_lo, s20
	v_mov_b32_e32 v7, s21
	s_and_saveexec_b32 s20, s19
	s_cbranch_execnz .LBB304_940
	s_branch .LBB304_941
.LBB304_1206:
	s_mov_b32 s16, -1
	s_mov_b32 s0, 0
.LBB304_1207:
                                        ; implicit-def: $vgpr2_vgpr3
.LBB304_1208:
	s_and_b32 vcc_lo, exec_lo, s1
	s_cbranch_vccz .LBB304_1212
; %bb.1209:
	v_cmp_eq_u16_e32 vcc_lo, 44, v11
	s_cbranch_vccz .LBB304_1211
; %bb.1210:
	global_load_u8 v2, v[4:5], off
	s_mov_b32 s16, 0
	s_mov_b32 s0, -1
	s_waitcnt vmcnt(0)
	v_lshlrev_b32_e32 v3, 23, v2
	s_delay_alu instid0(VALU_DEP_1) | instskip(NEXT) | instid1(VALU_DEP_1)
	v_trunc_f32_e32 v3, v3
	v_mul_f32_e64 v7, 0x2f800000, |v3|
	s_delay_alu instid0(VALU_DEP_1) | instskip(NEXT) | instid1(VALU_DEP_1)
	v_floor_f32_e32 v7, v7
	v_fma_f32 v8, 0xcf800000, v7, |v3|
	v_ashrrev_i32_e32 v3, 31, v3
	v_cvt_u32_f32_e32 v7, v7
	s_delay_alu instid0(VALU_DEP_3) | instskip(NEXT) | instid1(VALU_DEP_2)
	v_cvt_u32_f32_e32 v8, v8
	v_xor_b32_e32 v7, v7, v3
	s_delay_alu instid0(VALU_DEP_2) | instskip(NEXT) | instid1(VALU_DEP_1)
	v_xor_b32_e32 v8, v8, v3
	v_sub_co_u32 v8, vcc_lo, v8, v3
	s_delay_alu instid0(VALU_DEP_3) | instskip(SKIP_1) | instid1(VALU_DEP_2)
	v_sub_co_ci_u32_e32 v3, vcc_lo, v7, v3, vcc_lo
	v_cmp_ne_u32_e32 vcc_lo, 0, v2
	v_dual_cndmask_b32 v2, 0, v8 :: v_dual_cndmask_b32 v3, 0, v3
	s_branch .LBB304_1212
.LBB304_1211:
	s_mov_b32 s16, -1
                                        ; implicit-def: $vgpr2_vgpr3
.LBB304_1212:
	s_mov_b32 s1, 0
.LBB304_1213:
	s_delay_alu instid0(SALU_CYCLE_1)
	s_and_b32 vcc_lo, exec_lo, s1
	s_cbranch_vccz .LBB304_1217
; %bb.1214:
	v_cmp_eq_u16_e32 vcc_lo, 29, v11
	s_cbranch_vccz .LBB304_1216
; %bb.1215:
	global_load_b64 v[2:3], v[4:5], off
	s_mov_b32 s16, 0
	s_mov_b32 s0, -1
	s_branch .LBB304_1217
.LBB304_1216:
	s_mov_b32 s16, -1
                                        ; implicit-def: $vgpr2_vgpr3
.LBB304_1217:
	s_mov_b32 s1, 0
.LBB304_1218:
	s_delay_alu instid0(SALU_CYCLE_1)
	s_and_b32 vcc_lo, exec_lo, s1
	s_cbranch_vccz .LBB304_1236
; %bb.1219:
	v_cmp_gt_i16_e32 vcc_lo, 27, v11
	s_cbranch_vccnz .LBB304_1222
; %bb.1220:
	v_cmp_lt_i16_e32 vcc_lo, 27, v11
	s_cbranch_vccz .LBB304_1223
; %bb.1221:
	global_load_b32 v2, v[4:5], off
	s_waitcnt vmcnt(1)
	v_mov_b32_e32 v3, 0
	s_mov_b32 s0, 0
	s_branch .LBB304_1224
.LBB304_1222:
	s_mov_b32 s0, -1
                                        ; implicit-def: $vgpr2_vgpr3
	s_branch .LBB304_1227
.LBB304_1223:
	s_mov_b32 s0, -1
                                        ; implicit-def: $vgpr2_vgpr3
.LBB304_1224:
	s_delay_alu instid0(SALU_CYCLE_1)
	s_and_not1_b32 vcc_lo, exec_lo, s0
	s_cbranch_vccnz .LBB304_1226
; %bb.1225:
	global_load_u16 v2, v[4:5], off
	s_mov_b32 s0, 0
	s_waitcnt vmcnt(0)
	v_dual_mov_b32 v3, s0 :: v_dual_and_b32 v2, 0xffff, v2
.LBB304_1226:
	s_mov_b32 s0, 0
.LBB304_1227:
	s_delay_alu instid0(SALU_CYCLE_1)
	s_and_not1_b32 vcc_lo, exec_lo, s0
	s_cbranch_vccnz .LBB304_1235
; %bb.1228:
	global_load_u8 v7, v[4:5], off
	s_mov_b32 s18, 0
	s_mov_b32 s19, exec_lo
                                        ; implicit-def: $sgpr0_sgpr1
	s_waitcnt vmcnt(0)
	v_cmpx_lt_i16_e32 0x7f, v7
	s_xor_b32 s19, exec_lo, s19
; %bb.1229:
	v_cmp_ne_u16_e32 vcc_lo, 0x80, v7
	s_mov_b64 s[0:1], 0
	s_and_b32 s18, vcc_lo, exec_lo
; %bb.1230:
	s_or_saveexec_b32 s19, s19
	v_dual_mov_b32 v3, s1 :: v_dual_mov_b32 v2, s0
	s_xor_b32 exec_lo, exec_lo, s19
; %bb.1231:
	v_cmp_ne_u16_e32 vcc_lo, 0, v7
	v_mov_b32_e32 v2, 0
	v_mov_b32_e32 v3, 0
	s_and_not1_b32 s0, s18, exec_lo
	s_and_b32 s1, vcc_lo, exec_lo
	s_delay_alu instid0(SALU_CYCLE_1)
	s_or_b32 s18, s0, s1
; %bb.1232:
	s_or_b32 exec_lo, exec_lo, s19
	s_and_saveexec_b32 s0, s18
	s_cbranch_execz .LBB304_1234
; %bb.1233:
	v_and_b32_e32 v2, 0xffff, v7
	v_lshlrev_b32_e32 v7, 24, v7
	s_delay_alu instid0(VALU_DEP_2) | instskip(NEXT) | instid1(VALU_DEP_2)
	v_and_b32_e32 v3, 7, v2
	v_and_b32_e32 v7, 0x80000000, v7
	s_delay_alu instid0(VALU_DEP_2) | instskip(NEXT) | instid1(VALU_DEP_1)
	v_clz_i32_u32_e32 v8, v3
	v_min_u32_e32 v8, 32, v8
	s_delay_alu instid0(VALU_DEP_1) | instskip(SKIP_1) | instid1(VALU_DEP_2)
	v_subrev_nc_u32_e32 v9, 28, v8
	v_sub_nc_u32_e32 v8, 29, v8
	v_lshlrev_b32_e32 v9, v9, v2
	v_bfe_u32 v2, v2, 3, 4
	s_delay_alu instid0(VALU_DEP_2) | instskip(NEXT) | instid1(VALU_DEP_2)
	v_and_b32_e32 v9, 7, v9
	v_cmp_eq_u32_e32 vcc_lo, 0, v2
	s_delay_alu instid0(VALU_DEP_2) | instskip(NEXT) | instid1(VALU_DEP_1)
	v_dual_cndmask_b32 v2, v2, v8 :: v_dual_cndmask_b32 v3, v3, v9
	v_lshl_add_u32 v2, v2, 23, 0x3b800000
	s_delay_alu instid0(VALU_DEP_2) | instskip(NEXT) | instid1(VALU_DEP_1)
	v_lshlrev_b32_e32 v3, 20, v3
	v_or3_b32 v2, v7, v2, v3
	s_delay_alu instid0(VALU_DEP_1) | instskip(NEXT) | instid1(VALU_DEP_1)
	v_trunc_f32_e32 v2, v2
	v_mul_f32_e64 v3, 0x2f800000, |v2|
	v_ashrrev_i32_e32 v8, 31, v2
	s_delay_alu instid0(VALU_DEP_2) | instskip(NEXT) | instid1(VALU_DEP_1)
	v_floor_f32_e32 v3, v3
	v_fma_f32 v7, 0xcf800000, v3, |v2|
	v_cvt_u32_f32_e32 v3, v3
	s_delay_alu instid0(VALU_DEP_2) | instskip(NEXT) | instid1(VALU_DEP_2)
	v_cvt_u32_f32_e32 v2, v7
	v_xor_b32_e32 v3, v3, v8
	s_delay_alu instid0(VALU_DEP_2) | instskip(NEXT) | instid1(VALU_DEP_1)
	v_xor_b32_e32 v2, v2, v8
	v_sub_co_u32 v2, vcc_lo, v2, v8
	s_delay_alu instid0(VALU_DEP_3)
	v_sub_co_ci_u32_e32 v3, vcc_lo, v3, v8, vcc_lo
.LBB304_1234:
	s_or_b32 exec_lo, exec_lo, s0
.LBB304_1235:
	s_mov_b32 s0, -1
.LBB304_1236:
	s_branch .LBB304_1265
.LBB304_1237:
	v_cmp_lt_i16_e32 vcc_lo, 22, v11
	s_cbranch_vccz .LBB304_1247
; %bb.1238:
	v_cmp_gt_i16_e32 vcc_lo, 24, v11
	s_cbranch_vccnz .LBB304_1248
; %bb.1239:
	v_cmp_lt_i16_e32 vcc_lo, 24, v11
	s_cbranch_vccz .LBB304_1249
; %bb.1240:
	global_load_u8 v7, v[4:5], off
	s_mov_b32 s18, exec_lo
                                        ; implicit-def: $sgpr0_sgpr1
	s_waitcnt vmcnt(0)
	v_cmpx_lt_i16_e32 0x7f, v7
	s_xor_b32 s18, exec_lo, s18
; %bb.1241:
	v_cmp_ne_u16_e32 vcc_lo, 0x80, v7
	s_mov_b64 s[0:1], 0
	s_and_b32 s17, vcc_lo, exec_lo
; %bb.1242:
	s_or_saveexec_b32 s18, s18
	v_dual_mov_b32 v3, s1 :: v_dual_mov_b32 v2, s0
	s_xor_b32 exec_lo, exec_lo, s18
; %bb.1243:
	v_cmp_ne_u16_e32 vcc_lo, 0, v7
	v_mov_b32_e32 v2, 0
	v_mov_b32_e32 v3, 0
	s_and_not1_b32 s0, s17, exec_lo
	s_and_b32 s1, vcc_lo, exec_lo
	s_delay_alu instid0(SALU_CYCLE_1)
	s_or_b32 s17, s0, s1
; %bb.1244:
	s_or_b32 exec_lo, exec_lo, s18
	s_and_saveexec_b32 s0, s17
	s_cbranch_execz .LBB304_1246
; %bb.1245:
	v_and_b32_e32 v2, 0xffff, v7
	v_lshlrev_b32_e32 v7, 24, v7
	s_delay_alu instid0(VALU_DEP_2) | instskip(NEXT) | instid1(VALU_DEP_2)
	v_and_b32_e32 v3, 3, v2
	v_and_b32_e32 v7, 0x80000000, v7
	s_delay_alu instid0(VALU_DEP_2) | instskip(NEXT) | instid1(VALU_DEP_1)
	v_clz_i32_u32_e32 v8, v3
	v_min_u32_e32 v8, 32, v8
	s_delay_alu instid0(VALU_DEP_1) | instskip(SKIP_1) | instid1(VALU_DEP_2)
	v_subrev_nc_u32_e32 v9, 29, v8
	v_sub_nc_u32_e32 v8, 30, v8
	v_lshlrev_b32_e32 v9, v9, v2
	v_bfe_u32 v2, v2, 2, 5
	s_delay_alu instid0(VALU_DEP_2) | instskip(NEXT) | instid1(VALU_DEP_2)
	v_and_b32_e32 v9, 3, v9
	v_cmp_eq_u32_e32 vcc_lo, 0, v2
	s_delay_alu instid0(VALU_DEP_2) | instskip(NEXT) | instid1(VALU_DEP_1)
	v_dual_cndmask_b32 v2, v2, v8 :: v_dual_cndmask_b32 v3, v3, v9
	v_lshl_add_u32 v2, v2, 23, 0x37800000
	s_delay_alu instid0(VALU_DEP_2) | instskip(NEXT) | instid1(VALU_DEP_1)
	v_lshlrev_b32_e32 v3, 21, v3
	v_or3_b32 v2, v7, v2, v3
	s_delay_alu instid0(VALU_DEP_1) | instskip(NEXT) | instid1(VALU_DEP_1)
	v_trunc_f32_e32 v2, v2
	v_mul_f32_e64 v3, 0x2f800000, |v2|
	v_ashrrev_i32_e32 v8, 31, v2
	s_delay_alu instid0(VALU_DEP_2) | instskip(NEXT) | instid1(VALU_DEP_1)
	v_floor_f32_e32 v3, v3
	v_fma_f32 v7, 0xcf800000, v3, |v2|
	v_cvt_u32_f32_e32 v3, v3
	s_delay_alu instid0(VALU_DEP_2) | instskip(NEXT) | instid1(VALU_DEP_2)
	v_cvt_u32_f32_e32 v2, v7
	v_xor_b32_e32 v3, v3, v8
	s_delay_alu instid0(VALU_DEP_2) | instskip(NEXT) | instid1(VALU_DEP_1)
	v_xor_b32_e32 v2, v2, v8
	v_sub_co_u32 v2, vcc_lo, v2, v8
	s_delay_alu instid0(VALU_DEP_3)
	v_sub_co_ci_u32_e32 v3, vcc_lo, v3, v8, vcc_lo
.LBB304_1246:
	s_or_b32 exec_lo, exec_lo, s0
	s_mov_b32 s0, 0
	s_branch .LBB304_1250
.LBB304_1247:
	s_mov_b32 s1, -1
                                        ; implicit-def: $vgpr2_vgpr3
	s_branch .LBB304_1256
.LBB304_1248:
	s_mov_b32 s0, -1
                                        ; implicit-def: $vgpr2_vgpr3
	s_branch .LBB304_1253
.LBB304_1249:
	s_mov_b32 s0, -1
                                        ; implicit-def: $vgpr2_vgpr3
.LBB304_1250:
	s_delay_alu instid0(SALU_CYCLE_1)
	s_and_b32 vcc_lo, exec_lo, s0
	s_cbranch_vccz .LBB304_1252
; %bb.1251:
	global_load_u8 v2, v[4:5], off
	s_waitcnt vmcnt(0)
	v_lshlrev_b32_e32 v2, 24, v2
	s_delay_alu instid0(VALU_DEP_1) | instskip(NEXT) | instid1(VALU_DEP_1)
	v_and_b32_e32 v3, 0x7f000000, v2
	v_clz_i32_u32_e32 v7, v3
	v_add_nc_u32_e32 v9, 0x1000000, v3
	v_cmp_ne_u32_e32 vcc_lo, 0, v3
	s_delay_alu instid0(VALU_DEP_3) | instskip(NEXT) | instid1(VALU_DEP_1)
	v_min_u32_e32 v7, 32, v7
	v_sub_nc_u32_e64 v7, v7, 4 clamp
	s_delay_alu instid0(VALU_DEP_1) | instskip(SKIP_1) | instid1(VALU_DEP_2)
	v_lshlrev_b32_e32 v8, v7, v3
	v_lshlrev_b32_e32 v7, 23, v7
	v_lshrrev_b32_e32 v8, 4, v8
	s_delay_alu instid0(VALU_DEP_1) | instskip(SKIP_1) | instid1(VALU_DEP_2)
	v_sub_nc_u32_e32 v7, v8, v7
	v_ashrrev_i32_e32 v8, 8, v9
	v_add_nc_u32_e32 v7, 0x3c000000, v7
	s_delay_alu instid0(VALU_DEP_1) | instskip(NEXT) | instid1(VALU_DEP_1)
	v_and_or_b32 v7, 0x7f800000, v8, v7
	v_cndmask_b32_e32 v3, 0, v7, vcc_lo
	s_delay_alu instid0(VALU_DEP_1) | instskip(NEXT) | instid1(VALU_DEP_1)
	v_and_or_b32 v2, 0x80000000, v2, v3
	v_trunc_f32_e32 v2, v2
	s_delay_alu instid0(VALU_DEP_1) | instskip(SKIP_1) | instid1(VALU_DEP_2)
	v_mul_f32_e64 v3, 0x2f800000, |v2|
	v_ashrrev_i32_e32 v8, 31, v2
	v_floor_f32_e32 v3, v3
	s_delay_alu instid0(VALU_DEP_1) | instskip(SKIP_1) | instid1(VALU_DEP_2)
	v_fma_f32 v7, 0xcf800000, v3, |v2|
	v_cvt_u32_f32_e32 v3, v3
	v_cvt_u32_f32_e32 v2, v7
	s_delay_alu instid0(VALU_DEP_2) | instskip(NEXT) | instid1(VALU_DEP_2)
	v_xor_b32_e32 v3, v3, v8
	v_xor_b32_e32 v2, v2, v8
	s_delay_alu instid0(VALU_DEP_1) | instskip(NEXT) | instid1(VALU_DEP_3)
	v_sub_co_u32 v2, vcc_lo, v2, v8
	v_sub_co_ci_u32_e32 v3, vcc_lo, v3, v8, vcc_lo
.LBB304_1252:
	s_mov_b32 s0, 0
.LBB304_1253:
	s_delay_alu instid0(SALU_CYCLE_1)
	s_and_not1_b32 vcc_lo, exec_lo, s0
	s_cbranch_vccnz .LBB304_1255
; %bb.1254:
	global_load_u8 v2, v[4:5], off
	s_waitcnt vmcnt(0)
	v_lshlrev_b32_e32 v3, 25, v2
	v_lshlrev_b16 v2, 8, v2
	s_delay_alu instid0(VALU_DEP_1) | instskip(SKIP_1) | instid1(VALU_DEP_2)
	v_and_or_b32 v8, 0x7f00, v2, 0.5
	v_bfe_i32 v2, v2, 0, 16
	v_add_f32_e32 v8, -0.5, v8
	v_lshrrev_b32_e32 v7, 4, v3
	v_cmp_gt_u32_e32 vcc_lo, 0x8000000, v3
	s_delay_alu instid0(VALU_DEP_2) | instskip(NEXT) | instid1(VALU_DEP_1)
	v_or_b32_e32 v7, 0x70000000, v7
	v_mul_f32_e32 v7, 0x7800000, v7
	s_delay_alu instid0(VALU_DEP_1) | instskip(NEXT) | instid1(VALU_DEP_1)
	v_cndmask_b32_e32 v3, v7, v8, vcc_lo
	v_and_or_b32 v2, 0x80000000, v2, v3
	s_delay_alu instid0(VALU_DEP_1) | instskip(NEXT) | instid1(VALU_DEP_1)
	v_trunc_f32_e32 v2, v2
	v_mul_f32_e64 v3, 0x2f800000, |v2|
	v_ashrrev_i32_e32 v8, 31, v2
	s_delay_alu instid0(VALU_DEP_2) | instskip(NEXT) | instid1(VALU_DEP_1)
	v_floor_f32_e32 v3, v3
	v_fma_f32 v7, 0xcf800000, v3, |v2|
	v_cvt_u32_f32_e32 v3, v3
	s_delay_alu instid0(VALU_DEP_2) | instskip(NEXT) | instid1(VALU_DEP_2)
	v_cvt_u32_f32_e32 v2, v7
	v_xor_b32_e32 v3, v3, v8
	s_delay_alu instid0(VALU_DEP_2) | instskip(NEXT) | instid1(VALU_DEP_1)
	v_xor_b32_e32 v2, v2, v8
	v_sub_co_u32 v2, vcc_lo, v2, v8
	s_delay_alu instid0(VALU_DEP_3)
	v_sub_co_ci_u32_e32 v3, vcc_lo, v3, v8, vcc_lo
.LBB304_1255:
	s_mov_b32 s1, 0
	s_mov_b32 s0, -1
.LBB304_1256:
	s_and_not1_b32 vcc_lo, exec_lo, s1
	s_mov_b32 s17, 0
	s_cbranch_vccnz .LBB304_1265
; %bb.1257:
	v_cmp_lt_i16_e32 vcc_lo, 14, v11
	s_cbranch_vccz .LBB304_1260
; %bb.1258:
	v_cmp_eq_u16_e32 vcc_lo, 15, v11
	s_cbranch_vccz .LBB304_1261
; %bb.1259:
	global_load_u16 v2, v[4:5], off
	s_mov_b32 s16, 0
	s_mov_b32 s0, -1
	s_waitcnt vmcnt(0)
	v_lshlrev_b32_e32 v2, 16, v2
	s_delay_alu instid0(VALU_DEP_1) | instskip(NEXT) | instid1(VALU_DEP_1)
	v_trunc_f32_e32 v2, v2
	v_mul_f32_e64 v3, 0x2f800000, |v2|
	v_ashrrev_i32_e32 v8, 31, v2
	s_delay_alu instid0(VALU_DEP_2) | instskip(NEXT) | instid1(VALU_DEP_1)
	v_floor_f32_e32 v3, v3
	v_fma_f32 v7, 0xcf800000, v3, |v2|
	v_cvt_u32_f32_e32 v3, v3
	s_delay_alu instid0(VALU_DEP_2) | instskip(NEXT) | instid1(VALU_DEP_2)
	v_cvt_u32_f32_e32 v2, v7
	v_xor_b32_e32 v3, v3, v8
	s_delay_alu instid0(VALU_DEP_2) | instskip(NEXT) | instid1(VALU_DEP_1)
	v_xor_b32_e32 v2, v2, v8
	v_sub_co_u32 v2, vcc_lo, v2, v8
	s_delay_alu instid0(VALU_DEP_3)
	v_sub_co_ci_u32_e32 v3, vcc_lo, v3, v8, vcc_lo
	s_branch .LBB304_1262
.LBB304_1260:
	s_mov_b32 s1, -1
                                        ; implicit-def: $vgpr2_vgpr3
	s_branch .LBB304_1263
.LBB304_1261:
	s_mov_b32 s16, -1
                                        ; implicit-def: $vgpr2_vgpr3
.LBB304_1262:
	s_mov_b32 s1, 0
.LBB304_1263:
	s_delay_alu instid0(SALU_CYCLE_1)
	s_and_b32 vcc_lo, exec_lo, s1
	s_cbranch_vccz .LBB304_1265
; %bb.1264:
	v_cmp_ne_u16_e64 s16, 11, v11
	s_mov_b32 s17, -1
                                        ; implicit-def: $vgpr2_vgpr3
.LBB304_1265:
	s_delay_alu instid0(VALU_DEP_1)
	s_and_b32 vcc_lo, exec_lo, s16
	s_cbranch_vccnz .LBB304_1289
; %bb.1266:
	s_and_not1_b32 vcc_lo, exec_lo, s17
	s_cbranch_vccnz .LBB304_1268
.LBB304_1267:
	global_load_u8 v2, v[4:5], off
	s_mov_b32 s0, 0
	s_waitcnt vmcnt(1)
	v_mov_b32_e32 v3, s0
	s_mov_b32 s0, -1
	s_waitcnt vmcnt(0)
	v_cmp_ne_u16_e32 vcc_lo, 0, v2
	v_cndmask_b32_e64 v2, 0, 1, vcc_lo
.LBB304_1268:
.LBB304_1269:
	s_and_not1_b32 vcc_lo, exec_lo, s0
	s_cbranch_vccnz .LBB304_1962
.LBB304_1270:
	v_add_nc_u32_e32 v8, s3, v6
	v_cmp_gt_i16_e32 vcc_lo, 11, v11
	s_delay_alu instid0(VALU_DEP_2) | instskip(SKIP_1) | instid1(VALU_DEP_1)
	v_ashrrev_i32_e32 v4, 31, v8
	v_add_co_u32 v6, s0, s6, v8
	v_add_co_ci_u32_e64 v7, s0, s7, v4, s0
	s_cbranch_vccnz .LBB304_1277
; %bb.1271:
	v_cmp_lt_i16_e32 vcc_lo, 25, v11
	s_mov_b32 s17, 0
	s_cbranch_vccz .LBB304_1283
; %bb.1272:
	v_cmp_lt_i16_e32 vcc_lo, 28, v11
	s_cbranch_vccz .LBB304_1285
; %bb.1273:
	v_cmp_lt_i16_e32 vcc_lo, 43, v11
	;; [unrolled: 3-line block ×3, first 2 shown]
	s_cbranch_vccz .LBB304_1291
; %bb.1275:
	v_cmp_eq_u16_e32 vcc_lo, 46, v11
	s_mov_b32 s1, 0
	s_cbranch_vccz .LBB304_1334
; %bb.1276:
	global_load_b32 v4, v[6:7], off
	s_mov_b32 s16, 0
	s_mov_b32 s0, -1
	s_waitcnt vmcnt(0)
	v_lshlrev_b32_e32 v4, 16, v4
	s_delay_alu instid0(VALU_DEP_1) | instskip(NEXT) | instid1(VALU_DEP_1)
	v_trunc_f32_e32 v4, v4
	v_mul_f32_e64 v5, 0x2f800000, |v4|
	v_ashrrev_i32_e32 v12, 31, v4
	s_delay_alu instid0(VALU_DEP_2) | instskip(NEXT) | instid1(VALU_DEP_1)
	v_floor_f32_e32 v5, v5
	v_fma_f32 v9, 0xcf800000, v5, |v4|
	v_cvt_u32_f32_e32 v5, v5
	s_delay_alu instid0(VALU_DEP_2) | instskip(NEXT) | instid1(VALU_DEP_2)
	v_cvt_u32_f32_e32 v4, v9
	v_xor_b32_e32 v5, v5, v12
	s_delay_alu instid0(VALU_DEP_2) | instskip(NEXT) | instid1(VALU_DEP_1)
	v_xor_b32_e32 v4, v4, v12
	v_sub_co_u32 v4, vcc_lo, v4, v12
	s_delay_alu instid0(VALU_DEP_3)
	v_sub_co_ci_u32_e32 v5, vcc_lo, v5, v12, vcc_lo
	s_branch .LBB304_1336
.LBB304_1277:
	s_mov_b32 s0, 0
                                        ; implicit-def: $vgpr4_vgpr5
	s_cbranch_execz .LBB304_1398
; %bb.1278:
	v_cmp_gt_i16_e32 vcc_lo, 5, v11
	s_cbranch_vccnz .LBB304_1284
; %bb.1279:
	v_cmp_gt_i16_e32 vcc_lo, 8, v11
	s_cbranch_vccnz .LBB304_1286
	;; [unrolled: 3-line block ×3, first 2 shown]
; %bb.1281:
	v_cmp_lt_i16_e32 vcc_lo, 9, v11
	s_cbranch_vccz .LBB304_1292
; %bb.1282:
	global_load_b64 v[4:5], v[6:7], off
	s_mov_b32 s0, 0
	s_waitcnt vmcnt(0)
	v_trunc_f64_e32 v[4:5], v[4:5]
	s_delay_alu instid0(VALU_DEP_1) | instskip(NEXT) | instid1(VALU_DEP_1)
	v_ldexp_f64 v[12:13], v[4:5], 0xffffffe0
	v_floor_f64_e32 v[12:13], v[12:13]
	s_delay_alu instid0(VALU_DEP_1) | instskip(SKIP_1) | instid1(VALU_DEP_2)
	v_fma_f64 v[14:15], 0xc1f00000, v[12:13], v[4:5]
	v_cvt_i32_f64_e32 v5, v[12:13]
	v_cvt_u32_f64_e32 v4, v[14:15]
	s_branch .LBB304_1293
.LBB304_1283:
	s_mov_b32 s1, -1
	s_mov_b32 s0, 0
	s_mov_b32 s16, 0
                                        ; implicit-def: $vgpr4_vgpr5
	s_branch .LBB304_1365
.LBB304_1284:
	s_mov_b32 s0, -1
                                        ; implicit-def: $vgpr4_vgpr5
	s_branch .LBB304_1311
.LBB304_1285:
	s_mov_b32 s1, -1
	s_mov_b32 s0, 0
	s_mov_b32 s16, 0
                                        ; implicit-def: $vgpr4_vgpr5
	s_branch .LBB304_1346
.LBB304_1286:
	s_mov_b32 s0, -1
                                        ; implicit-def: $vgpr4_vgpr5
	s_branch .LBB304_1299
.LBB304_1287:
	s_mov_b32 s1, -1
	s_mov_b32 s0, 0
	s_mov_b32 s16, 0
                                        ; implicit-def: $vgpr4_vgpr5
	s_branch .LBB304_1341
.LBB304_1288:
	s_mov_b32 s0, -1
                                        ; implicit-def: $vgpr4_vgpr5
	s_branch .LBB304_1296
.LBB304_1289:
	s_cbranch_execnz .LBB304_1332
; %bb.1290:
	s_or_b32 s13, s13, exec_lo
                                        ; implicit-def: $vgpr2_vgpr3
	s_cbranch_execz .LBB304_1267
	s_branch .LBB304_1268
.LBB304_1291:
	s_mov_b32 s1, -1
	s_mov_b32 s0, 0
	s_mov_b32 s16, 0
	s_branch .LBB304_1335
.LBB304_1292:
	s_mov_b32 s0, -1
                                        ; implicit-def: $vgpr4_vgpr5
.LBB304_1293:
	s_delay_alu instid0(SALU_CYCLE_1)
	s_and_not1_b32 vcc_lo, exec_lo, s0
	s_cbranch_vccnz .LBB304_1295
; %bb.1294:
	global_load_b32 v4, v[6:7], off
	s_waitcnt vmcnt(0)
	v_trunc_f32_e32 v4, v4
	s_delay_alu instid0(VALU_DEP_1) | instskip(SKIP_1) | instid1(VALU_DEP_2)
	v_mul_f32_e64 v5, 0x2f800000, |v4|
	v_ashrrev_i32_e32 v12, 31, v4
	v_floor_f32_e32 v5, v5
	s_delay_alu instid0(VALU_DEP_1) | instskip(SKIP_1) | instid1(VALU_DEP_2)
	v_fma_f32 v9, 0xcf800000, v5, |v4|
	v_cvt_u32_f32_e32 v5, v5
	v_cvt_u32_f32_e32 v4, v9
	s_delay_alu instid0(VALU_DEP_2) | instskip(NEXT) | instid1(VALU_DEP_2)
	v_xor_b32_e32 v5, v5, v12
	v_xor_b32_e32 v4, v4, v12
	s_delay_alu instid0(VALU_DEP_1) | instskip(NEXT) | instid1(VALU_DEP_3)
	v_sub_co_u32 v4, vcc_lo, v4, v12
	v_sub_co_ci_u32_e32 v5, vcc_lo, v5, v12, vcc_lo
.LBB304_1295:
	s_mov_b32 s0, 0
.LBB304_1296:
	s_delay_alu instid0(SALU_CYCLE_1)
	s_and_not1_b32 vcc_lo, exec_lo, s0
	s_cbranch_vccnz .LBB304_1298
; %bb.1297:
	global_load_b32 v4, v[6:7], off
	s_waitcnt vmcnt(0)
	v_cvt_f32_f16_e32 v4, v4
	s_delay_alu instid0(VALU_DEP_1) | instskip(NEXT) | instid1(VALU_DEP_1)
	v_cvt_i32_f32_e32 v4, v4
	v_ashrrev_i32_e32 v5, 31, v4
.LBB304_1298:
	s_mov_b32 s0, 0
.LBB304_1299:
	s_delay_alu instid0(SALU_CYCLE_1)
	s_and_not1_b32 vcc_lo, exec_lo, s0
	s_cbranch_vccnz .LBB304_1310
; %bb.1300:
	v_cmp_gt_i16_e32 vcc_lo, 6, v11
	s_cbranch_vccnz .LBB304_1303
; %bb.1301:
	v_cmp_lt_i16_e32 vcc_lo, 6, v11
	s_cbranch_vccz .LBB304_1304
; %bb.1302:
	global_load_b64 v[4:5], v[6:7], off
	s_mov_b32 s0, 0
	s_waitcnt vmcnt(0)
	v_trunc_f64_e32 v[4:5], v[4:5]
	s_delay_alu instid0(VALU_DEP_1) | instskip(NEXT) | instid1(VALU_DEP_1)
	v_ldexp_f64 v[12:13], v[4:5], 0xffffffe0
	v_floor_f64_e32 v[12:13], v[12:13]
	s_delay_alu instid0(VALU_DEP_1) | instskip(SKIP_1) | instid1(VALU_DEP_2)
	v_fma_f64 v[14:15], 0xc1f00000, v[12:13], v[4:5]
	v_cvt_i32_f64_e32 v5, v[12:13]
	v_cvt_u32_f64_e32 v4, v[14:15]
	s_branch .LBB304_1305
.LBB304_1303:
	s_mov_b32 s0, -1
                                        ; implicit-def: $vgpr4_vgpr5
	s_branch .LBB304_1308
.LBB304_1304:
	s_mov_b32 s0, -1
                                        ; implicit-def: $vgpr4_vgpr5
.LBB304_1305:
	s_delay_alu instid0(SALU_CYCLE_1)
	s_and_not1_b32 vcc_lo, exec_lo, s0
	s_cbranch_vccnz .LBB304_1307
; %bb.1306:
	global_load_b32 v4, v[6:7], off
	s_waitcnt vmcnt(0)
	v_trunc_f32_e32 v4, v4
	s_delay_alu instid0(VALU_DEP_1) | instskip(SKIP_1) | instid1(VALU_DEP_2)
	v_mul_f32_e64 v5, 0x2f800000, |v4|
	v_ashrrev_i32_e32 v12, 31, v4
	v_floor_f32_e32 v5, v5
	s_delay_alu instid0(VALU_DEP_1) | instskip(SKIP_1) | instid1(VALU_DEP_2)
	v_fma_f32 v9, 0xcf800000, v5, |v4|
	v_cvt_u32_f32_e32 v5, v5
	v_cvt_u32_f32_e32 v4, v9
	s_delay_alu instid0(VALU_DEP_2) | instskip(NEXT) | instid1(VALU_DEP_2)
	v_xor_b32_e32 v5, v5, v12
	v_xor_b32_e32 v4, v4, v12
	s_delay_alu instid0(VALU_DEP_1) | instskip(NEXT) | instid1(VALU_DEP_3)
	v_sub_co_u32 v4, vcc_lo, v4, v12
	v_sub_co_ci_u32_e32 v5, vcc_lo, v5, v12, vcc_lo
.LBB304_1307:
	s_mov_b32 s0, 0
.LBB304_1308:
	s_delay_alu instid0(SALU_CYCLE_1)
	s_and_not1_b32 vcc_lo, exec_lo, s0
	s_cbranch_vccnz .LBB304_1310
; %bb.1309:
	global_load_u16 v4, v[6:7], off
	s_waitcnt vmcnt(0)
	v_cvt_f32_f16_e32 v4, v4
	s_delay_alu instid0(VALU_DEP_1) | instskip(NEXT) | instid1(VALU_DEP_1)
	v_cvt_i32_f32_e32 v4, v4
	v_ashrrev_i32_e32 v5, 31, v4
.LBB304_1310:
	s_mov_b32 s0, 0
.LBB304_1311:
	s_delay_alu instid0(SALU_CYCLE_1)
	s_and_not1_b32 vcc_lo, exec_lo, s0
	s_cbranch_vccnz .LBB304_1331
; %bb.1312:
	v_cmp_gt_i16_e32 vcc_lo, 2, v11
	s_cbranch_vccnz .LBB304_1316
; %bb.1313:
	v_cmp_gt_i16_e32 vcc_lo, 3, v11
	s_cbranch_vccnz .LBB304_1317
; %bb.1314:
	v_cmp_lt_i16_e32 vcc_lo, 3, v11
	s_cbranch_vccz .LBB304_1318
; %bb.1315:
	global_load_b64 v[4:5], v[6:7], off
	s_mov_b32 s0, 0
	s_branch .LBB304_1319
.LBB304_1316:
	s_mov_b32 s0, -1
                                        ; implicit-def: $vgpr4_vgpr5
	s_branch .LBB304_1325
.LBB304_1317:
	s_mov_b32 s0, -1
                                        ; implicit-def: $vgpr4_vgpr5
	s_branch .LBB304_1322
.LBB304_1318:
	s_mov_b32 s0, -1
                                        ; implicit-def: $vgpr4_vgpr5
.LBB304_1319:
	s_delay_alu instid0(SALU_CYCLE_1)
	s_and_not1_b32 vcc_lo, exec_lo, s0
	s_cbranch_vccnz .LBB304_1321
; %bb.1320:
	global_load_b32 v4, v[6:7], off
	s_waitcnt vmcnt(0)
	v_ashrrev_i32_e32 v5, 31, v4
.LBB304_1321:
	s_mov_b32 s0, 0
.LBB304_1322:
	s_delay_alu instid0(SALU_CYCLE_1)
	s_and_not1_b32 vcc_lo, exec_lo, s0
	s_cbranch_vccnz .LBB304_1324
; %bb.1323:
	global_load_u16 v4, v[6:7], off
	s_waitcnt vmcnt(0)
	v_bfe_i32 v4, v4, 0, 16
	s_delay_alu instid0(VALU_DEP_1)
	v_ashrrev_i32_e32 v5, 31, v4
.LBB304_1324:
	s_mov_b32 s0, 0
.LBB304_1325:
	s_delay_alu instid0(SALU_CYCLE_1)
	s_and_not1_b32 vcc_lo, exec_lo, s0
	s_cbranch_vccnz .LBB304_1331
; %bb.1326:
	v_cmp_lt_i16_e32 vcc_lo, 0, v11
	s_mov_b32 s0, 0
	s_cbranch_vccz .LBB304_1328
; %bb.1327:
	global_load_i8 v4, v[6:7], off
	s_waitcnt vmcnt(0)
	v_bfe_i32 v4, v4, 0, 16
	s_delay_alu instid0(VALU_DEP_1)
	v_ashrrev_i32_e32 v5, 31, v4
	s_branch .LBB304_1329
.LBB304_1328:
	s_mov_b32 s0, -1
                                        ; implicit-def: $vgpr4_vgpr5
.LBB304_1329:
	s_delay_alu instid0(SALU_CYCLE_1)
	s_and_not1_b32 vcc_lo, exec_lo, s0
	s_cbranch_vccnz .LBB304_1331
; %bb.1330:
	global_load_u8 v4, v[6:7], off
	s_mov_b32 s0, 0
	s_waitcnt vmcnt(0)
	v_dual_mov_b32 v5, s0 :: v_dual_and_b32 v4, 0xffff, v4
.LBB304_1331:
	s_branch .LBB304_1399
.LBB304_1332:
	s_trap 2
	s_sendmsg_rtn_b32 s0, sendmsg(MSG_RTN_GET_DOORBELL)
	s_mov_b32 ttmp2, m0
	s_waitcnt lgkmcnt(0)
	s_and_b32 s0, s0, 0x3ff
	s_delay_alu instid0(SALU_CYCLE_1) | instskip(NEXT) | instid1(SALU_CYCLE_1)
	s_bitset1_b32 s0, 10
	s_mov_b32 m0, s0
	s_sendmsg sendmsg(MSG_INTERRUPT)
	s_mov_b32 m0, ttmp2
.LBB304_1333:                           ; =>This Inner Loop Header: Depth=1
	s_sethalt 5
	s_branch .LBB304_1333
.LBB304_1334:
	s_mov_b32 s16, -1
	s_mov_b32 s0, 0
.LBB304_1335:
                                        ; implicit-def: $vgpr4_vgpr5
.LBB304_1336:
	s_and_b32 vcc_lo, exec_lo, s1
	s_cbranch_vccz .LBB304_1340
; %bb.1337:
	v_cmp_eq_u16_e32 vcc_lo, 44, v11
	s_cbranch_vccz .LBB304_1339
; %bb.1338:
	global_load_u8 v4, v[6:7], off
	s_mov_b32 s16, 0
	s_mov_b32 s0, -1
	s_waitcnt vmcnt(0)
	v_lshlrev_b32_e32 v5, 23, v4
	s_delay_alu instid0(VALU_DEP_1) | instskip(NEXT) | instid1(VALU_DEP_1)
	v_trunc_f32_e32 v5, v5
	v_mul_f32_e64 v9, 0x2f800000, |v5|
	s_delay_alu instid0(VALU_DEP_1) | instskip(NEXT) | instid1(VALU_DEP_1)
	v_floor_f32_e32 v9, v9
	v_fma_f32 v12, 0xcf800000, v9, |v5|
	v_ashrrev_i32_e32 v5, 31, v5
	v_cvt_u32_f32_e32 v9, v9
	s_delay_alu instid0(VALU_DEP_3) | instskip(NEXT) | instid1(VALU_DEP_2)
	v_cvt_u32_f32_e32 v12, v12
	v_xor_b32_e32 v9, v9, v5
	s_delay_alu instid0(VALU_DEP_2) | instskip(NEXT) | instid1(VALU_DEP_1)
	v_xor_b32_e32 v12, v12, v5
	v_sub_co_u32 v12, vcc_lo, v12, v5
	s_delay_alu instid0(VALU_DEP_3) | instskip(SKIP_1) | instid1(VALU_DEP_2)
	v_sub_co_ci_u32_e32 v5, vcc_lo, v9, v5, vcc_lo
	v_cmp_ne_u32_e32 vcc_lo, 0, v4
	v_dual_cndmask_b32 v5, 0, v5 :: v_dual_cndmask_b32 v4, 0, v12
	s_branch .LBB304_1340
.LBB304_1339:
	s_mov_b32 s16, -1
                                        ; implicit-def: $vgpr4_vgpr5
.LBB304_1340:
	s_mov_b32 s1, 0
.LBB304_1341:
	s_delay_alu instid0(SALU_CYCLE_1)
	s_and_b32 vcc_lo, exec_lo, s1
	s_cbranch_vccz .LBB304_1345
; %bb.1342:
	v_cmp_eq_u16_e32 vcc_lo, 29, v11
	s_cbranch_vccz .LBB304_1344
; %bb.1343:
	global_load_b64 v[4:5], v[6:7], off
	s_mov_b32 s16, 0
	s_mov_b32 s0, -1
	s_branch .LBB304_1345
.LBB304_1344:
	s_mov_b32 s16, -1
                                        ; implicit-def: $vgpr4_vgpr5
.LBB304_1345:
	s_mov_b32 s1, 0
.LBB304_1346:
	s_delay_alu instid0(SALU_CYCLE_1)
	s_and_b32 vcc_lo, exec_lo, s1
	s_cbranch_vccz .LBB304_1364
; %bb.1347:
	v_cmp_gt_i16_e32 vcc_lo, 27, v11
	s_cbranch_vccnz .LBB304_1350
; %bb.1348:
	v_cmp_lt_i16_e32 vcc_lo, 27, v11
	s_cbranch_vccz .LBB304_1351
; %bb.1349:
	global_load_b32 v4, v[6:7], off
	s_waitcnt vmcnt(1)
	v_mov_b32_e32 v5, 0
	s_mov_b32 s0, 0
	s_branch .LBB304_1352
.LBB304_1350:
	s_mov_b32 s0, -1
                                        ; implicit-def: $vgpr4_vgpr5
	s_branch .LBB304_1355
.LBB304_1351:
	s_mov_b32 s0, -1
                                        ; implicit-def: $vgpr4_vgpr5
.LBB304_1352:
	s_delay_alu instid0(SALU_CYCLE_1)
	s_and_not1_b32 vcc_lo, exec_lo, s0
	s_cbranch_vccnz .LBB304_1354
; %bb.1353:
	global_load_u16 v4, v[6:7], off
	s_mov_b32 s0, 0
	s_waitcnt vmcnt(0)
	v_dual_mov_b32 v5, s0 :: v_dual_and_b32 v4, 0xffff, v4
.LBB304_1354:
	s_mov_b32 s0, 0
.LBB304_1355:
	s_delay_alu instid0(SALU_CYCLE_1)
	s_and_not1_b32 vcc_lo, exec_lo, s0
	s_cbranch_vccnz .LBB304_1363
; %bb.1356:
	global_load_u8 v9, v[6:7], off
	s_mov_b32 s18, 0
	s_mov_b32 s19, exec_lo
                                        ; implicit-def: $sgpr0_sgpr1
	s_waitcnt vmcnt(0)
	v_cmpx_lt_i16_e32 0x7f, v9
	s_xor_b32 s19, exec_lo, s19
; %bb.1357:
	v_cmp_ne_u16_e32 vcc_lo, 0x80, v9
	s_mov_b64 s[0:1], 0
	s_and_b32 s18, vcc_lo, exec_lo
; %bb.1358:
	s_or_saveexec_b32 s19, s19
	v_dual_mov_b32 v5, s1 :: v_dual_mov_b32 v4, s0
	s_xor_b32 exec_lo, exec_lo, s19
; %bb.1359:
	v_cmp_ne_u16_e32 vcc_lo, 0, v9
	v_mov_b32_e32 v4, 0
	v_mov_b32_e32 v5, 0
	s_and_not1_b32 s0, s18, exec_lo
	s_and_b32 s1, vcc_lo, exec_lo
	s_delay_alu instid0(SALU_CYCLE_1)
	s_or_b32 s18, s0, s1
; %bb.1360:
	s_or_b32 exec_lo, exec_lo, s19
	s_and_saveexec_b32 s0, s18
	s_cbranch_execz .LBB304_1362
; %bb.1361:
	v_and_b32_e32 v4, 0xffff, v9
	v_lshlrev_b32_e32 v9, 24, v9
	s_delay_alu instid0(VALU_DEP_2) | instskip(NEXT) | instid1(VALU_DEP_2)
	v_and_b32_e32 v5, 7, v4
	v_and_b32_e32 v9, 0x80000000, v9
	s_delay_alu instid0(VALU_DEP_2) | instskip(NEXT) | instid1(VALU_DEP_1)
	v_clz_i32_u32_e32 v12, v5
	v_min_u32_e32 v12, 32, v12
	s_delay_alu instid0(VALU_DEP_1) | instskip(SKIP_1) | instid1(VALU_DEP_2)
	v_subrev_nc_u32_e32 v13, 28, v12
	v_sub_nc_u32_e32 v12, 29, v12
	v_lshlrev_b32_e32 v13, v13, v4
	v_bfe_u32 v4, v4, 3, 4
	s_delay_alu instid0(VALU_DEP_1) | instskip(NEXT) | instid1(VALU_DEP_3)
	v_cmp_eq_u32_e32 vcc_lo, 0, v4
	v_dual_cndmask_b32 v4, v4, v12 :: v_dual_and_b32 v13, 7, v13
	s_delay_alu instid0(VALU_DEP_1) | instskip(NEXT) | instid1(VALU_DEP_2)
	v_cndmask_b32_e32 v5, v5, v13, vcc_lo
	v_lshl_add_u32 v4, v4, 23, 0x3b800000
	s_delay_alu instid0(VALU_DEP_2) | instskip(NEXT) | instid1(VALU_DEP_1)
	v_lshlrev_b32_e32 v5, 20, v5
	v_or3_b32 v4, v9, v4, v5
	s_delay_alu instid0(VALU_DEP_1) | instskip(NEXT) | instid1(VALU_DEP_1)
	v_trunc_f32_e32 v4, v4
	v_mul_f32_e64 v5, 0x2f800000, |v4|
	v_ashrrev_i32_e32 v12, 31, v4
	s_delay_alu instid0(VALU_DEP_2) | instskip(NEXT) | instid1(VALU_DEP_1)
	v_floor_f32_e32 v5, v5
	v_fma_f32 v9, 0xcf800000, v5, |v4|
	v_cvt_u32_f32_e32 v5, v5
	s_delay_alu instid0(VALU_DEP_2) | instskip(NEXT) | instid1(VALU_DEP_2)
	v_cvt_u32_f32_e32 v4, v9
	v_xor_b32_e32 v5, v5, v12
	s_delay_alu instid0(VALU_DEP_2) | instskip(NEXT) | instid1(VALU_DEP_1)
	v_xor_b32_e32 v4, v4, v12
	v_sub_co_u32 v4, vcc_lo, v4, v12
	s_delay_alu instid0(VALU_DEP_3)
	v_sub_co_ci_u32_e32 v5, vcc_lo, v5, v12, vcc_lo
.LBB304_1362:
	s_or_b32 exec_lo, exec_lo, s0
.LBB304_1363:
	s_mov_b32 s0, -1
.LBB304_1364:
	s_mov_b32 s1, 0
.LBB304_1365:
	s_delay_alu instid0(SALU_CYCLE_1)
	s_and_b32 vcc_lo, exec_lo, s1
	s_cbranch_vccz .LBB304_1394
; %bb.1366:
	v_cmp_lt_i16_e32 vcc_lo, 22, v11
	s_cbranch_vccz .LBB304_1376
; %bb.1367:
	v_cmp_gt_i16_e32 vcc_lo, 24, v11
	s_cbranch_vccnz .LBB304_1377
; %bb.1368:
	v_cmp_lt_i16_e32 vcc_lo, 24, v11
	s_cbranch_vccz .LBB304_1378
; %bb.1369:
	global_load_u8 v9, v[6:7], off
	s_mov_b32 s18, exec_lo
                                        ; implicit-def: $sgpr0_sgpr1
	s_waitcnt vmcnt(0)
	v_cmpx_lt_i16_e32 0x7f, v9
	s_xor_b32 s18, exec_lo, s18
; %bb.1370:
	v_cmp_ne_u16_e32 vcc_lo, 0x80, v9
	s_mov_b64 s[0:1], 0
	s_and_b32 s17, vcc_lo, exec_lo
; %bb.1371:
	s_or_saveexec_b32 s18, s18
	v_dual_mov_b32 v5, s1 :: v_dual_mov_b32 v4, s0
	s_xor_b32 exec_lo, exec_lo, s18
; %bb.1372:
	v_cmp_ne_u16_e32 vcc_lo, 0, v9
	v_mov_b32_e32 v4, 0
	v_mov_b32_e32 v5, 0
	s_and_not1_b32 s0, s17, exec_lo
	s_and_b32 s1, vcc_lo, exec_lo
	s_delay_alu instid0(SALU_CYCLE_1)
	s_or_b32 s17, s0, s1
; %bb.1373:
	s_or_b32 exec_lo, exec_lo, s18
	s_and_saveexec_b32 s0, s17
	s_cbranch_execz .LBB304_1375
; %bb.1374:
	v_and_b32_e32 v4, 0xffff, v9
	v_lshlrev_b32_e32 v9, 24, v9
	s_delay_alu instid0(VALU_DEP_2) | instskip(NEXT) | instid1(VALU_DEP_2)
	v_and_b32_e32 v5, 3, v4
	v_and_b32_e32 v9, 0x80000000, v9
	s_delay_alu instid0(VALU_DEP_2) | instskip(NEXT) | instid1(VALU_DEP_1)
	v_clz_i32_u32_e32 v12, v5
	v_min_u32_e32 v12, 32, v12
	s_delay_alu instid0(VALU_DEP_1) | instskip(SKIP_1) | instid1(VALU_DEP_2)
	v_subrev_nc_u32_e32 v13, 29, v12
	v_sub_nc_u32_e32 v12, 30, v12
	v_lshlrev_b32_e32 v13, v13, v4
	v_bfe_u32 v4, v4, 2, 5
	s_delay_alu instid0(VALU_DEP_1) | instskip(NEXT) | instid1(VALU_DEP_3)
	v_cmp_eq_u32_e32 vcc_lo, 0, v4
	v_dual_cndmask_b32 v4, v4, v12 :: v_dual_and_b32 v13, 3, v13
	s_delay_alu instid0(VALU_DEP_1) | instskip(NEXT) | instid1(VALU_DEP_2)
	v_cndmask_b32_e32 v5, v5, v13, vcc_lo
	v_lshl_add_u32 v4, v4, 23, 0x37800000
	s_delay_alu instid0(VALU_DEP_2) | instskip(NEXT) | instid1(VALU_DEP_1)
	v_lshlrev_b32_e32 v5, 21, v5
	v_or3_b32 v4, v9, v4, v5
	s_delay_alu instid0(VALU_DEP_1) | instskip(NEXT) | instid1(VALU_DEP_1)
	v_trunc_f32_e32 v4, v4
	v_mul_f32_e64 v5, 0x2f800000, |v4|
	v_ashrrev_i32_e32 v12, 31, v4
	s_delay_alu instid0(VALU_DEP_2) | instskip(NEXT) | instid1(VALU_DEP_1)
	v_floor_f32_e32 v5, v5
	v_fma_f32 v9, 0xcf800000, v5, |v4|
	v_cvt_u32_f32_e32 v5, v5
	s_delay_alu instid0(VALU_DEP_2) | instskip(NEXT) | instid1(VALU_DEP_2)
	v_cvt_u32_f32_e32 v4, v9
	v_xor_b32_e32 v5, v5, v12
	s_delay_alu instid0(VALU_DEP_2) | instskip(NEXT) | instid1(VALU_DEP_1)
	v_xor_b32_e32 v4, v4, v12
	v_sub_co_u32 v4, vcc_lo, v4, v12
	s_delay_alu instid0(VALU_DEP_3)
	v_sub_co_ci_u32_e32 v5, vcc_lo, v5, v12, vcc_lo
.LBB304_1375:
	s_or_b32 exec_lo, exec_lo, s0
	s_mov_b32 s0, 0
	s_branch .LBB304_1379
.LBB304_1376:
	s_mov_b32 s1, -1
                                        ; implicit-def: $vgpr4_vgpr5
	s_branch .LBB304_1385
.LBB304_1377:
	s_mov_b32 s0, -1
                                        ; implicit-def: $vgpr4_vgpr5
	s_branch .LBB304_1382
.LBB304_1378:
	s_mov_b32 s0, -1
                                        ; implicit-def: $vgpr4_vgpr5
.LBB304_1379:
	s_delay_alu instid0(SALU_CYCLE_1)
	s_and_b32 vcc_lo, exec_lo, s0
	s_cbranch_vccz .LBB304_1381
; %bb.1380:
	global_load_u8 v4, v[6:7], off
	s_waitcnt vmcnt(0)
	v_lshlrev_b32_e32 v4, 24, v4
	s_delay_alu instid0(VALU_DEP_1) | instskip(NEXT) | instid1(VALU_DEP_1)
	v_and_b32_e32 v5, 0x7f000000, v4
	v_clz_i32_u32_e32 v9, v5
	v_add_nc_u32_e32 v13, 0x1000000, v5
	v_cmp_ne_u32_e32 vcc_lo, 0, v5
	s_delay_alu instid0(VALU_DEP_3) | instskip(NEXT) | instid1(VALU_DEP_1)
	v_min_u32_e32 v9, 32, v9
	v_sub_nc_u32_e64 v9, v9, 4 clamp
	s_delay_alu instid0(VALU_DEP_1) | instskip(SKIP_1) | instid1(VALU_DEP_2)
	v_lshlrev_b32_e32 v12, v9, v5
	v_lshlrev_b32_e32 v9, 23, v9
	v_lshrrev_b32_e32 v12, 4, v12
	s_delay_alu instid0(VALU_DEP_1) | instskip(SKIP_1) | instid1(VALU_DEP_2)
	v_sub_nc_u32_e32 v9, v12, v9
	v_ashrrev_i32_e32 v12, 8, v13
	v_add_nc_u32_e32 v9, 0x3c000000, v9
	s_delay_alu instid0(VALU_DEP_1) | instskip(NEXT) | instid1(VALU_DEP_1)
	v_and_or_b32 v9, 0x7f800000, v12, v9
	v_cndmask_b32_e32 v5, 0, v9, vcc_lo
	s_delay_alu instid0(VALU_DEP_1) | instskip(NEXT) | instid1(VALU_DEP_1)
	v_and_or_b32 v4, 0x80000000, v4, v5
	v_trunc_f32_e32 v4, v4
	s_delay_alu instid0(VALU_DEP_1) | instskip(SKIP_1) | instid1(VALU_DEP_2)
	v_mul_f32_e64 v5, 0x2f800000, |v4|
	v_ashrrev_i32_e32 v12, 31, v4
	v_floor_f32_e32 v5, v5
	s_delay_alu instid0(VALU_DEP_1) | instskip(SKIP_1) | instid1(VALU_DEP_2)
	v_fma_f32 v9, 0xcf800000, v5, |v4|
	v_cvt_u32_f32_e32 v5, v5
	v_cvt_u32_f32_e32 v4, v9
	s_delay_alu instid0(VALU_DEP_2) | instskip(NEXT) | instid1(VALU_DEP_2)
	v_xor_b32_e32 v5, v5, v12
	v_xor_b32_e32 v4, v4, v12
	s_delay_alu instid0(VALU_DEP_1) | instskip(NEXT) | instid1(VALU_DEP_3)
	v_sub_co_u32 v4, vcc_lo, v4, v12
	v_sub_co_ci_u32_e32 v5, vcc_lo, v5, v12, vcc_lo
.LBB304_1381:
	s_mov_b32 s0, 0
.LBB304_1382:
	s_delay_alu instid0(SALU_CYCLE_1)
	s_and_not1_b32 vcc_lo, exec_lo, s0
	s_cbranch_vccnz .LBB304_1384
; %bb.1383:
	global_load_u8 v4, v[6:7], off
	s_waitcnt vmcnt(0)
	v_lshlrev_b32_e32 v5, 25, v4
	v_lshlrev_b16 v4, 8, v4
	s_delay_alu instid0(VALU_DEP_2) | instskip(NEXT) | instid1(VALU_DEP_2)
	v_lshrrev_b32_e32 v9, 4, v5
	v_and_or_b32 v12, 0x7f00, v4, 0.5
	v_cmp_gt_u32_e32 vcc_lo, 0x8000000, v5
	v_bfe_i32 v4, v4, 0, 16
	s_delay_alu instid0(VALU_DEP_4) | instskip(NEXT) | instid1(VALU_DEP_1)
	v_or_b32_e32 v9, 0x70000000, v9
	v_dual_add_f32 v12, -0.5, v12 :: v_dual_mul_f32 v9, 0x7800000, v9
	s_delay_alu instid0(VALU_DEP_1) | instskip(NEXT) | instid1(VALU_DEP_1)
	v_cndmask_b32_e32 v5, v9, v12, vcc_lo
	v_and_or_b32 v4, 0x80000000, v4, v5
	s_delay_alu instid0(VALU_DEP_1) | instskip(NEXT) | instid1(VALU_DEP_1)
	v_trunc_f32_e32 v4, v4
	v_mul_f32_e64 v5, 0x2f800000, |v4|
	v_ashrrev_i32_e32 v12, 31, v4
	s_delay_alu instid0(VALU_DEP_2) | instskip(NEXT) | instid1(VALU_DEP_1)
	v_floor_f32_e32 v5, v5
	v_fma_f32 v9, 0xcf800000, v5, |v4|
	v_cvt_u32_f32_e32 v5, v5
	s_delay_alu instid0(VALU_DEP_2) | instskip(NEXT) | instid1(VALU_DEP_2)
	v_cvt_u32_f32_e32 v4, v9
	v_xor_b32_e32 v5, v5, v12
	s_delay_alu instid0(VALU_DEP_2) | instskip(NEXT) | instid1(VALU_DEP_1)
	v_xor_b32_e32 v4, v4, v12
	v_sub_co_u32 v4, vcc_lo, v4, v12
	s_delay_alu instid0(VALU_DEP_3)
	v_sub_co_ci_u32_e32 v5, vcc_lo, v5, v12, vcc_lo
.LBB304_1384:
	s_mov_b32 s1, 0
	s_mov_b32 s0, -1
.LBB304_1385:
	s_and_not1_b32 vcc_lo, exec_lo, s1
	s_mov_b32 s17, 0
	s_cbranch_vccnz .LBB304_1394
; %bb.1386:
	v_cmp_lt_i16_e32 vcc_lo, 14, v11
	s_cbranch_vccz .LBB304_1389
; %bb.1387:
	v_cmp_eq_u16_e32 vcc_lo, 15, v11
	s_cbranch_vccz .LBB304_1390
; %bb.1388:
	global_load_u16 v4, v[6:7], off
	s_mov_b32 s16, 0
	s_mov_b32 s0, -1
	s_waitcnt vmcnt(0)
	v_lshlrev_b32_e32 v4, 16, v4
	s_delay_alu instid0(VALU_DEP_1) | instskip(NEXT) | instid1(VALU_DEP_1)
	v_trunc_f32_e32 v4, v4
	v_mul_f32_e64 v5, 0x2f800000, |v4|
	v_ashrrev_i32_e32 v12, 31, v4
	s_delay_alu instid0(VALU_DEP_2) | instskip(NEXT) | instid1(VALU_DEP_1)
	v_floor_f32_e32 v5, v5
	v_fma_f32 v9, 0xcf800000, v5, |v4|
	v_cvt_u32_f32_e32 v5, v5
	s_delay_alu instid0(VALU_DEP_2) | instskip(NEXT) | instid1(VALU_DEP_2)
	v_cvt_u32_f32_e32 v4, v9
	v_xor_b32_e32 v5, v5, v12
	s_delay_alu instid0(VALU_DEP_2) | instskip(NEXT) | instid1(VALU_DEP_1)
	v_xor_b32_e32 v4, v4, v12
	v_sub_co_u32 v4, vcc_lo, v4, v12
	s_delay_alu instid0(VALU_DEP_3)
	v_sub_co_ci_u32_e32 v5, vcc_lo, v5, v12, vcc_lo
	s_branch .LBB304_1391
.LBB304_1389:
	s_mov_b32 s1, -1
                                        ; implicit-def: $vgpr4_vgpr5
	s_branch .LBB304_1392
.LBB304_1390:
	s_mov_b32 s16, -1
                                        ; implicit-def: $vgpr4_vgpr5
.LBB304_1391:
	s_mov_b32 s1, 0
.LBB304_1392:
	s_delay_alu instid0(SALU_CYCLE_1)
	s_and_b32 vcc_lo, exec_lo, s1
	s_cbranch_vccz .LBB304_1394
; %bb.1393:
	v_cmp_ne_u16_e64 s16, 11, v11
	s_mov_b32 s17, -1
                                        ; implicit-def: $vgpr4_vgpr5
.LBB304_1394:
	s_delay_alu instid0(VALU_DEP_1)
	s_and_b32 vcc_lo, exec_lo, s16
	s_cbranch_vccnz .LBB304_1410
; %bb.1395:
	s_and_not1_b32 vcc_lo, exec_lo, s17
	s_cbranch_vccnz .LBB304_1397
.LBB304_1396:
	global_load_u8 v4, v[6:7], off
	s_mov_b32 s0, 0
	s_waitcnt vmcnt(1)
	v_mov_b32_e32 v5, s0
	s_mov_b32 s0, -1
	s_waitcnt vmcnt(0)
	v_cmp_ne_u16_e32 vcc_lo, 0, v4
	v_cndmask_b32_e64 v4, 0, 1, vcc_lo
.LBB304_1397:
.LBB304_1398:
	s_and_not1_b32 vcc_lo, exec_lo, s0
	s_cbranch_vccnz .LBB304_1962
.LBB304_1399:
	v_add_nc_u32_e32 v6, s3, v8
	v_cmp_gt_i16_e32 vcc_lo, 11, v11
	s_delay_alu instid0(VALU_DEP_2) | instskip(SKIP_1) | instid1(VALU_DEP_1)
	v_ashrrev_i32_e32 v7, 31, v6
	v_add_co_u32 v8, s0, s6, v6
	v_add_co_ci_u32_e64 v9, s0, s7, v7, s0
	s_cbranch_vccnz .LBB304_1406
; %bb.1400:
	v_cmp_lt_i16_e32 vcc_lo, 25, v11
	s_mov_b32 s6, 0
	s_cbranch_vccz .LBB304_1407
; %bb.1401:
	v_cmp_lt_i16_e32 vcc_lo, 28, v11
	s_cbranch_vccz .LBB304_1408
; %bb.1402:
	v_cmp_lt_i16_e32 vcc_lo, 43, v11
	s_cbranch_vccz .LBB304_1409
; %bb.1403:
	v_cmp_lt_i16_e32 vcc_lo, 45, v11
	s_cbranch_vccz .LBB304_1412
; %bb.1404:
	v_cmp_eq_u16_e32 vcc_lo, 46, v11
	s_mov_b32 s1, 0
	s_cbranch_vccz .LBB304_1415
; %bb.1405:
	global_load_b32 v6, v[8:9], off
	s_mov_b32 s3, 0
	s_mov_b32 s0, -1
	s_waitcnt vmcnt(0)
	v_lshlrev_b32_e32 v6, 16, v6
	s_delay_alu instid0(VALU_DEP_1) | instskip(NEXT) | instid1(VALU_DEP_1)
	v_trunc_f32_e32 v6, v6
	v_mul_f32_e64 v7, 0x2f800000, |v6|
	v_ashrrev_i32_e32 v13, 31, v6
	s_delay_alu instid0(VALU_DEP_2) | instskip(NEXT) | instid1(VALU_DEP_1)
	v_floor_f32_e32 v7, v7
	v_fma_f32 v12, 0xcf800000, v7, |v6|
	v_cvt_u32_f32_e32 v7, v7
	s_delay_alu instid0(VALU_DEP_2) | instskip(NEXT) | instid1(VALU_DEP_2)
	v_cvt_u32_f32_e32 v6, v12
	v_xor_b32_e32 v7, v7, v13
	s_delay_alu instid0(VALU_DEP_2) | instskip(NEXT) | instid1(VALU_DEP_1)
	v_xor_b32_e32 v6, v6, v13
	v_sub_co_u32 v6, vcc_lo, v6, v13
	s_delay_alu instid0(VALU_DEP_3)
	v_sub_co_ci_u32_e32 v7, vcc_lo, v7, v13, vcc_lo
	s_branch .LBB304_1417
.LBB304_1406:
	s_mov_b32 s1, -1
	s_mov_b32 s0, 0
                                        ; implicit-def: $vgpr6_vgpr7
	s_branch .LBB304_1479
.LBB304_1407:
	s_mov_b32 s1, -1
	s_mov_b32 s0, 0
	s_mov_b32 s3, 0
                                        ; implicit-def: $vgpr6_vgpr7
	s_branch .LBB304_1446
.LBB304_1408:
	s_mov_b32 s1, -1
	s_mov_b32 s0, 0
	s_mov_b32 s3, 0
                                        ; implicit-def: $vgpr6_vgpr7
	s_branch .LBB304_1427
.LBB304_1409:
	s_mov_b32 s1, -1
	s_mov_b32 s0, 0
	s_mov_b32 s3, 0
                                        ; implicit-def: $vgpr6_vgpr7
	s_branch .LBB304_1422
.LBB304_1410:
	s_cbranch_execnz .LBB304_1413
; %bb.1411:
	s_or_b32 s13, s13, exec_lo
                                        ; implicit-def: $vgpr4_vgpr5
	s_cbranch_execz .LBB304_1396
	s_branch .LBB304_1397
.LBB304_1412:
	s_mov_b32 s1, -1
	s_mov_b32 s0, 0
	s_mov_b32 s3, 0
	s_branch .LBB304_1416
.LBB304_1413:
	s_trap 2
	s_sendmsg_rtn_b32 s0, sendmsg(MSG_RTN_GET_DOORBELL)
	s_mov_b32 ttmp2, m0
	s_waitcnt lgkmcnt(0)
	s_and_b32 s0, s0, 0x3ff
	s_delay_alu instid0(SALU_CYCLE_1) | instskip(NEXT) | instid1(SALU_CYCLE_1)
	s_bitset1_b32 s0, 10
	s_mov_b32 m0, s0
	s_sendmsg sendmsg(MSG_INTERRUPT)
	s_mov_b32 m0, ttmp2
.LBB304_1414:                           ; =>This Inner Loop Header: Depth=1
	s_sethalt 5
	s_branch .LBB304_1414
.LBB304_1415:
	s_mov_b32 s3, -1
	s_mov_b32 s0, 0
.LBB304_1416:
                                        ; implicit-def: $vgpr6_vgpr7
.LBB304_1417:
	s_and_b32 vcc_lo, exec_lo, s1
	s_cbranch_vccz .LBB304_1421
; %bb.1418:
	v_cmp_eq_u16_e32 vcc_lo, 44, v11
	s_cbranch_vccz .LBB304_1420
; %bb.1419:
	global_load_u8 v6, v[8:9], off
	s_mov_b32 s3, 0
	s_mov_b32 s0, -1
	s_waitcnt vmcnt(0)
	v_lshlrev_b32_e32 v7, 23, v6
	s_delay_alu instid0(VALU_DEP_1) | instskip(NEXT) | instid1(VALU_DEP_1)
	v_trunc_f32_e32 v7, v7
	v_mul_f32_e64 v12, 0x2f800000, |v7|
	s_delay_alu instid0(VALU_DEP_1) | instskip(NEXT) | instid1(VALU_DEP_1)
	v_floor_f32_e32 v12, v12
	v_fma_f32 v13, 0xcf800000, v12, |v7|
	v_ashrrev_i32_e32 v7, 31, v7
	v_cvt_u32_f32_e32 v12, v12
	s_delay_alu instid0(VALU_DEP_3) | instskip(NEXT) | instid1(VALU_DEP_2)
	v_cvt_u32_f32_e32 v13, v13
	v_xor_b32_e32 v12, v12, v7
	s_delay_alu instid0(VALU_DEP_2) | instskip(NEXT) | instid1(VALU_DEP_1)
	v_xor_b32_e32 v13, v13, v7
	v_sub_co_u32 v13, vcc_lo, v13, v7
	s_delay_alu instid0(VALU_DEP_3) | instskip(SKIP_1) | instid1(VALU_DEP_2)
	v_sub_co_ci_u32_e32 v7, vcc_lo, v12, v7, vcc_lo
	v_cmp_ne_u32_e32 vcc_lo, 0, v6
	v_dual_cndmask_b32 v6, 0, v13 :: v_dual_cndmask_b32 v7, 0, v7
	s_branch .LBB304_1421
.LBB304_1420:
	s_mov_b32 s3, -1
                                        ; implicit-def: $vgpr6_vgpr7
.LBB304_1421:
	s_mov_b32 s1, 0
.LBB304_1422:
	s_delay_alu instid0(SALU_CYCLE_1)
	s_and_b32 vcc_lo, exec_lo, s1
	s_cbranch_vccz .LBB304_1426
; %bb.1423:
	v_cmp_eq_u16_e32 vcc_lo, 29, v11
	s_cbranch_vccz .LBB304_1425
; %bb.1424:
	global_load_b64 v[6:7], v[8:9], off
	s_mov_b32 s3, 0
	s_mov_b32 s0, -1
	s_branch .LBB304_1426
.LBB304_1425:
	s_mov_b32 s3, -1
                                        ; implicit-def: $vgpr6_vgpr7
.LBB304_1426:
	s_mov_b32 s1, 0
.LBB304_1427:
	s_delay_alu instid0(SALU_CYCLE_1)
	s_and_b32 vcc_lo, exec_lo, s1
	s_cbranch_vccz .LBB304_1445
; %bb.1428:
	v_cmp_gt_i16_e32 vcc_lo, 27, v11
	s_cbranch_vccnz .LBB304_1431
; %bb.1429:
	v_cmp_lt_i16_e32 vcc_lo, 27, v11
	s_cbranch_vccz .LBB304_1432
; %bb.1430:
	global_load_b32 v6, v[8:9], off
	s_waitcnt vmcnt(1)
	v_mov_b32_e32 v7, 0
	s_mov_b32 s0, 0
	s_branch .LBB304_1433
.LBB304_1431:
	s_mov_b32 s0, -1
                                        ; implicit-def: $vgpr6_vgpr7
	s_branch .LBB304_1436
.LBB304_1432:
	s_mov_b32 s0, -1
                                        ; implicit-def: $vgpr6_vgpr7
.LBB304_1433:
	s_delay_alu instid0(SALU_CYCLE_1)
	s_and_not1_b32 vcc_lo, exec_lo, s0
	s_cbranch_vccnz .LBB304_1435
; %bb.1434:
	global_load_u16 v6, v[8:9], off
	s_mov_b32 s0, 0
	s_waitcnt vmcnt(0)
	v_dual_mov_b32 v7, s0 :: v_dual_and_b32 v6, 0xffff, v6
.LBB304_1435:
	s_mov_b32 s0, 0
.LBB304_1436:
	s_delay_alu instid0(SALU_CYCLE_1)
	s_and_not1_b32 vcc_lo, exec_lo, s0
	s_cbranch_vccnz .LBB304_1444
; %bb.1437:
	global_load_u8 v12, v[8:9], off
	s_mov_b32 s7, 0
	s_mov_b32 s16, exec_lo
                                        ; implicit-def: $sgpr0_sgpr1
	s_waitcnt vmcnt(0)
	v_cmpx_lt_i16_e32 0x7f, v12
	s_xor_b32 s16, exec_lo, s16
; %bb.1438:
	v_cmp_ne_u16_e32 vcc_lo, 0x80, v12
	s_mov_b64 s[0:1], 0
	s_and_b32 s7, vcc_lo, exec_lo
; %bb.1439:
	s_or_saveexec_b32 s16, s16
	v_dual_mov_b32 v7, s1 :: v_dual_mov_b32 v6, s0
	s_xor_b32 exec_lo, exec_lo, s16
; %bb.1440:
	v_cmp_ne_u16_e32 vcc_lo, 0, v12
	v_mov_b32_e32 v6, 0
	v_mov_b32_e32 v7, 0
	s_and_not1_b32 s0, s7, exec_lo
	s_and_b32 s1, vcc_lo, exec_lo
	s_delay_alu instid0(SALU_CYCLE_1)
	s_or_b32 s7, s0, s1
; %bb.1441:
	s_or_b32 exec_lo, exec_lo, s16
	s_and_saveexec_b32 s0, s7
	s_cbranch_execz .LBB304_1443
; %bb.1442:
	v_and_b32_e32 v6, 0xffff, v12
	v_lshlrev_b32_e32 v12, 24, v12
	s_delay_alu instid0(VALU_DEP_2) | instskip(NEXT) | instid1(VALU_DEP_2)
	v_and_b32_e32 v7, 7, v6
	v_and_b32_e32 v12, 0x80000000, v12
	s_delay_alu instid0(VALU_DEP_2) | instskip(NEXT) | instid1(VALU_DEP_1)
	v_clz_i32_u32_e32 v13, v7
	v_min_u32_e32 v13, 32, v13
	s_delay_alu instid0(VALU_DEP_1) | instskip(SKIP_1) | instid1(VALU_DEP_2)
	v_subrev_nc_u32_e32 v14, 28, v13
	v_sub_nc_u32_e32 v13, 29, v13
	v_lshlrev_b32_e32 v14, v14, v6
	v_bfe_u32 v6, v6, 3, 4
	s_delay_alu instid0(VALU_DEP_2) | instskip(NEXT) | instid1(VALU_DEP_2)
	v_and_b32_e32 v14, 7, v14
	v_cmp_eq_u32_e32 vcc_lo, 0, v6
	s_delay_alu instid0(VALU_DEP_2) | instskip(NEXT) | instid1(VALU_DEP_1)
	v_dual_cndmask_b32 v6, v6, v13 :: v_dual_cndmask_b32 v7, v7, v14
	v_lshl_add_u32 v6, v6, 23, 0x3b800000
	s_delay_alu instid0(VALU_DEP_2) | instskip(NEXT) | instid1(VALU_DEP_1)
	v_lshlrev_b32_e32 v7, 20, v7
	v_or3_b32 v6, v12, v6, v7
	s_delay_alu instid0(VALU_DEP_1) | instskip(NEXT) | instid1(VALU_DEP_1)
	v_trunc_f32_e32 v6, v6
	v_mul_f32_e64 v7, 0x2f800000, |v6|
	v_ashrrev_i32_e32 v13, 31, v6
	s_delay_alu instid0(VALU_DEP_2) | instskip(NEXT) | instid1(VALU_DEP_1)
	v_floor_f32_e32 v7, v7
	v_fma_f32 v12, 0xcf800000, v7, |v6|
	v_cvt_u32_f32_e32 v7, v7
	s_delay_alu instid0(VALU_DEP_2) | instskip(NEXT) | instid1(VALU_DEP_2)
	v_cvt_u32_f32_e32 v6, v12
	v_xor_b32_e32 v7, v7, v13
	s_delay_alu instid0(VALU_DEP_2) | instskip(NEXT) | instid1(VALU_DEP_1)
	v_xor_b32_e32 v6, v6, v13
	v_sub_co_u32 v6, vcc_lo, v6, v13
	s_delay_alu instid0(VALU_DEP_3)
	v_sub_co_ci_u32_e32 v7, vcc_lo, v7, v13, vcc_lo
.LBB304_1443:
	s_or_b32 exec_lo, exec_lo, s0
.LBB304_1444:
	s_mov_b32 s0, -1
.LBB304_1445:
	s_mov_b32 s1, 0
.LBB304_1446:
	s_delay_alu instid0(SALU_CYCLE_1)
	s_and_b32 vcc_lo, exec_lo, s1
	s_cbranch_vccz .LBB304_1475
; %bb.1447:
	v_cmp_lt_i16_e32 vcc_lo, 22, v11
	s_cbranch_vccz .LBB304_1457
; %bb.1448:
	v_cmp_gt_i16_e32 vcc_lo, 24, v11
	s_cbranch_vccnz .LBB304_1458
; %bb.1449:
	v_cmp_lt_i16_e32 vcc_lo, 24, v11
	s_cbranch_vccz .LBB304_1459
; %bb.1450:
	global_load_u8 v12, v[8:9], off
	s_mov_b32 s7, exec_lo
                                        ; implicit-def: $sgpr0_sgpr1
	s_waitcnt vmcnt(0)
	v_cmpx_lt_i16_e32 0x7f, v12
	s_xor_b32 s7, exec_lo, s7
; %bb.1451:
	v_cmp_ne_u16_e32 vcc_lo, 0x80, v12
	s_mov_b64 s[0:1], 0
	s_and_b32 s6, vcc_lo, exec_lo
; %bb.1452:
	s_or_saveexec_b32 s7, s7
	v_dual_mov_b32 v7, s1 :: v_dual_mov_b32 v6, s0
	s_xor_b32 exec_lo, exec_lo, s7
; %bb.1453:
	v_cmp_ne_u16_e32 vcc_lo, 0, v12
	v_mov_b32_e32 v6, 0
	v_mov_b32_e32 v7, 0
	s_and_not1_b32 s0, s6, exec_lo
	s_and_b32 s1, vcc_lo, exec_lo
	s_delay_alu instid0(SALU_CYCLE_1)
	s_or_b32 s6, s0, s1
; %bb.1454:
	s_or_b32 exec_lo, exec_lo, s7
	s_and_saveexec_b32 s0, s6
	s_cbranch_execz .LBB304_1456
; %bb.1455:
	v_and_b32_e32 v6, 0xffff, v12
	v_lshlrev_b32_e32 v12, 24, v12
	s_delay_alu instid0(VALU_DEP_2) | instskip(NEXT) | instid1(VALU_DEP_2)
	v_and_b32_e32 v7, 3, v6
	v_and_b32_e32 v12, 0x80000000, v12
	s_delay_alu instid0(VALU_DEP_2) | instskip(NEXT) | instid1(VALU_DEP_1)
	v_clz_i32_u32_e32 v13, v7
	v_min_u32_e32 v13, 32, v13
	s_delay_alu instid0(VALU_DEP_1) | instskip(SKIP_1) | instid1(VALU_DEP_2)
	v_subrev_nc_u32_e32 v14, 29, v13
	v_sub_nc_u32_e32 v13, 30, v13
	v_lshlrev_b32_e32 v14, v14, v6
	v_bfe_u32 v6, v6, 2, 5
	s_delay_alu instid0(VALU_DEP_2) | instskip(NEXT) | instid1(VALU_DEP_2)
	v_and_b32_e32 v14, 3, v14
	v_cmp_eq_u32_e32 vcc_lo, 0, v6
	s_delay_alu instid0(VALU_DEP_2) | instskip(NEXT) | instid1(VALU_DEP_1)
	v_dual_cndmask_b32 v6, v6, v13 :: v_dual_cndmask_b32 v7, v7, v14
	v_lshl_add_u32 v6, v6, 23, 0x37800000
	s_delay_alu instid0(VALU_DEP_2) | instskip(NEXT) | instid1(VALU_DEP_1)
	v_lshlrev_b32_e32 v7, 21, v7
	v_or3_b32 v6, v12, v6, v7
	s_delay_alu instid0(VALU_DEP_1) | instskip(NEXT) | instid1(VALU_DEP_1)
	v_trunc_f32_e32 v6, v6
	v_mul_f32_e64 v7, 0x2f800000, |v6|
	v_ashrrev_i32_e32 v13, 31, v6
	s_delay_alu instid0(VALU_DEP_2) | instskip(NEXT) | instid1(VALU_DEP_1)
	v_floor_f32_e32 v7, v7
	v_fma_f32 v12, 0xcf800000, v7, |v6|
	v_cvt_u32_f32_e32 v7, v7
	s_delay_alu instid0(VALU_DEP_2) | instskip(NEXT) | instid1(VALU_DEP_2)
	v_cvt_u32_f32_e32 v6, v12
	v_xor_b32_e32 v7, v7, v13
	s_delay_alu instid0(VALU_DEP_2) | instskip(NEXT) | instid1(VALU_DEP_1)
	v_xor_b32_e32 v6, v6, v13
	v_sub_co_u32 v6, vcc_lo, v6, v13
	s_delay_alu instid0(VALU_DEP_3)
	v_sub_co_ci_u32_e32 v7, vcc_lo, v7, v13, vcc_lo
.LBB304_1456:
	s_or_b32 exec_lo, exec_lo, s0
	s_mov_b32 s0, 0
	s_branch .LBB304_1460
.LBB304_1457:
	s_mov_b32 s1, -1
                                        ; implicit-def: $vgpr6_vgpr7
	s_branch .LBB304_1466
.LBB304_1458:
	s_mov_b32 s0, -1
                                        ; implicit-def: $vgpr6_vgpr7
	s_branch .LBB304_1463
.LBB304_1459:
	s_mov_b32 s0, -1
                                        ; implicit-def: $vgpr6_vgpr7
.LBB304_1460:
	s_delay_alu instid0(SALU_CYCLE_1)
	s_and_b32 vcc_lo, exec_lo, s0
	s_cbranch_vccz .LBB304_1462
; %bb.1461:
	global_load_u8 v6, v[8:9], off
	s_waitcnt vmcnt(0)
	v_lshlrev_b32_e32 v6, 24, v6
	s_delay_alu instid0(VALU_DEP_1) | instskip(NEXT) | instid1(VALU_DEP_1)
	v_and_b32_e32 v7, 0x7f000000, v6
	v_clz_i32_u32_e32 v12, v7
	v_add_nc_u32_e32 v14, 0x1000000, v7
	v_cmp_ne_u32_e32 vcc_lo, 0, v7
	s_delay_alu instid0(VALU_DEP_3) | instskip(NEXT) | instid1(VALU_DEP_1)
	v_min_u32_e32 v12, 32, v12
	v_sub_nc_u32_e64 v12, v12, 4 clamp
	s_delay_alu instid0(VALU_DEP_1) | instskip(SKIP_1) | instid1(VALU_DEP_2)
	v_lshlrev_b32_e32 v13, v12, v7
	v_lshlrev_b32_e32 v12, 23, v12
	v_lshrrev_b32_e32 v13, 4, v13
	s_delay_alu instid0(VALU_DEP_1) | instskip(SKIP_1) | instid1(VALU_DEP_2)
	v_sub_nc_u32_e32 v12, v13, v12
	v_ashrrev_i32_e32 v13, 8, v14
	v_add_nc_u32_e32 v12, 0x3c000000, v12
	s_delay_alu instid0(VALU_DEP_1) | instskip(NEXT) | instid1(VALU_DEP_1)
	v_and_or_b32 v12, 0x7f800000, v13, v12
	v_cndmask_b32_e32 v7, 0, v12, vcc_lo
	s_delay_alu instid0(VALU_DEP_1) | instskip(NEXT) | instid1(VALU_DEP_1)
	v_and_or_b32 v6, 0x80000000, v6, v7
	v_trunc_f32_e32 v6, v6
	s_delay_alu instid0(VALU_DEP_1) | instskip(SKIP_1) | instid1(VALU_DEP_2)
	v_mul_f32_e64 v7, 0x2f800000, |v6|
	v_ashrrev_i32_e32 v13, 31, v6
	v_floor_f32_e32 v7, v7
	s_delay_alu instid0(VALU_DEP_1) | instskip(SKIP_1) | instid1(VALU_DEP_2)
	v_fma_f32 v12, 0xcf800000, v7, |v6|
	v_cvt_u32_f32_e32 v7, v7
	v_cvt_u32_f32_e32 v6, v12
	s_delay_alu instid0(VALU_DEP_2) | instskip(NEXT) | instid1(VALU_DEP_2)
	v_xor_b32_e32 v7, v7, v13
	v_xor_b32_e32 v6, v6, v13
	s_delay_alu instid0(VALU_DEP_1) | instskip(NEXT) | instid1(VALU_DEP_3)
	v_sub_co_u32 v6, vcc_lo, v6, v13
	v_sub_co_ci_u32_e32 v7, vcc_lo, v7, v13, vcc_lo
.LBB304_1462:
	s_mov_b32 s0, 0
.LBB304_1463:
	s_delay_alu instid0(SALU_CYCLE_1)
	s_and_not1_b32 vcc_lo, exec_lo, s0
	s_cbranch_vccnz .LBB304_1465
; %bb.1464:
	global_load_u8 v6, v[8:9], off
	s_waitcnt vmcnt(0)
	v_lshlrev_b32_e32 v7, 25, v6
	v_lshlrev_b16 v6, 8, v6
	s_delay_alu instid0(VALU_DEP_2) | instskip(NEXT) | instid1(VALU_DEP_2)
	v_lshrrev_b32_e32 v12, 4, v7
	v_and_or_b32 v13, 0x7f00, v6, 0.5
	v_bfe_i32 v6, v6, 0, 16
	s_delay_alu instid0(VALU_DEP_3) | instskip(NEXT) | instid1(VALU_DEP_1)
	v_or_b32_e32 v12, 0x70000000, v12
	v_dual_add_f32 v13, -0.5, v13 :: v_dual_mul_f32 v12, 0x7800000, v12
	v_cmp_gt_u32_e32 vcc_lo, 0x8000000, v7
	s_delay_alu instid0(VALU_DEP_2) | instskip(NEXT) | instid1(VALU_DEP_1)
	v_cndmask_b32_e32 v7, v12, v13, vcc_lo
	v_and_or_b32 v6, 0x80000000, v6, v7
	s_delay_alu instid0(VALU_DEP_1) | instskip(NEXT) | instid1(VALU_DEP_1)
	v_trunc_f32_e32 v6, v6
	v_mul_f32_e64 v7, 0x2f800000, |v6|
	v_ashrrev_i32_e32 v13, 31, v6
	s_delay_alu instid0(VALU_DEP_2) | instskip(NEXT) | instid1(VALU_DEP_1)
	v_floor_f32_e32 v7, v7
	v_fma_f32 v12, 0xcf800000, v7, |v6|
	v_cvt_u32_f32_e32 v7, v7
	s_delay_alu instid0(VALU_DEP_2) | instskip(NEXT) | instid1(VALU_DEP_2)
	v_cvt_u32_f32_e32 v6, v12
	v_xor_b32_e32 v7, v7, v13
	s_delay_alu instid0(VALU_DEP_2) | instskip(NEXT) | instid1(VALU_DEP_1)
	v_xor_b32_e32 v6, v6, v13
	v_sub_co_u32 v6, vcc_lo, v6, v13
	s_delay_alu instid0(VALU_DEP_3)
	v_sub_co_ci_u32_e32 v7, vcc_lo, v7, v13, vcc_lo
.LBB304_1465:
	s_mov_b32 s1, 0
	s_mov_b32 s0, -1
.LBB304_1466:
	s_and_not1_b32 vcc_lo, exec_lo, s1
	s_mov_b32 s6, 0
	s_cbranch_vccnz .LBB304_1475
; %bb.1467:
	v_cmp_lt_i16_e32 vcc_lo, 14, v11
	s_cbranch_vccz .LBB304_1470
; %bb.1468:
	v_cmp_eq_u16_e32 vcc_lo, 15, v11
	s_cbranch_vccz .LBB304_1471
; %bb.1469:
	global_load_u16 v6, v[8:9], off
	s_mov_b32 s3, 0
	s_mov_b32 s0, -1
	s_waitcnt vmcnt(0)
	v_lshlrev_b32_e32 v6, 16, v6
	s_delay_alu instid0(VALU_DEP_1) | instskip(NEXT) | instid1(VALU_DEP_1)
	v_trunc_f32_e32 v6, v6
	v_mul_f32_e64 v7, 0x2f800000, |v6|
	v_ashrrev_i32_e32 v13, 31, v6
	s_delay_alu instid0(VALU_DEP_2) | instskip(NEXT) | instid1(VALU_DEP_1)
	v_floor_f32_e32 v7, v7
	v_fma_f32 v12, 0xcf800000, v7, |v6|
	v_cvt_u32_f32_e32 v7, v7
	s_delay_alu instid0(VALU_DEP_2) | instskip(NEXT) | instid1(VALU_DEP_2)
	v_cvt_u32_f32_e32 v6, v12
	v_xor_b32_e32 v7, v7, v13
	s_delay_alu instid0(VALU_DEP_2) | instskip(NEXT) | instid1(VALU_DEP_1)
	v_xor_b32_e32 v6, v6, v13
	v_sub_co_u32 v6, vcc_lo, v6, v13
	s_delay_alu instid0(VALU_DEP_3)
	v_sub_co_ci_u32_e32 v7, vcc_lo, v7, v13, vcc_lo
	s_branch .LBB304_1472
.LBB304_1470:
	s_mov_b32 s1, -1
                                        ; implicit-def: $vgpr6_vgpr7
	s_branch .LBB304_1473
.LBB304_1471:
	s_mov_b32 s3, -1
                                        ; implicit-def: $vgpr6_vgpr7
.LBB304_1472:
	s_mov_b32 s1, 0
.LBB304_1473:
	s_delay_alu instid0(SALU_CYCLE_1)
	s_and_b32 vcc_lo, exec_lo, s1
	s_cbranch_vccz .LBB304_1475
; %bb.1474:
	v_cmp_ne_u16_e64 s3, 11, v11
	s_mov_b32 s6, -1
                                        ; implicit-def: $vgpr6_vgpr7
.LBB304_1475:
	s_delay_alu instid0(VALU_DEP_1)
	s_and_b32 vcc_lo, exec_lo, s3
	s_cbranch_vccnz .LBB304_2008
; %bb.1476:
	s_and_not1_b32 vcc_lo, exec_lo, s6
	s_cbranch_vccnz .LBB304_1478
.LBB304_1477:
	global_load_u8 v6, v[8:9], off
	s_mov_b32 s0, 0
	s_waitcnt vmcnt(1)
	v_mov_b32_e32 v7, s0
	s_mov_b32 s0, -1
	s_waitcnt vmcnt(0)
	v_cmp_ne_u16_e32 vcc_lo, 0, v6
	v_cndmask_b32_e64 v6, 0, 1, vcc_lo
.LBB304_1478:
	s_mov_b32 s1, 0
.LBB304_1479:
	s_delay_alu instid0(SALU_CYCLE_1)
	s_and_b32 vcc_lo, exec_lo, s1
	s_cbranch_vccz .LBB304_1528
; %bb.1480:
	v_cmp_gt_i16_e32 vcc_lo, 5, v11
	s_cbranch_vccnz .LBB304_1485
; %bb.1481:
	v_cmp_gt_i16_e32 vcc_lo, 8, v11
	s_cbranch_vccnz .LBB304_1486
	;; [unrolled: 3-line block ×3, first 2 shown]
; %bb.1483:
	v_cmp_lt_i16_e32 vcc_lo, 9, v11
	s_cbranch_vccz .LBB304_1488
; %bb.1484:
	global_load_b64 v[6:7], v[8:9], off
	s_mov_b32 s0, 0
	s_waitcnt vmcnt(0)
	v_trunc_f64_e32 v[6:7], v[6:7]
	s_delay_alu instid0(VALU_DEP_1) | instskip(NEXT) | instid1(VALU_DEP_1)
	v_ldexp_f64 v[12:13], v[6:7], 0xffffffe0
	v_floor_f64_e32 v[12:13], v[12:13]
	s_delay_alu instid0(VALU_DEP_1) | instskip(SKIP_1) | instid1(VALU_DEP_2)
	v_fma_f64 v[14:15], 0xc1f00000, v[12:13], v[6:7]
	v_cvt_i32_f64_e32 v7, v[12:13]
	v_cvt_u32_f64_e32 v6, v[14:15]
	s_branch .LBB304_1489
.LBB304_1485:
	s_mov_b32 s0, -1
                                        ; implicit-def: $vgpr6_vgpr7
	s_branch .LBB304_1507
.LBB304_1486:
	s_mov_b32 s0, -1
                                        ; implicit-def: $vgpr6_vgpr7
	s_branch .LBB304_1495
.LBB304_1487:
	s_mov_b32 s0, -1
                                        ; implicit-def: $vgpr6_vgpr7
	s_branch .LBB304_1492
.LBB304_1488:
	s_mov_b32 s0, -1
                                        ; implicit-def: $vgpr6_vgpr7
.LBB304_1489:
	s_delay_alu instid0(SALU_CYCLE_1)
	s_and_not1_b32 vcc_lo, exec_lo, s0
	s_cbranch_vccnz .LBB304_1491
; %bb.1490:
	global_load_b32 v6, v[8:9], off
	s_waitcnt vmcnt(0)
	v_trunc_f32_e32 v6, v6
	s_delay_alu instid0(VALU_DEP_1) | instskip(SKIP_1) | instid1(VALU_DEP_2)
	v_mul_f32_e64 v7, 0x2f800000, |v6|
	v_ashrrev_i32_e32 v13, 31, v6
	v_floor_f32_e32 v7, v7
	s_delay_alu instid0(VALU_DEP_1) | instskip(SKIP_1) | instid1(VALU_DEP_2)
	v_fma_f32 v12, 0xcf800000, v7, |v6|
	v_cvt_u32_f32_e32 v7, v7
	v_cvt_u32_f32_e32 v6, v12
	s_delay_alu instid0(VALU_DEP_2) | instskip(NEXT) | instid1(VALU_DEP_2)
	v_xor_b32_e32 v7, v7, v13
	v_xor_b32_e32 v6, v6, v13
	s_delay_alu instid0(VALU_DEP_1) | instskip(NEXT) | instid1(VALU_DEP_3)
	v_sub_co_u32 v6, vcc_lo, v6, v13
	v_sub_co_ci_u32_e32 v7, vcc_lo, v7, v13, vcc_lo
.LBB304_1491:
	s_mov_b32 s0, 0
.LBB304_1492:
	s_delay_alu instid0(SALU_CYCLE_1)
	s_and_not1_b32 vcc_lo, exec_lo, s0
	s_cbranch_vccnz .LBB304_1494
; %bb.1493:
	global_load_b32 v6, v[8:9], off
	s_waitcnt vmcnt(0)
	v_cvt_f32_f16_e32 v6, v6
	s_delay_alu instid0(VALU_DEP_1) | instskip(NEXT) | instid1(VALU_DEP_1)
	v_cvt_i32_f32_e32 v6, v6
	v_ashrrev_i32_e32 v7, 31, v6
.LBB304_1494:
	s_mov_b32 s0, 0
.LBB304_1495:
	s_delay_alu instid0(SALU_CYCLE_1)
	s_and_not1_b32 vcc_lo, exec_lo, s0
	s_cbranch_vccnz .LBB304_1506
; %bb.1496:
	v_cmp_gt_i16_e32 vcc_lo, 6, v11
	s_cbranch_vccnz .LBB304_1499
; %bb.1497:
	v_cmp_lt_i16_e32 vcc_lo, 6, v11
	s_cbranch_vccz .LBB304_1500
; %bb.1498:
	global_load_b64 v[6:7], v[8:9], off
	s_mov_b32 s0, 0
	s_waitcnt vmcnt(0)
	v_trunc_f64_e32 v[6:7], v[6:7]
	s_delay_alu instid0(VALU_DEP_1) | instskip(NEXT) | instid1(VALU_DEP_1)
	v_ldexp_f64 v[12:13], v[6:7], 0xffffffe0
	v_floor_f64_e32 v[12:13], v[12:13]
	s_delay_alu instid0(VALU_DEP_1) | instskip(SKIP_1) | instid1(VALU_DEP_2)
	v_fma_f64 v[14:15], 0xc1f00000, v[12:13], v[6:7]
	v_cvt_i32_f64_e32 v7, v[12:13]
	v_cvt_u32_f64_e32 v6, v[14:15]
	s_branch .LBB304_1501
.LBB304_1499:
	s_mov_b32 s0, -1
                                        ; implicit-def: $vgpr6_vgpr7
	s_branch .LBB304_1504
.LBB304_1500:
	s_mov_b32 s0, -1
                                        ; implicit-def: $vgpr6_vgpr7
.LBB304_1501:
	s_delay_alu instid0(SALU_CYCLE_1)
	s_and_not1_b32 vcc_lo, exec_lo, s0
	s_cbranch_vccnz .LBB304_1503
; %bb.1502:
	global_load_b32 v6, v[8:9], off
	s_waitcnt vmcnt(0)
	v_trunc_f32_e32 v6, v6
	s_delay_alu instid0(VALU_DEP_1) | instskip(SKIP_1) | instid1(VALU_DEP_2)
	v_mul_f32_e64 v7, 0x2f800000, |v6|
	v_ashrrev_i32_e32 v13, 31, v6
	v_floor_f32_e32 v7, v7
	s_delay_alu instid0(VALU_DEP_1) | instskip(SKIP_1) | instid1(VALU_DEP_2)
	v_fma_f32 v12, 0xcf800000, v7, |v6|
	v_cvt_u32_f32_e32 v7, v7
	v_cvt_u32_f32_e32 v6, v12
	s_delay_alu instid0(VALU_DEP_2) | instskip(NEXT) | instid1(VALU_DEP_2)
	v_xor_b32_e32 v7, v7, v13
	v_xor_b32_e32 v6, v6, v13
	s_delay_alu instid0(VALU_DEP_1) | instskip(NEXT) | instid1(VALU_DEP_3)
	v_sub_co_u32 v6, vcc_lo, v6, v13
	v_sub_co_ci_u32_e32 v7, vcc_lo, v7, v13, vcc_lo
.LBB304_1503:
	s_mov_b32 s0, 0
.LBB304_1504:
	s_delay_alu instid0(SALU_CYCLE_1)
	s_and_not1_b32 vcc_lo, exec_lo, s0
	s_cbranch_vccnz .LBB304_1506
; %bb.1505:
	global_load_u16 v6, v[8:9], off
	s_waitcnt vmcnt(0)
	v_cvt_f32_f16_e32 v6, v6
	s_delay_alu instid0(VALU_DEP_1) | instskip(NEXT) | instid1(VALU_DEP_1)
	v_cvt_i32_f32_e32 v6, v6
	v_ashrrev_i32_e32 v7, 31, v6
.LBB304_1506:
	s_mov_b32 s0, 0
.LBB304_1507:
	s_delay_alu instid0(SALU_CYCLE_1)
	s_and_not1_b32 vcc_lo, exec_lo, s0
	s_cbranch_vccnz .LBB304_1527
; %bb.1508:
	v_cmp_gt_i16_e32 vcc_lo, 2, v11
	s_cbranch_vccnz .LBB304_1512
; %bb.1509:
	v_cmp_gt_i16_e32 vcc_lo, 3, v11
	s_cbranch_vccnz .LBB304_1513
; %bb.1510:
	v_cmp_lt_i16_e32 vcc_lo, 3, v11
	s_cbranch_vccz .LBB304_1514
; %bb.1511:
	global_load_b64 v[6:7], v[8:9], off
	s_mov_b32 s0, 0
	s_branch .LBB304_1515
.LBB304_1512:
	s_mov_b32 s0, -1
                                        ; implicit-def: $vgpr6_vgpr7
	s_branch .LBB304_1521
.LBB304_1513:
	s_mov_b32 s0, -1
                                        ; implicit-def: $vgpr6_vgpr7
	s_branch .LBB304_1518
.LBB304_1514:
	s_mov_b32 s0, -1
                                        ; implicit-def: $vgpr6_vgpr7
.LBB304_1515:
	s_delay_alu instid0(SALU_CYCLE_1)
	s_and_not1_b32 vcc_lo, exec_lo, s0
	s_cbranch_vccnz .LBB304_1517
; %bb.1516:
	global_load_b32 v6, v[8:9], off
	s_waitcnt vmcnt(0)
	v_ashrrev_i32_e32 v7, 31, v6
.LBB304_1517:
	s_mov_b32 s0, 0
.LBB304_1518:
	s_delay_alu instid0(SALU_CYCLE_1)
	s_and_not1_b32 vcc_lo, exec_lo, s0
	s_cbranch_vccnz .LBB304_1520
; %bb.1519:
	global_load_u16 v6, v[8:9], off
	s_waitcnt vmcnt(0)
	v_bfe_i32 v6, v6, 0, 16
	s_delay_alu instid0(VALU_DEP_1)
	v_ashrrev_i32_e32 v7, 31, v6
.LBB304_1520:
	s_mov_b32 s0, 0
.LBB304_1521:
	s_delay_alu instid0(SALU_CYCLE_1)
	s_and_not1_b32 vcc_lo, exec_lo, s0
	s_cbranch_vccnz .LBB304_1527
; %bb.1522:
	v_cmp_lt_i16_e32 vcc_lo, 0, v11
	s_mov_b32 s0, 0
	s_cbranch_vccz .LBB304_1524
; %bb.1523:
	global_load_i8 v6, v[8:9], off
	s_waitcnt vmcnt(0)
	v_bfe_i32 v6, v6, 0, 16
	s_delay_alu instid0(VALU_DEP_1)
	v_ashrrev_i32_e32 v7, 31, v6
	s_branch .LBB304_1525
.LBB304_1524:
	s_mov_b32 s0, -1
                                        ; implicit-def: $vgpr6_vgpr7
.LBB304_1525:
	s_delay_alu instid0(SALU_CYCLE_1)
	s_and_not1_b32 vcc_lo, exec_lo, s0
	s_cbranch_vccnz .LBB304_1527
; %bb.1526:
	global_load_u8 v6, v[8:9], off
	s_mov_b32 s0, 0
	s_waitcnt vmcnt(0)
	v_dual_mov_b32 v7, s0 :: v_dual_and_b32 v6, 0xffff, v6
.LBB304_1527:
	s_mov_b32 s0, -1
.LBB304_1528:
	s_delay_alu instid0(SALU_CYCLE_1)
	s_and_not1_b32 vcc_lo, exec_lo, s0
	s_cbranch_vccnz .LBB304_1962
; %bb.1529:
	s_waitcnt vmcnt(0)
	v_cmp_lt_i64_e32 vcc_lo, s[8:9], v[0:1]
	v_mul_lo_u32 v10, s2, v10
	v_and_b32_e64 v12, 0xff, s12
	v_cndmask_b32_e32 v1, s9, v1, vcc_lo
	v_cndmask_b32_e32 v0, s8, v0, vcc_lo
	s_delay_alu instid0(VALU_DEP_3) | instskip(SKIP_2) | instid1(VALU_DEP_4)
	v_cmp_gt_i16_e32 vcc_lo, 11, v12
	v_ashrrev_i32_e32 v9, 31, v10
	v_add_co_u32 v8, s1, s4, v10
	v_cmp_gt_i64_e64 s0, s[10:11], v[0:1]
	s_delay_alu instid0(VALU_DEP_3) | instskip(NEXT) | instid1(VALU_DEP_2)
	v_add_co_ci_u32_e64 v9, s1, s5, v9, s1
	v_cndmask_b32_e64 v1, s11, v1, s0
	v_cndmask_b32_e64 v0, s10, v0, s0
	s_cbranch_vccnz .LBB304_1607
; %bb.1530:
	v_cmp_lt_i16_e32 vcc_lo, 25, v12
	s_mov_b32 s6, -1
	s_mov_b32 s1, 0
	s_mov_b32 s3, 0
	;; [unrolled: 1-line block ×3, first 2 shown]
	s_cbranch_vccz .LBB304_1563
; %bb.1531:
	v_cmp_lt_i16_e32 vcc_lo, 28, v12
	s_cbranch_vccz .LBB304_1546
; %bb.1532:
	v_cmp_lt_i16_e32 vcc_lo, 43, v12
	;; [unrolled: 3-line block ×3, first 2 shown]
	s_cbranch_vccz .LBB304_1536
; %bb.1534:
	v_cmp_eq_u16_e32 vcc_lo, 46, v12
	s_mov_b32 s0, -1
	s_mov_b32 s6, 0
	s_cbranch_vccz .LBB304_1536
; %bb.1535:
	v_xor_b32_e32 v11, v0, v1
	v_cls_i32_e32 v13, v1
	s_mov_b32 s3, -1
	s_mov_b32 s0, 0
	s_delay_alu instid0(VALU_DEP_2) | instskip(NEXT) | instid1(VALU_DEP_2)
	v_ashrrev_i32_e32 v11, 31, v11
	v_add_nc_u32_e32 v13, -1, v13
	s_delay_alu instid0(VALU_DEP_2) | instskip(NEXT) | instid1(VALU_DEP_1)
	v_add_nc_u32_e32 v11, 32, v11
	v_min_u32_e32 v11, v13, v11
	s_delay_alu instid0(VALU_DEP_1) | instskip(SKIP_1) | instid1(VALU_DEP_2)
	v_lshlrev_b64 v[13:14], v11, v[0:1]
	v_sub_nc_u32_e32 v11, 32, v11
	v_min_u32_e32 v13, 1, v13
	s_delay_alu instid0(VALU_DEP_1) | instskip(NEXT) | instid1(VALU_DEP_1)
	v_or_b32_e32 v13, v14, v13
	v_cvt_f32_i32_e32 v13, v13
	s_delay_alu instid0(VALU_DEP_1) | instskip(NEXT) | instid1(VALU_DEP_1)
	v_ldexp_f32 v11, v13, v11
	v_bfe_u32 v13, v11, 16, 1
	s_delay_alu instid0(VALU_DEP_1) | instskip(NEXT) | instid1(VALU_DEP_1)
	v_add3_u32 v11, v11, v13, 0x7fff
	v_lshrrev_b32_e32 v11, 16, v11
	global_store_b32 v[8:9], v11, off
.LBB304_1536:
	s_and_b32 vcc_lo, exec_lo, s6
	s_cbranch_vccz .LBB304_1541
; %bb.1537:
	v_cmp_eq_u16_e32 vcc_lo, 44, v12
	s_mov_b32 s0, -1
	s_cbranch_vccz .LBB304_1541
; %bb.1538:
	v_xor_b32_e32 v11, v0, v1
	v_cls_i32_e32 v13, v1
	s_mov_b32 s3, -1
	s_mov_b32 s6, exec_lo
	s_delay_alu instid0(VALU_DEP_2) | instskip(NEXT) | instid1(VALU_DEP_2)
	v_ashrrev_i32_e32 v11, 31, v11
	v_add_nc_u32_e32 v13, -1, v13
	s_delay_alu instid0(VALU_DEP_2) | instskip(NEXT) | instid1(VALU_DEP_1)
	v_add_nc_u32_e32 v11, 32, v11
	v_min_u32_e32 v11, v13, v11
	s_delay_alu instid0(VALU_DEP_1) | instskip(SKIP_1) | instid1(VALU_DEP_2)
	v_lshlrev_b64 v[13:14], v11, v[0:1]
	v_sub_nc_u32_e32 v11, 32, v11
	v_min_u32_e32 v13, 1, v13
	s_delay_alu instid0(VALU_DEP_1) | instskip(NEXT) | instid1(VALU_DEP_1)
	v_or_b32_e32 v13, v14, v13
	v_cvt_f32_i32_e32 v13, v13
	s_delay_alu instid0(VALU_DEP_1) | instskip(SKIP_1) | instid1(VALU_DEP_2)
	v_ldexp_f32 v11, v13, v11
	v_mov_b32_e32 v13, 0xff
	v_bfe_u32 v14, v11, 23, 8
	s_delay_alu instid0(VALU_DEP_1)
	v_cmpx_ne_u32_e32 0xff, v14
; %bb.1539:
	v_and_b32_e32 v13, 0x400000, v11
	v_and_or_b32 v14, 0x3fffff, v11, v14
	v_lshrrev_b32_e32 v11, 23, v11
	s_delay_alu instid0(VALU_DEP_3) | instskip(NEXT) | instid1(VALU_DEP_3)
	v_cmp_ne_u32_e32 vcc_lo, 0, v13
	v_cmp_ne_u32_e64 s0, 0, v14
	s_delay_alu instid0(VALU_DEP_1) | instskip(NEXT) | instid1(SALU_CYCLE_1)
	s_and_b32 s0, vcc_lo, s0
	v_cndmask_b32_e64 v13, 0, 1, s0
	s_delay_alu instid0(VALU_DEP_1)
	v_add_nc_u32_e32 v13, v11, v13
; %bb.1540:
	s_or_b32 exec_lo, exec_lo, s6
	s_mov_b32 s0, 0
	global_store_b8 v[8:9], v13, off
.LBB304_1541:
	s_mov_b32 s6, 0
.LBB304_1542:
	s_delay_alu instid0(SALU_CYCLE_1)
	s_and_b32 vcc_lo, exec_lo, s6
	s_cbranch_vccz .LBB304_1545
; %bb.1543:
	v_cmp_eq_u16_e32 vcc_lo, 29, v12
	s_mov_b32 s0, -1
	s_cbranch_vccz .LBB304_1545
; %bb.1544:
	s_mov_b32 s0, 0
	s_mov_b32 s3, -1
	global_store_b64 v[8:9], v[0:1], off
.LBB304_1545:
	s_mov_b32 s6, 0
.LBB304_1546:
	s_delay_alu instid0(SALU_CYCLE_1)
	s_and_b32 vcc_lo, exec_lo, s6
	s_cbranch_vccz .LBB304_1562
; %bb.1547:
	v_cmp_gt_i16_e32 vcc_lo, 27, v12
	s_mov_b32 s3, -1
	s_cbranch_vccnz .LBB304_1553
; %bb.1548:
	v_cmp_lt_i16_e32 vcc_lo, 27, v12
	s_cbranch_vccz .LBB304_1550
; %bb.1549:
	s_mov_b32 s3, 0
	global_store_b32 v[8:9], v0, off
.LBB304_1550:
	s_and_not1_b32 vcc_lo, exec_lo, s3
	s_cbranch_vccnz .LBB304_1552
; %bb.1551:
	global_store_b16 v[8:9], v0, off
.LBB304_1552:
	s_mov_b32 s3, 0
.LBB304_1553:
	s_delay_alu instid0(SALU_CYCLE_1)
	s_and_not1_b32 vcc_lo, exec_lo, s3
	s_cbranch_vccnz .LBB304_1561
; %bb.1554:
	v_xor_b32_e32 v11, v0, v1
	v_cls_i32_e32 v13, v1
	s_mov_b32 s3, exec_lo
	s_delay_alu instid0(VALU_DEP_2) | instskip(NEXT) | instid1(VALU_DEP_2)
	v_ashrrev_i32_e32 v11, 31, v11
	v_add_nc_u32_e32 v13, -1, v13
	s_delay_alu instid0(VALU_DEP_2) | instskip(NEXT) | instid1(VALU_DEP_1)
	v_add_nc_u32_e32 v11, 32, v11
	v_min_u32_e32 v11, v13, v11
	s_delay_alu instid0(VALU_DEP_1) | instskip(SKIP_1) | instid1(VALU_DEP_2)
	v_lshlrev_b64 v[13:14], v11, v[0:1]
	v_sub_nc_u32_e32 v11, 32, v11
	v_min_u32_e32 v13, 1, v13
	s_delay_alu instid0(VALU_DEP_1) | instskip(SKIP_1) | instid1(VALU_DEP_2)
	v_or_b32_e32 v13, v14, v13
	v_mov_b32_e32 v14, 0x80
	v_cvt_f32_i32_e32 v13, v13
	s_delay_alu instid0(VALU_DEP_1) | instskip(NEXT) | instid1(VALU_DEP_1)
	v_ldexp_f32 v11, v13, v11
	v_and_b32_e32 v13, 0x7fffffff, v11
	s_delay_alu instid0(VALU_DEP_1)
	v_cmpx_gt_u32_e32 0x43800000, v13
	s_cbranch_execz .LBB304_1560
; %bb.1555:
	v_cmp_lt_u32_e32 vcc_lo, 0x3bffffff, v13
	s_mov_b32 s6, 0
                                        ; implicit-def: $vgpr13
	s_and_saveexec_b32 s7, vcc_lo
	s_delay_alu instid0(SALU_CYCLE_1)
	s_xor_b32 s7, exec_lo, s7
	s_cbranch_execz .LBB304_2010
; %bb.1556:
	v_bfe_u32 v13, v11, 20, 1
	s_mov_b32 s6, exec_lo
	s_delay_alu instid0(VALU_DEP_1) | instskip(NEXT) | instid1(VALU_DEP_1)
	v_add3_u32 v13, v11, v13, 0x487ffff
	v_lshrrev_b32_e32 v13, 20, v13
	s_or_saveexec_b32 s7, s7
                                        ; implicit-def: $sgpr12
	s_delay_alu instid0(SALU_CYCLE_1)
	s_xor_b32 exec_lo, exec_lo, s7
	s_cbranch_execnz .LBB304_2011
.LBB304_1557:
	s_or_b32 exec_lo, exec_lo, s7
	v_mov_b32_e32 v14, s12
	s_and_saveexec_b32 s7, s6
.LBB304_1558:
	v_lshrrev_b32_e32 v11, 24, v11
	s_delay_alu instid0(VALU_DEP_1)
	v_and_or_b32 v14, 0x80, v11, v13
.LBB304_1559:
	s_or_b32 exec_lo, exec_lo, s7
.LBB304_1560:
	s_delay_alu instid0(SALU_CYCLE_1)
	s_or_b32 exec_lo, exec_lo, s3
	global_store_b8 v[8:9], v14, off
.LBB304_1561:
	s_mov_b32 s3, -1
.LBB304_1562:
	s_mov_b32 s6, 0
.LBB304_1563:
	s_delay_alu instid0(SALU_CYCLE_1)
	s_and_b32 vcc_lo, exec_lo, s6
	s_cbranch_vccz .LBB304_1603
; %bb.1564:
	v_cmp_lt_i16_e32 vcc_lo, 22, v12
	s_mov_b32 s1, -1
	s_cbranch_vccz .LBB304_1596
; %bb.1565:
	v_cmp_gt_i16_e32 vcc_lo, 24, v12
	s_cbranch_vccnz .LBB304_1585
; %bb.1566:
	v_cmp_lt_i16_e32 vcc_lo, 24, v12
	s_cbranch_vccz .LBB304_1574
; %bb.1567:
	v_xor_b32_e32 v11, v0, v1
	v_cls_i32_e32 v13, v1
	s_mov_b32 s1, exec_lo
	s_delay_alu instid0(VALU_DEP_2) | instskip(NEXT) | instid1(VALU_DEP_2)
	v_ashrrev_i32_e32 v11, 31, v11
	v_add_nc_u32_e32 v13, -1, v13
	s_delay_alu instid0(VALU_DEP_2) | instskip(NEXT) | instid1(VALU_DEP_1)
	v_add_nc_u32_e32 v11, 32, v11
	v_min_u32_e32 v11, v13, v11
	s_delay_alu instid0(VALU_DEP_1) | instskip(SKIP_1) | instid1(VALU_DEP_2)
	v_lshlrev_b64 v[13:14], v11, v[0:1]
	v_sub_nc_u32_e32 v11, 32, v11
	v_min_u32_e32 v13, 1, v13
	s_delay_alu instid0(VALU_DEP_1) | instskip(SKIP_1) | instid1(VALU_DEP_2)
	v_or_b32_e32 v13, v14, v13
	v_mov_b32_e32 v14, 0x80
	v_cvt_f32_i32_e32 v13, v13
	s_delay_alu instid0(VALU_DEP_1) | instskip(NEXT) | instid1(VALU_DEP_1)
	v_ldexp_f32 v11, v13, v11
	v_and_b32_e32 v13, 0x7fffffff, v11
	s_delay_alu instid0(VALU_DEP_1)
	v_cmpx_gt_u32_e32 0x47800000, v13
	s_cbranch_execz .LBB304_1573
; %bb.1568:
	v_cmp_lt_u32_e32 vcc_lo, 0x37ffffff, v13
	s_mov_b32 s3, 0
                                        ; implicit-def: $vgpr13
	s_and_saveexec_b32 s6, vcc_lo
	s_delay_alu instid0(SALU_CYCLE_1)
	s_xor_b32 s6, exec_lo, s6
	s_cbranch_execz .LBB304_2016
; %bb.1569:
	v_bfe_u32 v13, v11, 21, 1
	s_mov_b32 s3, exec_lo
	s_delay_alu instid0(VALU_DEP_1) | instskip(NEXT) | instid1(VALU_DEP_1)
	v_add3_u32 v13, v11, v13, 0x88fffff
	v_lshrrev_b32_e32 v13, 21, v13
	s_or_saveexec_b32 s6, s6
                                        ; implicit-def: $sgpr7
	s_delay_alu instid0(SALU_CYCLE_1)
	s_xor_b32 exec_lo, exec_lo, s6
	s_cbranch_execnz .LBB304_2017
.LBB304_1570:
	s_or_b32 exec_lo, exec_lo, s6
	v_mov_b32_e32 v14, s7
	s_and_saveexec_b32 s6, s3
.LBB304_1571:
	v_lshrrev_b32_e32 v11, 24, v11
	s_delay_alu instid0(VALU_DEP_1)
	v_and_or_b32 v14, 0x80, v11, v13
.LBB304_1572:
	s_or_b32 exec_lo, exec_lo, s6
.LBB304_1573:
	s_delay_alu instid0(SALU_CYCLE_1)
	s_or_b32 exec_lo, exec_lo, s1
	s_mov_b32 s1, 0
	global_store_b8 v[8:9], v14, off
.LBB304_1574:
	s_and_b32 vcc_lo, exec_lo, s1
	s_cbranch_vccz .LBB304_1584
; %bb.1575:
	v_xor_b32_e32 v11, v0, v1
	v_cls_i32_e32 v13, v1
	s_mov_b32 s1, exec_lo
	s_delay_alu instid0(VALU_DEP_2) | instskip(NEXT) | instid1(VALU_DEP_2)
	v_ashrrev_i32_e32 v11, 31, v11
	v_add_nc_u32_e32 v13, -1, v13
	s_delay_alu instid0(VALU_DEP_2) | instskip(NEXT) | instid1(VALU_DEP_1)
	v_add_nc_u32_e32 v11, 32, v11
	v_min_u32_e32 v11, v13, v11
	s_delay_alu instid0(VALU_DEP_1) | instskip(SKIP_1) | instid1(VALU_DEP_2)
	v_lshlrev_b64 v[13:14], v11, v[0:1]
	v_sub_nc_u32_e32 v11, 32, v11
	v_min_u32_e32 v13, 1, v13
	s_delay_alu instid0(VALU_DEP_1) | instskip(NEXT) | instid1(VALU_DEP_1)
	v_or_b32_e32 v13, v14, v13
	v_cvt_f32_i32_e32 v13, v13
	s_delay_alu instid0(VALU_DEP_1) | instskip(NEXT) | instid1(VALU_DEP_1)
	v_ldexp_f32 v11, v13, v11
                                        ; implicit-def: $vgpr13
	v_and_b32_e32 v14, 0x7fffffff, v11
	s_delay_alu instid0(VALU_DEP_1)
	v_cmpx_gt_u32_e32 0x43f00000, v14
	s_xor_b32 s1, exec_lo, s1
	s_cbranch_execz .LBB304_1581
; %bb.1576:
	s_mov_b32 s3, exec_lo
                                        ; implicit-def: $vgpr13
	v_cmpx_lt_u32_e32 0x3c7fffff, v14
	s_xor_b32 s3, exec_lo, s3
; %bb.1577:
	v_bfe_u32 v13, v11, 20, 1
	s_delay_alu instid0(VALU_DEP_1) | instskip(NEXT) | instid1(VALU_DEP_1)
	v_add3_u32 v13, v11, v13, 0x407ffff
	v_and_b32_e32 v14, 0xff00000, v13
	v_lshrrev_b32_e32 v13, 20, v13
	s_delay_alu instid0(VALU_DEP_2) | instskip(NEXT) | instid1(VALU_DEP_2)
	v_cmp_ne_u32_e32 vcc_lo, 0x7f00000, v14
	v_cndmask_b32_e32 v13, 0x7e, v13, vcc_lo
; %bb.1578:
	s_and_not1_saveexec_b32 s3, s3
; %bb.1579:
	v_add_f32_e64 v13, 0x46800000, |v11|
; %bb.1580:
	s_or_b32 exec_lo, exec_lo, s3
                                        ; implicit-def: $vgpr14
.LBB304_1581:
	s_and_not1_saveexec_b32 s1, s1
; %bb.1582:
	v_mov_b32_e32 v13, 0x7f
	v_cmp_lt_u32_e32 vcc_lo, 0x7f800000, v14
	s_delay_alu instid0(VALU_DEP_2)
	v_cndmask_b32_e32 v13, 0x7e, v13, vcc_lo
; %bb.1583:
	s_or_b32 exec_lo, exec_lo, s1
	v_lshrrev_b32_e32 v11, 24, v11
	s_delay_alu instid0(VALU_DEP_1)
	v_and_or_b32 v11, 0x80, v11, v13
	global_store_b8 v[8:9], v11, off
.LBB304_1584:
	s_mov_b32 s1, 0
.LBB304_1585:
	s_delay_alu instid0(SALU_CYCLE_1)
	s_and_not1_b32 vcc_lo, exec_lo, s1
	s_cbranch_vccnz .LBB304_1595
; %bb.1586:
	v_xor_b32_e32 v11, v0, v1
	v_cls_i32_e32 v13, v1
	s_mov_b32 s1, exec_lo
	s_delay_alu instid0(VALU_DEP_2) | instskip(NEXT) | instid1(VALU_DEP_2)
	v_ashrrev_i32_e32 v11, 31, v11
	v_add_nc_u32_e32 v13, -1, v13
	s_delay_alu instid0(VALU_DEP_2) | instskip(NEXT) | instid1(VALU_DEP_1)
	v_add_nc_u32_e32 v11, 32, v11
	v_min_u32_e32 v11, v13, v11
	s_delay_alu instid0(VALU_DEP_1) | instskip(SKIP_1) | instid1(VALU_DEP_2)
	v_lshlrev_b64 v[13:14], v11, v[0:1]
	v_sub_nc_u32_e32 v11, 32, v11
	v_min_u32_e32 v13, 1, v13
	s_delay_alu instid0(VALU_DEP_1) | instskip(NEXT) | instid1(VALU_DEP_1)
	v_or_b32_e32 v13, v14, v13
	v_cvt_f32_i32_e32 v13, v13
	s_delay_alu instid0(VALU_DEP_1) | instskip(NEXT) | instid1(VALU_DEP_1)
	v_ldexp_f32 v11, v13, v11
                                        ; implicit-def: $vgpr13
	v_and_b32_e32 v14, 0x7fffffff, v11
	s_delay_alu instid0(VALU_DEP_1)
	v_cmpx_gt_u32_e32 0x47800000, v14
	s_xor_b32 s1, exec_lo, s1
	s_cbranch_execz .LBB304_1592
; %bb.1587:
	s_mov_b32 s3, exec_lo
                                        ; implicit-def: $vgpr13
	v_cmpx_lt_u32_e32 0x387fffff, v14
	s_xor_b32 s3, exec_lo, s3
; %bb.1588:
	v_bfe_u32 v13, v11, 21, 1
	s_delay_alu instid0(VALU_DEP_1) | instskip(NEXT) | instid1(VALU_DEP_1)
	v_add3_u32 v13, v11, v13, 0x80fffff
	v_lshrrev_b32_e32 v13, 21, v13
; %bb.1589:
	s_and_not1_saveexec_b32 s3, s3
; %bb.1590:
	v_add_f32_e64 v13, 0x43000000, |v11|
; %bb.1591:
	s_or_b32 exec_lo, exec_lo, s3
                                        ; implicit-def: $vgpr14
.LBB304_1592:
	s_and_not1_saveexec_b32 s1, s1
; %bb.1593:
	v_mov_b32_e32 v13, 0x7f
	v_cmp_lt_u32_e32 vcc_lo, 0x7f800000, v14
	s_delay_alu instid0(VALU_DEP_2)
	v_cndmask_b32_e32 v13, 0x7c, v13, vcc_lo
; %bb.1594:
	s_or_b32 exec_lo, exec_lo, s1
	v_lshrrev_b32_e32 v11, 24, v11
	s_delay_alu instid0(VALU_DEP_1)
	v_and_or_b32 v11, 0x80, v11, v13
	global_store_b8 v[8:9], v11, off
.LBB304_1595:
	s_mov_b32 s1, 0
	s_mov_b32 s3, -1
.LBB304_1596:
	s_and_not1_b32 vcc_lo, exec_lo, s1
	s_mov_b32 s1, 0
	s_cbranch_vccnz .LBB304_1603
; %bb.1597:
	v_cmp_lt_i16_e32 vcc_lo, 14, v12
	s_mov_b32 s1, -1
	s_cbranch_vccz .LBB304_1601
; %bb.1598:
	v_cmp_eq_u16_e32 vcc_lo, 15, v12
	s_mov_b32 s0, -1
	s_cbranch_vccz .LBB304_1600
; %bb.1599:
	v_xor_b32_e32 v11, v0, v1
	v_cls_i32_e32 v13, v1
	s_mov_b32 s3, -1
	s_mov_b32 s0, 0
	s_delay_alu instid0(VALU_DEP_2) | instskip(NEXT) | instid1(VALU_DEP_2)
	v_ashrrev_i32_e32 v11, 31, v11
	v_add_nc_u32_e32 v13, -1, v13
	s_delay_alu instid0(VALU_DEP_2) | instskip(NEXT) | instid1(VALU_DEP_1)
	v_add_nc_u32_e32 v11, 32, v11
	v_min_u32_e32 v11, v13, v11
	s_delay_alu instid0(VALU_DEP_1) | instskip(SKIP_1) | instid1(VALU_DEP_2)
	v_lshlrev_b64 v[13:14], v11, v[0:1]
	v_sub_nc_u32_e32 v11, 32, v11
	v_min_u32_e32 v13, 1, v13
	s_delay_alu instid0(VALU_DEP_1) | instskip(NEXT) | instid1(VALU_DEP_1)
	v_or_b32_e32 v13, v14, v13
	v_cvt_f32_i32_e32 v13, v13
	s_delay_alu instid0(VALU_DEP_1) | instskip(NEXT) | instid1(VALU_DEP_1)
	v_ldexp_f32 v11, v13, v11
	v_bfe_u32 v13, v11, 16, 1
	s_delay_alu instid0(VALU_DEP_1)
	v_add3_u32 v11, v11, v13, 0x7fff
	global_store_d16_hi_b16 v[8:9], v11, off
.LBB304_1600:
	s_mov_b32 s1, 0
.LBB304_1601:
	s_delay_alu instid0(SALU_CYCLE_1)
	s_and_b32 vcc_lo, exec_lo, s1
	s_mov_b32 s1, 0
	s_cbranch_vccz .LBB304_1603
; %bb.1602:
	v_cmp_ne_u16_e64 s0, 11, v12
	s_mov_b32 s1, -1
.LBB304_1603:
	s_delay_alu instid0(VALU_DEP_1)
	s_and_b32 vcc_lo, exec_lo, s0
	s_cbranch_vccnz .LBB304_2014
; %bb.1604:
	s_and_not1_b32 vcc_lo, exec_lo, s1
	s_cbranch_vccnz .LBB304_1606
.LBB304_1605:
	v_cmp_ne_u64_e32 vcc_lo, 0, v[0:1]
	s_mov_b32 s3, -1
	v_cndmask_b32_e64 v11, 0, 1, vcc_lo
	global_store_b8 v[8:9], v11, off
.LBB304_1606:
	s_mov_b32 s0, 0
	s_branch .LBB304_1608
.LBB304_1607:
	s_mov_b32 s0, -1
	s_mov_b32 s3, 0
.LBB304_1608:
	s_and_b32 vcc_lo, exec_lo, s0
	s_cbranch_vccz .LBB304_1647
; %bb.1609:
	v_cmp_gt_i16_e32 vcc_lo, 5, v12
	s_mov_b32 s0, -1
	s_cbranch_vccnz .LBB304_1630
; %bb.1610:
	v_cmp_gt_i16_e32 vcc_lo, 8, v12
	s_cbranch_vccnz .LBB304_1620
; %bb.1611:
	v_cmp_gt_i16_e32 vcc_lo, 9, v12
	s_cbranch_vccnz .LBB304_1617
; %bb.1612:
	v_cmp_lt_i16_e32 vcc_lo, 9, v12
	s_cbranch_vccz .LBB304_1614
; %bb.1613:
	v_cvt_f64_i32_e32 v[13:14], v1
	v_cvt_f64_u32_e32 v[15:16], v0
	s_mov_b32 s0, 0
	s_delay_alu instid0(VALU_DEP_2) | instskip(NEXT) | instid1(VALU_DEP_1)
	v_ldexp_f64 v[13:14], v[13:14], 32
	v_add_f64 v[13:14], v[13:14], v[15:16]
	v_mov_b32_e32 v15, 0
	s_delay_alu instid0(VALU_DEP_1)
	v_mov_b32_e32 v16, v15
	global_store_b128 v[8:9], v[13:16], off
.LBB304_1614:
	s_and_not1_b32 vcc_lo, exec_lo, s0
	s_cbranch_vccnz .LBB304_1616
; %bb.1615:
	v_xor_b32_e32 v11, v0, v1
	v_cls_i32_e32 v13, v1
	s_delay_alu instid0(VALU_DEP_2) | instskip(NEXT) | instid1(VALU_DEP_2)
	v_ashrrev_i32_e32 v11, 31, v11
	v_add_nc_u32_e32 v13, -1, v13
	s_delay_alu instid0(VALU_DEP_2) | instskip(NEXT) | instid1(VALU_DEP_1)
	v_add_nc_u32_e32 v11, 32, v11
	v_min_u32_e32 v11, v13, v11
	s_delay_alu instid0(VALU_DEP_1) | instskip(SKIP_1) | instid1(VALU_DEP_2)
	v_lshlrev_b64 v[13:14], v11, v[0:1]
	v_sub_nc_u32_e32 v11, 32, v11
	v_min_u32_e32 v13, 1, v13
	s_delay_alu instid0(VALU_DEP_1) | instskip(SKIP_1) | instid1(VALU_DEP_2)
	v_or_b32_e32 v13, v14, v13
	v_mov_b32_e32 v14, 0
	v_cvt_f32_i32_e32 v13, v13
	s_delay_alu instid0(VALU_DEP_1)
	v_ldexp_f32 v13, v13, v11
	global_store_b64 v[8:9], v[13:14], off
.LBB304_1616:
	s_mov_b32 s0, 0
.LBB304_1617:
	s_delay_alu instid0(SALU_CYCLE_1)
	s_and_not1_b32 vcc_lo, exec_lo, s0
	s_cbranch_vccnz .LBB304_1619
; %bb.1618:
	v_xor_b32_e32 v11, v0, v1
	v_cls_i32_e32 v13, v1
	s_delay_alu instid0(VALU_DEP_2) | instskip(NEXT) | instid1(VALU_DEP_2)
	v_ashrrev_i32_e32 v11, 31, v11
	v_add_nc_u32_e32 v13, -1, v13
	s_delay_alu instid0(VALU_DEP_2) | instskip(NEXT) | instid1(VALU_DEP_1)
	v_add_nc_u32_e32 v11, 32, v11
	v_min_u32_e32 v11, v13, v11
	s_delay_alu instid0(VALU_DEP_1) | instskip(SKIP_1) | instid1(VALU_DEP_2)
	v_lshlrev_b64 v[13:14], v11, v[0:1]
	v_sub_nc_u32_e32 v11, 32, v11
	v_min_u32_e32 v13, 1, v13
	s_delay_alu instid0(VALU_DEP_1) | instskip(NEXT) | instid1(VALU_DEP_1)
	v_or_b32_e32 v13, v14, v13
	v_cvt_f32_i32_e32 v13, v13
	s_delay_alu instid0(VALU_DEP_1) | instskip(NEXT) | instid1(VALU_DEP_1)
	v_ldexp_f32 v11, v13, v11
	v_cvt_f16_f32_e32 v11, v11
	s_delay_alu instid0(VALU_DEP_1)
	v_and_b32_e32 v11, 0xffff, v11
	global_store_b32 v[8:9], v11, off
.LBB304_1619:
	s_mov_b32 s0, 0
.LBB304_1620:
	s_delay_alu instid0(SALU_CYCLE_1)
	s_and_not1_b32 vcc_lo, exec_lo, s0
	s_cbranch_vccnz .LBB304_1629
; %bb.1621:
	v_cmp_gt_i16_e32 vcc_lo, 6, v12
	s_mov_b32 s0, -1
	s_cbranch_vccnz .LBB304_1627
; %bb.1622:
	v_cmp_lt_i16_e32 vcc_lo, 6, v12
	s_cbranch_vccz .LBB304_1624
; %bb.1623:
	v_cvt_f64_i32_e32 v[13:14], v1
	v_cvt_f64_u32_e32 v[15:16], v0
	s_mov_b32 s0, 0
	s_delay_alu instid0(VALU_DEP_2) | instskip(NEXT) | instid1(VALU_DEP_1)
	v_ldexp_f64 v[13:14], v[13:14], 32
	v_add_f64 v[13:14], v[13:14], v[15:16]
	global_store_b64 v[8:9], v[13:14], off
.LBB304_1624:
	s_and_not1_b32 vcc_lo, exec_lo, s0
	s_cbranch_vccnz .LBB304_1626
; %bb.1625:
	v_xor_b32_e32 v11, v0, v1
	v_cls_i32_e32 v13, v1
	s_delay_alu instid0(VALU_DEP_2) | instskip(NEXT) | instid1(VALU_DEP_2)
	v_ashrrev_i32_e32 v11, 31, v11
	v_add_nc_u32_e32 v13, -1, v13
	s_delay_alu instid0(VALU_DEP_2) | instskip(NEXT) | instid1(VALU_DEP_1)
	v_add_nc_u32_e32 v11, 32, v11
	v_min_u32_e32 v11, v13, v11
	s_delay_alu instid0(VALU_DEP_1) | instskip(SKIP_1) | instid1(VALU_DEP_2)
	v_lshlrev_b64 v[13:14], v11, v[0:1]
	v_sub_nc_u32_e32 v11, 32, v11
	v_min_u32_e32 v13, 1, v13
	s_delay_alu instid0(VALU_DEP_1) | instskip(NEXT) | instid1(VALU_DEP_1)
	v_or_b32_e32 v13, v14, v13
	v_cvt_f32_i32_e32 v13, v13
	s_delay_alu instid0(VALU_DEP_1)
	v_ldexp_f32 v11, v13, v11
	global_store_b32 v[8:9], v11, off
.LBB304_1626:
	s_mov_b32 s0, 0
.LBB304_1627:
	s_delay_alu instid0(SALU_CYCLE_1)
	s_and_not1_b32 vcc_lo, exec_lo, s0
	s_cbranch_vccnz .LBB304_1629
; %bb.1628:
	v_xor_b32_e32 v11, v0, v1
	v_cls_i32_e32 v13, v1
	s_delay_alu instid0(VALU_DEP_2) | instskip(NEXT) | instid1(VALU_DEP_2)
	v_ashrrev_i32_e32 v11, 31, v11
	v_add_nc_u32_e32 v13, -1, v13
	s_delay_alu instid0(VALU_DEP_2) | instskip(NEXT) | instid1(VALU_DEP_1)
	v_add_nc_u32_e32 v11, 32, v11
	v_min_u32_e32 v11, v13, v11
	s_delay_alu instid0(VALU_DEP_1) | instskip(SKIP_1) | instid1(VALU_DEP_2)
	v_lshlrev_b64 v[13:14], v11, v[0:1]
	v_sub_nc_u32_e32 v11, 32, v11
	v_min_u32_e32 v13, 1, v13
	s_delay_alu instid0(VALU_DEP_1) | instskip(NEXT) | instid1(VALU_DEP_1)
	v_or_b32_e32 v13, v14, v13
	v_cvt_f32_i32_e32 v13, v13
	s_delay_alu instid0(VALU_DEP_1) | instskip(NEXT) | instid1(VALU_DEP_1)
	v_ldexp_f32 v11, v13, v11
	v_cvt_f16_f32_e32 v11, v11
	global_store_b16 v[8:9], v11, off
.LBB304_1629:
	s_mov_b32 s0, 0
.LBB304_1630:
	s_delay_alu instid0(SALU_CYCLE_1)
	s_and_not1_b32 vcc_lo, exec_lo, s0
	s_cbranch_vccnz .LBB304_1646
; %bb.1631:
	v_cmp_gt_i16_e32 vcc_lo, 2, v12
	s_mov_b32 s0, -1
	s_cbranch_vccnz .LBB304_1641
; %bb.1632:
	v_cmp_gt_i16_e32 vcc_lo, 3, v12
	s_cbranch_vccnz .LBB304_1638
; %bb.1633:
	v_cmp_lt_i16_e32 vcc_lo, 3, v12
	s_cbranch_vccz .LBB304_1635
; %bb.1634:
	s_mov_b32 s0, 0
	global_store_b64 v[8:9], v[0:1], off
.LBB304_1635:
	s_and_not1_b32 vcc_lo, exec_lo, s0
	s_cbranch_vccnz .LBB304_1637
; %bb.1636:
	global_store_b32 v[8:9], v0, off
.LBB304_1637:
	s_mov_b32 s0, 0
.LBB304_1638:
	s_delay_alu instid0(SALU_CYCLE_1)
	s_and_not1_b32 vcc_lo, exec_lo, s0
	s_cbranch_vccnz .LBB304_1640
; %bb.1639:
	global_store_b16 v[8:9], v0, off
.LBB304_1640:
	s_mov_b32 s0, 0
.LBB304_1641:
	s_delay_alu instid0(SALU_CYCLE_1)
	s_and_not1_b32 vcc_lo, exec_lo, s0
	s_cbranch_vccnz .LBB304_1646
; %bb.1642:
	v_cmp_lt_i16_e32 vcc_lo, 0, v12
	s_mov_b32 s0, -1
	s_cbranch_vccz .LBB304_1644
; %bb.1643:
	s_mov_b32 s0, 0
	global_store_b8 v[8:9], v0, off
.LBB304_1644:
	s_and_not1_b32 vcc_lo, exec_lo, s0
	s_cbranch_vccnz .LBB304_1646
; %bb.1645:
	global_store_b8 v[8:9], v0, off
.LBB304_1646:
	s_mov_b32 s3, -1
.LBB304_1647:
	s_delay_alu instid0(SALU_CYCLE_1)
	s_and_not1_b32 vcc_lo, exec_lo, s3
	s_cbranch_vccnz .LBB304_1962
; %bb.1648:
	v_cmp_lt_i64_e32 vcc_lo, s[8:9], v[2:3]
	s_lshl_b32 s2, s2, 7
	s_delay_alu instid0(SALU_CYCLE_1) | instskip(SKIP_2) | instid1(VALU_DEP_3)
	v_add_nc_u32_e32 v8, s2, v10
	v_cndmask_b32_e32 v1, s9, v3, vcc_lo
	v_cndmask_b32_e32 v0, s8, v2, vcc_lo
	v_ashrrev_i32_e32 v3, 31, v8
	v_cmp_gt_i16_e32 vcc_lo, 11, v12
	v_add_co_u32 v2, s1, s4, v8
	s_delay_alu instid0(VALU_DEP_4) | instskip(NEXT) | instid1(VALU_DEP_4)
	v_cmp_gt_i64_e64 s0, s[10:11], v[0:1]
	v_add_co_ci_u32_e64 v3, s1, s5, v3, s1
	s_delay_alu instid0(VALU_DEP_2)
	v_cndmask_b32_e64 v1, s11, v1, s0
	v_cndmask_b32_e64 v0, s10, v0, s0
	s_cbranch_vccnz .LBB304_1726
; %bb.1649:
	v_cmp_lt_i16_e32 vcc_lo, 25, v12
	s_mov_b32 s6, -1
	s_mov_b32 s1, 0
	s_mov_b32 s3, 0
	;; [unrolled: 1-line block ×3, first 2 shown]
	s_cbranch_vccz .LBB304_1682
; %bb.1650:
	v_cmp_lt_i16_e32 vcc_lo, 28, v12
	s_cbranch_vccz .LBB304_1665
; %bb.1651:
	v_cmp_lt_i16_e32 vcc_lo, 43, v12
	;; [unrolled: 3-line block ×3, first 2 shown]
	s_cbranch_vccz .LBB304_1655
; %bb.1653:
	v_cmp_eq_u16_e32 vcc_lo, 46, v12
	s_mov_b32 s0, -1
	s_mov_b32 s6, 0
	s_cbranch_vccz .LBB304_1655
; %bb.1654:
	v_xor_b32_e32 v9, v0, v1
	v_cls_i32_e32 v10, v1
	s_mov_b32 s3, -1
	s_mov_b32 s0, 0
	s_delay_alu instid0(VALU_DEP_2) | instskip(NEXT) | instid1(VALU_DEP_2)
	v_ashrrev_i32_e32 v9, 31, v9
	v_add_nc_u32_e32 v10, -1, v10
	s_delay_alu instid0(VALU_DEP_2) | instskip(NEXT) | instid1(VALU_DEP_1)
	v_add_nc_u32_e32 v9, 32, v9
	v_min_u32_e32 v11, v10, v9
	s_delay_alu instid0(VALU_DEP_1) | instskip(NEXT) | instid1(VALU_DEP_1)
	v_lshlrev_b64 v[9:10], v11, v[0:1]
	v_min_u32_e32 v9, 1, v9
	s_delay_alu instid0(VALU_DEP_1) | instskip(SKIP_1) | instid1(VALU_DEP_2)
	v_or_b32_e32 v9, v10, v9
	v_sub_nc_u32_e32 v10, 32, v11
	v_cvt_f32_i32_e32 v9, v9
	s_delay_alu instid0(VALU_DEP_1) | instskip(NEXT) | instid1(VALU_DEP_1)
	v_ldexp_f32 v9, v9, v10
	v_bfe_u32 v10, v9, 16, 1
	s_delay_alu instid0(VALU_DEP_1) | instskip(NEXT) | instid1(VALU_DEP_1)
	v_add3_u32 v9, v9, v10, 0x7fff
	v_lshrrev_b32_e32 v9, 16, v9
	global_store_b32 v[2:3], v9, off
.LBB304_1655:
	s_and_b32 vcc_lo, exec_lo, s6
	s_cbranch_vccz .LBB304_1660
; %bb.1656:
	v_cmp_eq_u16_e32 vcc_lo, 44, v12
	s_mov_b32 s0, -1
	s_cbranch_vccz .LBB304_1660
; %bb.1657:
	v_xor_b32_e32 v9, v0, v1
	v_cls_i32_e32 v10, v1
	s_mov_b32 s3, -1
	s_mov_b32 s6, exec_lo
	s_delay_alu instid0(VALU_DEP_2) | instskip(NEXT) | instid1(VALU_DEP_2)
	v_ashrrev_i32_e32 v9, 31, v9
	v_add_nc_u32_e32 v10, -1, v10
	s_delay_alu instid0(VALU_DEP_2) | instskip(NEXT) | instid1(VALU_DEP_1)
	v_add_nc_u32_e32 v9, 32, v9
	v_min_u32_e32 v11, v10, v9
	s_delay_alu instid0(VALU_DEP_1) | instskip(NEXT) | instid1(VALU_DEP_1)
	v_lshlrev_b64 v[9:10], v11, v[0:1]
	v_min_u32_e32 v9, 1, v9
	s_delay_alu instid0(VALU_DEP_1) | instskip(SKIP_1) | instid1(VALU_DEP_2)
	v_or_b32_e32 v9, v10, v9
	v_sub_nc_u32_e32 v10, 32, v11
	v_cvt_f32_i32_e32 v9, v9
	s_delay_alu instid0(VALU_DEP_1) | instskip(SKIP_1) | instid1(VALU_DEP_2)
	v_ldexp_f32 v9, v9, v10
	v_mov_b32_e32 v10, 0xff
	v_bfe_u32 v11, v9, 23, 8
	s_delay_alu instid0(VALU_DEP_1)
	v_cmpx_ne_u32_e32 0xff, v11
; %bb.1658:
	v_and_b32_e32 v10, 0x400000, v9
	v_and_or_b32 v11, 0x3fffff, v9, v11
	v_lshrrev_b32_e32 v9, 23, v9
	s_delay_alu instid0(VALU_DEP_3) | instskip(NEXT) | instid1(VALU_DEP_3)
	v_cmp_ne_u32_e32 vcc_lo, 0, v10
	v_cmp_ne_u32_e64 s0, 0, v11
	s_delay_alu instid0(VALU_DEP_1) | instskip(NEXT) | instid1(SALU_CYCLE_1)
	s_and_b32 s0, vcc_lo, s0
	v_cndmask_b32_e64 v10, 0, 1, s0
	s_delay_alu instid0(VALU_DEP_1)
	v_add_nc_u32_e32 v10, v9, v10
; %bb.1659:
	s_or_b32 exec_lo, exec_lo, s6
	s_mov_b32 s0, 0
	global_store_b8 v[2:3], v10, off
.LBB304_1660:
	s_mov_b32 s6, 0
.LBB304_1661:
	s_delay_alu instid0(SALU_CYCLE_1)
	s_and_b32 vcc_lo, exec_lo, s6
	s_cbranch_vccz .LBB304_1664
; %bb.1662:
	v_cmp_eq_u16_e32 vcc_lo, 29, v12
	s_mov_b32 s0, -1
	s_cbranch_vccz .LBB304_1664
; %bb.1663:
	s_mov_b32 s0, 0
	s_mov_b32 s3, -1
	global_store_b64 v[2:3], v[0:1], off
.LBB304_1664:
	s_mov_b32 s6, 0
.LBB304_1665:
	s_delay_alu instid0(SALU_CYCLE_1)
	s_and_b32 vcc_lo, exec_lo, s6
	s_cbranch_vccz .LBB304_1681
; %bb.1666:
	v_cmp_gt_i16_e32 vcc_lo, 27, v12
	s_mov_b32 s3, -1
	s_cbranch_vccnz .LBB304_1672
; %bb.1667:
	v_cmp_lt_i16_e32 vcc_lo, 27, v12
	s_cbranch_vccz .LBB304_1669
; %bb.1668:
	s_mov_b32 s3, 0
	global_store_b32 v[2:3], v0, off
.LBB304_1669:
	s_and_not1_b32 vcc_lo, exec_lo, s3
	s_cbranch_vccnz .LBB304_1671
; %bb.1670:
	global_store_b16 v[2:3], v0, off
.LBB304_1671:
	s_mov_b32 s3, 0
.LBB304_1672:
	s_delay_alu instid0(SALU_CYCLE_1)
	s_and_not1_b32 vcc_lo, exec_lo, s3
	s_cbranch_vccnz .LBB304_1680
; %bb.1673:
	v_xor_b32_e32 v9, v0, v1
	v_cls_i32_e32 v10, v1
	s_mov_b32 s3, exec_lo
	s_delay_alu instid0(VALU_DEP_2) | instskip(NEXT) | instid1(VALU_DEP_2)
	v_ashrrev_i32_e32 v9, 31, v9
	v_add_nc_u32_e32 v10, -1, v10
	s_delay_alu instid0(VALU_DEP_2) | instskip(NEXT) | instid1(VALU_DEP_1)
	v_add_nc_u32_e32 v9, 32, v9
	v_min_u32_e32 v11, v10, v9
	s_delay_alu instid0(VALU_DEP_1) | instskip(NEXT) | instid1(VALU_DEP_1)
	v_lshlrev_b64 v[9:10], v11, v[0:1]
	v_min_u32_e32 v9, 1, v9
	s_delay_alu instid0(VALU_DEP_1) | instskip(SKIP_2) | instid1(VALU_DEP_3)
	v_or_b32_e32 v9, v10, v9
	v_sub_nc_u32_e32 v10, 32, v11
	v_mov_b32_e32 v11, 0x80
	v_cvt_f32_i32_e32 v9, v9
	s_delay_alu instid0(VALU_DEP_1) | instskip(NEXT) | instid1(VALU_DEP_1)
	v_ldexp_f32 v9, v9, v10
	v_and_b32_e32 v10, 0x7fffffff, v9
	s_delay_alu instid0(VALU_DEP_1)
	v_cmpx_gt_u32_e32 0x43800000, v10
	s_cbranch_execz .LBB304_1679
; %bb.1674:
	v_cmp_lt_u32_e32 vcc_lo, 0x3bffffff, v10
	s_mov_b32 s6, 0
                                        ; implicit-def: $vgpr10
	s_and_saveexec_b32 s7, vcc_lo
	s_delay_alu instid0(SALU_CYCLE_1)
	s_xor_b32 s7, exec_lo, s7
	s_cbranch_execz .LBB304_2018
; %bb.1675:
	v_bfe_u32 v10, v9, 20, 1
	s_mov_b32 s6, exec_lo
	s_delay_alu instid0(VALU_DEP_1) | instskip(NEXT) | instid1(VALU_DEP_1)
	v_add3_u32 v10, v9, v10, 0x487ffff
	v_lshrrev_b32_e32 v10, 20, v10
	s_or_saveexec_b32 s7, s7
                                        ; implicit-def: $sgpr12
	s_delay_alu instid0(SALU_CYCLE_1)
	s_xor_b32 exec_lo, exec_lo, s7
	s_cbranch_execnz .LBB304_2019
.LBB304_1676:
	s_or_b32 exec_lo, exec_lo, s7
	v_mov_b32_e32 v11, s12
	s_and_saveexec_b32 s7, s6
.LBB304_1677:
	v_lshrrev_b32_e32 v9, 24, v9
	s_delay_alu instid0(VALU_DEP_1)
	v_and_or_b32 v11, 0x80, v9, v10
.LBB304_1678:
	s_or_b32 exec_lo, exec_lo, s7
.LBB304_1679:
	s_delay_alu instid0(SALU_CYCLE_1)
	s_or_b32 exec_lo, exec_lo, s3
	global_store_b8 v[2:3], v11, off
.LBB304_1680:
	s_mov_b32 s3, -1
.LBB304_1681:
	s_mov_b32 s6, 0
.LBB304_1682:
	s_delay_alu instid0(SALU_CYCLE_1)
	s_and_b32 vcc_lo, exec_lo, s6
	s_cbranch_vccz .LBB304_1722
; %bb.1683:
	v_cmp_lt_i16_e32 vcc_lo, 22, v12
	s_mov_b32 s1, -1
	s_cbranch_vccz .LBB304_1715
; %bb.1684:
	v_cmp_gt_i16_e32 vcc_lo, 24, v12
	s_cbranch_vccnz .LBB304_1704
; %bb.1685:
	v_cmp_lt_i16_e32 vcc_lo, 24, v12
	s_cbranch_vccz .LBB304_1693
; %bb.1686:
	v_xor_b32_e32 v9, v0, v1
	v_cls_i32_e32 v10, v1
	s_mov_b32 s1, exec_lo
	s_delay_alu instid0(VALU_DEP_2) | instskip(NEXT) | instid1(VALU_DEP_2)
	v_ashrrev_i32_e32 v9, 31, v9
	v_add_nc_u32_e32 v10, -1, v10
	s_delay_alu instid0(VALU_DEP_2) | instskip(NEXT) | instid1(VALU_DEP_1)
	v_add_nc_u32_e32 v9, 32, v9
	v_min_u32_e32 v11, v10, v9
	s_delay_alu instid0(VALU_DEP_1) | instskip(NEXT) | instid1(VALU_DEP_1)
	v_lshlrev_b64 v[9:10], v11, v[0:1]
	v_min_u32_e32 v9, 1, v9
	s_delay_alu instid0(VALU_DEP_1) | instskip(SKIP_2) | instid1(VALU_DEP_3)
	v_or_b32_e32 v9, v10, v9
	v_sub_nc_u32_e32 v10, 32, v11
	v_mov_b32_e32 v11, 0x80
	v_cvt_f32_i32_e32 v9, v9
	s_delay_alu instid0(VALU_DEP_1) | instskip(NEXT) | instid1(VALU_DEP_1)
	v_ldexp_f32 v9, v9, v10
	v_and_b32_e32 v10, 0x7fffffff, v9
	s_delay_alu instid0(VALU_DEP_1)
	v_cmpx_gt_u32_e32 0x47800000, v10
	s_cbranch_execz .LBB304_1692
; %bb.1687:
	v_cmp_lt_u32_e32 vcc_lo, 0x37ffffff, v10
	s_mov_b32 s3, 0
                                        ; implicit-def: $vgpr10
	s_and_saveexec_b32 s6, vcc_lo
	s_delay_alu instid0(SALU_CYCLE_1)
	s_xor_b32 s6, exec_lo, s6
	s_cbranch_execz .LBB304_2024
; %bb.1688:
	v_bfe_u32 v10, v9, 21, 1
	s_mov_b32 s3, exec_lo
	s_delay_alu instid0(VALU_DEP_1) | instskip(NEXT) | instid1(VALU_DEP_1)
	v_add3_u32 v10, v9, v10, 0x88fffff
	v_lshrrev_b32_e32 v10, 21, v10
	s_or_saveexec_b32 s6, s6
                                        ; implicit-def: $sgpr7
	s_delay_alu instid0(SALU_CYCLE_1)
	s_xor_b32 exec_lo, exec_lo, s6
	s_cbranch_execnz .LBB304_2025
.LBB304_1689:
	s_or_b32 exec_lo, exec_lo, s6
	v_mov_b32_e32 v11, s7
	s_and_saveexec_b32 s6, s3
.LBB304_1690:
	v_lshrrev_b32_e32 v9, 24, v9
	s_delay_alu instid0(VALU_DEP_1)
	v_and_or_b32 v11, 0x80, v9, v10
.LBB304_1691:
	s_or_b32 exec_lo, exec_lo, s6
.LBB304_1692:
	s_delay_alu instid0(SALU_CYCLE_1)
	s_or_b32 exec_lo, exec_lo, s1
	s_mov_b32 s1, 0
	global_store_b8 v[2:3], v11, off
.LBB304_1693:
	s_and_b32 vcc_lo, exec_lo, s1
	s_cbranch_vccz .LBB304_1703
; %bb.1694:
	v_xor_b32_e32 v9, v0, v1
	v_cls_i32_e32 v10, v1
	s_mov_b32 s1, exec_lo
	s_delay_alu instid0(VALU_DEP_2) | instskip(NEXT) | instid1(VALU_DEP_2)
	v_ashrrev_i32_e32 v9, 31, v9
	v_add_nc_u32_e32 v10, -1, v10
	s_delay_alu instid0(VALU_DEP_2) | instskip(NEXT) | instid1(VALU_DEP_1)
	v_add_nc_u32_e32 v9, 32, v9
	v_min_u32_e32 v11, v10, v9
	s_delay_alu instid0(VALU_DEP_1) | instskip(NEXT) | instid1(VALU_DEP_1)
	v_lshlrev_b64 v[9:10], v11, v[0:1]
	v_min_u32_e32 v9, 1, v9
	s_delay_alu instid0(VALU_DEP_1) | instskip(SKIP_1) | instid1(VALU_DEP_2)
	v_or_b32_e32 v9, v10, v9
	v_sub_nc_u32_e32 v10, 32, v11
	v_cvt_f32_i32_e32 v9, v9
	s_delay_alu instid0(VALU_DEP_1) | instskip(NEXT) | instid1(VALU_DEP_1)
	v_ldexp_f32 v9, v9, v10
                                        ; implicit-def: $vgpr10
	v_and_b32_e32 v11, 0x7fffffff, v9
	s_delay_alu instid0(VALU_DEP_1)
	v_cmpx_gt_u32_e32 0x43f00000, v11
	s_xor_b32 s1, exec_lo, s1
	s_cbranch_execz .LBB304_1700
; %bb.1695:
	s_mov_b32 s3, exec_lo
                                        ; implicit-def: $vgpr10
	v_cmpx_lt_u32_e32 0x3c7fffff, v11
	s_xor_b32 s3, exec_lo, s3
; %bb.1696:
	v_bfe_u32 v10, v9, 20, 1
	s_delay_alu instid0(VALU_DEP_1) | instskip(NEXT) | instid1(VALU_DEP_1)
	v_add3_u32 v10, v9, v10, 0x407ffff
	v_and_b32_e32 v11, 0xff00000, v10
	v_lshrrev_b32_e32 v10, 20, v10
	s_delay_alu instid0(VALU_DEP_2) | instskip(NEXT) | instid1(VALU_DEP_2)
	v_cmp_ne_u32_e32 vcc_lo, 0x7f00000, v11
	v_cndmask_b32_e32 v10, 0x7e, v10, vcc_lo
; %bb.1697:
	s_and_not1_saveexec_b32 s3, s3
; %bb.1698:
	v_add_f32_e64 v10, 0x46800000, |v9|
; %bb.1699:
	s_or_b32 exec_lo, exec_lo, s3
                                        ; implicit-def: $vgpr11
.LBB304_1700:
	s_and_not1_saveexec_b32 s1, s1
; %bb.1701:
	v_mov_b32_e32 v10, 0x7f
	v_cmp_lt_u32_e32 vcc_lo, 0x7f800000, v11
	s_delay_alu instid0(VALU_DEP_2)
	v_cndmask_b32_e32 v10, 0x7e, v10, vcc_lo
; %bb.1702:
	s_or_b32 exec_lo, exec_lo, s1
	v_lshrrev_b32_e32 v9, 24, v9
	s_delay_alu instid0(VALU_DEP_1)
	v_and_or_b32 v9, 0x80, v9, v10
	global_store_b8 v[2:3], v9, off
.LBB304_1703:
	s_mov_b32 s1, 0
.LBB304_1704:
	s_delay_alu instid0(SALU_CYCLE_1)
	s_and_not1_b32 vcc_lo, exec_lo, s1
	s_cbranch_vccnz .LBB304_1714
; %bb.1705:
	v_xor_b32_e32 v9, v0, v1
	v_cls_i32_e32 v10, v1
	s_mov_b32 s1, exec_lo
	s_delay_alu instid0(VALU_DEP_2) | instskip(NEXT) | instid1(VALU_DEP_2)
	v_ashrrev_i32_e32 v9, 31, v9
	v_add_nc_u32_e32 v10, -1, v10
	s_delay_alu instid0(VALU_DEP_2) | instskip(NEXT) | instid1(VALU_DEP_1)
	v_add_nc_u32_e32 v9, 32, v9
	v_min_u32_e32 v11, v10, v9
	s_delay_alu instid0(VALU_DEP_1) | instskip(NEXT) | instid1(VALU_DEP_1)
	v_lshlrev_b64 v[9:10], v11, v[0:1]
	v_min_u32_e32 v9, 1, v9
	s_delay_alu instid0(VALU_DEP_1) | instskip(SKIP_1) | instid1(VALU_DEP_2)
	v_or_b32_e32 v9, v10, v9
	v_sub_nc_u32_e32 v10, 32, v11
	v_cvt_f32_i32_e32 v9, v9
	s_delay_alu instid0(VALU_DEP_1) | instskip(NEXT) | instid1(VALU_DEP_1)
	v_ldexp_f32 v9, v9, v10
                                        ; implicit-def: $vgpr10
	v_and_b32_e32 v11, 0x7fffffff, v9
	s_delay_alu instid0(VALU_DEP_1)
	v_cmpx_gt_u32_e32 0x47800000, v11
	s_xor_b32 s1, exec_lo, s1
	s_cbranch_execz .LBB304_1711
; %bb.1706:
	s_mov_b32 s3, exec_lo
                                        ; implicit-def: $vgpr10
	v_cmpx_lt_u32_e32 0x387fffff, v11
	s_xor_b32 s3, exec_lo, s3
; %bb.1707:
	v_bfe_u32 v10, v9, 21, 1
	s_delay_alu instid0(VALU_DEP_1) | instskip(NEXT) | instid1(VALU_DEP_1)
	v_add3_u32 v10, v9, v10, 0x80fffff
	v_lshrrev_b32_e32 v10, 21, v10
; %bb.1708:
	s_and_not1_saveexec_b32 s3, s3
; %bb.1709:
	v_add_f32_e64 v10, 0x43000000, |v9|
; %bb.1710:
	s_or_b32 exec_lo, exec_lo, s3
                                        ; implicit-def: $vgpr11
.LBB304_1711:
	s_and_not1_saveexec_b32 s1, s1
; %bb.1712:
	v_mov_b32_e32 v10, 0x7f
	v_cmp_lt_u32_e32 vcc_lo, 0x7f800000, v11
	s_delay_alu instid0(VALU_DEP_2)
	v_cndmask_b32_e32 v10, 0x7c, v10, vcc_lo
; %bb.1713:
	s_or_b32 exec_lo, exec_lo, s1
	v_lshrrev_b32_e32 v9, 24, v9
	s_delay_alu instid0(VALU_DEP_1)
	v_and_or_b32 v9, 0x80, v9, v10
	global_store_b8 v[2:3], v9, off
.LBB304_1714:
	s_mov_b32 s1, 0
	s_mov_b32 s3, -1
.LBB304_1715:
	s_and_not1_b32 vcc_lo, exec_lo, s1
	s_mov_b32 s1, 0
	s_cbranch_vccnz .LBB304_1722
; %bb.1716:
	v_cmp_lt_i16_e32 vcc_lo, 14, v12
	s_mov_b32 s1, -1
	s_cbranch_vccz .LBB304_1720
; %bb.1717:
	v_cmp_eq_u16_e32 vcc_lo, 15, v12
	s_mov_b32 s0, -1
	s_cbranch_vccz .LBB304_1719
; %bb.1718:
	v_xor_b32_e32 v9, v0, v1
	v_cls_i32_e32 v10, v1
	s_mov_b32 s3, -1
	s_mov_b32 s0, 0
	s_delay_alu instid0(VALU_DEP_2) | instskip(NEXT) | instid1(VALU_DEP_2)
	v_ashrrev_i32_e32 v9, 31, v9
	v_add_nc_u32_e32 v10, -1, v10
	s_delay_alu instid0(VALU_DEP_2) | instskip(NEXT) | instid1(VALU_DEP_1)
	v_add_nc_u32_e32 v9, 32, v9
	v_min_u32_e32 v11, v10, v9
	s_delay_alu instid0(VALU_DEP_1) | instskip(NEXT) | instid1(VALU_DEP_1)
	v_lshlrev_b64 v[9:10], v11, v[0:1]
	v_min_u32_e32 v9, 1, v9
	s_delay_alu instid0(VALU_DEP_1) | instskip(SKIP_1) | instid1(VALU_DEP_2)
	v_or_b32_e32 v9, v10, v9
	v_sub_nc_u32_e32 v10, 32, v11
	v_cvt_f32_i32_e32 v9, v9
	s_delay_alu instid0(VALU_DEP_1) | instskip(NEXT) | instid1(VALU_DEP_1)
	v_ldexp_f32 v9, v9, v10
	v_bfe_u32 v10, v9, 16, 1
	s_delay_alu instid0(VALU_DEP_1)
	v_add3_u32 v9, v9, v10, 0x7fff
	global_store_d16_hi_b16 v[2:3], v9, off
.LBB304_1719:
	s_mov_b32 s1, 0
.LBB304_1720:
	s_delay_alu instid0(SALU_CYCLE_1)
	s_and_b32 vcc_lo, exec_lo, s1
	s_mov_b32 s1, 0
	s_cbranch_vccz .LBB304_1722
; %bb.1721:
	v_cmp_ne_u16_e64 s0, 11, v12
	s_mov_b32 s1, -1
.LBB304_1722:
	s_delay_alu instid0(VALU_DEP_1)
	s_and_b32 vcc_lo, exec_lo, s0
	s_cbranch_vccnz .LBB304_2022
; %bb.1723:
	s_and_not1_b32 vcc_lo, exec_lo, s1
	s_cbranch_vccnz .LBB304_1725
.LBB304_1724:
	v_cmp_ne_u64_e32 vcc_lo, 0, v[0:1]
	s_mov_b32 s3, -1
	v_cndmask_b32_e64 v9, 0, 1, vcc_lo
	global_store_b8 v[2:3], v9, off
.LBB304_1725:
	s_mov_b32 s0, 0
	s_branch .LBB304_1727
.LBB304_1726:
	s_mov_b32 s0, -1
	s_mov_b32 s3, 0
.LBB304_1727:
	s_and_b32 vcc_lo, exec_lo, s0
	s_cbranch_vccz .LBB304_1766
; %bb.1728:
	v_cmp_gt_i16_e32 vcc_lo, 5, v12
	s_mov_b32 s0, -1
	s_cbranch_vccnz .LBB304_1749
; %bb.1729:
	v_cmp_gt_i16_e32 vcc_lo, 8, v12
	s_cbranch_vccnz .LBB304_1739
; %bb.1730:
	v_cmp_gt_i16_e32 vcc_lo, 9, v12
	s_cbranch_vccnz .LBB304_1736
; %bb.1731:
	v_cmp_lt_i16_e32 vcc_lo, 9, v12
	s_cbranch_vccz .LBB304_1733
; %bb.1732:
	v_cvt_f64_i32_e32 v[9:10], v1
	v_cvt_f64_u32_e32 v[13:14], v0
	v_mov_b32_e32 v15, 0
	s_mov_b32 s0, 0
	s_delay_alu instid0(VALU_DEP_1) | instskip(NEXT) | instid1(VALU_DEP_4)
	v_mov_b32_e32 v16, v15
	v_ldexp_f64 v[9:10], v[9:10], 32
	s_delay_alu instid0(VALU_DEP_1)
	v_add_f64 v[13:14], v[9:10], v[13:14]
	global_store_b128 v[2:3], v[13:16], off
.LBB304_1733:
	s_and_not1_b32 vcc_lo, exec_lo, s0
	s_cbranch_vccnz .LBB304_1735
; %bb.1734:
	v_xor_b32_e32 v9, v0, v1
	v_cls_i32_e32 v10, v1
	s_delay_alu instid0(VALU_DEP_2) | instskip(NEXT) | instid1(VALU_DEP_2)
	v_ashrrev_i32_e32 v9, 31, v9
	v_add_nc_u32_e32 v10, -1, v10
	s_delay_alu instid0(VALU_DEP_2) | instskip(NEXT) | instid1(VALU_DEP_1)
	v_add_nc_u32_e32 v9, 32, v9
	v_min_u32_e32 v11, v10, v9
	s_delay_alu instid0(VALU_DEP_1) | instskip(NEXT) | instid1(VALU_DEP_1)
	v_lshlrev_b64 v[9:10], v11, v[0:1]
	v_min_u32_e32 v9, 1, v9
	s_delay_alu instid0(VALU_DEP_1) | instskip(SKIP_1) | instid1(VALU_DEP_2)
	v_or_b32_e32 v9, v10, v9
	v_sub_nc_u32_e32 v10, 32, v11
	v_cvt_f32_i32_e32 v9, v9
	s_delay_alu instid0(VALU_DEP_1)
	v_ldexp_f32 v9, v9, v10
	v_mov_b32_e32 v10, 0
	global_store_b64 v[2:3], v[9:10], off
.LBB304_1735:
	s_mov_b32 s0, 0
.LBB304_1736:
	s_delay_alu instid0(SALU_CYCLE_1)
	s_and_not1_b32 vcc_lo, exec_lo, s0
	s_cbranch_vccnz .LBB304_1738
; %bb.1737:
	v_xor_b32_e32 v9, v0, v1
	v_cls_i32_e32 v10, v1
	s_delay_alu instid0(VALU_DEP_2) | instskip(NEXT) | instid1(VALU_DEP_2)
	v_ashrrev_i32_e32 v9, 31, v9
	v_add_nc_u32_e32 v10, -1, v10
	s_delay_alu instid0(VALU_DEP_2) | instskip(NEXT) | instid1(VALU_DEP_1)
	v_add_nc_u32_e32 v9, 32, v9
	v_min_u32_e32 v11, v10, v9
	s_delay_alu instid0(VALU_DEP_1) | instskip(NEXT) | instid1(VALU_DEP_1)
	v_lshlrev_b64 v[9:10], v11, v[0:1]
	v_min_u32_e32 v9, 1, v9
	s_delay_alu instid0(VALU_DEP_1) | instskip(SKIP_1) | instid1(VALU_DEP_2)
	v_or_b32_e32 v9, v10, v9
	v_sub_nc_u32_e32 v10, 32, v11
	v_cvt_f32_i32_e32 v9, v9
	s_delay_alu instid0(VALU_DEP_1) | instskip(NEXT) | instid1(VALU_DEP_1)
	v_ldexp_f32 v9, v9, v10
	v_cvt_f16_f32_e32 v9, v9
	s_delay_alu instid0(VALU_DEP_1)
	v_and_b32_e32 v9, 0xffff, v9
	global_store_b32 v[2:3], v9, off
.LBB304_1738:
	s_mov_b32 s0, 0
.LBB304_1739:
	s_delay_alu instid0(SALU_CYCLE_1)
	s_and_not1_b32 vcc_lo, exec_lo, s0
	s_cbranch_vccnz .LBB304_1748
; %bb.1740:
	v_cmp_gt_i16_e32 vcc_lo, 6, v12
	s_mov_b32 s0, -1
	s_cbranch_vccnz .LBB304_1746
; %bb.1741:
	v_cmp_lt_i16_e32 vcc_lo, 6, v12
	s_cbranch_vccz .LBB304_1743
; %bb.1742:
	v_cvt_f64_i32_e32 v[9:10], v1
	v_cvt_f64_u32_e32 v[13:14], v0
	s_mov_b32 s0, 0
	s_delay_alu instid0(VALU_DEP_2) | instskip(NEXT) | instid1(VALU_DEP_1)
	v_ldexp_f64 v[9:10], v[9:10], 32
	v_add_f64 v[9:10], v[9:10], v[13:14]
	global_store_b64 v[2:3], v[9:10], off
.LBB304_1743:
	s_and_not1_b32 vcc_lo, exec_lo, s0
	s_cbranch_vccnz .LBB304_1745
; %bb.1744:
	v_xor_b32_e32 v9, v0, v1
	v_cls_i32_e32 v10, v1
	s_delay_alu instid0(VALU_DEP_2) | instskip(NEXT) | instid1(VALU_DEP_2)
	v_ashrrev_i32_e32 v9, 31, v9
	v_add_nc_u32_e32 v10, -1, v10
	s_delay_alu instid0(VALU_DEP_2) | instskip(NEXT) | instid1(VALU_DEP_1)
	v_add_nc_u32_e32 v9, 32, v9
	v_min_u32_e32 v11, v10, v9
	s_delay_alu instid0(VALU_DEP_1) | instskip(NEXT) | instid1(VALU_DEP_1)
	v_lshlrev_b64 v[9:10], v11, v[0:1]
	v_min_u32_e32 v9, 1, v9
	s_delay_alu instid0(VALU_DEP_1) | instskip(SKIP_1) | instid1(VALU_DEP_2)
	v_or_b32_e32 v9, v10, v9
	v_sub_nc_u32_e32 v10, 32, v11
	v_cvt_f32_i32_e32 v9, v9
	s_delay_alu instid0(VALU_DEP_1)
	v_ldexp_f32 v9, v9, v10
	global_store_b32 v[2:3], v9, off
.LBB304_1745:
	s_mov_b32 s0, 0
.LBB304_1746:
	s_delay_alu instid0(SALU_CYCLE_1)
	s_and_not1_b32 vcc_lo, exec_lo, s0
	s_cbranch_vccnz .LBB304_1748
; %bb.1747:
	v_xor_b32_e32 v9, v0, v1
	v_cls_i32_e32 v10, v1
	s_delay_alu instid0(VALU_DEP_2) | instskip(NEXT) | instid1(VALU_DEP_2)
	v_ashrrev_i32_e32 v9, 31, v9
	v_add_nc_u32_e32 v10, -1, v10
	s_delay_alu instid0(VALU_DEP_2) | instskip(NEXT) | instid1(VALU_DEP_1)
	v_add_nc_u32_e32 v9, 32, v9
	v_min_u32_e32 v11, v10, v9
	s_delay_alu instid0(VALU_DEP_1) | instskip(NEXT) | instid1(VALU_DEP_1)
	v_lshlrev_b64 v[9:10], v11, v[0:1]
	v_min_u32_e32 v9, 1, v9
	s_delay_alu instid0(VALU_DEP_1) | instskip(SKIP_1) | instid1(VALU_DEP_2)
	v_or_b32_e32 v9, v10, v9
	v_sub_nc_u32_e32 v10, 32, v11
	v_cvt_f32_i32_e32 v9, v9
	s_delay_alu instid0(VALU_DEP_1) | instskip(NEXT) | instid1(VALU_DEP_1)
	v_ldexp_f32 v9, v9, v10
	v_cvt_f16_f32_e32 v9, v9
	global_store_b16 v[2:3], v9, off
.LBB304_1748:
	s_mov_b32 s0, 0
.LBB304_1749:
	s_delay_alu instid0(SALU_CYCLE_1)
	s_and_not1_b32 vcc_lo, exec_lo, s0
	s_cbranch_vccnz .LBB304_1765
; %bb.1750:
	v_cmp_gt_i16_e32 vcc_lo, 2, v12
	s_mov_b32 s0, -1
	s_cbranch_vccnz .LBB304_1760
; %bb.1751:
	v_cmp_gt_i16_e32 vcc_lo, 3, v12
	s_cbranch_vccnz .LBB304_1757
; %bb.1752:
	v_cmp_lt_i16_e32 vcc_lo, 3, v12
	s_cbranch_vccz .LBB304_1754
; %bb.1753:
	s_mov_b32 s0, 0
	global_store_b64 v[2:3], v[0:1], off
.LBB304_1754:
	s_and_not1_b32 vcc_lo, exec_lo, s0
	s_cbranch_vccnz .LBB304_1756
; %bb.1755:
	global_store_b32 v[2:3], v0, off
.LBB304_1756:
	s_mov_b32 s0, 0
.LBB304_1757:
	s_delay_alu instid0(SALU_CYCLE_1)
	s_and_not1_b32 vcc_lo, exec_lo, s0
	s_cbranch_vccnz .LBB304_1759
; %bb.1758:
	global_store_b16 v[2:3], v0, off
.LBB304_1759:
	s_mov_b32 s0, 0
.LBB304_1760:
	s_delay_alu instid0(SALU_CYCLE_1)
	s_and_not1_b32 vcc_lo, exec_lo, s0
	s_cbranch_vccnz .LBB304_1765
; %bb.1761:
	v_cmp_lt_i16_e32 vcc_lo, 0, v12
	s_mov_b32 s0, -1
	s_cbranch_vccz .LBB304_1763
; %bb.1762:
	s_mov_b32 s0, 0
	global_store_b8 v[2:3], v0, off
.LBB304_1763:
	s_and_not1_b32 vcc_lo, exec_lo, s0
	s_cbranch_vccnz .LBB304_1765
; %bb.1764:
	global_store_b8 v[2:3], v0, off
.LBB304_1765:
	s_mov_b32 s3, -1
.LBB304_1766:
	s_delay_alu instid0(SALU_CYCLE_1)
	s_and_not1_b32 vcc_lo, exec_lo, s3
	s_cbranch_vccnz .LBB304_1962
; %bb.1767:
	v_cmp_lt_i64_e32 vcc_lo, s[8:9], v[4:5]
	v_cndmask_b32_e32 v3, s9, v5, vcc_lo
	v_cndmask_b32_e32 v2, s8, v4, vcc_lo
	v_add_nc_u32_e32 v5, s2, v8
	v_cmp_gt_i16_e32 vcc_lo, 11, v12
	s_delay_alu instid0(VALU_DEP_3) | instskip(NEXT) | instid1(VALU_DEP_3)
	v_cmp_gt_i64_e64 s0, s[10:11], v[2:3]
	v_ashrrev_i32_e32 v1, 31, v5
	v_add_co_u32 v0, s1, s4, v5
	s_delay_alu instid0(VALU_DEP_1) | instskip(NEXT) | instid1(VALU_DEP_4)
	v_add_co_ci_u32_e64 v1, s1, s5, v1, s1
	v_cndmask_b32_e64 v3, s11, v3, s0
	v_cndmask_b32_e64 v2, s10, v2, s0
	s_cbranch_vccnz .LBB304_1845
; %bb.1768:
	v_cmp_lt_i16_e32 vcc_lo, 25, v12
	s_mov_b32 s6, -1
	s_mov_b32 s1, 0
	s_mov_b32 s3, 0
	;; [unrolled: 1-line block ×3, first 2 shown]
	s_cbranch_vccz .LBB304_1801
; %bb.1769:
	v_cmp_lt_i16_e32 vcc_lo, 28, v12
	s_cbranch_vccz .LBB304_1784
; %bb.1770:
	v_cmp_lt_i16_e32 vcc_lo, 43, v12
	;; [unrolled: 3-line block ×3, first 2 shown]
	s_cbranch_vccz .LBB304_1774
; %bb.1772:
	v_cmp_eq_u16_e32 vcc_lo, 46, v12
	s_mov_b32 s0, -1
	s_mov_b32 s6, 0
	s_cbranch_vccz .LBB304_1774
; %bb.1773:
	v_xor_b32_e32 v4, v2, v3
	v_cls_i32_e32 v8, v3
	s_mov_b32 s3, -1
	s_mov_b32 s0, 0
	s_delay_alu instid0(VALU_DEP_2) | instskip(NEXT) | instid1(VALU_DEP_2)
	v_ashrrev_i32_e32 v4, 31, v4
	v_add_nc_u32_e32 v8, -1, v8
	s_delay_alu instid0(VALU_DEP_2) | instskip(NEXT) | instid1(VALU_DEP_1)
	v_add_nc_u32_e32 v4, 32, v4
	v_min_u32_e32 v4, v8, v4
	s_delay_alu instid0(VALU_DEP_1) | instskip(SKIP_1) | instid1(VALU_DEP_2)
	v_lshlrev_b64 v[8:9], v4, v[2:3]
	v_sub_nc_u32_e32 v4, 32, v4
	v_min_u32_e32 v8, 1, v8
	s_delay_alu instid0(VALU_DEP_1) | instskip(NEXT) | instid1(VALU_DEP_1)
	v_or_b32_e32 v8, v9, v8
	v_cvt_f32_i32_e32 v8, v8
	s_delay_alu instid0(VALU_DEP_1) | instskip(NEXT) | instid1(VALU_DEP_1)
	v_ldexp_f32 v4, v8, v4
	v_bfe_u32 v8, v4, 16, 1
	s_delay_alu instid0(VALU_DEP_1) | instskip(NEXT) | instid1(VALU_DEP_1)
	v_add3_u32 v4, v4, v8, 0x7fff
	v_lshrrev_b32_e32 v4, 16, v4
	global_store_b32 v[0:1], v4, off
.LBB304_1774:
	s_and_b32 vcc_lo, exec_lo, s6
	s_cbranch_vccz .LBB304_1779
; %bb.1775:
	v_cmp_eq_u16_e32 vcc_lo, 44, v12
	s_mov_b32 s0, -1
	s_cbranch_vccz .LBB304_1779
; %bb.1776:
	v_xor_b32_e32 v4, v2, v3
	v_cls_i32_e32 v8, v3
	s_mov_b32 s3, -1
	s_mov_b32 s6, exec_lo
	s_delay_alu instid0(VALU_DEP_2) | instskip(NEXT) | instid1(VALU_DEP_2)
	v_ashrrev_i32_e32 v4, 31, v4
	v_add_nc_u32_e32 v8, -1, v8
	s_delay_alu instid0(VALU_DEP_2) | instskip(NEXT) | instid1(VALU_DEP_1)
	v_add_nc_u32_e32 v4, 32, v4
	v_min_u32_e32 v4, v8, v4
	s_delay_alu instid0(VALU_DEP_1) | instskip(SKIP_1) | instid1(VALU_DEP_2)
	v_lshlrev_b64 v[8:9], v4, v[2:3]
	v_sub_nc_u32_e32 v4, 32, v4
	v_min_u32_e32 v8, 1, v8
	s_delay_alu instid0(VALU_DEP_1) | instskip(NEXT) | instid1(VALU_DEP_1)
	v_or_b32_e32 v8, v9, v8
	v_cvt_f32_i32_e32 v8, v8
	s_delay_alu instid0(VALU_DEP_1) | instskip(SKIP_1) | instid1(VALU_DEP_2)
	v_ldexp_f32 v4, v8, v4
	v_mov_b32_e32 v8, 0xff
	v_bfe_u32 v9, v4, 23, 8
	s_delay_alu instid0(VALU_DEP_1)
	v_cmpx_ne_u32_e32 0xff, v9
; %bb.1777:
	v_and_b32_e32 v8, 0x400000, v4
	v_and_or_b32 v9, 0x3fffff, v4, v9
	v_lshrrev_b32_e32 v4, 23, v4
	s_delay_alu instid0(VALU_DEP_3) | instskip(NEXT) | instid1(VALU_DEP_3)
	v_cmp_ne_u32_e32 vcc_lo, 0, v8
	v_cmp_ne_u32_e64 s0, 0, v9
	s_delay_alu instid0(VALU_DEP_1) | instskip(NEXT) | instid1(SALU_CYCLE_1)
	s_and_b32 s0, vcc_lo, s0
	v_cndmask_b32_e64 v8, 0, 1, s0
	s_delay_alu instid0(VALU_DEP_1)
	v_add_nc_u32_e32 v8, v4, v8
; %bb.1778:
	s_or_b32 exec_lo, exec_lo, s6
	s_mov_b32 s0, 0
	global_store_b8 v[0:1], v8, off
.LBB304_1779:
	s_mov_b32 s6, 0
.LBB304_1780:
	s_delay_alu instid0(SALU_CYCLE_1)
	s_and_b32 vcc_lo, exec_lo, s6
	s_cbranch_vccz .LBB304_1783
; %bb.1781:
	v_cmp_eq_u16_e32 vcc_lo, 29, v12
	s_mov_b32 s0, -1
	s_cbranch_vccz .LBB304_1783
; %bb.1782:
	s_mov_b32 s0, 0
	s_mov_b32 s3, -1
	global_store_b64 v[0:1], v[2:3], off
.LBB304_1783:
	s_mov_b32 s6, 0
.LBB304_1784:
	s_delay_alu instid0(SALU_CYCLE_1)
	s_and_b32 vcc_lo, exec_lo, s6
	s_cbranch_vccz .LBB304_1800
; %bb.1785:
	v_cmp_gt_i16_e32 vcc_lo, 27, v12
	s_mov_b32 s3, -1
	s_cbranch_vccnz .LBB304_1791
; %bb.1786:
	v_cmp_lt_i16_e32 vcc_lo, 27, v12
	s_cbranch_vccz .LBB304_1788
; %bb.1787:
	s_mov_b32 s3, 0
	global_store_b32 v[0:1], v2, off
.LBB304_1788:
	s_and_not1_b32 vcc_lo, exec_lo, s3
	s_cbranch_vccnz .LBB304_1790
; %bb.1789:
	global_store_b16 v[0:1], v2, off
.LBB304_1790:
	s_mov_b32 s3, 0
.LBB304_1791:
	s_delay_alu instid0(SALU_CYCLE_1)
	s_and_not1_b32 vcc_lo, exec_lo, s3
	s_cbranch_vccnz .LBB304_1799
; %bb.1792:
	v_xor_b32_e32 v4, v2, v3
	v_cls_i32_e32 v8, v3
	s_mov_b32 s3, exec_lo
	s_delay_alu instid0(VALU_DEP_2) | instskip(NEXT) | instid1(VALU_DEP_2)
	v_ashrrev_i32_e32 v4, 31, v4
	v_add_nc_u32_e32 v8, -1, v8
	s_delay_alu instid0(VALU_DEP_2) | instskip(NEXT) | instid1(VALU_DEP_1)
	v_add_nc_u32_e32 v4, 32, v4
	v_min_u32_e32 v4, v8, v4
	s_delay_alu instid0(VALU_DEP_1) | instskip(SKIP_1) | instid1(VALU_DEP_2)
	v_lshlrev_b64 v[8:9], v4, v[2:3]
	v_sub_nc_u32_e32 v4, 32, v4
	v_min_u32_e32 v8, 1, v8
	s_delay_alu instid0(VALU_DEP_1) | instskip(SKIP_1) | instid1(VALU_DEP_2)
	v_or_b32_e32 v8, v9, v8
	v_mov_b32_e32 v9, 0x80
	v_cvt_f32_i32_e32 v8, v8
	s_delay_alu instid0(VALU_DEP_1) | instskip(NEXT) | instid1(VALU_DEP_1)
	v_ldexp_f32 v4, v8, v4
	v_and_b32_e32 v8, 0x7fffffff, v4
	s_delay_alu instid0(VALU_DEP_1)
	v_cmpx_gt_u32_e32 0x43800000, v8
	s_cbranch_execz .LBB304_1798
; %bb.1793:
	v_cmp_lt_u32_e32 vcc_lo, 0x3bffffff, v8
	s_mov_b32 s6, 0
                                        ; implicit-def: $vgpr8
	s_and_saveexec_b32 s7, vcc_lo
	s_delay_alu instid0(SALU_CYCLE_1)
	s_xor_b32 s7, exec_lo, s7
	s_cbranch_execz .LBB304_2026
; %bb.1794:
	v_bfe_u32 v8, v4, 20, 1
	s_mov_b32 s6, exec_lo
	s_delay_alu instid0(VALU_DEP_1) | instskip(NEXT) | instid1(VALU_DEP_1)
	v_add3_u32 v8, v4, v8, 0x487ffff
	v_lshrrev_b32_e32 v8, 20, v8
	s_or_saveexec_b32 s7, s7
                                        ; implicit-def: $sgpr12
	s_delay_alu instid0(SALU_CYCLE_1)
	s_xor_b32 exec_lo, exec_lo, s7
	s_cbranch_execnz .LBB304_2027
.LBB304_1795:
	s_or_b32 exec_lo, exec_lo, s7
	v_mov_b32_e32 v9, s12
	s_and_saveexec_b32 s7, s6
.LBB304_1796:
	v_lshrrev_b32_e32 v4, 24, v4
	s_delay_alu instid0(VALU_DEP_1)
	v_and_or_b32 v9, 0x80, v4, v8
.LBB304_1797:
	s_or_b32 exec_lo, exec_lo, s7
.LBB304_1798:
	s_delay_alu instid0(SALU_CYCLE_1)
	s_or_b32 exec_lo, exec_lo, s3
	global_store_b8 v[0:1], v9, off
.LBB304_1799:
	s_mov_b32 s3, -1
.LBB304_1800:
	s_mov_b32 s6, 0
.LBB304_1801:
	s_delay_alu instid0(SALU_CYCLE_1)
	s_and_b32 vcc_lo, exec_lo, s6
	s_cbranch_vccz .LBB304_1841
; %bb.1802:
	v_cmp_lt_i16_e32 vcc_lo, 22, v12
	s_mov_b32 s1, -1
	s_cbranch_vccz .LBB304_1834
; %bb.1803:
	v_cmp_gt_i16_e32 vcc_lo, 24, v12
	s_cbranch_vccnz .LBB304_1823
; %bb.1804:
	v_cmp_lt_i16_e32 vcc_lo, 24, v12
	s_cbranch_vccz .LBB304_1812
; %bb.1805:
	v_xor_b32_e32 v4, v2, v3
	v_cls_i32_e32 v8, v3
	s_mov_b32 s1, exec_lo
	s_delay_alu instid0(VALU_DEP_2) | instskip(NEXT) | instid1(VALU_DEP_2)
	v_ashrrev_i32_e32 v4, 31, v4
	v_add_nc_u32_e32 v8, -1, v8
	s_delay_alu instid0(VALU_DEP_2) | instskip(NEXT) | instid1(VALU_DEP_1)
	v_add_nc_u32_e32 v4, 32, v4
	v_min_u32_e32 v4, v8, v4
	s_delay_alu instid0(VALU_DEP_1) | instskip(SKIP_1) | instid1(VALU_DEP_2)
	v_lshlrev_b64 v[8:9], v4, v[2:3]
	v_sub_nc_u32_e32 v4, 32, v4
	v_min_u32_e32 v8, 1, v8
	s_delay_alu instid0(VALU_DEP_1) | instskip(SKIP_1) | instid1(VALU_DEP_2)
	v_or_b32_e32 v8, v9, v8
	v_mov_b32_e32 v9, 0x80
	v_cvt_f32_i32_e32 v8, v8
	s_delay_alu instid0(VALU_DEP_1) | instskip(NEXT) | instid1(VALU_DEP_1)
	v_ldexp_f32 v4, v8, v4
	v_and_b32_e32 v8, 0x7fffffff, v4
	s_delay_alu instid0(VALU_DEP_1)
	v_cmpx_gt_u32_e32 0x47800000, v8
	s_cbranch_execz .LBB304_1811
; %bb.1806:
	v_cmp_lt_u32_e32 vcc_lo, 0x37ffffff, v8
	s_mov_b32 s3, 0
                                        ; implicit-def: $vgpr8
	s_and_saveexec_b32 s6, vcc_lo
	s_delay_alu instid0(SALU_CYCLE_1)
	s_xor_b32 s6, exec_lo, s6
	s_cbranch_execz .LBB304_2032
; %bb.1807:
	v_bfe_u32 v8, v4, 21, 1
	s_mov_b32 s3, exec_lo
	s_delay_alu instid0(VALU_DEP_1) | instskip(NEXT) | instid1(VALU_DEP_1)
	v_add3_u32 v8, v4, v8, 0x88fffff
	v_lshrrev_b32_e32 v8, 21, v8
	s_or_saveexec_b32 s6, s6
                                        ; implicit-def: $sgpr7
	s_delay_alu instid0(SALU_CYCLE_1)
	s_xor_b32 exec_lo, exec_lo, s6
	s_cbranch_execnz .LBB304_2033
.LBB304_1808:
	s_or_b32 exec_lo, exec_lo, s6
	v_mov_b32_e32 v9, s7
	s_and_saveexec_b32 s6, s3
.LBB304_1809:
	v_lshrrev_b32_e32 v4, 24, v4
	s_delay_alu instid0(VALU_DEP_1)
	v_and_or_b32 v9, 0x80, v4, v8
.LBB304_1810:
	s_or_b32 exec_lo, exec_lo, s6
.LBB304_1811:
	s_delay_alu instid0(SALU_CYCLE_1)
	s_or_b32 exec_lo, exec_lo, s1
	s_mov_b32 s1, 0
	global_store_b8 v[0:1], v9, off
.LBB304_1812:
	s_and_b32 vcc_lo, exec_lo, s1
	s_cbranch_vccz .LBB304_1822
; %bb.1813:
	v_xor_b32_e32 v4, v2, v3
	v_cls_i32_e32 v8, v3
	s_mov_b32 s1, exec_lo
	s_delay_alu instid0(VALU_DEP_2) | instskip(NEXT) | instid1(VALU_DEP_2)
	v_ashrrev_i32_e32 v4, 31, v4
	v_add_nc_u32_e32 v8, -1, v8
	s_delay_alu instid0(VALU_DEP_2) | instskip(NEXT) | instid1(VALU_DEP_1)
	v_add_nc_u32_e32 v4, 32, v4
	v_min_u32_e32 v4, v8, v4
	s_delay_alu instid0(VALU_DEP_1) | instskip(SKIP_1) | instid1(VALU_DEP_2)
	v_lshlrev_b64 v[8:9], v4, v[2:3]
	v_sub_nc_u32_e32 v4, 32, v4
	v_min_u32_e32 v8, 1, v8
	s_delay_alu instid0(VALU_DEP_1) | instskip(NEXT) | instid1(VALU_DEP_1)
	v_or_b32_e32 v8, v9, v8
	v_cvt_f32_i32_e32 v8, v8
	s_delay_alu instid0(VALU_DEP_1) | instskip(NEXT) | instid1(VALU_DEP_1)
	v_ldexp_f32 v4, v8, v4
                                        ; implicit-def: $vgpr8
	v_and_b32_e32 v9, 0x7fffffff, v4
	s_delay_alu instid0(VALU_DEP_1)
	v_cmpx_gt_u32_e32 0x43f00000, v9
	s_xor_b32 s1, exec_lo, s1
	s_cbranch_execz .LBB304_1819
; %bb.1814:
	s_mov_b32 s3, exec_lo
                                        ; implicit-def: $vgpr8
	v_cmpx_lt_u32_e32 0x3c7fffff, v9
	s_xor_b32 s3, exec_lo, s3
; %bb.1815:
	v_bfe_u32 v8, v4, 20, 1
	s_delay_alu instid0(VALU_DEP_1) | instskip(NEXT) | instid1(VALU_DEP_1)
	v_add3_u32 v8, v4, v8, 0x407ffff
	v_and_b32_e32 v9, 0xff00000, v8
	v_lshrrev_b32_e32 v8, 20, v8
	s_delay_alu instid0(VALU_DEP_2) | instskip(NEXT) | instid1(VALU_DEP_2)
	v_cmp_ne_u32_e32 vcc_lo, 0x7f00000, v9
	v_cndmask_b32_e32 v8, 0x7e, v8, vcc_lo
; %bb.1816:
	s_and_not1_saveexec_b32 s3, s3
; %bb.1817:
	v_add_f32_e64 v8, 0x46800000, |v4|
; %bb.1818:
	s_or_b32 exec_lo, exec_lo, s3
                                        ; implicit-def: $vgpr9
.LBB304_1819:
	s_and_not1_saveexec_b32 s1, s1
; %bb.1820:
	v_mov_b32_e32 v8, 0x7f
	v_cmp_lt_u32_e32 vcc_lo, 0x7f800000, v9
	s_delay_alu instid0(VALU_DEP_2)
	v_cndmask_b32_e32 v8, 0x7e, v8, vcc_lo
; %bb.1821:
	s_or_b32 exec_lo, exec_lo, s1
	v_lshrrev_b32_e32 v4, 24, v4
	s_delay_alu instid0(VALU_DEP_1)
	v_and_or_b32 v4, 0x80, v4, v8
	global_store_b8 v[0:1], v4, off
.LBB304_1822:
	s_mov_b32 s1, 0
.LBB304_1823:
	s_delay_alu instid0(SALU_CYCLE_1)
	s_and_not1_b32 vcc_lo, exec_lo, s1
	s_cbranch_vccnz .LBB304_1833
; %bb.1824:
	v_xor_b32_e32 v4, v2, v3
	v_cls_i32_e32 v8, v3
	s_mov_b32 s1, exec_lo
	s_delay_alu instid0(VALU_DEP_2) | instskip(NEXT) | instid1(VALU_DEP_2)
	v_ashrrev_i32_e32 v4, 31, v4
	v_add_nc_u32_e32 v8, -1, v8
	s_delay_alu instid0(VALU_DEP_2) | instskip(NEXT) | instid1(VALU_DEP_1)
	v_add_nc_u32_e32 v4, 32, v4
	v_min_u32_e32 v4, v8, v4
	s_delay_alu instid0(VALU_DEP_1) | instskip(SKIP_1) | instid1(VALU_DEP_2)
	v_lshlrev_b64 v[8:9], v4, v[2:3]
	v_sub_nc_u32_e32 v4, 32, v4
	v_min_u32_e32 v8, 1, v8
	s_delay_alu instid0(VALU_DEP_1) | instskip(NEXT) | instid1(VALU_DEP_1)
	v_or_b32_e32 v8, v9, v8
	v_cvt_f32_i32_e32 v8, v8
	s_delay_alu instid0(VALU_DEP_1) | instskip(NEXT) | instid1(VALU_DEP_1)
	v_ldexp_f32 v4, v8, v4
                                        ; implicit-def: $vgpr8
	v_and_b32_e32 v9, 0x7fffffff, v4
	s_delay_alu instid0(VALU_DEP_1)
	v_cmpx_gt_u32_e32 0x47800000, v9
	s_xor_b32 s1, exec_lo, s1
	s_cbranch_execz .LBB304_1830
; %bb.1825:
	s_mov_b32 s3, exec_lo
                                        ; implicit-def: $vgpr8
	v_cmpx_lt_u32_e32 0x387fffff, v9
	s_xor_b32 s3, exec_lo, s3
; %bb.1826:
	v_bfe_u32 v8, v4, 21, 1
	s_delay_alu instid0(VALU_DEP_1) | instskip(NEXT) | instid1(VALU_DEP_1)
	v_add3_u32 v8, v4, v8, 0x80fffff
	v_lshrrev_b32_e32 v8, 21, v8
; %bb.1827:
	s_and_not1_saveexec_b32 s3, s3
; %bb.1828:
	v_add_f32_e64 v8, 0x43000000, |v4|
; %bb.1829:
	s_or_b32 exec_lo, exec_lo, s3
                                        ; implicit-def: $vgpr9
.LBB304_1830:
	s_and_not1_saveexec_b32 s1, s1
; %bb.1831:
	v_mov_b32_e32 v8, 0x7f
	v_cmp_lt_u32_e32 vcc_lo, 0x7f800000, v9
	s_delay_alu instid0(VALU_DEP_2)
	v_cndmask_b32_e32 v8, 0x7c, v8, vcc_lo
; %bb.1832:
	s_or_b32 exec_lo, exec_lo, s1
	v_lshrrev_b32_e32 v4, 24, v4
	s_delay_alu instid0(VALU_DEP_1)
	v_and_or_b32 v4, 0x80, v4, v8
	global_store_b8 v[0:1], v4, off
.LBB304_1833:
	s_mov_b32 s1, 0
	s_mov_b32 s3, -1
.LBB304_1834:
	s_and_not1_b32 vcc_lo, exec_lo, s1
	s_mov_b32 s1, 0
	s_cbranch_vccnz .LBB304_1841
; %bb.1835:
	v_cmp_lt_i16_e32 vcc_lo, 14, v12
	s_mov_b32 s1, -1
	s_cbranch_vccz .LBB304_1839
; %bb.1836:
	v_cmp_eq_u16_e32 vcc_lo, 15, v12
	s_mov_b32 s0, -1
	s_cbranch_vccz .LBB304_1838
; %bb.1837:
	v_xor_b32_e32 v4, v2, v3
	v_cls_i32_e32 v8, v3
	s_mov_b32 s3, -1
	s_mov_b32 s0, 0
	s_delay_alu instid0(VALU_DEP_2) | instskip(NEXT) | instid1(VALU_DEP_2)
	v_ashrrev_i32_e32 v4, 31, v4
	v_add_nc_u32_e32 v8, -1, v8
	s_delay_alu instid0(VALU_DEP_2) | instskip(NEXT) | instid1(VALU_DEP_1)
	v_add_nc_u32_e32 v4, 32, v4
	v_min_u32_e32 v4, v8, v4
	s_delay_alu instid0(VALU_DEP_1) | instskip(SKIP_1) | instid1(VALU_DEP_2)
	v_lshlrev_b64 v[8:9], v4, v[2:3]
	v_sub_nc_u32_e32 v4, 32, v4
	v_min_u32_e32 v8, 1, v8
	s_delay_alu instid0(VALU_DEP_1) | instskip(NEXT) | instid1(VALU_DEP_1)
	v_or_b32_e32 v8, v9, v8
	v_cvt_f32_i32_e32 v8, v8
	s_delay_alu instid0(VALU_DEP_1) | instskip(NEXT) | instid1(VALU_DEP_1)
	v_ldexp_f32 v4, v8, v4
	v_bfe_u32 v8, v4, 16, 1
	s_delay_alu instid0(VALU_DEP_1)
	v_add3_u32 v4, v4, v8, 0x7fff
	global_store_d16_hi_b16 v[0:1], v4, off
.LBB304_1838:
	s_mov_b32 s1, 0
.LBB304_1839:
	s_delay_alu instid0(SALU_CYCLE_1)
	s_and_b32 vcc_lo, exec_lo, s1
	s_mov_b32 s1, 0
	s_cbranch_vccz .LBB304_1841
; %bb.1840:
	v_cmp_ne_u16_e64 s0, 11, v12
	s_mov_b32 s1, -1
.LBB304_1841:
	s_delay_alu instid0(VALU_DEP_1)
	s_and_b32 vcc_lo, exec_lo, s0
	s_cbranch_vccnz .LBB304_2030
; %bb.1842:
	s_and_not1_b32 vcc_lo, exec_lo, s1
	s_cbranch_vccnz .LBB304_1844
.LBB304_1843:
	v_cmp_ne_u64_e32 vcc_lo, 0, v[2:3]
	s_mov_b32 s3, -1
	v_cndmask_b32_e64 v4, 0, 1, vcc_lo
	global_store_b8 v[0:1], v4, off
.LBB304_1844:
	s_mov_b32 s0, 0
	s_branch .LBB304_1846
.LBB304_1845:
	s_mov_b32 s0, -1
	s_mov_b32 s3, 0
.LBB304_1846:
	s_and_b32 vcc_lo, exec_lo, s0
	s_cbranch_vccz .LBB304_1885
; %bb.1847:
	v_cmp_gt_i16_e32 vcc_lo, 5, v12
	s_mov_b32 s0, -1
	s_cbranch_vccnz .LBB304_1868
; %bb.1848:
	v_cmp_gt_i16_e32 vcc_lo, 8, v12
	s_cbranch_vccnz .LBB304_1858
; %bb.1849:
	v_cmp_gt_i16_e32 vcc_lo, 9, v12
	s_cbranch_vccnz .LBB304_1855
; %bb.1850:
	v_cmp_lt_i16_e32 vcc_lo, 9, v12
	s_cbranch_vccz .LBB304_1852
; %bb.1851:
	v_cvt_f64_i32_e32 v[8:9], v3
	v_cvt_f64_u32_e32 v[10:11], v2
	s_mov_b32 s0, 0
	s_delay_alu instid0(VALU_DEP_2) | instskip(NEXT) | instid1(VALU_DEP_1)
	v_ldexp_f64 v[8:9], v[8:9], 32
	v_add_f64 v[8:9], v[8:9], v[10:11]
	v_mov_b32_e32 v10, 0
	s_delay_alu instid0(VALU_DEP_1)
	v_mov_b32_e32 v11, v10
	global_store_b128 v[0:1], v[8:11], off
.LBB304_1852:
	s_and_not1_b32 vcc_lo, exec_lo, s0
	s_cbranch_vccnz .LBB304_1854
; %bb.1853:
	v_xor_b32_e32 v4, v2, v3
	v_cls_i32_e32 v8, v3
	s_delay_alu instid0(VALU_DEP_2) | instskip(NEXT) | instid1(VALU_DEP_2)
	v_ashrrev_i32_e32 v4, 31, v4
	v_add_nc_u32_e32 v8, -1, v8
	s_delay_alu instid0(VALU_DEP_2) | instskip(NEXT) | instid1(VALU_DEP_1)
	v_add_nc_u32_e32 v4, 32, v4
	v_min_u32_e32 v4, v8, v4
	s_delay_alu instid0(VALU_DEP_1) | instskip(SKIP_1) | instid1(VALU_DEP_2)
	v_lshlrev_b64 v[8:9], v4, v[2:3]
	v_sub_nc_u32_e32 v4, 32, v4
	v_min_u32_e32 v8, 1, v8
	s_delay_alu instid0(VALU_DEP_1) | instskip(SKIP_1) | instid1(VALU_DEP_2)
	v_or_b32_e32 v8, v9, v8
	v_mov_b32_e32 v9, 0
	v_cvt_f32_i32_e32 v8, v8
	s_delay_alu instid0(VALU_DEP_1)
	v_ldexp_f32 v8, v8, v4
	global_store_b64 v[0:1], v[8:9], off
.LBB304_1854:
	s_mov_b32 s0, 0
.LBB304_1855:
	s_delay_alu instid0(SALU_CYCLE_1)
	s_and_not1_b32 vcc_lo, exec_lo, s0
	s_cbranch_vccnz .LBB304_1857
; %bb.1856:
	v_xor_b32_e32 v4, v2, v3
	v_cls_i32_e32 v8, v3
	s_delay_alu instid0(VALU_DEP_2) | instskip(NEXT) | instid1(VALU_DEP_2)
	v_ashrrev_i32_e32 v4, 31, v4
	v_add_nc_u32_e32 v8, -1, v8
	s_delay_alu instid0(VALU_DEP_2) | instskip(NEXT) | instid1(VALU_DEP_1)
	v_add_nc_u32_e32 v4, 32, v4
	v_min_u32_e32 v4, v8, v4
	s_delay_alu instid0(VALU_DEP_1) | instskip(SKIP_1) | instid1(VALU_DEP_2)
	v_lshlrev_b64 v[8:9], v4, v[2:3]
	v_sub_nc_u32_e32 v4, 32, v4
	v_min_u32_e32 v8, 1, v8
	s_delay_alu instid0(VALU_DEP_1) | instskip(NEXT) | instid1(VALU_DEP_1)
	v_or_b32_e32 v8, v9, v8
	v_cvt_f32_i32_e32 v8, v8
	s_delay_alu instid0(VALU_DEP_1) | instskip(NEXT) | instid1(VALU_DEP_1)
	v_ldexp_f32 v4, v8, v4
	v_cvt_f16_f32_e32 v4, v4
	s_delay_alu instid0(VALU_DEP_1)
	v_and_b32_e32 v4, 0xffff, v4
	global_store_b32 v[0:1], v4, off
.LBB304_1857:
	s_mov_b32 s0, 0
.LBB304_1858:
	s_delay_alu instid0(SALU_CYCLE_1)
	s_and_not1_b32 vcc_lo, exec_lo, s0
	s_cbranch_vccnz .LBB304_1867
; %bb.1859:
	v_cmp_gt_i16_e32 vcc_lo, 6, v12
	s_mov_b32 s0, -1
	s_cbranch_vccnz .LBB304_1865
; %bb.1860:
	v_cmp_lt_i16_e32 vcc_lo, 6, v12
	s_cbranch_vccz .LBB304_1862
; %bb.1861:
	v_cvt_f64_i32_e32 v[8:9], v3
	v_cvt_f64_u32_e32 v[10:11], v2
	s_mov_b32 s0, 0
	s_delay_alu instid0(VALU_DEP_2) | instskip(NEXT) | instid1(VALU_DEP_1)
	v_ldexp_f64 v[8:9], v[8:9], 32
	v_add_f64 v[8:9], v[8:9], v[10:11]
	global_store_b64 v[0:1], v[8:9], off
.LBB304_1862:
	s_and_not1_b32 vcc_lo, exec_lo, s0
	s_cbranch_vccnz .LBB304_1864
; %bb.1863:
	v_xor_b32_e32 v4, v2, v3
	v_cls_i32_e32 v8, v3
	s_delay_alu instid0(VALU_DEP_2) | instskip(NEXT) | instid1(VALU_DEP_2)
	v_ashrrev_i32_e32 v4, 31, v4
	v_add_nc_u32_e32 v8, -1, v8
	s_delay_alu instid0(VALU_DEP_2) | instskip(NEXT) | instid1(VALU_DEP_1)
	v_add_nc_u32_e32 v4, 32, v4
	v_min_u32_e32 v4, v8, v4
	s_delay_alu instid0(VALU_DEP_1) | instskip(SKIP_1) | instid1(VALU_DEP_2)
	v_lshlrev_b64 v[8:9], v4, v[2:3]
	v_sub_nc_u32_e32 v4, 32, v4
	v_min_u32_e32 v8, 1, v8
	s_delay_alu instid0(VALU_DEP_1) | instskip(NEXT) | instid1(VALU_DEP_1)
	v_or_b32_e32 v8, v9, v8
	v_cvt_f32_i32_e32 v8, v8
	s_delay_alu instid0(VALU_DEP_1)
	v_ldexp_f32 v4, v8, v4
	global_store_b32 v[0:1], v4, off
.LBB304_1864:
	s_mov_b32 s0, 0
.LBB304_1865:
	s_delay_alu instid0(SALU_CYCLE_1)
	s_and_not1_b32 vcc_lo, exec_lo, s0
	s_cbranch_vccnz .LBB304_1867
; %bb.1866:
	v_xor_b32_e32 v4, v2, v3
	v_cls_i32_e32 v8, v3
	s_delay_alu instid0(VALU_DEP_2) | instskip(NEXT) | instid1(VALU_DEP_2)
	v_ashrrev_i32_e32 v4, 31, v4
	v_add_nc_u32_e32 v8, -1, v8
	s_delay_alu instid0(VALU_DEP_2) | instskip(NEXT) | instid1(VALU_DEP_1)
	v_add_nc_u32_e32 v4, 32, v4
	v_min_u32_e32 v4, v8, v4
	s_delay_alu instid0(VALU_DEP_1) | instskip(SKIP_1) | instid1(VALU_DEP_2)
	v_lshlrev_b64 v[8:9], v4, v[2:3]
	v_sub_nc_u32_e32 v4, 32, v4
	v_min_u32_e32 v8, 1, v8
	s_delay_alu instid0(VALU_DEP_1) | instskip(NEXT) | instid1(VALU_DEP_1)
	v_or_b32_e32 v8, v9, v8
	v_cvt_f32_i32_e32 v8, v8
	s_delay_alu instid0(VALU_DEP_1) | instskip(NEXT) | instid1(VALU_DEP_1)
	v_ldexp_f32 v4, v8, v4
	v_cvt_f16_f32_e32 v4, v4
	global_store_b16 v[0:1], v4, off
.LBB304_1867:
	s_mov_b32 s0, 0
.LBB304_1868:
	s_delay_alu instid0(SALU_CYCLE_1)
	s_and_not1_b32 vcc_lo, exec_lo, s0
	s_cbranch_vccnz .LBB304_1884
; %bb.1869:
	v_cmp_gt_i16_e32 vcc_lo, 2, v12
	s_mov_b32 s0, -1
	s_cbranch_vccnz .LBB304_1879
; %bb.1870:
	v_cmp_gt_i16_e32 vcc_lo, 3, v12
	s_cbranch_vccnz .LBB304_1876
; %bb.1871:
	v_cmp_lt_i16_e32 vcc_lo, 3, v12
	s_cbranch_vccz .LBB304_1873
; %bb.1872:
	s_mov_b32 s0, 0
	global_store_b64 v[0:1], v[2:3], off
.LBB304_1873:
	s_and_not1_b32 vcc_lo, exec_lo, s0
	s_cbranch_vccnz .LBB304_1875
; %bb.1874:
	global_store_b32 v[0:1], v2, off
.LBB304_1875:
	s_mov_b32 s0, 0
.LBB304_1876:
	s_delay_alu instid0(SALU_CYCLE_1)
	s_and_not1_b32 vcc_lo, exec_lo, s0
	s_cbranch_vccnz .LBB304_1878
; %bb.1877:
	global_store_b16 v[0:1], v2, off
.LBB304_1878:
	s_mov_b32 s0, 0
.LBB304_1879:
	s_delay_alu instid0(SALU_CYCLE_1)
	s_and_not1_b32 vcc_lo, exec_lo, s0
	s_cbranch_vccnz .LBB304_1884
; %bb.1880:
	v_cmp_lt_i16_e32 vcc_lo, 0, v12
	s_mov_b32 s0, -1
	s_cbranch_vccz .LBB304_1882
; %bb.1881:
	s_mov_b32 s0, 0
	global_store_b8 v[0:1], v2, off
.LBB304_1882:
	s_and_not1_b32 vcc_lo, exec_lo, s0
	s_cbranch_vccnz .LBB304_1884
; %bb.1883:
	global_store_b8 v[0:1], v2, off
.LBB304_1884:
	s_mov_b32 s3, -1
.LBB304_1885:
	s_delay_alu instid0(SALU_CYCLE_1)
	s_and_not1_b32 vcc_lo, exec_lo, s3
	s_cbranch_vccnz .LBB304_1962
; %bb.1886:
	v_cmp_lt_i64_e32 vcc_lo, s[8:9], v[6:7]
	v_add_nc_u32_e32 v0, s2, v5
	s_delay_alu instid0(VALU_DEP_1) | instskip(SKIP_4) | instid1(VALU_DEP_1)
	v_ashrrev_i32_e32 v1, 31, v0
	v_cndmask_b32_e32 v3, s9, v7, vcc_lo
	v_cndmask_b32_e32 v2, s8, v6, vcc_lo
	v_cmp_gt_i16_e32 vcc_lo, 11, v12
	v_add_co_u32 v0, s1, s4, v0
	v_add_co_ci_u32_e64 v1, s1, s5, v1, s1
	s_delay_alu instid0(VALU_DEP_4) | instskip(NEXT) | instid1(VALU_DEP_1)
	v_cmp_gt_i64_e64 s0, s[10:11], v[2:3]
	v_cndmask_b32_e64 v3, s11, v3, s0
	v_cndmask_b32_e64 v2, s10, v2, s0
	s_cbranch_vccnz .LBB304_2007
; %bb.1887:
	v_cmp_lt_i16_e32 vcc_lo, 25, v12
	s_mov_b32 s2, -1
	s_mov_b32 s1, 0
	s_mov_b32 s0, 0
	s_cbranch_vccz .LBB304_1920
; %bb.1888:
	v_cmp_lt_i16_e32 vcc_lo, 28, v12
	s_cbranch_vccz .LBB304_1904
; %bb.1889:
	v_cmp_lt_i16_e32 vcc_lo, 43, v12
	;; [unrolled: 3-line block ×3, first 2 shown]
	s_cbranch_vccz .LBB304_1894
; %bb.1891:
	v_cmp_eq_u16_e32 vcc_lo, 46, v12
	s_mov_b32 s0, -1
	s_cbranch_vccz .LBB304_1893
; %bb.1892:
	v_xor_b32_e32 v4, v2, v3
	v_cls_i32_e32 v5, v3
	s_mov_b32 s0, 0
	s_delay_alu instid0(VALU_DEP_2) | instskip(NEXT) | instid1(VALU_DEP_2)
	v_ashrrev_i32_e32 v4, 31, v4
	v_add_nc_u32_e32 v5, -1, v5
	s_delay_alu instid0(VALU_DEP_2) | instskip(NEXT) | instid1(VALU_DEP_1)
	v_add_nc_u32_e32 v4, 32, v4
	v_min_u32_e32 v6, v5, v4
	s_delay_alu instid0(VALU_DEP_1) | instskip(NEXT) | instid1(VALU_DEP_1)
	v_lshlrev_b64 v[4:5], v6, v[2:3]
	v_min_u32_e32 v4, 1, v4
	s_delay_alu instid0(VALU_DEP_1) | instskip(SKIP_1) | instid1(VALU_DEP_2)
	v_or_b32_e32 v4, v5, v4
	v_sub_nc_u32_e32 v5, 32, v6
	v_cvt_f32_i32_e32 v4, v4
	s_delay_alu instid0(VALU_DEP_1) | instskip(NEXT) | instid1(VALU_DEP_1)
	v_ldexp_f32 v4, v4, v5
	v_bfe_u32 v5, v4, 16, 1
	s_delay_alu instid0(VALU_DEP_1) | instskip(NEXT) | instid1(VALU_DEP_1)
	v_add3_u32 v4, v4, v5, 0x7fff
	v_lshrrev_b32_e32 v4, 16, v4
	global_store_b32 v[0:1], v4, off
.LBB304_1893:
	s_mov_b32 s2, 0
.LBB304_1894:
	s_delay_alu instid0(SALU_CYCLE_1)
	s_and_b32 vcc_lo, exec_lo, s2
	s_cbranch_vccz .LBB304_1899
; %bb.1895:
	v_cmp_eq_u16_e32 vcc_lo, 44, v12
	s_mov_b32 s0, -1
	s_cbranch_vccz .LBB304_1899
; %bb.1896:
	v_xor_b32_e32 v4, v2, v3
	v_cls_i32_e32 v5, v3
	s_mov_b32 s2, exec_lo
	s_delay_alu instid0(VALU_DEP_2) | instskip(NEXT) | instid1(VALU_DEP_2)
	v_ashrrev_i32_e32 v4, 31, v4
	v_add_nc_u32_e32 v5, -1, v5
	s_delay_alu instid0(VALU_DEP_2) | instskip(NEXT) | instid1(VALU_DEP_1)
	v_add_nc_u32_e32 v4, 32, v4
	v_min_u32_e32 v6, v5, v4
	s_delay_alu instid0(VALU_DEP_1) | instskip(NEXT) | instid1(VALU_DEP_1)
	v_lshlrev_b64 v[4:5], v6, v[2:3]
	v_min_u32_e32 v4, 1, v4
	s_delay_alu instid0(VALU_DEP_1) | instskip(SKIP_1) | instid1(VALU_DEP_2)
	v_or_b32_e32 v4, v5, v4
	v_sub_nc_u32_e32 v5, 32, v6
	v_cvt_f32_i32_e32 v4, v4
	s_delay_alu instid0(VALU_DEP_1) | instskip(SKIP_1) | instid1(VALU_DEP_2)
	v_ldexp_f32 v4, v4, v5
	v_mov_b32_e32 v5, 0xff
	v_bfe_u32 v6, v4, 23, 8
	s_delay_alu instid0(VALU_DEP_1)
	v_cmpx_ne_u32_e32 0xff, v6
; %bb.1897:
	v_and_b32_e32 v5, 0x400000, v4
	v_and_or_b32 v6, 0x3fffff, v4, v6
	v_lshrrev_b32_e32 v4, 23, v4
	s_delay_alu instid0(VALU_DEP_3) | instskip(NEXT) | instid1(VALU_DEP_3)
	v_cmp_ne_u32_e32 vcc_lo, 0, v5
	v_cmp_ne_u32_e64 s0, 0, v6
	s_delay_alu instid0(VALU_DEP_1) | instskip(NEXT) | instid1(SALU_CYCLE_1)
	s_and_b32 s0, vcc_lo, s0
	v_cndmask_b32_e64 v5, 0, 1, s0
	s_delay_alu instid0(VALU_DEP_1)
	v_add_nc_u32_e32 v5, v4, v5
; %bb.1898:
	s_or_b32 exec_lo, exec_lo, s2
	s_mov_b32 s0, 0
	global_store_b8 v[0:1], v5, off
.LBB304_1899:
	s_mov_b32 s2, 0
.LBB304_1900:
	s_delay_alu instid0(SALU_CYCLE_1)
	s_and_b32 vcc_lo, exec_lo, s2
	s_cbranch_vccz .LBB304_1903
; %bb.1901:
	v_cmp_eq_u16_e32 vcc_lo, 29, v12
	s_mov_b32 s0, -1
	s_cbranch_vccz .LBB304_1903
; %bb.1902:
	s_mov_b32 s0, 0
	global_store_b64 v[0:1], v[2:3], off
.LBB304_1903:
	s_mov_b32 s2, 0
.LBB304_1904:
	s_delay_alu instid0(SALU_CYCLE_1)
	s_and_b32 vcc_lo, exec_lo, s2
	s_cbranch_vccz .LBB304_1919
; %bb.1905:
	v_cmp_gt_i16_e32 vcc_lo, 27, v12
	s_mov_b32 s2, -1
	s_cbranch_vccnz .LBB304_1911
; %bb.1906:
	v_cmp_lt_i16_e32 vcc_lo, 27, v12
	s_cbranch_vccz .LBB304_1908
; %bb.1907:
	s_mov_b32 s2, 0
	global_store_b32 v[0:1], v2, off
.LBB304_1908:
	s_and_not1_b32 vcc_lo, exec_lo, s2
	s_cbranch_vccnz .LBB304_1910
; %bb.1909:
	global_store_b16 v[0:1], v2, off
.LBB304_1910:
	s_mov_b32 s2, 0
.LBB304_1911:
	s_delay_alu instid0(SALU_CYCLE_1)
	s_and_not1_b32 vcc_lo, exec_lo, s2
	s_cbranch_vccnz .LBB304_1919
; %bb.1912:
	v_xor_b32_e32 v4, v2, v3
	v_cls_i32_e32 v5, v3
	s_mov_b32 s2, exec_lo
	s_delay_alu instid0(VALU_DEP_2) | instskip(NEXT) | instid1(VALU_DEP_2)
	v_ashrrev_i32_e32 v4, 31, v4
	v_add_nc_u32_e32 v5, -1, v5
	s_delay_alu instid0(VALU_DEP_2) | instskip(NEXT) | instid1(VALU_DEP_1)
	v_add_nc_u32_e32 v4, 32, v4
	v_min_u32_e32 v6, v5, v4
	s_delay_alu instid0(VALU_DEP_1) | instskip(NEXT) | instid1(VALU_DEP_1)
	v_lshlrev_b64 v[4:5], v6, v[2:3]
	v_min_u32_e32 v4, 1, v4
	s_delay_alu instid0(VALU_DEP_1) | instskip(SKIP_2) | instid1(VALU_DEP_3)
	v_or_b32_e32 v4, v5, v4
	v_sub_nc_u32_e32 v5, 32, v6
	v_mov_b32_e32 v6, 0x80
	v_cvt_f32_i32_e32 v4, v4
	s_delay_alu instid0(VALU_DEP_1) | instskip(NEXT) | instid1(VALU_DEP_1)
	v_ldexp_f32 v4, v4, v5
	v_and_b32_e32 v5, 0x7fffffff, v4
	s_delay_alu instid0(VALU_DEP_1)
	v_cmpx_gt_u32_e32 0x43800000, v5
	s_cbranch_execz .LBB304_1918
; %bb.1913:
	v_cmp_lt_u32_e32 vcc_lo, 0x3bffffff, v5
	s_mov_b32 s3, 0
                                        ; implicit-def: $vgpr5
	s_and_saveexec_b32 s4, vcc_lo
	s_delay_alu instid0(SALU_CYCLE_1)
	s_xor_b32 s4, exec_lo, s4
	s_cbranch_execz .LBB304_2034
; %bb.1914:
	v_bfe_u32 v5, v4, 20, 1
	s_mov_b32 s3, exec_lo
	s_delay_alu instid0(VALU_DEP_1) | instskip(NEXT) | instid1(VALU_DEP_1)
	v_add3_u32 v5, v4, v5, 0x487ffff
	v_lshrrev_b32_e32 v5, 20, v5
	s_or_saveexec_b32 s4, s4
                                        ; implicit-def: $sgpr5
	s_delay_alu instid0(SALU_CYCLE_1)
	s_xor_b32 exec_lo, exec_lo, s4
	s_cbranch_execnz .LBB304_2035
.LBB304_1915:
	s_or_b32 exec_lo, exec_lo, s4
	v_mov_b32_e32 v6, s5
	s_and_saveexec_b32 s4, s3
.LBB304_1916:
	v_lshrrev_b32_e32 v4, 24, v4
	s_delay_alu instid0(VALU_DEP_1)
	v_and_or_b32 v6, 0x80, v4, v5
.LBB304_1917:
	s_or_b32 exec_lo, exec_lo, s4
.LBB304_1918:
	s_delay_alu instid0(SALU_CYCLE_1)
	s_or_b32 exec_lo, exec_lo, s2
	global_store_b8 v[0:1], v6, off
.LBB304_1919:
	s_mov_b32 s2, 0
.LBB304_1920:
	s_delay_alu instid0(SALU_CYCLE_1)
	s_and_b32 vcc_lo, exec_lo, s2
	s_cbranch_vccz .LBB304_1960
; %bb.1921:
	v_cmp_lt_i16_e32 vcc_lo, 22, v12
	s_mov_b32 s1, -1
	s_cbranch_vccz .LBB304_1953
; %bb.1922:
	v_cmp_gt_i16_e32 vcc_lo, 24, v12
	s_cbranch_vccnz .LBB304_1942
; %bb.1923:
	v_cmp_lt_i16_e32 vcc_lo, 24, v12
	s_cbranch_vccz .LBB304_1931
; %bb.1924:
	v_xor_b32_e32 v4, v2, v3
	v_cls_i32_e32 v5, v3
	s_mov_b32 s1, exec_lo
	s_delay_alu instid0(VALU_DEP_2) | instskip(NEXT) | instid1(VALU_DEP_2)
	v_ashrrev_i32_e32 v4, 31, v4
	v_add_nc_u32_e32 v5, -1, v5
	s_delay_alu instid0(VALU_DEP_2) | instskip(NEXT) | instid1(VALU_DEP_1)
	v_add_nc_u32_e32 v4, 32, v4
	v_min_u32_e32 v6, v5, v4
	s_delay_alu instid0(VALU_DEP_1) | instskip(NEXT) | instid1(VALU_DEP_1)
	v_lshlrev_b64 v[4:5], v6, v[2:3]
	v_min_u32_e32 v4, 1, v4
	s_delay_alu instid0(VALU_DEP_1) | instskip(SKIP_2) | instid1(VALU_DEP_3)
	v_or_b32_e32 v4, v5, v4
	v_sub_nc_u32_e32 v5, 32, v6
	v_mov_b32_e32 v6, 0x80
	v_cvt_f32_i32_e32 v4, v4
	s_delay_alu instid0(VALU_DEP_1) | instskip(NEXT) | instid1(VALU_DEP_1)
	v_ldexp_f32 v4, v4, v5
	v_and_b32_e32 v5, 0x7fffffff, v4
	s_delay_alu instid0(VALU_DEP_1)
	v_cmpx_gt_u32_e32 0x47800000, v5
	s_cbranch_execz .LBB304_1930
; %bb.1925:
	v_cmp_lt_u32_e32 vcc_lo, 0x37ffffff, v5
	s_mov_b32 s2, 0
                                        ; implicit-def: $vgpr5
	s_and_saveexec_b32 s3, vcc_lo
	s_delay_alu instid0(SALU_CYCLE_1)
	s_xor_b32 s3, exec_lo, s3
	s_cbranch_execz .LBB304_2040
; %bb.1926:
	v_bfe_u32 v5, v4, 21, 1
	s_mov_b32 s2, exec_lo
	s_delay_alu instid0(VALU_DEP_1) | instskip(NEXT) | instid1(VALU_DEP_1)
	v_add3_u32 v5, v4, v5, 0x88fffff
	v_lshrrev_b32_e32 v5, 21, v5
	s_or_saveexec_b32 s3, s3
                                        ; implicit-def: $sgpr4
	s_delay_alu instid0(SALU_CYCLE_1)
	s_xor_b32 exec_lo, exec_lo, s3
	s_cbranch_execnz .LBB304_2041
.LBB304_1927:
	s_or_b32 exec_lo, exec_lo, s3
	v_mov_b32_e32 v6, s4
	s_and_saveexec_b32 s3, s2
.LBB304_1928:
	v_lshrrev_b32_e32 v4, 24, v4
	s_delay_alu instid0(VALU_DEP_1)
	v_and_or_b32 v6, 0x80, v4, v5
.LBB304_1929:
	s_or_b32 exec_lo, exec_lo, s3
.LBB304_1930:
	s_delay_alu instid0(SALU_CYCLE_1)
	s_or_b32 exec_lo, exec_lo, s1
	s_mov_b32 s1, 0
	global_store_b8 v[0:1], v6, off
.LBB304_1931:
	s_and_b32 vcc_lo, exec_lo, s1
	s_cbranch_vccz .LBB304_1941
; %bb.1932:
	v_xor_b32_e32 v4, v2, v3
	v_cls_i32_e32 v5, v3
	s_mov_b32 s1, exec_lo
	s_delay_alu instid0(VALU_DEP_2) | instskip(NEXT) | instid1(VALU_DEP_2)
	v_ashrrev_i32_e32 v4, 31, v4
	v_add_nc_u32_e32 v5, -1, v5
	s_delay_alu instid0(VALU_DEP_2) | instskip(NEXT) | instid1(VALU_DEP_1)
	v_add_nc_u32_e32 v4, 32, v4
	v_min_u32_e32 v6, v5, v4
	s_delay_alu instid0(VALU_DEP_1) | instskip(NEXT) | instid1(VALU_DEP_1)
	v_lshlrev_b64 v[4:5], v6, v[2:3]
	v_min_u32_e32 v4, 1, v4
	s_delay_alu instid0(VALU_DEP_1) | instskip(SKIP_1) | instid1(VALU_DEP_2)
	v_or_b32_e32 v4, v5, v4
	v_sub_nc_u32_e32 v5, 32, v6
	v_cvt_f32_i32_e32 v4, v4
	s_delay_alu instid0(VALU_DEP_1) | instskip(NEXT) | instid1(VALU_DEP_1)
	v_ldexp_f32 v4, v4, v5
                                        ; implicit-def: $vgpr5
	v_and_b32_e32 v6, 0x7fffffff, v4
	s_delay_alu instid0(VALU_DEP_1)
	v_cmpx_gt_u32_e32 0x43f00000, v6
	s_xor_b32 s1, exec_lo, s1
	s_cbranch_execz .LBB304_1938
; %bb.1933:
	s_mov_b32 s2, exec_lo
                                        ; implicit-def: $vgpr5
	v_cmpx_lt_u32_e32 0x3c7fffff, v6
	s_xor_b32 s2, exec_lo, s2
; %bb.1934:
	v_bfe_u32 v5, v4, 20, 1
	s_delay_alu instid0(VALU_DEP_1) | instskip(NEXT) | instid1(VALU_DEP_1)
	v_add3_u32 v5, v4, v5, 0x407ffff
	v_and_b32_e32 v6, 0xff00000, v5
	v_lshrrev_b32_e32 v5, 20, v5
	s_delay_alu instid0(VALU_DEP_2) | instskip(NEXT) | instid1(VALU_DEP_2)
	v_cmp_ne_u32_e32 vcc_lo, 0x7f00000, v6
	v_cndmask_b32_e32 v5, 0x7e, v5, vcc_lo
; %bb.1935:
	s_and_not1_saveexec_b32 s2, s2
; %bb.1936:
	v_add_f32_e64 v5, 0x46800000, |v4|
; %bb.1937:
	s_or_b32 exec_lo, exec_lo, s2
                                        ; implicit-def: $vgpr6
.LBB304_1938:
	s_and_not1_saveexec_b32 s1, s1
; %bb.1939:
	v_mov_b32_e32 v5, 0x7f
	v_cmp_lt_u32_e32 vcc_lo, 0x7f800000, v6
	s_delay_alu instid0(VALU_DEP_2)
	v_cndmask_b32_e32 v5, 0x7e, v5, vcc_lo
; %bb.1940:
	s_or_b32 exec_lo, exec_lo, s1
	v_lshrrev_b32_e32 v4, 24, v4
	s_delay_alu instid0(VALU_DEP_1)
	v_and_or_b32 v4, 0x80, v4, v5
	global_store_b8 v[0:1], v4, off
.LBB304_1941:
	s_mov_b32 s1, 0
.LBB304_1942:
	s_delay_alu instid0(SALU_CYCLE_1)
	s_and_not1_b32 vcc_lo, exec_lo, s1
	s_cbranch_vccnz .LBB304_1952
; %bb.1943:
	v_xor_b32_e32 v4, v2, v3
	v_cls_i32_e32 v5, v3
	s_mov_b32 s1, exec_lo
	s_delay_alu instid0(VALU_DEP_2) | instskip(NEXT) | instid1(VALU_DEP_2)
	v_ashrrev_i32_e32 v4, 31, v4
	v_add_nc_u32_e32 v5, -1, v5
	s_delay_alu instid0(VALU_DEP_2) | instskip(NEXT) | instid1(VALU_DEP_1)
	v_add_nc_u32_e32 v4, 32, v4
	v_min_u32_e32 v6, v5, v4
	s_delay_alu instid0(VALU_DEP_1) | instskip(NEXT) | instid1(VALU_DEP_1)
	v_lshlrev_b64 v[4:5], v6, v[2:3]
	v_min_u32_e32 v4, 1, v4
	s_delay_alu instid0(VALU_DEP_1) | instskip(SKIP_1) | instid1(VALU_DEP_2)
	v_or_b32_e32 v4, v5, v4
	v_sub_nc_u32_e32 v5, 32, v6
	v_cvt_f32_i32_e32 v4, v4
	s_delay_alu instid0(VALU_DEP_1) | instskip(NEXT) | instid1(VALU_DEP_1)
	v_ldexp_f32 v4, v4, v5
                                        ; implicit-def: $vgpr5
	v_and_b32_e32 v6, 0x7fffffff, v4
	s_delay_alu instid0(VALU_DEP_1)
	v_cmpx_gt_u32_e32 0x47800000, v6
	s_xor_b32 s1, exec_lo, s1
	s_cbranch_execz .LBB304_1949
; %bb.1944:
	s_mov_b32 s2, exec_lo
                                        ; implicit-def: $vgpr5
	v_cmpx_lt_u32_e32 0x387fffff, v6
	s_xor_b32 s2, exec_lo, s2
; %bb.1945:
	v_bfe_u32 v5, v4, 21, 1
	s_delay_alu instid0(VALU_DEP_1) | instskip(NEXT) | instid1(VALU_DEP_1)
	v_add3_u32 v5, v4, v5, 0x80fffff
	v_lshrrev_b32_e32 v5, 21, v5
; %bb.1946:
	s_and_not1_saveexec_b32 s2, s2
; %bb.1947:
	v_add_f32_e64 v5, 0x43000000, |v4|
; %bb.1948:
	s_or_b32 exec_lo, exec_lo, s2
                                        ; implicit-def: $vgpr6
.LBB304_1949:
	s_and_not1_saveexec_b32 s1, s1
; %bb.1950:
	v_mov_b32_e32 v5, 0x7f
	v_cmp_lt_u32_e32 vcc_lo, 0x7f800000, v6
	s_delay_alu instid0(VALU_DEP_2)
	v_cndmask_b32_e32 v5, 0x7c, v5, vcc_lo
; %bb.1951:
	s_or_b32 exec_lo, exec_lo, s1
	v_lshrrev_b32_e32 v4, 24, v4
	s_delay_alu instid0(VALU_DEP_1)
	v_and_or_b32 v4, 0x80, v4, v5
	global_store_b8 v[0:1], v4, off
.LBB304_1952:
	s_mov_b32 s1, 0
.LBB304_1953:
	s_delay_alu instid0(SALU_CYCLE_1)
	s_and_not1_b32 vcc_lo, exec_lo, s1
	s_mov_b32 s1, 0
	s_cbranch_vccnz .LBB304_1960
; %bb.1954:
	v_cmp_lt_i16_e32 vcc_lo, 14, v12
	s_mov_b32 s1, -1
	s_cbranch_vccz .LBB304_1958
; %bb.1955:
	v_cmp_eq_u16_e32 vcc_lo, 15, v12
	s_mov_b32 s0, -1
	s_cbranch_vccz .LBB304_1957
; %bb.1956:
	v_xor_b32_e32 v4, v2, v3
	v_cls_i32_e32 v5, v3
	s_mov_b32 s0, 0
	s_delay_alu instid0(VALU_DEP_2) | instskip(NEXT) | instid1(VALU_DEP_2)
	v_ashrrev_i32_e32 v4, 31, v4
	v_add_nc_u32_e32 v5, -1, v5
	s_delay_alu instid0(VALU_DEP_2) | instskip(NEXT) | instid1(VALU_DEP_1)
	v_add_nc_u32_e32 v4, 32, v4
	v_min_u32_e32 v6, v5, v4
	s_delay_alu instid0(VALU_DEP_1) | instskip(NEXT) | instid1(VALU_DEP_1)
	v_lshlrev_b64 v[4:5], v6, v[2:3]
	v_min_u32_e32 v4, 1, v4
	s_delay_alu instid0(VALU_DEP_1) | instskip(SKIP_1) | instid1(VALU_DEP_2)
	v_or_b32_e32 v4, v5, v4
	v_sub_nc_u32_e32 v5, 32, v6
	v_cvt_f32_i32_e32 v4, v4
	s_delay_alu instid0(VALU_DEP_1) | instskip(NEXT) | instid1(VALU_DEP_1)
	v_ldexp_f32 v4, v4, v5
	v_bfe_u32 v5, v4, 16, 1
	s_delay_alu instid0(VALU_DEP_1)
	v_add3_u32 v4, v4, v5, 0x7fff
	global_store_d16_hi_b16 v[0:1], v4, off
.LBB304_1957:
	s_mov_b32 s1, 0
.LBB304_1958:
	s_delay_alu instid0(SALU_CYCLE_1)
	s_and_b32 vcc_lo, exec_lo, s1
	s_mov_b32 s1, 0
	s_cbranch_vccz .LBB304_1960
; %bb.1959:
	v_cmp_ne_u16_e64 s0, 11, v12
	s_mov_b32 s1, -1
.LBB304_1960:
	s_delay_alu instid0(VALU_DEP_1)
	s_and_b32 vcc_lo, exec_lo, s0
	s_cbranch_vccnz .LBB304_2038
.LBB304_1961:
	s_mov_b32 s0, 0
	s_branch .LBB304_1963
.LBB304_1962:
	s_mov_b32 s0, 0
	s_mov_b32 s1, 0
                                        ; implicit-def: $vgpr12
                                        ; implicit-def: $vgpr0_vgpr1
                                        ; implicit-def: $vgpr2_vgpr3
.LBB304_1963:
	s_and_not1_b32 s2, s15, exec_lo
	s_and_b32 s3, s13, exec_lo
	s_and_b32 s0, s0, exec_lo
	;; [unrolled: 1-line block ×3, first 2 shown]
	s_or_b32 s15, s2, s3
.LBB304_1964:
	s_or_b32 exec_lo, exec_lo, s14
	s_and_saveexec_b32 s1, s15
	s_cbranch_execz .LBB304_1967
; %bb.1965:
	; divergent unreachable
	s_or_b32 exec_lo, exec_lo, s1
	s_and_saveexec_b32 s1, s13
	s_delay_alu instid0(SALU_CYCLE_1)
	s_xor_b32 s1, exec_lo, s1
	s_cbranch_execnz .LBB304_1968
.LBB304_1966:
	s_or_b32 exec_lo, exec_lo, s1
	s_and_saveexec_b32 s1, s0
	s_cbranch_execnz .LBB304_1969
	s_branch .LBB304_2006
.LBB304_1967:
	s_or_b32 exec_lo, exec_lo, s1
	s_and_saveexec_b32 s1, s13
	s_delay_alu instid0(SALU_CYCLE_1)
	s_xor_b32 s1, exec_lo, s1
	s_cbranch_execz .LBB304_1966
.LBB304_1968:
	s_waitcnt vmcnt(0)
	v_cmp_ne_u64_e32 vcc_lo, 0, v[2:3]
	v_cndmask_b32_e64 v4, 0, 1, vcc_lo
	global_store_b8 v[0:1], v4, off
	s_or_b32 exec_lo, exec_lo, s1
	s_and_saveexec_b32 s1, s0
	s_cbranch_execz .LBB304_2006
.LBB304_1969:
	v_cmp_gt_i16_e32 vcc_lo, 5, v12
	s_mov_b32 s0, -1
	s_cbranch_vccnz .LBB304_1990
; %bb.1970:
	v_cmp_gt_i16_e32 vcc_lo, 8, v12
	s_cbranch_vccnz .LBB304_1980
; %bb.1971:
	v_cmp_gt_i16_e32 vcc_lo, 9, v12
	s_cbranch_vccnz .LBB304_1977
; %bb.1972:
	v_cmp_lt_i16_e32 vcc_lo, 9, v12
	s_cbranch_vccz .LBB304_1974
; %bb.1973:
	s_waitcnt vmcnt(0)
	v_cvt_f64_i32_e32 v[4:5], v3
	v_cvt_f64_u32_e32 v[6:7], v2
	s_mov_b32 s0, 0
	s_delay_alu instid0(VALU_DEP_2) | instskip(NEXT) | instid1(VALU_DEP_1)
	v_ldexp_f64 v[4:5], v[4:5], 32
	v_add_f64 v[4:5], v[4:5], v[6:7]
	v_mov_b32_e32 v6, 0
	s_delay_alu instid0(VALU_DEP_1)
	v_mov_b32_e32 v7, v6
	global_store_b128 v[0:1], v[4:7], off
.LBB304_1974:
	s_and_not1_b32 vcc_lo, exec_lo, s0
	s_cbranch_vccnz .LBB304_1976
; %bb.1975:
	s_waitcnt vmcnt(0)
	v_xor_b32_e32 v4, v2, v3
	v_cls_i32_e32 v5, v3
	s_delay_alu instid0(VALU_DEP_2) | instskip(NEXT) | instid1(VALU_DEP_2)
	v_ashrrev_i32_e32 v4, 31, v4
	v_add_nc_u32_e32 v5, -1, v5
	s_delay_alu instid0(VALU_DEP_2) | instskip(NEXT) | instid1(VALU_DEP_1)
	v_add_nc_u32_e32 v4, 32, v4
	v_min_u32_e32 v6, v5, v4
	s_delay_alu instid0(VALU_DEP_1) | instskip(NEXT) | instid1(VALU_DEP_1)
	v_lshlrev_b64 v[4:5], v6, v[2:3]
	v_min_u32_e32 v4, 1, v4
	s_delay_alu instid0(VALU_DEP_1) | instskip(SKIP_1) | instid1(VALU_DEP_2)
	v_or_b32_e32 v4, v5, v4
	v_sub_nc_u32_e32 v5, 32, v6
	v_cvt_f32_i32_e32 v4, v4
	s_delay_alu instid0(VALU_DEP_1)
	v_ldexp_f32 v4, v4, v5
	v_mov_b32_e32 v5, 0
	global_store_b64 v[0:1], v[4:5], off
.LBB304_1976:
	s_mov_b32 s0, 0
.LBB304_1977:
	s_delay_alu instid0(SALU_CYCLE_1)
	s_and_not1_b32 vcc_lo, exec_lo, s0
	s_cbranch_vccnz .LBB304_1979
; %bb.1978:
	s_waitcnt vmcnt(0)
	v_xor_b32_e32 v4, v2, v3
	v_cls_i32_e32 v5, v3
	s_delay_alu instid0(VALU_DEP_2) | instskip(NEXT) | instid1(VALU_DEP_2)
	v_ashrrev_i32_e32 v4, 31, v4
	v_add_nc_u32_e32 v5, -1, v5
	s_delay_alu instid0(VALU_DEP_2) | instskip(NEXT) | instid1(VALU_DEP_1)
	v_add_nc_u32_e32 v4, 32, v4
	v_min_u32_e32 v6, v5, v4
	s_delay_alu instid0(VALU_DEP_1) | instskip(NEXT) | instid1(VALU_DEP_1)
	v_lshlrev_b64 v[4:5], v6, v[2:3]
	v_min_u32_e32 v4, 1, v4
	s_delay_alu instid0(VALU_DEP_1) | instskip(SKIP_1) | instid1(VALU_DEP_2)
	v_or_b32_e32 v4, v5, v4
	v_sub_nc_u32_e32 v5, 32, v6
	v_cvt_f32_i32_e32 v4, v4
	s_delay_alu instid0(VALU_DEP_1) | instskip(NEXT) | instid1(VALU_DEP_1)
	v_ldexp_f32 v4, v4, v5
	v_cvt_f16_f32_e32 v4, v4
	s_delay_alu instid0(VALU_DEP_1)
	v_and_b32_e32 v4, 0xffff, v4
	global_store_b32 v[0:1], v4, off
.LBB304_1979:
	s_mov_b32 s0, 0
.LBB304_1980:
	s_delay_alu instid0(SALU_CYCLE_1)
	s_and_not1_b32 vcc_lo, exec_lo, s0
	s_cbranch_vccnz .LBB304_1989
; %bb.1981:
	v_cmp_gt_i16_e32 vcc_lo, 6, v12
	s_mov_b32 s0, -1
	s_cbranch_vccnz .LBB304_1987
; %bb.1982:
	v_cmp_lt_i16_e32 vcc_lo, 6, v12
	s_cbranch_vccz .LBB304_1984
; %bb.1983:
	s_waitcnt vmcnt(0)
	v_cvt_f64_i32_e32 v[4:5], v3
	v_cvt_f64_u32_e32 v[6:7], v2
	s_mov_b32 s0, 0
	s_delay_alu instid0(VALU_DEP_2) | instskip(NEXT) | instid1(VALU_DEP_1)
	v_ldexp_f64 v[4:5], v[4:5], 32
	v_add_f64 v[4:5], v[4:5], v[6:7]
	global_store_b64 v[0:1], v[4:5], off
.LBB304_1984:
	s_and_not1_b32 vcc_lo, exec_lo, s0
	s_cbranch_vccnz .LBB304_1986
; %bb.1985:
	s_waitcnt vmcnt(0)
	v_xor_b32_e32 v4, v2, v3
	v_cls_i32_e32 v5, v3
	s_delay_alu instid0(VALU_DEP_2) | instskip(NEXT) | instid1(VALU_DEP_2)
	v_ashrrev_i32_e32 v4, 31, v4
	v_add_nc_u32_e32 v5, -1, v5
	s_delay_alu instid0(VALU_DEP_2) | instskip(NEXT) | instid1(VALU_DEP_1)
	v_add_nc_u32_e32 v4, 32, v4
	v_min_u32_e32 v6, v5, v4
	s_delay_alu instid0(VALU_DEP_1) | instskip(NEXT) | instid1(VALU_DEP_1)
	v_lshlrev_b64 v[4:5], v6, v[2:3]
	v_min_u32_e32 v4, 1, v4
	s_delay_alu instid0(VALU_DEP_1) | instskip(SKIP_1) | instid1(VALU_DEP_2)
	v_or_b32_e32 v4, v5, v4
	v_sub_nc_u32_e32 v5, 32, v6
	v_cvt_f32_i32_e32 v4, v4
	s_delay_alu instid0(VALU_DEP_1)
	v_ldexp_f32 v4, v4, v5
	global_store_b32 v[0:1], v4, off
.LBB304_1986:
	s_mov_b32 s0, 0
.LBB304_1987:
	s_delay_alu instid0(SALU_CYCLE_1)
	s_and_not1_b32 vcc_lo, exec_lo, s0
	s_cbranch_vccnz .LBB304_1989
; %bb.1988:
	s_waitcnt vmcnt(0)
	v_xor_b32_e32 v4, v2, v3
	v_cls_i32_e32 v5, v3
	s_delay_alu instid0(VALU_DEP_2) | instskip(NEXT) | instid1(VALU_DEP_2)
	v_ashrrev_i32_e32 v4, 31, v4
	v_add_nc_u32_e32 v5, -1, v5
	s_delay_alu instid0(VALU_DEP_2) | instskip(NEXT) | instid1(VALU_DEP_1)
	v_add_nc_u32_e32 v4, 32, v4
	v_min_u32_e32 v6, v5, v4
	s_delay_alu instid0(VALU_DEP_1) | instskip(NEXT) | instid1(VALU_DEP_1)
	v_lshlrev_b64 v[4:5], v6, v[2:3]
	v_min_u32_e32 v4, 1, v4
	s_delay_alu instid0(VALU_DEP_1) | instskip(SKIP_1) | instid1(VALU_DEP_2)
	v_or_b32_e32 v4, v5, v4
	v_sub_nc_u32_e32 v5, 32, v6
	v_cvt_f32_i32_e32 v4, v4
	s_delay_alu instid0(VALU_DEP_1) | instskip(NEXT) | instid1(VALU_DEP_1)
	v_ldexp_f32 v4, v4, v5
	v_cvt_f16_f32_e32 v4, v4
	global_store_b16 v[0:1], v4, off
.LBB304_1989:
	s_mov_b32 s0, 0
.LBB304_1990:
	s_delay_alu instid0(SALU_CYCLE_1)
	s_and_not1_b32 vcc_lo, exec_lo, s0
	s_cbranch_vccnz .LBB304_2006
; %bb.1991:
	v_cmp_gt_i16_e32 vcc_lo, 2, v12
	s_mov_b32 s0, -1
	s_cbranch_vccnz .LBB304_2001
; %bb.1992:
	v_cmp_gt_i16_e32 vcc_lo, 3, v12
	s_cbranch_vccnz .LBB304_1998
; %bb.1993:
	v_cmp_lt_i16_e32 vcc_lo, 3, v12
	s_cbranch_vccz .LBB304_1995
; %bb.1994:
	s_mov_b32 s0, 0
	s_waitcnt vmcnt(0)
	global_store_b64 v[0:1], v[2:3], off
.LBB304_1995:
	s_and_not1_b32 vcc_lo, exec_lo, s0
	s_cbranch_vccnz .LBB304_1997
; %bb.1996:
	s_waitcnt vmcnt(0)
	global_store_b32 v[0:1], v2, off
.LBB304_1997:
	s_mov_b32 s0, 0
.LBB304_1998:
	s_delay_alu instid0(SALU_CYCLE_1)
	s_and_not1_b32 vcc_lo, exec_lo, s0
	s_cbranch_vccnz .LBB304_2000
; %bb.1999:
	s_waitcnt vmcnt(0)
	global_store_b16 v[0:1], v2, off
.LBB304_2000:
	s_mov_b32 s0, 0
.LBB304_2001:
	s_delay_alu instid0(SALU_CYCLE_1)
	s_and_not1_b32 vcc_lo, exec_lo, s0
	s_cbranch_vccnz .LBB304_2006
; %bb.2002:
	v_cmp_lt_i16_e32 vcc_lo, 0, v12
	s_mov_b32 s0, -1
	s_cbranch_vccz .LBB304_2004
; %bb.2003:
	s_mov_b32 s0, 0
	s_waitcnt vmcnt(0)
	global_store_b8 v[0:1], v2, off
.LBB304_2004:
	s_and_not1_b32 vcc_lo, exec_lo, s0
	s_cbranch_vccnz .LBB304_2006
; %bb.2005:
	s_waitcnt vmcnt(0)
	global_store_b8 v[0:1], v2, off
	s_nop 0
	s_sendmsg sendmsg(MSG_DEALLOC_VGPRS)
	s_endpgm
.LBB304_2006:
	s_nop 0
	s_sendmsg sendmsg(MSG_DEALLOC_VGPRS)
	s_endpgm
.LBB304_2007:
	s_mov_b32 s1, 0
	s_mov_b32 s0, -1
	s_branch .LBB304_1963
.LBB304_2008:
	s_cbranch_execnz .LBB304_2012
; %bb.2009:
	s_or_b32 s13, s13, exec_lo
                                        ; implicit-def: $vgpr6_vgpr7
	s_cbranch_execz .LBB304_1477
	s_branch .LBB304_1478
.LBB304_2010:
	s_or_saveexec_b32 s7, s7
                                        ; implicit-def: $sgpr12
	s_delay_alu instid0(SALU_CYCLE_1)
	s_xor_b32 exec_lo, exec_lo, s7
	s_cbranch_execz .LBB304_1557
.LBB304_2011:
	v_add_f32_e64 v13, 0x46000000, |v11|
	s_and_not1_b32 s6, s6, exec_lo
	s_mov_b32 s12, 0
	s_delay_alu instid0(VALU_DEP_1) | instskip(NEXT) | instid1(VALU_DEP_1)
	v_and_b32_e32 v13, 0xff, v13
	v_cmp_ne_u32_e32 vcc_lo, 0, v13
	s_and_b32 s16, vcc_lo, exec_lo
	s_delay_alu instid0(SALU_CYCLE_1)
	s_or_b32 s6, s6, s16
	s_or_b32 exec_lo, exec_lo, s7
	v_mov_b32_e32 v14, s12
	s_and_saveexec_b32 s7, s6
	s_cbranch_execnz .LBB304_1558
	s_branch .LBB304_1559
.LBB304_2012:
	s_trap 2
	s_sendmsg_rtn_b32 s0, sendmsg(MSG_RTN_GET_DOORBELL)
	s_mov_b32 ttmp2, m0
	s_waitcnt lgkmcnt(0)
	s_and_b32 s0, s0, 0x3ff
	s_delay_alu instid0(SALU_CYCLE_1) | instskip(NEXT) | instid1(SALU_CYCLE_1)
	s_bitset1_b32 s0, 10
	s_mov_b32 m0, s0
	s_sendmsg sendmsg(MSG_INTERRUPT)
	s_mov_b32 m0, ttmp2
.LBB304_2013:                           ; =>This Inner Loop Header: Depth=1
	s_sethalt 5
	s_branch .LBB304_2013
.LBB304_2014:
	s_cbranch_execnz .LBB304_2020
; %bb.2015:
	s_or_b32 s13, s13, exec_lo
	s_cbranch_execz .LBB304_1605
	s_branch .LBB304_1606
.LBB304_2016:
	s_or_saveexec_b32 s6, s6
                                        ; implicit-def: $sgpr7
	s_delay_alu instid0(SALU_CYCLE_1)
	s_xor_b32 exec_lo, exec_lo, s6
	s_cbranch_execz .LBB304_1570
.LBB304_2017:
	v_add_f32_e64 v13, 0x42800000, |v11|
	s_and_not1_b32 s3, s3, exec_lo
	s_mov_b32 s7, 0
	s_delay_alu instid0(VALU_DEP_1) | instskip(NEXT) | instid1(VALU_DEP_1)
	v_and_b32_e32 v13, 0xff, v13
	v_cmp_ne_u32_e32 vcc_lo, 0, v13
	s_and_b32 s12, vcc_lo, exec_lo
	s_delay_alu instid0(SALU_CYCLE_1)
	s_or_b32 s3, s3, s12
	s_or_b32 exec_lo, exec_lo, s6
	v_mov_b32_e32 v14, s7
	s_and_saveexec_b32 s6, s3
	s_cbranch_execnz .LBB304_1571
	s_branch .LBB304_1572
.LBB304_2018:
	s_or_saveexec_b32 s7, s7
                                        ; implicit-def: $sgpr12
	s_delay_alu instid0(SALU_CYCLE_1)
	s_xor_b32 exec_lo, exec_lo, s7
	s_cbranch_execz .LBB304_1676
.LBB304_2019:
	v_add_f32_e64 v10, 0x46000000, |v9|
	s_and_not1_b32 s6, s6, exec_lo
	s_mov_b32 s12, 0
	s_delay_alu instid0(VALU_DEP_1) | instskip(NEXT) | instid1(VALU_DEP_1)
	v_and_b32_e32 v10, 0xff, v10
	v_cmp_ne_u32_e32 vcc_lo, 0, v10
	s_and_b32 s16, vcc_lo, exec_lo
	s_delay_alu instid0(SALU_CYCLE_1)
	s_or_b32 s6, s6, s16
	s_or_b32 exec_lo, exec_lo, s7
	v_mov_b32_e32 v11, s12
	s_and_saveexec_b32 s7, s6
	s_cbranch_execnz .LBB304_1677
	s_branch .LBB304_1678
.LBB304_2020:
	s_trap 2
	s_sendmsg_rtn_b32 s0, sendmsg(MSG_RTN_GET_DOORBELL)
	s_mov_b32 ttmp2, m0
	s_waitcnt lgkmcnt(0)
	s_and_b32 s0, s0, 0x3ff
	s_delay_alu instid0(SALU_CYCLE_1) | instskip(NEXT) | instid1(SALU_CYCLE_1)
	s_bitset1_b32 s0, 10
	s_mov_b32 m0, s0
	s_sendmsg sendmsg(MSG_INTERRUPT)
	s_mov_b32 m0, ttmp2
.LBB304_2021:                           ; =>This Inner Loop Header: Depth=1
	s_sethalt 5
	s_branch .LBB304_2021
.LBB304_2022:
	s_cbranch_execnz .LBB304_2028
; %bb.2023:
	s_or_b32 s13, s13, exec_lo
	s_cbranch_execz .LBB304_1724
	s_branch .LBB304_1725
.LBB304_2024:
	s_or_saveexec_b32 s6, s6
                                        ; implicit-def: $sgpr7
	s_delay_alu instid0(SALU_CYCLE_1)
	s_xor_b32 exec_lo, exec_lo, s6
	s_cbranch_execz .LBB304_1689
.LBB304_2025:
	v_add_f32_e64 v10, 0x42800000, |v9|
	s_and_not1_b32 s3, s3, exec_lo
	s_mov_b32 s7, 0
	s_delay_alu instid0(VALU_DEP_1) | instskip(NEXT) | instid1(VALU_DEP_1)
	v_and_b32_e32 v10, 0xff, v10
	v_cmp_ne_u32_e32 vcc_lo, 0, v10
	s_and_b32 s12, vcc_lo, exec_lo
	s_delay_alu instid0(SALU_CYCLE_1)
	s_or_b32 s3, s3, s12
	s_or_b32 exec_lo, exec_lo, s6
	v_mov_b32_e32 v11, s7
	s_and_saveexec_b32 s6, s3
	s_cbranch_execnz .LBB304_1690
	s_branch .LBB304_1691
.LBB304_2026:
	s_or_saveexec_b32 s7, s7
                                        ; implicit-def: $sgpr12
	s_delay_alu instid0(SALU_CYCLE_1)
	s_xor_b32 exec_lo, exec_lo, s7
	s_cbranch_execz .LBB304_1795
.LBB304_2027:
	v_add_f32_e64 v8, 0x46000000, |v4|
	s_and_not1_b32 s6, s6, exec_lo
	s_mov_b32 s12, 0
	s_delay_alu instid0(VALU_DEP_1) | instskip(NEXT) | instid1(VALU_DEP_1)
	v_and_b32_e32 v8, 0xff, v8
	v_cmp_ne_u32_e32 vcc_lo, 0, v8
	s_and_b32 s16, vcc_lo, exec_lo
	s_delay_alu instid0(SALU_CYCLE_1)
	s_or_b32 s6, s6, s16
	s_or_b32 exec_lo, exec_lo, s7
	v_mov_b32_e32 v9, s12
	s_and_saveexec_b32 s7, s6
	s_cbranch_execnz .LBB304_1796
	s_branch .LBB304_1797
.LBB304_2028:
	s_trap 2
	s_sendmsg_rtn_b32 s0, sendmsg(MSG_RTN_GET_DOORBELL)
	s_mov_b32 ttmp2, m0
	s_waitcnt lgkmcnt(0)
	s_and_b32 s0, s0, 0x3ff
	s_delay_alu instid0(SALU_CYCLE_1) | instskip(NEXT) | instid1(SALU_CYCLE_1)
	s_bitset1_b32 s0, 10
	s_mov_b32 m0, s0
	s_sendmsg sendmsg(MSG_INTERRUPT)
	s_mov_b32 m0, ttmp2
.LBB304_2029:                           ; =>This Inner Loop Header: Depth=1
	s_sethalt 5
	s_branch .LBB304_2029
.LBB304_2030:
	s_cbranch_execnz .LBB304_2036
; %bb.2031:
	s_or_b32 s13, s13, exec_lo
	s_cbranch_execz .LBB304_1843
	s_branch .LBB304_1844
.LBB304_2032:
	s_or_saveexec_b32 s6, s6
                                        ; implicit-def: $sgpr7
	s_delay_alu instid0(SALU_CYCLE_1)
	s_xor_b32 exec_lo, exec_lo, s6
	s_cbranch_execz .LBB304_1808
.LBB304_2033:
	v_add_f32_e64 v8, 0x42800000, |v4|
	s_and_not1_b32 s3, s3, exec_lo
	s_mov_b32 s7, 0
	s_delay_alu instid0(VALU_DEP_1) | instskip(NEXT) | instid1(VALU_DEP_1)
	v_and_b32_e32 v8, 0xff, v8
	v_cmp_ne_u32_e32 vcc_lo, 0, v8
	s_and_b32 s12, vcc_lo, exec_lo
	s_delay_alu instid0(SALU_CYCLE_1)
	s_or_b32 s3, s3, s12
	s_or_b32 exec_lo, exec_lo, s6
	v_mov_b32_e32 v9, s7
	s_and_saveexec_b32 s6, s3
	s_cbranch_execnz .LBB304_1809
	s_branch .LBB304_1810
.LBB304_2034:
	s_or_saveexec_b32 s4, s4
                                        ; implicit-def: $sgpr5
	s_delay_alu instid0(SALU_CYCLE_1)
	s_xor_b32 exec_lo, exec_lo, s4
	s_cbranch_execz .LBB304_1915
.LBB304_2035:
	v_add_f32_e64 v5, 0x46000000, |v4|
	s_and_not1_b32 s3, s3, exec_lo
	s_mov_b32 s5, 0
	s_delay_alu instid0(VALU_DEP_1) | instskip(NEXT) | instid1(VALU_DEP_1)
	v_and_b32_e32 v5, 0xff, v5
	v_cmp_ne_u32_e32 vcc_lo, 0, v5
	s_and_b32 s6, vcc_lo, exec_lo
	s_delay_alu instid0(SALU_CYCLE_1)
	s_or_b32 s3, s3, s6
	s_or_b32 exec_lo, exec_lo, s4
	v_mov_b32_e32 v6, s5
	s_and_saveexec_b32 s4, s3
	s_cbranch_execnz .LBB304_1916
	s_branch .LBB304_1917
.LBB304_2036:
	s_trap 2
	s_sendmsg_rtn_b32 s0, sendmsg(MSG_RTN_GET_DOORBELL)
	s_mov_b32 ttmp2, m0
	s_waitcnt lgkmcnt(0)
	s_and_b32 s0, s0, 0x3ff
	s_delay_alu instid0(SALU_CYCLE_1) | instskip(NEXT) | instid1(SALU_CYCLE_1)
	s_bitset1_b32 s0, 10
	s_mov_b32 m0, s0
	s_sendmsg sendmsg(MSG_INTERRUPT)
	s_mov_b32 m0, ttmp2
.LBB304_2037:                           ; =>This Inner Loop Header: Depth=1
	s_sethalt 5
	s_branch .LBB304_2037
.LBB304_2038:
	s_cbranch_execnz .LBB304_2042
; %bb.2039:
	s_mov_b32 s1, 0
	s_or_b32 s13, s13, exec_lo
	s_branch .LBB304_1961
.LBB304_2040:
	s_or_saveexec_b32 s3, s3
                                        ; implicit-def: $sgpr4
	s_delay_alu instid0(SALU_CYCLE_1)
	s_xor_b32 exec_lo, exec_lo, s3
	s_cbranch_execz .LBB304_1927
.LBB304_2041:
	v_add_f32_e64 v5, 0x42800000, |v4|
	s_and_not1_b32 s2, s2, exec_lo
	s_mov_b32 s4, 0
	s_delay_alu instid0(VALU_DEP_1) | instskip(NEXT) | instid1(VALU_DEP_1)
	v_and_b32_e32 v5, 0xff, v5
	v_cmp_ne_u32_e32 vcc_lo, 0, v5
	s_and_b32 s5, vcc_lo, exec_lo
	s_delay_alu instid0(SALU_CYCLE_1)
	s_or_b32 s2, s2, s5
	s_or_b32 exec_lo, exec_lo, s3
	v_mov_b32_e32 v6, s4
	s_and_saveexec_b32 s3, s2
	s_cbranch_execnz .LBB304_1928
	s_branch .LBB304_1929
.LBB304_2042:
	s_trap 2
	s_sendmsg_rtn_b32 s0, sendmsg(MSG_RTN_GET_DOORBELL)
	s_mov_b32 ttmp2, m0
	s_waitcnt lgkmcnt(0)
	s_and_b32 s0, s0, 0x3ff
	s_delay_alu instid0(SALU_CYCLE_1) | instskip(NEXT) | instid1(SALU_CYCLE_1)
	s_bitset1_b32 s0, 10
	s_mov_b32 m0, s0
	s_sendmsg sendmsg(MSG_INTERRUPT)
	s_mov_b32 m0, ttmp2
.LBB304_2043:                           ; =>This Inner Loop Header: Depth=1
	s_sethalt 5
	s_branch .LBB304_2043
	.section	.rodata,"a",@progbits
	.p2align	6, 0x0
	.amdhsa_kernel _ZN2at6native32elementwise_kernel_manual_unrollILi128ELi4EZNS0_15gpu_kernel_implIZZZNS0_17clamp_kernel_cudaERNS_18TensorIteratorBaseERKN3c106ScalarES8_ENKUlvE_clEvENKUlvE2_clEvEUllE_EEvS4_RKT_EUlibE_EEviT1_
		.amdhsa_group_segment_fixed_size 0
		.amdhsa_private_segment_fixed_size 0
		.amdhsa_kernarg_size 56
		.amdhsa_user_sgpr_count 15
		.amdhsa_user_sgpr_dispatch_ptr 0
		.amdhsa_user_sgpr_queue_ptr 0
		.amdhsa_user_sgpr_kernarg_segment_ptr 1
		.amdhsa_user_sgpr_dispatch_id 0
		.amdhsa_user_sgpr_private_segment_size 0
		.amdhsa_wavefront_size32 1
		.amdhsa_uses_dynamic_stack 0
		.amdhsa_enable_private_segment 0
		.amdhsa_system_sgpr_workgroup_id_x 1
		.amdhsa_system_sgpr_workgroup_id_y 0
		.amdhsa_system_sgpr_workgroup_id_z 0
		.amdhsa_system_sgpr_workgroup_info 0
		.amdhsa_system_vgpr_workitem_id 0
		.amdhsa_next_free_vgpr 17
		.amdhsa_next_free_sgpr 29
		.amdhsa_reserve_vcc 1
		.amdhsa_float_round_mode_32 0
		.amdhsa_float_round_mode_16_64 0
		.amdhsa_float_denorm_mode_32 3
		.amdhsa_float_denorm_mode_16_64 3
		.amdhsa_dx10_clamp 1
		.amdhsa_ieee_mode 1
		.amdhsa_fp16_overflow 0
		.amdhsa_workgroup_processor_mode 1
		.amdhsa_memory_ordered 1
		.amdhsa_forward_progress 0
		.amdhsa_shared_vgpr_count 0
		.amdhsa_exception_fp_ieee_invalid_op 0
		.amdhsa_exception_fp_denorm_src 0
		.amdhsa_exception_fp_ieee_div_zero 0
		.amdhsa_exception_fp_ieee_overflow 0
		.amdhsa_exception_fp_ieee_underflow 0
		.amdhsa_exception_fp_ieee_inexact 0
		.amdhsa_exception_int_div_zero 0
	.end_amdhsa_kernel
	.section	.text._ZN2at6native32elementwise_kernel_manual_unrollILi128ELi4EZNS0_15gpu_kernel_implIZZZNS0_17clamp_kernel_cudaERNS_18TensorIteratorBaseERKN3c106ScalarES8_ENKUlvE_clEvENKUlvE2_clEvEUllE_EEvS4_RKT_EUlibE_EEviT1_,"axG",@progbits,_ZN2at6native32elementwise_kernel_manual_unrollILi128ELi4EZNS0_15gpu_kernel_implIZZZNS0_17clamp_kernel_cudaERNS_18TensorIteratorBaseERKN3c106ScalarES8_ENKUlvE_clEvENKUlvE2_clEvEUllE_EEvS4_RKT_EUlibE_EEviT1_,comdat
.Lfunc_end304:
	.size	_ZN2at6native32elementwise_kernel_manual_unrollILi128ELi4EZNS0_15gpu_kernel_implIZZZNS0_17clamp_kernel_cudaERNS_18TensorIteratorBaseERKN3c106ScalarES8_ENKUlvE_clEvENKUlvE2_clEvEUllE_EEvS4_RKT_EUlibE_EEviT1_, .Lfunc_end304-_ZN2at6native32elementwise_kernel_manual_unrollILi128ELi4EZNS0_15gpu_kernel_implIZZZNS0_17clamp_kernel_cudaERNS_18TensorIteratorBaseERKN3c106ScalarES8_ENKUlvE_clEvENKUlvE2_clEvEUllE_EEvS4_RKT_EUlibE_EEviT1_
                                        ; -- End function
	.section	.AMDGPU.csdata,"",@progbits
; Kernel info:
; codeLenInByte = 46172
; NumSgprs: 31
; NumVgprs: 17
; ScratchSize: 0
; MemoryBound: 1
; FloatMode: 240
; IeeeMode: 1
; LDSByteSize: 0 bytes/workgroup (compile time only)
; SGPRBlocks: 3
; VGPRBlocks: 2
; NumSGPRsForWavesPerEU: 31
; NumVGPRsForWavesPerEU: 17
; Occupancy: 16
; WaveLimiterHint : 0
; COMPUTE_PGM_RSRC2:SCRATCH_EN: 0
; COMPUTE_PGM_RSRC2:USER_SGPR: 15
; COMPUTE_PGM_RSRC2:TRAP_HANDLER: 0
; COMPUTE_PGM_RSRC2:TGID_X_EN: 1
; COMPUTE_PGM_RSRC2:TGID_Y_EN: 0
; COMPUTE_PGM_RSRC2:TGID_Z_EN: 0
; COMPUTE_PGM_RSRC2:TIDIG_COMP_CNT: 0
	.section	.text._ZN2at6native32elementwise_kernel_manual_unrollILi128ELi4EZNS0_15gpu_kernel_implIZZZNS0_17clamp_kernel_cudaERNS_18TensorIteratorBaseERKN3c106ScalarES8_ENKUlvE_clEvENKUlvE2_clEvEUllE_EEvS4_RKT_EUlibE0_EEviT1_,"axG",@progbits,_ZN2at6native32elementwise_kernel_manual_unrollILi128ELi4EZNS0_15gpu_kernel_implIZZZNS0_17clamp_kernel_cudaERNS_18TensorIteratorBaseERKN3c106ScalarES8_ENKUlvE_clEvENKUlvE2_clEvEUllE_EEvS4_RKT_EUlibE0_EEviT1_,comdat
	.globl	_ZN2at6native32elementwise_kernel_manual_unrollILi128ELi4EZNS0_15gpu_kernel_implIZZZNS0_17clamp_kernel_cudaERNS_18TensorIteratorBaseERKN3c106ScalarES8_ENKUlvE_clEvENKUlvE2_clEvEUllE_EEvS4_RKT_EUlibE0_EEviT1_ ; -- Begin function _ZN2at6native32elementwise_kernel_manual_unrollILi128ELi4EZNS0_15gpu_kernel_implIZZZNS0_17clamp_kernel_cudaERNS_18TensorIteratorBaseERKN3c106ScalarES8_ENKUlvE_clEvENKUlvE2_clEvEUllE_EEvS4_RKT_EUlibE0_EEviT1_
	.p2align	8
	.type	_ZN2at6native32elementwise_kernel_manual_unrollILi128ELi4EZNS0_15gpu_kernel_implIZZZNS0_17clamp_kernel_cudaERNS_18TensorIteratorBaseERKN3c106ScalarES8_ENKUlvE_clEvENKUlvE2_clEvEUllE_EEvS4_RKT_EUlibE0_EEviT1_,@function
_ZN2at6native32elementwise_kernel_manual_unrollILi128ELi4EZNS0_15gpu_kernel_implIZZZNS0_17clamp_kernel_cudaERNS_18TensorIteratorBaseERKN3c106ScalarES8_ENKUlvE_clEvENKUlvE2_clEvEUllE_EEvS4_RKT_EUlibE0_EEviT1_: ; @_ZN2at6native32elementwise_kernel_manual_unrollILi128ELi4EZNS0_15gpu_kernel_implIZZZNS0_17clamp_kernel_cudaERNS_18TensorIteratorBaseERKN3c106ScalarES8_ENKUlvE_clEvENKUlvE2_clEvEUllE_EEvS4_RKT_EUlibE0_EEviT1_
; %bb.0:
	s_clause 0x1
	s_load_b32 s28, s[0:1], 0x8
	s_load_b32 s36, s[0:1], 0x0
	v_lshl_or_b32 v8, s15, 9, v0
	s_or_b32 s20, s0, 8
	s_mov_b32 s3, -1
	s_mov_b32 s30, 0
	s_mov_b32 s21, s1
	v_or_b32_e32 v5, 0x180, v8
	s_mov_b32 s12, 0
	s_mov_b32 s2, exec_lo
	s_waitcnt lgkmcnt(0)
	s_add_i32 s29, s28, -1
	s_delay_alu instid0(SALU_CYCLE_1)
	s_cmp_gt_u32 s29, 1
	s_cselect_b32 s31, -1, 0
	v_cmpx_le_i32_e64 s36, v5
	s_xor_b32 s33, exec_lo, s2
	s_cbranch_execz .LBB305_1064
; %bb.1:
	s_clause 0x4
	s_load_b32 s34, s[20:21], 0x168
	s_load_b128 s[16:19], s[20:21], 0x4
	s_load_b64 s[22:23], s[20:21], 0x14
	s_load_b128 s[12:15], s[20:21], 0xc4
	s_load_b256 s[4:11], s[20:21], 0x148
	s_cmp_lg_u32 s28, 0
	s_mov_b32 s42, 0
	s_cselect_b32 s38, -1, 0
	s_add_u32 s24, s20, 0xc4
	s_addc_u32 s25, s21, 0
	s_min_u32 s37, s29, 15
	s_cmp_gt_u32 s28, 1
	s_mov_b32 s40, 0
	s_cselect_b32 s35, -1, 0
	s_mov_b32 s39, 0
	s_mov_b32 s41, exec_lo
	s_waitcnt lgkmcnt(0)
	v_lshrrev_b16 v7, 8, s34
	v_cmpx_gt_i32_e64 s36, v8
	s_cbranch_execz .LBB305_261
; %bb.2:
	s_and_not1_b32 vcc_lo, exec_lo, s31
	s_cbranch_vccnz .LBB305_7
; %bb.3:
	v_dual_mov_b32 v0, 0 :: v_dual_mov_b32 v1, 0
	s_and_not1_b32 vcc_lo, exec_lo, s38
	s_cbranch_vccnz .LBB305_12
; %bb.4:
	v_mov_b32_e32 v0, 0
	s_add_i32 s43, s37, 1
	s_cmp_eq_u32 s29, 2
	s_cbranch_scc1 .LBB305_8
; %bb.5:
	v_dual_mov_b32 v1, 0 :: v_dual_mov_b32 v0, 0
	v_mov_b32_e32 v2, v8
	s_and_b32 s40, s43, 28
	s_mov_b32 s44, 0
	s_mov_b64 s[2:3], s[24:25]
	s_mov_b64 s[26:27], s[20:21]
.LBB305_6:                              ; =>This Inner Loop Header: Depth=1
	s_clause 0x1
	s_load_b256 s[48:55], s[26:27], 0x4
	s_load_b128 s[64:67], s[26:27], 0x24
	s_load_b256 s[56:63], s[2:3], 0x0
	s_add_u32 s26, s26, 48
	s_addc_u32 s27, s27, 0
	s_add_i32 s44, s44, 4
	s_add_u32 s2, s2, 32
	s_addc_u32 s3, s3, 0
	s_cmp_lg_u32 s40, s44
	s_waitcnt lgkmcnt(0)
	v_mul_hi_u32 v3, s49, v2
	s_delay_alu instid0(VALU_DEP_1) | instskip(NEXT) | instid1(VALU_DEP_1)
	v_add_nc_u32_e32 v3, v2, v3
	v_lshrrev_b32_e32 v3, s50, v3
	s_delay_alu instid0(VALU_DEP_1) | instskip(SKIP_1) | instid1(VALU_DEP_2)
	v_mul_hi_u32 v4, s52, v3
	v_mul_lo_u32 v6, v3, s48
	v_add_nc_u32_e32 v4, v3, v4
	s_delay_alu instid0(VALU_DEP_2) | instskip(NEXT) | instid1(VALU_DEP_2)
	v_sub_nc_u32_e32 v2, v2, v6
	v_lshrrev_b32_e32 v4, s53, v4
	s_delay_alu instid0(VALU_DEP_2) | instskip(SKIP_1) | instid1(VALU_DEP_3)
	v_mul_lo_u32 v6, v2, s56
	v_mul_lo_u32 v10, v2, s57
	v_mul_hi_u32 v5, s55, v4
	s_delay_alu instid0(VALU_DEP_1) | instskip(NEXT) | instid1(VALU_DEP_1)
	v_add_nc_u32_e32 v5, v4, v5
	v_lshrrev_b32_e32 v5, s64, v5
	s_delay_alu instid0(VALU_DEP_1) | instskip(SKIP_1) | instid1(VALU_DEP_2)
	v_mul_hi_u32 v9, s66, v5
	v_mul_lo_u32 v11, v5, s54
	v_add_nc_u32_e32 v2, v5, v9
	v_mul_lo_u32 v9, v4, s51
	s_delay_alu instid0(VALU_DEP_3) | instskip(NEXT) | instid1(VALU_DEP_3)
	v_sub_nc_u32_e32 v4, v4, v11
	v_lshrrev_b32_e32 v2, s67, v2
	s_delay_alu instid0(VALU_DEP_2) | instskip(SKIP_2) | instid1(VALU_DEP_4)
	v_mul_lo_u32 v11, v4, s60
	v_mul_lo_u32 v4, v4, s61
	v_sub_nc_u32_e32 v3, v3, v9
	v_mul_lo_u32 v12, v2, s65
	s_delay_alu instid0(VALU_DEP_2) | instskip(SKIP_1) | instid1(VALU_DEP_3)
	v_mul_lo_u32 v9, v3, s58
	v_mul_lo_u32 v3, v3, s59
	v_sub_nc_u32_e32 v5, v5, v12
	s_delay_alu instid0(VALU_DEP_3) | instskip(NEXT) | instid1(VALU_DEP_2)
	v_add3_u32 v0, v6, v0, v9
	v_mul_lo_u32 v12, v5, s62
	v_mul_lo_u32 v5, v5, s63
	v_add3_u32 v1, v10, v1, v3
	s_delay_alu instid0(VALU_DEP_3) | instskip(NEXT) | instid1(VALU_DEP_2)
	v_add3_u32 v0, v11, v0, v12
	v_add3_u32 v1, v4, v1, v5
	s_cbranch_scc1 .LBB305_6
	s_branch .LBB305_9
.LBB305_7:
	s_mov_b32 s39, -1
                                        ; implicit-def: $vgpr0
                                        ; implicit-def: $vgpr1
	s_branch .LBB305_12
.LBB305_8:
	v_dual_mov_b32 v2, v8 :: v_dual_mov_b32 v1, 0
.LBB305_9:
	s_and_b32 s43, s43, 3
	s_delay_alu instid0(SALU_CYCLE_1)
	s_cmp_eq_u32 s43, 0
	s_cbranch_scc1 .LBB305_12
; %bb.10:
	s_lshl_b32 s2, s40, 3
	s_mul_i32 s26, s40, 12
	s_add_u32 s2, s2, s20
	s_addc_u32 s3, s21, 0
	s_add_u32 s2, s2, 0xc4
	s_addc_u32 s3, s3, 0
	;; [unrolled: 2-line block ×3, first 2 shown]
	.p2align	6
.LBB305_11:                             ; =>This Inner Loop Header: Depth=1
	s_clause 0x1
	s_load_b64 s[44:45], s[26:27], 0x4
	s_load_b32 s40, s[26:27], 0xc
	s_load_b64 s[46:47], s[2:3], 0x0
	s_add_u32 s26, s26, 12
	s_addc_u32 s27, s27, 0
	s_add_u32 s2, s2, 8
	s_addc_u32 s3, s3, 0
	s_add_i32 s43, s43, -1
	s_delay_alu instid0(SALU_CYCLE_1) | instskip(SKIP_2) | instid1(VALU_DEP_1)
	s_cmp_lg_u32 s43, 0
	s_waitcnt lgkmcnt(0)
	v_mul_hi_u32 v3, s45, v2
	v_add_nc_u32_e32 v3, v2, v3
	s_delay_alu instid0(VALU_DEP_1) | instskip(NEXT) | instid1(VALU_DEP_1)
	v_lshrrev_b32_e32 v6, s40, v3
	v_mul_lo_u32 v3, v6, s44
	s_delay_alu instid0(VALU_DEP_1) | instskip(NEXT) | instid1(VALU_DEP_1)
	v_sub_nc_u32_e32 v2, v2, v3
	v_mad_u64_u32 v[3:4], null, v2, s46, v[0:1]
	v_mad_u64_u32 v[4:5], null, v2, s47, v[1:2]
	v_mov_b32_e32 v2, v6
	s_delay_alu instid0(VALU_DEP_2)
	v_dual_mov_b32 v0, v3 :: v_dual_mov_b32 v1, v4
	s_cbranch_scc1 .LBB305_11
.LBB305_12:
	s_and_not1_b32 vcc_lo, exec_lo, s39
	s_cbranch_vccnz .LBB305_15
; %bb.13:
	v_mul_hi_u32 v0, s17, v8
	s_and_not1_b32 vcc_lo, exec_lo, s35
	s_delay_alu instid0(VALU_DEP_1) | instskip(NEXT) | instid1(VALU_DEP_1)
	v_add_nc_u32_e32 v0, v8, v0
	v_lshrrev_b32_e32 v2, s18, v0
	s_delay_alu instid0(VALU_DEP_1) | instskip(NEXT) | instid1(VALU_DEP_1)
	v_mul_lo_u32 v0, v2, s16
	v_sub_nc_u32_e32 v1, v8, v0
	s_delay_alu instid0(VALU_DEP_1)
	v_mul_lo_u32 v0, v1, s12
	v_mul_lo_u32 v1, v1, s13
	s_cbranch_vccnz .LBB305_15
; %bb.14:
	v_mul_hi_u32 v3, s22, v2
	s_delay_alu instid0(VALU_DEP_1) | instskip(NEXT) | instid1(VALU_DEP_1)
	v_add_nc_u32_e32 v3, v2, v3
	v_lshrrev_b32_e32 v3, s23, v3
	s_delay_alu instid0(VALU_DEP_1) | instskip(NEXT) | instid1(VALU_DEP_1)
	v_mul_lo_u32 v3, v3, s19
	v_sub_nc_u32_e32 v5, v2, v3
	s_delay_alu instid0(VALU_DEP_1) | instskip(NEXT) | instid1(VALU_DEP_1)
	v_mad_u64_u32 v[2:3], null, v5, s14, v[0:1]
	v_mad_u64_u32 v[3:4], null, v5, s15, v[1:2]
	s_delay_alu instid0(VALU_DEP_1)
	v_dual_mov_b32 v0, v2 :: v_dual_mov_b32 v1, v3
.LBB305_15:
	v_cmp_gt_i16_e32 vcc_lo, 11, v7
	s_delay_alu instid0(VALU_DEP_2) | instskip(NEXT) | instid1(VALU_DEP_1)
	v_add_co_u32 v1, s2, s6, v1
	v_add_co_ci_u32_e64 v2, null, s7, 0, s2
	s_mov_b32 s26, 0
	s_cbranch_vccnz .LBB305_22
; %bb.16:
	v_cmp_lt_i16_e32 vcc_lo, 25, v7
	s_cbranch_vccz .LBB305_70
; %bb.17:
	v_cmp_lt_i16_e32 vcc_lo, 28, v7
	s_cbranch_vccz .LBB305_71
	;; [unrolled: 3-line block ×4, first 2 shown]
; %bb.20:
	v_cmp_eq_u16_e32 vcc_lo, 46, v7
	s_mov_b32 s3, 0
	s_cbranch_vccz .LBB305_77
; %bb.21:
	global_load_b32 v3, v[1:2], off
	s_mov_b32 s2, -1
	s_waitcnt vmcnt(0)
	v_lshlrev_b32_e32 v3, 16, v3
	s_delay_alu instid0(VALU_DEP_1) | instskip(NEXT) | instid1(VALU_DEP_1)
	v_trunc_f32_e32 v3, v3
	v_mul_f32_e64 v4, 0x2f800000, |v3|
	v_ashrrev_i32_e32 v6, 31, v3
	s_delay_alu instid0(VALU_DEP_2) | instskip(NEXT) | instid1(VALU_DEP_1)
	v_floor_f32_e32 v4, v4
	v_fma_f32 v5, 0xcf800000, v4, |v3|
	v_cvt_u32_f32_e32 v4, v4
	s_delay_alu instid0(VALU_DEP_2) | instskip(NEXT) | instid1(VALU_DEP_2)
	v_cvt_u32_f32_e32 v3, v5
	v_xor_b32_e32 v4, v4, v6
	s_delay_alu instid0(VALU_DEP_2) | instskip(NEXT) | instid1(VALU_DEP_1)
	v_xor_b32_e32 v3, v3, v6
	v_sub_co_u32 v3, vcc_lo, v3, v6
	s_delay_alu instid0(VALU_DEP_3)
	v_sub_co_ci_u32_e32 v4, vcc_lo, v4, v6, vcc_lo
	s_branch .LBB305_79
.LBB305_22:
	s_mov_b32 s2, 0
                                        ; implicit-def: $vgpr3_vgpr4
	s_cbranch_execnz .LBB305_211
.LBB305_23:
	s_and_not1_b32 vcc_lo, exec_lo, s2
	s_cbranch_vccnz .LBB305_258
.LBB305_24:
	s_waitcnt vmcnt(0)
	s_delay_alu instid0(VALU_DEP_1) | instskip(SKIP_1) | instid1(VALU_DEP_1)
	v_cmp_lt_i64_e32 vcc_lo, s[8:9], v[3:4]
	v_add_co_u32 v0, s27, s4, v0
	v_add_co_ci_u32_e64 v1, null, s5, 0, s27
	s_mov_b32 s3, 0
	v_cndmask_b32_e32 v6, s9, v4, vcc_lo
	v_cndmask_b32_e32 v5, s8, v3, vcc_lo
	v_and_b32_e64 v4, 0xff, s34
	s_mov_b32 s39, -1
	s_mov_b32 s27, 0
	s_delay_alu instid0(VALU_DEP_2) | instskip(NEXT) | instid1(VALU_DEP_2)
	v_cmp_gt_i64_e64 s2, s[10:11], v[5:6]
	v_cmp_gt_i16_e32 vcc_lo, 11, v4
	s_delay_alu instid0(VALU_DEP_2)
	v_cndmask_b32_e64 v3, s11, v6, s2
	v_cndmask_b32_e64 v2, s10, v5, s2
	s_cbranch_vccnz .LBB305_31
; %bb.25:
	v_cmp_lt_i16_e32 vcc_lo, 25, v4
	s_cbranch_vccz .LBB305_72
; %bb.26:
	v_cmp_lt_i16_e32 vcc_lo, 28, v4
	s_cbranch_vccz .LBB305_74
	;; [unrolled: 3-line block ×4, first 2 shown]
; %bb.29:
	v_cmp_eq_u16_e32 vcc_lo, 46, v4
	s_mov_b32 s2, 0
	s_mov_b32 s3, -1
	s_cbranch_vccz .LBB305_83
; %bb.30:
	v_xor_b32_e32 v5, v2, v3
	v_cls_i32_e32 v6, v3
	s_mov_b32 s27, -1
	s_mov_b32 s3, 0
	s_delay_alu instid0(VALU_DEP_2) | instskip(NEXT) | instid1(VALU_DEP_2)
	v_ashrrev_i32_e32 v5, 31, v5
	v_add_nc_u32_e32 v6, -1, v6
	s_delay_alu instid0(VALU_DEP_2) | instskip(NEXT) | instid1(VALU_DEP_1)
	v_add_nc_u32_e32 v5, 32, v5
	v_min_u32_e32 v9, v6, v5
	s_delay_alu instid0(VALU_DEP_1) | instskip(NEXT) | instid1(VALU_DEP_1)
	v_lshlrev_b64 v[5:6], v9, v[2:3]
	v_min_u32_e32 v5, 1, v5
	s_delay_alu instid0(VALU_DEP_1) | instskip(SKIP_1) | instid1(VALU_DEP_2)
	v_or_b32_e32 v5, v6, v5
	v_sub_nc_u32_e32 v6, 32, v9
	v_cvt_f32_i32_e32 v5, v5
	s_delay_alu instid0(VALU_DEP_1) | instskip(NEXT) | instid1(VALU_DEP_1)
	v_ldexp_f32 v5, v5, v6
	v_bfe_u32 v6, v5, 16, 1
	s_delay_alu instid0(VALU_DEP_1) | instskip(NEXT) | instid1(VALU_DEP_1)
	v_add3_u32 v5, v5, v6, 0x7fff
	v_lshrrev_b32_e32 v5, 16, v5
	global_store_b32 v[0:1], v5, off
	s_branch .LBB305_83
.LBB305_31:
	s_and_b32 vcc_lo, exec_lo, s39
	s_cbranch_vccz .LBB305_152
; %bb.32:
	v_cmp_gt_i16_e32 vcc_lo, 5, v4
	s_mov_b32 s2, -1
	s_cbranch_vccnz .LBB305_53
; %bb.33:
	v_cmp_gt_i16_e32 vcc_lo, 8, v4
	s_cbranch_vccnz .LBB305_43
; %bb.34:
	v_cmp_gt_i16_e32 vcc_lo, 9, v4
	s_cbranch_vccnz .LBB305_40
; %bb.35:
	v_cmp_lt_i16_e32 vcc_lo, 9, v4
	s_cbranch_vccz .LBB305_37
; %bb.36:
	v_cvt_f64_i32_e32 v[5:6], v3
	v_cvt_f64_u32_e32 v[9:10], v2
	v_mov_b32_e32 v11, 0
	s_mov_b32 s2, 0
	s_delay_alu instid0(VALU_DEP_1) | instskip(NEXT) | instid1(VALU_DEP_4)
	v_mov_b32_e32 v12, v11
	v_ldexp_f64 v[5:6], v[5:6], 32
	s_delay_alu instid0(VALU_DEP_1)
	v_add_f64 v[9:10], v[5:6], v[9:10]
	global_store_b128 v[0:1], v[9:12], off
.LBB305_37:
	s_and_not1_b32 vcc_lo, exec_lo, s2
	s_cbranch_vccnz .LBB305_39
; %bb.38:
	v_xor_b32_e32 v5, v2, v3
	v_cls_i32_e32 v6, v3
	s_delay_alu instid0(VALU_DEP_2) | instskip(NEXT) | instid1(VALU_DEP_2)
	v_ashrrev_i32_e32 v5, 31, v5
	v_add_nc_u32_e32 v6, -1, v6
	s_delay_alu instid0(VALU_DEP_2) | instskip(NEXT) | instid1(VALU_DEP_1)
	v_add_nc_u32_e32 v5, 32, v5
	v_min_u32_e32 v9, v6, v5
	s_delay_alu instid0(VALU_DEP_1) | instskip(NEXT) | instid1(VALU_DEP_1)
	v_lshlrev_b64 v[5:6], v9, v[2:3]
	v_min_u32_e32 v5, 1, v5
	s_delay_alu instid0(VALU_DEP_1) | instskip(SKIP_1) | instid1(VALU_DEP_2)
	v_or_b32_e32 v5, v6, v5
	v_sub_nc_u32_e32 v6, 32, v9
	v_cvt_f32_i32_e32 v5, v5
	s_delay_alu instid0(VALU_DEP_1)
	v_ldexp_f32 v5, v5, v6
	v_mov_b32_e32 v6, 0
	global_store_b64 v[0:1], v[5:6], off
.LBB305_39:
	s_mov_b32 s2, 0
.LBB305_40:
	s_delay_alu instid0(SALU_CYCLE_1)
	s_and_not1_b32 vcc_lo, exec_lo, s2
	s_cbranch_vccnz .LBB305_42
; %bb.41:
	v_xor_b32_e32 v5, v2, v3
	v_cls_i32_e32 v6, v3
	s_delay_alu instid0(VALU_DEP_2) | instskip(NEXT) | instid1(VALU_DEP_2)
	v_ashrrev_i32_e32 v5, 31, v5
	v_add_nc_u32_e32 v6, -1, v6
	s_delay_alu instid0(VALU_DEP_2) | instskip(NEXT) | instid1(VALU_DEP_1)
	v_add_nc_u32_e32 v5, 32, v5
	v_min_u32_e32 v9, v6, v5
	s_delay_alu instid0(VALU_DEP_1) | instskip(NEXT) | instid1(VALU_DEP_1)
	v_lshlrev_b64 v[5:6], v9, v[2:3]
	v_min_u32_e32 v5, 1, v5
	s_delay_alu instid0(VALU_DEP_1) | instskip(SKIP_1) | instid1(VALU_DEP_2)
	v_or_b32_e32 v5, v6, v5
	v_sub_nc_u32_e32 v6, 32, v9
	v_cvt_f32_i32_e32 v5, v5
	s_delay_alu instid0(VALU_DEP_1) | instskip(NEXT) | instid1(VALU_DEP_1)
	v_ldexp_f32 v5, v5, v6
	v_cvt_f16_f32_e32 v5, v5
	s_delay_alu instid0(VALU_DEP_1)
	v_and_b32_e32 v5, 0xffff, v5
	global_store_b32 v[0:1], v5, off
.LBB305_42:
	s_mov_b32 s2, 0
.LBB305_43:
	s_delay_alu instid0(SALU_CYCLE_1)
	s_and_not1_b32 vcc_lo, exec_lo, s2
	s_cbranch_vccnz .LBB305_52
; %bb.44:
	v_cmp_gt_i16_e32 vcc_lo, 6, v4
	s_mov_b32 s2, -1
	s_cbranch_vccnz .LBB305_50
; %bb.45:
	v_cmp_lt_i16_e32 vcc_lo, 6, v4
	s_cbranch_vccz .LBB305_47
; %bb.46:
	v_cvt_f64_i32_e32 v[5:6], v3
	v_cvt_f64_u32_e32 v[9:10], v2
	s_mov_b32 s2, 0
	s_delay_alu instid0(VALU_DEP_2) | instskip(NEXT) | instid1(VALU_DEP_1)
	v_ldexp_f64 v[5:6], v[5:6], 32
	v_add_f64 v[5:6], v[5:6], v[9:10]
	global_store_b64 v[0:1], v[5:6], off
.LBB305_47:
	s_and_not1_b32 vcc_lo, exec_lo, s2
	s_cbranch_vccnz .LBB305_49
; %bb.48:
	v_xor_b32_e32 v5, v2, v3
	v_cls_i32_e32 v6, v3
	s_delay_alu instid0(VALU_DEP_2) | instskip(NEXT) | instid1(VALU_DEP_2)
	v_ashrrev_i32_e32 v5, 31, v5
	v_add_nc_u32_e32 v6, -1, v6
	s_delay_alu instid0(VALU_DEP_2) | instskip(NEXT) | instid1(VALU_DEP_1)
	v_add_nc_u32_e32 v5, 32, v5
	v_min_u32_e32 v9, v6, v5
	s_delay_alu instid0(VALU_DEP_1) | instskip(NEXT) | instid1(VALU_DEP_1)
	v_lshlrev_b64 v[5:6], v9, v[2:3]
	v_min_u32_e32 v5, 1, v5
	s_delay_alu instid0(VALU_DEP_1) | instskip(SKIP_1) | instid1(VALU_DEP_2)
	v_or_b32_e32 v5, v6, v5
	v_sub_nc_u32_e32 v6, 32, v9
	v_cvt_f32_i32_e32 v5, v5
	s_delay_alu instid0(VALU_DEP_1)
	v_ldexp_f32 v5, v5, v6
	global_store_b32 v[0:1], v5, off
.LBB305_49:
	s_mov_b32 s2, 0
.LBB305_50:
	s_delay_alu instid0(SALU_CYCLE_1)
	s_and_not1_b32 vcc_lo, exec_lo, s2
	s_cbranch_vccnz .LBB305_52
; %bb.51:
	v_xor_b32_e32 v5, v2, v3
	v_cls_i32_e32 v6, v3
	s_delay_alu instid0(VALU_DEP_2) | instskip(NEXT) | instid1(VALU_DEP_2)
	v_ashrrev_i32_e32 v5, 31, v5
	v_add_nc_u32_e32 v6, -1, v6
	s_delay_alu instid0(VALU_DEP_2) | instskip(NEXT) | instid1(VALU_DEP_1)
	v_add_nc_u32_e32 v5, 32, v5
	v_min_u32_e32 v9, v6, v5
	s_delay_alu instid0(VALU_DEP_1) | instskip(NEXT) | instid1(VALU_DEP_1)
	v_lshlrev_b64 v[5:6], v9, v[2:3]
	v_min_u32_e32 v5, 1, v5
	s_delay_alu instid0(VALU_DEP_1) | instskip(SKIP_1) | instid1(VALU_DEP_2)
	v_or_b32_e32 v5, v6, v5
	v_sub_nc_u32_e32 v6, 32, v9
	v_cvt_f32_i32_e32 v5, v5
	s_delay_alu instid0(VALU_DEP_1) | instskip(NEXT) | instid1(VALU_DEP_1)
	v_ldexp_f32 v5, v5, v6
	v_cvt_f16_f32_e32 v5, v5
	global_store_b16 v[0:1], v5, off
.LBB305_52:
	s_mov_b32 s2, 0
.LBB305_53:
	s_delay_alu instid0(SALU_CYCLE_1)
	s_and_not1_b32 vcc_lo, exec_lo, s2
	s_cbranch_vccnz .LBB305_69
; %bb.54:
	v_cmp_gt_i16_e32 vcc_lo, 2, v4
	s_mov_b32 s2, -1
	s_cbranch_vccnz .LBB305_64
; %bb.55:
	v_cmp_gt_i16_e32 vcc_lo, 3, v4
	s_cbranch_vccnz .LBB305_61
; %bb.56:
	v_cmp_lt_i16_e32 vcc_lo, 3, v4
	s_cbranch_vccz .LBB305_58
; %bb.57:
	s_mov_b32 s2, 0
	global_store_b64 v[0:1], v[2:3], off
.LBB305_58:
	s_and_not1_b32 vcc_lo, exec_lo, s2
	s_cbranch_vccnz .LBB305_60
; %bb.59:
	global_store_b32 v[0:1], v2, off
.LBB305_60:
	s_mov_b32 s2, 0
.LBB305_61:
	s_delay_alu instid0(SALU_CYCLE_1)
	s_and_not1_b32 vcc_lo, exec_lo, s2
	s_cbranch_vccnz .LBB305_63
; %bb.62:
	global_store_b16 v[0:1], v2, off
.LBB305_63:
	s_mov_b32 s2, 0
.LBB305_64:
	s_delay_alu instid0(SALU_CYCLE_1)
	s_and_not1_b32 vcc_lo, exec_lo, s2
	s_cbranch_vccnz .LBB305_69
; %bb.65:
	v_cmp_lt_i16_e32 vcc_lo, 0, v4
	s_mov_b32 s2, -1
	s_cbranch_vccz .LBB305_67
; %bb.66:
	s_mov_b32 s2, 0
	global_store_b8 v[0:1], v2, off
.LBB305_67:
	s_and_not1_b32 vcc_lo, exec_lo, s2
	s_cbranch_vccnz .LBB305_69
; %bb.68:
	global_store_b8 v[0:1], v2, off
.LBB305_69:
	s_branch .LBB305_153
.LBB305_70:
	s_mov_b32 s2, 0
                                        ; implicit-def: $vgpr3_vgpr4
	s_cbranch_execnz .LBB305_180
	s_branch .LBB305_210
.LBB305_71:
	s_mov_b32 s3, -1
	s_mov_b32 s2, 0
                                        ; implicit-def: $vgpr3_vgpr4
	s_branch .LBB305_161
.LBB305_72:
	s_mov_b32 s2, -1
	s_branch .LBB305_110
.LBB305_73:
	s_mov_b32 s3, -1
	s_mov_b32 s2, 0
                                        ; implicit-def: $vgpr3_vgpr4
	s_branch .LBB305_156
.LBB305_74:
	s_mov_b32 s2, -1
	s_branch .LBB305_93
.LBB305_75:
	s_mov_b32 s3, -1
	s_branch .LBB305_78
.LBB305_76:
	s_mov_b32 s2, -1
	s_branch .LBB305_89
.LBB305_77:
	s_mov_b32 s26, -1
.LBB305_78:
	s_mov_b32 s2, 0
                                        ; implicit-def: $vgpr3_vgpr4
.LBB305_79:
	s_and_b32 vcc_lo, exec_lo, s3
	s_cbranch_vccz .LBB305_155
; %bb.80:
	v_cmp_eq_u16_e32 vcc_lo, 44, v7
	s_cbranch_vccz .LBB305_154
; %bb.81:
	global_load_u8 v3, v[1:2], off
	s_mov_b32 s26, 0
	s_mov_b32 s2, -1
	s_waitcnt vmcnt(0)
	v_lshlrev_b32_e32 v4, 23, v3
	s_delay_alu instid0(VALU_DEP_1) | instskip(NEXT) | instid1(VALU_DEP_1)
	v_trunc_f32_e32 v4, v4
	v_mul_f32_e64 v5, 0x2f800000, |v4|
	s_delay_alu instid0(VALU_DEP_1) | instskip(NEXT) | instid1(VALU_DEP_1)
	v_floor_f32_e32 v5, v5
	v_fma_f32 v6, 0xcf800000, v5, |v4|
	v_ashrrev_i32_e32 v4, 31, v4
	v_cvt_u32_f32_e32 v5, v5
	s_delay_alu instid0(VALU_DEP_3) | instskip(NEXT) | instid1(VALU_DEP_2)
	v_cvt_u32_f32_e32 v6, v6
	v_xor_b32_e32 v5, v5, v4
	s_delay_alu instid0(VALU_DEP_2) | instskip(NEXT) | instid1(VALU_DEP_1)
	v_xor_b32_e32 v6, v6, v4
	v_sub_co_u32 v6, vcc_lo, v6, v4
	s_delay_alu instid0(VALU_DEP_3) | instskip(SKIP_1) | instid1(VALU_DEP_2)
	v_sub_co_ci_u32_e32 v4, vcc_lo, v5, v4, vcc_lo
	v_cmp_ne_u32_e32 vcc_lo, 0, v3
	v_dual_cndmask_b32 v3, 0, v6 :: v_dual_cndmask_b32 v4, 0, v4
	s_branch .LBB305_155
.LBB305_82:
	s_mov_b32 s2, -1
.LBB305_83:
	s_delay_alu instid0(SALU_CYCLE_1)
	s_and_b32 vcc_lo, exec_lo, s2
	s_cbranch_vccz .LBB305_88
; %bb.84:
	v_cmp_eq_u16_e32 vcc_lo, 44, v4
	s_mov_b32 s3, -1
	s_cbranch_vccz .LBB305_88
; %bb.85:
	v_xor_b32_e32 v5, v2, v3
	v_cls_i32_e32 v6, v3
	s_mov_b32 s27, -1
	s_mov_b32 s3, exec_lo
	s_delay_alu instid0(VALU_DEP_2) | instskip(NEXT) | instid1(VALU_DEP_2)
	v_ashrrev_i32_e32 v5, 31, v5
	v_add_nc_u32_e32 v6, -1, v6
	s_delay_alu instid0(VALU_DEP_2) | instskip(NEXT) | instid1(VALU_DEP_1)
	v_add_nc_u32_e32 v5, 32, v5
	v_min_u32_e32 v9, v6, v5
	s_delay_alu instid0(VALU_DEP_1) | instskip(NEXT) | instid1(VALU_DEP_1)
	v_lshlrev_b64 v[5:6], v9, v[2:3]
	v_min_u32_e32 v5, 1, v5
	s_delay_alu instid0(VALU_DEP_1) | instskip(SKIP_1) | instid1(VALU_DEP_2)
	v_or_b32_e32 v5, v6, v5
	v_sub_nc_u32_e32 v6, 32, v9
	v_cvt_f32_i32_e32 v5, v5
	s_delay_alu instid0(VALU_DEP_1) | instskip(SKIP_1) | instid1(VALU_DEP_2)
	v_ldexp_f32 v5, v5, v6
	v_mov_b32_e32 v6, 0xff
	v_bfe_u32 v9, v5, 23, 8
	s_delay_alu instid0(VALU_DEP_1)
	v_cmpx_ne_u32_e32 0xff, v9
; %bb.86:
	v_and_b32_e32 v6, 0x400000, v5
	v_and_or_b32 v9, 0x3fffff, v5, v9
	v_lshrrev_b32_e32 v5, 23, v5
	s_delay_alu instid0(VALU_DEP_3) | instskip(NEXT) | instid1(VALU_DEP_3)
	v_cmp_ne_u32_e32 vcc_lo, 0, v6
	v_cmp_ne_u32_e64 s2, 0, v9
	s_delay_alu instid0(VALU_DEP_1) | instskip(NEXT) | instid1(SALU_CYCLE_1)
	s_and_b32 s2, vcc_lo, s2
	v_cndmask_b32_e64 v6, 0, 1, s2
	s_delay_alu instid0(VALU_DEP_1)
	v_add_nc_u32_e32 v6, v5, v6
; %bb.87:
	s_or_b32 exec_lo, exec_lo, s3
	s_mov_b32 s3, 0
	global_store_b8 v[0:1], v6, off
.LBB305_88:
	s_mov_b32 s2, 0
.LBB305_89:
	s_delay_alu instid0(SALU_CYCLE_1)
	s_and_b32 vcc_lo, exec_lo, s2
	s_cbranch_vccz .LBB305_92
; %bb.90:
	v_cmp_eq_u16_e32 vcc_lo, 29, v4
	s_mov_b32 s3, -1
	s_cbranch_vccz .LBB305_92
; %bb.91:
	s_mov_b32 s27, -1
	s_mov_b32 s3, 0
	global_store_b64 v[0:1], v[2:3], off
.LBB305_92:
	s_mov_b32 s2, 0
.LBB305_93:
	s_delay_alu instid0(SALU_CYCLE_1)
	s_and_b32 vcc_lo, exec_lo, s2
	s_cbranch_vccz .LBB305_109
; %bb.94:
	v_cmp_gt_i16_e32 vcc_lo, 27, v4
	s_mov_b32 s2, -1
	s_cbranch_vccnz .LBB305_100
; %bb.95:
	v_cmp_lt_i16_e32 vcc_lo, 27, v4
	s_cbranch_vccz .LBB305_97
; %bb.96:
	s_mov_b32 s2, 0
	global_store_b32 v[0:1], v2, off
.LBB305_97:
	s_and_not1_b32 vcc_lo, exec_lo, s2
	s_cbranch_vccnz .LBB305_99
; %bb.98:
	global_store_b16 v[0:1], v2, off
.LBB305_99:
	s_mov_b32 s2, 0
.LBB305_100:
	s_delay_alu instid0(SALU_CYCLE_1)
	s_and_not1_b32 vcc_lo, exec_lo, s2
	s_cbranch_vccnz .LBB305_108
; %bb.101:
	v_xor_b32_e32 v5, v2, v3
	v_cls_i32_e32 v6, v3
	s_mov_b32 s2, exec_lo
	s_delay_alu instid0(VALU_DEP_2) | instskip(NEXT) | instid1(VALU_DEP_2)
	v_ashrrev_i32_e32 v5, 31, v5
	v_add_nc_u32_e32 v6, -1, v6
	s_delay_alu instid0(VALU_DEP_2) | instskip(NEXT) | instid1(VALU_DEP_1)
	v_add_nc_u32_e32 v5, 32, v5
	v_min_u32_e32 v9, v6, v5
	s_delay_alu instid0(VALU_DEP_1) | instskip(NEXT) | instid1(VALU_DEP_1)
	v_lshlrev_b64 v[5:6], v9, v[2:3]
	v_min_u32_e32 v5, 1, v5
	s_delay_alu instid0(VALU_DEP_1) | instskip(SKIP_2) | instid1(VALU_DEP_3)
	v_or_b32_e32 v5, v6, v5
	v_sub_nc_u32_e32 v6, 32, v9
	v_mov_b32_e32 v9, 0x80
	v_cvt_f32_i32_e32 v5, v5
	s_delay_alu instid0(VALU_DEP_1) | instskip(NEXT) | instid1(VALU_DEP_1)
	v_ldexp_f32 v5, v5, v6
	v_and_b32_e32 v6, 0x7fffffff, v5
	s_delay_alu instid0(VALU_DEP_1)
	v_cmpx_gt_u32_e32 0x43800000, v6
	s_cbranch_execz .LBB305_107
; %bb.102:
	v_cmp_lt_u32_e32 vcc_lo, 0x3bffffff, v6
	s_mov_b32 s27, 0
                                        ; implicit-def: $vgpr6
	s_and_saveexec_b32 s39, vcc_lo
	s_delay_alu instid0(SALU_CYCLE_1)
	s_xor_b32 s39, exec_lo, s39
	s_cbranch_execz .LBB305_337
; %bb.103:
	v_bfe_u32 v6, v5, 20, 1
	s_mov_b32 s27, exec_lo
	s_delay_alu instid0(VALU_DEP_1) | instskip(NEXT) | instid1(VALU_DEP_1)
	v_add3_u32 v6, v5, v6, 0x487ffff
	v_lshrrev_b32_e32 v6, 20, v6
	s_or_saveexec_b32 s39, s39
                                        ; implicit-def: $sgpr40
	s_delay_alu instid0(SALU_CYCLE_1)
	s_xor_b32 exec_lo, exec_lo, s39
	s_cbranch_execnz .LBB305_338
.LBB305_104:
	s_or_b32 exec_lo, exec_lo, s39
	v_mov_b32_e32 v9, s40
	s_and_saveexec_b32 s39, s27
.LBB305_105:
	v_lshrrev_b32_e32 v5, 24, v5
	s_delay_alu instid0(VALU_DEP_1)
	v_and_or_b32 v9, 0x80, v5, v6
.LBB305_106:
	s_or_b32 exec_lo, exec_lo, s39
.LBB305_107:
	s_delay_alu instid0(SALU_CYCLE_1)
	s_or_b32 exec_lo, exec_lo, s2
	global_store_b8 v[0:1], v9, off
.LBB305_108:
	s_mov_b32 s27, -1
.LBB305_109:
	s_mov_b32 s2, 0
.LBB305_110:
	s_delay_alu instid0(SALU_CYCLE_1)
	s_and_b32 vcc_lo, exec_lo, s2
	s_cbranch_vccz .LBB305_151
; %bb.111:
	v_cmp_lt_i16_e32 vcc_lo, 22, v4
	s_mov_b32 s2, -1
	s_cbranch_vccz .LBB305_143
; %bb.112:
	v_cmp_gt_i16_e32 vcc_lo, 24, v4
	s_cbranch_vccnz .LBB305_132
; %bb.113:
	v_cmp_lt_i16_e32 vcc_lo, 24, v4
	s_cbranch_vccz .LBB305_121
; %bb.114:
	v_xor_b32_e32 v5, v2, v3
	v_cls_i32_e32 v6, v3
	s_mov_b32 s2, exec_lo
	s_delay_alu instid0(VALU_DEP_2) | instskip(NEXT) | instid1(VALU_DEP_2)
	v_ashrrev_i32_e32 v5, 31, v5
	v_add_nc_u32_e32 v6, -1, v6
	s_delay_alu instid0(VALU_DEP_2) | instskip(NEXT) | instid1(VALU_DEP_1)
	v_add_nc_u32_e32 v5, 32, v5
	v_min_u32_e32 v9, v6, v5
	s_delay_alu instid0(VALU_DEP_1) | instskip(NEXT) | instid1(VALU_DEP_1)
	v_lshlrev_b64 v[5:6], v9, v[2:3]
	v_min_u32_e32 v5, 1, v5
	s_delay_alu instid0(VALU_DEP_1) | instskip(SKIP_2) | instid1(VALU_DEP_3)
	v_or_b32_e32 v5, v6, v5
	v_sub_nc_u32_e32 v6, 32, v9
	v_mov_b32_e32 v9, 0x80
	v_cvt_f32_i32_e32 v5, v5
	s_delay_alu instid0(VALU_DEP_1) | instskip(NEXT) | instid1(VALU_DEP_1)
	v_ldexp_f32 v5, v5, v6
	v_and_b32_e32 v6, 0x7fffffff, v5
	s_delay_alu instid0(VALU_DEP_1)
	v_cmpx_gt_u32_e32 0x47800000, v6
	s_cbranch_execz .LBB305_120
; %bb.115:
	v_cmp_lt_u32_e32 vcc_lo, 0x37ffffff, v6
	s_mov_b32 s27, 0
                                        ; implicit-def: $vgpr6
	s_and_saveexec_b32 s39, vcc_lo
	s_delay_alu instid0(SALU_CYCLE_1)
	s_xor_b32 s39, exec_lo, s39
	s_cbranch_execz .LBB305_341
; %bb.116:
	v_bfe_u32 v6, v5, 21, 1
	s_mov_b32 s27, exec_lo
	s_delay_alu instid0(VALU_DEP_1) | instskip(NEXT) | instid1(VALU_DEP_1)
	v_add3_u32 v6, v5, v6, 0x88fffff
	v_lshrrev_b32_e32 v6, 21, v6
	s_or_saveexec_b32 s39, s39
                                        ; implicit-def: $sgpr40
	s_delay_alu instid0(SALU_CYCLE_1)
	s_xor_b32 exec_lo, exec_lo, s39
	s_cbranch_execnz .LBB305_342
.LBB305_117:
	s_or_b32 exec_lo, exec_lo, s39
	v_mov_b32_e32 v9, s40
	s_and_saveexec_b32 s39, s27
.LBB305_118:
	v_lshrrev_b32_e32 v5, 24, v5
	s_delay_alu instid0(VALU_DEP_1)
	v_and_or_b32 v9, 0x80, v5, v6
.LBB305_119:
	s_or_b32 exec_lo, exec_lo, s39
.LBB305_120:
	s_delay_alu instid0(SALU_CYCLE_1)
	s_or_b32 exec_lo, exec_lo, s2
	s_mov_b32 s2, 0
	global_store_b8 v[0:1], v9, off
.LBB305_121:
	s_and_b32 vcc_lo, exec_lo, s2
	s_cbranch_vccz .LBB305_131
; %bb.122:
	v_xor_b32_e32 v5, v2, v3
	v_cls_i32_e32 v6, v3
	s_mov_b32 s2, exec_lo
	s_delay_alu instid0(VALU_DEP_2) | instskip(NEXT) | instid1(VALU_DEP_2)
	v_ashrrev_i32_e32 v5, 31, v5
	v_add_nc_u32_e32 v6, -1, v6
	s_delay_alu instid0(VALU_DEP_2) | instskip(NEXT) | instid1(VALU_DEP_1)
	v_add_nc_u32_e32 v5, 32, v5
	v_min_u32_e32 v9, v6, v5
	s_delay_alu instid0(VALU_DEP_1) | instskip(NEXT) | instid1(VALU_DEP_1)
	v_lshlrev_b64 v[5:6], v9, v[2:3]
	v_min_u32_e32 v5, 1, v5
	s_delay_alu instid0(VALU_DEP_1) | instskip(SKIP_1) | instid1(VALU_DEP_2)
	v_or_b32_e32 v5, v6, v5
	v_sub_nc_u32_e32 v6, 32, v9
	v_cvt_f32_i32_e32 v5, v5
	s_delay_alu instid0(VALU_DEP_1) | instskip(NEXT) | instid1(VALU_DEP_1)
	v_ldexp_f32 v5, v5, v6
                                        ; implicit-def: $vgpr6
	v_and_b32_e32 v9, 0x7fffffff, v5
	s_delay_alu instid0(VALU_DEP_1)
	v_cmpx_gt_u32_e32 0x43f00000, v9
	s_xor_b32 s2, exec_lo, s2
	s_cbranch_execz .LBB305_128
; %bb.123:
	s_mov_b32 s27, exec_lo
                                        ; implicit-def: $vgpr6
	v_cmpx_lt_u32_e32 0x3c7fffff, v9
	s_xor_b32 s27, exec_lo, s27
; %bb.124:
	v_bfe_u32 v6, v5, 20, 1
	s_delay_alu instid0(VALU_DEP_1) | instskip(NEXT) | instid1(VALU_DEP_1)
	v_add3_u32 v6, v5, v6, 0x407ffff
	v_and_b32_e32 v9, 0xff00000, v6
	v_lshrrev_b32_e32 v6, 20, v6
	s_delay_alu instid0(VALU_DEP_2) | instskip(NEXT) | instid1(VALU_DEP_2)
	v_cmp_ne_u32_e32 vcc_lo, 0x7f00000, v9
	v_cndmask_b32_e32 v6, 0x7e, v6, vcc_lo
; %bb.125:
	s_and_not1_saveexec_b32 s27, s27
; %bb.126:
	v_add_f32_e64 v6, 0x46800000, |v5|
; %bb.127:
	s_or_b32 exec_lo, exec_lo, s27
                                        ; implicit-def: $vgpr9
.LBB305_128:
	s_and_not1_saveexec_b32 s2, s2
; %bb.129:
	v_mov_b32_e32 v6, 0x7f
	v_cmp_lt_u32_e32 vcc_lo, 0x7f800000, v9
	s_delay_alu instid0(VALU_DEP_2)
	v_cndmask_b32_e32 v6, 0x7e, v6, vcc_lo
; %bb.130:
	s_or_b32 exec_lo, exec_lo, s2
	v_lshrrev_b32_e32 v5, 24, v5
	s_delay_alu instid0(VALU_DEP_1)
	v_and_or_b32 v5, 0x80, v5, v6
	global_store_b8 v[0:1], v5, off
.LBB305_131:
	s_mov_b32 s2, 0
.LBB305_132:
	s_delay_alu instid0(SALU_CYCLE_1)
	s_and_not1_b32 vcc_lo, exec_lo, s2
	s_cbranch_vccnz .LBB305_142
; %bb.133:
	v_xor_b32_e32 v5, v2, v3
	v_cls_i32_e32 v6, v3
	s_mov_b32 s2, exec_lo
	s_delay_alu instid0(VALU_DEP_2) | instskip(NEXT) | instid1(VALU_DEP_2)
	v_ashrrev_i32_e32 v5, 31, v5
	v_add_nc_u32_e32 v6, -1, v6
	s_delay_alu instid0(VALU_DEP_2) | instskip(NEXT) | instid1(VALU_DEP_1)
	v_add_nc_u32_e32 v5, 32, v5
	v_min_u32_e32 v9, v6, v5
	s_delay_alu instid0(VALU_DEP_1) | instskip(NEXT) | instid1(VALU_DEP_1)
	v_lshlrev_b64 v[5:6], v9, v[2:3]
	v_min_u32_e32 v5, 1, v5
	s_delay_alu instid0(VALU_DEP_1) | instskip(SKIP_1) | instid1(VALU_DEP_2)
	v_or_b32_e32 v5, v6, v5
	v_sub_nc_u32_e32 v6, 32, v9
	v_cvt_f32_i32_e32 v5, v5
	s_delay_alu instid0(VALU_DEP_1) | instskip(NEXT) | instid1(VALU_DEP_1)
	v_ldexp_f32 v5, v5, v6
                                        ; implicit-def: $vgpr6
	v_and_b32_e32 v9, 0x7fffffff, v5
	s_delay_alu instid0(VALU_DEP_1)
	v_cmpx_gt_u32_e32 0x47800000, v9
	s_xor_b32 s2, exec_lo, s2
	s_cbranch_execz .LBB305_139
; %bb.134:
	s_mov_b32 s27, exec_lo
                                        ; implicit-def: $vgpr6
	v_cmpx_lt_u32_e32 0x387fffff, v9
	s_xor_b32 s27, exec_lo, s27
; %bb.135:
	v_bfe_u32 v6, v5, 21, 1
	s_delay_alu instid0(VALU_DEP_1) | instskip(NEXT) | instid1(VALU_DEP_1)
	v_add3_u32 v6, v5, v6, 0x80fffff
	v_lshrrev_b32_e32 v6, 21, v6
; %bb.136:
	s_and_not1_saveexec_b32 s27, s27
; %bb.137:
	v_add_f32_e64 v6, 0x43000000, |v5|
; %bb.138:
	s_or_b32 exec_lo, exec_lo, s27
                                        ; implicit-def: $vgpr9
.LBB305_139:
	s_and_not1_saveexec_b32 s2, s2
; %bb.140:
	v_mov_b32_e32 v6, 0x7f
	v_cmp_lt_u32_e32 vcc_lo, 0x7f800000, v9
	s_delay_alu instid0(VALU_DEP_2)
	v_cndmask_b32_e32 v6, 0x7c, v6, vcc_lo
; %bb.141:
	s_or_b32 exec_lo, exec_lo, s2
	v_lshrrev_b32_e32 v5, 24, v5
	s_delay_alu instid0(VALU_DEP_1)
	v_and_or_b32 v5, 0x80, v5, v6
	global_store_b8 v[0:1], v5, off
.LBB305_142:
	s_mov_b32 s2, 0
	s_mov_b32 s27, -1
.LBB305_143:
	s_and_not1_b32 vcc_lo, exec_lo, s2
	s_cbranch_vccnz .LBB305_151
; %bb.144:
	v_cmp_lt_i16_e32 vcc_lo, 14, v4
	s_mov_b32 s2, -1
	s_cbranch_vccz .LBB305_148
; %bb.145:
	v_cmp_eq_u16_e32 vcc_lo, 15, v4
	s_mov_b32 s3, -1
	s_cbranch_vccz .LBB305_147
; %bb.146:
	v_xor_b32_e32 v5, v2, v3
	v_cls_i32_e32 v6, v3
	s_mov_b32 s27, -1
	s_mov_b32 s3, 0
	s_delay_alu instid0(VALU_DEP_2) | instskip(NEXT) | instid1(VALU_DEP_2)
	v_ashrrev_i32_e32 v5, 31, v5
	v_add_nc_u32_e32 v6, -1, v6
	s_delay_alu instid0(VALU_DEP_2) | instskip(NEXT) | instid1(VALU_DEP_1)
	v_add_nc_u32_e32 v5, 32, v5
	v_min_u32_e32 v9, v6, v5
	s_delay_alu instid0(VALU_DEP_1) | instskip(NEXT) | instid1(VALU_DEP_1)
	v_lshlrev_b64 v[5:6], v9, v[2:3]
	v_min_u32_e32 v5, 1, v5
	s_delay_alu instid0(VALU_DEP_1) | instskip(SKIP_1) | instid1(VALU_DEP_2)
	v_or_b32_e32 v5, v6, v5
	v_sub_nc_u32_e32 v6, 32, v9
	v_cvt_f32_i32_e32 v5, v5
	s_delay_alu instid0(VALU_DEP_1) | instskip(NEXT) | instid1(VALU_DEP_1)
	v_ldexp_f32 v5, v5, v6
	v_bfe_u32 v6, v5, 16, 1
	s_delay_alu instid0(VALU_DEP_1)
	v_add3_u32 v5, v5, v6, 0x7fff
	global_store_d16_hi_b16 v[0:1], v5, off
.LBB305_147:
	s_mov_b32 s2, 0
.LBB305_148:
	s_delay_alu instid0(SALU_CYCLE_1)
	s_and_b32 vcc_lo, exec_lo, s2
	s_cbranch_vccz .LBB305_151
; %bb.149:
	v_cmp_eq_u16_e32 vcc_lo, 11, v4
	s_mov_b32 s3, -1
	s_cbranch_vccz .LBB305_151
; %bb.150:
	v_cmp_ne_u64_e32 vcc_lo, 0, v[2:3]
	s_mov_b32 s27, -1
	s_mov_b32 s3, 0
	v_cndmask_b32_e64 v5, 0, 1, vcc_lo
	global_store_b8 v[0:1], v5, off
.LBB305_151:
.LBB305_152:
	s_and_not1_b32 vcc_lo, exec_lo, s27
	s_cbranch_vccnz .LBB305_259
.LBB305_153:
	v_add_nc_u32_e32 v8, 0x80, v8
	s_mov_b32 s2, -1
	s_branch .LBB305_260
.LBB305_154:
	s_mov_b32 s26, -1
                                        ; implicit-def: $vgpr3_vgpr4
.LBB305_155:
	s_mov_b32 s3, 0
.LBB305_156:
	s_delay_alu instid0(SALU_CYCLE_1)
	s_and_b32 vcc_lo, exec_lo, s3
	s_cbranch_vccz .LBB305_160
; %bb.157:
	v_cmp_eq_u16_e32 vcc_lo, 29, v7
	s_cbranch_vccz .LBB305_159
; %bb.158:
	global_load_b64 v[3:4], v[1:2], off
	s_mov_b32 s2, -1
	s_mov_b32 s26, 0
	s_branch .LBB305_160
.LBB305_159:
	s_mov_b32 s26, -1
                                        ; implicit-def: $vgpr3_vgpr4
.LBB305_160:
	s_mov_b32 s3, 0
.LBB305_161:
	s_delay_alu instid0(SALU_CYCLE_1)
	s_and_b32 vcc_lo, exec_lo, s3
	s_cbranch_vccz .LBB305_179
; %bb.162:
	v_cmp_gt_i16_e32 vcc_lo, 27, v7
	s_cbranch_vccnz .LBB305_165
; %bb.163:
	v_cmp_lt_i16_e32 vcc_lo, 27, v7
	s_cbranch_vccz .LBB305_166
; %bb.164:
	global_load_b32 v3, v[1:2], off
	s_waitcnt vmcnt(1)
	v_mov_b32_e32 v4, 0
	s_mov_b32 s2, 0
	s_branch .LBB305_167
.LBB305_165:
	s_mov_b32 s2, -1
                                        ; implicit-def: $vgpr3_vgpr4
	s_branch .LBB305_170
.LBB305_166:
	s_mov_b32 s2, -1
                                        ; implicit-def: $vgpr3_vgpr4
.LBB305_167:
	s_delay_alu instid0(SALU_CYCLE_1)
	s_and_not1_b32 vcc_lo, exec_lo, s2
	s_cbranch_vccnz .LBB305_169
; %bb.168:
	global_load_u16 v3, v[1:2], off
	s_mov_b32 s2, 0
	s_waitcnt vmcnt(0)
	v_dual_mov_b32 v4, s2 :: v_dual_and_b32 v3, 0xffff, v3
.LBB305_169:
	s_mov_b32 s2, 0
.LBB305_170:
	s_delay_alu instid0(SALU_CYCLE_1)
	s_and_not1_b32 vcc_lo, exec_lo, s2
	s_cbranch_vccnz .LBB305_178
; %bb.171:
	global_load_u8 v5, v[1:2], off
	s_mov_b32 s27, 0
	s_mov_b32 s39, exec_lo
                                        ; implicit-def: $sgpr2_sgpr3
	s_waitcnt vmcnt(0)
	v_cmpx_lt_i16_e32 0x7f, v5
	s_xor_b32 s39, exec_lo, s39
; %bb.172:
	v_cmp_ne_u16_e32 vcc_lo, 0x80, v5
	s_mov_b64 s[2:3], 0
	s_and_b32 s27, vcc_lo, exec_lo
; %bb.173:
	s_or_saveexec_b32 s39, s39
	v_dual_mov_b32 v4, s3 :: v_dual_mov_b32 v3, s2
	s_xor_b32 exec_lo, exec_lo, s39
; %bb.174:
	v_cmp_ne_u16_e32 vcc_lo, 0, v5
	v_mov_b32_e32 v3, 0
	v_mov_b32_e32 v4, 0
	s_and_not1_b32 s2, s27, exec_lo
	s_and_b32 s3, vcc_lo, exec_lo
	s_delay_alu instid0(SALU_CYCLE_1)
	s_or_b32 s27, s2, s3
; %bb.175:
	s_or_b32 exec_lo, exec_lo, s39
	s_and_saveexec_b32 s2, s27
	s_cbranch_execz .LBB305_177
; %bb.176:
	v_and_b32_e32 v3, 0xffff, v5
	v_lshlrev_b32_e32 v5, 24, v5
	s_delay_alu instid0(VALU_DEP_2) | instskip(NEXT) | instid1(VALU_DEP_2)
	v_and_b32_e32 v4, 7, v3
	v_and_b32_e32 v5, 0x80000000, v5
	s_delay_alu instid0(VALU_DEP_2) | instskip(NEXT) | instid1(VALU_DEP_1)
	v_clz_i32_u32_e32 v6, v4
	v_min_u32_e32 v6, 32, v6
	s_delay_alu instid0(VALU_DEP_1) | instskip(SKIP_1) | instid1(VALU_DEP_2)
	v_subrev_nc_u32_e32 v9, 28, v6
	v_sub_nc_u32_e32 v6, 29, v6
	v_lshlrev_b32_e32 v9, v9, v3
	v_bfe_u32 v3, v3, 3, 4
	s_delay_alu instid0(VALU_DEP_2) | instskip(NEXT) | instid1(VALU_DEP_2)
	v_and_b32_e32 v9, 7, v9
	v_cmp_eq_u32_e32 vcc_lo, 0, v3
	s_delay_alu instid0(VALU_DEP_2) | instskip(NEXT) | instid1(VALU_DEP_1)
	v_dual_cndmask_b32 v3, v3, v6 :: v_dual_cndmask_b32 v4, v4, v9
	v_lshl_add_u32 v3, v3, 23, 0x3b800000
	s_delay_alu instid0(VALU_DEP_2) | instskip(NEXT) | instid1(VALU_DEP_1)
	v_lshlrev_b32_e32 v4, 20, v4
	v_or3_b32 v3, v5, v3, v4
	s_delay_alu instid0(VALU_DEP_1) | instskip(NEXT) | instid1(VALU_DEP_1)
	v_trunc_f32_e32 v3, v3
	v_mul_f32_e64 v4, 0x2f800000, |v3|
	v_ashrrev_i32_e32 v6, 31, v3
	s_delay_alu instid0(VALU_DEP_2) | instskip(NEXT) | instid1(VALU_DEP_1)
	v_floor_f32_e32 v4, v4
	v_fma_f32 v5, 0xcf800000, v4, |v3|
	v_cvt_u32_f32_e32 v4, v4
	s_delay_alu instid0(VALU_DEP_2) | instskip(NEXT) | instid1(VALU_DEP_2)
	v_cvt_u32_f32_e32 v3, v5
	v_xor_b32_e32 v4, v4, v6
	s_delay_alu instid0(VALU_DEP_2) | instskip(NEXT) | instid1(VALU_DEP_1)
	v_xor_b32_e32 v3, v3, v6
	v_sub_co_u32 v3, vcc_lo, v3, v6
	s_delay_alu instid0(VALU_DEP_3)
	v_sub_co_ci_u32_e32 v4, vcc_lo, v4, v6, vcc_lo
.LBB305_177:
	s_or_b32 exec_lo, exec_lo, s2
.LBB305_178:
	s_mov_b32 s2, -1
.LBB305_179:
	s_branch .LBB305_210
.LBB305_180:
	v_cmp_lt_i16_e32 vcc_lo, 22, v7
	s_cbranch_vccz .LBB305_190
; %bb.181:
	v_cmp_gt_i16_e32 vcc_lo, 24, v7
	s_cbranch_vccnz .LBB305_191
; %bb.182:
	v_cmp_lt_i16_e32 vcc_lo, 24, v7
	s_cbranch_vccz .LBB305_192
; %bb.183:
	global_load_u8 v5, v[1:2], off
	s_mov_b32 s27, 0
	s_mov_b32 s39, exec_lo
                                        ; implicit-def: $sgpr2_sgpr3
	s_waitcnt vmcnt(0)
	v_cmpx_lt_i16_e32 0x7f, v5
	s_xor_b32 s39, exec_lo, s39
; %bb.184:
	v_cmp_ne_u16_e32 vcc_lo, 0x80, v5
	s_mov_b64 s[2:3], 0
	s_and_b32 s27, vcc_lo, exec_lo
; %bb.185:
	s_or_saveexec_b32 s39, s39
	v_dual_mov_b32 v4, s3 :: v_dual_mov_b32 v3, s2
	s_xor_b32 exec_lo, exec_lo, s39
; %bb.186:
	v_cmp_ne_u16_e32 vcc_lo, 0, v5
	v_mov_b32_e32 v3, 0
	v_mov_b32_e32 v4, 0
	s_and_not1_b32 s2, s27, exec_lo
	s_and_b32 s3, vcc_lo, exec_lo
	s_delay_alu instid0(SALU_CYCLE_1)
	s_or_b32 s27, s2, s3
; %bb.187:
	s_or_b32 exec_lo, exec_lo, s39
	s_and_saveexec_b32 s2, s27
	s_cbranch_execz .LBB305_189
; %bb.188:
	v_and_b32_e32 v3, 0xffff, v5
	v_lshlrev_b32_e32 v5, 24, v5
	s_delay_alu instid0(VALU_DEP_2) | instskip(NEXT) | instid1(VALU_DEP_2)
	v_and_b32_e32 v4, 3, v3
	v_and_b32_e32 v5, 0x80000000, v5
	s_delay_alu instid0(VALU_DEP_2) | instskip(NEXT) | instid1(VALU_DEP_1)
	v_clz_i32_u32_e32 v6, v4
	v_min_u32_e32 v6, 32, v6
	s_delay_alu instid0(VALU_DEP_1) | instskip(SKIP_1) | instid1(VALU_DEP_2)
	v_subrev_nc_u32_e32 v9, 29, v6
	v_sub_nc_u32_e32 v6, 30, v6
	v_lshlrev_b32_e32 v9, v9, v3
	v_bfe_u32 v3, v3, 2, 5
	s_delay_alu instid0(VALU_DEP_2) | instskip(NEXT) | instid1(VALU_DEP_2)
	v_and_b32_e32 v9, 3, v9
	v_cmp_eq_u32_e32 vcc_lo, 0, v3
	s_delay_alu instid0(VALU_DEP_2) | instskip(NEXT) | instid1(VALU_DEP_1)
	v_dual_cndmask_b32 v3, v3, v6 :: v_dual_cndmask_b32 v4, v4, v9
	v_lshl_add_u32 v3, v3, 23, 0x37800000
	s_delay_alu instid0(VALU_DEP_2) | instskip(NEXT) | instid1(VALU_DEP_1)
	v_lshlrev_b32_e32 v4, 21, v4
	v_or3_b32 v3, v5, v3, v4
	s_delay_alu instid0(VALU_DEP_1) | instskip(NEXT) | instid1(VALU_DEP_1)
	v_trunc_f32_e32 v3, v3
	v_mul_f32_e64 v4, 0x2f800000, |v3|
	v_ashrrev_i32_e32 v6, 31, v3
	s_delay_alu instid0(VALU_DEP_2) | instskip(NEXT) | instid1(VALU_DEP_1)
	v_floor_f32_e32 v4, v4
	v_fma_f32 v5, 0xcf800000, v4, |v3|
	v_cvt_u32_f32_e32 v4, v4
	s_delay_alu instid0(VALU_DEP_2) | instskip(NEXT) | instid1(VALU_DEP_2)
	v_cvt_u32_f32_e32 v3, v5
	v_xor_b32_e32 v4, v4, v6
	s_delay_alu instid0(VALU_DEP_2) | instskip(NEXT) | instid1(VALU_DEP_1)
	v_xor_b32_e32 v3, v3, v6
	v_sub_co_u32 v3, vcc_lo, v3, v6
	s_delay_alu instid0(VALU_DEP_3)
	v_sub_co_ci_u32_e32 v4, vcc_lo, v4, v6, vcc_lo
.LBB305_189:
	s_or_b32 exec_lo, exec_lo, s2
	s_mov_b32 s2, 0
	s_branch .LBB305_193
.LBB305_190:
	s_mov_b32 s3, -1
                                        ; implicit-def: $vgpr3_vgpr4
	s_branch .LBB305_199
.LBB305_191:
	s_mov_b32 s2, -1
                                        ; implicit-def: $vgpr3_vgpr4
	s_branch .LBB305_196
.LBB305_192:
	s_mov_b32 s2, -1
                                        ; implicit-def: $vgpr3_vgpr4
.LBB305_193:
	s_delay_alu instid0(SALU_CYCLE_1)
	s_and_b32 vcc_lo, exec_lo, s2
	s_cbranch_vccz .LBB305_195
; %bb.194:
	global_load_u8 v3, v[1:2], off
	s_waitcnt vmcnt(0)
	v_lshlrev_b32_e32 v3, 24, v3
	s_delay_alu instid0(VALU_DEP_1) | instskip(NEXT) | instid1(VALU_DEP_1)
	v_and_b32_e32 v4, 0x7f000000, v3
	v_clz_i32_u32_e32 v5, v4
	v_add_nc_u32_e32 v9, 0x1000000, v4
	v_cmp_ne_u32_e32 vcc_lo, 0, v4
	s_delay_alu instid0(VALU_DEP_3) | instskip(NEXT) | instid1(VALU_DEP_1)
	v_min_u32_e32 v5, 32, v5
	v_sub_nc_u32_e64 v5, v5, 4 clamp
	s_delay_alu instid0(VALU_DEP_1) | instskip(SKIP_1) | instid1(VALU_DEP_2)
	v_lshlrev_b32_e32 v6, v5, v4
	v_lshlrev_b32_e32 v5, 23, v5
	v_lshrrev_b32_e32 v6, 4, v6
	s_delay_alu instid0(VALU_DEP_1) | instskip(SKIP_1) | instid1(VALU_DEP_2)
	v_sub_nc_u32_e32 v5, v6, v5
	v_ashrrev_i32_e32 v6, 8, v9
	v_add_nc_u32_e32 v5, 0x3c000000, v5
	s_delay_alu instid0(VALU_DEP_1) | instskip(NEXT) | instid1(VALU_DEP_1)
	v_and_or_b32 v5, 0x7f800000, v6, v5
	v_cndmask_b32_e32 v4, 0, v5, vcc_lo
	s_delay_alu instid0(VALU_DEP_1) | instskip(NEXT) | instid1(VALU_DEP_1)
	v_and_or_b32 v3, 0x80000000, v3, v4
	v_trunc_f32_e32 v3, v3
	s_delay_alu instid0(VALU_DEP_1) | instskip(SKIP_1) | instid1(VALU_DEP_2)
	v_mul_f32_e64 v4, 0x2f800000, |v3|
	v_ashrrev_i32_e32 v6, 31, v3
	v_floor_f32_e32 v4, v4
	s_delay_alu instid0(VALU_DEP_1) | instskip(SKIP_1) | instid1(VALU_DEP_2)
	v_fma_f32 v5, 0xcf800000, v4, |v3|
	v_cvt_u32_f32_e32 v4, v4
	v_cvt_u32_f32_e32 v3, v5
	s_delay_alu instid0(VALU_DEP_2) | instskip(NEXT) | instid1(VALU_DEP_2)
	v_xor_b32_e32 v4, v4, v6
	v_xor_b32_e32 v3, v3, v6
	s_delay_alu instid0(VALU_DEP_1) | instskip(NEXT) | instid1(VALU_DEP_3)
	v_sub_co_u32 v3, vcc_lo, v3, v6
	v_sub_co_ci_u32_e32 v4, vcc_lo, v4, v6, vcc_lo
.LBB305_195:
	s_mov_b32 s2, 0
.LBB305_196:
	s_delay_alu instid0(SALU_CYCLE_1)
	s_and_not1_b32 vcc_lo, exec_lo, s2
	s_cbranch_vccnz .LBB305_198
; %bb.197:
	global_load_u8 v3, v[1:2], off
	s_waitcnt vmcnt(0)
	v_lshlrev_b32_e32 v4, 25, v3
	v_lshlrev_b16 v3, 8, v3
	s_delay_alu instid0(VALU_DEP_2) | instskip(NEXT) | instid1(VALU_DEP_2)
	v_lshrrev_b32_e32 v5, 4, v4
	v_and_or_b32 v6, 0x7f00, v3, 0.5
	v_bfe_i32 v3, v3, 0, 16
	s_delay_alu instid0(VALU_DEP_3) | instskip(NEXT) | instid1(VALU_DEP_1)
	v_or_b32_e32 v5, 0x70000000, v5
	v_dual_add_f32 v6, -0.5, v6 :: v_dual_mul_f32 v5, 0x7800000, v5
	v_cmp_gt_u32_e32 vcc_lo, 0x8000000, v4
	s_delay_alu instid0(VALU_DEP_2) | instskip(NEXT) | instid1(VALU_DEP_1)
	v_cndmask_b32_e32 v4, v5, v6, vcc_lo
	v_and_or_b32 v3, 0x80000000, v3, v4
	s_delay_alu instid0(VALU_DEP_1) | instskip(NEXT) | instid1(VALU_DEP_1)
	v_trunc_f32_e32 v3, v3
	v_mul_f32_e64 v4, 0x2f800000, |v3|
	v_ashrrev_i32_e32 v6, 31, v3
	s_delay_alu instid0(VALU_DEP_2) | instskip(NEXT) | instid1(VALU_DEP_1)
	v_floor_f32_e32 v4, v4
	v_fma_f32 v5, 0xcf800000, v4, |v3|
	v_cvt_u32_f32_e32 v4, v4
	s_delay_alu instid0(VALU_DEP_2) | instskip(NEXT) | instid1(VALU_DEP_2)
	v_cvt_u32_f32_e32 v3, v5
	v_xor_b32_e32 v4, v4, v6
	s_delay_alu instid0(VALU_DEP_2) | instskip(NEXT) | instid1(VALU_DEP_1)
	v_xor_b32_e32 v3, v3, v6
	v_sub_co_u32 v3, vcc_lo, v3, v6
	s_delay_alu instid0(VALU_DEP_3)
	v_sub_co_ci_u32_e32 v4, vcc_lo, v4, v6, vcc_lo
.LBB305_198:
	s_mov_b32 s3, 0
	s_mov_b32 s2, -1
.LBB305_199:
	s_and_not1_b32 vcc_lo, exec_lo, s3
	s_cbranch_vccnz .LBB305_210
; %bb.200:
	v_cmp_lt_i16_e32 vcc_lo, 14, v7
	s_cbranch_vccz .LBB305_203
; %bb.201:
	v_cmp_eq_u16_e32 vcc_lo, 15, v7
	s_cbranch_vccz .LBB305_204
; %bb.202:
	global_load_u16 v3, v[1:2], off
	s_mov_b32 s2, -1
	s_mov_b32 s26, 0
	s_waitcnt vmcnt(0)
	v_lshlrev_b32_e32 v3, 16, v3
	s_delay_alu instid0(VALU_DEP_1) | instskip(NEXT) | instid1(VALU_DEP_1)
	v_trunc_f32_e32 v3, v3
	v_mul_f32_e64 v4, 0x2f800000, |v3|
	v_ashrrev_i32_e32 v6, 31, v3
	s_delay_alu instid0(VALU_DEP_2) | instskip(NEXT) | instid1(VALU_DEP_1)
	v_floor_f32_e32 v4, v4
	v_fma_f32 v5, 0xcf800000, v4, |v3|
	v_cvt_u32_f32_e32 v4, v4
	s_delay_alu instid0(VALU_DEP_2) | instskip(NEXT) | instid1(VALU_DEP_2)
	v_cvt_u32_f32_e32 v3, v5
	v_xor_b32_e32 v4, v4, v6
	s_delay_alu instid0(VALU_DEP_2) | instskip(NEXT) | instid1(VALU_DEP_1)
	v_xor_b32_e32 v3, v3, v6
	v_sub_co_u32 v3, vcc_lo, v3, v6
	s_delay_alu instid0(VALU_DEP_3)
	v_sub_co_ci_u32_e32 v4, vcc_lo, v4, v6, vcc_lo
	s_branch .LBB305_205
.LBB305_203:
	s_mov_b32 s3, -1
                                        ; implicit-def: $vgpr3_vgpr4
	s_branch .LBB305_206
.LBB305_204:
	s_mov_b32 s26, -1
                                        ; implicit-def: $vgpr3_vgpr4
.LBB305_205:
	s_mov_b32 s3, 0
.LBB305_206:
	s_delay_alu instid0(SALU_CYCLE_1)
	s_and_b32 vcc_lo, exec_lo, s3
	s_cbranch_vccz .LBB305_210
; %bb.207:
	v_cmp_eq_u16_e32 vcc_lo, 11, v7
	s_cbranch_vccz .LBB305_209
; %bb.208:
	global_load_u8 v3, v[1:2], off
	s_mov_b32 s26, 0
	s_mov_b32 s2, -1
	s_waitcnt vmcnt(1)
	v_mov_b32_e32 v4, s26
	s_waitcnt vmcnt(0)
	v_cmp_ne_u16_e32 vcc_lo, 0, v3
	v_cndmask_b32_e64 v3, 0, 1, vcc_lo
	s_branch .LBB305_210
.LBB305_209:
	s_mov_b32 s26, -1
                                        ; implicit-def: $vgpr3_vgpr4
.LBB305_210:
	s_branch .LBB305_23
.LBB305_211:
	v_cmp_gt_i16_e32 vcc_lo, 5, v7
	s_cbranch_vccnz .LBB305_216
; %bb.212:
	v_cmp_gt_i16_e32 vcc_lo, 8, v7
	s_cbranch_vccnz .LBB305_217
; %bb.213:
	;; [unrolled: 3-line block ×3, first 2 shown]
	v_cmp_lt_i16_e32 vcc_lo, 9, v7
	s_cbranch_vccz .LBB305_219
; %bb.215:
	global_load_b64 v[3:4], v[1:2], off
	s_mov_b32 s2, 0
	s_waitcnt vmcnt(0)
	v_trunc_f64_e32 v[3:4], v[3:4]
	s_delay_alu instid0(VALU_DEP_1) | instskip(NEXT) | instid1(VALU_DEP_1)
	v_ldexp_f64 v[5:6], v[3:4], 0xffffffe0
	v_floor_f64_e32 v[5:6], v[5:6]
	s_delay_alu instid0(VALU_DEP_1) | instskip(SKIP_1) | instid1(VALU_DEP_2)
	v_fma_f64 v[9:10], 0xc1f00000, v[5:6], v[3:4]
	v_cvt_i32_f64_e32 v4, v[5:6]
	v_cvt_u32_f64_e32 v3, v[9:10]
	s_branch .LBB305_220
.LBB305_216:
                                        ; implicit-def: $vgpr3_vgpr4
	s_branch .LBB305_238
.LBB305_217:
	s_mov_b32 s2, -1
                                        ; implicit-def: $vgpr3_vgpr4
	s_branch .LBB305_226
.LBB305_218:
	s_mov_b32 s2, -1
                                        ; implicit-def: $vgpr3_vgpr4
	s_branch .LBB305_223
.LBB305_219:
	s_mov_b32 s2, -1
                                        ; implicit-def: $vgpr3_vgpr4
.LBB305_220:
	s_delay_alu instid0(SALU_CYCLE_1)
	s_and_not1_b32 vcc_lo, exec_lo, s2
	s_cbranch_vccnz .LBB305_222
; %bb.221:
	global_load_b32 v3, v[1:2], off
	s_waitcnt vmcnt(0)
	v_trunc_f32_e32 v3, v3
	s_delay_alu instid0(VALU_DEP_1) | instskip(SKIP_1) | instid1(VALU_DEP_2)
	v_mul_f32_e64 v4, 0x2f800000, |v3|
	v_ashrrev_i32_e32 v6, 31, v3
	v_floor_f32_e32 v4, v4
	s_delay_alu instid0(VALU_DEP_1) | instskip(SKIP_1) | instid1(VALU_DEP_2)
	v_fma_f32 v5, 0xcf800000, v4, |v3|
	v_cvt_u32_f32_e32 v4, v4
	v_cvt_u32_f32_e32 v3, v5
	s_delay_alu instid0(VALU_DEP_2) | instskip(NEXT) | instid1(VALU_DEP_2)
	v_xor_b32_e32 v4, v4, v6
	v_xor_b32_e32 v3, v3, v6
	s_delay_alu instid0(VALU_DEP_1) | instskip(NEXT) | instid1(VALU_DEP_3)
	v_sub_co_u32 v3, vcc_lo, v3, v6
	v_sub_co_ci_u32_e32 v4, vcc_lo, v4, v6, vcc_lo
.LBB305_222:
	s_mov_b32 s2, 0
.LBB305_223:
	s_delay_alu instid0(SALU_CYCLE_1)
	s_and_not1_b32 vcc_lo, exec_lo, s2
	s_cbranch_vccnz .LBB305_225
; %bb.224:
	global_load_b32 v3, v[1:2], off
	s_waitcnt vmcnt(0)
	v_cvt_f32_f16_e32 v3, v3
	s_delay_alu instid0(VALU_DEP_1) | instskip(NEXT) | instid1(VALU_DEP_1)
	v_cvt_i32_f32_e32 v3, v3
	v_ashrrev_i32_e32 v4, 31, v3
.LBB305_225:
	s_mov_b32 s2, 0
.LBB305_226:
	s_delay_alu instid0(SALU_CYCLE_1)
	s_and_not1_b32 vcc_lo, exec_lo, s2
	s_cbranch_vccnz .LBB305_237
; %bb.227:
	v_cmp_gt_i16_e32 vcc_lo, 6, v7
	s_cbranch_vccnz .LBB305_230
; %bb.228:
	v_cmp_lt_i16_e32 vcc_lo, 6, v7
	s_cbranch_vccz .LBB305_231
; %bb.229:
	global_load_b64 v[3:4], v[1:2], off
	s_mov_b32 s2, 0
	s_waitcnt vmcnt(0)
	v_trunc_f64_e32 v[3:4], v[3:4]
	s_delay_alu instid0(VALU_DEP_1) | instskip(NEXT) | instid1(VALU_DEP_1)
	v_ldexp_f64 v[5:6], v[3:4], 0xffffffe0
	v_floor_f64_e32 v[5:6], v[5:6]
	s_delay_alu instid0(VALU_DEP_1) | instskip(SKIP_1) | instid1(VALU_DEP_2)
	v_fma_f64 v[9:10], 0xc1f00000, v[5:6], v[3:4]
	v_cvt_i32_f64_e32 v4, v[5:6]
	v_cvt_u32_f64_e32 v3, v[9:10]
	s_branch .LBB305_232
.LBB305_230:
	s_mov_b32 s2, -1
                                        ; implicit-def: $vgpr3_vgpr4
	s_branch .LBB305_235
.LBB305_231:
	s_mov_b32 s2, -1
                                        ; implicit-def: $vgpr3_vgpr4
.LBB305_232:
	s_delay_alu instid0(SALU_CYCLE_1)
	s_and_not1_b32 vcc_lo, exec_lo, s2
	s_cbranch_vccnz .LBB305_234
; %bb.233:
	global_load_b32 v3, v[1:2], off
	s_waitcnt vmcnt(0)
	v_trunc_f32_e32 v3, v3
	s_delay_alu instid0(VALU_DEP_1) | instskip(SKIP_1) | instid1(VALU_DEP_2)
	v_mul_f32_e64 v4, 0x2f800000, |v3|
	v_ashrrev_i32_e32 v6, 31, v3
	v_floor_f32_e32 v4, v4
	s_delay_alu instid0(VALU_DEP_1) | instskip(SKIP_1) | instid1(VALU_DEP_2)
	v_fma_f32 v5, 0xcf800000, v4, |v3|
	v_cvt_u32_f32_e32 v4, v4
	v_cvt_u32_f32_e32 v3, v5
	s_delay_alu instid0(VALU_DEP_2) | instskip(NEXT) | instid1(VALU_DEP_2)
	v_xor_b32_e32 v4, v4, v6
	v_xor_b32_e32 v3, v3, v6
	s_delay_alu instid0(VALU_DEP_1) | instskip(NEXT) | instid1(VALU_DEP_3)
	v_sub_co_u32 v3, vcc_lo, v3, v6
	v_sub_co_ci_u32_e32 v4, vcc_lo, v4, v6, vcc_lo
.LBB305_234:
	s_mov_b32 s2, 0
.LBB305_235:
	s_delay_alu instid0(SALU_CYCLE_1)
	s_and_not1_b32 vcc_lo, exec_lo, s2
	s_cbranch_vccnz .LBB305_237
; %bb.236:
	global_load_u16 v3, v[1:2], off
	s_waitcnt vmcnt(0)
	v_cvt_f32_f16_e32 v3, v3
	s_delay_alu instid0(VALU_DEP_1) | instskip(NEXT) | instid1(VALU_DEP_1)
	v_cvt_i32_f32_e32 v3, v3
	v_ashrrev_i32_e32 v4, 31, v3
.LBB305_237:
	s_cbranch_execnz .LBB305_257
.LBB305_238:
	v_cmp_gt_i16_e32 vcc_lo, 2, v7
	s_cbranch_vccnz .LBB305_242
; %bb.239:
	v_cmp_gt_i16_e32 vcc_lo, 3, v7
	s_cbranch_vccnz .LBB305_243
; %bb.240:
	v_cmp_lt_i16_e32 vcc_lo, 3, v7
	s_cbranch_vccz .LBB305_244
; %bb.241:
	global_load_b64 v[3:4], v[1:2], off
	s_mov_b32 s2, 0
	s_branch .LBB305_245
.LBB305_242:
	s_mov_b32 s2, -1
                                        ; implicit-def: $vgpr3_vgpr4
	s_branch .LBB305_251
.LBB305_243:
	s_mov_b32 s2, -1
                                        ; implicit-def: $vgpr3_vgpr4
	s_branch .LBB305_248
.LBB305_244:
	s_mov_b32 s2, -1
                                        ; implicit-def: $vgpr3_vgpr4
.LBB305_245:
	s_delay_alu instid0(SALU_CYCLE_1)
	s_and_not1_b32 vcc_lo, exec_lo, s2
	s_cbranch_vccnz .LBB305_247
; %bb.246:
	global_load_b32 v3, v[1:2], off
	s_waitcnt vmcnt(0)
	v_ashrrev_i32_e32 v4, 31, v3
.LBB305_247:
	s_mov_b32 s2, 0
.LBB305_248:
	s_delay_alu instid0(SALU_CYCLE_1)
	s_and_not1_b32 vcc_lo, exec_lo, s2
	s_cbranch_vccnz .LBB305_250
; %bb.249:
	global_load_u16 v3, v[1:2], off
	s_waitcnt vmcnt(0)
	v_bfe_i32 v3, v3, 0, 16
	s_delay_alu instid0(VALU_DEP_1)
	v_ashrrev_i32_e32 v4, 31, v3
.LBB305_250:
	s_mov_b32 s2, 0
.LBB305_251:
	s_delay_alu instid0(SALU_CYCLE_1)
	s_and_not1_b32 vcc_lo, exec_lo, s2
	s_cbranch_vccnz .LBB305_257
; %bb.252:
	v_cmp_lt_i16_e32 vcc_lo, 0, v7
	s_mov_b32 s2, 0
	s_cbranch_vccz .LBB305_254
; %bb.253:
	global_load_i8 v3, v[1:2], off
	s_waitcnt vmcnt(0)
	v_bfe_i32 v3, v3, 0, 16
	s_delay_alu instid0(VALU_DEP_1)
	v_ashrrev_i32_e32 v4, 31, v3
	s_branch .LBB305_255
.LBB305_254:
	s_mov_b32 s2, -1
                                        ; implicit-def: $vgpr3_vgpr4
.LBB305_255:
	s_delay_alu instid0(SALU_CYCLE_1)
	s_and_not1_b32 vcc_lo, exec_lo, s2
	s_cbranch_vccnz .LBB305_257
; %bb.256:
	global_load_u8 v1, v[1:2], off
	s_mov_b32 s2, 0
	s_waitcnt vmcnt(0)
	v_dual_mov_b32 v4, s2 :: v_dual_and_b32 v3, 0xffff, v1
.LBB305_257:
	s_branch .LBB305_24
.LBB305_258:
	s_mov_b32 s3, 0
.LBB305_259:
	s_mov_b32 s2, 0
                                        ; implicit-def: $vgpr8
.LBB305_260:
	s_and_b32 s39, s3, exec_lo
	s_and_b32 s40, s26, exec_lo
	s_or_not1_b32 s3, s2, exec_lo
.LBB305_261:
	s_or_b32 exec_lo, exec_lo, s41
	s_mov_b32 s26, 0
	s_mov_b32 s2, 0
                                        ; implicit-def: $vgpr1_vgpr2
                                        ; implicit-def: $vgpr0
                                        ; implicit-def: $vgpr5_vgpr6
	s_and_saveexec_b32 s41, s3
	s_cbranch_execz .LBB305_894
; %bb.262:
	s_mov_b32 s2, -1
	s_mov_b32 s42, s40
	s_mov_b32 s43, s39
	s_mov_b32 s44, exec_lo
	v_cmpx_gt_i32_e64 s36, v8
	s_cbranch_execz .LBB305_529
; %bb.263:
	s_and_not1_b32 vcc_lo, exec_lo, s31
	s_cbranch_vccnz .LBB305_268
; %bb.264:
	v_dual_mov_b32 v0, 0 :: v_dual_mov_b32 v1, 0
	s_and_not1_b32 vcc_lo, exec_lo, s38
	s_mov_b32 s42, 0
	s_cbranch_vccnz .LBB305_273
; %bb.265:
	v_mov_b32_e32 v0, 0
	s_add_i32 s45, s37, 1
	s_cmp_eq_u32 s29, 2
	s_mov_b32 s43, 0
	s_cbranch_scc1 .LBB305_269
; %bb.266:
	v_dual_mov_b32 v1, 0 :: v_dual_mov_b32 v0, 0
	v_mov_b32_e32 v2, v8
	s_and_b32 s43, s45, 28
	s_mov_b32 s46, 0
	s_mov_b64 s[2:3], s[24:25]
	s_mov_b64 s[26:27], s[20:21]
.LBB305_267:                            ; =>This Inner Loop Header: Depth=1
	s_clause 0x1
	s_load_b256 s[48:55], s[26:27], 0x4
	s_load_b128 s[64:67], s[26:27], 0x24
	s_load_b256 s[56:63], s[2:3], 0x0
	s_add_u32 s26, s26, 48
	s_addc_u32 s27, s27, 0
	s_add_i32 s46, s46, 4
	s_add_u32 s2, s2, 32
	s_addc_u32 s3, s3, 0
	s_cmp_eq_u32 s43, s46
	s_waitcnt vmcnt(0) lgkmcnt(0)
	v_mul_hi_u32 v3, s49, v2
	s_delay_alu instid0(VALU_DEP_1) | instskip(NEXT) | instid1(VALU_DEP_1)
	v_add_nc_u32_e32 v3, v2, v3
	v_lshrrev_b32_e32 v3, s50, v3
	s_delay_alu instid0(VALU_DEP_1) | instskip(SKIP_1) | instid1(VALU_DEP_2)
	v_mul_hi_u32 v4, s52, v3
	v_mul_lo_u32 v6, v3, s48
	v_add_nc_u32_e32 v4, v3, v4
	s_delay_alu instid0(VALU_DEP_2) | instskip(NEXT) | instid1(VALU_DEP_2)
	v_sub_nc_u32_e32 v2, v2, v6
	v_lshrrev_b32_e32 v4, s53, v4
	s_delay_alu instid0(VALU_DEP_2) | instskip(SKIP_1) | instid1(VALU_DEP_3)
	v_mul_lo_u32 v6, v2, s56
	v_mul_lo_u32 v10, v2, s57
	v_mul_hi_u32 v5, s55, v4
	s_delay_alu instid0(VALU_DEP_1) | instskip(NEXT) | instid1(VALU_DEP_1)
	v_add_nc_u32_e32 v5, v4, v5
	v_lshrrev_b32_e32 v5, s64, v5
	s_delay_alu instid0(VALU_DEP_1) | instskip(SKIP_1) | instid1(VALU_DEP_2)
	v_mul_hi_u32 v9, s66, v5
	v_mul_lo_u32 v11, v5, s54
	v_add_nc_u32_e32 v2, v5, v9
	v_mul_lo_u32 v9, v4, s51
	s_delay_alu instid0(VALU_DEP_3) | instskip(NEXT) | instid1(VALU_DEP_3)
	v_sub_nc_u32_e32 v4, v4, v11
	v_lshrrev_b32_e32 v2, s67, v2
	s_delay_alu instid0(VALU_DEP_2) | instskip(SKIP_2) | instid1(VALU_DEP_4)
	v_mul_lo_u32 v11, v4, s60
	v_mul_lo_u32 v4, v4, s61
	v_sub_nc_u32_e32 v3, v3, v9
	v_mul_lo_u32 v12, v2, s65
	s_delay_alu instid0(VALU_DEP_2) | instskip(SKIP_1) | instid1(VALU_DEP_3)
	v_mul_lo_u32 v9, v3, s58
	v_mul_lo_u32 v3, v3, s59
	v_sub_nc_u32_e32 v5, v5, v12
	s_delay_alu instid0(VALU_DEP_3) | instskip(NEXT) | instid1(VALU_DEP_2)
	v_add3_u32 v0, v6, v0, v9
	v_mul_lo_u32 v12, v5, s62
	v_mul_lo_u32 v5, v5, s63
	v_add3_u32 v1, v10, v1, v3
	s_delay_alu instid0(VALU_DEP_3) | instskip(NEXT) | instid1(VALU_DEP_2)
	v_add3_u32 v0, v11, v0, v12
	v_add3_u32 v1, v4, v1, v5
	s_cbranch_scc0 .LBB305_267
	s_branch .LBB305_270
.LBB305_268:
	s_mov_b32 s42, -1
                                        ; implicit-def: $vgpr0
                                        ; implicit-def: $vgpr1
	s_branch .LBB305_273
.LBB305_269:
	v_dual_mov_b32 v2, v8 :: v_dual_mov_b32 v1, 0
.LBB305_270:
	s_and_b32 s45, s45, 3
	s_delay_alu instid0(SALU_CYCLE_1)
	s_cmp_eq_u32 s45, 0
	s_cbranch_scc1 .LBB305_273
; %bb.271:
	s_lshl_b32 s2, s43, 3
	s_mul_i32 s26, s43, 12
	s_add_u32 s2, s2, s20
	s_addc_u32 s3, s21, 0
	s_add_u32 s2, s2, 0xc4
	s_addc_u32 s3, s3, 0
	;; [unrolled: 2-line block ×3, first 2 shown]
	.p2align	6
.LBB305_272:                            ; =>This Inner Loop Header: Depth=1
	s_clause 0x1
	s_load_b64 s[46:47], s[26:27], 0x4
	s_load_b32 s43, s[26:27], 0xc
	s_load_b64 s[48:49], s[2:3], 0x0
	s_add_u32 s26, s26, 12
	s_addc_u32 s27, s27, 0
	s_add_u32 s2, s2, 8
	s_addc_u32 s3, s3, 0
	s_add_i32 s45, s45, -1
	s_delay_alu instid0(SALU_CYCLE_1) | instskip(SKIP_2) | instid1(VALU_DEP_1)
	s_cmp_lg_u32 s45, 0
	s_waitcnt vmcnt(0) lgkmcnt(0)
	v_mul_hi_u32 v3, s47, v2
	v_add_nc_u32_e32 v3, v2, v3
	s_delay_alu instid0(VALU_DEP_1) | instskip(NEXT) | instid1(VALU_DEP_1)
	v_lshrrev_b32_e32 v6, s43, v3
	v_mul_lo_u32 v3, v6, s46
	s_delay_alu instid0(VALU_DEP_1) | instskip(NEXT) | instid1(VALU_DEP_1)
	v_sub_nc_u32_e32 v2, v2, v3
	v_mad_u64_u32 v[3:4], null, v2, s48, v[0:1]
	v_mad_u64_u32 v[4:5], null, v2, s49, v[1:2]
	v_mov_b32_e32 v2, v6
	s_delay_alu instid0(VALU_DEP_2)
	v_dual_mov_b32 v0, v3 :: v_dual_mov_b32 v1, v4
	s_cbranch_scc1 .LBB305_272
.LBB305_273:
	s_and_not1_b32 vcc_lo, exec_lo, s42
	s_cbranch_vccnz .LBB305_276
; %bb.274:
	v_mul_hi_u32 v0, s17, v8
	s_and_not1_b32 vcc_lo, exec_lo, s35
	s_delay_alu instid0(VALU_DEP_1) | instskip(NEXT) | instid1(VALU_DEP_1)
	v_add_nc_u32_e32 v0, v8, v0
	v_lshrrev_b32_e32 v2, s18, v0
	s_delay_alu instid0(VALU_DEP_1) | instskip(NEXT) | instid1(VALU_DEP_1)
	v_mul_lo_u32 v0, v2, s16
	v_sub_nc_u32_e32 v1, v8, v0
	s_delay_alu instid0(VALU_DEP_1)
	v_mul_lo_u32 v0, v1, s12
	v_mul_lo_u32 v1, v1, s13
	s_cbranch_vccnz .LBB305_276
; %bb.275:
	s_waitcnt vmcnt(0)
	v_mul_hi_u32 v3, s22, v2
	s_delay_alu instid0(VALU_DEP_1) | instskip(NEXT) | instid1(VALU_DEP_1)
	v_add_nc_u32_e32 v3, v2, v3
	v_lshrrev_b32_e32 v3, s23, v3
	s_delay_alu instid0(VALU_DEP_1) | instskip(NEXT) | instid1(VALU_DEP_1)
	v_mul_lo_u32 v3, v3, s19
	v_sub_nc_u32_e32 v5, v2, v3
	s_delay_alu instid0(VALU_DEP_1) | instskip(NEXT) | instid1(VALU_DEP_1)
	v_mad_u64_u32 v[2:3], null, v5, s14, v[0:1]
	v_mad_u64_u32 v[3:4], null, v5, s15, v[1:2]
	s_delay_alu instid0(VALU_DEP_1)
	v_dual_mov_b32 v0, v2 :: v_dual_mov_b32 v1, v3
.LBB305_276:
	v_cmp_gt_i16_e32 vcc_lo, 11, v7
	s_delay_alu instid0(VALU_DEP_2) | instskip(NEXT) | instid1(VALU_DEP_1)
	v_add_co_u32 v1, s2, s6, v1
	v_add_co_ci_u32_e64 v2, null, s7, 0, s2
	s_mov_b32 s2, 0
	s_cbranch_vccnz .LBB305_283
; %bb.277:
	v_cmp_lt_i16_e32 vcc_lo, 25, v7
	s_cbranch_vccz .LBB305_332
; %bb.278:
	v_cmp_lt_i16_e32 vcc_lo, 28, v7
	s_cbranch_vccz .LBB305_333
	;; [unrolled: 3-line block ×4, first 2 shown]
; %bb.281:
	v_cmp_eq_u16_e32 vcc_lo, 46, v7
	s_mov_b32 s3, 0
	s_cbranch_vccz .LBB305_343
; %bb.282:
	global_load_b32 v3, v[1:2], off
	s_mov_b32 s2, -1
	s_mov_b32 s26, 0
	s_waitcnt vmcnt(0)
	v_lshlrev_b32_e32 v3, 16, v3
	s_delay_alu instid0(VALU_DEP_1) | instskip(NEXT) | instid1(VALU_DEP_1)
	v_trunc_f32_e32 v3, v3
	v_mul_f32_e64 v4, 0x2f800000, |v3|
	v_ashrrev_i32_e32 v6, 31, v3
	s_delay_alu instid0(VALU_DEP_2) | instskip(NEXT) | instid1(VALU_DEP_1)
	v_floor_f32_e32 v4, v4
	v_fma_f32 v5, 0xcf800000, v4, |v3|
	v_cvt_u32_f32_e32 v4, v4
	s_delay_alu instid0(VALU_DEP_2) | instskip(NEXT) | instid1(VALU_DEP_2)
	v_cvt_u32_f32_e32 v3, v5
	v_xor_b32_e32 v4, v4, v6
	s_delay_alu instid0(VALU_DEP_2) | instskip(NEXT) | instid1(VALU_DEP_1)
	v_xor_b32_e32 v3, v3, v6
	v_sub_co_u32 v3, vcc_lo, v3, v6
	s_delay_alu instid0(VALU_DEP_3)
	v_sub_co_ci_u32_e32 v4, vcc_lo, v4, v6, vcc_lo
	s_branch .LBB305_345
.LBB305_283:
	s_mov_b32 s26, s40
                                        ; implicit-def: $vgpr3_vgpr4
	s_cbranch_execnz .LBB305_478
.LBB305_284:
	s_and_not1_b32 vcc_lo, exec_lo, s2
	s_cbranch_vccnz .LBB305_526
.LBB305_285:
	s_waitcnt vmcnt(0)
	s_delay_alu instid0(VALU_DEP_1) | instskip(SKIP_1) | instid1(VALU_DEP_1)
	v_cmp_lt_i64_e32 vcc_lo, s[8:9], v[3:4]
	v_add_co_u32 v0, s27, s4, v0
	v_add_co_ci_u32_e64 v1, null, s5, 0, s27
	s_mov_b32 s3, 0
	v_cndmask_b32_e32 v6, s9, v4, vcc_lo
	v_cndmask_b32_e32 v5, s8, v3, vcc_lo
	v_and_b32_e64 v4, 0xff, s34
	s_mov_b32 s27, -1
	s_delay_alu instid0(VALU_DEP_2) | instskip(NEXT) | instid1(VALU_DEP_2)
	v_cmp_gt_i64_e64 s2, s[10:11], v[5:6]
	v_cmp_gt_i16_e32 vcc_lo, 11, v4
	s_delay_alu instid0(VALU_DEP_2)
	v_cndmask_b32_e64 v3, s11, v6, s2
	v_cndmask_b32_e64 v2, s10, v5, s2
	s_mov_b32 s2, s39
	s_cbranch_vccnz .LBB305_292
; %bb.286:
	v_cmp_lt_i16_e32 vcc_lo, 25, v4
	s_cbranch_vccz .LBB305_334
; %bb.287:
	v_cmp_lt_i16_e32 vcc_lo, 28, v4
	s_cbranch_vccz .LBB305_336
	;; [unrolled: 3-line block ×4, first 2 shown]
; %bb.290:
	v_cmp_eq_u16_e32 vcc_lo, 46, v4
	s_mov_b32 s27, 0
	s_mov_b32 s2, -1
	s_cbranch_vccz .LBB305_349
; %bb.291:
	v_xor_b32_e32 v5, v2, v3
	v_cls_i32_e32 v6, v3
	s_mov_b32 s3, -1
	s_mov_b32 s2, 0
	s_delay_alu instid0(VALU_DEP_2) | instskip(NEXT) | instid1(VALU_DEP_2)
	v_ashrrev_i32_e32 v5, 31, v5
	v_add_nc_u32_e32 v6, -1, v6
	s_delay_alu instid0(VALU_DEP_2) | instskip(NEXT) | instid1(VALU_DEP_1)
	v_add_nc_u32_e32 v5, 32, v5
	v_min_u32_e32 v9, v6, v5
	s_delay_alu instid0(VALU_DEP_1) | instskip(NEXT) | instid1(VALU_DEP_1)
	v_lshlrev_b64 v[5:6], v9, v[2:3]
	v_min_u32_e32 v5, 1, v5
	s_delay_alu instid0(VALU_DEP_1) | instskip(SKIP_1) | instid1(VALU_DEP_2)
	v_or_b32_e32 v5, v6, v5
	v_sub_nc_u32_e32 v6, 32, v9
	v_cvt_f32_i32_e32 v5, v5
	s_delay_alu instid0(VALU_DEP_1) | instskip(NEXT) | instid1(VALU_DEP_1)
	v_ldexp_f32 v5, v5, v6
	v_bfe_u32 v6, v5, 16, 1
	s_delay_alu instid0(VALU_DEP_1) | instskip(NEXT) | instid1(VALU_DEP_1)
	v_add3_u32 v5, v5, v6, 0x7fff
	v_lshrrev_b32_e32 v5, 16, v5
	global_store_b32 v[0:1], v5, off
	s_branch .LBB305_349
.LBB305_292:
	s_and_b32 vcc_lo, exec_lo, s27
	s_cbranch_vccz .LBB305_418
; %bb.293:
	v_cmp_gt_i16_e32 vcc_lo, 5, v4
	s_mov_b32 s3, -1
	s_cbranch_vccnz .LBB305_314
; %bb.294:
	v_cmp_gt_i16_e32 vcc_lo, 8, v4
	s_cbranch_vccnz .LBB305_304
; %bb.295:
	v_cmp_gt_i16_e32 vcc_lo, 9, v4
	s_cbranch_vccnz .LBB305_301
; %bb.296:
	v_cmp_lt_i16_e32 vcc_lo, 9, v4
	s_cbranch_vccz .LBB305_298
; %bb.297:
	v_cvt_f64_i32_e32 v[5:6], v3
	v_cvt_f64_u32_e32 v[9:10], v2
	v_mov_b32_e32 v11, 0
	s_mov_b32 s3, 0
	s_delay_alu instid0(VALU_DEP_1) | instskip(NEXT) | instid1(VALU_DEP_4)
	v_mov_b32_e32 v12, v11
	v_ldexp_f64 v[5:6], v[5:6], 32
	s_delay_alu instid0(VALU_DEP_1)
	v_add_f64 v[9:10], v[5:6], v[9:10]
	global_store_b128 v[0:1], v[9:12], off
.LBB305_298:
	s_and_not1_b32 vcc_lo, exec_lo, s3
	s_cbranch_vccnz .LBB305_300
; %bb.299:
	v_xor_b32_e32 v5, v2, v3
	v_cls_i32_e32 v6, v3
	s_delay_alu instid0(VALU_DEP_2) | instskip(NEXT) | instid1(VALU_DEP_2)
	v_ashrrev_i32_e32 v5, 31, v5
	v_add_nc_u32_e32 v6, -1, v6
	s_delay_alu instid0(VALU_DEP_2) | instskip(NEXT) | instid1(VALU_DEP_1)
	v_add_nc_u32_e32 v5, 32, v5
	v_min_u32_e32 v9, v6, v5
	s_delay_alu instid0(VALU_DEP_1) | instskip(NEXT) | instid1(VALU_DEP_1)
	v_lshlrev_b64 v[5:6], v9, v[2:3]
	v_min_u32_e32 v5, 1, v5
	s_delay_alu instid0(VALU_DEP_1) | instskip(SKIP_1) | instid1(VALU_DEP_2)
	v_or_b32_e32 v5, v6, v5
	v_sub_nc_u32_e32 v6, 32, v9
	v_cvt_f32_i32_e32 v5, v5
	s_delay_alu instid0(VALU_DEP_1)
	v_ldexp_f32 v5, v5, v6
	v_mov_b32_e32 v6, 0
	global_store_b64 v[0:1], v[5:6], off
.LBB305_300:
	s_mov_b32 s3, 0
.LBB305_301:
	s_delay_alu instid0(SALU_CYCLE_1)
	s_and_not1_b32 vcc_lo, exec_lo, s3
	s_cbranch_vccnz .LBB305_303
; %bb.302:
	v_xor_b32_e32 v5, v2, v3
	v_cls_i32_e32 v6, v3
	s_delay_alu instid0(VALU_DEP_2) | instskip(NEXT) | instid1(VALU_DEP_2)
	v_ashrrev_i32_e32 v5, 31, v5
	v_add_nc_u32_e32 v6, -1, v6
	s_delay_alu instid0(VALU_DEP_2) | instskip(NEXT) | instid1(VALU_DEP_1)
	v_add_nc_u32_e32 v5, 32, v5
	v_min_u32_e32 v9, v6, v5
	s_delay_alu instid0(VALU_DEP_1) | instskip(NEXT) | instid1(VALU_DEP_1)
	v_lshlrev_b64 v[5:6], v9, v[2:3]
	v_min_u32_e32 v5, 1, v5
	s_delay_alu instid0(VALU_DEP_1) | instskip(SKIP_1) | instid1(VALU_DEP_2)
	v_or_b32_e32 v5, v6, v5
	v_sub_nc_u32_e32 v6, 32, v9
	v_cvt_f32_i32_e32 v5, v5
	s_delay_alu instid0(VALU_DEP_1) | instskip(NEXT) | instid1(VALU_DEP_1)
	v_ldexp_f32 v5, v5, v6
	v_cvt_f16_f32_e32 v5, v5
	s_delay_alu instid0(VALU_DEP_1)
	v_and_b32_e32 v5, 0xffff, v5
	global_store_b32 v[0:1], v5, off
.LBB305_303:
	s_mov_b32 s3, 0
.LBB305_304:
	s_delay_alu instid0(SALU_CYCLE_1)
	s_and_not1_b32 vcc_lo, exec_lo, s3
	s_cbranch_vccnz .LBB305_313
; %bb.305:
	v_cmp_gt_i16_e32 vcc_lo, 6, v4
	s_mov_b32 s3, -1
	s_cbranch_vccnz .LBB305_311
; %bb.306:
	v_cmp_lt_i16_e32 vcc_lo, 6, v4
	s_cbranch_vccz .LBB305_308
; %bb.307:
	v_cvt_f64_i32_e32 v[5:6], v3
	v_cvt_f64_u32_e32 v[9:10], v2
	s_mov_b32 s3, 0
	s_delay_alu instid0(VALU_DEP_2) | instskip(NEXT) | instid1(VALU_DEP_1)
	v_ldexp_f64 v[5:6], v[5:6], 32
	v_add_f64 v[5:6], v[5:6], v[9:10]
	global_store_b64 v[0:1], v[5:6], off
.LBB305_308:
	s_and_not1_b32 vcc_lo, exec_lo, s3
	s_cbranch_vccnz .LBB305_310
; %bb.309:
	v_xor_b32_e32 v5, v2, v3
	v_cls_i32_e32 v6, v3
	s_delay_alu instid0(VALU_DEP_2) | instskip(NEXT) | instid1(VALU_DEP_2)
	v_ashrrev_i32_e32 v5, 31, v5
	v_add_nc_u32_e32 v6, -1, v6
	s_delay_alu instid0(VALU_DEP_2) | instskip(NEXT) | instid1(VALU_DEP_1)
	v_add_nc_u32_e32 v5, 32, v5
	v_min_u32_e32 v9, v6, v5
	s_delay_alu instid0(VALU_DEP_1) | instskip(NEXT) | instid1(VALU_DEP_1)
	v_lshlrev_b64 v[5:6], v9, v[2:3]
	v_min_u32_e32 v5, 1, v5
	s_delay_alu instid0(VALU_DEP_1) | instskip(SKIP_1) | instid1(VALU_DEP_2)
	v_or_b32_e32 v5, v6, v5
	v_sub_nc_u32_e32 v6, 32, v9
	v_cvt_f32_i32_e32 v5, v5
	s_delay_alu instid0(VALU_DEP_1)
	v_ldexp_f32 v5, v5, v6
	global_store_b32 v[0:1], v5, off
.LBB305_310:
	s_mov_b32 s3, 0
.LBB305_311:
	s_delay_alu instid0(SALU_CYCLE_1)
	s_and_not1_b32 vcc_lo, exec_lo, s3
	s_cbranch_vccnz .LBB305_313
; %bb.312:
	v_xor_b32_e32 v5, v2, v3
	v_cls_i32_e32 v6, v3
	s_delay_alu instid0(VALU_DEP_2) | instskip(NEXT) | instid1(VALU_DEP_2)
	v_ashrrev_i32_e32 v5, 31, v5
	v_add_nc_u32_e32 v6, -1, v6
	s_delay_alu instid0(VALU_DEP_2) | instskip(NEXT) | instid1(VALU_DEP_1)
	v_add_nc_u32_e32 v5, 32, v5
	v_min_u32_e32 v9, v6, v5
	s_delay_alu instid0(VALU_DEP_1) | instskip(NEXT) | instid1(VALU_DEP_1)
	v_lshlrev_b64 v[5:6], v9, v[2:3]
	v_min_u32_e32 v5, 1, v5
	s_delay_alu instid0(VALU_DEP_1) | instskip(SKIP_1) | instid1(VALU_DEP_2)
	v_or_b32_e32 v5, v6, v5
	v_sub_nc_u32_e32 v6, 32, v9
	v_cvt_f32_i32_e32 v5, v5
	s_delay_alu instid0(VALU_DEP_1) | instskip(NEXT) | instid1(VALU_DEP_1)
	v_ldexp_f32 v5, v5, v6
	v_cvt_f16_f32_e32 v5, v5
	global_store_b16 v[0:1], v5, off
.LBB305_313:
	s_mov_b32 s3, 0
.LBB305_314:
	s_delay_alu instid0(SALU_CYCLE_1)
	s_and_not1_b32 vcc_lo, exec_lo, s3
	s_cbranch_vccnz .LBB305_330
; %bb.315:
	v_cmp_gt_i16_e32 vcc_lo, 2, v4
	s_mov_b32 s3, -1
	s_cbranch_vccnz .LBB305_325
; %bb.316:
	v_cmp_gt_i16_e32 vcc_lo, 3, v4
	s_cbranch_vccnz .LBB305_322
; %bb.317:
	v_cmp_lt_i16_e32 vcc_lo, 3, v4
	s_cbranch_vccz .LBB305_319
; %bb.318:
	s_mov_b32 s3, 0
	global_store_b64 v[0:1], v[2:3], off
.LBB305_319:
	s_and_not1_b32 vcc_lo, exec_lo, s3
	s_cbranch_vccnz .LBB305_321
; %bb.320:
	global_store_b32 v[0:1], v2, off
.LBB305_321:
	s_mov_b32 s3, 0
.LBB305_322:
	s_delay_alu instid0(SALU_CYCLE_1)
	s_and_not1_b32 vcc_lo, exec_lo, s3
	s_cbranch_vccnz .LBB305_324
; %bb.323:
	global_store_b16 v[0:1], v2, off
.LBB305_324:
	s_mov_b32 s3, 0
.LBB305_325:
	s_delay_alu instid0(SALU_CYCLE_1)
	s_and_not1_b32 vcc_lo, exec_lo, s3
	s_cbranch_vccnz .LBB305_330
; %bb.326:
	v_cmp_lt_i16_e32 vcc_lo, 0, v4
	s_mov_b32 s3, -1
	s_cbranch_vccz .LBB305_328
; %bb.327:
	s_mov_b32 s3, 0
	global_store_b8 v[0:1], v2, off
.LBB305_328:
	s_and_not1_b32 vcc_lo, exec_lo, s3
	s_cbranch_vccnz .LBB305_330
; %bb.329:
	global_store_b8 v[0:1], v2, off
.LBB305_330:
	s_branch .LBB305_419
.LBB305_331:
	s_mov_b32 s3, 0
	s_branch .LBB305_527
.LBB305_332:
	s_mov_b32 s3, -1
	s_mov_b32 s26, s40
                                        ; implicit-def: $vgpr3_vgpr4
	s_branch .LBB305_446
.LBB305_333:
	s_mov_b32 s3, -1
	s_mov_b32 s26, s40
                                        ; implicit-def: $vgpr3_vgpr4
	s_branch .LBB305_427
.LBB305_334:
	s_mov_b32 s2, s39
	s_branch .LBB305_376
.LBB305_335:
	s_mov_b32 s3, -1
	s_mov_b32 s26, s40
                                        ; implicit-def: $vgpr3_vgpr4
	s_branch .LBB305_422
.LBB305_336:
	s_mov_b32 s2, s39
	s_branch .LBB305_359
.LBB305_337:
	s_or_saveexec_b32 s39, s39
                                        ; implicit-def: $sgpr40
	s_delay_alu instid0(SALU_CYCLE_1)
	s_xor_b32 exec_lo, exec_lo, s39
	s_cbranch_execz .LBB305_104
.LBB305_338:
	v_add_f32_e64 v6, 0x46000000, |v5|
	s_and_not1_b32 s27, s27, exec_lo
	s_mov_b32 s40, 0
	s_delay_alu instid0(VALU_DEP_1) | instskip(NEXT) | instid1(VALU_DEP_1)
	v_and_b32_e32 v6, 0xff, v6
	v_cmp_ne_u32_e32 vcc_lo, 0, v6
	s_and_b32 s43, vcc_lo, exec_lo
	s_delay_alu instid0(SALU_CYCLE_1)
	s_or_b32 s27, s27, s43
	s_or_b32 exec_lo, exec_lo, s39
	v_mov_b32_e32 v9, s40
	s_and_saveexec_b32 s39, s27
	s_cbranch_execnz .LBB305_105
	s_branch .LBB305_106
.LBB305_339:
	s_mov_b32 s3, -1
	s_mov_b32 s26, s40
	s_branch .LBB305_344
.LBB305_340:
	s_mov_b32 s2, s39
	s_branch .LBB305_355
.LBB305_341:
	s_or_saveexec_b32 s39, s39
                                        ; implicit-def: $sgpr40
	s_delay_alu instid0(SALU_CYCLE_1)
	s_xor_b32 exec_lo, exec_lo, s39
	s_cbranch_execz .LBB305_117
.LBB305_342:
	v_add_f32_e64 v6, 0x42800000, |v5|
	s_and_not1_b32 s27, s27, exec_lo
	s_mov_b32 s40, 0
	s_delay_alu instid0(VALU_DEP_1) | instskip(NEXT) | instid1(VALU_DEP_1)
	v_and_b32_e32 v6, 0xff, v6
	v_cmp_ne_u32_e32 vcc_lo, 0, v6
	s_and_b32 s43, vcc_lo, exec_lo
	s_delay_alu instid0(SALU_CYCLE_1)
	s_or_b32 s27, s27, s43
	s_or_b32 exec_lo, exec_lo, s39
	v_mov_b32_e32 v9, s40
	s_and_saveexec_b32 s39, s27
	s_cbranch_execnz .LBB305_118
	s_branch .LBB305_119
.LBB305_343:
	s_mov_b32 s26, -1
.LBB305_344:
                                        ; implicit-def: $vgpr3_vgpr4
.LBB305_345:
	s_and_b32 vcc_lo, exec_lo, s3
	s_cbranch_vccz .LBB305_421
; %bb.346:
	v_cmp_eq_u16_e32 vcc_lo, 44, v7
	s_cbranch_vccz .LBB305_420
; %bb.347:
	global_load_u8 v3, v[1:2], off
	s_mov_b32 s26, 0
	s_mov_b32 s2, -1
	s_waitcnt vmcnt(0)
	v_lshlrev_b32_e32 v4, 23, v3
	s_delay_alu instid0(VALU_DEP_1) | instskip(NEXT) | instid1(VALU_DEP_1)
	v_trunc_f32_e32 v4, v4
	v_mul_f32_e64 v5, 0x2f800000, |v4|
	s_delay_alu instid0(VALU_DEP_1) | instskip(NEXT) | instid1(VALU_DEP_1)
	v_floor_f32_e32 v5, v5
	v_fma_f32 v6, 0xcf800000, v5, |v4|
	v_ashrrev_i32_e32 v4, 31, v4
	v_cvt_u32_f32_e32 v5, v5
	s_delay_alu instid0(VALU_DEP_3) | instskip(NEXT) | instid1(VALU_DEP_2)
	v_cvt_u32_f32_e32 v6, v6
	v_xor_b32_e32 v5, v5, v4
	s_delay_alu instid0(VALU_DEP_2) | instskip(NEXT) | instid1(VALU_DEP_1)
	v_xor_b32_e32 v6, v6, v4
	v_sub_co_u32 v6, vcc_lo, v6, v4
	s_delay_alu instid0(VALU_DEP_3) | instskip(SKIP_1) | instid1(VALU_DEP_2)
	v_sub_co_ci_u32_e32 v4, vcc_lo, v5, v4, vcc_lo
	v_cmp_ne_u32_e32 vcc_lo, 0, v3
	v_dual_cndmask_b32 v3, 0, v6 :: v_dual_cndmask_b32 v4, 0, v4
	s_branch .LBB305_421
.LBB305_348:
	s_mov_b32 s2, s39
.LBB305_349:
	s_and_b32 vcc_lo, exec_lo, s27
	s_cbranch_vccz .LBB305_354
; %bb.350:
	v_cmp_eq_u16_e32 vcc_lo, 44, v4
	s_mov_b32 s2, -1
	s_cbranch_vccz .LBB305_354
; %bb.351:
	v_xor_b32_e32 v5, v2, v3
	v_cls_i32_e32 v6, v3
	s_mov_b32 s3, -1
	s_mov_b32 s27, exec_lo
	s_delay_alu instid0(VALU_DEP_2) | instskip(NEXT) | instid1(VALU_DEP_2)
	v_ashrrev_i32_e32 v5, 31, v5
	v_add_nc_u32_e32 v6, -1, v6
	s_delay_alu instid0(VALU_DEP_2) | instskip(NEXT) | instid1(VALU_DEP_1)
	v_add_nc_u32_e32 v5, 32, v5
	v_min_u32_e32 v9, v6, v5
	s_delay_alu instid0(VALU_DEP_1) | instskip(NEXT) | instid1(VALU_DEP_1)
	v_lshlrev_b64 v[5:6], v9, v[2:3]
	v_min_u32_e32 v5, 1, v5
	s_delay_alu instid0(VALU_DEP_1) | instskip(SKIP_1) | instid1(VALU_DEP_2)
	v_or_b32_e32 v5, v6, v5
	v_sub_nc_u32_e32 v6, 32, v9
	v_cvt_f32_i32_e32 v5, v5
	s_delay_alu instid0(VALU_DEP_1) | instskip(SKIP_1) | instid1(VALU_DEP_2)
	v_ldexp_f32 v5, v5, v6
	v_mov_b32_e32 v6, 0xff
	v_bfe_u32 v9, v5, 23, 8
	s_delay_alu instid0(VALU_DEP_1)
	v_cmpx_ne_u32_e32 0xff, v9
; %bb.352:
	v_and_b32_e32 v6, 0x400000, v5
	v_and_or_b32 v9, 0x3fffff, v5, v9
	v_lshrrev_b32_e32 v5, 23, v5
	s_delay_alu instid0(VALU_DEP_3) | instskip(NEXT) | instid1(VALU_DEP_3)
	v_cmp_ne_u32_e32 vcc_lo, 0, v6
	v_cmp_ne_u32_e64 s2, 0, v9
	s_delay_alu instid0(VALU_DEP_1) | instskip(NEXT) | instid1(SALU_CYCLE_1)
	s_and_b32 s2, vcc_lo, s2
	v_cndmask_b32_e64 v6, 0, 1, s2
	s_delay_alu instid0(VALU_DEP_1)
	v_add_nc_u32_e32 v6, v5, v6
; %bb.353:
	s_or_b32 exec_lo, exec_lo, s27
	s_mov_b32 s2, 0
	global_store_b8 v[0:1], v6, off
.LBB305_354:
	s_mov_b32 s27, 0
.LBB305_355:
	s_delay_alu instid0(SALU_CYCLE_1)
	s_and_b32 vcc_lo, exec_lo, s27
	s_cbranch_vccz .LBB305_358
; %bb.356:
	v_cmp_eq_u16_e32 vcc_lo, 29, v4
	s_mov_b32 s2, -1
	s_cbranch_vccz .LBB305_358
; %bb.357:
	s_mov_b32 s3, -1
	s_mov_b32 s2, 0
	global_store_b64 v[0:1], v[2:3], off
.LBB305_358:
	s_mov_b32 s27, 0
.LBB305_359:
	s_delay_alu instid0(SALU_CYCLE_1)
	s_and_b32 vcc_lo, exec_lo, s27
	s_cbranch_vccz .LBB305_375
; %bb.360:
	v_cmp_gt_i16_e32 vcc_lo, 27, v4
	s_mov_b32 s3, -1
	s_cbranch_vccnz .LBB305_366
; %bb.361:
	v_cmp_lt_i16_e32 vcc_lo, 27, v4
	s_cbranch_vccz .LBB305_363
; %bb.362:
	s_mov_b32 s3, 0
	global_store_b32 v[0:1], v2, off
.LBB305_363:
	s_and_not1_b32 vcc_lo, exec_lo, s3
	s_cbranch_vccnz .LBB305_365
; %bb.364:
	global_store_b16 v[0:1], v2, off
.LBB305_365:
	s_mov_b32 s3, 0
.LBB305_366:
	s_delay_alu instid0(SALU_CYCLE_1)
	s_and_not1_b32 vcc_lo, exec_lo, s3
	s_cbranch_vccnz .LBB305_374
; %bb.367:
	v_xor_b32_e32 v5, v2, v3
	v_cls_i32_e32 v6, v3
	s_mov_b32 s3, exec_lo
	s_delay_alu instid0(VALU_DEP_2) | instskip(NEXT) | instid1(VALU_DEP_2)
	v_ashrrev_i32_e32 v5, 31, v5
	v_add_nc_u32_e32 v6, -1, v6
	s_delay_alu instid0(VALU_DEP_2) | instskip(NEXT) | instid1(VALU_DEP_1)
	v_add_nc_u32_e32 v5, 32, v5
	v_min_u32_e32 v9, v6, v5
	s_delay_alu instid0(VALU_DEP_1) | instskip(NEXT) | instid1(VALU_DEP_1)
	v_lshlrev_b64 v[5:6], v9, v[2:3]
	v_min_u32_e32 v5, 1, v5
	s_delay_alu instid0(VALU_DEP_1) | instskip(SKIP_2) | instid1(VALU_DEP_3)
	v_or_b32_e32 v5, v6, v5
	v_sub_nc_u32_e32 v6, 32, v9
	v_mov_b32_e32 v9, 0x80
	v_cvt_f32_i32_e32 v5, v5
	s_delay_alu instid0(VALU_DEP_1) | instskip(NEXT) | instid1(VALU_DEP_1)
	v_ldexp_f32 v5, v5, v6
	v_and_b32_e32 v6, 0x7fffffff, v5
	s_delay_alu instid0(VALU_DEP_1)
	v_cmpx_gt_u32_e32 0x43800000, v6
	s_cbranch_execz .LBB305_373
; %bb.368:
	v_cmp_lt_u32_e32 vcc_lo, 0x3bffffff, v6
	s_mov_b32 s27, 0
                                        ; implicit-def: $vgpr6
	s_and_saveexec_b32 s42, vcc_lo
	s_delay_alu instid0(SALU_CYCLE_1)
	s_xor_b32 s42, exec_lo, s42
	s_cbranch_execz .LBB305_555
; %bb.369:
	v_bfe_u32 v6, v5, 20, 1
	s_mov_b32 s27, exec_lo
	s_delay_alu instid0(VALU_DEP_1) | instskip(NEXT) | instid1(VALU_DEP_1)
	v_add3_u32 v6, v5, v6, 0x487ffff
	v_lshrrev_b32_e32 v6, 20, v6
	s_or_saveexec_b32 s42, s42
                                        ; implicit-def: $sgpr43
	s_delay_alu instid0(SALU_CYCLE_1)
	s_xor_b32 exec_lo, exec_lo, s42
	s_cbranch_execnz .LBB305_556
.LBB305_370:
	s_or_b32 exec_lo, exec_lo, s42
	v_mov_b32_e32 v9, s43
	s_and_saveexec_b32 s42, s27
.LBB305_371:
	v_lshrrev_b32_e32 v5, 24, v5
	s_delay_alu instid0(VALU_DEP_1)
	v_and_or_b32 v9, 0x80, v5, v6
.LBB305_372:
	s_or_b32 exec_lo, exec_lo, s42
.LBB305_373:
	s_delay_alu instid0(SALU_CYCLE_1)
	s_or_b32 exec_lo, exec_lo, s3
	global_store_b8 v[0:1], v9, off
.LBB305_374:
	s_mov_b32 s3, -1
.LBB305_375:
	s_mov_b32 s27, 0
.LBB305_376:
	s_delay_alu instid0(SALU_CYCLE_1)
	s_and_b32 vcc_lo, exec_lo, s27
	s_cbranch_vccz .LBB305_417
; %bb.377:
	v_cmp_lt_i16_e32 vcc_lo, 22, v4
	s_mov_b32 s27, -1
	s_cbranch_vccz .LBB305_409
; %bb.378:
	v_cmp_gt_i16_e32 vcc_lo, 24, v4
	s_mov_b32 s3, -1
	s_cbranch_vccnz .LBB305_398
; %bb.379:
	v_cmp_lt_i16_e32 vcc_lo, 24, v4
	s_cbranch_vccz .LBB305_387
; %bb.380:
	v_xor_b32_e32 v5, v2, v3
	v_cls_i32_e32 v6, v3
	s_mov_b32 s3, exec_lo
	s_delay_alu instid0(VALU_DEP_2) | instskip(NEXT) | instid1(VALU_DEP_2)
	v_ashrrev_i32_e32 v5, 31, v5
	v_add_nc_u32_e32 v6, -1, v6
	s_delay_alu instid0(VALU_DEP_2) | instskip(NEXT) | instid1(VALU_DEP_1)
	v_add_nc_u32_e32 v5, 32, v5
	v_min_u32_e32 v9, v6, v5
	s_delay_alu instid0(VALU_DEP_1) | instskip(NEXT) | instid1(VALU_DEP_1)
	v_lshlrev_b64 v[5:6], v9, v[2:3]
	v_min_u32_e32 v5, 1, v5
	s_delay_alu instid0(VALU_DEP_1) | instskip(SKIP_2) | instid1(VALU_DEP_3)
	v_or_b32_e32 v5, v6, v5
	v_sub_nc_u32_e32 v6, 32, v9
	v_mov_b32_e32 v9, 0x80
	v_cvt_f32_i32_e32 v5, v5
	s_delay_alu instid0(VALU_DEP_1) | instskip(NEXT) | instid1(VALU_DEP_1)
	v_ldexp_f32 v5, v5, v6
	v_and_b32_e32 v6, 0x7fffffff, v5
	s_delay_alu instid0(VALU_DEP_1)
	v_cmpx_gt_u32_e32 0x47800000, v6
	s_cbranch_execz .LBB305_386
; %bb.381:
	v_cmp_lt_u32_e32 vcc_lo, 0x37ffffff, v6
	s_mov_b32 s27, 0
                                        ; implicit-def: $vgpr6
	s_and_saveexec_b32 s42, vcc_lo
	s_delay_alu instid0(SALU_CYCLE_1)
	s_xor_b32 s42, exec_lo, s42
	s_cbranch_execz .LBB305_558
; %bb.382:
	v_bfe_u32 v6, v5, 21, 1
	s_mov_b32 s27, exec_lo
	s_delay_alu instid0(VALU_DEP_1) | instskip(NEXT) | instid1(VALU_DEP_1)
	v_add3_u32 v6, v5, v6, 0x88fffff
	v_lshrrev_b32_e32 v6, 21, v6
	s_or_saveexec_b32 s42, s42
                                        ; implicit-def: $sgpr43
	s_delay_alu instid0(SALU_CYCLE_1)
	s_xor_b32 exec_lo, exec_lo, s42
	s_cbranch_execnz .LBB305_559
.LBB305_383:
	s_or_b32 exec_lo, exec_lo, s42
	v_mov_b32_e32 v9, s43
	s_and_saveexec_b32 s42, s27
.LBB305_384:
	v_lshrrev_b32_e32 v5, 24, v5
	s_delay_alu instid0(VALU_DEP_1)
	v_and_or_b32 v9, 0x80, v5, v6
.LBB305_385:
	s_or_b32 exec_lo, exec_lo, s42
.LBB305_386:
	s_delay_alu instid0(SALU_CYCLE_1)
	s_or_b32 exec_lo, exec_lo, s3
	s_mov_b32 s3, 0
	global_store_b8 v[0:1], v9, off
.LBB305_387:
	s_and_b32 vcc_lo, exec_lo, s3
	s_cbranch_vccz .LBB305_397
; %bb.388:
	v_xor_b32_e32 v5, v2, v3
	v_cls_i32_e32 v6, v3
	s_mov_b32 s3, exec_lo
	s_delay_alu instid0(VALU_DEP_2) | instskip(NEXT) | instid1(VALU_DEP_2)
	v_ashrrev_i32_e32 v5, 31, v5
	v_add_nc_u32_e32 v6, -1, v6
	s_delay_alu instid0(VALU_DEP_2) | instskip(NEXT) | instid1(VALU_DEP_1)
	v_add_nc_u32_e32 v5, 32, v5
	v_min_u32_e32 v9, v6, v5
	s_delay_alu instid0(VALU_DEP_1) | instskip(NEXT) | instid1(VALU_DEP_1)
	v_lshlrev_b64 v[5:6], v9, v[2:3]
	v_min_u32_e32 v5, 1, v5
	s_delay_alu instid0(VALU_DEP_1) | instskip(SKIP_1) | instid1(VALU_DEP_2)
	v_or_b32_e32 v5, v6, v5
	v_sub_nc_u32_e32 v6, 32, v9
	v_cvt_f32_i32_e32 v5, v5
	s_delay_alu instid0(VALU_DEP_1) | instskip(NEXT) | instid1(VALU_DEP_1)
	v_ldexp_f32 v5, v5, v6
                                        ; implicit-def: $vgpr6
	v_and_b32_e32 v9, 0x7fffffff, v5
	s_delay_alu instid0(VALU_DEP_1)
	v_cmpx_gt_u32_e32 0x43f00000, v9
	s_xor_b32 s3, exec_lo, s3
	s_cbranch_execz .LBB305_394
; %bb.389:
	s_mov_b32 s27, exec_lo
                                        ; implicit-def: $vgpr6
	v_cmpx_lt_u32_e32 0x3c7fffff, v9
	s_xor_b32 s27, exec_lo, s27
; %bb.390:
	v_bfe_u32 v6, v5, 20, 1
	s_delay_alu instid0(VALU_DEP_1) | instskip(NEXT) | instid1(VALU_DEP_1)
	v_add3_u32 v6, v5, v6, 0x407ffff
	v_and_b32_e32 v9, 0xff00000, v6
	v_lshrrev_b32_e32 v6, 20, v6
	s_delay_alu instid0(VALU_DEP_2) | instskip(NEXT) | instid1(VALU_DEP_2)
	v_cmp_ne_u32_e32 vcc_lo, 0x7f00000, v9
	v_cndmask_b32_e32 v6, 0x7e, v6, vcc_lo
; %bb.391:
	s_and_not1_saveexec_b32 s27, s27
; %bb.392:
	v_add_f32_e64 v6, 0x46800000, |v5|
; %bb.393:
	s_or_b32 exec_lo, exec_lo, s27
                                        ; implicit-def: $vgpr9
.LBB305_394:
	s_and_not1_saveexec_b32 s3, s3
; %bb.395:
	v_mov_b32_e32 v6, 0x7f
	v_cmp_lt_u32_e32 vcc_lo, 0x7f800000, v9
	s_delay_alu instid0(VALU_DEP_2)
	v_cndmask_b32_e32 v6, 0x7e, v6, vcc_lo
; %bb.396:
	s_or_b32 exec_lo, exec_lo, s3
	v_lshrrev_b32_e32 v5, 24, v5
	s_delay_alu instid0(VALU_DEP_1)
	v_and_or_b32 v5, 0x80, v5, v6
	global_store_b8 v[0:1], v5, off
.LBB305_397:
	s_mov_b32 s3, 0
.LBB305_398:
	s_delay_alu instid0(SALU_CYCLE_1)
	s_and_not1_b32 vcc_lo, exec_lo, s3
	s_cbranch_vccnz .LBB305_408
; %bb.399:
	v_xor_b32_e32 v5, v2, v3
	v_cls_i32_e32 v6, v3
	s_mov_b32 s3, exec_lo
	s_delay_alu instid0(VALU_DEP_2) | instskip(NEXT) | instid1(VALU_DEP_2)
	v_ashrrev_i32_e32 v5, 31, v5
	v_add_nc_u32_e32 v6, -1, v6
	s_delay_alu instid0(VALU_DEP_2) | instskip(NEXT) | instid1(VALU_DEP_1)
	v_add_nc_u32_e32 v5, 32, v5
	v_min_u32_e32 v9, v6, v5
	s_delay_alu instid0(VALU_DEP_1) | instskip(NEXT) | instid1(VALU_DEP_1)
	v_lshlrev_b64 v[5:6], v9, v[2:3]
	v_min_u32_e32 v5, 1, v5
	s_delay_alu instid0(VALU_DEP_1) | instskip(SKIP_1) | instid1(VALU_DEP_2)
	v_or_b32_e32 v5, v6, v5
	v_sub_nc_u32_e32 v6, 32, v9
	v_cvt_f32_i32_e32 v5, v5
	s_delay_alu instid0(VALU_DEP_1) | instskip(NEXT) | instid1(VALU_DEP_1)
	v_ldexp_f32 v5, v5, v6
                                        ; implicit-def: $vgpr6
	v_and_b32_e32 v9, 0x7fffffff, v5
	s_delay_alu instid0(VALU_DEP_1)
	v_cmpx_gt_u32_e32 0x47800000, v9
	s_xor_b32 s3, exec_lo, s3
	s_cbranch_execz .LBB305_405
; %bb.400:
	s_mov_b32 s27, exec_lo
                                        ; implicit-def: $vgpr6
	v_cmpx_lt_u32_e32 0x387fffff, v9
	s_xor_b32 s27, exec_lo, s27
; %bb.401:
	v_bfe_u32 v6, v5, 21, 1
	s_delay_alu instid0(VALU_DEP_1) | instskip(NEXT) | instid1(VALU_DEP_1)
	v_add3_u32 v6, v5, v6, 0x80fffff
	v_lshrrev_b32_e32 v6, 21, v6
; %bb.402:
	s_and_not1_saveexec_b32 s27, s27
; %bb.403:
	v_add_f32_e64 v6, 0x43000000, |v5|
; %bb.404:
	s_or_b32 exec_lo, exec_lo, s27
                                        ; implicit-def: $vgpr9
.LBB305_405:
	s_and_not1_saveexec_b32 s3, s3
; %bb.406:
	v_mov_b32_e32 v6, 0x7f
	v_cmp_lt_u32_e32 vcc_lo, 0x7f800000, v9
	s_delay_alu instid0(VALU_DEP_2)
	v_cndmask_b32_e32 v6, 0x7c, v6, vcc_lo
; %bb.407:
	s_or_b32 exec_lo, exec_lo, s3
	v_lshrrev_b32_e32 v5, 24, v5
	s_delay_alu instid0(VALU_DEP_1)
	v_and_or_b32 v5, 0x80, v5, v6
	global_store_b8 v[0:1], v5, off
.LBB305_408:
	s_mov_b32 s27, 0
	s_mov_b32 s3, -1
.LBB305_409:
	s_and_not1_b32 vcc_lo, exec_lo, s27
	s_cbranch_vccnz .LBB305_417
; %bb.410:
	v_cmp_lt_i16_e32 vcc_lo, 14, v4
	s_mov_b32 s27, -1
	s_cbranch_vccz .LBB305_414
; %bb.411:
	v_cmp_eq_u16_e32 vcc_lo, 15, v4
	s_mov_b32 s2, -1
	s_cbranch_vccz .LBB305_413
; %bb.412:
	v_xor_b32_e32 v5, v2, v3
	v_cls_i32_e32 v6, v3
	s_mov_b32 s3, -1
	s_mov_b32 s2, 0
	s_delay_alu instid0(VALU_DEP_2) | instskip(NEXT) | instid1(VALU_DEP_2)
	v_ashrrev_i32_e32 v5, 31, v5
	v_add_nc_u32_e32 v6, -1, v6
	s_delay_alu instid0(VALU_DEP_2) | instskip(NEXT) | instid1(VALU_DEP_1)
	v_add_nc_u32_e32 v5, 32, v5
	v_min_u32_e32 v9, v6, v5
	s_delay_alu instid0(VALU_DEP_1) | instskip(NEXT) | instid1(VALU_DEP_1)
	v_lshlrev_b64 v[5:6], v9, v[2:3]
	v_min_u32_e32 v5, 1, v5
	s_delay_alu instid0(VALU_DEP_1) | instskip(SKIP_1) | instid1(VALU_DEP_2)
	v_or_b32_e32 v5, v6, v5
	v_sub_nc_u32_e32 v6, 32, v9
	v_cvt_f32_i32_e32 v5, v5
	s_delay_alu instid0(VALU_DEP_1) | instskip(NEXT) | instid1(VALU_DEP_1)
	v_ldexp_f32 v5, v5, v6
	v_bfe_u32 v6, v5, 16, 1
	s_delay_alu instid0(VALU_DEP_1)
	v_add3_u32 v5, v5, v6, 0x7fff
	global_store_d16_hi_b16 v[0:1], v5, off
.LBB305_413:
	s_mov_b32 s27, 0
.LBB305_414:
	s_delay_alu instid0(SALU_CYCLE_1)
	s_and_b32 vcc_lo, exec_lo, s27
	s_cbranch_vccz .LBB305_417
; %bb.415:
	v_cmp_eq_u16_e32 vcc_lo, 11, v4
	s_mov_b32 s2, -1
	s_cbranch_vccz .LBB305_417
; %bb.416:
	v_cmp_ne_u64_e32 vcc_lo, 0, v[2:3]
	s_mov_b32 s3, -1
	s_mov_b32 s2, 0
	v_cndmask_b32_e64 v5, 0, 1, vcc_lo
	global_store_b8 v[0:1], v5, off
.LBB305_417:
.LBB305_418:
	s_and_not1_b32 vcc_lo, exec_lo, s3
	s_cbranch_vccnz .LBB305_331
.LBB305_419:
	v_add_nc_u32_e32 v8, 0x80, v8
	s_mov_b32 s3, -1
	s_branch .LBB305_528
.LBB305_420:
	s_mov_b32 s26, -1
                                        ; implicit-def: $vgpr3_vgpr4
.LBB305_421:
	s_mov_b32 s3, 0
.LBB305_422:
	s_delay_alu instid0(SALU_CYCLE_1)
	s_and_b32 vcc_lo, exec_lo, s3
	s_cbranch_vccz .LBB305_426
; %bb.423:
	v_cmp_eq_u16_e32 vcc_lo, 29, v7
	s_cbranch_vccz .LBB305_425
; %bb.424:
	global_load_b64 v[3:4], v[1:2], off
	s_mov_b32 s2, -1
	s_mov_b32 s26, 0
	s_branch .LBB305_426
.LBB305_425:
	s_mov_b32 s26, -1
                                        ; implicit-def: $vgpr3_vgpr4
.LBB305_426:
	s_mov_b32 s3, 0
.LBB305_427:
	s_delay_alu instid0(SALU_CYCLE_1)
	s_and_b32 vcc_lo, exec_lo, s3
	s_cbranch_vccz .LBB305_445
; %bb.428:
	v_cmp_gt_i16_e32 vcc_lo, 27, v7
	s_cbranch_vccnz .LBB305_431
; %bb.429:
	v_cmp_lt_i16_e32 vcc_lo, 27, v7
	s_cbranch_vccz .LBB305_432
; %bb.430:
	global_load_b32 v3, v[1:2], off
	s_waitcnt vmcnt(1)
	v_mov_b32_e32 v4, 0
	s_mov_b32 s2, 0
	s_branch .LBB305_433
.LBB305_431:
	s_mov_b32 s2, -1
                                        ; implicit-def: $vgpr3_vgpr4
	s_branch .LBB305_436
.LBB305_432:
	s_mov_b32 s2, -1
                                        ; implicit-def: $vgpr3_vgpr4
.LBB305_433:
	s_delay_alu instid0(SALU_CYCLE_1)
	s_and_not1_b32 vcc_lo, exec_lo, s2
	s_cbranch_vccnz .LBB305_435
; %bb.434:
	global_load_u16 v3, v[1:2], off
	s_mov_b32 s2, 0
	s_waitcnt vmcnt(0)
	v_dual_mov_b32 v4, s2 :: v_dual_and_b32 v3, 0xffff, v3
.LBB305_435:
	s_mov_b32 s2, 0
.LBB305_436:
	s_delay_alu instid0(SALU_CYCLE_1)
	s_and_not1_b32 vcc_lo, exec_lo, s2
	s_cbranch_vccnz .LBB305_444
; %bb.437:
	global_load_u8 v5, v[1:2], off
	s_mov_b32 s27, 0
	s_mov_b32 s42, exec_lo
                                        ; implicit-def: $sgpr2_sgpr3
	s_waitcnt vmcnt(0)
	v_cmpx_lt_i16_e32 0x7f, v5
	s_xor_b32 s42, exec_lo, s42
; %bb.438:
	v_cmp_ne_u16_e32 vcc_lo, 0x80, v5
	s_mov_b64 s[2:3], 0
	s_and_b32 s27, vcc_lo, exec_lo
; %bb.439:
	s_or_saveexec_b32 s42, s42
	v_dual_mov_b32 v4, s3 :: v_dual_mov_b32 v3, s2
	s_xor_b32 exec_lo, exec_lo, s42
; %bb.440:
	v_cmp_ne_u16_e32 vcc_lo, 0, v5
	v_mov_b32_e32 v3, 0
	v_mov_b32_e32 v4, 0
	s_and_not1_b32 s2, s27, exec_lo
	s_and_b32 s3, vcc_lo, exec_lo
	s_delay_alu instid0(SALU_CYCLE_1)
	s_or_b32 s27, s2, s3
; %bb.441:
	s_or_b32 exec_lo, exec_lo, s42
	s_and_saveexec_b32 s2, s27
	s_cbranch_execz .LBB305_443
; %bb.442:
	v_and_b32_e32 v3, 0xffff, v5
	v_lshlrev_b32_e32 v5, 24, v5
	s_delay_alu instid0(VALU_DEP_2) | instskip(NEXT) | instid1(VALU_DEP_2)
	v_and_b32_e32 v4, 7, v3
	v_and_b32_e32 v5, 0x80000000, v5
	s_delay_alu instid0(VALU_DEP_2) | instskip(NEXT) | instid1(VALU_DEP_1)
	v_clz_i32_u32_e32 v6, v4
	v_min_u32_e32 v6, 32, v6
	s_delay_alu instid0(VALU_DEP_1) | instskip(SKIP_1) | instid1(VALU_DEP_2)
	v_subrev_nc_u32_e32 v9, 28, v6
	v_sub_nc_u32_e32 v6, 29, v6
	v_lshlrev_b32_e32 v9, v9, v3
	v_bfe_u32 v3, v3, 3, 4
	s_delay_alu instid0(VALU_DEP_2) | instskip(NEXT) | instid1(VALU_DEP_2)
	v_and_b32_e32 v9, 7, v9
	v_cmp_eq_u32_e32 vcc_lo, 0, v3
	s_delay_alu instid0(VALU_DEP_2) | instskip(NEXT) | instid1(VALU_DEP_1)
	v_dual_cndmask_b32 v3, v3, v6 :: v_dual_cndmask_b32 v4, v4, v9
	v_lshl_add_u32 v3, v3, 23, 0x3b800000
	s_delay_alu instid0(VALU_DEP_2) | instskip(NEXT) | instid1(VALU_DEP_1)
	v_lshlrev_b32_e32 v4, 20, v4
	v_or3_b32 v3, v5, v3, v4
	s_delay_alu instid0(VALU_DEP_1) | instskip(NEXT) | instid1(VALU_DEP_1)
	v_trunc_f32_e32 v3, v3
	v_mul_f32_e64 v4, 0x2f800000, |v3|
	v_ashrrev_i32_e32 v6, 31, v3
	s_delay_alu instid0(VALU_DEP_2) | instskip(NEXT) | instid1(VALU_DEP_1)
	v_floor_f32_e32 v4, v4
	v_fma_f32 v5, 0xcf800000, v4, |v3|
	v_cvt_u32_f32_e32 v4, v4
	s_delay_alu instid0(VALU_DEP_2) | instskip(NEXT) | instid1(VALU_DEP_2)
	v_cvt_u32_f32_e32 v3, v5
	v_xor_b32_e32 v4, v4, v6
	s_delay_alu instid0(VALU_DEP_2) | instskip(NEXT) | instid1(VALU_DEP_1)
	v_xor_b32_e32 v3, v3, v6
	v_sub_co_u32 v3, vcc_lo, v3, v6
	s_delay_alu instid0(VALU_DEP_3)
	v_sub_co_ci_u32_e32 v4, vcc_lo, v4, v6, vcc_lo
.LBB305_443:
	s_or_b32 exec_lo, exec_lo, s2
.LBB305_444:
	s_mov_b32 s2, -1
.LBB305_445:
	s_mov_b32 s3, 0
.LBB305_446:
	s_delay_alu instid0(SALU_CYCLE_1)
	s_and_b32 vcc_lo, exec_lo, s3
	s_cbranch_vccz .LBB305_477
; %bb.447:
	v_cmp_lt_i16_e32 vcc_lo, 22, v7
	s_cbranch_vccz .LBB305_457
; %bb.448:
	v_cmp_gt_i16_e32 vcc_lo, 24, v7
	s_cbranch_vccnz .LBB305_458
; %bb.449:
	v_cmp_lt_i16_e32 vcc_lo, 24, v7
	s_cbranch_vccz .LBB305_459
; %bb.450:
	global_load_u8 v5, v[1:2], off
	s_mov_b32 s27, 0
	s_mov_b32 s42, exec_lo
                                        ; implicit-def: $sgpr2_sgpr3
	s_waitcnt vmcnt(0)
	v_cmpx_lt_i16_e32 0x7f, v5
	s_xor_b32 s42, exec_lo, s42
; %bb.451:
	v_cmp_ne_u16_e32 vcc_lo, 0x80, v5
	s_mov_b64 s[2:3], 0
	s_and_b32 s27, vcc_lo, exec_lo
; %bb.452:
	s_or_saveexec_b32 s42, s42
	v_dual_mov_b32 v4, s3 :: v_dual_mov_b32 v3, s2
	s_xor_b32 exec_lo, exec_lo, s42
; %bb.453:
	v_cmp_ne_u16_e32 vcc_lo, 0, v5
	v_mov_b32_e32 v3, 0
	v_mov_b32_e32 v4, 0
	s_and_not1_b32 s2, s27, exec_lo
	s_and_b32 s3, vcc_lo, exec_lo
	s_delay_alu instid0(SALU_CYCLE_1)
	s_or_b32 s27, s2, s3
; %bb.454:
	s_or_b32 exec_lo, exec_lo, s42
	s_and_saveexec_b32 s2, s27
	s_cbranch_execz .LBB305_456
; %bb.455:
	v_and_b32_e32 v3, 0xffff, v5
	v_lshlrev_b32_e32 v5, 24, v5
	s_delay_alu instid0(VALU_DEP_2) | instskip(NEXT) | instid1(VALU_DEP_2)
	v_and_b32_e32 v4, 3, v3
	v_and_b32_e32 v5, 0x80000000, v5
	s_delay_alu instid0(VALU_DEP_2) | instskip(NEXT) | instid1(VALU_DEP_1)
	v_clz_i32_u32_e32 v6, v4
	v_min_u32_e32 v6, 32, v6
	s_delay_alu instid0(VALU_DEP_1) | instskip(SKIP_1) | instid1(VALU_DEP_2)
	v_subrev_nc_u32_e32 v9, 29, v6
	v_sub_nc_u32_e32 v6, 30, v6
	v_lshlrev_b32_e32 v9, v9, v3
	v_bfe_u32 v3, v3, 2, 5
	s_delay_alu instid0(VALU_DEP_2) | instskip(NEXT) | instid1(VALU_DEP_2)
	v_and_b32_e32 v9, 3, v9
	v_cmp_eq_u32_e32 vcc_lo, 0, v3
	s_delay_alu instid0(VALU_DEP_2) | instskip(NEXT) | instid1(VALU_DEP_1)
	v_dual_cndmask_b32 v3, v3, v6 :: v_dual_cndmask_b32 v4, v4, v9
	v_lshl_add_u32 v3, v3, 23, 0x37800000
	s_delay_alu instid0(VALU_DEP_2) | instskip(NEXT) | instid1(VALU_DEP_1)
	v_lshlrev_b32_e32 v4, 21, v4
	v_or3_b32 v3, v5, v3, v4
	s_delay_alu instid0(VALU_DEP_1) | instskip(NEXT) | instid1(VALU_DEP_1)
	v_trunc_f32_e32 v3, v3
	v_mul_f32_e64 v4, 0x2f800000, |v3|
	v_ashrrev_i32_e32 v6, 31, v3
	s_delay_alu instid0(VALU_DEP_2) | instskip(NEXT) | instid1(VALU_DEP_1)
	v_floor_f32_e32 v4, v4
	v_fma_f32 v5, 0xcf800000, v4, |v3|
	v_cvt_u32_f32_e32 v4, v4
	s_delay_alu instid0(VALU_DEP_2) | instskip(NEXT) | instid1(VALU_DEP_2)
	v_cvt_u32_f32_e32 v3, v5
	v_xor_b32_e32 v4, v4, v6
	s_delay_alu instid0(VALU_DEP_2) | instskip(NEXT) | instid1(VALU_DEP_1)
	v_xor_b32_e32 v3, v3, v6
	v_sub_co_u32 v3, vcc_lo, v3, v6
	s_delay_alu instid0(VALU_DEP_3)
	v_sub_co_ci_u32_e32 v4, vcc_lo, v4, v6, vcc_lo
.LBB305_456:
	s_or_b32 exec_lo, exec_lo, s2
	s_mov_b32 s2, 0
	s_branch .LBB305_460
.LBB305_457:
	s_mov_b32 s3, -1
                                        ; implicit-def: $vgpr3_vgpr4
	s_branch .LBB305_466
.LBB305_458:
	s_mov_b32 s2, -1
                                        ; implicit-def: $vgpr3_vgpr4
	s_branch .LBB305_463
.LBB305_459:
	s_mov_b32 s2, -1
                                        ; implicit-def: $vgpr3_vgpr4
.LBB305_460:
	s_delay_alu instid0(SALU_CYCLE_1)
	s_and_b32 vcc_lo, exec_lo, s2
	s_cbranch_vccz .LBB305_462
; %bb.461:
	global_load_u8 v3, v[1:2], off
	s_waitcnt vmcnt(0)
	v_lshlrev_b32_e32 v3, 24, v3
	s_delay_alu instid0(VALU_DEP_1) | instskip(NEXT) | instid1(VALU_DEP_1)
	v_and_b32_e32 v4, 0x7f000000, v3
	v_clz_i32_u32_e32 v5, v4
	v_add_nc_u32_e32 v9, 0x1000000, v4
	v_cmp_ne_u32_e32 vcc_lo, 0, v4
	s_delay_alu instid0(VALU_DEP_3) | instskip(NEXT) | instid1(VALU_DEP_1)
	v_min_u32_e32 v5, 32, v5
	v_sub_nc_u32_e64 v5, v5, 4 clamp
	s_delay_alu instid0(VALU_DEP_1) | instskip(SKIP_1) | instid1(VALU_DEP_2)
	v_lshlrev_b32_e32 v6, v5, v4
	v_lshlrev_b32_e32 v5, 23, v5
	v_lshrrev_b32_e32 v6, 4, v6
	s_delay_alu instid0(VALU_DEP_1) | instskip(SKIP_1) | instid1(VALU_DEP_2)
	v_sub_nc_u32_e32 v5, v6, v5
	v_ashrrev_i32_e32 v6, 8, v9
	v_add_nc_u32_e32 v5, 0x3c000000, v5
	s_delay_alu instid0(VALU_DEP_1) | instskip(NEXT) | instid1(VALU_DEP_1)
	v_and_or_b32 v5, 0x7f800000, v6, v5
	v_cndmask_b32_e32 v4, 0, v5, vcc_lo
	s_delay_alu instid0(VALU_DEP_1) | instskip(NEXT) | instid1(VALU_DEP_1)
	v_and_or_b32 v3, 0x80000000, v3, v4
	v_trunc_f32_e32 v3, v3
	s_delay_alu instid0(VALU_DEP_1) | instskip(SKIP_1) | instid1(VALU_DEP_2)
	v_mul_f32_e64 v4, 0x2f800000, |v3|
	v_ashrrev_i32_e32 v6, 31, v3
	v_floor_f32_e32 v4, v4
	s_delay_alu instid0(VALU_DEP_1) | instskip(SKIP_1) | instid1(VALU_DEP_2)
	v_fma_f32 v5, 0xcf800000, v4, |v3|
	v_cvt_u32_f32_e32 v4, v4
	v_cvt_u32_f32_e32 v3, v5
	s_delay_alu instid0(VALU_DEP_2) | instskip(NEXT) | instid1(VALU_DEP_2)
	v_xor_b32_e32 v4, v4, v6
	v_xor_b32_e32 v3, v3, v6
	s_delay_alu instid0(VALU_DEP_1) | instskip(NEXT) | instid1(VALU_DEP_3)
	v_sub_co_u32 v3, vcc_lo, v3, v6
	v_sub_co_ci_u32_e32 v4, vcc_lo, v4, v6, vcc_lo
.LBB305_462:
	s_mov_b32 s2, 0
.LBB305_463:
	s_delay_alu instid0(SALU_CYCLE_1)
	s_and_not1_b32 vcc_lo, exec_lo, s2
	s_cbranch_vccnz .LBB305_465
; %bb.464:
	global_load_u8 v3, v[1:2], off
	s_waitcnt vmcnt(0)
	v_lshlrev_b32_e32 v4, 25, v3
	v_lshlrev_b16 v3, 8, v3
	s_delay_alu instid0(VALU_DEP_2) | instskip(NEXT) | instid1(VALU_DEP_2)
	v_lshrrev_b32_e32 v5, 4, v4
	v_and_or_b32 v6, 0x7f00, v3, 0.5
	v_bfe_i32 v3, v3, 0, 16
	s_delay_alu instid0(VALU_DEP_3) | instskip(NEXT) | instid1(VALU_DEP_1)
	v_or_b32_e32 v5, 0x70000000, v5
	v_dual_add_f32 v6, -0.5, v6 :: v_dual_mul_f32 v5, 0x7800000, v5
	v_cmp_gt_u32_e32 vcc_lo, 0x8000000, v4
	s_delay_alu instid0(VALU_DEP_2) | instskip(NEXT) | instid1(VALU_DEP_1)
	v_cndmask_b32_e32 v4, v5, v6, vcc_lo
	v_and_or_b32 v3, 0x80000000, v3, v4
	s_delay_alu instid0(VALU_DEP_1) | instskip(NEXT) | instid1(VALU_DEP_1)
	v_trunc_f32_e32 v3, v3
	v_mul_f32_e64 v4, 0x2f800000, |v3|
	v_ashrrev_i32_e32 v6, 31, v3
	s_delay_alu instid0(VALU_DEP_2) | instskip(NEXT) | instid1(VALU_DEP_1)
	v_floor_f32_e32 v4, v4
	v_fma_f32 v5, 0xcf800000, v4, |v3|
	v_cvt_u32_f32_e32 v4, v4
	s_delay_alu instid0(VALU_DEP_2) | instskip(NEXT) | instid1(VALU_DEP_2)
	v_cvt_u32_f32_e32 v3, v5
	v_xor_b32_e32 v4, v4, v6
	s_delay_alu instid0(VALU_DEP_2) | instskip(NEXT) | instid1(VALU_DEP_1)
	v_xor_b32_e32 v3, v3, v6
	v_sub_co_u32 v3, vcc_lo, v3, v6
	s_delay_alu instid0(VALU_DEP_3)
	v_sub_co_ci_u32_e32 v4, vcc_lo, v4, v6, vcc_lo
.LBB305_465:
	s_mov_b32 s3, 0
	s_mov_b32 s2, -1
.LBB305_466:
	s_and_not1_b32 vcc_lo, exec_lo, s3
	s_cbranch_vccnz .LBB305_477
; %bb.467:
	v_cmp_lt_i16_e32 vcc_lo, 14, v7
	s_cbranch_vccz .LBB305_470
; %bb.468:
	v_cmp_eq_u16_e32 vcc_lo, 15, v7
	s_cbranch_vccz .LBB305_471
; %bb.469:
	global_load_u16 v3, v[1:2], off
	s_mov_b32 s2, -1
	s_mov_b32 s26, 0
	s_waitcnt vmcnt(0)
	v_lshlrev_b32_e32 v3, 16, v3
	s_delay_alu instid0(VALU_DEP_1) | instskip(NEXT) | instid1(VALU_DEP_1)
	v_trunc_f32_e32 v3, v3
	v_mul_f32_e64 v4, 0x2f800000, |v3|
	v_ashrrev_i32_e32 v6, 31, v3
	s_delay_alu instid0(VALU_DEP_2) | instskip(NEXT) | instid1(VALU_DEP_1)
	v_floor_f32_e32 v4, v4
	v_fma_f32 v5, 0xcf800000, v4, |v3|
	v_cvt_u32_f32_e32 v4, v4
	s_delay_alu instid0(VALU_DEP_2) | instskip(NEXT) | instid1(VALU_DEP_2)
	v_cvt_u32_f32_e32 v3, v5
	v_xor_b32_e32 v4, v4, v6
	s_delay_alu instid0(VALU_DEP_2) | instskip(NEXT) | instid1(VALU_DEP_1)
	v_xor_b32_e32 v3, v3, v6
	v_sub_co_u32 v3, vcc_lo, v3, v6
	s_delay_alu instid0(VALU_DEP_3)
	v_sub_co_ci_u32_e32 v4, vcc_lo, v4, v6, vcc_lo
	s_branch .LBB305_472
.LBB305_470:
	s_mov_b32 s3, -1
                                        ; implicit-def: $vgpr3_vgpr4
	s_branch .LBB305_473
.LBB305_471:
	s_mov_b32 s26, -1
                                        ; implicit-def: $vgpr3_vgpr4
.LBB305_472:
	s_mov_b32 s3, 0
.LBB305_473:
	s_delay_alu instid0(SALU_CYCLE_1)
	s_and_b32 vcc_lo, exec_lo, s3
	s_cbranch_vccz .LBB305_477
; %bb.474:
	v_cmp_eq_u16_e32 vcc_lo, 11, v7
	s_cbranch_vccz .LBB305_476
; %bb.475:
	global_load_u8 v3, v[1:2], off
	s_mov_b32 s26, 0
	s_mov_b32 s2, -1
	s_waitcnt vmcnt(1)
	v_mov_b32_e32 v4, s26
	s_waitcnt vmcnt(0)
	v_cmp_ne_u16_e32 vcc_lo, 0, v3
	v_cndmask_b32_e64 v3, 0, 1, vcc_lo
	s_branch .LBB305_477
.LBB305_476:
	s_mov_b32 s26, -1
                                        ; implicit-def: $vgpr3_vgpr4
.LBB305_477:
	s_branch .LBB305_284
.LBB305_478:
	v_cmp_gt_i16_e32 vcc_lo, 5, v7
	s_cbranch_vccnz .LBB305_483
; %bb.479:
	v_cmp_gt_i16_e32 vcc_lo, 8, v7
	s_cbranch_vccnz .LBB305_484
; %bb.480:
	;; [unrolled: 3-line block ×3, first 2 shown]
	v_cmp_lt_i16_e32 vcc_lo, 9, v7
	s_cbranch_vccz .LBB305_486
; %bb.482:
	global_load_b64 v[3:4], v[1:2], off
	s_mov_b32 s2, 0
	s_waitcnt vmcnt(0)
	v_trunc_f64_e32 v[3:4], v[3:4]
	s_delay_alu instid0(VALU_DEP_1) | instskip(NEXT) | instid1(VALU_DEP_1)
	v_ldexp_f64 v[5:6], v[3:4], 0xffffffe0
	v_floor_f64_e32 v[5:6], v[5:6]
	s_delay_alu instid0(VALU_DEP_1) | instskip(SKIP_1) | instid1(VALU_DEP_2)
	v_fma_f64 v[9:10], 0xc1f00000, v[5:6], v[3:4]
	v_cvt_i32_f64_e32 v4, v[5:6]
	v_cvt_u32_f64_e32 v3, v[9:10]
	s_branch .LBB305_487
.LBB305_483:
	s_mov_b32 s2, -1
                                        ; implicit-def: $vgpr3_vgpr4
	s_branch .LBB305_505
.LBB305_484:
	s_mov_b32 s2, -1
                                        ; implicit-def: $vgpr3_vgpr4
	s_branch .LBB305_493
.LBB305_485:
	s_mov_b32 s2, -1
                                        ; implicit-def: $vgpr3_vgpr4
	s_branch .LBB305_490
.LBB305_486:
	s_mov_b32 s2, -1
                                        ; implicit-def: $vgpr3_vgpr4
.LBB305_487:
	s_delay_alu instid0(SALU_CYCLE_1)
	s_and_not1_b32 vcc_lo, exec_lo, s2
	s_cbranch_vccnz .LBB305_489
; %bb.488:
	global_load_b32 v3, v[1:2], off
	s_waitcnt vmcnt(0)
	v_trunc_f32_e32 v3, v3
	s_delay_alu instid0(VALU_DEP_1) | instskip(SKIP_1) | instid1(VALU_DEP_2)
	v_mul_f32_e64 v4, 0x2f800000, |v3|
	v_ashrrev_i32_e32 v6, 31, v3
	v_floor_f32_e32 v4, v4
	s_delay_alu instid0(VALU_DEP_1) | instskip(SKIP_1) | instid1(VALU_DEP_2)
	v_fma_f32 v5, 0xcf800000, v4, |v3|
	v_cvt_u32_f32_e32 v4, v4
	v_cvt_u32_f32_e32 v3, v5
	s_delay_alu instid0(VALU_DEP_2) | instskip(NEXT) | instid1(VALU_DEP_2)
	v_xor_b32_e32 v4, v4, v6
	v_xor_b32_e32 v3, v3, v6
	s_delay_alu instid0(VALU_DEP_1) | instskip(NEXT) | instid1(VALU_DEP_3)
	v_sub_co_u32 v3, vcc_lo, v3, v6
	v_sub_co_ci_u32_e32 v4, vcc_lo, v4, v6, vcc_lo
.LBB305_489:
	s_mov_b32 s2, 0
.LBB305_490:
	s_delay_alu instid0(SALU_CYCLE_1)
	s_and_not1_b32 vcc_lo, exec_lo, s2
	s_cbranch_vccnz .LBB305_492
; %bb.491:
	global_load_b32 v3, v[1:2], off
	s_waitcnt vmcnt(0)
	v_cvt_f32_f16_e32 v3, v3
	s_delay_alu instid0(VALU_DEP_1) | instskip(NEXT) | instid1(VALU_DEP_1)
	v_cvt_i32_f32_e32 v3, v3
	v_ashrrev_i32_e32 v4, 31, v3
.LBB305_492:
	s_mov_b32 s2, 0
.LBB305_493:
	s_delay_alu instid0(SALU_CYCLE_1)
	s_and_not1_b32 vcc_lo, exec_lo, s2
	s_cbranch_vccnz .LBB305_504
; %bb.494:
	v_cmp_gt_i16_e32 vcc_lo, 6, v7
	s_cbranch_vccnz .LBB305_497
; %bb.495:
	v_cmp_lt_i16_e32 vcc_lo, 6, v7
	s_cbranch_vccz .LBB305_498
; %bb.496:
	global_load_b64 v[3:4], v[1:2], off
	s_mov_b32 s2, 0
	s_waitcnt vmcnt(0)
	v_trunc_f64_e32 v[3:4], v[3:4]
	s_delay_alu instid0(VALU_DEP_1) | instskip(NEXT) | instid1(VALU_DEP_1)
	v_ldexp_f64 v[5:6], v[3:4], 0xffffffe0
	v_floor_f64_e32 v[5:6], v[5:6]
	s_delay_alu instid0(VALU_DEP_1) | instskip(SKIP_1) | instid1(VALU_DEP_2)
	v_fma_f64 v[9:10], 0xc1f00000, v[5:6], v[3:4]
	v_cvt_i32_f64_e32 v4, v[5:6]
	v_cvt_u32_f64_e32 v3, v[9:10]
	s_branch .LBB305_499
.LBB305_497:
	s_mov_b32 s2, -1
                                        ; implicit-def: $vgpr3_vgpr4
	s_branch .LBB305_502
.LBB305_498:
	s_mov_b32 s2, -1
                                        ; implicit-def: $vgpr3_vgpr4
.LBB305_499:
	s_delay_alu instid0(SALU_CYCLE_1)
	s_and_not1_b32 vcc_lo, exec_lo, s2
	s_cbranch_vccnz .LBB305_501
; %bb.500:
	global_load_b32 v3, v[1:2], off
	s_waitcnt vmcnt(0)
	v_trunc_f32_e32 v3, v3
	s_delay_alu instid0(VALU_DEP_1) | instskip(SKIP_1) | instid1(VALU_DEP_2)
	v_mul_f32_e64 v4, 0x2f800000, |v3|
	v_ashrrev_i32_e32 v6, 31, v3
	v_floor_f32_e32 v4, v4
	s_delay_alu instid0(VALU_DEP_1) | instskip(SKIP_1) | instid1(VALU_DEP_2)
	v_fma_f32 v5, 0xcf800000, v4, |v3|
	v_cvt_u32_f32_e32 v4, v4
	v_cvt_u32_f32_e32 v3, v5
	s_delay_alu instid0(VALU_DEP_2) | instskip(NEXT) | instid1(VALU_DEP_2)
	v_xor_b32_e32 v4, v4, v6
	v_xor_b32_e32 v3, v3, v6
	s_delay_alu instid0(VALU_DEP_1) | instskip(NEXT) | instid1(VALU_DEP_3)
	v_sub_co_u32 v3, vcc_lo, v3, v6
	v_sub_co_ci_u32_e32 v4, vcc_lo, v4, v6, vcc_lo
.LBB305_501:
	s_mov_b32 s2, 0
.LBB305_502:
	s_delay_alu instid0(SALU_CYCLE_1)
	s_and_not1_b32 vcc_lo, exec_lo, s2
	s_cbranch_vccnz .LBB305_504
; %bb.503:
	global_load_u16 v3, v[1:2], off
	s_waitcnt vmcnt(0)
	v_cvt_f32_f16_e32 v3, v3
	s_delay_alu instid0(VALU_DEP_1) | instskip(NEXT) | instid1(VALU_DEP_1)
	v_cvt_i32_f32_e32 v3, v3
	v_ashrrev_i32_e32 v4, 31, v3
.LBB305_504:
	s_mov_b32 s2, 0
.LBB305_505:
	s_delay_alu instid0(SALU_CYCLE_1)
	s_and_not1_b32 vcc_lo, exec_lo, s2
	s_cbranch_vccnz .LBB305_525
; %bb.506:
	v_cmp_gt_i16_e32 vcc_lo, 2, v7
	s_cbranch_vccnz .LBB305_510
; %bb.507:
	v_cmp_gt_i16_e32 vcc_lo, 3, v7
	s_cbranch_vccnz .LBB305_511
; %bb.508:
	v_cmp_lt_i16_e32 vcc_lo, 3, v7
	s_cbranch_vccz .LBB305_512
; %bb.509:
	global_load_b64 v[3:4], v[1:2], off
	s_mov_b32 s2, 0
	s_branch .LBB305_513
.LBB305_510:
	s_mov_b32 s2, -1
                                        ; implicit-def: $vgpr3_vgpr4
	s_branch .LBB305_519
.LBB305_511:
	s_mov_b32 s2, -1
                                        ; implicit-def: $vgpr3_vgpr4
	s_branch .LBB305_516
.LBB305_512:
	s_mov_b32 s2, -1
                                        ; implicit-def: $vgpr3_vgpr4
.LBB305_513:
	s_delay_alu instid0(SALU_CYCLE_1)
	s_and_not1_b32 vcc_lo, exec_lo, s2
	s_cbranch_vccnz .LBB305_515
; %bb.514:
	global_load_b32 v3, v[1:2], off
	s_waitcnt vmcnt(0)
	v_ashrrev_i32_e32 v4, 31, v3
.LBB305_515:
	s_mov_b32 s2, 0
.LBB305_516:
	s_delay_alu instid0(SALU_CYCLE_1)
	s_and_not1_b32 vcc_lo, exec_lo, s2
	s_cbranch_vccnz .LBB305_518
; %bb.517:
	global_load_u16 v3, v[1:2], off
	s_waitcnt vmcnt(0)
	v_bfe_i32 v3, v3, 0, 16
	s_delay_alu instid0(VALU_DEP_1)
	v_ashrrev_i32_e32 v4, 31, v3
.LBB305_518:
	s_mov_b32 s2, 0
.LBB305_519:
	s_delay_alu instid0(SALU_CYCLE_1)
	s_and_not1_b32 vcc_lo, exec_lo, s2
	s_cbranch_vccnz .LBB305_525
; %bb.520:
	v_cmp_lt_i16_e32 vcc_lo, 0, v7
	s_mov_b32 s2, 0
	s_cbranch_vccz .LBB305_522
; %bb.521:
	global_load_i8 v3, v[1:2], off
	s_waitcnt vmcnt(0)
	v_bfe_i32 v3, v3, 0, 16
	s_delay_alu instid0(VALU_DEP_1)
	v_ashrrev_i32_e32 v4, 31, v3
	s_branch .LBB305_523
.LBB305_522:
	s_mov_b32 s2, -1
                                        ; implicit-def: $vgpr3_vgpr4
.LBB305_523:
	s_delay_alu instid0(SALU_CYCLE_1)
	s_and_not1_b32 vcc_lo, exec_lo, s2
	s_cbranch_vccnz .LBB305_525
; %bb.524:
	global_load_u8 v1, v[1:2], off
	s_mov_b32 s2, 0
	s_waitcnt vmcnt(0)
	v_dual_mov_b32 v4, s2 :: v_dual_and_b32 v3, 0xffff, v1
.LBB305_525:
	s_branch .LBB305_285
.LBB305_526:
	s_mov_b32 s3, 0
	s_mov_b32 s2, s39
.LBB305_527:
                                        ; implicit-def: $vgpr8
.LBB305_528:
	s_and_not1_b32 s27, s39, exec_lo
	s_and_b32 s2, s2, exec_lo
	s_and_not1_b32 s42, s40, exec_lo
	s_and_b32 s26, s26, exec_lo
	s_or_b32 s43, s27, s2
	s_or_b32 s42, s42, s26
	s_or_not1_b32 s2, s3, exec_lo
.LBB305_529:
	s_or_b32 exec_lo, exec_lo, s44
	s_mov_b32 s3, 0
	s_mov_b32 s27, 0
	;; [unrolled: 1-line block ×3, first 2 shown]
                                        ; implicit-def: $vgpr1_vgpr2
                                        ; implicit-def: $vgpr0
                                        ; implicit-def: $vgpr5_vgpr6
	s_and_saveexec_b32 s44, s2
	s_cbranch_execz .LBB305_893
; %bb.530:
	s_mov_b32 s47, -1
	s_mov_b32 s26, s42
	s_mov_b32 s27, s43
	s_mov_b32 s45, exec_lo
	v_cmpx_gt_i32_e64 s36, v8
	s_cbranch_execz .LBB305_798
; %bb.531:
	s_and_not1_b32 vcc_lo, exec_lo, s31
	s_cbranch_vccnz .LBB305_536
; %bb.532:
	v_dual_mov_b32 v0, 0 :: v_dual_mov_b32 v1, 0
	s_and_not1_b32 vcc_lo, exec_lo, s38
	s_mov_b32 s46, 0
	s_cbranch_vccnz .LBB305_541
; %bb.533:
	v_mov_b32_e32 v0, 0
	s_add_i32 s48, s37, 1
	s_cmp_eq_u32 s29, 2
	s_mov_b32 s47, 0
	s_cbranch_scc1 .LBB305_537
; %bb.534:
	v_dual_mov_b32 v1, 0 :: v_dual_mov_b32 v0, 0
	v_mov_b32_e32 v2, v8
	s_and_b32 s47, s48, 28
	s_mov_b32 s49, 0
	s_mov_b64 s[2:3], s[24:25]
	s_mov_b64 s[26:27], s[20:21]
.LBB305_535:                            ; =>This Inner Loop Header: Depth=1
	s_clause 0x1
	s_load_b256 s[52:59], s[26:27], 0x4
	s_load_b128 s[68:71], s[26:27], 0x24
	s_load_b256 s[60:67], s[2:3], 0x0
	s_add_u32 s26, s26, 48
	s_addc_u32 s27, s27, 0
	s_add_i32 s49, s49, 4
	s_add_u32 s2, s2, 32
	s_addc_u32 s3, s3, 0
	s_cmp_eq_u32 s47, s49
	s_waitcnt vmcnt(0) lgkmcnt(0)
	v_mul_hi_u32 v3, s53, v2
	s_delay_alu instid0(VALU_DEP_1) | instskip(NEXT) | instid1(VALU_DEP_1)
	v_add_nc_u32_e32 v3, v2, v3
	v_lshrrev_b32_e32 v3, s54, v3
	s_delay_alu instid0(VALU_DEP_1) | instskip(SKIP_1) | instid1(VALU_DEP_2)
	v_mul_hi_u32 v4, s56, v3
	v_mul_lo_u32 v6, v3, s52
	v_add_nc_u32_e32 v4, v3, v4
	s_delay_alu instid0(VALU_DEP_2) | instskip(NEXT) | instid1(VALU_DEP_2)
	v_sub_nc_u32_e32 v2, v2, v6
	v_lshrrev_b32_e32 v4, s57, v4
	s_delay_alu instid0(VALU_DEP_2) | instskip(SKIP_1) | instid1(VALU_DEP_3)
	v_mul_lo_u32 v6, v2, s60
	v_mul_lo_u32 v10, v2, s61
	v_mul_hi_u32 v5, s59, v4
	s_delay_alu instid0(VALU_DEP_1) | instskip(NEXT) | instid1(VALU_DEP_1)
	v_add_nc_u32_e32 v5, v4, v5
	v_lshrrev_b32_e32 v5, s68, v5
	s_delay_alu instid0(VALU_DEP_1) | instskip(SKIP_1) | instid1(VALU_DEP_2)
	v_mul_hi_u32 v9, s70, v5
	v_mul_lo_u32 v11, v5, s58
	v_add_nc_u32_e32 v2, v5, v9
	v_mul_lo_u32 v9, v4, s55
	s_delay_alu instid0(VALU_DEP_3) | instskip(NEXT) | instid1(VALU_DEP_3)
	v_sub_nc_u32_e32 v4, v4, v11
	v_lshrrev_b32_e32 v2, s71, v2
	s_delay_alu instid0(VALU_DEP_2) | instskip(SKIP_2) | instid1(VALU_DEP_4)
	v_mul_lo_u32 v11, v4, s64
	v_mul_lo_u32 v4, v4, s65
	v_sub_nc_u32_e32 v3, v3, v9
	v_mul_lo_u32 v12, v2, s69
	s_delay_alu instid0(VALU_DEP_2) | instskip(SKIP_1) | instid1(VALU_DEP_3)
	v_mul_lo_u32 v9, v3, s62
	v_mul_lo_u32 v3, v3, s63
	v_sub_nc_u32_e32 v5, v5, v12
	s_delay_alu instid0(VALU_DEP_3) | instskip(NEXT) | instid1(VALU_DEP_2)
	v_add3_u32 v0, v6, v0, v9
	v_mul_lo_u32 v12, v5, s66
	v_mul_lo_u32 v5, v5, s67
	v_add3_u32 v1, v10, v1, v3
	s_delay_alu instid0(VALU_DEP_3) | instskip(NEXT) | instid1(VALU_DEP_2)
	v_add3_u32 v0, v11, v0, v12
	v_add3_u32 v1, v4, v1, v5
	s_cbranch_scc0 .LBB305_535
	s_branch .LBB305_538
.LBB305_536:
	s_mov_b32 s46, -1
                                        ; implicit-def: $vgpr0
                                        ; implicit-def: $vgpr1
	s_branch .LBB305_541
.LBB305_537:
	v_dual_mov_b32 v2, v8 :: v_dual_mov_b32 v1, 0
.LBB305_538:
	s_and_b32 s48, s48, 3
	s_delay_alu instid0(SALU_CYCLE_1)
	s_cmp_eq_u32 s48, 0
	s_cbranch_scc1 .LBB305_541
; %bb.539:
	s_lshl_b32 s2, s47, 3
	s_mul_i32 s26, s47, 12
	s_add_u32 s2, s2, s20
	s_addc_u32 s3, s21, 0
	s_add_u32 s2, s2, 0xc4
	s_addc_u32 s3, s3, 0
	;; [unrolled: 2-line block ×3, first 2 shown]
	.p2align	6
.LBB305_540:                            ; =>This Inner Loop Header: Depth=1
	s_clause 0x1
	s_load_b64 s[50:51], s[26:27], 0x4
	s_load_b32 s47, s[26:27], 0xc
	s_load_b64 s[52:53], s[2:3], 0x0
	s_add_u32 s26, s26, 12
	s_addc_u32 s27, s27, 0
	s_add_u32 s2, s2, 8
	s_addc_u32 s3, s3, 0
	s_add_i32 s48, s48, -1
	s_delay_alu instid0(SALU_CYCLE_1) | instskip(SKIP_2) | instid1(VALU_DEP_1)
	s_cmp_lg_u32 s48, 0
	s_waitcnt vmcnt(0) lgkmcnt(0)
	v_mul_hi_u32 v3, s51, v2
	v_add_nc_u32_e32 v3, v2, v3
	s_delay_alu instid0(VALU_DEP_1) | instskip(NEXT) | instid1(VALU_DEP_1)
	v_lshrrev_b32_e32 v6, s47, v3
	v_mul_lo_u32 v3, v6, s50
	s_delay_alu instid0(VALU_DEP_1) | instskip(NEXT) | instid1(VALU_DEP_1)
	v_sub_nc_u32_e32 v2, v2, v3
	v_mad_u64_u32 v[3:4], null, v2, s52, v[0:1]
	v_mad_u64_u32 v[4:5], null, v2, s53, v[1:2]
	v_mov_b32_e32 v2, v6
	s_delay_alu instid0(VALU_DEP_2)
	v_dual_mov_b32 v0, v3 :: v_dual_mov_b32 v1, v4
	s_cbranch_scc1 .LBB305_540
.LBB305_541:
	s_and_not1_b32 vcc_lo, exec_lo, s46
	s_cbranch_vccnz .LBB305_544
; %bb.542:
	v_mul_hi_u32 v0, s17, v8
	s_and_not1_b32 vcc_lo, exec_lo, s35
	s_delay_alu instid0(VALU_DEP_1) | instskip(NEXT) | instid1(VALU_DEP_1)
	v_add_nc_u32_e32 v0, v8, v0
	v_lshrrev_b32_e32 v2, s18, v0
	s_delay_alu instid0(VALU_DEP_1) | instskip(NEXT) | instid1(VALU_DEP_1)
	v_mul_lo_u32 v0, v2, s16
	v_sub_nc_u32_e32 v1, v8, v0
	s_delay_alu instid0(VALU_DEP_1)
	v_mul_lo_u32 v0, v1, s12
	v_mul_lo_u32 v1, v1, s13
	s_cbranch_vccnz .LBB305_544
; %bb.543:
	s_waitcnt vmcnt(0)
	v_mul_hi_u32 v3, s22, v2
	s_delay_alu instid0(VALU_DEP_1) | instskip(NEXT) | instid1(VALU_DEP_1)
	v_add_nc_u32_e32 v3, v2, v3
	v_lshrrev_b32_e32 v3, s23, v3
	s_delay_alu instid0(VALU_DEP_1) | instskip(NEXT) | instid1(VALU_DEP_1)
	v_mul_lo_u32 v3, v3, s19
	v_sub_nc_u32_e32 v5, v2, v3
	s_delay_alu instid0(VALU_DEP_1) | instskip(NEXT) | instid1(VALU_DEP_1)
	v_mad_u64_u32 v[2:3], null, v5, s14, v[0:1]
	v_mad_u64_u32 v[3:4], null, v5, s15, v[1:2]
	s_delay_alu instid0(VALU_DEP_1)
	v_dual_mov_b32 v0, v2 :: v_dual_mov_b32 v1, v3
.LBB305_544:
	v_cmp_gt_i16_e32 vcc_lo, 11, v7
	s_delay_alu instid0(VALU_DEP_2) | instskip(NEXT) | instid1(VALU_DEP_1)
	v_add_co_u32 v1, s2, s6, v1
	v_add_co_ci_u32_e64 v2, null, s7, 0, s2
	s_mov_b32 s2, 0
	s_cbranch_vccnz .LBB305_551
; %bb.545:
	v_cmp_lt_i16_e32 vcc_lo, 25, v7
	s_cbranch_vccz .LBB305_552
; %bb.546:
	v_cmp_lt_i16_e32 vcc_lo, 28, v7
	s_cbranch_vccz .LBB305_553
	;; [unrolled: 3-line block ×4, first 2 shown]
; %bb.549:
	v_cmp_eq_u16_e32 vcc_lo, 46, v7
	s_mov_b32 s3, 0
	s_cbranch_vccz .LBB305_560
; %bb.550:
	global_load_b32 v3, v[1:2], off
	s_mov_b32 s2, -1
	s_mov_b32 s26, 0
	s_waitcnt vmcnt(0)
	v_lshlrev_b32_e32 v3, 16, v3
	s_delay_alu instid0(VALU_DEP_1) | instskip(NEXT) | instid1(VALU_DEP_1)
	v_trunc_f32_e32 v3, v3
	v_mul_f32_e64 v4, 0x2f800000, |v3|
	v_ashrrev_i32_e32 v6, 31, v3
	s_delay_alu instid0(VALU_DEP_2) | instskip(NEXT) | instid1(VALU_DEP_1)
	v_floor_f32_e32 v4, v4
	v_fma_f32 v5, 0xcf800000, v4, |v3|
	v_cvt_u32_f32_e32 v4, v4
	s_delay_alu instid0(VALU_DEP_2) | instskip(NEXT) | instid1(VALU_DEP_2)
	v_cvt_u32_f32_e32 v3, v5
	v_xor_b32_e32 v4, v4, v6
	s_delay_alu instid0(VALU_DEP_2) | instskip(NEXT) | instid1(VALU_DEP_1)
	v_xor_b32_e32 v3, v3, v6
	v_sub_co_u32 v3, vcc_lo, v3, v6
	s_delay_alu instid0(VALU_DEP_3)
	v_sub_co_ci_u32_e32 v4, vcc_lo, v4, v6, vcc_lo
	s_branch .LBB305_562
.LBB305_551:
	s_mov_b32 s3, -1
	s_mov_b32 s26, s42
                                        ; implicit-def: $vgpr3_vgpr4
	s_branch .LBB305_623
.LBB305_552:
	s_mov_b32 s3, -1
	s_mov_b32 s26, s42
                                        ; implicit-def: $vgpr3_vgpr4
	s_branch .LBB305_591
.LBB305_553:
	s_mov_b32 s3, -1
	s_mov_b32 s26, s42
                                        ; implicit-def: $vgpr3_vgpr4
	s_branch .LBB305_572
.LBB305_554:
	s_mov_b32 s3, -1
	s_mov_b32 s26, s42
                                        ; implicit-def: $vgpr3_vgpr4
	s_branch .LBB305_567
.LBB305_555:
	s_or_saveexec_b32 s42, s42
                                        ; implicit-def: $sgpr43
	s_delay_alu instid0(SALU_CYCLE_1)
	s_xor_b32 exec_lo, exec_lo, s42
	s_cbranch_execz .LBB305_370
.LBB305_556:
	v_add_f32_e64 v6, 0x46000000, |v5|
	s_and_not1_b32 s27, s27, exec_lo
	s_mov_b32 s43, 0
	s_delay_alu instid0(VALU_DEP_1) | instskip(NEXT) | instid1(VALU_DEP_1)
	v_and_b32_e32 v6, 0xff, v6
	v_cmp_ne_u32_e32 vcc_lo, 0, v6
	s_and_b32 s45, vcc_lo, exec_lo
	s_delay_alu instid0(SALU_CYCLE_1)
	s_or_b32 s27, s27, s45
	s_or_b32 exec_lo, exec_lo, s42
	v_mov_b32_e32 v9, s43
	s_and_saveexec_b32 s42, s27
	s_cbranch_execnz .LBB305_371
	s_branch .LBB305_372
.LBB305_557:
	s_mov_b32 s3, -1
	s_mov_b32 s26, s42
	s_branch .LBB305_561
.LBB305_558:
	s_or_saveexec_b32 s42, s42
                                        ; implicit-def: $sgpr43
	s_delay_alu instid0(SALU_CYCLE_1)
	s_xor_b32 exec_lo, exec_lo, s42
	s_cbranch_execz .LBB305_383
.LBB305_559:
	v_add_f32_e64 v6, 0x42800000, |v5|
	s_and_not1_b32 s27, s27, exec_lo
	s_mov_b32 s43, 0
	s_delay_alu instid0(VALU_DEP_1) | instskip(NEXT) | instid1(VALU_DEP_1)
	v_and_b32_e32 v6, 0xff, v6
	v_cmp_ne_u32_e32 vcc_lo, 0, v6
	s_and_b32 s45, vcc_lo, exec_lo
	s_delay_alu instid0(SALU_CYCLE_1)
	s_or_b32 s27, s27, s45
	s_or_b32 exec_lo, exec_lo, s42
	v_mov_b32_e32 v9, s43
	s_and_saveexec_b32 s42, s27
	s_cbranch_execnz .LBB305_384
	s_branch .LBB305_385
.LBB305_560:
	s_mov_b32 s26, -1
.LBB305_561:
                                        ; implicit-def: $vgpr3_vgpr4
.LBB305_562:
	s_and_b32 vcc_lo, exec_lo, s3
	s_cbranch_vccz .LBB305_566
; %bb.563:
	v_cmp_eq_u16_e32 vcc_lo, 44, v7
	s_cbranch_vccz .LBB305_565
; %bb.564:
	global_load_u8 v3, v[1:2], off
	s_mov_b32 s26, 0
	s_mov_b32 s2, -1
	s_waitcnt vmcnt(0)
	v_lshlrev_b32_e32 v4, 23, v3
	s_delay_alu instid0(VALU_DEP_1) | instskip(NEXT) | instid1(VALU_DEP_1)
	v_trunc_f32_e32 v4, v4
	v_mul_f32_e64 v5, 0x2f800000, |v4|
	s_delay_alu instid0(VALU_DEP_1) | instskip(NEXT) | instid1(VALU_DEP_1)
	v_floor_f32_e32 v5, v5
	v_fma_f32 v6, 0xcf800000, v5, |v4|
	v_ashrrev_i32_e32 v4, 31, v4
	v_cvt_u32_f32_e32 v5, v5
	s_delay_alu instid0(VALU_DEP_3) | instskip(NEXT) | instid1(VALU_DEP_2)
	v_cvt_u32_f32_e32 v6, v6
	v_xor_b32_e32 v5, v5, v4
	s_delay_alu instid0(VALU_DEP_2) | instskip(NEXT) | instid1(VALU_DEP_1)
	v_xor_b32_e32 v6, v6, v4
	v_sub_co_u32 v6, vcc_lo, v6, v4
	s_delay_alu instid0(VALU_DEP_3) | instskip(SKIP_1) | instid1(VALU_DEP_2)
	v_sub_co_ci_u32_e32 v4, vcc_lo, v5, v4, vcc_lo
	v_cmp_ne_u32_e32 vcc_lo, 0, v3
	v_dual_cndmask_b32 v3, 0, v6 :: v_dual_cndmask_b32 v4, 0, v4
	s_branch .LBB305_566
.LBB305_565:
	s_mov_b32 s26, -1
                                        ; implicit-def: $vgpr3_vgpr4
.LBB305_566:
	s_mov_b32 s3, 0
.LBB305_567:
	s_delay_alu instid0(SALU_CYCLE_1)
	s_and_b32 vcc_lo, exec_lo, s3
	s_cbranch_vccz .LBB305_571
; %bb.568:
	v_cmp_eq_u16_e32 vcc_lo, 29, v7
	s_cbranch_vccz .LBB305_570
; %bb.569:
	global_load_b64 v[3:4], v[1:2], off
	s_mov_b32 s2, -1
	s_mov_b32 s26, 0
	s_branch .LBB305_571
.LBB305_570:
	s_mov_b32 s26, -1
                                        ; implicit-def: $vgpr3_vgpr4
.LBB305_571:
	s_mov_b32 s3, 0
.LBB305_572:
	s_delay_alu instid0(SALU_CYCLE_1)
	s_and_b32 vcc_lo, exec_lo, s3
	s_cbranch_vccz .LBB305_590
; %bb.573:
	v_cmp_gt_i16_e32 vcc_lo, 27, v7
	s_cbranch_vccnz .LBB305_576
; %bb.574:
	v_cmp_lt_i16_e32 vcc_lo, 27, v7
	s_cbranch_vccz .LBB305_577
; %bb.575:
	global_load_b32 v3, v[1:2], off
	s_waitcnt vmcnt(1)
	v_mov_b32_e32 v4, 0
	s_mov_b32 s2, 0
	s_branch .LBB305_578
.LBB305_576:
	s_mov_b32 s2, -1
                                        ; implicit-def: $vgpr3_vgpr4
	s_branch .LBB305_581
.LBB305_577:
	s_mov_b32 s2, -1
                                        ; implicit-def: $vgpr3_vgpr4
.LBB305_578:
	s_delay_alu instid0(SALU_CYCLE_1)
	s_and_not1_b32 vcc_lo, exec_lo, s2
	s_cbranch_vccnz .LBB305_580
; %bb.579:
	global_load_u16 v3, v[1:2], off
	s_mov_b32 s2, 0
	s_waitcnt vmcnt(0)
	v_dual_mov_b32 v4, s2 :: v_dual_and_b32 v3, 0xffff, v3
.LBB305_580:
	s_mov_b32 s2, 0
.LBB305_581:
	s_delay_alu instid0(SALU_CYCLE_1)
	s_and_not1_b32 vcc_lo, exec_lo, s2
	s_cbranch_vccnz .LBB305_589
; %bb.582:
	global_load_u8 v5, v[1:2], off
	s_mov_b32 s27, 0
	s_mov_b32 s46, exec_lo
                                        ; implicit-def: $sgpr2_sgpr3
	s_waitcnt vmcnt(0)
	v_cmpx_lt_i16_e32 0x7f, v5
	s_xor_b32 s46, exec_lo, s46
; %bb.583:
	v_cmp_ne_u16_e32 vcc_lo, 0x80, v5
	s_mov_b64 s[2:3], 0
	s_and_b32 s27, vcc_lo, exec_lo
; %bb.584:
	s_or_saveexec_b32 s46, s46
	v_dual_mov_b32 v4, s3 :: v_dual_mov_b32 v3, s2
	s_xor_b32 exec_lo, exec_lo, s46
; %bb.585:
	v_cmp_ne_u16_e32 vcc_lo, 0, v5
	v_mov_b32_e32 v3, 0
	v_mov_b32_e32 v4, 0
	s_and_not1_b32 s2, s27, exec_lo
	s_and_b32 s3, vcc_lo, exec_lo
	s_delay_alu instid0(SALU_CYCLE_1)
	s_or_b32 s27, s2, s3
; %bb.586:
	s_or_b32 exec_lo, exec_lo, s46
	s_and_saveexec_b32 s2, s27
	s_cbranch_execz .LBB305_588
; %bb.587:
	v_and_b32_e32 v3, 0xffff, v5
	v_lshlrev_b32_e32 v5, 24, v5
	s_delay_alu instid0(VALU_DEP_2) | instskip(NEXT) | instid1(VALU_DEP_2)
	v_and_b32_e32 v4, 7, v3
	v_and_b32_e32 v5, 0x80000000, v5
	s_delay_alu instid0(VALU_DEP_2) | instskip(NEXT) | instid1(VALU_DEP_1)
	v_clz_i32_u32_e32 v6, v4
	v_min_u32_e32 v6, 32, v6
	s_delay_alu instid0(VALU_DEP_1) | instskip(SKIP_1) | instid1(VALU_DEP_2)
	v_subrev_nc_u32_e32 v9, 28, v6
	v_sub_nc_u32_e32 v6, 29, v6
	v_lshlrev_b32_e32 v9, v9, v3
	v_bfe_u32 v3, v3, 3, 4
	s_delay_alu instid0(VALU_DEP_2) | instskip(NEXT) | instid1(VALU_DEP_2)
	v_and_b32_e32 v9, 7, v9
	v_cmp_eq_u32_e32 vcc_lo, 0, v3
	s_delay_alu instid0(VALU_DEP_2) | instskip(NEXT) | instid1(VALU_DEP_1)
	v_dual_cndmask_b32 v3, v3, v6 :: v_dual_cndmask_b32 v4, v4, v9
	v_lshl_add_u32 v3, v3, 23, 0x3b800000
	s_delay_alu instid0(VALU_DEP_2) | instskip(NEXT) | instid1(VALU_DEP_1)
	v_lshlrev_b32_e32 v4, 20, v4
	v_or3_b32 v3, v5, v3, v4
	s_delay_alu instid0(VALU_DEP_1) | instskip(NEXT) | instid1(VALU_DEP_1)
	v_trunc_f32_e32 v3, v3
	v_mul_f32_e64 v4, 0x2f800000, |v3|
	v_ashrrev_i32_e32 v6, 31, v3
	s_delay_alu instid0(VALU_DEP_2) | instskip(NEXT) | instid1(VALU_DEP_1)
	v_floor_f32_e32 v4, v4
	v_fma_f32 v5, 0xcf800000, v4, |v3|
	v_cvt_u32_f32_e32 v4, v4
	s_delay_alu instid0(VALU_DEP_2) | instskip(NEXT) | instid1(VALU_DEP_2)
	v_cvt_u32_f32_e32 v3, v5
	v_xor_b32_e32 v4, v4, v6
	s_delay_alu instid0(VALU_DEP_2) | instskip(NEXT) | instid1(VALU_DEP_1)
	v_xor_b32_e32 v3, v3, v6
	v_sub_co_u32 v3, vcc_lo, v3, v6
	s_delay_alu instid0(VALU_DEP_3)
	v_sub_co_ci_u32_e32 v4, vcc_lo, v4, v6, vcc_lo
.LBB305_588:
	s_or_b32 exec_lo, exec_lo, s2
.LBB305_589:
	s_mov_b32 s2, -1
.LBB305_590:
	s_mov_b32 s3, 0
.LBB305_591:
	s_delay_alu instid0(SALU_CYCLE_1)
	s_and_b32 vcc_lo, exec_lo, s3
	s_cbranch_vccz .LBB305_622
; %bb.592:
	v_cmp_lt_i16_e32 vcc_lo, 22, v7
	s_cbranch_vccz .LBB305_602
; %bb.593:
	v_cmp_gt_i16_e32 vcc_lo, 24, v7
	s_cbranch_vccnz .LBB305_603
; %bb.594:
	v_cmp_lt_i16_e32 vcc_lo, 24, v7
	s_cbranch_vccz .LBB305_604
; %bb.595:
	global_load_u8 v5, v[1:2], off
	s_mov_b32 s27, 0
	s_mov_b32 s46, exec_lo
                                        ; implicit-def: $sgpr2_sgpr3
	s_waitcnt vmcnt(0)
	v_cmpx_lt_i16_e32 0x7f, v5
	s_xor_b32 s46, exec_lo, s46
; %bb.596:
	v_cmp_ne_u16_e32 vcc_lo, 0x80, v5
	s_mov_b64 s[2:3], 0
	s_and_b32 s27, vcc_lo, exec_lo
; %bb.597:
	s_or_saveexec_b32 s46, s46
	v_dual_mov_b32 v4, s3 :: v_dual_mov_b32 v3, s2
	s_xor_b32 exec_lo, exec_lo, s46
; %bb.598:
	v_cmp_ne_u16_e32 vcc_lo, 0, v5
	v_mov_b32_e32 v3, 0
	v_mov_b32_e32 v4, 0
	s_and_not1_b32 s2, s27, exec_lo
	s_and_b32 s3, vcc_lo, exec_lo
	s_delay_alu instid0(SALU_CYCLE_1)
	s_or_b32 s27, s2, s3
; %bb.599:
	s_or_b32 exec_lo, exec_lo, s46
	s_and_saveexec_b32 s2, s27
	s_cbranch_execz .LBB305_601
; %bb.600:
	v_and_b32_e32 v3, 0xffff, v5
	v_lshlrev_b32_e32 v5, 24, v5
	s_delay_alu instid0(VALU_DEP_2) | instskip(NEXT) | instid1(VALU_DEP_2)
	v_and_b32_e32 v4, 3, v3
	v_and_b32_e32 v5, 0x80000000, v5
	s_delay_alu instid0(VALU_DEP_2) | instskip(NEXT) | instid1(VALU_DEP_1)
	v_clz_i32_u32_e32 v6, v4
	v_min_u32_e32 v6, 32, v6
	s_delay_alu instid0(VALU_DEP_1) | instskip(SKIP_1) | instid1(VALU_DEP_2)
	v_subrev_nc_u32_e32 v9, 29, v6
	v_sub_nc_u32_e32 v6, 30, v6
	v_lshlrev_b32_e32 v9, v9, v3
	v_bfe_u32 v3, v3, 2, 5
	s_delay_alu instid0(VALU_DEP_2) | instskip(NEXT) | instid1(VALU_DEP_2)
	v_and_b32_e32 v9, 3, v9
	v_cmp_eq_u32_e32 vcc_lo, 0, v3
	s_delay_alu instid0(VALU_DEP_2) | instskip(NEXT) | instid1(VALU_DEP_1)
	v_dual_cndmask_b32 v3, v3, v6 :: v_dual_cndmask_b32 v4, v4, v9
	v_lshl_add_u32 v3, v3, 23, 0x37800000
	s_delay_alu instid0(VALU_DEP_2) | instskip(NEXT) | instid1(VALU_DEP_1)
	v_lshlrev_b32_e32 v4, 21, v4
	v_or3_b32 v3, v5, v3, v4
	s_delay_alu instid0(VALU_DEP_1) | instskip(NEXT) | instid1(VALU_DEP_1)
	v_trunc_f32_e32 v3, v3
	v_mul_f32_e64 v4, 0x2f800000, |v3|
	v_ashrrev_i32_e32 v6, 31, v3
	s_delay_alu instid0(VALU_DEP_2) | instskip(NEXT) | instid1(VALU_DEP_1)
	v_floor_f32_e32 v4, v4
	v_fma_f32 v5, 0xcf800000, v4, |v3|
	v_cvt_u32_f32_e32 v4, v4
	s_delay_alu instid0(VALU_DEP_2) | instskip(NEXT) | instid1(VALU_DEP_2)
	v_cvt_u32_f32_e32 v3, v5
	v_xor_b32_e32 v4, v4, v6
	s_delay_alu instid0(VALU_DEP_2) | instskip(NEXT) | instid1(VALU_DEP_1)
	v_xor_b32_e32 v3, v3, v6
	v_sub_co_u32 v3, vcc_lo, v3, v6
	s_delay_alu instid0(VALU_DEP_3)
	v_sub_co_ci_u32_e32 v4, vcc_lo, v4, v6, vcc_lo
.LBB305_601:
	s_or_b32 exec_lo, exec_lo, s2
	s_mov_b32 s2, 0
	s_branch .LBB305_605
.LBB305_602:
	s_mov_b32 s3, -1
                                        ; implicit-def: $vgpr3_vgpr4
	s_branch .LBB305_611
.LBB305_603:
	s_mov_b32 s2, -1
                                        ; implicit-def: $vgpr3_vgpr4
	s_branch .LBB305_608
.LBB305_604:
	s_mov_b32 s2, -1
                                        ; implicit-def: $vgpr3_vgpr4
.LBB305_605:
	s_delay_alu instid0(SALU_CYCLE_1)
	s_and_b32 vcc_lo, exec_lo, s2
	s_cbranch_vccz .LBB305_607
; %bb.606:
	global_load_u8 v3, v[1:2], off
	s_waitcnt vmcnt(0)
	v_lshlrev_b32_e32 v3, 24, v3
	s_delay_alu instid0(VALU_DEP_1) | instskip(NEXT) | instid1(VALU_DEP_1)
	v_and_b32_e32 v4, 0x7f000000, v3
	v_clz_i32_u32_e32 v5, v4
	v_add_nc_u32_e32 v9, 0x1000000, v4
	v_cmp_ne_u32_e32 vcc_lo, 0, v4
	s_delay_alu instid0(VALU_DEP_3) | instskip(NEXT) | instid1(VALU_DEP_1)
	v_min_u32_e32 v5, 32, v5
	v_sub_nc_u32_e64 v5, v5, 4 clamp
	s_delay_alu instid0(VALU_DEP_1) | instskip(SKIP_1) | instid1(VALU_DEP_2)
	v_lshlrev_b32_e32 v6, v5, v4
	v_lshlrev_b32_e32 v5, 23, v5
	v_lshrrev_b32_e32 v6, 4, v6
	s_delay_alu instid0(VALU_DEP_1) | instskip(SKIP_1) | instid1(VALU_DEP_2)
	v_sub_nc_u32_e32 v5, v6, v5
	v_ashrrev_i32_e32 v6, 8, v9
	v_add_nc_u32_e32 v5, 0x3c000000, v5
	s_delay_alu instid0(VALU_DEP_1) | instskip(NEXT) | instid1(VALU_DEP_1)
	v_and_or_b32 v5, 0x7f800000, v6, v5
	v_cndmask_b32_e32 v4, 0, v5, vcc_lo
	s_delay_alu instid0(VALU_DEP_1) | instskip(NEXT) | instid1(VALU_DEP_1)
	v_and_or_b32 v3, 0x80000000, v3, v4
	v_trunc_f32_e32 v3, v3
	s_delay_alu instid0(VALU_DEP_1) | instskip(SKIP_1) | instid1(VALU_DEP_2)
	v_mul_f32_e64 v4, 0x2f800000, |v3|
	v_ashrrev_i32_e32 v6, 31, v3
	v_floor_f32_e32 v4, v4
	s_delay_alu instid0(VALU_DEP_1) | instskip(SKIP_1) | instid1(VALU_DEP_2)
	v_fma_f32 v5, 0xcf800000, v4, |v3|
	v_cvt_u32_f32_e32 v4, v4
	v_cvt_u32_f32_e32 v3, v5
	s_delay_alu instid0(VALU_DEP_2) | instskip(NEXT) | instid1(VALU_DEP_2)
	v_xor_b32_e32 v4, v4, v6
	v_xor_b32_e32 v3, v3, v6
	s_delay_alu instid0(VALU_DEP_1) | instskip(NEXT) | instid1(VALU_DEP_3)
	v_sub_co_u32 v3, vcc_lo, v3, v6
	v_sub_co_ci_u32_e32 v4, vcc_lo, v4, v6, vcc_lo
.LBB305_607:
	s_mov_b32 s2, 0
.LBB305_608:
	s_delay_alu instid0(SALU_CYCLE_1)
	s_and_not1_b32 vcc_lo, exec_lo, s2
	s_cbranch_vccnz .LBB305_610
; %bb.609:
	global_load_u8 v3, v[1:2], off
	s_waitcnt vmcnt(0)
	v_lshlrev_b32_e32 v4, 25, v3
	v_lshlrev_b16 v3, 8, v3
	s_delay_alu instid0(VALU_DEP_2) | instskip(NEXT) | instid1(VALU_DEP_2)
	v_lshrrev_b32_e32 v5, 4, v4
	v_and_or_b32 v6, 0x7f00, v3, 0.5
	v_bfe_i32 v3, v3, 0, 16
	s_delay_alu instid0(VALU_DEP_3) | instskip(NEXT) | instid1(VALU_DEP_1)
	v_or_b32_e32 v5, 0x70000000, v5
	v_dual_add_f32 v6, -0.5, v6 :: v_dual_mul_f32 v5, 0x7800000, v5
	v_cmp_gt_u32_e32 vcc_lo, 0x8000000, v4
	s_delay_alu instid0(VALU_DEP_2) | instskip(NEXT) | instid1(VALU_DEP_1)
	v_cndmask_b32_e32 v4, v5, v6, vcc_lo
	v_and_or_b32 v3, 0x80000000, v3, v4
	s_delay_alu instid0(VALU_DEP_1) | instskip(NEXT) | instid1(VALU_DEP_1)
	v_trunc_f32_e32 v3, v3
	v_mul_f32_e64 v4, 0x2f800000, |v3|
	v_ashrrev_i32_e32 v6, 31, v3
	s_delay_alu instid0(VALU_DEP_2) | instskip(NEXT) | instid1(VALU_DEP_1)
	v_floor_f32_e32 v4, v4
	v_fma_f32 v5, 0xcf800000, v4, |v3|
	v_cvt_u32_f32_e32 v4, v4
	s_delay_alu instid0(VALU_DEP_2) | instskip(NEXT) | instid1(VALU_DEP_2)
	v_cvt_u32_f32_e32 v3, v5
	v_xor_b32_e32 v4, v4, v6
	s_delay_alu instid0(VALU_DEP_2) | instskip(NEXT) | instid1(VALU_DEP_1)
	v_xor_b32_e32 v3, v3, v6
	v_sub_co_u32 v3, vcc_lo, v3, v6
	s_delay_alu instid0(VALU_DEP_3)
	v_sub_co_ci_u32_e32 v4, vcc_lo, v4, v6, vcc_lo
.LBB305_610:
	s_mov_b32 s3, 0
	s_mov_b32 s2, -1
.LBB305_611:
	s_and_not1_b32 vcc_lo, exec_lo, s3
	s_cbranch_vccnz .LBB305_622
; %bb.612:
	v_cmp_lt_i16_e32 vcc_lo, 14, v7
	s_cbranch_vccz .LBB305_615
; %bb.613:
	v_cmp_eq_u16_e32 vcc_lo, 15, v7
	s_cbranch_vccz .LBB305_616
; %bb.614:
	global_load_u16 v3, v[1:2], off
	s_mov_b32 s2, -1
	s_mov_b32 s26, 0
	s_waitcnt vmcnt(0)
	v_lshlrev_b32_e32 v3, 16, v3
	s_delay_alu instid0(VALU_DEP_1) | instskip(NEXT) | instid1(VALU_DEP_1)
	v_trunc_f32_e32 v3, v3
	v_mul_f32_e64 v4, 0x2f800000, |v3|
	v_ashrrev_i32_e32 v6, 31, v3
	s_delay_alu instid0(VALU_DEP_2) | instskip(NEXT) | instid1(VALU_DEP_1)
	v_floor_f32_e32 v4, v4
	v_fma_f32 v5, 0xcf800000, v4, |v3|
	v_cvt_u32_f32_e32 v4, v4
	s_delay_alu instid0(VALU_DEP_2) | instskip(NEXT) | instid1(VALU_DEP_2)
	v_cvt_u32_f32_e32 v3, v5
	v_xor_b32_e32 v4, v4, v6
	s_delay_alu instid0(VALU_DEP_2) | instskip(NEXT) | instid1(VALU_DEP_1)
	v_xor_b32_e32 v3, v3, v6
	v_sub_co_u32 v3, vcc_lo, v3, v6
	s_delay_alu instid0(VALU_DEP_3)
	v_sub_co_ci_u32_e32 v4, vcc_lo, v4, v6, vcc_lo
	s_branch .LBB305_617
.LBB305_615:
	s_mov_b32 s3, -1
                                        ; implicit-def: $vgpr3_vgpr4
	s_branch .LBB305_618
.LBB305_616:
	s_mov_b32 s26, -1
                                        ; implicit-def: $vgpr3_vgpr4
.LBB305_617:
	s_mov_b32 s3, 0
.LBB305_618:
	s_delay_alu instid0(SALU_CYCLE_1)
	s_and_b32 vcc_lo, exec_lo, s3
	s_cbranch_vccz .LBB305_622
; %bb.619:
	v_cmp_eq_u16_e32 vcc_lo, 11, v7
	s_cbranch_vccz .LBB305_621
; %bb.620:
	global_load_u8 v3, v[1:2], off
	s_mov_b32 s26, 0
	s_mov_b32 s2, -1
	s_waitcnt vmcnt(1)
	v_mov_b32_e32 v4, s26
	s_waitcnt vmcnt(0)
	v_cmp_ne_u16_e32 vcc_lo, 0, v3
	v_cndmask_b32_e64 v3, 0, 1, vcc_lo
	s_branch .LBB305_622
.LBB305_621:
	s_mov_b32 s26, -1
                                        ; implicit-def: $vgpr3_vgpr4
.LBB305_622:
	s_mov_b32 s3, 0
.LBB305_623:
	s_delay_alu instid0(SALU_CYCLE_1)
	s_and_b32 vcc_lo, exec_lo, s3
	s_cbranch_vccz .LBB305_672
; %bb.624:
	v_cmp_gt_i16_e32 vcc_lo, 5, v7
	s_cbranch_vccnz .LBB305_629
; %bb.625:
	v_cmp_gt_i16_e32 vcc_lo, 8, v7
	s_cbranch_vccnz .LBB305_630
	;; [unrolled: 3-line block ×3, first 2 shown]
; %bb.627:
	v_cmp_lt_i16_e32 vcc_lo, 9, v7
	s_cbranch_vccz .LBB305_632
; %bb.628:
	global_load_b64 v[3:4], v[1:2], off
	s_mov_b32 s2, 0
	s_waitcnt vmcnt(0)
	v_trunc_f64_e32 v[3:4], v[3:4]
	s_delay_alu instid0(VALU_DEP_1) | instskip(NEXT) | instid1(VALU_DEP_1)
	v_ldexp_f64 v[5:6], v[3:4], 0xffffffe0
	v_floor_f64_e32 v[5:6], v[5:6]
	s_delay_alu instid0(VALU_DEP_1) | instskip(SKIP_1) | instid1(VALU_DEP_2)
	v_fma_f64 v[9:10], 0xc1f00000, v[5:6], v[3:4]
	v_cvt_i32_f64_e32 v4, v[5:6]
	v_cvt_u32_f64_e32 v3, v[9:10]
	s_branch .LBB305_633
.LBB305_629:
	s_mov_b32 s2, -1
                                        ; implicit-def: $vgpr3_vgpr4
	s_branch .LBB305_651
.LBB305_630:
	s_mov_b32 s2, -1
                                        ; implicit-def: $vgpr3_vgpr4
	s_branch .LBB305_639
.LBB305_631:
	s_mov_b32 s2, -1
                                        ; implicit-def: $vgpr3_vgpr4
	s_branch .LBB305_636
.LBB305_632:
	s_mov_b32 s2, -1
                                        ; implicit-def: $vgpr3_vgpr4
.LBB305_633:
	s_delay_alu instid0(SALU_CYCLE_1)
	s_and_not1_b32 vcc_lo, exec_lo, s2
	s_cbranch_vccnz .LBB305_635
; %bb.634:
	global_load_b32 v3, v[1:2], off
	s_waitcnt vmcnt(0)
	v_trunc_f32_e32 v3, v3
	s_delay_alu instid0(VALU_DEP_1) | instskip(SKIP_1) | instid1(VALU_DEP_2)
	v_mul_f32_e64 v4, 0x2f800000, |v3|
	v_ashrrev_i32_e32 v6, 31, v3
	v_floor_f32_e32 v4, v4
	s_delay_alu instid0(VALU_DEP_1) | instskip(SKIP_1) | instid1(VALU_DEP_2)
	v_fma_f32 v5, 0xcf800000, v4, |v3|
	v_cvt_u32_f32_e32 v4, v4
	v_cvt_u32_f32_e32 v3, v5
	s_delay_alu instid0(VALU_DEP_2) | instskip(NEXT) | instid1(VALU_DEP_2)
	v_xor_b32_e32 v4, v4, v6
	v_xor_b32_e32 v3, v3, v6
	s_delay_alu instid0(VALU_DEP_1) | instskip(NEXT) | instid1(VALU_DEP_3)
	v_sub_co_u32 v3, vcc_lo, v3, v6
	v_sub_co_ci_u32_e32 v4, vcc_lo, v4, v6, vcc_lo
.LBB305_635:
	s_mov_b32 s2, 0
.LBB305_636:
	s_delay_alu instid0(SALU_CYCLE_1)
	s_and_not1_b32 vcc_lo, exec_lo, s2
	s_cbranch_vccnz .LBB305_638
; %bb.637:
	global_load_b32 v3, v[1:2], off
	s_waitcnt vmcnt(0)
	v_cvt_f32_f16_e32 v3, v3
	s_delay_alu instid0(VALU_DEP_1) | instskip(NEXT) | instid1(VALU_DEP_1)
	v_cvt_i32_f32_e32 v3, v3
	v_ashrrev_i32_e32 v4, 31, v3
.LBB305_638:
	s_mov_b32 s2, 0
.LBB305_639:
	s_delay_alu instid0(SALU_CYCLE_1)
	s_and_not1_b32 vcc_lo, exec_lo, s2
	s_cbranch_vccnz .LBB305_650
; %bb.640:
	v_cmp_gt_i16_e32 vcc_lo, 6, v7
	s_cbranch_vccnz .LBB305_643
; %bb.641:
	v_cmp_lt_i16_e32 vcc_lo, 6, v7
	s_cbranch_vccz .LBB305_644
; %bb.642:
	global_load_b64 v[3:4], v[1:2], off
	s_mov_b32 s2, 0
	s_waitcnt vmcnt(0)
	v_trunc_f64_e32 v[3:4], v[3:4]
	s_delay_alu instid0(VALU_DEP_1) | instskip(NEXT) | instid1(VALU_DEP_1)
	v_ldexp_f64 v[5:6], v[3:4], 0xffffffe0
	v_floor_f64_e32 v[5:6], v[5:6]
	s_delay_alu instid0(VALU_DEP_1) | instskip(SKIP_1) | instid1(VALU_DEP_2)
	v_fma_f64 v[9:10], 0xc1f00000, v[5:6], v[3:4]
	v_cvt_i32_f64_e32 v4, v[5:6]
	v_cvt_u32_f64_e32 v3, v[9:10]
	s_branch .LBB305_645
.LBB305_643:
	s_mov_b32 s2, -1
                                        ; implicit-def: $vgpr3_vgpr4
	s_branch .LBB305_648
.LBB305_644:
	s_mov_b32 s2, -1
                                        ; implicit-def: $vgpr3_vgpr4
.LBB305_645:
	s_delay_alu instid0(SALU_CYCLE_1)
	s_and_not1_b32 vcc_lo, exec_lo, s2
	s_cbranch_vccnz .LBB305_647
; %bb.646:
	global_load_b32 v3, v[1:2], off
	s_waitcnt vmcnt(0)
	v_trunc_f32_e32 v3, v3
	s_delay_alu instid0(VALU_DEP_1) | instskip(SKIP_1) | instid1(VALU_DEP_2)
	v_mul_f32_e64 v4, 0x2f800000, |v3|
	v_ashrrev_i32_e32 v6, 31, v3
	v_floor_f32_e32 v4, v4
	s_delay_alu instid0(VALU_DEP_1) | instskip(SKIP_1) | instid1(VALU_DEP_2)
	v_fma_f32 v5, 0xcf800000, v4, |v3|
	v_cvt_u32_f32_e32 v4, v4
	v_cvt_u32_f32_e32 v3, v5
	s_delay_alu instid0(VALU_DEP_2) | instskip(NEXT) | instid1(VALU_DEP_2)
	v_xor_b32_e32 v4, v4, v6
	v_xor_b32_e32 v3, v3, v6
	s_delay_alu instid0(VALU_DEP_1) | instskip(NEXT) | instid1(VALU_DEP_3)
	v_sub_co_u32 v3, vcc_lo, v3, v6
	v_sub_co_ci_u32_e32 v4, vcc_lo, v4, v6, vcc_lo
.LBB305_647:
	s_mov_b32 s2, 0
.LBB305_648:
	s_delay_alu instid0(SALU_CYCLE_1)
	s_and_not1_b32 vcc_lo, exec_lo, s2
	s_cbranch_vccnz .LBB305_650
; %bb.649:
	global_load_u16 v3, v[1:2], off
	s_waitcnt vmcnt(0)
	v_cvt_f32_f16_e32 v3, v3
	s_delay_alu instid0(VALU_DEP_1) | instskip(NEXT) | instid1(VALU_DEP_1)
	v_cvt_i32_f32_e32 v3, v3
	v_ashrrev_i32_e32 v4, 31, v3
.LBB305_650:
	s_mov_b32 s2, 0
.LBB305_651:
	s_delay_alu instid0(SALU_CYCLE_1)
	s_and_not1_b32 vcc_lo, exec_lo, s2
	s_cbranch_vccnz .LBB305_671
; %bb.652:
	v_cmp_gt_i16_e32 vcc_lo, 2, v7
	s_cbranch_vccnz .LBB305_656
; %bb.653:
	v_cmp_gt_i16_e32 vcc_lo, 3, v7
	s_cbranch_vccnz .LBB305_657
; %bb.654:
	v_cmp_lt_i16_e32 vcc_lo, 3, v7
	s_cbranch_vccz .LBB305_658
; %bb.655:
	global_load_b64 v[3:4], v[1:2], off
	s_mov_b32 s2, 0
	s_branch .LBB305_659
.LBB305_656:
	s_mov_b32 s2, -1
                                        ; implicit-def: $vgpr3_vgpr4
	s_branch .LBB305_665
.LBB305_657:
	s_mov_b32 s2, -1
                                        ; implicit-def: $vgpr3_vgpr4
	s_branch .LBB305_662
.LBB305_658:
	s_mov_b32 s2, -1
                                        ; implicit-def: $vgpr3_vgpr4
.LBB305_659:
	s_delay_alu instid0(SALU_CYCLE_1)
	s_and_not1_b32 vcc_lo, exec_lo, s2
	s_cbranch_vccnz .LBB305_661
; %bb.660:
	global_load_b32 v3, v[1:2], off
	s_waitcnt vmcnt(0)
	v_ashrrev_i32_e32 v4, 31, v3
.LBB305_661:
	s_mov_b32 s2, 0
.LBB305_662:
	s_delay_alu instid0(SALU_CYCLE_1)
	s_and_not1_b32 vcc_lo, exec_lo, s2
	s_cbranch_vccnz .LBB305_664
; %bb.663:
	global_load_u16 v3, v[1:2], off
	s_waitcnt vmcnt(0)
	v_bfe_i32 v3, v3, 0, 16
	s_delay_alu instid0(VALU_DEP_1)
	v_ashrrev_i32_e32 v4, 31, v3
.LBB305_664:
	s_mov_b32 s2, 0
.LBB305_665:
	s_delay_alu instid0(SALU_CYCLE_1)
	s_and_not1_b32 vcc_lo, exec_lo, s2
	s_cbranch_vccnz .LBB305_671
; %bb.666:
	v_cmp_lt_i16_e32 vcc_lo, 0, v7
	s_mov_b32 s2, 0
	s_cbranch_vccz .LBB305_668
; %bb.667:
	global_load_i8 v3, v[1:2], off
	s_waitcnt vmcnt(0)
	v_bfe_i32 v3, v3, 0, 16
	s_delay_alu instid0(VALU_DEP_1)
	v_ashrrev_i32_e32 v4, 31, v3
	s_branch .LBB305_669
.LBB305_668:
	s_mov_b32 s2, -1
                                        ; implicit-def: $vgpr3_vgpr4
.LBB305_669:
	s_delay_alu instid0(SALU_CYCLE_1)
	s_and_not1_b32 vcc_lo, exec_lo, s2
	s_cbranch_vccnz .LBB305_671
; %bb.670:
	global_load_u8 v1, v[1:2], off
	s_mov_b32 s2, 0
	s_waitcnt vmcnt(0)
	v_dual_mov_b32 v4, s2 :: v_dual_and_b32 v3, 0xffff, v1
.LBB305_671:
	s_mov_b32 s2, -1
.LBB305_672:
	s_delay_alu instid0(SALU_CYCLE_1)
	s_and_not1_b32 vcc_lo, exec_lo, s2
	s_cbranch_vccnz .LBB305_680
; %bb.673:
	s_waitcnt vmcnt(0)
	s_delay_alu instid0(VALU_DEP_1) | instskip(SKIP_1) | instid1(VALU_DEP_1)
	v_cmp_lt_i64_e32 vcc_lo, s[8:9], v[3:4]
	v_add_co_u32 v0, s27, s4, v0
	v_add_co_ci_u32_e64 v1, null, s5, 0, s27
	s_mov_b32 s3, 0
	v_cndmask_b32_e32 v6, s9, v4, vcc_lo
	v_cndmask_b32_e32 v5, s8, v3, vcc_lo
	v_and_b32_e64 v4, 0xff, s34
	s_mov_b32 s27, -1
	s_delay_alu instid0(VALU_DEP_2) | instskip(NEXT) | instid1(VALU_DEP_2)
	v_cmp_gt_i64_e64 s2, s[10:11], v[5:6]
	v_cmp_gt_i16_e32 vcc_lo, 11, v4
	s_delay_alu instid0(VALU_DEP_2)
	v_cndmask_b32_e64 v3, s11, v6, s2
	v_cndmask_b32_e64 v2, s10, v5, s2
	s_mov_b32 s2, s43
	s_cbranch_vccnz .LBB305_681
; %bb.674:
	v_cmp_lt_i16_e32 vcc_lo, 25, v4
	s_cbranch_vccz .LBB305_722
; %bb.675:
	v_cmp_lt_i16_e32 vcc_lo, 28, v4
	s_cbranch_vccz .LBB305_723
	;; [unrolled: 3-line block ×4, first 2 shown]
; %bb.678:
	v_cmp_eq_u16_e32 vcc_lo, 46, v4
	s_mov_b32 s27, 0
	s_mov_b32 s2, -1
	s_cbranch_vccz .LBB305_726
; %bb.679:
	v_xor_b32_e32 v5, v2, v3
	v_cls_i32_e32 v6, v3
	s_mov_b32 s3, -1
	s_mov_b32 s2, 0
	s_delay_alu instid0(VALU_DEP_2) | instskip(NEXT) | instid1(VALU_DEP_2)
	v_ashrrev_i32_e32 v5, 31, v5
	v_add_nc_u32_e32 v6, -1, v6
	s_delay_alu instid0(VALU_DEP_2) | instskip(NEXT) | instid1(VALU_DEP_1)
	v_add_nc_u32_e32 v5, 32, v5
	v_min_u32_e32 v9, v6, v5
	s_delay_alu instid0(VALU_DEP_1) | instskip(NEXT) | instid1(VALU_DEP_1)
	v_lshlrev_b64 v[5:6], v9, v[2:3]
	v_min_u32_e32 v5, 1, v5
	s_delay_alu instid0(VALU_DEP_1) | instskip(SKIP_1) | instid1(VALU_DEP_2)
	v_or_b32_e32 v5, v6, v5
	v_sub_nc_u32_e32 v6, 32, v9
	v_cvt_f32_i32_e32 v5, v5
	s_delay_alu instid0(VALU_DEP_1) | instskip(NEXT) | instid1(VALU_DEP_1)
	v_ldexp_f32 v5, v5, v6
	v_bfe_u32 v6, v5, 16, 1
	s_delay_alu instid0(VALU_DEP_1) | instskip(NEXT) | instid1(VALU_DEP_1)
	v_add3_u32 v5, v5, v6, 0x7fff
	v_lshrrev_b32_e32 v5, 16, v5
	global_store_b32 v[0:1], v5, off
	s_branch .LBB305_726
.LBB305_680:
	s_mov_b32 s3, 0
	s_mov_b32 s2, s43
	s_branch .LBB305_721
.LBB305_681:
	s_and_b32 vcc_lo, exec_lo, s27
	s_cbranch_vccz .LBB305_795
; %bb.682:
	v_cmp_gt_i16_e32 vcc_lo, 5, v4
	s_mov_b32 s3, -1
	s_cbranch_vccnz .LBB305_703
; %bb.683:
	v_cmp_gt_i16_e32 vcc_lo, 8, v4
	s_cbranch_vccnz .LBB305_693
; %bb.684:
	v_cmp_gt_i16_e32 vcc_lo, 9, v4
	s_cbranch_vccnz .LBB305_690
; %bb.685:
	v_cmp_lt_i16_e32 vcc_lo, 9, v4
	s_cbranch_vccz .LBB305_687
; %bb.686:
	v_cvt_f64_i32_e32 v[5:6], v3
	v_cvt_f64_u32_e32 v[9:10], v2
	v_mov_b32_e32 v11, 0
	s_mov_b32 s3, 0
	s_delay_alu instid0(VALU_DEP_1) | instskip(NEXT) | instid1(VALU_DEP_4)
	v_mov_b32_e32 v12, v11
	v_ldexp_f64 v[5:6], v[5:6], 32
	s_delay_alu instid0(VALU_DEP_1)
	v_add_f64 v[9:10], v[5:6], v[9:10]
	global_store_b128 v[0:1], v[9:12], off
.LBB305_687:
	s_and_not1_b32 vcc_lo, exec_lo, s3
	s_cbranch_vccnz .LBB305_689
; %bb.688:
	v_xor_b32_e32 v5, v2, v3
	v_cls_i32_e32 v6, v3
	s_delay_alu instid0(VALU_DEP_2) | instskip(NEXT) | instid1(VALU_DEP_2)
	v_ashrrev_i32_e32 v5, 31, v5
	v_add_nc_u32_e32 v6, -1, v6
	s_delay_alu instid0(VALU_DEP_2) | instskip(NEXT) | instid1(VALU_DEP_1)
	v_add_nc_u32_e32 v5, 32, v5
	v_min_u32_e32 v9, v6, v5
	s_delay_alu instid0(VALU_DEP_1) | instskip(NEXT) | instid1(VALU_DEP_1)
	v_lshlrev_b64 v[5:6], v9, v[2:3]
	v_min_u32_e32 v5, 1, v5
	s_delay_alu instid0(VALU_DEP_1) | instskip(SKIP_1) | instid1(VALU_DEP_2)
	v_or_b32_e32 v5, v6, v5
	v_sub_nc_u32_e32 v6, 32, v9
	v_cvt_f32_i32_e32 v5, v5
	s_delay_alu instid0(VALU_DEP_1)
	v_ldexp_f32 v5, v5, v6
	v_mov_b32_e32 v6, 0
	global_store_b64 v[0:1], v[5:6], off
.LBB305_689:
	s_mov_b32 s3, 0
.LBB305_690:
	s_delay_alu instid0(SALU_CYCLE_1)
	s_and_not1_b32 vcc_lo, exec_lo, s3
	s_cbranch_vccnz .LBB305_692
; %bb.691:
	v_xor_b32_e32 v5, v2, v3
	v_cls_i32_e32 v6, v3
	s_delay_alu instid0(VALU_DEP_2) | instskip(NEXT) | instid1(VALU_DEP_2)
	v_ashrrev_i32_e32 v5, 31, v5
	v_add_nc_u32_e32 v6, -1, v6
	s_delay_alu instid0(VALU_DEP_2) | instskip(NEXT) | instid1(VALU_DEP_1)
	v_add_nc_u32_e32 v5, 32, v5
	v_min_u32_e32 v9, v6, v5
	s_delay_alu instid0(VALU_DEP_1) | instskip(NEXT) | instid1(VALU_DEP_1)
	v_lshlrev_b64 v[5:6], v9, v[2:3]
	v_min_u32_e32 v5, 1, v5
	s_delay_alu instid0(VALU_DEP_1) | instskip(SKIP_1) | instid1(VALU_DEP_2)
	v_or_b32_e32 v5, v6, v5
	v_sub_nc_u32_e32 v6, 32, v9
	v_cvt_f32_i32_e32 v5, v5
	s_delay_alu instid0(VALU_DEP_1) | instskip(NEXT) | instid1(VALU_DEP_1)
	v_ldexp_f32 v5, v5, v6
	v_cvt_f16_f32_e32 v5, v5
	s_delay_alu instid0(VALU_DEP_1)
	v_and_b32_e32 v5, 0xffff, v5
	global_store_b32 v[0:1], v5, off
.LBB305_692:
	s_mov_b32 s3, 0
.LBB305_693:
	s_delay_alu instid0(SALU_CYCLE_1)
	s_and_not1_b32 vcc_lo, exec_lo, s3
	s_cbranch_vccnz .LBB305_702
; %bb.694:
	v_cmp_gt_i16_e32 vcc_lo, 6, v4
	s_mov_b32 s3, -1
	s_cbranch_vccnz .LBB305_700
; %bb.695:
	v_cmp_lt_i16_e32 vcc_lo, 6, v4
	s_cbranch_vccz .LBB305_697
; %bb.696:
	v_cvt_f64_i32_e32 v[5:6], v3
	v_cvt_f64_u32_e32 v[9:10], v2
	s_mov_b32 s3, 0
	s_delay_alu instid0(VALU_DEP_2) | instskip(NEXT) | instid1(VALU_DEP_1)
	v_ldexp_f64 v[5:6], v[5:6], 32
	v_add_f64 v[5:6], v[5:6], v[9:10]
	global_store_b64 v[0:1], v[5:6], off
.LBB305_697:
	s_and_not1_b32 vcc_lo, exec_lo, s3
	s_cbranch_vccnz .LBB305_699
; %bb.698:
	v_xor_b32_e32 v5, v2, v3
	v_cls_i32_e32 v6, v3
	s_delay_alu instid0(VALU_DEP_2) | instskip(NEXT) | instid1(VALU_DEP_2)
	v_ashrrev_i32_e32 v5, 31, v5
	v_add_nc_u32_e32 v6, -1, v6
	s_delay_alu instid0(VALU_DEP_2) | instskip(NEXT) | instid1(VALU_DEP_1)
	v_add_nc_u32_e32 v5, 32, v5
	v_min_u32_e32 v9, v6, v5
	s_delay_alu instid0(VALU_DEP_1) | instskip(NEXT) | instid1(VALU_DEP_1)
	v_lshlrev_b64 v[5:6], v9, v[2:3]
	v_min_u32_e32 v5, 1, v5
	s_delay_alu instid0(VALU_DEP_1) | instskip(SKIP_1) | instid1(VALU_DEP_2)
	v_or_b32_e32 v5, v6, v5
	v_sub_nc_u32_e32 v6, 32, v9
	v_cvt_f32_i32_e32 v5, v5
	s_delay_alu instid0(VALU_DEP_1)
	v_ldexp_f32 v5, v5, v6
	global_store_b32 v[0:1], v5, off
.LBB305_699:
	s_mov_b32 s3, 0
.LBB305_700:
	s_delay_alu instid0(SALU_CYCLE_1)
	s_and_not1_b32 vcc_lo, exec_lo, s3
	s_cbranch_vccnz .LBB305_702
; %bb.701:
	v_xor_b32_e32 v5, v2, v3
	v_cls_i32_e32 v6, v3
	s_delay_alu instid0(VALU_DEP_2) | instskip(NEXT) | instid1(VALU_DEP_2)
	v_ashrrev_i32_e32 v5, 31, v5
	v_add_nc_u32_e32 v6, -1, v6
	s_delay_alu instid0(VALU_DEP_2) | instskip(NEXT) | instid1(VALU_DEP_1)
	v_add_nc_u32_e32 v5, 32, v5
	v_min_u32_e32 v9, v6, v5
	s_delay_alu instid0(VALU_DEP_1) | instskip(NEXT) | instid1(VALU_DEP_1)
	v_lshlrev_b64 v[5:6], v9, v[2:3]
	v_min_u32_e32 v5, 1, v5
	s_delay_alu instid0(VALU_DEP_1) | instskip(SKIP_1) | instid1(VALU_DEP_2)
	v_or_b32_e32 v5, v6, v5
	v_sub_nc_u32_e32 v6, 32, v9
	v_cvt_f32_i32_e32 v5, v5
	s_delay_alu instid0(VALU_DEP_1) | instskip(NEXT) | instid1(VALU_DEP_1)
	v_ldexp_f32 v5, v5, v6
	v_cvt_f16_f32_e32 v5, v5
	global_store_b16 v[0:1], v5, off
.LBB305_702:
	s_mov_b32 s3, 0
.LBB305_703:
	s_delay_alu instid0(SALU_CYCLE_1)
	s_and_not1_b32 vcc_lo, exec_lo, s3
	s_cbranch_vccnz .LBB305_719
; %bb.704:
	v_cmp_gt_i16_e32 vcc_lo, 2, v4
	s_mov_b32 s3, -1
	s_cbranch_vccnz .LBB305_714
; %bb.705:
	v_cmp_gt_i16_e32 vcc_lo, 3, v4
	s_cbranch_vccnz .LBB305_711
; %bb.706:
	v_cmp_lt_i16_e32 vcc_lo, 3, v4
	s_cbranch_vccz .LBB305_708
; %bb.707:
	s_mov_b32 s3, 0
	global_store_b64 v[0:1], v[2:3], off
.LBB305_708:
	s_and_not1_b32 vcc_lo, exec_lo, s3
	s_cbranch_vccnz .LBB305_710
; %bb.709:
	global_store_b32 v[0:1], v2, off
.LBB305_710:
	s_mov_b32 s3, 0
.LBB305_711:
	s_delay_alu instid0(SALU_CYCLE_1)
	s_and_not1_b32 vcc_lo, exec_lo, s3
	s_cbranch_vccnz .LBB305_713
; %bb.712:
	global_store_b16 v[0:1], v2, off
.LBB305_713:
	s_mov_b32 s3, 0
.LBB305_714:
	s_delay_alu instid0(SALU_CYCLE_1)
	s_and_not1_b32 vcc_lo, exec_lo, s3
	s_cbranch_vccnz .LBB305_719
; %bb.715:
	v_cmp_lt_i16_e32 vcc_lo, 0, v4
	s_mov_b32 s3, -1
	s_cbranch_vccz .LBB305_717
; %bb.716:
	s_mov_b32 s3, 0
	global_store_b8 v[0:1], v2, off
.LBB305_717:
	s_and_not1_b32 vcc_lo, exec_lo, s3
	s_cbranch_vccnz .LBB305_719
; %bb.718:
	global_store_b8 v[0:1], v2, off
.LBB305_719:
	s_branch .LBB305_796
.LBB305_720:
	s_mov_b32 s3, 0
.LBB305_721:
                                        ; implicit-def: $vgpr8
	s_branch .LBB305_797
.LBB305_722:
	s_mov_b32 s2, s43
	s_branch .LBB305_753
.LBB305_723:
	s_mov_b32 s2, s43
	s_branch .LBB305_736
.LBB305_724:
	s_mov_b32 s2, s43
	s_branch .LBB305_732
.LBB305_725:
	s_mov_b32 s2, s43
.LBB305_726:
	s_and_b32 vcc_lo, exec_lo, s27
	s_cbranch_vccz .LBB305_731
; %bb.727:
	v_cmp_eq_u16_e32 vcc_lo, 44, v4
	s_mov_b32 s2, -1
	s_cbranch_vccz .LBB305_731
; %bb.728:
	v_xor_b32_e32 v5, v2, v3
	v_cls_i32_e32 v6, v3
	s_mov_b32 s3, -1
	s_mov_b32 s27, exec_lo
	s_delay_alu instid0(VALU_DEP_2) | instskip(NEXT) | instid1(VALU_DEP_2)
	v_ashrrev_i32_e32 v5, 31, v5
	v_add_nc_u32_e32 v6, -1, v6
	s_delay_alu instid0(VALU_DEP_2) | instskip(NEXT) | instid1(VALU_DEP_1)
	v_add_nc_u32_e32 v5, 32, v5
	v_min_u32_e32 v9, v6, v5
	s_delay_alu instid0(VALU_DEP_1) | instskip(NEXT) | instid1(VALU_DEP_1)
	v_lshlrev_b64 v[5:6], v9, v[2:3]
	v_min_u32_e32 v5, 1, v5
	s_delay_alu instid0(VALU_DEP_1) | instskip(SKIP_1) | instid1(VALU_DEP_2)
	v_or_b32_e32 v5, v6, v5
	v_sub_nc_u32_e32 v6, 32, v9
	v_cvt_f32_i32_e32 v5, v5
	s_delay_alu instid0(VALU_DEP_1) | instskip(SKIP_1) | instid1(VALU_DEP_2)
	v_ldexp_f32 v5, v5, v6
	v_mov_b32_e32 v6, 0xff
	v_bfe_u32 v9, v5, 23, 8
	s_delay_alu instid0(VALU_DEP_1)
	v_cmpx_ne_u32_e32 0xff, v9
; %bb.729:
	v_and_b32_e32 v6, 0x400000, v5
	v_and_or_b32 v9, 0x3fffff, v5, v9
	v_lshrrev_b32_e32 v5, 23, v5
	s_delay_alu instid0(VALU_DEP_3) | instskip(NEXT) | instid1(VALU_DEP_3)
	v_cmp_ne_u32_e32 vcc_lo, 0, v6
	v_cmp_ne_u32_e64 s2, 0, v9
	s_delay_alu instid0(VALU_DEP_1) | instskip(NEXT) | instid1(SALU_CYCLE_1)
	s_and_b32 s2, vcc_lo, s2
	v_cndmask_b32_e64 v6, 0, 1, s2
	s_delay_alu instid0(VALU_DEP_1)
	v_add_nc_u32_e32 v6, v5, v6
; %bb.730:
	s_or_b32 exec_lo, exec_lo, s27
	s_mov_b32 s2, 0
	global_store_b8 v[0:1], v6, off
.LBB305_731:
	s_mov_b32 s27, 0
.LBB305_732:
	s_delay_alu instid0(SALU_CYCLE_1)
	s_and_b32 vcc_lo, exec_lo, s27
	s_cbranch_vccz .LBB305_735
; %bb.733:
	v_cmp_eq_u16_e32 vcc_lo, 29, v4
	s_mov_b32 s2, -1
	s_cbranch_vccz .LBB305_735
; %bb.734:
	s_mov_b32 s3, -1
	s_mov_b32 s2, 0
	global_store_b64 v[0:1], v[2:3], off
.LBB305_735:
	s_mov_b32 s27, 0
.LBB305_736:
	s_delay_alu instid0(SALU_CYCLE_1)
	s_and_b32 vcc_lo, exec_lo, s27
	s_cbranch_vccz .LBB305_752
; %bb.737:
	v_cmp_gt_i16_e32 vcc_lo, 27, v4
	s_mov_b32 s3, -1
	s_cbranch_vccnz .LBB305_743
; %bb.738:
	v_cmp_lt_i16_e32 vcc_lo, 27, v4
	s_cbranch_vccz .LBB305_740
; %bb.739:
	s_mov_b32 s3, 0
	global_store_b32 v[0:1], v2, off
.LBB305_740:
	s_and_not1_b32 vcc_lo, exec_lo, s3
	s_cbranch_vccnz .LBB305_742
; %bb.741:
	global_store_b16 v[0:1], v2, off
.LBB305_742:
	s_mov_b32 s3, 0
.LBB305_743:
	s_delay_alu instid0(SALU_CYCLE_1)
	s_and_not1_b32 vcc_lo, exec_lo, s3
	s_cbranch_vccnz .LBB305_751
; %bb.744:
	v_xor_b32_e32 v5, v2, v3
	v_cls_i32_e32 v6, v3
	s_mov_b32 s3, exec_lo
	s_delay_alu instid0(VALU_DEP_2) | instskip(NEXT) | instid1(VALU_DEP_2)
	v_ashrrev_i32_e32 v5, 31, v5
	v_add_nc_u32_e32 v6, -1, v6
	s_delay_alu instid0(VALU_DEP_2) | instskip(NEXT) | instid1(VALU_DEP_1)
	v_add_nc_u32_e32 v5, 32, v5
	v_min_u32_e32 v9, v6, v5
	s_delay_alu instid0(VALU_DEP_1) | instskip(NEXT) | instid1(VALU_DEP_1)
	v_lshlrev_b64 v[5:6], v9, v[2:3]
	v_min_u32_e32 v5, 1, v5
	s_delay_alu instid0(VALU_DEP_1) | instskip(SKIP_2) | instid1(VALU_DEP_3)
	v_or_b32_e32 v5, v6, v5
	v_sub_nc_u32_e32 v6, 32, v9
	v_mov_b32_e32 v9, 0x80
	v_cvt_f32_i32_e32 v5, v5
	s_delay_alu instid0(VALU_DEP_1) | instskip(NEXT) | instid1(VALU_DEP_1)
	v_ldexp_f32 v5, v5, v6
	v_and_b32_e32 v6, 0x7fffffff, v5
	s_delay_alu instid0(VALU_DEP_1)
	v_cmpx_gt_u32_e32 0x43800000, v6
	s_cbranch_execz .LBB305_750
; %bb.745:
	v_cmp_lt_u32_e32 vcc_lo, 0x3bffffff, v6
	s_mov_b32 s27, 0
                                        ; implicit-def: $vgpr6
	s_and_saveexec_b32 s46, vcc_lo
	s_delay_alu instid0(SALU_CYCLE_1)
	s_xor_b32 s46, exec_lo, s46
	s_cbranch_execz .LBB305_824
; %bb.746:
	v_bfe_u32 v6, v5, 20, 1
	s_mov_b32 s27, exec_lo
	s_delay_alu instid0(VALU_DEP_1) | instskip(NEXT) | instid1(VALU_DEP_1)
	v_add3_u32 v6, v5, v6, 0x487ffff
	v_lshrrev_b32_e32 v6, 20, v6
	s_or_saveexec_b32 s46, s46
                                        ; implicit-def: $sgpr47
	s_delay_alu instid0(SALU_CYCLE_1)
	s_xor_b32 exec_lo, exec_lo, s46
	s_cbranch_execnz .LBB305_825
.LBB305_747:
	s_or_b32 exec_lo, exec_lo, s46
	v_mov_b32_e32 v9, s47
	s_and_saveexec_b32 s46, s27
.LBB305_748:
	v_lshrrev_b32_e32 v5, 24, v5
	s_delay_alu instid0(VALU_DEP_1)
	v_and_or_b32 v9, 0x80, v5, v6
.LBB305_749:
	s_or_b32 exec_lo, exec_lo, s46
.LBB305_750:
	s_delay_alu instid0(SALU_CYCLE_1)
	s_or_b32 exec_lo, exec_lo, s3
	global_store_b8 v[0:1], v9, off
.LBB305_751:
	s_mov_b32 s3, -1
.LBB305_752:
	s_mov_b32 s27, 0
.LBB305_753:
	s_delay_alu instid0(SALU_CYCLE_1)
	s_and_b32 vcc_lo, exec_lo, s27
	s_cbranch_vccz .LBB305_794
; %bb.754:
	v_cmp_lt_i16_e32 vcc_lo, 22, v4
	s_mov_b32 s27, -1
	s_cbranch_vccz .LBB305_786
; %bb.755:
	v_cmp_gt_i16_e32 vcc_lo, 24, v4
	s_mov_b32 s3, -1
	s_cbranch_vccnz .LBB305_775
; %bb.756:
	v_cmp_lt_i16_e32 vcc_lo, 24, v4
	s_cbranch_vccz .LBB305_764
; %bb.757:
	v_xor_b32_e32 v5, v2, v3
	v_cls_i32_e32 v6, v3
	s_mov_b32 s3, exec_lo
	s_delay_alu instid0(VALU_DEP_2) | instskip(NEXT) | instid1(VALU_DEP_2)
	v_ashrrev_i32_e32 v5, 31, v5
	v_add_nc_u32_e32 v6, -1, v6
	s_delay_alu instid0(VALU_DEP_2) | instskip(NEXT) | instid1(VALU_DEP_1)
	v_add_nc_u32_e32 v5, 32, v5
	v_min_u32_e32 v9, v6, v5
	s_delay_alu instid0(VALU_DEP_1) | instskip(NEXT) | instid1(VALU_DEP_1)
	v_lshlrev_b64 v[5:6], v9, v[2:3]
	v_min_u32_e32 v5, 1, v5
	s_delay_alu instid0(VALU_DEP_1) | instskip(SKIP_2) | instid1(VALU_DEP_3)
	v_or_b32_e32 v5, v6, v5
	v_sub_nc_u32_e32 v6, 32, v9
	v_mov_b32_e32 v9, 0x80
	v_cvt_f32_i32_e32 v5, v5
	s_delay_alu instid0(VALU_DEP_1) | instskip(NEXT) | instid1(VALU_DEP_1)
	v_ldexp_f32 v5, v5, v6
	v_and_b32_e32 v6, 0x7fffffff, v5
	s_delay_alu instid0(VALU_DEP_1)
	v_cmpx_gt_u32_e32 0x47800000, v6
	s_cbranch_execz .LBB305_763
; %bb.758:
	v_cmp_lt_u32_e32 vcc_lo, 0x37ffffff, v6
	s_mov_b32 s27, 0
                                        ; implicit-def: $vgpr6
	s_and_saveexec_b32 s46, vcc_lo
	s_delay_alu instid0(SALU_CYCLE_1)
	s_xor_b32 s46, exec_lo, s46
	s_cbranch_execz .LBB305_827
; %bb.759:
	v_bfe_u32 v6, v5, 21, 1
	s_mov_b32 s27, exec_lo
	s_delay_alu instid0(VALU_DEP_1) | instskip(NEXT) | instid1(VALU_DEP_1)
	v_add3_u32 v6, v5, v6, 0x88fffff
	v_lshrrev_b32_e32 v6, 21, v6
	s_or_saveexec_b32 s46, s46
                                        ; implicit-def: $sgpr47
	s_delay_alu instid0(SALU_CYCLE_1)
	s_xor_b32 exec_lo, exec_lo, s46
	s_cbranch_execnz .LBB305_828
.LBB305_760:
	s_or_b32 exec_lo, exec_lo, s46
	v_mov_b32_e32 v9, s47
	s_and_saveexec_b32 s46, s27
.LBB305_761:
	v_lshrrev_b32_e32 v5, 24, v5
	s_delay_alu instid0(VALU_DEP_1)
	v_and_or_b32 v9, 0x80, v5, v6
.LBB305_762:
	s_or_b32 exec_lo, exec_lo, s46
.LBB305_763:
	s_delay_alu instid0(SALU_CYCLE_1)
	s_or_b32 exec_lo, exec_lo, s3
	s_mov_b32 s3, 0
	global_store_b8 v[0:1], v9, off
.LBB305_764:
	s_and_b32 vcc_lo, exec_lo, s3
	s_cbranch_vccz .LBB305_774
; %bb.765:
	v_xor_b32_e32 v5, v2, v3
	v_cls_i32_e32 v6, v3
	s_mov_b32 s3, exec_lo
	s_delay_alu instid0(VALU_DEP_2) | instskip(NEXT) | instid1(VALU_DEP_2)
	v_ashrrev_i32_e32 v5, 31, v5
	v_add_nc_u32_e32 v6, -1, v6
	s_delay_alu instid0(VALU_DEP_2) | instskip(NEXT) | instid1(VALU_DEP_1)
	v_add_nc_u32_e32 v5, 32, v5
	v_min_u32_e32 v9, v6, v5
	s_delay_alu instid0(VALU_DEP_1) | instskip(NEXT) | instid1(VALU_DEP_1)
	v_lshlrev_b64 v[5:6], v9, v[2:3]
	v_min_u32_e32 v5, 1, v5
	s_delay_alu instid0(VALU_DEP_1) | instskip(SKIP_1) | instid1(VALU_DEP_2)
	v_or_b32_e32 v5, v6, v5
	v_sub_nc_u32_e32 v6, 32, v9
	v_cvt_f32_i32_e32 v5, v5
	s_delay_alu instid0(VALU_DEP_1) | instskip(NEXT) | instid1(VALU_DEP_1)
	v_ldexp_f32 v5, v5, v6
                                        ; implicit-def: $vgpr6
	v_and_b32_e32 v9, 0x7fffffff, v5
	s_delay_alu instid0(VALU_DEP_1)
	v_cmpx_gt_u32_e32 0x43f00000, v9
	s_xor_b32 s3, exec_lo, s3
	s_cbranch_execz .LBB305_771
; %bb.766:
	s_mov_b32 s27, exec_lo
                                        ; implicit-def: $vgpr6
	v_cmpx_lt_u32_e32 0x3c7fffff, v9
	s_xor_b32 s27, exec_lo, s27
; %bb.767:
	v_bfe_u32 v6, v5, 20, 1
	s_delay_alu instid0(VALU_DEP_1) | instskip(NEXT) | instid1(VALU_DEP_1)
	v_add3_u32 v6, v5, v6, 0x407ffff
	v_and_b32_e32 v9, 0xff00000, v6
	v_lshrrev_b32_e32 v6, 20, v6
	s_delay_alu instid0(VALU_DEP_2) | instskip(NEXT) | instid1(VALU_DEP_2)
	v_cmp_ne_u32_e32 vcc_lo, 0x7f00000, v9
	v_cndmask_b32_e32 v6, 0x7e, v6, vcc_lo
; %bb.768:
	s_and_not1_saveexec_b32 s27, s27
; %bb.769:
	v_add_f32_e64 v6, 0x46800000, |v5|
; %bb.770:
	s_or_b32 exec_lo, exec_lo, s27
                                        ; implicit-def: $vgpr9
.LBB305_771:
	s_and_not1_saveexec_b32 s3, s3
; %bb.772:
	v_mov_b32_e32 v6, 0x7f
	v_cmp_lt_u32_e32 vcc_lo, 0x7f800000, v9
	s_delay_alu instid0(VALU_DEP_2)
	v_cndmask_b32_e32 v6, 0x7e, v6, vcc_lo
; %bb.773:
	s_or_b32 exec_lo, exec_lo, s3
	v_lshrrev_b32_e32 v5, 24, v5
	s_delay_alu instid0(VALU_DEP_1)
	v_and_or_b32 v5, 0x80, v5, v6
	global_store_b8 v[0:1], v5, off
.LBB305_774:
	s_mov_b32 s3, 0
.LBB305_775:
	s_delay_alu instid0(SALU_CYCLE_1)
	s_and_not1_b32 vcc_lo, exec_lo, s3
	s_cbranch_vccnz .LBB305_785
; %bb.776:
	v_xor_b32_e32 v5, v2, v3
	v_cls_i32_e32 v6, v3
	s_mov_b32 s3, exec_lo
	s_delay_alu instid0(VALU_DEP_2) | instskip(NEXT) | instid1(VALU_DEP_2)
	v_ashrrev_i32_e32 v5, 31, v5
	v_add_nc_u32_e32 v6, -1, v6
	s_delay_alu instid0(VALU_DEP_2) | instskip(NEXT) | instid1(VALU_DEP_1)
	v_add_nc_u32_e32 v5, 32, v5
	v_min_u32_e32 v9, v6, v5
	s_delay_alu instid0(VALU_DEP_1) | instskip(NEXT) | instid1(VALU_DEP_1)
	v_lshlrev_b64 v[5:6], v9, v[2:3]
	v_min_u32_e32 v5, 1, v5
	s_delay_alu instid0(VALU_DEP_1) | instskip(SKIP_1) | instid1(VALU_DEP_2)
	v_or_b32_e32 v5, v6, v5
	v_sub_nc_u32_e32 v6, 32, v9
	v_cvt_f32_i32_e32 v5, v5
	s_delay_alu instid0(VALU_DEP_1) | instskip(NEXT) | instid1(VALU_DEP_1)
	v_ldexp_f32 v5, v5, v6
                                        ; implicit-def: $vgpr6
	v_and_b32_e32 v9, 0x7fffffff, v5
	s_delay_alu instid0(VALU_DEP_1)
	v_cmpx_gt_u32_e32 0x47800000, v9
	s_xor_b32 s3, exec_lo, s3
	s_cbranch_execz .LBB305_782
; %bb.777:
	s_mov_b32 s27, exec_lo
                                        ; implicit-def: $vgpr6
	v_cmpx_lt_u32_e32 0x387fffff, v9
	s_xor_b32 s27, exec_lo, s27
; %bb.778:
	v_bfe_u32 v6, v5, 21, 1
	s_delay_alu instid0(VALU_DEP_1) | instskip(NEXT) | instid1(VALU_DEP_1)
	v_add3_u32 v6, v5, v6, 0x80fffff
	v_lshrrev_b32_e32 v6, 21, v6
; %bb.779:
	s_and_not1_saveexec_b32 s27, s27
; %bb.780:
	v_add_f32_e64 v6, 0x43000000, |v5|
; %bb.781:
	s_or_b32 exec_lo, exec_lo, s27
                                        ; implicit-def: $vgpr9
.LBB305_782:
	s_and_not1_saveexec_b32 s3, s3
; %bb.783:
	v_mov_b32_e32 v6, 0x7f
	v_cmp_lt_u32_e32 vcc_lo, 0x7f800000, v9
	s_delay_alu instid0(VALU_DEP_2)
	v_cndmask_b32_e32 v6, 0x7c, v6, vcc_lo
; %bb.784:
	s_or_b32 exec_lo, exec_lo, s3
	v_lshrrev_b32_e32 v5, 24, v5
	s_delay_alu instid0(VALU_DEP_1)
	v_and_or_b32 v5, 0x80, v5, v6
	global_store_b8 v[0:1], v5, off
.LBB305_785:
	s_mov_b32 s27, 0
	s_mov_b32 s3, -1
.LBB305_786:
	s_and_not1_b32 vcc_lo, exec_lo, s27
	s_cbranch_vccnz .LBB305_794
; %bb.787:
	v_cmp_lt_i16_e32 vcc_lo, 14, v4
	s_mov_b32 s27, -1
	s_cbranch_vccz .LBB305_791
; %bb.788:
	v_cmp_eq_u16_e32 vcc_lo, 15, v4
	s_mov_b32 s2, -1
	s_cbranch_vccz .LBB305_790
; %bb.789:
	v_xor_b32_e32 v5, v2, v3
	v_cls_i32_e32 v6, v3
	s_mov_b32 s3, -1
	s_mov_b32 s2, 0
	s_delay_alu instid0(VALU_DEP_2) | instskip(NEXT) | instid1(VALU_DEP_2)
	v_ashrrev_i32_e32 v5, 31, v5
	v_add_nc_u32_e32 v6, -1, v6
	s_delay_alu instid0(VALU_DEP_2) | instskip(NEXT) | instid1(VALU_DEP_1)
	v_add_nc_u32_e32 v5, 32, v5
	v_min_u32_e32 v9, v6, v5
	s_delay_alu instid0(VALU_DEP_1) | instskip(NEXT) | instid1(VALU_DEP_1)
	v_lshlrev_b64 v[5:6], v9, v[2:3]
	v_min_u32_e32 v5, 1, v5
	s_delay_alu instid0(VALU_DEP_1) | instskip(SKIP_1) | instid1(VALU_DEP_2)
	v_or_b32_e32 v5, v6, v5
	v_sub_nc_u32_e32 v6, 32, v9
	v_cvt_f32_i32_e32 v5, v5
	s_delay_alu instid0(VALU_DEP_1) | instskip(NEXT) | instid1(VALU_DEP_1)
	v_ldexp_f32 v5, v5, v6
	v_bfe_u32 v6, v5, 16, 1
	s_delay_alu instid0(VALU_DEP_1)
	v_add3_u32 v5, v5, v6, 0x7fff
	global_store_d16_hi_b16 v[0:1], v5, off
.LBB305_790:
	s_mov_b32 s27, 0
.LBB305_791:
	s_delay_alu instid0(SALU_CYCLE_1)
	s_and_b32 vcc_lo, exec_lo, s27
	s_cbranch_vccz .LBB305_794
; %bb.792:
	v_cmp_eq_u16_e32 vcc_lo, 11, v4
	s_mov_b32 s2, -1
	s_cbranch_vccz .LBB305_794
; %bb.793:
	v_cmp_ne_u64_e32 vcc_lo, 0, v[2:3]
	s_mov_b32 s3, -1
	s_mov_b32 s2, 0
	v_cndmask_b32_e64 v5, 0, 1, vcc_lo
	global_store_b8 v[0:1], v5, off
.LBB305_794:
.LBB305_795:
	s_and_not1_b32 vcc_lo, exec_lo, s3
	s_cbranch_vccnz .LBB305_720
.LBB305_796:
	v_add_nc_u32_e32 v8, 0x80, v8
	s_mov_b32 s3, -1
.LBB305_797:
	s_and_not1_b32 s27, s43, exec_lo
	s_and_b32 s2, s2, exec_lo
	s_and_not1_b32 s46, s42, exec_lo
	s_and_b32 s26, s26, exec_lo
	s_or_b32 s27, s27, s2
	s_or_b32 s26, s46, s26
	s_or_not1_b32 s47, s3, exec_lo
.LBB305_798:
	s_or_b32 exec_lo, exec_lo, s45
	s_mov_b32 s2, 0
	s_mov_b32 s3, 0
	;; [unrolled: 1-line block ×3, first 2 shown]
                                        ; implicit-def: $vgpr1_vgpr2
                                        ; implicit-def: $vgpr0
                                        ; implicit-def: $vgpr5_vgpr6
	s_and_saveexec_b32 s45, s47
	s_cbranch_execz .LBB305_892
; %bb.799:
	v_cmp_gt_i32_e32 vcc_lo, s36, v8
	s_mov_b32 s47, s26
                                        ; implicit-def: $vgpr1_vgpr2
                                        ; implicit-def: $vgpr0
                                        ; implicit-def: $vgpr5_vgpr6
	s_and_saveexec_b32 s36, vcc_lo
	s_cbranch_execz .LBB305_891
; %bb.800:
	s_and_not1_b32 vcc_lo, exec_lo, s31
	s_cbranch_vccnz .LBB305_805
; %bb.801:
	v_dual_mov_b32 v0, 0 :: v_dual_mov_b32 v1, 0
	s_and_not1_b32 vcc_lo, exec_lo, s38
	s_mov_b32 s38, 0
	s_cbranch_vccnz .LBB305_810
; %bb.802:
	v_mov_b32_e32 v0, 0
	s_add_i32 s46, s37, 1
	s_cmp_eq_u32 s29, 2
	s_mov_b32 s37, 0
	s_cbranch_scc1 .LBB305_806
; %bb.803:
	v_dual_mov_b32 v1, 0 :: v_dual_mov_b32 v0, 0
	v_mov_b32_e32 v2, v8
	s_and_b32 s37, s46, 28
	s_mov_b32 s47, 0
	s_mov_b64 s[2:3], s[20:21]
.LBB305_804:                            ; =>This Inner Loop Header: Depth=1
	s_clause 0x1
	s_load_b256 s[48:55], s[2:3], 0x4
	s_load_b128 s[64:67], s[2:3], 0x24
	s_load_b256 s[56:63], s[24:25], 0x0
	s_add_u32 s2, s2, 48
	s_addc_u32 s3, s3, 0
	s_add_i32 s47, s47, 4
	s_add_u32 s24, s24, 32
	s_addc_u32 s25, s25, 0
	s_cmp_eq_u32 s37, s47
	s_waitcnt vmcnt(0) lgkmcnt(0)
	v_mul_hi_u32 v3, s49, v2
	s_delay_alu instid0(VALU_DEP_1) | instskip(NEXT) | instid1(VALU_DEP_1)
	v_add_nc_u32_e32 v3, v2, v3
	v_lshrrev_b32_e32 v3, s50, v3
	s_delay_alu instid0(VALU_DEP_1) | instskip(SKIP_1) | instid1(VALU_DEP_2)
	v_mul_hi_u32 v4, s52, v3
	v_mul_lo_u32 v6, v3, s48
	v_add_nc_u32_e32 v4, v3, v4
	s_delay_alu instid0(VALU_DEP_2) | instskip(NEXT) | instid1(VALU_DEP_2)
	v_sub_nc_u32_e32 v2, v2, v6
	v_lshrrev_b32_e32 v4, s53, v4
	s_delay_alu instid0(VALU_DEP_2) | instskip(SKIP_1) | instid1(VALU_DEP_3)
	v_mul_lo_u32 v6, v2, s56
	v_mul_lo_u32 v10, v2, s57
	v_mul_hi_u32 v5, s55, v4
	s_delay_alu instid0(VALU_DEP_1) | instskip(NEXT) | instid1(VALU_DEP_1)
	v_add_nc_u32_e32 v5, v4, v5
	v_lshrrev_b32_e32 v5, s64, v5
	s_delay_alu instid0(VALU_DEP_1) | instskip(SKIP_1) | instid1(VALU_DEP_2)
	v_mul_hi_u32 v9, s66, v5
	v_mul_lo_u32 v11, v5, s54
	v_add_nc_u32_e32 v2, v5, v9
	v_mul_lo_u32 v9, v4, s51
	s_delay_alu instid0(VALU_DEP_3) | instskip(NEXT) | instid1(VALU_DEP_3)
	v_sub_nc_u32_e32 v4, v4, v11
	v_lshrrev_b32_e32 v2, s67, v2
	s_delay_alu instid0(VALU_DEP_2) | instskip(SKIP_2) | instid1(VALU_DEP_4)
	v_mul_lo_u32 v11, v4, s60
	v_mul_lo_u32 v4, v4, s61
	v_sub_nc_u32_e32 v3, v3, v9
	v_mul_lo_u32 v12, v2, s65
	s_delay_alu instid0(VALU_DEP_2) | instskip(SKIP_1) | instid1(VALU_DEP_3)
	v_mul_lo_u32 v9, v3, s58
	v_mul_lo_u32 v3, v3, s59
	v_sub_nc_u32_e32 v5, v5, v12
	s_delay_alu instid0(VALU_DEP_3) | instskip(NEXT) | instid1(VALU_DEP_2)
	v_add3_u32 v0, v6, v0, v9
	v_mul_lo_u32 v12, v5, s62
	v_mul_lo_u32 v5, v5, s63
	v_add3_u32 v1, v10, v1, v3
	s_delay_alu instid0(VALU_DEP_3) | instskip(NEXT) | instid1(VALU_DEP_2)
	v_add3_u32 v0, v11, v0, v12
	v_add3_u32 v1, v4, v1, v5
	s_cbranch_scc0 .LBB305_804
	s_branch .LBB305_807
.LBB305_805:
	s_mov_b32 s38, -1
                                        ; implicit-def: $vgpr0
                                        ; implicit-def: $vgpr1
	s_branch .LBB305_810
.LBB305_806:
	v_dual_mov_b32 v2, v8 :: v_dual_mov_b32 v1, 0
.LBB305_807:
	s_and_b32 s46, s46, 3
	s_delay_alu instid0(SALU_CYCLE_1)
	s_cmp_eq_u32 s46, 0
	s_cbranch_scc1 .LBB305_810
; %bb.808:
	s_lshl_b32 s2, s37, 3
	s_mul_i32 s24, s37, 12
	s_add_u32 s2, s2, s20
	s_addc_u32 s3, s21, 0
	s_add_u32 s2, s2, 0xc4
	s_addc_u32 s3, s3, 0
	;; [unrolled: 2-line block ×3, first 2 shown]
.LBB305_809:                            ; =>This Inner Loop Header: Depth=1
	s_clause 0x1
	s_load_b64 s[48:49], s[24:25], 0x4
	s_load_b32 s37, s[24:25], 0xc
	s_load_b64 s[50:51], s[2:3], 0x0
	s_add_u32 s24, s24, 12
	s_addc_u32 s25, s25, 0
	s_add_u32 s2, s2, 8
	s_addc_u32 s3, s3, 0
	s_add_i32 s46, s46, -1
	s_delay_alu instid0(SALU_CYCLE_1) | instskip(SKIP_2) | instid1(VALU_DEP_1)
	s_cmp_lg_u32 s46, 0
	s_waitcnt vmcnt(0) lgkmcnt(0)
	v_mul_hi_u32 v3, s49, v2
	v_add_nc_u32_e32 v3, v2, v3
	s_delay_alu instid0(VALU_DEP_1) | instskip(NEXT) | instid1(VALU_DEP_1)
	v_lshrrev_b32_e32 v6, s37, v3
	v_mul_lo_u32 v3, v6, s48
	s_delay_alu instid0(VALU_DEP_1) | instskip(NEXT) | instid1(VALU_DEP_1)
	v_sub_nc_u32_e32 v2, v2, v3
	v_mad_u64_u32 v[3:4], null, v2, s50, v[0:1]
	v_mad_u64_u32 v[4:5], null, v2, s51, v[1:2]
	v_mov_b32_e32 v2, v6
	s_delay_alu instid0(VALU_DEP_2)
	v_dual_mov_b32 v0, v3 :: v_dual_mov_b32 v1, v4
	s_cbranch_scc1 .LBB305_809
.LBB305_810:
	s_and_not1_b32 vcc_lo, exec_lo, s38
	s_cbranch_vccnz .LBB305_813
; %bb.811:
	v_mul_hi_u32 v0, s17, v8
	s_and_not1_b32 vcc_lo, exec_lo, s35
	s_delay_alu instid0(VALU_DEP_1) | instskip(NEXT) | instid1(VALU_DEP_1)
	v_add_nc_u32_e32 v0, v8, v0
	v_lshrrev_b32_e32 v2, s18, v0
	s_delay_alu instid0(VALU_DEP_1) | instskip(NEXT) | instid1(VALU_DEP_1)
	v_mul_lo_u32 v0, v2, s16
	v_sub_nc_u32_e32 v1, v8, v0
	s_delay_alu instid0(VALU_DEP_1)
	v_mul_lo_u32 v0, v1, s12
	v_mul_lo_u32 v1, v1, s13
	s_cbranch_vccnz .LBB305_813
; %bb.812:
	s_waitcnt vmcnt(0)
	v_mul_hi_u32 v3, s22, v2
	s_delay_alu instid0(VALU_DEP_1) | instskip(NEXT) | instid1(VALU_DEP_1)
	v_add_nc_u32_e32 v3, v2, v3
	v_lshrrev_b32_e32 v3, s23, v3
	s_delay_alu instid0(VALU_DEP_1) | instskip(NEXT) | instid1(VALU_DEP_1)
	v_mul_lo_u32 v3, v3, s19
	v_sub_nc_u32_e32 v5, v2, v3
	s_delay_alu instid0(VALU_DEP_1) | instskip(NEXT) | instid1(VALU_DEP_1)
	v_mad_u64_u32 v[2:3], null, v5, s14, v[0:1]
	v_mad_u64_u32 v[3:4], null, v5, s15, v[1:2]
	s_delay_alu instid0(VALU_DEP_1)
	v_dual_mov_b32 v0, v2 :: v_dual_mov_b32 v1, v3
.LBB305_813:
	v_cmp_gt_i16_e32 vcc_lo, 11, v7
	s_delay_alu instid0(VALU_DEP_2) | instskip(NEXT) | instid1(VALU_DEP_1)
	v_add_co_u32 v1, s2, s6, v1
	v_add_co_ci_u32_e64 v2, null, s7, 0, s2
	s_mov_b32 s2, 0
	s_cbranch_vccnz .LBB305_820
; %bb.814:
	v_cmp_lt_i16_e32 vcc_lo, 25, v7
	s_mov_b32 s7, 0
	s_cbranch_vccz .LBB305_821
; %bb.815:
	v_cmp_lt_i16_e32 vcc_lo, 28, v7
	s_cbranch_vccz .LBB305_822
; %bb.816:
	v_cmp_lt_i16_e32 vcc_lo, 43, v7
	;; [unrolled: 3-line block ×3, first 2 shown]
	s_cbranch_vccz .LBB305_826
; %bb.818:
	v_cmp_eq_u16_e32 vcc_lo, 46, v7
	s_mov_b32 s3, 0
	s_cbranch_vccz .LBB305_829
; %bb.819:
	global_load_b32 v3, v[1:2], off
	s_mov_b32 s6, 0
	s_mov_b32 s2, -1
	s_waitcnt vmcnt(0)
	v_lshlrev_b32_e32 v3, 16, v3
	s_delay_alu instid0(VALU_DEP_1) | instskip(NEXT) | instid1(VALU_DEP_1)
	v_trunc_f32_e32 v3, v3
	v_mul_f32_e64 v4, 0x2f800000, |v3|
	s_delay_alu instid0(VALU_DEP_1) | instskip(NEXT) | instid1(VALU_DEP_1)
	v_floor_f32_e32 v4, v4
	v_fma_f32 v5, 0xcf800000, v4, |v3|
	v_ashrrev_i32_e32 v3, 31, v3
	v_cvt_u32_f32_e32 v4, v4
	s_delay_alu instid0(VALU_DEP_3) | instskip(NEXT) | instid1(VALU_DEP_2)
	v_cvt_u32_f32_e32 v5, v5
	v_xor_b32_e32 v4, v4, v3
	s_delay_alu instid0(VALU_DEP_2) | instskip(NEXT) | instid1(VALU_DEP_1)
	v_xor_b32_e32 v5, v5, v3
	v_sub_co_u32 v5, vcc_lo, v5, v3
	s_delay_alu instid0(VALU_DEP_3)
	v_sub_co_ci_u32_e32 v6, vcc_lo, v4, v3, vcc_lo
	s_branch .LBB305_831
.LBB305_820:
	s_mov_b32 s3, -1
	s_mov_b32 s7, 0
	s_mov_b32 s6, s26
                                        ; implicit-def: $vgpr5_vgpr6
	s_branch .LBB305_890
.LBB305_821:
	s_mov_b32 s3, -1
	s_mov_b32 s6, s26
                                        ; implicit-def: $vgpr5_vgpr6
	s_branch .LBB305_860
.LBB305_822:
	s_mov_b32 s3, -1
	s_mov_b32 s6, s26
                                        ; implicit-def: $vgpr5_vgpr6
	s_branch .LBB305_841
.LBB305_823:
	s_mov_b32 s3, -1
	s_mov_b32 s6, s26
                                        ; implicit-def: $vgpr5_vgpr6
	s_branch .LBB305_836
.LBB305_824:
	s_or_saveexec_b32 s46, s46
                                        ; implicit-def: $sgpr47
	s_delay_alu instid0(SALU_CYCLE_1)
	s_xor_b32 exec_lo, exec_lo, s46
	s_cbranch_execz .LBB305_747
.LBB305_825:
	v_add_f32_e64 v6, 0x46000000, |v5|
	s_and_not1_b32 s27, s27, exec_lo
	s_mov_b32 s47, 0
	s_delay_alu instid0(VALU_DEP_1) | instskip(NEXT) | instid1(VALU_DEP_1)
	v_and_b32_e32 v6, 0xff, v6
	v_cmp_ne_u32_e32 vcc_lo, 0, v6
	s_and_b32 s48, vcc_lo, exec_lo
	s_delay_alu instid0(SALU_CYCLE_1)
	s_or_b32 s27, s27, s48
	s_or_b32 exec_lo, exec_lo, s46
	v_mov_b32_e32 v9, s47
	s_and_saveexec_b32 s46, s27
	s_cbranch_execnz .LBB305_748
	s_branch .LBB305_749
.LBB305_826:
	s_mov_b32 s3, -1
	s_mov_b32 s6, s26
	s_branch .LBB305_830
.LBB305_827:
	s_or_saveexec_b32 s46, s46
                                        ; implicit-def: $sgpr47
	s_delay_alu instid0(SALU_CYCLE_1)
	s_xor_b32 exec_lo, exec_lo, s46
	s_cbranch_execz .LBB305_760
.LBB305_828:
	v_add_f32_e64 v6, 0x42800000, |v5|
	s_and_not1_b32 s27, s27, exec_lo
	s_mov_b32 s47, 0
	s_delay_alu instid0(VALU_DEP_1) | instskip(NEXT) | instid1(VALU_DEP_1)
	v_and_b32_e32 v6, 0xff, v6
	v_cmp_ne_u32_e32 vcc_lo, 0, v6
	s_and_b32 s48, vcc_lo, exec_lo
	s_delay_alu instid0(SALU_CYCLE_1)
	s_or_b32 s27, s27, s48
	s_or_b32 exec_lo, exec_lo, s46
	v_mov_b32_e32 v9, s47
	s_and_saveexec_b32 s46, s27
	s_cbranch_execnz .LBB305_761
	s_branch .LBB305_762
.LBB305_829:
	s_mov_b32 s6, -1
.LBB305_830:
                                        ; implicit-def: $vgpr5_vgpr6
.LBB305_831:
	s_and_b32 vcc_lo, exec_lo, s3
	s_cbranch_vccz .LBB305_835
; %bb.832:
	v_cmp_eq_u16_e32 vcc_lo, 44, v7
	s_cbranch_vccz .LBB305_834
; %bb.833:
	global_load_u8 v3, v[1:2], off
	s_mov_b32 s6, 0
	s_mov_b32 s2, -1
	s_waitcnt vmcnt(0)
	v_lshlrev_b32_e32 v4, 23, v3
	s_delay_alu instid0(VALU_DEP_1) | instskip(NEXT) | instid1(VALU_DEP_1)
	v_trunc_f32_e32 v4, v4
	v_mul_f32_e64 v5, 0x2f800000, |v4|
	s_delay_alu instid0(VALU_DEP_1) | instskip(NEXT) | instid1(VALU_DEP_1)
	v_floor_f32_e32 v5, v5
	v_fma_f32 v6, 0xcf800000, v5, |v4|
	v_ashrrev_i32_e32 v4, 31, v4
	v_cvt_u32_f32_e32 v5, v5
	s_delay_alu instid0(VALU_DEP_3) | instskip(NEXT) | instid1(VALU_DEP_2)
	v_cvt_u32_f32_e32 v6, v6
	v_xor_b32_e32 v5, v5, v4
	s_delay_alu instid0(VALU_DEP_2) | instskip(NEXT) | instid1(VALU_DEP_1)
	v_xor_b32_e32 v6, v6, v4
	v_sub_co_u32 v8, vcc_lo, v6, v4
	s_delay_alu instid0(VALU_DEP_3) | instskip(SKIP_1) | instid1(VALU_DEP_3)
	v_sub_co_ci_u32_e32 v4, vcc_lo, v5, v4, vcc_lo
	v_cmp_ne_u32_e32 vcc_lo, 0, v3
	v_cndmask_b32_e32 v5, 0, v8, vcc_lo
	s_delay_alu instid0(VALU_DEP_3)
	v_cndmask_b32_e32 v6, 0, v4, vcc_lo
	s_branch .LBB305_835
.LBB305_834:
	s_mov_b32 s6, -1
                                        ; implicit-def: $vgpr5_vgpr6
.LBB305_835:
	s_mov_b32 s3, 0
.LBB305_836:
	s_delay_alu instid0(SALU_CYCLE_1)
	s_and_b32 vcc_lo, exec_lo, s3
	s_cbranch_vccz .LBB305_840
; %bb.837:
	v_cmp_eq_u16_e32 vcc_lo, 29, v7
	s_cbranch_vccz .LBB305_839
; %bb.838:
	global_load_b64 v[5:6], v[1:2], off
	s_mov_b32 s6, 0
	s_mov_b32 s2, -1
	s_branch .LBB305_840
.LBB305_839:
	s_mov_b32 s6, -1
                                        ; implicit-def: $vgpr5_vgpr6
.LBB305_840:
	s_mov_b32 s3, 0
.LBB305_841:
	s_delay_alu instid0(SALU_CYCLE_1)
	s_and_b32 vcc_lo, exec_lo, s3
	s_cbranch_vccz .LBB305_859
; %bb.842:
	v_cmp_gt_i16_e32 vcc_lo, 27, v7
	s_cbranch_vccnz .LBB305_845
; %bb.843:
	v_cmp_lt_i16_e32 vcc_lo, 27, v7
	s_cbranch_vccz .LBB305_846
; %bb.844:
	global_load_b32 v5, v[1:2], off
	s_waitcnt vmcnt(1)
	v_mov_b32_e32 v6, 0
	s_mov_b32 s2, 0
	s_branch .LBB305_847
.LBB305_845:
	s_mov_b32 s2, -1
                                        ; implicit-def: $vgpr5_vgpr6
	s_branch .LBB305_850
.LBB305_846:
	s_mov_b32 s2, -1
                                        ; implicit-def: $vgpr5_vgpr6
.LBB305_847:
	s_delay_alu instid0(SALU_CYCLE_1)
	s_and_not1_b32 vcc_lo, exec_lo, s2
	s_cbranch_vccnz .LBB305_849
; %bb.848:
	global_load_u16 v3, v[1:2], off
	s_mov_b32 s2, 0
	s_waitcnt vmcnt(0)
	v_dual_mov_b32 v6, s2 :: v_dual_and_b32 v5, 0xffff, v3
.LBB305_849:
	s_mov_b32 s2, 0
.LBB305_850:
	s_delay_alu instid0(SALU_CYCLE_1)
	s_and_not1_b32 vcc_lo, exec_lo, s2
	s_cbranch_vccnz .LBB305_858
; %bb.851:
	global_load_u8 v3, v[1:2], off
	s_mov_b32 s12, 0
	s_mov_b32 s13, exec_lo
                                        ; implicit-def: $sgpr2_sgpr3
	s_waitcnt vmcnt(0)
	v_cmpx_lt_i16_e32 0x7f, v3
	s_xor_b32 s13, exec_lo, s13
; %bb.852:
	v_cmp_ne_u16_e32 vcc_lo, 0x80, v3
	s_mov_b64 s[2:3], 0
	s_and_b32 s12, vcc_lo, exec_lo
; %bb.853:
	s_or_saveexec_b32 s13, s13
	v_dual_mov_b32 v6, s3 :: v_dual_mov_b32 v5, s2
	s_xor_b32 exec_lo, exec_lo, s13
; %bb.854:
	v_cmp_ne_u16_e32 vcc_lo, 0, v3
	v_mov_b32_e32 v5, 0
	v_mov_b32_e32 v6, 0
	s_and_not1_b32 s2, s12, exec_lo
	s_and_b32 s3, vcc_lo, exec_lo
	s_delay_alu instid0(SALU_CYCLE_1)
	s_or_b32 s12, s2, s3
; %bb.855:
	s_or_b32 exec_lo, exec_lo, s13
	s_and_saveexec_b32 s2, s12
	s_cbranch_execz .LBB305_857
; %bb.856:
	v_and_b32_e32 v4, 0xffff, v3
	v_lshlrev_b32_e32 v3, 24, v3
	s_delay_alu instid0(VALU_DEP_2) | instskip(NEXT) | instid1(VALU_DEP_2)
	v_and_b32_e32 v5, 7, v4
	v_and_b32_e32 v3, 0x80000000, v3
	s_delay_alu instid0(VALU_DEP_2) | instskip(NEXT) | instid1(VALU_DEP_1)
	v_clz_i32_u32_e32 v6, v5
	v_min_u32_e32 v6, 32, v6
	s_delay_alu instid0(VALU_DEP_1) | instskip(SKIP_1) | instid1(VALU_DEP_2)
	v_subrev_nc_u32_e32 v8, 28, v6
	v_sub_nc_u32_e32 v6, 29, v6
	v_lshlrev_b32_e32 v8, v8, v4
	v_bfe_u32 v4, v4, 3, 4
	s_delay_alu instid0(VALU_DEP_2) | instskip(NEXT) | instid1(VALU_DEP_2)
	v_and_b32_e32 v8, 7, v8
	v_cmp_eq_u32_e32 vcc_lo, 0, v4
	s_delay_alu instid0(VALU_DEP_2) | instskip(NEXT) | instid1(VALU_DEP_1)
	v_dual_cndmask_b32 v4, v4, v6 :: v_dual_cndmask_b32 v5, v5, v8
	v_lshl_add_u32 v4, v4, 23, 0x3b800000
	s_delay_alu instid0(VALU_DEP_2) | instskip(NEXT) | instid1(VALU_DEP_1)
	v_lshlrev_b32_e32 v5, 20, v5
	v_or3_b32 v3, v3, v4, v5
	s_delay_alu instid0(VALU_DEP_1) | instskip(NEXT) | instid1(VALU_DEP_1)
	v_trunc_f32_e32 v3, v3
	v_mul_f32_e64 v4, 0x2f800000, |v3|
	s_delay_alu instid0(VALU_DEP_1) | instskip(NEXT) | instid1(VALU_DEP_1)
	v_floor_f32_e32 v4, v4
	v_fma_f32 v5, 0xcf800000, v4, |v3|
	v_ashrrev_i32_e32 v3, 31, v3
	v_cvt_u32_f32_e32 v4, v4
	s_delay_alu instid0(VALU_DEP_3) | instskip(NEXT) | instid1(VALU_DEP_2)
	v_cvt_u32_f32_e32 v5, v5
	v_xor_b32_e32 v4, v4, v3
	s_delay_alu instid0(VALU_DEP_2) | instskip(NEXT) | instid1(VALU_DEP_1)
	v_xor_b32_e32 v5, v5, v3
	v_sub_co_u32 v5, vcc_lo, v5, v3
	s_delay_alu instid0(VALU_DEP_3)
	v_sub_co_ci_u32_e32 v6, vcc_lo, v4, v3, vcc_lo
.LBB305_857:
	s_or_b32 exec_lo, exec_lo, s2
.LBB305_858:
	s_mov_b32 s2, -1
.LBB305_859:
	s_mov_b32 s3, 0
.LBB305_860:
	s_delay_alu instid0(SALU_CYCLE_1)
	s_and_b32 vcc_lo, exec_lo, s3
	s_cbranch_vccz .LBB305_889
; %bb.861:
	v_cmp_lt_i16_e32 vcc_lo, 22, v7
	s_cbranch_vccz .LBB305_871
; %bb.862:
	v_cmp_gt_i16_e32 vcc_lo, 24, v7
	s_cbranch_vccnz .LBB305_872
; %bb.863:
	v_cmp_lt_i16_e32 vcc_lo, 24, v7
	s_cbranch_vccz .LBB305_873
; %bb.864:
	global_load_u8 v3, v[1:2], off
	s_mov_b32 s12, exec_lo
                                        ; implicit-def: $sgpr2_sgpr3
	s_waitcnt vmcnt(0)
	v_cmpx_lt_i16_e32 0x7f, v3
	s_xor_b32 s12, exec_lo, s12
; %bb.865:
	v_cmp_ne_u16_e32 vcc_lo, 0x80, v3
	s_mov_b64 s[2:3], 0
	s_and_b32 s7, vcc_lo, exec_lo
; %bb.866:
	s_or_saveexec_b32 s12, s12
	v_dual_mov_b32 v6, s3 :: v_dual_mov_b32 v5, s2
	s_xor_b32 exec_lo, exec_lo, s12
; %bb.867:
	v_cmp_ne_u16_e32 vcc_lo, 0, v3
	v_mov_b32_e32 v5, 0
	v_mov_b32_e32 v6, 0
	s_and_not1_b32 s2, s7, exec_lo
	s_and_b32 s3, vcc_lo, exec_lo
	s_delay_alu instid0(SALU_CYCLE_1)
	s_or_b32 s7, s2, s3
; %bb.868:
	s_or_b32 exec_lo, exec_lo, s12
	s_and_saveexec_b32 s2, s7
	s_cbranch_execz .LBB305_870
; %bb.869:
	v_and_b32_e32 v4, 0xffff, v3
	v_lshlrev_b32_e32 v3, 24, v3
	s_delay_alu instid0(VALU_DEP_2) | instskip(NEXT) | instid1(VALU_DEP_2)
	v_and_b32_e32 v5, 3, v4
	v_and_b32_e32 v3, 0x80000000, v3
	s_delay_alu instid0(VALU_DEP_2) | instskip(NEXT) | instid1(VALU_DEP_1)
	v_clz_i32_u32_e32 v6, v5
	v_min_u32_e32 v6, 32, v6
	s_delay_alu instid0(VALU_DEP_1) | instskip(SKIP_1) | instid1(VALU_DEP_2)
	v_subrev_nc_u32_e32 v8, 29, v6
	v_sub_nc_u32_e32 v6, 30, v6
	v_lshlrev_b32_e32 v8, v8, v4
	v_bfe_u32 v4, v4, 2, 5
	s_delay_alu instid0(VALU_DEP_2) | instskip(NEXT) | instid1(VALU_DEP_2)
	v_and_b32_e32 v8, 3, v8
	v_cmp_eq_u32_e32 vcc_lo, 0, v4
	s_delay_alu instid0(VALU_DEP_2) | instskip(NEXT) | instid1(VALU_DEP_1)
	v_dual_cndmask_b32 v4, v4, v6 :: v_dual_cndmask_b32 v5, v5, v8
	v_lshl_add_u32 v4, v4, 23, 0x37800000
	s_delay_alu instid0(VALU_DEP_2) | instskip(NEXT) | instid1(VALU_DEP_1)
	v_lshlrev_b32_e32 v5, 21, v5
	v_or3_b32 v3, v3, v4, v5
	s_delay_alu instid0(VALU_DEP_1) | instskip(NEXT) | instid1(VALU_DEP_1)
	v_trunc_f32_e32 v3, v3
	v_mul_f32_e64 v4, 0x2f800000, |v3|
	s_delay_alu instid0(VALU_DEP_1) | instskip(NEXT) | instid1(VALU_DEP_1)
	v_floor_f32_e32 v4, v4
	v_fma_f32 v5, 0xcf800000, v4, |v3|
	v_ashrrev_i32_e32 v3, 31, v3
	v_cvt_u32_f32_e32 v4, v4
	s_delay_alu instid0(VALU_DEP_3) | instskip(NEXT) | instid1(VALU_DEP_2)
	v_cvt_u32_f32_e32 v5, v5
	v_xor_b32_e32 v4, v4, v3
	s_delay_alu instid0(VALU_DEP_2) | instskip(NEXT) | instid1(VALU_DEP_1)
	v_xor_b32_e32 v5, v5, v3
	v_sub_co_u32 v5, vcc_lo, v5, v3
	s_delay_alu instid0(VALU_DEP_3)
	v_sub_co_ci_u32_e32 v6, vcc_lo, v4, v3, vcc_lo
.LBB305_870:
	s_or_b32 exec_lo, exec_lo, s2
	s_mov_b32 s2, 0
	s_branch .LBB305_874
.LBB305_871:
	s_mov_b32 s3, -1
                                        ; implicit-def: $vgpr5_vgpr6
	s_branch .LBB305_880
.LBB305_872:
	s_mov_b32 s2, -1
                                        ; implicit-def: $vgpr5_vgpr6
	s_branch .LBB305_877
.LBB305_873:
	s_mov_b32 s2, -1
                                        ; implicit-def: $vgpr5_vgpr6
.LBB305_874:
	s_delay_alu instid0(SALU_CYCLE_1)
	s_and_b32 vcc_lo, exec_lo, s2
	s_cbranch_vccz .LBB305_876
; %bb.875:
	global_load_u8 v3, v[1:2], off
	s_waitcnt vmcnt(0)
	v_lshlrev_b32_e32 v3, 24, v3
	s_delay_alu instid0(VALU_DEP_1) | instskip(NEXT) | instid1(VALU_DEP_1)
	v_and_b32_e32 v4, 0x7f000000, v3
	v_clz_i32_u32_e32 v5, v4
	v_add_nc_u32_e32 v8, 0x1000000, v4
	v_cmp_ne_u32_e32 vcc_lo, 0, v4
	s_delay_alu instid0(VALU_DEP_3) | instskip(NEXT) | instid1(VALU_DEP_1)
	v_min_u32_e32 v5, 32, v5
	v_sub_nc_u32_e64 v5, v5, 4 clamp
	s_delay_alu instid0(VALU_DEP_1) | instskip(SKIP_1) | instid1(VALU_DEP_2)
	v_lshlrev_b32_e32 v6, v5, v4
	v_lshlrev_b32_e32 v5, 23, v5
	v_lshrrev_b32_e32 v6, 4, v6
	s_delay_alu instid0(VALU_DEP_1) | instskip(SKIP_1) | instid1(VALU_DEP_2)
	v_sub_nc_u32_e32 v5, v6, v5
	v_ashrrev_i32_e32 v6, 8, v8
	v_add_nc_u32_e32 v5, 0x3c000000, v5
	s_delay_alu instid0(VALU_DEP_1) | instskip(NEXT) | instid1(VALU_DEP_1)
	v_and_or_b32 v5, 0x7f800000, v6, v5
	v_cndmask_b32_e32 v4, 0, v5, vcc_lo
	s_delay_alu instid0(VALU_DEP_1) | instskip(NEXT) | instid1(VALU_DEP_1)
	v_and_or_b32 v3, 0x80000000, v3, v4
	v_trunc_f32_e32 v3, v3
	s_delay_alu instid0(VALU_DEP_1) | instskip(NEXT) | instid1(VALU_DEP_1)
	v_mul_f32_e64 v4, 0x2f800000, |v3|
	v_floor_f32_e32 v4, v4
	s_delay_alu instid0(VALU_DEP_1) | instskip(SKIP_2) | instid1(VALU_DEP_3)
	v_fma_f32 v5, 0xcf800000, v4, |v3|
	v_ashrrev_i32_e32 v3, 31, v3
	v_cvt_u32_f32_e32 v4, v4
	v_cvt_u32_f32_e32 v5, v5
	s_delay_alu instid0(VALU_DEP_2) | instskip(NEXT) | instid1(VALU_DEP_2)
	v_xor_b32_e32 v4, v4, v3
	v_xor_b32_e32 v5, v5, v3
	s_delay_alu instid0(VALU_DEP_1) | instskip(NEXT) | instid1(VALU_DEP_3)
	v_sub_co_u32 v5, vcc_lo, v5, v3
	v_sub_co_ci_u32_e32 v6, vcc_lo, v4, v3, vcc_lo
.LBB305_876:
	s_mov_b32 s2, 0
.LBB305_877:
	s_delay_alu instid0(SALU_CYCLE_1)
	s_and_not1_b32 vcc_lo, exec_lo, s2
	s_cbranch_vccnz .LBB305_879
; %bb.878:
	global_load_u8 v3, v[1:2], off
	s_waitcnt vmcnt(0)
	v_lshlrev_b32_e32 v4, 25, v3
	v_lshlrev_b16 v3, 8, v3
	s_delay_alu instid0(VALU_DEP_2) | instskip(NEXT) | instid1(VALU_DEP_2)
	v_lshrrev_b32_e32 v5, 4, v4
	v_and_or_b32 v6, 0x7f00, v3, 0.5
	v_bfe_i32 v3, v3, 0, 16
	s_delay_alu instid0(VALU_DEP_3) | instskip(NEXT) | instid1(VALU_DEP_1)
	v_or_b32_e32 v5, 0x70000000, v5
	v_dual_add_f32 v6, -0.5, v6 :: v_dual_mul_f32 v5, 0x7800000, v5
	v_cmp_gt_u32_e32 vcc_lo, 0x8000000, v4
	s_delay_alu instid0(VALU_DEP_2) | instskip(NEXT) | instid1(VALU_DEP_1)
	v_cndmask_b32_e32 v4, v5, v6, vcc_lo
	v_and_or_b32 v3, 0x80000000, v3, v4
	s_delay_alu instid0(VALU_DEP_1) | instskip(NEXT) | instid1(VALU_DEP_1)
	v_trunc_f32_e32 v3, v3
	v_mul_f32_e64 v4, 0x2f800000, |v3|
	s_delay_alu instid0(VALU_DEP_1) | instskip(NEXT) | instid1(VALU_DEP_1)
	v_floor_f32_e32 v4, v4
	v_fma_f32 v5, 0xcf800000, v4, |v3|
	v_ashrrev_i32_e32 v3, 31, v3
	v_cvt_u32_f32_e32 v4, v4
	s_delay_alu instid0(VALU_DEP_3) | instskip(NEXT) | instid1(VALU_DEP_2)
	v_cvt_u32_f32_e32 v5, v5
	v_xor_b32_e32 v4, v4, v3
	s_delay_alu instid0(VALU_DEP_2) | instskip(NEXT) | instid1(VALU_DEP_1)
	v_xor_b32_e32 v5, v5, v3
	v_sub_co_u32 v5, vcc_lo, v5, v3
	s_delay_alu instid0(VALU_DEP_3)
	v_sub_co_ci_u32_e32 v6, vcc_lo, v4, v3, vcc_lo
.LBB305_879:
	s_mov_b32 s3, 0
	s_mov_b32 s2, -1
.LBB305_880:
	s_and_not1_b32 vcc_lo, exec_lo, s3
	s_mov_b32 s7, 0
	s_cbranch_vccnz .LBB305_889
; %bb.881:
	v_cmp_lt_i16_e32 vcc_lo, 14, v7
	s_cbranch_vccz .LBB305_884
; %bb.882:
	v_cmp_eq_u16_e32 vcc_lo, 15, v7
	s_cbranch_vccz .LBB305_885
; %bb.883:
	global_load_u16 v3, v[1:2], off
	s_mov_b32 s6, 0
	s_mov_b32 s2, -1
	s_waitcnt vmcnt(0)
	v_lshlrev_b32_e32 v3, 16, v3
	s_delay_alu instid0(VALU_DEP_1) | instskip(NEXT) | instid1(VALU_DEP_1)
	v_trunc_f32_e32 v3, v3
	v_mul_f32_e64 v4, 0x2f800000, |v3|
	s_delay_alu instid0(VALU_DEP_1) | instskip(NEXT) | instid1(VALU_DEP_1)
	v_floor_f32_e32 v4, v4
	v_fma_f32 v5, 0xcf800000, v4, |v3|
	v_ashrrev_i32_e32 v3, 31, v3
	v_cvt_u32_f32_e32 v4, v4
	s_delay_alu instid0(VALU_DEP_3) | instskip(NEXT) | instid1(VALU_DEP_2)
	v_cvt_u32_f32_e32 v5, v5
	v_xor_b32_e32 v4, v4, v3
	s_delay_alu instid0(VALU_DEP_2) | instskip(NEXT) | instid1(VALU_DEP_1)
	v_xor_b32_e32 v5, v5, v3
	v_sub_co_u32 v5, vcc_lo, v5, v3
	s_delay_alu instid0(VALU_DEP_3)
	v_sub_co_ci_u32_e32 v6, vcc_lo, v4, v3, vcc_lo
	s_branch .LBB305_886
.LBB305_884:
	s_mov_b32 s3, -1
                                        ; implicit-def: $vgpr5_vgpr6
	s_branch .LBB305_887
.LBB305_885:
	s_mov_b32 s6, -1
                                        ; implicit-def: $vgpr5_vgpr6
.LBB305_886:
	s_mov_b32 s3, 0
.LBB305_887:
	s_delay_alu instid0(SALU_CYCLE_1)
	s_and_b32 vcc_lo, exec_lo, s3
	s_cbranch_vccz .LBB305_889
; %bb.888:
	v_cmp_ne_u16_e32 vcc_lo, 11, v7
	s_and_not1_b32 s3, s6, exec_lo
	s_mov_b32 s7, -1
                                        ; implicit-def: $vgpr5_vgpr6
	s_and_b32 s6, vcc_lo, exec_lo
	s_delay_alu instid0(SALU_CYCLE_1)
	s_or_b32 s6, s3, s6
.LBB305_889:
	s_mov_b32 s3, 0
.LBB305_890:
	s_and_not1_b32 s12, s26, exec_lo
	s_and_b32 s6, s6, exec_lo
	s_and_b32 s46, s2, exec_lo
	;; [unrolled: 1-line block ×4, first 2 shown]
	s_or_b32 s47, s12, s6
.LBB305_891:
	s_or_b32 exec_lo, exec_lo, s36
	s_delay_alu instid0(SALU_CYCLE_1)
	s_and_not1_b32 s6, s26, exec_lo
	s_and_b32 s7, s47, exec_lo
	s_and_b32 s46, s46, exec_lo
	;; [unrolled: 1-line block ×4, first 2 shown]
	s_or_b32 s26, s6, s7
.LBB305_892:
	s_or_b32 exec_lo, exec_lo, s45
	s_delay_alu instid0(SALU_CYCLE_1)
	s_and_not1_b32 s6, s43, exec_lo
	s_and_b32 s7, s27, exec_lo
	s_and_b32 s45, s46, exec_lo
	s_or_b32 s43, s6, s7
	s_and_not1_b32 s6, s42, exec_lo
	s_and_b32 s7, s26, exec_lo
	s_and_b32 s27, s3, exec_lo
	;; [unrolled: 1-line block ×3, first 2 shown]
	s_or_b32 s42, s6, s7
.LBB305_893:
	s_or_b32 exec_lo, exec_lo, s44
	s_delay_alu instid0(SALU_CYCLE_1)
	s_and_not1_b32 s2, s39, exec_lo
	s_and_b32 s6, s43, exec_lo
	s_and_b32 s7, s42, exec_lo
	s_or_b32 s39, s2, s6
	s_and_not1_b32 s6, s40, exec_lo
	s_and_b32 s2, s45, exec_lo
	s_and_b32 s26, s27, exec_lo
	;; [unrolled: 1-line block ×3, first 2 shown]
	s_or_b32 s40, s6, s7
.LBB305_894:
	s_or_b32 exec_lo, exec_lo, s41
	s_mov_b32 s3, 0
	s_and_saveexec_b32 s6, s40
	s_cbranch_execnz .LBB305_906
; %bb.895:
	s_or_b32 exec_lo, exec_lo, s6
	s_and_saveexec_b32 s6, s42
	s_delay_alu instid0(SALU_CYCLE_1)
	s_xor_b32 s6, exec_lo, s6
	s_cbranch_execz .LBB305_897
.LBB305_896:
	global_load_u8 v3, v[1:2], off
	s_mov_b32 s7, 0
	s_or_b32 s2, s2, exec_lo
	s_waitcnt vmcnt(1)
	v_mov_b32_e32 v6, s7
	s_waitcnt vmcnt(0)
	v_cmp_ne_u16_e32 vcc_lo, 0, v3
	v_cndmask_b32_e64 v5, 0, 1, vcc_lo
.LBB305_897:
	s_or_b32 exec_lo, exec_lo, s6
	s_and_saveexec_b32 s6, s26
	s_cbranch_execz .LBB305_945
; %bb.898:
	v_cmp_gt_i16_e32 vcc_lo, 5, v7
	s_cbranch_vccnz .LBB305_903
; %bb.899:
	v_cmp_gt_i16_e32 vcc_lo, 8, v7
	s_cbranch_vccnz .LBB305_904
	;; [unrolled: 3-line block ×3, first 2 shown]
; %bb.901:
	v_cmp_lt_i16_e32 vcc_lo, 9, v7
	s_cbranch_vccz .LBB305_908
; %bb.902:
	global_load_b64 v[3:4], v[1:2], off
	s_mov_b32 s7, 0
	s_waitcnt vmcnt(0)
	v_trunc_f64_e32 v[3:4], v[3:4]
	s_delay_alu instid0(VALU_DEP_1) | instskip(NEXT) | instid1(VALU_DEP_1)
	v_ldexp_f64 v[5:6], v[3:4], 0xffffffe0
	v_floor_f64_e32 v[5:6], v[5:6]
	s_delay_alu instid0(VALU_DEP_1) | instskip(SKIP_1) | instid1(VALU_DEP_2)
	v_fma_f64 v[3:4], 0xc1f00000, v[5:6], v[3:4]
	v_cvt_i32_f64_e32 v6, v[5:6]
	v_cvt_u32_f64_e32 v5, v[3:4]
	s_branch .LBB305_909
.LBB305_903:
                                        ; implicit-def: $vgpr5_vgpr6
	s_branch .LBB305_926
.LBB305_904:
                                        ; implicit-def: $vgpr5_vgpr6
	s_branch .LBB305_915
.LBB305_905:
	s_mov_b32 s7, -1
                                        ; implicit-def: $vgpr5_vgpr6
	s_branch .LBB305_912
.LBB305_906:
	s_cbranch_execnz .LBB305_1176
; %bb.907:
	s_mov_b32 s3, exec_lo
	s_and_not1_b32 s42, s42, exec_lo
                                        ; implicit-def: $vgpr5_vgpr6
	s_or_b32 exec_lo, exec_lo, s6
	s_and_saveexec_b32 s6, s42
	s_delay_alu instid0(SALU_CYCLE_1)
	s_xor_b32 s6, exec_lo, s6
	s_cbranch_execnz .LBB305_896
	s_branch .LBB305_897
.LBB305_908:
	s_mov_b32 s7, -1
                                        ; implicit-def: $vgpr5_vgpr6
.LBB305_909:
	s_delay_alu instid0(SALU_CYCLE_1)
	s_and_not1_b32 vcc_lo, exec_lo, s7
	s_cbranch_vccnz .LBB305_911
; %bb.910:
	global_load_b32 v3, v[1:2], off
	s_waitcnt vmcnt(0)
	v_trunc_f32_e32 v3, v3
	s_delay_alu instid0(VALU_DEP_1) | instskip(NEXT) | instid1(VALU_DEP_1)
	v_mul_f32_e64 v4, 0x2f800000, |v3|
	v_floor_f32_e32 v4, v4
	s_delay_alu instid0(VALU_DEP_1) | instskip(SKIP_2) | instid1(VALU_DEP_3)
	v_fma_f32 v5, 0xcf800000, v4, |v3|
	v_ashrrev_i32_e32 v3, 31, v3
	v_cvt_u32_f32_e32 v4, v4
	v_cvt_u32_f32_e32 v5, v5
	s_delay_alu instid0(VALU_DEP_2) | instskip(NEXT) | instid1(VALU_DEP_2)
	v_xor_b32_e32 v4, v4, v3
	v_xor_b32_e32 v5, v5, v3
	s_delay_alu instid0(VALU_DEP_1) | instskip(NEXT) | instid1(VALU_DEP_3)
	v_sub_co_u32 v5, vcc_lo, v5, v3
	v_sub_co_ci_u32_e32 v6, vcc_lo, v4, v3, vcc_lo
.LBB305_911:
	s_mov_b32 s7, 0
.LBB305_912:
	s_delay_alu instid0(SALU_CYCLE_1)
	s_and_not1_b32 vcc_lo, exec_lo, s7
	s_cbranch_vccnz .LBB305_914
; %bb.913:
	global_load_b32 v3, v[1:2], off
	s_waitcnt vmcnt(0)
	v_cvt_f32_f16_e32 v3, v3
	s_delay_alu instid0(VALU_DEP_1) | instskip(NEXT) | instid1(VALU_DEP_1)
	v_cvt_i32_f32_e32 v5, v3
	v_ashrrev_i32_e32 v6, 31, v5
.LBB305_914:
	s_cbranch_execnz .LBB305_925
.LBB305_915:
	v_cmp_gt_i16_e32 vcc_lo, 6, v7
	s_cbranch_vccnz .LBB305_918
; %bb.916:
	v_cmp_lt_i16_e32 vcc_lo, 6, v7
	s_cbranch_vccz .LBB305_919
; %bb.917:
	global_load_b64 v[3:4], v[1:2], off
	s_mov_b32 s7, 0
	s_waitcnt vmcnt(0)
	v_trunc_f64_e32 v[3:4], v[3:4]
	s_delay_alu instid0(VALU_DEP_1) | instskip(NEXT) | instid1(VALU_DEP_1)
	v_ldexp_f64 v[5:6], v[3:4], 0xffffffe0
	v_floor_f64_e32 v[5:6], v[5:6]
	s_delay_alu instid0(VALU_DEP_1) | instskip(SKIP_1) | instid1(VALU_DEP_2)
	v_fma_f64 v[3:4], 0xc1f00000, v[5:6], v[3:4]
	v_cvt_i32_f64_e32 v6, v[5:6]
	v_cvt_u32_f64_e32 v5, v[3:4]
	s_branch .LBB305_920
.LBB305_918:
	s_mov_b32 s7, -1
                                        ; implicit-def: $vgpr5_vgpr6
	s_branch .LBB305_923
.LBB305_919:
	s_mov_b32 s7, -1
                                        ; implicit-def: $vgpr5_vgpr6
.LBB305_920:
	s_delay_alu instid0(SALU_CYCLE_1)
	s_and_not1_b32 vcc_lo, exec_lo, s7
	s_cbranch_vccnz .LBB305_922
; %bb.921:
	global_load_b32 v3, v[1:2], off
	s_waitcnt vmcnt(0)
	v_trunc_f32_e32 v3, v3
	s_delay_alu instid0(VALU_DEP_1) | instskip(NEXT) | instid1(VALU_DEP_1)
	v_mul_f32_e64 v4, 0x2f800000, |v3|
	v_floor_f32_e32 v4, v4
	s_delay_alu instid0(VALU_DEP_1) | instskip(SKIP_2) | instid1(VALU_DEP_3)
	v_fma_f32 v5, 0xcf800000, v4, |v3|
	v_ashrrev_i32_e32 v3, 31, v3
	v_cvt_u32_f32_e32 v4, v4
	v_cvt_u32_f32_e32 v5, v5
	s_delay_alu instid0(VALU_DEP_2) | instskip(NEXT) | instid1(VALU_DEP_2)
	v_xor_b32_e32 v4, v4, v3
	v_xor_b32_e32 v5, v5, v3
	s_delay_alu instid0(VALU_DEP_1) | instskip(NEXT) | instid1(VALU_DEP_3)
	v_sub_co_u32 v5, vcc_lo, v5, v3
	v_sub_co_ci_u32_e32 v6, vcc_lo, v4, v3, vcc_lo
.LBB305_922:
	s_mov_b32 s7, 0
.LBB305_923:
	s_delay_alu instid0(SALU_CYCLE_1)
	s_and_not1_b32 vcc_lo, exec_lo, s7
	s_cbranch_vccnz .LBB305_925
; %bb.924:
	global_load_u16 v3, v[1:2], off
	s_waitcnt vmcnt(0)
	v_cvt_f32_f16_e32 v3, v3
	s_delay_alu instid0(VALU_DEP_1) | instskip(NEXT) | instid1(VALU_DEP_1)
	v_cvt_i32_f32_e32 v5, v3
	v_ashrrev_i32_e32 v6, 31, v5
.LBB305_925:
	s_cbranch_execnz .LBB305_944
.LBB305_926:
	v_cmp_gt_i16_e32 vcc_lo, 2, v7
	s_cbranch_vccnz .LBB305_930
; %bb.927:
	v_cmp_gt_i16_e32 vcc_lo, 3, v7
	s_cbranch_vccnz .LBB305_931
; %bb.928:
	v_cmp_lt_i16_e32 vcc_lo, 3, v7
	s_cbranch_vccz .LBB305_932
; %bb.929:
	global_load_b64 v[5:6], v[1:2], off
	s_mov_b32 s7, 0
	s_branch .LBB305_933
.LBB305_930:
                                        ; implicit-def: $vgpr5_vgpr6
	s_branch .LBB305_939
.LBB305_931:
	s_mov_b32 s7, -1
                                        ; implicit-def: $vgpr5_vgpr6
	s_branch .LBB305_936
.LBB305_932:
	s_mov_b32 s7, -1
                                        ; implicit-def: $vgpr5_vgpr6
.LBB305_933:
	s_delay_alu instid0(SALU_CYCLE_1)
	s_and_not1_b32 vcc_lo, exec_lo, s7
	s_cbranch_vccnz .LBB305_935
; %bb.934:
	global_load_b32 v5, v[1:2], off
	s_waitcnt vmcnt(0)
	v_ashrrev_i32_e32 v6, 31, v5
.LBB305_935:
	s_mov_b32 s7, 0
.LBB305_936:
	s_delay_alu instid0(SALU_CYCLE_1)
	s_and_not1_b32 vcc_lo, exec_lo, s7
	s_cbranch_vccnz .LBB305_938
; %bb.937:
	global_load_u16 v3, v[1:2], off
	s_waitcnt vmcnt(0)
	v_bfe_i32 v5, v3, 0, 16
	s_delay_alu instid0(VALU_DEP_1)
	v_ashrrev_i32_e32 v6, 31, v5
.LBB305_938:
	s_cbranch_execnz .LBB305_944
.LBB305_939:
	v_cmp_lt_i16_e32 vcc_lo, 0, v7
	s_mov_b32 s7, 0
	s_cbranch_vccz .LBB305_941
; %bb.940:
	global_load_i8 v3, v[1:2], off
	s_waitcnt vmcnt(0)
	v_bfe_i32 v5, v3, 0, 16
	s_delay_alu instid0(VALU_DEP_1)
	v_ashrrev_i32_e32 v6, 31, v5
	s_branch .LBB305_942
.LBB305_941:
	s_mov_b32 s7, -1
                                        ; implicit-def: $vgpr5_vgpr6
.LBB305_942:
	s_delay_alu instid0(SALU_CYCLE_1)
	s_and_not1_b32 vcc_lo, exec_lo, s7
	s_cbranch_vccnz .LBB305_944
; %bb.943:
	global_load_u8 v1, v[1:2], off
	s_mov_b32 s7, 0
	s_waitcnt vmcnt(0)
	v_dual_mov_b32 v6, s7 :: v_dual_and_b32 v5, 0xffff, v1
.LBB305_944:
	s_or_b32 s2, s2, exec_lo
.LBB305_945:
	s_or_b32 exec_lo, exec_lo, s6
	s_mov_b32 s12, 0
	s_mov_b32 s7, 0
                                        ; implicit-def: $vgpr7
                                        ; implicit-def: $vgpr1_vgpr2
                                        ; implicit-def: $vgpr3_vgpr4
	s_and_saveexec_b32 s6, s2
	s_cbranch_execz .LBB305_1022
; %bb.946:
	s_waitcnt vmcnt(0)
	s_delay_alu instid0(VALU_DEP_1) | instskip(SKIP_2) | instid1(VALU_DEP_1)
	v_cmp_lt_i64_e32 vcc_lo, s[8:9], v[5:6]
	v_and_b32_e64 v7, 0xff, s34
	v_add_co_u32 v1, s4, s4, v0
	v_add_co_ci_u32_e64 v2, null, s5, 0, s4
	v_cndmask_b32_e32 v4, s9, v6, vcc_lo
	v_cndmask_b32_e32 v3, s8, v5, vcc_lo
	v_cmp_gt_i16_e32 vcc_lo, 11, v7
	s_mov_b32 s8, 0
	s_mov_b32 s4, -1
	s_delay_alu instid0(VALU_DEP_2) | instskip(NEXT) | instid1(VALU_DEP_1)
	v_cmp_gt_i64_e64 s2, s[10:11], v[3:4]
	v_cndmask_b32_e64 v4, s11, v4, s2
	v_cndmask_b32_e64 v3, s10, v3, s2
	s_mov_b32 s2, s39
	s_cbranch_vccnz .LBB305_1021
; %bb.947:
	v_cmp_lt_i16_e32 vcc_lo, 25, v7
	s_mov_b32 s2, s39
	s_cbranch_vccz .LBB305_980
; %bb.948:
	v_cmp_lt_i16_e32 vcc_lo, 28, v7
	s_mov_b32 s2, s39
	s_cbranch_vccz .LBB305_964
	;; [unrolled: 4-line block ×4, first 2 shown]
; %bb.951:
	v_cmp_eq_u16_e32 vcc_lo, 46, v7
	s_mov_b32 s2, -1
	s_cbranch_vccz .LBB305_953
; %bb.952:
	v_xor_b32_e32 v0, v3, v4
	v_cls_i32_e32 v5, v4
	s_mov_b32 s2, 0
	s_delay_alu instid0(VALU_DEP_2) | instskip(NEXT) | instid1(VALU_DEP_2)
	v_ashrrev_i32_e32 v0, 31, v0
	v_add_nc_u32_e32 v5, -1, v5
	s_delay_alu instid0(VALU_DEP_2) | instskip(NEXT) | instid1(VALU_DEP_1)
	v_add_nc_u32_e32 v0, 32, v0
	v_min_u32_e32 v0, v5, v0
	s_delay_alu instid0(VALU_DEP_1) | instskip(SKIP_1) | instid1(VALU_DEP_2)
	v_lshlrev_b64 v[5:6], v0, v[3:4]
	v_sub_nc_u32_e32 v0, 32, v0
	v_min_u32_e32 v5, 1, v5
	s_delay_alu instid0(VALU_DEP_1) | instskip(NEXT) | instid1(VALU_DEP_1)
	v_or_b32_e32 v5, v6, v5
	v_cvt_f32_i32_e32 v5, v5
	s_delay_alu instid0(VALU_DEP_1) | instskip(NEXT) | instid1(VALU_DEP_1)
	v_ldexp_f32 v0, v5, v0
	v_bfe_u32 v5, v0, 16, 1
	s_delay_alu instid0(VALU_DEP_1) | instskip(NEXT) | instid1(VALU_DEP_1)
	v_add3_u32 v0, v0, v5, 0x7fff
	v_lshrrev_b32_e32 v0, 16, v0
	global_store_b32 v[1:2], v0, off
.LBB305_953:
	s_mov_b32 s4, 0
.LBB305_954:
	s_delay_alu instid0(SALU_CYCLE_1)
	s_and_b32 vcc_lo, exec_lo, s4
	s_cbranch_vccz .LBB305_959
; %bb.955:
	v_cmp_eq_u16_e32 vcc_lo, 44, v7
	s_mov_b32 s2, -1
	s_cbranch_vccz .LBB305_959
; %bb.956:
	v_xor_b32_e32 v0, v3, v4
	v_cls_i32_e32 v5, v4
	s_mov_b32 s4, exec_lo
	s_delay_alu instid0(VALU_DEP_2) | instskip(NEXT) | instid1(VALU_DEP_2)
	v_ashrrev_i32_e32 v0, 31, v0
	v_add_nc_u32_e32 v5, -1, v5
	s_delay_alu instid0(VALU_DEP_2) | instskip(NEXT) | instid1(VALU_DEP_1)
	v_add_nc_u32_e32 v0, 32, v0
	v_min_u32_e32 v0, v5, v0
	s_delay_alu instid0(VALU_DEP_1) | instskip(SKIP_1) | instid1(VALU_DEP_2)
	v_lshlrev_b64 v[5:6], v0, v[3:4]
	v_sub_nc_u32_e32 v0, 32, v0
	v_min_u32_e32 v5, 1, v5
	s_delay_alu instid0(VALU_DEP_1) | instskip(NEXT) | instid1(VALU_DEP_1)
	v_or_b32_e32 v5, v6, v5
	v_cvt_f32_i32_e32 v5, v5
	s_delay_alu instid0(VALU_DEP_1) | instskip(SKIP_1) | instid1(VALU_DEP_2)
	v_ldexp_f32 v0, v5, v0
	v_mov_b32_e32 v5, 0xff
	v_bfe_u32 v6, v0, 23, 8
	s_delay_alu instid0(VALU_DEP_1)
	v_cmpx_ne_u32_e32 0xff, v6
; %bb.957:
	v_and_b32_e32 v5, 0x400000, v0
	v_and_or_b32 v6, 0x3fffff, v0, v6
	v_lshrrev_b32_e32 v0, 23, v0
	s_delay_alu instid0(VALU_DEP_3) | instskip(NEXT) | instid1(VALU_DEP_3)
	v_cmp_ne_u32_e32 vcc_lo, 0, v5
	v_cmp_ne_u32_e64 s2, 0, v6
	s_delay_alu instid0(VALU_DEP_1) | instskip(NEXT) | instid1(SALU_CYCLE_1)
	s_and_b32 s2, vcc_lo, s2
	v_cndmask_b32_e64 v5, 0, 1, s2
	s_delay_alu instid0(VALU_DEP_1)
	v_add_nc_u32_e32 v5, v0, v5
; %bb.958:
	s_or_b32 exec_lo, exec_lo, s4
	s_mov_b32 s2, 0
	global_store_b8 v[1:2], v5, off
.LBB305_959:
	s_mov_b32 s4, 0
.LBB305_960:
	s_delay_alu instid0(SALU_CYCLE_1)
	s_and_b32 vcc_lo, exec_lo, s4
	s_cbranch_vccz .LBB305_963
; %bb.961:
	v_cmp_eq_u16_e32 vcc_lo, 29, v7
	s_mov_b32 s2, -1
	s_cbranch_vccz .LBB305_963
; %bb.962:
	s_mov_b32 s2, 0
	global_store_b64 v[1:2], v[3:4], off
.LBB305_963:
	s_mov_b32 s4, 0
.LBB305_964:
	s_delay_alu instid0(SALU_CYCLE_1)
	s_and_b32 vcc_lo, exec_lo, s4
	s_cbranch_vccz .LBB305_979
; %bb.965:
	v_cmp_gt_i16_e32 vcc_lo, 27, v7
	s_mov_b32 s4, -1
	s_cbranch_vccnz .LBB305_971
; %bb.966:
	v_cmp_lt_i16_e32 vcc_lo, 27, v7
	s_cbranch_vccz .LBB305_968
; %bb.967:
	s_mov_b32 s4, 0
	global_store_b32 v[1:2], v3, off
.LBB305_968:
	s_and_not1_b32 vcc_lo, exec_lo, s4
	s_cbranch_vccnz .LBB305_970
; %bb.969:
	global_store_b16 v[1:2], v3, off
.LBB305_970:
	s_mov_b32 s4, 0
.LBB305_971:
	s_delay_alu instid0(SALU_CYCLE_1)
	s_and_not1_b32 vcc_lo, exec_lo, s4
	s_cbranch_vccnz .LBB305_979
; %bb.972:
	v_xor_b32_e32 v0, v3, v4
	v_cls_i32_e32 v5, v4
	s_mov_b32 s4, exec_lo
	s_delay_alu instid0(VALU_DEP_2) | instskip(NEXT) | instid1(VALU_DEP_2)
	v_ashrrev_i32_e32 v0, 31, v0
	v_add_nc_u32_e32 v5, -1, v5
	s_delay_alu instid0(VALU_DEP_2) | instskip(NEXT) | instid1(VALU_DEP_1)
	v_add_nc_u32_e32 v0, 32, v0
	v_min_u32_e32 v0, v5, v0
	s_delay_alu instid0(VALU_DEP_1) | instskip(SKIP_1) | instid1(VALU_DEP_2)
	v_lshlrev_b64 v[5:6], v0, v[3:4]
	v_sub_nc_u32_e32 v0, 32, v0
	v_min_u32_e32 v5, 1, v5
	s_delay_alu instid0(VALU_DEP_1) | instskip(SKIP_1) | instid1(VALU_DEP_2)
	v_or_b32_e32 v5, v6, v5
	v_mov_b32_e32 v6, 0x80
	v_cvt_f32_i32_e32 v5, v5
	s_delay_alu instid0(VALU_DEP_1) | instskip(NEXT) | instid1(VALU_DEP_1)
	v_ldexp_f32 v0, v5, v0
	v_and_b32_e32 v5, 0x7fffffff, v0
	s_delay_alu instid0(VALU_DEP_1)
	v_cmpx_gt_u32_e32 0x43800000, v5
	s_cbranch_execz .LBB305_978
; %bb.973:
	v_cmp_lt_u32_e32 vcc_lo, 0x3bffffff, v5
	s_mov_b32 s5, 0
                                        ; implicit-def: $vgpr5
	s_and_saveexec_b32 s7, vcc_lo
	s_delay_alu instid0(SALU_CYCLE_1)
	s_xor_b32 s7, exec_lo, s7
	s_cbranch_execz .LBB305_1262
; %bb.974:
	v_bfe_u32 v5, v0, 20, 1
	s_mov_b32 s5, exec_lo
	s_delay_alu instid0(VALU_DEP_1) | instskip(NEXT) | instid1(VALU_DEP_1)
	v_add3_u32 v5, v0, v5, 0x487ffff
	v_lshrrev_b32_e32 v5, 20, v5
	s_or_saveexec_b32 s7, s7
                                        ; implicit-def: $sgpr8
	s_delay_alu instid0(SALU_CYCLE_1)
	s_xor_b32 exec_lo, exec_lo, s7
	s_cbranch_execnz .LBB305_1263
.LBB305_975:
	s_or_b32 exec_lo, exec_lo, s7
	v_mov_b32_e32 v6, s8
	s_and_saveexec_b32 s7, s5
.LBB305_976:
	v_lshrrev_b32_e32 v0, 24, v0
	s_delay_alu instid0(VALU_DEP_1)
	v_and_or_b32 v6, 0x80, v0, v5
.LBB305_977:
	s_or_b32 exec_lo, exec_lo, s7
.LBB305_978:
	s_delay_alu instid0(SALU_CYCLE_1)
	s_or_b32 exec_lo, exec_lo, s4
	global_store_b8 v[1:2], v6, off
.LBB305_979:
	s_mov_b32 s4, 0
.LBB305_980:
	s_delay_alu instid0(SALU_CYCLE_1)
	s_and_b32 vcc_lo, exec_lo, s4
	s_mov_b32 s4, 0
	s_cbranch_vccz .LBB305_1020
; %bb.981:
	v_cmp_lt_i16_e32 vcc_lo, 22, v7
	s_mov_b32 s5, -1
	s_cbranch_vccz .LBB305_1013
; %bb.982:
	v_cmp_gt_i16_e32 vcc_lo, 24, v7
	s_cbranch_vccnz .LBB305_1002
; %bb.983:
	v_cmp_lt_i16_e32 vcc_lo, 24, v7
	s_cbranch_vccz .LBB305_991
; %bb.984:
	v_xor_b32_e32 v0, v3, v4
	v_cls_i32_e32 v5, v4
	s_mov_b32 s5, exec_lo
	s_delay_alu instid0(VALU_DEP_2) | instskip(NEXT) | instid1(VALU_DEP_2)
	v_ashrrev_i32_e32 v0, 31, v0
	v_add_nc_u32_e32 v5, -1, v5
	s_delay_alu instid0(VALU_DEP_2) | instskip(NEXT) | instid1(VALU_DEP_1)
	v_add_nc_u32_e32 v0, 32, v0
	v_min_u32_e32 v0, v5, v0
	s_delay_alu instid0(VALU_DEP_1) | instskip(SKIP_1) | instid1(VALU_DEP_2)
	v_lshlrev_b64 v[5:6], v0, v[3:4]
	v_sub_nc_u32_e32 v0, 32, v0
	v_min_u32_e32 v5, 1, v5
	s_delay_alu instid0(VALU_DEP_1) | instskip(SKIP_1) | instid1(VALU_DEP_2)
	v_or_b32_e32 v5, v6, v5
	v_mov_b32_e32 v6, 0x80
	v_cvt_f32_i32_e32 v5, v5
	s_delay_alu instid0(VALU_DEP_1) | instskip(NEXT) | instid1(VALU_DEP_1)
	v_ldexp_f32 v0, v5, v0
	v_and_b32_e32 v5, 0x7fffffff, v0
	s_delay_alu instid0(VALU_DEP_1)
	v_cmpx_gt_u32_e32 0x47800000, v5
	s_cbranch_execz .LBB305_990
; %bb.985:
	v_cmp_lt_u32_e32 vcc_lo, 0x37ffffff, v5
	s_mov_b32 s7, 0
                                        ; implicit-def: $vgpr5
	s_and_saveexec_b32 s8, vcc_lo
	s_delay_alu instid0(SALU_CYCLE_1)
	s_xor_b32 s8, exec_lo, s8
	s_cbranch_execz .LBB305_1306
; %bb.986:
	v_bfe_u32 v5, v0, 21, 1
	s_mov_b32 s7, exec_lo
	s_delay_alu instid0(VALU_DEP_1) | instskip(NEXT) | instid1(VALU_DEP_1)
	v_add3_u32 v5, v0, v5, 0x88fffff
	v_lshrrev_b32_e32 v5, 21, v5
	s_or_saveexec_b32 s8, s8
                                        ; implicit-def: $sgpr9
	s_delay_alu instid0(SALU_CYCLE_1)
	s_xor_b32 exec_lo, exec_lo, s8
	s_cbranch_execnz .LBB305_1307
.LBB305_987:
	s_or_b32 exec_lo, exec_lo, s8
	v_mov_b32_e32 v6, s9
	s_and_saveexec_b32 s8, s7
.LBB305_988:
	v_lshrrev_b32_e32 v0, 24, v0
	s_delay_alu instid0(VALU_DEP_1)
	v_and_or_b32 v6, 0x80, v0, v5
.LBB305_989:
	s_or_b32 exec_lo, exec_lo, s8
.LBB305_990:
	s_delay_alu instid0(SALU_CYCLE_1)
	s_or_b32 exec_lo, exec_lo, s5
	s_mov_b32 s5, 0
	global_store_b8 v[1:2], v6, off
.LBB305_991:
	s_and_b32 vcc_lo, exec_lo, s5
	s_cbranch_vccz .LBB305_1001
; %bb.992:
	v_xor_b32_e32 v0, v3, v4
	v_cls_i32_e32 v5, v4
	s_mov_b32 s5, exec_lo
	s_delay_alu instid0(VALU_DEP_2) | instskip(NEXT) | instid1(VALU_DEP_2)
	v_ashrrev_i32_e32 v0, 31, v0
	v_add_nc_u32_e32 v5, -1, v5
	s_delay_alu instid0(VALU_DEP_2) | instskip(NEXT) | instid1(VALU_DEP_1)
	v_add_nc_u32_e32 v0, 32, v0
	v_min_u32_e32 v0, v5, v0
	s_delay_alu instid0(VALU_DEP_1) | instskip(SKIP_1) | instid1(VALU_DEP_2)
	v_lshlrev_b64 v[5:6], v0, v[3:4]
	v_sub_nc_u32_e32 v0, 32, v0
	v_min_u32_e32 v5, 1, v5
	s_delay_alu instid0(VALU_DEP_1) | instskip(NEXT) | instid1(VALU_DEP_1)
	v_or_b32_e32 v5, v6, v5
	v_cvt_f32_i32_e32 v5, v5
	s_delay_alu instid0(VALU_DEP_1) | instskip(NEXT) | instid1(VALU_DEP_1)
	v_ldexp_f32 v0, v5, v0
                                        ; implicit-def: $vgpr5
	v_and_b32_e32 v6, 0x7fffffff, v0
	s_delay_alu instid0(VALU_DEP_1)
	v_cmpx_gt_u32_e32 0x43f00000, v6
	s_xor_b32 s5, exec_lo, s5
	s_cbranch_execz .LBB305_998
; %bb.993:
	s_mov_b32 s7, exec_lo
                                        ; implicit-def: $vgpr5
	v_cmpx_lt_u32_e32 0x3c7fffff, v6
	s_xor_b32 s7, exec_lo, s7
; %bb.994:
	v_bfe_u32 v5, v0, 20, 1
	s_delay_alu instid0(VALU_DEP_1) | instskip(NEXT) | instid1(VALU_DEP_1)
	v_add3_u32 v5, v0, v5, 0x407ffff
	v_and_b32_e32 v6, 0xff00000, v5
	v_lshrrev_b32_e32 v5, 20, v5
	s_delay_alu instid0(VALU_DEP_2) | instskip(NEXT) | instid1(VALU_DEP_2)
	v_cmp_ne_u32_e32 vcc_lo, 0x7f00000, v6
	v_cndmask_b32_e32 v5, 0x7e, v5, vcc_lo
; %bb.995:
	s_and_not1_saveexec_b32 s7, s7
; %bb.996:
	v_add_f32_e64 v5, 0x46800000, |v0|
; %bb.997:
	s_or_b32 exec_lo, exec_lo, s7
                                        ; implicit-def: $vgpr6
.LBB305_998:
	s_and_not1_saveexec_b32 s5, s5
; %bb.999:
	v_mov_b32_e32 v5, 0x7f
	v_cmp_lt_u32_e32 vcc_lo, 0x7f800000, v6
	s_delay_alu instid0(VALU_DEP_2)
	v_cndmask_b32_e32 v5, 0x7e, v5, vcc_lo
; %bb.1000:
	s_or_b32 exec_lo, exec_lo, s5
	v_lshrrev_b32_e32 v0, 24, v0
	s_delay_alu instid0(VALU_DEP_1)
	v_and_or_b32 v0, 0x80, v0, v5
	global_store_b8 v[1:2], v0, off
.LBB305_1001:
	s_mov_b32 s5, 0
.LBB305_1002:
	s_delay_alu instid0(SALU_CYCLE_1)
	s_and_not1_b32 vcc_lo, exec_lo, s5
	s_cbranch_vccnz .LBB305_1012
; %bb.1003:
	v_xor_b32_e32 v0, v3, v4
	v_cls_i32_e32 v5, v4
	s_mov_b32 s5, exec_lo
	s_delay_alu instid0(VALU_DEP_2) | instskip(NEXT) | instid1(VALU_DEP_2)
	v_ashrrev_i32_e32 v0, 31, v0
	v_add_nc_u32_e32 v5, -1, v5
	s_delay_alu instid0(VALU_DEP_2) | instskip(NEXT) | instid1(VALU_DEP_1)
	v_add_nc_u32_e32 v0, 32, v0
	v_min_u32_e32 v0, v5, v0
	s_delay_alu instid0(VALU_DEP_1) | instskip(SKIP_1) | instid1(VALU_DEP_2)
	v_lshlrev_b64 v[5:6], v0, v[3:4]
	v_sub_nc_u32_e32 v0, 32, v0
	v_min_u32_e32 v5, 1, v5
	s_delay_alu instid0(VALU_DEP_1) | instskip(NEXT) | instid1(VALU_DEP_1)
	v_or_b32_e32 v5, v6, v5
	v_cvt_f32_i32_e32 v5, v5
	s_delay_alu instid0(VALU_DEP_1) | instskip(NEXT) | instid1(VALU_DEP_1)
	v_ldexp_f32 v0, v5, v0
                                        ; implicit-def: $vgpr5
	v_and_b32_e32 v6, 0x7fffffff, v0
	s_delay_alu instid0(VALU_DEP_1)
	v_cmpx_gt_u32_e32 0x47800000, v6
	s_xor_b32 s5, exec_lo, s5
	s_cbranch_execz .LBB305_1009
; %bb.1004:
	s_mov_b32 s7, exec_lo
                                        ; implicit-def: $vgpr5
	v_cmpx_lt_u32_e32 0x387fffff, v6
	s_xor_b32 s7, exec_lo, s7
; %bb.1005:
	v_bfe_u32 v5, v0, 21, 1
	s_delay_alu instid0(VALU_DEP_1) | instskip(NEXT) | instid1(VALU_DEP_1)
	v_add3_u32 v5, v0, v5, 0x80fffff
	v_lshrrev_b32_e32 v5, 21, v5
; %bb.1006:
	s_and_not1_saveexec_b32 s7, s7
; %bb.1007:
	v_add_f32_e64 v5, 0x43000000, |v0|
; %bb.1008:
	s_or_b32 exec_lo, exec_lo, s7
                                        ; implicit-def: $vgpr6
.LBB305_1009:
	s_and_not1_saveexec_b32 s5, s5
; %bb.1010:
	v_mov_b32_e32 v5, 0x7f
	v_cmp_lt_u32_e32 vcc_lo, 0x7f800000, v6
	s_delay_alu instid0(VALU_DEP_2)
	v_cndmask_b32_e32 v5, 0x7c, v5, vcc_lo
; %bb.1011:
	s_or_b32 exec_lo, exec_lo, s5
	v_lshrrev_b32_e32 v0, 24, v0
	s_delay_alu instid0(VALU_DEP_1)
	v_and_or_b32 v0, 0x80, v0, v5
	global_store_b8 v[1:2], v0, off
.LBB305_1012:
	s_mov_b32 s5, 0
.LBB305_1013:
	s_delay_alu instid0(SALU_CYCLE_1)
	s_and_not1_b32 vcc_lo, exec_lo, s5
	s_mov_b32 s8, 0
	s_cbranch_vccnz .LBB305_1021
; %bb.1014:
	v_cmp_lt_i16_e32 vcc_lo, 14, v7
	s_mov_b32 s5, -1
	s_cbranch_vccz .LBB305_1018
; %bb.1015:
	v_cmp_eq_u16_e32 vcc_lo, 15, v7
	s_mov_b32 s2, -1
	s_cbranch_vccz .LBB305_1017
; %bb.1016:
	v_xor_b32_e32 v0, v3, v4
	v_cls_i32_e32 v5, v4
	s_mov_b32 s2, 0
	s_delay_alu instid0(VALU_DEP_2) | instskip(NEXT) | instid1(VALU_DEP_2)
	v_ashrrev_i32_e32 v0, 31, v0
	v_add_nc_u32_e32 v5, -1, v5
	s_delay_alu instid0(VALU_DEP_2) | instskip(NEXT) | instid1(VALU_DEP_1)
	v_add_nc_u32_e32 v0, 32, v0
	v_min_u32_e32 v0, v5, v0
	s_delay_alu instid0(VALU_DEP_1) | instskip(SKIP_1) | instid1(VALU_DEP_2)
	v_lshlrev_b64 v[5:6], v0, v[3:4]
	v_sub_nc_u32_e32 v0, 32, v0
	v_min_u32_e32 v5, 1, v5
	s_delay_alu instid0(VALU_DEP_1) | instskip(NEXT) | instid1(VALU_DEP_1)
	v_or_b32_e32 v5, v6, v5
	v_cvt_f32_i32_e32 v5, v5
	s_delay_alu instid0(VALU_DEP_1) | instskip(NEXT) | instid1(VALU_DEP_1)
	v_ldexp_f32 v0, v5, v0
	v_bfe_u32 v5, v0, 16, 1
	s_delay_alu instid0(VALU_DEP_1)
	v_add3_u32 v0, v0, v5, 0x7fff
	global_store_d16_hi_b16 v[1:2], v0, off
.LBB305_1017:
	s_mov_b32 s5, 0
.LBB305_1018:
	s_delay_alu instid0(SALU_CYCLE_1)
	s_and_b32 vcc_lo, exec_lo, s5
	s_cbranch_vccz .LBB305_1021
; %bb.1019:
	v_cmp_ne_u16_e32 vcc_lo, 11, v7
	s_and_not1_b32 s2, s2, exec_lo
	s_mov_b32 s8, -1
	s_and_b32 s5, vcc_lo, exec_lo
	s_delay_alu instid0(SALU_CYCLE_1)
	s_or_b32 s2, s2, s5
	s_branch .LBB305_1021
.LBB305_1020:
	s_mov_b32 s8, 0
.LBB305_1021:
	s_and_b32 s7, s4, exec_lo
	s_and_not1_b32 s4, s39, exec_lo
	s_and_b32 s2, s2, exec_lo
	s_and_b32 s12, s8, exec_lo
	s_or_b32 s39, s4, s2
.LBB305_1022:
	s_or_b32 exec_lo, exec_lo, s6
	s_and_saveexec_b32 s2, s39
	s_cbranch_execnz .LBB305_1136
; %bb.1023:
	s_or_b32 exec_lo, exec_lo, s2
	s_and_saveexec_b32 s2, s12
	s_delay_alu instid0(SALU_CYCLE_1)
	s_xor_b32 s2, exec_lo, s2
	s_cbranch_execz .LBB305_1025
.LBB305_1024:
	s_waitcnt vmcnt(0)
	v_cmp_ne_u64_e32 vcc_lo, 0, v[3:4]
	v_cndmask_b32_e64 v0, 0, 1, vcc_lo
	global_store_b8 v[1:2], v0, off
.LBB305_1025:
	s_or_b32 exec_lo, exec_lo, s2
	s_and_saveexec_b32 s2, s7
	s_delay_alu instid0(SALU_CYCLE_1)
	s_xor_b32 s2, exec_lo, s2
	s_cbranch_execz .LBB305_1063
; %bb.1026:
	v_cmp_gt_i16_e32 vcc_lo, 5, v7
	s_mov_b32 s4, -1
	s_cbranch_vccnz .LBB305_1047
; %bb.1027:
	v_cmp_gt_i16_e32 vcc_lo, 8, v7
	s_cbranch_vccnz .LBB305_1037
; %bb.1028:
	v_cmp_gt_i16_e32 vcc_lo, 9, v7
	s_cbranch_vccnz .LBB305_1034
; %bb.1029:
	v_cmp_lt_i16_e32 vcc_lo, 9, v7
	s_cbranch_vccz .LBB305_1031
; %bb.1030:
	s_waitcnt vmcnt(0)
	v_cvt_f64_i32_e32 v[5:6], v4
	v_cvt_f64_u32_e32 v[8:9], v3
	v_mov_b32_e32 v10, 0
	s_mov_b32 s4, 0
	s_delay_alu instid0(VALU_DEP_1) | instskip(NEXT) | instid1(VALU_DEP_4)
	v_mov_b32_e32 v11, v10
	v_ldexp_f64 v[5:6], v[5:6], 32
	s_delay_alu instid0(VALU_DEP_1)
	v_add_f64 v[8:9], v[5:6], v[8:9]
	global_store_b128 v[1:2], v[8:11], off
.LBB305_1031:
	s_and_not1_b32 vcc_lo, exec_lo, s4
	s_cbranch_vccnz .LBB305_1033
; %bb.1032:
	s_waitcnt vmcnt(0)
	v_xor_b32_e32 v0, v3, v4
	v_cls_i32_e32 v5, v4
	s_delay_alu instid0(VALU_DEP_2) | instskip(NEXT) | instid1(VALU_DEP_2)
	v_ashrrev_i32_e32 v0, 31, v0
	v_add_nc_u32_e32 v5, -1, v5
	s_delay_alu instid0(VALU_DEP_2) | instskip(NEXT) | instid1(VALU_DEP_1)
	v_add_nc_u32_e32 v0, 32, v0
	v_min_u32_e32 v0, v5, v0
	s_delay_alu instid0(VALU_DEP_1) | instskip(SKIP_1) | instid1(VALU_DEP_2)
	v_lshlrev_b64 v[5:6], v0, v[3:4]
	v_sub_nc_u32_e32 v0, 32, v0
	v_min_u32_e32 v5, 1, v5
	s_delay_alu instid0(VALU_DEP_1) | instskip(SKIP_1) | instid1(VALU_DEP_2)
	v_or_b32_e32 v5, v6, v5
	v_mov_b32_e32 v6, 0
	v_cvt_f32_i32_e32 v5, v5
	s_delay_alu instid0(VALU_DEP_1)
	v_ldexp_f32 v5, v5, v0
	global_store_b64 v[1:2], v[5:6], off
.LBB305_1033:
	s_mov_b32 s4, 0
.LBB305_1034:
	s_delay_alu instid0(SALU_CYCLE_1)
	s_and_not1_b32 vcc_lo, exec_lo, s4
	s_cbranch_vccnz .LBB305_1036
; %bb.1035:
	s_waitcnt vmcnt(0)
	v_xor_b32_e32 v0, v3, v4
	v_cls_i32_e32 v5, v4
	s_delay_alu instid0(VALU_DEP_2) | instskip(NEXT) | instid1(VALU_DEP_2)
	v_ashrrev_i32_e32 v0, 31, v0
	v_add_nc_u32_e32 v5, -1, v5
	s_delay_alu instid0(VALU_DEP_2) | instskip(NEXT) | instid1(VALU_DEP_1)
	v_add_nc_u32_e32 v0, 32, v0
	v_min_u32_e32 v0, v5, v0
	s_delay_alu instid0(VALU_DEP_1) | instskip(SKIP_1) | instid1(VALU_DEP_2)
	v_lshlrev_b64 v[5:6], v0, v[3:4]
	v_sub_nc_u32_e32 v0, 32, v0
	v_min_u32_e32 v5, 1, v5
	s_delay_alu instid0(VALU_DEP_1) | instskip(NEXT) | instid1(VALU_DEP_1)
	v_or_b32_e32 v5, v6, v5
	v_cvt_f32_i32_e32 v5, v5
	s_delay_alu instid0(VALU_DEP_1) | instskip(NEXT) | instid1(VALU_DEP_1)
	v_ldexp_f32 v0, v5, v0
	v_cvt_f16_f32_e32 v0, v0
	s_delay_alu instid0(VALU_DEP_1)
	v_and_b32_e32 v0, 0xffff, v0
	global_store_b32 v[1:2], v0, off
.LBB305_1036:
	s_mov_b32 s4, 0
.LBB305_1037:
	s_delay_alu instid0(SALU_CYCLE_1)
	s_and_not1_b32 vcc_lo, exec_lo, s4
	s_cbranch_vccnz .LBB305_1046
; %bb.1038:
	v_cmp_gt_i16_e32 vcc_lo, 6, v7
	s_mov_b32 s4, -1
	s_cbranch_vccnz .LBB305_1044
; %bb.1039:
	v_cmp_lt_i16_e32 vcc_lo, 6, v7
	s_cbranch_vccz .LBB305_1041
; %bb.1040:
	s_waitcnt vmcnt(0)
	v_cvt_f64_i32_e32 v[5:6], v4
	v_cvt_f64_u32_e32 v[8:9], v3
	s_mov_b32 s4, 0
	s_delay_alu instid0(VALU_DEP_2) | instskip(NEXT) | instid1(VALU_DEP_1)
	v_ldexp_f64 v[5:6], v[5:6], 32
	v_add_f64 v[5:6], v[5:6], v[8:9]
	global_store_b64 v[1:2], v[5:6], off
.LBB305_1041:
	s_and_not1_b32 vcc_lo, exec_lo, s4
	s_cbranch_vccnz .LBB305_1043
; %bb.1042:
	s_waitcnt vmcnt(0)
	v_xor_b32_e32 v0, v3, v4
	v_cls_i32_e32 v5, v4
	s_delay_alu instid0(VALU_DEP_2) | instskip(NEXT) | instid1(VALU_DEP_2)
	v_ashrrev_i32_e32 v0, 31, v0
	v_add_nc_u32_e32 v5, -1, v5
	s_delay_alu instid0(VALU_DEP_2) | instskip(NEXT) | instid1(VALU_DEP_1)
	v_add_nc_u32_e32 v0, 32, v0
	v_min_u32_e32 v0, v5, v0
	s_delay_alu instid0(VALU_DEP_1) | instskip(SKIP_1) | instid1(VALU_DEP_2)
	v_lshlrev_b64 v[5:6], v0, v[3:4]
	v_sub_nc_u32_e32 v0, 32, v0
	v_min_u32_e32 v5, 1, v5
	s_delay_alu instid0(VALU_DEP_1) | instskip(NEXT) | instid1(VALU_DEP_1)
	v_or_b32_e32 v5, v6, v5
	v_cvt_f32_i32_e32 v5, v5
	s_delay_alu instid0(VALU_DEP_1)
	v_ldexp_f32 v0, v5, v0
	global_store_b32 v[1:2], v0, off
.LBB305_1043:
	s_mov_b32 s4, 0
.LBB305_1044:
	s_delay_alu instid0(SALU_CYCLE_1)
	s_and_not1_b32 vcc_lo, exec_lo, s4
	s_cbranch_vccnz .LBB305_1046
; %bb.1045:
	s_waitcnt vmcnt(0)
	v_xor_b32_e32 v0, v3, v4
	v_cls_i32_e32 v5, v4
	s_delay_alu instid0(VALU_DEP_2) | instskip(NEXT) | instid1(VALU_DEP_2)
	v_ashrrev_i32_e32 v0, 31, v0
	v_add_nc_u32_e32 v5, -1, v5
	s_delay_alu instid0(VALU_DEP_2) | instskip(NEXT) | instid1(VALU_DEP_1)
	v_add_nc_u32_e32 v0, 32, v0
	v_min_u32_e32 v0, v5, v0
	s_delay_alu instid0(VALU_DEP_1) | instskip(SKIP_1) | instid1(VALU_DEP_2)
	v_lshlrev_b64 v[5:6], v0, v[3:4]
	v_sub_nc_u32_e32 v0, 32, v0
	v_min_u32_e32 v5, 1, v5
	s_delay_alu instid0(VALU_DEP_1) | instskip(NEXT) | instid1(VALU_DEP_1)
	v_or_b32_e32 v5, v6, v5
	v_cvt_f32_i32_e32 v5, v5
	s_delay_alu instid0(VALU_DEP_1) | instskip(NEXT) | instid1(VALU_DEP_1)
	v_ldexp_f32 v0, v5, v0
	v_cvt_f16_f32_e32 v0, v0
	global_store_b16 v[1:2], v0, off
.LBB305_1046:
	s_mov_b32 s4, 0
.LBB305_1047:
	s_delay_alu instid0(SALU_CYCLE_1)
	s_and_not1_b32 vcc_lo, exec_lo, s4
	s_cbranch_vccnz .LBB305_1063
; %bb.1048:
	v_cmp_gt_i16_e32 vcc_lo, 2, v7
	s_mov_b32 s4, -1
	s_cbranch_vccnz .LBB305_1058
; %bb.1049:
	v_cmp_gt_i16_e32 vcc_lo, 3, v7
	s_cbranch_vccnz .LBB305_1055
; %bb.1050:
	v_cmp_lt_i16_e32 vcc_lo, 3, v7
	s_cbranch_vccz .LBB305_1052
; %bb.1051:
	s_mov_b32 s4, 0
	s_waitcnt vmcnt(0)
	global_store_b64 v[1:2], v[3:4], off
.LBB305_1052:
	s_and_not1_b32 vcc_lo, exec_lo, s4
	s_cbranch_vccnz .LBB305_1054
; %bb.1053:
	s_waitcnt vmcnt(0)
	global_store_b32 v[1:2], v3, off
.LBB305_1054:
	s_mov_b32 s4, 0
.LBB305_1055:
	s_delay_alu instid0(SALU_CYCLE_1)
	s_and_not1_b32 vcc_lo, exec_lo, s4
	s_cbranch_vccnz .LBB305_1057
; %bb.1056:
	s_waitcnt vmcnt(0)
	global_store_b16 v[1:2], v3, off
.LBB305_1057:
	s_mov_b32 s4, 0
.LBB305_1058:
	s_delay_alu instid0(SALU_CYCLE_1)
	s_and_not1_b32 vcc_lo, exec_lo, s4
	s_cbranch_vccnz .LBB305_1063
; %bb.1059:
	v_cmp_lt_i16_e32 vcc_lo, 0, v7
	s_mov_b32 s4, -1
	s_cbranch_vccz .LBB305_1061
; %bb.1060:
	s_mov_b32 s4, 0
	s_waitcnt vmcnt(0)
	global_store_b8 v[1:2], v3, off
.LBB305_1061:
	s_and_not1_b32 vcc_lo, exec_lo, s4
	s_cbranch_vccnz .LBB305_1063
; %bb.1062:
	s_waitcnt vmcnt(0)
	global_store_b8 v[1:2], v3, off
.LBB305_1063:
	s_or_b32 exec_lo, exec_lo, s2
	s_delay_alu instid0(SALU_CYCLE_1)
	s_and_b32 s12, s3, exec_lo
                                        ; implicit-def: $vgpr5
                                        ; implicit-def: $vgpr8
.LBB305_1064:
	s_or_saveexec_b32 s13, s33
	s_mov_b32 s4, 0
                                        ; implicit-def: $vgpr0_vgpr1
                                        ; implicit-def: $sgpr3
                                        ; implicit-def: $vgpr2_vgpr3
	s_xor_b32 exec_lo, exec_lo, s13
	s_cbranch_execz .LBB305_2022
; %bb.1065:
	v_cndmask_b32_e64 v0, 0, 1, s31
	s_and_not1_b32 vcc_lo, exec_lo, s31
	s_cbranch_vccnz .LBB305_1071
; %bb.1066:
	s_waitcnt vmcnt(0)
	v_dual_mov_b32 v3, 0 :: v_dual_mov_b32 v4, 0
	s_cmp_lg_u32 s28, 0
	s_mov_b32 s6, 0
	s_cbranch_scc0 .LBB305_1075
; %bb.1067:
	s_min_u32 s7, s29, 15
	v_mov_b32_e32 v3, 0
	s_add_i32 s7, s7, 1
	s_cmp_eq_u32 s29, 2
	s_mov_b32 s8, 0
	s_cbranch_scc1 .LBB305_1072
; %bb.1068:
	v_dual_mov_b32 v4, 0 :: v_dual_mov_b32 v3, 0
	v_mov_b32_e32 v1, v8
	s_add_u32 s2, s20, 0xc4
	s_addc_u32 s3, s21, 0
	s_and_b32 s8, s7, 28
	s_mov_b32 s9, 0
	s_mov_b64 s[4:5], s[20:21]
.LBB305_1069:                           ; =>This Inner Loop Header: Depth=1
	s_clause 0x1
	s_load_b256 s[36:43], s[4:5], 0x4
	s_load_b128 s[16:19], s[4:5], 0x24
	s_load_b256 s[44:51], s[2:3], 0x0
	s_add_u32 s4, s4, 48
	s_addc_u32 s5, s5, 0
	s_add_i32 s9, s9, 4
	s_add_u32 s2, s2, 32
	s_addc_u32 s3, s3, 0
	s_cmp_lg_u32 s8, s9
	s_waitcnt lgkmcnt(0)
	v_mul_hi_u32 v2, s37, v1
	s_delay_alu instid0(VALU_DEP_1) | instskip(NEXT) | instid1(VALU_DEP_1)
	v_add_nc_u32_e32 v2, v1, v2
	v_lshrrev_b32_e32 v2, s38, v2
	s_delay_alu instid0(VALU_DEP_1) | instskip(SKIP_1) | instid1(VALU_DEP_2)
	v_mul_hi_u32 v6, s40, v2
	v_mul_lo_u32 v9, v2, s36
	v_add_nc_u32_e32 v6, v2, v6
	s_delay_alu instid0(VALU_DEP_2) | instskip(NEXT) | instid1(VALU_DEP_2)
	v_sub_nc_u32_e32 v1, v1, v9
	v_lshrrev_b32_e32 v6, s41, v6
	s_delay_alu instid0(VALU_DEP_2) | instskip(SKIP_1) | instid1(VALU_DEP_3)
	v_mul_lo_u32 v9, v1, s44
	v_mul_lo_u32 v11, v1, s45
	v_mul_hi_u32 v7, s43, v6
	s_delay_alu instid0(VALU_DEP_1) | instskip(NEXT) | instid1(VALU_DEP_1)
	v_add_nc_u32_e32 v7, v6, v7
	v_lshrrev_b32_e32 v7, s16, v7
	s_delay_alu instid0(VALU_DEP_1) | instskip(SKIP_1) | instid1(VALU_DEP_2)
	v_mul_hi_u32 v10, s18, v7
	v_mul_lo_u32 v12, v7, s42
	v_add_nc_u32_e32 v1, v7, v10
	v_mul_lo_u32 v10, v6, s39
	s_delay_alu instid0(VALU_DEP_3) | instskip(NEXT) | instid1(VALU_DEP_3)
	v_sub_nc_u32_e32 v6, v6, v12
	v_lshrrev_b32_e32 v1, s19, v1
	s_delay_alu instid0(VALU_DEP_2) | instskip(SKIP_2) | instid1(VALU_DEP_4)
	v_mul_lo_u32 v12, v6, s48
	v_mul_lo_u32 v6, v6, s49
	v_sub_nc_u32_e32 v2, v2, v10
	v_mul_lo_u32 v13, v1, s17
	s_delay_alu instid0(VALU_DEP_2) | instskip(SKIP_1) | instid1(VALU_DEP_3)
	v_mul_lo_u32 v10, v2, s46
	v_mul_lo_u32 v2, v2, s47
	v_sub_nc_u32_e32 v7, v7, v13
	s_delay_alu instid0(VALU_DEP_3) | instskip(NEXT) | instid1(VALU_DEP_2)
	v_add3_u32 v3, v9, v3, v10
	v_mul_lo_u32 v13, v7, s50
	v_mul_lo_u32 v7, v7, s51
	v_add3_u32 v2, v11, v4, v2
	s_delay_alu instid0(VALU_DEP_3) | instskip(NEXT) | instid1(VALU_DEP_2)
	v_add3_u32 v3, v12, v3, v13
	v_add3_u32 v4, v6, v2, v7
	s_cbranch_scc1 .LBB305_1069
; %bb.1070:
	s_and_b32 s7, s7, 3
	s_delay_alu instid0(SALU_CYCLE_1)
	s_cmp_eq_u32 s7, 0
	s_cbranch_scc0 .LBB305_1073
	s_branch .LBB305_1075
.LBB305_1071:
	s_mov_b32 s6, -1
                                        ; implicit-def: $vgpr3
                                        ; implicit-def: $vgpr4
	s_branch .LBB305_1075
.LBB305_1072:
	v_dual_mov_b32 v1, v8 :: v_dual_mov_b32 v4, 0
	s_and_b32 s7, s7, 3
	s_delay_alu instid0(SALU_CYCLE_1)
	s_cmp_eq_u32 s7, 0
	s_cbranch_scc1 .LBB305_1075
.LBB305_1073:
	s_lshl_b32 s2, s8, 3
	s_mul_i32 s4, s8, 12
	s_add_u32 s2, s2, s20
	s_addc_u32 s3, 0, s21
	s_add_u32 s2, s2, 0xc4
	s_addc_u32 s3, s3, 0
	;; [unrolled: 2-line block ×3, first 2 shown]
	.p2align	6
.LBB305_1074:                           ; =>This Inner Loop Header: Depth=1
	s_clause 0x1
	s_load_b64 s[8:9], s[4:5], 0x4
	s_load_b32 s14, s[4:5], 0xc
	s_load_b64 s[10:11], s[2:3], 0x0
	s_add_u32 s4, s4, 12
	s_addc_u32 s5, s5, 0
	s_add_u32 s2, s2, 8
	s_addc_u32 s3, s3, 0
	s_add_i32 s7, s7, -1
	s_delay_alu instid0(SALU_CYCLE_1) | instskip(SKIP_2) | instid1(VALU_DEP_1)
	s_cmp_lg_u32 s7, 0
	s_waitcnt lgkmcnt(0)
	v_mul_hi_u32 v2, s9, v1
	v_add_nc_u32_e32 v2, v1, v2
	s_delay_alu instid0(VALU_DEP_1) | instskip(NEXT) | instid1(VALU_DEP_1)
	v_lshrrev_b32_e32 v9, s14, v2
	v_mul_lo_u32 v2, v9, s8
	s_delay_alu instid0(VALU_DEP_1) | instskip(NEXT) | instid1(VALU_DEP_1)
	v_sub_nc_u32_e32 v1, v1, v2
	v_mad_u64_u32 v[6:7], null, v1, s10, v[3:4]
	v_mad_u64_u32 v[2:3], null, v1, s11, v[4:5]
	v_mov_b32_e32 v1, v9
	s_delay_alu instid0(VALU_DEP_3) | instskip(NEXT) | instid1(VALU_DEP_3)
	v_mov_b32_e32 v3, v6
	v_mov_b32_e32 v4, v2
	s_cbranch_scc1 .LBB305_1074
.LBB305_1075:
	s_and_not1_b32 vcc_lo, exec_lo, s6
	s_cbranch_vccnz .LBB305_1078
; %bb.1076:
	s_clause 0x1
	s_load_b128 s[4:7], s[20:21], 0x4
	s_load_b64 s[2:3], s[20:21], 0xc4
	s_cmp_lt_u32 s28, 2
	s_waitcnt lgkmcnt(0)
	v_mul_hi_u32 v1, s5, v8
	s_delay_alu instid0(VALU_DEP_1) | instskip(NEXT) | instid1(VALU_DEP_1)
	v_add_nc_u32_e32 v1, v8, v1
	v_lshrrev_b32_e32 v1, s6, v1
	s_delay_alu instid0(VALU_DEP_1) | instskip(NEXT) | instid1(VALU_DEP_1)
	v_mul_lo_u32 v2, v1, s4
	v_sub_nc_u32_e32 v2, v8, v2
	s_waitcnt vmcnt(0)
	s_delay_alu instid0(VALU_DEP_1)
	v_mul_lo_u32 v3, v2, s2
	v_mul_lo_u32 v4, v2, s3
	s_cbranch_scc1 .LBB305_1078
; %bb.1077:
	s_clause 0x1
	s_load_b128 s[4:7], s[20:21], 0x10
	s_load_b64 s[2:3], s[20:21], 0xcc
	s_waitcnt lgkmcnt(0)
	v_mul_hi_u32 v2, s5, v1
	s_delay_alu instid0(VALU_DEP_1) | instskip(NEXT) | instid1(VALU_DEP_1)
	v_add_nc_u32_e32 v2, v1, v2
	v_lshrrev_b32_e32 v2, s6, v2
	s_delay_alu instid0(VALU_DEP_1) | instskip(NEXT) | instid1(VALU_DEP_1)
	v_mul_lo_u32 v2, v2, s4
	v_sub_nc_u32_e32 v6, v1, v2
	s_delay_alu instid0(VALU_DEP_1) | instskip(SKIP_1) | instid1(VALU_DEP_1)
	v_mad_u64_u32 v[1:2], null, v6, s2, v[3:4]
	v_mad_u64_u32 v[2:3], null, v6, s3, v[4:5]
	v_dual_mov_b32 v3, v1 :: v_dual_mov_b32 v4, v2
.LBB305_1078:
	v_cmp_ne_u32_e32 vcc_lo, 1, v0
	v_add_nc_u32_e32 v1, 0x80, v8
	s_cbranch_vccnz .LBB305_1084
; %bb.1079:
	v_mov_b32_e32 v2, 0
	s_waitcnt vmcnt(0)
	v_mov_b32_e32 v6, 0
	s_cmp_lg_u32 s28, 0
	s_mov_b32 s6, 0
	s_cbranch_scc0 .LBB305_1088
; %bb.1080:
	s_min_u32 s7, s29, 15
	v_mov_b32_e32 v2, 0
	s_add_i32 s7, s7, 1
	s_cmp_eq_u32 s29, 2
	s_mov_b32 s8, 0
	s_cbranch_scc1 .LBB305_1085
; %bb.1081:
	v_dual_mov_b32 v6, 0 :: v_dual_mov_b32 v7, v1
	v_mov_b32_e32 v2, 0
	s_add_u32 s2, s20, 0xc4
	s_addc_u32 s3, s21, 0
	s_and_b32 s8, s7, 28
	s_mov_b32 s9, 0
	s_mov_b64 s[4:5], s[20:21]
.LBB305_1082:                           ; =>This Inner Loop Header: Depth=1
	s_clause 0x1
	s_load_b256 s[36:43], s[4:5], 0x4
	s_load_b128 s[16:19], s[4:5], 0x24
	s_load_b256 s[44:51], s[2:3], 0x0
	s_add_u32 s4, s4, 48
	s_addc_u32 s5, s5, 0
	s_add_i32 s9, s9, 4
	s_add_u32 s2, s2, 32
	s_addc_u32 s3, s3, 0
	s_cmp_lg_u32 s8, s9
	s_waitcnt lgkmcnt(0)
	v_mul_hi_u32 v9, s37, v7
	s_delay_alu instid0(VALU_DEP_1) | instskip(NEXT) | instid1(VALU_DEP_1)
	v_add_nc_u32_e32 v9, v7, v9
	v_lshrrev_b32_e32 v9, s38, v9
	s_delay_alu instid0(VALU_DEP_1) | instskip(SKIP_1) | instid1(VALU_DEP_2)
	v_mul_hi_u32 v10, s40, v9
	v_mul_lo_u32 v12, v9, s36
	v_add_nc_u32_e32 v10, v9, v10
	s_delay_alu instid0(VALU_DEP_2) | instskip(NEXT) | instid1(VALU_DEP_2)
	v_sub_nc_u32_e32 v7, v7, v12
	v_lshrrev_b32_e32 v10, s41, v10
	s_delay_alu instid0(VALU_DEP_2) | instskip(SKIP_1) | instid1(VALU_DEP_3)
	v_mul_lo_u32 v12, v7, s44
	v_mul_lo_u32 v14, v7, s45
	v_mul_hi_u32 v11, s43, v10
	s_delay_alu instid0(VALU_DEP_1) | instskip(NEXT) | instid1(VALU_DEP_1)
	v_add_nc_u32_e32 v11, v10, v11
	v_lshrrev_b32_e32 v11, s16, v11
	s_delay_alu instid0(VALU_DEP_1) | instskip(SKIP_1) | instid1(VALU_DEP_2)
	v_mul_hi_u32 v13, s18, v11
	v_mul_lo_u32 v15, v11, s42
	v_add_nc_u32_e32 v7, v11, v13
	v_mul_lo_u32 v13, v10, s39
	s_delay_alu instid0(VALU_DEP_3) | instskip(NEXT) | instid1(VALU_DEP_3)
	v_sub_nc_u32_e32 v10, v10, v15
	v_lshrrev_b32_e32 v7, s19, v7
	s_delay_alu instid0(VALU_DEP_2) | instskip(SKIP_2) | instid1(VALU_DEP_4)
	v_mul_lo_u32 v15, v10, s48
	v_mul_lo_u32 v10, v10, s49
	v_sub_nc_u32_e32 v9, v9, v13
	v_mul_lo_u32 v16, v7, s17
	s_delay_alu instid0(VALU_DEP_2) | instskip(SKIP_1) | instid1(VALU_DEP_3)
	v_mul_lo_u32 v13, v9, s46
	v_mul_lo_u32 v9, v9, s47
	v_sub_nc_u32_e32 v11, v11, v16
	s_delay_alu instid0(VALU_DEP_3) | instskip(NEXT) | instid1(VALU_DEP_2)
	v_add3_u32 v2, v12, v2, v13
	v_mul_lo_u32 v16, v11, s50
	v_mul_lo_u32 v11, v11, s51
	v_add3_u32 v6, v14, v6, v9
	s_delay_alu instid0(VALU_DEP_3) | instskip(NEXT) | instid1(VALU_DEP_2)
	v_add3_u32 v2, v15, v2, v16
	v_add3_u32 v6, v10, v6, v11
	s_cbranch_scc1 .LBB305_1082
; %bb.1083:
	s_and_b32 s7, s7, 3
	s_delay_alu instid0(SALU_CYCLE_1)
	s_cmp_eq_u32 s7, 0
	s_cbranch_scc0 .LBB305_1086
	s_branch .LBB305_1088
.LBB305_1084:
	s_mov_b32 s6, -1
                                        ; implicit-def: $vgpr2
                                        ; implicit-def: $vgpr6
	s_branch .LBB305_1088
.LBB305_1085:
	v_dual_mov_b32 v7, v1 :: v_dual_mov_b32 v6, 0
	s_and_b32 s7, s7, 3
	s_delay_alu instid0(SALU_CYCLE_1)
	s_cmp_eq_u32 s7, 0
	s_cbranch_scc1 .LBB305_1088
.LBB305_1086:
	s_lshl_b32 s2, s8, 3
	s_mul_i32 s4, s8, 12
	s_add_u32 s2, s2, s20
	s_addc_u32 s3, 0, s21
	s_add_u32 s2, s2, 0xc4
	s_addc_u32 s3, s3, 0
	s_add_u32 s4, s20, s4
	s_addc_u32 s5, 0, s21
	.p2align	6
.LBB305_1087:                           ; =>This Inner Loop Header: Depth=1
	s_clause 0x1
	s_load_b64 s[8:9], s[4:5], 0x4
	s_load_b32 s14, s[4:5], 0xc
	s_load_b64 s[10:11], s[2:3], 0x0
	s_add_u32 s4, s4, 12
	s_addc_u32 s5, s5, 0
	s_add_u32 s2, s2, 8
	s_addc_u32 s3, s3, 0
	s_add_i32 s7, s7, -1
	s_delay_alu instid0(SALU_CYCLE_1) | instskip(SKIP_2) | instid1(VALU_DEP_1)
	s_cmp_lg_u32 s7, 0
	s_waitcnt lgkmcnt(0)
	v_mul_hi_u32 v9, s9, v7
	v_add_nc_u32_e32 v9, v7, v9
	s_delay_alu instid0(VALU_DEP_1) | instskip(NEXT) | instid1(VALU_DEP_1)
	v_lshrrev_b32_e32 v12, s14, v9
	v_mul_lo_u32 v9, v12, s8
	s_delay_alu instid0(VALU_DEP_1) | instskip(NEXT) | instid1(VALU_DEP_1)
	v_sub_nc_u32_e32 v7, v7, v9
	v_mad_u64_u32 v[9:10], null, v7, s10, v[2:3]
	v_mad_u64_u32 v[10:11], null, v7, s11, v[6:7]
	s_delay_alu instid0(VALU_DEP_2) | instskip(NEXT) | instid1(VALU_DEP_2)
	v_dual_mov_b32 v7, v12 :: v_dual_mov_b32 v2, v9
	v_mov_b32_e32 v6, v10
	s_cbranch_scc1 .LBB305_1087
.LBB305_1088:
	s_and_not1_b32 vcc_lo, exec_lo, s6
	s_cbranch_vccnz .LBB305_1091
; %bb.1089:
	s_clause 0x1
	s_load_b128 s[4:7], s[20:21], 0x4
	s_load_b64 s[2:3], s[20:21], 0xc4
	s_cmp_lt_u32 s28, 2
	s_waitcnt lgkmcnt(0)
	v_mul_hi_u32 v2, s5, v1
	s_delay_alu instid0(VALU_DEP_1) | instskip(NEXT) | instid1(VALU_DEP_1)
	v_add_nc_u32_e32 v2, v1, v2
	v_lshrrev_b32_e32 v7, s6, v2
	s_delay_alu instid0(VALU_DEP_1) | instskip(NEXT) | instid1(VALU_DEP_1)
	v_mul_lo_u32 v2, v7, s4
	v_sub_nc_u32_e32 v1, v1, v2
	s_delay_alu instid0(VALU_DEP_1)
	v_mul_lo_u32 v2, v1, s2
	s_waitcnt vmcnt(0)
	v_mul_lo_u32 v6, v1, s3
	s_cbranch_scc1 .LBB305_1091
; %bb.1090:
	s_clause 0x1
	s_load_b128 s[4:7], s[20:21], 0x10
	s_load_b64 s[2:3], s[20:21], 0xcc
	s_waitcnt lgkmcnt(0)
	v_mul_hi_u32 v1, s5, v7
	s_delay_alu instid0(VALU_DEP_1) | instskip(NEXT) | instid1(VALU_DEP_1)
	v_add_nc_u32_e32 v1, v7, v1
	v_lshrrev_b32_e32 v1, s6, v1
	s_delay_alu instid0(VALU_DEP_1) | instskip(NEXT) | instid1(VALU_DEP_1)
	v_mul_lo_u32 v1, v1, s4
	v_sub_nc_u32_e32 v7, v7, v1
	s_delay_alu instid0(VALU_DEP_1) | instskip(SKIP_1) | instid1(VALU_DEP_2)
	v_mad_u64_u32 v[9:10], null, v7, s2, v[2:3]
	v_mad_u64_u32 v[1:2], null, v7, s3, v[6:7]
	v_mov_b32_e32 v2, v9
	s_delay_alu instid0(VALU_DEP_2)
	v_mov_b32_e32 v6, v1
.LBB305_1091:
	v_cmp_ne_u32_e32 vcc_lo, 1, v0
	v_add_nc_u32_e32 v7, 0x100, v8
	s_cbranch_vccnz .LBB305_1097
; %bb.1092:
	v_dual_mov_b32 v1, 0 :: v_dual_mov_b32 v8, 0
	s_cmp_lg_u32 s28, 0
	s_mov_b32 s6, 0
	s_cbranch_scc0 .LBB305_1101
; %bb.1093:
	s_min_u32 s7, s29, 15
	v_mov_b32_e32 v1, 0
	s_add_i32 s7, s7, 1
	s_cmp_eq_u32 s29, 2
	s_mov_b32 s8, 0
	s_cbranch_scc1 .LBB305_1098
; %bb.1094:
	v_dual_mov_b32 v8, 0 :: v_dual_mov_b32 v1, 0
	v_mov_b32_e32 v9, v7
	s_add_u32 s2, s20, 0xc4
	s_addc_u32 s3, s21, 0
	s_and_b32 s8, s7, 28
	s_mov_b32 s9, 0
	s_mov_b64 s[4:5], s[20:21]
.LBB305_1095:                           ; =>This Inner Loop Header: Depth=1
	s_clause 0x1
	s_load_b256 s[36:43], s[4:5], 0x4
	s_load_b128 s[16:19], s[4:5], 0x24
	s_load_b256 s[44:51], s[2:3], 0x0
	s_add_u32 s4, s4, 48
	s_addc_u32 s5, s5, 0
	s_add_i32 s9, s9, 4
	s_add_u32 s2, s2, 32
	s_addc_u32 s3, s3, 0
	s_cmp_lg_u32 s8, s9
	s_waitcnt lgkmcnt(0)
	v_mul_hi_u32 v10, s37, v9
	s_delay_alu instid0(VALU_DEP_1) | instskip(NEXT) | instid1(VALU_DEP_1)
	v_add_nc_u32_e32 v10, v9, v10
	v_lshrrev_b32_e32 v10, s38, v10
	s_delay_alu instid0(VALU_DEP_1) | instskip(SKIP_1) | instid1(VALU_DEP_2)
	v_mul_hi_u32 v11, s40, v10
	v_mul_lo_u32 v13, v10, s36
	v_add_nc_u32_e32 v11, v10, v11
	s_delay_alu instid0(VALU_DEP_2) | instskip(NEXT) | instid1(VALU_DEP_2)
	v_sub_nc_u32_e32 v9, v9, v13
	v_lshrrev_b32_e32 v11, s41, v11
	s_delay_alu instid0(VALU_DEP_2) | instskip(SKIP_1) | instid1(VALU_DEP_3)
	v_mul_lo_u32 v13, v9, s44
	v_mul_lo_u32 v15, v9, s45
	v_mul_hi_u32 v12, s43, v11
	s_delay_alu instid0(VALU_DEP_1) | instskip(NEXT) | instid1(VALU_DEP_1)
	v_add_nc_u32_e32 v12, v11, v12
	v_lshrrev_b32_e32 v12, s16, v12
	s_delay_alu instid0(VALU_DEP_1) | instskip(SKIP_1) | instid1(VALU_DEP_2)
	v_mul_hi_u32 v14, s18, v12
	v_mul_lo_u32 v16, v12, s42
	v_add_nc_u32_e32 v9, v12, v14
	v_mul_lo_u32 v14, v11, s39
	s_delay_alu instid0(VALU_DEP_3) | instskip(NEXT) | instid1(VALU_DEP_3)
	v_sub_nc_u32_e32 v11, v11, v16
	v_lshrrev_b32_e32 v9, s19, v9
	s_delay_alu instid0(VALU_DEP_2) | instskip(SKIP_2) | instid1(VALU_DEP_4)
	v_mul_lo_u32 v16, v11, s48
	v_mul_lo_u32 v11, v11, s49
	v_sub_nc_u32_e32 v10, v10, v14
	v_mul_lo_u32 v17, v9, s17
	s_delay_alu instid0(VALU_DEP_2) | instskip(SKIP_1) | instid1(VALU_DEP_3)
	v_mul_lo_u32 v14, v10, s46
	v_mul_lo_u32 v10, v10, s47
	v_sub_nc_u32_e32 v12, v12, v17
	s_delay_alu instid0(VALU_DEP_3) | instskip(NEXT) | instid1(VALU_DEP_2)
	v_add3_u32 v1, v13, v1, v14
	v_mul_lo_u32 v17, v12, s50
	v_mul_lo_u32 v12, v12, s51
	v_add3_u32 v8, v15, v8, v10
	s_delay_alu instid0(VALU_DEP_3) | instskip(NEXT) | instid1(VALU_DEP_2)
	v_add3_u32 v1, v16, v1, v17
	v_add3_u32 v8, v11, v8, v12
	s_cbranch_scc1 .LBB305_1095
; %bb.1096:
	s_and_b32 s7, s7, 3
	s_delay_alu instid0(SALU_CYCLE_1)
	s_cmp_eq_u32 s7, 0
	s_cbranch_scc0 .LBB305_1099
	s_branch .LBB305_1101
.LBB305_1097:
	s_mov_b32 s6, -1
                                        ; implicit-def: $vgpr1
                                        ; implicit-def: $vgpr8
	s_branch .LBB305_1101
.LBB305_1098:
	v_dual_mov_b32 v9, v7 :: v_dual_mov_b32 v8, 0
	s_and_b32 s7, s7, 3
	s_delay_alu instid0(SALU_CYCLE_1)
	s_cmp_eq_u32 s7, 0
	s_cbranch_scc1 .LBB305_1101
.LBB305_1099:
	s_lshl_b32 s2, s8, 3
	s_mul_i32 s4, s8, 12
	s_add_u32 s2, s2, s20
	s_addc_u32 s3, 0, s21
	s_add_u32 s2, s2, 0xc4
	s_addc_u32 s3, s3, 0
	s_add_u32 s4, s20, s4
	s_addc_u32 s5, 0, s21
	.p2align	6
.LBB305_1100:                           ; =>This Inner Loop Header: Depth=1
	s_clause 0x1
	s_load_b64 s[8:9], s[4:5], 0x4
	s_load_b32 s14, s[4:5], 0xc
	s_load_b64 s[10:11], s[2:3], 0x0
	s_add_u32 s4, s4, 12
	s_addc_u32 s5, s5, 0
	s_add_u32 s2, s2, 8
	s_addc_u32 s3, s3, 0
	s_add_i32 s7, s7, -1
	s_delay_alu instid0(SALU_CYCLE_1) | instskip(SKIP_2) | instid1(VALU_DEP_1)
	s_cmp_lg_u32 s7, 0
	s_waitcnt lgkmcnt(0)
	v_mul_hi_u32 v10, s9, v9
	v_add_nc_u32_e32 v10, v9, v10
	s_delay_alu instid0(VALU_DEP_1) | instskip(NEXT) | instid1(VALU_DEP_1)
	v_lshrrev_b32_e32 v13, s14, v10
	v_mul_lo_u32 v10, v13, s8
	s_delay_alu instid0(VALU_DEP_1) | instskip(NEXT) | instid1(VALU_DEP_1)
	v_sub_nc_u32_e32 v9, v9, v10
	v_mad_u64_u32 v[10:11], null, v9, s10, v[1:2]
	v_mad_u64_u32 v[11:12], null, v9, s11, v[8:9]
	v_mov_b32_e32 v9, v13
	s_delay_alu instid0(VALU_DEP_2)
	v_dual_mov_b32 v1, v10 :: v_dual_mov_b32 v8, v11
	s_cbranch_scc1 .LBB305_1100
.LBB305_1101:
	s_and_not1_b32 vcc_lo, exec_lo, s6
	s_cbranch_vccnz .LBB305_1104
; %bb.1102:
	s_clause 0x1
	s_load_b128 s[4:7], s[20:21], 0x4
	s_load_b64 s[2:3], s[20:21], 0xc4
	s_cmp_lt_u32 s28, 2
	s_waitcnt lgkmcnt(0)
	v_mul_hi_u32 v1, s5, v7
	s_delay_alu instid0(VALU_DEP_1) | instskip(NEXT) | instid1(VALU_DEP_1)
	v_add_nc_u32_e32 v1, v7, v1
	v_lshrrev_b32_e32 v9, s6, v1
	s_delay_alu instid0(VALU_DEP_1) | instskip(NEXT) | instid1(VALU_DEP_1)
	v_mul_lo_u32 v1, v9, s4
	v_sub_nc_u32_e32 v7, v7, v1
	s_delay_alu instid0(VALU_DEP_1)
	v_mul_lo_u32 v1, v7, s2
	v_mul_lo_u32 v8, v7, s3
	s_cbranch_scc1 .LBB305_1104
; %bb.1103:
	s_clause 0x1
	s_load_b128 s[4:7], s[20:21], 0x10
	s_load_b64 s[2:3], s[20:21], 0xcc
	s_waitcnt lgkmcnt(0)
	v_mul_hi_u32 v7, s5, v9
	s_delay_alu instid0(VALU_DEP_1) | instskip(NEXT) | instid1(VALU_DEP_1)
	v_add_nc_u32_e32 v7, v9, v7
	v_lshrrev_b32_e32 v7, s6, v7
	s_delay_alu instid0(VALU_DEP_1) | instskip(NEXT) | instid1(VALU_DEP_1)
	v_mul_lo_u32 v7, v7, s4
	v_sub_nc_u32_e32 v7, v9, v7
	s_delay_alu instid0(VALU_DEP_1) | instskip(NEXT) | instid1(VALU_DEP_1)
	v_mad_u64_u32 v[9:10], null, v7, s2, v[1:2]
	v_mad_u64_u32 v[10:11], null, v7, s3, v[8:9]
	s_delay_alu instid0(VALU_DEP_1)
	v_dual_mov_b32 v1, v9 :: v_dual_mov_b32 v8, v10
.LBB305_1104:
	v_cmp_ne_u32_e32 vcc_lo, 1, v0
	s_cbranch_vccnz .LBB305_1110
; %bb.1105:
	v_mov_b32_e32 v0, 0
	v_mov_b32_e32 v10, 0
	s_cmp_lg_u32 s28, 0
	s_mov_b32 s6, 0
	s_cbranch_scc0 .LBB305_1114
; %bb.1106:
	s_min_u32 s7, s29, 15
	v_mov_b32_e32 v0, 0
	s_add_i32 s7, s7, 1
	s_cmp_eq_u32 s29, 2
	s_mov_b32 s8, 0
	s_cbranch_scc1 .LBB305_1111
; %bb.1107:
	s_waitcnt vmcnt(0)
	v_dual_mov_b32 v10, 0 :: v_dual_mov_b32 v7, v5
	v_mov_b32_e32 v0, 0
	s_add_u32 s2, s20, 0xc4
	s_addc_u32 s3, s21, 0
	s_and_b32 s8, s7, 28
	s_mov_b32 s9, 0
	s_mov_b64 s[4:5], s[20:21]
.LBB305_1108:                           ; =>This Inner Loop Header: Depth=1
	s_clause 0x1
	s_load_b256 s[36:43], s[4:5], 0x4
	s_load_b128 s[16:19], s[4:5], 0x24
	s_load_b256 s[44:51], s[2:3], 0x0
	s_add_u32 s4, s4, 48
	s_addc_u32 s5, s5, 0
	s_add_i32 s9, s9, 4
	s_add_u32 s2, s2, 32
	s_addc_u32 s3, s3, 0
	s_cmp_lg_u32 s8, s9
	s_waitcnt lgkmcnt(0)
	v_mul_hi_u32 v9, s37, v7
	s_delay_alu instid0(VALU_DEP_1) | instskip(NEXT) | instid1(VALU_DEP_1)
	v_add_nc_u32_e32 v9, v7, v9
	v_lshrrev_b32_e32 v9, s38, v9
	s_delay_alu instid0(VALU_DEP_1) | instskip(SKIP_1) | instid1(VALU_DEP_2)
	v_mul_hi_u32 v11, s40, v9
	v_mul_lo_u32 v13, v9, s36
	v_add_nc_u32_e32 v11, v9, v11
	s_delay_alu instid0(VALU_DEP_2) | instskip(NEXT) | instid1(VALU_DEP_2)
	v_sub_nc_u32_e32 v7, v7, v13
	v_lshrrev_b32_e32 v11, s41, v11
	s_delay_alu instid0(VALU_DEP_2) | instskip(SKIP_1) | instid1(VALU_DEP_3)
	v_mul_lo_u32 v13, v7, s44
	v_mul_lo_u32 v15, v7, s45
	v_mul_hi_u32 v12, s43, v11
	s_delay_alu instid0(VALU_DEP_1) | instskip(NEXT) | instid1(VALU_DEP_1)
	v_add_nc_u32_e32 v12, v11, v12
	v_lshrrev_b32_e32 v12, s16, v12
	s_delay_alu instid0(VALU_DEP_1) | instskip(SKIP_1) | instid1(VALU_DEP_2)
	v_mul_hi_u32 v14, s18, v12
	v_mul_lo_u32 v16, v12, s42
	v_add_nc_u32_e32 v7, v12, v14
	v_mul_lo_u32 v14, v11, s39
	s_delay_alu instid0(VALU_DEP_3) | instskip(NEXT) | instid1(VALU_DEP_3)
	v_sub_nc_u32_e32 v11, v11, v16
	v_lshrrev_b32_e32 v7, s19, v7
	s_delay_alu instid0(VALU_DEP_2) | instskip(SKIP_2) | instid1(VALU_DEP_4)
	v_mul_lo_u32 v16, v11, s48
	v_mul_lo_u32 v11, v11, s49
	v_sub_nc_u32_e32 v9, v9, v14
	v_mul_lo_u32 v17, v7, s17
	s_delay_alu instid0(VALU_DEP_2) | instskip(SKIP_1) | instid1(VALU_DEP_3)
	v_mul_lo_u32 v14, v9, s46
	v_mul_lo_u32 v9, v9, s47
	v_sub_nc_u32_e32 v12, v12, v17
	s_delay_alu instid0(VALU_DEP_3) | instskip(NEXT) | instid1(VALU_DEP_2)
	v_add3_u32 v0, v13, v0, v14
	v_mul_lo_u32 v17, v12, s50
	v_mul_lo_u32 v12, v12, s51
	v_add3_u32 v9, v15, v10, v9
	s_delay_alu instid0(VALU_DEP_3) | instskip(NEXT) | instid1(VALU_DEP_2)
	v_add3_u32 v0, v16, v0, v17
	v_add3_u32 v10, v11, v9, v12
	s_cbranch_scc1 .LBB305_1108
; %bb.1109:
	s_and_b32 s7, s7, 3
	s_delay_alu instid0(SALU_CYCLE_1)
	s_cmp_eq_u32 s7, 0
	s_cbranch_scc0 .LBB305_1112
	s_branch .LBB305_1114
.LBB305_1110:
	s_mov_b32 s6, -1
                                        ; implicit-def: $vgpr0
                                        ; implicit-def: $vgpr10
	s_branch .LBB305_1114
.LBB305_1111:
	s_waitcnt vmcnt(0)
	v_dual_mov_b32 v7, v5 :: v_dual_mov_b32 v10, 0
	s_and_b32 s7, s7, 3
	s_delay_alu instid0(SALU_CYCLE_1)
	s_cmp_eq_u32 s7, 0
	s_cbranch_scc1 .LBB305_1114
.LBB305_1112:
	s_lshl_b32 s2, s8, 3
	s_mul_i32 s4, s8, 12
	s_add_u32 s2, s2, s20
	s_addc_u32 s3, 0, s21
	s_add_u32 s2, s2, 0xc4
	s_addc_u32 s3, s3, 0
	;; [unrolled: 2-line block ×3, first 2 shown]
	.p2align	6
.LBB305_1113:                           ; =>This Inner Loop Header: Depth=1
	s_clause 0x1
	s_load_b64 s[8:9], s[4:5], 0x4
	s_load_b32 s14, s[4:5], 0xc
	s_load_b64 s[10:11], s[2:3], 0x0
	s_add_u32 s4, s4, 12
	s_addc_u32 s5, s5, 0
	s_add_u32 s2, s2, 8
	s_addc_u32 s3, s3, 0
	s_add_i32 s7, s7, -1
	s_delay_alu instid0(SALU_CYCLE_1) | instskip(SKIP_2) | instid1(VALU_DEP_1)
	s_cmp_lg_u32 s7, 0
	s_waitcnt lgkmcnt(0)
	v_mul_hi_u32 v9, s9, v7
	v_add_nc_u32_e32 v9, v7, v9
	s_delay_alu instid0(VALU_DEP_1) | instskip(NEXT) | instid1(VALU_DEP_1)
	v_lshrrev_b32_e32 v9, s14, v9
	v_mul_lo_u32 v11, v9, s8
	s_delay_alu instid0(VALU_DEP_1) | instskip(NEXT) | instid1(VALU_DEP_1)
	v_sub_nc_u32_e32 v7, v7, v11
	v_mad_u64_u32 v[11:12], null, v7, s10, v[0:1]
	s_delay_alu instid0(VALU_DEP_1) | instskip(SKIP_1) | instid1(VALU_DEP_2)
	v_mad_u64_u32 v[12:13], null, v7, s11, v[10:11]
	v_dual_mov_b32 v7, v9 :: v_dual_mov_b32 v0, v11
	v_mov_b32_e32 v10, v12
	s_cbranch_scc1 .LBB305_1113
.LBB305_1114:
	s_and_not1_b32 vcc_lo, exec_lo, s6
	s_cbranch_vccnz .LBB305_1117
; %bb.1115:
	s_clause 0x1
	s_load_b128 s[4:7], s[20:21], 0x4
	s_load_b64 s[2:3], s[20:21], 0xc4
	s_cmp_lt_u32 s28, 2
	s_waitcnt vmcnt(0) lgkmcnt(0)
	v_mul_hi_u32 v0, s5, v5
	s_delay_alu instid0(VALU_DEP_1) | instskip(NEXT) | instid1(VALU_DEP_1)
	v_add_nc_u32_e32 v0, v5, v0
	v_lshrrev_b32_e32 v7, s6, v0
	s_delay_alu instid0(VALU_DEP_1) | instskip(NEXT) | instid1(VALU_DEP_1)
	v_mul_lo_u32 v0, v7, s4
	v_sub_nc_u32_e32 v5, v5, v0
	s_delay_alu instid0(VALU_DEP_1)
	v_mul_lo_u32 v0, v5, s2
	v_mul_lo_u32 v10, v5, s3
	s_cbranch_scc1 .LBB305_1117
; %bb.1116:
	s_clause 0x1
	s_load_b128 s[4:7], s[20:21], 0x10
	s_load_b64 s[2:3], s[20:21], 0xcc
	s_waitcnt lgkmcnt(0)
	v_mul_hi_u32 v5, s5, v7
	s_delay_alu instid0(VALU_DEP_1) | instskip(NEXT) | instid1(VALU_DEP_1)
	v_add_nc_u32_e32 v5, v7, v5
	v_lshrrev_b32_e32 v5, s6, v5
	s_delay_alu instid0(VALU_DEP_1) | instskip(NEXT) | instid1(VALU_DEP_1)
	v_mul_lo_u32 v5, v5, s4
	v_sub_nc_u32_e32 v5, v7, v5
	s_delay_alu instid0(VALU_DEP_1) | instskip(NEXT) | instid1(VALU_DEP_1)
	v_mad_u64_u32 v[11:12], null, v5, s2, v[0:1]
	v_mad_u64_u32 v[12:13], null, v5, s3, v[10:11]
	v_mov_b32_e32 v0, v11
	s_delay_alu instid0(VALU_DEP_2)
	v_mov_b32_e32 v10, v12
.LBB305_1117:
	s_clause 0x1
	s_load_b32 s0, s[0:1], 0x170
	s_load_b256 s[4:11], s[20:21], 0x148
	s_waitcnt lgkmcnt(0)
	s_lshr_b32 s0, s0, 8
	s_delay_alu instid0(SALU_CYCLE_1) | instskip(SKIP_2) | instid1(VALU_DEP_1)
	v_and_b32_e64 v14, 0xff, s0
	s_waitcnt vmcnt(0)
	v_add_co_u32 v11, s0, s6, v4
	v_add_co_ci_u32_e64 v12, null, s7, 0, s0
	s_delay_alu instid0(VALU_DEP_3)
	v_cmp_gt_i16_e32 vcc_lo, 11, v14
	s_mov_b32 s0, 0
	s_cbranch_vccnz .LBB305_1124
; %bb.1118:
	v_cmp_lt_i16_e32 vcc_lo, 25, v14
	s_mov_b32 s3, 0
	s_cbranch_vccz .LBB305_1130
; %bb.1119:
	v_cmp_lt_i16_e32 vcc_lo, 28, v14
	s_cbranch_vccz .LBB305_1132
; %bb.1120:
	v_cmp_lt_i16_e32 vcc_lo, 43, v14
	s_cbranch_vccz .LBB305_1134
; %bb.1121:
	v_cmp_lt_i16_e32 vcc_lo, 45, v14
	s_cbranch_vccz .LBB305_1138
; %bb.1122:
	v_cmp_eq_u16_e32 vcc_lo, 46, v14
	s_mov_b32 s1, 0
	s_cbranch_vccz .LBB305_1180
; %bb.1123:
	global_load_b32 v4, v[11:12], off
	s_mov_b32 s2, 0
	s_mov_b32 s0, -1
	s_waitcnt vmcnt(0)
	v_lshlrev_b32_e32 v4, 16, v4
	s_delay_alu instid0(VALU_DEP_1) | instskip(NEXT) | instid1(VALU_DEP_1)
	v_trunc_f32_e32 v4, v4
	v_mul_f32_e64 v5, 0x2f800000, |v4|
	v_ashrrev_i32_e32 v9, 31, v4
	s_delay_alu instid0(VALU_DEP_2) | instskip(NEXT) | instid1(VALU_DEP_1)
	v_floor_f32_e32 v5, v5
	v_fma_f32 v7, 0xcf800000, v5, |v4|
	v_cvt_u32_f32_e32 v5, v5
	s_delay_alu instid0(VALU_DEP_2) | instskip(NEXT) | instid1(VALU_DEP_2)
	v_cvt_u32_f32_e32 v4, v7
	v_xor_b32_e32 v5, v5, v9
	s_delay_alu instid0(VALU_DEP_2) | instskip(NEXT) | instid1(VALU_DEP_1)
	v_xor_b32_e32 v4, v4, v9
	v_sub_co_u32 v4, vcc_lo, v4, v9
	s_delay_alu instid0(VALU_DEP_3)
	v_sub_co_ci_u32_e32 v5, vcc_lo, v5, v9, vcc_lo
	s_branch .LBB305_1182
.LBB305_1124:
	s_mov_b32 s2, s12
                                        ; implicit-def: $vgpr4_vgpr5
	s_cbranch_execz .LBB305_1240
; %bb.1125:
	v_cmp_gt_i16_e32 vcc_lo, 5, v14
	s_cbranch_vccnz .LBB305_1131
; %bb.1126:
	v_cmp_gt_i16_e32 vcc_lo, 8, v14
	s_cbranch_vccnz .LBB305_1133
	;; [unrolled: 3-line block ×3, first 2 shown]
; %bb.1128:
	v_cmp_lt_i16_e32 vcc_lo, 9, v14
	s_cbranch_vccz .LBB305_1139
; %bb.1129:
	global_load_b64 v[4:5], v[11:12], off
	s_mov_b32 s0, 0
	s_waitcnt vmcnt(0)
	v_trunc_f64_e32 v[4:5], v[4:5]
	s_delay_alu instid0(VALU_DEP_1) | instskip(NEXT) | instid1(VALU_DEP_1)
	v_ldexp_f64 v[15:16], v[4:5], 0xffffffe0
	v_floor_f64_e32 v[15:16], v[15:16]
	s_delay_alu instid0(VALU_DEP_1) | instskip(SKIP_1) | instid1(VALU_DEP_2)
	v_fma_f64 v[17:18], 0xc1f00000, v[15:16], v[4:5]
	v_cvt_i32_f64_e32 v5, v[15:16]
	v_cvt_u32_f64_e32 v4, v[17:18]
	s_branch .LBB305_1140
.LBB305_1130:
	s_mov_b32 s2, 0
                                        ; implicit-def: $vgpr4_vgpr5
	s_cbranch_execnz .LBB305_1209
	s_branch .LBB305_1236
.LBB305_1131:
                                        ; implicit-def: $vgpr4_vgpr5
	s_branch .LBB305_1157
.LBB305_1132:
	s_mov_b32 s2, 0
                                        ; implicit-def: $vgpr4_vgpr5
	s_cbranch_execz .LBB305_1208
	s_branch .LBB305_1191
.LBB305_1133:
                                        ; implicit-def: $vgpr4_vgpr5
	s_branch .LBB305_1146
.LBB305_1134:
	s_mov_b32 s2, 0
                                        ; implicit-def: $vgpr4_vgpr5
	s_cbranch_execnz .LBB305_1187
	s_branch .LBB305_1190
.LBB305_1135:
	s_mov_b32 s0, -1
                                        ; implicit-def: $vgpr4_vgpr5
	s_branch .LBB305_1143
.LBB305_1136:
	s_cbranch_execnz .LBB305_1178
; %bb.1137:
	s_or_b32 s3, s3, exec_lo
	s_and_not1_b32 s12, s12, exec_lo
	s_or_b32 exec_lo, exec_lo, s2
	s_and_saveexec_b32 s2, s12
	s_delay_alu instid0(SALU_CYCLE_1)
	s_xor_b32 s2, exec_lo, s2
	s_cbranch_execnz .LBB305_1024
	s_branch .LBB305_1025
.LBB305_1138:
	s_mov_b32 s1, -1
	s_mov_b32 s2, 0
	s_branch .LBB305_1181
.LBB305_1139:
	s_mov_b32 s0, -1
                                        ; implicit-def: $vgpr4_vgpr5
.LBB305_1140:
	s_delay_alu instid0(SALU_CYCLE_1)
	s_and_not1_b32 vcc_lo, exec_lo, s0
	s_cbranch_vccnz .LBB305_1142
; %bb.1141:
	global_load_b32 v4, v[11:12], off
	s_waitcnt vmcnt(0)
	v_trunc_f32_e32 v4, v4
	s_delay_alu instid0(VALU_DEP_1) | instskip(SKIP_1) | instid1(VALU_DEP_2)
	v_mul_f32_e64 v5, 0x2f800000, |v4|
	v_ashrrev_i32_e32 v9, 31, v4
	v_floor_f32_e32 v5, v5
	s_delay_alu instid0(VALU_DEP_1) | instskip(SKIP_1) | instid1(VALU_DEP_2)
	v_fma_f32 v7, 0xcf800000, v5, |v4|
	v_cvt_u32_f32_e32 v5, v5
	v_cvt_u32_f32_e32 v4, v7
	s_delay_alu instid0(VALU_DEP_2) | instskip(NEXT) | instid1(VALU_DEP_2)
	v_xor_b32_e32 v5, v5, v9
	v_xor_b32_e32 v4, v4, v9
	s_delay_alu instid0(VALU_DEP_1) | instskip(NEXT) | instid1(VALU_DEP_3)
	v_sub_co_u32 v4, vcc_lo, v4, v9
	v_sub_co_ci_u32_e32 v5, vcc_lo, v5, v9, vcc_lo
.LBB305_1142:
	s_mov_b32 s0, 0
.LBB305_1143:
	s_delay_alu instid0(SALU_CYCLE_1)
	s_and_not1_b32 vcc_lo, exec_lo, s0
	s_cbranch_vccnz .LBB305_1145
; %bb.1144:
	global_load_b32 v4, v[11:12], off
	s_waitcnt vmcnt(0)
	v_cvt_f32_f16_e32 v4, v4
	s_delay_alu instid0(VALU_DEP_1) | instskip(NEXT) | instid1(VALU_DEP_1)
	v_cvt_i32_f32_e32 v4, v4
	v_ashrrev_i32_e32 v5, 31, v4
.LBB305_1145:
	s_cbranch_execnz .LBB305_1156
.LBB305_1146:
	v_cmp_gt_i16_e32 vcc_lo, 6, v14
	s_cbranch_vccnz .LBB305_1149
; %bb.1147:
	v_cmp_lt_i16_e32 vcc_lo, 6, v14
	s_cbranch_vccz .LBB305_1150
; %bb.1148:
	global_load_b64 v[4:5], v[11:12], off
	s_mov_b32 s0, 0
	s_waitcnt vmcnt(0)
	v_trunc_f64_e32 v[4:5], v[4:5]
	s_delay_alu instid0(VALU_DEP_1) | instskip(NEXT) | instid1(VALU_DEP_1)
	v_ldexp_f64 v[15:16], v[4:5], 0xffffffe0
	v_floor_f64_e32 v[15:16], v[15:16]
	s_delay_alu instid0(VALU_DEP_1) | instskip(SKIP_1) | instid1(VALU_DEP_2)
	v_fma_f64 v[17:18], 0xc1f00000, v[15:16], v[4:5]
	v_cvt_i32_f64_e32 v5, v[15:16]
	v_cvt_u32_f64_e32 v4, v[17:18]
	s_branch .LBB305_1151
.LBB305_1149:
	s_mov_b32 s0, -1
                                        ; implicit-def: $vgpr4_vgpr5
	s_branch .LBB305_1154
.LBB305_1150:
	s_mov_b32 s0, -1
                                        ; implicit-def: $vgpr4_vgpr5
.LBB305_1151:
	s_delay_alu instid0(SALU_CYCLE_1)
	s_and_not1_b32 vcc_lo, exec_lo, s0
	s_cbranch_vccnz .LBB305_1153
; %bb.1152:
	global_load_b32 v4, v[11:12], off
	s_waitcnt vmcnt(0)
	v_trunc_f32_e32 v4, v4
	s_delay_alu instid0(VALU_DEP_1) | instskip(SKIP_1) | instid1(VALU_DEP_2)
	v_mul_f32_e64 v5, 0x2f800000, |v4|
	v_ashrrev_i32_e32 v9, 31, v4
	v_floor_f32_e32 v5, v5
	s_delay_alu instid0(VALU_DEP_1) | instskip(SKIP_1) | instid1(VALU_DEP_2)
	v_fma_f32 v7, 0xcf800000, v5, |v4|
	v_cvt_u32_f32_e32 v5, v5
	v_cvt_u32_f32_e32 v4, v7
	s_delay_alu instid0(VALU_DEP_2) | instskip(NEXT) | instid1(VALU_DEP_2)
	v_xor_b32_e32 v5, v5, v9
	v_xor_b32_e32 v4, v4, v9
	s_delay_alu instid0(VALU_DEP_1) | instskip(NEXT) | instid1(VALU_DEP_3)
	v_sub_co_u32 v4, vcc_lo, v4, v9
	v_sub_co_ci_u32_e32 v5, vcc_lo, v5, v9, vcc_lo
.LBB305_1153:
	s_mov_b32 s0, 0
.LBB305_1154:
	s_delay_alu instid0(SALU_CYCLE_1)
	s_and_not1_b32 vcc_lo, exec_lo, s0
	s_cbranch_vccnz .LBB305_1156
; %bb.1155:
	global_load_u16 v4, v[11:12], off
	s_waitcnt vmcnt(0)
	v_cvt_f32_f16_e32 v4, v4
	s_delay_alu instid0(VALU_DEP_1) | instskip(NEXT) | instid1(VALU_DEP_1)
	v_cvt_i32_f32_e32 v4, v4
	v_ashrrev_i32_e32 v5, 31, v4
.LBB305_1156:
	s_cbranch_execnz .LBB305_1175
.LBB305_1157:
	v_cmp_gt_i16_e32 vcc_lo, 2, v14
	s_cbranch_vccnz .LBB305_1161
; %bb.1158:
	v_cmp_gt_i16_e32 vcc_lo, 3, v14
	s_cbranch_vccnz .LBB305_1162
; %bb.1159:
	v_cmp_lt_i16_e32 vcc_lo, 3, v14
	s_cbranch_vccz .LBB305_1163
; %bb.1160:
	global_load_b64 v[4:5], v[11:12], off
	s_mov_b32 s0, 0
	s_branch .LBB305_1164
.LBB305_1161:
                                        ; implicit-def: $vgpr4_vgpr5
	s_branch .LBB305_1170
.LBB305_1162:
	s_mov_b32 s0, -1
                                        ; implicit-def: $vgpr4_vgpr5
	s_branch .LBB305_1167
.LBB305_1163:
	s_mov_b32 s0, -1
                                        ; implicit-def: $vgpr4_vgpr5
.LBB305_1164:
	s_delay_alu instid0(SALU_CYCLE_1)
	s_and_not1_b32 vcc_lo, exec_lo, s0
	s_cbranch_vccnz .LBB305_1166
; %bb.1165:
	global_load_b32 v4, v[11:12], off
	s_waitcnt vmcnt(0)
	v_ashrrev_i32_e32 v5, 31, v4
.LBB305_1166:
	s_mov_b32 s0, 0
.LBB305_1167:
	s_delay_alu instid0(SALU_CYCLE_1)
	s_and_not1_b32 vcc_lo, exec_lo, s0
	s_cbranch_vccnz .LBB305_1169
; %bb.1168:
	global_load_u16 v4, v[11:12], off
	s_waitcnt vmcnt(0)
	v_bfe_i32 v4, v4, 0, 16
	s_delay_alu instid0(VALU_DEP_1)
	v_ashrrev_i32_e32 v5, 31, v4
.LBB305_1169:
	s_cbranch_execnz .LBB305_1175
.LBB305_1170:
	v_cmp_lt_i16_e32 vcc_lo, 0, v14
	s_mov_b32 s0, 0
	s_cbranch_vccz .LBB305_1172
; %bb.1171:
	global_load_i8 v4, v[11:12], off
	s_waitcnt vmcnt(0)
	v_bfe_i32 v4, v4, 0, 16
	s_delay_alu instid0(VALU_DEP_1)
	v_ashrrev_i32_e32 v5, 31, v4
	s_branch .LBB305_1173
.LBB305_1172:
	s_mov_b32 s0, -1
                                        ; implicit-def: $vgpr4_vgpr5
.LBB305_1173:
	s_delay_alu instid0(SALU_CYCLE_1)
	s_and_not1_b32 vcc_lo, exec_lo, s0
	s_cbranch_vccnz .LBB305_1175
; %bb.1174:
	global_load_u8 v4, v[11:12], off
	s_mov_b32 s0, 0
	s_waitcnt vmcnt(0)
	v_dual_mov_b32 v5, s0 :: v_dual_and_b32 v4, 0xffff, v4
.LBB305_1175:
	s_branch .LBB305_1241
.LBB305_1176:
	s_trap 2
	s_sendmsg_rtn_b32 s0, sendmsg(MSG_RTN_GET_DOORBELL)
	s_mov_b32 ttmp2, m0
	s_waitcnt lgkmcnt(0)
	s_and_b32 s0, s0, 0x3ff
	s_delay_alu instid0(SALU_CYCLE_1) | instskip(NEXT) | instid1(SALU_CYCLE_1)
	s_bitset1_b32 s0, 10
	s_mov_b32 m0, s0
	s_sendmsg sendmsg(MSG_INTERRUPT)
	s_mov_b32 m0, ttmp2
.LBB305_1177:                           ; =>This Inner Loop Header: Depth=1
	s_sethalt 5
	s_branch .LBB305_1177
.LBB305_1178:
	s_trap 2
	s_sendmsg_rtn_b32 s0, sendmsg(MSG_RTN_GET_DOORBELL)
	s_mov_b32 ttmp2, m0
	s_waitcnt lgkmcnt(0)
	s_and_b32 s0, s0, 0x3ff
	s_delay_alu instid0(SALU_CYCLE_1) | instskip(NEXT) | instid1(SALU_CYCLE_1)
	s_bitset1_b32 s0, 10
	s_mov_b32 m0, s0
	s_sendmsg sendmsg(MSG_INTERRUPT)
	s_mov_b32 m0, ttmp2
.LBB305_1179:                           ; =>This Inner Loop Header: Depth=1
	s_sethalt 5
	s_branch .LBB305_1179
.LBB305_1180:
	s_mov_b32 s2, -1
.LBB305_1181:
                                        ; implicit-def: $vgpr4_vgpr5
.LBB305_1182:
	s_and_b32 vcc_lo, exec_lo, s1
	s_cbranch_vccz .LBB305_1185
; %bb.1183:
	v_cmp_eq_u16_e32 vcc_lo, 44, v14
	s_cbranch_vccz .LBB305_1186
; %bb.1184:
	global_load_u8 v4, v[11:12], off
	s_mov_b32 s2, 0
	s_mov_b32 s0, -1
	s_waitcnt vmcnt(0)
	v_lshlrev_b32_e32 v5, 23, v4
	s_delay_alu instid0(VALU_DEP_1) | instskip(NEXT) | instid1(VALU_DEP_1)
	v_trunc_f32_e32 v5, v5
	v_mul_f32_e64 v7, 0x2f800000, |v5|
	s_delay_alu instid0(VALU_DEP_1) | instskip(NEXT) | instid1(VALU_DEP_1)
	v_floor_f32_e32 v7, v7
	v_fma_f32 v9, 0xcf800000, v7, |v5|
	v_ashrrev_i32_e32 v5, 31, v5
	v_cvt_u32_f32_e32 v7, v7
	s_delay_alu instid0(VALU_DEP_3) | instskip(NEXT) | instid1(VALU_DEP_2)
	v_cvt_u32_f32_e32 v9, v9
	v_xor_b32_e32 v7, v7, v5
	s_delay_alu instid0(VALU_DEP_2) | instskip(NEXT) | instid1(VALU_DEP_1)
	v_xor_b32_e32 v9, v9, v5
	v_sub_co_u32 v9, vcc_lo, v9, v5
	s_delay_alu instid0(VALU_DEP_3) | instskip(SKIP_1) | instid1(VALU_DEP_3)
	v_sub_co_ci_u32_e32 v5, vcc_lo, v7, v5, vcc_lo
	v_cmp_ne_u32_e32 vcc_lo, 0, v4
	v_cndmask_b32_e32 v4, 0, v9, vcc_lo
	s_delay_alu instid0(VALU_DEP_3)
	v_cndmask_b32_e32 v5, 0, v5, vcc_lo
.LBB305_1185:
	s_branch .LBB305_1190
.LBB305_1186:
	s_mov_b32 s2, -1
                                        ; implicit-def: $vgpr4_vgpr5
	s_branch .LBB305_1190
.LBB305_1187:
	v_cmp_eq_u16_e32 vcc_lo, 29, v14
	s_cbranch_vccz .LBB305_1189
; %bb.1188:
	global_load_b64 v[4:5], v[11:12], off
	s_mov_b32 s2, 0
	s_mov_b32 s0, -1
	s_branch .LBB305_1190
.LBB305_1189:
	s_mov_b32 s2, -1
                                        ; implicit-def: $vgpr4_vgpr5
.LBB305_1190:
	s_branch .LBB305_1208
.LBB305_1191:
	v_cmp_gt_i16_e32 vcc_lo, 27, v14
	s_cbranch_vccnz .LBB305_1194
; %bb.1192:
	v_cmp_lt_i16_e32 vcc_lo, 27, v14
	s_cbranch_vccz .LBB305_1195
; %bb.1193:
	global_load_b32 v4, v[11:12], off
	s_waitcnt vmcnt(1)
	v_mov_b32_e32 v5, 0
	s_mov_b32 s0, 0
	s_branch .LBB305_1196
.LBB305_1194:
	s_mov_b32 s0, -1
                                        ; implicit-def: $vgpr4_vgpr5
	s_branch .LBB305_1199
.LBB305_1195:
	s_mov_b32 s0, -1
                                        ; implicit-def: $vgpr4_vgpr5
.LBB305_1196:
	s_delay_alu instid0(SALU_CYCLE_1)
	s_and_not1_b32 vcc_lo, exec_lo, s0
	s_cbranch_vccnz .LBB305_1198
; %bb.1197:
	global_load_u16 v4, v[11:12], off
	s_mov_b32 s0, 0
	s_waitcnt vmcnt(0)
	v_dual_mov_b32 v5, s0 :: v_dual_and_b32 v4, 0xffff, v4
.LBB305_1198:
	s_mov_b32 s0, 0
.LBB305_1199:
	s_delay_alu instid0(SALU_CYCLE_1)
	s_and_not1_b32 vcc_lo, exec_lo, s0
	s_cbranch_vccnz .LBB305_1207
; %bb.1200:
	global_load_u8 v7, v[11:12], off
	s_mov_b32 s14, 0
	s_mov_b32 s15, exec_lo
                                        ; implicit-def: $sgpr0_sgpr1
	s_waitcnt vmcnt(0)
	v_cmpx_lt_i16_e32 0x7f, v7
	s_xor_b32 s15, exec_lo, s15
; %bb.1201:
	v_cmp_ne_u16_e32 vcc_lo, 0x80, v7
	s_mov_b64 s[0:1], 0
	s_and_b32 s14, vcc_lo, exec_lo
; %bb.1202:
	s_or_saveexec_b32 s15, s15
	v_dual_mov_b32 v5, s1 :: v_dual_mov_b32 v4, s0
	s_xor_b32 exec_lo, exec_lo, s15
; %bb.1203:
	v_cmp_ne_u16_e32 vcc_lo, 0, v7
	v_mov_b32_e32 v4, 0
	v_mov_b32_e32 v5, 0
	s_and_not1_b32 s0, s14, exec_lo
	s_and_b32 s1, vcc_lo, exec_lo
	s_delay_alu instid0(SALU_CYCLE_1)
	s_or_b32 s14, s0, s1
; %bb.1204:
	s_or_b32 exec_lo, exec_lo, s15
	s_and_saveexec_b32 s0, s14
	s_cbranch_execz .LBB305_1206
; %bb.1205:
	v_and_b32_e32 v4, 0xffff, v7
	v_lshlrev_b32_e32 v7, 24, v7
	s_delay_alu instid0(VALU_DEP_2) | instskip(NEXT) | instid1(VALU_DEP_2)
	v_and_b32_e32 v5, 7, v4
	v_and_b32_e32 v7, 0x80000000, v7
	s_delay_alu instid0(VALU_DEP_2) | instskip(NEXT) | instid1(VALU_DEP_1)
	v_clz_i32_u32_e32 v9, v5
	v_min_u32_e32 v9, 32, v9
	s_delay_alu instid0(VALU_DEP_1) | instskip(SKIP_1) | instid1(VALU_DEP_2)
	v_subrev_nc_u32_e32 v13, 28, v9
	v_sub_nc_u32_e32 v9, 29, v9
	v_lshlrev_b32_e32 v13, v13, v4
	v_bfe_u32 v4, v4, 3, 4
	s_delay_alu instid0(VALU_DEP_2) | instskip(NEXT) | instid1(VALU_DEP_2)
	v_and_b32_e32 v13, 7, v13
	v_cmp_eq_u32_e32 vcc_lo, 0, v4
	v_cndmask_b32_e32 v4, v4, v9, vcc_lo
	s_delay_alu instid0(VALU_DEP_3) | instskip(NEXT) | instid1(VALU_DEP_2)
	v_cndmask_b32_e32 v5, v5, v13, vcc_lo
	v_lshl_add_u32 v4, v4, 23, 0x3b800000
	s_delay_alu instid0(VALU_DEP_2) | instskip(NEXT) | instid1(VALU_DEP_1)
	v_lshlrev_b32_e32 v5, 20, v5
	v_or3_b32 v4, v7, v4, v5
	s_delay_alu instid0(VALU_DEP_1) | instskip(NEXT) | instid1(VALU_DEP_1)
	v_trunc_f32_e32 v4, v4
	v_mul_f32_e64 v5, 0x2f800000, |v4|
	v_ashrrev_i32_e32 v9, 31, v4
	s_delay_alu instid0(VALU_DEP_2) | instskip(NEXT) | instid1(VALU_DEP_1)
	v_floor_f32_e32 v5, v5
	v_fma_f32 v7, 0xcf800000, v5, |v4|
	v_cvt_u32_f32_e32 v5, v5
	s_delay_alu instid0(VALU_DEP_2) | instskip(NEXT) | instid1(VALU_DEP_2)
	v_cvt_u32_f32_e32 v4, v7
	v_xor_b32_e32 v5, v5, v9
	s_delay_alu instid0(VALU_DEP_2) | instskip(NEXT) | instid1(VALU_DEP_1)
	v_xor_b32_e32 v4, v4, v9
	v_sub_co_u32 v4, vcc_lo, v4, v9
	s_delay_alu instid0(VALU_DEP_3)
	v_sub_co_ci_u32_e32 v5, vcc_lo, v5, v9, vcc_lo
.LBB305_1206:
	s_or_b32 exec_lo, exec_lo, s0
.LBB305_1207:
	s_mov_b32 s0, -1
.LBB305_1208:
	s_branch .LBB305_1236
.LBB305_1209:
	v_cmp_lt_i16_e32 vcc_lo, 22, v14
	s_cbranch_vccz .LBB305_1219
; %bb.1210:
	v_cmp_gt_i16_e32 vcc_lo, 24, v14
	s_cbranch_vccnz .LBB305_1220
; %bb.1211:
	v_cmp_lt_i16_e32 vcc_lo, 24, v14
	s_cbranch_vccz .LBB305_1221
; %bb.1212:
	global_load_u8 v7, v[11:12], off
	s_mov_b32 s14, exec_lo
                                        ; implicit-def: $sgpr0_sgpr1
	s_waitcnt vmcnt(0)
	v_cmpx_lt_i16_e32 0x7f, v7
	s_xor_b32 s14, exec_lo, s14
; %bb.1213:
	v_cmp_ne_u16_e32 vcc_lo, 0x80, v7
	s_mov_b64 s[0:1], 0
	s_and_b32 s3, vcc_lo, exec_lo
; %bb.1214:
	s_or_saveexec_b32 s14, s14
	v_dual_mov_b32 v5, s1 :: v_dual_mov_b32 v4, s0
	s_xor_b32 exec_lo, exec_lo, s14
; %bb.1215:
	v_cmp_ne_u16_e32 vcc_lo, 0, v7
	v_mov_b32_e32 v4, 0
	v_mov_b32_e32 v5, 0
	s_and_not1_b32 s0, s3, exec_lo
	s_and_b32 s1, vcc_lo, exec_lo
	s_delay_alu instid0(SALU_CYCLE_1)
	s_or_b32 s3, s0, s1
; %bb.1216:
	s_or_b32 exec_lo, exec_lo, s14
	s_and_saveexec_b32 s0, s3
	s_cbranch_execz .LBB305_1218
; %bb.1217:
	v_and_b32_e32 v4, 0xffff, v7
	v_lshlrev_b32_e32 v7, 24, v7
	s_delay_alu instid0(VALU_DEP_2) | instskip(NEXT) | instid1(VALU_DEP_2)
	v_and_b32_e32 v5, 3, v4
	v_and_b32_e32 v7, 0x80000000, v7
	s_delay_alu instid0(VALU_DEP_2) | instskip(NEXT) | instid1(VALU_DEP_1)
	v_clz_i32_u32_e32 v9, v5
	v_min_u32_e32 v9, 32, v9
	s_delay_alu instid0(VALU_DEP_1) | instskip(SKIP_1) | instid1(VALU_DEP_2)
	v_subrev_nc_u32_e32 v13, 29, v9
	v_sub_nc_u32_e32 v9, 30, v9
	v_lshlrev_b32_e32 v13, v13, v4
	v_bfe_u32 v4, v4, 2, 5
	s_delay_alu instid0(VALU_DEP_2) | instskip(NEXT) | instid1(VALU_DEP_2)
	v_and_b32_e32 v13, 3, v13
	v_cmp_eq_u32_e32 vcc_lo, 0, v4
	v_cndmask_b32_e32 v4, v4, v9, vcc_lo
	s_delay_alu instid0(VALU_DEP_3) | instskip(NEXT) | instid1(VALU_DEP_2)
	v_cndmask_b32_e32 v5, v5, v13, vcc_lo
	v_lshl_add_u32 v4, v4, 23, 0x37800000
	s_delay_alu instid0(VALU_DEP_2) | instskip(NEXT) | instid1(VALU_DEP_1)
	v_lshlrev_b32_e32 v5, 21, v5
	v_or3_b32 v4, v7, v4, v5
	s_delay_alu instid0(VALU_DEP_1) | instskip(NEXT) | instid1(VALU_DEP_1)
	v_trunc_f32_e32 v4, v4
	v_mul_f32_e64 v5, 0x2f800000, |v4|
	v_ashrrev_i32_e32 v9, 31, v4
	s_delay_alu instid0(VALU_DEP_2) | instskip(NEXT) | instid1(VALU_DEP_1)
	v_floor_f32_e32 v5, v5
	v_fma_f32 v7, 0xcf800000, v5, |v4|
	v_cvt_u32_f32_e32 v5, v5
	s_delay_alu instid0(VALU_DEP_2) | instskip(NEXT) | instid1(VALU_DEP_2)
	v_cvt_u32_f32_e32 v4, v7
	v_xor_b32_e32 v5, v5, v9
	s_delay_alu instid0(VALU_DEP_2) | instskip(NEXT) | instid1(VALU_DEP_1)
	v_xor_b32_e32 v4, v4, v9
	v_sub_co_u32 v4, vcc_lo, v4, v9
	s_delay_alu instid0(VALU_DEP_3)
	v_sub_co_ci_u32_e32 v5, vcc_lo, v5, v9, vcc_lo
.LBB305_1218:
	s_or_b32 exec_lo, exec_lo, s0
	s_mov_b32 s0, 0
	s_branch .LBB305_1222
.LBB305_1219:
                                        ; implicit-def: $vgpr4_vgpr5
	s_mov_b32 s3, 0
	s_branch .LBB305_1228
.LBB305_1220:
	s_mov_b32 s0, -1
                                        ; implicit-def: $vgpr4_vgpr5
	s_branch .LBB305_1225
.LBB305_1221:
	s_mov_b32 s0, -1
                                        ; implicit-def: $vgpr4_vgpr5
.LBB305_1222:
	s_delay_alu instid0(SALU_CYCLE_1)
	s_and_b32 vcc_lo, exec_lo, s0
	s_cbranch_vccz .LBB305_1224
; %bb.1223:
	global_load_u8 v4, v[11:12], off
	s_waitcnt vmcnt(0)
	v_lshlrev_b32_e32 v4, 24, v4
	s_delay_alu instid0(VALU_DEP_1) | instskip(NEXT) | instid1(VALU_DEP_1)
	v_and_b32_e32 v5, 0x7f000000, v4
	v_clz_i32_u32_e32 v7, v5
	v_add_nc_u32_e32 v13, 0x1000000, v5
	v_cmp_ne_u32_e32 vcc_lo, 0, v5
	s_delay_alu instid0(VALU_DEP_3) | instskip(NEXT) | instid1(VALU_DEP_1)
	v_min_u32_e32 v7, 32, v7
	v_sub_nc_u32_e64 v7, v7, 4 clamp
	s_delay_alu instid0(VALU_DEP_1) | instskip(SKIP_1) | instid1(VALU_DEP_2)
	v_lshlrev_b32_e32 v9, v7, v5
	v_lshlrev_b32_e32 v7, 23, v7
	v_lshrrev_b32_e32 v9, 4, v9
	s_delay_alu instid0(VALU_DEP_1) | instskip(SKIP_1) | instid1(VALU_DEP_2)
	v_sub_nc_u32_e32 v7, v9, v7
	v_ashrrev_i32_e32 v9, 8, v13
	v_add_nc_u32_e32 v7, 0x3c000000, v7
	s_delay_alu instid0(VALU_DEP_1) | instskip(NEXT) | instid1(VALU_DEP_1)
	v_and_or_b32 v7, 0x7f800000, v9, v7
	v_cndmask_b32_e32 v5, 0, v7, vcc_lo
	s_delay_alu instid0(VALU_DEP_1) | instskip(NEXT) | instid1(VALU_DEP_1)
	v_and_or_b32 v4, 0x80000000, v4, v5
	v_trunc_f32_e32 v4, v4
	s_delay_alu instid0(VALU_DEP_1) | instskip(SKIP_1) | instid1(VALU_DEP_2)
	v_mul_f32_e64 v5, 0x2f800000, |v4|
	v_ashrrev_i32_e32 v9, 31, v4
	v_floor_f32_e32 v5, v5
	s_delay_alu instid0(VALU_DEP_1) | instskip(SKIP_1) | instid1(VALU_DEP_2)
	v_fma_f32 v7, 0xcf800000, v5, |v4|
	v_cvt_u32_f32_e32 v5, v5
	v_cvt_u32_f32_e32 v4, v7
	s_delay_alu instid0(VALU_DEP_2) | instskip(NEXT) | instid1(VALU_DEP_2)
	v_xor_b32_e32 v5, v5, v9
	v_xor_b32_e32 v4, v4, v9
	s_delay_alu instid0(VALU_DEP_1) | instskip(NEXT) | instid1(VALU_DEP_3)
	v_sub_co_u32 v4, vcc_lo, v4, v9
	v_sub_co_ci_u32_e32 v5, vcc_lo, v5, v9, vcc_lo
.LBB305_1224:
	s_mov_b32 s0, 0
.LBB305_1225:
	s_delay_alu instid0(SALU_CYCLE_1)
	s_and_not1_b32 vcc_lo, exec_lo, s0
	s_cbranch_vccnz .LBB305_1227
; %bb.1226:
	global_load_u8 v4, v[11:12], off
	s_waitcnt vmcnt(0)
	v_lshlrev_b32_e32 v5, 25, v4
	v_lshlrev_b16 v4, 8, v4
	s_delay_alu instid0(VALU_DEP_2) | instskip(NEXT) | instid1(VALU_DEP_2)
	v_lshrrev_b32_e32 v7, 4, v5
	v_and_or_b32 v9, 0x7f00, v4, 0.5
	v_cmp_gt_u32_e32 vcc_lo, 0x8000000, v5
	v_bfe_i32 v4, v4, 0, 16
	s_delay_alu instid0(VALU_DEP_4) | instskip(NEXT) | instid1(VALU_DEP_4)
	v_or_b32_e32 v7, 0x70000000, v7
	v_add_f32_e32 v9, -0.5, v9
	s_delay_alu instid0(VALU_DEP_2) | instskip(NEXT) | instid1(VALU_DEP_1)
	v_mul_f32_e32 v7, 0x7800000, v7
	v_cndmask_b32_e32 v5, v7, v9, vcc_lo
	s_delay_alu instid0(VALU_DEP_1) | instskip(NEXT) | instid1(VALU_DEP_1)
	v_and_or_b32 v4, 0x80000000, v4, v5
	v_trunc_f32_e32 v4, v4
	s_delay_alu instid0(VALU_DEP_1) | instskip(SKIP_1) | instid1(VALU_DEP_2)
	v_mul_f32_e64 v5, 0x2f800000, |v4|
	v_ashrrev_i32_e32 v9, 31, v4
	v_floor_f32_e32 v5, v5
	s_delay_alu instid0(VALU_DEP_1) | instskip(SKIP_1) | instid1(VALU_DEP_2)
	v_fma_f32 v7, 0xcf800000, v5, |v4|
	v_cvt_u32_f32_e32 v5, v5
	v_cvt_u32_f32_e32 v4, v7
	s_delay_alu instid0(VALU_DEP_2) | instskip(NEXT) | instid1(VALU_DEP_2)
	v_xor_b32_e32 v5, v5, v9
	v_xor_b32_e32 v4, v4, v9
	s_delay_alu instid0(VALU_DEP_1) | instskip(NEXT) | instid1(VALU_DEP_3)
	v_sub_co_u32 v4, vcc_lo, v4, v9
	v_sub_co_ci_u32_e32 v5, vcc_lo, v5, v9, vcc_lo
.LBB305_1227:
	s_mov_b32 s0, -1
	s_mov_b32 s3, 0
	s_cbranch_execnz .LBB305_1236
.LBB305_1228:
	v_cmp_lt_i16_e32 vcc_lo, 14, v14
	s_cbranch_vccz .LBB305_1231
; %bb.1229:
	v_cmp_eq_u16_e32 vcc_lo, 15, v14
	s_cbranch_vccz .LBB305_1232
; %bb.1230:
	global_load_u16 v4, v[11:12], off
	s_mov_b32 s2, 0
	s_mov_b32 s0, -1
	s_waitcnt vmcnt(0)
	v_lshlrev_b32_e32 v4, 16, v4
	s_delay_alu instid0(VALU_DEP_1) | instskip(NEXT) | instid1(VALU_DEP_1)
	v_trunc_f32_e32 v4, v4
	v_mul_f32_e64 v5, 0x2f800000, |v4|
	v_ashrrev_i32_e32 v9, 31, v4
	s_delay_alu instid0(VALU_DEP_2) | instskip(NEXT) | instid1(VALU_DEP_1)
	v_floor_f32_e32 v5, v5
	v_fma_f32 v7, 0xcf800000, v5, |v4|
	v_cvt_u32_f32_e32 v5, v5
	s_delay_alu instid0(VALU_DEP_2) | instskip(NEXT) | instid1(VALU_DEP_2)
	v_cvt_u32_f32_e32 v4, v7
	v_xor_b32_e32 v5, v5, v9
	s_delay_alu instid0(VALU_DEP_2) | instskip(NEXT) | instid1(VALU_DEP_1)
	v_xor_b32_e32 v4, v4, v9
	v_sub_co_u32 v4, vcc_lo, v4, v9
	s_delay_alu instid0(VALU_DEP_3)
	v_sub_co_ci_u32_e32 v5, vcc_lo, v5, v9, vcc_lo
	s_branch .LBB305_1233
.LBB305_1231:
	s_mov_b32 s1, -1
                                        ; implicit-def: $vgpr4_vgpr5
	s_branch .LBB305_1234
.LBB305_1232:
	s_mov_b32 s2, -1
                                        ; implicit-def: $vgpr4_vgpr5
.LBB305_1233:
	s_mov_b32 s1, 0
.LBB305_1234:
	s_delay_alu instid0(SALU_CYCLE_1)
	s_and_b32 vcc_lo, exec_lo, s1
	s_cbranch_vccz .LBB305_1236
; %bb.1235:
	v_cmp_ne_u16_e64 s2, 11, v14
	s_mov_b32 s3, -1
                                        ; implicit-def: $vgpr4_vgpr5
.LBB305_1236:
	s_delay_alu instid0(VALU_DEP_1)
	s_and_b32 vcc_lo, exec_lo, s2
	s_mov_b32 s2, s12
	s_cbranch_vccnz .LBB305_1260
; %bb.1237:
	s_and_not1_b32 vcc_lo, exec_lo, s3
	s_cbranch_vccnz .LBB305_1239
.LBB305_1238:
	global_load_u8 v4, v[11:12], off
	s_mov_b32 s0, 0
	s_waitcnt vmcnt(1)
	v_mov_b32_e32 v5, s0
	s_mov_b32 s0, -1
	s_waitcnt vmcnt(0)
	v_cmp_ne_u16_e32 vcc_lo, 0, v4
	v_cndmask_b32_e64 v4, 0, 1, vcc_lo
.LBB305_1239:
.LBB305_1240:
	s_and_not1_b32 vcc_lo, exec_lo, s0
	s_cbranch_vccnz .LBB305_2020
.LBB305_1241:
	v_cmp_gt_i16_e32 vcc_lo, 11, v14
	v_add_co_u32 v11, s0, s6, v6
	s_delay_alu instid0(VALU_DEP_1)
	v_add_co_ci_u32_e64 v12, null, s7, 0, s0
	s_mov_b32 s0, 0
	s_cbranch_vccnz .LBB305_1248
; %bb.1242:
	v_cmp_lt_i16_e32 vcc_lo, 25, v14
	s_mov_b32 s14, 0
	s_cbranch_vccz .LBB305_1254
; %bb.1243:
	v_cmp_lt_i16_e32 vcc_lo, 28, v14
	s_cbranch_vccz .LBB305_1256
; %bb.1244:
	v_cmp_lt_i16_e32 vcc_lo, 43, v14
	;; [unrolled: 3-line block ×3, first 2 shown]
	s_cbranch_vccz .LBB305_1264
; %bb.1246:
	v_cmp_eq_u16_e32 vcc_lo, 46, v14
	s_mov_b32 s1, 0
	s_cbranch_vccz .LBB305_1308
; %bb.1247:
	global_load_b32 v6, v[11:12], off
	s_mov_b32 s3, 0
	s_mov_b32 s0, -1
	s_waitcnt vmcnt(0)
	v_lshlrev_b32_e32 v6, 16, v6
	s_delay_alu instid0(VALU_DEP_1) | instskip(NEXT) | instid1(VALU_DEP_1)
	v_trunc_f32_e32 v6, v6
	v_mul_f32_e64 v7, 0x2f800000, |v6|
	v_ashrrev_i32_e32 v13, 31, v6
	s_delay_alu instid0(VALU_DEP_2) | instskip(NEXT) | instid1(VALU_DEP_1)
	v_floor_f32_e32 v7, v7
	v_fma_f32 v9, 0xcf800000, v7, |v6|
	v_cvt_u32_f32_e32 v7, v7
	s_delay_alu instid0(VALU_DEP_2) | instskip(NEXT) | instid1(VALU_DEP_2)
	v_cvt_u32_f32_e32 v6, v9
	v_xor_b32_e32 v7, v7, v13
	s_delay_alu instid0(VALU_DEP_2) | instskip(NEXT) | instid1(VALU_DEP_1)
	v_xor_b32_e32 v6, v6, v13
	v_sub_co_u32 v6, vcc_lo, v6, v13
	s_delay_alu instid0(VALU_DEP_3)
	v_sub_co_ci_u32_e32 v7, vcc_lo, v7, v13, vcc_lo
	s_branch .LBB305_1310
.LBB305_1248:
                                        ; implicit-def: $vgpr6_vgpr7
	s_cbranch_execz .LBB305_1371
; %bb.1249:
	v_cmp_gt_i16_e32 vcc_lo, 5, v14
	s_cbranch_vccnz .LBB305_1255
; %bb.1250:
	v_cmp_gt_i16_e32 vcc_lo, 8, v14
	s_cbranch_vccnz .LBB305_1257
	;; [unrolled: 3-line block ×3, first 2 shown]
; %bb.1252:
	v_cmp_lt_i16_e32 vcc_lo, 9, v14
	s_cbranch_vccz .LBB305_1265
; %bb.1253:
	global_load_b64 v[6:7], v[11:12], off
	s_mov_b32 s0, 0
	s_waitcnt vmcnt(0)
	v_trunc_f64_e32 v[6:7], v[6:7]
	s_delay_alu instid0(VALU_DEP_1) | instskip(NEXT) | instid1(VALU_DEP_1)
	v_ldexp_f64 v[15:16], v[6:7], 0xffffffe0
	v_floor_f64_e32 v[15:16], v[15:16]
	s_delay_alu instid0(VALU_DEP_1) | instskip(SKIP_1) | instid1(VALU_DEP_2)
	v_fma_f64 v[17:18], 0xc1f00000, v[15:16], v[6:7]
	v_cvt_i32_f64_e32 v7, v[15:16]
	v_cvt_u32_f64_e32 v6, v[17:18]
	s_branch .LBB305_1266
.LBB305_1254:
	s_mov_b32 s3, 0
                                        ; implicit-def: $vgpr6_vgpr7
	s_cbranch_execnz .LBB305_1339
	s_branch .LBB305_1367
.LBB305_1255:
                                        ; implicit-def: $vgpr6_vgpr7
	s_branch .LBB305_1284
.LBB305_1256:
	s_mov_b32 s1, -1
	s_mov_b32 s3, 0
                                        ; implicit-def: $vgpr6_vgpr7
	s_branch .LBB305_1320
.LBB305_1257:
	s_mov_b32 s0, -1
                                        ; implicit-def: $vgpr6_vgpr7
	s_branch .LBB305_1272
.LBB305_1258:
	s_mov_b32 s1, -1
	s_mov_b32 s3, 0
                                        ; implicit-def: $vgpr6_vgpr7
	s_branch .LBB305_1315
.LBB305_1259:
	s_mov_b32 s0, -1
                                        ; implicit-def: $vgpr6_vgpr7
	s_branch .LBB305_1269
.LBB305_1260:
	s_cbranch_execnz .LBB305_1304
; %bb.1261:
	s_or_b32 s2, s12, exec_lo
                                        ; implicit-def: $vgpr4_vgpr5
	s_cbranch_execz .LBB305_1238
	s_branch .LBB305_1239
.LBB305_1262:
	s_or_saveexec_b32 s7, s7
                                        ; implicit-def: $sgpr8
	s_delay_alu instid0(SALU_CYCLE_1)
	s_xor_b32 exec_lo, exec_lo, s7
	s_cbranch_execz .LBB305_975
.LBB305_1263:
	v_add_f32_e64 v5, 0x46000000, |v0|
	s_and_not1_b32 s5, s5, exec_lo
	s_mov_b32 s8, 0
	s_delay_alu instid0(VALU_DEP_1) | instskip(NEXT) | instid1(VALU_DEP_1)
	v_and_b32_e32 v5, 0xff, v5
	v_cmp_ne_u32_e32 vcc_lo, 0, v5
	s_and_b32 s9, vcc_lo, exec_lo
	s_delay_alu instid0(SALU_CYCLE_1)
	s_or_b32 s5, s5, s9
	s_or_b32 exec_lo, exec_lo, s7
	v_mov_b32_e32 v6, s8
	s_and_saveexec_b32 s7, s5
	s_cbranch_execnz .LBB305_976
	s_branch .LBB305_977
.LBB305_1264:
	s_mov_b32 s1, -1
	s_mov_b32 s3, 0
	s_branch .LBB305_1309
.LBB305_1265:
	s_mov_b32 s0, -1
                                        ; implicit-def: $vgpr6_vgpr7
.LBB305_1266:
	s_delay_alu instid0(SALU_CYCLE_1)
	s_and_not1_b32 vcc_lo, exec_lo, s0
	s_cbranch_vccnz .LBB305_1268
; %bb.1267:
	global_load_b32 v6, v[11:12], off
	s_waitcnt vmcnt(0)
	v_trunc_f32_e32 v6, v6
	s_delay_alu instid0(VALU_DEP_1) | instskip(SKIP_1) | instid1(VALU_DEP_2)
	v_mul_f32_e64 v7, 0x2f800000, |v6|
	v_ashrrev_i32_e32 v13, 31, v6
	v_floor_f32_e32 v7, v7
	s_delay_alu instid0(VALU_DEP_1) | instskip(SKIP_1) | instid1(VALU_DEP_2)
	v_fma_f32 v9, 0xcf800000, v7, |v6|
	v_cvt_u32_f32_e32 v7, v7
	v_cvt_u32_f32_e32 v6, v9
	s_delay_alu instid0(VALU_DEP_2) | instskip(NEXT) | instid1(VALU_DEP_2)
	v_xor_b32_e32 v7, v7, v13
	v_xor_b32_e32 v6, v6, v13
	s_delay_alu instid0(VALU_DEP_1) | instskip(NEXT) | instid1(VALU_DEP_3)
	v_sub_co_u32 v6, vcc_lo, v6, v13
	v_sub_co_ci_u32_e32 v7, vcc_lo, v7, v13, vcc_lo
.LBB305_1268:
	s_mov_b32 s0, 0
.LBB305_1269:
	s_delay_alu instid0(SALU_CYCLE_1)
	s_and_not1_b32 vcc_lo, exec_lo, s0
	s_cbranch_vccnz .LBB305_1271
; %bb.1270:
	global_load_b32 v6, v[11:12], off
	s_waitcnt vmcnt(0)
	v_cvt_f32_f16_e32 v6, v6
	s_delay_alu instid0(VALU_DEP_1) | instskip(NEXT) | instid1(VALU_DEP_1)
	v_cvt_i32_f32_e32 v6, v6
	v_ashrrev_i32_e32 v7, 31, v6
.LBB305_1271:
	s_mov_b32 s0, 0
.LBB305_1272:
	s_delay_alu instid0(SALU_CYCLE_1)
	s_and_not1_b32 vcc_lo, exec_lo, s0
	s_cbranch_vccnz .LBB305_1283
; %bb.1273:
	v_cmp_gt_i16_e32 vcc_lo, 6, v14
	s_cbranch_vccnz .LBB305_1276
; %bb.1274:
	v_cmp_lt_i16_e32 vcc_lo, 6, v14
	s_cbranch_vccz .LBB305_1277
; %bb.1275:
	global_load_b64 v[6:7], v[11:12], off
	s_mov_b32 s0, 0
	s_waitcnt vmcnt(0)
	v_trunc_f64_e32 v[6:7], v[6:7]
	s_delay_alu instid0(VALU_DEP_1) | instskip(NEXT) | instid1(VALU_DEP_1)
	v_ldexp_f64 v[15:16], v[6:7], 0xffffffe0
	v_floor_f64_e32 v[15:16], v[15:16]
	s_delay_alu instid0(VALU_DEP_1) | instskip(SKIP_1) | instid1(VALU_DEP_2)
	v_fma_f64 v[17:18], 0xc1f00000, v[15:16], v[6:7]
	v_cvt_i32_f64_e32 v7, v[15:16]
	v_cvt_u32_f64_e32 v6, v[17:18]
	s_branch .LBB305_1278
.LBB305_1276:
	s_mov_b32 s0, -1
                                        ; implicit-def: $vgpr6_vgpr7
	s_branch .LBB305_1281
.LBB305_1277:
	s_mov_b32 s0, -1
                                        ; implicit-def: $vgpr6_vgpr7
.LBB305_1278:
	s_delay_alu instid0(SALU_CYCLE_1)
	s_and_not1_b32 vcc_lo, exec_lo, s0
	s_cbranch_vccnz .LBB305_1280
; %bb.1279:
	global_load_b32 v6, v[11:12], off
	s_waitcnt vmcnt(0)
	v_trunc_f32_e32 v6, v6
	s_delay_alu instid0(VALU_DEP_1) | instskip(SKIP_1) | instid1(VALU_DEP_2)
	v_mul_f32_e64 v7, 0x2f800000, |v6|
	v_ashrrev_i32_e32 v13, 31, v6
	v_floor_f32_e32 v7, v7
	s_delay_alu instid0(VALU_DEP_1) | instskip(SKIP_1) | instid1(VALU_DEP_2)
	v_fma_f32 v9, 0xcf800000, v7, |v6|
	v_cvt_u32_f32_e32 v7, v7
	v_cvt_u32_f32_e32 v6, v9
	s_delay_alu instid0(VALU_DEP_2) | instskip(NEXT) | instid1(VALU_DEP_2)
	v_xor_b32_e32 v7, v7, v13
	v_xor_b32_e32 v6, v6, v13
	s_delay_alu instid0(VALU_DEP_1) | instskip(NEXT) | instid1(VALU_DEP_3)
	v_sub_co_u32 v6, vcc_lo, v6, v13
	v_sub_co_ci_u32_e32 v7, vcc_lo, v7, v13, vcc_lo
.LBB305_1280:
	s_mov_b32 s0, 0
.LBB305_1281:
	s_delay_alu instid0(SALU_CYCLE_1)
	s_and_not1_b32 vcc_lo, exec_lo, s0
	s_cbranch_vccnz .LBB305_1283
; %bb.1282:
	global_load_u16 v6, v[11:12], off
	s_waitcnt vmcnt(0)
	v_cvt_f32_f16_e32 v6, v6
	s_delay_alu instid0(VALU_DEP_1) | instskip(NEXT) | instid1(VALU_DEP_1)
	v_cvt_i32_f32_e32 v6, v6
	v_ashrrev_i32_e32 v7, 31, v6
.LBB305_1283:
	s_cbranch_execnz .LBB305_1303
.LBB305_1284:
	v_cmp_gt_i16_e32 vcc_lo, 2, v14
	s_cbranch_vccnz .LBB305_1288
; %bb.1285:
	v_cmp_gt_i16_e32 vcc_lo, 3, v14
	s_cbranch_vccnz .LBB305_1289
; %bb.1286:
	v_cmp_lt_i16_e32 vcc_lo, 3, v14
	s_cbranch_vccz .LBB305_1290
; %bb.1287:
	global_load_b64 v[6:7], v[11:12], off
	s_mov_b32 s0, 0
	s_branch .LBB305_1291
.LBB305_1288:
	s_mov_b32 s0, -1
                                        ; implicit-def: $vgpr6_vgpr7
	s_branch .LBB305_1297
.LBB305_1289:
	s_mov_b32 s0, -1
                                        ; implicit-def: $vgpr6_vgpr7
	s_branch .LBB305_1294
.LBB305_1290:
	s_mov_b32 s0, -1
                                        ; implicit-def: $vgpr6_vgpr7
.LBB305_1291:
	s_delay_alu instid0(SALU_CYCLE_1)
	s_and_not1_b32 vcc_lo, exec_lo, s0
	s_cbranch_vccnz .LBB305_1293
; %bb.1292:
	global_load_b32 v6, v[11:12], off
	s_waitcnt vmcnt(0)
	v_ashrrev_i32_e32 v7, 31, v6
.LBB305_1293:
	s_mov_b32 s0, 0
.LBB305_1294:
	s_delay_alu instid0(SALU_CYCLE_1)
	s_and_not1_b32 vcc_lo, exec_lo, s0
	s_cbranch_vccnz .LBB305_1296
; %bb.1295:
	global_load_u16 v6, v[11:12], off
	s_waitcnt vmcnt(0)
	v_bfe_i32 v6, v6, 0, 16
	s_delay_alu instid0(VALU_DEP_1)
	v_ashrrev_i32_e32 v7, 31, v6
.LBB305_1296:
	s_mov_b32 s0, 0
.LBB305_1297:
	s_delay_alu instid0(SALU_CYCLE_1)
	s_and_not1_b32 vcc_lo, exec_lo, s0
	s_cbranch_vccnz .LBB305_1303
; %bb.1298:
	v_cmp_lt_i16_e32 vcc_lo, 0, v14
	s_mov_b32 s0, 0
	s_cbranch_vccz .LBB305_1300
; %bb.1299:
	global_load_i8 v6, v[11:12], off
	s_waitcnt vmcnt(0)
	v_bfe_i32 v6, v6, 0, 16
	s_delay_alu instid0(VALU_DEP_1)
	v_ashrrev_i32_e32 v7, 31, v6
	s_branch .LBB305_1301
.LBB305_1300:
	s_mov_b32 s0, -1
                                        ; implicit-def: $vgpr6_vgpr7
.LBB305_1301:
	s_delay_alu instid0(SALU_CYCLE_1)
	s_and_not1_b32 vcc_lo, exec_lo, s0
	s_cbranch_vccnz .LBB305_1303
; %bb.1302:
	global_load_u8 v6, v[11:12], off
	s_mov_b32 s0, 0
	s_waitcnt vmcnt(0)
	v_dual_mov_b32 v7, s0 :: v_dual_and_b32 v6, 0xffff, v6
.LBB305_1303:
	s_branch .LBB305_1372
.LBB305_1304:
	s_trap 2
	s_sendmsg_rtn_b32 s0, sendmsg(MSG_RTN_GET_DOORBELL)
	s_mov_b32 ttmp2, m0
	s_waitcnt lgkmcnt(0)
	s_and_b32 s0, s0, 0x3ff
	s_delay_alu instid0(SALU_CYCLE_1) | instskip(NEXT) | instid1(SALU_CYCLE_1)
	s_bitset1_b32 s0, 10
	s_mov_b32 m0, s0
	s_sendmsg sendmsg(MSG_INTERRUPT)
	s_mov_b32 m0, ttmp2
.LBB305_1305:                           ; =>This Inner Loop Header: Depth=1
	s_sethalt 5
	s_branch .LBB305_1305
.LBB305_1306:
	s_or_saveexec_b32 s8, s8
                                        ; implicit-def: $sgpr9
	s_delay_alu instid0(SALU_CYCLE_1)
	s_xor_b32 exec_lo, exec_lo, s8
	s_cbranch_execz .LBB305_987
.LBB305_1307:
	v_add_f32_e64 v5, 0x42800000, |v0|
	s_and_not1_b32 s7, s7, exec_lo
	s_mov_b32 s9, 0
	s_delay_alu instid0(VALU_DEP_1) | instskip(NEXT) | instid1(VALU_DEP_1)
	v_and_b32_e32 v5, 0xff, v5
	v_cmp_ne_u32_e32 vcc_lo, 0, v5
	s_and_b32 s10, vcc_lo, exec_lo
	s_delay_alu instid0(SALU_CYCLE_1)
	s_or_b32 s7, s7, s10
	s_or_b32 exec_lo, exec_lo, s8
	v_mov_b32_e32 v6, s9
	s_and_saveexec_b32 s8, s7
	s_cbranch_execnz .LBB305_988
	s_branch .LBB305_989
.LBB305_1308:
	s_mov_b32 s3, -1
.LBB305_1309:
                                        ; implicit-def: $vgpr6_vgpr7
.LBB305_1310:
	s_and_b32 vcc_lo, exec_lo, s1
	s_cbranch_vccz .LBB305_1314
; %bb.1311:
	v_cmp_eq_u16_e32 vcc_lo, 44, v14
	s_cbranch_vccz .LBB305_1313
; %bb.1312:
	global_load_u8 v6, v[11:12], off
	s_mov_b32 s3, 0
	s_mov_b32 s0, -1
	s_waitcnt vmcnt(0)
	v_lshlrev_b32_e32 v7, 23, v6
	s_delay_alu instid0(VALU_DEP_1) | instskip(NEXT) | instid1(VALU_DEP_1)
	v_trunc_f32_e32 v7, v7
	v_mul_f32_e64 v9, 0x2f800000, |v7|
	s_delay_alu instid0(VALU_DEP_1) | instskip(NEXT) | instid1(VALU_DEP_1)
	v_floor_f32_e32 v9, v9
	v_fma_f32 v13, 0xcf800000, v9, |v7|
	v_ashrrev_i32_e32 v7, 31, v7
	v_cvt_u32_f32_e32 v9, v9
	s_delay_alu instid0(VALU_DEP_3) | instskip(NEXT) | instid1(VALU_DEP_2)
	v_cvt_u32_f32_e32 v13, v13
	v_xor_b32_e32 v9, v9, v7
	s_delay_alu instid0(VALU_DEP_2) | instskip(NEXT) | instid1(VALU_DEP_1)
	v_xor_b32_e32 v13, v13, v7
	v_sub_co_u32 v13, vcc_lo, v13, v7
	s_delay_alu instid0(VALU_DEP_3) | instskip(SKIP_1) | instid1(VALU_DEP_2)
	v_sub_co_ci_u32_e32 v7, vcc_lo, v9, v7, vcc_lo
	v_cmp_ne_u32_e32 vcc_lo, 0, v6
	v_dual_cndmask_b32 v6, 0, v13 :: v_dual_cndmask_b32 v7, 0, v7
	s_branch .LBB305_1314
.LBB305_1313:
	s_mov_b32 s3, -1
                                        ; implicit-def: $vgpr6_vgpr7
.LBB305_1314:
	s_mov_b32 s1, 0
.LBB305_1315:
	s_delay_alu instid0(SALU_CYCLE_1)
	s_and_b32 vcc_lo, exec_lo, s1
	s_cbranch_vccz .LBB305_1319
; %bb.1316:
	v_cmp_eq_u16_e32 vcc_lo, 29, v14
	s_cbranch_vccz .LBB305_1318
; %bb.1317:
	global_load_b64 v[6:7], v[11:12], off
	s_mov_b32 s3, 0
	s_mov_b32 s0, -1
	s_branch .LBB305_1319
.LBB305_1318:
	s_mov_b32 s3, -1
                                        ; implicit-def: $vgpr6_vgpr7
.LBB305_1319:
	s_mov_b32 s1, 0
.LBB305_1320:
	s_delay_alu instid0(SALU_CYCLE_1)
	s_and_b32 vcc_lo, exec_lo, s1
	s_cbranch_vccz .LBB305_1338
; %bb.1321:
	v_cmp_gt_i16_e32 vcc_lo, 27, v14
	s_cbranch_vccnz .LBB305_1324
; %bb.1322:
	v_cmp_lt_i16_e32 vcc_lo, 27, v14
	s_cbranch_vccz .LBB305_1325
; %bb.1323:
	global_load_b32 v6, v[11:12], off
	s_waitcnt vmcnt(1)
	v_mov_b32_e32 v7, 0
	s_mov_b32 s0, 0
	s_branch .LBB305_1326
.LBB305_1324:
	s_mov_b32 s0, -1
                                        ; implicit-def: $vgpr6_vgpr7
	s_branch .LBB305_1329
.LBB305_1325:
	s_mov_b32 s0, -1
                                        ; implicit-def: $vgpr6_vgpr7
.LBB305_1326:
	s_delay_alu instid0(SALU_CYCLE_1)
	s_and_not1_b32 vcc_lo, exec_lo, s0
	s_cbranch_vccnz .LBB305_1328
; %bb.1327:
	global_load_u16 v6, v[11:12], off
	s_mov_b32 s0, 0
	s_waitcnt vmcnt(0)
	v_dual_mov_b32 v7, s0 :: v_dual_and_b32 v6, 0xffff, v6
.LBB305_1328:
	s_mov_b32 s0, 0
.LBB305_1329:
	s_delay_alu instid0(SALU_CYCLE_1)
	s_and_not1_b32 vcc_lo, exec_lo, s0
	s_cbranch_vccnz .LBB305_1337
; %bb.1330:
	global_load_u8 v9, v[11:12], off
	s_mov_b32 s15, 0
	s_mov_b32 s16, exec_lo
                                        ; implicit-def: $sgpr0_sgpr1
	s_waitcnt vmcnt(0)
	v_cmpx_lt_i16_e32 0x7f, v9
	s_xor_b32 s16, exec_lo, s16
; %bb.1331:
	v_cmp_ne_u16_e32 vcc_lo, 0x80, v9
	s_mov_b64 s[0:1], 0
	s_and_b32 s15, vcc_lo, exec_lo
; %bb.1332:
	s_or_saveexec_b32 s16, s16
	v_dual_mov_b32 v7, s1 :: v_dual_mov_b32 v6, s0
	s_xor_b32 exec_lo, exec_lo, s16
; %bb.1333:
	v_cmp_ne_u16_e32 vcc_lo, 0, v9
	v_mov_b32_e32 v6, 0
	v_mov_b32_e32 v7, 0
	s_and_not1_b32 s0, s15, exec_lo
	s_and_b32 s1, vcc_lo, exec_lo
	s_delay_alu instid0(SALU_CYCLE_1)
	s_or_b32 s15, s0, s1
; %bb.1334:
	s_or_b32 exec_lo, exec_lo, s16
	s_and_saveexec_b32 s0, s15
	s_cbranch_execz .LBB305_1336
; %bb.1335:
	v_and_b32_e32 v6, 0xffff, v9
	v_lshlrev_b32_e32 v9, 24, v9
	s_delay_alu instid0(VALU_DEP_2) | instskip(NEXT) | instid1(VALU_DEP_2)
	v_and_b32_e32 v7, 7, v6
	v_and_b32_e32 v9, 0x80000000, v9
	s_delay_alu instid0(VALU_DEP_2) | instskip(NEXT) | instid1(VALU_DEP_1)
	v_clz_i32_u32_e32 v13, v7
	v_min_u32_e32 v13, 32, v13
	s_delay_alu instid0(VALU_DEP_1) | instskip(SKIP_1) | instid1(VALU_DEP_2)
	v_subrev_nc_u32_e32 v15, 28, v13
	v_sub_nc_u32_e32 v13, 29, v13
	v_lshlrev_b32_e32 v15, v15, v6
	v_bfe_u32 v6, v6, 3, 4
	s_delay_alu instid0(VALU_DEP_2) | instskip(NEXT) | instid1(VALU_DEP_2)
	v_and_b32_e32 v15, 7, v15
	v_cmp_eq_u32_e32 vcc_lo, 0, v6
	s_delay_alu instid0(VALU_DEP_2) | instskip(NEXT) | instid1(VALU_DEP_1)
	v_dual_cndmask_b32 v6, v6, v13 :: v_dual_cndmask_b32 v7, v7, v15
	v_lshl_add_u32 v6, v6, 23, 0x3b800000
	s_delay_alu instid0(VALU_DEP_2) | instskip(NEXT) | instid1(VALU_DEP_1)
	v_lshlrev_b32_e32 v7, 20, v7
	v_or3_b32 v6, v9, v6, v7
	s_delay_alu instid0(VALU_DEP_1) | instskip(NEXT) | instid1(VALU_DEP_1)
	v_trunc_f32_e32 v6, v6
	v_mul_f32_e64 v7, 0x2f800000, |v6|
	v_ashrrev_i32_e32 v13, 31, v6
	s_delay_alu instid0(VALU_DEP_2) | instskip(NEXT) | instid1(VALU_DEP_1)
	v_floor_f32_e32 v7, v7
	v_fma_f32 v9, 0xcf800000, v7, |v6|
	v_cvt_u32_f32_e32 v7, v7
	s_delay_alu instid0(VALU_DEP_2) | instskip(NEXT) | instid1(VALU_DEP_2)
	v_cvt_u32_f32_e32 v6, v9
	v_xor_b32_e32 v7, v7, v13
	s_delay_alu instid0(VALU_DEP_2) | instskip(NEXT) | instid1(VALU_DEP_1)
	v_xor_b32_e32 v6, v6, v13
	v_sub_co_u32 v6, vcc_lo, v6, v13
	s_delay_alu instid0(VALU_DEP_3)
	v_sub_co_ci_u32_e32 v7, vcc_lo, v7, v13, vcc_lo
.LBB305_1336:
	s_or_b32 exec_lo, exec_lo, s0
.LBB305_1337:
	s_mov_b32 s0, -1
.LBB305_1338:
	s_branch .LBB305_1367
.LBB305_1339:
	v_cmp_lt_i16_e32 vcc_lo, 22, v14
	s_cbranch_vccz .LBB305_1349
; %bb.1340:
	v_cmp_gt_i16_e32 vcc_lo, 24, v14
	s_cbranch_vccnz .LBB305_1350
; %bb.1341:
	v_cmp_lt_i16_e32 vcc_lo, 24, v14
	s_cbranch_vccz .LBB305_1351
; %bb.1342:
	global_load_u8 v9, v[11:12], off
	s_mov_b32 s15, exec_lo
                                        ; implicit-def: $sgpr0_sgpr1
	s_waitcnt vmcnt(0)
	v_cmpx_lt_i16_e32 0x7f, v9
	s_xor_b32 s15, exec_lo, s15
; %bb.1343:
	v_cmp_ne_u16_e32 vcc_lo, 0x80, v9
	s_mov_b64 s[0:1], 0
	s_and_b32 s14, vcc_lo, exec_lo
; %bb.1344:
	s_or_saveexec_b32 s15, s15
	v_dual_mov_b32 v7, s1 :: v_dual_mov_b32 v6, s0
	s_xor_b32 exec_lo, exec_lo, s15
; %bb.1345:
	v_cmp_ne_u16_e32 vcc_lo, 0, v9
	v_mov_b32_e32 v6, 0
	v_mov_b32_e32 v7, 0
	s_and_not1_b32 s0, s14, exec_lo
	s_and_b32 s1, vcc_lo, exec_lo
	s_delay_alu instid0(SALU_CYCLE_1)
	s_or_b32 s14, s0, s1
; %bb.1346:
	s_or_b32 exec_lo, exec_lo, s15
	s_and_saveexec_b32 s0, s14
	s_cbranch_execz .LBB305_1348
; %bb.1347:
	v_and_b32_e32 v6, 0xffff, v9
	v_lshlrev_b32_e32 v9, 24, v9
	s_delay_alu instid0(VALU_DEP_2) | instskip(NEXT) | instid1(VALU_DEP_2)
	v_and_b32_e32 v7, 3, v6
	v_and_b32_e32 v9, 0x80000000, v9
	s_delay_alu instid0(VALU_DEP_2) | instskip(NEXT) | instid1(VALU_DEP_1)
	v_clz_i32_u32_e32 v13, v7
	v_min_u32_e32 v13, 32, v13
	s_delay_alu instid0(VALU_DEP_1) | instskip(SKIP_1) | instid1(VALU_DEP_2)
	v_subrev_nc_u32_e32 v15, 29, v13
	v_sub_nc_u32_e32 v13, 30, v13
	v_lshlrev_b32_e32 v15, v15, v6
	v_bfe_u32 v6, v6, 2, 5
	s_delay_alu instid0(VALU_DEP_2) | instskip(NEXT) | instid1(VALU_DEP_2)
	v_and_b32_e32 v15, 3, v15
	v_cmp_eq_u32_e32 vcc_lo, 0, v6
	s_delay_alu instid0(VALU_DEP_2) | instskip(NEXT) | instid1(VALU_DEP_1)
	v_dual_cndmask_b32 v6, v6, v13 :: v_dual_cndmask_b32 v7, v7, v15
	v_lshl_add_u32 v6, v6, 23, 0x37800000
	s_delay_alu instid0(VALU_DEP_2) | instskip(NEXT) | instid1(VALU_DEP_1)
	v_lshlrev_b32_e32 v7, 21, v7
	v_or3_b32 v6, v9, v6, v7
	s_delay_alu instid0(VALU_DEP_1) | instskip(NEXT) | instid1(VALU_DEP_1)
	v_trunc_f32_e32 v6, v6
	v_mul_f32_e64 v7, 0x2f800000, |v6|
	v_ashrrev_i32_e32 v13, 31, v6
	s_delay_alu instid0(VALU_DEP_2) | instskip(NEXT) | instid1(VALU_DEP_1)
	v_floor_f32_e32 v7, v7
	v_fma_f32 v9, 0xcf800000, v7, |v6|
	v_cvt_u32_f32_e32 v7, v7
	s_delay_alu instid0(VALU_DEP_2) | instskip(NEXT) | instid1(VALU_DEP_2)
	v_cvt_u32_f32_e32 v6, v9
	v_xor_b32_e32 v7, v7, v13
	s_delay_alu instid0(VALU_DEP_2) | instskip(NEXT) | instid1(VALU_DEP_1)
	v_xor_b32_e32 v6, v6, v13
	v_sub_co_u32 v6, vcc_lo, v6, v13
	s_delay_alu instid0(VALU_DEP_3)
	v_sub_co_ci_u32_e32 v7, vcc_lo, v7, v13, vcc_lo
.LBB305_1348:
	s_or_b32 exec_lo, exec_lo, s0
	s_mov_b32 s0, 0
	s_branch .LBB305_1352
.LBB305_1349:
	s_mov_b32 s1, -1
                                        ; implicit-def: $vgpr6_vgpr7
	s_branch .LBB305_1358
.LBB305_1350:
	s_mov_b32 s0, -1
                                        ; implicit-def: $vgpr6_vgpr7
	s_branch .LBB305_1355
.LBB305_1351:
	s_mov_b32 s0, -1
                                        ; implicit-def: $vgpr6_vgpr7
.LBB305_1352:
	s_delay_alu instid0(SALU_CYCLE_1)
	s_and_b32 vcc_lo, exec_lo, s0
	s_cbranch_vccz .LBB305_1354
; %bb.1353:
	global_load_u8 v6, v[11:12], off
	s_waitcnt vmcnt(0)
	v_lshlrev_b32_e32 v6, 24, v6
	s_delay_alu instid0(VALU_DEP_1) | instskip(NEXT) | instid1(VALU_DEP_1)
	v_and_b32_e32 v7, 0x7f000000, v6
	v_clz_i32_u32_e32 v9, v7
	v_add_nc_u32_e32 v15, 0x1000000, v7
	v_cmp_ne_u32_e32 vcc_lo, 0, v7
	s_delay_alu instid0(VALU_DEP_3) | instskip(NEXT) | instid1(VALU_DEP_1)
	v_min_u32_e32 v9, 32, v9
	v_sub_nc_u32_e64 v9, v9, 4 clamp
	s_delay_alu instid0(VALU_DEP_1) | instskip(SKIP_1) | instid1(VALU_DEP_2)
	v_lshlrev_b32_e32 v13, v9, v7
	v_lshlrev_b32_e32 v9, 23, v9
	v_lshrrev_b32_e32 v13, 4, v13
	s_delay_alu instid0(VALU_DEP_1) | instskip(SKIP_1) | instid1(VALU_DEP_2)
	v_sub_nc_u32_e32 v9, v13, v9
	v_ashrrev_i32_e32 v13, 8, v15
	v_add_nc_u32_e32 v9, 0x3c000000, v9
	s_delay_alu instid0(VALU_DEP_1) | instskip(NEXT) | instid1(VALU_DEP_1)
	v_and_or_b32 v9, 0x7f800000, v13, v9
	v_cndmask_b32_e32 v7, 0, v9, vcc_lo
	s_delay_alu instid0(VALU_DEP_1) | instskip(NEXT) | instid1(VALU_DEP_1)
	v_and_or_b32 v6, 0x80000000, v6, v7
	v_trunc_f32_e32 v6, v6
	s_delay_alu instid0(VALU_DEP_1) | instskip(SKIP_1) | instid1(VALU_DEP_2)
	v_mul_f32_e64 v7, 0x2f800000, |v6|
	v_ashrrev_i32_e32 v13, 31, v6
	v_floor_f32_e32 v7, v7
	s_delay_alu instid0(VALU_DEP_1) | instskip(SKIP_1) | instid1(VALU_DEP_2)
	v_fma_f32 v9, 0xcf800000, v7, |v6|
	v_cvt_u32_f32_e32 v7, v7
	v_cvt_u32_f32_e32 v6, v9
	s_delay_alu instid0(VALU_DEP_2) | instskip(NEXT) | instid1(VALU_DEP_2)
	v_xor_b32_e32 v7, v7, v13
	v_xor_b32_e32 v6, v6, v13
	s_delay_alu instid0(VALU_DEP_1) | instskip(NEXT) | instid1(VALU_DEP_3)
	v_sub_co_u32 v6, vcc_lo, v6, v13
	v_sub_co_ci_u32_e32 v7, vcc_lo, v7, v13, vcc_lo
.LBB305_1354:
	s_mov_b32 s0, 0
.LBB305_1355:
	s_delay_alu instid0(SALU_CYCLE_1)
	s_and_not1_b32 vcc_lo, exec_lo, s0
	s_cbranch_vccnz .LBB305_1357
; %bb.1356:
	global_load_u8 v6, v[11:12], off
	s_waitcnt vmcnt(0)
	v_lshlrev_b32_e32 v7, 25, v6
	v_lshlrev_b16 v6, 8, v6
	s_delay_alu instid0(VALU_DEP_2) | instskip(NEXT) | instid1(VALU_DEP_2)
	v_lshrrev_b32_e32 v9, 4, v7
	v_and_or_b32 v13, 0x7f00, v6, 0.5
	v_cmp_gt_u32_e32 vcc_lo, 0x8000000, v7
	v_bfe_i32 v6, v6, 0, 16
	s_delay_alu instid0(VALU_DEP_4) | instskip(NEXT) | instid1(VALU_DEP_4)
	v_or_b32_e32 v9, 0x70000000, v9
	v_add_f32_e32 v13, -0.5, v13
	s_delay_alu instid0(VALU_DEP_2) | instskip(NEXT) | instid1(VALU_DEP_1)
	v_mul_f32_e32 v9, 0x7800000, v9
	v_cndmask_b32_e32 v7, v9, v13, vcc_lo
	s_delay_alu instid0(VALU_DEP_1) | instskip(NEXT) | instid1(VALU_DEP_1)
	v_and_or_b32 v6, 0x80000000, v6, v7
	v_trunc_f32_e32 v6, v6
	s_delay_alu instid0(VALU_DEP_1) | instskip(SKIP_1) | instid1(VALU_DEP_2)
	v_mul_f32_e64 v7, 0x2f800000, |v6|
	v_ashrrev_i32_e32 v13, 31, v6
	v_floor_f32_e32 v7, v7
	s_delay_alu instid0(VALU_DEP_1) | instskip(SKIP_1) | instid1(VALU_DEP_2)
	v_fma_f32 v9, 0xcf800000, v7, |v6|
	v_cvt_u32_f32_e32 v7, v7
	v_cvt_u32_f32_e32 v6, v9
	s_delay_alu instid0(VALU_DEP_2) | instskip(NEXT) | instid1(VALU_DEP_2)
	v_xor_b32_e32 v7, v7, v13
	v_xor_b32_e32 v6, v6, v13
	s_delay_alu instid0(VALU_DEP_1) | instskip(NEXT) | instid1(VALU_DEP_3)
	v_sub_co_u32 v6, vcc_lo, v6, v13
	v_sub_co_ci_u32_e32 v7, vcc_lo, v7, v13, vcc_lo
.LBB305_1357:
	s_mov_b32 s1, 0
	s_mov_b32 s0, -1
.LBB305_1358:
	s_and_not1_b32 vcc_lo, exec_lo, s1
	s_mov_b32 s14, 0
	s_cbranch_vccnz .LBB305_1367
; %bb.1359:
	v_cmp_lt_i16_e32 vcc_lo, 14, v14
	s_cbranch_vccz .LBB305_1362
; %bb.1360:
	v_cmp_eq_u16_e32 vcc_lo, 15, v14
	s_cbranch_vccz .LBB305_1363
; %bb.1361:
	global_load_u16 v6, v[11:12], off
	s_mov_b32 s3, 0
	s_mov_b32 s0, -1
	s_waitcnt vmcnt(0)
	v_lshlrev_b32_e32 v6, 16, v6
	s_delay_alu instid0(VALU_DEP_1) | instskip(NEXT) | instid1(VALU_DEP_1)
	v_trunc_f32_e32 v6, v6
	v_mul_f32_e64 v7, 0x2f800000, |v6|
	v_ashrrev_i32_e32 v13, 31, v6
	s_delay_alu instid0(VALU_DEP_2) | instskip(NEXT) | instid1(VALU_DEP_1)
	v_floor_f32_e32 v7, v7
	v_fma_f32 v9, 0xcf800000, v7, |v6|
	v_cvt_u32_f32_e32 v7, v7
	s_delay_alu instid0(VALU_DEP_2) | instskip(NEXT) | instid1(VALU_DEP_2)
	v_cvt_u32_f32_e32 v6, v9
	v_xor_b32_e32 v7, v7, v13
	s_delay_alu instid0(VALU_DEP_2) | instskip(NEXT) | instid1(VALU_DEP_1)
	v_xor_b32_e32 v6, v6, v13
	v_sub_co_u32 v6, vcc_lo, v6, v13
	s_delay_alu instid0(VALU_DEP_3)
	v_sub_co_ci_u32_e32 v7, vcc_lo, v7, v13, vcc_lo
	s_branch .LBB305_1364
.LBB305_1362:
	s_mov_b32 s1, -1
                                        ; implicit-def: $vgpr6_vgpr7
	s_branch .LBB305_1365
.LBB305_1363:
	s_mov_b32 s3, -1
                                        ; implicit-def: $vgpr6_vgpr7
.LBB305_1364:
	s_mov_b32 s1, 0
.LBB305_1365:
	s_delay_alu instid0(SALU_CYCLE_1)
	s_and_b32 vcc_lo, exec_lo, s1
	s_cbranch_vccz .LBB305_1367
; %bb.1366:
	v_cmp_ne_u16_e64 s3, 11, v14
	s_mov_b32 s14, -1
                                        ; implicit-def: $vgpr6_vgpr7
.LBB305_1367:
	s_delay_alu instid0(VALU_DEP_1)
	s_and_b32 vcc_lo, exec_lo, s3
	s_cbranch_vccnz .LBB305_1391
; %bb.1368:
	s_and_not1_b32 vcc_lo, exec_lo, s14
	s_cbranch_vccnz .LBB305_1370
.LBB305_1369:
	global_load_u8 v6, v[11:12], off
	s_mov_b32 s0, 0
	s_waitcnt vmcnt(1)
	v_mov_b32_e32 v7, s0
	s_mov_b32 s0, -1
	s_waitcnt vmcnt(0)
	v_cmp_ne_u16_e32 vcc_lo, 0, v6
	v_cndmask_b32_e64 v6, 0, 1, vcc_lo
.LBB305_1370:
.LBB305_1371:
	s_and_not1_b32 vcc_lo, exec_lo, s0
	s_cbranch_vccnz .LBB305_2020
.LBB305_1372:
	v_cmp_gt_i16_e32 vcc_lo, 11, v14
	v_add_co_u32 v11, s0, s6, v8
	s_delay_alu instid0(VALU_DEP_1)
	v_add_co_ci_u32_e64 v12, null, s7, 0, s0
	s_mov_b32 s0, 0
	s_cbranch_vccnz .LBB305_1379
; %bb.1373:
	v_cmp_lt_i16_e32 vcc_lo, 25, v14
	s_mov_b32 s14, 0
	s_cbranch_vccz .LBB305_1385
; %bb.1374:
	v_cmp_lt_i16_e32 vcc_lo, 28, v14
	s_cbranch_vccz .LBB305_1387
; %bb.1375:
	v_cmp_lt_i16_e32 vcc_lo, 43, v14
	;; [unrolled: 3-line block ×3, first 2 shown]
	s_cbranch_vccz .LBB305_1393
; %bb.1377:
	v_cmp_eq_u16_e32 vcc_lo, 46, v14
	s_mov_b32 s1, 0
	s_cbranch_vccz .LBB305_1436
; %bb.1378:
	global_load_b32 v8, v[11:12], off
	s_mov_b32 s3, 0
	s_mov_b32 s0, -1
	s_waitcnt vmcnt(0)
	v_lshlrev_b32_e32 v8, 16, v8
	s_delay_alu instid0(VALU_DEP_1) | instskip(NEXT) | instid1(VALU_DEP_1)
	v_trunc_f32_e32 v8, v8
	v_mul_f32_e64 v9, 0x2f800000, |v8|
	v_ashrrev_i32_e32 v15, 31, v8
	s_delay_alu instid0(VALU_DEP_2) | instskip(NEXT) | instid1(VALU_DEP_1)
	v_floor_f32_e32 v9, v9
	v_fma_f32 v13, 0xcf800000, v9, |v8|
	v_cvt_u32_f32_e32 v9, v9
	s_delay_alu instid0(VALU_DEP_2) | instskip(NEXT) | instid1(VALU_DEP_2)
	v_cvt_u32_f32_e32 v8, v13
	v_xor_b32_e32 v9, v9, v15
	s_delay_alu instid0(VALU_DEP_2) | instskip(NEXT) | instid1(VALU_DEP_1)
	v_xor_b32_e32 v8, v8, v15
	v_sub_co_u32 v8, vcc_lo, v8, v15
	s_delay_alu instid0(VALU_DEP_3)
	v_sub_co_ci_u32_e32 v9, vcc_lo, v9, v15, vcc_lo
	s_branch .LBB305_1438
.LBB305_1379:
                                        ; implicit-def: $vgpr8_vgpr9
	s_cbranch_execz .LBB305_1500
; %bb.1380:
	v_cmp_gt_i16_e32 vcc_lo, 5, v14
	s_cbranch_vccnz .LBB305_1386
; %bb.1381:
	v_cmp_gt_i16_e32 vcc_lo, 8, v14
	s_cbranch_vccnz .LBB305_1388
	;; [unrolled: 3-line block ×3, first 2 shown]
; %bb.1383:
	v_cmp_lt_i16_e32 vcc_lo, 9, v14
	s_cbranch_vccz .LBB305_1394
; %bb.1384:
	global_load_b64 v[8:9], v[11:12], off
	s_mov_b32 s0, 0
	s_waitcnt vmcnt(0)
	v_trunc_f64_e32 v[8:9], v[8:9]
	s_delay_alu instid0(VALU_DEP_1) | instskip(NEXT) | instid1(VALU_DEP_1)
	v_ldexp_f64 v[15:16], v[8:9], 0xffffffe0
	v_floor_f64_e32 v[15:16], v[15:16]
	s_delay_alu instid0(VALU_DEP_1) | instskip(SKIP_1) | instid1(VALU_DEP_2)
	v_fma_f64 v[17:18], 0xc1f00000, v[15:16], v[8:9]
	v_cvt_i32_f64_e32 v9, v[15:16]
	v_cvt_u32_f64_e32 v8, v[17:18]
	s_branch .LBB305_1395
.LBB305_1385:
	s_mov_b32 s1, -1
	s_mov_b32 s3, 0
                                        ; implicit-def: $vgpr8_vgpr9
	s_branch .LBB305_1467
.LBB305_1386:
	s_mov_b32 s0, -1
                                        ; implicit-def: $vgpr8_vgpr9
	s_branch .LBB305_1413
.LBB305_1387:
	s_mov_b32 s1, -1
	s_mov_b32 s3, 0
                                        ; implicit-def: $vgpr8_vgpr9
	s_branch .LBB305_1448
.LBB305_1388:
	s_mov_b32 s0, -1
                                        ; implicit-def: $vgpr8_vgpr9
	s_branch .LBB305_1401
.LBB305_1389:
	s_mov_b32 s1, -1
	s_mov_b32 s3, 0
                                        ; implicit-def: $vgpr8_vgpr9
	s_branch .LBB305_1443
.LBB305_1390:
	s_mov_b32 s0, -1
                                        ; implicit-def: $vgpr8_vgpr9
	s_branch .LBB305_1398
.LBB305_1391:
	s_cbranch_execnz .LBB305_1434
; %bb.1392:
	s_or_b32 s2, s2, exec_lo
                                        ; implicit-def: $vgpr6_vgpr7
	s_cbranch_execz .LBB305_1369
	s_branch .LBB305_1370
.LBB305_1393:
	s_mov_b32 s1, -1
	s_mov_b32 s3, 0
	s_branch .LBB305_1437
.LBB305_1394:
	s_mov_b32 s0, -1
                                        ; implicit-def: $vgpr8_vgpr9
.LBB305_1395:
	s_delay_alu instid0(SALU_CYCLE_1)
	s_and_not1_b32 vcc_lo, exec_lo, s0
	s_cbranch_vccnz .LBB305_1397
; %bb.1396:
	global_load_b32 v8, v[11:12], off
	s_waitcnt vmcnt(0)
	v_trunc_f32_e32 v8, v8
	s_delay_alu instid0(VALU_DEP_1) | instskip(SKIP_1) | instid1(VALU_DEP_2)
	v_mul_f32_e64 v9, 0x2f800000, |v8|
	v_ashrrev_i32_e32 v15, 31, v8
	v_floor_f32_e32 v9, v9
	s_delay_alu instid0(VALU_DEP_1) | instskip(SKIP_1) | instid1(VALU_DEP_2)
	v_fma_f32 v13, 0xcf800000, v9, |v8|
	v_cvt_u32_f32_e32 v9, v9
	v_cvt_u32_f32_e32 v8, v13
	s_delay_alu instid0(VALU_DEP_2) | instskip(NEXT) | instid1(VALU_DEP_2)
	v_xor_b32_e32 v9, v9, v15
	v_xor_b32_e32 v8, v8, v15
	s_delay_alu instid0(VALU_DEP_1) | instskip(NEXT) | instid1(VALU_DEP_3)
	v_sub_co_u32 v8, vcc_lo, v8, v15
	v_sub_co_ci_u32_e32 v9, vcc_lo, v9, v15, vcc_lo
.LBB305_1397:
	s_mov_b32 s0, 0
.LBB305_1398:
	s_delay_alu instid0(SALU_CYCLE_1)
	s_and_not1_b32 vcc_lo, exec_lo, s0
	s_cbranch_vccnz .LBB305_1400
; %bb.1399:
	global_load_b32 v8, v[11:12], off
	s_waitcnt vmcnt(0)
	v_cvt_f32_f16_e32 v8, v8
	s_delay_alu instid0(VALU_DEP_1) | instskip(NEXT) | instid1(VALU_DEP_1)
	v_cvt_i32_f32_e32 v8, v8
	v_ashrrev_i32_e32 v9, 31, v8
.LBB305_1400:
	s_mov_b32 s0, 0
.LBB305_1401:
	s_delay_alu instid0(SALU_CYCLE_1)
	s_and_not1_b32 vcc_lo, exec_lo, s0
	s_cbranch_vccnz .LBB305_1412
; %bb.1402:
	v_cmp_gt_i16_e32 vcc_lo, 6, v14
	s_cbranch_vccnz .LBB305_1405
; %bb.1403:
	v_cmp_lt_i16_e32 vcc_lo, 6, v14
	s_cbranch_vccz .LBB305_1406
; %bb.1404:
	global_load_b64 v[8:9], v[11:12], off
	s_mov_b32 s0, 0
	s_waitcnt vmcnt(0)
	v_trunc_f64_e32 v[8:9], v[8:9]
	s_delay_alu instid0(VALU_DEP_1) | instskip(NEXT) | instid1(VALU_DEP_1)
	v_ldexp_f64 v[15:16], v[8:9], 0xffffffe0
	v_floor_f64_e32 v[15:16], v[15:16]
	s_delay_alu instid0(VALU_DEP_1) | instskip(SKIP_1) | instid1(VALU_DEP_2)
	v_fma_f64 v[17:18], 0xc1f00000, v[15:16], v[8:9]
	v_cvt_i32_f64_e32 v9, v[15:16]
	v_cvt_u32_f64_e32 v8, v[17:18]
	s_branch .LBB305_1407
.LBB305_1405:
	s_mov_b32 s0, -1
                                        ; implicit-def: $vgpr8_vgpr9
	s_branch .LBB305_1410
.LBB305_1406:
	s_mov_b32 s0, -1
                                        ; implicit-def: $vgpr8_vgpr9
.LBB305_1407:
	s_delay_alu instid0(SALU_CYCLE_1)
	s_and_not1_b32 vcc_lo, exec_lo, s0
	s_cbranch_vccnz .LBB305_1409
; %bb.1408:
	global_load_b32 v8, v[11:12], off
	s_waitcnt vmcnt(0)
	v_trunc_f32_e32 v8, v8
	s_delay_alu instid0(VALU_DEP_1) | instskip(SKIP_1) | instid1(VALU_DEP_2)
	v_mul_f32_e64 v9, 0x2f800000, |v8|
	v_ashrrev_i32_e32 v15, 31, v8
	v_floor_f32_e32 v9, v9
	s_delay_alu instid0(VALU_DEP_1) | instskip(SKIP_1) | instid1(VALU_DEP_2)
	v_fma_f32 v13, 0xcf800000, v9, |v8|
	v_cvt_u32_f32_e32 v9, v9
	v_cvt_u32_f32_e32 v8, v13
	s_delay_alu instid0(VALU_DEP_2) | instskip(NEXT) | instid1(VALU_DEP_2)
	v_xor_b32_e32 v9, v9, v15
	v_xor_b32_e32 v8, v8, v15
	s_delay_alu instid0(VALU_DEP_1) | instskip(NEXT) | instid1(VALU_DEP_3)
	v_sub_co_u32 v8, vcc_lo, v8, v15
	v_sub_co_ci_u32_e32 v9, vcc_lo, v9, v15, vcc_lo
.LBB305_1409:
	s_mov_b32 s0, 0
.LBB305_1410:
	s_delay_alu instid0(SALU_CYCLE_1)
	s_and_not1_b32 vcc_lo, exec_lo, s0
	s_cbranch_vccnz .LBB305_1412
; %bb.1411:
	global_load_u16 v8, v[11:12], off
	s_waitcnt vmcnt(0)
	v_cvt_f32_f16_e32 v8, v8
	s_delay_alu instid0(VALU_DEP_1) | instskip(NEXT) | instid1(VALU_DEP_1)
	v_cvt_i32_f32_e32 v8, v8
	v_ashrrev_i32_e32 v9, 31, v8
.LBB305_1412:
	s_mov_b32 s0, 0
.LBB305_1413:
	s_delay_alu instid0(SALU_CYCLE_1)
	s_and_not1_b32 vcc_lo, exec_lo, s0
	s_cbranch_vccnz .LBB305_1433
; %bb.1414:
	v_cmp_gt_i16_e32 vcc_lo, 2, v14
	s_cbranch_vccnz .LBB305_1418
; %bb.1415:
	v_cmp_gt_i16_e32 vcc_lo, 3, v14
	s_cbranch_vccnz .LBB305_1419
; %bb.1416:
	v_cmp_lt_i16_e32 vcc_lo, 3, v14
	s_cbranch_vccz .LBB305_1420
; %bb.1417:
	global_load_b64 v[8:9], v[11:12], off
	s_mov_b32 s0, 0
	s_branch .LBB305_1421
.LBB305_1418:
	s_mov_b32 s0, -1
                                        ; implicit-def: $vgpr8_vgpr9
	s_branch .LBB305_1427
.LBB305_1419:
	s_mov_b32 s0, -1
                                        ; implicit-def: $vgpr8_vgpr9
	s_branch .LBB305_1424
.LBB305_1420:
	s_mov_b32 s0, -1
                                        ; implicit-def: $vgpr8_vgpr9
.LBB305_1421:
	s_delay_alu instid0(SALU_CYCLE_1)
	s_and_not1_b32 vcc_lo, exec_lo, s0
	s_cbranch_vccnz .LBB305_1423
; %bb.1422:
	global_load_b32 v8, v[11:12], off
	s_waitcnt vmcnt(0)
	v_ashrrev_i32_e32 v9, 31, v8
.LBB305_1423:
	s_mov_b32 s0, 0
.LBB305_1424:
	s_delay_alu instid0(SALU_CYCLE_1)
	s_and_not1_b32 vcc_lo, exec_lo, s0
	s_cbranch_vccnz .LBB305_1426
; %bb.1425:
	global_load_u16 v8, v[11:12], off
	s_waitcnt vmcnt(0)
	v_bfe_i32 v8, v8, 0, 16
	s_delay_alu instid0(VALU_DEP_1)
	v_ashrrev_i32_e32 v9, 31, v8
.LBB305_1426:
	s_mov_b32 s0, 0
.LBB305_1427:
	s_delay_alu instid0(SALU_CYCLE_1)
	s_and_not1_b32 vcc_lo, exec_lo, s0
	s_cbranch_vccnz .LBB305_1433
; %bb.1428:
	v_cmp_lt_i16_e32 vcc_lo, 0, v14
	s_mov_b32 s0, 0
	s_cbranch_vccz .LBB305_1430
; %bb.1429:
	global_load_i8 v8, v[11:12], off
	s_waitcnt vmcnt(0)
	v_bfe_i32 v8, v8, 0, 16
	s_delay_alu instid0(VALU_DEP_1)
	v_ashrrev_i32_e32 v9, 31, v8
	s_branch .LBB305_1431
.LBB305_1430:
	s_mov_b32 s0, -1
                                        ; implicit-def: $vgpr8_vgpr9
.LBB305_1431:
	s_delay_alu instid0(SALU_CYCLE_1)
	s_and_not1_b32 vcc_lo, exec_lo, s0
	s_cbranch_vccnz .LBB305_1433
; %bb.1432:
	global_load_u8 v8, v[11:12], off
	s_mov_b32 s0, 0
	s_waitcnt vmcnt(0)
	v_dual_mov_b32 v9, s0 :: v_dual_and_b32 v8, 0xffff, v8
.LBB305_1433:
	s_branch .LBB305_1501
.LBB305_1434:
	s_trap 2
	s_sendmsg_rtn_b32 s0, sendmsg(MSG_RTN_GET_DOORBELL)
	s_mov_b32 ttmp2, m0
	s_waitcnt lgkmcnt(0)
	s_and_b32 s0, s0, 0x3ff
	s_delay_alu instid0(SALU_CYCLE_1) | instskip(NEXT) | instid1(SALU_CYCLE_1)
	s_bitset1_b32 s0, 10
	s_mov_b32 m0, s0
	s_sendmsg sendmsg(MSG_INTERRUPT)
	s_mov_b32 m0, ttmp2
.LBB305_1435:                           ; =>This Inner Loop Header: Depth=1
	s_sethalt 5
	s_branch .LBB305_1435
.LBB305_1436:
	s_mov_b32 s3, -1
.LBB305_1437:
                                        ; implicit-def: $vgpr8_vgpr9
.LBB305_1438:
	s_and_b32 vcc_lo, exec_lo, s1
	s_cbranch_vccz .LBB305_1442
; %bb.1439:
	v_cmp_eq_u16_e32 vcc_lo, 44, v14
	s_cbranch_vccz .LBB305_1441
; %bb.1440:
	global_load_u8 v8, v[11:12], off
	s_mov_b32 s3, 0
	s_mov_b32 s0, -1
	s_waitcnt vmcnt(0)
	v_lshlrev_b32_e32 v9, 23, v8
	s_delay_alu instid0(VALU_DEP_1) | instskip(NEXT) | instid1(VALU_DEP_1)
	v_trunc_f32_e32 v9, v9
	v_mul_f32_e64 v13, 0x2f800000, |v9|
	s_delay_alu instid0(VALU_DEP_1) | instskip(NEXT) | instid1(VALU_DEP_1)
	v_floor_f32_e32 v13, v13
	v_fma_f32 v15, 0xcf800000, v13, |v9|
	v_ashrrev_i32_e32 v9, 31, v9
	v_cvt_u32_f32_e32 v13, v13
	s_delay_alu instid0(VALU_DEP_3) | instskip(NEXT) | instid1(VALU_DEP_2)
	v_cvt_u32_f32_e32 v15, v15
	v_xor_b32_e32 v13, v13, v9
	s_delay_alu instid0(VALU_DEP_2) | instskip(NEXT) | instid1(VALU_DEP_1)
	v_xor_b32_e32 v15, v15, v9
	v_sub_co_u32 v15, vcc_lo, v15, v9
	s_delay_alu instid0(VALU_DEP_3) | instskip(SKIP_1) | instid1(VALU_DEP_2)
	v_sub_co_ci_u32_e32 v9, vcc_lo, v13, v9, vcc_lo
	v_cmp_ne_u32_e32 vcc_lo, 0, v8
	v_dual_cndmask_b32 v8, 0, v15 :: v_dual_cndmask_b32 v9, 0, v9
	s_branch .LBB305_1442
.LBB305_1441:
	s_mov_b32 s3, -1
                                        ; implicit-def: $vgpr8_vgpr9
.LBB305_1442:
	s_mov_b32 s1, 0
.LBB305_1443:
	s_delay_alu instid0(SALU_CYCLE_1)
	s_and_b32 vcc_lo, exec_lo, s1
	s_cbranch_vccz .LBB305_1447
; %bb.1444:
	v_cmp_eq_u16_e32 vcc_lo, 29, v14
	s_cbranch_vccz .LBB305_1446
; %bb.1445:
	global_load_b64 v[8:9], v[11:12], off
	s_mov_b32 s3, 0
	s_mov_b32 s0, -1
	s_branch .LBB305_1447
.LBB305_1446:
	s_mov_b32 s3, -1
                                        ; implicit-def: $vgpr8_vgpr9
.LBB305_1447:
	s_mov_b32 s1, 0
.LBB305_1448:
	s_delay_alu instid0(SALU_CYCLE_1)
	s_and_b32 vcc_lo, exec_lo, s1
	s_cbranch_vccz .LBB305_1466
; %bb.1449:
	v_cmp_gt_i16_e32 vcc_lo, 27, v14
	s_cbranch_vccnz .LBB305_1452
; %bb.1450:
	v_cmp_lt_i16_e32 vcc_lo, 27, v14
	s_cbranch_vccz .LBB305_1453
; %bb.1451:
	global_load_b32 v8, v[11:12], off
	s_waitcnt vmcnt(1)
	v_mov_b32_e32 v9, 0
	s_mov_b32 s0, 0
	s_branch .LBB305_1454
.LBB305_1452:
	s_mov_b32 s0, -1
                                        ; implicit-def: $vgpr8_vgpr9
	s_branch .LBB305_1457
.LBB305_1453:
	s_mov_b32 s0, -1
                                        ; implicit-def: $vgpr8_vgpr9
.LBB305_1454:
	s_delay_alu instid0(SALU_CYCLE_1)
	s_and_not1_b32 vcc_lo, exec_lo, s0
	s_cbranch_vccnz .LBB305_1456
; %bb.1455:
	global_load_u16 v8, v[11:12], off
	s_mov_b32 s0, 0
	s_waitcnt vmcnt(0)
	v_dual_mov_b32 v9, s0 :: v_dual_and_b32 v8, 0xffff, v8
.LBB305_1456:
	s_mov_b32 s0, 0
.LBB305_1457:
	s_delay_alu instid0(SALU_CYCLE_1)
	s_and_not1_b32 vcc_lo, exec_lo, s0
	s_cbranch_vccnz .LBB305_1465
; %bb.1458:
	global_load_u8 v13, v[11:12], off
	s_mov_b32 s15, 0
	s_mov_b32 s16, exec_lo
                                        ; implicit-def: $sgpr0_sgpr1
	s_waitcnt vmcnt(0)
	v_cmpx_lt_i16_e32 0x7f, v13
	s_xor_b32 s16, exec_lo, s16
; %bb.1459:
	v_cmp_ne_u16_e32 vcc_lo, 0x80, v13
	s_mov_b64 s[0:1], 0
	s_and_b32 s15, vcc_lo, exec_lo
; %bb.1460:
	s_or_saveexec_b32 s16, s16
	v_dual_mov_b32 v9, s1 :: v_dual_mov_b32 v8, s0
	s_xor_b32 exec_lo, exec_lo, s16
; %bb.1461:
	v_cmp_ne_u16_e32 vcc_lo, 0, v13
	v_mov_b32_e32 v8, 0
	v_mov_b32_e32 v9, 0
	s_and_not1_b32 s0, s15, exec_lo
	s_and_b32 s1, vcc_lo, exec_lo
	s_delay_alu instid0(SALU_CYCLE_1)
	s_or_b32 s15, s0, s1
; %bb.1462:
	s_or_b32 exec_lo, exec_lo, s16
	s_and_saveexec_b32 s0, s15
	s_cbranch_execz .LBB305_1464
; %bb.1463:
	v_and_b32_e32 v8, 0xffff, v13
	v_lshlrev_b32_e32 v13, 24, v13
	s_delay_alu instid0(VALU_DEP_2) | instskip(NEXT) | instid1(VALU_DEP_2)
	v_and_b32_e32 v9, 7, v8
	v_and_b32_e32 v13, 0x80000000, v13
	s_delay_alu instid0(VALU_DEP_2) | instskip(NEXT) | instid1(VALU_DEP_1)
	v_clz_i32_u32_e32 v15, v9
	v_min_u32_e32 v15, 32, v15
	s_delay_alu instid0(VALU_DEP_1) | instskip(SKIP_1) | instid1(VALU_DEP_2)
	v_subrev_nc_u32_e32 v16, 28, v15
	v_sub_nc_u32_e32 v15, 29, v15
	v_lshlrev_b32_e32 v16, v16, v8
	v_bfe_u32 v8, v8, 3, 4
	s_delay_alu instid0(VALU_DEP_2) | instskip(NEXT) | instid1(VALU_DEP_2)
	v_and_b32_e32 v16, 7, v16
	v_cmp_eq_u32_e32 vcc_lo, 0, v8
	s_delay_alu instid0(VALU_DEP_2) | instskip(NEXT) | instid1(VALU_DEP_1)
	v_dual_cndmask_b32 v8, v8, v15 :: v_dual_cndmask_b32 v9, v9, v16
	v_lshl_add_u32 v8, v8, 23, 0x3b800000
	s_delay_alu instid0(VALU_DEP_2) | instskip(NEXT) | instid1(VALU_DEP_1)
	v_lshlrev_b32_e32 v9, 20, v9
	v_or3_b32 v8, v13, v8, v9
	s_delay_alu instid0(VALU_DEP_1) | instskip(NEXT) | instid1(VALU_DEP_1)
	v_trunc_f32_e32 v8, v8
	v_mul_f32_e64 v9, 0x2f800000, |v8|
	v_ashrrev_i32_e32 v15, 31, v8
	s_delay_alu instid0(VALU_DEP_2) | instskip(NEXT) | instid1(VALU_DEP_1)
	v_floor_f32_e32 v9, v9
	v_fma_f32 v13, 0xcf800000, v9, |v8|
	v_cvt_u32_f32_e32 v9, v9
	s_delay_alu instid0(VALU_DEP_2) | instskip(NEXT) | instid1(VALU_DEP_2)
	v_cvt_u32_f32_e32 v8, v13
	v_xor_b32_e32 v9, v9, v15
	s_delay_alu instid0(VALU_DEP_2) | instskip(NEXT) | instid1(VALU_DEP_1)
	v_xor_b32_e32 v8, v8, v15
	v_sub_co_u32 v8, vcc_lo, v8, v15
	s_delay_alu instid0(VALU_DEP_3)
	v_sub_co_ci_u32_e32 v9, vcc_lo, v9, v15, vcc_lo
.LBB305_1464:
	s_or_b32 exec_lo, exec_lo, s0
.LBB305_1465:
	s_mov_b32 s0, -1
.LBB305_1466:
	s_mov_b32 s1, 0
.LBB305_1467:
	s_delay_alu instid0(SALU_CYCLE_1)
	s_and_b32 vcc_lo, exec_lo, s1
	s_cbranch_vccz .LBB305_1496
; %bb.1468:
	v_cmp_lt_i16_e32 vcc_lo, 22, v14
	s_cbranch_vccz .LBB305_1478
; %bb.1469:
	v_cmp_gt_i16_e32 vcc_lo, 24, v14
	s_cbranch_vccnz .LBB305_1479
; %bb.1470:
	v_cmp_lt_i16_e32 vcc_lo, 24, v14
	s_cbranch_vccz .LBB305_1480
; %bb.1471:
	global_load_u8 v13, v[11:12], off
	s_mov_b32 s15, exec_lo
                                        ; implicit-def: $sgpr0_sgpr1
	s_waitcnt vmcnt(0)
	v_cmpx_lt_i16_e32 0x7f, v13
	s_xor_b32 s15, exec_lo, s15
; %bb.1472:
	v_cmp_ne_u16_e32 vcc_lo, 0x80, v13
	s_mov_b64 s[0:1], 0
	s_and_b32 s14, vcc_lo, exec_lo
; %bb.1473:
	s_or_saveexec_b32 s15, s15
	v_dual_mov_b32 v9, s1 :: v_dual_mov_b32 v8, s0
	s_xor_b32 exec_lo, exec_lo, s15
; %bb.1474:
	v_cmp_ne_u16_e32 vcc_lo, 0, v13
	v_mov_b32_e32 v8, 0
	v_mov_b32_e32 v9, 0
	s_and_not1_b32 s0, s14, exec_lo
	s_and_b32 s1, vcc_lo, exec_lo
	s_delay_alu instid0(SALU_CYCLE_1)
	s_or_b32 s14, s0, s1
; %bb.1475:
	s_or_b32 exec_lo, exec_lo, s15
	s_and_saveexec_b32 s0, s14
	s_cbranch_execz .LBB305_1477
; %bb.1476:
	v_and_b32_e32 v8, 0xffff, v13
	v_lshlrev_b32_e32 v13, 24, v13
	s_delay_alu instid0(VALU_DEP_2) | instskip(NEXT) | instid1(VALU_DEP_2)
	v_and_b32_e32 v9, 3, v8
	v_and_b32_e32 v13, 0x80000000, v13
	s_delay_alu instid0(VALU_DEP_2) | instskip(NEXT) | instid1(VALU_DEP_1)
	v_clz_i32_u32_e32 v15, v9
	v_min_u32_e32 v15, 32, v15
	s_delay_alu instid0(VALU_DEP_1) | instskip(SKIP_1) | instid1(VALU_DEP_2)
	v_subrev_nc_u32_e32 v16, 29, v15
	v_sub_nc_u32_e32 v15, 30, v15
	v_lshlrev_b32_e32 v16, v16, v8
	v_bfe_u32 v8, v8, 2, 5
	s_delay_alu instid0(VALU_DEP_2) | instskip(NEXT) | instid1(VALU_DEP_2)
	v_and_b32_e32 v16, 3, v16
	v_cmp_eq_u32_e32 vcc_lo, 0, v8
	s_delay_alu instid0(VALU_DEP_2) | instskip(NEXT) | instid1(VALU_DEP_1)
	v_dual_cndmask_b32 v8, v8, v15 :: v_dual_cndmask_b32 v9, v9, v16
	v_lshl_add_u32 v8, v8, 23, 0x37800000
	s_delay_alu instid0(VALU_DEP_2) | instskip(NEXT) | instid1(VALU_DEP_1)
	v_lshlrev_b32_e32 v9, 21, v9
	v_or3_b32 v8, v13, v8, v9
	s_delay_alu instid0(VALU_DEP_1) | instskip(NEXT) | instid1(VALU_DEP_1)
	v_trunc_f32_e32 v8, v8
	v_mul_f32_e64 v9, 0x2f800000, |v8|
	v_ashrrev_i32_e32 v15, 31, v8
	s_delay_alu instid0(VALU_DEP_2) | instskip(NEXT) | instid1(VALU_DEP_1)
	v_floor_f32_e32 v9, v9
	v_fma_f32 v13, 0xcf800000, v9, |v8|
	v_cvt_u32_f32_e32 v9, v9
	s_delay_alu instid0(VALU_DEP_2) | instskip(NEXT) | instid1(VALU_DEP_2)
	v_cvt_u32_f32_e32 v8, v13
	v_xor_b32_e32 v9, v9, v15
	s_delay_alu instid0(VALU_DEP_2) | instskip(NEXT) | instid1(VALU_DEP_1)
	v_xor_b32_e32 v8, v8, v15
	v_sub_co_u32 v8, vcc_lo, v8, v15
	s_delay_alu instid0(VALU_DEP_3)
	v_sub_co_ci_u32_e32 v9, vcc_lo, v9, v15, vcc_lo
.LBB305_1477:
	s_or_b32 exec_lo, exec_lo, s0
	s_mov_b32 s0, 0
	s_branch .LBB305_1481
.LBB305_1478:
	s_mov_b32 s1, -1
                                        ; implicit-def: $vgpr8_vgpr9
	s_branch .LBB305_1487
.LBB305_1479:
	s_mov_b32 s0, -1
                                        ; implicit-def: $vgpr8_vgpr9
	s_branch .LBB305_1484
.LBB305_1480:
	s_mov_b32 s0, -1
                                        ; implicit-def: $vgpr8_vgpr9
.LBB305_1481:
	s_delay_alu instid0(SALU_CYCLE_1)
	s_and_b32 vcc_lo, exec_lo, s0
	s_cbranch_vccz .LBB305_1483
; %bb.1482:
	global_load_u8 v8, v[11:12], off
	s_waitcnt vmcnt(0)
	v_lshlrev_b32_e32 v8, 24, v8
	s_delay_alu instid0(VALU_DEP_1) | instskip(NEXT) | instid1(VALU_DEP_1)
	v_and_b32_e32 v9, 0x7f000000, v8
	v_clz_i32_u32_e32 v13, v9
	v_add_nc_u32_e32 v16, 0x1000000, v9
	v_cmp_ne_u32_e32 vcc_lo, 0, v9
	s_delay_alu instid0(VALU_DEP_3) | instskip(NEXT) | instid1(VALU_DEP_1)
	v_min_u32_e32 v13, 32, v13
	v_sub_nc_u32_e64 v13, v13, 4 clamp
	s_delay_alu instid0(VALU_DEP_1) | instskip(SKIP_1) | instid1(VALU_DEP_2)
	v_lshlrev_b32_e32 v15, v13, v9
	v_lshlrev_b32_e32 v13, 23, v13
	v_lshrrev_b32_e32 v15, 4, v15
	s_delay_alu instid0(VALU_DEP_1) | instskip(SKIP_1) | instid1(VALU_DEP_2)
	v_sub_nc_u32_e32 v13, v15, v13
	v_ashrrev_i32_e32 v15, 8, v16
	v_add_nc_u32_e32 v13, 0x3c000000, v13
	s_delay_alu instid0(VALU_DEP_1) | instskip(NEXT) | instid1(VALU_DEP_1)
	v_and_or_b32 v13, 0x7f800000, v15, v13
	v_cndmask_b32_e32 v9, 0, v13, vcc_lo
	s_delay_alu instid0(VALU_DEP_1) | instskip(NEXT) | instid1(VALU_DEP_1)
	v_and_or_b32 v8, 0x80000000, v8, v9
	v_trunc_f32_e32 v8, v8
	s_delay_alu instid0(VALU_DEP_1) | instskip(SKIP_1) | instid1(VALU_DEP_2)
	v_mul_f32_e64 v9, 0x2f800000, |v8|
	v_ashrrev_i32_e32 v15, 31, v8
	v_floor_f32_e32 v9, v9
	s_delay_alu instid0(VALU_DEP_1) | instskip(SKIP_1) | instid1(VALU_DEP_2)
	v_fma_f32 v13, 0xcf800000, v9, |v8|
	v_cvt_u32_f32_e32 v9, v9
	v_cvt_u32_f32_e32 v8, v13
	s_delay_alu instid0(VALU_DEP_2) | instskip(NEXT) | instid1(VALU_DEP_2)
	v_xor_b32_e32 v9, v9, v15
	v_xor_b32_e32 v8, v8, v15
	s_delay_alu instid0(VALU_DEP_1) | instskip(NEXT) | instid1(VALU_DEP_3)
	v_sub_co_u32 v8, vcc_lo, v8, v15
	v_sub_co_ci_u32_e32 v9, vcc_lo, v9, v15, vcc_lo
.LBB305_1483:
	s_mov_b32 s0, 0
.LBB305_1484:
	s_delay_alu instid0(SALU_CYCLE_1)
	s_and_not1_b32 vcc_lo, exec_lo, s0
	s_cbranch_vccnz .LBB305_1486
; %bb.1485:
	global_load_u8 v8, v[11:12], off
	s_waitcnt vmcnt(0)
	v_lshlrev_b32_e32 v9, 25, v8
	v_lshlrev_b16 v8, 8, v8
	s_delay_alu instid0(VALU_DEP_2) | instskip(NEXT) | instid1(VALU_DEP_2)
	v_lshrrev_b32_e32 v13, 4, v9
	v_and_or_b32 v15, 0x7f00, v8, 0.5
	v_cmp_gt_u32_e32 vcc_lo, 0x8000000, v9
	v_bfe_i32 v8, v8, 0, 16
	s_delay_alu instid0(VALU_DEP_4) | instskip(NEXT) | instid1(VALU_DEP_4)
	v_or_b32_e32 v13, 0x70000000, v13
	v_add_f32_e32 v15, -0.5, v15
	s_delay_alu instid0(VALU_DEP_2) | instskip(NEXT) | instid1(VALU_DEP_1)
	v_mul_f32_e32 v13, 0x7800000, v13
	v_cndmask_b32_e32 v9, v13, v15, vcc_lo
	s_delay_alu instid0(VALU_DEP_1) | instskip(NEXT) | instid1(VALU_DEP_1)
	v_and_or_b32 v8, 0x80000000, v8, v9
	v_trunc_f32_e32 v8, v8
	s_delay_alu instid0(VALU_DEP_1) | instskip(SKIP_1) | instid1(VALU_DEP_2)
	v_mul_f32_e64 v9, 0x2f800000, |v8|
	v_ashrrev_i32_e32 v15, 31, v8
	v_floor_f32_e32 v9, v9
	s_delay_alu instid0(VALU_DEP_1) | instskip(SKIP_1) | instid1(VALU_DEP_2)
	v_fma_f32 v13, 0xcf800000, v9, |v8|
	v_cvt_u32_f32_e32 v9, v9
	v_cvt_u32_f32_e32 v8, v13
	s_delay_alu instid0(VALU_DEP_2) | instskip(NEXT) | instid1(VALU_DEP_2)
	v_xor_b32_e32 v9, v9, v15
	v_xor_b32_e32 v8, v8, v15
	s_delay_alu instid0(VALU_DEP_1) | instskip(NEXT) | instid1(VALU_DEP_3)
	v_sub_co_u32 v8, vcc_lo, v8, v15
	v_sub_co_ci_u32_e32 v9, vcc_lo, v9, v15, vcc_lo
.LBB305_1486:
	s_mov_b32 s1, 0
	s_mov_b32 s0, -1
.LBB305_1487:
	s_and_not1_b32 vcc_lo, exec_lo, s1
	s_mov_b32 s14, 0
	s_cbranch_vccnz .LBB305_1496
; %bb.1488:
	v_cmp_lt_i16_e32 vcc_lo, 14, v14
	s_cbranch_vccz .LBB305_1491
; %bb.1489:
	v_cmp_eq_u16_e32 vcc_lo, 15, v14
	s_cbranch_vccz .LBB305_1492
; %bb.1490:
	global_load_u16 v8, v[11:12], off
	s_mov_b32 s3, 0
	s_mov_b32 s0, -1
	s_waitcnt vmcnt(0)
	v_lshlrev_b32_e32 v8, 16, v8
	s_delay_alu instid0(VALU_DEP_1) | instskip(NEXT) | instid1(VALU_DEP_1)
	v_trunc_f32_e32 v8, v8
	v_mul_f32_e64 v9, 0x2f800000, |v8|
	v_ashrrev_i32_e32 v15, 31, v8
	s_delay_alu instid0(VALU_DEP_2) | instskip(NEXT) | instid1(VALU_DEP_1)
	v_floor_f32_e32 v9, v9
	v_fma_f32 v13, 0xcf800000, v9, |v8|
	v_cvt_u32_f32_e32 v9, v9
	s_delay_alu instid0(VALU_DEP_2) | instskip(NEXT) | instid1(VALU_DEP_2)
	v_cvt_u32_f32_e32 v8, v13
	v_xor_b32_e32 v9, v9, v15
	s_delay_alu instid0(VALU_DEP_2) | instskip(NEXT) | instid1(VALU_DEP_1)
	v_xor_b32_e32 v8, v8, v15
	v_sub_co_u32 v8, vcc_lo, v8, v15
	s_delay_alu instid0(VALU_DEP_3)
	v_sub_co_ci_u32_e32 v9, vcc_lo, v9, v15, vcc_lo
	s_branch .LBB305_1493
.LBB305_1491:
	s_mov_b32 s1, -1
                                        ; implicit-def: $vgpr8_vgpr9
	s_branch .LBB305_1494
.LBB305_1492:
	s_mov_b32 s3, -1
                                        ; implicit-def: $vgpr8_vgpr9
.LBB305_1493:
	s_mov_b32 s1, 0
.LBB305_1494:
	s_delay_alu instid0(SALU_CYCLE_1)
	s_and_b32 vcc_lo, exec_lo, s1
	s_cbranch_vccz .LBB305_1496
; %bb.1495:
	v_cmp_ne_u16_e64 s3, 11, v14
	s_mov_b32 s14, -1
                                        ; implicit-def: $vgpr8_vgpr9
.LBB305_1496:
	s_delay_alu instid0(VALU_DEP_1)
	s_and_b32 vcc_lo, exec_lo, s3
	s_cbranch_vccnz .LBB305_1512
; %bb.1497:
	s_and_not1_b32 vcc_lo, exec_lo, s14
	s_cbranch_vccnz .LBB305_1499
.LBB305_1498:
	global_load_u8 v8, v[11:12], off
	s_mov_b32 s0, 0
	s_waitcnt vmcnt(1)
	v_mov_b32_e32 v9, s0
	s_mov_b32 s0, -1
	s_waitcnt vmcnt(0)
	v_cmp_ne_u16_e32 vcc_lo, 0, v8
	v_cndmask_b32_e64 v8, 0, 1, vcc_lo
.LBB305_1499:
.LBB305_1500:
	s_and_not1_b32 vcc_lo, exec_lo, s0
	s_cbranch_vccnz .LBB305_2020
.LBB305_1501:
	v_cmp_gt_i16_e32 vcc_lo, 11, v14
	v_add_co_u32 v12, s0, s6, v10
	s_delay_alu instid0(VALU_DEP_1)
	v_add_co_ci_u32_e64 v13, null, s7, 0, s0
	s_mov_b32 s0, 0
	s_cbranch_vccnz .LBB305_1508
; %bb.1502:
	v_cmp_lt_i16_e32 vcc_lo, 25, v14
	s_mov_b32 s6, 0
	s_cbranch_vccz .LBB305_1509
; %bb.1503:
	v_cmp_lt_i16_e32 vcc_lo, 28, v14
	s_cbranch_vccz .LBB305_1510
; %bb.1504:
	v_cmp_lt_i16_e32 vcc_lo, 43, v14
	;; [unrolled: 3-line block ×3, first 2 shown]
	s_cbranch_vccz .LBB305_1514
; %bb.1506:
	v_cmp_eq_u16_e32 vcc_lo, 46, v14
	s_mov_b32 s1, 0
	s_cbranch_vccz .LBB305_1517
; %bb.1507:
	global_load_b32 v10, v[12:13], off
	s_mov_b32 s3, 0
	s_mov_b32 s0, -1
	s_waitcnt vmcnt(0)
	v_lshlrev_b32_e32 v10, 16, v10
	s_delay_alu instid0(VALU_DEP_1) | instskip(NEXT) | instid1(VALU_DEP_1)
	v_trunc_f32_e32 v10, v10
	v_mul_f32_e64 v11, 0x2f800000, |v10|
	v_ashrrev_i32_e32 v16, 31, v10
	s_delay_alu instid0(VALU_DEP_2) | instskip(NEXT) | instid1(VALU_DEP_1)
	v_floor_f32_e32 v11, v11
	v_fma_f32 v15, 0xcf800000, v11, |v10|
	v_cvt_u32_f32_e32 v11, v11
	s_delay_alu instid0(VALU_DEP_2) | instskip(NEXT) | instid1(VALU_DEP_2)
	v_cvt_u32_f32_e32 v10, v15
	v_xor_b32_e32 v11, v11, v16
	s_delay_alu instid0(VALU_DEP_2) | instskip(NEXT) | instid1(VALU_DEP_1)
	v_xor_b32_e32 v10, v10, v16
	v_sub_co_u32 v10, vcc_lo, v10, v16
	s_delay_alu instid0(VALU_DEP_3)
	v_sub_co_ci_u32_e32 v11, vcc_lo, v11, v16, vcc_lo
	s_branch .LBB305_1519
.LBB305_1508:
	s_mov_b32 s1, -1
                                        ; implicit-def: $vgpr10_vgpr11
	s_branch .LBB305_1581
.LBB305_1509:
	s_mov_b32 s1, -1
	s_mov_b32 s3, 0
                                        ; implicit-def: $vgpr10_vgpr11
	s_branch .LBB305_1548
.LBB305_1510:
	s_mov_b32 s1, -1
	s_mov_b32 s3, 0
                                        ; implicit-def: $vgpr10_vgpr11
	s_branch .LBB305_1529
.LBB305_1511:
	s_mov_b32 s1, -1
	s_mov_b32 s3, 0
                                        ; implicit-def: $vgpr10_vgpr11
	s_branch .LBB305_1524
.LBB305_1512:
	s_cbranch_execnz .LBB305_1515
; %bb.1513:
	s_or_b32 s2, s2, exec_lo
                                        ; implicit-def: $vgpr8_vgpr9
	s_cbranch_execz .LBB305_1498
	s_branch .LBB305_1499
.LBB305_1514:
	s_mov_b32 s1, -1
	s_mov_b32 s3, 0
	s_branch .LBB305_1518
.LBB305_1515:
	s_trap 2
	s_sendmsg_rtn_b32 s0, sendmsg(MSG_RTN_GET_DOORBELL)
	s_mov_b32 ttmp2, m0
	s_waitcnt lgkmcnt(0)
	s_and_b32 s0, s0, 0x3ff
	s_delay_alu instid0(SALU_CYCLE_1) | instskip(NEXT) | instid1(SALU_CYCLE_1)
	s_bitset1_b32 s0, 10
	s_mov_b32 m0, s0
	s_sendmsg sendmsg(MSG_INTERRUPT)
	s_mov_b32 m0, ttmp2
.LBB305_1516:                           ; =>This Inner Loop Header: Depth=1
	s_sethalt 5
	s_branch .LBB305_1516
.LBB305_1517:
	s_mov_b32 s3, -1
.LBB305_1518:
                                        ; implicit-def: $vgpr10_vgpr11
.LBB305_1519:
	s_and_b32 vcc_lo, exec_lo, s1
	s_cbranch_vccz .LBB305_1523
; %bb.1520:
	v_cmp_eq_u16_e32 vcc_lo, 44, v14
	s_cbranch_vccz .LBB305_1522
; %bb.1521:
	global_load_u8 v10, v[12:13], off
	s_mov_b32 s3, 0
	s_mov_b32 s0, -1
	s_waitcnt vmcnt(0)
	v_lshlrev_b32_e32 v11, 23, v10
	s_delay_alu instid0(VALU_DEP_1) | instskip(NEXT) | instid1(VALU_DEP_1)
	v_trunc_f32_e32 v11, v11
	v_mul_f32_e64 v15, 0x2f800000, |v11|
	s_delay_alu instid0(VALU_DEP_1) | instskip(NEXT) | instid1(VALU_DEP_1)
	v_floor_f32_e32 v15, v15
	v_fma_f32 v16, 0xcf800000, v15, |v11|
	v_ashrrev_i32_e32 v11, 31, v11
	v_cvt_u32_f32_e32 v15, v15
	s_delay_alu instid0(VALU_DEP_3) | instskip(NEXT) | instid1(VALU_DEP_2)
	v_cvt_u32_f32_e32 v16, v16
	v_xor_b32_e32 v15, v15, v11
	s_delay_alu instid0(VALU_DEP_2) | instskip(NEXT) | instid1(VALU_DEP_1)
	v_xor_b32_e32 v16, v16, v11
	v_sub_co_u32 v16, vcc_lo, v16, v11
	s_delay_alu instid0(VALU_DEP_3) | instskip(SKIP_1) | instid1(VALU_DEP_2)
	v_sub_co_ci_u32_e32 v11, vcc_lo, v15, v11, vcc_lo
	v_cmp_ne_u32_e32 vcc_lo, 0, v10
	v_dual_cndmask_b32 v10, 0, v16 :: v_dual_cndmask_b32 v11, 0, v11
	s_branch .LBB305_1523
.LBB305_1522:
	s_mov_b32 s3, -1
                                        ; implicit-def: $vgpr10_vgpr11
.LBB305_1523:
	s_mov_b32 s1, 0
.LBB305_1524:
	s_delay_alu instid0(SALU_CYCLE_1)
	s_and_b32 vcc_lo, exec_lo, s1
	s_cbranch_vccz .LBB305_1528
; %bb.1525:
	v_cmp_eq_u16_e32 vcc_lo, 29, v14
	s_cbranch_vccz .LBB305_1527
; %bb.1526:
	global_load_b64 v[10:11], v[12:13], off
	s_mov_b32 s3, 0
	s_mov_b32 s0, -1
	s_branch .LBB305_1528
.LBB305_1527:
	s_mov_b32 s3, -1
                                        ; implicit-def: $vgpr10_vgpr11
.LBB305_1528:
	s_mov_b32 s1, 0
.LBB305_1529:
	s_delay_alu instid0(SALU_CYCLE_1)
	s_and_b32 vcc_lo, exec_lo, s1
	s_cbranch_vccz .LBB305_1547
; %bb.1530:
	v_cmp_gt_i16_e32 vcc_lo, 27, v14
	s_cbranch_vccnz .LBB305_1533
; %bb.1531:
	v_cmp_lt_i16_e32 vcc_lo, 27, v14
	s_cbranch_vccz .LBB305_1534
; %bb.1532:
	global_load_b32 v10, v[12:13], off
	s_waitcnt vmcnt(1)
	v_mov_b32_e32 v11, 0
	s_mov_b32 s0, 0
	s_branch .LBB305_1535
.LBB305_1533:
	s_mov_b32 s0, -1
                                        ; implicit-def: $vgpr10_vgpr11
	s_branch .LBB305_1538
.LBB305_1534:
	s_mov_b32 s0, -1
                                        ; implicit-def: $vgpr10_vgpr11
.LBB305_1535:
	s_delay_alu instid0(SALU_CYCLE_1)
	s_and_not1_b32 vcc_lo, exec_lo, s0
	s_cbranch_vccnz .LBB305_1537
; %bb.1536:
	global_load_u16 v10, v[12:13], off
	s_mov_b32 s0, 0
	s_waitcnt vmcnt(0)
	v_dual_mov_b32 v11, s0 :: v_dual_and_b32 v10, 0xffff, v10
.LBB305_1537:
	s_mov_b32 s0, 0
.LBB305_1538:
	s_delay_alu instid0(SALU_CYCLE_1)
	s_and_not1_b32 vcc_lo, exec_lo, s0
	s_cbranch_vccnz .LBB305_1546
; %bb.1539:
	global_load_u8 v15, v[12:13], off
	s_mov_b32 s7, 0
	s_mov_b32 s14, exec_lo
                                        ; implicit-def: $sgpr0_sgpr1
	s_waitcnt vmcnt(0)
	v_cmpx_lt_i16_e32 0x7f, v15
	s_xor_b32 s14, exec_lo, s14
; %bb.1540:
	v_cmp_ne_u16_e32 vcc_lo, 0x80, v15
	s_mov_b64 s[0:1], 0
	s_and_b32 s7, vcc_lo, exec_lo
; %bb.1541:
	s_or_saveexec_b32 s14, s14
	v_dual_mov_b32 v11, s1 :: v_dual_mov_b32 v10, s0
	s_xor_b32 exec_lo, exec_lo, s14
; %bb.1542:
	v_cmp_ne_u16_e32 vcc_lo, 0, v15
	v_mov_b32_e32 v10, 0
	v_mov_b32_e32 v11, 0
	s_and_not1_b32 s0, s7, exec_lo
	s_and_b32 s1, vcc_lo, exec_lo
	s_delay_alu instid0(SALU_CYCLE_1)
	s_or_b32 s7, s0, s1
; %bb.1543:
	s_or_b32 exec_lo, exec_lo, s14
	s_and_saveexec_b32 s0, s7
	s_cbranch_execz .LBB305_1545
; %bb.1544:
	v_and_b32_e32 v10, 0xffff, v15
	v_lshlrev_b32_e32 v15, 24, v15
	s_delay_alu instid0(VALU_DEP_2) | instskip(NEXT) | instid1(VALU_DEP_2)
	v_and_b32_e32 v11, 7, v10
	v_and_b32_e32 v15, 0x80000000, v15
	s_delay_alu instid0(VALU_DEP_2) | instskip(NEXT) | instid1(VALU_DEP_1)
	v_clz_i32_u32_e32 v16, v11
	v_min_u32_e32 v16, 32, v16
	s_delay_alu instid0(VALU_DEP_1) | instskip(SKIP_1) | instid1(VALU_DEP_2)
	v_subrev_nc_u32_e32 v17, 28, v16
	v_sub_nc_u32_e32 v16, 29, v16
	v_lshlrev_b32_e32 v17, v17, v10
	v_bfe_u32 v10, v10, 3, 4
	s_delay_alu instid0(VALU_DEP_2) | instskip(NEXT) | instid1(VALU_DEP_2)
	v_and_b32_e32 v17, 7, v17
	v_cmp_eq_u32_e32 vcc_lo, 0, v10
	s_delay_alu instid0(VALU_DEP_2) | instskip(NEXT) | instid1(VALU_DEP_1)
	v_dual_cndmask_b32 v10, v10, v16 :: v_dual_cndmask_b32 v11, v11, v17
	v_lshl_add_u32 v10, v10, 23, 0x3b800000
	s_delay_alu instid0(VALU_DEP_2) | instskip(NEXT) | instid1(VALU_DEP_1)
	v_lshlrev_b32_e32 v11, 20, v11
	v_or3_b32 v10, v15, v10, v11
	s_delay_alu instid0(VALU_DEP_1) | instskip(NEXT) | instid1(VALU_DEP_1)
	v_trunc_f32_e32 v10, v10
	v_mul_f32_e64 v11, 0x2f800000, |v10|
	v_ashrrev_i32_e32 v16, 31, v10
	s_delay_alu instid0(VALU_DEP_2) | instskip(NEXT) | instid1(VALU_DEP_1)
	v_floor_f32_e32 v11, v11
	v_fma_f32 v15, 0xcf800000, v11, |v10|
	v_cvt_u32_f32_e32 v11, v11
	s_delay_alu instid0(VALU_DEP_2) | instskip(NEXT) | instid1(VALU_DEP_2)
	v_cvt_u32_f32_e32 v10, v15
	v_xor_b32_e32 v11, v11, v16
	s_delay_alu instid0(VALU_DEP_2) | instskip(NEXT) | instid1(VALU_DEP_1)
	v_xor_b32_e32 v10, v10, v16
	v_sub_co_u32 v10, vcc_lo, v10, v16
	s_delay_alu instid0(VALU_DEP_3)
	v_sub_co_ci_u32_e32 v11, vcc_lo, v11, v16, vcc_lo
.LBB305_1545:
	s_or_b32 exec_lo, exec_lo, s0
.LBB305_1546:
	s_mov_b32 s0, -1
.LBB305_1547:
	s_mov_b32 s1, 0
.LBB305_1548:
	s_delay_alu instid0(SALU_CYCLE_1)
	s_and_b32 vcc_lo, exec_lo, s1
	s_cbranch_vccz .LBB305_1577
; %bb.1549:
	v_cmp_lt_i16_e32 vcc_lo, 22, v14
	s_cbranch_vccz .LBB305_1559
; %bb.1550:
	v_cmp_gt_i16_e32 vcc_lo, 24, v14
	s_cbranch_vccnz .LBB305_1560
; %bb.1551:
	v_cmp_lt_i16_e32 vcc_lo, 24, v14
	s_cbranch_vccz .LBB305_1561
; %bb.1552:
	global_load_u8 v15, v[12:13], off
	s_mov_b32 s7, exec_lo
                                        ; implicit-def: $sgpr0_sgpr1
	s_waitcnt vmcnt(0)
	v_cmpx_lt_i16_e32 0x7f, v15
	s_xor_b32 s7, exec_lo, s7
; %bb.1553:
	v_cmp_ne_u16_e32 vcc_lo, 0x80, v15
	s_mov_b64 s[0:1], 0
	s_and_b32 s6, vcc_lo, exec_lo
; %bb.1554:
	s_or_saveexec_b32 s7, s7
	v_dual_mov_b32 v11, s1 :: v_dual_mov_b32 v10, s0
	s_xor_b32 exec_lo, exec_lo, s7
; %bb.1555:
	v_cmp_ne_u16_e32 vcc_lo, 0, v15
	v_mov_b32_e32 v10, 0
	v_mov_b32_e32 v11, 0
	s_and_not1_b32 s0, s6, exec_lo
	s_and_b32 s1, vcc_lo, exec_lo
	s_delay_alu instid0(SALU_CYCLE_1)
	s_or_b32 s6, s0, s1
; %bb.1556:
	s_or_b32 exec_lo, exec_lo, s7
	s_and_saveexec_b32 s0, s6
	s_cbranch_execz .LBB305_1558
; %bb.1557:
	v_and_b32_e32 v10, 0xffff, v15
	v_lshlrev_b32_e32 v15, 24, v15
	s_delay_alu instid0(VALU_DEP_2) | instskip(NEXT) | instid1(VALU_DEP_2)
	v_and_b32_e32 v11, 3, v10
	v_and_b32_e32 v15, 0x80000000, v15
	s_delay_alu instid0(VALU_DEP_2) | instskip(NEXT) | instid1(VALU_DEP_1)
	v_clz_i32_u32_e32 v16, v11
	v_min_u32_e32 v16, 32, v16
	s_delay_alu instid0(VALU_DEP_1) | instskip(SKIP_1) | instid1(VALU_DEP_2)
	v_subrev_nc_u32_e32 v17, 29, v16
	v_sub_nc_u32_e32 v16, 30, v16
	v_lshlrev_b32_e32 v17, v17, v10
	v_bfe_u32 v10, v10, 2, 5
	s_delay_alu instid0(VALU_DEP_2) | instskip(NEXT) | instid1(VALU_DEP_2)
	v_and_b32_e32 v17, 3, v17
	v_cmp_eq_u32_e32 vcc_lo, 0, v10
	s_delay_alu instid0(VALU_DEP_2) | instskip(NEXT) | instid1(VALU_DEP_1)
	v_dual_cndmask_b32 v10, v10, v16 :: v_dual_cndmask_b32 v11, v11, v17
	v_lshl_add_u32 v10, v10, 23, 0x37800000
	s_delay_alu instid0(VALU_DEP_2) | instskip(NEXT) | instid1(VALU_DEP_1)
	v_lshlrev_b32_e32 v11, 21, v11
	v_or3_b32 v10, v15, v10, v11
	s_delay_alu instid0(VALU_DEP_1) | instskip(NEXT) | instid1(VALU_DEP_1)
	v_trunc_f32_e32 v10, v10
	v_mul_f32_e64 v11, 0x2f800000, |v10|
	v_ashrrev_i32_e32 v16, 31, v10
	s_delay_alu instid0(VALU_DEP_2) | instskip(NEXT) | instid1(VALU_DEP_1)
	v_floor_f32_e32 v11, v11
	v_fma_f32 v15, 0xcf800000, v11, |v10|
	v_cvt_u32_f32_e32 v11, v11
	s_delay_alu instid0(VALU_DEP_2) | instskip(NEXT) | instid1(VALU_DEP_2)
	v_cvt_u32_f32_e32 v10, v15
	v_xor_b32_e32 v11, v11, v16
	s_delay_alu instid0(VALU_DEP_2) | instskip(NEXT) | instid1(VALU_DEP_1)
	v_xor_b32_e32 v10, v10, v16
	v_sub_co_u32 v10, vcc_lo, v10, v16
	s_delay_alu instid0(VALU_DEP_3)
	v_sub_co_ci_u32_e32 v11, vcc_lo, v11, v16, vcc_lo
.LBB305_1558:
	s_or_b32 exec_lo, exec_lo, s0
	s_mov_b32 s0, 0
	s_branch .LBB305_1562
.LBB305_1559:
	s_mov_b32 s1, -1
                                        ; implicit-def: $vgpr10_vgpr11
	s_branch .LBB305_1568
.LBB305_1560:
	s_mov_b32 s0, -1
                                        ; implicit-def: $vgpr10_vgpr11
	s_branch .LBB305_1565
.LBB305_1561:
	s_mov_b32 s0, -1
                                        ; implicit-def: $vgpr10_vgpr11
.LBB305_1562:
	s_delay_alu instid0(SALU_CYCLE_1)
	s_and_b32 vcc_lo, exec_lo, s0
	s_cbranch_vccz .LBB305_1564
; %bb.1563:
	global_load_u8 v10, v[12:13], off
	s_waitcnt vmcnt(0)
	v_lshlrev_b32_e32 v10, 24, v10
	s_delay_alu instid0(VALU_DEP_1) | instskip(NEXT) | instid1(VALU_DEP_1)
	v_and_b32_e32 v11, 0x7f000000, v10
	v_clz_i32_u32_e32 v15, v11
	v_add_nc_u32_e32 v17, 0x1000000, v11
	v_cmp_ne_u32_e32 vcc_lo, 0, v11
	s_delay_alu instid0(VALU_DEP_3) | instskip(NEXT) | instid1(VALU_DEP_1)
	v_min_u32_e32 v15, 32, v15
	v_sub_nc_u32_e64 v15, v15, 4 clamp
	s_delay_alu instid0(VALU_DEP_1) | instskip(SKIP_1) | instid1(VALU_DEP_2)
	v_lshlrev_b32_e32 v16, v15, v11
	v_lshlrev_b32_e32 v15, 23, v15
	v_lshrrev_b32_e32 v16, 4, v16
	s_delay_alu instid0(VALU_DEP_1) | instskip(SKIP_1) | instid1(VALU_DEP_2)
	v_sub_nc_u32_e32 v15, v16, v15
	v_ashrrev_i32_e32 v16, 8, v17
	v_add_nc_u32_e32 v15, 0x3c000000, v15
	s_delay_alu instid0(VALU_DEP_1) | instskip(NEXT) | instid1(VALU_DEP_1)
	v_and_or_b32 v15, 0x7f800000, v16, v15
	v_cndmask_b32_e32 v11, 0, v15, vcc_lo
	s_delay_alu instid0(VALU_DEP_1) | instskip(NEXT) | instid1(VALU_DEP_1)
	v_and_or_b32 v10, 0x80000000, v10, v11
	v_trunc_f32_e32 v10, v10
	s_delay_alu instid0(VALU_DEP_1) | instskip(SKIP_1) | instid1(VALU_DEP_2)
	v_mul_f32_e64 v11, 0x2f800000, |v10|
	v_ashrrev_i32_e32 v16, 31, v10
	v_floor_f32_e32 v11, v11
	s_delay_alu instid0(VALU_DEP_1) | instskip(SKIP_1) | instid1(VALU_DEP_2)
	v_fma_f32 v15, 0xcf800000, v11, |v10|
	v_cvt_u32_f32_e32 v11, v11
	v_cvt_u32_f32_e32 v10, v15
	s_delay_alu instid0(VALU_DEP_2) | instskip(NEXT) | instid1(VALU_DEP_2)
	v_xor_b32_e32 v11, v11, v16
	v_xor_b32_e32 v10, v10, v16
	s_delay_alu instid0(VALU_DEP_1) | instskip(NEXT) | instid1(VALU_DEP_3)
	v_sub_co_u32 v10, vcc_lo, v10, v16
	v_sub_co_ci_u32_e32 v11, vcc_lo, v11, v16, vcc_lo
.LBB305_1564:
	s_mov_b32 s0, 0
.LBB305_1565:
	s_delay_alu instid0(SALU_CYCLE_1)
	s_and_not1_b32 vcc_lo, exec_lo, s0
	s_cbranch_vccnz .LBB305_1567
; %bb.1566:
	global_load_u8 v10, v[12:13], off
	s_waitcnt vmcnt(0)
	v_lshlrev_b32_e32 v11, 25, v10
	v_lshlrev_b16 v10, 8, v10
	s_delay_alu instid0(VALU_DEP_1) | instskip(SKIP_1) | instid1(VALU_DEP_2)
	v_and_or_b32 v16, 0x7f00, v10, 0.5
	v_bfe_i32 v10, v10, 0, 16
	v_add_f32_e32 v16, -0.5, v16
	v_lshrrev_b32_e32 v15, 4, v11
	v_cmp_gt_u32_e32 vcc_lo, 0x8000000, v11
	s_delay_alu instid0(VALU_DEP_2) | instskip(NEXT) | instid1(VALU_DEP_1)
	v_or_b32_e32 v15, 0x70000000, v15
	v_mul_f32_e32 v15, 0x7800000, v15
	s_delay_alu instid0(VALU_DEP_1) | instskip(NEXT) | instid1(VALU_DEP_1)
	v_cndmask_b32_e32 v11, v15, v16, vcc_lo
	v_and_or_b32 v10, 0x80000000, v10, v11
	s_delay_alu instid0(VALU_DEP_1) | instskip(NEXT) | instid1(VALU_DEP_1)
	v_trunc_f32_e32 v10, v10
	v_mul_f32_e64 v11, 0x2f800000, |v10|
	v_ashrrev_i32_e32 v16, 31, v10
	s_delay_alu instid0(VALU_DEP_2) | instskip(NEXT) | instid1(VALU_DEP_1)
	v_floor_f32_e32 v11, v11
	v_fma_f32 v15, 0xcf800000, v11, |v10|
	v_cvt_u32_f32_e32 v11, v11
	s_delay_alu instid0(VALU_DEP_2) | instskip(NEXT) | instid1(VALU_DEP_2)
	v_cvt_u32_f32_e32 v10, v15
	v_xor_b32_e32 v11, v11, v16
	s_delay_alu instid0(VALU_DEP_2) | instskip(NEXT) | instid1(VALU_DEP_1)
	v_xor_b32_e32 v10, v10, v16
	v_sub_co_u32 v10, vcc_lo, v10, v16
	s_delay_alu instid0(VALU_DEP_3)
	v_sub_co_ci_u32_e32 v11, vcc_lo, v11, v16, vcc_lo
.LBB305_1567:
	s_mov_b32 s1, 0
	s_mov_b32 s0, -1
.LBB305_1568:
	s_and_not1_b32 vcc_lo, exec_lo, s1
	s_mov_b32 s6, 0
	s_cbranch_vccnz .LBB305_1577
; %bb.1569:
	v_cmp_lt_i16_e32 vcc_lo, 14, v14
	s_cbranch_vccz .LBB305_1572
; %bb.1570:
	v_cmp_eq_u16_e32 vcc_lo, 15, v14
	s_cbranch_vccz .LBB305_1573
; %bb.1571:
	global_load_u16 v10, v[12:13], off
	s_mov_b32 s3, 0
	s_mov_b32 s0, -1
	s_waitcnt vmcnt(0)
	v_lshlrev_b32_e32 v10, 16, v10
	s_delay_alu instid0(VALU_DEP_1) | instskip(NEXT) | instid1(VALU_DEP_1)
	v_trunc_f32_e32 v10, v10
	v_mul_f32_e64 v11, 0x2f800000, |v10|
	v_ashrrev_i32_e32 v16, 31, v10
	s_delay_alu instid0(VALU_DEP_2) | instskip(NEXT) | instid1(VALU_DEP_1)
	v_floor_f32_e32 v11, v11
	v_fma_f32 v15, 0xcf800000, v11, |v10|
	v_cvt_u32_f32_e32 v11, v11
	s_delay_alu instid0(VALU_DEP_2) | instskip(NEXT) | instid1(VALU_DEP_2)
	v_cvt_u32_f32_e32 v10, v15
	v_xor_b32_e32 v11, v11, v16
	s_delay_alu instid0(VALU_DEP_2) | instskip(NEXT) | instid1(VALU_DEP_1)
	v_xor_b32_e32 v10, v10, v16
	v_sub_co_u32 v10, vcc_lo, v10, v16
	s_delay_alu instid0(VALU_DEP_3)
	v_sub_co_ci_u32_e32 v11, vcc_lo, v11, v16, vcc_lo
	s_branch .LBB305_1574
.LBB305_1572:
	s_mov_b32 s1, -1
                                        ; implicit-def: $vgpr10_vgpr11
	s_branch .LBB305_1575
.LBB305_1573:
	s_mov_b32 s3, -1
                                        ; implicit-def: $vgpr10_vgpr11
.LBB305_1574:
	s_mov_b32 s1, 0
.LBB305_1575:
	s_delay_alu instid0(SALU_CYCLE_1)
	s_and_b32 vcc_lo, exec_lo, s1
	s_cbranch_vccz .LBB305_1577
; %bb.1576:
	v_cmp_ne_u16_e64 s3, 11, v14
	s_mov_b32 s6, -1
                                        ; implicit-def: $vgpr10_vgpr11
.LBB305_1577:
	s_delay_alu instid0(VALU_DEP_1)
	s_and_b32 vcc_lo, exec_lo, s3
	s_cbranch_vccnz .LBB305_1640
; %bb.1578:
	s_and_not1_b32 vcc_lo, exec_lo, s6
	s_cbranch_vccnz .LBB305_1580
.LBB305_1579:
	global_load_u8 v10, v[12:13], off
	s_mov_b32 s0, 0
	s_waitcnt vmcnt(1)
	v_mov_b32_e32 v11, s0
	s_mov_b32 s0, -1
	s_waitcnt vmcnt(0)
	v_cmp_ne_u16_e32 vcc_lo, 0, v10
	v_cndmask_b32_e64 v10, 0, 1, vcc_lo
.LBB305_1580:
	s_mov_b32 s1, 0
.LBB305_1581:
	s_delay_alu instid0(SALU_CYCLE_1)
	s_and_b32 vcc_lo, exec_lo, s1
	s_cbranch_vccz .LBB305_1630
; %bb.1582:
	v_cmp_gt_i16_e32 vcc_lo, 5, v14
	s_cbranch_vccnz .LBB305_1587
; %bb.1583:
	v_cmp_gt_i16_e32 vcc_lo, 8, v14
	s_cbranch_vccnz .LBB305_1588
	;; [unrolled: 3-line block ×3, first 2 shown]
; %bb.1585:
	v_cmp_lt_i16_e32 vcc_lo, 9, v14
	s_cbranch_vccz .LBB305_1590
; %bb.1586:
	global_load_b64 v[10:11], v[12:13], off
	s_mov_b32 s0, 0
	s_waitcnt vmcnt(0)
	v_trunc_f64_e32 v[10:11], v[10:11]
	s_delay_alu instid0(VALU_DEP_1) | instskip(NEXT) | instid1(VALU_DEP_1)
	v_ldexp_f64 v[15:16], v[10:11], 0xffffffe0
	v_floor_f64_e32 v[15:16], v[15:16]
	s_delay_alu instid0(VALU_DEP_1) | instskip(SKIP_1) | instid1(VALU_DEP_2)
	v_fma_f64 v[17:18], 0xc1f00000, v[15:16], v[10:11]
	v_cvt_i32_f64_e32 v11, v[15:16]
	v_cvt_u32_f64_e32 v10, v[17:18]
	s_branch .LBB305_1591
.LBB305_1587:
	s_mov_b32 s0, -1
                                        ; implicit-def: $vgpr10_vgpr11
	s_branch .LBB305_1609
.LBB305_1588:
	s_mov_b32 s0, -1
                                        ; implicit-def: $vgpr10_vgpr11
	s_branch .LBB305_1597
.LBB305_1589:
	s_mov_b32 s0, -1
                                        ; implicit-def: $vgpr10_vgpr11
	s_branch .LBB305_1594
.LBB305_1590:
	s_mov_b32 s0, -1
                                        ; implicit-def: $vgpr10_vgpr11
.LBB305_1591:
	s_delay_alu instid0(SALU_CYCLE_1)
	s_and_not1_b32 vcc_lo, exec_lo, s0
	s_cbranch_vccnz .LBB305_1593
; %bb.1592:
	global_load_b32 v10, v[12:13], off
	s_waitcnt vmcnt(0)
	v_trunc_f32_e32 v10, v10
	s_delay_alu instid0(VALU_DEP_1) | instskip(SKIP_1) | instid1(VALU_DEP_2)
	v_mul_f32_e64 v11, 0x2f800000, |v10|
	v_ashrrev_i32_e32 v16, 31, v10
	v_floor_f32_e32 v11, v11
	s_delay_alu instid0(VALU_DEP_1) | instskip(SKIP_1) | instid1(VALU_DEP_2)
	v_fma_f32 v15, 0xcf800000, v11, |v10|
	v_cvt_u32_f32_e32 v11, v11
	v_cvt_u32_f32_e32 v10, v15
	s_delay_alu instid0(VALU_DEP_2) | instskip(NEXT) | instid1(VALU_DEP_2)
	v_xor_b32_e32 v11, v11, v16
	v_xor_b32_e32 v10, v10, v16
	s_delay_alu instid0(VALU_DEP_1) | instskip(NEXT) | instid1(VALU_DEP_3)
	v_sub_co_u32 v10, vcc_lo, v10, v16
	v_sub_co_ci_u32_e32 v11, vcc_lo, v11, v16, vcc_lo
.LBB305_1593:
	s_mov_b32 s0, 0
.LBB305_1594:
	s_delay_alu instid0(SALU_CYCLE_1)
	s_and_not1_b32 vcc_lo, exec_lo, s0
	s_cbranch_vccnz .LBB305_1596
; %bb.1595:
	global_load_b32 v10, v[12:13], off
	s_waitcnt vmcnt(0)
	v_cvt_f32_f16_e32 v10, v10
	s_delay_alu instid0(VALU_DEP_1) | instskip(NEXT) | instid1(VALU_DEP_1)
	v_cvt_i32_f32_e32 v10, v10
	v_ashrrev_i32_e32 v11, 31, v10
.LBB305_1596:
	s_mov_b32 s0, 0
.LBB305_1597:
	s_delay_alu instid0(SALU_CYCLE_1)
	s_and_not1_b32 vcc_lo, exec_lo, s0
	s_cbranch_vccnz .LBB305_1608
; %bb.1598:
	v_cmp_gt_i16_e32 vcc_lo, 6, v14
	s_cbranch_vccnz .LBB305_1601
; %bb.1599:
	v_cmp_lt_i16_e32 vcc_lo, 6, v14
	s_cbranch_vccz .LBB305_1602
; %bb.1600:
	global_load_b64 v[10:11], v[12:13], off
	s_mov_b32 s0, 0
	s_waitcnt vmcnt(0)
	v_trunc_f64_e32 v[10:11], v[10:11]
	s_delay_alu instid0(VALU_DEP_1) | instskip(NEXT) | instid1(VALU_DEP_1)
	v_ldexp_f64 v[15:16], v[10:11], 0xffffffe0
	v_floor_f64_e32 v[15:16], v[15:16]
	s_delay_alu instid0(VALU_DEP_1) | instskip(SKIP_1) | instid1(VALU_DEP_2)
	v_fma_f64 v[17:18], 0xc1f00000, v[15:16], v[10:11]
	v_cvt_i32_f64_e32 v11, v[15:16]
	v_cvt_u32_f64_e32 v10, v[17:18]
	s_branch .LBB305_1603
.LBB305_1601:
	s_mov_b32 s0, -1
                                        ; implicit-def: $vgpr10_vgpr11
	s_branch .LBB305_1606
.LBB305_1602:
	s_mov_b32 s0, -1
                                        ; implicit-def: $vgpr10_vgpr11
.LBB305_1603:
	s_delay_alu instid0(SALU_CYCLE_1)
	s_and_not1_b32 vcc_lo, exec_lo, s0
	s_cbranch_vccnz .LBB305_1605
; %bb.1604:
	global_load_b32 v10, v[12:13], off
	s_waitcnt vmcnt(0)
	v_trunc_f32_e32 v10, v10
	s_delay_alu instid0(VALU_DEP_1) | instskip(SKIP_1) | instid1(VALU_DEP_2)
	v_mul_f32_e64 v11, 0x2f800000, |v10|
	v_ashrrev_i32_e32 v16, 31, v10
	v_floor_f32_e32 v11, v11
	s_delay_alu instid0(VALU_DEP_1) | instskip(SKIP_1) | instid1(VALU_DEP_2)
	v_fma_f32 v15, 0xcf800000, v11, |v10|
	v_cvt_u32_f32_e32 v11, v11
	v_cvt_u32_f32_e32 v10, v15
	s_delay_alu instid0(VALU_DEP_2) | instskip(NEXT) | instid1(VALU_DEP_2)
	v_xor_b32_e32 v11, v11, v16
	v_xor_b32_e32 v10, v10, v16
	s_delay_alu instid0(VALU_DEP_1) | instskip(NEXT) | instid1(VALU_DEP_3)
	v_sub_co_u32 v10, vcc_lo, v10, v16
	v_sub_co_ci_u32_e32 v11, vcc_lo, v11, v16, vcc_lo
.LBB305_1605:
	s_mov_b32 s0, 0
.LBB305_1606:
	s_delay_alu instid0(SALU_CYCLE_1)
	s_and_not1_b32 vcc_lo, exec_lo, s0
	s_cbranch_vccnz .LBB305_1608
; %bb.1607:
	global_load_u16 v10, v[12:13], off
	s_waitcnt vmcnt(0)
	v_cvt_f32_f16_e32 v10, v10
	s_delay_alu instid0(VALU_DEP_1) | instskip(NEXT) | instid1(VALU_DEP_1)
	v_cvt_i32_f32_e32 v10, v10
	v_ashrrev_i32_e32 v11, 31, v10
.LBB305_1608:
	s_mov_b32 s0, 0
.LBB305_1609:
	s_delay_alu instid0(SALU_CYCLE_1)
	s_and_not1_b32 vcc_lo, exec_lo, s0
	s_cbranch_vccnz .LBB305_1629
; %bb.1610:
	v_cmp_gt_i16_e32 vcc_lo, 2, v14
	s_cbranch_vccnz .LBB305_1614
; %bb.1611:
	v_cmp_gt_i16_e32 vcc_lo, 3, v14
	s_cbranch_vccnz .LBB305_1615
; %bb.1612:
	v_cmp_lt_i16_e32 vcc_lo, 3, v14
	s_cbranch_vccz .LBB305_1616
; %bb.1613:
	global_load_b64 v[10:11], v[12:13], off
	s_mov_b32 s0, 0
	s_branch .LBB305_1617
.LBB305_1614:
	s_mov_b32 s0, -1
                                        ; implicit-def: $vgpr10_vgpr11
	s_branch .LBB305_1623
.LBB305_1615:
	s_mov_b32 s0, -1
                                        ; implicit-def: $vgpr10_vgpr11
	s_branch .LBB305_1620
.LBB305_1616:
	s_mov_b32 s0, -1
                                        ; implicit-def: $vgpr10_vgpr11
.LBB305_1617:
	s_delay_alu instid0(SALU_CYCLE_1)
	s_and_not1_b32 vcc_lo, exec_lo, s0
	s_cbranch_vccnz .LBB305_1619
; %bb.1618:
	global_load_b32 v10, v[12:13], off
	s_waitcnt vmcnt(0)
	v_ashrrev_i32_e32 v11, 31, v10
.LBB305_1619:
	s_mov_b32 s0, 0
.LBB305_1620:
	s_delay_alu instid0(SALU_CYCLE_1)
	s_and_not1_b32 vcc_lo, exec_lo, s0
	s_cbranch_vccnz .LBB305_1622
; %bb.1621:
	global_load_u16 v10, v[12:13], off
	s_waitcnt vmcnt(0)
	v_bfe_i32 v10, v10, 0, 16
	s_delay_alu instid0(VALU_DEP_1)
	v_ashrrev_i32_e32 v11, 31, v10
.LBB305_1622:
	s_mov_b32 s0, 0
.LBB305_1623:
	s_delay_alu instid0(SALU_CYCLE_1)
	s_and_not1_b32 vcc_lo, exec_lo, s0
	s_cbranch_vccnz .LBB305_1629
; %bb.1624:
	v_cmp_lt_i16_e32 vcc_lo, 0, v14
	s_mov_b32 s0, 0
	s_cbranch_vccz .LBB305_1626
; %bb.1625:
	global_load_i8 v10, v[12:13], off
	s_waitcnt vmcnt(0)
	v_bfe_i32 v10, v10, 0, 16
	s_delay_alu instid0(VALU_DEP_1)
	v_ashrrev_i32_e32 v11, 31, v10
	s_branch .LBB305_1627
.LBB305_1626:
	s_mov_b32 s0, -1
                                        ; implicit-def: $vgpr10_vgpr11
.LBB305_1627:
	s_delay_alu instid0(SALU_CYCLE_1)
	s_and_not1_b32 vcc_lo, exec_lo, s0
	s_cbranch_vccnz .LBB305_1629
; %bb.1628:
	global_load_u8 v10, v[12:13], off
	s_mov_b32 s0, 0
	s_waitcnt vmcnt(0)
	v_dual_mov_b32 v11, s0 :: v_dual_and_b32 v10, 0xffff, v10
.LBB305_1629:
	s_mov_b32 s0, -1
.LBB305_1630:
	s_delay_alu instid0(SALU_CYCLE_1)
	s_and_not1_b32 vcc_lo, exec_lo, s0
	s_cbranch_vccnz .LBB305_2020
; %bb.1631:
	s_load_b32 s0, s[20:21], 0x168
	s_waitcnt vmcnt(0)
	v_cmp_lt_i64_e32 vcc_lo, s[8:9], v[4:5]
	v_add_co_u32 v12, s1, s4, v3
	s_delay_alu instid0(VALU_DEP_1) | instskip(SKIP_3) | instid1(VALU_DEP_1)
	v_add_co_ci_u32_e64 v13, null, s5, 0, s1
	s_mov_b32 s6, 0
	v_cndmask_b32_e32 v5, s9, v5, vcc_lo
	v_cndmask_b32_e32 v4, s8, v4, vcc_lo
	v_cmp_gt_i64_e32 vcc_lo, s[10:11], v[4:5]
	v_cndmask_b32_e32 v5, s11, v5, vcc_lo
	s_waitcnt lgkmcnt(0)
	s_and_b32 s3, s0, 0xff
	v_cndmask_b32_e32 v4, s10, v4, vcc_lo
	v_cmp_lt_i16_e64 s0, s3, 11
	s_delay_alu instid0(VALU_DEP_1)
	s_and_b32 vcc_lo, exec_lo, s0
	s_mov_b32 s0, -1
	s_cbranch_vccnz .LBB305_1714
; %bb.1632:
	v_cmp_gt_i16_e64 s0, s3, 25
	s_mov_b32 s7, -1
	s_mov_b32 s1, 0
	s_delay_alu instid0(VALU_DEP_1)
	s_and_b32 vcc_lo, exec_lo, s0
	s_mov_b32 s0, 0
	s_cbranch_vccz .LBB305_1670
; %bb.1633:
	v_cmp_gt_i16_e64 s0, s3, 28
	s_delay_alu instid0(VALU_DEP_1)
	s_and_b32 vcc_lo, exec_lo, s0
	s_cbranch_vccz .LBB305_1638
; %bb.1634:
	v_cmp_gt_i16_e64 s0, s3, 43
	s_delay_alu instid0(VALU_DEP_1)
	s_and_b32 vcc_lo, exec_lo, s0
	;; [unrolled: 5-line block ×3, first 2 shown]
	s_cbranch_vccz .LBB305_1642
; %bb.1636:
	v_cmp_eq_u16_e64 s6, s3, 46
	s_mov_b32 s0, -1
	s_mov_b32 s7, 0
	s_delay_alu instid0(VALU_DEP_1)
	s_and_b32 vcc_lo, exec_lo, s6
	s_mov_b32 s6, 0
	s_cbranch_vccz .LBB305_1643
; %bb.1637:
	v_xor_b32_e32 v3, v4, v5
	v_cls_i32_e32 v14, v5
	s_mov_b32 s6, -1
	s_mov_b32 s0, 0
	s_delay_alu instid0(VALU_DEP_2) | instskip(NEXT) | instid1(VALU_DEP_2)
	v_ashrrev_i32_e32 v3, 31, v3
	v_add_nc_u32_e32 v14, -1, v14
	s_delay_alu instid0(VALU_DEP_2) | instskip(NEXT) | instid1(VALU_DEP_1)
	v_add_nc_u32_e32 v3, 32, v3
	v_min_u32_e32 v3, v14, v3
	s_delay_alu instid0(VALU_DEP_1) | instskip(SKIP_1) | instid1(VALU_DEP_2)
	v_lshlrev_b64 v[14:15], v3, v[4:5]
	v_sub_nc_u32_e32 v3, 32, v3
	v_min_u32_e32 v14, 1, v14
	s_delay_alu instid0(VALU_DEP_1) | instskip(NEXT) | instid1(VALU_DEP_1)
	v_or_b32_e32 v14, v15, v14
	v_cvt_f32_i32_e32 v14, v14
	s_delay_alu instid0(VALU_DEP_1) | instskip(NEXT) | instid1(VALU_DEP_1)
	v_ldexp_f32 v3, v14, v3
	v_bfe_u32 v14, v3, 16, 1
	s_delay_alu instid0(VALU_DEP_1) | instskip(NEXT) | instid1(VALU_DEP_1)
	v_add3_u32 v3, v3, v14, 0x7fff
	v_lshrrev_b32_e32 v3, 16, v3
	global_store_b32 v[12:13], v3, off
	s_branch .LBB305_1643
.LBB305_1638:
	s_mov_b32 s0, 0
	s_branch .LBB305_1653
.LBB305_1639:
	s_mov_b32 s0, 0
	s_branch .LBB305_1649
.LBB305_1640:
	s_cbranch_execnz .LBB305_1765
; %bb.1641:
	s_or_b32 s2, s2, exec_lo
                                        ; implicit-def: $vgpr10_vgpr11
	s_cbranch_execz .LBB305_1579
	s_branch .LBB305_1580
.LBB305_1642:
	s_mov_b32 s0, 0
.LBB305_1643:
	s_and_b32 vcc_lo, exec_lo, s7
	s_cbranch_vccz .LBB305_1648
; %bb.1644:
	v_cmp_eq_u16_e64 s0, s3, 44
	s_delay_alu instid0(VALU_DEP_1)
	s_and_b32 vcc_lo, exec_lo, s0
	s_mov_b32 s0, -1
	s_cbranch_vccz .LBB305_1648
; %bb.1645:
	v_xor_b32_e32 v3, v4, v5
	v_cls_i32_e32 v14, v5
	s_mov_b32 s6, -1
	s_mov_b32 s7, exec_lo
	s_delay_alu instid0(VALU_DEP_2) | instskip(NEXT) | instid1(VALU_DEP_2)
	v_ashrrev_i32_e32 v3, 31, v3
	v_add_nc_u32_e32 v14, -1, v14
	s_delay_alu instid0(VALU_DEP_2) | instskip(NEXT) | instid1(VALU_DEP_1)
	v_add_nc_u32_e32 v3, 32, v3
	v_min_u32_e32 v3, v14, v3
	s_delay_alu instid0(VALU_DEP_1) | instskip(SKIP_1) | instid1(VALU_DEP_2)
	v_lshlrev_b64 v[14:15], v3, v[4:5]
	v_sub_nc_u32_e32 v3, 32, v3
	v_min_u32_e32 v14, 1, v14
	s_delay_alu instid0(VALU_DEP_1) | instskip(NEXT) | instid1(VALU_DEP_1)
	v_or_b32_e32 v14, v15, v14
	v_cvt_f32_i32_e32 v14, v14
	s_delay_alu instid0(VALU_DEP_1) | instskip(SKIP_1) | instid1(VALU_DEP_2)
	v_ldexp_f32 v3, v14, v3
	v_mov_b32_e32 v14, 0xff
	v_bfe_u32 v15, v3, 23, 8
	s_delay_alu instid0(VALU_DEP_1)
	v_cmpx_ne_u32_e32 0xff, v15
; %bb.1646:
	v_and_b32_e32 v14, 0x400000, v3
	v_and_or_b32 v15, 0x3fffff, v3, v15
	v_lshrrev_b32_e32 v3, 23, v3
	s_delay_alu instid0(VALU_DEP_3) | instskip(NEXT) | instid1(VALU_DEP_3)
	v_cmp_ne_u32_e32 vcc_lo, 0, v14
	v_cmp_ne_u32_e64 s0, 0, v15
	s_delay_alu instid0(VALU_DEP_1) | instskip(NEXT) | instid1(SALU_CYCLE_1)
	s_and_b32 s0, vcc_lo, s0
	v_cndmask_b32_e64 v14, 0, 1, s0
	s_delay_alu instid0(VALU_DEP_1)
	v_add_nc_u32_e32 v14, v3, v14
; %bb.1647:
	s_or_b32 exec_lo, exec_lo, s7
	s_mov_b32 s0, 0
	global_store_b8 v[12:13], v14, off
.LBB305_1648:
	s_mov_b32 s7, 0
.LBB305_1649:
	s_delay_alu instid0(SALU_CYCLE_1)
	s_and_b32 vcc_lo, exec_lo, s7
	s_cbranch_vccz .LBB305_1652
; %bb.1650:
	v_cmp_eq_u16_e64 s0, s3, 29
	s_delay_alu instid0(VALU_DEP_1)
	s_and_b32 vcc_lo, exec_lo, s0
	s_mov_b32 s0, -1
	s_cbranch_vccz .LBB305_1652
; %bb.1651:
	s_mov_b32 s0, 0
	s_mov_b32 s6, -1
	global_store_b64 v[12:13], v[4:5], off
.LBB305_1652:
	s_mov_b32 s7, 0
.LBB305_1653:
	s_delay_alu instid0(SALU_CYCLE_1)
	s_and_b32 vcc_lo, exec_lo, s7
	s_cbranch_vccz .LBB305_1669
; %bb.1654:
	v_cmp_lt_i16_e64 s6, s3, 27
	s_delay_alu instid0(VALU_DEP_1)
	s_and_b32 vcc_lo, exec_lo, s6
	s_mov_b32 s6, -1
	s_cbranch_vccnz .LBB305_1660
; %bb.1655:
	v_cmp_gt_i16_e64 s6, s3, 27
	s_delay_alu instid0(VALU_DEP_1)
	s_and_b32 vcc_lo, exec_lo, s6
	s_mov_b32 s6, -1
	s_cbranch_vccz .LBB305_1657
; %bb.1656:
	s_mov_b32 s6, 0
	global_store_b32 v[12:13], v4, off
.LBB305_1657:
	s_and_not1_b32 vcc_lo, exec_lo, s6
	s_cbranch_vccnz .LBB305_1659
; %bb.1658:
	global_store_b16 v[12:13], v4, off
.LBB305_1659:
	s_mov_b32 s6, 0
.LBB305_1660:
	s_delay_alu instid0(SALU_CYCLE_1)
	s_and_not1_b32 vcc_lo, exec_lo, s6
	s_cbranch_vccnz .LBB305_1668
; %bb.1661:
	v_xor_b32_e32 v3, v4, v5
	v_cls_i32_e32 v14, v5
	s_mov_b32 s6, exec_lo
	s_delay_alu instid0(VALU_DEP_2) | instskip(NEXT) | instid1(VALU_DEP_2)
	v_ashrrev_i32_e32 v3, 31, v3
	v_add_nc_u32_e32 v14, -1, v14
	s_delay_alu instid0(VALU_DEP_2) | instskip(NEXT) | instid1(VALU_DEP_1)
	v_add_nc_u32_e32 v3, 32, v3
	v_min_u32_e32 v3, v14, v3
	s_delay_alu instid0(VALU_DEP_1) | instskip(SKIP_1) | instid1(VALU_DEP_2)
	v_lshlrev_b64 v[14:15], v3, v[4:5]
	v_sub_nc_u32_e32 v3, 32, v3
	v_min_u32_e32 v14, 1, v14
	s_delay_alu instid0(VALU_DEP_1) | instskip(SKIP_1) | instid1(VALU_DEP_2)
	v_or_b32_e32 v14, v15, v14
	v_mov_b32_e32 v15, 0x80
	v_cvt_f32_i32_e32 v14, v14
	s_delay_alu instid0(VALU_DEP_1) | instskip(NEXT) | instid1(VALU_DEP_1)
	v_ldexp_f32 v3, v14, v3
	v_and_b32_e32 v14, 0x7fffffff, v3
	s_delay_alu instid0(VALU_DEP_1)
	v_cmpx_gt_u32_e32 0x43800000, v14
	s_cbranch_execz .LBB305_1667
; %bb.1662:
	v_cmp_lt_u32_e32 vcc_lo, 0x3bffffff, v14
	s_mov_b32 s7, 0
                                        ; implicit-def: $vgpr14
	s_and_saveexec_b32 s14, vcc_lo
	s_delay_alu instid0(SALU_CYCLE_1)
	s_xor_b32 s14, exec_lo, s14
	s_cbranch_execz .LBB305_1762
; %bb.1663:
	v_bfe_u32 v14, v3, 20, 1
	s_mov_b32 s7, exec_lo
	s_delay_alu instid0(VALU_DEP_1) | instskip(NEXT) | instid1(VALU_DEP_1)
	v_add3_u32 v14, v3, v14, 0x487ffff
	v_lshrrev_b32_e32 v14, 20, v14
	s_or_saveexec_b32 s14, s14
                                        ; implicit-def: $sgpr15
	s_delay_alu instid0(SALU_CYCLE_1)
	s_xor_b32 exec_lo, exec_lo, s14
	s_cbranch_execnz .LBB305_1763
.LBB305_1664:
	s_or_b32 exec_lo, exec_lo, s14
	v_mov_b32_e32 v15, s15
	s_and_saveexec_b32 s14, s7
.LBB305_1665:
	v_lshrrev_b32_e32 v3, 24, v3
	s_delay_alu instid0(VALU_DEP_1)
	v_and_or_b32 v15, 0x80, v3, v14
.LBB305_1666:
	s_or_b32 exec_lo, exec_lo, s14
.LBB305_1667:
	s_delay_alu instid0(SALU_CYCLE_1)
	s_or_b32 exec_lo, exec_lo, s6
	global_store_b8 v[12:13], v15, off
.LBB305_1668:
	s_mov_b32 s6, -1
.LBB305_1669:
	s_mov_b32 s7, 0
.LBB305_1670:
	s_delay_alu instid0(SALU_CYCLE_1)
	s_and_b32 vcc_lo, exec_lo, s7
	s_cbranch_vccz .LBB305_1710
; %bb.1671:
	v_cmp_gt_i16_e64 s1, s3, 22
	s_delay_alu instid0(VALU_DEP_1)
	s_and_b32 vcc_lo, exec_lo, s1
	s_mov_b32 s1, -1
	s_cbranch_vccz .LBB305_1703
; %bb.1672:
	v_cmp_lt_i16_e64 s1, s3, 24
	s_delay_alu instid0(VALU_DEP_1)
	s_and_b32 vcc_lo, exec_lo, s1
	s_mov_b32 s1, -1
	s_cbranch_vccnz .LBB305_1692
; %bb.1673:
	v_cmp_gt_i16_e64 s1, s3, 24
	s_delay_alu instid0(VALU_DEP_1)
	s_and_b32 vcc_lo, exec_lo, s1
	s_mov_b32 s1, -1
	s_cbranch_vccz .LBB305_1681
; %bb.1674:
	v_xor_b32_e32 v3, v4, v5
	v_cls_i32_e32 v14, v5
	s_mov_b32 s1, exec_lo
	s_delay_alu instid0(VALU_DEP_2) | instskip(NEXT) | instid1(VALU_DEP_2)
	v_ashrrev_i32_e32 v3, 31, v3
	v_add_nc_u32_e32 v14, -1, v14
	s_delay_alu instid0(VALU_DEP_2) | instskip(NEXT) | instid1(VALU_DEP_1)
	v_add_nc_u32_e32 v3, 32, v3
	v_min_u32_e32 v3, v14, v3
	s_delay_alu instid0(VALU_DEP_1) | instskip(SKIP_1) | instid1(VALU_DEP_2)
	v_lshlrev_b64 v[14:15], v3, v[4:5]
	v_sub_nc_u32_e32 v3, 32, v3
	v_min_u32_e32 v14, 1, v14
	s_delay_alu instid0(VALU_DEP_1) | instskip(SKIP_1) | instid1(VALU_DEP_2)
	v_or_b32_e32 v14, v15, v14
	v_mov_b32_e32 v15, 0x80
	v_cvt_f32_i32_e32 v14, v14
	s_delay_alu instid0(VALU_DEP_1) | instskip(NEXT) | instid1(VALU_DEP_1)
	v_ldexp_f32 v3, v14, v3
	v_and_b32_e32 v14, 0x7fffffff, v3
	s_delay_alu instid0(VALU_DEP_1)
	v_cmpx_gt_u32_e32 0x47800000, v14
	s_cbranch_execz .LBB305_1680
; %bb.1675:
	v_cmp_lt_u32_e32 vcc_lo, 0x37ffffff, v14
	s_mov_b32 s6, 0
                                        ; implicit-def: $vgpr14
	s_and_saveexec_b32 s7, vcc_lo
	s_delay_alu instid0(SALU_CYCLE_1)
	s_xor_b32 s7, exec_lo, s7
	s_cbranch_execz .LBB305_1769
; %bb.1676:
	v_bfe_u32 v14, v3, 21, 1
	s_mov_b32 s6, exec_lo
	s_delay_alu instid0(VALU_DEP_1) | instskip(NEXT) | instid1(VALU_DEP_1)
	v_add3_u32 v14, v3, v14, 0x88fffff
	v_lshrrev_b32_e32 v14, 21, v14
	s_or_saveexec_b32 s7, s7
                                        ; implicit-def: $sgpr14
	s_delay_alu instid0(SALU_CYCLE_1)
	s_xor_b32 exec_lo, exec_lo, s7
	s_cbranch_execnz .LBB305_1770
.LBB305_1677:
	s_or_b32 exec_lo, exec_lo, s7
	v_mov_b32_e32 v15, s14
	s_and_saveexec_b32 s7, s6
.LBB305_1678:
	v_lshrrev_b32_e32 v3, 24, v3
	s_delay_alu instid0(VALU_DEP_1)
	v_and_or_b32 v15, 0x80, v3, v14
.LBB305_1679:
	s_or_b32 exec_lo, exec_lo, s7
.LBB305_1680:
	s_delay_alu instid0(SALU_CYCLE_1)
	s_or_b32 exec_lo, exec_lo, s1
	s_mov_b32 s1, 0
	global_store_b8 v[12:13], v15, off
.LBB305_1681:
	s_and_b32 vcc_lo, exec_lo, s1
	s_cbranch_vccz .LBB305_1691
; %bb.1682:
	v_xor_b32_e32 v3, v4, v5
	v_cls_i32_e32 v14, v5
	s_mov_b32 s1, exec_lo
	s_delay_alu instid0(VALU_DEP_2) | instskip(NEXT) | instid1(VALU_DEP_2)
	v_ashrrev_i32_e32 v3, 31, v3
	v_add_nc_u32_e32 v14, -1, v14
	s_delay_alu instid0(VALU_DEP_2) | instskip(NEXT) | instid1(VALU_DEP_1)
	v_add_nc_u32_e32 v3, 32, v3
	v_min_u32_e32 v3, v14, v3
	s_delay_alu instid0(VALU_DEP_1) | instskip(SKIP_1) | instid1(VALU_DEP_2)
	v_lshlrev_b64 v[14:15], v3, v[4:5]
	v_sub_nc_u32_e32 v3, 32, v3
	v_min_u32_e32 v14, 1, v14
	s_delay_alu instid0(VALU_DEP_1) | instskip(NEXT) | instid1(VALU_DEP_1)
	v_or_b32_e32 v14, v15, v14
	v_cvt_f32_i32_e32 v14, v14
	s_delay_alu instid0(VALU_DEP_1) | instskip(NEXT) | instid1(VALU_DEP_1)
	v_ldexp_f32 v3, v14, v3
                                        ; implicit-def: $vgpr14
	v_and_b32_e32 v15, 0x7fffffff, v3
	s_delay_alu instid0(VALU_DEP_1)
	v_cmpx_gt_u32_e32 0x43f00000, v15
	s_xor_b32 s1, exec_lo, s1
	s_cbranch_execz .LBB305_1688
; %bb.1683:
	s_mov_b32 s6, exec_lo
                                        ; implicit-def: $vgpr14
	v_cmpx_lt_u32_e32 0x3c7fffff, v15
	s_xor_b32 s6, exec_lo, s6
; %bb.1684:
	v_bfe_u32 v14, v3, 20, 1
	s_delay_alu instid0(VALU_DEP_1) | instskip(NEXT) | instid1(VALU_DEP_1)
	v_add3_u32 v14, v3, v14, 0x407ffff
	v_and_b32_e32 v15, 0xff00000, v14
	v_lshrrev_b32_e32 v14, 20, v14
	s_delay_alu instid0(VALU_DEP_2) | instskip(NEXT) | instid1(VALU_DEP_2)
	v_cmp_ne_u32_e32 vcc_lo, 0x7f00000, v15
	v_cndmask_b32_e32 v14, 0x7e, v14, vcc_lo
; %bb.1685:
	s_and_not1_saveexec_b32 s6, s6
; %bb.1686:
	v_add_f32_e64 v14, 0x46800000, |v3|
; %bb.1687:
	s_or_b32 exec_lo, exec_lo, s6
                                        ; implicit-def: $vgpr15
.LBB305_1688:
	s_and_not1_saveexec_b32 s1, s1
; %bb.1689:
	v_mov_b32_e32 v14, 0x7f
	v_cmp_lt_u32_e32 vcc_lo, 0x7f800000, v15
	s_delay_alu instid0(VALU_DEP_2)
	v_cndmask_b32_e32 v14, 0x7e, v14, vcc_lo
; %bb.1690:
	s_or_b32 exec_lo, exec_lo, s1
	v_lshrrev_b32_e32 v3, 24, v3
	s_delay_alu instid0(VALU_DEP_1)
	v_and_or_b32 v3, 0x80, v3, v14
	global_store_b8 v[12:13], v3, off
.LBB305_1691:
	s_mov_b32 s1, 0
.LBB305_1692:
	s_delay_alu instid0(SALU_CYCLE_1)
	s_and_not1_b32 vcc_lo, exec_lo, s1
	s_cbranch_vccnz .LBB305_1702
; %bb.1693:
	v_xor_b32_e32 v3, v4, v5
	v_cls_i32_e32 v14, v5
	s_mov_b32 s1, exec_lo
	s_delay_alu instid0(VALU_DEP_2) | instskip(NEXT) | instid1(VALU_DEP_2)
	v_ashrrev_i32_e32 v3, 31, v3
	v_add_nc_u32_e32 v14, -1, v14
	s_delay_alu instid0(VALU_DEP_2) | instskip(NEXT) | instid1(VALU_DEP_1)
	v_add_nc_u32_e32 v3, 32, v3
	v_min_u32_e32 v3, v14, v3
	s_delay_alu instid0(VALU_DEP_1) | instskip(SKIP_1) | instid1(VALU_DEP_2)
	v_lshlrev_b64 v[14:15], v3, v[4:5]
	v_sub_nc_u32_e32 v3, 32, v3
	v_min_u32_e32 v14, 1, v14
	s_delay_alu instid0(VALU_DEP_1) | instskip(NEXT) | instid1(VALU_DEP_1)
	v_or_b32_e32 v14, v15, v14
	v_cvt_f32_i32_e32 v14, v14
	s_delay_alu instid0(VALU_DEP_1) | instskip(NEXT) | instid1(VALU_DEP_1)
	v_ldexp_f32 v3, v14, v3
                                        ; implicit-def: $vgpr14
	v_and_b32_e32 v15, 0x7fffffff, v3
	s_delay_alu instid0(VALU_DEP_1)
	v_cmpx_gt_u32_e32 0x47800000, v15
	s_xor_b32 s1, exec_lo, s1
	s_cbranch_execz .LBB305_1699
; %bb.1694:
	s_mov_b32 s6, exec_lo
                                        ; implicit-def: $vgpr14
	v_cmpx_lt_u32_e32 0x387fffff, v15
	s_xor_b32 s6, exec_lo, s6
; %bb.1695:
	v_bfe_u32 v14, v3, 21, 1
	s_delay_alu instid0(VALU_DEP_1) | instskip(NEXT) | instid1(VALU_DEP_1)
	v_add3_u32 v14, v3, v14, 0x80fffff
	v_lshrrev_b32_e32 v14, 21, v14
; %bb.1696:
	s_and_not1_saveexec_b32 s6, s6
; %bb.1697:
	v_add_f32_e64 v14, 0x43000000, |v3|
; %bb.1698:
	s_or_b32 exec_lo, exec_lo, s6
                                        ; implicit-def: $vgpr15
.LBB305_1699:
	s_and_not1_saveexec_b32 s1, s1
; %bb.1700:
	v_mov_b32_e32 v14, 0x7f
	v_cmp_lt_u32_e32 vcc_lo, 0x7f800000, v15
	s_delay_alu instid0(VALU_DEP_2)
	v_cndmask_b32_e32 v14, 0x7c, v14, vcc_lo
; %bb.1701:
	s_or_b32 exec_lo, exec_lo, s1
	v_lshrrev_b32_e32 v3, 24, v3
	s_delay_alu instid0(VALU_DEP_1)
	v_and_or_b32 v3, 0x80, v3, v14
	global_store_b8 v[12:13], v3, off
.LBB305_1702:
	s_mov_b32 s1, 0
	s_mov_b32 s6, -1
.LBB305_1703:
	s_and_not1_b32 vcc_lo, exec_lo, s1
	s_mov_b32 s1, 0
	s_cbranch_vccnz .LBB305_1710
; %bb.1704:
	v_cmp_gt_i16_e64 s1, s3, 14
	s_delay_alu instid0(VALU_DEP_1)
	s_and_b32 vcc_lo, exec_lo, s1
	s_mov_b32 s1, -1
	s_cbranch_vccz .LBB305_1708
; %bb.1705:
	v_cmp_eq_u16_e64 s0, s3, 15
	s_delay_alu instid0(VALU_DEP_1)
	s_and_b32 vcc_lo, exec_lo, s0
	s_mov_b32 s0, -1
	s_cbranch_vccz .LBB305_1707
; %bb.1706:
	v_xor_b32_e32 v3, v4, v5
	v_cls_i32_e32 v14, v5
	s_mov_b32 s6, -1
	s_mov_b32 s0, 0
	s_delay_alu instid0(VALU_DEP_2) | instskip(NEXT) | instid1(VALU_DEP_2)
	v_ashrrev_i32_e32 v3, 31, v3
	v_add_nc_u32_e32 v14, -1, v14
	s_delay_alu instid0(VALU_DEP_2) | instskip(NEXT) | instid1(VALU_DEP_1)
	v_add_nc_u32_e32 v3, 32, v3
	v_min_u32_e32 v3, v14, v3
	s_delay_alu instid0(VALU_DEP_1) | instskip(SKIP_1) | instid1(VALU_DEP_2)
	v_lshlrev_b64 v[14:15], v3, v[4:5]
	v_sub_nc_u32_e32 v3, 32, v3
	v_min_u32_e32 v14, 1, v14
	s_delay_alu instid0(VALU_DEP_1) | instskip(NEXT) | instid1(VALU_DEP_1)
	v_or_b32_e32 v14, v15, v14
	v_cvt_f32_i32_e32 v14, v14
	s_delay_alu instid0(VALU_DEP_1) | instskip(NEXT) | instid1(VALU_DEP_1)
	v_ldexp_f32 v3, v14, v3
	v_bfe_u32 v14, v3, 16, 1
	s_delay_alu instid0(VALU_DEP_1)
	v_add3_u32 v3, v3, v14, 0x7fff
	global_store_d16_hi_b16 v[12:13], v3, off
.LBB305_1707:
	s_mov_b32 s1, 0
.LBB305_1708:
	s_delay_alu instid0(SALU_CYCLE_1)
	s_and_b32 vcc_lo, exec_lo, s1
	s_mov_b32 s1, 0
	s_cbranch_vccz .LBB305_1710
; %bb.1709:
	v_cmp_ne_u16_e64 s0, s3, 11
	s_mov_b32 s1, -1
.LBB305_1710:
	s_delay_alu instid0(VALU_DEP_1)
	s_and_b32 vcc_lo, exec_lo, s0
	s_cbranch_vccnz .LBB305_1767
; %bb.1711:
	s_and_not1_b32 vcc_lo, exec_lo, s1
	s_cbranch_vccnz .LBB305_1713
.LBB305_1712:
	v_cmp_ne_u64_e32 vcc_lo, 0, v[4:5]
	s_mov_b32 s6, -1
	v_cndmask_b32_e64 v3, 0, 1, vcc_lo
	global_store_b8 v[12:13], v3, off
.LBB305_1713:
	s_mov_b32 s0, 0
.LBB305_1714:
	s_delay_alu instid0(SALU_CYCLE_1)
	s_and_b32 vcc_lo, exec_lo, s0
	s_cbranch_vccz .LBB305_1753
; %bb.1715:
	v_cmp_lt_i16_e64 s0, s3, 5
	s_delay_alu instid0(VALU_DEP_1)
	s_and_b32 vcc_lo, exec_lo, s0
	s_mov_b32 s0, -1
	s_cbranch_vccnz .LBB305_1736
; %bb.1716:
	v_cmp_lt_i16_e64 s0, s3, 8
	s_delay_alu instid0(VALU_DEP_1)
	s_and_b32 vcc_lo, exec_lo, s0
	s_mov_b32 s0, -1
	s_cbranch_vccnz .LBB305_1726
	;; [unrolled: 6-line block ×3, first 2 shown]
; %bb.1718:
	v_cmp_gt_i16_e64 s0, s3, 9
	s_delay_alu instid0(VALU_DEP_1)
	s_and_b32 vcc_lo, exec_lo, s0
	s_mov_b32 s0, -1
	s_cbranch_vccz .LBB305_1720
; %bb.1719:
	v_cvt_f64_i32_e32 v[14:15], v5
	v_cvt_f64_u32_e32 v[16:17], v4
	s_mov_b32 s0, 0
	s_delay_alu instid0(VALU_DEP_2) | instskip(NEXT) | instid1(VALU_DEP_1)
	v_ldexp_f64 v[14:15], v[14:15], 32
	v_add_f64 v[14:15], v[14:15], v[16:17]
	v_mov_b32_e32 v16, 0
	s_delay_alu instid0(VALU_DEP_1)
	v_mov_b32_e32 v17, v16
	global_store_b128 v[12:13], v[14:17], off
.LBB305_1720:
	s_and_not1_b32 vcc_lo, exec_lo, s0
	s_cbranch_vccnz .LBB305_1722
; %bb.1721:
	v_xor_b32_e32 v3, v4, v5
	v_cls_i32_e32 v14, v5
	s_delay_alu instid0(VALU_DEP_2) | instskip(NEXT) | instid1(VALU_DEP_2)
	v_ashrrev_i32_e32 v3, 31, v3
	v_add_nc_u32_e32 v14, -1, v14
	s_delay_alu instid0(VALU_DEP_2) | instskip(NEXT) | instid1(VALU_DEP_1)
	v_add_nc_u32_e32 v3, 32, v3
	v_min_u32_e32 v3, v14, v3
	s_delay_alu instid0(VALU_DEP_1) | instskip(SKIP_1) | instid1(VALU_DEP_2)
	v_lshlrev_b64 v[14:15], v3, v[4:5]
	v_sub_nc_u32_e32 v3, 32, v3
	v_min_u32_e32 v14, 1, v14
	s_delay_alu instid0(VALU_DEP_1) | instskip(SKIP_1) | instid1(VALU_DEP_2)
	v_or_b32_e32 v14, v15, v14
	v_mov_b32_e32 v15, 0
	v_cvt_f32_i32_e32 v14, v14
	s_delay_alu instid0(VALU_DEP_1)
	v_ldexp_f32 v14, v14, v3
	global_store_b64 v[12:13], v[14:15], off
.LBB305_1722:
	s_mov_b32 s0, 0
.LBB305_1723:
	s_delay_alu instid0(SALU_CYCLE_1)
	s_and_not1_b32 vcc_lo, exec_lo, s0
	s_cbranch_vccnz .LBB305_1725
; %bb.1724:
	v_xor_b32_e32 v3, v4, v5
	v_cls_i32_e32 v14, v5
	s_delay_alu instid0(VALU_DEP_2) | instskip(NEXT) | instid1(VALU_DEP_2)
	v_ashrrev_i32_e32 v3, 31, v3
	v_add_nc_u32_e32 v14, -1, v14
	s_delay_alu instid0(VALU_DEP_2) | instskip(NEXT) | instid1(VALU_DEP_1)
	v_add_nc_u32_e32 v3, 32, v3
	v_min_u32_e32 v3, v14, v3
	s_delay_alu instid0(VALU_DEP_1) | instskip(SKIP_1) | instid1(VALU_DEP_2)
	v_lshlrev_b64 v[14:15], v3, v[4:5]
	v_sub_nc_u32_e32 v3, 32, v3
	v_min_u32_e32 v14, 1, v14
	s_delay_alu instid0(VALU_DEP_1) | instskip(NEXT) | instid1(VALU_DEP_1)
	v_or_b32_e32 v14, v15, v14
	v_cvt_f32_i32_e32 v14, v14
	s_delay_alu instid0(VALU_DEP_1) | instskip(NEXT) | instid1(VALU_DEP_1)
	v_ldexp_f32 v3, v14, v3
	v_cvt_f16_f32_e32 v3, v3
	s_delay_alu instid0(VALU_DEP_1)
	v_and_b32_e32 v3, 0xffff, v3
	global_store_b32 v[12:13], v3, off
.LBB305_1725:
	s_mov_b32 s0, 0
.LBB305_1726:
	s_delay_alu instid0(SALU_CYCLE_1)
	s_and_not1_b32 vcc_lo, exec_lo, s0
	s_cbranch_vccnz .LBB305_1735
; %bb.1727:
	v_cmp_lt_i16_e64 s0, s3, 6
	s_delay_alu instid0(VALU_DEP_1)
	s_and_b32 vcc_lo, exec_lo, s0
	s_mov_b32 s0, -1
	s_cbranch_vccnz .LBB305_1733
; %bb.1728:
	v_cmp_gt_i16_e64 s0, s3, 6
	s_delay_alu instid0(VALU_DEP_1)
	s_and_b32 vcc_lo, exec_lo, s0
	s_mov_b32 s0, -1
	s_cbranch_vccz .LBB305_1730
; %bb.1729:
	v_cvt_f64_i32_e32 v[14:15], v5
	v_cvt_f64_u32_e32 v[16:17], v4
	s_mov_b32 s0, 0
	s_delay_alu instid0(VALU_DEP_2) | instskip(NEXT) | instid1(VALU_DEP_1)
	v_ldexp_f64 v[14:15], v[14:15], 32
	v_add_f64 v[14:15], v[14:15], v[16:17]
	global_store_b64 v[12:13], v[14:15], off
.LBB305_1730:
	s_and_not1_b32 vcc_lo, exec_lo, s0
	s_cbranch_vccnz .LBB305_1732
; %bb.1731:
	v_xor_b32_e32 v3, v4, v5
	v_cls_i32_e32 v14, v5
	s_delay_alu instid0(VALU_DEP_2) | instskip(NEXT) | instid1(VALU_DEP_2)
	v_ashrrev_i32_e32 v3, 31, v3
	v_add_nc_u32_e32 v14, -1, v14
	s_delay_alu instid0(VALU_DEP_2) | instskip(NEXT) | instid1(VALU_DEP_1)
	v_add_nc_u32_e32 v3, 32, v3
	v_min_u32_e32 v3, v14, v3
	s_delay_alu instid0(VALU_DEP_1) | instskip(SKIP_1) | instid1(VALU_DEP_2)
	v_lshlrev_b64 v[14:15], v3, v[4:5]
	v_sub_nc_u32_e32 v3, 32, v3
	v_min_u32_e32 v14, 1, v14
	s_delay_alu instid0(VALU_DEP_1) | instskip(NEXT) | instid1(VALU_DEP_1)
	v_or_b32_e32 v14, v15, v14
	v_cvt_f32_i32_e32 v14, v14
	s_delay_alu instid0(VALU_DEP_1)
	v_ldexp_f32 v3, v14, v3
	global_store_b32 v[12:13], v3, off
.LBB305_1732:
	s_mov_b32 s0, 0
.LBB305_1733:
	s_delay_alu instid0(SALU_CYCLE_1)
	s_and_not1_b32 vcc_lo, exec_lo, s0
	s_cbranch_vccnz .LBB305_1735
; %bb.1734:
	v_xor_b32_e32 v3, v4, v5
	v_cls_i32_e32 v14, v5
	s_delay_alu instid0(VALU_DEP_2) | instskip(NEXT) | instid1(VALU_DEP_2)
	v_ashrrev_i32_e32 v3, 31, v3
	v_add_nc_u32_e32 v14, -1, v14
	s_delay_alu instid0(VALU_DEP_2) | instskip(NEXT) | instid1(VALU_DEP_1)
	v_add_nc_u32_e32 v3, 32, v3
	v_min_u32_e32 v3, v14, v3
	s_delay_alu instid0(VALU_DEP_1) | instskip(SKIP_1) | instid1(VALU_DEP_2)
	v_lshlrev_b64 v[14:15], v3, v[4:5]
	v_sub_nc_u32_e32 v3, 32, v3
	v_min_u32_e32 v14, 1, v14
	s_delay_alu instid0(VALU_DEP_1) | instskip(NEXT) | instid1(VALU_DEP_1)
	v_or_b32_e32 v14, v15, v14
	v_cvt_f32_i32_e32 v14, v14
	s_delay_alu instid0(VALU_DEP_1) | instskip(NEXT) | instid1(VALU_DEP_1)
	v_ldexp_f32 v3, v14, v3
	v_cvt_f16_f32_e32 v3, v3
	global_store_b16 v[12:13], v3, off
.LBB305_1735:
	s_mov_b32 s0, 0
.LBB305_1736:
	s_delay_alu instid0(SALU_CYCLE_1)
	s_and_not1_b32 vcc_lo, exec_lo, s0
	s_cbranch_vccnz .LBB305_1752
; %bb.1737:
	v_cmp_lt_i16_e64 s0, s3, 2
	s_delay_alu instid0(VALU_DEP_1)
	s_and_b32 vcc_lo, exec_lo, s0
	s_mov_b32 s0, -1
	s_cbranch_vccnz .LBB305_1747
; %bb.1738:
	v_cmp_lt_i16_e64 s0, s3, 3
	s_delay_alu instid0(VALU_DEP_1)
	s_and_b32 vcc_lo, exec_lo, s0
	s_mov_b32 s0, -1
	s_cbranch_vccnz .LBB305_1744
; %bb.1739:
	v_cmp_gt_i16_e64 s0, s3, 3
	s_delay_alu instid0(VALU_DEP_1)
	s_and_b32 vcc_lo, exec_lo, s0
	s_mov_b32 s0, -1
	s_cbranch_vccz .LBB305_1741
; %bb.1740:
	s_mov_b32 s0, 0
	global_store_b64 v[12:13], v[4:5], off
.LBB305_1741:
	s_and_not1_b32 vcc_lo, exec_lo, s0
	s_cbranch_vccnz .LBB305_1743
; %bb.1742:
	global_store_b32 v[12:13], v4, off
.LBB305_1743:
	s_mov_b32 s0, 0
.LBB305_1744:
	s_delay_alu instid0(SALU_CYCLE_1)
	s_and_not1_b32 vcc_lo, exec_lo, s0
	s_cbranch_vccnz .LBB305_1746
; %bb.1745:
	global_store_b16 v[12:13], v4, off
.LBB305_1746:
	s_mov_b32 s0, 0
.LBB305_1747:
	s_delay_alu instid0(SALU_CYCLE_1)
	s_and_not1_b32 vcc_lo, exec_lo, s0
	s_cbranch_vccnz .LBB305_1752
; %bb.1748:
	v_cmp_gt_i16_e64 s0, s3, 0
	s_delay_alu instid0(VALU_DEP_1)
	s_and_b32 vcc_lo, exec_lo, s0
	s_mov_b32 s0, -1
	s_cbranch_vccz .LBB305_1750
; %bb.1749:
	s_mov_b32 s0, 0
	global_store_b8 v[12:13], v4, off
.LBB305_1750:
	s_and_not1_b32 vcc_lo, exec_lo, s0
	s_cbranch_vccnz .LBB305_1752
; %bb.1751:
	global_store_b8 v[12:13], v4, off
.LBB305_1752:
	s_mov_b32 s6, -1
.LBB305_1753:
	s_delay_alu instid0(SALU_CYCLE_1)
	s_and_not1_b32 vcc_lo, exec_lo, s6
	s_cbranch_vccnz .LBB305_2020
; %bb.1754:
	v_cmp_lt_i64_e32 vcc_lo, s[8:9], v[6:7]
	v_cmp_lt_i16_e64 s0, s3, 11
	v_add_co_u32 v2, s1, s4, v2
	s_delay_alu instid0(VALU_DEP_1) | instskip(SKIP_3) | instid1(VALU_DEP_1)
	v_add_co_ci_u32_e64 v3, null, s5, 0, s1
	v_cndmask_b32_e32 v5, s9, v7, vcc_lo
	v_cndmask_b32_e32 v4, s8, v6, vcc_lo
	s_mov_b32 s6, 0
	v_cmp_gt_i64_e32 vcc_lo, s[10:11], v[4:5]
	v_cndmask_b32_e32 v5, s11, v5, vcc_lo
	v_cndmask_b32_e32 v4, s10, v4, vcc_lo
	s_and_b32 vcc_lo, exec_lo, s0
	s_mov_b32 s0, -1
	s_cbranch_vccnz .LBB305_1843
; %bb.1755:
	v_cmp_gt_i16_e64 s0, s3, 25
	s_mov_b32 s7, -1
	s_mov_b32 s1, 0
	s_delay_alu instid0(VALU_DEP_1)
	s_and_b32 vcc_lo, exec_lo, s0
	s_mov_b32 s0, 0
	s_cbranch_vccz .LBB305_1799
; %bb.1756:
	v_cmp_gt_i16_e64 s0, s3, 28
	s_delay_alu instid0(VALU_DEP_1)
	s_and_b32 vcc_lo, exec_lo, s0
	s_cbranch_vccz .LBB305_1761
; %bb.1757:
	v_cmp_gt_i16_e64 s0, s3, 43
	s_delay_alu instid0(VALU_DEP_1)
	s_and_b32 vcc_lo, exec_lo, s0
	;; [unrolled: 5-line block ×3, first 2 shown]
	s_cbranch_vccz .LBB305_1771
; %bb.1759:
	v_cmp_eq_u16_e64 s6, s3, 46
	s_mov_b32 s0, -1
	s_mov_b32 s7, 0
	s_delay_alu instid0(VALU_DEP_1)
	s_and_b32 vcc_lo, exec_lo, s6
	s_mov_b32 s6, 0
	s_cbranch_vccz .LBB305_1772
; %bb.1760:
	v_xor_b32_e32 v6, v4, v5
	v_cls_i32_e32 v7, v5
	s_mov_b32 s6, -1
	s_mov_b32 s0, 0
	s_delay_alu instid0(VALU_DEP_2) | instskip(NEXT) | instid1(VALU_DEP_2)
	v_ashrrev_i32_e32 v6, 31, v6
	v_add_nc_u32_e32 v7, -1, v7
	s_delay_alu instid0(VALU_DEP_2) | instskip(NEXT) | instid1(VALU_DEP_1)
	v_add_nc_u32_e32 v6, 32, v6
	v_min_u32_e32 v12, v7, v6
	s_delay_alu instid0(VALU_DEP_1) | instskip(NEXT) | instid1(VALU_DEP_1)
	v_lshlrev_b64 v[6:7], v12, v[4:5]
	v_min_u32_e32 v6, 1, v6
	s_delay_alu instid0(VALU_DEP_1) | instskip(SKIP_1) | instid1(VALU_DEP_2)
	v_or_b32_e32 v6, v7, v6
	v_sub_nc_u32_e32 v7, 32, v12
	v_cvt_f32_i32_e32 v6, v6
	s_delay_alu instid0(VALU_DEP_1) | instskip(NEXT) | instid1(VALU_DEP_1)
	v_ldexp_f32 v6, v6, v7
	v_bfe_u32 v7, v6, 16, 1
	s_delay_alu instid0(VALU_DEP_1) | instskip(NEXT) | instid1(VALU_DEP_1)
	v_add3_u32 v6, v6, v7, 0x7fff
	v_lshrrev_b32_e32 v6, 16, v6
	global_store_b32 v[2:3], v6, off
	s_branch .LBB305_1772
.LBB305_1761:
	s_mov_b32 s0, 0
	s_branch .LBB305_1782
.LBB305_1762:
	s_or_saveexec_b32 s14, s14
                                        ; implicit-def: $sgpr15
	s_delay_alu instid0(SALU_CYCLE_1)
	s_xor_b32 exec_lo, exec_lo, s14
	s_cbranch_execz .LBB305_1664
.LBB305_1763:
	v_add_f32_e64 v14, 0x46000000, |v3|
	s_and_not1_b32 s7, s7, exec_lo
	s_mov_b32 s15, 0
	s_delay_alu instid0(VALU_DEP_1) | instskip(NEXT) | instid1(VALU_DEP_1)
	v_and_b32_e32 v14, 0xff, v14
	v_cmp_ne_u32_e32 vcc_lo, 0, v14
	s_and_b32 s16, vcc_lo, exec_lo
	s_delay_alu instid0(SALU_CYCLE_1)
	s_or_b32 s7, s7, s16
	s_or_b32 exec_lo, exec_lo, s14
	v_mov_b32_e32 v15, s15
	s_and_saveexec_b32 s14, s7
	s_cbranch_execnz .LBB305_1665
	s_branch .LBB305_1666
.LBB305_1764:
	s_mov_b32 s0, 0
	s_branch .LBB305_1778
.LBB305_1765:
	s_trap 2
	s_sendmsg_rtn_b32 s0, sendmsg(MSG_RTN_GET_DOORBELL)
	s_mov_b32 ttmp2, m0
	s_waitcnt lgkmcnt(0)
	s_and_b32 s0, s0, 0x3ff
	s_delay_alu instid0(SALU_CYCLE_1) | instskip(NEXT) | instid1(SALU_CYCLE_1)
	s_bitset1_b32 s0, 10
	s_mov_b32 m0, s0
	s_sendmsg sendmsg(MSG_INTERRUPT)
	s_mov_b32 m0, ttmp2
.LBB305_1766:                           ; =>This Inner Loop Header: Depth=1
	s_sethalt 5
	s_branch .LBB305_1766
.LBB305_1767:
	s_cbranch_execnz .LBB305_1894
; %bb.1768:
	s_or_b32 s2, s2, exec_lo
	s_cbranch_execz .LBB305_1712
	s_branch .LBB305_1713
.LBB305_1769:
	s_or_saveexec_b32 s7, s7
                                        ; implicit-def: $sgpr14
	s_delay_alu instid0(SALU_CYCLE_1)
	s_xor_b32 exec_lo, exec_lo, s7
	s_cbranch_execz .LBB305_1677
.LBB305_1770:
	v_add_f32_e64 v14, 0x42800000, |v3|
	s_and_not1_b32 s6, s6, exec_lo
	s_mov_b32 s14, 0
	s_delay_alu instid0(VALU_DEP_1) | instskip(NEXT) | instid1(VALU_DEP_1)
	v_and_b32_e32 v14, 0xff, v14
	v_cmp_ne_u32_e32 vcc_lo, 0, v14
	s_and_b32 s15, vcc_lo, exec_lo
	s_delay_alu instid0(SALU_CYCLE_1)
	s_or_b32 s6, s6, s15
	s_or_b32 exec_lo, exec_lo, s7
	v_mov_b32_e32 v15, s14
	s_and_saveexec_b32 s7, s6
	s_cbranch_execnz .LBB305_1678
	s_branch .LBB305_1679
.LBB305_1771:
	s_mov_b32 s0, 0
.LBB305_1772:
	s_and_b32 vcc_lo, exec_lo, s7
	s_cbranch_vccz .LBB305_1777
; %bb.1773:
	v_cmp_eq_u16_e64 s0, s3, 44
	s_delay_alu instid0(VALU_DEP_1)
	s_and_b32 vcc_lo, exec_lo, s0
	s_mov_b32 s0, -1
	s_cbranch_vccz .LBB305_1777
; %bb.1774:
	v_xor_b32_e32 v6, v4, v5
	v_cls_i32_e32 v7, v5
	s_mov_b32 s6, -1
	s_mov_b32 s7, exec_lo
	s_delay_alu instid0(VALU_DEP_2) | instskip(NEXT) | instid1(VALU_DEP_2)
	v_ashrrev_i32_e32 v6, 31, v6
	v_add_nc_u32_e32 v7, -1, v7
	s_delay_alu instid0(VALU_DEP_2) | instskip(NEXT) | instid1(VALU_DEP_1)
	v_add_nc_u32_e32 v6, 32, v6
	v_min_u32_e32 v12, v7, v6
	s_delay_alu instid0(VALU_DEP_1) | instskip(NEXT) | instid1(VALU_DEP_1)
	v_lshlrev_b64 v[6:7], v12, v[4:5]
	v_min_u32_e32 v6, 1, v6
	s_delay_alu instid0(VALU_DEP_1) | instskip(SKIP_1) | instid1(VALU_DEP_2)
	v_or_b32_e32 v6, v7, v6
	v_sub_nc_u32_e32 v7, 32, v12
	v_cvt_f32_i32_e32 v6, v6
	s_delay_alu instid0(VALU_DEP_1) | instskip(SKIP_1) | instid1(VALU_DEP_2)
	v_ldexp_f32 v6, v6, v7
	v_mov_b32_e32 v7, 0xff
	v_bfe_u32 v12, v6, 23, 8
	s_delay_alu instid0(VALU_DEP_1)
	v_cmpx_ne_u32_e32 0xff, v12
; %bb.1775:
	v_and_b32_e32 v7, 0x400000, v6
	v_and_or_b32 v12, 0x3fffff, v6, v12
	v_lshrrev_b32_e32 v6, 23, v6
	s_delay_alu instid0(VALU_DEP_3) | instskip(NEXT) | instid1(VALU_DEP_3)
	v_cmp_ne_u32_e32 vcc_lo, 0, v7
	v_cmp_ne_u32_e64 s0, 0, v12
	s_delay_alu instid0(VALU_DEP_1) | instskip(NEXT) | instid1(SALU_CYCLE_1)
	s_and_b32 s0, vcc_lo, s0
	v_cndmask_b32_e64 v7, 0, 1, s0
	s_delay_alu instid0(VALU_DEP_1)
	v_add_nc_u32_e32 v7, v6, v7
; %bb.1776:
	s_or_b32 exec_lo, exec_lo, s7
	s_mov_b32 s0, 0
	global_store_b8 v[2:3], v7, off
.LBB305_1777:
	s_mov_b32 s7, 0
.LBB305_1778:
	s_delay_alu instid0(SALU_CYCLE_1)
	s_and_b32 vcc_lo, exec_lo, s7
	s_cbranch_vccz .LBB305_1781
; %bb.1779:
	v_cmp_eq_u16_e64 s0, s3, 29
	s_delay_alu instid0(VALU_DEP_1)
	s_and_b32 vcc_lo, exec_lo, s0
	s_mov_b32 s0, -1
	s_cbranch_vccz .LBB305_1781
; %bb.1780:
	s_mov_b32 s0, 0
	s_mov_b32 s6, -1
	global_store_b64 v[2:3], v[4:5], off
.LBB305_1781:
	s_mov_b32 s7, 0
.LBB305_1782:
	s_delay_alu instid0(SALU_CYCLE_1)
	s_and_b32 vcc_lo, exec_lo, s7
	s_cbranch_vccz .LBB305_1798
; %bb.1783:
	v_cmp_lt_i16_e64 s6, s3, 27
	s_delay_alu instid0(VALU_DEP_1)
	s_and_b32 vcc_lo, exec_lo, s6
	s_mov_b32 s6, -1
	s_cbranch_vccnz .LBB305_1789
; %bb.1784:
	v_cmp_gt_i16_e64 s6, s3, 27
	s_delay_alu instid0(VALU_DEP_1)
	s_and_b32 vcc_lo, exec_lo, s6
	s_mov_b32 s6, -1
	s_cbranch_vccz .LBB305_1786
; %bb.1785:
	s_mov_b32 s6, 0
	global_store_b32 v[2:3], v4, off
.LBB305_1786:
	s_and_not1_b32 vcc_lo, exec_lo, s6
	s_cbranch_vccnz .LBB305_1788
; %bb.1787:
	global_store_b16 v[2:3], v4, off
.LBB305_1788:
	s_mov_b32 s6, 0
.LBB305_1789:
	s_delay_alu instid0(SALU_CYCLE_1)
	s_and_not1_b32 vcc_lo, exec_lo, s6
	s_cbranch_vccnz .LBB305_1797
; %bb.1790:
	v_xor_b32_e32 v6, v4, v5
	v_cls_i32_e32 v7, v5
	s_mov_b32 s6, exec_lo
	s_delay_alu instid0(VALU_DEP_2) | instskip(NEXT) | instid1(VALU_DEP_2)
	v_ashrrev_i32_e32 v6, 31, v6
	v_add_nc_u32_e32 v7, -1, v7
	s_delay_alu instid0(VALU_DEP_2) | instskip(NEXT) | instid1(VALU_DEP_1)
	v_add_nc_u32_e32 v6, 32, v6
	v_min_u32_e32 v12, v7, v6
	s_delay_alu instid0(VALU_DEP_1) | instskip(NEXT) | instid1(VALU_DEP_1)
	v_lshlrev_b64 v[6:7], v12, v[4:5]
	v_min_u32_e32 v6, 1, v6
	s_delay_alu instid0(VALU_DEP_1) | instskip(SKIP_2) | instid1(VALU_DEP_3)
	v_or_b32_e32 v6, v7, v6
	v_sub_nc_u32_e32 v7, 32, v12
	v_mov_b32_e32 v12, 0x80
	v_cvt_f32_i32_e32 v6, v6
	s_delay_alu instid0(VALU_DEP_1) | instskip(NEXT) | instid1(VALU_DEP_1)
	v_ldexp_f32 v6, v6, v7
	v_and_b32_e32 v7, 0x7fffffff, v6
	s_delay_alu instid0(VALU_DEP_1)
	v_cmpx_gt_u32_e32 0x43800000, v7
	s_cbranch_execz .LBB305_1796
; %bb.1791:
	v_cmp_lt_u32_e32 vcc_lo, 0x3bffffff, v7
	s_mov_b32 s7, 0
                                        ; implicit-def: $vgpr7
	s_and_saveexec_b32 s14, vcc_lo
	s_delay_alu instid0(SALU_CYCLE_1)
	s_xor_b32 s14, exec_lo, s14
	s_cbranch_execz .LBB305_1891
; %bb.1792:
	v_bfe_u32 v7, v6, 20, 1
	s_mov_b32 s7, exec_lo
	s_delay_alu instid0(VALU_DEP_1) | instskip(NEXT) | instid1(VALU_DEP_1)
	v_add3_u32 v7, v6, v7, 0x487ffff
	v_lshrrev_b32_e32 v7, 20, v7
	s_or_saveexec_b32 s14, s14
                                        ; implicit-def: $sgpr15
	s_delay_alu instid0(SALU_CYCLE_1)
	s_xor_b32 exec_lo, exec_lo, s14
	s_cbranch_execnz .LBB305_1892
.LBB305_1793:
	s_or_b32 exec_lo, exec_lo, s14
	v_mov_b32_e32 v12, s15
	s_and_saveexec_b32 s14, s7
.LBB305_1794:
	v_lshrrev_b32_e32 v6, 24, v6
	s_delay_alu instid0(VALU_DEP_1)
	v_and_or_b32 v12, 0x80, v6, v7
.LBB305_1795:
	s_or_b32 exec_lo, exec_lo, s14
.LBB305_1796:
	s_delay_alu instid0(SALU_CYCLE_1)
	s_or_b32 exec_lo, exec_lo, s6
	global_store_b8 v[2:3], v12, off
.LBB305_1797:
	s_mov_b32 s6, -1
.LBB305_1798:
	s_mov_b32 s7, 0
.LBB305_1799:
	s_delay_alu instid0(SALU_CYCLE_1)
	s_and_b32 vcc_lo, exec_lo, s7
	s_cbranch_vccz .LBB305_1839
; %bb.1800:
	v_cmp_gt_i16_e64 s1, s3, 22
	s_delay_alu instid0(VALU_DEP_1)
	s_and_b32 vcc_lo, exec_lo, s1
	s_mov_b32 s1, -1
	s_cbranch_vccz .LBB305_1832
; %bb.1801:
	v_cmp_lt_i16_e64 s1, s3, 24
	s_delay_alu instid0(VALU_DEP_1)
	s_and_b32 vcc_lo, exec_lo, s1
	s_mov_b32 s1, -1
	s_cbranch_vccnz .LBB305_1821
; %bb.1802:
	v_cmp_gt_i16_e64 s1, s3, 24
	s_delay_alu instid0(VALU_DEP_1)
	s_and_b32 vcc_lo, exec_lo, s1
	s_mov_b32 s1, -1
	s_cbranch_vccz .LBB305_1810
; %bb.1803:
	v_xor_b32_e32 v6, v4, v5
	v_cls_i32_e32 v7, v5
	s_mov_b32 s1, exec_lo
	s_delay_alu instid0(VALU_DEP_2) | instskip(NEXT) | instid1(VALU_DEP_2)
	v_ashrrev_i32_e32 v6, 31, v6
	v_add_nc_u32_e32 v7, -1, v7
	s_delay_alu instid0(VALU_DEP_2) | instskip(NEXT) | instid1(VALU_DEP_1)
	v_add_nc_u32_e32 v6, 32, v6
	v_min_u32_e32 v12, v7, v6
	s_delay_alu instid0(VALU_DEP_1) | instskip(NEXT) | instid1(VALU_DEP_1)
	v_lshlrev_b64 v[6:7], v12, v[4:5]
	v_min_u32_e32 v6, 1, v6
	s_delay_alu instid0(VALU_DEP_1) | instskip(SKIP_2) | instid1(VALU_DEP_3)
	v_or_b32_e32 v6, v7, v6
	v_sub_nc_u32_e32 v7, 32, v12
	v_mov_b32_e32 v12, 0x80
	v_cvt_f32_i32_e32 v6, v6
	s_delay_alu instid0(VALU_DEP_1) | instskip(NEXT) | instid1(VALU_DEP_1)
	v_ldexp_f32 v6, v6, v7
	v_and_b32_e32 v7, 0x7fffffff, v6
	s_delay_alu instid0(VALU_DEP_1)
	v_cmpx_gt_u32_e32 0x47800000, v7
	s_cbranch_execz .LBB305_1809
; %bb.1804:
	v_cmp_lt_u32_e32 vcc_lo, 0x37ffffff, v7
	s_mov_b32 s6, 0
                                        ; implicit-def: $vgpr7
	s_and_saveexec_b32 s7, vcc_lo
	s_delay_alu instid0(SALU_CYCLE_1)
	s_xor_b32 s7, exec_lo, s7
	s_cbranch_execz .LBB305_1898
; %bb.1805:
	v_bfe_u32 v7, v6, 21, 1
	s_mov_b32 s6, exec_lo
	s_delay_alu instid0(VALU_DEP_1) | instskip(NEXT) | instid1(VALU_DEP_1)
	v_add3_u32 v7, v6, v7, 0x88fffff
	v_lshrrev_b32_e32 v7, 21, v7
	s_or_saveexec_b32 s7, s7
                                        ; implicit-def: $sgpr14
	s_delay_alu instid0(SALU_CYCLE_1)
	s_xor_b32 exec_lo, exec_lo, s7
	s_cbranch_execnz .LBB305_1899
.LBB305_1806:
	s_or_b32 exec_lo, exec_lo, s7
	v_mov_b32_e32 v12, s14
	s_and_saveexec_b32 s7, s6
.LBB305_1807:
	v_lshrrev_b32_e32 v6, 24, v6
	s_delay_alu instid0(VALU_DEP_1)
	v_and_or_b32 v12, 0x80, v6, v7
.LBB305_1808:
	s_or_b32 exec_lo, exec_lo, s7
.LBB305_1809:
	s_delay_alu instid0(SALU_CYCLE_1)
	s_or_b32 exec_lo, exec_lo, s1
	s_mov_b32 s1, 0
	global_store_b8 v[2:3], v12, off
.LBB305_1810:
	s_and_b32 vcc_lo, exec_lo, s1
	s_cbranch_vccz .LBB305_1820
; %bb.1811:
	v_xor_b32_e32 v6, v4, v5
	v_cls_i32_e32 v7, v5
	s_mov_b32 s1, exec_lo
	s_delay_alu instid0(VALU_DEP_2) | instskip(NEXT) | instid1(VALU_DEP_2)
	v_ashrrev_i32_e32 v6, 31, v6
	v_add_nc_u32_e32 v7, -1, v7
	s_delay_alu instid0(VALU_DEP_2) | instskip(NEXT) | instid1(VALU_DEP_1)
	v_add_nc_u32_e32 v6, 32, v6
	v_min_u32_e32 v12, v7, v6
	s_delay_alu instid0(VALU_DEP_1) | instskip(NEXT) | instid1(VALU_DEP_1)
	v_lshlrev_b64 v[6:7], v12, v[4:5]
	v_min_u32_e32 v6, 1, v6
	s_delay_alu instid0(VALU_DEP_1) | instskip(SKIP_1) | instid1(VALU_DEP_2)
	v_or_b32_e32 v6, v7, v6
	v_sub_nc_u32_e32 v7, 32, v12
	v_cvt_f32_i32_e32 v6, v6
	s_delay_alu instid0(VALU_DEP_1) | instskip(NEXT) | instid1(VALU_DEP_1)
	v_ldexp_f32 v6, v6, v7
                                        ; implicit-def: $vgpr7
	v_and_b32_e32 v12, 0x7fffffff, v6
	s_delay_alu instid0(VALU_DEP_1)
	v_cmpx_gt_u32_e32 0x43f00000, v12
	s_xor_b32 s1, exec_lo, s1
	s_cbranch_execz .LBB305_1817
; %bb.1812:
	s_mov_b32 s6, exec_lo
                                        ; implicit-def: $vgpr7
	v_cmpx_lt_u32_e32 0x3c7fffff, v12
	s_xor_b32 s6, exec_lo, s6
; %bb.1813:
	v_bfe_u32 v7, v6, 20, 1
	s_delay_alu instid0(VALU_DEP_1) | instskip(NEXT) | instid1(VALU_DEP_1)
	v_add3_u32 v7, v6, v7, 0x407ffff
	v_and_b32_e32 v12, 0xff00000, v7
	v_lshrrev_b32_e32 v7, 20, v7
	s_delay_alu instid0(VALU_DEP_2) | instskip(NEXT) | instid1(VALU_DEP_2)
	v_cmp_ne_u32_e32 vcc_lo, 0x7f00000, v12
	v_cndmask_b32_e32 v7, 0x7e, v7, vcc_lo
; %bb.1814:
	s_and_not1_saveexec_b32 s6, s6
; %bb.1815:
	v_add_f32_e64 v7, 0x46800000, |v6|
; %bb.1816:
	s_or_b32 exec_lo, exec_lo, s6
                                        ; implicit-def: $vgpr12
.LBB305_1817:
	s_and_not1_saveexec_b32 s1, s1
; %bb.1818:
	v_mov_b32_e32 v7, 0x7f
	v_cmp_lt_u32_e32 vcc_lo, 0x7f800000, v12
	s_delay_alu instid0(VALU_DEP_2)
	v_cndmask_b32_e32 v7, 0x7e, v7, vcc_lo
; %bb.1819:
	s_or_b32 exec_lo, exec_lo, s1
	v_lshrrev_b32_e32 v6, 24, v6
	s_delay_alu instid0(VALU_DEP_1)
	v_and_or_b32 v6, 0x80, v6, v7
	global_store_b8 v[2:3], v6, off
.LBB305_1820:
	s_mov_b32 s1, 0
.LBB305_1821:
	s_delay_alu instid0(SALU_CYCLE_1)
	s_and_not1_b32 vcc_lo, exec_lo, s1
	s_cbranch_vccnz .LBB305_1831
; %bb.1822:
	v_xor_b32_e32 v6, v4, v5
	v_cls_i32_e32 v7, v5
	s_mov_b32 s1, exec_lo
	s_delay_alu instid0(VALU_DEP_2) | instskip(NEXT) | instid1(VALU_DEP_2)
	v_ashrrev_i32_e32 v6, 31, v6
	v_add_nc_u32_e32 v7, -1, v7
	s_delay_alu instid0(VALU_DEP_2) | instskip(NEXT) | instid1(VALU_DEP_1)
	v_add_nc_u32_e32 v6, 32, v6
	v_min_u32_e32 v12, v7, v6
	s_delay_alu instid0(VALU_DEP_1) | instskip(NEXT) | instid1(VALU_DEP_1)
	v_lshlrev_b64 v[6:7], v12, v[4:5]
	v_min_u32_e32 v6, 1, v6
	s_delay_alu instid0(VALU_DEP_1) | instskip(SKIP_1) | instid1(VALU_DEP_2)
	v_or_b32_e32 v6, v7, v6
	v_sub_nc_u32_e32 v7, 32, v12
	v_cvt_f32_i32_e32 v6, v6
	s_delay_alu instid0(VALU_DEP_1) | instskip(NEXT) | instid1(VALU_DEP_1)
	v_ldexp_f32 v6, v6, v7
                                        ; implicit-def: $vgpr7
	v_and_b32_e32 v12, 0x7fffffff, v6
	s_delay_alu instid0(VALU_DEP_1)
	v_cmpx_gt_u32_e32 0x47800000, v12
	s_xor_b32 s1, exec_lo, s1
	s_cbranch_execz .LBB305_1828
; %bb.1823:
	s_mov_b32 s6, exec_lo
                                        ; implicit-def: $vgpr7
	v_cmpx_lt_u32_e32 0x387fffff, v12
	s_xor_b32 s6, exec_lo, s6
; %bb.1824:
	v_bfe_u32 v7, v6, 21, 1
	s_delay_alu instid0(VALU_DEP_1) | instskip(NEXT) | instid1(VALU_DEP_1)
	v_add3_u32 v7, v6, v7, 0x80fffff
	v_lshrrev_b32_e32 v7, 21, v7
; %bb.1825:
	s_and_not1_saveexec_b32 s6, s6
; %bb.1826:
	v_add_f32_e64 v7, 0x43000000, |v6|
; %bb.1827:
	s_or_b32 exec_lo, exec_lo, s6
                                        ; implicit-def: $vgpr12
.LBB305_1828:
	s_and_not1_saveexec_b32 s1, s1
; %bb.1829:
	v_mov_b32_e32 v7, 0x7f
	v_cmp_lt_u32_e32 vcc_lo, 0x7f800000, v12
	s_delay_alu instid0(VALU_DEP_2)
	v_cndmask_b32_e32 v7, 0x7c, v7, vcc_lo
; %bb.1830:
	s_or_b32 exec_lo, exec_lo, s1
	v_lshrrev_b32_e32 v6, 24, v6
	s_delay_alu instid0(VALU_DEP_1)
	v_and_or_b32 v6, 0x80, v6, v7
	global_store_b8 v[2:3], v6, off
.LBB305_1831:
	s_mov_b32 s1, 0
	s_mov_b32 s6, -1
.LBB305_1832:
	s_and_not1_b32 vcc_lo, exec_lo, s1
	s_mov_b32 s1, 0
	s_cbranch_vccnz .LBB305_1839
; %bb.1833:
	v_cmp_gt_i16_e64 s1, s3, 14
	s_delay_alu instid0(VALU_DEP_1)
	s_and_b32 vcc_lo, exec_lo, s1
	s_mov_b32 s1, -1
	s_cbranch_vccz .LBB305_1837
; %bb.1834:
	v_cmp_eq_u16_e64 s0, s3, 15
	s_delay_alu instid0(VALU_DEP_1)
	s_and_b32 vcc_lo, exec_lo, s0
	s_mov_b32 s0, -1
	s_cbranch_vccz .LBB305_1836
; %bb.1835:
	v_xor_b32_e32 v6, v4, v5
	v_cls_i32_e32 v7, v5
	s_mov_b32 s6, -1
	s_mov_b32 s0, 0
	s_delay_alu instid0(VALU_DEP_2) | instskip(NEXT) | instid1(VALU_DEP_2)
	v_ashrrev_i32_e32 v6, 31, v6
	v_add_nc_u32_e32 v7, -1, v7
	s_delay_alu instid0(VALU_DEP_2) | instskip(NEXT) | instid1(VALU_DEP_1)
	v_add_nc_u32_e32 v6, 32, v6
	v_min_u32_e32 v12, v7, v6
	s_delay_alu instid0(VALU_DEP_1) | instskip(NEXT) | instid1(VALU_DEP_1)
	v_lshlrev_b64 v[6:7], v12, v[4:5]
	v_min_u32_e32 v6, 1, v6
	s_delay_alu instid0(VALU_DEP_1) | instskip(SKIP_1) | instid1(VALU_DEP_2)
	v_or_b32_e32 v6, v7, v6
	v_sub_nc_u32_e32 v7, 32, v12
	v_cvt_f32_i32_e32 v6, v6
	s_delay_alu instid0(VALU_DEP_1) | instskip(NEXT) | instid1(VALU_DEP_1)
	v_ldexp_f32 v6, v6, v7
	v_bfe_u32 v7, v6, 16, 1
	s_delay_alu instid0(VALU_DEP_1)
	v_add3_u32 v6, v6, v7, 0x7fff
	global_store_d16_hi_b16 v[2:3], v6, off
.LBB305_1836:
	s_mov_b32 s1, 0
.LBB305_1837:
	s_delay_alu instid0(SALU_CYCLE_1)
	s_and_b32 vcc_lo, exec_lo, s1
	s_mov_b32 s1, 0
	s_cbranch_vccz .LBB305_1839
; %bb.1838:
	v_cmp_ne_u16_e64 s0, s3, 11
	s_mov_b32 s1, -1
.LBB305_1839:
	s_delay_alu instid0(VALU_DEP_1)
	s_and_b32 vcc_lo, exec_lo, s0
	s_cbranch_vccnz .LBB305_1896
; %bb.1840:
	s_and_not1_b32 vcc_lo, exec_lo, s1
	s_cbranch_vccnz .LBB305_1842
.LBB305_1841:
	v_cmp_ne_u64_e32 vcc_lo, 0, v[4:5]
	s_mov_b32 s6, -1
	v_cndmask_b32_e64 v6, 0, 1, vcc_lo
	global_store_b8 v[2:3], v6, off
.LBB305_1842:
	s_mov_b32 s0, 0
.LBB305_1843:
	s_delay_alu instid0(SALU_CYCLE_1)
	s_and_b32 vcc_lo, exec_lo, s0
	s_cbranch_vccz .LBB305_1882
; %bb.1844:
	v_cmp_lt_i16_e64 s0, s3, 5
	s_delay_alu instid0(VALU_DEP_1)
	s_and_b32 vcc_lo, exec_lo, s0
	s_mov_b32 s0, -1
	s_cbranch_vccnz .LBB305_1865
; %bb.1845:
	v_cmp_lt_i16_e64 s0, s3, 8
	s_delay_alu instid0(VALU_DEP_1)
	s_and_b32 vcc_lo, exec_lo, s0
	s_mov_b32 s0, -1
	s_cbranch_vccnz .LBB305_1855
; %bb.1846:
	v_cmp_lt_i16_e64 s0, s3, 9
	s_delay_alu instid0(VALU_DEP_1)
	s_and_b32 vcc_lo, exec_lo, s0
	s_mov_b32 s0, -1
	s_cbranch_vccnz .LBB305_1852
; %bb.1847:
	v_cmp_gt_i16_e64 s0, s3, 9
	s_delay_alu instid0(VALU_DEP_1)
	s_and_b32 vcc_lo, exec_lo, s0
	s_mov_b32 s0, -1
	s_cbranch_vccz .LBB305_1849
; %bb.1848:
	v_cvt_f64_i32_e32 v[6:7], v5
	v_cvt_f64_u32_e32 v[12:13], v4
	v_mov_b32_e32 v14, 0
	s_mov_b32 s0, 0
	s_delay_alu instid0(VALU_DEP_1) | instskip(NEXT) | instid1(VALU_DEP_4)
	v_mov_b32_e32 v15, v14
	v_ldexp_f64 v[6:7], v[6:7], 32
	s_delay_alu instid0(VALU_DEP_1)
	v_add_f64 v[12:13], v[6:7], v[12:13]
	global_store_b128 v[2:3], v[12:15], off
.LBB305_1849:
	s_and_not1_b32 vcc_lo, exec_lo, s0
	s_cbranch_vccnz .LBB305_1851
; %bb.1850:
	v_xor_b32_e32 v6, v4, v5
	v_cls_i32_e32 v7, v5
	s_delay_alu instid0(VALU_DEP_2) | instskip(NEXT) | instid1(VALU_DEP_2)
	v_ashrrev_i32_e32 v6, 31, v6
	v_add_nc_u32_e32 v7, -1, v7
	s_delay_alu instid0(VALU_DEP_2) | instskip(NEXT) | instid1(VALU_DEP_1)
	v_add_nc_u32_e32 v6, 32, v6
	v_min_u32_e32 v12, v7, v6
	s_delay_alu instid0(VALU_DEP_1) | instskip(NEXT) | instid1(VALU_DEP_1)
	v_lshlrev_b64 v[6:7], v12, v[4:5]
	v_min_u32_e32 v6, 1, v6
	s_delay_alu instid0(VALU_DEP_1) | instskip(SKIP_1) | instid1(VALU_DEP_2)
	v_or_b32_e32 v6, v7, v6
	v_sub_nc_u32_e32 v7, 32, v12
	v_cvt_f32_i32_e32 v6, v6
	s_delay_alu instid0(VALU_DEP_1)
	v_ldexp_f32 v6, v6, v7
	v_mov_b32_e32 v7, 0
	global_store_b64 v[2:3], v[6:7], off
.LBB305_1851:
	s_mov_b32 s0, 0
.LBB305_1852:
	s_delay_alu instid0(SALU_CYCLE_1)
	s_and_not1_b32 vcc_lo, exec_lo, s0
	s_cbranch_vccnz .LBB305_1854
; %bb.1853:
	v_xor_b32_e32 v6, v4, v5
	v_cls_i32_e32 v7, v5
	s_delay_alu instid0(VALU_DEP_2) | instskip(NEXT) | instid1(VALU_DEP_2)
	v_ashrrev_i32_e32 v6, 31, v6
	v_add_nc_u32_e32 v7, -1, v7
	s_delay_alu instid0(VALU_DEP_2) | instskip(NEXT) | instid1(VALU_DEP_1)
	v_add_nc_u32_e32 v6, 32, v6
	v_min_u32_e32 v12, v7, v6
	s_delay_alu instid0(VALU_DEP_1) | instskip(NEXT) | instid1(VALU_DEP_1)
	v_lshlrev_b64 v[6:7], v12, v[4:5]
	v_min_u32_e32 v6, 1, v6
	s_delay_alu instid0(VALU_DEP_1) | instskip(SKIP_1) | instid1(VALU_DEP_2)
	v_or_b32_e32 v6, v7, v6
	v_sub_nc_u32_e32 v7, 32, v12
	v_cvt_f32_i32_e32 v6, v6
	s_delay_alu instid0(VALU_DEP_1) | instskip(NEXT) | instid1(VALU_DEP_1)
	v_ldexp_f32 v6, v6, v7
	v_cvt_f16_f32_e32 v6, v6
	s_delay_alu instid0(VALU_DEP_1)
	v_and_b32_e32 v6, 0xffff, v6
	global_store_b32 v[2:3], v6, off
.LBB305_1854:
	s_mov_b32 s0, 0
.LBB305_1855:
	s_delay_alu instid0(SALU_CYCLE_1)
	s_and_not1_b32 vcc_lo, exec_lo, s0
	s_cbranch_vccnz .LBB305_1864
; %bb.1856:
	v_cmp_lt_i16_e64 s0, s3, 6
	s_delay_alu instid0(VALU_DEP_1)
	s_and_b32 vcc_lo, exec_lo, s0
	s_mov_b32 s0, -1
	s_cbranch_vccnz .LBB305_1862
; %bb.1857:
	v_cmp_gt_i16_e64 s0, s3, 6
	s_delay_alu instid0(VALU_DEP_1)
	s_and_b32 vcc_lo, exec_lo, s0
	s_mov_b32 s0, -1
	s_cbranch_vccz .LBB305_1859
; %bb.1858:
	v_cvt_f64_i32_e32 v[6:7], v5
	v_cvt_f64_u32_e32 v[12:13], v4
	s_mov_b32 s0, 0
	s_delay_alu instid0(VALU_DEP_2) | instskip(NEXT) | instid1(VALU_DEP_1)
	v_ldexp_f64 v[6:7], v[6:7], 32
	v_add_f64 v[6:7], v[6:7], v[12:13]
	global_store_b64 v[2:3], v[6:7], off
.LBB305_1859:
	s_and_not1_b32 vcc_lo, exec_lo, s0
	s_cbranch_vccnz .LBB305_1861
; %bb.1860:
	v_xor_b32_e32 v6, v4, v5
	v_cls_i32_e32 v7, v5
	s_delay_alu instid0(VALU_DEP_2) | instskip(NEXT) | instid1(VALU_DEP_2)
	v_ashrrev_i32_e32 v6, 31, v6
	v_add_nc_u32_e32 v7, -1, v7
	s_delay_alu instid0(VALU_DEP_2) | instskip(NEXT) | instid1(VALU_DEP_1)
	v_add_nc_u32_e32 v6, 32, v6
	v_min_u32_e32 v12, v7, v6
	s_delay_alu instid0(VALU_DEP_1) | instskip(NEXT) | instid1(VALU_DEP_1)
	v_lshlrev_b64 v[6:7], v12, v[4:5]
	v_min_u32_e32 v6, 1, v6
	s_delay_alu instid0(VALU_DEP_1) | instskip(SKIP_1) | instid1(VALU_DEP_2)
	v_or_b32_e32 v6, v7, v6
	v_sub_nc_u32_e32 v7, 32, v12
	v_cvt_f32_i32_e32 v6, v6
	s_delay_alu instid0(VALU_DEP_1)
	v_ldexp_f32 v6, v6, v7
	global_store_b32 v[2:3], v6, off
.LBB305_1861:
	s_mov_b32 s0, 0
.LBB305_1862:
	s_delay_alu instid0(SALU_CYCLE_1)
	s_and_not1_b32 vcc_lo, exec_lo, s0
	s_cbranch_vccnz .LBB305_1864
; %bb.1863:
	v_xor_b32_e32 v6, v4, v5
	v_cls_i32_e32 v7, v5
	s_delay_alu instid0(VALU_DEP_2) | instskip(NEXT) | instid1(VALU_DEP_2)
	v_ashrrev_i32_e32 v6, 31, v6
	v_add_nc_u32_e32 v7, -1, v7
	s_delay_alu instid0(VALU_DEP_2) | instskip(NEXT) | instid1(VALU_DEP_1)
	v_add_nc_u32_e32 v6, 32, v6
	v_min_u32_e32 v12, v7, v6
	s_delay_alu instid0(VALU_DEP_1) | instskip(NEXT) | instid1(VALU_DEP_1)
	v_lshlrev_b64 v[6:7], v12, v[4:5]
	v_min_u32_e32 v6, 1, v6
	s_delay_alu instid0(VALU_DEP_1) | instskip(SKIP_1) | instid1(VALU_DEP_2)
	v_or_b32_e32 v6, v7, v6
	v_sub_nc_u32_e32 v7, 32, v12
	v_cvt_f32_i32_e32 v6, v6
	s_delay_alu instid0(VALU_DEP_1) | instskip(NEXT) | instid1(VALU_DEP_1)
	v_ldexp_f32 v6, v6, v7
	v_cvt_f16_f32_e32 v6, v6
	global_store_b16 v[2:3], v6, off
.LBB305_1864:
	s_mov_b32 s0, 0
.LBB305_1865:
	s_delay_alu instid0(SALU_CYCLE_1)
	s_and_not1_b32 vcc_lo, exec_lo, s0
	s_cbranch_vccnz .LBB305_1881
; %bb.1866:
	v_cmp_lt_i16_e64 s0, s3, 2
	s_delay_alu instid0(VALU_DEP_1)
	s_and_b32 vcc_lo, exec_lo, s0
	s_mov_b32 s0, -1
	s_cbranch_vccnz .LBB305_1876
; %bb.1867:
	v_cmp_lt_i16_e64 s0, s3, 3
	s_delay_alu instid0(VALU_DEP_1)
	s_and_b32 vcc_lo, exec_lo, s0
	s_mov_b32 s0, -1
	s_cbranch_vccnz .LBB305_1873
; %bb.1868:
	v_cmp_gt_i16_e64 s0, s3, 3
	s_delay_alu instid0(VALU_DEP_1)
	s_and_b32 vcc_lo, exec_lo, s0
	s_mov_b32 s0, -1
	s_cbranch_vccz .LBB305_1870
; %bb.1869:
	s_mov_b32 s0, 0
	global_store_b64 v[2:3], v[4:5], off
.LBB305_1870:
	s_and_not1_b32 vcc_lo, exec_lo, s0
	s_cbranch_vccnz .LBB305_1872
; %bb.1871:
	global_store_b32 v[2:3], v4, off
.LBB305_1872:
	s_mov_b32 s0, 0
.LBB305_1873:
	s_delay_alu instid0(SALU_CYCLE_1)
	s_and_not1_b32 vcc_lo, exec_lo, s0
	s_cbranch_vccnz .LBB305_1875
; %bb.1874:
	global_store_b16 v[2:3], v4, off
.LBB305_1875:
	s_mov_b32 s0, 0
.LBB305_1876:
	s_delay_alu instid0(SALU_CYCLE_1)
	s_and_not1_b32 vcc_lo, exec_lo, s0
	s_cbranch_vccnz .LBB305_1881
; %bb.1877:
	v_cmp_gt_i16_e64 s0, s3, 0
	s_delay_alu instid0(VALU_DEP_1)
	s_and_b32 vcc_lo, exec_lo, s0
	s_mov_b32 s0, -1
	s_cbranch_vccz .LBB305_1879
; %bb.1878:
	s_mov_b32 s0, 0
	global_store_b8 v[2:3], v4, off
.LBB305_1879:
	s_and_not1_b32 vcc_lo, exec_lo, s0
	s_cbranch_vccnz .LBB305_1881
; %bb.1880:
	global_store_b8 v[2:3], v4, off
.LBB305_1881:
	s_mov_b32 s6, -1
.LBB305_1882:
	s_delay_alu instid0(SALU_CYCLE_1)
	s_and_not1_b32 vcc_lo, exec_lo, s6
	s_cbranch_vccnz .LBB305_2020
; %bb.1883:
	v_cmp_lt_i64_e32 vcc_lo, s[8:9], v[8:9]
	v_cmp_lt_i16_e64 s0, s3, 11
	v_add_co_u32 v1, s1, s4, v1
	s_delay_alu instid0(VALU_DEP_1) | instskip(SKIP_3) | instid1(VALU_DEP_1)
	v_add_co_ci_u32_e64 v2, null, s5, 0, s1
	v_cndmask_b32_e32 v4, s9, v9, vcc_lo
	v_cndmask_b32_e32 v3, s8, v8, vcc_lo
	s_mov_b32 s6, 0
	v_cmp_gt_i64_e32 vcc_lo, s[10:11], v[3:4]
	v_cndmask_b32_e32 v4, s11, v4, vcc_lo
	v_cndmask_b32_e32 v3, s10, v3, vcc_lo
	s_and_b32 vcc_lo, exec_lo, s0
	s_mov_b32 s0, -1
	s_cbranch_vccnz .LBB305_1972
; %bb.1884:
	v_cmp_gt_i16_e64 s0, s3, 25
	s_mov_b32 s7, -1
	s_mov_b32 s1, 0
	s_delay_alu instid0(VALU_DEP_1)
	s_and_b32 vcc_lo, exec_lo, s0
	s_mov_b32 s0, 0
	s_cbranch_vccz .LBB305_1928
; %bb.1885:
	v_cmp_gt_i16_e64 s0, s3, 28
	s_delay_alu instid0(VALU_DEP_1)
	s_and_b32 vcc_lo, exec_lo, s0
	s_cbranch_vccz .LBB305_1890
; %bb.1886:
	v_cmp_gt_i16_e64 s0, s3, 43
	s_delay_alu instid0(VALU_DEP_1)
	s_and_b32 vcc_lo, exec_lo, s0
	;; [unrolled: 5-line block ×3, first 2 shown]
	s_cbranch_vccz .LBB305_1900
; %bb.1888:
	v_cmp_eq_u16_e64 s6, s3, 46
	s_mov_b32 s0, -1
	s_mov_b32 s7, 0
	s_delay_alu instid0(VALU_DEP_1)
	s_and_b32 vcc_lo, exec_lo, s6
	s_mov_b32 s6, 0
	s_cbranch_vccz .LBB305_1901
; %bb.1889:
	v_xor_b32_e32 v5, v3, v4
	v_cls_i32_e32 v6, v4
	s_mov_b32 s6, -1
	s_mov_b32 s0, 0
	s_delay_alu instid0(VALU_DEP_2) | instskip(NEXT) | instid1(VALU_DEP_2)
	v_ashrrev_i32_e32 v5, 31, v5
	v_add_nc_u32_e32 v6, -1, v6
	s_delay_alu instid0(VALU_DEP_2) | instskip(NEXT) | instid1(VALU_DEP_1)
	v_add_nc_u32_e32 v5, 32, v5
	v_min_u32_e32 v7, v6, v5
	s_delay_alu instid0(VALU_DEP_1) | instskip(NEXT) | instid1(VALU_DEP_1)
	v_lshlrev_b64 v[5:6], v7, v[3:4]
	v_min_u32_e32 v5, 1, v5
	s_delay_alu instid0(VALU_DEP_1) | instskip(SKIP_1) | instid1(VALU_DEP_2)
	v_or_b32_e32 v5, v6, v5
	v_sub_nc_u32_e32 v6, 32, v7
	v_cvt_f32_i32_e32 v5, v5
	s_delay_alu instid0(VALU_DEP_1) | instskip(NEXT) | instid1(VALU_DEP_1)
	v_ldexp_f32 v5, v5, v6
	v_bfe_u32 v6, v5, 16, 1
	s_delay_alu instid0(VALU_DEP_1) | instskip(NEXT) | instid1(VALU_DEP_1)
	v_add3_u32 v5, v5, v6, 0x7fff
	v_lshrrev_b32_e32 v5, 16, v5
	global_store_b32 v[1:2], v5, off
	s_branch .LBB305_1901
.LBB305_1890:
	s_mov_b32 s0, 0
	s_branch .LBB305_1911
.LBB305_1891:
	s_or_saveexec_b32 s14, s14
                                        ; implicit-def: $sgpr15
	s_delay_alu instid0(SALU_CYCLE_1)
	s_xor_b32 exec_lo, exec_lo, s14
	s_cbranch_execz .LBB305_1793
.LBB305_1892:
	v_add_f32_e64 v7, 0x46000000, |v6|
	s_and_not1_b32 s7, s7, exec_lo
	s_mov_b32 s15, 0
	s_delay_alu instid0(VALU_DEP_1) | instskip(NEXT) | instid1(VALU_DEP_1)
	v_and_b32_e32 v7, 0xff, v7
	v_cmp_ne_u32_e32 vcc_lo, 0, v7
	s_and_b32 s16, vcc_lo, exec_lo
	s_delay_alu instid0(SALU_CYCLE_1)
	s_or_b32 s7, s7, s16
	s_or_b32 exec_lo, exec_lo, s14
	v_mov_b32_e32 v12, s15
	s_and_saveexec_b32 s14, s7
	s_cbranch_execnz .LBB305_1794
	s_branch .LBB305_1795
.LBB305_1893:
	s_mov_b32 s0, 0
	s_branch .LBB305_1907
.LBB305_1894:
	s_trap 2
	s_sendmsg_rtn_b32 s0, sendmsg(MSG_RTN_GET_DOORBELL)
	s_mov_b32 ttmp2, m0
	s_waitcnt lgkmcnt(0)
	s_and_b32 s0, s0, 0x3ff
	s_delay_alu instid0(SALU_CYCLE_1) | instskip(NEXT) | instid1(SALU_CYCLE_1)
	s_bitset1_b32 s0, 10
	s_mov_b32 m0, s0
	s_sendmsg sendmsg(MSG_INTERRUPT)
	s_mov_b32 m0, ttmp2
.LBB305_1895:                           ; =>This Inner Loop Header: Depth=1
	s_sethalt 5
	s_branch .LBB305_1895
.LBB305_1896:
	s_cbranch_execnz .LBB305_2069
; %bb.1897:
	s_or_b32 s2, s2, exec_lo
	s_cbranch_execz .LBB305_1841
	s_branch .LBB305_1842
.LBB305_1898:
	s_or_saveexec_b32 s7, s7
                                        ; implicit-def: $sgpr14
	s_delay_alu instid0(SALU_CYCLE_1)
	s_xor_b32 exec_lo, exec_lo, s7
	s_cbranch_execz .LBB305_1806
.LBB305_1899:
	v_add_f32_e64 v7, 0x42800000, |v6|
	s_and_not1_b32 s6, s6, exec_lo
	s_mov_b32 s14, 0
	s_delay_alu instid0(VALU_DEP_1) | instskip(NEXT) | instid1(VALU_DEP_1)
	v_and_b32_e32 v7, 0xff, v7
	v_cmp_ne_u32_e32 vcc_lo, 0, v7
	s_and_b32 s15, vcc_lo, exec_lo
	s_delay_alu instid0(SALU_CYCLE_1)
	s_or_b32 s6, s6, s15
	s_or_b32 exec_lo, exec_lo, s7
	v_mov_b32_e32 v12, s14
	s_and_saveexec_b32 s7, s6
	s_cbranch_execnz .LBB305_1807
	s_branch .LBB305_1808
.LBB305_1900:
	s_mov_b32 s0, 0
.LBB305_1901:
	s_and_b32 vcc_lo, exec_lo, s7
	s_cbranch_vccz .LBB305_1906
; %bb.1902:
	v_cmp_eq_u16_e64 s0, s3, 44
	s_delay_alu instid0(VALU_DEP_1)
	s_and_b32 vcc_lo, exec_lo, s0
	s_mov_b32 s0, -1
	s_cbranch_vccz .LBB305_1906
; %bb.1903:
	v_xor_b32_e32 v5, v3, v4
	v_cls_i32_e32 v6, v4
	s_mov_b32 s6, -1
	s_mov_b32 s7, exec_lo
	s_delay_alu instid0(VALU_DEP_2) | instskip(NEXT) | instid1(VALU_DEP_2)
	v_ashrrev_i32_e32 v5, 31, v5
	v_add_nc_u32_e32 v6, -1, v6
	s_delay_alu instid0(VALU_DEP_2) | instskip(NEXT) | instid1(VALU_DEP_1)
	v_add_nc_u32_e32 v5, 32, v5
	v_min_u32_e32 v7, v6, v5
	s_delay_alu instid0(VALU_DEP_1) | instskip(NEXT) | instid1(VALU_DEP_1)
	v_lshlrev_b64 v[5:6], v7, v[3:4]
	v_min_u32_e32 v5, 1, v5
	s_delay_alu instid0(VALU_DEP_1) | instskip(SKIP_1) | instid1(VALU_DEP_2)
	v_or_b32_e32 v5, v6, v5
	v_sub_nc_u32_e32 v6, 32, v7
	v_cvt_f32_i32_e32 v5, v5
	s_delay_alu instid0(VALU_DEP_1) | instskip(SKIP_1) | instid1(VALU_DEP_2)
	v_ldexp_f32 v5, v5, v6
	v_mov_b32_e32 v6, 0xff
	v_bfe_u32 v7, v5, 23, 8
	s_delay_alu instid0(VALU_DEP_1)
	v_cmpx_ne_u32_e32 0xff, v7
; %bb.1904:
	v_and_b32_e32 v6, 0x400000, v5
	v_and_or_b32 v7, 0x3fffff, v5, v7
	v_lshrrev_b32_e32 v5, 23, v5
	s_delay_alu instid0(VALU_DEP_3) | instskip(NEXT) | instid1(VALU_DEP_3)
	v_cmp_ne_u32_e32 vcc_lo, 0, v6
	v_cmp_ne_u32_e64 s0, 0, v7
	s_delay_alu instid0(VALU_DEP_1) | instskip(NEXT) | instid1(SALU_CYCLE_1)
	s_and_b32 s0, vcc_lo, s0
	v_cndmask_b32_e64 v6, 0, 1, s0
	s_delay_alu instid0(VALU_DEP_1)
	v_add_nc_u32_e32 v6, v5, v6
; %bb.1905:
	s_or_b32 exec_lo, exec_lo, s7
	s_mov_b32 s0, 0
	global_store_b8 v[1:2], v6, off
.LBB305_1906:
	s_mov_b32 s7, 0
.LBB305_1907:
	s_delay_alu instid0(SALU_CYCLE_1)
	s_and_b32 vcc_lo, exec_lo, s7
	s_cbranch_vccz .LBB305_1910
; %bb.1908:
	v_cmp_eq_u16_e64 s0, s3, 29
	s_delay_alu instid0(VALU_DEP_1)
	s_and_b32 vcc_lo, exec_lo, s0
	s_mov_b32 s0, -1
	s_cbranch_vccz .LBB305_1910
; %bb.1909:
	s_mov_b32 s0, 0
	s_mov_b32 s6, -1
	global_store_b64 v[1:2], v[3:4], off
.LBB305_1910:
	s_mov_b32 s7, 0
.LBB305_1911:
	s_delay_alu instid0(SALU_CYCLE_1)
	s_and_b32 vcc_lo, exec_lo, s7
	s_cbranch_vccz .LBB305_1927
; %bb.1912:
	v_cmp_lt_i16_e64 s6, s3, 27
	s_delay_alu instid0(VALU_DEP_1)
	s_and_b32 vcc_lo, exec_lo, s6
	s_mov_b32 s6, -1
	s_cbranch_vccnz .LBB305_1918
; %bb.1913:
	v_cmp_gt_i16_e64 s6, s3, 27
	s_delay_alu instid0(VALU_DEP_1)
	s_and_b32 vcc_lo, exec_lo, s6
	s_mov_b32 s6, -1
	s_cbranch_vccz .LBB305_1915
; %bb.1914:
	s_mov_b32 s6, 0
	global_store_b32 v[1:2], v3, off
.LBB305_1915:
	s_and_not1_b32 vcc_lo, exec_lo, s6
	s_cbranch_vccnz .LBB305_1917
; %bb.1916:
	global_store_b16 v[1:2], v3, off
.LBB305_1917:
	s_mov_b32 s6, 0
.LBB305_1918:
	s_delay_alu instid0(SALU_CYCLE_1)
	s_and_not1_b32 vcc_lo, exec_lo, s6
	s_cbranch_vccnz .LBB305_1926
; %bb.1919:
	v_xor_b32_e32 v5, v3, v4
	v_cls_i32_e32 v6, v4
	s_mov_b32 s6, exec_lo
	s_delay_alu instid0(VALU_DEP_2) | instskip(NEXT) | instid1(VALU_DEP_2)
	v_ashrrev_i32_e32 v5, 31, v5
	v_add_nc_u32_e32 v6, -1, v6
	s_delay_alu instid0(VALU_DEP_2) | instskip(NEXT) | instid1(VALU_DEP_1)
	v_add_nc_u32_e32 v5, 32, v5
	v_min_u32_e32 v7, v6, v5
	s_delay_alu instid0(VALU_DEP_1) | instskip(NEXT) | instid1(VALU_DEP_1)
	v_lshlrev_b64 v[5:6], v7, v[3:4]
	v_min_u32_e32 v5, 1, v5
	s_delay_alu instid0(VALU_DEP_1) | instskip(SKIP_2) | instid1(VALU_DEP_3)
	v_or_b32_e32 v5, v6, v5
	v_sub_nc_u32_e32 v6, 32, v7
	v_mov_b32_e32 v7, 0x80
	v_cvt_f32_i32_e32 v5, v5
	s_delay_alu instid0(VALU_DEP_1) | instskip(NEXT) | instid1(VALU_DEP_1)
	v_ldexp_f32 v5, v5, v6
	v_and_b32_e32 v6, 0x7fffffff, v5
	s_delay_alu instid0(VALU_DEP_1)
	v_cmpx_gt_u32_e32 0x43800000, v6
	s_cbranch_execz .LBB305_1925
; %bb.1920:
	v_cmp_lt_u32_e32 vcc_lo, 0x3bffffff, v6
	s_mov_b32 s7, 0
                                        ; implicit-def: $vgpr6
	s_and_saveexec_b32 s14, vcc_lo
	s_delay_alu instid0(SALU_CYCLE_1)
	s_xor_b32 s14, exec_lo, s14
	s_cbranch_execz .LBB305_2066
; %bb.1921:
	v_bfe_u32 v6, v5, 20, 1
	s_mov_b32 s7, exec_lo
	s_delay_alu instid0(VALU_DEP_1) | instskip(NEXT) | instid1(VALU_DEP_1)
	v_add3_u32 v6, v5, v6, 0x487ffff
	v_lshrrev_b32_e32 v6, 20, v6
	s_or_saveexec_b32 s14, s14
                                        ; implicit-def: $sgpr15
	s_delay_alu instid0(SALU_CYCLE_1)
	s_xor_b32 exec_lo, exec_lo, s14
	s_cbranch_execnz .LBB305_2067
.LBB305_1922:
	s_or_b32 exec_lo, exec_lo, s14
	v_mov_b32_e32 v7, s15
	s_and_saveexec_b32 s14, s7
.LBB305_1923:
	v_lshrrev_b32_e32 v5, 24, v5
	s_delay_alu instid0(VALU_DEP_1)
	v_and_or_b32 v7, 0x80, v5, v6
.LBB305_1924:
	s_or_b32 exec_lo, exec_lo, s14
.LBB305_1925:
	s_delay_alu instid0(SALU_CYCLE_1)
	s_or_b32 exec_lo, exec_lo, s6
	global_store_b8 v[1:2], v7, off
.LBB305_1926:
	s_mov_b32 s6, -1
.LBB305_1927:
	s_mov_b32 s7, 0
.LBB305_1928:
	s_delay_alu instid0(SALU_CYCLE_1)
	s_and_b32 vcc_lo, exec_lo, s7
	s_cbranch_vccz .LBB305_1968
; %bb.1929:
	v_cmp_gt_i16_e64 s1, s3, 22
	s_delay_alu instid0(VALU_DEP_1)
	s_and_b32 vcc_lo, exec_lo, s1
	s_mov_b32 s1, -1
	s_cbranch_vccz .LBB305_1961
; %bb.1930:
	v_cmp_lt_i16_e64 s1, s3, 24
	s_delay_alu instid0(VALU_DEP_1)
	s_and_b32 vcc_lo, exec_lo, s1
	s_mov_b32 s1, -1
	s_cbranch_vccnz .LBB305_1950
; %bb.1931:
	v_cmp_gt_i16_e64 s1, s3, 24
	s_delay_alu instid0(VALU_DEP_1)
	s_and_b32 vcc_lo, exec_lo, s1
	s_mov_b32 s1, -1
	s_cbranch_vccz .LBB305_1939
; %bb.1932:
	v_xor_b32_e32 v5, v3, v4
	v_cls_i32_e32 v6, v4
	s_mov_b32 s1, exec_lo
	s_delay_alu instid0(VALU_DEP_2) | instskip(NEXT) | instid1(VALU_DEP_2)
	v_ashrrev_i32_e32 v5, 31, v5
	v_add_nc_u32_e32 v6, -1, v6
	s_delay_alu instid0(VALU_DEP_2) | instskip(NEXT) | instid1(VALU_DEP_1)
	v_add_nc_u32_e32 v5, 32, v5
	v_min_u32_e32 v7, v6, v5
	s_delay_alu instid0(VALU_DEP_1) | instskip(NEXT) | instid1(VALU_DEP_1)
	v_lshlrev_b64 v[5:6], v7, v[3:4]
	v_min_u32_e32 v5, 1, v5
	s_delay_alu instid0(VALU_DEP_1) | instskip(SKIP_2) | instid1(VALU_DEP_3)
	v_or_b32_e32 v5, v6, v5
	v_sub_nc_u32_e32 v6, 32, v7
	v_mov_b32_e32 v7, 0x80
	v_cvt_f32_i32_e32 v5, v5
	s_delay_alu instid0(VALU_DEP_1) | instskip(NEXT) | instid1(VALU_DEP_1)
	v_ldexp_f32 v5, v5, v6
	v_and_b32_e32 v6, 0x7fffffff, v5
	s_delay_alu instid0(VALU_DEP_1)
	v_cmpx_gt_u32_e32 0x47800000, v6
	s_cbranch_execz .LBB305_1938
; %bb.1933:
	v_cmp_lt_u32_e32 vcc_lo, 0x37ffffff, v6
	s_mov_b32 s6, 0
                                        ; implicit-def: $vgpr6
	s_and_saveexec_b32 s7, vcc_lo
	s_delay_alu instid0(SALU_CYCLE_1)
	s_xor_b32 s7, exec_lo, s7
	s_cbranch_execz .LBB305_2073
; %bb.1934:
	v_bfe_u32 v6, v5, 21, 1
	s_mov_b32 s6, exec_lo
	s_delay_alu instid0(VALU_DEP_1) | instskip(NEXT) | instid1(VALU_DEP_1)
	v_add3_u32 v6, v5, v6, 0x88fffff
	v_lshrrev_b32_e32 v6, 21, v6
	s_or_saveexec_b32 s7, s7
                                        ; implicit-def: $sgpr14
	s_delay_alu instid0(SALU_CYCLE_1)
	s_xor_b32 exec_lo, exec_lo, s7
	s_cbranch_execnz .LBB305_2074
.LBB305_1935:
	s_or_b32 exec_lo, exec_lo, s7
	v_mov_b32_e32 v7, s14
	s_and_saveexec_b32 s7, s6
.LBB305_1936:
	v_lshrrev_b32_e32 v5, 24, v5
	s_delay_alu instid0(VALU_DEP_1)
	v_and_or_b32 v7, 0x80, v5, v6
.LBB305_1937:
	s_or_b32 exec_lo, exec_lo, s7
.LBB305_1938:
	s_delay_alu instid0(SALU_CYCLE_1)
	s_or_b32 exec_lo, exec_lo, s1
	s_mov_b32 s1, 0
	global_store_b8 v[1:2], v7, off
.LBB305_1939:
	s_and_b32 vcc_lo, exec_lo, s1
	s_cbranch_vccz .LBB305_1949
; %bb.1940:
	v_xor_b32_e32 v5, v3, v4
	v_cls_i32_e32 v6, v4
	s_mov_b32 s1, exec_lo
	s_delay_alu instid0(VALU_DEP_2) | instskip(NEXT) | instid1(VALU_DEP_2)
	v_ashrrev_i32_e32 v5, 31, v5
	v_add_nc_u32_e32 v6, -1, v6
	s_delay_alu instid0(VALU_DEP_2) | instskip(NEXT) | instid1(VALU_DEP_1)
	v_add_nc_u32_e32 v5, 32, v5
	v_min_u32_e32 v7, v6, v5
	s_delay_alu instid0(VALU_DEP_1) | instskip(NEXT) | instid1(VALU_DEP_1)
	v_lshlrev_b64 v[5:6], v7, v[3:4]
	v_min_u32_e32 v5, 1, v5
	s_delay_alu instid0(VALU_DEP_1) | instskip(SKIP_1) | instid1(VALU_DEP_2)
	v_or_b32_e32 v5, v6, v5
	v_sub_nc_u32_e32 v6, 32, v7
	v_cvt_f32_i32_e32 v5, v5
	s_delay_alu instid0(VALU_DEP_1) | instskip(NEXT) | instid1(VALU_DEP_1)
	v_ldexp_f32 v5, v5, v6
                                        ; implicit-def: $vgpr6
	v_and_b32_e32 v7, 0x7fffffff, v5
	s_delay_alu instid0(VALU_DEP_1)
	v_cmpx_gt_u32_e32 0x43f00000, v7
	s_xor_b32 s1, exec_lo, s1
	s_cbranch_execz .LBB305_1946
; %bb.1941:
	s_mov_b32 s6, exec_lo
                                        ; implicit-def: $vgpr6
	v_cmpx_lt_u32_e32 0x3c7fffff, v7
	s_xor_b32 s6, exec_lo, s6
; %bb.1942:
	v_bfe_u32 v6, v5, 20, 1
	s_delay_alu instid0(VALU_DEP_1) | instskip(NEXT) | instid1(VALU_DEP_1)
	v_add3_u32 v6, v5, v6, 0x407ffff
	v_and_b32_e32 v7, 0xff00000, v6
	v_lshrrev_b32_e32 v6, 20, v6
	s_delay_alu instid0(VALU_DEP_2) | instskip(NEXT) | instid1(VALU_DEP_2)
	v_cmp_ne_u32_e32 vcc_lo, 0x7f00000, v7
	v_cndmask_b32_e32 v6, 0x7e, v6, vcc_lo
; %bb.1943:
	s_and_not1_saveexec_b32 s6, s6
; %bb.1944:
	v_add_f32_e64 v6, 0x46800000, |v5|
; %bb.1945:
	s_or_b32 exec_lo, exec_lo, s6
                                        ; implicit-def: $vgpr7
.LBB305_1946:
	s_and_not1_saveexec_b32 s1, s1
; %bb.1947:
	v_mov_b32_e32 v6, 0x7f
	v_cmp_lt_u32_e32 vcc_lo, 0x7f800000, v7
	s_delay_alu instid0(VALU_DEP_2)
	v_cndmask_b32_e32 v6, 0x7e, v6, vcc_lo
; %bb.1948:
	s_or_b32 exec_lo, exec_lo, s1
	v_lshrrev_b32_e32 v5, 24, v5
	s_delay_alu instid0(VALU_DEP_1)
	v_and_or_b32 v5, 0x80, v5, v6
	global_store_b8 v[1:2], v5, off
.LBB305_1949:
	s_mov_b32 s1, 0
.LBB305_1950:
	s_delay_alu instid0(SALU_CYCLE_1)
	s_and_not1_b32 vcc_lo, exec_lo, s1
	s_cbranch_vccnz .LBB305_1960
; %bb.1951:
	v_xor_b32_e32 v5, v3, v4
	v_cls_i32_e32 v6, v4
	s_mov_b32 s1, exec_lo
	s_delay_alu instid0(VALU_DEP_2) | instskip(NEXT) | instid1(VALU_DEP_2)
	v_ashrrev_i32_e32 v5, 31, v5
	v_add_nc_u32_e32 v6, -1, v6
	s_delay_alu instid0(VALU_DEP_2) | instskip(NEXT) | instid1(VALU_DEP_1)
	v_add_nc_u32_e32 v5, 32, v5
	v_min_u32_e32 v7, v6, v5
	s_delay_alu instid0(VALU_DEP_1) | instskip(NEXT) | instid1(VALU_DEP_1)
	v_lshlrev_b64 v[5:6], v7, v[3:4]
	v_min_u32_e32 v5, 1, v5
	s_delay_alu instid0(VALU_DEP_1) | instskip(SKIP_1) | instid1(VALU_DEP_2)
	v_or_b32_e32 v5, v6, v5
	v_sub_nc_u32_e32 v6, 32, v7
	v_cvt_f32_i32_e32 v5, v5
	s_delay_alu instid0(VALU_DEP_1) | instskip(NEXT) | instid1(VALU_DEP_1)
	v_ldexp_f32 v5, v5, v6
                                        ; implicit-def: $vgpr6
	v_and_b32_e32 v7, 0x7fffffff, v5
	s_delay_alu instid0(VALU_DEP_1)
	v_cmpx_gt_u32_e32 0x47800000, v7
	s_xor_b32 s1, exec_lo, s1
	s_cbranch_execz .LBB305_1957
; %bb.1952:
	s_mov_b32 s6, exec_lo
                                        ; implicit-def: $vgpr6
	v_cmpx_lt_u32_e32 0x387fffff, v7
	s_xor_b32 s6, exec_lo, s6
; %bb.1953:
	v_bfe_u32 v6, v5, 21, 1
	s_delay_alu instid0(VALU_DEP_1) | instskip(NEXT) | instid1(VALU_DEP_1)
	v_add3_u32 v6, v5, v6, 0x80fffff
	v_lshrrev_b32_e32 v6, 21, v6
; %bb.1954:
	s_and_not1_saveexec_b32 s6, s6
; %bb.1955:
	v_add_f32_e64 v6, 0x43000000, |v5|
; %bb.1956:
	s_or_b32 exec_lo, exec_lo, s6
                                        ; implicit-def: $vgpr7
.LBB305_1957:
	s_and_not1_saveexec_b32 s1, s1
; %bb.1958:
	v_mov_b32_e32 v6, 0x7f
	v_cmp_lt_u32_e32 vcc_lo, 0x7f800000, v7
	s_delay_alu instid0(VALU_DEP_2)
	v_cndmask_b32_e32 v6, 0x7c, v6, vcc_lo
; %bb.1959:
	s_or_b32 exec_lo, exec_lo, s1
	v_lshrrev_b32_e32 v5, 24, v5
	s_delay_alu instid0(VALU_DEP_1)
	v_and_or_b32 v5, 0x80, v5, v6
	global_store_b8 v[1:2], v5, off
.LBB305_1960:
	s_mov_b32 s1, 0
	s_mov_b32 s6, -1
.LBB305_1961:
	s_and_not1_b32 vcc_lo, exec_lo, s1
	s_mov_b32 s1, 0
	s_cbranch_vccnz .LBB305_1968
; %bb.1962:
	v_cmp_gt_i16_e64 s1, s3, 14
	s_delay_alu instid0(VALU_DEP_1)
	s_and_b32 vcc_lo, exec_lo, s1
	s_mov_b32 s1, -1
	s_cbranch_vccz .LBB305_1966
; %bb.1963:
	v_cmp_eq_u16_e64 s0, s3, 15
	s_delay_alu instid0(VALU_DEP_1)
	s_and_b32 vcc_lo, exec_lo, s0
	s_mov_b32 s0, -1
	s_cbranch_vccz .LBB305_1965
; %bb.1964:
	v_xor_b32_e32 v5, v3, v4
	v_cls_i32_e32 v6, v4
	s_mov_b32 s6, -1
	s_mov_b32 s0, 0
	s_delay_alu instid0(VALU_DEP_2) | instskip(NEXT) | instid1(VALU_DEP_2)
	v_ashrrev_i32_e32 v5, 31, v5
	v_add_nc_u32_e32 v6, -1, v6
	s_delay_alu instid0(VALU_DEP_2) | instskip(NEXT) | instid1(VALU_DEP_1)
	v_add_nc_u32_e32 v5, 32, v5
	v_min_u32_e32 v7, v6, v5
	s_delay_alu instid0(VALU_DEP_1) | instskip(NEXT) | instid1(VALU_DEP_1)
	v_lshlrev_b64 v[5:6], v7, v[3:4]
	v_min_u32_e32 v5, 1, v5
	s_delay_alu instid0(VALU_DEP_1) | instskip(SKIP_1) | instid1(VALU_DEP_2)
	v_or_b32_e32 v5, v6, v5
	v_sub_nc_u32_e32 v6, 32, v7
	v_cvt_f32_i32_e32 v5, v5
	s_delay_alu instid0(VALU_DEP_1) | instskip(NEXT) | instid1(VALU_DEP_1)
	v_ldexp_f32 v5, v5, v6
	v_bfe_u32 v6, v5, 16, 1
	s_delay_alu instid0(VALU_DEP_1)
	v_add3_u32 v5, v5, v6, 0x7fff
	global_store_d16_hi_b16 v[1:2], v5, off
.LBB305_1965:
	s_mov_b32 s1, 0
.LBB305_1966:
	s_delay_alu instid0(SALU_CYCLE_1)
	s_and_b32 vcc_lo, exec_lo, s1
	s_mov_b32 s1, 0
	s_cbranch_vccz .LBB305_1968
; %bb.1967:
	v_cmp_ne_u16_e64 s0, s3, 11
	s_mov_b32 s1, -1
.LBB305_1968:
	s_delay_alu instid0(VALU_DEP_1)
	s_and_b32 vcc_lo, exec_lo, s0
	s_cbranch_vccnz .LBB305_2071
; %bb.1969:
	s_and_not1_b32 vcc_lo, exec_lo, s1
	s_cbranch_vccnz .LBB305_1971
.LBB305_1970:
	v_cmp_ne_u64_e32 vcc_lo, 0, v[3:4]
	s_mov_b32 s6, -1
	v_cndmask_b32_e64 v5, 0, 1, vcc_lo
	global_store_b8 v[1:2], v5, off
.LBB305_1971:
	s_mov_b32 s0, 0
.LBB305_1972:
	s_delay_alu instid0(SALU_CYCLE_1)
	s_and_b32 vcc_lo, exec_lo, s0
	s_cbranch_vccz .LBB305_2011
; %bb.1973:
	v_cmp_lt_i16_e64 s0, s3, 5
	s_delay_alu instid0(VALU_DEP_1)
	s_and_b32 vcc_lo, exec_lo, s0
	s_mov_b32 s0, -1
	s_cbranch_vccnz .LBB305_1994
; %bb.1974:
	v_cmp_lt_i16_e64 s0, s3, 8
	s_delay_alu instid0(VALU_DEP_1)
	s_and_b32 vcc_lo, exec_lo, s0
	s_mov_b32 s0, -1
	s_cbranch_vccnz .LBB305_1984
	;; [unrolled: 6-line block ×3, first 2 shown]
; %bb.1976:
	v_cmp_gt_i16_e64 s0, s3, 9
	s_delay_alu instid0(VALU_DEP_1)
	s_and_b32 vcc_lo, exec_lo, s0
	s_mov_b32 s0, -1
	s_cbranch_vccz .LBB305_1978
; %bb.1977:
	v_cvt_f64_i32_e32 v[5:6], v4
	v_cvt_f64_u32_e32 v[7:8], v3
	s_mov_b32 s0, 0
	s_delay_alu instid0(VALU_DEP_2) | instskip(NEXT) | instid1(VALU_DEP_1)
	v_ldexp_f64 v[5:6], v[5:6], 32
	v_add_f64 v[5:6], v[5:6], v[7:8]
	v_mov_b32_e32 v7, 0
	s_delay_alu instid0(VALU_DEP_1)
	v_mov_b32_e32 v8, v7
	global_store_b128 v[1:2], v[5:8], off
.LBB305_1978:
	s_and_not1_b32 vcc_lo, exec_lo, s0
	s_cbranch_vccnz .LBB305_1980
; %bb.1979:
	v_xor_b32_e32 v5, v3, v4
	v_cls_i32_e32 v6, v4
	s_delay_alu instid0(VALU_DEP_2) | instskip(NEXT) | instid1(VALU_DEP_2)
	v_ashrrev_i32_e32 v5, 31, v5
	v_add_nc_u32_e32 v6, -1, v6
	s_delay_alu instid0(VALU_DEP_2) | instskip(NEXT) | instid1(VALU_DEP_1)
	v_add_nc_u32_e32 v5, 32, v5
	v_min_u32_e32 v7, v6, v5
	s_delay_alu instid0(VALU_DEP_1) | instskip(NEXT) | instid1(VALU_DEP_1)
	v_lshlrev_b64 v[5:6], v7, v[3:4]
	v_min_u32_e32 v5, 1, v5
	s_delay_alu instid0(VALU_DEP_1) | instskip(SKIP_1) | instid1(VALU_DEP_2)
	v_or_b32_e32 v5, v6, v5
	v_sub_nc_u32_e32 v6, 32, v7
	v_cvt_f32_i32_e32 v5, v5
	s_delay_alu instid0(VALU_DEP_1)
	v_ldexp_f32 v5, v5, v6
	v_mov_b32_e32 v6, 0
	global_store_b64 v[1:2], v[5:6], off
.LBB305_1980:
	s_mov_b32 s0, 0
.LBB305_1981:
	s_delay_alu instid0(SALU_CYCLE_1)
	s_and_not1_b32 vcc_lo, exec_lo, s0
	s_cbranch_vccnz .LBB305_1983
; %bb.1982:
	v_xor_b32_e32 v5, v3, v4
	v_cls_i32_e32 v6, v4
	s_delay_alu instid0(VALU_DEP_2) | instskip(NEXT) | instid1(VALU_DEP_2)
	v_ashrrev_i32_e32 v5, 31, v5
	v_add_nc_u32_e32 v6, -1, v6
	s_delay_alu instid0(VALU_DEP_2) | instskip(NEXT) | instid1(VALU_DEP_1)
	v_add_nc_u32_e32 v5, 32, v5
	v_min_u32_e32 v7, v6, v5
	s_delay_alu instid0(VALU_DEP_1) | instskip(NEXT) | instid1(VALU_DEP_1)
	v_lshlrev_b64 v[5:6], v7, v[3:4]
	v_min_u32_e32 v5, 1, v5
	s_delay_alu instid0(VALU_DEP_1) | instskip(SKIP_1) | instid1(VALU_DEP_2)
	v_or_b32_e32 v5, v6, v5
	v_sub_nc_u32_e32 v6, 32, v7
	v_cvt_f32_i32_e32 v5, v5
	s_delay_alu instid0(VALU_DEP_1) | instskip(NEXT) | instid1(VALU_DEP_1)
	v_ldexp_f32 v5, v5, v6
	v_cvt_f16_f32_e32 v5, v5
	s_delay_alu instid0(VALU_DEP_1)
	v_and_b32_e32 v5, 0xffff, v5
	global_store_b32 v[1:2], v5, off
.LBB305_1983:
	s_mov_b32 s0, 0
.LBB305_1984:
	s_delay_alu instid0(SALU_CYCLE_1)
	s_and_not1_b32 vcc_lo, exec_lo, s0
	s_cbranch_vccnz .LBB305_1993
; %bb.1985:
	v_cmp_lt_i16_e64 s0, s3, 6
	s_delay_alu instid0(VALU_DEP_1)
	s_and_b32 vcc_lo, exec_lo, s0
	s_mov_b32 s0, -1
	s_cbranch_vccnz .LBB305_1991
; %bb.1986:
	v_cmp_gt_i16_e64 s0, s3, 6
	s_delay_alu instid0(VALU_DEP_1)
	s_and_b32 vcc_lo, exec_lo, s0
	s_mov_b32 s0, -1
	s_cbranch_vccz .LBB305_1988
; %bb.1987:
	v_cvt_f64_i32_e32 v[5:6], v4
	v_cvt_f64_u32_e32 v[7:8], v3
	s_mov_b32 s0, 0
	s_delay_alu instid0(VALU_DEP_2) | instskip(NEXT) | instid1(VALU_DEP_1)
	v_ldexp_f64 v[5:6], v[5:6], 32
	v_add_f64 v[5:6], v[5:6], v[7:8]
	global_store_b64 v[1:2], v[5:6], off
.LBB305_1988:
	s_and_not1_b32 vcc_lo, exec_lo, s0
	s_cbranch_vccnz .LBB305_1990
; %bb.1989:
	v_xor_b32_e32 v5, v3, v4
	v_cls_i32_e32 v6, v4
	s_delay_alu instid0(VALU_DEP_2) | instskip(NEXT) | instid1(VALU_DEP_2)
	v_ashrrev_i32_e32 v5, 31, v5
	v_add_nc_u32_e32 v6, -1, v6
	s_delay_alu instid0(VALU_DEP_2) | instskip(NEXT) | instid1(VALU_DEP_1)
	v_add_nc_u32_e32 v5, 32, v5
	v_min_u32_e32 v7, v6, v5
	s_delay_alu instid0(VALU_DEP_1) | instskip(NEXT) | instid1(VALU_DEP_1)
	v_lshlrev_b64 v[5:6], v7, v[3:4]
	v_min_u32_e32 v5, 1, v5
	s_delay_alu instid0(VALU_DEP_1) | instskip(SKIP_1) | instid1(VALU_DEP_2)
	v_or_b32_e32 v5, v6, v5
	v_sub_nc_u32_e32 v6, 32, v7
	v_cvt_f32_i32_e32 v5, v5
	s_delay_alu instid0(VALU_DEP_1)
	v_ldexp_f32 v5, v5, v6
	global_store_b32 v[1:2], v5, off
.LBB305_1990:
	s_mov_b32 s0, 0
.LBB305_1991:
	s_delay_alu instid0(SALU_CYCLE_1)
	s_and_not1_b32 vcc_lo, exec_lo, s0
	s_cbranch_vccnz .LBB305_1993
; %bb.1992:
	v_xor_b32_e32 v5, v3, v4
	v_cls_i32_e32 v6, v4
	s_delay_alu instid0(VALU_DEP_2) | instskip(NEXT) | instid1(VALU_DEP_2)
	v_ashrrev_i32_e32 v5, 31, v5
	v_add_nc_u32_e32 v6, -1, v6
	s_delay_alu instid0(VALU_DEP_2) | instskip(NEXT) | instid1(VALU_DEP_1)
	v_add_nc_u32_e32 v5, 32, v5
	v_min_u32_e32 v7, v6, v5
	s_delay_alu instid0(VALU_DEP_1) | instskip(NEXT) | instid1(VALU_DEP_1)
	v_lshlrev_b64 v[5:6], v7, v[3:4]
	v_min_u32_e32 v5, 1, v5
	s_delay_alu instid0(VALU_DEP_1) | instskip(SKIP_1) | instid1(VALU_DEP_2)
	v_or_b32_e32 v5, v6, v5
	v_sub_nc_u32_e32 v6, 32, v7
	v_cvt_f32_i32_e32 v5, v5
	s_delay_alu instid0(VALU_DEP_1) | instskip(NEXT) | instid1(VALU_DEP_1)
	v_ldexp_f32 v5, v5, v6
	v_cvt_f16_f32_e32 v5, v5
	global_store_b16 v[1:2], v5, off
.LBB305_1993:
	s_mov_b32 s0, 0
.LBB305_1994:
	s_delay_alu instid0(SALU_CYCLE_1)
	s_and_not1_b32 vcc_lo, exec_lo, s0
	s_cbranch_vccnz .LBB305_2010
; %bb.1995:
	v_cmp_lt_i16_e64 s0, s3, 2
	s_delay_alu instid0(VALU_DEP_1)
	s_and_b32 vcc_lo, exec_lo, s0
	s_mov_b32 s0, -1
	s_cbranch_vccnz .LBB305_2005
; %bb.1996:
	v_cmp_lt_i16_e64 s0, s3, 3
	s_delay_alu instid0(VALU_DEP_1)
	s_and_b32 vcc_lo, exec_lo, s0
	s_mov_b32 s0, -1
	s_cbranch_vccnz .LBB305_2002
; %bb.1997:
	v_cmp_gt_i16_e64 s0, s3, 3
	s_delay_alu instid0(VALU_DEP_1)
	s_and_b32 vcc_lo, exec_lo, s0
	s_mov_b32 s0, -1
	s_cbranch_vccz .LBB305_1999
; %bb.1998:
	s_mov_b32 s0, 0
	global_store_b64 v[1:2], v[3:4], off
.LBB305_1999:
	s_and_not1_b32 vcc_lo, exec_lo, s0
	s_cbranch_vccnz .LBB305_2001
; %bb.2000:
	global_store_b32 v[1:2], v3, off
.LBB305_2001:
	s_mov_b32 s0, 0
.LBB305_2002:
	s_delay_alu instid0(SALU_CYCLE_1)
	s_and_not1_b32 vcc_lo, exec_lo, s0
	s_cbranch_vccnz .LBB305_2004
; %bb.2003:
	global_store_b16 v[1:2], v3, off
.LBB305_2004:
	s_mov_b32 s0, 0
.LBB305_2005:
	s_delay_alu instid0(SALU_CYCLE_1)
	s_and_not1_b32 vcc_lo, exec_lo, s0
	s_cbranch_vccnz .LBB305_2010
; %bb.2006:
	v_cmp_gt_i16_e64 s0, s3, 0
	s_delay_alu instid0(VALU_DEP_1)
	s_and_b32 vcc_lo, exec_lo, s0
	s_mov_b32 s0, -1
	s_cbranch_vccz .LBB305_2008
; %bb.2007:
	s_mov_b32 s0, 0
	global_store_b8 v[1:2], v3, off
.LBB305_2008:
	s_and_not1_b32 vcc_lo, exec_lo, s0
	s_cbranch_vccnz .LBB305_2010
; %bb.2009:
	global_store_b8 v[1:2], v3, off
.LBB305_2010:
	s_mov_b32 s6, -1
.LBB305_2011:
	s_delay_alu instid0(SALU_CYCLE_1)
	s_and_not1_b32 vcc_lo, exec_lo, s6
	s_cbranch_vccnz .LBB305_2020
; %bb.2012:
	v_cmp_lt_i64_e32 vcc_lo, s[8:9], v[10:11]
	v_cmp_lt_i16_e64 s0, s3, 11
	v_add_co_u32 v0, s4, s4, v0
	s_delay_alu instid0(VALU_DEP_1) | instskip(SKIP_3) | instid1(VALU_DEP_1)
	v_add_co_ci_u32_e64 v1, null, s5, 0, s4
	v_cndmask_b32_e32 v3, s9, v11, vcc_lo
	v_cndmask_b32_e32 v2, s8, v10, vcc_lo
	s_mov_b32 s1, 0
	v_cmp_gt_i64_e32 vcc_lo, s[10:11], v[2:3]
	v_cndmask_b32_e32 v3, s11, v3, vcc_lo
	v_cndmask_b32_e32 v2, s10, v2, vcc_lo
	s_and_b32 vcc_lo, exec_lo, s0
	s_mov_b32 s0, -1
	s_cbranch_vccnz .LBB305_2021
; %bb.2013:
	v_cmp_gt_i16_e64 s0, s3, 25
	s_mov_b32 s4, -1
	s_delay_alu instid0(VALU_DEP_1)
	s_and_b32 vcc_lo, exec_lo, s0
	s_mov_b32 s0, 0
	s_cbranch_vccz .LBB305_2102
; %bb.2014:
	v_cmp_gt_i16_e64 s0, s3, 28
	s_delay_alu instid0(VALU_DEP_1)
	s_and_b32 vcc_lo, exec_lo, s0
	s_cbranch_vccz .LBB305_2065
; %bb.2015:
	v_cmp_gt_i16_e64 s0, s3, 43
	s_delay_alu instid0(VALU_DEP_1)
	s_and_b32 vcc_lo, exec_lo, s0
	;; [unrolled: 5-line block ×3, first 2 shown]
	s_cbranch_vccz .LBB305_2075
; %bb.2017:
	v_cmp_eq_u16_e64 s0, s3, 46
	s_delay_alu instid0(VALU_DEP_1)
	s_and_b32 vcc_lo, exec_lo, s0
	s_mov_b32 s0, -1
	s_cbranch_vccz .LBB305_2019
; %bb.2018:
	v_xor_b32_e32 v4, v2, v3
	v_cls_i32_e32 v5, v3
	s_mov_b32 s0, 0
	s_delay_alu instid0(VALU_DEP_2) | instskip(NEXT) | instid1(VALU_DEP_2)
	v_ashrrev_i32_e32 v4, 31, v4
	v_add_nc_u32_e32 v5, -1, v5
	s_delay_alu instid0(VALU_DEP_2) | instskip(NEXT) | instid1(VALU_DEP_1)
	v_add_nc_u32_e32 v4, 32, v4
	v_min_u32_e32 v6, v5, v4
	s_delay_alu instid0(VALU_DEP_1) | instskip(NEXT) | instid1(VALU_DEP_1)
	v_lshlrev_b64 v[4:5], v6, v[2:3]
	v_min_u32_e32 v4, 1, v4
	s_delay_alu instid0(VALU_DEP_1) | instskip(SKIP_1) | instid1(VALU_DEP_2)
	v_or_b32_e32 v4, v5, v4
	v_sub_nc_u32_e32 v5, 32, v6
	v_cvt_f32_i32_e32 v4, v4
	s_delay_alu instid0(VALU_DEP_1) | instskip(NEXT) | instid1(VALU_DEP_1)
	v_ldexp_f32 v4, v4, v5
	v_bfe_u32 v5, v4, 16, 1
	s_delay_alu instid0(VALU_DEP_1) | instskip(NEXT) | instid1(VALU_DEP_1)
	v_add3_u32 v4, v4, v5, 0x7fff
	v_lshrrev_b32_e32 v4, 16, v4
	global_store_b32 v[0:1], v4, off
.LBB305_2019:
	s_mov_b32 s4, 0
	s_branch .LBB305_2076
.LBB305_2020:
	s_mov_b32 s0, 0
	s_mov_b32 s1, 0
                                        ; implicit-def: $vgpr0_vgpr1
                                        ; implicit-def: $sgpr3
                                        ; implicit-def: $vgpr2_vgpr3
.LBB305_2021:
	s_and_b32 s4, s0, exec_lo
	s_and_not1_b32 s0, s12, exec_lo
	s_and_b32 s2, s2, exec_lo
	s_and_b32 s30, s1, exec_lo
	s_or_b32 s12, s0, s2
.LBB305_2022:
	s_or_b32 exec_lo, exec_lo, s13
	s_and_saveexec_b32 s0, s12
	s_cbranch_execz .LBB305_2025
; %bb.2023:
	; divergent unreachable
	s_or_b32 exec_lo, exec_lo, s0
	s_and_saveexec_b32 s0, s30
	s_delay_alu instid0(SALU_CYCLE_1)
	s_xor_b32 s0, exec_lo, s0
	s_cbranch_execnz .LBB305_2026
.LBB305_2024:
	s_or_b32 exec_lo, exec_lo, s0
	s_and_saveexec_b32 s0, s4
	s_cbranch_execnz .LBB305_2027
	s_branch .LBB305_2064
.LBB305_2025:
	s_or_b32 exec_lo, exec_lo, s0
	s_and_saveexec_b32 s0, s30
	s_delay_alu instid0(SALU_CYCLE_1)
	s_xor_b32 s0, exec_lo, s0
	s_cbranch_execz .LBB305_2024
.LBB305_2026:
	s_waitcnt vmcnt(0)
	v_cmp_ne_u64_e32 vcc_lo, 0, v[2:3]
	v_cndmask_b32_e64 v4, 0, 1, vcc_lo
	global_store_b8 v[0:1], v4, off
	s_or_b32 exec_lo, exec_lo, s0
	s_and_saveexec_b32 s0, s4
	s_cbranch_execz .LBB305_2064
.LBB305_2027:
	v_cmp_lt_i16_e64 s0, s3, 5
	s_delay_alu instid0(VALU_DEP_1)
	s_and_b32 vcc_lo, exec_lo, s0
	s_mov_b32 s0, -1
	s_cbranch_vccnz .LBB305_2048
; %bb.2028:
	v_cmp_lt_i16_e64 s0, s3, 8
	s_delay_alu instid0(VALU_DEP_1)
	s_and_b32 vcc_lo, exec_lo, s0
	s_mov_b32 s0, -1
	s_cbranch_vccnz .LBB305_2038
; %bb.2029:
	;; [unrolled: 6-line block ×3, first 2 shown]
	v_cmp_gt_i16_e64 s0, s3, 9
	s_delay_alu instid0(VALU_DEP_1)
	s_and_b32 vcc_lo, exec_lo, s0
	s_mov_b32 s0, -1
	s_cbranch_vccz .LBB305_2032
; %bb.2031:
	s_waitcnt vmcnt(0)
	v_cvt_f64_i32_e32 v[4:5], v3
	v_cvt_f64_u32_e32 v[6:7], v2
	s_mov_b32 s0, 0
	s_delay_alu instid0(VALU_DEP_2) | instskip(NEXT) | instid1(VALU_DEP_1)
	v_ldexp_f64 v[4:5], v[4:5], 32
	v_add_f64 v[4:5], v[4:5], v[6:7]
	v_mov_b32_e32 v6, 0
	s_delay_alu instid0(VALU_DEP_1)
	v_mov_b32_e32 v7, v6
	global_store_b128 v[0:1], v[4:7], off
.LBB305_2032:
	s_and_not1_b32 vcc_lo, exec_lo, s0
	s_cbranch_vccnz .LBB305_2034
; %bb.2033:
	s_waitcnt vmcnt(0)
	v_xor_b32_e32 v4, v2, v3
	v_cls_i32_e32 v5, v3
	s_delay_alu instid0(VALU_DEP_2) | instskip(NEXT) | instid1(VALU_DEP_2)
	v_ashrrev_i32_e32 v4, 31, v4
	v_add_nc_u32_e32 v5, -1, v5
	s_delay_alu instid0(VALU_DEP_2) | instskip(NEXT) | instid1(VALU_DEP_1)
	v_add_nc_u32_e32 v4, 32, v4
	v_min_u32_e32 v6, v5, v4
	s_delay_alu instid0(VALU_DEP_1) | instskip(NEXT) | instid1(VALU_DEP_1)
	v_lshlrev_b64 v[4:5], v6, v[2:3]
	v_min_u32_e32 v4, 1, v4
	s_delay_alu instid0(VALU_DEP_1) | instskip(SKIP_1) | instid1(VALU_DEP_2)
	v_or_b32_e32 v4, v5, v4
	v_sub_nc_u32_e32 v5, 32, v6
	v_cvt_f32_i32_e32 v4, v4
	s_delay_alu instid0(VALU_DEP_1)
	v_ldexp_f32 v4, v4, v5
	v_mov_b32_e32 v5, 0
	global_store_b64 v[0:1], v[4:5], off
.LBB305_2034:
	s_mov_b32 s0, 0
.LBB305_2035:
	s_delay_alu instid0(SALU_CYCLE_1)
	s_and_not1_b32 vcc_lo, exec_lo, s0
	s_cbranch_vccnz .LBB305_2037
; %bb.2036:
	s_waitcnt vmcnt(0)
	v_xor_b32_e32 v4, v2, v3
	v_cls_i32_e32 v5, v3
	s_delay_alu instid0(VALU_DEP_2) | instskip(NEXT) | instid1(VALU_DEP_2)
	v_ashrrev_i32_e32 v4, 31, v4
	v_add_nc_u32_e32 v5, -1, v5
	s_delay_alu instid0(VALU_DEP_2) | instskip(NEXT) | instid1(VALU_DEP_1)
	v_add_nc_u32_e32 v4, 32, v4
	v_min_u32_e32 v6, v5, v4
	s_delay_alu instid0(VALU_DEP_1) | instskip(NEXT) | instid1(VALU_DEP_1)
	v_lshlrev_b64 v[4:5], v6, v[2:3]
	v_min_u32_e32 v4, 1, v4
	s_delay_alu instid0(VALU_DEP_1) | instskip(SKIP_1) | instid1(VALU_DEP_2)
	v_or_b32_e32 v4, v5, v4
	v_sub_nc_u32_e32 v5, 32, v6
	v_cvt_f32_i32_e32 v4, v4
	s_delay_alu instid0(VALU_DEP_1) | instskip(NEXT) | instid1(VALU_DEP_1)
	v_ldexp_f32 v4, v4, v5
	v_cvt_f16_f32_e32 v4, v4
	s_delay_alu instid0(VALU_DEP_1)
	v_and_b32_e32 v4, 0xffff, v4
	global_store_b32 v[0:1], v4, off
.LBB305_2037:
	s_mov_b32 s0, 0
.LBB305_2038:
	s_delay_alu instid0(SALU_CYCLE_1)
	s_and_not1_b32 vcc_lo, exec_lo, s0
	s_cbranch_vccnz .LBB305_2047
; %bb.2039:
	v_cmp_lt_i16_e64 s0, s3, 6
	s_delay_alu instid0(VALU_DEP_1)
	s_and_b32 vcc_lo, exec_lo, s0
	s_mov_b32 s0, -1
	s_cbranch_vccnz .LBB305_2045
; %bb.2040:
	v_cmp_gt_i16_e64 s0, s3, 6
	s_delay_alu instid0(VALU_DEP_1)
	s_and_b32 vcc_lo, exec_lo, s0
	s_mov_b32 s0, -1
	s_cbranch_vccz .LBB305_2042
; %bb.2041:
	s_waitcnt vmcnt(0)
	v_cvt_f64_i32_e32 v[4:5], v3
	v_cvt_f64_u32_e32 v[6:7], v2
	s_mov_b32 s0, 0
	s_delay_alu instid0(VALU_DEP_2) | instskip(NEXT) | instid1(VALU_DEP_1)
	v_ldexp_f64 v[4:5], v[4:5], 32
	v_add_f64 v[4:5], v[4:5], v[6:7]
	global_store_b64 v[0:1], v[4:5], off
.LBB305_2042:
	s_and_not1_b32 vcc_lo, exec_lo, s0
	s_cbranch_vccnz .LBB305_2044
; %bb.2043:
	s_waitcnt vmcnt(0)
	v_xor_b32_e32 v4, v2, v3
	v_cls_i32_e32 v5, v3
	s_delay_alu instid0(VALU_DEP_2) | instskip(NEXT) | instid1(VALU_DEP_2)
	v_ashrrev_i32_e32 v4, 31, v4
	v_add_nc_u32_e32 v5, -1, v5
	s_delay_alu instid0(VALU_DEP_2) | instskip(NEXT) | instid1(VALU_DEP_1)
	v_add_nc_u32_e32 v4, 32, v4
	v_min_u32_e32 v6, v5, v4
	s_delay_alu instid0(VALU_DEP_1) | instskip(NEXT) | instid1(VALU_DEP_1)
	v_lshlrev_b64 v[4:5], v6, v[2:3]
	v_min_u32_e32 v4, 1, v4
	s_delay_alu instid0(VALU_DEP_1) | instskip(SKIP_1) | instid1(VALU_DEP_2)
	v_or_b32_e32 v4, v5, v4
	v_sub_nc_u32_e32 v5, 32, v6
	v_cvt_f32_i32_e32 v4, v4
	s_delay_alu instid0(VALU_DEP_1)
	v_ldexp_f32 v4, v4, v5
	global_store_b32 v[0:1], v4, off
.LBB305_2044:
	s_mov_b32 s0, 0
.LBB305_2045:
	s_delay_alu instid0(SALU_CYCLE_1)
	s_and_not1_b32 vcc_lo, exec_lo, s0
	s_cbranch_vccnz .LBB305_2047
; %bb.2046:
	s_waitcnt vmcnt(0)
	v_xor_b32_e32 v4, v2, v3
	v_cls_i32_e32 v5, v3
	s_delay_alu instid0(VALU_DEP_2) | instskip(NEXT) | instid1(VALU_DEP_2)
	v_ashrrev_i32_e32 v4, 31, v4
	v_add_nc_u32_e32 v5, -1, v5
	s_delay_alu instid0(VALU_DEP_2) | instskip(NEXT) | instid1(VALU_DEP_1)
	v_add_nc_u32_e32 v4, 32, v4
	v_min_u32_e32 v6, v5, v4
	s_delay_alu instid0(VALU_DEP_1) | instskip(NEXT) | instid1(VALU_DEP_1)
	v_lshlrev_b64 v[4:5], v6, v[2:3]
	v_min_u32_e32 v4, 1, v4
	s_delay_alu instid0(VALU_DEP_1) | instskip(SKIP_1) | instid1(VALU_DEP_2)
	v_or_b32_e32 v4, v5, v4
	v_sub_nc_u32_e32 v5, 32, v6
	v_cvt_f32_i32_e32 v4, v4
	s_delay_alu instid0(VALU_DEP_1) | instskip(NEXT) | instid1(VALU_DEP_1)
	v_ldexp_f32 v4, v4, v5
	v_cvt_f16_f32_e32 v4, v4
	global_store_b16 v[0:1], v4, off
.LBB305_2047:
	s_mov_b32 s0, 0
.LBB305_2048:
	s_delay_alu instid0(SALU_CYCLE_1)
	s_and_not1_b32 vcc_lo, exec_lo, s0
	s_cbranch_vccnz .LBB305_2064
; %bb.2049:
	v_cmp_lt_i16_e64 s0, s3, 2
	s_delay_alu instid0(VALU_DEP_1)
	s_and_b32 vcc_lo, exec_lo, s0
	s_mov_b32 s0, -1
	s_cbranch_vccnz .LBB305_2059
; %bb.2050:
	v_cmp_lt_i16_e64 s0, s3, 3
	s_delay_alu instid0(VALU_DEP_1)
	s_and_b32 vcc_lo, exec_lo, s0
	s_mov_b32 s0, -1
	s_cbranch_vccnz .LBB305_2056
; %bb.2051:
	v_cmp_gt_i16_e64 s0, s3, 3
	s_delay_alu instid0(VALU_DEP_1)
	s_and_b32 vcc_lo, exec_lo, s0
	s_mov_b32 s0, -1
	s_cbranch_vccz .LBB305_2053
; %bb.2052:
	s_mov_b32 s0, 0
	s_waitcnt vmcnt(0)
	global_store_b64 v[0:1], v[2:3], off
.LBB305_2053:
	s_and_not1_b32 vcc_lo, exec_lo, s0
	s_cbranch_vccnz .LBB305_2055
; %bb.2054:
	global_store_b32 v[0:1], v2, off
.LBB305_2055:
	s_mov_b32 s0, 0
.LBB305_2056:
	s_delay_alu instid0(SALU_CYCLE_1)
	s_and_not1_b32 vcc_lo, exec_lo, s0
	s_cbranch_vccnz .LBB305_2058
; %bb.2057:
	global_store_b16 v[0:1], v2, off
.LBB305_2058:
	s_mov_b32 s0, 0
.LBB305_2059:
	s_delay_alu instid0(SALU_CYCLE_1)
	s_and_not1_b32 vcc_lo, exec_lo, s0
	s_cbranch_vccnz .LBB305_2064
; %bb.2060:
	v_cmp_gt_i16_e64 s0, s3, 0
	s_delay_alu instid0(VALU_DEP_1)
	s_and_b32 vcc_lo, exec_lo, s0
	s_mov_b32 s0, -1
	s_cbranch_vccz .LBB305_2062
; %bb.2061:
	s_mov_b32 s0, 0
	global_store_b8 v[0:1], v2, off
.LBB305_2062:
	s_and_not1_b32 vcc_lo, exec_lo, s0
	s_cbranch_vccnz .LBB305_2064
; %bb.2063:
	global_store_b8 v[0:1], v2, off
	s_nop 0
	s_sendmsg sendmsg(MSG_DEALLOC_VGPRS)
	s_endpgm
.LBB305_2064:
	s_nop 0
	s_sendmsg sendmsg(MSG_DEALLOC_VGPRS)
	s_endpgm
.LBB305_2065:
	s_mov_b32 s0, 0
	s_branch .LBB305_2086
.LBB305_2066:
	s_or_saveexec_b32 s14, s14
                                        ; implicit-def: $sgpr15
	s_delay_alu instid0(SALU_CYCLE_1)
	s_xor_b32 exec_lo, exec_lo, s14
	s_cbranch_execz .LBB305_1922
.LBB305_2067:
	v_add_f32_e64 v6, 0x46000000, |v5|
	s_and_not1_b32 s7, s7, exec_lo
	s_mov_b32 s15, 0
	s_delay_alu instid0(VALU_DEP_1) | instskip(NEXT) | instid1(VALU_DEP_1)
	v_and_b32_e32 v6, 0xff, v6
	v_cmp_ne_u32_e32 vcc_lo, 0, v6
	s_and_b32 s16, vcc_lo, exec_lo
	s_delay_alu instid0(SALU_CYCLE_1)
	s_or_b32 s7, s7, s16
	s_or_b32 exec_lo, exec_lo, s14
	v_mov_b32_e32 v7, s15
	s_and_saveexec_b32 s14, s7
	s_cbranch_execnz .LBB305_1923
	s_branch .LBB305_1924
.LBB305_2068:
	s_mov_b32 s0, 0
	s_branch .LBB305_2082
.LBB305_2069:
	s_trap 2
	s_sendmsg_rtn_b32 s0, sendmsg(MSG_RTN_GET_DOORBELL)
	s_mov_b32 ttmp2, m0
	s_waitcnt lgkmcnt(0)
	s_and_b32 s0, s0, 0x3ff
	s_delay_alu instid0(SALU_CYCLE_1) | instskip(NEXT) | instid1(SALU_CYCLE_1)
	s_bitset1_b32 s0, 10
	s_mov_b32 m0, s0
	s_sendmsg sendmsg(MSG_INTERRUPT)
	s_mov_b32 m0, ttmp2
.LBB305_2070:                           ; =>This Inner Loop Header: Depth=1
	s_sethalt 5
	s_branch .LBB305_2070
.LBB305_2071:
	s_cbranch_execnz .LBB305_2146
; %bb.2072:
	s_or_b32 s2, s2, exec_lo
	s_cbranch_execz .LBB305_1970
	s_branch .LBB305_1971
.LBB305_2073:
	s_or_saveexec_b32 s7, s7
                                        ; implicit-def: $sgpr14
	s_delay_alu instid0(SALU_CYCLE_1)
	s_xor_b32 exec_lo, exec_lo, s7
	s_cbranch_execz .LBB305_1935
.LBB305_2074:
	v_add_f32_e64 v6, 0x42800000, |v5|
	s_and_not1_b32 s6, s6, exec_lo
	s_mov_b32 s14, 0
	s_delay_alu instid0(VALU_DEP_1) | instskip(NEXT) | instid1(VALU_DEP_1)
	v_and_b32_e32 v6, 0xff, v6
	v_cmp_ne_u32_e32 vcc_lo, 0, v6
	s_and_b32 s15, vcc_lo, exec_lo
	s_delay_alu instid0(SALU_CYCLE_1)
	s_or_b32 s6, s6, s15
	s_or_b32 exec_lo, exec_lo, s7
	v_mov_b32_e32 v7, s14
	s_and_saveexec_b32 s7, s6
	s_cbranch_execnz .LBB305_1936
	s_branch .LBB305_1937
.LBB305_2075:
	s_mov_b32 s0, 0
.LBB305_2076:
	s_and_b32 vcc_lo, exec_lo, s4
	s_cbranch_vccz .LBB305_2081
; %bb.2077:
	v_cmp_eq_u16_e64 s0, s3, 44
	s_delay_alu instid0(VALU_DEP_1)
	s_and_b32 vcc_lo, exec_lo, s0
	s_mov_b32 s0, -1
	s_cbranch_vccz .LBB305_2081
; %bb.2078:
	v_xor_b32_e32 v4, v2, v3
	v_cls_i32_e32 v5, v3
	s_mov_b32 s4, exec_lo
	s_delay_alu instid0(VALU_DEP_2) | instskip(NEXT) | instid1(VALU_DEP_2)
	v_ashrrev_i32_e32 v4, 31, v4
	v_add_nc_u32_e32 v5, -1, v5
	s_delay_alu instid0(VALU_DEP_2) | instskip(NEXT) | instid1(VALU_DEP_1)
	v_add_nc_u32_e32 v4, 32, v4
	v_min_u32_e32 v6, v5, v4
	s_delay_alu instid0(VALU_DEP_1) | instskip(NEXT) | instid1(VALU_DEP_1)
	v_lshlrev_b64 v[4:5], v6, v[2:3]
	v_min_u32_e32 v4, 1, v4
	s_delay_alu instid0(VALU_DEP_1) | instskip(SKIP_1) | instid1(VALU_DEP_2)
	v_or_b32_e32 v4, v5, v4
	v_sub_nc_u32_e32 v5, 32, v6
	v_cvt_f32_i32_e32 v4, v4
	s_delay_alu instid0(VALU_DEP_1) | instskip(SKIP_1) | instid1(VALU_DEP_2)
	v_ldexp_f32 v4, v4, v5
	v_mov_b32_e32 v5, 0xff
	v_bfe_u32 v6, v4, 23, 8
	s_delay_alu instid0(VALU_DEP_1)
	v_cmpx_ne_u32_e32 0xff, v6
; %bb.2079:
	v_and_b32_e32 v5, 0x400000, v4
	v_and_or_b32 v6, 0x3fffff, v4, v6
	v_lshrrev_b32_e32 v4, 23, v4
	s_delay_alu instid0(VALU_DEP_3) | instskip(NEXT) | instid1(VALU_DEP_3)
	v_cmp_ne_u32_e32 vcc_lo, 0, v5
	v_cmp_ne_u32_e64 s0, 0, v6
	s_delay_alu instid0(VALU_DEP_1) | instskip(NEXT) | instid1(SALU_CYCLE_1)
	s_and_b32 s0, vcc_lo, s0
	v_cndmask_b32_e64 v5, 0, 1, s0
	s_delay_alu instid0(VALU_DEP_1)
	v_add_nc_u32_e32 v5, v4, v5
; %bb.2080:
	s_or_b32 exec_lo, exec_lo, s4
	s_mov_b32 s0, 0
	global_store_b8 v[0:1], v5, off
.LBB305_2081:
	s_mov_b32 s4, 0
.LBB305_2082:
	s_delay_alu instid0(SALU_CYCLE_1)
	s_and_b32 vcc_lo, exec_lo, s4
	s_cbranch_vccz .LBB305_2085
; %bb.2083:
	v_cmp_eq_u16_e64 s0, s3, 29
	s_delay_alu instid0(VALU_DEP_1)
	s_and_b32 vcc_lo, exec_lo, s0
	s_mov_b32 s0, -1
	s_cbranch_vccz .LBB305_2085
; %bb.2084:
	s_mov_b32 s0, 0
	global_store_b64 v[0:1], v[2:3], off
.LBB305_2085:
	s_mov_b32 s4, 0
.LBB305_2086:
	s_delay_alu instid0(SALU_CYCLE_1)
	s_and_b32 vcc_lo, exec_lo, s4
	s_cbranch_vccz .LBB305_2101
; %bb.2087:
	v_cmp_lt_i16_e64 s4, s3, 27
	s_delay_alu instid0(VALU_DEP_1)
	s_and_b32 vcc_lo, exec_lo, s4
	s_mov_b32 s4, -1
	s_cbranch_vccnz .LBB305_2093
; %bb.2088:
	v_cmp_gt_i16_e64 s4, s3, 27
	s_delay_alu instid0(VALU_DEP_1)
	s_and_b32 vcc_lo, exec_lo, s4
	s_mov_b32 s4, -1
	s_cbranch_vccz .LBB305_2090
; %bb.2089:
	s_mov_b32 s4, 0
	global_store_b32 v[0:1], v2, off
.LBB305_2090:
	s_and_not1_b32 vcc_lo, exec_lo, s4
	s_cbranch_vccnz .LBB305_2092
; %bb.2091:
	global_store_b16 v[0:1], v2, off
.LBB305_2092:
	s_mov_b32 s4, 0
.LBB305_2093:
	s_delay_alu instid0(SALU_CYCLE_1)
	s_and_not1_b32 vcc_lo, exec_lo, s4
	s_cbranch_vccnz .LBB305_2101
; %bb.2094:
	v_xor_b32_e32 v4, v2, v3
	v_cls_i32_e32 v5, v3
	s_mov_b32 s4, exec_lo
	s_delay_alu instid0(VALU_DEP_2) | instskip(NEXT) | instid1(VALU_DEP_2)
	v_ashrrev_i32_e32 v4, 31, v4
	v_add_nc_u32_e32 v5, -1, v5
	s_delay_alu instid0(VALU_DEP_2) | instskip(NEXT) | instid1(VALU_DEP_1)
	v_add_nc_u32_e32 v4, 32, v4
	v_min_u32_e32 v6, v5, v4
	s_delay_alu instid0(VALU_DEP_1) | instskip(NEXT) | instid1(VALU_DEP_1)
	v_lshlrev_b64 v[4:5], v6, v[2:3]
	v_min_u32_e32 v4, 1, v4
	s_delay_alu instid0(VALU_DEP_1) | instskip(SKIP_2) | instid1(VALU_DEP_3)
	v_or_b32_e32 v4, v5, v4
	v_sub_nc_u32_e32 v5, 32, v6
	v_mov_b32_e32 v6, 0x80
	v_cvt_f32_i32_e32 v4, v4
	s_delay_alu instid0(VALU_DEP_1) | instskip(NEXT) | instid1(VALU_DEP_1)
	v_ldexp_f32 v4, v4, v5
	v_and_b32_e32 v5, 0x7fffffff, v4
	s_delay_alu instid0(VALU_DEP_1)
	v_cmpx_gt_u32_e32 0x43800000, v5
	s_cbranch_execz .LBB305_2100
; %bb.2095:
	v_cmp_lt_u32_e32 vcc_lo, 0x3bffffff, v5
	s_mov_b32 s5, 0
                                        ; implicit-def: $vgpr5
	s_and_saveexec_b32 s6, vcc_lo
	s_delay_alu instid0(SALU_CYCLE_1)
	s_xor_b32 s6, exec_lo, s6
	s_cbranch_execz .LBB305_2144
; %bb.2096:
	v_bfe_u32 v5, v4, 20, 1
	s_mov_b32 s5, exec_lo
	s_delay_alu instid0(VALU_DEP_1) | instskip(NEXT) | instid1(VALU_DEP_1)
	v_add3_u32 v5, v4, v5, 0x487ffff
	v_lshrrev_b32_e32 v5, 20, v5
	s_or_saveexec_b32 s6, s6
                                        ; implicit-def: $sgpr7
	s_delay_alu instid0(SALU_CYCLE_1)
	s_xor_b32 exec_lo, exec_lo, s6
	s_cbranch_execnz .LBB305_2145
.LBB305_2097:
	s_or_b32 exec_lo, exec_lo, s6
	v_mov_b32_e32 v6, s7
	s_and_saveexec_b32 s6, s5
.LBB305_2098:
	v_lshrrev_b32_e32 v4, 24, v4
	s_delay_alu instid0(VALU_DEP_1)
	v_and_or_b32 v6, 0x80, v4, v5
.LBB305_2099:
	s_or_b32 exec_lo, exec_lo, s6
.LBB305_2100:
	s_delay_alu instid0(SALU_CYCLE_1)
	s_or_b32 exec_lo, exec_lo, s4
	global_store_b8 v[0:1], v6, off
.LBB305_2101:
	s_mov_b32 s4, 0
.LBB305_2102:
	s_delay_alu instid0(SALU_CYCLE_1)
	s_and_b32 vcc_lo, exec_lo, s4
	s_cbranch_vccz .LBB305_2142
; %bb.2103:
	v_cmp_gt_i16_e64 s1, s3, 22
	s_delay_alu instid0(VALU_DEP_1)
	s_and_b32 vcc_lo, exec_lo, s1
	s_mov_b32 s1, -1
	s_cbranch_vccz .LBB305_2135
; %bb.2104:
	v_cmp_lt_i16_e64 s1, s3, 24
	s_delay_alu instid0(VALU_DEP_1)
	s_and_b32 vcc_lo, exec_lo, s1
	s_mov_b32 s1, -1
	s_cbranch_vccnz .LBB305_2124
; %bb.2105:
	v_cmp_gt_i16_e64 s1, s3, 24
	s_delay_alu instid0(VALU_DEP_1)
	s_and_b32 vcc_lo, exec_lo, s1
	s_mov_b32 s1, -1
	s_cbranch_vccz .LBB305_2113
; %bb.2106:
	v_xor_b32_e32 v4, v2, v3
	v_cls_i32_e32 v5, v3
	s_mov_b32 s1, exec_lo
	s_delay_alu instid0(VALU_DEP_2) | instskip(NEXT) | instid1(VALU_DEP_2)
	v_ashrrev_i32_e32 v4, 31, v4
	v_add_nc_u32_e32 v5, -1, v5
	s_delay_alu instid0(VALU_DEP_2) | instskip(NEXT) | instid1(VALU_DEP_1)
	v_add_nc_u32_e32 v4, 32, v4
	v_min_u32_e32 v6, v5, v4
	s_delay_alu instid0(VALU_DEP_1) | instskip(NEXT) | instid1(VALU_DEP_1)
	v_lshlrev_b64 v[4:5], v6, v[2:3]
	v_min_u32_e32 v4, 1, v4
	s_delay_alu instid0(VALU_DEP_1) | instskip(SKIP_2) | instid1(VALU_DEP_3)
	v_or_b32_e32 v4, v5, v4
	v_sub_nc_u32_e32 v5, 32, v6
	v_mov_b32_e32 v6, 0x80
	v_cvt_f32_i32_e32 v4, v4
	s_delay_alu instid0(VALU_DEP_1) | instskip(NEXT) | instid1(VALU_DEP_1)
	v_ldexp_f32 v4, v4, v5
	v_and_b32_e32 v5, 0x7fffffff, v4
	s_delay_alu instid0(VALU_DEP_1)
	v_cmpx_gt_u32_e32 0x47800000, v5
	s_cbranch_execz .LBB305_2112
; %bb.2107:
	v_cmp_lt_u32_e32 vcc_lo, 0x37ffffff, v5
	s_mov_b32 s4, 0
                                        ; implicit-def: $vgpr5
	s_and_saveexec_b32 s5, vcc_lo
	s_delay_alu instid0(SALU_CYCLE_1)
	s_xor_b32 s5, exec_lo, s5
	s_cbranch_execz .LBB305_2150
; %bb.2108:
	v_bfe_u32 v5, v4, 21, 1
	s_mov_b32 s4, exec_lo
	s_delay_alu instid0(VALU_DEP_1) | instskip(NEXT) | instid1(VALU_DEP_1)
	v_add3_u32 v5, v4, v5, 0x88fffff
	v_lshrrev_b32_e32 v5, 21, v5
	s_or_saveexec_b32 s5, s5
                                        ; implicit-def: $sgpr6
	s_delay_alu instid0(SALU_CYCLE_1)
	s_xor_b32 exec_lo, exec_lo, s5
	s_cbranch_execnz .LBB305_2151
.LBB305_2109:
	s_or_b32 exec_lo, exec_lo, s5
	v_mov_b32_e32 v6, s6
	s_and_saveexec_b32 s5, s4
.LBB305_2110:
	v_lshrrev_b32_e32 v4, 24, v4
	s_delay_alu instid0(VALU_DEP_1)
	v_and_or_b32 v6, 0x80, v4, v5
.LBB305_2111:
	s_or_b32 exec_lo, exec_lo, s5
.LBB305_2112:
	s_delay_alu instid0(SALU_CYCLE_1)
	s_or_b32 exec_lo, exec_lo, s1
	s_mov_b32 s1, 0
	global_store_b8 v[0:1], v6, off
.LBB305_2113:
	s_and_b32 vcc_lo, exec_lo, s1
	s_cbranch_vccz .LBB305_2123
; %bb.2114:
	v_xor_b32_e32 v4, v2, v3
	v_cls_i32_e32 v5, v3
	s_mov_b32 s1, exec_lo
	s_delay_alu instid0(VALU_DEP_2) | instskip(NEXT) | instid1(VALU_DEP_2)
	v_ashrrev_i32_e32 v4, 31, v4
	v_add_nc_u32_e32 v5, -1, v5
	s_delay_alu instid0(VALU_DEP_2) | instskip(NEXT) | instid1(VALU_DEP_1)
	v_add_nc_u32_e32 v4, 32, v4
	v_min_u32_e32 v6, v5, v4
	s_delay_alu instid0(VALU_DEP_1) | instskip(NEXT) | instid1(VALU_DEP_1)
	v_lshlrev_b64 v[4:5], v6, v[2:3]
	v_min_u32_e32 v4, 1, v4
	s_delay_alu instid0(VALU_DEP_1) | instskip(SKIP_1) | instid1(VALU_DEP_2)
	v_or_b32_e32 v4, v5, v4
	v_sub_nc_u32_e32 v5, 32, v6
	v_cvt_f32_i32_e32 v4, v4
	s_delay_alu instid0(VALU_DEP_1) | instskip(NEXT) | instid1(VALU_DEP_1)
	v_ldexp_f32 v4, v4, v5
                                        ; implicit-def: $vgpr5
	v_and_b32_e32 v6, 0x7fffffff, v4
	s_delay_alu instid0(VALU_DEP_1)
	v_cmpx_gt_u32_e32 0x43f00000, v6
	s_xor_b32 s1, exec_lo, s1
	s_cbranch_execz .LBB305_2120
; %bb.2115:
	s_mov_b32 s4, exec_lo
                                        ; implicit-def: $vgpr5
	v_cmpx_lt_u32_e32 0x3c7fffff, v6
	s_xor_b32 s4, exec_lo, s4
; %bb.2116:
	v_bfe_u32 v5, v4, 20, 1
	s_delay_alu instid0(VALU_DEP_1) | instskip(NEXT) | instid1(VALU_DEP_1)
	v_add3_u32 v5, v4, v5, 0x407ffff
	v_and_b32_e32 v6, 0xff00000, v5
	v_lshrrev_b32_e32 v5, 20, v5
	s_delay_alu instid0(VALU_DEP_2) | instskip(NEXT) | instid1(VALU_DEP_2)
	v_cmp_ne_u32_e32 vcc_lo, 0x7f00000, v6
	v_cndmask_b32_e32 v5, 0x7e, v5, vcc_lo
; %bb.2117:
	s_and_not1_saveexec_b32 s4, s4
; %bb.2118:
	v_add_f32_e64 v5, 0x46800000, |v4|
; %bb.2119:
	s_or_b32 exec_lo, exec_lo, s4
                                        ; implicit-def: $vgpr6
.LBB305_2120:
	s_and_not1_saveexec_b32 s1, s1
; %bb.2121:
	v_mov_b32_e32 v5, 0x7f
	v_cmp_lt_u32_e32 vcc_lo, 0x7f800000, v6
	s_delay_alu instid0(VALU_DEP_2)
	v_cndmask_b32_e32 v5, 0x7e, v5, vcc_lo
; %bb.2122:
	s_or_b32 exec_lo, exec_lo, s1
	v_lshrrev_b32_e32 v4, 24, v4
	s_delay_alu instid0(VALU_DEP_1)
	v_and_or_b32 v4, 0x80, v4, v5
	global_store_b8 v[0:1], v4, off
.LBB305_2123:
	s_mov_b32 s1, 0
.LBB305_2124:
	s_delay_alu instid0(SALU_CYCLE_1)
	s_and_not1_b32 vcc_lo, exec_lo, s1
	s_cbranch_vccnz .LBB305_2134
; %bb.2125:
	v_xor_b32_e32 v4, v2, v3
	v_cls_i32_e32 v5, v3
	s_mov_b32 s1, exec_lo
	s_delay_alu instid0(VALU_DEP_2) | instskip(NEXT) | instid1(VALU_DEP_2)
	v_ashrrev_i32_e32 v4, 31, v4
	v_add_nc_u32_e32 v5, -1, v5
	s_delay_alu instid0(VALU_DEP_2) | instskip(NEXT) | instid1(VALU_DEP_1)
	v_add_nc_u32_e32 v4, 32, v4
	v_min_u32_e32 v6, v5, v4
	s_delay_alu instid0(VALU_DEP_1) | instskip(NEXT) | instid1(VALU_DEP_1)
	v_lshlrev_b64 v[4:5], v6, v[2:3]
	v_min_u32_e32 v4, 1, v4
	s_delay_alu instid0(VALU_DEP_1) | instskip(SKIP_1) | instid1(VALU_DEP_2)
	v_or_b32_e32 v4, v5, v4
	v_sub_nc_u32_e32 v5, 32, v6
	v_cvt_f32_i32_e32 v4, v4
	s_delay_alu instid0(VALU_DEP_1) | instskip(NEXT) | instid1(VALU_DEP_1)
	v_ldexp_f32 v4, v4, v5
                                        ; implicit-def: $vgpr5
	v_and_b32_e32 v6, 0x7fffffff, v4
	s_delay_alu instid0(VALU_DEP_1)
	v_cmpx_gt_u32_e32 0x47800000, v6
	s_xor_b32 s1, exec_lo, s1
	s_cbranch_execz .LBB305_2131
; %bb.2126:
	s_mov_b32 s4, exec_lo
                                        ; implicit-def: $vgpr5
	v_cmpx_lt_u32_e32 0x387fffff, v6
	s_xor_b32 s4, exec_lo, s4
; %bb.2127:
	v_bfe_u32 v5, v4, 21, 1
	s_delay_alu instid0(VALU_DEP_1) | instskip(NEXT) | instid1(VALU_DEP_1)
	v_add3_u32 v5, v4, v5, 0x80fffff
	v_lshrrev_b32_e32 v5, 21, v5
; %bb.2128:
	s_and_not1_saveexec_b32 s4, s4
; %bb.2129:
	v_add_f32_e64 v5, 0x43000000, |v4|
; %bb.2130:
	s_or_b32 exec_lo, exec_lo, s4
                                        ; implicit-def: $vgpr6
.LBB305_2131:
	s_and_not1_saveexec_b32 s1, s1
; %bb.2132:
	v_mov_b32_e32 v5, 0x7f
	v_cmp_lt_u32_e32 vcc_lo, 0x7f800000, v6
	s_delay_alu instid0(VALU_DEP_2)
	v_cndmask_b32_e32 v5, 0x7c, v5, vcc_lo
; %bb.2133:
	s_or_b32 exec_lo, exec_lo, s1
	v_lshrrev_b32_e32 v4, 24, v4
	s_delay_alu instid0(VALU_DEP_1)
	v_and_or_b32 v4, 0x80, v4, v5
	global_store_b8 v[0:1], v4, off
.LBB305_2134:
	s_mov_b32 s1, 0
.LBB305_2135:
	s_delay_alu instid0(SALU_CYCLE_1)
	s_and_not1_b32 vcc_lo, exec_lo, s1
	s_mov_b32 s1, 0
	s_cbranch_vccnz .LBB305_2142
; %bb.2136:
	v_cmp_gt_i16_e64 s1, s3, 14
	s_delay_alu instid0(VALU_DEP_1)
	s_and_b32 vcc_lo, exec_lo, s1
	s_mov_b32 s1, -1
	s_cbranch_vccz .LBB305_2140
; %bb.2137:
	v_cmp_eq_u16_e64 s0, s3, 15
	s_delay_alu instid0(VALU_DEP_1)
	s_and_b32 vcc_lo, exec_lo, s0
	s_mov_b32 s0, -1
	s_cbranch_vccz .LBB305_2139
; %bb.2138:
	v_xor_b32_e32 v4, v2, v3
	v_cls_i32_e32 v5, v3
	s_mov_b32 s0, 0
	s_delay_alu instid0(VALU_DEP_2) | instskip(NEXT) | instid1(VALU_DEP_2)
	v_ashrrev_i32_e32 v4, 31, v4
	v_add_nc_u32_e32 v5, -1, v5
	s_delay_alu instid0(VALU_DEP_2) | instskip(NEXT) | instid1(VALU_DEP_1)
	v_add_nc_u32_e32 v4, 32, v4
	v_min_u32_e32 v6, v5, v4
	s_delay_alu instid0(VALU_DEP_1) | instskip(NEXT) | instid1(VALU_DEP_1)
	v_lshlrev_b64 v[4:5], v6, v[2:3]
	v_min_u32_e32 v4, 1, v4
	s_delay_alu instid0(VALU_DEP_1) | instskip(SKIP_1) | instid1(VALU_DEP_2)
	v_or_b32_e32 v4, v5, v4
	v_sub_nc_u32_e32 v5, 32, v6
	v_cvt_f32_i32_e32 v4, v4
	s_delay_alu instid0(VALU_DEP_1) | instskip(NEXT) | instid1(VALU_DEP_1)
	v_ldexp_f32 v4, v4, v5
	v_bfe_u32 v5, v4, 16, 1
	s_delay_alu instid0(VALU_DEP_1)
	v_add3_u32 v4, v4, v5, 0x7fff
	global_store_d16_hi_b16 v[0:1], v4, off
.LBB305_2139:
	s_mov_b32 s1, 0
.LBB305_2140:
	s_delay_alu instid0(SALU_CYCLE_1)
	s_and_b32 vcc_lo, exec_lo, s1
	s_mov_b32 s1, 0
	s_cbranch_vccz .LBB305_2142
; %bb.2141:
	v_cmp_ne_u16_e64 s0, s3, 11
	s_mov_b32 s1, -1
.LBB305_2142:
	s_delay_alu instid0(VALU_DEP_1)
	s_and_b32 vcc_lo, exec_lo, s0
	s_cbranch_vccnz .LBB305_2148
.LBB305_2143:
	s_mov_b32 s0, 0
	s_branch .LBB305_2021
.LBB305_2144:
	s_or_saveexec_b32 s6, s6
                                        ; implicit-def: $sgpr7
	s_delay_alu instid0(SALU_CYCLE_1)
	s_xor_b32 exec_lo, exec_lo, s6
	s_cbranch_execz .LBB305_2097
.LBB305_2145:
	v_add_f32_e64 v5, 0x46000000, |v4|
	s_and_not1_b32 s5, s5, exec_lo
	s_mov_b32 s7, 0
	s_delay_alu instid0(VALU_DEP_1) | instskip(NEXT) | instid1(VALU_DEP_1)
	v_and_b32_e32 v5, 0xff, v5
	v_cmp_ne_u32_e32 vcc_lo, 0, v5
	s_and_b32 s8, vcc_lo, exec_lo
	s_delay_alu instid0(SALU_CYCLE_1)
	s_or_b32 s5, s5, s8
	s_or_b32 exec_lo, exec_lo, s6
	v_mov_b32_e32 v6, s7
	s_and_saveexec_b32 s6, s5
	s_cbranch_execnz .LBB305_2098
	s_branch .LBB305_2099
.LBB305_2146:
	s_trap 2
	s_sendmsg_rtn_b32 s0, sendmsg(MSG_RTN_GET_DOORBELL)
	s_mov_b32 ttmp2, m0
	s_waitcnt lgkmcnt(0)
	s_and_b32 s0, s0, 0x3ff
	s_delay_alu instid0(SALU_CYCLE_1) | instskip(NEXT) | instid1(SALU_CYCLE_1)
	s_bitset1_b32 s0, 10
	s_mov_b32 m0, s0
	s_sendmsg sendmsg(MSG_INTERRUPT)
	s_mov_b32 m0, ttmp2
.LBB305_2147:                           ; =>This Inner Loop Header: Depth=1
	s_sethalt 5
	s_branch .LBB305_2147
.LBB305_2148:
	s_cbranch_execnz .LBB305_2152
; %bb.2149:
	s_mov_b32 s1, 0
	s_or_b32 s2, s2, exec_lo
	s_branch .LBB305_2143
.LBB305_2150:
	s_or_saveexec_b32 s5, s5
                                        ; implicit-def: $sgpr6
	s_delay_alu instid0(SALU_CYCLE_1)
	s_xor_b32 exec_lo, exec_lo, s5
	s_cbranch_execz .LBB305_2109
.LBB305_2151:
	v_add_f32_e64 v5, 0x42800000, |v4|
	s_and_not1_b32 s4, s4, exec_lo
	s_mov_b32 s6, 0
	s_delay_alu instid0(VALU_DEP_1) | instskip(NEXT) | instid1(VALU_DEP_1)
	v_and_b32_e32 v5, 0xff, v5
	v_cmp_ne_u32_e32 vcc_lo, 0, v5
	s_and_b32 s7, vcc_lo, exec_lo
	s_delay_alu instid0(SALU_CYCLE_1)
	s_or_b32 s4, s4, s7
	s_or_b32 exec_lo, exec_lo, s5
	v_mov_b32_e32 v6, s6
	s_and_saveexec_b32 s5, s4
	s_cbranch_execnz .LBB305_2110
	s_branch .LBB305_2111
.LBB305_2152:
	s_trap 2
	s_sendmsg_rtn_b32 s0, sendmsg(MSG_RTN_GET_DOORBELL)
	s_mov_b32 ttmp2, m0
	s_waitcnt lgkmcnt(0)
	s_and_b32 s0, s0, 0x3ff
	s_delay_alu instid0(SALU_CYCLE_1) | instskip(NEXT) | instid1(SALU_CYCLE_1)
	s_bitset1_b32 s0, 10
	s_mov_b32 m0, s0
	s_sendmsg sendmsg(MSG_INTERRUPT)
	s_mov_b32 m0, ttmp2
.LBB305_2153:                           ; =>This Inner Loop Header: Depth=1
	s_sethalt 5
	s_branch .LBB305_2153
	.section	.rodata,"a",@progbits
	.p2align	6, 0x0
	.amdhsa_kernel _ZN2at6native32elementwise_kernel_manual_unrollILi128ELi4EZNS0_15gpu_kernel_implIZZZNS0_17clamp_kernel_cudaERNS_18TensorIteratorBaseERKN3c106ScalarES8_ENKUlvE_clEvENKUlvE2_clEvEUllE_EEvS4_RKT_EUlibE0_EEviT1_
		.amdhsa_group_segment_fixed_size 0
		.amdhsa_private_segment_fixed_size 0
		.amdhsa_kernarg_size 376
		.amdhsa_user_sgpr_count 15
		.amdhsa_user_sgpr_dispatch_ptr 0
		.amdhsa_user_sgpr_queue_ptr 0
		.amdhsa_user_sgpr_kernarg_segment_ptr 1
		.amdhsa_user_sgpr_dispatch_id 0
		.amdhsa_user_sgpr_private_segment_size 0
		.amdhsa_wavefront_size32 1
		.amdhsa_uses_dynamic_stack 0
		.amdhsa_enable_private_segment 0
		.amdhsa_system_sgpr_workgroup_id_x 1
		.amdhsa_system_sgpr_workgroup_id_y 0
		.amdhsa_system_sgpr_workgroup_id_z 0
		.amdhsa_system_sgpr_workgroup_info 0
		.amdhsa_system_vgpr_workitem_id 0
		.amdhsa_next_free_vgpr 19
		.amdhsa_next_free_sgpr 72
		.amdhsa_reserve_vcc 1
		.amdhsa_float_round_mode_32 0
		.amdhsa_float_round_mode_16_64 0
		.amdhsa_float_denorm_mode_32 3
		.amdhsa_float_denorm_mode_16_64 3
		.amdhsa_dx10_clamp 1
		.amdhsa_ieee_mode 1
		.amdhsa_fp16_overflow 0
		.amdhsa_workgroup_processor_mode 1
		.amdhsa_memory_ordered 1
		.amdhsa_forward_progress 0
		.amdhsa_shared_vgpr_count 0
		.amdhsa_exception_fp_ieee_invalid_op 0
		.amdhsa_exception_fp_denorm_src 0
		.amdhsa_exception_fp_ieee_div_zero 0
		.amdhsa_exception_fp_ieee_overflow 0
		.amdhsa_exception_fp_ieee_underflow 0
		.amdhsa_exception_fp_ieee_inexact 0
		.amdhsa_exception_int_div_zero 0
	.end_amdhsa_kernel
	.section	.text._ZN2at6native32elementwise_kernel_manual_unrollILi128ELi4EZNS0_15gpu_kernel_implIZZZNS0_17clamp_kernel_cudaERNS_18TensorIteratorBaseERKN3c106ScalarES8_ENKUlvE_clEvENKUlvE2_clEvEUllE_EEvS4_RKT_EUlibE0_EEviT1_,"axG",@progbits,_ZN2at6native32elementwise_kernel_manual_unrollILi128ELi4EZNS0_15gpu_kernel_implIZZZNS0_17clamp_kernel_cudaERNS_18TensorIteratorBaseERKN3c106ScalarES8_ENKUlvE_clEvENKUlvE2_clEvEUllE_EEvS4_RKT_EUlibE0_EEviT1_,comdat
.Lfunc_end305:
	.size	_ZN2at6native32elementwise_kernel_manual_unrollILi128ELi4EZNS0_15gpu_kernel_implIZZZNS0_17clamp_kernel_cudaERNS_18TensorIteratorBaseERKN3c106ScalarES8_ENKUlvE_clEvENKUlvE2_clEvEUllE_EEvS4_RKT_EUlibE0_EEviT1_, .Lfunc_end305-_ZN2at6native32elementwise_kernel_manual_unrollILi128ELi4EZNS0_15gpu_kernel_implIZZZNS0_17clamp_kernel_cudaERNS_18TensorIteratorBaseERKN3c106ScalarES8_ENKUlvE_clEvENKUlvE2_clEvEUllE_EEvS4_RKT_EUlibE0_EEviT1_
                                        ; -- End function
	.section	.AMDGPU.csdata,"",@progbits
; Kernel info:
; codeLenInByte = 53432
; NumSgprs: 74
; NumVgprs: 19
; ScratchSize: 0
; MemoryBound: 1
; FloatMode: 240
; IeeeMode: 1
; LDSByteSize: 0 bytes/workgroup (compile time only)
; SGPRBlocks: 9
; VGPRBlocks: 2
; NumSGPRsForWavesPerEU: 74
; NumVGPRsForWavesPerEU: 19
; Occupancy: 16
; WaveLimiterHint : 1
; COMPUTE_PGM_RSRC2:SCRATCH_EN: 0
; COMPUTE_PGM_RSRC2:USER_SGPR: 15
; COMPUTE_PGM_RSRC2:TRAP_HANDLER: 0
; COMPUTE_PGM_RSRC2:TGID_X_EN: 1
; COMPUTE_PGM_RSRC2:TGID_Y_EN: 0
; COMPUTE_PGM_RSRC2:TGID_Z_EN: 0
; COMPUTE_PGM_RSRC2:TIDIG_COMP_CNT: 0
	.section	.text._ZN2at6native29vectorized_elementwise_kernelILi16EZZZNS0_17clamp_kernel_cudaERNS_18TensorIteratorBaseERKN3c106ScalarES7_ENKUlvE_clEvENKUlvE3_clEvEUlsE_St5arrayIPcLm2EEEEviT0_T1_,"axG",@progbits,_ZN2at6native29vectorized_elementwise_kernelILi16EZZZNS0_17clamp_kernel_cudaERNS_18TensorIteratorBaseERKN3c106ScalarES7_ENKUlvE_clEvENKUlvE3_clEvEUlsE_St5arrayIPcLm2EEEEviT0_T1_,comdat
	.globl	_ZN2at6native29vectorized_elementwise_kernelILi16EZZZNS0_17clamp_kernel_cudaERNS_18TensorIteratorBaseERKN3c106ScalarES7_ENKUlvE_clEvENKUlvE3_clEvEUlsE_St5arrayIPcLm2EEEEviT0_T1_ ; -- Begin function _ZN2at6native29vectorized_elementwise_kernelILi16EZZZNS0_17clamp_kernel_cudaERNS_18TensorIteratorBaseERKN3c106ScalarES7_ENKUlvE_clEvENKUlvE3_clEvEUlsE_St5arrayIPcLm2EEEEviT0_T1_
	.p2align	8
	.type	_ZN2at6native29vectorized_elementwise_kernelILi16EZZZNS0_17clamp_kernel_cudaERNS_18TensorIteratorBaseERKN3c106ScalarES7_ENKUlvE_clEvENKUlvE3_clEvEUlsE_St5arrayIPcLm2EEEEviT0_T1_,@function
_ZN2at6native29vectorized_elementwise_kernelILi16EZZZNS0_17clamp_kernel_cudaERNS_18TensorIteratorBaseERKN3c106ScalarES7_ENKUlvE_clEvENKUlvE3_clEvEUlsE_St5arrayIPcLm2EEEEviT0_T1_: ; @_ZN2at6native29vectorized_elementwise_kernelILi16EZZZNS0_17clamp_kernel_cudaERNS_18TensorIteratorBaseERKN3c106ScalarES7_ENKUlvE_clEvENKUlvE3_clEvEUlsE_St5arrayIPcLm2EEEEviT0_T1_
; %bb.0:
	s_clause 0x1
	s_load_b64 s[8:9], s[0:1], 0x0
	s_load_b128 s[4:7], s[0:1], 0x8
	s_lshl_b32 s2, s15, 11
	s_mov_b32 s0, -1
	s_waitcnt lgkmcnt(0)
	s_sub_i32 s1, s8, s2
	s_delay_alu instid0(SALU_CYCLE_1)
	s_cmpk_gt_i32 s1, 0x7ff
	s_cbranch_scc0 .LBB306_2
; %bb.1:
	s_ashr_i32 s3, s2, 31
	v_lshlrev_b32_e32 v5, 4, v0
	s_lshl_b64 s[10:11], s[2:3], 1
	s_lshr_b32 s0, s9, 16
	s_add_u32 s12, s6, s10
	s_addc_u32 s13, s7, s11
	s_add_u32 s10, s4, s10
	global_load_b128 v[1:4], v5, s[12:13]
	s_addc_u32 s11, s5, s11
	s_waitcnt vmcnt(0)
	v_lshrrev_b32_e32 v6, 16, v1
	v_lshrrev_b32_e32 v7, 16, v2
	;; [unrolled: 1-line block ×4, first 2 shown]
	v_max_i16 v1, v1, s9
	v_max_i16 v2, v2, s9
	;; [unrolled: 1-line block ×8, first 2 shown]
	v_min_i16 v1, v1, s0
	v_min_i16 v2, v2, s0
	;; [unrolled: 1-line block ×8, first 2 shown]
	s_mov_b32 s0, 0
	v_perm_b32 v4, v9, v4, 0x5040100
	v_perm_b32 v3, v8, v3, 0x5040100
	;; [unrolled: 1-line block ×4, first 2 shown]
	global_store_b128 v5, v[1:4], s[10:11]
.LBB306_2:
	s_and_not1_b32 vcc_lo, exec_lo, s0
	s_cbranch_vccnz .LBB306_28
; %bb.3:
	v_cmp_gt_i32_e32 vcc_lo, s1, v0
	v_dual_mov_b32 v4, 0 :: v_dual_mov_b32 v5, v0
	v_or_b32_e32 v1, s2, v0
	v_or_b32_e32 v3, 0x100, v0
	v_mov_b32_e32 v2, 0
	s_and_saveexec_b32 s3, vcc_lo
	s_cbranch_execz .LBB306_5
; %bb.4:
	v_mov_b32_e32 v2, 0
	s_delay_alu instid0(VALU_DEP_1) | instskip(NEXT) | instid1(VALU_DEP_1)
	v_lshlrev_b64 v[5:6], 1, v[1:2]
	v_add_co_u32 v5, s0, s6, v5
	s_delay_alu instid0(VALU_DEP_1)
	v_add_co_ci_u32_e64 v6, s0, s7, v6, s0
	global_load_u16 v2, v[5:6], off
	v_or_b32_e32 v5, 0x100, v0
.LBB306_5:
	s_or_b32 exec_lo, exec_lo, s3
	s_delay_alu instid0(SALU_CYCLE_1) | instskip(NEXT) | instid1(VALU_DEP_1)
	s_mov_b32 s3, exec_lo
	v_cmpx_gt_i32_e64 s1, v5
	s_cbranch_execz .LBB306_7
; %bb.6:
	v_dual_mov_b32 v7, 0 :: v_dual_add_nc_u32 v6, s2, v5
	v_add_nc_u32_e32 v5, 0x100, v5
	s_delay_alu instid0(VALU_DEP_2) | instskip(NEXT) | instid1(VALU_DEP_1)
	v_lshlrev_b64 v[6:7], 1, v[6:7]
	v_add_co_u32 v6, s0, s6, v6
	s_delay_alu instid0(VALU_DEP_1)
	v_add_co_ci_u32_e64 v7, s0, s7, v7, s0
	global_load_u16 v4, v[6:7], off
.LBB306_7:
	s_or_b32 exec_lo, exec_lo, s3
	v_dual_mov_b32 v6, 0 :: v_dual_mov_b32 v7, 0
	s_mov_b32 s3, exec_lo
	v_cmpx_gt_i32_e64 s1, v5
	s_cbranch_execz .LBB306_9
; %bb.8:
	v_dual_mov_b32 v8, 0 :: v_dual_add_nc_u32 v7, s2, v5
	v_add_nc_u32_e32 v5, 0x100, v5
	s_delay_alu instid0(VALU_DEP_2) | instskip(NEXT) | instid1(VALU_DEP_1)
	v_lshlrev_b64 v[7:8], 1, v[7:8]
	v_add_co_u32 v7, s0, s6, v7
	s_delay_alu instid0(VALU_DEP_1)
	v_add_co_ci_u32_e64 v8, s0, s7, v8, s0
	global_load_u16 v7, v[7:8], off
.LBB306_9:
	s_or_b32 exec_lo, exec_lo, s3
	s_delay_alu instid0(SALU_CYCLE_1)
	s_mov_b32 s3, exec_lo
	v_cmpx_gt_i32_e64 s1, v5
	s_cbranch_execz .LBB306_11
; %bb.10:
	v_dual_mov_b32 v9, 0 :: v_dual_add_nc_u32 v8, s2, v5
	v_add_nc_u32_e32 v5, 0x100, v5
	s_delay_alu instid0(VALU_DEP_2) | instskip(NEXT) | instid1(VALU_DEP_1)
	v_lshlrev_b64 v[8:9], 1, v[8:9]
	v_add_co_u32 v8, s0, s6, v8
	s_delay_alu instid0(VALU_DEP_1)
	v_add_co_ci_u32_e64 v9, s0, s7, v9, s0
	global_load_u16 v6, v[8:9], off
.LBB306_11:
	s_or_b32 exec_lo, exec_lo, s3
	v_dual_mov_b32 v8, 0 :: v_dual_mov_b32 v9, 0
	s_mov_b32 s3, exec_lo
	v_cmpx_gt_i32_e64 s1, v5
	s_cbranch_execz .LBB306_13
; %bb.12:
	v_dual_mov_b32 v10, 0 :: v_dual_add_nc_u32 v9, s2, v5
	v_add_nc_u32_e32 v5, 0x100, v5
	s_delay_alu instid0(VALU_DEP_2) | instskip(NEXT) | instid1(VALU_DEP_1)
	v_lshlrev_b64 v[9:10], 1, v[9:10]
	v_add_co_u32 v9, s0, s6, v9
	s_delay_alu instid0(VALU_DEP_1)
	v_add_co_ci_u32_e64 v10, s0, s7, v10, s0
	global_load_u16 v9, v[9:10], off
.LBB306_13:
	s_or_b32 exec_lo, exec_lo, s3
	s_delay_alu instid0(SALU_CYCLE_1)
	;; [unrolled: 30-line block ×3, first 2 shown]
	s_mov_b32 s3, exec_lo
	v_cmpx_gt_i32_e64 s1, v5
	s_cbranch_execz .LBB306_19
; %bb.18:
	v_dual_mov_b32 v13, 0 :: v_dual_add_nc_u32 v12, s2, v5
	s_delay_alu instid0(VALU_DEP_1) | instskip(NEXT) | instid1(VALU_DEP_1)
	v_lshlrev_b64 v[12:13], 1, v[12:13]
	v_add_co_u32 v12, s0, s6, v12
	s_delay_alu instid0(VALU_DEP_1)
	v_add_co_ci_u32_e64 v13, s0, s7, v13, s0
	global_load_u16 v10, v[12:13], off
.LBB306_19:
	s_or_b32 exec_lo, exec_lo, s3
	s_waitcnt vmcnt(0)
	v_max_i16 v2, v2, s9
	v_max_i16 v4, v4, s9
	s_lshr_b32 s3, s9, 16
	v_max_i16 v5, v7, s9
	v_max_i16 v6, v6, s9
	v_min_i16 v2, v2, s3
	v_min_i16 v4, v4, s3
	v_cmp_gt_i32_e64 s0, s1, v3
	v_or_b32_e32 v12, 0x300, v0
	v_min_i16 v5, v5, s3
	v_max_i16 v9, v9, s9
	v_perm_b32 v4, v4, v2, 0x5040100
	v_max_i16 v8, v8, s9
	v_max_i16 v11, v11, s9
	v_and_b32_e32 v13, 0xffff, v5
	v_min_i16 v9, v9, s3
	v_cndmask_b32_e64 v7, v2, v4, s0
	v_min_i16 v2, v6, s3
	v_max_i16 v4, v10, s9
	v_min_i16 v6, v8, s3
	v_cmp_gt_i32_e64 s0, s1, v12
	v_min_i16 v8, v11, s3
	v_perm_b32 v2, v2, v5, 0x5040100
	v_or_b32_e32 v5, 0x500, v0
	v_min_i16 v4, v4, s3
	v_perm_b32 v10, v6, v9, 0x5040100
	v_or_b32_e32 v14, 0x700, v0
	v_cndmask_b32_e64 v6, v13, v2, s0
	v_cmp_gt_i32_e64 s0, s1, v5
	v_and_b32_e32 v11, 0xffff, v8
	v_perm_b32 v4, v4, v8, 0x5040100
	s_delay_alu instid0(VALU_DEP_3) | instskip(SKIP_1) | instid1(VALU_DEP_1)
	v_cndmask_b32_e64 v5, v9, v10, s0
	v_cmp_gt_i32_e64 s0, s1, v14
	v_cndmask_b32_e64 v4, v11, v4, s0
	s_and_saveexec_b32 s0, vcc_lo
	s_cbranch_execnz .LBB306_29
; %bb.20:
	s_or_b32 exec_lo, exec_lo, s0
	s_delay_alu instid0(SALU_CYCLE_1)
	s_mov_b32 s0, exec_lo
	v_cmpx_gt_i32_e64 s1, v0
	s_cbranch_execnz .LBB306_30
.LBB306_21:
	s_or_b32 exec_lo, exec_lo, s0
	s_delay_alu instid0(SALU_CYCLE_1)
	s_mov_b32 s0, exec_lo
	v_cmpx_gt_i32_e64 s1, v0
	s_cbranch_execnz .LBB306_31
.LBB306_22:
	s_or_b32 exec_lo, exec_lo, s0
	s_delay_alu instid0(SALU_CYCLE_1)
	s_mov_b32 s0, exec_lo
	v_cmpx_gt_i32_e64 s1, v0
	s_cbranch_execnz .LBB306_32
.LBB306_23:
	s_or_b32 exec_lo, exec_lo, s0
	s_delay_alu instid0(SALU_CYCLE_1)
	s_mov_b32 s0, exec_lo
	v_cmpx_gt_i32_e64 s1, v0
	s_cbranch_execnz .LBB306_33
.LBB306_24:
	s_or_b32 exec_lo, exec_lo, s0
	s_delay_alu instid0(SALU_CYCLE_1)
	s_mov_b32 s0, exec_lo
	v_cmpx_gt_i32_e64 s1, v0
	s_cbranch_execnz .LBB306_34
.LBB306_25:
	s_or_b32 exec_lo, exec_lo, s0
	s_delay_alu instid0(SALU_CYCLE_1)
	s_mov_b32 s0, exec_lo
	v_cmpx_gt_i32_e64 s1, v0
	s_cbranch_execnz .LBB306_35
.LBB306_26:
	s_or_b32 exec_lo, exec_lo, s0
	s_delay_alu instid0(SALU_CYCLE_1)
	s_mov_b32 s0, exec_lo
	v_cmpx_gt_i32_e64 s1, v0
	s_cbranch_execz .LBB306_28
.LBB306_27:
	v_dual_mov_b32 v1, 0 :: v_dual_add_nc_u32 v0, s2, v0
	s_delay_alu instid0(VALU_DEP_1) | instskip(NEXT) | instid1(VALU_DEP_1)
	v_lshlrev_b64 v[0:1], 1, v[0:1]
	v_add_co_u32 v0, vcc_lo, s4, v0
	s_delay_alu instid0(VALU_DEP_2)
	v_add_co_ci_u32_e32 v1, vcc_lo, s5, v1, vcc_lo
	global_store_d16_hi_b16 v[0:1], v4, off
.LBB306_28:
	s_nop 0
	s_sendmsg sendmsg(MSG_DEALLOC_VGPRS)
	s_endpgm
.LBB306_29:
	v_mov_b32_e32 v2, 0
	s_delay_alu instid0(VALU_DEP_1) | instskip(NEXT) | instid1(VALU_DEP_1)
	v_lshlrev_b64 v[0:1], 1, v[1:2]
	v_add_co_u32 v8, vcc_lo, s4, v0
	s_delay_alu instid0(VALU_DEP_2) | instskip(SKIP_3) | instid1(SALU_CYCLE_1)
	v_add_co_ci_u32_e32 v9, vcc_lo, s5, v1, vcc_lo
	v_mov_b32_e32 v0, v3
	global_store_b16 v[8:9], v7, off
	s_or_b32 exec_lo, exec_lo, s0
	s_mov_b32 s0, exec_lo
	v_cmpx_gt_i32_e64 s1, v0
	s_cbranch_execz .LBB306_21
.LBB306_30:
	v_dual_mov_b32 v2, 0 :: v_dual_add_nc_u32 v1, s2, v0
	v_add_nc_u32_e32 v0, 0x100, v0
	s_delay_alu instid0(VALU_DEP_2) | instskip(NEXT) | instid1(VALU_DEP_1)
	v_lshlrev_b64 v[1:2], 1, v[1:2]
	v_add_co_u32 v1, vcc_lo, s4, v1
	s_delay_alu instid0(VALU_DEP_2) | instskip(SKIP_2) | instid1(SALU_CYCLE_1)
	v_add_co_ci_u32_e32 v2, vcc_lo, s5, v2, vcc_lo
	global_store_d16_hi_b16 v[1:2], v7, off
	s_or_b32 exec_lo, exec_lo, s0
	s_mov_b32 s0, exec_lo
	v_cmpx_gt_i32_e64 s1, v0
	s_cbranch_execz .LBB306_22
.LBB306_31:
	v_dual_mov_b32 v2, 0 :: v_dual_add_nc_u32 v1, s2, v0
	v_add_nc_u32_e32 v0, 0x100, v0
	s_delay_alu instid0(VALU_DEP_2) | instskip(NEXT) | instid1(VALU_DEP_1)
	v_lshlrev_b64 v[1:2], 1, v[1:2]
	v_add_co_u32 v1, vcc_lo, s4, v1
	s_delay_alu instid0(VALU_DEP_2) | instskip(SKIP_2) | instid1(SALU_CYCLE_1)
	v_add_co_ci_u32_e32 v2, vcc_lo, s5, v2, vcc_lo
	global_store_b16 v[1:2], v6, off
	s_or_b32 exec_lo, exec_lo, s0
	s_mov_b32 s0, exec_lo
	v_cmpx_gt_i32_e64 s1, v0
	s_cbranch_execz .LBB306_23
.LBB306_32:
	v_dual_mov_b32 v2, 0 :: v_dual_add_nc_u32 v1, s2, v0
	v_add_nc_u32_e32 v0, 0x100, v0
	s_delay_alu instid0(VALU_DEP_2) | instskip(NEXT) | instid1(VALU_DEP_1)
	v_lshlrev_b64 v[1:2], 1, v[1:2]
	v_add_co_u32 v1, vcc_lo, s4, v1
	s_delay_alu instid0(VALU_DEP_2) | instskip(SKIP_2) | instid1(SALU_CYCLE_1)
	v_add_co_ci_u32_e32 v2, vcc_lo, s5, v2, vcc_lo
	global_store_d16_hi_b16 v[1:2], v6, off
	s_or_b32 exec_lo, exec_lo, s0
	s_mov_b32 s0, exec_lo
	v_cmpx_gt_i32_e64 s1, v0
	s_cbranch_execz .LBB306_24
.LBB306_33:
	v_dual_mov_b32 v2, 0 :: v_dual_add_nc_u32 v1, s2, v0
	v_add_nc_u32_e32 v0, 0x100, v0
	s_delay_alu instid0(VALU_DEP_2) | instskip(NEXT) | instid1(VALU_DEP_1)
	v_lshlrev_b64 v[1:2], 1, v[1:2]
	v_add_co_u32 v1, vcc_lo, s4, v1
	s_delay_alu instid0(VALU_DEP_2) | instskip(SKIP_2) | instid1(SALU_CYCLE_1)
	v_add_co_ci_u32_e32 v2, vcc_lo, s5, v2, vcc_lo
	global_store_b16 v[1:2], v5, off
	s_or_b32 exec_lo, exec_lo, s0
	s_mov_b32 s0, exec_lo
	v_cmpx_gt_i32_e64 s1, v0
	s_cbranch_execz .LBB306_25
.LBB306_34:
	v_dual_mov_b32 v2, 0 :: v_dual_add_nc_u32 v1, s2, v0
	v_add_nc_u32_e32 v0, 0x100, v0
	s_delay_alu instid0(VALU_DEP_2) | instskip(NEXT) | instid1(VALU_DEP_1)
	v_lshlrev_b64 v[1:2], 1, v[1:2]
	v_add_co_u32 v1, vcc_lo, s4, v1
	s_delay_alu instid0(VALU_DEP_2) | instskip(SKIP_2) | instid1(SALU_CYCLE_1)
	v_add_co_ci_u32_e32 v2, vcc_lo, s5, v2, vcc_lo
	global_store_d16_hi_b16 v[1:2], v5, off
	s_or_b32 exec_lo, exec_lo, s0
	s_mov_b32 s0, exec_lo
	v_cmpx_gt_i32_e64 s1, v0
	s_cbranch_execz .LBB306_26
.LBB306_35:
	v_dual_mov_b32 v2, 0 :: v_dual_add_nc_u32 v1, s2, v0
	v_add_nc_u32_e32 v0, 0x100, v0
	s_delay_alu instid0(VALU_DEP_2) | instskip(NEXT) | instid1(VALU_DEP_1)
	v_lshlrev_b64 v[1:2], 1, v[1:2]
	v_add_co_u32 v1, vcc_lo, s4, v1
	s_delay_alu instid0(VALU_DEP_2) | instskip(SKIP_2) | instid1(SALU_CYCLE_1)
	v_add_co_ci_u32_e32 v2, vcc_lo, s5, v2, vcc_lo
	global_store_b16 v[1:2], v4, off
	s_or_b32 exec_lo, exec_lo, s0
	s_mov_b32 s0, exec_lo
	v_cmpx_gt_i32_e64 s1, v0
	s_cbranch_execnz .LBB306_27
	s_branch .LBB306_28
	.section	.rodata,"a",@progbits
	.p2align	6, 0x0
	.amdhsa_kernel _ZN2at6native29vectorized_elementwise_kernelILi16EZZZNS0_17clamp_kernel_cudaERNS_18TensorIteratorBaseERKN3c106ScalarES7_ENKUlvE_clEvENKUlvE3_clEvEUlsE_St5arrayIPcLm2EEEEviT0_T1_
		.amdhsa_group_segment_fixed_size 0
		.amdhsa_private_segment_fixed_size 0
		.amdhsa_kernarg_size 24
		.amdhsa_user_sgpr_count 15
		.amdhsa_user_sgpr_dispatch_ptr 0
		.amdhsa_user_sgpr_queue_ptr 0
		.amdhsa_user_sgpr_kernarg_segment_ptr 1
		.amdhsa_user_sgpr_dispatch_id 0
		.amdhsa_user_sgpr_private_segment_size 0
		.amdhsa_wavefront_size32 1
		.amdhsa_uses_dynamic_stack 0
		.amdhsa_enable_private_segment 0
		.amdhsa_system_sgpr_workgroup_id_x 1
		.amdhsa_system_sgpr_workgroup_id_y 0
		.amdhsa_system_sgpr_workgroup_id_z 0
		.amdhsa_system_sgpr_workgroup_info 0
		.amdhsa_system_vgpr_workitem_id 0
		.amdhsa_next_free_vgpr 15
		.amdhsa_next_free_sgpr 16
		.amdhsa_reserve_vcc 1
		.amdhsa_float_round_mode_32 0
		.amdhsa_float_round_mode_16_64 0
		.amdhsa_float_denorm_mode_32 3
		.amdhsa_float_denorm_mode_16_64 3
		.amdhsa_dx10_clamp 1
		.amdhsa_ieee_mode 1
		.amdhsa_fp16_overflow 0
		.amdhsa_workgroup_processor_mode 1
		.amdhsa_memory_ordered 1
		.amdhsa_forward_progress 0
		.amdhsa_shared_vgpr_count 0
		.amdhsa_exception_fp_ieee_invalid_op 0
		.amdhsa_exception_fp_denorm_src 0
		.amdhsa_exception_fp_ieee_div_zero 0
		.amdhsa_exception_fp_ieee_overflow 0
		.amdhsa_exception_fp_ieee_underflow 0
		.amdhsa_exception_fp_ieee_inexact 0
		.amdhsa_exception_int_div_zero 0
	.end_amdhsa_kernel
	.section	.text._ZN2at6native29vectorized_elementwise_kernelILi16EZZZNS0_17clamp_kernel_cudaERNS_18TensorIteratorBaseERKN3c106ScalarES7_ENKUlvE_clEvENKUlvE3_clEvEUlsE_St5arrayIPcLm2EEEEviT0_T1_,"axG",@progbits,_ZN2at6native29vectorized_elementwise_kernelILi16EZZZNS0_17clamp_kernel_cudaERNS_18TensorIteratorBaseERKN3c106ScalarES7_ENKUlvE_clEvENKUlvE3_clEvEUlsE_St5arrayIPcLm2EEEEviT0_T1_,comdat
.Lfunc_end306:
	.size	_ZN2at6native29vectorized_elementwise_kernelILi16EZZZNS0_17clamp_kernel_cudaERNS_18TensorIteratorBaseERKN3c106ScalarES7_ENKUlvE_clEvENKUlvE3_clEvEUlsE_St5arrayIPcLm2EEEEviT0_T1_, .Lfunc_end306-_ZN2at6native29vectorized_elementwise_kernelILi16EZZZNS0_17clamp_kernel_cudaERNS_18TensorIteratorBaseERKN3c106ScalarES7_ENKUlvE_clEvENKUlvE3_clEvEUlsE_St5arrayIPcLm2EEEEviT0_T1_
                                        ; -- End function
	.section	.AMDGPU.csdata,"",@progbits
; Kernel info:
; codeLenInByte = 1984
; NumSgprs: 18
; NumVgprs: 15
; ScratchSize: 0
; MemoryBound: 0
; FloatMode: 240
; IeeeMode: 1
; LDSByteSize: 0 bytes/workgroup (compile time only)
; SGPRBlocks: 2
; VGPRBlocks: 1
; NumSGPRsForWavesPerEU: 18
; NumVGPRsForWavesPerEU: 15
; Occupancy: 16
; WaveLimiterHint : 0
; COMPUTE_PGM_RSRC2:SCRATCH_EN: 0
; COMPUTE_PGM_RSRC2:USER_SGPR: 15
; COMPUTE_PGM_RSRC2:TRAP_HANDLER: 0
; COMPUTE_PGM_RSRC2:TGID_X_EN: 1
; COMPUTE_PGM_RSRC2:TGID_Y_EN: 0
; COMPUTE_PGM_RSRC2:TGID_Z_EN: 0
; COMPUTE_PGM_RSRC2:TIDIG_COMP_CNT: 0
	.section	.text._ZN2at6native29vectorized_elementwise_kernelILi8EZZZNS0_17clamp_kernel_cudaERNS_18TensorIteratorBaseERKN3c106ScalarES7_ENKUlvE_clEvENKUlvE3_clEvEUlsE_St5arrayIPcLm2EEEEviT0_T1_,"axG",@progbits,_ZN2at6native29vectorized_elementwise_kernelILi8EZZZNS0_17clamp_kernel_cudaERNS_18TensorIteratorBaseERKN3c106ScalarES7_ENKUlvE_clEvENKUlvE3_clEvEUlsE_St5arrayIPcLm2EEEEviT0_T1_,comdat
	.globl	_ZN2at6native29vectorized_elementwise_kernelILi8EZZZNS0_17clamp_kernel_cudaERNS_18TensorIteratorBaseERKN3c106ScalarES7_ENKUlvE_clEvENKUlvE3_clEvEUlsE_St5arrayIPcLm2EEEEviT0_T1_ ; -- Begin function _ZN2at6native29vectorized_elementwise_kernelILi8EZZZNS0_17clamp_kernel_cudaERNS_18TensorIteratorBaseERKN3c106ScalarES7_ENKUlvE_clEvENKUlvE3_clEvEUlsE_St5arrayIPcLm2EEEEviT0_T1_
	.p2align	8
	.type	_ZN2at6native29vectorized_elementwise_kernelILi8EZZZNS0_17clamp_kernel_cudaERNS_18TensorIteratorBaseERKN3c106ScalarES7_ENKUlvE_clEvENKUlvE3_clEvEUlsE_St5arrayIPcLm2EEEEviT0_T1_,@function
_ZN2at6native29vectorized_elementwise_kernelILi8EZZZNS0_17clamp_kernel_cudaERNS_18TensorIteratorBaseERKN3c106ScalarES7_ENKUlvE_clEvENKUlvE3_clEvEUlsE_St5arrayIPcLm2EEEEviT0_T1_: ; @_ZN2at6native29vectorized_elementwise_kernelILi8EZZZNS0_17clamp_kernel_cudaERNS_18TensorIteratorBaseERKN3c106ScalarES7_ENKUlvE_clEvENKUlvE3_clEvEUlsE_St5arrayIPcLm2EEEEviT0_T1_
; %bb.0:
	s_clause 0x1
	s_load_b64 s[8:9], s[0:1], 0x0
	s_load_b128 s[4:7], s[0:1], 0x8
	s_lshl_b32 s2, s15, 11
	s_mov_b32 s0, -1
	s_waitcnt lgkmcnt(0)
	s_sub_i32 s1, s8, s2
	s_delay_alu instid0(SALU_CYCLE_1)
	s_cmpk_gt_i32 s1, 0x7ff
	s_cbranch_scc0 .LBB307_2
; %bb.1:
	s_ashr_i32 s3, s2, 31
	v_lshlrev_b32_e32 v5, 4, v0
	s_lshl_b64 s[10:11], s[2:3], 1
	s_lshr_b32 s0, s9, 16
	s_add_u32 s12, s6, s10
	s_addc_u32 s13, s7, s11
	s_add_u32 s10, s4, s10
	global_load_b128 v[1:4], v5, s[12:13]
	s_addc_u32 s11, s5, s11
	s_waitcnt vmcnt(0)
	v_lshrrev_b32_e32 v6, 16, v1
	v_lshrrev_b32_e32 v7, 16, v2
	;; [unrolled: 1-line block ×4, first 2 shown]
	v_max_i16 v1, v1, s9
	v_max_i16 v2, v2, s9
	;; [unrolled: 1-line block ×8, first 2 shown]
	v_min_i16 v1, v1, s0
	v_min_i16 v2, v2, s0
	;; [unrolled: 1-line block ×8, first 2 shown]
	s_mov_b32 s0, 0
	v_perm_b32 v4, v9, v4, 0x5040100
	v_perm_b32 v3, v8, v3, 0x5040100
	;; [unrolled: 1-line block ×4, first 2 shown]
	global_store_b128 v5, v[1:4], s[10:11]
.LBB307_2:
	s_and_not1_b32 vcc_lo, exec_lo, s0
	s_cbranch_vccnz .LBB307_28
; %bb.3:
	v_cmp_gt_i32_e32 vcc_lo, s1, v0
	v_dual_mov_b32 v4, 0 :: v_dual_mov_b32 v5, v0
	v_or_b32_e32 v1, s2, v0
	v_or_b32_e32 v3, 0x100, v0
	v_mov_b32_e32 v2, 0
	s_and_saveexec_b32 s3, vcc_lo
	s_cbranch_execz .LBB307_5
; %bb.4:
	v_mov_b32_e32 v2, 0
	s_delay_alu instid0(VALU_DEP_1) | instskip(NEXT) | instid1(VALU_DEP_1)
	v_lshlrev_b64 v[5:6], 1, v[1:2]
	v_add_co_u32 v5, s0, s6, v5
	s_delay_alu instid0(VALU_DEP_1)
	v_add_co_ci_u32_e64 v6, s0, s7, v6, s0
	global_load_u16 v2, v[5:6], off
	v_or_b32_e32 v5, 0x100, v0
.LBB307_5:
	s_or_b32 exec_lo, exec_lo, s3
	s_delay_alu instid0(SALU_CYCLE_1) | instskip(NEXT) | instid1(VALU_DEP_1)
	s_mov_b32 s3, exec_lo
	v_cmpx_gt_i32_e64 s1, v5
	s_cbranch_execz .LBB307_7
; %bb.6:
	v_dual_mov_b32 v7, 0 :: v_dual_add_nc_u32 v6, s2, v5
	v_add_nc_u32_e32 v5, 0x100, v5
	s_delay_alu instid0(VALU_DEP_2) | instskip(NEXT) | instid1(VALU_DEP_1)
	v_lshlrev_b64 v[6:7], 1, v[6:7]
	v_add_co_u32 v6, s0, s6, v6
	s_delay_alu instid0(VALU_DEP_1)
	v_add_co_ci_u32_e64 v7, s0, s7, v7, s0
	global_load_u16 v4, v[6:7], off
.LBB307_7:
	s_or_b32 exec_lo, exec_lo, s3
	v_dual_mov_b32 v6, 0 :: v_dual_mov_b32 v7, 0
	s_mov_b32 s3, exec_lo
	v_cmpx_gt_i32_e64 s1, v5
	s_cbranch_execz .LBB307_9
; %bb.8:
	v_dual_mov_b32 v8, 0 :: v_dual_add_nc_u32 v7, s2, v5
	v_add_nc_u32_e32 v5, 0x100, v5
	s_delay_alu instid0(VALU_DEP_2) | instskip(NEXT) | instid1(VALU_DEP_1)
	v_lshlrev_b64 v[7:8], 1, v[7:8]
	v_add_co_u32 v7, s0, s6, v7
	s_delay_alu instid0(VALU_DEP_1)
	v_add_co_ci_u32_e64 v8, s0, s7, v8, s0
	global_load_u16 v7, v[7:8], off
.LBB307_9:
	s_or_b32 exec_lo, exec_lo, s3
	s_delay_alu instid0(SALU_CYCLE_1)
	s_mov_b32 s3, exec_lo
	v_cmpx_gt_i32_e64 s1, v5
	s_cbranch_execz .LBB307_11
; %bb.10:
	v_dual_mov_b32 v9, 0 :: v_dual_add_nc_u32 v8, s2, v5
	v_add_nc_u32_e32 v5, 0x100, v5
	s_delay_alu instid0(VALU_DEP_2) | instskip(NEXT) | instid1(VALU_DEP_1)
	v_lshlrev_b64 v[8:9], 1, v[8:9]
	v_add_co_u32 v8, s0, s6, v8
	s_delay_alu instid0(VALU_DEP_1)
	v_add_co_ci_u32_e64 v9, s0, s7, v9, s0
	global_load_u16 v6, v[8:9], off
.LBB307_11:
	s_or_b32 exec_lo, exec_lo, s3
	v_dual_mov_b32 v8, 0 :: v_dual_mov_b32 v9, 0
	s_mov_b32 s3, exec_lo
	v_cmpx_gt_i32_e64 s1, v5
	s_cbranch_execz .LBB307_13
; %bb.12:
	v_dual_mov_b32 v10, 0 :: v_dual_add_nc_u32 v9, s2, v5
	v_add_nc_u32_e32 v5, 0x100, v5
	s_delay_alu instid0(VALU_DEP_2) | instskip(NEXT) | instid1(VALU_DEP_1)
	v_lshlrev_b64 v[9:10], 1, v[9:10]
	v_add_co_u32 v9, s0, s6, v9
	s_delay_alu instid0(VALU_DEP_1)
	v_add_co_ci_u32_e64 v10, s0, s7, v10, s0
	global_load_u16 v9, v[9:10], off
.LBB307_13:
	s_or_b32 exec_lo, exec_lo, s3
	s_delay_alu instid0(SALU_CYCLE_1)
	;; [unrolled: 30-line block ×3, first 2 shown]
	s_mov_b32 s3, exec_lo
	v_cmpx_gt_i32_e64 s1, v5
	s_cbranch_execz .LBB307_19
; %bb.18:
	v_dual_mov_b32 v13, 0 :: v_dual_add_nc_u32 v12, s2, v5
	s_delay_alu instid0(VALU_DEP_1) | instskip(NEXT) | instid1(VALU_DEP_1)
	v_lshlrev_b64 v[12:13], 1, v[12:13]
	v_add_co_u32 v12, s0, s6, v12
	s_delay_alu instid0(VALU_DEP_1)
	v_add_co_ci_u32_e64 v13, s0, s7, v13, s0
	global_load_u16 v10, v[12:13], off
.LBB307_19:
	s_or_b32 exec_lo, exec_lo, s3
	s_waitcnt vmcnt(0)
	v_max_i16 v2, v2, s9
	v_max_i16 v4, v4, s9
	s_lshr_b32 s3, s9, 16
	v_max_i16 v5, v7, s9
	v_max_i16 v6, v6, s9
	v_min_i16 v2, v2, s3
	v_min_i16 v4, v4, s3
	v_cmp_gt_i32_e64 s0, s1, v3
	v_or_b32_e32 v12, 0x300, v0
	v_min_i16 v5, v5, s3
	v_max_i16 v9, v9, s9
	v_perm_b32 v4, v4, v2, 0x5040100
	v_max_i16 v8, v8, s9
	v_max_i16 v11, v11, s9
	v_and_b32_e32 v13, 0xffff, v5
	v_min_i16 v9, v9, s3
	v_cndmask_b32_e64 v7, v2, v4, s0
	v_min_i16 v2, v6, s3
	v_max_i16 v4, v10, s9
	v_min_i16 v6, v8, s3
	v_cmp_gt_i32_e64 s0, s1, v12
	v_min_i16 v8, v11, s3
	v_perm_b32 v2, v2, v5, 0x5040100
	v_or_b32_e32 v5, 0x500, v0
	v_min_i16 v4, v4, s3
	v_perm_b32 v10, v6, v9, 0x5040100
	v_or_b32_e32 v14, 0x700, v0
	v_cndmask_b32_e64 v6, v13, v2, s0
	v_cmp_gt_i32_e64 s0, s1, v5
	v_and_b32_e32 v11, 0xffff, v8
	v_perm_b32 v4, v4, v8, 0x5040100
	s_delay_alu instid0(VALU_DEP_3) | instskip(SKIP_1) | instid1(VALU_DEP_1)
	v_cndmask_b32_e64 v5, v9, v10, s0
	v_cmp_gt_i32_e64 s0, s1, v14
	v_cndmask_b32_e64 v4, v11, v4, s0
	s_and_saveexec_b32 s0, vcc_lo
	s_cbranch_execnz .LBB307_29
; %bb.20:
	s_or_b32 exec_lo, exec_lo, s0
	s_delay_alu instid0(SALU_CYCLE_1)
	s_mov_b32 s0, exec_lo
	v_cmpx_gt_i32_e64 s1, v0
	s_cbranch_execnz .LBB307_30
.LBB307_21:
	s_or_b32 exec_lo, exec_lo, s0
	s_delay_alu instid0(SALU_CYCLE_1)
	s_mov_b32 s0, exec_lo
	v_cmpx_gt_i32_e64 s1, v0
	s_cbranch_execnz .LBB307_31
.LBB307_22:
	s_or_b32 exec_lo, exec_lo, s0
	s_delay_alu instid0(SALU_CYCLE_1)
	s_mov_b32 s0, exec_lo
	v_cmpx_gt_i32_e64 s1, v0
	s_cbranch_execnz .LBB307_32
.LBB307_23:
	s_or_b32 exec_lo, exec_lo, s0
	s_delay_alu instid0(SALU_CYCLE_1)
	s_mov_b32 s0, exec_lo
	v_cmpx_gt_i32_e64 s1, v0
	s_cbranch_execnz .LBB307_33
.LBB307_24:
	s_or_b32 exec_lo, exec_lo, s0
	s_delay_alu instid0(SALU_CYCLE_1)
	s_mov_b32 s0, exec_lo
	v_cmpx_gt_i32_e64 s1, v0
	s_cbranch_execnz .LBB307_34
.LBB307_25:
	s_or_b32 exec_lo, exec_lo, s0
	s_delay_alu instid0(SALU_CYCLE_1)
	s_mov_b32 s0, exec_lo
	v_cmpx_gt_i32_e64 s1, v0
	s_cbranch_execnz .LBB307_35
.LBB307_26:
	s_or_b32 exec_lo, exec_lo, s0
	s_delay_alu instid0(SALU_CYCLE_1)
	s_mov_b32 s0, exec_lo
	v_cmpx_gt_i32_e64 s1, v0
	s_cbranch_execz .LBB307_28
.LBB307_27:
	v_dual_mov_b32 v1, 0 :: v_dual_add_nc_u32 v0, s2, v0
	s_delay_alu instid0(VALU_DEP_1) | instskip(NEXT) | instid1(VALU_DEP_1)
	v_lshlrev_b64 v[0:1], 1, v[0:1]
	v_add_co_u32 v0, vcc_lo, s4, v0
	s_delay_alu instid0(VALU_DEP_2)
	v_add_co_ci_u32_e32 v1, vcc_lo, s5, v1, vcc_lo
	global_store_d16_hi_b16 v[0:1], v4, off
.LBB307_28:
	s_nop 0
	s_sendmsg sendmsg(MSG_DEALLOC_VGPRS)
	s_endpgm
.LBB307_29:
	v_mov_b32_e32 v2, 0
	s_delay_alu instid0(VALU_DEP_1) | instskip(NEXT) | instid1(VALU_DEP_1)
	v_lshlrev_b64 v[0:1], 1, v[1:2]
	v_add_co_u32 v8, vcc_lo, s4, v0
	s_delay_alu instid0(VALU_DEP_2) | instskip(SKIP_3) | instid1(SALU_CYCLE_1)
	v_add_co_ci_u32_e32 v9, vcc_lo, s5, v1, vcc_lo
	v_mov_b32_e32 v0, v3
	global_store_b16 v[8:9], v7, off
	s_or_b32 exec_lo, exec_lo, s0
	s_mov_b32 s0, exec_lo
	v_cmpx_gt_i32_e64 s1, v0
	s_cbranch_execz .LBB307_21
.LBB307_30:
	v_dual_mov_b32 v2, 0 :: v_dual_add_nc_u32 v1, s2, v0
	v_add_nc_u32_e32 v0, 0x100, v0
	s_delay_alu instid0(VALU_DEP_2) | instskip(NEXT) | instid1(VALU_DEP_1)
	v_lshlrev_b64 v[1:2], 1, v[1:2]
	v_add_co_u32 v1, vcc_lo, s4, v1
	s_delay_alu instid0(VALU_DEP_2) | instskip(SKIP_2) | instid1(SALU_CYCLE_1)
	v_add_co_ci_u32_e32 v2, vcc_lo, s5, v2, vcc_lo
	global_store_d16_hi_b16 v[1:2], v7, off
	s_or_b32 exec_lo, exec_lo, s0
	s_mov_b32 s0, exec_lo
	v_cmpx_gt_i32_e64 s1, v0
	s_cbranch_execz .LBB307_22
.LBB307_31:
	v_dual_mov_b32 v2, 0 :: v_dual_add_nc_u32 v1, s2, v0
	v_add_nc_u32_e32 v0, 0x100, v0
	s_delay_alu instid0(VALU_DEP_2) | instskip(NEXT) | instid1(VALU_DEP_1)
	v_lshlrev_b64 v[1:2], 1, v[1:2]
	v_add_co_u32 v1, vcc_lo, s4, v1
	s_delay_alu instid0(VALU_DEP_2) | instskip(SKIP_2) | instid1(SALU_CYCLE_1)
	v_add_co_ci_u32_e32 v2, vcc_lo, s5, v2, vcc_lo
	global_store_b16 v[1:2], v6, off
	s_or_b32 exec_lo, exec_lo, s0
	s_mov_b32 s0, exec_lo
	v_cmpx_gt_i32_e64 s1, v0
	s_cbranch_execz .LBB307_23
.LBB307_32:
	v_dual_mov_b32 v2, 0 :: v_dual_add_nc_u32 v1, s2, v0
	v_add_nc_u32_e32 v0, 0x100, v0
	s_delay_alu instid0(VALU_DEP_2) | instskip(NEXT) | instid1(VALU_DEP_1)
	v_lshlrev_b64 v[1:2], 1, v[1:2]
	v_add_co_u32 v1, vcc_lo, s4, v1
	s_delay_alu instid0(VALU_DEP_2) | instskip(SKIP_2) | instid1(SALU_CYCLE_1)
	v_add_co_ci_u32_e32 v2, vcc_lo, s5, v2, vcc_lo
	global_store_d16_hi_b16 v[1:2], v6, off
	s_or_b32 exec_lo, exec_lo, s0
	s_mov_b32 s0, exec_lo
	v_cmpx_gt_i32_e64 s1, v0
	s_cbranch_execz .LBB307_24
.LBB307_33:
	v_dual_mov_b32 v2, 0 :: v_dual_add_nc_u32 v1, s2, v0
	v_add_nc_u32_e32 v0, 0x100, v0
	s_delay_alu instid0(VALU_DEP_2) | instskip(NEXT) | instid1(VALU_DEP_1)
	v_lshlrev_b64 v[1:2], 1, v[1:2]
	v_add_co_u32 v1, vcc_lo, s4, v1
	s_delay_alu instid0(VALU_DEP_2) | instskip(SKIP_2) | instid1(SALU_CYCLE_1)
	v_add_co_ci_u32_e32 v2, vcc_lo, s5, v2, vcc_lo
	global_store_b16 v[1:2], v5, off
	s_or_b32 exec_lo, exec_lo, s0
	s_mov_b32 s0, exec_lo
	v_cmpx_gt_i32_e64 s1, v0
	s_cbranch_execz .LBB307_25
.LBB307_34:
	v_dual_mov_b32 v2, 0 :: v_dual_add_nc_u32 v1, s2, v0
	v_add_nc_u32_e32 v0, 0x100, v0
	s_delay_alu instid0(VALU_DEP_2) | instskip(NEXT) | instid1(VALU_DEP_1)
	v_lshlrev_b64 v[1:2], 1, v[1:2]
	v_add_co_u32 v1, vcc_lo, s4, v1
	s_delay_alu instid0(VALU_DEP_2) | instskip(SKIP_2) | instid1(SALU_CYCLE_1)
	v_add_co_ci_u32_e32 v2, vcc_lo, s5, v2, vcc_lo
	global_store_d16_hi_b16 v[1:2], v5, off
	s_or_b32 exec_lo, exec_lo, s0
	s_mov_b32 s0, exec_lo
	v_cmpx_gt_i32_e64 s1, v0
	s_cbranch_execz .LBB307_26
.LBB307_35:
	v_dual_mov_b32 v2, 0 :: v_dual_add_nc_u32 v1, s2, v0
	v_add_nc_u32_e32 v0, 0x100, v0
	s_delay_alu instid0(VALU_DEP_2) | instskip(NEXT) | instid1(VALU_DEP_1)
	v_lshlrev_b64 v[1:2], 1, v[1:2]
	v_add_co_u32 v1, vcc_lo, s4, v1
	s_delay_alu instid0(VALU_DEP_2) | instskip(SKIP_2) | instid1(SALU_CYCLE_1)
	v_add_co_ci_u32_e32 v2, vcc_lo, s5, v2, vcc_lo
	global_store_b16 v[1:2], v4, off
	s_or_b32 exec_lo, exec_lo, s0
	s_mov_b32 s0, exec_lo
	v_cmpx_gt_i32_e64 s1, v0
	s_cbranch_execnz .LBB307_27
	s_branch .LBB307_28
	.section	.rodata,"a",@progbits
	.p2align	6, 0x0
	.amdhsa_kernel _ZN2at6native29vectorized_elementwise_kernelILi8EZZZNS0_17clamp_kernel_cudaERNS_18TensorIteratorBaseERKN3c106ScalarES7_ENKUlvE_clEvENKUlvE3_clEvEUlsE_St5arrayIPcLm2EEEEviT0_T1_
		.amdhsa_group_segment_fixed_size 0
		.amdhsa_private_segment_fixed_size 0
		.amdhsa_kernarg_size 24
		.amdhsa_user_sgpr_count 15
		.amdhsa_user_sgpr_dispatch_ptr 0
		.amdhsa_user_sgpr_queue_ptr 0
		.amdhsa_user_sgpr_kernarg_segment_ptr 1
		.amdhsa_user_sgpr_dispatch_id 0
		.amdhsa_user_sgpr_private_segment_size 0
		.amdhsa_wavefront_size32 1
		.amdhsa_uses_dynamic_stack 0
		.amdhsa_enable_private_segment 0
		.amdhsa_system_sgpr_workgroup_id_x 1
		.amdhsa_system_sgpr_workgroup_id_y 0
		.amdhsa_system_sgpr_workgroup_id_z 0
		.amdhsa_system_sgpr_workgroup_info 0
		.amdhsa_system_vgpr_workitem_id 0
		.amdhsa_next_free_vgpr 15
		.amdhsa_next_free_sgpr 16
		.amdhsa_reserve_vcc 1
		.amdhsa_float_round_mode_32 0
		.amdhsa_float_round_mode_16_64 0
		.amdhsa_float_denorm_mode_32 3
		.amdhsa_float_denorm_mode_16_64 3
		.amdhsa_dx10_clamp 1
		.amdhsa_ieee_mode 1
		.amdhsa_fp16_overflow 0
		.amdhsa_workgroup_processor_mode 1
		.amdhsa_memory_ordered 1
		.amdhsa_forward_progress 0
		.amdhsa_shared_vgpr_count 0
		.amdhsa_exception_fp_ieee_invalid_op 0
		.amdhsa_exception_fp_denorm_src 0
		.amdhsa_exception_fp_ieee_div_zero 0
		.amdhsa_exception_fp_ieee_overflow 0
		.amdhsa_exception_fp_ieee_underflow 0
		.amdhsa_exception_fp_ieee_inexact 0
		.amdhsa_exception_int_div_zero 0
	.end_amdhsa_kernel
	.section	.text._ZN2at6native29vectorized_elementwise_kernelILi8EZZZNS0_17clamp_kernel_cudaERNS_18TensorIteratorBaseERKN3c106ScalarES7_ENKUlvE_clEvENKUlvE3_clEvEUlsE_St5arrayIPcLm2EEEEviT0_T1_,"axG",@progbits,_ZN2at6native29vectorized_elementwise_kernelILi8EZZZNS0_17clamp_kernel_cudaERNS_18TensorIteratorBaseERKN3c106ScalarES7_ENKUlvE_clEvENKUlvE3_clEvEUlsE_St5arrayIPcLm2EEEEviT0_T1_,comdat
.Lfunc_end307:
	.size	_ZN2at6native29vectorized_elementwise_kernelILi8EZZZNS0_17clamp_kernel_cudaERNS_18TensorIteratorBaseERKN3c106ScalarES7_ENKUlvE_clEvENKUlvE3_clEvEUlsE_St5arrayIPcLm2EEEEviT0_T1_, .Lfunc_end307-_ZN2at6native29vectorized_elementwise_kernelILi8EZZZNS0_17clamp_kernel_cudaERNS_18TensorIteratorBaseERKN3c106ScalarES7_ENKUlvE_clEvENKUlvE3_clEvEUlsE_St5arrayIPcLm2EEEEviT0_T1_
                                        ; -- End function
	.section	.AMDGPU.csdata,"",@progbits
; Kernel info:
; codeLenInByte = 1984
; NumSgprs: 18
; NumVgprs: 15
; ScratchSize: 0
; MemoryBound: 0
; FloatMode: 240
; IeeeMode: 1
; LDSByteSize: 0 bytes/workgroup (compile time only)
; SGPRBlocks: 2
; VGPRBlocks: 1
; NumSGPRsForWavesPerEU: 18
; NumVGPRsForWavesPerEU: 15
; Occupancy: 16
; WaveLimiterHint : 0
; COMPUTE_PGM_RSRC2:SCRATCH_EN: 0
; COMPUTE_PGM_RSRC2:USER_SGPR: 15
; COMPUTE_PGM_RSRC2:TRAP_HANDLER: 0
; COMPUTE_PGM_RSRC2:TGID_X_EN: 1
; COMPUTE_PGM_RSRC2:TGID_Y_EN: 0
; COMPUTE_PGM_RSRC2:TGID_Z_EN: 0
; COMPUTE_PGM_RSRC2:TIDIG_COMP_CNT: 0
	.section	.text._ZN2at6native29vectorized_elementwise_kernelILi4EZZZNS0_17clamp_kernel_cudaERNS_18TensorIteratorBaseERKN3c106ScalarES7_ENKUlvE_clEvENKUlvE3_clEvEUlsE_St5arrayIPcLm2EEEEviT0_T1_,"axG",@progbits,_ZN2at6native29vectorized_elementwise_kernelILi4EZZZNS0_17clamp_kernel_cudaERNS_18TensorIteratorBaseERKN3c106ScalarES7_ENKUlvE_clEvENKUlvE3_clEvEUlsE_St5arrayIPcLm2EEEEviT0_T1_,comdat
	.globl	_ZN2at6native29vectorized_elementwise_kernelILi4EZZZNS0_17clamp_kernel_cudaERNS_18TensorIteratorBaseERKN3c106ScalarES7_ENKUlvE_clEvENKUlvE3_clEvEUlsE_St5arrayIPcLm2EEEEviT0_T1_ ; -- Begin function _ZN2at6native29vectorized_elementwise_kernelILi4EZZZNS0_17clamp_kernel_cudaERNS_18TensorIteratorBaseERKN3c106ScalarES7_ENKUlvE_clEvENKUlvE3_clEvEUlsE_St5arrayIPcLm2EEEEviT0_T1_
	.p2align	8
	.type	_ZN2at6native29vectorized_elementwise_kernelILi4EZZZNS0_17clamp_kernel_cudaERNS_18TensorIteratorBaseERKN3c106ScalarES7_ENKUlvE_clEvENKUlvE3_clEvEUlsE_St5arrayIPcLm2EEEEviT0_T1_,@function
_ZN2at6native29vectorized_elementwise_kernelILi4EZZZNS0_17clamp_kernel_cudaERNS_18TensorIteratorBaseERKN3c106ScalarES7_ENKUlvE_clEvENKUlvE3_clEvEUlsE_St5arrayIPcLm2EEEEviT0_T1_: ; @_ZN2at6native29vectorized_elementwise_kernelILi4EZZZNS0_17clamp_kernel_cudaERNS_18TensorIteratorBaseERKN3c106ScalarES7_ENKUlvE_clEvENKUlvE3_clEvEUlsE_St5arrayIPcLm2EEEEviT0_T1_
; %bb.0:
	s_clause 0x1
	s_load_b64 s[8:9], s[0:1], 0x0
	s_load_b128 s[4:7], s[0:1], 0x8
	s_lshl_b32 s2, s15, 11
	s_mov_b32 s0, -1
	s_waitcnt lgkmcnt(0)
	s_sub_i32 s1, s8, s2
	s_delay_alu instid0(SALU_CYCLE_1)
	s_cmpk_gt_i32 s1, 0x7ff
	s_cbranch_scc0 .LBB308_2
; %bb.1:
	s_ashr_i32 s3, s2, 31
	v_lshlrev_b32_e32 v5, 3, v0
	s_lshl_b64 s[10:11], s[2:3], 1
	s_lshr_b32 s0, s9, 16
	s_add_u32 s12, s6, s10
	s_addc_u32 s13, s7, s11
	s_add_u32 s10, s4, s10
	s_clause 0x1
	global_load_b64 v[1:2], v5, s[12:13]
	global_load_b64 v[3:4], v5, s[12:13] offset:2048
	s_addc_u32 s11, s5, s11
	s_waitcnt vmcnt(1)
	v_lshrrev_b32_e32 v6, 16, v1
	v_lshrrev_b32_e32 v7, 16, v2
	s_waitcnt vmcnt(0)
	v_lshrrev_b32_e32 v8, 16, v3
	v_lshrrev_b32_e32 v9, 16, v4
	v_max_i16 v1, v1, s9
	v_max_i16 v2, v2, s9
	;; [unrolled: 1-line block ×8, first 2 shown]
	v_min_i16 v1, v1, s0
	v_min_i16 v2, v2, s0
	v_min_i16 v6, v6, s0
	v_min_i16 v7, v7, s0
	v_min_i16 v3, v3, s0
	v_min_i16 v4, v4, s0
	v_min_i16 v8, v8, s0
	v_min_i16 v9, v9, s0
	v_and_b32_e32 v2, 0xffff, v2
	v_and_b32_e32 v1, 0xffff, v1
	v_lshlrev_b32_e32 v7, 16, v7
	v_lshlrev_b32_e32 v6, 16, v6
	v_and_b32_e32 v4, 0xffff, v4
	v_and_b32_e32 v3, 0xffff, v3
	v_lshlrev_b32_e32 v9, 16, v9
	v_lshlrev_b32_e32 v8, 16, v8
	v_or_b32_e32 v2, v7, v2
	v_or_b32_e32 v1, v6, v1
	s_mov_b32 s0, 0
	v_or_b32_e32 v4, v9, v4
	v_or_b32_e32 v3, v8, v3
	s_clause 0x1
	global_store_b64 v5, v[1:2], s[10:11]
	global_store_b64 v5, v[3:4], s[10:11] offset:2048
.LBB308_2:
	s_and_not1_b32 vcc_lo, exec_lo, s0
	s_cbranch_vccnz .LBB308_28
; %bb.3:
	v_cmp_gt_i32_e32 vcc_lo, s1, v0
	v_dual_mov_b32 v4, 0 :: v_dual_mov_b32 v5, v0
	v_or_b32_e32 v1, s2, v0
	v_or_b32_e32 v3, 0x100, v0
	v_mov_b32_e32 v2, 0
	s_and_saveexec_b32 s3, vcc_lo
	s_cbranch_execz .LBB308_5
; %bb.4:
	v_mov_b32_e32 v2, 0
	s_delay_alu instid0(VALU_DEP_1) | instskip(NEXT) | instid1(VALU_DEP_1)
	v_lshlrev_b64 v[5:6], 1, v[1:2]
	v_add_co_u32 v5, s0, s6, v5
	s_delay_alu instid0(VALU_DEP_1)
	v_add_co_ci_u32_e64 v6, s0, s7, v6, s0
	global_load_u16 v2, v[5:6], off
	v_or_b32_e32 v5, 0x100, v0
.LBB308_5:
	s_or_b32 exec_lo, exec_lo, s3
	s_delay_alu instid0(SALU_CYCLE_1) | instskip(NEXT) | instid1(VALU_DEP_1)
	s_mov_b32 s3, exec_lo
	v_cmpx_gt_i32_e64 s1, v5
	s_cbranch_execz .LBB308_7
; %bb.6:
	v_dual_mov_b32 v7, 0 :: v_dual_add_nc_u32 v6, s2, v5
	v_add_nc_u32_e32 v5, 0x100, v5
	s_delay_alu instid0(VALU_DEP_2) | instskip(NEXT) | instid1(VALU_DEP_1)
	v_lshlrev_b64 v[6:7], 1, v[6:7]
	v_add_co_u32 v6, s0, s6, v6
	s_delay_alu instid0(VALU_DEP_1)
	v_add_co_ci_u32_e64 v7, s0, s7, v7, s0
	global_load_u16 v4, v[6:7], off
.LBB308_7:
	s_or_b32 exec_lo, exec_lo, s3
	v_dual_mov_b32 v6, 0 :: v_dual_mov_b32 v7, 0
	s_mov_b32 s3, exec_lo
	v_cmpx_gt_i32_e64 s1, v5
	s_cbranch_execz .LBB308_9
; %bb.8:
	v_dual_mov_b32 v8, 0 :: v_dual_add_nc_u32 v7, s2, v5
	v_add_nc_u32_e32 v5, 0x100, v5
	s_delay_alu instid0(VALU_DEP_2) | instskip(NEXT) | instid1(VALU_DEP_1)
	v_lshlrev_b64 v[7:8], 1, v[7:8]
	v_add_co_u32 v7, s0, s6, v7
	s_delay_alu instid0(VALU_DEP_1)
	v_add_co_ci_u32_e64 v8, s0, s7, v8, s0
	global_load_u16 v7, v[7:8], off
.LBB308_9:
	s_or_b32 exec_lo, exec_lo, s3
	s_delay_alu instid0(SALU_CYCLE_1)
	s_mov_b32 s3, exec_lo
	v_cmpx_gt_i32_e64 s1, v5
	s_cbranch_execz .LBB308_11
; %bb.10:
	v_dual_mov_b32 v9, 0 :: v_dual_add_nc_u32 v8, s2, v5
	v_add_nc_u32_e32 v5, 0x100, v5
	s_delay_alu instid0(VALU_DEP_2) | instskip(NEXT) | instid1(VALU_DEP_1)
	v_lshlrev_b64 v[8:9], 1, v[8:9]
	v_add_co_u32 v8, s0, s6, v8
	s_delay_alu instid0(VALU_DEP_1)
	v_add_co_ci_u32_e64 v9, s0, s7, v9, s0
	global_load_u16 v6, v[8:9], off
.LBB308_11:
	s_or_b32 exec_lo, exec_lo, s3
	v_dual_mov_b32 v8, 0 :: v_dual_mov_b32 v9, 0
	s_mov_b32 s3, exec_lo
	v_cmpx_gt_i32_e64 s1, v5
	s_cbranch_execz .LBB308_13
; %bb.12:
	v_dual_mov_b32 v10, 0 :: v_dual_add_nc_u32 v9, s2, v5
	v_add_nc_u32_e32 v5, 0x100, v5
	s_delay_alu instid0(VALU_DEP_2) | instskip(NEXT) | instid1(VALU_DEP_1)
	v_lshlrev_b64 v[9:10], 1, v[9:10]
	v_add_co_u32 v9, s0, s6, v9
	s_delay_alu instid0(VALU_DEP_1)
	v_add_co_ci_u32_e64 v10, s0, s7, v10, s0
	global_load_u16 v9, v[9:10], off
.LBB308_13:
	s_or_b32 exec_lo, exec_lo, s3
	s_delay_alu instid0(SALU_CYCLE_1)
	;; [unrolled: 30-line block ×3, first 2 shown]
	s_mov_b32 s3, exec_lo
	v_cmpx_gt_i32_e64 s1, v5
	s_cbranch_execz .LBB308_19
; %bb.18:
	v_dual_mov_b32 v13, 0 :: v_dual_add_nc_u32 v12, s2, v5
	s_delay_alu instid0(VALU_DEP_1) | instskip(NEXT) | instid1(VALU_DEP_1)
	v_lshlrev_b64 v[12:13], 1, v[12:13]
	v_add_co_u32 v12, s0, s6, v12
	s_delay_alu instid0(VALU_DEP_1)
	v_add_co_ci_u32_e64 v13, s0, s7, v13, s0
	global_load_u16 v10, v[12:13], off
.LBB308_19:
	s_or_b32 exec_lo, exec_lo, s3
	s_waitcnt vmcnt(0)
	v_max_i16 v2, v2, s9
	v_max_i16 v4, v4, s9
	s_lshr_b32 s3, s9, 16
	v_max_i16 v5, v7, s9
	v_max_i16 v6, v6, s9
	v_min_i16 v2, v2, s3
	v_min_i16 v4, v4, s3
	v_cmp_gt_i32_e64 s0, s1, v3
	v_or_b32_e32 v12, 0x300, v0
	v_min_i16 v5, v5, s3
	v_max_i16 v9, v9, s9
	v_perm_b32 v4, v4, v2, 0x5040100
	v_max_i16 v8, v8, s9
	v_max_i16 v11, v11, s9
	v_and_b32_e32 v13, 0xffff, v5
	v_min_i16 v9, v9, s3
	v_cndmask_b32_e64 v7, v2, v4, s0
	v_min_i16 v2, v6, s3
	v_max_i16 v4, v10, s9
	v_min_i16 v6, v8, s3
	v_cmp_gt_i32_e64 s0, s1, v12
	v_min_i16 v8, v11, s3
	v_perm_b32 v2, v2, v5, 0x5040100
	v_or_b32_e32 v5, 0x500, v0
	v_min_i16 v4, v4, s3
	v_perm_b32 v10, v6, v9, 0x5040100
	v_or_b32_e32 v14, 0x700, v0
	v_cndmask_b32_e64 v6, v13, v2, s0
	v_cmp_gt_i32_e64 s0, s1, v5
	v_and_b32_e32 v11, 0xffff, v8
	v_perm_b32 v4, v4, v8, 0x5040100
	s_delay_alu instid0(VALU_DEP_3) | instskip(SKIP_1) | instid1(VALU_DEP_1)
	v_cndmask_b32_e64 v5, v9, v10, s0
	v_cmp_gt_i32_e64 s0, s1, v14
	v_cndmask_b32_e64 v4, v11, v4, s0
	s_and_saveexec_b32 s0, vcc_lo
	s_cbranch_execnz .LBB308_29
; %bb.20:
	s_or_b32 exec_lo, exec_lo, s0
	s_delay_alu instid0(SALU_CYCLE_1)
	s_mov_b32 s0, exec_lo
	v_cmpx_gt_i32_e64 s1, v0
	s_cbranch_execnz .LBB308_30
.LBB308_21:
	s_or_b32 exec_lo, exec_lo, s0
	s_delay_alu instid0(SALU_CYCLE_1)
	s_mov_b32 s0, exec_lo
	v_cmpx_gt_i32_e64 s1, v0
	s_cbranch_execnz .LBB308_31
.LBB308_22:
	s_or_b32 exec_lo, exec_lo, s0
	s_delay_alu instid0(SALU_CYCLE_1)
	s_mov_b32 s0, exec_lo
	v_cmpx_gt_i32_e64 s1, v0
	s_cbranch_execnz .LBB308_32
.LBB308_23:
	s_or_b32 exec_lo, exec_lo, s0
	s_delay_alu instid0(SALU_CYCLE_1)
	s_mov_b32 s0, exec_lo
	v_cmpx_gt_i32_e64 s1, v0
	s_cbranch_execnz .LBB308_33
.LBB308_24:
	s_or_b32 exec_lo, exec_lo, s0
	s_delay_alu instid0(SALU_CYCLE_1)
	s_mov_b32 s0, exec_lo
	v_cmpx_gt_i32_e64 s1, v0
	s_cbranch_execnz .LBB308_34
.LBB308_25:
	s_or_b32 exec_lo, exec_lo, s0
	s_delay_alu instid0(SALU_CYCLE_1)
	s_mov_b32 s0, exec_lo
	v_cmpx_gt_i32_e64 s1, v0
	s_cbranch_execnz .LBB308_35
.LBB308_26:
	s_or_b32 exec_lo, exec_lo, s0
	s_delay_alu instid0(SALU_CYCLE_1)
	s_mov_b32 s0, exec_lo
	v_cmpx_gt_i32_e64 s1, v0
	s_cbranch_execz .LBB308_28
.LBB308_27:
	v_dual_mov_b32 v1, 0 :: v_dual_add_nc_u32 v0, s2, v0
	s_delay_alu instid0(VALU_DEP_1) | instskip(NEXT) | instid1(VALU_DEP_1)
	v_lshlrev_b64 v[0:1], 1, v[0:1]
	v_add_co_u32 v0, vcc_lo, s4, v0
	s_delay_alu instid0(VALU_DEP_2)
	v_add_co_ci_u32_e32 v1, vcc_lo, s5, v1, vcc_lo
	global_store_d16_hi_b16 v[0:1], v4, off
.LBB308_28:
	s_nop 0
	s_sendmsg sendmsg(MSG_DEALLOC_VGPRS)
	s_endpgm
.LBB308_29:
	v_mov_b32_e32 v2, 0
	s_delay_alu instid0(VALU_DEP_1) | instskip(NEXT) | instid1(VALU_DEP_1)
	v_lshlrev_b64 v[0:1], 1, v[1:2]
	v_add_co_u32 v8, vcc_lo, s4, v0
	s_delay_alu instid0(VALU_DEP_2) | instskip(SKIP_3) | instid1(SALU_CYCLE_1)
	v_add_co_ci_u32_e32 v9, vcc_lo, s5, v1, vcc_lo
	v_mov_b32_e32 v0, v3
	global_store_b16 v[8:9], v7, off
	s_or_b32 exec_lo, exec_lo, s0
	s_mov_b32 s0, exec_lo
	v_cmpx_gt_i32_e64 s1, v0
	s_cbranch_execz .LBB308_21
.LBB308_30:
	v_dual_mov_b32 v2, 0 :: v_dual_add_nc_u32 v1, s2, v0
	v_add_nc_u32_e32 v0, 0x100, v0
	s_delay_alu instid0(VALU_DEP_2) | instskip(NEXT) | instid1(VALU_DEP_1)
	v_lshlrev_b64 v[1:2], 1, v[1:2]
	v_add_co_u32 v1, vcc_lo, s4, v1
	s_delay_alu instid0(VALU_DEP_2) | instskip(SKIP_2) | instid1(SALU_CYCLE_1)
	v_add_co_ci_u32_e32 v2, vcc_lo, s5, v2, vcc_lo
	global_store_d16_hi_b16 v[1:2], v7, off
	s_or_b32 exec_lo, exec_lo, s0
	s_mov_b32 s0, exec_lo
	v_cmpx_gt_i32_e64 s1, v0
	s_cbranch_execz .LBB308_22
.LBB308_31:
	v_dual_mov_b32 v2, 0 :: v_dual_add_nc_u32 v1, s2, v0
	v_add_nc_u32_e32 v0, 0x100, v0
	s_delay_alu instid0(VALU_DEP_2) | instskip(NEXT) | instid1(VALU_DEP_1)
	v_lshlrev_b64 v[1:2], 1, v[1:2]
	v_add_co_u32 v1, vcc_lo, s4, v1
	s_delay_alu instid0(VALU_DEP_2) | instskip(SKIP_2) | instid1(SALU_CYCLE_1)
	v_add_co_ci_u32_e32 v2, vcc_lo, s5, v2, vcc_lo
	global_store_b16 v[1:2], v6, off
	s_or_b32 exec_lo, exec_lo, s0
	s_mov_b32 s0, exec_lo
	v_cmpx_gt_i32_e64 s1, v0
	s_cbranch_execz .LBB308_23
.LBB308_32:
	v_dual_mov_b32 v2, 0 :: v_dual_add_nc_u32 v1, s2, v0
	v_add_nc_u32_e32 v0, 0x100, v0
	s_delay_alu instid0(VALU_DEP_2) | instskip(NEXT) | instid1(VALU_DEP_1)
	v_lshlrev_b64 v[1:2], 1, v[1:2]
	v_add_co_u32 v1, vcc_lo, s4, v1
	s_delay_alu instid0(VALU_DEP_2) | instskip(SKIP_2) | instid1(SALU_CYCLE_1)
	v_add_co_ci_u32_e32 v2, vcc_lo, s5, v2, vcc_lo
	global_store_d16_hi_b16 v[1:2], v6, off
	s_or_b32 exec_lo, exec_lo, s0
	s_mov_b32 s0, exec_lo
	v_cmpx_gt_i32_e64 s1, v0
	s_cbranch_execz .LBB308_24
.LBB308_33:
	v_dual_mov_b32 v2, 0 :: v_dual_add_nc_u32 v1, s2, v0
	v_add_nc_u32_e32 v0, 0x100, v0
	s_delay_alu instid0(VALU_DEP_2) | instskip(NEXT) | instid1(VALU_DEP_1)
	v_lshlrev_b64 v[1:2], 1, v[1:2]
	v_add_co_u32 v1, vcc_lo, s4, v1
	s_delay_alu instid0(VALU_DEP_2) | instskip(SKIP_2) | instid1(SALU_CYCLE_1)
	v_add_co_ci_u32_e32 v2, vcc_lo, s5, v2, vcc_lo
	global_store_b16 v[1:2], v5, off
	s_or_b32 exec_lo, exec_lo, s0
	s_mov_b32 s0, exec_lo
	v_cmpx_gt_i32_e64 s1, v0
	s_cbranch_execz .LBB308_25
.LBB308_34:
	v_dual_mov_b32 v2, 0 :: v_dual_add_nc_u32 v1, s2, v0
	v_add_nc_u32_e32 v0, 0x100, v0
	s_delay_alu instid0(VALU_DEP_2) | instskip(NEXT) | instid1(VALU_DEP_1)
	v_lshlrev_b64 v[1:2], 1, v[1:2]
	v_add_co_u32 v1, vcc_lo, s4, v1
	s_delay_alu instid0(VALU_DEP_2) | instskip(SKIP_2) | instid1(SALU_CYCLE_1)
	v_add_co_ci_u32_e32 v2, vcc_lo, s5, v2, vcc_lo
	global_store_d16_hi_b16 v[1:2], v5, off
	s_or_b32 exec_lo, exec_lo, s0
	s_mov_b32 s0, exec_lo
	v_cmpx_gt_i32_e64 s1, v0
	s_cbranch_execz .LBB308_26
.LBB308_35:
	v_dual_mov_b32 v2, 0 :: v_dual_add_nc_u32 v1, s2, v0
	v_add_nc_u32_e32 v0, 0x100, v0
	s_delay_alu instid0(VALU_DEP_2) | instskip(NEXT) | instid1(VALU_DEP_1)
	v_lshlrev_b64 v[1:2], 1, v[1:2]
	v_add_co_u32 v1, vcc_lo, s4, v1
	s_delay_alu instid0(VALU_DEP_2) | instskip(SKIP_2) | instid1(SALU_CYCLE_1)
	v_add_co_ci_u32_e32 v2, vcc_lo, s5, v2, vcc_lo
	global_store_b16 v[1:2], v4, off
	s_or_b32 exec_lo, exec_lo, s0
	s_mov_b32 s0, exec_lo
	v_cmpx_gt_i32_e64 s1, v0
	s_cbranch_execnz .LBB308_27
	s_branch .LBB308_28
	.section	.rodata,"a",@progbits
	.p2align	6, 0x0
	.amdhsa_kernel _ZN2at6native29vectorized_elementwise_kernelILi4EZZZNS0_17clamp_kernel_cudaERNS_18TensorIteratorBaseERKN3c106ScalarES7_ENKUlvE_clEvENKUlvE3_clEvEUlsE_St5arrayIPcLm2EEEEviT0_T1_
		.amdhsa_group_segment_fixed_size 0
		.amdhsa_private_segment_fixed_size 0
		.amdhsa_kernarg_size 24
		.amdhsa_user_sgpr_count 15
		.amdhsa_user_sgpr_dispatch_ptr 0
		.amdhsa_user_sgpr_queue_ptr 0
		.amdhsa_user_sgpr_kernarg_segment_ptr 1
		.amdhsa_user_sgpr_dispatch_id 0
		.amdhsa_user_sgpr_private_segment_size 0
		.amdhsa_wavefront_size32 1
		.amdhsa_uses_dynamic_stack 0
		.amdhsa_enable_private_segment 0
		.amdhsa_system_sgpr_workgroup_id_x 1
		.amdhsa_system_sgpr_workgroup_id_y 0
		.amdhsa_system_sgpr_workgroup_id_z 0
		.amdhsa_system_sgpr_workgroup_info 0
		.amdhsa_system_vgpr_workitem_id 0
		.amdhsa_next_free_vgpr 15
		.amdhsa_next_free_sgpr 16
		.amdhsa_reserve_vcc 1
		.amdhsa_float_round_mode_32 0
		.amdhsa_float_round_mode_16_64 0
		.amdhsa_float_denorm_mode_32 3
		.amdhsa_float_denorm_mode_16_64 3
		.amdhsa_dx10_clamp 1
		.amdhsa_ieee_mode 1
		.amdhsa_fp16_overflow 0
		.amdhsa_workgroup_processor_mode 1
		.amdhsa_memory_ordered 1
		.amdhsa_forward_progress 0
		.amdhsa_shared_vgpr_count 0
		.amdhsa_exception_fp_ieee_invalid_op 0
		.amdhsa_exception_fp_denorm_src 0
		.amdhsa_exception_fp_ieee_div_zero 0
		.amdhsa_exception_fp_ieee_overflow 0
		.amdhsa_exception_fp_ieee_underflow 0
		.amdhsa_exception_fp_ieee_inexact 0
		.amdhsa_exception_int_div_zero 0
	.end_amdhsa_kernel
	.section	.text._ZN2at6native29vectorized_elementwise_kernelILi4EZZZNS0_17clamp_kernel_cudaERNS_18TensorIteratorBaseERKN3c106ScalarES7_ENKUlvE_clEvENKUlvE3_clEvEUlsE_St5arrayIPcLm2EEEEviT0_T1_,"axG",@progbits,_ZN2at6native29vectorized_elementwise_kernelILi4EZZZNS0_17clamp_kernel_cudaERNS_18TensorIteratorBaseERKN3c106ScalarES7_ENKUlvE_clEvENKUlvE3_clEvEUlsE_St5arrayIPcLm2EEEEviT0_T1_,comdat
.Lfunc_end308:
	.size	_ZN2at6native29vectorized_elementwise_kernelILi4EZZZNS0_17clamp_kernel_cudaERNS_18TensorIteratorBaseERKN3c106ScalarES7_ENKUlvE_clEvENKUlvE3_clEvEUlsE_St5arrayIPcLm2EEEEviT0_T1_, .Lfunc_end308-_ZN2at6native29vectorized_elementwise_kernelILi4EZZZNS0_17clamp_kernel_cudaERNS_18TensorIteratorBaseERKN3c106ScalarES7_ENKUlvE_clEvENKUlvE3_clEvEUlsE_St5arrayIPcLm2EEEEviT0_T1_
                                        ; -- End function
	.section	.AMDGPU.csdata,"",@progbits
; Kernel info:
; codeLenInByte = 2028
; NumSgprs: 18
; NumVgprs: 15
; ScratchSize: 0
; MemoryBound: 0
; FloatMode: 240
; IeeeMode: 1
; LDSByteSize: 0 bytes/workgroup (compile time only)
; SGPRBlocks: 2
; VGPRBlocks: 1
; NumSGPRsForWavesPerEU: 18
; NumVGPRsForWavesPerEU: 15
; Occupancy: 16
; WaveLimiterHint : 1
; COMPUTE_PGM_RSRC2:SCRATCH_EN: 0
; COMPUTE_PGM_RSRC2:USER_SGPR: 15
; COMPUTE_PGM_RSRC2:TRAP_HANDLER: 0
; COMPUTE_PGM_RSRC2:TGID_X_EN: 1
; COMPUTE_PGM_RSRC2:TGID_Y_EN: 0
; COMPUTE_PGM_RSRC2:TGID_Z_EN: 0
; COMPUTE_PGM_RSRC2:TIDIG_COMP_CNT: 0
	.section	.text._ZN2at6native29vectorized_elementwise_kernelILi2EZZZNS0_17clamp_kernel_cudaERNS_18TensorIteratorBaseERKN3c106ScalarES7_ENKUlvE_clEvENKUlvE3_clEvEUlsE_St5arrayIPcLm2EEEEviT0_T1_,"axG",@progbits,_ZN2at6native29vectorized_elementwise_kernelILi2EZZZNS0_17clamp_kernel_cudaERNS_18TensorIteratorBaseERKN3c106ScalarES7_ENKUlvE_clEvENKUlvE3_clEvEUlsE_St5arrayIPcLm2EEEEviT0_T1_,comdat
	.globl	_ZN2at6native29vectorized_elementwise_kernelILi2EZZZNS0_17clamp_kernel_cudaERNS_18TensorIteratorBaseERKN3c106ScalarES7_ENKUlvE_clEvENKUlvE3_clEvEUlsE_St5arrayIPcLm2EEEEviT0_T1_ ; -- Begin function _ZN2at6native29vectorized_elementwise_kernelILi2EZZZNS0_17clamp_kernel_cudaERNS_18TensorIteratorBaseERKN3c106ScalarES7_ENKUlvE_clEvENKUlvE3_clEvEUlsE_St5arrayIPcLm2EEEEviT0_T1_
	.p2align	8
	.type	_ZN2at6native29vectorized_elementwise_kernelILi2EZZZNS0_17clamp_kernel_cudaERNS_18TensorIteratorBaseERKN3c106ScalarES7_ENKUlvE_clEvENKUlvE3_clEvEUlsE_St5arrayIPcLm2EEEEviT0_T1_,@function
_ZN2at6native29vectorized_elementwise_kernelILi2EZZZNS0_17clamp_kernel_cudaERNS_18TensorIteratorBaseERKN3c106ScalarES7_ENKUlvE_clEvENKUlvE3_clEvEUlsE_St5arrayIPcLm2EEEEviT0_T1_: ; @_ZN2at6native29vectorized_elementwise_kernelILi2EZZZNS0_17clamp_kernel_cudaERNS_18TensorIteratorBaseERKN3c106ScalarES7_ENKUlvE_clEvENKUlvE3_clEvEUlsE_St5arrayIPcLm2EEEEviT0_T1_
; %bb.0:
	s_clause 0x1
	s_load_b64 s[8:9], s[0:1], 0x0
	s_load_b128 s[4:7], s[0:1], 0x8
	s_lshl_b32 s2, s15, 11
	s_mov_b32 s0, -1
	s_waitcnt lgkmcnt(0)
	s_sub_i32 s1, s8, s2
	s_delay_alu instid0(SALU_CYCLE_1)
	s_cmpk_gt_i32 s1, 0x7ff
	s_cbranch_scc0 .LBB309_2
; %bb.1:
	s_ashr_i32 s3, s2, 31
	v_lshlrev_b32_e32 v1, 2, v0
	s_lshl_b64 s[10:11], s[2:3], 1
	s_lshr_b32 s0, s9, 16
	s_add_u32 s12, s6, s10
	s_addc_u32 s13, s7, s11
	s_add_u32 s10, s4, s10
	s_clause 0x3
	global_load_b32 v2, v1, s[12:13]
	global_load_b32 v3, v1, s[12:13] offset:1024
	global_load_b32 v4, v1, s[12:13] offset:2048
	;; [unrolled: 1-line block ×3, first 2 shown]
	s_addc_u32 s11, s5, s11
	s_waitcnt vmcnt(3)
	v_lshrrev_b32_e32 v6, 16, v2
	s_waitcnt vmcnt(2)
	v_lshrrev_b32_e32 v7, 16, v3
	;; [unrolled: 2-line block ×4, first 2 shown]
	v_max_i16 v2, v2, s9
	v_max_i16 v6, v6, s9
	;; [unrolled: 1-line block ×8, first 2 shown]
	v_min_i16 v2, v2, s0
	v_min_i16 v6, v6, s0
	;; [unrolled: 1-line block ×8, first 2 shown]
	v_and_b32_e32 v2, 0xffff, v2
	v_lshlrev_b32_e32 v6, 16, v6
	v_and_b32_e32 v3, 0xffff, v3
	v_lshlrev_b32_e32 v7, 16, v7
	;; [unrolled: 2-line block ×4, first 2 shown]
	v_or_b32_e32 v2, v6, v2
	v_or_b32_e32 v3, v7, v3
	v_or_b32_e32 v4, v8, v4
	s_mov_b32 s0, 0
	v_or_b32_e32 v5, v9, v5
	s_clause 0x3
	global_store_b32 v1, v2, s[10:11]
	global_store_b32 v1, v3, s[10:11] offset:1024
	global_store_b32 v1, v4, s[10:11] offset:2048
	;; [unrolled: 1-line block ×3, first 2 shown]
.LBB309_2:
	s_and_not1_b32 vcc_lo, exec_lo, s0
	s_cbranch_vccnz .LBB309_28
; %bb.3:
	v_cmp_gt_i32_e32 vcc_lo, s1, v0
	v_dual_mov_b32 v4, 0 :: v_dual_mov_b32 v5, v0
	v_or_b32_e32 v1, s2, v0
	v_or_b32_e32 v3, 0x100, v0
	v_mov_b32_e32 v2, 0
	s_and_saveexec_b32 s3, vcc_lo
	s_cbranch_execz .LBB309_5
; %bb.4:
	v_mov_b32_e32 v2, 0
	s_delay_alu instid0(VALU_DEP_1) | instskip(NEXT) | instid1(VALU_DEP_1)
	v_lshlrev_b64 v[5:6], 1, v[1:2]
	v_add_co_u32 v5, s0, s6, v5
	s_delay_alu instid0(VALU_DEP_1)
	v_add_co_ci_u32_e64 v6, s0, s7, v6, s0
	global_load_u16 v2, v[5:6], off
	v_or_b32_e32 v5, 0x100, v0
.LBB309_5:
	s_or_b32 exec_lo, exec_lo, s3
	s_delay_alu instid0(SALU_CYCLE_1) | instskip(NEXT) | instid1(VALU_DEP_1)
	s_mov_b32 s3, exec_lo
	v_cmpx_gt_i32_e64 s1, v5
	s_cbranch_execz .LBB309_7
; %bb.6:
	v_dual_mov_b32 v7, 0 :: v_dual_add_nc_u32 v6, s2, v5
	v_add_nc_u32_e32 v5, 0x100, v5
	s_delay_alu instid0(VALU_DEP_2) | instskip(NEXT) | instid1(VALU_DEP_1)
	v_lshlrev_b64 v[6:7], 1, v[6:7]
	v_add_co_u32 v6, s0, s6, v6
	s_delay_alu instid0(VALU_DEP_1)
	v_add_co_ci_u32_e64 v7, s0, s7, v7, s0
	global_load_u16 v4, v[6:7], off
.LBB309_7:
	s_or_b32 exec_lo, exec_lo, s3
	v_dual_mov_b32 v6, 0 :: v_dual_mov_b32 v7, 0
	s_mov_b32 s3, exec_lo
	v_cmpx_gt_i32_e64 s1, v5
	s_cbranch_execz .LBB309_9
; %bb.8:
	v_dual_mov_b32 v8, 0 :: v_dual_add_nc_u32 v7, s2, v5
	v_add_nc_u32_e32 v5, 0x100, v5
	s_delay_alu instid0(VALU_DEP_2) | instskip(NEXT) | instid1(VALU_DEP_1)
	v_lshlrev_b64 v[7:8], 1, v[7:8]
	v_add_co_u32 v7, s0, s6, v7
	s_delay_alu instid0(VALU_DEP_1)
	v_add_co_ci_u32_e64 v8, s0, s7, v8, s0
	global_load_u16 v7, v[7:8], off
.LBB309_9:
	s_or_b32 exec_lo, exec_lo, s3
	s_delay_alu instid0(SALU_CYCLE_1)
	s_mov_b32 s3, exec_lo
	v_cmpx_gt_i32_e64 s1, v5
	s_cbranch_execz .LBB309_11
; %bb.10:
	v_dual_mov_b32 v9, 0 :: v_dual_add_nc_u32 v8, s2, v5
	v_add_nc_u32_e32 v5, 0x100, v5
	s_delay_alu instid0(VALU_DEP_2) | instskip(NEXT) | instid1(VALU_DEP_1)
	v_lshlrev_b64 v[8:9], 1, v[8:9]
	v_add_co_u32 v8, s0, s6, v8
	s_delay_alu instid0(VALU_DEP_1)
	v_add_co_ci_u32_e64 v9, s0, s7, v9, s0
	global_load_u16 v6, v[8:9], off
.LBB309_11:
	s_or_b32 exec_lo, exec_lo, s3
	v_dual_mov_b32 v8, 0 :: v_dual_mov_b32 v9, 0
	s_mov_b32 s3, exec_lo
	v_cmpx_gt_i32_e64 s1, v5
	s_cbranch_execz .LBB309_13
; %bb.12:
	v_dual_mov_b32 v10, 0 :: v_dual_add_nc_u32 v9, s2, v5
	v_add_nc_u32_e32 v5, 0x100, v5
	s_delay_alu instid0(VALU_DEP_2) | instskip(NEXT) | instid1(VALU_DEP_1)
	v_lshlrev_b64 v[9:10], 1, v[9:10]
	v_add_co_u32 v9, s0, s6, v9
	s_delay_alu instid0(VALU_DEP_1)
	v_add_co_ci_u32_e64 v10, s0, s7, v10, s0
	global_load_u16 v9, v[9:10], off
.LBB309_13:
	s_or_b32 exec_lo, exec_lo, s3
	s_delay_alu instid0(SALU_CYCLE_1)
	s_mov_b32 s3, exec_lo
	v_cmpx_gt_i32_e64 s1, v5
	s_cbranch_execz .LBB309_15
; %bb.14:
	v_dual_mov_b32 v11, 0 :: v_dual_add_nc_u32 v10, s2, v5
	v_add_nc_u32_e32 v5, 0x100, v5
	s_delay_alu instid0(VALU_DEP_2) | instskip(NEXT) | instid1(VALU_DEP_1)
	v_lshlrev_b64 v[10:11], 1, v[10:11]
	v_add_co_u32 v10, s0, s6, v10
	s_delay_alu instid0(VALU_DEP_1)
	v_add_co_ci_u32_e64 v11, s0, s7, v11, s0
	global_load_u16 v8, v[10:11], off
.LBB309_15:
	s_or_b32 exec_lo, exec_lo, s3
	v_dual_mov_b32 v10, 0 :: v_dual_mov_b32 v11, 0
	s_mov_b32 s3, exec_lo
	v_cmpx_gt_i32_e64 s1, v5
	s_cbranch_execz .LBB309_17
; %bb.16:
	v_dual_mov_b32 v12, 0 :: v_dual_add_nc_u32 v11, s2, v5
	v_add_nc_u32_e32 v5, 0x100, v5
	s_delay_alu instid0(VALU_DEP_2) | instskip(NEXT) | instid1(VALU_DEP_1)
	v_lshlrev_b64 v[11:12], 1, v[11:12]
	v_add_co_u32 v11, s0, s6, v11
	s_delay_alu instid0(VALU_DEP_1)
	v_add_co_ci_u32_e64 v12, s0, s7, v12, s0
	global_load_u16 v11, v[11:12], off
.LBB309_17:
	s_or_b32 exec_lo, exec_lo, s3
	s_delay_alu instid0(SALU_CYCLE_1)
	s_mov_b32 s3, exec_lo
	v_cmpx_gt_i32_e64 s1, v5
	s_cbranch_execz .LBB309_19
; %bb.18:
	v_dual_mov_b32 v13, 0 :: v_dual_add_nc_u32 v12, s2, v5
	s_delay_alu instid0(VALU_DEP_1) | instskip(NEXT) | instid1(VALU_DEP_1)
	v_lshlrev_b64 v[12:13], 1, v[12:13]
	v_add_co_u32 v12, s0, s6, v12
	s_delay_alu instid0(VALU_DEP_1)
	v_add_co_ci_u32_e64 v13, s0, s7, v13, s0
	global_load_u16 v10, v[12:13], off
.LBB309_19:
	s_or_b32 exec_lo, exec_lo, s3
	s_waitcnt vmcnt(0)
	v_max_i16 v2, v2, s9
	v_max_i16 v4, v4, s9
	s_lshr_b32 s3, s9, 16
	v_max_i16 v5, v7, s9
	v_max_i16 v6, v6, s9
	v_min_i16 v2, v2, s3
	v_min_i16 v4, v4, s3
	v_cmp_gt_i32_e64 s0, s1, v3
	v_or_b32_e32 v12, 0x300, v0
	v_min_i16 v5, v5, s3
	v_max_i16 v9, v9, s9
	v_perm_b32 v4, v4, v2, 0x5040100
	v_max_i16 v8, v8, s9
	v_max_i16 v11, v11, s9
	v_and_b32_e32 v13, 0xffff, v5
	v_min_i16 v9, v9, s3
	v_cndmask_b32_e64 v7, v2, v4, s0
	v_min_i16 v2, v6, s3
	v_max_i16 v4, v10, s9
	v_min_i16 v6, v8, s3
	v_cmp_gt_i32_e64 s0, s1, v12
	v_min_i16 v8, v11, s3
	v_perm_b32 v2, v2, v5, 0x5040100
	v_or_b32_e32 v5, 0x500, v0
	v_min_i16 v4, v4, s3
	v_perm_b32 v10, v6, v9, 0x5040100
	v_or_b32_e32 v14, 0x700, v0
	v_cndmask_b32_e64 v6, v13, v2, s0
	v_cmp_gt_i32_e64 s0, s1, v5
	v_and_b32_e32 v11, 0xffff, v8
	v_perm_b32 v4, v4, v8, 0x5040100
	s_delay_alu instid0(VALU_DEP_3) | instskip(SKIP_1) | instid1(VALU_DEP_1)
	v_cndmask_b32_e64 v5, v9, v10, s0
	v_cmp_gt_i32_e64 s0, s1, v14
	v_cndmask_b32_e64 v4, v11, v4, s0
	s_and_saveexec_b32 s0, vcc_lo
	s_cbranch_execnz .LBB309_29
; %bb.20:
	s_or_b32 exec_lo, exec_lo, s0
	s_delay_alu instid0(SALU_CYCLE_1)
	s_mov_b32 s0, exec_lo
	v_cmpx_gt_i32_e64 s1, v0
	s_cbranch_execnz .LBB309_30
.LBB309_21:
	s_or_b32 exec_lo, exec_lo, s0
	s_delay_alu instid0(SALU_CYCLE_1)
	s_mov_b32 s0, exec_lo
	v_cmpx_gt_i32_e64 s1, v0
	s_cbranch_execnz .LBB309_31
.LBB309_22:
	s_or_b32 exec_lo, exec_lo, s0
	s_delay_alu instid0(SALU_CYCLE_1)
	s_mov_b32 s0, exec_lo
	v_cmpx_gt_i32_e64 s1, v0
	s_cbranch_execnz .LBB309_32
.LBB309_23:
	s_or_b32 exec_lo, exec_lo, s0
	s_delay_alu instid0(SALU_CYCLE_1)
	s_mov_b32 s0, exec_lo
	v_cmpx_gt_i32_e64 s1, v0
	s_cbranch_execnz .LBB309_33
.LBB309_24:
	s_or_b32 exec_lo, exec_lo, s0
	s_delay_alu instid0(SALU_CYCLE_1)
	s_mov_b32 s0, exec_lo
	v_cmpx_gt_i32_e64 s1, v0
	s_cbranch_execnz .LBB309_34
.LBB309_25:
	s_or_b32 exec_lo, exec_lo, s0
	s_delay_alu instid0(SALU_CYCLE_1)
	s_mov_b32 s0, exec_lo
	v_cmpx_gt_i32_e64 s1, v0
	s_cbranch_execnz .LBB309_35
.LBB309_26:
	s_or_b32 exec_lo, exec_lo, s0
	s_delay_alu instid0(SALU_CYCLE_1)
	s_mov_b32 s0, exec_lo
	v_cmpx_gt_i32_e64 s1, v0
	s_cbranch_execz .LBB309_28
.LBB309_27:
	v_dual_mov_b32 v1, 0 :: v_dual_add_nc_u32 v0, s2, v0
	s_delay_alu instid0(VALU_DEP_1) | instskip(NEXT) | instid1(VALU_DEP_1)
	v_lshlrev_b64 v[0:1], 1, v[0:1]
	v_add_co_u32 v0, vcc_lo, s4, v0
	s_delay_alu instid0(VALU_DEP_2)
	v_add_co_ci_u32_e32 v1, vcc_lo, s5, v1, vcc_lo
	global_store_d16_hi_b16 v[0:1], v4, off
.LBB309_28:
	s_nop 0
	s_sendmsg sendmsg(MSG_DEALLOC_VGPRS)
	s_endpgm
.LBB309_29:
	v_mov_b32_e32 v2, 0
	s_delay_alu instid0(VALU_DEP_1) | instskip(NEXT) | instid1(VALU_DEP_1)
	v_lshlrev_b64 v[0:1], 1, v[1:2]
	v_add_co_u32 v8, vcc_lo, s4, v0
	s_delay_alu instid0(VALU_DEP_2) | instskip(SKIP_3) | instid1(SALU_CYCLE_1)
	v_add_co_ci_u32_e32 v9, vcc_lo, s5, v1, vcc_lo
	v_mov_b32_e32 v0, v3
	global_store_b16 v[8:9], v7, off
	s_or_b32 exec_lo, exec_lo, s0
	s_mov_b32 s0, exec_lo
	v_cmpx_gt_i32_e64 s1, v0
	s_cbranch_execz .LBB309_21
.LBB309_30:
	v_dual_mov_b32 v2, 0 :: v_dual_add_nc_u32 v1, s2, v0
	v_add_nc_u32_e32 v0, 0x100, v0
	s_delay_alu instid0(VALU_DEP_2) | instskip(NEXT) | instid1(VALU_DEP_1)
	v_lshlrev_b64 v[1:2], 1, v[1:2]
	v_add_co_u32 v1, vcc_lo, s4, v1
	s_delay_alu instid0(VALU_DEP_2) | instskip(SKIP_2) | instid1(SALU_CYCLE_1)
	v_add_co_ci_u32_e32 v2, vcc_lo, s5, v2, vcc_lo
	global_store_d16_hi_b16 v[1:2], v7, off
	s_or_b32 exec_lo, exec_lo, s0
	s_mov_b32 s0, exec_lo
	v_cmpx_gt_i32_e64 s1, v0
	s_cbranch_execz .LBB309_22
.LBB309_31:
	v_dual_mov_b32 v2, 0 :: v_dual_add_nc_u32 v1, s2, v0
	v_add_nc_u32_e32 v0, 0x100, v0
	s_delay_alu instid0(VALU_DEP_2) | instskip(NEXT) | instid1(VALU_DEP_1)
	v_lshlrev_b64 v[1:2], 1, v[1:2]
	v_add_co_u32 v1, vcc_lo, s4, v1
	s_delay_alu instid0(VALU_DEP_2) | instskip(SKIP_2) | instid1(SALU_CYCLE_1)
	v_add_co_ci_u32_e32 v2, vcc_lo, s5, v2, vcc_lo
	global_store_b16 v[1:2], v6, off
	s_or_b32 exec_lo, exec_lo, s0
	s_mov_b32 s0, exec_lo
	v_cmpx_gt_i32_e64 s1, v0
	s_cbranch_execz .LBB309_23
.LBB309_32:
	v_dual_mov_b32 v2, 0 :: v_dual_add_nc_u32 v1, s2, v0
	v_add_nc_u32_e32 v0, 0x100, v0
	s_delay_alu instid0(VALU_DEP_2) | instskip(NEXT) | instid1(VALU_DEP_1)
	v_lshlrev_b64 v[1:2], 1, v[1:2]
	v_add_co_u32 v1, vcc_lo, s4, v1
	s_delay_alu instid0(VALU_DEP_2) | instskip(SKIP_2) | instid1(SALU_CYCLE_1)
	v_add_co_ci_u32_e32 v2, vcc_lo, s5, v2, vcc_lo
	global_store_d16_hi_b16 v[1:2], v6, off
	s_or_b32 exec_lo, exec_lo, s0
	s_mov_b32 s0, exec_lo
	v_cmpx_gt_i32_e64 s1, v0
	s_cbranch_execz .LBB309_24
.LBB309_33:
	v_dual_mov_b32 v2, 0 :: v_dual_add_nc_u32 v1, s2, v0
	v_add_nc_u32_e32 v0, 0x100, v0
	s_delay_alu instid0(VALU_DEP_2) | instskip(NEXT) | instid1(VALU_DEP_1)
	v_lshlrev_b64 v[1:2], 1, v[1:2]
	v_add_co_u32 v1, vcc_lo, s4, v1
	s_delay_alu instid0(VALU_DEP_2) | instskip(SKIP_2) | instid1(SALU_CYCLE_1)
	v_add_co_ci_u32_e32 v2, vcc_lo, s5, v2, vcc_lo
	global_store_b16 v[1:2], v5, off
	s_or_b32 exec_lo, exec_lo, s0
	s_mov_b32 s0, exec_lo
	v_cmpx_gt_i32_e64 s1, v0
	s_cbranch_execz .LBB309_25
.LBB309_34:
	v_dual_mov_b32 v2, 0 :: v_dual_add_nc_u32 v1, s2, v0
	v_add_nc_u32_e32 v0, 0x100, v0
	s_delay_alu instid0(VALU_DEP_2) | instskip(NEXT) | instid1(VALU_DEP_1)
	v_lshlrev_b64 v[1:2], 1, v[1:2]
	v_add_co_u32 v1, vcc_lo, s4, v1
	s_delay_alu instid0(VALU_DEP_2) | instskip(SKIP_2) | instid1(SALU_CYCLE_1)
	v_add_co_ci_u32_e32 v2, vcc_lo, s5, v2, vcc_lo
	global_store_d16_hi_b16 v[1:2], v5, off
	s_or_b32 exec_lo, exec_lo, s0
	s_mov_b32 s0, exec_lo
	v_cmpx_gt_i32_e64 s1, v0
	s_cbranch_execz .LBB309_26
.LBB309_35:
	v_dual_mov_b32 v2, 0 :: v_dual_add_nc_u32 v1, s2, v0
	v_add_nc_u32_e32 v0, 0x100, v0
	s_delay_alu instid0(VALU_DEP_2) | instskip(NEXT) | instid1(VALU_DEP_1)
	v_lshlrev_b64 v[1:2], 1, v[1:2]
	v_add_co_u32 v1, vcc_lo, s4, v1
	s_delay_alu instid0(VALU_DEP_2) | instskip(SKIP_2) | instid1(SALU_CYCLE_1)
	v_add_co_ci_u32_e32 v2, vcc_lo, s5, v2, vcc_lo
	global_store_b16 v[1:2], v4, off
	s_or_b32 exec_lo, exec_lo, s0
	s_mov_b32 s0, exec_lo
	v_cmpx_gt_i32_e64 s1, v0
	s_cbranch_execnz .LBB309_27
	s_branch .LBB309_28
	.section	.rodata,"a",@progbits
	.p2align	6, 0x0
	.amdhsa_kernel _ZN2at6native29vectorized_elementwise_kernelILi2EZZZNS0_17clamp_kernel_cudaERNS_18TensorIteratorBaseERKN3c106ScalarES7_ENKUlvE_clEvENKUlvE3_clEvEUlsE_St5arrayIPcLm2EEEEviT0_T1_
		.amdhsa_group_segment_fixed_size 0
		.amdhsa_private_segment_fixed_size 0
		.amdhsa_kernarg_size 24
		.amdhsa_user_sgpr_count 15
		.amdhsa_user_sgpr_dispatch_ptr 0
		.amdhsa_user_sgpr_queue_ptr 0
		.amdhsa_user_sgpr_kernarg_segment_ptr 1
		.amdhsa_user_sgpr_dispatch_id 0
		.amdhsa_user_sgpr_private_segment_size 0
		.amdhsa_wavefront_size32 1
		.amdhsa_uses_dynamic_stack 0
		.amdhsa_enable_private_segment 0
		.amdhsa_system_sgpr_workgroup_id_x 1
		.amdhsa_system_sgpr_workgroup_id_y 0
		.amdhsa_system_sgpr_workgroup_id_z 0
		.amdhsa_system_sgpr_workgroup_info 0
		.amdhsa_system_vgpr_workitem_id 0
		.amdhsa_next_free_vgpr 15
		.amdhsa_next_free_sgpr 16
		.amdhsa_reserve_vcc 1
		.amdhsa_float_round_mode_32 0
		.amdhsa_float_round_mode_16_64 0
		.amdhsa_float_denorm_mode_32 3
		.amdhsa_float_denorm_mode_16_64 3
		.amdhsa_dx10_clamp 1
		.amdhsa_ieee_mode 1
		.amdhsa_fp16_overflow 0
		.amdhsa_workgroup_processor_mode 1
		.amdhsa_memory_ordered 1
		.amdhsa_forward_progress 0
		.amdhsa_shared_vgpr_count 0
		.amdhsa_exception_fp_ieee_invalid_op 0
		.amdhsa_exception_fp_denorm_src 0
		.amdhsa_exception_fp_ieee_div_zero 0
		.amdhsa_exception_fp_ieee_overflow 0
		.amdhsa_exception_fp_ieee_underflow 0
		.amdhsa_exception_fp_ieee_inexact 0
		.amdhsa_exception_int_div_zero 0
	.end_amdhsa_kernel
	.section	.text._ZN2at6native29vectorized_elementwise_kernelILi2EZZZNS0_17clamp_kernel_cudaERNS_18TensorIteratorBaseERKN3c106ScalarES7_ENKUlvE_clEvENKUlvE3_clEvEUlsE_St5arrayIPcLm2EEEEviT0_T1_,"axG",@progbits,_ZN2at6native29vectorized_elementwise_kernelILi2EZZZNS0_17clamp_kernel_cudaERNS_18TensorIteratorBaseERKN3c106ScalarES7_ENKUlvE_clEvENKUlvE3_clEvEUlsE_St5arrayIPcLm2EEEEviT0_T1_,comdat
.Lfunc_end309:
	.size	_ZN2at6native29vectorized_elementwise_kernelILi2EZZZNS0_17clamp_kernel_cudaERNS_18TensorIteratorBaseERKN3c106ScalarES7_ENKUlvE_clEvENKUlvE3_clEvEUlsE_St5arrayIPcLm2EEEEviT0_T1_, .Lfunc_end309-_ZN2at6native29vectorized_elementwise_kernelILi2EZZZNS0_17clamp_kernel_cudaERNS_18TensorIteratorBaseERKN3c106ScalarES7_ENKUlvE_clEvENKUlvE3_clEvEUlsE_St5arrayIPcLm2EEEEviT0_T1_
                                        ; -- End function
	.section	.AMDGPU.csdata,"",@progbits
; Kernel info:
; codeLenInByte = 2068
; NumSgprs: 18
; NumVgprs: 15
; ScratchSize: 0
; MemoryBound: 0
; FloatMode: 240
; IeeeMode: 1
; LDSByteSize: 0 bytes/workgroup (compile time only)
; SGPRBlocks: 2
; VGPRBlocks: 1
; NumSGPRsForWavesPerEU: 18
; NumVGPRsForWavesPerEU: 15
; Occupancy: 16
; WaveLimiterHint : 1
; COMPUTE_PGM_RSRC2:SCRATCH_EN: 0
; COMPUTE_PGM_RSRC2:USER_SGPR: 15
; COMPUTE_PGM_RSRC2:TRAP_HANDLER: 0
; COMPUTE_PGM_RSRC2:TGID_X_EN: 1
; COMPUTE_PGM_RSRC2:TGID_Y_EN: 0
; COMPUTE_PGM_RSRC2:TGID_Z_EN: 0
; COMPUTE_PGM_RSRC2:TIDIG_COMP_CNT: 0
	.section	.text._ZN2at6native27unrolled_elementwise_kernelIZZZNS0_17clamp_kernel_cudaERNS_18TensorIteratorBaseERKN3c106ScalarES7_ENKUlvE_clEvENKUlvE3_clEvEUlsE_St5arrayIPcLm2EELi4E23TrivialOffsetCalculatorILi1EjESF_NS0_6memory15LoadWithoutCastENSG_16StoreWithoutCastEEEviT_T0_T2_T3_T4_T5_,"axG",@progbits,_ZN2at6native27unrolled_elementwise_kernelIZZZNS0_17clamp_kernel_cudaERNS_18TensorIteratorBaseERKN3c106ScalarES7_ENKUlvE_clEvENKUlvE3_clEvEUlsE_St5arrayIPcLm2EELi4E23TrivialOffsetCalculatorILi1EjESF_NS0_6memory15LoadWithoutCastENSG_16StoreWithoutCastEEEviT_T0_T2_T3_T4_T5_,comdat
	.globl	_ZN2at6native27unrolled_elementwise_kernelIZZZNS0_17clamp_kernel_cudaERNS_18TensorIteratorBaseERKN3c106ScalarES7_ENKUlvE_clEvENKUlvE3_clEvEUlsE_St5arrayIPcLm2EELi4E23TrivialOffsetCalculatorILi1EjESF_NS0_6memory15LoadWithoutCastENSG_16StoreWithoutCastEEEviT_T0_T2_T3_T4_T5_ ; -- Begin function _ZN2at6native27unrolled_elementwise_kernelIZZZNS0_17clamp_kernel_cudaERNS_18TensorIteratorBaseERKN3c106ScalarES7_ENKUlvE_clEvENKUlvE3_clEvEUlsE_St5arrayIPcLm2EELi4E23TrivialOffsetCalculatorILi1EjESF_NS0_6memory15LoadWithoutCastENSG_16StoreWithoutCastEEEviT_T0_T2_T3_T4_T5_
	.p2align	8
	.type	_ZN2at6native27unrolled_elementwise_kernelIZZZNS0_17clamp_kernel_cudaERNS_18TensorIteratorBaseERKN3c106ScalarES7_ENKUlvE_clEvENKUlvE3_clEvEUlsE_St5arrayIPcLm2EELi4E23TrivialOffsetCalculatorILi1EjESF_NS0_6memory15LoadWithoutCastENSG_16StoreWithoutCastEEEviT_T0_T2_T3_T4_T5_,@function
_ZN2at6native27unrolled_elementwise_kernelIZZZNS0_17clamp_kernel_cudaERNS_18TensorIteratorBaseERKN3c106ScalarES7_ENKUlvE_clEvENKUlvE3_clEvEUlsE_St5arrayIPcLm2EELi4E23TrivialOffsetCalculatorILi1EjESF_NS0_6memory15LoadWithoutCastENSG_16StoreWithoutCastEEEviT_T0_T2_T3_T4_T5_: ; @_ZN2at6native27unrolled_elementwise_kernelIZZZNS0_17clamp_kernel_cudaERNS_18TensorIteratorBaseERKN3c106ScalarES7_ENKUlvE_clEvENKUlvE3_clEvEUlsE_St5arrayIPcLm2EELi4E23TrivialOffsetCalculatorILi1EjESF_NS0_6memory15LoadWithoutCastENSG_16StoreWithoutCastEEEviT_T0_T2_T3_T4_T5_
; %bb.0:
	s_clause 0x1
	s_load_b64 s[2:3], s[0:1], 0x0
	s_load_b128 s[4:7], s[0:1], 0x8
	s_lshl_b32 s1, s15, 10
	v_dual_mov_b32 v4, 0 :: v_dual_mov_b32 v5, v0
	v_mov_b32_e32 v2, 0
	v_or_b32_e32 v1, s1, v0
	v_or_b32_e32 v3, 0x100, v0
	s_waitcnt lgkmcnt(0)
	s_sub_i32 s2, s2, s1
	s_delay_alu instid0(SALU_CYCLE_1)
	v_cmp_gt_i32_e32 vcc_lo, s2, v0
	s_and_saveexec_b32 s8, vcc_lo
	s_cbranch_execz .LBB310_2
; %bb.1:
	v_mov_b32_e32 v2, 0
	s_delay_alu instid0(VALU_DEP_1) | instskip(NEXT) | instid1(VALU_DEP_1)
	v_lshlrev_b64 v[5:6], 1, v[1:2]
	v_add_co_u32 v5, s0, s6, v5
	s_delay_alu instid0(VALU_DEP_1)
	v_add_co_ci_u32_e64 v6, s0, s7, v6, s0
	global_load_u16 v2, v[5:6], off
	v_or_b32_e32 v5, 0x100, v0
.LBB310_2:
	s_or_b32 exec_lo, exec_lo, s8
	s_delay_alu instid0(SALU_CYCLE_1) | instskip(NEXT) | instid1(VALU_DEP_1)
	s_mov_b32 s8, exec_lo
	v_cmpx_gt_i32_e64 s2, v5
	s_cbranch_execz .LBB310_4
; %bb.3:
	v_dual_mov_b32 v7, 0 :: v_dual_add_nc_u32 v6, s1, v5
	v_add_nc_u32_e32 v5, 0x100, v5
	s_delay_alu instid0(VALU_DEP_2) | instskip(NEXT) | instid1(VALU_DEP_1)
	v_lshlrev_b64 v[6:7], 1, v[6:7]
	v_add_co_u32 v6, s0, s6, v6
	s_delay_alu instid0(VALU_DEP_1)
	v_add_co_ci_u32_e64 v7, s0, s7, v7, s0
	global_load_u16 v4, v[6:7], off
.LBB310_4:
	s_or_b32 exec_lo, exec_lo, s8
	v_dual_mov_b32 v6, 0 :: v_dual_mov_b32 v7, 0
	s_mov_b32 s8, exec_lo
	v_cmpx_gt_i32_e64 s2, v5
	s_cbranch_execz .LBB310_6
; %bb.5:
	v_dual_mov_b32 v8, 0 :: v_dual_add_nc_u32 v7, s1, v5
	v_add_nc_u32_e32 v5, 0x100, v5
	s_delay_alu instid0(VALU_DEP_2) | instskip(NEXT) | instid1(VALU_DEP_1)
	v_lshlrev_b64 v[7:8], 1, v[7:8]
	v_add_co_u32 v7, s0, s6, v7
	s_delay_alu instid0(VALU_DEP_1)
	v_add_co_ci_u32_e64 v8, s0, s7, v8, s0
	global_load_u16 v7, v[7:8], off
.LBB310_6:
	s_or_b32 exec_lo, exec_lo, s8
	s_delay_alu instid0(SALU_CYCLE_1)
	s_mov_b32 s8, exec_lo
	v_cmpx_gt_i32_e64 s2, v5
	s_cbranch_execz .LBB310_8
; %bb.7:
	v_dual_mov_b32 v6, 0 :: v_dual_add_nc_u32 v5, s1, v5
	s_delay_alu instid0(VALU_DEP_1) | instskip(NEXT) | instid1(VALU_DEP_1)
	v_lshlrev_b64 v[5:6], 1, v[5:6]
	v_add_co_u32 v5, s0, s6, v5
	s_delay_alu instid0(VALU_DEP_1)
	v_add_co_ci_u32_e64 v6, s0, s7, v6, s0
	global_load_u16 v6, v[5:6], off
.LBB310_8:
	s_or_b32 exec_lo, exec_lo, s8
	s_waitcnt vmcnt(0)
	v_max_i16 v2, v2, s3
	v_max_i16 v4, v4, s3
	s_lshr_b32 s0, s3, 16
	v_max_i16 v5, v7, s3
	v_max_i16 v6, v6, s3
	v_min_i16 v2, v2, s0
	v_min_i16 v4, v4, s0
	v_or_b32_e32 v7, 0x300, v0
	v_min_i16 v5, v5, s0
	v_min_i16 v6, v6, s0
	v_cmp_gt_i32_e64 s0, s2, v3
	v_perm_b32 v4, v4, v2, 0x5040100
	s_delay_alu instid0(VALU_DEP_4) | instskip(NEXT) | instid1(VALU_DEP_4)
	v_and_b32_e32 v8, 0xffff, v5
	v_perm_b32 v6, v6, v5, 0x5040100
	s_delay_alu instid0(VALU_DEP_3) | instskip(SKIP_1) | instid1(VALU_DEP_1)
	v_cndmask_b32_e64 v5, v2, v4, s0
	v_cmp_gt_i32_e64 s0, s2, v7
	v_cndmask_b32_e64 v4, v8, v6, s0
	s_and_saveexec_b32 s0, vcc_lo
	s_cbranch_execnz .LBB310_13
; %bb.9:
	s_or_b32 exec_lo, exec_lo, s0
	s_delay_alu instid0(SALU_CYCLE_1)
	s_mov_b32 s0, exec_lo
	v_cmpx_gt_i32_e64 s2, v0
	s_cbranch_execnz .LBB310_14
.LBB310_10:
	s_or_b32 exec_lo, exec_lo, s0
	s_delay_alu instid0(SALU_CYCLE_1)
	s_mov_b32 s0, exec_lo
	v_cmpx_gt_i32_e64 s2, v0
	s_cbranch_execnz .LBB310_15
.LBB310_11:
	s_or_b32 exec_lo, exec_lo, s0
	s_delay_alu instid0(SALU_CYCLE_1)
	s_mov_b32 s0, exec_lo
	v_cmpx_gt_i32_e64 s2, v0
	s_cbranch_execnz .LBB310_16
.LBB310_12:
	s_nop 0
	s_sendmsg sendmsg(MSG_DEALLOC_VGPRS)
	s_endpgm
.LBB310_13:
	v_mov_b32_e32 v2, 0
	s_delay_alu instid0(VALU_DEP_1) | instskip(NEXT) | instid1(VALU_DEP_1)
	v_lshlrev_b64 v[0:1], 1, v[1:2]
	v_add_co_u32 v6, vcc_lo, s4, v0
	s_delay_alu instid0(VALU_DEP_2) | instskip(SKIP_3) | instid1(SALU_CYCLE_1)
	v_add_co_ci_u32_e32 v7, vcc_lo, s5, v1, vcc_lo
	v_mov_b32_e32 v0, v3
	global_store_b16 v[6:7], v5, off
	s_or_b32 exec_lo, exec_lo, s0
	s_mov_b32 s0, exec_lo
	v_cmpx_gt_i32_e64 s2, v0
	s_cbranch_execz .LBB310_10
.LBB310_14:
	v_dual_mov_b32 v2, 0 :: v_dual_add_nc_u32 v1, s1, v0
	v_add_nc_u32_e32 v0, 0x100, v0
	s_delay_alu instid0(VALU_DEP_2) | instskip(NEXT) | instid1(VALU_DEP_1)
	v_lshlrev_b64 v[1:2], 1, v[1:2]
	v_add_co_u32 v1, vcc_lo, s4, v1
	s_delay_alu instid0(VALU_DEP_2) | instskip(SKIP_2) | instid1(SALU_CYCLE_1)
	v_add_co_ci_u32_e32 v2, vcc_lo, s5, v2, vcc_lo
	global_store_d16_hi_b16 v[1:2], v5, off
	s_or_b32 exec_lo, exec_lo, s0
	s_mov_b32 s0, exec_lo
	v_cmpx_gt_i32_e64 s2, v0
	s_cbranch_execz .LBB310_11
.LBB310_15:
	v_dual_mov_b32 v2, 0 :: v_dual_add_nc_u32 v1, s1, v0
	v_add_nc_u32_e32 v0, 0x100, v0
	s_delay_alu instid0(VALU_DEP_2) | instskip(NEXT) | instid1(VALU_DEP_1)
	v_lshlrev_b64 v[1:2], 1, v[1:2]
	v_add_co_u32 v1, vcc_lo, s4, v1
	s_delay_alu instid0(VALU_DEP_2) | instskip(SKIP_2) | instid1(SALU_CYCLE_1)
	v_add_co_ci_u32_e32 v2, vcc_lo, s5, v2, vcc_lo
	global_store_b16 v[1:2], v4, off
	s_or_b32 exec_lo, exec_lo, s0
	s_mov_b32 s0, exec_lo
	v_cmpx_gt_i32_e64 s2, v0
	s_cbranch_execz .LBB310_12
.LBB310_16:
	v_dual_mov_b32 v1, 0 :: v_dual_add_nc_u32 v0, s1, v0
	s_delay_alu instid0(VALU_DEP_1) | instskip(NEXT) | instid1(VALU_DEP_1)
	v_lshlrev_b64 v[0:1], 1, v[0:1]
	v_add_co_u32 v0, vcc_lo, s4, v0
	s_delay_alu instid0(VALU_DEP_2)
	v_add_co_ci_u32_e32 v1, vcc_lo, s5, v1, vcc_lo
	global_store_d16_hi_b16 v[0:1], v4, off
	s_nop 0
	s_sendmsg sendmsg(MSG_DEALLOC_VGPRS)
	s_endpgm
	.section	.rodata,"a",@progbits
	.p2align	6, 0x0
	.amdhsa_kernel _ZN2at6native27unrolled_elementwise_kernelIZZZNS0_17clamp_kernel_cudaERNS_18TensorIteratorBaseERKN3c106ScalarES7_ENKUlvE_clEvENKUlvE3_clEvEUlsE_St5arrayIPcLm2EELi4E23TrivialOffsetCalculatorILi1EjESF_NS0_6memory15LoadWithoutCastENSG_16StoreWithoutCastEEEviT_T0_T2_T3_T4_T5_
		.amdhsa_group_segment_fixed_size 0
		.amdhsa_private_segment_fixed_size 0
		.amdhsa_kernarg_size 28
		.amdhsa_user_sgpr_count 15
		.amdhsa_user_sgpr_dispatch_ptr 0
		.amdhsa_user_sgpr_queue_ptr 0
		.amdhsa_user_sgpr_kernarg_segment_ptr 1
		.amdhsa_user_sgpr_dispatch_id 0
		.amdhsa_user_sgpr_private_segment_size 0
		.amdhsa_wavefront_size32 1
		.amdhsa_uses_dynamic_stack 0
		.amdhsa_enable_private_segment 0
		.amdhsa_system_sgpr_workgroup_id_x 1
		.amdhsa_system_sgpr_workgroup_id_y 0
		.amdhsa_system_sgpr_workgroup_id_z 0
		.amdhsa_system_sgpr_workgroup_info 0
		.amdhsa_system_vgpr_workitem_id 0
		.amdhsa_next_free_vgpr 9
		.amdhsa_next_free_sgpr 16
		.amdhsa_reserve_vcc 1
		.amdhsa_float_round_mode_32 0
		.amdhsa_float_round_mode_16_64 0
		.amdhsa_float_denorm_mode_32 3
		.amdhsa_float_denorm_mode_16_64 3
		.amdhsa_dx10_clamp 1
		.amdhsa_ieee_mode 1
		.amdhsa_fp16_overflow 0
		.amdhsa_workgroup_processor_mode 1
		.amdhsa_memory_ordered 1
		.amdhsa_forward_progress 0
		.amdhsa_shared_vgpr_count 0
		.amdhsa_exception_fp_ieee_invalid_op 0
		.amdhsa_exception_fp_denorm_src 0
		.amdhsa_exception_fp_ieee_div_zero 0
		.amdhsa_exception_fp_ieee_overflow 0
		.amdhsa_exception_fp_ieee_underflow 0
		.amdhsa_exception_fp_ieee_inexact 0
		.amdhsa_exception_int_div_zero 0
	.end_amdhsa_kernel
	.section	.text._ZN2at6native27unrolled_elementwise_kernelIZZZNS0_17clamp_kernel_cudaERNS_18TensorIteratorBaseERKN3c106ScalarES7_ENKUlvE_clEvENKUlvE3_clEvEUlsE_St5arrayIPcLm2EELi4E23TrivialOffsetCalculatorILi1EjESF_NS0_6memory15LoadWithoutCastENSG_16StoreWithoutCastEEEviT_T0_T2_T3_T4_T5_,"axG",@progbits,_ZN2at6native27unrolled_elementwise_kernelIZZZNS0_17clamp_kernel_cudaERNS_18TensorIteratorBaseERKN3c106ScalarES7_ENKUlvE_clEvENKUlvE3_clEvEUlsE_St5arrayIPcLm2EELi4E23TrivialOffsetCalculatorILi1EjESF_NS0_6memory15LoadWithoutCastENSG_16StoreWithoutCastEEEviT_T0_T2_T3_T4_T5_,comdat
.Lfunc_end310:
	.size	_ZN2at6native27unrolled_elementwise_kernelIZZZNS0_17clamp_kernel_cudaERNS_18TensorIteratorBaseERKN3c106ScalarES7_ENKUlvE_clEvENKUlvE3_clEvEUlsE_St5arrayIPcLm2EELi4E23TrivialOffsetCalculatorILi1EjESF_NS0_6memory15LoadWithoutCastENSG_16StoreWithoutCastEEEviT_T0_T2_T3_T4_T5_, .Lfunc_end310-_ZN2at6native27unrolled_elementwise_kernelIZZZNS0_17clamp_kernel_cudaERNS_18TensorIteratorBaseERKN3c106ScalarES7_ENKUlvE_clEvENKUlvE3_clEvEUlsE_St5arrayIPcLm2EELi4E23TrivialOffsetCalculatorILi1EjESF_NS0_6memory15LoadWithoutCastENSG_16StoreWithoutCastEEEviT_T0_T2_T3_T4_T5_
                                        ; -- End function
	.section	.AMDGPU.csdata,"",@progbits
; Kernel info:
; codeLenInByte = 872
; NumSgprs: 18
; NumVgprs: 9
; ScratchSize: 0
; MemoryBound: 0
; FloatMode: 240
; IeeeMode: 1
; LDSByteSize: 0 bytes/workgroup (compile time only)
; SGPRBlocks: 2
; VGPRBlocks: 1
; NumSGPRsForWavesPerEU: 18
; NumVGPRsForWavesPerEU: 9
; Occupancy: 16
; WaveLimiterHint : 0
; COMPUTE_PGM_RSRC2:SCRATCH_EN: 0
; COMPUTE_PGM_RSRC2:USER_SGPR: 15
; COMPUTE_PGM_RSRC2:TRAP_HANDLER: 0
; COMPUTE_PGM_RSRC2:TGID_X_EN: 1
; COMPUTE_PGM_RSRC2:TGID_Y_EN: 0
; COMPUTE_PGM_RSRC2:TGID_Z_EN: 0
; COMPUTE_PGM_RSRC2:TIDIG_COMP_CNT: 0
	.section	.text._ZN2at6native32elementwise_kernel_manual_unrollILi128ELi8EZNS0_22gpu_kernel_impl_nocastIZZZNS0_17clamp_kernel_cudaERNS_18TensorIteratorBaseERKN3c106ScalarES8_ENKUlvE_clEvENKUlvE3_clEvEUlsE_EEvS4_RKT_EUlibE_EEviT1_,"axG",@progbits,_ZN2at6native32elementwise_kernel_manual_unrollILi128ELi8EZNS0_22gpu_kernel_impl_nocastIZZZNS0_17clamp_kernel_cudaERNS_18TensorIteratorBaseERKN3c106ScalarES8_ENKUlvE_clEvENKUlvE3_clEvEUlsE_EEvS4_RKT_EUlibE_EEviT1_,comdat
	.globl	_ZN2at6native32elementwise_kernel_manual_unrollILi128ELi8EZNS0_22gpu_kernel_impl_nocastIZZZNS0_17clamp_kernel_cudaERNS_18TensorIteratorBaseERKN3c106ScalarES8_ENKUlvE_clEvENKUlvE3_clEvEUlsE_EEvS4_RKT_EUlibE_EEviT1_ ; -- Begin function _ZN2at6native32elementwise_kernel_manual_unrollILi128ELi8EZNS0_22gpu_kernel_impl_nocastIZZZNS0_17clamp_kernel_cudaERNS_18TensorIteratorBaseERKN3c106ScalarES8_ENKUlvE_clEvENKUlvE3_clEvEUlsE_EEvS4_RKT_EUlibE_EEviT1_
	.p2align	8
	.type	_ZN2at6native32elementwise_kernel_manual_unrollILi128ELi8EZNS0_22gpu_kernel_impl_nocastIZZZNS0_17clamp_kernel_cudaERNS_18TensorIteratorBaseERKN3c106ScalarES8_ENKUlvE_clEvENKUlvE3_clEvEUlsE_EEvS4_RKT_EUlibE_EEviT1_,@function
_ZN2at6native32elementwise_kernel_manual_unrollILi128ELi8EZNS0_22gpu_kernel_impl_nocastIZZZNS0_17clamp_kernel_cudaERNS_18TensorIteratorBaseERKN3c106ScalarES8_ENKUlvE_clEvENKUlvE3_clEvEUlsE_EEvS4_RKT_EUlibE_EEviT1_: ; @_ZN2at6native32elementwise_kernel_manual_unrollILi128ELi8EZNS0_22gpu_kernel_impl_nocastIZZZNS0_17clamp_kernel_cudaERNS_18TensorIteratorBaseERKN3c106ScalarES8_ENKUlvE_clEvENKUlvE3_clEvEUlsE_EEvS4_RKT_EUlibE_EEviT1_
; %bb.0:
	s_clause 0x1
	s_load_b32 s22, s[0:1], 0x8
	s_load_b32 s29, s[0:1], 0x0
	v_lshl_or_b32 v12, s15, 10, v0
	s_or_b32 s0, s0, 8
	s_mov_b32 s2, exec_lo
	s_delay_alu instid0(VALU_DEP_1) | instskip(SKIP_2) | instid1(SALU_CYCLE_1)
	v_or_b32_e32 v16, 0x380, v12
	s_waitcnt lgkmcnt(0)
	s_add_i32 s23, s22, -1
	s_cmp_gt_u32 s23, 1
	s_cselect_b32 s24, -1, 0
	v_cmpx_le_i32_e64 s29, v16
	s_xor_b32 s25, exec_lo, s2
	s_cbranch_execz .LBB311_7
; %bb.1:
	s_clause 0x4
	s_load_b128 s[8:11], s[0:1], 0x4
	s_load_b64 s[2:3], s[0:1], 0x14
	s_load_b32 s26, s[0:1], 0x158
	s_load_b128 s[12:15], s[0:1], 0xc4
	s_load_b128 s[4:7], s[0:1], 0x148
	s_cmp_lg_u32 s22, 0
	s_mov_b32 s33, exec_lo
	s_cselect_b32 s31, -1, 0
	s_add_u32 s16, s0, 0xc4
	s_addc_u32 s17, s1, 0
	s_min_u32 s30, s23, 15
	s_cmp_gt_u32 s22, 1
	s_cselect_b32 s28, -1, 0
	s_waitcnt lgkmcnt(0)
	s_lshr_b32 s27, s26, 16
	v_cmpx_gt_i32_e64 s29, v12
	s_cbranch_execz .LBB311_14
; %bb.2:
	s_and_not1_b32 vcc_lo, exec_lo, s24
	s_cbranch_vccnz .LBB311_21
; %bb.3:
	v_dual_mov_b32 v0, 0 :: v_dual_mov_b32 v1, 0
	s_and_not1_b32 vcc_lo, exec_lo, s31
	s_mov_b32 s34, 0
	s_cbranch_vccnz .LBB311_125
; %bb.4:
	v_mov_b32_e32 v0, 0
	s_add_i32 s36, s30, 1
	s_cmp_eq_u32 s23, 2
	s_mov_b32 s35, 0
	s_cbranch_scc1 .LBB311_121
; %bb.5:
	v_dual_mov_b32 v1, 0 :: v_dual_mov_b32 v0, 0
	v_mov_b32_e32 v2, v12
	s_and_b32 s35, s36, 28
	s_mov_b32 s37, 0
	s_mov_b64 s[18:19], s[16:17]
	s_mov_b64 s[20:21], s[0:1]
.LBB311_6:                              ; =>This Inner Loop Header: Depth=1
	s_clause 0x1
	s_load_b256 s[40:47], s[20:21], 0x4
	s_load_b128 s[56:59], s[20:21], 0x24
	s_load_b256 s[48:55], s[18:19], 0x0
	s_add_u32 s20, s20, 48
	s_addc_u32 s21, s21, 0
	s_add_i32 s37, s37, 4
	s_add_u32 s18, s18, 32
	s_addc_u32 s19, s19, 0
	s_cmp_lg_u32 s35, s37
	s_waitcnt lgkmcnt(0)
	v_mul_hi_u32 v3, s41, v2
	s_delay_alu instid0(VALU_DEP_1) | instskip(NEXT) | instid1(VALU_DEP_1)
	v_add_nc_u32_e32 v3, v2, v3
	v_lshrrev_b32_e32 v3, s42, v3
	s_delay_alu instid0(VALU_DEP_1) | instskip(SKIP_1) | instid1(VALU_DEP_2)
	v_mul_hi_u32 v4, s44, v3
	v_mul_lo_u32 v6, v3, s40
	v_add_nc_u32_e32 v4, v3, v4
	s_delay_alu instid0(VALU_DEP_2) | instskip(NEXT) | instid1(VALU_DEP_2)
	v_sub_nc_u32_e32 v2, v2, v6
	v_lshrrev_b32_e32 v4, s45, v4
	s_delay_alu instid0(VALU_DEP_2) | instskip(SKIP_1) | instid1(VALU_DEP_3)
	v_mul_lo_u32 v6, v2, s48
	v_mul_lo_u32 v8, v2, s49
	v_mul_hi_u32 v5, s47, v4
	s_delay_alu instid0(VALU_DEP_1) | instskip(NEXT) | instid1(VALU_DEP_1)
	v_add_nc_u32_e32 v5, v4, v5
	v_lshrrev_b32_e32 v5, s56, v5
	s_delay_alu instid0(VALU_DEP_1) | instskip(SKIP_1) | instid1(VALU_DEP_2)
	v_mul_hi_u32 v7, s58, v5
	v_mul_lo_u32 v9, v5, s46
	v_add_nc_u32_e32 v2, v5, v7
	v_mul_lo_u32 v7, v4, s43
	s_delay_alu instid0(VALU_DEP_3) | instskip(NEXT) | instid1(VALU_DEP_3)
	v_sub_nc_u32_e32 v4, v4, v9
	v_lshrrev_b32_e32 v2, s59, v2
	s_delay_alu instid0(VALU_DEP_2) | instskip(SKIP_2) | instid1(VALU_DEP_4)
	v_mul_lo_u32 v9, v4, s52
	v_mul_lo_u32 v4, v4, s53
	v_sub_nc_u32_e32 v3, v3, v7
	v_mul_lo_u32 v10, v2, s57
	s_delay_alu instid0(VALU_DEP_2) | instskip(SKIP_1) | instid1(VALU_DEP_3)
	v_mul_lo_u32 v7, v3, s50
	v_mul_lo_u32 v3, v3, s51
	v_sub_nc_u32_e32 v5, v5, v10
	s_delay_alu instid0(VALU_DEP_3) | instskip(NEXT) | instid1(VALU_DEP_2)
	v_add3_u32 v0, v6, v0, v7
	v_mul_lo_u32 v10, v5, s54
	v_mul_lo_u32 v5, v5, s55
	v_add3_u32 v1, v8, v1, v3
	s_delay_alu instid0(VALU_DEP_3) | instskip(NEXT) | instid1(VALU_DEP_2)
	v_add3_u32 v0, v9, v0, v10
	v_add3_u32 v1, v4, v1, v5
	s_cbranch_scc1 .LBB311_6
	s_branch .LBB311_122
.LBB311_7:
	s_and_not1_saveexec_b32 s2, s25
	s_cbranch_execz .LBB311_206
.LBB311_8:
	v_cndmask_b32_e64 v14, 0, 1, s24
	s_and_not1_b32 vcc_lo, exec_lo, s24
	s_cbranch_vccnz .LBB311_20
; %bb.9:
	v_dual_mov_b32 v0, 0 :: v_dual_mov_b32 v1, 0
	s_cmp_lg_u32 s22, 0
	s_mov_b32 s6, 0
	s_cbranch_scc0 .LBB311_26
; %bb.10:
	s_min_u32 s7, s23, 15
	v_mov_b32_e32 v0, 0
	s_add_i32 s7, s7, 1
	s_cmp_eq_u32 s23, 2
	s_mov_b32 s8, 0
	s_cbranch_scc1 .LBB311_23
; %bb.11:
	v_dual_mov_b32 v1, 0 :: v_dual_mov_b32 v0, 0
	v_mov_b32_e32 v2, v12
	s_add_u32 s2, s0, 0xc4
	s_addc_u32 s3, s1, 0
	s_and_b32 s8, s7, 28
	s_mov_b32 s9, 0
	s_mov_b64 s[4:5], s[0:1]
.LBB311_12:                             ; =>This Inner Loop Header: Depth=1
	s_clause 0x1
	s_load_b256 s[12:19], s[4:5], 0x4
	s_load_b128 s[36:39], s[4:5], 0x24
	s_load_b256 s[24:31], s[2:3], 0x0
	s_add_u32 s4, s4, 48
	s_addc_u32 s5, s5, 0
	s_add_i32 s9, s9, 4
	s_add_u32 s2, s2, 32
	s_addc_u32 s3, s3, 0
	s_cmp_lg_u32 s8, s9
	s_waitcnt lgkmcnt(0)
	v_mul_hi_u32 v3, s13, v2
	s_delay_alu instid0(VALU_DEP_1) | instskip(NEXT) | instid1(VALU_DEP_1)
	v_add_nc_u32_e32 v3, v2, v3
	v_lshrrev_b32_e32 v3, s14, v3
	s_delay_alu instid0(VALU_DEP_1) | instskip(SKIP_1) | instid1(VALU_DEP_2)
	v_mul_hi_u32 v4, s16, v3
	v_mul_lo_u32 v6, v3, s12
	v_add_nc_u32_e32 v4, v3, v4
	s_delay_alu instid0(VALU_DEP_2) | instskip(NEXT) | instid1(VALU_DEP_2)
	v_sub_nc_u32_e32 v2, v2, v6
	v_lshrrev_b32_e32 v4, s17, v4
	s_delay_alu instid0(VALU_DEP_2) | instskip(SKIP_1) | instid1(VALU_DEP_3)
	v_mul_lo_u32 v6, v2, s24
	v_mul_lo_u32 v8, v2, s25
	v_mul_hi_u32 v5, s19, v4
	s_delay_alu instid0(VALU_DEP_1) | instskip(NEXT) | instid1(VALU_DEP_1)
	v_add_nc_u32_e32 v5, v4, v5
	v_lshrrev_b32_e32 v5, s36, v5
	s_delay_alu instid0(VALU_DEP_1) | instskip(SKIP_1) | instid1(VALU_DEP_2)
	v_mul_hi_u32 v7, s38, v5
	v_mul_lo_u32 v9, v5, s18
	v_add_nc_u32_e32 v2, v5, v7
	v_mul_lo_u32 v7, v4, s15
	s_delay_alu instid0(VALU_DEP_3) | instskip(NEXT) | instid1(VALU_DEP_3)
	v_sub_nc_u32_e32 v4, v4, v9
	v_lshrrev_b32_e32 v2, s39, v2
	s_delay_alu instid0(VALU_DEP_2) | instskip(SKIP_2) | instid1(VALU_DEP_4)
	v_mul_lo_u32 v9, v4, s28
	v_mul_lo_u32 v4, v4, s29
	v_sub_nc_u32_e32 v3, v3, v7
	v_mul_lo_u32 v10, v2, s37
	s_delay_alu instid0(VALU_DEP_2) | instskip(SKIP_1) | instid1(VALU_DEP_3)
	v_mul_lo_u32 v7, v3, s26
	v_mul_lo_u32 v3, v3, s27
	v_sub_nc_u32_e32 v5, v5, v10
	s_delay_alu instid0(VALU_DEP_3) | instskip(NEXT) | instid1(VALU_DEP_2)
	v_add3_u32 v0, v6, v0, v7
	v_mul_lo_u32 v10, v5, s30
	v_mul_lo_u32 v5, v5, s31
	v_add3_u32 v1, v8, v1, v3
	s_delay_alu instid0(VALU_DEP_3) | instskip(NEXT) | instid1(VALU_DEP_2)
	v_add3_u32 v0, v9, v0, v10
	v_add3_u32 v1, v4, v1, v5
	s_cbranch_scc1 .LBB311_12
; %bb.13:
	s_and_b32 s7, s7, 3
	s_delay_alu instid0(SALU_CYCLE_1)
	s_cmp_eq_u32 s7, 0
	s_cbranch_scc0 .LBB311_24
	s_branch .LBB311_26
.LBB311_14:
	s_or_b32 exec_lo, exec_lo, s33
	s_delay_alu instid0(SALU_CYCLE_1)
	s_mov_b32 s33, exec_lo
	v_cmpx_gt_i32_e64 s29, v12
	s_cbranch_execz .LBB311_129
.LBB311_15:
	s_and_not1_b32 vcc_lo, exec_lo, s24
	s_cbranch_vccnz .LBB311_22
; %bb.16:
	v_dual_mov_b32 v0, 0 :: v_dual_mov_b32 v1, 0
	s_and_not1_b32 vcc_lo, exec_lo, s31
	s_mov_b32 s34, 0
	s_cbranch_vccnz .LBB311_140
; %bb.17:
	v_mov_b32_e32 v0, 0
	s_add_i32 s36, s30, 1
	s_cmp_eq_u32 s23, 2
	s_mov_b32 s35, 0
	s_cbranch_scc1 .LBB311_136
; %bb.18:
	v_dual_mov_b32 v1, 0 :: v_dual_mov_b32 v0, 0
	v_mov_b32_e32 v2, v12
	s_and_b32 s35, s36, 28
	s_mov_b32 s37, 0
	s_mov_b64 s[18:19], s[16:17]
	s_mov_b64 s[20:21], s[0:1]
.LBB311_19:                             ; =>This Inner Loop Header: Depth=1
	s_clause 0x1
	s_load_b256 s[40:47], s[20:21], 0x4
	s_load_b128 s[56:59], s[20:21], 0x24
	s_load_b256 s[48:55], s[18:19], 0x0
	s_add_u32 s20, s20, 48
	s_addc_u32 s21, s21, 0
	s_add_i32 s37, s37, 4
	s_add_u32 s18, s18, 32
	s_addc_u32 s19, s19, 0
	s_cmp_eq_u32 s35, s37
	s_waitcnt lgkmcnt(0)
	v_mul_hi_u32 v3, s41, v2
	s_delay_alu instid0(VALU_DEP_1) | instskip(NEXT) | instid1(VALU_DEP_1)
	v_add_nc_u32_e32 v3, v2, v3
	v_lshrrev_b32_e32 v3, s42, v3
	s_delay_alu instid0(VALU_DEP_1) | instskip(SKIP_1) | instid1(VALU_DEP_2)
	v_mul_hi_u32 v4, s44, v3
	v_mul_lo_u32 v6, v3, s40
	v_add_nc_u32_e32 v4, v3, v4
	s_delay_alu instid0(VALU_DEP_2) | instskip(NEXT) | instid1(VALU_DEP_2)
	v_sub_nc_u32_e32 v2, v2, v6
	v_lshrrev_b32_e32 v4, s45, v4
	s_delay_alu instid0(VALU_DEP_2) | instskip(SKIP_1) | instid1(VALU_DEP_3)
	v_mul_lo_u32 v6, v2, s48
	v_mul_lo_u32 v8, v2, s49
	v_mul_hi_u32 v5, s47, v4
	s_delay_alu instid0(VALU_DEP_1) | instskip(NEXT) | instid1(VALU_DEP_1)
	v_add_nc_u32_e32 v5, v4, v5
	v_lshrrev_b32_e32 v5, s56, v5
	s_delay_alu instid0(VALU_DEP_1) | instskip(SKIP_1) | instid1(VALU_DEP_2)
	v_mul_hi_u32 v7, s58, v5
	v_mul_lo_u32 v9, v5, s46
	v_add_nc_u32_e32 v2, v5, v7
	v_mul_lo_u32 v7, v4, s43
	s_delay_alu instid0(VALU_DEP_3) | instskip(NEXT) | instid1(VALU_DEP_3)
	v_sub_nc_u32_e32 v4, v4, v9
	v_lshrrev_b32_e32 v2, s59, v2
	s_delay_alu instid0(VALU_DEP_2) | instskip(SKIP_2) | instid1(VALU_DEP_4)
	v_mul_lo_u32 v9, v4, s52
	v_mul_lo_u32 v4, v4, s53
	v_sub_nc_u32_e32 v3, v3, v7
	v_mul_lo_u32 v10, v2, s57
	s_delay_alu instid0(VALU_DEP_2) | instskip(SKIP_1) | instid1(VALU_DEP_3)
	v_mul_lo_u32 v7, v3, s50
	v_mul_lo_u32 v3, v3, s51
	v_sub_nc_u32_e32 v5, v5, v10
	s_delay_alu instid0(VALU_DEP_3) | instskip(NEXT) | instid1(VALU_DEP_2)
	v_add3_u32 v0, v6, v0, v7
	v_mul_lo_u32 v10, v5, s54
	v_mul_lo_u32 v5, v5, s55
	v_add3_u32 v1, v8, v1, v3
	s_delay_alu instid0(VALU_DEP_3) | instskip(NEXT) | instid1(VALU_DEP_2)
	v_add3_u32 v0, v9, v0, v10
	v_add3_u32 v1, v4, v1, v5
	s_cbranch_scc0 .LBB311_19
	s_branch .LBB311_137
.LBB311_20:
	s_mov_b32 s6, -1
                                        ; implicit-def: $vgpr0
                                        ; implicit-def: $vgpr1
	s_branch .LBB311_26
.LBB311_21:
	s_mov_b32 s34, -1
                                        ; implicit-def: $vgpr0
                                        ; implicit-def: $vgpr1
	s_branch .LBB311_125
.LBB311_22:
	s_mov_b32 s34, -1
                                        ; implicit-def: $vgpr0
                                        ; implicit-def: $vgpr1
	s_branch .LBB311_140
.LBB311_23:
	v_dual_mov_b32 v2, v12 :: v_dual_mov_b32 v1, 0
	s_and_b32 s7, s7, 3
	s_delay_alu instid0(SALU_CYCLE_1)
	s_cmp_eq_u32 s7, 0
	s_cbranch_scc1 .LBB311_26
.LBB311_24:
	s_lshl_b32 s2, s8, 3
	s_mul_i32 s4, s8, 12
	s_add_u32 s2, s2, s0
	s_addc_u32 s3, 0, s1
	s_add_u32 s2, s2, 0xc4
	s_addc_u32 s3, s3, 0
	;; [unrolled: 2-line block ×3, first 2 shown]
	.p2align	6
.LBB311_25:                             ; =>This Inner Loop Header: Depth=1
	s_clause 0x1
	s_load_b64 s[8:9], s[4:5], 0x4
	s_load_b32 s12, s[4:5], 0xc
	s_load_b64 s[10:11], s[2:3], 0x0
	s_add_u32 s4, s4, 12
	s_addc_u32 s5, s5, 0
	s_add_u32 s2, s2, 8
	s_addc_u32 s3, s3, 0
	s_add_i32 s7, s7, -1
	s_delay_alu instid0(SALU_CYCLE_1) | instskip(SKIP_2) | instid1(VALU_DEP_1)
	s_cmp_lg_u32 s7, 0
	s_waitcnt lgkmcnt(0)
	v_mul_hi_u32 v3, s9, v2
	v_add_nc_u32_e32 v3, v2, v3
	s_delay_alu instid0(VALU_DEP_1) | instskip(NEXT) | instid1(VALU_DEP_1)
	v_lshrrev_b32_e32 v6, s12, v3
	v_mul_lo_u32 v3, v6, s8
	s_delay_alu instid0(VALU_DEP_1) | instskip(NEXT) | instid1(VALU_DEP_1)
	v_sub_nc_u32_e32 v2, v2, v3
	v_mad_u64_u32 v[3:4], null, v2, s10, v[0:1]
	v_mad_u64_u32 v[4:5], null, v2, s11, v[1:2]
	v_mov_b32_e32 v2, v6
	s_delay_alu instid0(VALU_DEP_2)
	v_dual_mov_b32 v0, v3 :: v_dual_mov_b32 v1, v4
	s_cbranch_scc1 .LBB311_25
.LBB311_26:
	s_and_not1_b32 vcc_lo, exec_lo, s6
	s_cbranch_vccnz .LBB311_29
; %bb.27:
	s_clause 0x1
	s_load_b128 s[4:7], s[0:1], 0x4
	s_load_b64 s[2:3], s[0:1], 0xc4
	s_cmp_lt_u32 s22, 2
	s_waitcnt lgkmcnt(0)
	v_mul_hi_u32 v0, s5, v12
	s_delay_alu instid0(VALU_DEP_1) | instskip(NEXT) | instid1(VALU_DEP_1)
	v_add_nc_u32_e32 v0, v12, v0
	v_lshrrev_b32_e32 v2, s6, v0
	s_delay_alu instid0(VALU_DEP_1) | instskip(NEXT) | instid1(VALU_DEP_1)
	v_mul_lo_u32 v0, v2, s4
	v_sub_nc_u32_e32 v1, v12, v0
	s_delay_alu instid0(VALU_DEP_1)
	v_mul_lo_u32 v0, v1, s2
	v_mul_lo_u32 v1, v1, s3
	s_cbranch_scc1 .LBB311_29
; %bb.28:
	s_clause 0x1
	s_load_b128 s[4:7], s[0:1], 0x10
	s_load_b64 s[2:3], s[0:1], 0xcc
	s_waitcnt lgkmcnt(0)
	v_mul_hi_u32 v3, s5, v2
	s_delay_alu instid0(VALU_DEP_1) | instskip(NEXT) | instid1(VALU_DEP_1)
	v_add_nc_u32_e32 v3, v2, v3
	v_lshrrev_b32_e32 v3, s6, v3
	s_delay_alu instid0(VALU_DEP_1) | instskip(NEXT) | instid1(VALU_DEP_1)
	v_mul_lo_u32 v3, v3, s4
	v_sub_nc_u32_e32 v5, v2, v3
	s_delay_alu instid0(VALU_DEP_1) | instskip(NEXT) | instid1(VALU_DEP_1)
	v_mad_u64_u32 v[2:3], null, v5, s2, v[0:1]
	v_mad_u64_u32 v[3:4], null, v5, s3, v[1:2]
	s_delay_alu instid0(VALU_DEP_1)
	v_dual_mov_b32 v0, v2 :: v_dual_mov_b32 v1, v3
.LBB311_29:
	v_cmp_ne_u32_e32 vcc_lo, 1, v14
	v_add_nc_u32_e32 v4, 0x80, v12
	s_cbranch_vccnz .LBB311_35
; %bb.30:
	v_dual_mov_b32 v2, 0 :: v_dual_mov_b32 v3, 0
	s_cmp_lg_u32 s22, 0
	s_mov_b32 s6, 0
	s_cbranch_scc0 .LBB311_39
; %bb.31:
	s_min_u32 s7, s23, 15
	v_mov_b32_e32 v2, 0
	s_add_i32 s7, s7, 1
	s_cmp_eq_u32 s23, 2
	s_mov_b32 s8, 0
	s_cbranch_scc1 .LBB311_36
; %bb.32:
	v_dual_mov_b32 v3, 0 :: v_dual_mov_b32 v2, 0
	v_mov_b32_e32 v5, v4
	s_add_u32 s2, s0, 0xc4
	s_addc_u32 s3, s1, 0
	s_and_b32 s8, s7, 28
	s_mov_b32 s9, 0
	s_mov_b64 s[4:5], s[0:1]
.LBB311_33:                             ; =>This Inner Loop Header: Depth=1
	s_clause 0x1
	s_load_b256 s[12:19], s[4:5], 0x4
	s_load_b128 s[36:39], s[4:5], 0x24
	s_load_b256 s[24:31], s[2:3], 0x0
	s_add_u32 s4, s4, 48
	s_addc_u32 s5, s5, 0
	s_add_i32 s9, s9, 4
	s_add_u32 s2, s2, 32
	s_addc_u32 s3, s3, 0
	s_cmp_lg_u32 s8, s9
	s_waitcnt lgkmcnt(0)
	v_mul_hi_u32 v6, s13, v5
	s_delay_alu instid0(VALU_DEP_1) | instskip(NEXT) | instid1(VALU_DEP_1)
	v_add_nc_u32_e32 v6, v5, v6
	v_lshrrev_b32_e32 v6, s14, v6
	s_delay_alu instid0(VALU_DEP_1) | instskip(SKIP_1) | instid1(VALU_DEP_2)
	v_mul_hi_u32 v7, s16, v6
	v_mul_lo_u32 v9, v6, s12
	v_add_nc_u32_e32 v7, v6, v7
	s_delay_alu instid0(VALU_DEP_2) | instskip(NEXT) | instid1(VALU_DEP_2)
	v_sub_nc_u32_e32 v5, v5, v9
	v_lshrrev_b32_e32 v7, s17, v7
	s_delay_alu instid0(VALU_DEP_2) | instskip(SKIP_1) | instid1(VALU_DEP_3)
	v_mul_lo_u32 v9, v5, s24
	v_mul_lo_u32 v11, v5, s25
	v_mul_hi_u32 v8, s19, v7
	s_delay_alu instid0(VALU_DEP_1) | instskip(NEXT) | instid1(VALU_DEP_1)
	v_add_nc_u32_e32 v8, v7, v8
	v_lshrrev_b32_e32 v8, s36, v8
	s_delay_alu instid0(VALU_DEP_1) | instskip(SKIP_1) | instid1(VALU_DEP_2)
	v_mul_hi_u32 v10, s38, v8
	v_mul_lo_u32 v13, v8, s18
	v_add_nc_u32_e32 v5, v8, v10
	v_mul_lo_u32 v10, v7, s15
	s_delay_alu instid0(VALU_DEP_3) | instskip(NEXT) | instid1(VALU_DEP_3)
	v_sub_nc_u32_e32 v7, v7, v13
	v_lshrrev_b32_e32 v5, s39, v5
	s_delay_alu instid0(VALU_DEP_2) | instskip(SKIP_2) | instid1(VALU_DEP_4)
	v_mul_lo_u32 v13, v7, s28
	v_mul_lo_u32 v7, v7, s29
	v_sub_nc_u32_e32 v6, v6, v10
	v_mul_lo_u32 v15, v5, s37
	s_delay_alu instid0(VALU_DEP_2) | instskip(SKIP_1) | instid1(VALU_DEP_3)
	v_mul_lo_u32 v10, v6, s26
	v_mul_lo_u32 v6, v6, s27
	v_sub_nc_u32_e32 v8, v8, v15
	s_delay_alu instid0(VALU_DEP_3) | instskip(NEXT) | instid1(VALU_DEP_2)
	v_add3_u32 v2, v9, v2, v10
	v_mul_lo_u32 v15, v8, s30
	v_mul_lo_u32 v8, v8, s31
	v_add3_u32 v3, v11, v3, v6
	s_delay_alu instid0(VALU_DEP_3) | instskip(NEXT) | instid1(VALU_DEP_2)
	v_add3_u32 v2, v13, v2, v15
	v_add3_u32 v3, v7, v3, v8
	s_cbranch_scc1 .LBB311_33
; %bb.34:
	s_and_b32 s7, s7, 3
	s_delay_alu instid0(SALU_CYCLE_1)
	s_cmp_eq_u32 s7, 0
	s_cbranch_scc0 .LBB311_37
	s_branch .LBB311_39
.LBB311_35:
	s_mov_b32 s6, -1
                                        ; implicit-def: $vgpr2
                                        ; implicit-def: $vgpr3
	s_branch .LBB311_39
.LBB311_36:
	v_mov_b32_e32 v5, v4
	v_mov_b32_e32 v3, 0
	s_and_b32 s7, s7, 3
	s_delay_alu instid0(SALU_CYCLE_1)
	s_cmp_eq_u32 s7, 0
	s_cbranch_scc1 .LBB311_39
.LBB311_37:
	s_lshl_b32 s2, s8, 3
	s_mul_i32 s4, s8, 12
	s_add_u32 s2, s2, s0
	s_addc_u32 s3, 0, s1
	s_add_u32 s2, s2, 0xc4
	s_addc_u32 s3, s3, 0
	;; [unrolled: 2-line block ×3, first 2 shown]
	.p2align	6
.LBB311_38:                             ; =>This Inner Loop Header: Depth=1
	s_clause 0x1
	s_load_b64 s[8:9], s[4:5], 0x4
	s_load_b32 s12, s[4:5], 0xc
	s_load_b64 s[10:11], s[2:3], 0x0
	s_add_u32 s4, s4, 12
	s_addc_u32 s5, s5, 0
	s_add_u32 s2, s2, 8
	s_addc_u32 s3, s3, 0
	s_add_i32 s7, s7, -1
	s_delay_alu instid0(SALU_CYCLE_1) | instskip(SKIP_2) | instid1(VALU_DEP_1)
	s_cmp_lg_u32 s7, 0
	s_waitcnt lgkmcnt(0)
	v_mul_hi_u32 v6, s9, v5
	v_add_nc_u32_e32 v6, v5, v6
	s_delay_alu instid0(VALU_DEP_1) | instskip(NEXT) | instid1(VALU_DEP_1)
	v_lshrrev_b32_e32 v9, s12, v6
	v_mul_lo_u32 v6, v9, s8
	s_delay_alu instid0(VALU_DEP_1) | instskip(NEXT) | instid1(VALU_DEP_1)
	v_sub_nc_u32_e32 v5, v5, v6
	v_mad_u64_u32 v[6:7], null, v5, s10, v[2:3]
	v_mad_u64_u32 v[7:8], null, v5, s11, v[3:4]
	s_delay_alu instid0(VALU_DEP_2) | instskip(NEXT) | instid1(VALU_DEP_2)
	v_dual_mov_b32 v5, v9 :: v_dual_mov_b32 v2, v6
	v_mov_b32_e32 v3, v7
	s_cbranch_scc1 .LBB311_38
.LBB311_39:
	s_and_not1_b32 vcc_lo, exec_lo, s6
	s_cbranch_vccnz .LBB311_42
; %bb.40:
	s_clause 0x1
	s_load_b128 s[4:7], s[0:1], 0x4
	s_load_b64 s[2:3], s[0:1], 0xc4
	s_cmp_lt_u32 s22, 2
	s_waitcnt lgkmcnt(0)
	v_mul_hi_u32 v2, s5, v4
	s_delay_alu instid0(VALU_DEP_1) | instskip(NEXT) | instid1(VALU_DEP_1)
	v_add_nc_u32_e32 v2, v4, v2
	v_lshrrev_b32_e32 v5, s6, v2
	s_delay_alu instid0(VALU_DEP_1) | instskip(NEXT) | instid1(VALU_DEP_1)
	v_mul_lo_u32 v2, v5, s4
	v_sub_nc_u32_e32 v3, v4, v2
	s_delay_alu instid0(VALU_DEP_1)
	v_mul_lo_u32 v2, v3, s2
	v_mul_lo_u32 v3, v3, s3
	s_cbranch_scc1 .LBB311_42
; %bb.41:
	s_clause 0x1
	s_load_b128 s[4:7], s[0:1], 0x10
	s_load_b64 s[2:3], s[0:1], 0xcc
	s_waitcnt lgkmcnt(0)
	v_mul_hi_u32 v4, s5, v5
	s_delay_alu instid0(VALU_DEP_1) | instskip(NEXT) | instid1(VALU_DEP_1)
	v_add_nc_u32_e32 v4, v5, v4
	v_lshrrev_b32_e32 v4, s6, v4
	s_delay_alu instid0(VALU_DEP_1) | instskip(NEXT) | instid1(VALU_DEP_1)
	v_mul_lo_u32 v4, v4, s4
	v_sub_nc_u32_e32 v7, v5, v4
	s_delay_alu instid0(VALU_DEP_1) | instskip(NEXT) | instid1(VALU_DEP_1)
	v_mad_u64_u32 v[4:5], null, v7, s2, v[2:3]
	v_mad_u64_u32 v[5:6], null, v7, s3, v[3:4]
	s_delay_alu instid0(VALU_DEP_1)
	v_dual_mov_b32 v2, v4 :: v_dual_mov_b32 v3, v5
.LBB311_42:
	v_cmp_ne_u32_e32 vcc_lo, 1, v14
	v_add_nc_u32_e32 v6, 0x100, v12
	s_cbranch_vccnz .LBB311_48
; %bb.43:
	v_dual_mov_b32 v4, 0 :: v_dual_mov_b32 v5, 0
	s_cmp_lg_u32 s22, 0
	s_mov_b32 s6, 0
	s_cbranch_scc0 .LBB311_52
; %bb.44:
	s_min_u32 s7, s23, 15
	v_mov_b32_e32 v4, 0
	s_add_i32 s7, s7, 1
	s_cmp_eq_u32 s23, 2
	s_mov_b32 s8, 0
	s_cbranch_scc1 .LBB311_49
; %bb.45:
	v_dual_mov_b32 v5, 0 :: v_dual_mov_b32 v4, 0
	v_mov_b32_e32 v7, v6
	s_add_u32 s2, s0, 0xc4
	s_addc_u32 s3, s1, 0
	s_and_b32 s8, s7, 28
	s_mov_b32 s9, 0
	s_mov_b64 s[4:5], s[0:1]
.LBB311_46:                             ; =>This Inner Loop Header: Depth=1
	s_clause 0x1
	s_load_b256 s[12:19], s[4:5], 0x4
	s_load_b128 s[36:39], s[4:5], 0x24
	s_load_b256 s[24:31], s[2:3], 0x0
	s_add_u32 s4, s4, 48
	s_addc_u32 s5, s5, 0
	s_add_i32 s9, s9, 4
	s_add_u32 s2, s2, 32
	s_addc_u32 s3, s3, 0
	s_cmp_lg_u32 s8, s9
	s_waitcnt lgkmcnt(0)
	v_mul_hi_u32 v8, s13, v7
	s_delay_alu instid0(VALU_DEP_1) | instskip(NEXT) | instid1(VALU_DEP_1)
	v_add_nc_u32_e32 v8, v7, v8
	v_lshrrev_b32_e32 v8, s14, v8
	s_delay_alu instid0(VALU_DEP_1) | instskip(SKIP_1) | instid1(VALU_DEP_2)
	v_mul_hi_u32 v9, s16, v8
	v_mul_lo_u32 v11, v8, s12
	v_add_nc_u32_e32 v9, v8, v9
	s_delay_alu instid0(VALU_DEP_2) | instskip(NEXT) | instid1(VALU_DEP_2)
	v_sub_nc_u32_e32 v7, v7, v11
	v_lshrrev_b32_e32 v9, s17, v9
	s_delay_alu instid0(VALU_DEP_2) | instskip(SKIP_1) | instid1(VALU_DEP_3)
	v_mul_lo_u32 v11, v7, s24
	v_mul_lo_u32 v15, v7, s25
	v_mul_hi_u32 v10, s19, v9
	s_delay_alu instid0(VALU_DEP_1) | instskip(NEXT) | instid1(VALU_DEP_1)
	v_add_nc_u32_e32 v10, v9, v10
	v_lshrrev_b32_e32 v10, s36, v10
	s_delay_alu instid0(VALU_DEP_1) | instskip(SKIP_1) | instid1(VALU_DEP_2)
	v_mul_hi_u32 v13, s38, v10
	v_mul_lo_u32 v17, v10, s18
	v_add_nc_u32_e32 v7, v10, v13
	v_mul_lo_u32 v13, v9, s15
	s_delay_alu instid0(VALU_DEP_3) | instskip(NEXT) | instid1(VALU_DEP_3)
	v_sub_nc_u32_e32 v9, v9, v17
	v_lshrrev_b32_e32 v7, s39, v7
	s_delay_alu instid0(VALU_DEP_2) | instskip(SKIP_2) | instid1(VALU_DEP_4)
	v_mul_lo_u32 v17, v9, s28
	v_mul_lo_u32 v9, v9, s29
	v_sub_nc_u32_e32 v8, v8, v13
	v_mul_lo_u32 v18, v7, s37
	s_delay_alu instid0(VALU_DEP_2) | instskip(SKIP_1) | instid1(VALU_DEP_3)
	v_mul_lo_u32 v13, v8, s26
	v_mul_lo_u32 v8, v8, s27
	v_sub_nc_u32_e32 v10, v10, v18
	s_delay_alu instid0(VALU_DEP_3) | instskip(NEXT) | instid1(VALU_DEP_2)
	v_add3_u32 v4, v11, v4, v13
	v_mul_lo_u32 v18, v10, s30
	v_mul_lo_u32 v10, v10, s31
	v_add3_u32 v5, v15, v5, v8
	s_delay_alu instid0(VALU_DEP_3) | instskip(NEXT) | instid1(VALU_DEP_2)
	v_add3_u32 v4, v17, v4, v18
	v_add3_u32 v5, v9, v5, v10
	s_cbranch_scc1 .LBB311_46
; %bb.47:
	s_and_b32 s7, s7, 3
	s_delay_alu instid0(SALU_CYCLE_1)
	s_cmp_eq_u32 s7, 0
	s_cbranch_scc0 .LBB311_50
	s_branch .LBB311_52
.LBB311_48:
	s_mov_b32 s6, -1
                                        ; implicit-def: $vgpr4
                                        ; implicit-def: $vgpr5
	s_branch .LBB311_52
.LBB311_49:
	v_mov_b32_e32 v7, v6
	v_mov_b32_e32 v5, 0
	s_and_b32 s7, s7, 3
	s_delay_alu instid0(SALU_CYCLE_1)
	s_cmp_eq_u32 s7, 0
	s_cbranch_scc1 .LBB311_52
.LBB311_50:
	s_lshl_b32 s2, s8, 3
	s_mul_i32 s4, s8, 12
	s_add_u32 s2, s2, s0
	s_addc_u32 s3, 0, s1
	s_add_u32 s2, s2, 0xc4
	s_addc_u32 s3, s3, 0
	;; [unrolled: 2-line block ×3, first 2 shown]
	.p2align	6
.LBB311_51:                             ; =>This Inner Loop Header: Depth=1
	s_clause 0x1
	s_load_b64 s[8:9], s[4:5], 0x4
	s_load_b32 s12, s[4:5], 0xc
	s_load_b64 s[10:11], s[2:3], 0x0
	s_add_u32 s4, s4, 12
	s_addc_u32 s5, s5, 0
	s_add_u32 s2, s2, 8
	s_addc_u32 s3, s3, 0
	s_add_i32 s7, s7, -1
	s_delay_alu instid0(SALU_CYCLE_1) | instskip(SKIP_2) | instid1(VALU_DEP_1)
	s_cmp_lg_u32 s7, 0
	s_waitcnt lgkmcnt(0)
	v_mul_hi_u32 v8, s9, v7
	v_add_nc_u32_e32 v8, v7, v8
	s_delay_alu instid0(VALU_DEP_1) | instskip(NEXT) | instid1(VALU_DEP_1)
	v_lshrrev_b32_e32 v11, s12, v8
	v_mul_lo_u32 v8, v11, s8
	s_delay_alu instid0(VALU_DEP_1) | instskip(NEXT) | instid1(VALU_DEP_1)
	v_sub_nc_u32_e32 v7, v7, v8
	v_mad_u64_u32 v[8:9], null, v7, s10, v[4:5]
	v_mad_u64_u32 v[9:10], null, v7, s11, v[5:6]
	s_delay_alu instid0(VALU_DEP_2) | instskip(NEXT) | instid1(VALU_DEP_2)
	v_dual_mov_b32 v7, v11 :: v_dual_mov_b32 v4, v8
	v_mov_b32_e32 v5, v9
	s_cbranch_scc1 .LBB311_51
.LBB311_52:
	s_and_not1_b32 vcc_lo, exec_lo, s6
	s_cbranch_vccnz .LBB311_55
; %bb.53:
	s_clause 0x1
	s_load_b128 s[4:7], s[0:1], 0x4
	s_load_b64 s[2:3], s[0:1], 0xc4
	s_cmp_lt_u32 s22, 2
	s_waitcnt lgkmcnt(0)
	v_mul_hi_u32 v4, s5, v6
	s_delay_alu instid0(VALU_DEP_1) | instskip(NEXT) | instid1(VALU_DEP_1)
	v_add_nc_u32_e32 v4, v6, v4
	v_lshrrev_b32_e32 v7, s6, v4
	s_delay_alu instid0(VALU_DEP_1) | instskip(NEXT) | instid1(VALU_DEP_1)
	v_mul_lo_u32 v4, v7, s4
	v_sub_nc_u32_e32 v5, v6, v4
	s_delay_alu instid0(VALU_DEP_1)
	v_mul_lo_u32 v4, v5, s2
	v_mul_lo_u32 v5, v5, s3
	s_cbranch_scc1 .LBB311_55
; %bb.54:
	s_clause 0x1
	s_load_b128 s[4:7], s[0:1], 0x10
	s_load_b64 s[2:3], s[0:1], 0xcc
	s_waitcnt lgkmcnt(0)
	v_mul_hi_u32 v6, s5, v7
	s_delay_alu instid0(VALU_DEP_1) | instskip(NEXT) | instid1(VALU_DEP_1)
	v_add_nc_u32_e32 v6, v7, v6
	v_lshrrev_b32_e32 v6, s6, v6
	s_delay_alu instid0(VALU_DEP_1) | instskip(NEXT) | instid1(VALU_DEP_1)
	v_mul_lo_u32 v6, v6, s4
	v_sub_nc_u32_e32 v9, v7, v6
	s_delay_alu instid0(VALU_DEP_1) | instskip(NEXT) | instid1(VALU_DEP_1)
	v_mad_u64_u32 v[6:7], null, v9, s2, v[4:5]
	v_mad_u64_u32 v[7:8], null, v9, s3, v[5:6]
	s_delay_alu instid0(VALU_DEP_1)
	v_dual_mov_b32 v4, v6 :: v_dual_mov_b32 v5, v7
.LBB311_55:
	v_cmp_ne_u32_e32 vcc_lo, 1, v14
	v_add_nc_u32_e32 v8, 0x180, v12
	s_cbranch_vccnz .LBB311_61
; %bb.56:
	v_dual_mov_b32 v6, 0 :: v_dual_mov_b32 v7, 0
	s_cmp_lg_u32 s22, 0
	s_mov_b32 s6, 0
	s_cbranch_scc0 .LBB311_65
; %bb.57:
	s_min_u32 s7, s23, 15
	v_mov_b32_e32 v6, 0
	s_add_i32 s7, s7, 1
	s_cmp_eq_u32 s23, 2
	s_mov_b32 s8, 0
	s_cbranch_scc1 .LBB311_62
; %bb.58:
	v_dual_mov_b32 v7, 0 :: v_dual_mov_b32 v6, 0
	v_mov_b32_e32 v9, v8
	s_add_u32 s2, s0, 0xc4
	s_addc_u32 s3, s1, 0
	s_and_b32 s8, s7, 28
	s_mov_b32 s9, 0
	s_mov_b64 s[4:5], s[0:1]
.LBB311_59:                             ; =>This Inner Loop Header: Depth=1
	s_clause 0x1
	s_load_b256 s[12:19], s[4:5], 0x4
	s_load_b128 s[36:39], s[4:5], 0x24
	s_load_b256 s[24:31], s[2:3], 0x0
	s_add_u32 s4, s4, 48
	s_addc_u32 s5, s5, 0
	s_add_i32 s9, s9, 4
	s_add_u32 s2, s2, 32
	s_addc_u32 s3, s3, 0
	s_cmp_lg_u32 s8, s9
	s_waitcnt lgkmcnt(0)
	v_mul_hi_u32 v10, s13, v9
	s_delay_alu instid0(VALU_DEP_1) | instskip(NEXT) | instid1(VALU_DEP_1)
	v_add_nc_u32_e32 v10, v9, v10
	v_lshrrev_b32_e32 v10, s14, v10
	s_delay_alu instid0(VALU_DEP_1) | instskip(SKIP_1) | instid1(VALU_DEP_2)
	v_mul_hi_u32 v11, s16, v10
	v_mul_lo_u32 v15, v10, s12
	v_add_nc_u32_e32 v11, v10, v11
	s_delay_alu instid0(VALU_DEP_2) | instskip(NEXT) | instid1(VALU_DEP_2)
	v_sub_nc_u32_e32 v9, v9, v15
	v_lshrrev_b32_e32 v11, s17, v11
	s_delay_alu instid0(VALU_DEP_2) | instskip(SKIP_1) | instid1(VALU_DEP_3)
	v_mul_lo_u32 v15, v9, s24
	v_mul_lo_u32 v18, v9, s25
	v_mul_hi_u32 v13, s19, v11
	s_delay_alu instid0(VALU_DEP_1) | instskip(NEXT) | instid1(VALU_DEP_1)
	v_add_nc_u32_e32 v13, v11, v13
	v_lshrrev_b32_e32 v13, s36, v13
	s_delay_alu instid0(VALU_DEP_1) | instskip(SKIP_1) | instid1(VALU_DEP_2)
	v_mul_hi_u32 v17, s38, v13
	v_mul_lo_u32 v19, v13, s18
	v_add_nc_u32_e32 v9, v13, v17
	v_mul_lo_u32 v17, v11, s15
	s_delay_alu instid0(VALU_DEP_3) | instskip(NEXT) | instid1(VALU_DEP_3)
	v_sub_nc_u32_e32 v11, v11, v19
	v_lshrrev_b32_e32 v9, s39, v9
	s_delay_alu instid0(VALU_DEP_2) | instskip(SKIP_2) | instid1(VALU_DEP_4)
	v_mul_lo_u32 v19, v11, s28
	v_mul_lo_u32 v11, v11, s29
	v_sub_nc_u32_e32 v10, v10, v17
	v_mul_lo_u32 v20, v9, s37
	s_delay_alu instid0(VALU_DEP_2) | instskip(SKIP_1) | instid1(VALU_DEP_3)
	v_mul_lo_u32 v17, v10, s26
	v_mul_lo_u32 v10, v10, s27
	v_sub_nc_u32_e32 v13, v13, v20
	s_delay_alu instid0(VALU_DEP_3) | instskip(NEXT) | instid1(VALU_DEP_2)
	v_add3_u32 v6, v15, v6, v17
	v_mul_lo_u32 v20, v13, s30
	v_mul_lo_u32 v13, v13, s31
	v_add3_u32 v7, v18, v7, v10
	s_delay_alu instid0(VALU_DEP_3) | instskip(NEXT) | instid1(VALU_DEP_2)
	v_add3_u32 v6, v19, v6, v20
	v_add3_u32 v7, v11, v7, v13
	s_cbranch_scc1 .LBB311_59
; %bb.60:
	s_and_b32 s7, s7, 3
	s_delay_alu instid0(SALU_CYCLE_1)
	s_cmp_eq_u32 s7, 0
	s_cbranch_scc0 .LBB311_63
	s_branch .LBB311_65
.LBB311_61:
	s_mov_b32 s6, -1
                                        ; implicit-def: $vgpr6
                                        ; implicit-def: $vgpr7
	s_branch .LBB311_65
.LBB311_62:
	v_mov_b32_e32 v9, v8
	v_mov_b32_e32 v7, 0
	s_and_b32 s7, s7, 3
	s_delay_alu instid0(SALU_CYCLE_1)
	s_cmp_eq_u32 s7, 0
	s_cbranch_scc1 .LBB311_65
.LBB311_63:
	s_lshl_b32 s2, s8, 3
	s_mul_i32 s4, s8, 12
	s_add_u32 s2, s2, s0
	s_addc_u32 s3, 0, s1
	s_add_u32 s2, s2, 0xc4
	s_addc_u32 s3, s3, 0
	;; [unrolled: 2-line block ×3, first 2 shown]
	.p2align	6
.LBB311_64:                             ; =>This Inner Loop Header: Depth=1
	s_clause 0x1
	s_load_b64 s[8:9], s[4:5], 0x4
	s_load_b32 s12, s[4:5], 0xc
	s_load_b64 s[10:11], s[2:3], 0x0
	s_add_u32 s4, s4, 12
	s_addc_u32 s5, s5, 0
	s_add_u32 s2, s2, 8
	s_addc_u32 s3, s3, 0
	s_add_i32 s7, s7, -1
	s_delay_alu instid0(SALU_CYCLE_1) | instskip(SKIP_2) | instid1(VALU_DEP_1)
	s_cmp_lg_u32 s7, 0
	s_waitcnt lgkmcnt(0)
	v_mul_hi_u32 v10, s9, v9
	v_add_nc_u32_e32 v10, v9, v10
	s_delay_alu instid0(VALU_DEP_1) | instskip(NEXT) | instid1(VALU_DEP_1)
	v_lshrrev_b32_e32 v13, s12, v10
	v_mul_lo_u32 v10, v13, s8
	s_delay_alu instid0(VALU_DEP_1) | instskip(NEXT) | instid1(VALU_DEP_1)
	v_sub_nc_u32_e32 v9, v9, v10
	v_mad_u64_u32 v[10:11], null, v9, s10, v[6:7]
	v_mad_u64_u32 v[17:18], null, v9, s11, v[7:8]
	s_delay_alu instid0(VALU_DEP_2) | instskip(NEXT) | instid1(VALU_DEP_2)
	v_dual_mov_b32 v9, v13 :: v_dual_mov_b32 v6, v10
	v_mov_b32_e32 v7, v17
	s_cbranch_scc1 .LBB311_64
.LBB311_65:
	s_and_not1_b32 vcc_lo, exec_lo, s6
	s_cbranch_vccnz .LBB311_68
; %bb.66:
	s_clause 0x1
	s_load_b128 s[4:7], s[0:1], 0x4
	s_load_b64 s[2:3], s[0:1], 0xc4
	s_cmp_lt_u32 s22, 2
	s_waitcnt lgkmcnt(0)
	v_mul_hi_u32 v6, s5, v8
	s_delay_alu instid0(VALU_DEP_1) | instskip(NEXT) | instid1(VALU_DEP_1)
	v_add_nc_u32_e32 v6, v8, v6
	v_lshrrev_b32_e32 v9, s6, v6
	s_delay_alu instid0(VALU_DEP_1) | instskip(NEXT) | instid1(VALU_DEP_1)
	v_mul_lo_u32 v6, v9, s4
	v_sub_nc_u32_e32 v7, v8, v6
	s_delay_alu instid0(VALU_DEP_1)
	v_mul_lo_u32 v6, v7, s2
	v_mul_lo_u32 v7, v7, s3
	s_cbranch_scc1 .LBB311_68
; %bb.67:
	s_clause 0x1
	s_load_b128 s[4:7], s[0:1], 0x10
	s_load_b64 s[2:3], s[0:1], 0xcc
	s_waitcnt lgkmcnt(0)
	v_mul_hi_u32 v8, s5, v9
	s_delay_alu instid0(VALU_DEP_1) | instskip(NEXT) | instid1(VALU_DEP_1)
	v_add_nc_u32_e32 v8, v9, v8
	v_lshrrev_b32_e32 v8, s6, v8
	s_delay_alu instid0(VALU_DEP_1) | instskip(NEXT) | instid1(VALU_DEP_1)
	v_mul_lo_u32 v8, v8, s4
	v_sub_nc_u32_e32 v11, v9, v8
	s_delay_alu instid0(VALU_DEP_1) | instskip(NEXT) | instid1(VALU_DEP_1)
	v_mad_u64_u32 v[8:9], null, v11, s2, v[6:7]
	v_mad_u64_u32 v[9:10], null, v11, s3, v[7:8]
	s_delay_alu instid0(VALU_DEP_1)
	v_dual_mov_b32 v6, v8 :: v_dual_mov_b32 v7, v9
.LBB311_68:
	v_cmp_ne_u32_e32 vcc_lo, 1, v14
	v_add_nc_u32_e32 v10, 0x200, v12
	s_cbranch_vccnz .LBB311_74
; %bb.69:
	v_dual_mov_b32 v8, 0 :: v_dual_mov_b32 v9, 0
	s_cmp_lg_u32 s22, 0
	s_mov_b32 s6, 0
	s_cbranch_scc0 .LBB311_78
; %bb.70:
	s_min_u32 s7, s23, 15
	v_mov_b32_e32 v8, 0
	s_add_i32 s7, s7, 1
	s_cmp_eq_u32 s23, 2
	s_mov_b32 s8, 0
	s_cbranch_scc1 .LBB311_75
; %bb.71:
	v_dual_mov_b32 v9, 0 :: v_dual_mov_b32 v8, 0
	v_mov_b32_e32 v11, v10
	s_add_u32 s2, s0, 0xc4
	s_addc_u32 s3, s1, 0
	s_and_b32 s8, s7, 28
	s_mov_b32 s9, 0
	s_mov_b64 s[4:5], s[0:1]
.LBB311_72:                             ; =>This Inner Loop Header: Depth=1
	s_clause 0x1
	s_load_b256 s[12:19], s[4:5], 0x4
	s_load_b128 s[36:39], s[4:5], 0x24
	s_load_b256 s[24:31], s[2:3], 0x0
	s_add_u32 s4, s4, 48
	s_addc_u32 s5, s5, 0
	s_add_i32 s9, s9, 4
	s_add_u32 s2, s2, 32
	s_addc_u32 s3, s3, 0
	s_cmp_lg_u32 s8, s9
	s_waitcnt lgkmcnt(0)
	v_mul_hi_u32 v13, s13, v11
	s_delay_alu instid0(VALU_DEP_1) | instskip(NEXT) | instid1(VALU_DEP_1)
	v_add_nc_u32_e32 v13, v11, v13
	v_lshrrev_b32_e32 v13, s14, v13
	s_delay_alu instid0(VALU_DEP_1) | instskip(SKIP_1) | instid1(VALU_DEP_2)
	v_mul_hi_u32 v15, s16, v13
	v_mul_lo_u32 v18, v13, s12
	v_add_nc_u32_e32 v15, v13, v15
	s_delay_alu instid0(VALU_DEP_2) | instskip(NEXT) | instid1(VALU_DEP_2)
	v_sub_nc_u32_e32 v11, v11, v18
	v_lshrrev_b32_e32 v15, s17, v15
	s_delay_alu instid0(VALU_DEP_2) | instskip(SKIP_1) | instid1(VALU_DEP_3)
	v_mul_lo_u32 v18, v11, s24
	v_mul_lo_u32 v20, v11, s25
	v_mul_hi_u32 v17, s19, v15
	s_delay_alu instid0(VALU_DEP_1) | instskip(NEXT) | instid1(VALU_DEP_1)
	v_add_nc_u32_e32 v17, v15, v17
	v_lshrrev_b32_e32 v17, s36, v17
	s_delay_alu instid0(VALU_DEP_1) | instskip(SKIP_1) | instid1(VALU_DEP_2)
	v_mul_hi_u32 v19, s38, v17
	v_mul_lo_u32 v21, v17, s18
	v_add_nc_u32_e32 v11, v17, v19
	v_mul_lo_u32 v19, v15, s15
	s_delay_alu instid0(VALU_DEP_3) | instskip(NEXT) | instid1(VALU_DEP_3)
	v_sub_nc_u32_e32 v15, v15, v21
	v_lshrrev_b32_e32 v11, s39, v11
	s_delay_alu instid0(VALU_DEP_2) | instskip(SKIP_2) | instid1(VALU_DEP_4)
	v_mul_lo_u32 v21, v15, s28
	v_mul_lo_u32 v15, v15, s29
	v_sub_nc_u32_e32 v13, v13, v19
	v_mul_lo_u32 v22, v11, s37
	s_delay_alu instid0(VALU_DEP_2) | instskip(SKIP_1) | instid1(VALU_DEP_3)
	v_mul_lo_u32 v19, v13, s26
	v_mul_lo_u32 v13, v13, s27
	v_sub_nc_u32_e32 v17, v17, v22
	s_delay_alu instid0(VALU_DEP_3) | instskip(NEXT) | instid1(VALU_DEP_2)
	v_add3_u32 v8, v18, v8, v19
	v_mul_lo_u32 v22, v17, s30
	v_mul_lo_u32 v17, v17, s31
	v_add3_u32 v9, v20, v9, v13
	s_delay_alu instid0(VALU_DEP_3) | instskip(NEXT) | instid1(VALU_DEP_2)
	v_add3_u32 v8, v21, v8, v22
	v_add3_u32 v9, v15, v9, v17
	s_cbranch_scc1 .LBB311_72
; %bb.73:
	s_and_b32 s7, s7, 3
	s_delay_alu instid0(SALU_CYCLE_1)
	s_cmp_eq_u32 s7, 0
	s_cbranch_scc0 .LBB311_76
	s_branch .LBB311_78
.LBB311_74:
	s_mov_b32 s6, -1
                                        ; implicit-def: $vgpr8
                                        ; implicit-def: $vgpr9
	s_branch .LBB311_78
.LBB311_75:
	v_mov_b32_e32 v11, v10
	v_mov_b32_e32 v9, 0
	s_and_b32 s7, s7, 3
	s_delay_alu instid0(SALU_CYCLE_1)
	s_cmp_eq_u32 s7, 0
	s_cbranch_scc1 .LBB311_78
.LBB311_76:
	s_lshl_b32 s2, s8, 3
	s_mul_i32 s4, s8, 12
	s_add_u32 s2, s2, s0
	s_addc_u32 s3, 0, s1
	s_add_u32 s2, s2, 0xc4
	s_addc_u32 s3, s3, 0
	;; [unrolled: 2-line block ×3, first 2 shown]
	.p2align	6
.LBB311_77:                             ; =>This Inner Loop Header: Depth=1
	s_clause 0x1
	s_load_b64 s[8:9], s[4:5], 0x4
	s_load_b32 s12, s[4:5], 0xc
	s_load_b64 s[10:11], s[2:3], 0x0
	s_add_u32 s4, s4, 12
	s_addc_u32 s5, s5, 0
	s_add_u32 s2, s2, 8
	s_addc_u32 s3, s3, 0
	s_add_i32 s7, s7, -1
	s_delay_alu instid0(SALU_CYCLE_1) | instskip(SKIP_2) | instid1(VALU_DEP_1)
	s_cmp_lg_u32 s7, 0
	s_waitcnt lgkmcnt(0)
	v_mul_hi_u32 v13, s9, v11
	v_add_nc_u32_e32 v13, v11, v13
	s_delay_alu instid0(VALU_DEP_1) | instskip(NEXT) | instid1(VALU_DEP_1)
	v_lshrrev_b32_e32 v13, s12, v13
	v_mul_lo_u32 v15, v13, s8
	s_delay_alu instid0(VALU_DEP_1) | instskip(NEXT) | instid1(VALU_DEP_1)
	v_sub_nc_u32_e32 v11, v11, v15
	v_mad_u64_u32 v[17:18], null, v11, s10, v[8:9]
	v_mad_u64_u32 v[18:19], null, v11, s11, v[9:10]
	v_mov_b32_e32 v11, v13
	s_delay_alu instid0(VALU_DEP_2)
	v_dual_mov_b32 v8, v17 :: v_dual_mov_b32 v9, v18
	s_cbranch_scc1 .LBB311_77
.LBB311_78:
	s_and_not1_b32 vcc_lo, exec_lo, s6
	s_cbranch_vccnz .LBB311_81
; %bb.79:
	s_clause 0x1
	s_load_b128 s[4:7], s[0:1], 0x4
	s_load_b64 s[2:3], s[0:1], 0xc4
	s_cmp_lt_u32 s22, 2
	s_waitcnt lgkmcnt(0)
	v_mul_hi_u32 v8, s5, v10
	s_delay_alu instid0(VALU_DEP_1) | instskip(NEXT) | instid1(VALU_DEP_1)
	v_add_nc_u32_e32 v8, v10, v8
	v_lshrrev_b32_e32 v11, s6, v8
	s_delay_alu instid0(VALU_DEP_1) | instskip(NEXT) | instid1(VALU_DEP_1)
	v_mul_lo_u32 v8, v11, s4
	v_sub_nc_u32_e32 v9, v10, v8
	s_delay_alu instid0(VALU_DEP_1)
	v_mul_lo_u32 v8, v9, s2
	v_mul_lo_u32 v9, v9, s3
	s_cbranch_scc1 .LBB311_81
; %bb.80:
	s_clause 0x1
	s_load_b128 s[4:7], s[0:1], 0x10
	s_load_b64 s[2:3], s[0:1], 0xcc
	s_waitcnt lgkmcnt(0)
	v_mul_hi_u32 v10, s5, v11
	s_delay_alu instid0(VALU_DEP_1) | instskip(NEXT) | instid1(VALU_DEP_1)
	v_add_nc_u32_e32 v10, v11, v10
	v_lshrrev_b32_e32 v10, s6, v10
	s_delay_alu instid0(VALU_DEP_1) | instskip(NEXT) | instid1(VALU_DEP_1)
	v_mul_lo_u32 v10, v10, s4
	v_sub_nc_u32_e32 v13, v11, v10
	s_delay_alu instid0(VALU_DEP_1) | instskip(NEXT) | instid1(VALU_DEP_1)
	v_mad_u64_u32 v[10:11], null, v13, s2, v[8:9]
	v_mad_u64_u32 v[17:18], null, v13, s3, v[9:10]
	s_delay_alu instid0(VALU_DEP_1)
	v_dual_mov_b32 v8, v10 :: v_dual_mov_b32 v9, v17
.LBB311_81:
	v_cmp_ne_u32_e32 vcc_lo, 1, v14
	v_add_nc_u32_e32 v13, 0x280, v12
	s_cbranch_vccnz .LBB311_87
; %bb.82:
	v_dual_mov_b32 v10, 0 :: v_dual_mov_b32 v11, 0
	s_cmp_lg_u32 s22, 0
	s_mov_b32 s6, 0
	s_cbranch_scc0 .LBB311_91
; %bb.83:
	s_min_u32 s7, s23, 15
	v_mov_b32_e32 v10, 0
	s_add_i32 s7, s7, 1
	s_cmp_eq_u32 s23, 2
	s_mov_b32 s8, 0
	s_cbranch_scc1 .LBB311_88
; %bb.84:
	v_dual_mov_b32 v11, 0 :: v_dual_mov_b32 v10, 0
	v_mov_b32_e32 v15, v13
	s_add_u32 s2, s0, 0xc4
	s_addc_u32 s3, s1, 0
	s_and_b32 s8, s7, 28
	s_mov_b32 s9, 0
	s_mov_b64 s[4:5], s[0:1]
.LBB311_85:                             ; =>This Inner Loop Header: Depth=1
	s_clause 0x1
	s_load_b256 s[12:19], s[4:5], 0x4
	s_load_b128 s[36:39], s[4:5], 0x24
	s_load_b256 s[24:31], s[2:3], 0x0
	s_add_u32 s4, s4, 48
	s_addc_u32 s5, s5, 0
	s_add_i32 s9, s9, 4
	s_add_u32 s2, s2, 32
	s_addc_u32 s3, s3, 0
	s_cmp_lg_u32 s8, s9
	s_waitcnt lgkmcnt(0)
	v_mul_hi_u32 v17, s13, v15
	s_delay_alu instid0(VALU_DEP_1) | instskip(NEXT) | instid1(VALU_DEP_1)
	v_add_nc_u32_e32 v17, v15, v17
	v_lshrrev_b32_e32 v17, s14, v17
	s_delay_alu instid0(VALU_DEP_1) | instskip(SKIP_1) | instid1(VALU_DEP_2)
	v_mul_hi_u32 v18, s16, v17
	v_mul_lo_u32 v20, v17, s12
	v_add_nc_u32_e32 v18, v17, v18
	s_delay_alu instid0(VALU_DEP_2) | instskip(NEXT) | instid1(VALU_DEP_2)
	v_sub_nc_u32_e32 v15, v15, v20
	v_lshrrev_b32_e32 v18, s17, v18
	s_delay_alu instid0(VALU_DEP_2) | instskip(SKIP_1) | instid1(VALU_DEP_3)
	v_mul_lo_u32 v20, v15, s24
	v_mul_lo_u32 v22, v15, s25
	v_mul_hi_u32 v19, s19, v18
	s_delay_alu instid0(VALU_DEP_1) | instskip(NEXT) | instid1(VALU_DEP_1)
	v_add_nc_u32_e32 v19, v18, v19
	v_lshrrev_b32_e32 v19, s36, v19
	s_delay_alu instid0(VALU_DEP_1) | instskip(SKIP_1) | instid1(VALU_DEP_2)
	v_mul_hi_u32 v21, s38, v19
	v_mul_lo_u32 v23, v19, s18
	v_add_nc_u32_e32 v15, v19, v21
	v_mul_lo_u32 v21, v18, s15
	s_delay_alu instid0(VALU_DEP_3) | instskip(NEXT) | instid1(VALU_DEP_3)
	v_sub_nc_u32_e32 v18, v18, v23
	v_lshrrev_b32_e32 v15, s39, v15
	s_delay_alu instid0(VALU_DEP_2) | instskip(SKIP_2) | instid1(VALU_DEP_4)
	v_mul_lo_u32 v23, v18, s28
	v_mul_lo_u32 v18, v18, s29
	v_sub_nc_u32_e32 v17, v17, v21
	v_mul_lo_u32 v24, v15, s37
	s_delay_alu instid0(VALU_DEP_2) | instskip(SKIP_1) | instid1(VALU_DEP_3)
	v_mul_lo_u32 v21, v17, s26
	v_mul_lo_u32 v17, v17, s27
	v_sub_nc_u32_e32 v19, v19, v24
	s_delay_alu instid0(VALU_DEP_3) | instskip(NEXT) | instid1(VALU_DEP_2)
	v_add3_u32 v10, v20, v10, v21
	v_mul_lo_u32 v24, v19, s30
	v_mul_lo_u32 v19, v19, s31
	v_add3_u32 v11, v22, v11, v17
	s_delay_alu instid0(VALU_DEP_3) | instskip(NEXT) | instid1(VALU_DEP_2)
	v_add3_u32 v10, v23, v10, v24
	v_add3_u32 v11, v18, v11, v19
	s_cbranch_scc1 .LBB311_85
; %bb.86:
	s_and_b32 s7, s7, 3
	s_delay_alu instid0(SALU_CYCLE_1)
	s_cmp_eq_u32 s7, 0
	s_cbranch_scc0 .LBB311_89
	s_branch .LBB311_91
.LBB311_87:
	s_mov_b32 s6, -1
                                        ; implicit-def: $vgpr10
                                        ; implicit-def: $vgpr11
	s_branch .LBB311_91
.LBB311_88:
	v_mov_b32_e32 v15, v13
	v_mov_b32_e32 v11, 0
	s_and_b32 s7, s7, 3
	s_delay_alu instid0(SALU_CYCLE_1)
	s_cmp_eq_u32 s7, 0
	s_cbranch_scc1 .LBB311_91
.LBB311_89:
	s_lshl_b32 s2, s8, 3
	s_mul_i32 s4, s8, 12
	s_add_u32 s2, s2, s0
	s_addc_u32 s3, 0, s1
	s_add_u32 s2, s2, 0xc4
	s_addc_u32 s3, s3, 0
	;; [unrolled: 2-line block ×3, first 2 shown]
	.p2align	6
.LBB311_90:                             ; =>This Inner Loop Header: Depth=1
	s_clause 0x1
	s_load_b64 s[8:9], s[4:5], 0x4
	s_load_b32 s12, s[4:5], 0xc
	s_load_b64 s[10:11], s[2:3], 0x0
	s_add_u32 s4, s4, 12
	s_addc_u32 s5, s5, 0
	s_add_u32 s2, s2, 8
	s_addc_u32 s3, s3, 0
	s_add_i32 s7, s7, -1
	s_delay_alu instid0(SALU_CYCLE_1) | instskip(SKIP_2) | instid1(VALU_DEP_1)
	s_cmp_lg_u32 s7, 0
	s_waitcnt lgkmcnt(0)
	v_mul_hi_u32 v17, s9, v15
	v_add_nc_u32_e32 v17, v15, v17
	s_delay_alu instid0(VALU_DEP_1) | instskip(NEXT) | instid1(VALU_DEP_1)
	v_lshrrev_b32_e32 v20, s12, v17
	v_mul_lo_u32 v17, v20, s8
	s_delay_alu instid0(VALU_DEP_1) | instskip(NEXT) | instid1(VALU_DEP_1)
	v_sub_nc_u32_e32 v15, v15, v17
	v_mad_u64_u32 v[17:18], null, v15, s10, v[10:11]
	v_mad_u64_u32 v[18:19], null, v15, s11, v[11:12]
	s_delay_alu instid0(VALU_DEP_2) | instskip(NEXT) | instid1(VALU_DEP_2)
	v_dual_mov_b32 v15, v20 :: v_dual_mov_b32 v10, v17
	v_mov_b32_e32 v11, v18
	s_cbranch_scc1 .LBB311_90
.LBB311_91:
	s_and_not1_b32 vcc_lo, exec_lo, s6
	s_cbranch_vccnz .LBB311_94
; %bb.92:
	s_clause 0x1
	s_load_b128 s[4:7], s[0:1], 0x4
	s_load_b64 s[2:3], s[0:1], 0xc4
	s_cmp_lt_u32 s22, 2
	s_waitcnt lgkmcnt(0)
	v_mul_hi_u32 v10, s5, v13
	s_delay_alu instid0(VALU_DEP_1) | instskip(NEXT) | instid1(VALU_DEP_1)
	v_add_nc_u32_e32 v10, v13, v10
	v_lshrrev_b32_e32 v15, s6, v10
	s_delay_alu instid0(VALU_DEP_1) | instskip(NEXT) | instid1(VALU_DEP_1)
	v_mul_lo_u32 v10, v15, s4
	v_sub_nc_u32_e32 v11, v13, v10
	s_delay_alu instid0(VALU_DEP_1)
	v_mul_lo_u32 v10, v11, s2
	v_mul_lo_u32 v11, v11, s3
	s_cbranch_scc1 .LBB311_94
; %bb.93:
	s_clause 0x1
	s_load_b128 s[4:7], s[0:1], 0x10
	s_load_b64 s[2:3], s[0:1], 0xcc
	s_waitcnt lgkmcnt(0)
	v_mul_hi_u32 v13, s5, v15
	s_delay_alu instid0(VALU_DEP_1) | instskip(NEXT) | instid1(VALU_DEP_1)
	v_add_nc_u32_e32 v13, v15, v13
	v_lshrrev_b32_e32 v13, s6, v13
	s_delay_alu instid0(VALU_DEP_1) | instskip(NEXT) | instid1(VALU_DEP_1)
	v_mul_lo_u32 v13, v13, s4
	v_sub_nc_u32_e32 v13, v15, v13
	s_delay_alu instid0(VALU_DEP_1) | instskip(SKIP_1) | instid1(VALU_DEP_1)
	v_mad_u64_u32 v[17:18], null, v13, s2, v[10:11]
	v_mad_u64_u32 v[18:19], null, v13, s3, v[11:12]
	v_dual_mov_b32 v10, v17 :: v_dual_mov_b32 v11, v18
.LBB311_94:
	v_cmp_ne_u32_e32 vcc_lo, 1, v14
	v_add_nc_u32_e32 v15, 0x300, v12
	s_cbranch_vccnz .LBB311_100
; %bb.95:
	v_dual_mov_b32 v12, 0 :: v_dual_mov_b32 v13, 0
	s_cmp_lg_u32 s22, 0
	s_mov_b32 s6, 0
	s_cbranch_scc0 .LBB311_104
; %bb.96:
	s_min_u32 s7, s23, 15
	v_mov_b32_e32 v12, 0
	s_add_i32 s7, s7, 1
	s_cmp_eq_u32 s23, 2
	s_mov_b32 s8, 0
	s_cbranch_scc1 .LBB311_101
; %bb.97:
	v_dual_mov_b32 v13, 0 :: v_dual_mov_b32 v12, 0
	v_mov_b32_e32 v17, v15
	s_add_u32 s2, s0, 0xc4
	s_addc_u32 s3, s1, 0
	s_and_b32 s8, s7, 28
	s_mov_b32 s9, 0
	s_mov_b64 s[4:5], s[0:1]
.LBB311_98:                             ; =>This Inner Loop Header: Depth=1
	s_clause 0x1
	s_load_b256 s[12:19], s[4:5], 0x4
	s_load_b128 s[36:39], s[4:5], 0x24
	s_load_b256 s[24:31], s[2:3], 0x0
	s_add_u32 s4, s4, 48
	s_addc_u32 s5, s5, 0
	s_add_i32 s9, s9, 4
	s_add_u32 s2, s2, 32
	s_addc_u32 s3, s3, 0
	s_cmp_lg_u32 s8, s9
	s_waitcnt lgkmcnt(0)
	v_mul_hi_u32 v18, s13, v17
	s_delay_alu instid0(VALU_DEP_1) | instskip(NEXT) | instid1(VALU_DEP_1)
	v_add_nc_u32_e32 v18, v17, v18
	v_lshrrev_b32_e32 v18, s14, v18
	s_delay_alu instid0(VALU_DEP_1) | instskip(SKIP_1) | instid1(VALU_DEP_2)
	v_mul_hi_u32 v19, s16, v18
	v_mul_lo_u32 v21, v18, s12
	v_add_nc_u32_e32 v19, v18, v19
	s_delay_alu instid0(VALU_DEP_2) | instskip(NEXT) | instid1(VALU_DEP_2)
	v_sub_nc_u32_e32 v17, v17, v21
	v_lshrrev_b32_e32 v19, s17, v19
	s_delay_alu instid0(VALU_DEP_2) | instskip(SKIP_1) | instid1(VALU_DEP_3)
	v_mul_lo_u32 v21, v17, s24
	v_mul_lo_u32 v23, v17, s25
	v_mul_hi_u32 v20, s19, v19
	s_delay_alu instid0(VALU_DEP_1) | instskip(NEXT) | instid1(VALU_DEP_1)
	v_add_nc_u32_e32 v20, v19, v20
	v_lshrrev_b32_e32 v20, s36, v20
	s_delay_alu instid0(VALU_DEP_1) | instskip(SKIP_1) | instid1(VALU_DEP_2)
	v_mul_hi_u32 v22, s38, v20
	v_mul_lo_u32 v24, v20, s18
	v_add_nc_u32_e32 v17, v20, v22
	v_mul_lo_u32 v22, v19, s15
	s_delay_alu instid0(VALU_DEP_3) | instskip(NEXT) | instid1(VALU_DEP_3)
	v_sub_nc_u32_e32 v19, v19, v24
	v_lshrrev_b32_e32 v17, s39, v17
	s_delay_alu instid0(VALU_DEP_2) | instskip(SKIP_2) | instid1(VALU_DEP_4)
	v_mul_lo_u32 v24, v19, s28
	v_mul_lo_u32 v19, v19, s29
	v_sub_nc_u32_e32 v18, v18, v22
	v_mul_lo_u32 v25, v17, s37
	s_delay_alu instid0(VALU_DEP_2) | instskip(SKIP_1) | instid1(VALU_DEP_3)
	v_mul_lo_u32 v22, v18, s26
	v_mul_lo_u32 v18, v18, s27
	v_sub_nc_u32_e32 v20, v20, v25
	s_delay_alu instid0(VALU_DEP_3) | instskip(NEXT) | instid1(VALU_DEP_2)
	v_add3_u32 v12, v21, v12, v22
	v_mul_lo_u32 v25, v20, s30
	v_mul_lo_u32 v20, v20, s31
	v_add3_u32 v13, v23, v13, v18
	s_delay_alu instid0(VALU_DEP_3) | instskip(NEXT) | instid1(VALU_DEP_2)
	v_add3_u32 v12, v24, v12, v25
	v_add3_u32 v13, v19, v13, v20
	s_cbranch_scc1 .LBB311_98
; %bb.99:
	s_and_b32 s7, s7, 3
	s_delay_alu instid0(SALU_CYCLE_1)
	s_cmp_eq_u32 s7, 0
	s_cbranch_scc0 .LBB311_102
	s_branch .LBB311_104
.LBB311_100:
	s_mov_b32 s6, -1
                                        ; implicit-def: $vgpr12
                                        ; implicit-def: $vgpr13
	s_branch .LBB311_104
.LBB311_101:
	v_mov_b32_e32 v17, v15
	v_mov_b32_e32 v13, 0
	s_and_b32 s7, s7, 3
	s_delay_alu instid0(SALU_CYCLE_1)
	s_cmp_eq_u32 s7, 0
	s_cbranch_scc1 .LBB311_104
.LBB311_102:
	s_lshl_b32 s2, s8, 3
	s_mul_i32 s4, s8, 12
	s_add_u32 s2, s2, s0
	s_addc_u32 s3, 0, s1
	s_add_u32 s2, s2, 0xc4
	s_addc_u32 s3, s3, 0
	;; [unrolled: 2-line block ×3, first 2 shown]
	.p2align	6
.LBB311_103:                            ; =>This Inner Loop Header: Depth=1
	s_clause 0x1
	s_load_b64 s[8:9], s[4:5], 0x4
	s_load_b32 s12, s[4:5], 0xc
	s_load_b64 s[10:11], s[2:3], 0x0
	s_add_u32 s4, s4, 12
	s_addc_u32 s5, s5, 0
	s_add_u32 s2, s2, 8
	s_addc_u32 s3, s3, 0
	s_add_i32 s7, s7, -1
	s_delay_alu instid0(SALU_CYCLE_1) | instskip(SKIP_2) | instid1(VALU_DEP_1)
	s_cmp_lg_u32 s7, 0
	s_waitcnt lgkmcnt(0)
	v_mul_hi_u32 v18, s9, v17
	v_add_nc_u32_e32 v18, v17, v18
	s_delay_alu instid0(VALU_DEP_1) | instskip(NEXT) | instid1(VALU_DEP_1)
	v_lshrrev_b32_e32 v21, s12, v18
	v_mul_lo_u32 v18, v21, s8
	s_delay_alu instid0(VALU_DEP_1) | instskip(NEXT) | instid1(VALU_DEP_1)
	v_sub_nc_u32_e32 v17, v17, v18
	v_mad_u64_u32 v[18:19], null, v17, s10, v[12:13]
	v_mad_u64_u32 v[19:20], null, v17, s11, v[13:14]
	s_delay_alu instid0(VALU_DEP_2) | instskip(NEXT) | instid1(VALU_DEP_2)
	v_dual_mov_b32 v17, v21 :: v_dual_mov_b32 v12, v18
	v_mov_b32_e32 v13, v19
	s_cbranch_scc1 .LBB311_103
.LBB311_104:
	s_and_not1_b32 vcc_lo, exec_lo, s6
	s_cbranch_vccnz .LBB311_107
; %bb.105:
	s_clause 0x1
	s_load_b128 s[4:7], s[0:1], 0x4
	s_load_b64 s[2:3], s[0:1], 0xc4
	s_cmp_lt_u32 s22, 2
	s_waitcnt lgkmcnt(0)
	v_mul_hi_u32 v12, s5, v15
	s_delay_alu instid0(VALU_DEP_1) | instskip(NEXT) | instid1(VALU_DEP_1)
	v_add_nc_u32_e32 v12, v15, v12
	v_lshrrev_b32_e32 v17, s6, v12
	s_delay_alu instid0(VALU_DEP_1) | instskip(NEXT) | instid1(VALU_DEP_1)
	v_mul_lo_u32 v12, v17, s4
	v_sub_nc_u32_e32 v13, v15, v12
	s_delay_alu instid0(VALU_DEP_1)
	v_mul_lo_u32 v12, v13, s2
	v_mul_lo_u32 v13, v13, s3
	s_cbranch_scc1 .LBB311_107
; %bb.106:
	s_clause 0x1
	s_load_b128 s[4:7], s[0:1], 0x10
	s_load_b64 s[2:3], s[0:1], 0xcc
	s_waitcnt lgkmcnt(0)
	v_mul_hi_u32 v15, s5, v17
	s_delay_alu instid0(VALU_DEP_1) | instskip(NEXT) | instid1(VALU_DEP_1)
	v_add_nc_u32_e32 v15, v17, v15
	v_lshrrev_b32_e32 v15, s6, v15
	s_delay_alu instid0(VALU_DEP_1) | instskip(NEXT) | instid1(VALU_DEP_1)
	v_mul_lo_u32 v15, v15, s4
	v_sub_nc_u32_e32 v15, v17, v15
	s_delay_alu instid0(VALU_DEP_1) | instskip(SKIP_1) | instid1(VALU_DEP_1)
	v_mad_u64_u32 v[17:18], null, v15, s2, v[12:13]
	v_mad_u64_u32 v[18:19], null, v15, s3, v[13:14]
	v_dual_mov_b32 v12, v17 :: v_dual_mov_b32 v13, v18
.LBB311_107:
	v_cmp_ne_u32_e32 vcc_lo, 1, v14
	s_cbranch_vccnz .LBB311_113
; %bb.108:
	v_dual_mov_b32 v14, 0 :: v_dual_mov_b32 v15, 0
	s_cmp_lg_u32 s22, 0
	s_mov_b32 s6, 0
	s_cbranch_scc0 .LBB311_117
; %bb.109:
	s_min_u32 s7, s23, 15
	v_mov_b32_e32 v14, 0
	s_add_i32 s7, s7, 1
	s_cmp_eq_u32 s23, 2
	s_mov_b32 s8, 0
	s_cbranch_scc1 .LBB311_114
; %bb.110:
	v_dual_mov_b32 v15, 0 :: v_dual_mov_b32 v14, 0
	v_mov_b32_e32 v17, v16
	s_add_u32 s2, s0, 0xc4
	s_addc_u32 s3, s1, 0
	s_and_b32 s8, s7, 28
	s_mov_b32 s9, 0
	s_mov_b64 s[4:5], s[0:1]
.LBB311_111:                            ; =>This Inner Loop Header: Depth=1
	s_clause 0x1
	s_load_b256 s[12:19], s[4:5], 0x4
	s_load_b128 s[36:39], s[4:5], 0x24
	s_load_b256 s[24:31], s[2:3], 0x0
	s_add_u32 s4, s4, 48
	s_addc_u32 s5, s5, 0
	s_add_i32 s9, s9, 4
	s_add_u32 s2, s2, 32
	s_addc_u32 s3, s3, 0
	s_cmp_lg_u32 s8, s9
	s_waitcnt lgkmcnt(0)
	v_mul_hi_u32 v18, s13, v17
	s_delay_alu instid0(VALU_DEP_1) | instskip(NEXT) | instid1(VALU_DEP_1)
	v_add_nc_u32_e32 v18, v17, v18
	v_lshrrev_b32_e32 v18, s14, v18
	s_delay_alu instid0(VALU_DEP_1) | instskip(SKIP_1) | instid1(VALU_DEP_2)
	v_mul_hi_u32 v19, s16, v18
	v_mul_lo_u32 v21, v18, s12
	v_add_nc_u32_e32 v19, v18, v19
	s_delay_alu instid0(VALU_DEP_2) | instskip(NEXT) | instid1(VALU_DEP_2)
	v_sub_nc_u32_e32 v17, v17, v21
	v_lshrrev_b32_e32 v19, s17, v19
	s_delay_alu instid0(VALU_DEP_2) | instskip(SKIP_1) | instid1(VALU_DEP_3)
	v_mul_lo_u32 v21, v17, s24
	v_mul_lo_u32 v23, v17, s25
	v_mul_hi_u32 v20, s19, v19
	s_delay_alu instid0(VALU_DEP_1) | instskip(NEXT) | instid1(VALU_DEP_1)
	v_add_nc_u32_e32 v20, v19, v20
	v_lshrrev_b32_e32 v20, s36, v20
	s_delay_alu instid0(VALU_DEP_1) | instskip(SKIP_1) | instid1(VALU_DEP_2)
	v_mul_hi_u32 v22, s38, v20
	v_mul_lo_u32 v24, v20, s18
	v_add_nc_u32_e32 v17, v20, v22
	v_mul_lo_u32 v22, v19, s15
	s_delay_alu instid0(VALU_DEP_3) | instskip(NEXT) | instid1(VALU_DEP_3)
	v_sub_nc_u32_e32 v19, v19, v24
	v_lshrrev_b32_e32 v17, s39, v17
	s_delay_alu instid0(VALU_DEP_2) | instskip(SKIP_2) | instid1(VALU_DEP_4)
	v_mul_lo_u32 v24, v19, s28
	v_mul_lo_u32 v19, v19, s29
	v_sub_nc_u32_e32 v18, v18, v22
	v_mul_lo_u32 v25, v17, s37
	s_delay_alu instid0(VALU_DEP_2) | instskip(SKIP_1) | instid1(VALU_DEP_3)
	v_mul_lo_u32 v22, v18, s26
	v_mul_lo_u32 v18, v18, s27
	v_sub_nc_u32_e32 v20, v20, v25
	s_delay_alu instid0(VALU_DEP_3) | instskip(NEXT) | instid1(VALU_DEP_2)
	v_add3_u32 v14, v21, v14, v22
	v_mul_lo_u32 v25, v20, s30
	v_mul_lo_u32 v20, v20, s31
	v_add3_u32 v15, v23, v15, v18
	s_delay_alu instid0(VALU_DEP_3) | instskip(NEXT) | instid1(VALU_DEP_2)
	v_add3_u32 v14, v24, v14, v25
	v_add3_u32 v15, v19, v15, v20
	s_cbranch_scc1 .LBB311_111
; %bb.112:
	s_and_b32 s7, s7, 3
	s_delay_alu instid0(SALU_CYCLE_1)
	s_cmp_eq_u32 s7, 0
	s_cbranch_scc0 .LBB311_115
	s_branch .LBB311_117
.LBB311_113:
	s_mov_b32 s6, -1
                                        ; implicit-def: $vgpr14
                                        ; implicit-def: $vgpr15
	s_branch .LBB311_117
.LBB311_114:
	v_mov_b32_e32 v17, v16
	v_mov_b32_e32 v15, 0
	s_and_b32 s7, s7, 3
	s_delay_alu instid0(SALU_CYCLE_1)
	s_cmp_eq_u32 s7, 0
	s_cbranch_scc1 .LBB311_117
.LBB311_115:
	s_lshl_b32 s2, s8, 3
	s_mul_i32 s4, s8, 12
	s_add_u32 s2, s2, s0
	s_addc_u32 s3, 0, s1
	s_add_u32 s2, s2, 0xc4
	s_addc_u32 s3, s3, 0
	;; [unrolled: 2-line block ×3, first 2 shown]
	.p2align	6
.LBB311_116:                            ; =>This Inner Loop Header: Depth=1
	s_clause 0x1
	s_load_b64 s[8:9], s[4:5], 0x4
	s_load_b32 s12, s[4:5], 0xc
	s_load_b64 s[10:11], s[2:3], 0x0
	s_add_u32 s4, s4, 12
	s_addc_u32 s5, s5, 0
	s_add_u32 s2, s2, 8
	s_addc_u32 s3, s3, 0
	s_add_i32 s7, s7, -1
	s_delay_alu instid0(SALU_CYCLE_1) | instskip(SKIP_2) | instid1(VALU_DEP_1)
	s_cmp_lg_u32 s7, 0
	s_waitcnt lgkmcnt(0)
	v_mul_hi_u32 v18, s9, v17
	v_add_nc_u32_e32 v18, v17, v18
	s_delay_alu instid0(VALU_DEP_1) | instskip(NEXT) | instid1(VALU_DEP_1)
	v_lshrrev_b32_e32 v21, s12, v18
	v_mul_lo_u32 v18, v21, s8
	s_delay_alu instid0(VALU_DEP_1) | instskip(NEXT) | instid1(VALU_DEP_1)
	v_sub_nc_u32_e32 v17, v17, v18
	v_mad_u64_u32 v[18:19], null, v17, s10, v[14:15]
	v_mad_u64_u32 v[19:20], null, v17, s11, v[15:16]
	s_delay_alu instid0(VALU_DEP_2) | instskip(NEXT) | instid1(VALU_DEP_2)
	v_dual_mov_b32 v17, v21 :: v_dual_mov_b32 v14, v18
	v_mov_b32_e32 v15, v19
	s_cbranch_scc1 .LBB311_116
.LBB311_117:
	s_and_not1_b32 vcc_lo, exec_lo, s6
	s_cbranch_vccnz .LBB311_120
; %bb.118:
	s_clause 0x1
	s_load_b128 s[4:7], s[0:1], 0x4
	s_load_b64 s[2:3], s[0:1], 0xc4
	s_cmp_lt_u32 s22, 2
	s_waitcnt lgkmcnt(0)
	v_mul_hi_u32 v14, s5, v16
	s_delay_alu instid0(VALU_DEP_1) | instskip(NEXT) | instid1(VALU_DEP_1)
	v_add_nc_u32_e32 v14, v16, v14
	v_lshrrev_b32_e32 v17, s6, v14
	s_delay_alu instid0(VALU_DEP_1) | instskip(NEXT) | instid1(VALU_DEP_1)
	v_mul_lo_u32 v14, v17, s4
	v_sub_nc_u32_e32 v15, v16, v14
	s_delay_alu instid0(VALU_DEP_1)
	v_mul_lo_u32 v14, v15, s2
	v_mul_lo_u32 v15, v15, s3
	s_cbranch_scc1 .LBB311_120
; %bb.119:
	s_clause 0x1
	s_load_b128 s[4:7], s[0:1], 0x10
	s_load_b64 s[2:3], s[0:1], 0xcc
	s_waitcnt lgkmcnt(0)
	v_mul_hi_u32 v16, s5, v17
	s_delay_alu instid0(VALU_DEP_1) | instskip(NEXT) | instid1(VALU_DEP_1)
	v_add_nc_u32_e32 v16, v17, v16
	v_lshrrev_b32_e32 v16, s6, v16
	s_delay_alu instid0(VALU_DEP_1) | instskip(NEXT) | instid1(VALU_DEP_1)
	v_mul_lo_u32 v16, v16, s4
	v_sub_nc_u32_e32 v19, v17, v16
	s_delay_alu instid0(VALU_DEP_1) | instskip(NEXT) | instid1(VALU_DEP_1)
	v_mad_u64_u32 v[16:17], null, v19, s2, v[14:15]
	v_mad_u64_u32 v[17:18], null, v19, s3, v[15:16]
	s_delay_alu instid0(VALU_DEP_1)
	v_dual_mov_b32 v14, v16 :: v_dual_mov_b32 v15, v17
.LBB311_120:
	s_clause 0x1
	s_load_b128 s[4:7], s[0:1], 0x148
	s_load_b32 s0, s[0:1], 0x158
	s_waitcnt lgkmcnt(0)
	s_clause 0x7
	global_load_u16 v1, v1, s[6:7]
	global_load_u16 v3, v3, s[6:7]
	global_load_u16 v5, v5, s[6:7]
	global_load_u16 v7, v7, s[6:7]
	global_load_u16 v9, v9, s[6:7]
	global_load_u16 v11, v11, s[6:7]
	global_load_u16 v13, v13, s[6:7]
	global_load_u16 v15, v15, s[6:7]
	s_lshr_b32 s1, s0, 16
	s_waitcnt vmcnt(7)
	v_max_i16 v1, v1, s0
	s_waitcnt vmcnt(6)
	v_max_i16 v3, v3, s0
	;; [unrolled: 2-line block ×8, first 2 shown]
	v_min_i16 v1, v1, s1
	v_min_i16 v3, v3, s1
	;; [unrolled: 1-line block ×8, first 2 shown]
	s_clause 0x7
	global_store_b16 v0, v1, s[4:5]
	global_store_b16 v2, v3, s[4:5]
	;; [unrolled: 1-line block ×8, first 2 shown]
	s_nop 0
	s_sendmsg sendmsg(MSG_DEALLOC_VGPRS)
	s_endpgm
.LBB311_121:
	v_dual_mov_b32 v2, v12 :: v_dual_mov_b32 v1, 0
.LBB311_122:
	s_and_b32 s36, s36, 3
	s_delay_alu instid0(SALU_CYCLE_1)
	s_cmp_eq_u32 s36, 0
	s_cbranch_scc1 .LBB311_125
; %bb.123:
	s_lshl_b32 s18, s35, 3
	s_mul_i32 s20, s35, 12
	s_add_u32 s18, s18, s0
	s_addc_u32 s19, s1, 0
	s_add_u32 s18, s18, 0xc4
	s_addc_u32 s19, s19, 0
	;; [unrolled: 2-line block ×3, first 2 shown]
	.p2align	6
.LBB311_124:                            ; =>This Inner Loop Header: Depth=1
	s_clause 0x1
	s_load_b64 s[38:39], s[20:21], 0x4
	s_load_b32 s35, s[20:21], 0xc
	s_load_b64 s[40:41], s[18:19], 0x0
	s_add_u32 s20, s20, 12
	s_addc_u32 s21, s21, 0
	s_add_u32 s18, s18, 8
	s_addc_u32 s19, s19, 0
	s_add_i32 s36, s36, -1
	s_delay_alu instid0(SALU_CYCLE_1) | instskip(SKIP_2) | instid1(VALU_DEP_1)
	s_cmp_lg_u32 s36, 0
	s_waitcnt lgkmcnt(0)
	v_mul_hi_u32 v3, s39, v2
	v_add_nc_u32_e32 v3, v2, v3
	s_delay_alu instid0(VALU_DEP_1) | instskip(NEXT) | instid1(VALU_DEP_1)
	v_lshrrev_b32_e32 v6, s35, v3
	v_mul_lo_u32 v3, v6, s38
	s_delay_alu instid0(VALU_DEP_1) | instskip(NEXT) | instid1(VALU_DEP_1)
	v_sub_nc_u32_e32 v2, v2, v3
	v_mad_u64_u32 v[3:4], null, v2, s40, v[0:1]
	v_mad_u64_u32 v[4:5], null, v2, s41, v[1:2]
	v_mov_b32_e32 v2, v6
	s_delay_alu instid0(VALU_DEP_2)
	v_dual_mov_b32 v0, v3 :: v_dual_mov_b32 v1, v4
	s_cbranch_scc1 .LBB311_124
.LBB311_125:
	s_and_not1_b32 vcc_lo, exec_lo, s34
	s_cbranch_vccnz .LBB311_128
; %bb.126:
	v_mul_hi_u32 v0, s9, v12
	s_and_not1_b32 vcc_lo, exec_lo, s28
	s_delay_alu instid0(VALU_DEP_1) | instskip(NEXT) | instid1(VALU_DEP_1)
	v_add_nc_u32_e32 v0, v12, v0
	v_lshrrev_b32_e32 v2, s10, v0
	s_delay_alu instid0(VALU_DEP_1) | instskip(NEXT) | instid1(VALU_DEP_1)
	v_mul_lo_u32 v0, v2, s8
	v_sub_nc_u32_e32 v1, v12, v0
	s_delay_alu instid0(VALU_DEP_1)
	v_mul_lo_u32 v0, v1, s12
	v_mul_lo_u32 v1, v1, s13
	s_cbranch_vccnz .LBB311_128
; %bb.127:
	v_mul_hi_u32 v3, s2, v2
	s_delay_alu instid0(VALU_DEP_1) | instskip(NEXT) | instid1(VALU_DEP_1)
	v_add_nc_u32_e32 v3, v2, v3
	v_lshrrev_b32_e32 v3, s3, v3
	s_delay_alu instid0(VALU_DEP_1) | instskip(NEXT) | instid1(VALU_DEP_1)
	v_mul_lo_u32 v3, v3, s11
	v_sub_nc_u32_e32 v5, v2, v3
	s_delay_alu instid0(VALU_DEP_1) | instskip(NEXT) | instid1(VALU_DEP_1)
	v_mad_u64_u32 v[2:3], null, v5, s14, v[0:1]
	v_mad_u64_u32 v[3:4], null, v5, s15, v[1:2]
	s_delay_alu instid0(VALU_DEP_1)
	v_dual_mov_b32 v0, v2 :: v_dual_mov_b32 v1, v3
.LBB311_128:
	global_load_u16 v1, v1, s[6:7]
	v_add_nc_u32_e32 v12, 0x80, v12
	s_waitcnt vmcnt(0)
	v_max_i16 v1, v1, s26
	s_delay_alu instid0(VALU_DEP_1) | instskip(SKIP_2) | instid1(SALU_CYCLE_1)
	v_min_i16 v1, v1, s27
	global_store_b16 v0, v1, s[4:5]
	s_or_b32 exec_lo, exec_lo, s33
	s_mov_b32 s33, exec_lo
	v_cmpx_gt_i32_e64 s29, v12
	s_cbranch_execnz .LBB311_15
.LBB311_129:
	s_or_b32 exec_lo, exec_lo, s33
	s_delay_alu instid0(SALU_CYCLE_1)
	s_mov_b32 s33, exec_lo
	v_cmpx_gt_i32_e64 s29, v12
	s_cbranch_execz .LBB311_144
.LBB311_130:
	s_and_not1_b32 vcc_lo, exec_lo, s24
	s_cbranch_vccnz .LBB311_135
; %bb.131:
	v_dual_mov_b32 v0, 0 :: v_dual_mov_b32 v1, 0
	s_and_not1_b32 vcc_lo, exec_lo, s31
	s_mov_b32 s34, 0
	s_cbranch_vccnz .LBB311_155
; %bb.132:
	v_mov_b32_e32 v0, 0
	s_add_i32 s36, s30, 1
	s_cmp_eq_u32 s23, 2
	s_mov_b32 s35, 0
	s_cbranch_scc1 .LBB311_151
; %bb.133:
	v_dual_mov_b32 v1, 0 :: v_dual_mov_b32 v0, 0
	v_mov_b32_e32 v2, v12
	s_and_b32 s35, s36, 28
	s_mov_b32 s37, 0
	s_mov_b64 s[18:19], s[16:17]
	s_mov_b64 s[20:21], s[0:1]
.LBB311_134:                            ; =>This Inner Loop Header: Depth=1
	s_clause 0x1
	s_load_b256 s[40:47], s[20:21], 0x4
	s_load_b128 s[56:59], s[20:21], 0x24
	s_load_b256 s[48:55], s[18:19], 0x0
	s_add_u32 s20, s20, 48
	s_addc_u32 s21, s21, 0
	s_add_i32 s37, s37, 4
	s_add_u32 s18, s18, 32
	s_addc_u32 s19, s19, 0
	s_cmp_eq_u32 s35, s37
	s_waitcnt lgkmcnt(0)
	v_mul_hi_u32 v3, s41, v2
	s_delay_alu instid0(VALU_DEP_1) | instskip(NEXT) | instid1(VALU_DEP_1)
	v_add_nc_u32_e32 v3, v2, v3
	v_lshrrev_b32_e32 v3, s42, v3
	s_delay_alu instid0(VALU_DEP_1) | instskip(SKIP_1) | instid1(VALU_DEP_2)
	v_mul_hi_u32 v4, s44, v3
	v_mul_lo_u32 v6, v3, s40
	v_add_nc_u32_e32 v4, v3, v4
	s_delay_alu instid0(VALU_DEP_2) | instskip(NEXT) | instid1(VALU_DEP_2)
	v_sub_nc_u32_e32 v2, v2, v6
	v_lshrrev_b32_e32 v4, s45, v4
	s_delay_alu instid0(VALU_DEP_2) | instskip(SKIP_1) | instid1(VALU_DEP_3)
	v_mul_lo_u32 v6, v2, s48
	v_mul_lo_u32 v8, v2, s49
	v_mul_hi_u32 v5, s47, v4
	s_delay_alu instid0(VALU_DEP_1) | instskip(NEXT) | instid1(VALU_DEP_1)
	v_add_nc_u32_e32 v5, v4, v5
	v_lshrrev_b32_e32 v5, s56, v5
	s_delay_alu instid0(VALU_DEP_1) | instskip(SKIP_1) | instid1(VALU_DEP_2)
	v_mul_hi_u32 v7, s58, v5
	v_mul_lo_u32 v9, v5, s46
	v_add_nc_u32_e32 v2, v5, v7
	v_mul_lo_u32 v7, v4, s43
	s_delay_alu instid0(VALU_DEP_3) | instskip(NEXT) | instid1(VALU_DEP_3)
	v_sub_nc_u32_e32 v4, v4, v9
	v_lshrrev_b32_e32 v2, s59, v2
	s_delay_alu instid0(VALU_DEP_2) | instskip(SKIP_2) | instid1(VALU_DEP_4)
	v_mul_lo_u32 v9, v4, s52
	v_mul_lo_u32 v4, v4, s53
	v_sub_nc_u32_e32 v3, v3, v7
	v_mul_lo_u32 v10, v2, s57
	s_delay_alu instid0(VALU_DEP_2) | instskip(SKIP_1) | instid1(VALU_DEP_3)
	v_mul_lo_u32 v7, v3, s50
	v_mul_lo_u32 v3, v3, s51
	v_sub_nc_u32_e32 v5, v5, v10
	s_delay_alu instid0(VALU_DEP_3) | instskip(NEXT) | instid1(VALU_DEP_2)
	v_add3_u32 v0, v6, v0, v7
	v_mul_lo_u32 v10, v5, s54
	v_mul_lo_u32 v5, v5, s55
	v_add3_u32 v1, v8, v1, v3
	s_delay_alu instid0(VALU_DEP_3) | instskip(NEXT) | instid1(VALU_DEP_2)
	v_add3_u32 v0, v9, v0, v10
	v_add3_u32 v1, v4, v1, v5
	s_cbranch_scc0 .LBB311_134
	s_branch .LBB311_152
.LBB311_135:
	s_mov_b32 s34, -1
                                        ; implicit-def: $vgpr0
                                        ; implicit-def: $vgpr1
	s_branch .LBB311_155
.LBB311_136:
	v_dual_mov_b32 v2, v12 :: v_dual_mov_b32 v1, 0
.LBB311_137:
	s_and_b32 s36, s36, 3
	s_delay_alu instid0(SALU_CYCLE_1)
	s_cmp_eq_u32 s36, 0
	s_cbranch_scc1 .LBB311_140
; %bb.138:
	s_lshl_b32 s18, s35, 3
	s_mul_i32 s20, s35, 12
	s_add_u32 s18, s18, s0
	s_addc_u32 s19, s1, 0
	s_add_u32 s18, s18, 0xc4
	s_addc_u32 s19, s19, 0
	;; [unrolled: 2-line block ×3, first 2 shown]
	.p2align	6
.LBB311_139:                            ; =>This Inner Loop Header: Depth=1
	s_clause 0x1
	s_load_b64 s[38:39], s[20:21], 0x4
	s_load_b32 s35, s[20:21], 0xc
	s_load_b64 s[40:41], s[18:19], 0x0
	s_add_u32 s20, s20, 12
	s_addc_u32 s21, s21, 0
	s_add_u32 s18, s18, 8
	s_addc_u32 s19, s19, 0
	s_add_i32 s36, s36, -1
	s_delay_alu instid0(SALU_CYCLE_1) | instskip(SKIP_2) | instid1(VALU_DEP_1)
	s_cmp_lg_u32 s36, 0
	s_waitcnt lgkmcnt(0)
	v_mul_hi_u32 v3, s39, v2
	v_add_nc_u32_e32 v3, v2, v3
	s_delay_alu instid0(VALU_DEP_1) | instskip(NEXT) | instid1(VALU_DEP_1)
	v_lshrrev_b32_e32 v6, s35, v3
	v_mul_lo_u32 v3, v6, s38
	s_delay_alu instid0(VALU_DEP_1) | instskip(NEXT) | instid1(VALU_DEP_1)
	v_sub_nc_u32_e32 v2, v2, v3
	v_mad_u64_u32 v[3:4], null, v2, s40, v[0:1]
	v_mad_u64_u32 v[4:5], null, v2, s41, v[1:2]
	v_mov_b32_e32 v2, v6
	s_delay_alu instid0(VALU_DEP_2)
	v_dual_mov_b32 v0, v3 :: v_dual_mov_b32 v1, v4
	s_cbranch_scc1 .LBB311_139
.LBB311_140:
	s_and_not1_b32 vcc_lo, exec_lo, s34
	s_cbranch_vccnz .LBB311_143
; %bb.141:
	v_mul_hi_u32 v0, s9, v12
	s_and_not1_b32 vcc_lo, exec_lo, s28
	s_delay_alu instid0(VALU_DEP_1) | instskip(NEXT) | instid1(VALU_DEP_1)
	v_add_nc_u32_e32 v0, v12, v0
	v_lshrrev_b32_e32 v2, s10, v0
	s_delay_alu instid0(VALU_DEP_1) | instskip(NEXT) | instid1(VALU_DEP_1)
	v_mul_lo_u32 v0, v2, s8
	v_sub_nc_u32_e32 v1, v12, v0
	s_delay_alu instid0(VALU_DEP_1)
	v_mul_lo_u32 v0, v1, s12
	v_mul_lo_u32 v1, v1, s13
	s_cbranch_vccnz .LBB311_143
; %bb.142:
	v_mul_hi_u32 v3, s2, v2
	s_delay_alu instid0(VALU_DEP_1) | instskip(NEXT) | instid1(VALU_DEP_1)
	v_add_nc_u32_e32 v3, v2, v3
	v_lshrrev_b32_e32 v3, s3, v3
	s_delay_alu instid0(VALU_DEP_1) | instskip(NEXT) | instid1(VALU_DEP_1)
	v_mul_lo_u32 v3, v3, s11
	v_sub_nc_u32_e32 v5, v2, v3
	s_delay_alu instid0(VALU_DEP_1) | instskip(NEXT) | instid1(VALU_DEP_1)
	v_mad_u64_u32 v[2:3], null, v5, s14, v[0:1]
	v_mad_u64_u32 v[3:4], null, v5, s15, v[1:2]
	s_delay_alu instid0(VALU_DEP_1)
	v_dual_mov_b32 v0, v2 :: v_dual_mov_b32 v1, v3
.LBB311_143:
	global_load_u16 v1, v1, s[6:7]
	v_add_nc_u32_e32 v12, 0x80, v12
	s_waitcnt vmcnt(0)
	v_max_i16 v1, v1, s26
	s_delay_alu instid0(VALU_DEP_1) | instskip(SKIP_2) | instid1(SALU_CYCLE_1)
	v_min_i16 v1, v1, s27
	global_store_b16 v0, v1, s[4:5]
	s_or_b32 exec_lo, exec_lo, s33
	s_mov_b32 s33, exec_lo
	v_cmpx_gt_i32_e64 s29, v12
	s_cbranch_execnz .LBB311_130
.LBB311_144:
	s_or_b32 exec_lo, exec_lo, s33
	s_delay_alu instid0(SALU_CYCLE_1)
	s_mov_b32 s33, exec_lo
	v_cmpx_gt_i32_e64 s29, v12
	s_cbranch_execz .LBB311_159
.LBB311_145:
	s_and_not1_b32 vcc_lo, exec_lo, s24
	s_cbranch_vccnz .LBB311_150
; %bb.146:
	v_dual_mov_b32 v0, 0 :: v_dual_mov_b32 v1, 0
	s_and_not1_b32 vcc_lo, exec_lo, s31
	s_mov_b32 s34, 0
	s_cbranch_vccnz .LBB311_170
; %bb.147:
	v_mov_b32_e32 v0, 0
	s_add_i32 s36, s30, 1
	s_cmp_eq_u32 s23, 2
	s_mov_b32 s35, 0
	s_cbranch_scc1 .LBB311_166
; %bb.148:
	v_dual_mov_b32 v1, 0 :: v_dual_mov_b32 v0, 0
	v_mov_b32_e32 v2, v12
	s_and_b32 s35, s36, 28
	s_mov_b32 s37, 0
	s_mov_b64 s[18:19], s[16:17]
	s_mov_b64 s[20:21], s[0:1]
.LBB311_149:                            ; =>This Inner Loop Header: Depth=1
	s_clause 0x1
	s_load_b256 s[40:47], s[20:21], 0x4
	s_load_b128 s[56:59], s[20:21], 0x24
	s_load_b256 s[48:55], s[18:19], 0x0
	s_add_u32 s20, s20, 48
	s_addc_u32 s21, s21, 0
	s_add_i32 s37, s37, 4
	s_add_u32 s18, s18, 32
	s_addc_u32 s19, s19, 0
	s_cmp_eq_u32 s35, s37
	s_waitcnt lgkmcnt(0)
	v_mul_hi_u32 v3, s41, v2
	s_delay_alu instid0(VALU_DEP_1) | instskip(NEXT) | instid1(VALU_DEP_1)
	v_add_nc_u32_e32 v3, v2, v3
	v_lshrrev_b32_e32 v3, s42, v3
	s_delay_alu instid0(VALU_DEP_1) | instskip(SKIP_1) | instid1(VALU_DEP_2)
	v_mul_hi_u32 v4, s44, v3
	v_mul_lo_u32 v6, v3, s40
	v_add_nc_u32_e32 v4, v3, v4
	s_delay_alu instid0(VALU_DEP_2) | instskip(NEXT) | instid1(VALU_DEP_2)
	v_sub_nc_u32_e32 v2, v2, v6
	v_lshrrev_b32_e32 v4, s45, v4
	s_delay_alu instid0(VALU_DEP_2) | instskip(SKIP_1) | instid1(VALU_DEP_3)
	v_mul_lo_u32 v6, v2, s48
	v_mul_lo_u32 v8, v2, s49
	v_mul_hi_u32 v5, s47, v4
	s_delay_alu instid0(VALU_DEP_1) | instskip(NEXT) | instid1(VALU_DEP_1)
	v_add_nc_u32_e32 v5, v4, v5
	v_lshrrev_b32_e32 v5, s56, v5
	s_delay_alu instid0(VALU_DEP_1) | instskip(SKIP_1) | instid1(VALU_DEP_2)
	v_mul_hi_u32 v7, s58, v5
	v_mul_lo_u32 v9, v5, s46
	v_add_nc_u32_e32 v2, v5, v7
	v_mul_lo_u32 v7, v4, s43
	s_delay_alu instid0(VALU_DEP_3) | instskip(NEXT) | instid1(VALU_DEP_3)
	v_sub_nc_u32_e32 v4, v4, v9
	v_lshrrev_b32_e32 v2, s59, v2
	s_delay_alu instid0(VALU_DEP_2) | instskip(SKIP_2) | instid1(VALU_DEP_4)
	v_mul_lo_u32 v9, v4, s52
	v_mul_lo_u32 v4, v4, s53
	v_sub_nc_u32_e32 v3, v3, v7
	v_mul_lo_u32 v10, v2, s57
	s_delay_alu instid0(VALU_DEP_2) | instskip(SKIP_1) | instid1(VALU_DEP_3)
	v_mul_lo_u32 v7, v3, s50
	v_mul_lo_u32 v3, v3, s51
	v_sub_nc_u32_e32 v5, v5, v10
	s_delay_alu instid0(VALU_DEP_3) | instskip(NEXT) | instid1(VALU_DEP_2)
	v_add3_u32 v0, v6, v0, v7
	v_mul_lo_u32 v10, v5, s54
	v_mul_lo_u32 v5, v5, s55
	v_add3_u32 v1, v8, v1, v3
	s_delay_alu instid0(VALU_DEP_3) | instskip(NEXT) | instid1(VALU_DEP_2)
	v_add3_u32 v0, v9, v0, v10
	v_add3_u32 v1, v4, v1, v5
	s_cbranch_scc0 .LBB311_149
	s_branch .LBB311_167
.LBB311_150:
	s_mov_b32 s34, -1
                                        ; implicit-def: $vgpr0
                                        ; implicit-def: $vgpr1
	s_branch .LBB311_170
.LBB311_151:
	v_dual_mov_b32 v2, v12 :: v_dual_mov_b32 v1, 0
.LBB311_152:
	s_and_b32 s36, s36, 3
	s_delay_alu instid0(SALU_CYCLE_1)
	s_cmp_eq_u32 s36, 0
	s_cbranch_scc1 .LBB311_155
; %bb.153:
	s_lshl_b32 s18, s35, 3
	s_mul_i32 s20, s35, 12
	s_add_u32 s18, s18, s0
	s_addc_u32 s19, s1, 0
	s_add_u32 s18, s18, 0xc4
	s_addc_u32 s19, s19, 0
	s_add_u32 s20, s0, s20
	s_addc_u32 s21, s1, 0
	.p2align	6
.LBB311_154:                            ; =>This Inner Loop Header: Depth=1
	s_clause 0x1
	s_load_b64 s[38:39], s[20:21], 0x4
	s_load_b32 s35, s[20:21], 0xc
	s_load_b64 s[40:41], s[18:19], 0x0
	s_add_u32 s20, s20, 12
	s_addc_u32 s21, s21, 0
	s_add_u32 s18, s18, 8
	s_addc_u32 s19, s19, 0
	s_add_i32 s36, s36, -1
	s_delay_alu instid0(SALU_CYCLE_1) | instskip(SKIP_2) | instid1(VALU_DEP_1)
	s_cmp_lg_u32 s36, 0
	s_waitcnt lgkmcnt(0)
	v_mul_hi_u32 v3, s39, v2
	v_add_nc_u32_e32 v3, v2, v3
	s_delay_alu instid0(VALU_DEP_1) | instskip(NEXT) | instid1(VALU_DEP_1)
	v_lshrrev_b32_e32 v6, s35, v3
	v_mul_lo_u32 v3, v6, s38
	s_delay_alu instid0(VALU_DEP_1) | instskip(NEXT) | instid1(VALU_DEP_1)
	v_sub_nc_u32_e32 v2, v2, v3
	v_mad_u64_u32 v[3:4], null, v2, s40, v[0:1]
	v_mad_u64_u32 v[4:5], null, v2, s41, v[1:2]
	v_mov_b32_e32 v2, v6
	s_delay_alu instid0(VALU_DEP_2)
	v_dual_mov_b32 v0, v3 :: v_dual_mov_b32 v1, v4
	s_cbranch_scc1 .LBB311_154
.LBB311_155:
	s_and_not1_b32 vcc_lo, exec_lo, s34
	s_cbranch_vccnz .LBB311_158
; %bb.156:
	v_mul_hi_u32 v0, s9, v12
	s_and_not1_b32 vcc_lo, exec_lo, s28
	s_delay_alu instid0(VALU_DEP_1) | instskip(NEXT) | instid1(VALU_DEP_1)
	v_add_nc_u32_e32 v0, v12, v0
	v_lshrrev_b32_e32 v2, s10, v0
	s_delay_alu instid0(VALU_DEP_1) | instskip(NEXT) | instid1(VALU_DEP_1)
	v_mul_lo_u32 v0, v2, s8
	v_sub_nc_u32_e32 v1, v12, v0
	s_delay_alu instid0(VALU_DEP_1)
	v_mul_lo_u32 v0, v1, s12
	v_mul_lo_u32 v1, v1, s13
	s_cbranch_vccnz .LBB311_158
; %bb.157:
	v_mul_hi_u32 v3, s2, v2
	s_delay_alu instid0(VALU_DEP_1) | instskip(NEXT) | instid1(VALU_DEP_1)
	v_add_nc_u32_e32 v3, v2, v3
	v_lshrrev_b32_e32 v3, s3, v3
	s_delay_alu instid0(VALU_DEP_1) | instskip(NEXT) | instid1(VALU_DEP_1)
	v_mul_lo_u32 v3, v3, s11
	v_sub_nc_u32_e32 v5, v2, v3
	s_delay_alu instid0(VALU_DEP_1) | instskip(NEXT) | instid1(VALU_DEP_1)
	v_mad_u64_u32 v[2:3], null, v5, s14, v[0:1]
	v_mad_u64_u32 v[3:4], null, v5, s15, v[1:2]
	s_delay_alu instid0(VALU_DEP_1)
	v_dual_mov_b32 v0, v2 :: v_dual_mov_b32 v1, v3
.LBB311_158:
	global_load_u16 v1, v1, s[6:7]
	v_add_nc_u32_e32 v12, 0x80, v12
	s_waitcnt vmcnt(0)
	v_max_i16 v1, v1, s26
	s_delay_alu instid0(VALU_DEP_1) | instskip(SKIP_2) | instid1(SALU_CYCLE_1)
	v_min_i16 v1, v1, s27
	global_store_b16 v0, v1, s[4:5]
	s_or_b32 exec_lo, exec_lo, s33
	s_mov_b32 s33, exec_lo
	v_cmpx_gt_i32_e64 s29, v12
	s_cbranch_execnz .LBB311_145
.LBB311_159:
	s_or_b32 exec_lo, exec_lo, s33
	s_delay_alu instid0(SALU_CYCLE_1)
	s_mov_b32 s33, exec_lo
	v_cmpx_gt_i32_e64 s29, v12
	s_cbranch_execz .LBB311_174
.LBB311_160:
	s_and_not1_b32 vcc_lo, exec_lo, s24
	s_cbranch_vccnz .LBB311_165
; %bb.161:
	v_dual_mov_b32 v0, 0 :: v_dual_mov_b32 v1, 0
	s_and_not1_b32 vcc_lo, exec_lo, s31
	s_mov_b32 s34, 0
	s_cbranch_vccnz .LBB311_185
; %bb.162:
	v_mov_b32_e32 v0, 0
	s_add_i32 s36, s30, 1
	s_cmp_eq_u32 s23, 2
	s_mov_b32 s35, 0
	s_cbranch_scc1 .LBB311_181
; %bb.163:
	v_dual_mov_b32 v1, 0 :: v_dual_mov_b32 v0, 0
	v_mov_b32_e32 v2, v12
	s_and_b32 s35, s36, 28
	s_mov_b32 s37, 0
	s_mov_b64 s[18:19], s[16:17]
	s_mov_b64 s[20:21], s[0:1]
.LBB311_164:                            ; =>This Inner Loop Header: Depth=1
	s_clause 0x1
	s_load_b256 s[40:47], s[20:21], 0x4
	s_load_b128 s[56:59], s[20:21], 0x24
	s_load_b256 s[48:55], s[18:19], 0x0
	s_add_u32 s20, s20, 48
	s_addc_u32 s21, s21, 0
	s_add_i32 s37, s37, 4
	s_add_u32 s18, s18, 32
	s_addc_u32 s19, s19, 0
	s_cmp_eq_u32 s35, s37
	s_waitcnt lgkmcnt(0)
	v_mul_hi_u32 v3, s41, v2
	s_delay_alu instid0(VALU_DEP_1) | instskip(NEXT) | instid1(VALU_DEP_1)
	v_add_nc_u32_e32 v3, v2, v3
	v_lshrrev_b32_e32 v3, s42, v3
	s_delay_alu instid0(VALU_DEP_1) | instskip(SKIP_1) | instid1(VALU_DEP_2)
	v_mul_hi_u32 v4, s44, v3
	v_mul_lo_u32 v6, v3, s40
	v_add_nc_u32_e32 v4, v3, v4
	s_delay_alu instid0(VALU_DEP_2) | instskip(NEXT) | instid1(VALU_DEP_2)
	v_sub_nc_u32_e32 v2, v2, v6
	v_lshrrev_b32_e32 v4, s45, v4
	s_delay_alu instid0(VALU_DEP_2) | instskip(SKIP_1) | instid1(VALU_DEP_3)
	v_mul_lo_u32 v6, v2, s48
	v_mul_lo_u32 v8, v2, s49
	v_mul_hi_u32 v5, s47, v4
	s_delay_alu instid0(VALU_DEP_1) | instskip(NEXT) | instid1(VALU_DEP_1)
	v_add_nc_u32_e32 v5, v4, v5
	v_lshrrev_b32_e32 v5, s56, v5
	s_delay_alu instid0(VALU_DEP_1) | instskip(SKIP_1) | instid1(VALU_DEP_2)
	v_mul_hi_u32 v7, s58, v5
	v_mul_lo_u32 v9, v5, s46
	v_add_nc_u32_e32 v2, v5, v7
	v_mul_lo_u32 v7, v4, s43
	s_delay_alu instid0(VALU_DEP_3) | instskip(NEXT) | instid1(VALU_DEP_3)
	v_sub_nc_u32_e32 v4, v4, v9
	v_lshrrev_b32_e32 v2, s59, v2
	s_delay_alu instid0(VALU_DEP_2) | instskip(SKIP_2) | instid1(VALU_DEP_4)
	v_mul_lo_u32 v9, v4, s52
	v_mul_lo_u32 v4, v4, s53
	v_sub_nc_u32_e32 v3, v3, v7
	v_mul_lo_u32 v10, v2, s57
	s_delay_alu instid0(VALU_DEP_2) | instskip(SKIP_1) | instid1(VALU_DEP_3)
	v_mul_lo_u32 v7, v3, s50
	v_mul_lo_u32 v3, v3, s51
	v_sub_nc_u32_e32 v5, v5, v10
	s_delay_alu instid0(VALU_DEP_3) | instskip(NEXT) | instid1(VALU_DEP_2)
	v_add3_u32 v0, v6, v0, v7
	v_mul_lo_u32 v10, v5, s54
	v_mul_lo_u32 v5, v5, s55
	v_add3_u32 v1, v8, v1, v3
	s_delay_alu instid0(VALU_DEP_3) | instskip(NEXT) | instid1(VALU_DEP_2)
	v_add3_u32 v0, v9, v0, v10
	v_add3_u32 v1, v4, v1, v5
	s_cbranch_scc0 .LBB311_164
	s_branch .LBB311_182
.LBB311_165:
	s_mov_b32 s34, -1
                                        ; implicit-def: $vgpr0
                                        ; implicit-def: $vgpr1
	s_branch .LBB311_185
.LBB311_166:
	v_dual_mov_b32 v2, v12 :: v_dual_mov_b32 v1, 0
.LBB311_167:
	s_and_b32 s36, s36, 3
	s_delay_alu instid0(SALU_CYCLE_1)
	s_cmp_eq_u32 s36, 0
	s_cbranch_scc1 .LBB311_170
; %bb.168:
	s_lshl_b32 s18, s35, 3
	s_mul_i32 s20, s35, 12
	s_add_u32 s18, s18, s0
	s_addc_u32 s19, s1, 0
	s_add_u32 s18, s18, 0xc4
	s_addc_u32 s19, s19, 0
	;; [unrolled: 2-line block ×3, first 2 shown]
	.p2align	6
.LBB311_169:                            ; =>This Inner Loop Header: Depth=1
	s_clause 0x1
	s_load_b64 s[38:39], s[20:21], 0x4
	s_load_b32 s35, s[20:21], 0xc
	s_load_b64 s[40:41], s[18:19], 0x0
	s_add_u32 s20, s20, 12
	s_addc_u32 s21, s21, 0
	s_add_u32 s18, s18, 8
	s_addc_u32 s19, s19, 0
	s_add_i32 s36, s36, -1
	s_delay_alu instid0(SALU_CYCLE_1) | instskip(SKIP_2) | instid1(VALU_DEP_1)
	s_cmp_lg_u32 s36, 0
	s_waitcnt lgkmcnt(0)
	v_mul_hi_u32 v3, s39, v2
	v_add_nc_u32_e32 v3, v2, v3
	s_delay_alu instid0(VALU_DEP_1) | instskip(NEXT) | instid1(VALU_DEP_1)
	v_lshrrev_b32_e32 v6, s35, v3
	v_mul_lo_u32 v3, v6, s38
	s_delay_alu instid0(VALU_DEP_1) | instskip(NEXT) | instid1(VALU_DEP_1)
	v_sub_nc_u32_e32 v2, v2, v3
	v_mad_u64_u32 v[3:4], null, v2, s40, v[0:1]
	v_mad_u64_u32 v[4:5], null, v2, s41, v[1:2]
	v_mov_b32_e32 v2, v6
	s_delay_alu instid0(VALU_DEP_2)
	v_dual_mov_b32 v0, v3 :: v_dual_mov_b32 v1, v4
	s_cbranch_scc1 .LBB311_169
.LBB311_170:
	s_and_not1_b32 vcc_lo, exec_lo, s34
	s_cbranch_vccnz .LBB311_173
; %bb.171:
	v_mul_hi_u32 v0, s9, v12
	s_and_not1_b32 vcc_lo, exec_lo, s28
	s_delay_alu instid0(VALU_DEP_1) | instskip(NEXT) | instid1(VALU_DEP_1)
	v_add_nc_u32_e32 v0, v12, v0
	v_lshrrev_b32_e32 v2, s10, v0
	s_delay_alu instid0(VALU_DEP_1) | instskip(NEXT) | instid1(VALU_DEP_1)
	v_mul_lo_u32 v0, v2, s8
	v_sub_nc_u32_e32 v1, v12, v0
	s_delay_alu instid0(VALU_DEP_1)
	v_mul_lo_u32 v0, v1, s12
	v_mul_lo_u32 v1, v1, s13
	s_cbranch_vccnz .LBB311_173
; %bb.172:
	v_mul_hi_u32 v3, s2, v2
	s_delay_alu instid0(VALU_DEP_1) | instskip(NEXT) | instid1(VALU_DEP_1)
	v_add_nc_u32_e32 v3, v2, v3
	v_lshrrev_b32_e32 v3, s3, v3
	s_delay_alu instid0(VALU_DEP_1) | instskip(NEXT) | instid1(VALU_DEP_1)
	v_mul_lo_u32 v3, v3, s11
	v_sub_nc_u32_e32 v5, v2, v3
	s_delay_alu instid0(VALU_DEP_1) | instskip(NEXT) | instid1(VALU_DEP_1)
	v_mad_u64_u32 v[2:3], null, v5, s14, v[0:1]
	v_mad_u64_u32 v[3:4], null, v5, s15, v[1:2]
	s_delay_alu instid0(VALU_DEP_1)
	v_dual_mov_b32 v0, v2 :: v_dual_mov_b32 v1, v3
.LBB311_173:
	global_load_u16 v1, v1, s[6:7]
	v_add_nc_u32_e32 v12, 0x80, v12
	s_waitcnt vmcnt(0)
	v_max_i16 v1, v1, s26
	s_delay_alu instid0(VALU_DEP_1) | instskip(SKIP_2) | instid1(SALU_CYCLE_1)
	v_min_i16 v1, v1, s27
	global_store_b16 v0, v1, s[4:5]
	s_or_b32 exec_lo, exec_lo, s33
	s_mov_b32 s33, exec_lo
	v_cmpx_gt_i32_e64 s29, v12
	s_cbranch_execnz .LBB311_160
.LBB311_174:
	s_or_b32 exec_lo, exec_lo, s33
	s_delay_alu instid0(SALU_CYCLE_1)
	s_mov_b32 s33, exec_lo
	v_cmpx_gt_i32_e64 s29, v12
	s_cbranch_execz .LBB311_189
.LBB311_175:
	s_and_not1_b32 vcc_lo, exec_lo, s24
	s_cbranch_vccnz .LBB311_180
; %bb.176:
	v_dual_mov_b32 v0, 0 :: v_dual_mov_b32 v1, 0
	s_and_not1_b32 vcc_lo, exec_lo, s31
	s_mov_b32 s34, 0
	s_cbranch_vccnz .LBB311_200
; %bb.177:
	v_mov_b32_e32 v0, 0
	s_add_i32 s36, s30, 1
	s_cmp_eq_u32 s23, 2
	s_mov_b32 s35, 0
	s_cbranch_scc1 .LBB311_196
; %bb.178:
	v_dual_mov_b32 v1, 0 :: v_dual_mov_b32 v0, 0
	v_mov_b32_e32 v2, v12
	s_and_b32 s35, s36, 28
	s_mov_b32 s37, 0
	s_mov_b64 s[18:19], s[16:17]
	s_mov_b64 s[20:21], s[0:1]
.LBB311_179:                            ; =>This Inner Loop Header: Depth=1
	s_clause 0x1
	s_load_b256 s[40:47], s[20:21], 0x4
	s_load_b128 s[56:59], s[20:21], 0x24
	s_load_b256 s[48:55], s[18:19], 0x0
	s_add_u32 s20, s20, 48
	s_addc_u32 s21, s21, 0
	s_add_i32 s37, s37, 4
	s_add_u32 s18, s18, 32
	s_addc_u32 s19, s19, 0
	s_cmp_eq_u32 s35, s37
	s_waitcnt lgkmcnt(0)
	v_mul_hi_u32 v3, s41, v2
	s_delay_alu instid0(VALU_DEP_1) | instskip(NEXT) | instid1(VALU_DEP_1)
	v_add_nc_u32_e32 v3, v2, v3
	v_lshrrev_b32_e32 v3, s42, v3
	s_delay_alu instid0(VALU_DEP_1) | instskip(SKIP_1) | instid1(VALU_DEP_2)
	v_mul_hi_u32 v4, s44, v3
	v_mul_lo_u32 v6, v3, s40
	v_add_nc_u32_e32 v4, v3, v4
	s_delay_alu instid0(VALU_DEP_2) | instskip(NEXT) | instid1(VALU_DEP_2)
	v_sub_nc_u32_e32 v2, v2, v6
	v_lshrrev_b32_e32 v4, s45, v4
	s_delay_alu instid0(VALU_DEP_2) | instskip(SKIP_1) | instid1(VALU_DEP_3)
	v_mul_lo_u32 v6, v2, s48
	v_mul_lo_u32 v8, v2, s49
	v_mul_hi_u32 v5, s47, v4
	s_delay_alu instid0(VALU_DEP_1) | instskip(NEXT) | instid1(VALU_DEP_1)
	v_add_nc_u32_e32 v5, v4, v5
	v_lshrrev_b32_e32 v5, s56, v5
	s_delay_alu instid0(VALU_DEP_1) | instskip(SKIP_1) | instid1(VALU_DEP_2)
	v_mul_hi_u32 v7, s58, v5
	v_mul_lo_u32 v9, v5, s46
	v_add_nc_u32_e32 v2, v5, v7
	v_mul_lo_u32 v7, v4, s43
	s_delay_alu instid0(VALU_DEP_3) | instskip(NEXT) | instid1(VALU_DEP_3)
	v_sub_nc_u32_e32 v4, v4, v9
	v_lshrrev_b32_e32 v2, s59, v2
	s_delay_alu instid0(VALU_DEP_2) | instskip(SKIP_2) | instid1(VALU_DEP_4)
	v_mul_lo_u32 v9, v4, s52
	v_mul_lo_u32 v4, v4, s53
	v_sub_nc_u32_e32 v3, v3, v7
	v_mul_lo_u32 v10, v2, s57
	s_delay_alu instid0(VALU_DEP_2) | instskip(SKIP_1) | instid1(VALU_DEP_3)
	v_mul_lo_u32 v7, v3, s50
	v_mul_lo_u32 v3, v3, s51
	v_sub_nc_u32_e32 v5, v5, v10
	s_delay_alu instid0(VALU_DEP_3) | instskip(NEXT) | instid1(VALU_DEP_2)
	v_add3_u32 v0, v6, v0, v7
	v_mul_lo_u32 v10, v5, s54
	v_mul_lo_u32 v5, v5, s55
	v_add3_u32 v1, v8, v1, v3
	s_delay_alu instid0(VALU_DEP_3) | instskip(NEXT) | instid1(VALU_DEP_2)
	v_add3_u32 v0, v9, v0, v10
	v_add3_u32 v1, v4, v1, v5
	s_cbranch_scc0 .LBB311_179
	s_branch .LBB311_197
.LBB311_180:
	s_mov_b32 s34, -1
                                        ; implicit-def: $vgpr0
                                        ; implicit-def: $vgpr1
	s_branch .LBB311_200
.LBB311_181:
	v_dual_mov_b32 v2, v12 :: v_dual_mov_b32 v1, 0
.LBB311_182:
	s_and_b32 s36, s36, 3
	s_delay_alu instid0(SALU_CYCLE_1)
	s_cmp_eq_u32 s36, 0
	s_cbranch_scc1 .LBB311_185
; %bb.183:
	s_lshl_b32 s18, s35, 3
	s_mul_i32 s20, s35, 12
	s_add_u32 s18, s18, s0
	s_addc_u32 s19, s1, 0
	s_add_u32 s18, s18, 0xc4
	s_addc_u32 s19, s19, 0
	;; [unrolled: 2-line block ×3, first 2 shown]
	.p2align	6
.LBB311_184:                            ; =>This Inner Loop Header: Depth=1
	s_clause 0x1
	s_load_b64 s[38:39], s[20:21], 0x4
	s_load_b32 s35, s[20:21], 0xc
	s_load_b64 s[40:41], s[18:19], 0x0
	s_add_u32 s20, s20, 12
	s_addc_u32 s21, s21, 0
	s_add_u32 s18, s18, 8
	s_addc_u32 s19, s19, 0
	s_add_i32 s36, s36, -1
	s_delay_alu instid0(SALU_CYCLE_1) | instskip(SKIP_2) | instid1(VALU_DEP_1)
	s_cmp_lg_u32 s36, 0
	s_waitcnt lgkmcnt(0)
	v_mul_hi_u32 v3, s39, v2
	v_add_nc_u32_e32 v3, v2, v3
	s_delay_alu instid0(VALU_DEP_1) | instskip(NEXT) | instid1(VALU_DEP_1)
	v_lshrrev_b32_e32 v6, s35, v3
	v_mul_lo_u32 v3, v6, s38
	s_delay_alu instid0(VALU_DEP_1) | instskip(NEXT) | instid1(VALU_DEP_1)
	v_sub_nc_u32_e32 v2, v2, v3
	v_mad_u64_u32 v[3:4], null, v2, s40, v[0:1]
	v_mad_u64_u32 v[4:5], null, v2, s41, v[1:2]
	v_mov_b32_e32 v2, v6
	s_delay_alu instid0(VALU_DEP_2)
	v_dual_mov_b32 v0, v3 :: v_dual_mov_b32 v1, v4
	s_cbranch_scc1 .LBB311_184
.LBB311_185:
	s_and_not1_b32 vcc_lo, exec_lo, s34
	s_cbranch_vccnz .LBB311_188
; %bb.186:
	v_mul_hi_u32 v0, s9, v12
	s_and_not1_b32 vcc_lo, exec_lo, s28
	s_delay_alu instid0(VALU_DEP_1) | instskip(NEXT) | instid1(VALU_DEP_1)
	v_add_nc_u32_e32 v0, v12, v0
	v_lshrrev_b32_e32 v2, s10, v0
	s_delay_alu instid0(VALU_DEP_1) | instskip(NEXT) | instid1(VALU_DEP_1)
	v_mul_lo_u32 v0, v2, s8
	v_sub_nc_u32_e32 v1, v12, v0
	s_delay_alu instid0(VALU_DEP_1)
	v_mul_lo_u32 v0, v1, s12
	v_mul_lo_u32 v1, v1, s13
	s_cbranch_vccnz .LBB311_188
; %bb.187:
	v_mul_hi_u32 v3, s2, v2
	s_delay_alu instid0(VALU_DEP_1) | instskip(NEXT) | instid1(VALU_DEP_1)
	v_add_nc_u32_e32 v3, v2, v3
	v_lshrrev_b32_e32 v3, s3, v3
	s_delay_alu instid0(VALU_DEP_1) | instskip(NEXT) | instid1(VALU_DEP_1)
	v_mul_lo_u32 v3, v3, s11
	v_sub_nc_u32_e32 v5, v2, v3
	s_delay_alu instid0(VALU_DEP_1) | instskip(NEXT) | instid1(VALU_DEP_1)
	v_mad_u64_u32 v[2:3], null, v5, s14, v[0:1]
	v_mad_u64_u32 v[3:4], null, v5, s15, v[1:2]
	s_delay_alu instid0(VALU_DEP_1)
	v_dual_mov_b32 v0, v2 :: v_dual_mov_b32 v1, v3
.LBB311_188:
	global_load_u16 v1, v1, s[6:7]
	v_add_nc_u32_e32 v12, 0x80, v12
	s_waitcnt vmcnt(0)
	v_max_i16 v1, v1, s26
	s_delay_alu instid0(VALU_DEP_1) | instskip(SKIP_2) | instid1(SALU_CYCLE_1)
	v_min_i16 v1, v1, s27
	global_store_b16 v0, v1, s[4:5]
	s_or_b32 exec_lo, exec_lo, s33
	s_mov_b32 s33, exec_lo
	v_cmpx_gt_i32_e64 s29, v12
	s_cbranch_execnz .LBB311_175
.LBB311_189:
	s_or_b32 exec_lo, exec_lo, s33
	s_delay_alu instid0(SALU_CYCLE_1)
	s_mov_b32 s33, exec_lo
	v_cmpx_gt_i32_e64 s29, v12
	s_cbranch_execz .LBB311_204
.LBB311_190:
	s_and_not1_b32 vcc_lo, exec_lo, s24
	s_cbranch_vccnz .LBB311_195
; %bb.191:
	v_dual_mov_b32 v0, 0 :: v_dual_mov_b32 v1, 0
	s_and_not1_b32 vcc_lo, exec_lo, s31
	s_mov_b32 s34, 0
	s_cbranch_vccnz .LBB311_211
; %bb.192:
	v_mov_b32_e32 v0, 0
	s_add_i32 s36, s30, 1
	s_cmp_eq_u32 s23, 2
	s_mov_b32 s35, 0
	s_cbranch_scc1 .LBB311_207
; %bb.193:
	v_dual_mov_b32 v1, 0 :: v_dual_mov_b32 v0, 0
	v_mov_b32_e32 v2, v12
	s_and_b32 s35, s36, 28
	s_mov_b32 s37, 0
	s_mov_b64 s[18:19], s[16:17]
	s_mov_b64 s[20:21], s[0:1]
.LBB311_194:                            ; =>This Inner Loop Header: Depth=1
	s_clause 0x1
	s_load_b256 s[40:47], s[20:21], 0x4
	s_load_b128 s[56:59], s[20:21], 0x24
	s_load_b256 s[48:55], s[18:19], 0x0
	s_add_u32 s20, s20, 48
	s_addc_u32 s21, s21, 0
	s_add_i32 s37, s37, 4
	s_add_u32 s18, s18, 32
	s_addc_u32 s19, s19, 0
	s_cmp_eq_u32 s35, s37
	s_waitcnt lgkmcnt(0)
	v_mul_hi_u32 v3, s41, v2
	s_delay_alu instid0(VALU_DEP_1) | instskip(NEXT) | instid1(VALU_DEP_1)
	v_add_nc_u32_e32 v3, v2, v3
	v_lshrrev_b32_e32 v3, s42, v3
	s_delay_alu instid0(VALU_DEP_1) | instskip(SKIP_1) | instid1(VALU_DEP_2)
	v_mul_hi_u32 v4, s44, v3
	v_mul_lo_u32 v6, v3, s40
	v_add_nc_u32_e32 v4, v3, v4
	s_delay_alu instid0(VALU_DEP_2) | instskip(NEXT) | instid1(VALU_DEP_2)
	v_sub_nc_u32_e32 v2, v2, v6
	v_lshrrev_b32_e32 v4, s45, v4
	s_delay_alu instid0(VALU_DEP_2) | instskip(SKIP_1) | instid1(VALU_DEP_3)
	v_mul_lo_u32 v6, v2, s48
	v_mul_lo_u32 v8, v2, s49
	v_mul_hi_u32 v5, s47, v4
	s_delay_alu instid0(VALU_DEP_1) | instskip(NEXT) | instid1(VALU_DEP_1)
	v_add_nc_u32_e32 v5, v4, v5
	v_lshrrev_b32_e32 v5, s56, v5
	s_delay_alu instid0(VALU_DEP_1) | instskip(SKIP_1) | instid1(VALU_DEP_2)
	v_mul_hi_u32 v7, s58, v5
	v_mul_lo_u32 v9, v5, s46
	v_add_nc_u32_e32 v2, v5, v7
	v_mul_lo_u32 v7, v4, s43
	s_delay_alu instid0(VALU_DEP_3) | instskip(NEXT) | instid1(VALU_DEP_3)
	v_sub_nc_u32_e32 v4, v4, v9
	v_lshrrev_b32_e32 v2, s59, v2
	s_delay_alu instid0(VALU_DEP_2) | instskip(SKIP_2) | instid1(VALU_DEP_4)
	v_mul_lo_u32 v9, v4, s52
	v_mul_lo_u32 v4, v4, s53
	v_sub_nc_u32_e32 v3, v3, v7
	v_mul_lo_u32 v10, v2, s57
	s_delay_alu instid0(VALU_DEP_2) | instskip(SKIP_1) | instid1(VALU_DEP_3)
	v_mul_lo_u32 v7, v3, s50
	v_mul_lo_u32 v3, v3, s51
	v_sub_nc_u32_e32 v5, v5, v10
	s_delay_alu instid0(VALU_DEP_3) | instskip(NEXT) | instid1(VALU_DEP_2)
	v_add3_u32 v0, v6, v0, v7
	v_mul_lo_u32 v10, v5, s54
	v_mul_lo_u32 v5, v5, s55
	v_add3_u32 v1, v8, v1, v3
	s_delay_alu instid0(VALU_DEP_3) | instskip(NEXT) | instid1(VALU_DEP_2)
	v_add3_u32 v0, v9, v0, v10
	v_add3_u32 v1, v4, v1, v5
	s_cbranch_scc0 .LBB311_194
	s_branch .LBB311_208
.LBB311_195:
	s_mov_b32 s34, -1
                                        ; implicit-def: $vgpr0
                                        ; implicit-def: $vgpr1
	s_branch .LBB311_211
.LBB311_196:
	v_dual_mov_b32 v2, v12 :: v_dual_mov_b32 v1, 0
.LBB311_197:
	s_and_b32 s36, s36, 3
	s_delay_alu instid0(SALU_CYCLE_1)
	s_cmp_eq_u32 s36, 0
	s_cbranch_scc1 .LBB311_200
; %bb.198:
	s_lshl_b32 s18, s35, 3
	s_mul_i32 s20, s35, 12
	s_add_u32 s18, s18, s0
	s_addc_u32 s19, s1, 0
	s_add_u32 s18, s18, 0xc4
	s_addc_u32 s19, s19, 0
	;; [unrolled: 2-line block ×3, first 2 shown]
	.p2align	6
.LBB311_199:                            ; =>This Inner Loop Header: Depth=1
	s_clause 0x1
	s_load_b64 s[38:39], s[20:21], 0x4
	s_load_b32 s35, s[20:21], 0xc
	s_load_b64 s[40:41], s[18:19], 0x0
	s_add_u32 s20, s20, 12
	s_addc_u32 s21, s21, 0
	s_add_u32 s18, s18, 8
	s_addc_u32 s19, s19, 0
	s_add_i32 s36, s36, -1
	s_delay_alu instid0(SALU_CYCLE_1) | instskip(SKIP_2) | instid1(VALU_DEP_1)
	s_cmp_lg_u32 s36, 0
	s_waitcnt lgkmcnt(0)
	v_mul_hi_u32 v3, s39, v2
	v_add_nc_u32_e32 v3, v2, v3
	s_delay_alu instid0(VALU_DEP_1) | instskip(NEXT) | instid1(VALU_DEP_1)
	v_lshrrev_b32_e32 v6, s35, v3
	v_mul_lo_u32 v3, v6, s38
	s_delay_alu instid0(VALU_DEP_1) | instskip(NEXT) | instid1(VALU_DEP_1)
	v_sub_nc_u32_e32 v2, v2, v3
	v_mad_u64_u32 v[3:4], null, v2, s40, v[0:1]
	v_mad_u64_u32 v[4:5], null, v2, s41, v[1:2]
	v_mov_b32_e32 v2, v6
	s_delay_alu instid0(VALU_DEP_2)
	v_dual_mov_b32 v0, v3 :: v_dual_mov_b32 v1, v4
	s_cbranch_scc1 .LBB311_199
.LBB311_200:
	s_and_not1_b32 vcc_lo, exec_lo, s34
	s_cbranch_vccnz .LBB311_203
; %bb.201:
	v_mul_hi_u32 v0, s9, v12
	s_and_not1_b32 vcc_lo, exec_lo, s28
	s_delay_alu instid0(VALU_DEP_1) | instskip(NEXT) | instid1(VALU_DEP_1)
	v_add_nc_u32_e32 v0, v12, v0
	v_lshrrev_b32_e32 v2, s10, v0
	s_delay_alu instid0(VALU_DEP_1) | instskip(NEXT) | instid1(VALU_DEP_1)
	v_mul_lo_u32 v0, v2, s8
	v_sub_nc_u32_e32 v1, v12, v0
	s_delay_alu instid0(VALU_DEP_1)
	v_mul_lo_u32 v0, v1, s12
	v_mul_lo_u32 v1, v1, s13
	s_cbranch_vccnz .LBB311_203
; %bb.202:
	v_mul_hi_u32 v3, s2, v2
	s_delay_alu instid0(VALU_DEP_1) | instskip(NEXT) | instid1(VALU_DEP_1)
	v_add_nc_u32_e32 v3, v2, v3
	v_lshrrev_b32_e32 v3, s3, v3
	s_delay_alu instid0(VALU_DEP_1) | instskip(NEXT) | instid1(VALU_DEP_1)
	v_mul_lo_u32 v3, v3, s11
	v_sub_nc_u32_e32 v5, v2, v3
	s_delay_alu instid0(VALU_DEP_1) | instskip(NEXT) | instid1(VALU_DEP_1)
	v_mad_u64_u32 v[2:3], null, v5, s14, v[0:1]
	v_mad_u64_u32 v[3:4], null, v5, s15, v[1:2]
	s_delay_alu instid0(VALU_DEP_1)
	v_dual_mov_b32 v0, v2 :: v_dual_mov_b32 v1, v3
.LBB311_203:
	global_load_u16 v1, v1, s[6:7]
	v_add_nc_u32_e32 v12, 0x80, v12
	s_waitcnt vmcnt(0)
	v_max_i16 v1, v1, s26
	s_delay_alu instid0(VALU_DEP_1) | instskip(SKIP_2) | instid1(SALU_CYCLE_1)
	v_min_i16 v1, v1, s27
	global_store_b16 v0, v1, s[4:5]
	s_or_b32 exec_lo, exec_lo, s33
	s_mov_b32 s33, exec_lo
	v_cmpx_gt_i32_e64 s29, v12
	s_cbranch_execnz .LBB311_190
.LBB311_204:
	s_or_b32 exec_lo, exec_lo, s33
	s_delay_alu instid0(SALU_CYCLE_1)
	s_mov_b32 s20, exec_lo
	v_cmpx_gt_i32_e64 s29, v12
	s_cbranch_execnz .LBB311_215
.LBB311_205:
	s_or_b32 exec_lo, exec_lo, s20
                                        ; implicit-def: $vgpr16
                                        ; implicit-def: $vgpr12
	s_and_not1_saveexec_b32 s2, s25
	s_cbranch_execnz .LBB311_8
.LBB311_206:
	s_nop 0
	s_sendmsg sendmsg(MSG_DEALLOC_VGPRS)
	s_endpgm
.LBB311_207:
	v_dual_mov_b32 v2, v12 :: v_dual_mov_b32 v1, 0
.LBB311_208:
	s_and_b32 s36, s36, 3
	s_delay_alu instid0(SALU_CYCLE_1)
	s_cmp_eq_u32 s36, 0
	s_cbranch_scc1 .LBB311_211
; %bb.209:
	s_lshl_b32 s18, s35, 3
	s_mul_i32 s20, s35, 12
	s_add_u32 s18, s18, s0
	s_addc_u32 s19, s1, 0
	s_add_u32 s18, s18, 0xc4
	s_addc_u32 s19, s19, 0
	;; [unrolled: 2-line block ×3, first 2 shown]
	.p2align	6
.LBB311_210:                            ; =>This Inner Loop Header: Depth=1
	s_clause 0x1
	s_load_b64 s[38:39], s[20:21], 0x4
	s_load_b32 s35, s[20:21], 0xc
	s_load_b64 s[40:41], s[18:19], 0x0
	s_add_u32 s20, s20, 12
	s_addc_u32 s21, s21, 0
	s_add_u32 s18, s18, 8
	s_addc_u32 s19, s19, 0
	s_add_i32 s36, s36, -1
	s_delay_alu instid0(SALU_CYCLE_1) | instskip(SKIP_2) | instid1(VALU_DEP_1)
	s_cmp_lg_u32 s36, 0
	s_waitcnt lgkmcnt(0)
	v_mul_hi_u32 v3, s39, v2
	v_add_nc_u32_e32 v3, v2, v3
	s_delay_alu instid0(VALU_DEP_1) | instskip(NEXT) | instid1(VALU_DEP_1)
	v_lshrrev_b32_e32 v6, s35, v3
	v_mul_lo_u32 v3, v6, s38
	s_delay_alu instid0(VALU_DEP_1) | instskip(NEXT) | instid1(VALU_DEP_1)
	v_sub_nc_u32_e32 v2, v2, v3
	v_mad_u64_u32 v[3:4], null, v2, s40, v[0:1]
	v_mad_u64_u32 v[4:5], null, v2, s41, v[1:2]
	v_mov_b32_e32 v2, v6
	s_delay_alu instid0(VALU_DEP_2)
	v_dual_mov_b32 v0, v3 :: v_dual_mov_b32 v1, v4
	s_cbranch_scc1 .LBB311_210
.LBB311_211:
	s_and_not1_b32 vcc_lo, exec_lo, s34
	s_cbranch_vccnz .LBB311_214
; %bb.212:
	v_mul_hi_u32 v0, s9, v12
	s_and_not1_b32 vcc_lo, exec_lo, s28
	s_delay_alu instid0(VALU_DEP_1) | instskip(NEXT) | instid1(VALU_DEP_1)
	v_add_nc_u32_e32 v0, v12, v0
	v_lshrrev_b32_e32 v2, s10, v0
	s_delay_alu instid0(VALU_DEP_1) | instskip(NEXT) | instid1(VALU_DEP_1)
	v_mul_lo_u32 v0, v2, s8
	v_sub_nc_u32_e32 v1, v12, v0
	s_delay_alu instid0(VALU_DEP_1)
	v_mul_lo_u32 v0, v1, s12
	v_mul_lo_u32 v1, v1, s13
	s_cbranch_vccnz .LBB311_214
; %bb.213:
	v_mul_hi_u32 v3, s2, v2
	s_delay_alu instid0(VALU_DEP_1) | instskip(NEXT) | instid1(VALU_DEP_1)
	v_add_nc_u32_e32 v3, v2, v3
	v_lshrrev_b32_e32 v3, s3, v3
	s_delay_alu instid0(VALU_DEP_1) | instskip(NEXT) | instid1(VALU_DEP_1)
	v_mul_lo_u32 v3, v3, s11
	v_sub_nc_u32_e32 v5, v2, v3
	s_delay_alu instid0(VALU_DEP_1) | instskip(NEXT) | instid1(VALU_DEP_1)
	v_mad_u64_u32 v[2:3], null, v5, s14, v[0:1]
	v_mad_u64_u32 v[3:4], null, v5, s15, v[1:2]
	s_delay_alu instid0(VALU_DEP_1)
	v_dual_mov_b32 v0, v2 :: v_dual_mov_b32 v1, v3
.LBB311_214:
	global_load_u16 v1, v1, s[6:7]
	v_add_nc_u32_e32 v12, 0x80, v12
	s_waitcnt vmcnt(0)
	v_max_i16 v1, v1, s26
	s_delay_alu instid0(VALU_DEP_1) | instskip(SKIP_2) | instid1(SALU_CYCLE_1)
	v_min_i16 v1, v1, s27
	global_store_b16 v0, v1, s[4:5]
	s_or_b32 exec_lo, exec_lo, s33
	s_mov_b32 s20, exec_lo
	v_cmpx_gt_i32_e64 s29, v12
	s_cbranch_execz .LBB311_205
.LBB311_215:
	s_and_not1_b32 vcc_lo, exec_lo, s24
	s_cbranch_vccnz .LBB311_220
; %bb.216:
	v_dual_mov_b32 v0, 0 :: v_dual_mov_b32 v1, 0
	s_and_not1_b32 vcc_lo, exec_lo, s31
	s_mov_b32 s21, 0
	s_cbranch_vccnz .LBB311_225
; %bb.217:
	v_mov_b32_e32 v0, 0
	s_add_i32 s30, s30, 1
	s_cmp_eq_u32 s23, 2
	s_mov_b32 s29, 0
	s_cbranch_scc1 .LBB311_221
; %bb.218:
	v_dual_mov_b32 v1, 0 :: v_dual_mov_b32 v0, 0
	v_mov_b32_e32 v2, v12
	s_and_b32 s29, s30, 28
	s_mov_b32 s31, 0
	s_mov_b64 s[18:19], s[0:1]
.LBB311_219:                            ; =>This Inner Loop Header: Depth=1
	s_clause 0x1
	s_load_b256 s[36:43], s[18:19], 0x4
	s_load_b128 s[52:55], s[18:19], 0x24
	s_load_b256 s[44:51], s[16:17], 0x0
	s_add_u32 s18, s18, 48
	s_addc_u32 s19, s19, 0
	s_add_i32 s31, s31, 4
	s_add_u32 s16, s16, 32
	s_addc_u32 s17, s17, 0
	s_cmp_eq_u32 s29, s31
	s_waitcnt lgkmcnt(0)
	v_mul_hi_u32 v3, s37, v2
	s_delay_alu instid0(VALU_DEP_1) | instskip(NEXT) | instid1(VALU_DEP_1)
	v_add_nc_u32_e32 v3, v2, v3
	v_lshrrev_b32_e32 v3, s38, v3
	s_delay_alu instid0(VALU_DEP_1) | instskip(SKIP_1) | instid1(VALU_DEP_2)
	v_mul_hi_u32 v4, s40, v3
	v_mul_lo_u32 v6, v3, s36
	v_add_nc_u32_e32 v4, v3, v4
	s_delay_alu instid0(VALU_DEP_2) | instskip(NEXT) | instid1(VALU_DEP_2)
	v_sub_nc_u32_e32 v2, v2, v6
	v_lshrrev_b32_e32 v4, s41, v4
	s_delay_alu instid0(VALU_DEP_2) | instskip(SKIP_1) | instid1(VALU_DEP_3)
	v_mul_lo_u32 v6, v2, s44
	v_mul_lo_u32 v8, v2, s45
	v_mul_hi_u32 v5, s43, v4
	s_delay_alu instid0(VALU_DEP_1) | instskip(NEXT) | instid1(VALU_DEP_1)
	v_add_nc_u32_e32 v5, v4, v5
	v_lshrrev_b32_e32 v5, s52, v5
	s_delay_alu instid0(VALU_DEP_1) | instskip(SKIP_1) | instid1(VALU_DEP_2)
	v_mul_hi_u32 v7, s54, v5
	v_mul_lo_u32 v9, v5, s42
	v_add_nc_u32_e32 v2, v5, v7
	v_mul_lo_u32 v7, v4, s39
	s_delay_alu instid0(VALU_DEP_3) | instskip(NEXT) | instid1(VALU_DEP_3)
	v_sub_nc_u32_e32 v4, v4, v9
	v_lshrrev_b32_e32 v2, s55, v2
	s_delay_alu instid0(VALU_DEP_2) | instskip(SKIP_2) | instid1(VALU_DEP_4)
	v_mul_lo_u32 v9, v4, s48
	v_mul_lo_u32 v4, v4, s49
	v_sub_nc_u32_e32 v3, v3, v7
	v_mul_lo_u32 v10, v2, s53
	s_delay_alu instid0(VALU_DEP_2) | instskip(SKIP_1) | instid1(VALU_DEP_3)
	v_mul_lo_u32 v7, v3, s46
	v_mul_lo_u32 v3, v3, s47
	v_sub_nc_u32_e32 v5, v5, v10
	s_delay_alu instid0(VALU_DEP_3) | instskip(NEXT) | instid1(VALU_DEP_2)
	v_add3_u32 v0, v6, v0, v7
	v_mul_lo_u32 v10, v5, s50
	v_mul_lo_u32 v5, v5, s51
	v_add3_u32 v1, v8, v1, v3
	s_delay_alu instid0(VALU_DEP_3) | instskip(NEXT) | instid1(VALU_DEP_2)
	v_add3_u32 v0, v9, v0, v10
	v_add3_u32 v1, v4, v1, v5
	s_cbranch_scc0 .LBB311_219
	s_branch .LBB311_222
.LBB311_220:
	s_mov_b32 s21, -1
                                        ; implicit-def: $vgpr0
                                        ; implicit-def: $vgpr1
	s_branch .LBB311_225
.LBB311_221:
	v_dual_mov_b32 v2, v12 :: v_dual_mov_b32 v1, 0
.LBB311_222:
	s_and_b32 s30, s30, 3
	s_delay_alu instid0(SALU_CYCLE_1)
	s_cmp_eq_u32 s30, 0
	s_cbranch_scc1 .LBB311_225
; %bb.223:
	s_lshl_b32 s16, s29, 3
	s_mul_i32 s18, s29, 12
	s_add_u32 s16, s16, s0
	s_addc_u32 s17, s1, 0
	s_add_u32 s16, s16, 0xc4
	s_addc_u32 s17, s17, 0
	;; [unrolled: 2-line block ×3, first 2 shown]
	.p2align	6
.LBB311_224:                            ; =>This Inner Loop Header: Depth=1
	s_clause 0x1
	s_load_b64 s[34:35], s[18:19], 0x4
	s_load_b32 s29, s[18:19], 0xc
	s_load_b64 s[36:37], s[16:17], 0x0
	s_add_u32 s18, s18, 12
	s_addc_u32 s19, s19, 0
	s_add_u32 s16, s16, 8
	s_addc_u32 s17, s17, 0
	s_add_i32 s30, s30, -1
	s_delay_alu instid0(SALU_CYCLE_1) | instskip(SKIP_2) | instid1(VALU_DEP_1)
	s_cmp_lg_u32 s30, 0
	s_waitcnt lgkmcnt(0)
	v_mul_hi_u32 v3, s35, v2
	v_add_nc_u32_e32 v3, v2, v3
	s_delay_alu instid0(VALU_DEP_1) | instskip(NEXT) | instid1(VALU_DEP_1)
	v_lshrrev_b32_e32 v6, s29, v3
	v_mul_lo_u32 v3, v6, s34
	s_delay_alu instid0(VALU_DEP_1) | instskip(NEXT) | instid1(VALU_DEP_1)
	v_sub_nc_u32_e32 v2, v2, v3
	v_mad_u64_u32 v[3:4], null, v2, s36, v[0:1]
	v_mad_u64_u32 v[4:5], null, v2, s37, v[1:2]
	v_mov_b32_e32 v2, v6
	s_delay_alu instid0(VALU_DEP_2)
	v_dual_mov_b32 v0, v3 :: v_dual_mov_b32 v1, v4
	s_cbranch_scc1 .LBB311_224
.LBB311_225:
	s_and_not1_b32 vcc_lo, exec_lo, s21
	s_cbranch_vccnz .LBB311_228
; %bb.226:
	v_mul_hi_u32 v0, s9, v12
	s_and_not1_b32 vcc_lo, exec_lo, s28
	s_delay_alu instid0(VALU_DEP_1) | instskip(NEXT) | instid1(VALU_DEP_1)
	v_add_nc_u32_e32 v0, v12, v0
	v_lshrrev_b32_e32 v2, s10, v0
	s_delay_alu instid0(VALU_DEP_1) | instskip(NEXT) | instid1(VALU_DEP_1)
	v_mul_lo_u32 v0, v2, s8
	v_sub_nc_u32_e32 v1, v12, v0
	s_delay_alu instid0(VALU_DEP_1)
	v_mul_lo_u32 v0, v1, s12
	v_mul_lo_u32 v1, v1, s13
	s_cbranch_vccnz .LBB311_228
; %bb.227:
	v_mul_hi_u32 v3, s2, v2
	s_delay_alu instid0(VALU_DEP_1) | instskip(NEXT) | instid1(VALU_DEP_1)
	v_add_nc_u32_e32 v3, v2, v3
	v_lshrrev_b32_e32 v3, s3, v3
	s_delay_alu instid0(VALU_DEP_1) | instskip(NEXT) | instid1(VALU_DEP_1)
	v_mul_lo_u32 v3, v3, s11
	v_sub_nc_u32_e32 v5, v2, v3
	s_delay_alu instid0(VALU_DEP_1) | instskip(NEXT) | instid1(VALU_DEP_1)
	v_mad_u64_u32 v[2:3], null, v5, s14, v[0:1]
	v_mad_u64_u32 v[3:4], null, v5, s15, v[1:2]
	s_delay_alu instid0(VALU_DEP_1)
	v_dual_mov_b32 v0, v2 :: v_dual_mov_b32 v1, v3
.LBB311_228:
	global_load_u16 v1, v1, s[6:7]
	s_waitcnt vmcnt(0)
	v_max_i16 v1, v1, s26
	s_delay_alu instid0(VALU_DEP_1)
	v_min_i16 v1, v1, s27
	global_store_b16 v0, v1, s[4:5]
	s_or_b32 exec_lo, exec_lo, s20
                                        ; implicit-def: $vgpr16
                                        ; implicit-def: $vgpr12
	s_and_not1_saveexec_b32 s2, s25
	s_cbranch_execz .LBB311_206
	s_branch .LBB311_8
	.section	.rodata,"a",@progbits
	.p2align	6, 0x0
	.amdhsa_kernel _ZN2at6native32elementwise_kernel_manual_unrollILi128ELi8EZNS0_22gpu_kernel_impl_nocastIZZZNS0_17clamp_kernel_cudaERNS_18TensorIteratorBaseERKN3c106ScalarES8_ENKUlvE_clEvENKUlvE3_clEvEUlsE_EEvS4_RKT_EUlibE_EEviT1_
		.amdhsa_group_segment_fixed_size 0
		.amdhsa_private_segment_fixed_size 0
		.amdhsa_kernarg_size 360
		.amdhsa_user_sgpr_count 15
		.amdhsa_user_sgpr_dispatch_ptr 0
		.amdhsa_user_sgpr_queue_ptr 0
		.amdhsa_user_sgpr_kernarg_segment_ptr 1
		.amdhsa_user_sgpr_dispatch_id 0
		.amdhsa_user_sgpr_private_segment_size 0
		.amdhsa_wavefront_size32 1
		.amdhsa_uses_dynamic_stack 0
		.amdhsa_enable_private_segment 0
		.amdhsa_system_sgpr_workgroup_id_x 1
		.amdhsa_system_sgpr_workgroup_id_y 0
		.amdhsa_system_sgpr_workgroup_id_z 0
		.amdhsa_system_sgpr_workgroup_info 0
		.amdhsa_system_vgpr_workitem_id 0
		.amdhsa_next_free_vgpr 26
		.amdhsa_next_free_sgpr 60
		.amdhsa_reserve_vcc 1
		.amdhsa_float_round_mode_32 0
		.amdhsa_float_round_mode_16_64 0
		.amdhsa_float_denorm_mode_32 3
		.amdhsa_float_denorm_mode_16_64 3
		.amdhsa_dx10_clamp 1
		.amdhsa_ieee_mode 1
		.amdhsa_fp16_overflow 0
		.amdhsa_workgroup_processor_mode 1
		.amdhsa_memory_ordered 1
		.amdhsa_forward_progress 0
		.amdhsa_shared_vgpr_count 0
		.amdhsa_exception_fp_ieee_invalid_op 0
		.amdhsa_exception_fp_denorm_src 0
		.amdhsa_exception_fp_ieee_div_zero 0
		.amdhsa_exception_fp_ieee_overflow 0
		.amdhsa_exception_fp_ieee_underflow 0
		.amdhsa_exception_fp_ieee_inexact 0
		.amdhsa_exception_int_div_zero 0
	.end_amdhsa_kernel
	.section	.text._ZN2at6native32elementwise_kernel_manual_unrollILi128ELi8EZNS0_22gpu_kernel_impl_nocastIZZZNS0_17clamp_kernel_cudaERNS_18TensorIteratorBaseERKN3c106ScalarES8_ENKUlvE_clEvENKUlvE3_clEvEUlsE_EEvS4_RKT_EUlibE_EEviT1_,"axG",@progbits,_ZN2at6native32elementwise_kernel_manual_unrollILi128ELi8EZNS0_22gpu_kernel_impl_nocastIZZZNS0_17clamp_kernel_cudaERNS_18TensorIteratorBaseERKN3c106ScalarES8_ENKUlvE_clEvENKUlvE3_clEvEUlsE_EEvS4_RKT_EUlibE_EEviT1_,comdat
.Lfunc_end311:
	.size	_ZN2at6native32elementwise_kernel_manual_unrollILi128ELi8EZNS0_22gpu_kernel_impl_nocastIZZZNS0_17clamp_kernel_cudaERNS_18TensorIteratorBaseERKN3c106ScalarES8_ENKUlvE_clEvENKUlvE3_clEvEUlsE_EEvS4_RKT_EUlibE_EEviT1_, .Lfunc_end311-_ZN2at6native32elementwise_kernel_manual_unrollILi128ELi8EZNS0_22gpu_kernel_impl_nocastIZZZNS0_17clamp_kernel_cudaERNS_18TensorIteratorBaseERKN3c106ScalarES8_ENKUlvE_clEvENKUlvE3_clEvEUlsE_EEvS4_RKT_EUlibE_EEviT1_
                                        ; -- End function
	.section	.AMDGPU.csdata,"",@progbits
; Kernel info:
; codeLenInByte = 13612
; NumSgprs: 62
; NumVgprs: 26
; ScratchSize: 0
; MemoryBound: 0
; FloatMode: 240
; IeeeMode: 1
; LDSByteSize: 0 bytes/workgroup (compile time only)
; SGPRBlocks: 7
; VGPRBlocks: 3
; NumSGPRsForWavesPerEU: 62
; NumVGPRsForWavesPerEU: 26
; Occupancy: 16
; WaveLimiterHint : 1
; COMPUTE_PGM_RSRC2:SCRATCH_EN: 0
; COMPUTE_PGM_RSRC2:USER_SGPR: 15
; COMPUTE_PGM_RSRC2:TRAP_HANDLER: 0
; COMPUTE_PGM_RSRC2:TGID_X_EN: 1
; COMPUTE_PGM_RSRC2:TGID_Y_EN: 0
; COMPUTE_PGM_RSRC2:TGID_Z_EN: 0
; COMPUTE_PGM_RSRC2:TIDIG_COMP_CNT: 0
	.section	.text._ZN2at6native32elementwise_kernel_manual_unrollILi128ELi4EZNS0_15gpu_kernel_implIZZZNS0_17clamp_kernel_cudaERNS_18TensorIteratorBaseERKN3c106ScalarES8_ENKUlvE_clEvENKUlvE3_clEvEUlsE_EEvS4_RKT_EUlibE_EEviT1_,"axG",@progbits,_ZN2at6native32elementwise_kernel_manual_unrollILi128ELi4EZNS0_15gpu_kernel_implIZZZNS0_17clamp_kernel_cudaERNS_18TensorIteratorBaseERKN3c106ScalarES8_ENKUlvE_clEvENKUlvE3_clEvEUlsE_EEvS4_RKT_EUlibE_EEviT1_,comdat
	.globl	_ZN2at6native32elementwise_kernel_manual_unrollILi128ELi4EZNS0_15gpu_kernel_implIZZZNS0_17clamp_kernel_cudaERNS_18TensorIteratorBaseERKN3c106ScalarES8_ENKUlvE_clEvENKUlvE3_clEvEUlsE_EEvS4_RKT_EUlibE_EEviT1_ ; -- Begin function _ZN2at6native32elementwise_kernel_manual_unrollILi128ELi4EZNS0_15gpu_kernel_implIZZZNS0_17clamp_kernel_cudaERNS_18TensorIteratorBaseERKN3c106ScalarES8_ENKUlvE_clEvENKUlvE3_clEvEUlsE_EEvS4_RKT_EUlibE_EEviT1_
	.p2align	8
	.type	_ZN2at6native32elementwise_kernel_manual_unrollILi128ELi4EZNS0_15gpu_kernel_implIZZZNS0_17clamp_kernel_cudaERNS_18TensorIteratorBaseERKN3c106ScalarES8_ENKUlvE_clEvENKUlvE3_clEvEUlsE_EEvS4_RKT_EUlibE_EEviT1_,@function
_ZN2at6native32elementwise_kernel_manual_unrollILi128ELi4EZNS0_15gpu_kernel_implIZZZNS0_17clamp_kernel_cudaERNS_18TensorIteratorBaseERKN3c106ScalarES8_ENKUlvE_clEvENKUlvE3_clEvEUlsE_EEvS4_RKT_EUlibE_EEviT1_: ; @_ZN2at6native32elementwise_kernel_manual_unrollILi128ELi4EZNS0_15gpu_kernel_implIZZZNS0_17clamp_kernel_cudaERNS_18TensorIteratorBaseERKN3c106ScalarES8_ENKUlvE_clEvENKUlvE3_clEvEUlsE_EEvS4_RKT_EUlibE_EEviT1_
; %bb.0:
	s_clause 0x1
	s_load_b256 s[4:11], s[0:1], 0x8
	s_load_b32 s13, s[0:1], 0x0
	v_lshl_or_b32 v9, s15, 9, v0
	s_mov_b32 s2, 0
	s_mov_b32 s12, 0
	s_mov_b32 s0, exec_lo
	s_delay_alu instid0(VALU_DEP_1) | instskip(SKIP_3) | instid1(VALU_DEP_2)
	v_or_b32_e32 v0, 0x180, v9
	s_waitcnt lgkmcnt(0)
	v_lshrrev_b16 v10, 8, s11
	s_lshr_b32 s1, s10, 16
	v_cmpx_le_i32_e64 s13, v0
	s_xor_b32 s3, exec_lo, s0
	s_cbranch_execz .LBB312_1017
; %bb.1:
	s_mov_b32 s18, -1
	s_mov_b32 s16, 0
	s_mov_b32 s14, 0
	s_mov_b32 s15, exec_lo
	v_cmpx_gt_i32_e64 s13, v9
	s_cbranch_execz .LBB312_248
; %bb.2:
	v_mul_lo_u32 v0, v9, s9
	v_cmp_gt_i16_e32 vcc_lo, 11, v10
	s_delay_alu instid0(VALU_DEP_2) | instskip(SKIP_1) | instid1(VALU_DEP_1)
	v_ashrrev_i32_e32 v1, 31, v0
	v_add_co_u32 v0, s0, s6, v0
	v_add_co_ci_u32_e64 v1, s0, s7, v1, s0
	s_cbranch_vccnz .LBB312_9
; %bb.3:
	v_cmp_lt_i16_e32 vcc_lo, 25, v10
	s_cbranch_vccz .LBB312_18
; %bb.4:
	v_cmp_lt_i16_e32 vcc_lo, 28, v10
	s_cbranch_vccz .LBB312_21
	;; [unrolled: 3-line block ×4, first 2 shown]
; %bb.7:
	v_cmp_eq_u16_e32 vcc_lo, 46, v10
	s_cbranch_vccz .LBB312_27
; %bb.8:
	global_load_b32 v2, v[0:1], off
	s_mov_b32 s0, -1
	s_waitcnt vmcnt(0)
	v_lshlrev_b32_e32 v2, 16, v2
	s_delay_alu instid0(VALU_DEP_1)
	v_cvt_i32_f32_e32 v2, v2
	s_branch .LBB312_29
.LBB312_9:
	s_mov_b32 s0, 0
                                        ; implicit-def: $vgpr2
	s_cbranch_execnz .LBB312_198
.LBB312_10:
	s_and_not1_b32 vcc_lo, exec_lo, s0
	s_cbranch_vccnz .LBB312_245
.LBB312_11:
	v_mul_lo_u32 v0, v9, s8
	s_waitcnt vmcnt(0)
	s_delay_alu instid0(VALU_DEP_2) | instskip(SKIP_1) | instid1(VALU_DEP_2)
	v_max_i16 v1, v2, s10
	v_and_b32_e64 v3, 0xff, s11
	v_min_i16 v2, v1, s1
	s_delay_alu instid0(VALU_DEP_2) | instskip(SKIP_2) | instid1(VALU_DEP_1)
	v_cmp_gt_i16_e32 vcc_lo, 11, v3
	v_ashrrev_i32_e32 v1, 31, v0
	v_add_co_u32 v0, s0, s4, v0
	v_add_co_ci_u32_e64 v1, s0, s5, v1, s0
	s_cbranch_vccnz .LBB312_19
; %bb.12:
	v_cmp_lt_i16_e32 vcc_lo, 25, v3
	s_cbranch_vccz .LBB312_22
; %bb.13:
	v_cmp_lt_i16_e32 vcc_lo, 28, v3
	s_cbranch_vccz .LBB312_24
	;; [unrolled: 3-line block ×4, first 2 shown]
; %bb.16:
	v_cmp_eq_u16_e32 vcc_lo, 46, v3
	s_mov_b32 s17, 0
	s_mov_b32 s0, -1
	s_mov_b32 s12, 0
	s_cbranch_vccz .LBB312_33
; %bb.17:
	v_bfe_i32 v4, v2, 0, 16
	s_mov_b32 s12, -1
	s_mov_b32 s0, 0
	s_delay_alu instid0(VALU_DEP_1) | instskip(NEXT) | instid1(VALU_DEP_1)
	v_cvt_f32_i32_e32 v4, v4
	v_bfe_u32 v5, v4, 16, 1
	s_delay_alu instid0(VALU_DEP_1) | instskip(NEXT) | instid1(VALU_DEP_1)
	v_add3_u32 v4, v4, v5, 0x7fff
	v_lshrrev_b32_e32 v4, 16, v4
	global_store_b32 v[0:1], v4, off
	s_branch .LBB312_33
.LBB312_18:
	s_mov_b32 s0, 0
                                        ; implicit-def: $vgpr2
	s_cbranch_execnz .LBB312_165
	s_branch .LBB312_197
.LBB312_19:
	s_mov_b32 s0, 0
	s_mov_b32 s12, 0
	s_cbranch_execnz .LBB312_102
.LBB312_20:
	s_and_not1_b32 vcc_lo, exec_lo, s12
	s_cbranch_vccnz .LBB312_246
	s_branch .LBB312_140
.LBB312_21:
	s_mov_b32 s12, -1
	s_mov_b32 s0, 0
                                        ; implicit-def: $vgpr2
	s_branch .LBB312_148
.LBB312_22:
	s_mov_b32 s17, -1
	s_mov_b32 s0, 0
	s_mov_b32 s12, 0
	s_branch .LBB312_60
.LBB312_23:
	s_mov_b32 s12, -1
	s_mov_b32 s0, 0
                                        ; implicit-def: $vgpr2
	s_branch .LBB312_143
.LBB312_24:
	s_mov_b32 s17, -1
	s_mov_b32 s0, 0
	s_mov_b32 s12, 0
	s_branch .LBB312_43
.LBB312_25:
	s_mov_b32 s12, -1
	s_branch .LBB312_28
.LBB312_26:
	s_mov_b32 s17, -1
	s_mov_b32 s0, 0
	s_mov_b32 s12, 0
	s_branch .LBB312_39
.LBB312_27:
	s_mov_b32 s14, -1
.LBB312_28:
	s_mov_b32 s0, 0
                                        ; implicit-def: $vgpr2
.LBB312_29:
	s_and_b32 vcc_lo, exec_lo, s12
	s_cbranch_vccz .LBB312_142
; %bb.30:
	v_cmp_eq_u16_e32 vcc_lo, 44, v10
	s_cbranch_vccz .LBB312_141
; %bb.31:
	global_load_u8 v2, v[0:1], off
	s_mov_b32 s14, 0
	s_mov_b32 s0, -1
	s_waitcnt vmcnt(0)
	v_lshlrev_b32_e32 v3, 23, v2
	v_cmp_ne_u32_e32 vcc_lo, 0, v2
	s_delay_alu instid0(VALU_DEP_2) | instskip(NEXT) | instid1(VALU_DEP_1)
	v_cvt_i32_f32_e32 v3, v3
	v_cndmask_b32_e32 v2, 0, v3, vcc_lo
	s_branch .LBB312_142
.LBB312_32:
	s_mov_b32 s17, -1
	s_mov_b32 s0, 0
	s_mov_b32 s12, 0
.LBB312_33:
	s_and_b32 vcc_lo, exec_lo, s17
	s_cbranch_vccz .LBB312_38
; %bb.34:
	v_cmp_eq_u16_e32 vcc_lo, 44, v3
	s_mov_b32 s0, -1
	s_cbranch_vccz .LBB312_38
; %bb.35:
	v_bfe_i32 v4, v2, 0, 16
	v_mov_b32_e32 v5, 0xff
	s_mov_b32 s12, exec_lo
	s_delay_alu instid0(VALU_DEP_2) | instskip(NEXT) | instid1(VALU_DEP_1)
	v_cvt_f32_i32_e32 v4, v4
	v_bfe_u32 v6, v4, 23, 8
	s_delay_alu instid0(VALU_DEP_1)
	v_cmpx_ne_u32_e32 0xff, v6
; %bb.36:
	v_and_b32_e32 v5, 0x400000, v4
	v_and_or_b32 v6, 0x3fffff, v4, v6
	v_lshrrev_b32_e32 v4, 23, v4
	s_delay_alu instid0(VALU_DEP_3) | instskip(NEXT) | instid1(VALU_DEP_3)
	v_cmp_ne_u32_e32 vcc_lo, 0, v5
	v_cmp_ne_u32_e64 s0, 0, v6
	s_delay_alu instid0(VALU_DEP_1) | instskip(NEXT) | instid1(SALU_CYCLE_1)
	s_and_b32 s0, vcc_lo, s0
	v_cndmask_b32_e64 v5, 0, 1, s0
	s_delay_alu instid0(VALU_DEP_1)
	v_add_nc_u32_e32 v5, v4, v5
; %bb.37:
	s_or_b32 exec_lo, exec_lo, s12
	s_mov_b32 s12, -1
	s_mov_b32 s0, 0
	global_store_b8 v[0:1], v5, off
.LBB312_38:
	s_mov_b32 s17, 0
.LBB312_39:
	s_delay_alu instid0(SALU_CYCLE_1)
	s_and_b32 vcc_lo, exec_lo, s17
	s_cbranch_vccz .LBB312_42
; %bb.40:
	v_cmp_eq_u16_e32 vcc_lo, 29, v3
	s_mov_b32 s0, -1
	s_cbranch_vccz .LBB312_42
; %bb.41:
	v_bfe_i32 v4, v2, 0, 16
	s_mov_b32 s0, 0
	s_mov_b32 s12, -1
	s_mov_b32 s17, 0
	s_delay_alu instid0(VALU_DEP_1)
	v_ashrrev_i32_e32 v5, 31, v4
	global_store_b64 v[0:1], v[4:5], off
	s_branch .LBB312_43
.LBB312_42:
	s_mov_b32 s17, 0
.LBB312_43:
	s_delay_alu instid0(SALU_CYCLE_1)
	s_and_b32 vcc_lo, exec_lo, s17
	s_cbranch_vccz .LBB312_59
; %bb.44:
	v_cmp_gt_i16_e32 vcc_lo, 27, v3
	s_mov_b32 s12, -1
	s_cbranch_vccnz .LBB312_50
; %bb.45:
	v_cmp_lt_i16_e32 vcc_lo, 27, v3
	s_cbranch_vccz .LBB312_47
; %bb.46:
	v_bfe_i32 v4, v2, 0, 16
	s_mov_b32 s12, 0
	global_store_b32 v[0:1], v4, off
.LBB312_47:
	s_and_not1_b32 vcc_lo, exec_lo, s12
	s_cbranch_vccnz .LBB312_49
; %bb.48:
	global_store_b16 v[0:1], v2, off
.LBB312_49:
	s_mov_b32 s12, 0
.LBB312_50:
	s_delay_alu instid0(SALU_CYCLE_1)
	s_and_not1_b32 vcc_lo, exec_lo, s12
	s_cbranch_vccnz .LBB312_58
; %bb.51:
	v_bfe_i32 v4, v2, 0, 16
	v_mov_b32_e32 v6, 0x80
	s_mov_b32 s12, exec_lo
	s_delay_alu instid0(VALU_DEP_2) | instskip(NEXT) | instid1(VALU_DEP_1)
	v_cvt_f32_i32_e32 v4, v4
	v_and_b32_e32 v5, 0x7fffffff, v4
	s_delay_alu instid0(VALU_DEP_1)
	v_cmpx_gt_u32_e32 0x43800000, v5
	s_cbranch_execz .LBB312_57
; %bb.52:
	v_cmp_lt_u32_e32 vcc_lo, 0x3bffffff, v5
	s_mov_b32 s17, 0
                                        ; implicit-def: $vgpr5
	s_and_saveexec_b32 s18, vcc_lo
	s_delay_alu instid0(SALU_CYCLE_1)
	s_xor_b32 s18, exec_lo, s18
	s_cbranch_execz .LBB312_272
; %bb.53:
	v_bfe_u32 v5, v4, 20, 1
	s_mov_b32 s17, exec_lo
	s_delay_alu instid0(VALU_DEP_1) | instskip(NEXT) | instid1(VALU_DEP_1)
	v_add3_u32 v5, v4, v5, 0x487ffff
	v_lshrrev_b32_e32 v5, 20, v5
	s_or_saveexec_b32 s18, s18
                                        ; implicit-def: $sgpr19
	s_delay_alu instid0(SALU_CYCLE_1)
	s_xor_b32 exec_lo, exec_lo, s18
	s_cbranch_execnz .LBB312_273
.LBB312_54:
	s_or_b32 exec_lo, exec_lo, s18
	v_mov_b32_e32 v6, s19
	s_and_saveexec_b32 s18, s17
.LBB312_55:
	v_lshrrev_b32_e32 v4, 24, v4
	s_delay_alu instid0(VALU_DEP_1)
	v_and_or_b32 v6, 0x80, v4, v5
.LBB312_56:
	s_or_b32 exec_lo, exec_lo, s18
.LBB312_57:
	s_delay_alu instid0(SALU_CYCLE_1)
	s_or_b32 exec_lo, exec_lo, s12
	global_store_b8 v[0:1], v6, off
.LBB312_58:
	s_mov_b32 s12, -1
.LBB312_59:
	s_mov_b32 s17, 0
.LBB312_60:
	s_delay_alu instid0(SALU_CYCLE_1)
	s_and_b32 vcc_lo, exec_lo, s17
	s_cbranch_vccz .LBB312_101
; %bb.61:
	v_cmp_lt_i16_e32 vcc_lo, 22, v3
	s_mov_b32 s17, -1
	s_cbranch_vccz .LBB312_93
; %bb.62:
	v_cmp_gt_i16_e32 vcc_lo, 24, v3
	s_mov_b32 s12, -1
	s_cbranch_vccnz .LBB312_82
; %bb.63:
	v_cmp_lt_i16_e32 vcc_lo, 24, v3
	s_cbranch_vccz .LBB312_71
; %bb.64:
	v_bfe_i32 v4, v2, 0, 16
	v_mov_b32_e32 v6, 0x80
	s_mov_b32 s12, exec_lo
	s_delay_alu instid0(VALU_DEP_2) | instskip(NEXT) | instid1(VALU_DEP_1)
	v_cvt_f32_i32_e32 v4, v4
	v_and_b32_e32 v5, 0x7fffffff, v4
	s_delay_alu instid0(VALU_DEP_1)
	v_cmpx_gt_u32_e32 0x47800000, v5
	s_cbranch_execz .LBB312_70
; %bb.65:
	v_cmp_lt_u32_e32 vcc_lo, 0x37ffffff, v5
	s_mov_b32 s17, 0
                                        ; implicit-def: $vgpr5
	s_and_saveexec_b32 s18, vcc_lo
	s_delay_alu instid0(SALU_CYCLE_1)
	s_xor_b32 s18, exec_lo, s18
	s_cbranch_execz .LBB312_276
; %bb.66:
	v_bfe_u32 v5, v4, 21, 1
	s_mov_b32 s17, exec_lo
	s_delay_alu instid0(VALU_DEP_1) | instskip(NEXT) | instid1(VALU_DEP_1)
	v_add3_u32 v5, v4, v5, 0x88fffff
	v_lshrrev_b32_e32 v5, 21, v5
	s_or_saveexec_b32 s18, s18
                                        ; implicit-def: $sgpr19
	s_delay_alu instid0(SALU_CYCLE_1)
	s_xor_b32 exec_lo, exec_lo, s18
	s_cbranch_execnz .LBB312_277
.LBB312_67:
	s_or_b32 exec_lo, exec_lo, s18
	v_mov_b32_e32 v6, s19
	s_and_saveexec_b32 s18, s17
.LBB312_68:
	v_lshrrev_b32_e32 v4, 24, v4
	s_delay_alu instid0(VALU_DEP_1)
	v_and_or_b32 v6, 0x80, v4, v5
.LBB312_69:
	s_or_b32 exec_lo, exec_lo, s18
.LBB312_70:
	s_delay_alu instid0(SALU_CYCLE_1)
	s_or_b32 exec_lo, exec_lo, s12
	s_mov_b32 s12, 0
	global_store_b8 v[0:1], v6, off
.LBB312_71:
	s_and_b32 vcc_lo, exec_lo, s12
	s_cbranch_vccz .LBB312_81
; %bb.72:
	v_bfe_i32 v4, v2, 0, 16
	s_mov_b32 s12, exec_lo
                                        ; implicit-def: $vgpr5
	s_delay_alu instid0(VALU_DEP_1) | instskip(NEXT) | instid1(VALU_DEP_1)
	v_cvt_f32_i32_e32 v4, v4
	v_and_b32_e32 v6, 0x7fffffff, v4
	s_delay_alu instid0(VALU_DEP_1)
	v_cmpx_gt_u32_e32 0x43f00000, v6
	s_xor_b32 s12, exec_lo, s12
	s_cbranch_execz .LBB312_78
; %bb.73:
	s_mov_b32 s17, exec_lo
                                        ; implicit-def: $vgpr5
	v_cmpx_lt_u32_e32 0x3c7fffff, v6
	s_xor_b32 s17, exec_lo, s17
; %bb.74:
	v_bfe_u32 v5, v4, 20, 1
	s_delay_alu instid0(VALU_DEP_1) | instskip(NEXT) | instid1(VALU_DEP_1)
	v_add3_u32 v5, v4, v5, 0x407ffff
	v_and_b32_e32 v6, 0xff00000, v5
	v_lshrrev_b32_e32 v5, 20, v5
	s_delay_alu instid0(VALU_DEP_2) | instskip(NEXT) | instid1(VALU_DEP_2)
	v_cmp_ne_u32_e32 vcc_lo, 0x7f00000, v6
	v_cndmask_b32_e32 v5, 0x7e, v5, vcc_lo
; %bb.75:
	s_and_not1_saveexec_b32 s17, s17
; %bb.76:
	v_add_f32_e64 v5, 0x46800000, |v4|
; %bb.77:
	s_or_b32 exec_lo, exec_lo, s17
                                        ; implicit-def: $vgpr6
.LBB312_78:
	s_and_not1_saveexec_b32 s12, s12
; %bb.79:
	v_mov_b32_e32 v5, 0x7f
	v_cmp_lt_u32_e32 vcc_lo, 0x7f800000, v6
	s_delay_alu instid0(VALU_DEP_2)
	v_cndmask_b32_e32 v5, 0x7e, v5, vcc_lo
; %bb.80:
	s_or_b32 exec_lo, exec_lo, s12
	v_lshrrev_b32_e32 v4, 24, v4
	s_delay_alu instid0(VALU_DEP_1)
	v_and_or_b32 v4, 0x80, v4, v5
	global_store_b8 v[0:1], v4, off
.LBB312_81:
	s_mov_b32 s12, 0
.LBB312_82:
	s_delay_alu instid0(SALU_CYCLE_1)
	s_and_not1_b32 vcc_lo, exec_lo, s12
	s_cbranch_vccnz .LBB312_92
; %bb.83:
	v_bfe_i32 v4, v2, 0, 16
	s_mov_b32 s12, exec_lo
                                        ; implicit-def: $vgpr5
	s_delay_alu instid0(VALU_DEP_1) | instskip(NEXT) | instid1(VALU_DEP_1)
	v_cvt_f32_i32_e32 v4, v4
	v_and_b32_e32 v6, 0x7fffffff, v4
	s_delay_alu instid0(VALU_DEP_1)
	v_cmpx_gt_u32_e32 0x47800000, v6
	s_xor_b32 s12, exec_lo, s12
	s_cbranch_execz .LBB312_89
; %bb.84:
	s_mov_b32 s17, exec_lo
                                        ; implicit-def: $vgpr5
	v_cmpx_lt_u32_e32 0x387fffff, v6
	s_xor_b32 s17, exec_lo, s17
; %bb.85:
	v_bfe_u32 v5, v4, 21, 1
	s_delay_alu instid0(VALU_DEP_1) | instskip(NEXT) | instid1(VALU_DEP_1)
	v_add3_u32 v5, v4, v5, 0x80fffff
	v_lshrrev_b32_e32 v5, 21, v5
; %bb.86:
	s_and_not1_saveexec_b32 s17, s17
; %bb.87:
	v_add_f32_e64 v5, 0x43000000, |v4|
; %bb.88:
	s_or_b32 exec_lo, exec_lo, s17
                                        ; implicit-def: $vgpr6
.LBB312_89:
	s_and_not1_saveexec_b32 s12, s12
; %bb.90:
	v_mov_b32_e32 v5, 0x7f
	v_cmp_lt_u32_e32 vcc_lo, 0x7f800000, v6
	s_delay_alu instid0(VALU_DEP_2)
	v_cndmask_b32_e32 v5, 0x7c, v5, vcc_lo
; %bb.91:
	s_or_b32 exec_lo, exec_lo, s12
	v_lshrrev_b32_e32 v4, 24, v4
	s_delay_alu instid0(VALU_DEP_1)
	v_and_or_b32 v4, 0x80, v4, v5
	global_store_b8 v[0:1], v4, off
.LBB312_92:
	s_mov_b32 s17, 0
	s_mov_b32 s12, -1
.LBB312_93:
	s_and_not1_b32 vcc_lo, exec_lo, s17
	s_cbranch_vccnz .LBB312_101
; %bb.94:
	v_cmp_lt_i16_e32 vcc_lo, 14, v3
	s_mov_b32 s17, -1
	s_cbranch_vccz .LBB312_98
; %bb.95:
	v_cmp_eq_u16_e32 vcc_lo, 15, v3
	s_mov_b32 s0, -1
	s_cbranch_vccz .LBB312_97
; %bb.96:
	v_bfe_i32 v4, v2, 0, 16
	s_mov_b32 s12, -1
	s_mov_b32 s0, 0
	s_delay_alu instid0(VALU_DEP_1) | instskip(NEXT) | instid1(VALU_DEP_1)
	v_cvt_f32_i32_e32 v4, v4
	v_bfe_u32 v5, v4, 16, 1
	s_delay_alu instid0(VALU_DEP_1)
	v_add3_u32 v4, v4, v5, 0x7fff
	global_store_d16_hi_b16 v[0:1], v4, off
.LBB312_97:
	s_mov_b32 s17, 0
.LBB312_98:
	s_delay_alu instid0(SALU_CYCLE_1)
	s_and_b32 vcc_lo, exec_lo, s17
	s_cbranch_vccz .LBB312_101
; %bb.99:
	v_cmp_eq_u16_e32 vcc_lo, 11, v3
	s_mov_b32 s0, -1
	s_cbranch_vccz .LBB312_101
; %bb.100:
	v_cmp_ne_u16_e32 vcc_lo, 0, v2
	s_mov_b32 s0, 0
	s_mov_b32 s12, -1
	v_cndmask_b32_e64 v4, 0, 1, vcc_lo
	global_store_b8 v[0:1], v4, off
.LBB312_101:
	s_branch .LBB312_20
.LBB312_102:
	v_cmp_gt_i16_e32 vcc_lo, 5, v3
	s_mov_b32 s12, -1
	s_cbranch_vccnz .LBB312_123
; %bb.103:
	v_cmp_gt_i16_e32 vcc_lo, 8, v3
	s_cbranch_vccnz .LBB312_113
; %bb.104:
	v_cmp_gt_i16_e32 vcc_lo, 9, v3
	s_cbranch_vccnz .LBB312_110
; %bb.105:
	v_cmp_lt_i16_e32 vcc_lo, 9, v3
	s_cbranch_vccz .LBB312_107
; %bb.106:
	v_bfe_i32 v4, v2, 0, 16
	v_mov_b32_e32 v6, 0
	s_mov_b32 s12, 0
	s_delay_alu instid0(VALU_DEP_2) | instskip(NEXT) | instid1(VALU_DEP_2)
	v_cvt_f64_i32_e32 v[4:5], v4
	v_mov_b32_e32 v7, v6
	global_store_b128 v[0:1], v[4:7], off
.LBB312_107:
	s_and_not1_b32 vcc_lo, exec_lo, s12
	s_cbranch_vccnz .LBB312_109
; %bb.108:
	v_bfe_i32 v4, v2, 0, 16
	v_mov_b32_e32 v5, 0
	s_delay_alu instid0(VALU_DEP_2)
	v_cvt_f32_i32_e32 v4, v4
	global_store_b64 v[0:1], v[4:5], off
.LBB312_109:
	s_mov_b32 s12, 0
.LBB312_110:
	s_delay_alu instid0(SALU_CYCLE_1)
	s_and_not1_b32 vcc_lo, exec_lo, s12
	s_cbranch_vccnz .LBB312_112
; %bb.111:
	v_cvt_f16_i16_e32 v4, v2
	s_delay_alu instid0(VALU_DEP_1)
	v_and_b32_e32 v4, 0xffff, v4
	global_store_b32 v[0:1], v4, off
.LBB312_112:
	s_mov_b32 s12, 0
.LBB312_113:
	s_delay_alu instid0(SALU_CYCLE_1)
	s_and_not1_b32 vcc_lo, exec_lo, s12
	s_cbranch_vccnz .LBB312_122
; %bb.114:
	v_cmp_gt_i16_e32 vcc_lo, 6, v3
	s_mov_b32 s12, -1
	s_cbranch_vccnz .LBB312_120
; %bb.115:
	v_cmp_lt_i16_e32 vcc_lo, 6, v3
	s_cbranch_vccz .LBB312_117
; %bb.116:
	v_bfe_i32 v4, v2, 0, 16
	s_mov_b32 s12, 0
	s_delay_alu instid0(VALU_DEP_1)
	v_cvt_f64_i32_e32 v[4:5], v4
	global_store_b64 v[0:1], v[4:5], off
.LBB312_117:
	s_and_not1_b32 vcc_lo, exec_lo, s12
	s_cbranch_vccnz .LBB312_119
; %bb.118:
	v_bfe_i32 v4, v2, 0, 16
	s_delay_alu instid0(VALU_DEP_1)
	v_cvt_f32_i32_e32 v4, v4
	global_store_b32 v[0:1], v4, off
.LBB312_119:
	s_mov_b32 s12, 0
.LBB312_120:
	s_delay_alu instid0(SALU_CYCLE_1)
	s_and_not1_b32 vcc_lo, exec_lo, s12
	s_cbranch_vccnz .LBB312_122
; %bb.121:
	v_cvt_f16_i16_e32 v4, v2
	global_store_b16 v[0:1], v4, off
.LBB312_122:
	s_mov_b32 s12, 0
.LBB312_123:
	s_delay_alu instid0(SALU_CYCLE_1)
	s_and_not1_b32 vcc_lo, exec_lo, s12
	s_cbranch_vccnz .LBB312_139
; %bb.124:
	v_cmp_gt_i16_e32 vcc_lo, 2, v3
	s_mov_b32 s12, -1
	s_cbranch_vccnz .LBB312_134
; %bb.125:
	v_cmp_gt_i16_e32 vcc_lo, 3, v3
	s_cbranch_vccnz .LBB312_131
; %bb.126:
	v_cmp_lt_i16_e32 vcc_lo, 3, v3
	s_cbranch_vccz .LBB312_128
; %bb.127:
	v_bfe_i32 v4, v2, 0, 16
	s_mov_b32 s12, 0
	s_delay_alu instid0(VALU_DEP_1)
	v_ashrrev_i32_e32 v5, 31, v4
	global_store_b64 v[0:1], v[4:5], off
.LBB312_128:
	s_and_not1_b32 vcc_lo, exec_lo, s12
	s_cbranch_vccnz .LBB312_130
; %bb.129:
	v_bfe_i32 v4, v2, 0, 16
	global_store_b32 v[0:1], v4, off
.LBB312_130:
	s_mov_b32 s12, 0
.LBB312_131:
	s_delay_alu instid0(SALU_CYCLE_1)
	s_and_not1_b32 vcc_lo, exec_lo, s12
	s_cbranch_vccnz .LBB312_133
; %bb.132:
	global_store_b16 v[0:1], v2, off
.LBB312_133:
	s_mov_b32 s12, 0
.LBB312_134:
	s_delay_alu instid0(SALU_CYCLE_1)
	s_and_not1_b32 vcc_lo, exec_lo, s12
	s_cbranch_vccnz .LBB312_139
; %bb.135:
	v_cmp_lt_i16_e32 vcc_lo, 0, v3
	s_mov_b32 s12, -1
	s_cbranch_vccz .LBB312_137
; %bb.136:
	s_mov_b32 s12, 0
	global_store_b8 v[0:1], v2, off
.LBB312_137:
	s_and_not1_b32 vcc_lo, exec_lo, s12
	s_cbranch_vccnz .LBB312_139
; %bb.138:
	global_store_b8 v[0:1], v2, off
.LBB312_139:
.LBB312_140:
	v_add_nc_u32_e32 v9, 0x80, v9
	s_mov_b32 s17, -1
	s_branch .LBB312_247
.LBB312_141:
	s_mov_b32 s14, -1
                                        ; implicit-def: $vgpr2
.LBB312_142:
	s_mov_b32 s12, 0
.LBB312_143:
	s_delay_alu instid0(SALU_CYCLE_1)
	s_and_b32 vcc_lo, exec_lo, s12
	s_cbranch_vccz .LBB312_147
; %bb.144:
	v_cmp_eq_u16_e32 vcc_lo, 29, v10
	s_cbranch_vccz .LBB312_146
; %bb.145:
	global_load_b64 v[2:3], v[0:1], off
	s_mov_b32 s0, -1
	s_mov_b32 s14, 0
	s_branch .LBB312_147
.LBB312_146:
	s_mov_b32 s14, -1
                                        ; implicit-def: $vgpr2
.LBB312_147:
	s_mov_b32 s12, 0
.LBB312_148:
	s_delay_alu instid0(SALU_CYCLE_1)
	s_and_b32 vcc_lo, exec_lo, s12
	s_cbranch_vccz .LBB312_164
; %bb.149:
	v_cmp_gt_i16_e32 vcc_lo, 27, v10
	s_cbranch_vccnz .LBB312_152
; %bb.150:
	v_cmp_lt_i16_e32 vcc_lo, 27, v10
	s_cbranch_vccz .LBB312_153
; %bb.151:
	global_load_b32 v2, v[0:1], off
	s_mov_b32 s0, 0
	s_branch .LBB312_154
.LBB312_152:
	s_mov_b32 s0, -1
                                        ; implicit-def: $vgpr2
	s_branch .LBB312_157
.LBB312_153:
	s_mov_b32 s0, -1
                                        ; implicit-def: $vgpr2
.LBB312_154:
	s_delay_alu instid0(SALU_CYCLE_1)
	s_and_not1_b32 vcc_lo, exec_lo, s0
	s_cbranch_vccnz .LBB312_156
; %bb.155:
	global_load_u16 v2, v[0:1], off
.LBB312_156:
	s_mov_b32 s0, 0
.LBB312_157:
	s_delay_alu instid0(SALU_CYCLE_1)
	s_and_not1_b32 vcc_lo, exec_lo, s0
	s_cbranch_vccnz .LBB312_163
; %bb.158:
	global_load_u8 v3, v[0:1], off
	s_mov_b32 s0, 0
	s_mov_b32 s12, exec_lo
                                        ; implicit-def: $sgpr17
	s_waitcnt vmcnt(0)
	v_cmpx_lt_i16_e32 0x7f, v3
	s_xor_b32 s12, exec_lo, s12
	s_cbranch_execz .LBB312_174
; %bb.159:
	v_cmp_ne_u16_e32 vcc_lo, 0x80, v3
	s_mov_b32 s17, 0
	s_and_b32 s0, vcc_lo, exec_lo
	s_or_saveexec_b32 s12, s12
	v_mov_b32_e32 v2, s17
	s_xor_b32 exec_lo, exec_lo, s12
	s_cbranch_execnz .LBB312_175
.LBB312_160:
	s_or_b32 exec_lo, exec_lo, s12
	s_and_saveexec_b32 s12, s0
	s_cbranch_execz .LBB312_162
.LBB312_161:
	v_and_b32_e32 v2, 0xffff, v3
	s_delay_alu instid0(VALU_DEP_1) | instskip(NEXT) | instid1(VALU_DEP_1)
	v_and_b32_e32 v4, 7, v2
	v_clz_i32_u32_e32 v5, v4
	s_delay_alu instid0(VALU_DEP_1) | instskip(NEXT) | instid1(VALU_DEP_1)
	v_min_u32_e32 v5, 32, v5
	v_subrev_nc_u32_e32 v6, 28, v5
	v_sub_nc_u32_e32 v5, 29, v5
	s_delay_alu instid0(VALU_DEP_2) | instskip(SKIP_1) | instid1(VALU_DEP_2)
	v_lshlrev_b32_e32 v6, v6, v2
	v_bfe_u32 v2, v2, 3, 4
	v_and_b32_e32 v6, 7, v6
	s_delay_alu instid0(VALU_DEP_2) | instskip(SKIP_1) | instid1(VALU_DEP_1)
	v_cmp_eq_u32_e32 vcc_lo, 0, v2
	v_dual_cndmask_b32 v2, v2, v5 :: v_dual_lshlrev_b32 v3, 24, v3
	v_dual_cndmask_b32 v4, v4, v6 :: v_dual_and_b32 v3, 0x80000000, v3
	s_delay_alu instid0(VALU_DEP_2) | instskip(NEXT) | instid1(VALU_DEP_2)
	v_lshl_add_u32 v2, v2, 23, 0x3b800000
	v_lshlrev_b32_e32 v4, 20, v4
	s_delay_alu instid0(VALU_DEP_1) | instskip(NEXT) | instid1(VALU_DEP_1)
	v_or3_b32 v2, v3, v2, v4
	v_cvt_i32_f32_e32 v2, v2
.LBB312_162:
	s_or_b32 exec_lo, exec_lo, s12
.LBB312_163:
	s_mov_b32 s0, -1
.LBB312_164:
	s_branch .LBB312_197
.LBB312_165:
	v_cmp_lt_i16_e32 vcc_lo, 22, v10
	s_cbranch_vccz .LBB312_173
; %bb.166:
	v_cmp_gt_i16_e32 vcc_lo, 24, v10
	s_cbranch_vccnz .LBB312_176
; %bb.167:
	v_cmp_lt_i16_e32 vcc_lo, 24, v10
	s_cbranch_vccz .LBB312_177
; %bb.168:
	global_load_u8 v3, v[0:1], off
	s_mov_b32 s0, 0
	s_mov_b32 s12, exec_lo
                                        ; implicit-def: $sgpr17
	s_waitcnt vmcnt(0)
	v_cmpx_lt_i16_e32 0x7f, v3
	s_xor_b32 s12, exec_lo, s12
	s_cbranch_execz .LBB312_189
; %bb.169:
	v_cmp_ne_u16_e32 vcc_lo, 0x80, v3
	s_mov_b32 s17, 0
	s_and_b32 s0, vcc_lo, exec_lo
	s_or_saveexec_b32 s12, s12
	v_mov_b32_e32 v2, s17
	s_xor_b32 exec_lo, exec_lo, s12
	s_cbranch_execnz .LBB312_190
.LBB312_170:
	s_or_b32 exec_lo, exec_lo, s12
	s_and_saveexec_b32 s12, s0
	s_cbranch_execz .LBB312_172
.LBB312_171:
	v_and_b32_e32 v2, 0xffff, v3
	s_delay_alu instid0(VALU_DEP_1) | instskip(NEXT) | instid1(VALU_DEP_1)
	v_and_b32_e32 v4, 3, v2
	v_clz_i32_u32_e32 v5, v4
	s_delay_alu instid0(VALU_DEP_1) | instskip(NEXT) | instid1(VALU_DEP_1)
	v_min_u32_e32 v5, 32, v5
	v_subrev_nc_u32_e32 v6, 29, v5
	v_sub_nc_u32_e32 v5, 30, v5
	s_delay_alu instid0(VALU_DEP_2) | instskip(SKIP_1) | instid1(VALU_DEP_2)
	v_lshlrev_b32_e32 v6, v6, v2
	v_bfe_u32 v2, v2, 2, 5
	v_and_b32_e32 v6, 3, v6
	s_delay_alu instid0(VALU_DEP_2) | instskip(SKIP_1) | instid1(VALU_DEP_1)
	v_cmp_eq_u32_e32 vcc_lo, 0, v2
	v_dual_cndmask_b32 v2, v2, v5 :: v_dual_lshlrev_b32 v3, 24, v3
	v_dual_cndmask_b32 v4, v4, v6 :: v_dual_and_b32 v3, 0x80000000, v3
	s_delay_alu instid0(VALU_DEP_2) | instskip(NEXT) | instid1(VALU_DEP_2)
	v_lshl_add_u32 v2, v2, 23, 0x37800000
	v_lshlrev_b32_e32 v4, 21, v4
	s_delay_alu instid0(VALU_DEP_1) | instskip(NEXT) | instid1(VALU_DEP_1)
	v_or3_b32 v2, v3, v2, v4
	v_cvt_i32_f32_e32 v2, v2
.LBB312_172:
	s_or_b32 exec_lo, exec_lo, s12
	s_mov_b32 s0, 0
	s_branch .LBB312_178
.LBB312_173:
	s_mov_b32 s12, -1
                                        ; implicit-def: $vgpr2
	s_branch .LBB312_184
.LBB312_174:
	s_or_saveexec_b32 s12, s12
	v_mov_b32_e32 v2, s17
	s_xor_b32 exec_lo, exec_lo, s12
	s_cbranch_execz .LBB312_160
.LBB312_175:
	v_cmp_ne_u16_e32 vcc_lo, 0, v3
	v_mov_b32_e32 v2, 0
	s_and_not1_b32 s0, s0, exec_lo
	s_and_b32 s17, vcc_lo, exec_lo
	s_delay_alu instid0(SALU_CYCLE_1)
	s_or_b32 s0, s0, s17
	s_or_b32 exec_lo, exec_lo, s12
	s_and_saveexec_b32 s12, s0
	s_cbranch_execnz .LBB312_161
	s_branch .LBB312_162
.LBB312_176:
	s_mov_b32 s0, -1
                                        ; implicit-def: $vgpr2
	s_branch .LBB312_181
.LBB312_177:
	s_mov_b32 s0, -1
                                        ; implicit-def: $vgpr2
.LBB312_178:
	s_delay_alu instid0(SALU_CYCLE_1)
	s_and_b32 vcc_lo, exec_lo, s0
	s_cbranch_vccz .LBB312_180
; %bb.179:
	global_load_u8 v2, v[0:1], off
	s_waitcnt vmcnt(0)
	v_lshlrev_b32_e32 v2, 24, v2
	s_delay_alu instid0(VALU_DEP_1) | instskip(NEXT) | instid1(VALU_DEP_1)
	v_and_b32_e32 v3, 0x7f000000, v2
	v_clz_i32_u32_e32 v4, v3
	v_add_nc_u32_e32 v6, 0x1000000, v3
	v_cmp_ne_u32_e32 vcc_lo, 0, v3
	s_delay_alu instid0(VALU_DEP_3) | instskip(NEXT) | instid1(VALU_DEP_1)
	v_min_u32_e32 v4, 32, v4
	v_sub_nc_u32_e64 v4, v4, 4 clamp
	s_delay_alu instid0(VALU_DEP_1) | instskip(SKIP_1) | instid1(VALU_DEP_2)
	v_lshlrev_b32_e32 v5, v4, v3
	v_lshlrev_b32_e32 v4, 23, v4
	v_lshrrev_b32_e32 v5, 4, v5
	s_delay_alu instid0(VALU_DEP_1) | instskip(SKIP_1) | instid1(VALU_DEP_2)
	v_sub_nc_u32_e32 v4, v5, v4
	v_ashrrev_i32_e32 v5, 8, v6
	v_add_nc_u32_e32 v4, 0x3c000000, v4
	s_delay_alu instid0(VALU_DEP_1) | instskip(NEXT) | instid1(VALU_DEP_1)
	v_and_or_b32 v4, 0x7f800000, v5, v4
	v_cndmask_b32_e32 v3, 0, v4, vcc_lo
	s_delay_alu instid0(VALU_DEP_1) | instskip(NEXT) | instid1(VALU_DEP_1)
	v_and_or_b32 v2, 0x80000000, v2, v3
	v_cvt_i32_f32_e32 v2, v2
.LBB312_180:
	s_mov_b32 s0, 0
.LBB312_181:
	s_delay_alu instid0(SALU_CYCLE_1)
	s_and_not1_b32 vcc_lo, exec_lo, s0
	s_cbranch_vccnz .LBB312_183
; %bb.182:
	global_load_u8 v2, v[0:1], off
	s_waitcnt vmcnt(0)
	v_lshlrev_b32_e32 v3, 25, v2
	v_lshlrev_b16 v2, 8, v2
	s_delay_alu instid0(VALU_DEP_2) | instskip(NEXT) | instid1(VALU_DEP_2)
	v_lshrrev_b32_e32 v4, 4, v3
	v_and_or_b32 v5, 0x7f00, v2, 0.5
	v_bfe_i32 v2, v2, 0, 16
	s_delay_alu instid0(VALU_DEP_3) | instskip(NEXT) | instid1(VALU_DEP_1)
	v_or_b32_e32 v4, 0x70000000, v4
	v_dual_add_f32 v5, -0.5, v5 :: v_dual_mul_f32 v4, 0x7800000, v4
	v_cmp_gt_u32_e32 vcc_lo, 0x8000000, v3
	s_delay_alu instid0(VALU_DEP_2) | instskip(NEXT) | instid1(VALU_DEP_1)
	v_cndmask_b32_e32 v3, v4, v5, vcc_lo
	v_and_or_b32 v2, 0x80000000, v2, v3
	s_delay_alu instid0(VALU_DEP_1)
	v_cvt_i32_f32_e32 v2, v2
.LBB312_183:
	s_mov_b32 s12, 0
	s_mov_b32 s0, -1
.LBB312_184:
	s_and_not1_b32 vcc_lo, exec_lo, s12
	s_cbranch_vccnz .LBB312_197
; %bb.185:
	v_cmp_lt_i16_e32 vcc_lo, 14, v10
	s_cbranch_vccz .LBB312_188
; %bb.186:
	v_cmp_eq_u16_e32 vcc_lo, 15, v10
	s_cbranch_vccz .LBB312_191
; %bb.187:
	global_load_u16 v2, v[0:1], off
	s_mov_b32 s0, -1
	s_mov_b32 s14, 0
	s_waitcnt vmcnt(0)
	v_lshlrev_b32_e32 v2, 16, v2
	s_delay_alu instid0(VALU_DEP_1)
	v_cvt_i32_f32_e32 v2, v2
	s_branch .LBB312_192
.LBB312_188:
	s_mov_b32 s12, -1
                                        ; implicit-def: $vgpr2
	s_branch .LBB312_193
.LBB312_189:
	s_or_saveexec_b32 s12, s12
	v_mov_b32_e32 v2, s17
	s_xor_b32 exec_lo, exec_lo, s12
	s_cbranch_execz .LBB312_170
.LBB312_190:
	v_cmp_ne_u16_e32 vcc_lo, 0, v3
	v_mov_b32_e32 v2, 0
	s_and_not1_b32 s0, s0, exec_lo
	s_and_b32 s17, vcc_lo, exec_lo
	s_delay_alu instid0(SALU_CYCLE_1)
	s_or_b32 s0, s0, s17
	s_or_b32 exec_lo, exec_lo, s12
	s_and_saveexec_b32 s12, s0
	s_cbranch_execnz .LBB312_171
	s_branch .LBB312_172
.LBB312_191:
	s_mov_b32 s14, -1
                                        ; implicit-def: $vgpr2
.LBB312_192:
	s_mov_b32 s12, 0
.LBB312_193:
	s_delay_alu instid0(SALU_CYCLE_1)
	s_and_b32 vcc_lo, exec_lo, s12
	s_cbranch_vccz .LBB312_197
; %bb.194:
	v_cmp_eq_u16_e32 vcc_lo, 11, v10
	s_cbranch_vccz .LBB312_196
; %bb.195:
	global_load_u8 v2, v[0:1], off
	s_mov_b32 s14, 0
	s_mov_b32 s0, -1
	s_waitcnt vmcnt(0)
	v_cmp_ne_u16_e32 vcc_lo, 0, v2
	v_cndmask_b32_e64 v2, 0, 1, vcc_lo
	s_branch .LBB312_197
.LBB312_196:
	s_mov_b32 s14, -1
                                        ; implicit-def: $vgpr2
.LBB312_197:
	s_branch .LBB312_10
.LBB312_198:
	v_cmp_gt_i16_e32 vcc_lo, 5, v10
	s_cbranch_vccnz .LBB312_203
; %bb.199:
	v_cmp_gt_i16_e32 vcc_lo, 8, v10
	s_cbranch_vccnz .LBB312_204
; %bb.200:
	;; [unrolled: 3-line block ×3, first 2 shown]
	v_cmp_lt_i16_e32 vcc_lo, 9, v10
	s_cbranch_vccz .LBB312_206
; %bb.202:
	global_load_b64 v[2:3], v[0:1], off
	s_mov_b32 s0, 0
	s_waitcnt vmcnt(0)
	v_cvt_i32_f64_e32 v2, v[2:3]
	s_branch .LBB312_207
.LBB312_203:
                                        ; implicit-def: $vgpr2
	s_branch .LBB312_225
.LBB312_204:
	s_mov_b32 s0, -1
                                        ; implicit-def: $vgpr2
	s_branch .LBB312_213
.LBB312_205:
	s_mov_b32 s0, -1
                                        ; implicit-def: $vgpr2
	s_branch .LBB312_210
.LBB312_206:
	s_mov_b32 s0, -1
                                        ; implicit-def: $vgpr2
.LBB312_207:
	s_delay_alu instid0(SALU_CYCLE_1)
	s_and_not1_b32 vcc_lo, exec_lo, s0
	s_cbranch_vccnz .LBB312_209
; %bb.208:
	global_load_b32 v2, v[0:1], off
	s_waitcnt vmcnt(0)
	v_cvt_i32_f32_e32 v2, v2
.LBB312_209:
	s_mov_b32 s0, 0
.LBB312_210:
	s_delay_alu instid0(SALU_CYCLE_1)
	s_and_not1_b32 vcc_lo, exec_lo, s0
	s_cbranch_vccnz .LBB312_212
; %bb.211:
	global_load_b32 v2, v[0:1], off
	s_waitcnt vmcnt(0)
	v_cvt_i16_f16_e32 v2, v2
.LBB312_212:
	s_mov_b32 s0, 0
.LBB312_213:
	s_delay_alu instid0(SALU_CYCLE_1)
	s_and_not1_b32 vcc_lo, exec_lo, s0
	s_cbranch_vccnz .LBB312_224
; %bb.214:
	v_cmp_gt_i16_e32 vcc_lo, 6, v10
	s_cbranch_vccnz .LBB312_217
; %bb.215:
	v_cmp_lt_i16_e32 vcc_lo, 6, v10
	s_cbranch_vccz .LBB312_218
; %bb.216:
	global_load_b64 v[2:3], v[0:1], off
	s_mov_b32 s0, 0
	s_waitcnt vmcnt(0)
	v_cvt_i32_f64_e32 v2, v[2:3]
	s_branch .LBB312_219
.LBB312_217:
	s_mov_b32 s0, -1
                                        ; implicit-def: $vgpr2
	s_branch .LBB312_222
.LBB312_218:
	s_mov_b32 s0, -1
                                        ; implicit-def: $vgpr2
.LBB312_219:
	s_delay_alu instid0(SALU_CYCLE_1)
	s_and_not1_b32 vcc_lo, exec_lo, s0
	s_cbranch_vccnz .LBB312_221
; %bb.220:
	global_load_b32 v2, v[0:1], off
	s_waitcnt vmcnt(0)
	v_cvt_i32_f32_e32 v2, v2
.LBB312_221:
	s_mov_b32 s0, 0
.LBB312_222:
	s_delay_alu instid0(SALU_CYCLE_1)
	s_and_not1_b32 vcc_lo, exec_lo, s0
	s_cbranch_vccnz .LBB312_224
; %bb.223:
	global_load_u16 v2, v[0:1], off
	s_waitcnt vmcnt(0)
	v_cvt_i16_f16_e32 v2, v2
.LBB312_224:
	s_cbranch_execnz .LBB312_244
.LBB312_225:
	v_cmp_gt_i16_e32 vcc_lo, 2, v10
	s_cbranch_vccnz .LBB312_229
; %bb.226:
	v_cmp_gt_i16_e32 vcc_lo, 3, v10
	s_cbranch_vccnz .LBB312_230
; %bb.227:
	v_cmp_lt_i16_e32 vcc_lo, 3, v10
	s_cbranch_vccz .LBB312_231
; %bb.228:
	global_load_b64 v[2:3], v[0:1], off
	s_mov_b32 s0, 0
	s_branch .LBB312_232
.LBB312_229:
	s_mov_b32 s0, -1
                                        ; implicit-def: $vgpr2
	s_branch .LBB312_238
.LBB312_230:
	s_mov_b32 s0, -1
                                        ; implicit-def: $vgpr2
	s_branch .LBB312_235
.LBB312_231:
	s_mov_b32 s0, -1
                                        ; implicit-def: $vgpr2
.LBB312_232:
	s_delay_alu instid0(SALU_CYCLE_1)
	s_and_not1_b32 vcc_lo, exec_lo, s0
	s_cbranch_vccnz .LBB312_234
; %bb.233:
	global_load_b32 v2, v[0:1], off
.LBB312_234:
	s_mov_b32 s0, 0
.LBB312_235:
	s_delay_alu instid0(SALU_CYCLE_1)
	s_and_not1_b32 vcc_lo, exec_lo, s0
	s_cbranch_vccnz .LBB312_237
; %bb.236:
	global_load_u16 v2, v[0:1], off
.LBB312_237:
	s_mov_b32 s0, 0
.LBB312_238:
	s_delay_alu instid0(SALU_CYCLE_1)
	s_and_not1_b32 vcc_lo, exec_lo, s0
	s_cbranch_vccnz .LBB312_244
; %bb.239:
	v_cmp_lt_i16_e32 vcc_lo, 0, v10
	s_mov_b32 s0, 0
	s_cbranch_vccz .LBB312_241
; %bb.240:
	global_load_i8 v2, v[0:1], off
	s_branch .LBB312_242
.LBB312_241:
	s_mov_b32 s0, -1
                                        ; implicit-def: $vgpr2
.LBB312_242:
	s_delay_alu instid0(SALU_CYCLE_1)
	s_and_not1_b32 vcc_lo, exec_lo, s0
	s_cbranch_vccnz .LBB312_244
; %bb.243:
	global_load_u8 v2, v[0:1], off
.LBB312_244:
	s_branch .LBB312_11
.LBB312_245:
	s_mov_b32 s0, 0
.LBB312_246:
	s_mov_b32 s17, 0
                                        ; implicit-def: $vgpr9
.LBB312_247:
	s_and_b32 s12, s0, exec_lo
	s_and_b32 s14, s14, exec_lo
	s_or_not1_b32 s18, s17, exec_lo
.LBB312_248:
	s_or_b32 exec_lo, exec_lo, s15
	s_mov_b32 s17, 0
	s_mov_b32 s0, 0
                                        ; implicit-def: $vgpr0_vgpr1
                                        ; implicit-def: $vgpr2
	s_and_saveexec_b32 s15, s18
	s_cbranch_execz .LBB312_844
; %bb.249:
	s_mov_b32 s20, -1
	s_mov_b32 s16, s14
	s_mov_b32 s17, s12
	s_mov_b32 s18, exec_lo
	v_cmpx_gt_i32_e64 s13, v9
	s_cbranch_execz .LBB312_504
; %bb.250:
	v_mul_lo_u32 v0, v9, s9
	v_cmp_gt_i16_e32 vcc_lo, 11, v10
	s_delay_alu instid0(VALU_DEP_2) | instskip(SKIP_1) | instid1(VALU_DEP_1)
	v_ashrrev_i32_e32 v1, 31, v0
	v_add_co_u32 v0, s0, s6, v0
	v_add_co_ci_u32_e64 v1, s0, s7, v1, s0
	s_cbranch_vccnz .LBB312_257
; %bb.251:
	v_cmp_lt_i16_e32 vcc_lo, 25, v10
	s_cbranch_vccz .LBB312_266
; %bb.252:
	v_cmp_lt_i16_e32 vcc_lo, 28, v10
	s_cbranch_vccz .LBB312_268
	;; [unrolled: 3-line block ×4, first 2 shown]
; %bb.255:
	v_cmp_eq_u16_e32 vcc_lo, 46, v10
	s_mov_b32 s17, 0
	s_cbranch_vccz .LBB312_278
; %bb.256:
	global_load_b32 v2, v[0:1], off
	s_mov_b32 s0, -1
	s_mov_b32 s16, 0
	s_waitcnt vmcnt(0)
	v_lshlrev_b32_e32 v2, 16, v2
	s_delay_alu instid0(VALU_DEP_1)
	v_cvt_i32_f32_e32 v2, v2
	s_branch .LBB312_280
.LBB312_257:
	s_mov_b32 s0, 0
	s_mov_b32 s16, s14
                                        ; implicit-def: $vgpr2
	s_cbranch_execnz .LBB312_453
.LBB312_258:
	s_and_not1_b32 vcc_lo, exec_lo, s0
	s_cbranch_vccnz .LBB312_501
.LBB312_259:
	v_mul_lo_u32 v0, v9, s8
	s_waitcnt vmcnt(0)
	s_delay_alu instid0(VALU_DEP_2) | instskip(SKIP_1) | instid1(VALU_DEP_2)
	v_max_i16 v1, v2, s10
	v_and_b32_e64 v3, 0xff, s11
	v_min_i16 v2, v1, s1
	s_delay_alu instid0(VALU_DEP_2) | instskip(SKIP_2) | instid1(VALU_DEP_1)
	v_cmp_gt_i16_e32 vcc_lo, 11, v3
	v_ashrrev_i32_e32 v1, 31, v0
	v_add_co_u32 v0, s0, s4, v0
	v_add_co_ci_u32_e64 v1, s0, s5, v1, s0
	s_cbranch_vccnz .LBB312_267
; %bb.260:
	v_cmp_lt_i16_e32 vcc_lo, 25, v3
	s_cbranch_vccz .LBB312_269
; %bb.261:
	v_cmp_lt_i16_e32 vcc_lo, 28, v3
	s_cbranch_vccz .LBB312_271
	;; [unrolled: 3-line block ×4, first 2 shown]
; %bb.264:
	v_cmp_eq_u16_e32 vcc_lo, 46, v3
	s_mov_b32 s19, 0
	s_mov_b32 s0, -1
	s_mov_b32 s17, 0
	s_cbranch_vccz .LBB312_284
; %bb.265:
	v_bfe_i32 v4, v2, 0, 16
	s_mov_b32 s17, -1
	s_mov_b32 s0, 0
	s_delay_alu instid0(VALU_DEP_1) | instskip(NEXT) | instid1(VALU_DEP_1)
	v_cvt_f32_i32_e32 v4, v4
	v_bfe_u32 v5, v4, 16, 1
	s_delay_alu instid0(VALU_DEP_1) | instskip(NEXT) | instid1(VALU_DEP_1)
	v_add3_u32 v4, v4, v5, 0x7fff
	v_lshrrev_b32_e32 v4, 16, v4
	global_store_b32 v[0:1], v4, off
	s_branch .LBB312_284
.LBB312_266:
	s_mov_b32 s17, -1
	s_mov_b32 s0, 0
	s_mov_b32 s16, s14
                                        ; implicit-def: $vgpr2
	s_branch .LBB312_419
.LBB312_267:
	s_mov_b32 s19, -1
	s_mov_b32 s17, 0
	s_mov_b32 s0, s12
	s_branch .LBB312_353
.LBB312_268:
	s_mov_b32 s17, -1
	s_mov_b32 s0, 0
	s_mov_b32 s16, s14
                                        ; implicit-def: $vgpr2
	s_branch .LBB312_402
.LBB312_269:
	s_mov_b32 s19, -1
	s_mov_b32 s17, 0
	s_mov_b32 s0, s12
	s_branch .LBB312_311
.LBB312_270:
	s_mov_b32 s17, -1
	s_mov_b32 s0, 0
	s_mov_b32 s16, s14
                                        ; implicit-def: $vgpr2
	s_branch .LBB312_397
.LBB312_271:
	s_mov_b32 s19, -1
	s_mov_b32 s17, 0
	s_mov_b32 s0, s12
	s_branch .LBB312_294
.LBB312_272:
	s_or_saveexec_b32 s18, s18
                                        ; implicit-def: $sgpr19
	s_delay_alu instid0(SALU_CYCLE_1)
	s_xor_b32 exec_lo, exec_lo, s18
	s_cbranch_execz .LBB312_54
.LBB312_273:
	v_add_f32_e64 v5, 0x46000000, |v4|
	s_and_not1_b32 s17, s17, exec_lo
	s_mov_b32 s19, 0
	s_delay_alu instid0(VALU_DEP_1) | instskip(NEXT) | instid1(VALU_DEP_1)
	v_and_b32_e32 v5, 0xff, v5
	v_cmp_ne_u32_e32 vcc_lo, 0, v5
	s_and_b32 s20, vcc_lo, exec_lo
	s_delay_alu instid0(SALU_CYCLE_1)
	s_or_b32 s17, s17, s20
	s_or_b32 exec_lo, exec_lo, s18
	v_mov_b32_e32 v6, s19
	s_and_saveexec_b32 s18, s17
	s_cbranch_execnz .LBB312_55
	s_branch .LBB312_56
.LBB312_274:
	s_mov_b32 s17, -1
	s_mov_b32 s0, 0
	s_mov_b32 s16, s14
	s_branch .LBB312_279
.LBB312_275:
	s_mov_b32 s19, -1
	s_mov_b32 s17, 0
	s_mov_b32 s0, s12
	s_branch .LBB312_290
.LBB312_276:
	s_or_saveexec_b32 s18, s18
                                        ; implicit-def: $sgpr19
	s_delay_alu instid0(SALU_CYCLE_1)
	s_xor_b32 exec_lo, exec_lo, s18
	s_cbranch_execz .LBB312_67
.LBB312_277:
	v_add_f32_e64 v5, 0x42800000, |v4|
	s_and_not1_b32 s17, s17, exec_lo
	s_mov_b32 s19, 0
	s_delay_alu instid0(VALU_DEP_1) | instskip(NEXT) | instid1(VALU_DEP_1)
	v_and_b32_e32 v5, 0xff, v5
	v_cmp_ne_u32_e32 vcc_lo, 0, v5
	s_and_b32 s20, vcc_lo, exec_lo
	s_delay_alu instid0(SALU_CYCLE_1)
	s_or_b32 s17, s17, s20
	s_or_b32 exec_lo, exec_lo, s18
	v_mov_b32_e32 v6, s19
	s_and_saveexec_b32 s18, s17
	s_cbranch_execnz .LBB312_68
	s_branch .LBB312_69
.LBB312_278:
	s_mov_b32 s16, -1
	s_mov_b32 s0, 0
.LBB312_279:
                                        ; implicit-def: $vgpr2
.LBB312_280:
	s_and_b32 vcc_lo, exec_lo, s17
	s_cbranch_vccz .LBB312_396
; %bb.281:
	v_cmp_eq_u16_e32 vcc_lo, 44, v10
	s_cbranch_vccz .LBB312_395
; %bb.282:
	global_load_u8 v2, v[0:1], off
	s_mov_b32 s16, 0
	s_mov_b32 s0, -1
	s_waitcnt vmcnt(0)
	v_lshlrev_b32_e32 v3, 23, v2
	v_cmp_ne_u32_e32 vcc_lo, 0, v2
	s_delay_alu instid0(VALU_DEP_2) | instskip(NEXT) | instid1(VALU_DEP_1)
	v_cvt_i32_f32_e32 v3, v3
	v_cndmask_b32_e32 v2, 0, v3, vcc_lo
	s_branch .LBB312_396
.LBB312_283:
	s_mov_b32 s19, -1
	s_mov_b32 s17, 0
	s_mov_b32 s0, s12
.LBB312_284:
	s_and_b32 vcc_lo, exec_lo, s19
	s_cbranch_vccz .LBB312_289
; %bb.285:
	v_cmp_eq_u16_e32 vcc_lo, 44, v3
	s_mov_b32 s0, -1
	s_cbranch_vccz .LBB312_289
; %bb.286:
	v_bfe_i32 v4, v2, 0, 16
	v_mov_b32_e32 v5, 0xff
	s_mov_b32 s17, exec_lo
	s_delay_alu instid0(VALU_DEP_2) | instskip(NEXT) | instid1(VALU_DEP_1)
	v_cvt_f32_i32_e32 v4, v4
	v_bfe_u32 v6, v4, 23, 8
	s_delay_alu instid0(VALU_DEP_1)
	v_cmpx_ne_u32_e32 0xff, v6
; %bb.287:
	v_and_b32_e32 v5, 0x400000, v4
	v_and_or_b32 v6, 0x3fffff, v4, v6
	v_lshrrev_b32_e32 v4, 23, v4
	s_delay_alu instid0(VALU_DEP_3) | instskip(NEXT) | instid1(VALU_DEP_3)
	v_cmp_ne_u32_e32 vcc_lo, 0, v5
	v_cmp_ne_u32_e64 s0, 0, v6
	s_delay_alu instid0(VALU_DEP_1) | instskip(NEXT) | instid1(SALU_CYCLE_1)
	s_and_b32 s0, vcc_lo, s0
	v_cndmask_b32_e64 v5, 0, 1, s0
	s_delay_alu instid0(VALU_DEP_1)
	v_add_nc_u32_e32 v5, v4, v5
; %bb.288:
	s_or_b32 exec_lo, exec_lo, s17
	s_mov_b32 s17, -1
	s_mov_b32 s0, 0
	global_store_b8 v[0:1], v5, off
.LBB312_289:
	s_mov_b32 s19, 0
.LBB312_290:
	s_delay_alu instid0(SALU_CYCLE_1)
	s_and_b32 vcc_lo, exec_lo, s19
	s_cbranch_vccz .LBB312_293
; %bb.291:
	v_cmp_eq_u16_e32 vcc_lo, 29, v3
	s_mov_b32 s0, -1
	s_cbranch_vccz .LBB312_293
; %bb.292:
	v_bfe_i32 v4, v2, 0, 16
	s_mov_b32 s0, 0
	s_mov_b32 s17, -1
	s_mov_b32 s19, 0
	s_delay_alu instid0(VALU_DEP_1)
	v_ashrrev_i32_e32 v5, 31, v4
	global_store_b64 v[0:1], v[4:5], off
	s_branch .LBB312_294
.LBB312_293:
	s_mov_b32 s19, 0
.LBB312_294:
	s_delay_alu instid0(SALU_CYCLE_1)
	s_and_b32 vcc_lo, exec_lo, s19
	s_cbranch_vccz .LBB312_310
; %bb.295:
	v_cmp_gt_i16_e32 vcc_lo, 27, v3
	s_mov_b32 s17, -1
	s_cbranch_vccnz .LBB312_301
; %bb.296:
	v_cmp_lt_i16_e32 vcc_lo, 27, v3
	s_cbranch_vccz .LBB312_298
; %bb.297:
	v_bfe_i32 v4, v2, 0, 16
	s_mov_b32 s17, 0
	global_store_b32 v[0:1], v4, off
.LBB312_298:
	s_and_not1_b32 vcc_lo, exec_lo, s17
	s_cbranch_vccnz .LBB312_300
; %bb.299:
	global_store_b16 v[0:1], v2, off
.LBB312_300:
	s_mov_b32 s17, 0
.LBB312_301:
	s_delay_alu instid0(SALU_CYCLE_1)
	s_and_not1_b32 vcc_lo, exec_lo, s17
	s_cbranch_vccnz .LBB312_309
; %bb.302:
	v_bfe_i32 v4, v2, 0, 16
	v_mov_b32_e32 v6, 0x80
	s_mov_b32 s17, exec_lo
	s_delay_alu instid0(VALU_DEP_2) | instskip(NEXT) | instid1(VALU_DEP_1)
	v_cvt_f32_i32_e32 v4, v4
	v_and_b32_e32 v5, 0x7fffffff, v4
	s_delay_alu instid0(VALU_DEP_1)
	v_cmpx_gt_u32_e32 0x43800000, v5
	s_cbranch_execz .LBB312_308
; %bb.303:
	v_cmp_lt_u32_e32 vcc_lo, 0x3bffffff, v5
	s_mov_b32 s19, 0
                                        ; implicit-def: $vgpr5
	s_and_saveexec_b32 s20, vcc_lo
	s_delay_alu instid0(SALU_CYCLE_1)
	s_xor_b32 s20, exec_lo, s20
	s_cbranch_execz .LBB312_517
; %bb.304:
	v_bfe_u32 v5, v4, 20, 1
	s_mov_b32 s19, exec_lo
	s_delay_alu instid0(VALU_DEP_1) | instskip(NEXT) | instid1(VALU_DEP_1)
	v_add3_u32 v5, v4, v5, 0x487ffff
	v_lshrrev_b32_e32 v5, 20, v5
	s_or_saveexec_b32 s20, s20
                                        ; implicit-def: $sgpr21
	s_delay_alu instid0(SALU_CYCLE_1)
	s_xor_b32 exec_lo, exec_lo, s20
	s_cbranch_execnz .LBB312_518
.LBB312_305:
	s_or_b32 exec_lo, exec_lo, s20
	v_mov_b32_e32 v6, s21
	s_and_saveexec_b32 s20, s19
.LBB312_306:
	v_lshrrev_b32_e32 v4, 24, v4
	s_delay_alu instid0(VALU_DEP_1)
	v_and_or_b32 v6, 0x80, v4, v5
.LBB312_307:
	s_or_b32 exec_lo, exec_lo, s20
.LBB312_308:
	s_delay_alu instid0(SALU_CYCLE_1)
	s_or_b32 exec_lo, exec_lo, s17
	global_store_b8 v[0:1], v6, off
.LBB312_309:
	s_mov_b32 s17, -1
.LBB312_310:
	s_mov_b32 s19, 0
.LBB312_311:
	s_delay_alu instid0(SALU_CYCLE_1)
	s_and_b32 vcc_lo, exec_lo, s19
	s_cbranch_vccz .LBB312_352
; %bb.312:
	v_cmp_lt_i16_e32 vcc_lo, 22, v3
	s_mov_b32 s19, -1
	s_cbranch_vccz .LBB312_344
; %bb.313:
	v_cmp_gt_i16_e32 vcc_lo, 24, v3
	s_mov_b32 s17, -1
	s_cbranch_vccnz .LBB312_333
; %bb.314:
	v_cmp_lt_i16_e32 vcc_lo, 24, v3
	s_cbranch_vccz .LBB312_322
; %bb.315:
	v_bfe_i32 v4, v2, 0, 16
	v_mov_b32_e32 v6, 0x80
	s_mov_b32 s17, exec_lo
	s_delay_alu instid0(VALU_DEP_2) | instskip(NEXT) | instid1(VALU_DEP_1)
	v_cvt_f32_i32_e32 v4, v4
	v_and_b32_e32 v5, 0x7fffffff, v4
	s_delay_alu instid0(VALU_DEP_1)
	v_cmpx_gt_u32_e32 0x47800000, v5
	s_cbranch_execz .LBB312_321
; %bb.316:
	v_cmp_lt_u32_e32 vcc_lo, 0x37ffffff, v5
	s_mov_b32 s19, 0
                                        ; implicit-def: $vgpr5
	s_and_saveexec_b32 s20, vcc_lo
	s_delay_alu instid0(SALU_CYCLE_1)
	s_xor_b32 s20, exec_lo, s20
	s_cbranch_execz .LBB312_520
; %bb.317:
	v_bfe_u32 v5, v4, 21, 1
	s_mov_b32 s19, exec_lo
	s_delay_alu instid0(VALU_DEP_1) | instskip(NEXT) | instid1(VALU_DEP_1)
	v_add3_u32 v5, v4, v5, 0x88fffff
	v_lshrrev_b32_e32 v5, 21, v5
	s_or_saveexec_b32 s20, s20
                                        ; implicit-def: $sgpr21
	s_delay_alu instid0(SALU_CYCLE_1)
	s_xor_b32 exec_lo, exec_lo, s20
	s_cbranch_execnz .LBB312_521
.LBB312_318:
	s_or_b32 exec_lo, exec_lo, s20
	v_mov_b32_e32 v6, s21
	s_and_saveexec_b32 s20, s19
.LBB312_319:
	v_lshrrev_b32_e32 v4, 24, v4
	s_delay_alu instid0(VALU_DEP_1)
	v_and_or_b32 v6, 0x80, v4, v5
.LBB312_320:
	s_or_b32 exec_lo, exec_lo, s20
.LBB312_321:
	s_delay_alu instid0(SALU_CYCLE_1)
	s_or_b32 exec_lo, exec_lo, s17
	s_mov_b32 s17, 0
	global_store_b8 v[0:1], v6, off
.LBB312_322:
	s_and_b32 vcc_lo, exec_lo, s17
	s_cbranch_vccz .LBB312_332
; %bb.323:
	v_bfe_i32 v4, v2, 0, 16
	s_mov_b32 s17, exec_lo
                                        ; implicit-def: $vgpr5
	s_delay_alu instid0(VALU_DEP_1) | instskip(NEXT) | instid1(VALU_DEP_1)
	v_cvt_f32_i32_e32 v4, v4
	v_and_b32_e32 v6, 0x7fffffff, v4
	s_delay_alu instid0(VALU_DEP_1)
	v_cmpx_gt_u32_e32 0x43f00000, v6
	s_xor_b32 s17, exec_lo, s17
	s_cbranch_execz .LBB312_329
; %bb.324:
	s_mov_b32 s19, exec_lo
                                        ; implicit-def: $vgpr5
	v_cmpx_lt_u32_e32 0x3c7fffff, v6
	s_xor_b32 s19, exec_lo, s19
; %bb.325:
	v_bfe_u32 v5, v4, 20, 1
	s_delay_alu instid0(VALU_DEP_1) | instskip(NEXT) | instid1(VALU_DEP_1)
	v_add3_u32 v5, v4, v5, 0x407ffff
	v_and_b32_e32 v6, 0xff00000, v5
	v_lshrrev_b32_e32 v5, 20, v5
	s_delay_alu instid0(VALU_DEP_2) | instskip(NEXT) | instid1(VALU_DEP_2)
	v_cmp_ne_u32_e32 vcc_lo, 0x7f00000, v6
	v_cndmask_b32_e32 v5, 0x7e, v5, vcc_lo
; %bb.326:
	s_and_not1_saveexec_b32 s19, s19
; %bb.327:
	v_add_f32_e64 v5, 0x46800000, |v4|
; %bb.328:
	s_or_b32 exec_lo, exec_lo, s19
                                        ; implicit-def: $vgpr6
.LBB312_329:
	s_and_not1_saveexec_b32 s17, s17
; %bb.330:
	v_mov_b32_e32 v5, 0x7f
	v_cmp_lt_u32_e32 vcc_lo, 0x7f800000, v6
	s_delay_alu instid0(VALU_DEP_2)
	v_cndmask_b32_e32 v5, 0x7e, v5, vcc_lo
; %bb.331:
	s_or_b32 exec_lo, exec_lo, s17
	v_lshrrev_b32_e32 v4, 24, v4
	s_delay_alu instid0(VALU_DEP_1)
	v_and_or_b32 v4, 0x80, v4, v5
	global_store_b8 v[0:1], v4, off
.LBB312_332:
	s_mov_b32 s17, 0
.LBB312_333:
	s_delay_alu instid0(SALU_CYCLE_1)
	s_and_not1_b32 vcc_lo, exec_lo, s17
	s_cbranch_vccnz .LBB312_343
; %bb.334:
	v_bfe_i32 v4, v2, 0, 16
	s_mov_b32 s17, exec_lo
                                        ; implicit-def: $vgpr5
	s_delay_alu instid0(VALU_DEP_1) | instskip(NEXT) | instid1(VALU_DEP_1)
	v_cvt_f32_i32_e32 v4, v4
	v_and_b32_e32 v6, 0x7fffffff, v4
	s_delay_alu instid0(VALU_DEP_1)
	v_cmpx_gt_u32_e32 0x47800000, v6
	s_xor_b32 s17, exec_lo, s17
	s_cbranch_execz .LBB312_340
; %bb.335:
	s_mov_b32 s19, exec_lo
                                        ; implicit-def: $vgpr5
	v_cmpx_lt_u32_e32 0x387fffff, v6
	s_xor_b32 s19, exec_lo, s19
; %bb.336:
	v_bfe_u32 v5, v4, 21, 1
	s_delay_alu instid0(VALU_DEP_1) | instskip(NEXT) | instid1(VALU_DEP_1)
	v_add3_u32 v5, v4, v5, 0x80fffff
	v_lshrrev_b32_e32 v5, 21, v5
; %bb.337:
	s_and_not1_saveexec_b32 s19, s19
; %bb.338:
	v_add_f32_e64 v5, 0x43000000, |v4|
; %bb.339:
	s_or_b32 exec_lo, exec_lo, s19
                                        ; implicit-def: $vgpr6
.LBB312_340:
	s_and_not1_saveexec_b32 s17, s17
; %bb.341:
	v_mov_b32_e32 v5, 0x7f
	v_cmp_lt_u32_e32 vcc_lo, 0x7f800000, v6
	s_delay_alu instid0(VALU_DEP_2)
	v_cndmask_b32_e32 v5, 0x7c, v5, vcc_lo
; %bb.342:
	s_or_b32 exec_lo, exec_lo, s17
	v_lshrrev_b32_e32 v4, 24, v4
	s_delay_alu instid0(VALU_DEP_1)
	v_and_or_b32 v4, 0x80, v4, v5
	global_store_b8 v[0:1], v4, off
.LBB312_343:
	s_mov_b32 s19, 0
	s_mov_b32 s17, -1
.LBB312_344:
	s_and_not1_b32 vcc_lo, exec_lo, s19
	s_cbranch_vccnz .LBB312_352
; %bb.345:
	v_cmp_lt_i16_e32 vcc_lo, 14, v3
	s_mov_b32 s19, -1
	s_cbranch_vccz .LBB312_349
; %bb.346:
	v_cmp_eq_u16_e32 vcc_lo, 15, v3
	s_mov_b32 s0, -1
	s_cbranch_vccz .LBB312_348
; %bb.347:
	v_bfe_i32 v4, v2, 0, 16
	s_mov_b32 s17, -1
	s_mov_b32 s0, 0
	s_delay_alu instid0(VALU_DEP_1) | instskip(NEXT) | instid1(VALU_DEP_1)
	v_cvt_f32_i32_e32 v4, v4
	v_bfe_u32 v5, v4, 16, 1
	s_delay_alu instid0(VALU_DEP_1)
	v_add3_u32 v4, v4, v5, 0x7fff
	global_store_d16_hi_b16 v[0:1], v4, off
.LBB312_348:
	s_mov_b32 s19, 0
.LBB312_349:
	s_delay_alu instid0(SALU_CYCLE_1)
	s_and_b32 vcc_lo, exec_lo, s19
	s_cbranch_vccz .LBB312_352
; %bb.350:
	v_cmp_eq_u16_e32 vcc_lo, 11, v3
	s_mov_b32 s0, -1
	s_cbranch_vccz .LBB312_352
; %bb.351:
	v_cmp_ne_u16_e32 vcc_lo, 0, v2
	s_mov_b32 s0, 0
	s_mov_b32 s17, -1
	v_cndmask_b32_e64 v4, 0, 1, vcc_lo
	global_store_b8 v[0:1], v4, off
.LBB312_352:
	s_mov_b32 s19, 0
.LBB312_353:
	s_delay_alu instid0(SALU_CYCLE_1)
	s_and_b32 vcc_lo, exec_lo, s19
	s_cbranch_vccz .LBB312_392
; %bb.354:
	v_cmp_gt_i16_e32 vcc_lo, 5, v3
	s_mov_b32 s17, -1
	s_cbranch_vccnz .LBB312_375
; %bb.355:
	v_cmp_gt_i16_e32 vcc_lo, 8, v3
	s_cbranch_vccnz .LBB312_365
; %bb.356:
	v_cmp_gt_i16_e32 vcc_lo, 9, v3
	s_cbranch_vccnz .LBB312_362
; %bb.357:
	v_cmp_lt_i16_e32 vcc_lo, 9, v3
	s_cbranch_vccz .LBB312_359
; %bb.358:
	v_bfe_i32 v4, v2, 0, 16
	v_mov_b32_e32 v6, 0
	s_mov_b32 s17, 0
	s_delay_alu instid0(VALU_DEP_2) | instskip(NEXT) | instid1(VALU_DEP_2)
	v_cvt_f64_i32_e32 v[4:5], v4
	v_mov_b32_e32 v7, v6
	global_store_b128 v[0:1], v[4:7], off
.LBB312_359:
	s_and_not1_b32 vcc_lo, exec_lo, s17
	s_cbranch_vccnz .LBB312_361
; %bb.360:
	v_bfe_i32 v4, v2, 0, 16
	v_mov_b32_e32 v5, 0
	s_delay_alu instid0(VALU_DEP_2)
	v_cvt_f32_i32_e32 v4, v4
	global_store_b64 v[0:1], v[4:5], off
.LBB312_361:
	s_mov_b32 s17, 0
.LBB312_362:
	s_delay_alu instid0(SALU_CYCLE_1)
	s_and_not1_b32 vcc_lo, exec_lo, s17
	s_cbranch_vccnz .LBB312_364
; %bb.363:
	v_cvt_f16_i16_e32 v4, v2
	s_delay_alu instid0(VALU_DEP_1)
	v_and_b32_e32 v4, 0xffff, v4
	global_store_b32 v[0:1], v4, off
.LBB312_364:
	s_mov_b32 s17, 0
.LBB312_365:
	s_delay_alu instid0(SALU_CYCLE_1)
	s_and_not1_b32 vcc_lo, exec_lo, s17
	s_cbranch_vccnz .LBB312_374
; %bb.366:
	v_cmp_gt_i16_e32 vcc_lo, 6, v3
	s_mov_b32 s17, -1
	s_cbranch_vccnz .LBB312_372
; %bb.367:
	v_cmp_lt_i16_e32 vcc_lo, 6, v3
	s_cbranch_vccz .LBB312_369
; %bb.368:
	v_bfe_i32 v4, v2, 0, 16
	s_mov_b32 s17, 0
	s_delay_alu instid0(VALU_DEP_1)
	v_cvt_f64_i32_e32 v[4:5], v4
	global_store_b64 v[0:1], v[4:5], off
.LBB312_369:
	s_and_not1_b32 vcc_lo, exec_lo, s17
	s_cbranch_vccnz .LBB312_371
; %bb.370:
	v_bfe_i32 v4, v2, 0, 16
	s_delay_alu instid0(VALU_DEP_1)
	v_cvt_f32_i32_e32 v4, v4
	global_store_b32 v[0:1], v4, off
.LBB312_371:
	s_mov_b32 s17, 0
.LBB312_372:
	s_delay_alu instid0(SALU_CYCLE_1)
	s_and_not1_b32 vcc_lo, exec_lo, s17
	s_cbranch_vccnz .LBB312_374
; %bb.373:
	v_cvt_f16_i16_e32 v4, v2
	global_store_b16 v[0:1], v4, off
.LBB312_374:
	s_mov_b32 s17, 0
.LBB312_375:
	s_delay_alu instid0(SALU_CYCLE_1)
	s_and_not1_b32 vcc_lo, exec_lo, s17
	s_cbranch_vccnz .LBB312_391
; %bb.376:
	v_cmp_gt_i16_e32 vcc_lo, 2, v3
	s_mov_b32 s17, -1
	s_cbranch_vccnz .LBB312_386
; %bb.377:
	v_cmp_gt_i16_e32 vcc_lo, 3, v3
	s_cbranch_vccnz .LBB312_383
; %bb.378:
	v_cmp_lt_i16_e32 vcc_lo, 3, v3
	s_cbranch_vccz .LBB312_380
; %bb.379:
	v_bfe_i32 v4, v2, 0, 16
	s_mov_b32 s17, 0
	s_delay_alu instid0(VALU_DEP_1)
	v_ashrrev_i32_e32 v5, 31, v4
	global_store_b64 v[0:1], v[4:5], off
.LBB312_380:
	s_and_not1_b32 vcc_lo, exec_lo, s17
	s_cbranch_vccnz .LBB312_382
; %bb.381:
	v_bfe_i32 v4, v2, 0, 16
	global_store_b32 v[0:1], v4, off
.LBB312_382:
	s_mov_b32 s17, 0
.LBB312_383:
	s_delay_alu instid0(SALU_CYCLE_1)
	s_and_not1_b32 vcc_lo, exec_lo, s17
	s_cbranch_vccnz .LBB312_385
; %bb.384:
	global_store_b16 v[0:1], v2, off
.LBB312_385:
	s_mov_b32 s17, 0
.LBB312_386:
	s_delay_alu instid0(SALU_CYCLE_1)
	s_and_not1_b32 vcc_lo, exec_lo, s17
	s_cbranch_vccnz .LBB312_391
; %bb.387:
	v_cmp_lt_i16_e32 vcc_lo, 0, v3
	s_mov_b32 s17, -1
	s_cbranch_vccz .LBB312_389
; %bb.388:
	s_mov_b32 s17, 0
	global_store_b8 v[0:1], v2, off
.LBB312_389:
	s_and_not1_b32 vcc_lo, exec_lo, s17
	s_cbranch_vccnz .LBB312_391
; %bb.390:
	global_store_b8 v[0:1], v2, off
.LBB312_391:
	s_mov_b32 s17, -1
.LBB312_392:
	s_delay_alu instid0(SALU_CYCLE_1)
	s_and_not1_b32 vcc_lo, exec_lo, s17
	s_cbranch_vccnz .LBB312_394
; %bb.393:
	v_add_nc_u32_e32 v9, 0x80, v9
	s_mov_b32 s19, -1
	s_branch .LBB312_503
.LBB312_394:
	s_mov_b32 s19, 0
	s_branch .LBB312_502
.LBB312_395:
	s_mov_b32 s16, -1
                                        ; implicit-def: $vgpr2
.LBB312_396:
	s_mov_b32 s17, 0
.LBB312_397:
	s_delay_alu instid0(SALU_CYCLE_1)
	s_and_b32 vcc_lo, exec_lo, s17
	s_cbranch_vccz .LBB312_401
; %bb.398:
	v_cmp_eq_u16_e32 vcc_lo, 29, v10
	s_cbranch_vccz .LBB312_400
; %bb.399:
	global_load_b64 v[2:3], v[0:1], off
	s_mov_b32 s0, -1
	s_mov_b32 s16, 0
	s_branch .LBB312_401
.LBB312_400:
	s_mov_b32 s16, -1
                                        ; implicit-def: $vgpr2
.LBB312_401:
	s_mov_b32 s17, 0
.LBB312_402:
	s_delay_alu instid0(SALU_CYCLE_1)
	s_and_b32 vcc_lo, exec_lo, s17
	s_cbranch_vccz .LBB312_418
; %bb.403:
	v_cmp_gt_i16_e32 vcc_lo, 27, v10
	s_cbranch_vccnz .LBB312_406
; %bb.404:
	v_cmp_lt_i16_e32 vcc_lo, 27, v10
	s_cbranch_vccz .LBB312_407
; %bb.405:
	global_load_b32 v2, v[0:1], off
	s_mov_b32 s0, 0
	s_branch .LBB312_408
.LBB312_406:
	s_mov_b32 s0, -1
                                        ; implicit-def: $vgpr2
	s_branch .LBB312_411
.LBB312_407:
	s_mov_b32 s0, -1
                                        ; implicit-def: $vgpr2
.LBB312_408:
	s_delay_alu instid0(SALU_CYCLE_1)
	s_and_not1_b32 vcc_lo, exec_lo, s0
	s_cbranch_vccnz .LBB312_410
; %bb.409:
	global_load_u16 v2, v[0:1], off
.LBB312_410:
	s_mov_b32 s0, 0
.LBB312_411:
	s_delay_alu instid0(SALU_CYCLE_1)
	s_and_not1_b32 vcc_lo, exec_lo, s0
	s_cbranch_vccnz .LBB312_417
; %bb.412:
	global_load_u8 v3, v[0:1], off
	s_mov_b32 s0, 0
	s_mov_b32 s17, exec_lo
                                        ; implicit-def: $sgpr19
	s_waitcnt vmcnt(0)
	v_cmpx_lt_i16_e32 0x7f, v3
	s_xor_b32 s17, exec_lo, s17
	s_cbranch_execz .LBB312_429
; %bb.413:
	v_cmp_ne_u16_e32 vcc_lo, 0x80, v3
	s_mov_b32 s19, 0
	s_and_b32 s0, vcc_lo, exec_lo
	s_or_saveexec_b32 s17, s17
	v_mov_b32_e32 v2, s19
	s_xor_b32 exec_lo, exec_lo, s17
	s_cbranch_execnz .LBB312_430
.LBB312_414:
	s_or_b32 exec_lo, exec_lo, s17
	s_and_saveexec_b32 s17, s0
	s_cbranch_execz .LBB312_416
.LBB312_415:
	v_and_b32_e32 v2, 0xffff, v3
	s_delay_alu instid0(VALU_DEP_1) | instskip(NEXT) | instid1(VALU_DEP_1)
	v_and_b32_e32 v4, 7, v2
	v_clz_i32_u32_e32 v5, v4
	s_delay_alu instid0(VALU_DEP_1) | instskip(NEXT) | instid1(VALU_DEP_1)
	v_min_u32_e32 v5, 32, v5
	v_subrev_nc_u32_e32 v6, 28, v5
	v_sub_nc_u32_e32 v5, 29, v5
	s_delay_alu instid0(VALU_DEP_2) | instskip(SKIP_1) | instid1(VALU_DEP_2)
	v_lshlrev_b32_e32 v6, v6, v2
	v_bfe_u32 v2, v2, 3, 4
	v_and_b32_e32 v6, 7, v6
	s_delay_alu instid0(VALU_DEP_2) | instskip(SKIP_1) | instid1(VALU_DEP_1)
	v_cmp_eq_u32_e32 vcc_lo, 0, v2
	v_dual_cndmask_b32 v2, v2, v5 :: v_dual_lshlrev_b32 v3, 24, v3
	v_dual_cndmask_b32 v4, v4, v6 :: v_dual_and_b32 v3, 0x80000000, v3
	s_delay_alu instid0(VALU_DEP_2) | instskip(NEXT) | instid1(VALU_DEP_2)
	v_lshl_add_u32 v2, v2, 23, 0x3b800000
	v_lshlrev_b32_e32 v4, 20, v4
	s_delay_alu instid0(VALU_DEP_1) | instskip(NEXT) | instid1(VALU_DEP_1)
	v_or3_b32 v2, v3, v2, v4
	v_cvt_i32_f32_e32 v2, v2
.LBB312_416:
	s_or_b32 exec_lo, exec_lo, s17
.LBB312_417:
	s_mov_b32 s0, -1
.LBB312_418:
	s_mov_b32 s17, 0
.LBB312_419:
	s_delay_alu instid0(SALU_CYCLE_1)
	s_and_b32 vcc_lo, exec_lo, s17
	s_cbranch_vccz .LBB312_452
; %bb.420:
	v_cmp_lt_i16_e32 vcc_lo, 22, v10
	s_cbranch_vccz .LBB312_428
; %bb.421:
	v_cmp_gt_i16_e32 vcc_lo, 24, v10
	s_cbranch_vccnz .LBB312_431
; %bb.422:
	v_cmp_lt_i16_e32 vcc_lo, 24, v10
	s_cbranch_vccz .LBB312_432
; %bb.423:
	global_load_u8 v3, v[0:1], off
	s_mov_b32 s0, 0
	s_mov_b32 s17, exec_lo
                                        ; implicit-def: $sgpr19
	s_waitcnt vmcnt(0)
	v_cmpx_lt_i16_e32 0x7f, v3
	s_xor_b32 s17, exec_lo, s17
	s_cbranch_execz .LBB312_444
; %bb.424:
	v_cmp_ne_u16_e32 vcc_lo, 0x80, v3
	s_mov_b32 s19, 0
	s_and_b32 s0, vcc_lo, exec_lo
	s_or_saveexec_b32 s17, s17
	v_mov_b32_e32 v2, s19
	s_xor_b32 exec_lo, exec_lo, s17
	s_cbranch_execnz .LBB312_445
.LBB312_425:
	s_or_b32 exec_lo, exec_lo, s17
	s_and_saveexec_b32 s17, s0
	s_cbranch_execz .LBB312_427
.LBB312_426:
	v_and_b32_e32 v2, 0xffff, v3
	s_delay_alu instid0(VALU_DEP_1) | instskip(NEXT) | instid1(VALU_DEP_1)
	v_and_b32_e32 v4, 3, v2
	v_clz_i32_u32_e32 v5, v4
	s_delay_alu instid0(VALU_DEP_1) | instskip(NEXT) | instid1(VALU_DEP_1)
	v_min_u32_e32 v5, 32, v5
	v_subrev_nc_u32_e32 v6, 29, v5
	v_sub_nc_u32_e32 v5, 30, v5
	s_delay_alu instid0(VALU_DEP_2) | instskip(SKIP_1) | instid1(VALU_DEP_2)
	v_lshlrev_b32_e32 v6, v6, v2
	v_bfe_u32 v2, v2, 2, 5
	v_and_b32_e32 v6, 3, v6
	s_delay_alu instid0(VALU_DEP_2) | instskip(SKIP_1) | instid1(VALU_DEP_1)
	v_cmp_eq_u32_e32 vcc_lo, 0, v2
	v_dual_cndmask_b32 v2, v2, v5 :: v_dual_lshlrev_b32 v3, 24, v3
	v_dual_cndmask_b32 v4, v4, v6 :: v_dual_and_b32 v3, 0x80000000, v3
	s_delay_alu instid0(VALU_DEP_2) | instskip(NEXT) | instid1(VALU_DEP_2)
	v_lshl_add_u32 v2, v2, 23, 0x37800000
	v_lshlrev_b32_e32 v4, 21, v4
	s_delay_alu instid0(VALU_DEP_1) | instskip(NEXT) | instid1(VALU_DEP_1)
	v_or3_b32 v2, v3, v2, v4
	v_cvt_i32_f32_e32 v2, v2
.LBB312_427:
	s_or_b32 exec_lo, exec_lo, s17
	s_mov_b32 s0, 0
	s_branch .LBB312_433
.LBB312_428:
	s_mov_b32 s17, -1
                                        ; implicit-def: $vgpr2
	s_branch .LBB312_439
.LBB312_429:
	s_or_saveexec_b32 s17, s17
	v_mov_b32_e32 v2, s19
	s_xor_b32 exec_lo, exec_lo, s17
	s_cbranch_execz .LBB312_414
.LBB312_430:
	v_cmp_ne_u16_e32 vcc_lo, 0, v3
	v_mov_b32_e32 v2, 0
	s_and_not1_b32 s0, s0, exec_lo
	s_and_b32 s19, vcc_lo, exec_lo
	s_delay_alu instid0(SALU_CYCLE_1)
	s_or_b32 s0, s0, s19
	s_or_b32 exec_lo, exec_lo, s17
	s_and_saveexec_b32 s17, s0
	s_cbranch_execnz .LBB312_415
	s_branch .LBB312_416
.LBB312_431:
	s_mov_b32 s0, -1
                                        ; implicit-def: $vgpr2
	s_branch .LBB312_436
.LBB312_432:
	s_mov_b32 s0, -1
                                        ; implicit-def: $vgpr2
.LBB312_433:
	s_delay_alu instid0(SALU_CYCLE_1)
	s_and_b32 vcc_lo, exec_lo, s0
	s_cbranch_vccz .LBB312_435
; %bb.434:
	global_load_u8 v2, v[0:1], off
	s_waitcnt vmcnt(0)
	v_lshlrev_b32_e32 v2, 24, v2
	s_delay_alu instid0(VALU_DEP_1) | instskip(NEXT) | instid1(VALU_DEP_1)
	v_and_b32_e32 v3, 0x7f000000, v2
	v_clz_i32_u32_e32 v4, v3
	v_add_nc_u32_e32 v6, 0x1000000, v3
	v_cmp_ne_u32_e32 vcc_lo, 0, v3
	s_delay_alu instid0(VALU_DEP_3) | instskip(NEXT) | instid1(VALU_DEP_1)
	v_min_u32_e32 v4, 32, v4
	v_sub_nc_u32_e64 v4, v4, 4 clamp
	s_delay_alu instid0(VALU_DEP_1) | instskip(SKIP_1) | instid1(VALU_DEP_2)
	v_lshlrev_b32_e32 v5, v4, v3
	v_lshlrev_b32_e32 v4, 23, v4
	v_lshrrev_b32_e32 v5, 4, v5
	s_delay_alu instid0(VALU_DEP_1) | instskip(SKIP_1) | instid1(VALU_DEP_2)
	v_sub_nc_u32_e32 v4, v5, v4
	v_ashrrev_i32_e32 v5, 8, v6
	v_add_nc_u32_e32 v4, 0x3c000000, v4
	s_delay_alu instid0(VALU_DEP_1) | instskip(NEXT) | instid1(VALU_DEP_1)
	v_and_or_b32 v4, 0x7f800000, v5, v4
	v_cndmask_b32_e32 v3, 0, v4, vcc_lo
	s_delay_alu instid0(VALU_DEP_1) | instskip(NEXT) | instid1(VALU_DEP_1)
	v_and_or_b32 v2, 0x80000000, v2, v3
	v_cvt_i32_f32_e32 v2, v2
.LBB312_435:
	s_mov_b32 s0, 0
.LBB312_436:
	s_delay_alu instid0(SALU_CYCLE_1)
	s_and_not1_b32 vcc_lo, exec_lo, s0
	s_cbranch_vccnz .LBB312_438
; %bb.437:
	global_load_u8 v2, v[0:1], off
	s_waitcnt vmcnt(0)
	v_lshlrev_b32_e32 v3, 25, v2
	v_lshlrev_b16 v2, 8, v2
	s_delay_alu instid0(VALU_DEP_2) | instskip(NEXT) | instid1(VALU_DEP_2)
	v_lshrrev_b32_e32 v4, 4, v3
	v_and_or_b32 v5, 0x7f00, v2, 0.5
	v_bfe_i32 v2, v2, 0, 16
	s_delay_alu instid0(VALU_DEP_3) | instskip(NEXT) | instid1(VALU_DEP_1)
	v_or_b32_e32 v4, 0x70000000, v4
	v_dual_add_f32 v5, -0.5, v5 :: v_dual_mul_f32 v4, 0x7800000, v4
	v_cmp_gt_u32_e32 vcc_lo, 0x8000000, v3
	s_delay_alu instid0(VALU_DEP_2) | instskip(NEXT) | instid1(VALU_DEP_1)
	v_cndmask_b32_e32 v3, v4, v5, vcc_lo
	v_and_or_b32 v2, 0x80000000, v2, v3
	s_delay_alu instid0(VALU_DEP_1)
	v_cvt_i32_f32_e32 v2, v2
.LBB312_438:
	s_mov_b32 s17, 0
	s_mov_b32 s0, -1
.LBB312_439:
	s_and_not1_b32 vcc_lo, exec_lo, s17
	s_cbranch_vccnz .LBB312_452
; %bb.440:
	v_cmp_lt_i16_e32 vcc_lo, 14, v10
	s_cbranch_vccz .LBB312_443
; %bb.441:
	v_cmp_eq_u16_e32 vcc_lo, 15, v10
	s_cbranch_vccz .LBB312_446
; %bb.442:
	global_load_u16 v2, v[0:1], off
	s_mov_b32 s0, -1
	s_mov_b32 s16, 0
	s_waitcnt vmcnt(0)
	v_lshlrev_b32_e32 v2, 16, v2
	s_delay_alu instid0(VALU_DEP_1)
	v_cvt_i32_f32_e32 v2, v2
	s_branch .LBB312_447
.LBB312_443:
	s_mov_b32 s17, -1
                                        ; implicit-def: $vgpr2
	s_branch .LBB312_448
.LBB312_444:
	s_or_saveexec_b32 s17, s17
	v_mov_b32_e32 v2, s19
	s_xor_b32 exec_lo, exec_lo, s17
	s_cbranch_execz .LBB312_425
.LBB312_445:
	v_cmp_ne_u16_e32 vcc_lo, 0, v3
	v_mov_b32_e32 v2, 0
	s_and_not1_b32 s0, s0, exec_lo
	s_and_b32 s19, vcc_lo, exec_lo
	s_delay_alu instid0(SALU_CYCLE_1)
	s_or_b32 s0, s0, s19
	s_or_b32 exec_lo, exec_lo, s17
	s_and_saveexec_b32 s17, s0
	s_cbranch_execnz .LBB312_426
	s_branch .LBB312_427
.LBB312_446:
	s_mov_b32 s16, -1
                                        ; implicit-def: $vgpr2
.LBB312_447:
	s_mov_b32 s17, 0
.LBB312_448:
	s_delay_alu instid0(SALU_CYCLE_1)
	s_and_b32 vcc_lo, exec_lo, s17
	s_cbranch_vccz .LBB312_452
; %bb.449:
	v_cmp_eq_u16_e32 vcc_lo, 11, v10
	s_cbranch_vccz .LBB312_451
; %bb.450:
	global_load_u8 v2, v[0:1], off
	s_mov_b32 s16, 0
	s_mov_b32 s0, -1
	s_waitcnt vmcnt(0)
	v_cmp_ne_u16_e32 vcc_lo, 0, v2
	v_cndmask_b32_e64 v2, 0, 1, vcc_lo
	s_branch .LBB312_452
.LBB312_451:
	s_mov_b32 s16, -1
                                        ; implicit-def: $vgpr2
.LBB312_452:
	s_branch .LBB312_258
.LBB312_453:
	v_cmp_gt_i16_e32 vcc_lo, 5, v10
	s_cbranch_vccnz .LBB312_458
; %bb.454:
	v_cmp_gt_i16_e32 vcc_lo, 8, v10
	s_cbranch_vccnz .LBB312_459
; %bb.455:
	;; [unrolled: 3-line block ×3, first 2 shown]
	v_cmp_lt_i16_e32 vcc_lo, 9, v10
	s_cbranch_vccz .LBB312_461
; %bb.457:
	global_load_b64 v[2:3], v[0:1], off
	s_mov_b32 s0, 0
	s_waitcnt vmcnt(0)
	v_cvt_i32_f64_e32 v2, v[2:3]
	s_branch .LBB312_462
.LBB312_458:
	s_mov_b32 s0, -1
                                        ; implicit-def: $vgpr2
	s_branch .LBB312_480
.LBB312_459:
	s_mov_b32 s0, -1
                                        ; implicit-def: $vgpr2
	s_branch .LBB312_468
.LBB312_460:
	s_mov_b32 s0, -1
                                        ; implicit-def: $vgpr2
	s_branch .LBB312_465
.LBB312_461:
	s_mov_b32 s0, -1
                                        ; implicit-def: $vgpr2
.LBB312_462:
	s_delay_alu instid0(SALU_CYCLE_1)
	s_and_not1_b32 vcc_lo, exec_lo, s0
	s_cbranch_vccnz .LBB312_464
; %bb.463:
	global_load_b32 v2, v[0:1], off
	s_waitcnt vmcnt(0)
	v_cvt_i32_f32_e32 v2, v2
.LBB312_464:
	s_mov_b32 s0, 0
.LBB312_465:
	s_delay_alu instid0(SALU_CYCLE_1)
	s_and_not1_b32 vcc_lo, exec_lo, s0
	s_cbranch_vccnz .LBB312_467
; %bb.466:
	global_load_b32 v2, v[0:1], off
	s_waitcnt vmcnt(0)
	v_cvt_i16_f16_e32 v2, v2
.LBB312_467:
	s_mov_b32 s0, 0
.LBB312_468:
	s_delay_alu instid0(SALU_CYCLE_1)
	s_and_not1_b32 vcc_lo, exec_lo, s0
	s_cbranch_vccnz .LBB312_479
; %bb.469:
	v_cmp_gt_i16_e32 vcc_lo, 6, v10
	s_cbranch_vccnz .LBB312_472
; %bb.470:
	v_cmp_lt_i16_e32 vcc_lo, 6, v10
	s_cbranch_vccz .LBB312_473
; %bb.471:
	global_load_b64 v[2:3], v[0:1], off
	s_mov_b32 s0, 0
	s_waitcnt vmcnt(0)
	v_cvt_i32_f64_e32 v2, v[2:3]
	s_branch .LBB312_474
.LBB312_472:
	s_mov_b32 s0, -1
                                        ; implicit-def: $vgpr2
	s_branch .LBB312_477
.LBB312_473:
	s_mov_b32 s0, -1
                                        ; implicit-def: $vgpr2
.LBB312_474:
	s_delay_alu instid0(SALU_CYCLE_1)
	s_and_not1_b32 vcc_lo, exec_lo, s0
	s_cbranch_vccnz .LBB312_476
; %bb.475:
	global_load_b32 v2, v[0:1], off
	s_waitcnt vmcnt(0)
	v_cvt_i32_f32_e32 v2, v2
.LBB312_476:
	s_mov_b32 s0, 0
.LBB312_477:
	s_delay_alu instid0(SALU_CYCLE_1)
	s_and_not1_b32 vcc_lo, exec_lo, s0
	s_cbranch_vccnz .LBB312_479
; %bb.478:
	global_load_u16 v2, v[0:1], off
	s_waitcnt vmcnt(0)
	v_cvt_i16_f16_e32 v2, v2
.LBB312_479:
	s_mov_b32 s0, 0
.LBB312_480:
	s_delay_alu instid0(SALU_CYCLE_1)
	s_and_not1_b32 vcc_lo, exec_lo, s0
	s_cbranch_vccnz .LBB312_500
; %bb.481:
	v_cmp_gt_i16_e32 vcc_lo, 2, v10
	s_cbranch_vccnz .LBB312_485
; %bb.482:
	v_cmp_gt_i16_e32 vcc_lo, 3, v10
	s_cbranch_vccnz .LBB312_486
; %bb.483:
	v_cmp_lt_i16_e32 vcc_lo, 3, v10
	s_cbranch_vccz .LBB312_487
; %bb.484:
	global_load_b64 v[2:3], v[0:1], off
	s_mov_b32 s0, 0
	s_branch .LBB312_488
.LBB312_485:
	s_mov_b32 s0, -1
                                        ; implicit-def: $vgpr2
	s_branch .LBB312_494
.LBB312_486:
	s_mov_b32 s0, -1
                                        ; implicit-def: $vgpr2
	s_branch .LBB312_491
.LBB312_487:
	s_mov_b32 s0, -1
                                        ; implicit-def: $vgpr2
.LBB312_488:
	s_delay_alu instid0(SALU_CYCLE_1)
	s_and_not1_b32 vcc_lo, exec_lo, s0
	s_cbranch_vccnz .LBB312_490
; %bb.489:
	global_load_b32 v2, v[0:1], off
.LBB312_490:
	s_mov_b32 s0, 0
.LBB312_491:
	s_delay_alu instid0(SALU_CYCLE_1)
	s_and_not1_b32 vcc_lo, exec_lo, s0
	s_cbranch_vccnz .LBB312_493
; %bb.492:
	global_load_u16 v2, v[0:1], off
.LBB312_493:
	s_mov_b32 s0, 0
.LBB312_494:
	s_delay_alu instid0(SALU_CYCLE_1)
	s_and_not1_b32 vcc_lo, exec_lo, s0
	s_cbranch_vccnz .LBB312_500
; %bb.495:
	v_cmp_lt_i16_e32 vcc_lo, 0, v10
	s_mov_b32 s0, 0
	s_cbranch_vccz .LBB312_497
; %bb.496:
	global_load_i8 v2, v[0:1], off
	s_branch .LBB312_498
.LBB312_497:
	s_mov_b32 s0, -1
                                        ; implicit-def: $vgpr2
.LBB312_498:
	s_delay_alu instid0(SALU_CYCLE_1)
	s_and_not1_b32 vcc_lo, exec_lo, s0
	s_cbranch_vccnz .LBB312_500
; %bb.499:
	global_load_u8 v2, v[0:1], off
.LBB312_500:
	s_branch .LBB312_259
.LBB312_501:
	s_mov_b32 s19, 0
	s_mov_b32 s0, s12
.LBB312_502:
                                        ; implicit-def: $vgpr9
.LBB312_503:
	s_and_not1_b32 s17, s12, exec_lo
	s_and_b32 s0, s0, exec_lo
	s_and_not1_b32 s20, s14, exec_lo
	s_and_b32 s16, s16, exec_lo
	s_or_b32 s17, s17, s0
	s_or_b32 s16, s20, s16
	s_or_not1_b32 s20, s19, exec_lo
.LBB312_504:
	s_or_b32 exec_lo, exec_lo, s18
	s_mov_b32 s19, 0
	s_mov_b32 s21, 0
	;; [unrolled: 1-line block ×3, first 2 shown]
                                        ; implicit-def: $vgpr0_vgpr1
                                        ; implicit-def: $vgpr2
	s_and_saveexec_b32 s18, s20
	s_cbranch_execz .LBB312_843
; %bb.505:
	s_mov_b32 s0, -1
	s_mov_b32 s20, s16
	s_mov_b32 s21, s17
	s_mov_b32 s19, exec_lo
	v_cmpx_gt_i32_e64 s13, v9
	s_cbranch_execz .LBB312_761
; %bb.506:
	v_mul_lo_u32 v0, v9, s9
	v_cmp_gt_i16_e32 vcc_lo, 11, v10
	s_delay_alu instid0(VALU_DEP_2) | instskip(SKIP_1) | instid1(VALU_DEP_1)
	v_ashrrev_i32_e32 v1, 31, v0
	v_add_co_u32 v0, s0, s6, v0
	v_add_co_ci_u32_e64 v1, s0, s7, v1, s0
	s_cbranch_vccnz .LBB312_513
; %bb.507:
	v_cmp_lt_i16_e32 vcc_lo, 25, v10
	s_cbranch_vccz .LBB312_514
; %bb.508:
	v_cmp_lt_i16_e32 vcc_lo, 28, v10
	s_cbranch_vccz .LBB312_515
	;; [unrolled: 3-line block ×4, first 2 shown]
; %bb.511:
	v_cmp_eq_u16_e32 vcc_lo, 46, v10
	s_mov_b32 s21, 0
	s_cbranch_vccz .LBB312_522
; %bb.512:
	global_load_b32 v2, v[0:1], off
	s_mov_b32 s0, -1
	s_mov_b32 s20, 0
	s_waitcnt vmcnt(0)
	v_lshlrev_b32_e32 v2, 16, v2
	s_delay_alu instid0(VALU_DEP_1)
	v_cvt_i32_f32_e32 v2, v2
	s_branch .LBB312_524
.LBB312_513:
	s_mov_b32 s21, -1
	s_mov_b32 s0, 0
	s_mov_b32 s20, s16
                                        ; implicit-def: $vgpr2
	s_branch .LBB312_585
.LBB312_514:
	s_mov_b32 s21, -1
	s_mov_b32 s0, 0
	s_mov_b32 s20, s16
                                        ; implicit-def: $vgpr2
	s_branch .LBB312_551
.LBB312_515:
	s_mov_b32 s21, -1
	s_mov_b32 s0, 0
	s_mov_b32 s20, s16
                                        ; implicit-def: $vgpr2
	s_branch .LBB312_534
.LBB312_516:
	s_mov_b32 s21, -1
	s_mov_b32 s0, 0
	s_mov_b32 s20, s16
                                        ; implicit-def: $vgpr2
	s_branch .LBB312_529
.LBB312_517:
	s_or_saveexec_b32 s20, s20
                                        ; implicit-def: $sgpr21
	s_delay_alu instid0(SALU_CYCLE_1)
	s_xor_b32 exec_lo, exec_lo, s20
	s_cbranch_execz .LBB312_305
.LBB312_518:
	v_add_f32_e64 v5, 0x46000000, |v4|
	s_and_not1_b32 s19, s19, exec_lo
	s_mov_b32 s21, 0
	s_delay_alu instid0(VALU_DEP_1) | instskip(NEXT) | instid1(VALU_DEP_1)
	v_and_b32_e32 v5, 0xff, v5
	v_cmp_ne_u32_e32 vcc_lo, 0, v5
	s_and_b32 s22, vcc_lo, exec_lo
	s_delay_alu instid0(SALU_CYCLE_1)
	s_or_b32 s19, s19, s22
	s_or_b32 exec_lo, exec_lo, s20
	v_mov_b32_e32 v6, s21
	s_and_saveexec_b32 s20, s19
	s_cbranch_execnz .LBB312_306
	s_branch .LBB312_307
.LBB312_519:
	s_mov_b32 s21, -1
	s_mov_b32 s0, 0
	s_mov_b32 s20, s16
	s_branch .LBB312_523
.LBB312_520:
	s_or_saveexec_b32 s20, s20
                                        ; implicit-def: $sgpr21
	s_delay_alu instid0(SALU_CYCLE_1)
	s_xor_b32 exec_lo, exec_lo, s20
	s_cbranch_execz .LBB312_318
.LBB312_521:
	v_add_f32_e64 v5, 0x42800000, |v4|
	s_and_not1_b32 s19, s19, exec_lo
	s_mov_b32 s21, 0
	s_delay_alu instid0(VALU_DEP_1) | instskip(NEXT) | instid1(VALU_DEP_1)
	v_and_b32_e32 v5, 0xff, v5
	v_cmp_ne_u32_e32 vcc_lo, 0, v5
	s_and_b32 s22, vcc_lo, exec_lo
	s_delay_alu instid0(SALU_CYCLE_1)
	s_or_b32 s19, s19, s22
	s_or_b32 exec_lo, exec_lo, s20
	v_mov_b32_e32 v6, s21
	s_and_saveexec_b32 s20, s19
	s_cbranch_execnz .LBB312_319
	s_branch .LBB312_320
.LBB312_522:
	s_mov_b32 s20, -1
	s_mov_b32 s0, 0
.LBB312_523:
                                        ; implicit-def: $vgpr2
.LBB312_524:
	s_and_b32 vcc_lo, exec_lo, s21
	s_cbranch_vccz .LBB312_528
; %bb.525:
	v_cmp_eq_u16_e32 vcc_lo, 44, v10
	s_cbranch_vccz .LBB312_527
; %bb.526:
	global_load_u8 v2, v[0:1], off
	s_mov_b32 s20, 0
	s_mov_b32 s0, -1
	s_waitcnt vmcnt(0)
	v_lshlrev_b32_e32 v3, 23, v2
	v_cmp_ne_u32_e32 vcc_lo, 0, v2
	s_delay_alu instid0(VALU_DEP_2) | instskip(NEXT) | instid1(VALU_DEP_1)
	v_cvt_i32_f32_e32 v3, v3
	v_cndmask_b32_e32 v2, 0, v3, vcc_lo
	s_branch .LBB312_528
.LBB312_527:
	s_mov_b32 s20, -1
                                        ; implicit-def: $vgpr2
.LBB312_528:
	s_mov_b32 s21, 0
.LBB312_529:
	s_delay_alu instid0(SALU_CYCLE_1)
	s_and_b32 vcc_lo, exec_lo, s21
	s_cbranch_vccz .LBB312_533
; %bb.530:
	v_cmp_eq_u16_e32 vcc_lo, 29, v10
	s_cbranch_vccz .LBB312_532
; %bb.531:
	global_load_b64 v[2:3], v[0:1], off
	s_mov_b32 s0, -1
	s_mov_b32 s20, 0
	s_branch .LBB312_533
.LBB312_532:
	s_mov_b32 s20, -1
                                        ; implicit-def: $vgpr2
.LBB312_533:
	s_mov_b32 s21, 0
.LBB312_534:
	s_delay_alu instid0(SALU_CYCLE_1)
	s_and_b32 vcc_lo, exec_lo, s21
	s_cbranch_vccz .LBB312_550
; %bb.535:
	v_cmp_gt_i16_e32 vcc_lo, 27, v10
	s_cbranch_vccnz .LBB312_538
; %bb.536:
	v_cmp_lt_i16_e32 vcc_lo, 27, v10
	s_cbranch_vccz .LBB312_539
; %bb.537:
	global_load_b32 v2, v[0:1], off
	s_mov_b32 s0, 0
	s_branch .LBB312_540
.LBB312_538:
	s_mov_b32 s0, -1
                                        ; implicit-def: $vgpr2
	s_branch .LBB312_543
.LBB312_539:
	s_mov_b32 s0, -1
                                        ; implicit-def: $vgpr2
.LBB312_540:
	s_delay_alu instid0(SALU_CYCLE_1)
	s_and_not1_b32 vcc_lo, exec_lo, s0
	s_cbranch_vccnz .LBB312_542
; %bb.541:
	global_load_u16 v2, v[0:1], off
.LBB312_542:
	s_mov_b32 s0, 0
.LBB312_543:
	s_delay_alu instid0(SALU_CYCLE_1)
	s_and_not1_b32 vcc_lo, exec_lo, s0
	s_cbranch_vccnz .LBB312_549
; %bb.544:
	global_load_u8 v3, v[0:1], off
	s_mov_b32 s0, 0
	s_mov_b32 s21, exec_lo
                                        ; implicit-def: $sgpr22
	s_waitcnt vmcnt(0)
	v_cmpx_lt_i16_e32 0x7f, v3
	s_xor_b32 s21, exec_lo, s21
	s_cbranch_execz .LBB312_561
; %bb.545:
	v_cmp_ne_u16_e32 vcc_lo, 0x80, v3
	s_mov_b32 s22, 0
	s_and_b32 s0, vcc_lo, exec_lo
	s_or_saveexec_b32 s21, s21
	v_mov_b32_e32 v2, s22
	s_xor_b32 exec_lo, exec_lo, s21
	s_cbranch_execnz .LBB312_562
.LBB312_546:
	s_or_b32 exec_lo, exec_lo, s21
	s_and_saveexec_b32 s21, s0
	s_cbranch_execz .LBB312_548
.LBB312_547:
	v_and_b32_e32 v2, 0xffff, v3
	s_delay_alu instid0(VALU_DEP_1) | instskip(NEXT) | instid1(VALU_DEP_1)
	v_and_b32_e32 v4, 7, v2
	v_clz_i32_u32_e32 v5, v4
	s_delay_alu instid0(VALU_DEP_1) | instskip(NEXT) | instid1(VALU_DEP_1)
	v_min_u32_e32 v5, 32, v5
	v_subrev_nc_u32_e32 v6, 28, v5
	v_sub_nc_u32_e32 v5, 29, v5
	s_delay_alu instid0(VALU_DEP_2) | instskip(SKIP_1) | instid1(VALU_DEP_2)
	v_lshlrev_b32_e32 v6, v6, v2
	v_bfe_u32 v2, v2, 3, 4
	v_and_b32_e32 v6, 7, v6
	s_delay_alu instid0(VALU_DEP_2) | instskip(SKIP_1) | instid1(VALU_DEP_1)
	v_cmp_eq_u32_e32 vcc_lo, 0, v2
	v_dual_cndmask_b32 v2, v2, v5 :: v_dual_lshlrev_b32 v3, 24, v3
	v_dual_cndmask_b32 v4, v4, v6 :: v_dual_and_b32 v3, 0x80000000, v3
	s_delay_alu instid0(VALU_DEP_2) | instskip(NEXT) | instid1(VALU_DEP_2)
	v_lshl_add_u32 v2, v2, 23, 0x3b800000
	v_lshlrev_b32_e32 v4, 20, v4
	s_delay_alu instid0(VALU_DEP_1) | instskip(NEXT) | instid1(VALU_DEP_1)
	v_or3_b32 v2, v3, v2, v4
	v_cvt_i32_f32_e32 v2, v2
.LBB312_548:
	s_or_b32 exec_lo, exec_lo, s21
.LBB312_549:
	s_mov_b32 s0, -1
.LBB312_550:
	s_mov_b32 s21, 0
.LBB312_551:
	s_delay_alu instid0(SALU_CYCLE_1)
	s_and_b32 vcc_lo, exec_lo, s21
	s_cbranch_vccz .LBB312_584
; %bb.552:
	v_cmp_lt_i16_e32 vcc_lo, 22, v10
	s_cbranch_vccz .LBB312_560
; %bb.553:
	v_cmp_gt_i16_e32 vcc_lo, 24, v10
	s_cbranch_vccnz .LBB312_563
; %bb.554:
	v_cmp_lt_i16_e32 vcc_lo, 24, v10
	s_cbranch_vccz .LBB312_564
; %bb.555:
	global_load_u8 v3, v[0:1], off
	s_mov_b32 s0, 0
	s_mov_b32 s21, exec_lo
                                        ; implicit-def: $sgpr22
	s_waitcnt vmcnt(0)
	v_cmpx_lt_i16_e32 0x7f, v3
	s_xor_b32 s21, exec_lo, s21
	s_cbranch_execz .LBB312_576
; %bb.556:
	v_cmp_ne_u16_e32 vcc_lo, 0x80, v3
	s_mov_b32 s22, 0
	s_and_b32 s0, vcc_lo, exec_lo
	s_or_saveexec_b32 s21, s21
	v_mov_b32_e32 v2, s22
	s_xor_b32 exec_lo, exec_lo, s21
	s_cbranch_execnz .LBB312_577
.LBB312_557:
	s_or_b32 exec_lo, exec_lo, s21
	s_and_saveexec_b32 s21, s0
	s_cbranch_execz .LBB312_559
.LBB312_558:
	v_and_b32_e32 v2, 0xffff, v3
	s_delay_alu instid0(VALU_DEP_1) | instskip(NEXT) | instid1(VALU_DEP_1)
	v_and_b32_e32 v4, 3, v2
	v_clz_i32_u32_e32 v5, v4
	s_delay_alu instid0(VALU_DEP_1) | instskip(NEXT) | instid1(VALU_DEP_1)
	v_min_u32_e32 v5, 32, v5
	v_subrev_nc_u32_e32 v6, 29, v5
	v_sub_nc_u32_e32 v5, 30, v5
	s_delay_alu instid0(VALU_DEP_2) | instskip(SKIP_1) | instid1(VALU_DEP_2)
	v_lshlrev_b32_e32 v6, v6, v2
	v_bfe_u32 v2, v2, 2, 5
	v_and_b32_e32 v6, 3, v6
	s_delay_alu instid0(VALU_DEP_2) | instskip(SKIP_1) | instid1(VALU_DEP_1)
	v_cmp_eq_u32_e32 vcc_lo, 0, v2
	v_dual_cndmask_b32 v2, v2, v5 :: v_dual_lshlrev_b32 v3, 24, v3
	v_dual_cndmask_b32 v4, v4, v6 :: v_dual_and_b32 v3, 0x80000000, v3
	s_delay_alu instid0(VALU_DEP_2) | instskip(NEXT) | instid1(VALU_DEP_2)
	v_lshl_add_u32 v2, v2, 23, 0x37800000
	v_lshlrev_b32_e32 v4, 21, v4
	s_delay_alu instid0(VALU_DEP_1) | instskip(NEXT) | instid1(VALU_DEP_1)
	v_or3_b32 v2, v3, v2, v4
	v_cvt_i32_f32_e32 v2, v2
.LBB312_559:
	s_or_b32 exec_lo, exec_lo, s21
	s_mov_b32 s0, 0
	s_branch .LBB312_565
.LBB312_560:
	s_mov_b32 s21, -1
                                        ; implicit-def: $vgpr2
	s_branch .LBB312_571
.LBB312_561:
	s_or_saveexec_b32 s21, s21
	v_mov_b32_e32 v2, s22
	s_xor_b32 exec_lo, exec_lo, s21
	s_cbranch_execz .LBB312_546
.LBB312_562:
	v_cmp_ne_u16_e32 vcc_lo, 0, v3
	v_mov_b32_e32 v2, 0
	s_and_not1_b32 s0, s0, exec_lo
	s_and_b32 s22, vcc_lo, exec_lo
	s_delay_alu instid0(SALU_CYCLE_1)
	s_or_b32 s0, s0, s22
	s_or_b32 exec_lo, exec_lo, s21
	s_and_saveexec_b32 s21, s0
	s_cbranch_execnz .LBB312_547
	s_branch .LBB312_548
.LBB312_563:
	s_mov_b32 s0, -1
                                        ; implicit-def: $vgpr2
	s_branch .LBB312_568
.LBB312_564:
	s_mov_b32 s0, -1
                                        ; implicit-def: $vgpr2
.LBB312_565:
	s_delay_alu instid0(SALU_CYCLE_1)
	s_and_b32 vcc_lo, exec_lo, s0
	s_cbranch_vccz .LBB312_567
; %bb.566:
	global_load_u8 v2, v[0:1], off
	s_waitcnt vmcnt(0)
	v_lshlrev_b32_e32 v2, 24, v2
	s_delay_alu instid0(VALU_DEP_1) | instskip(NEXT) | instid1(VALU_DEP_1)
	v_and_b32_e32 v3, 0x7f000000, v2
	v_clz_i32_u32_e32 v4, v3
	v_add_nc_u32_e32 v6, 0x1000000, v3
	v_cmp_ne_u32_e32 vcc_lo, 0, v3
	s_delay_alu instid0(VALU_DEP_3) | instskip(NEXT) | instid1(VALU_DEP_1)
	v_min_u32_e32 v4, 32, v4
	v_sub_nc_u32_e64 v4, v4, 4 clamp
	s_delay_alu instid0(VALU_DEP_1) | instskip(SKIP_1) | instid1(VALU_DEP_2)
	v_lshlrev_b32_e32 v5, v4, v3
	v_lshlrev_b32_e32 v4, 23, v4
	v_lshrrev_b32_e32 v5, 4, v5
	s_delay_alu instid0(VALU_DEP_1) | instskip(SKIP_1) | instid1(VALU_DEP_2)
	v_sub_nc_u32_e32 v4, v5, v4
	v_ashrrev_i32_e32 v5, 8, v6
	v_add_nc_u32_e32 v4, 0x3c000000, v4
	s_delay_alu instid0(VALU_DEP_1) | instskip(NEXT) | instid1(VALU_DEP_1)
	v_and_or_b32 v4, 0x7f800000, v5, v4
	v_cndmask_b32_e32 v3, 0, v4, vcc_lo
	s_delay_alu instid0(VALU_DEP_1) | instskip(NEXT) | instid1(VALU_DEP_1)
	v_and_or_b32 v2, 0x80000000, v2, v3
	v_cvt_i32_f32_e32 v2, v2
.LBB312_567:
	s_mov_b32 s0, 0
.LBB312_568:
	s_delay_alu instid0(SALU_CYCLE_1)
	s_and_not1_b32 vcc_lo, exec_lo, s0
	s_cbranch_vccnz .LBB312_570
; %bb.569:
	global_load_u8 v2, v[0:1], off
	s_waitcnt vmcnt(0)
	v_lshlrev_b32_e32 v3, 25, v2
	v_lshlrev_b16 v2, 8, v2
	s_delay_alu instid0(VALU_DEP_2) | instskip(NEXT) | instid1(VALU_DEP_2)
	v_lshrrev_b32_e32 v4, 4, v3
	v_and_or_b32 v5, 0x7f00, v2, 0.5
	v_bfe_i32 v2, v2, 0, 16
	s_delay_alu instid0(VALU_DEP_3) | instskip(NEXT) | instid1(VALU_DEP_1)
	v_or_b32_e32 v4, 0x70000000, v4
	v_dual_add_f32 v5, -0.5, v5 :: v_dual_mul_f32 v4, 0x7800000, v4
	v_cmp_gt_u32_e32 vcc_lo, 0x8000000, v3
	s_delay_alu instid0(VALU_DEP_2) | instskip(NEXT) | instid1(VALU_DEP_1)
	v_cndmask_b32_e32 v3, v4, v5, vcc_lo
	v_and_or_b32 v2, 0x80000000, v2, v3
	s_delay_alu instid0(VALU_DEP_1)
	v_cvt_i32_f32_e32 v2, v2
.LBB312_570:
	s_mov_b32 s21, 0
	s_mov_b32 s0, -1
.LBB312_571:
	s_and_not1_b32 vcc_lo, exec_lo, s21
	s_cbranch_vccnz .LBB312_584
; %bb.572:
	v_cmp_lt_i16_e32 vcc_lo, 14, v10
	s_cbranch_vccz .LBB312_575
; %bb.573:
	v_cmp_eq_u16_e32 vcc_lo, 15, v10
	s_cbranch_vccz .LBB312_578
; %bb.574:
	global_load_u16 v2, v[0:1], off
	s_mov_b32 s0, -1
	s_mov_b32 s20, 0
	s_waitcnt vmcnt(0)
	v_lshlrev_b32_e32 v2, 16, v2
	s_delay_alu instid0(VALU_DEP_1)
	v_cvt_i32_f32_e32 v2, v2
	s_branch .LBB312_579
.LBB312_575:
	s_mov_b32 s21, -1
                                        ; implicit-def: $vgpr2
	s_branch .LBB312_580
.LBB312_576:
	s_or_saveexec_b32 s21, s21
	v_mov_b32_e32 v2, s22
	s_xor_b32 exec_lo, exec_lo, s21
	s_cbranch_execz .LBB312_557
.LBB312_577:
	v_cmp_ne_u16_e32 vcc_lo, 0, v3
	v_mov_b32_e32 v2, 0
	s_and_not1_b32 s0, s0, exec_lo
	s_and_b32 s22, vcc_lo, exec_lo
	s_delay_alu instid0(SALU_CYCLE_1)
	s_or_b32 s0, s0, s22
	s_or_b32 exec_lo, exec_lo, s21
	s_and_saveexec_b32 s21, s0
	s_cbranch_execnz .LBB312_558
	s_branch .LBB312_559
.LBB312_578:
	s_mov_b32 s20, -1
                                        ; implicit-def: $vgpr2
.LBB312_579:
	s_mov_b32 s21, 0
.LBB312_580:
	s_delay_alu instid0(SALU_CYCLE_1)
	s_and_b32 vcc_lo, exec_lo, s21
	s_cbranch_vccz .LBB312_584
; %bb.581:
	v_cmp_eq_u16_e32 vcc_lo, 11, v10
	s_cbranch_vccz .LBB312_583
; %bb.582:
	global_load_u8 v2, v[0:1], off
	s_mov_b32 s20, 0
	s_mov_b32 s0, -1
	s_waitcnt vmcnt(0)
	v_cmp_ne_u16_e32 vcc_lo, 0, v2
	v_cndmask_b32_e64 v2, 0, 1, vcc_lo
	s_branch .LBB312_584
.LBB312_583:
	s_mov_b32 s20, -1
                                        ; implicit-def: $vgpr2
.LBB312_584:
	s_mov_b32 s21, 0
.LBB312_585:
	s_delay_alu instid0(SALU_CYCLE_1)
	s_and_b32 vcc_lo, exec_lo, s21
	s_cbranch_vccz .LBB312_634
; %bb.586:
	v_cmp_gt_i16_e32 vcc_lo, 5, v10
	s_cbranch_vccnz .LBB312_591
; %bb.587:
	v_cmp_gt_i16_e32 vcc_lo, 8, v10
	s_cbranch_vccnz .LBB312_592
	;; [unrolled: 3-line block ×3, first 2 shown]
; %bb.589:
	v_cmp_lt_i16_e32 vcc_lo, 9, v10
	s_cbranch_vccz .LBB312_594
; %bb.590:
	global_load_b64 v[2:3], v[0:1], off
	s_mov_b32 s0, 0
	s_waitcnt vmcnt(0)
	v_cvt_i32_f64_e32 v2, v[2:3]
	s_branch .LBB312_595
.LBB312_591:
	s_mov_b32 s0, -1
                                        ; implicit-def: $vgpr2
	s_branch .LBB312_613
.LBB312_592:
	s_mov_b32 s0, -1
                                        ; implicit-def: $vgpr2
	s_branch .LBB312_601
.LBB312_593:
	s_mov_b32 s0, -1
                                        ; implicit-def: $vgpr2
	s_branch .LBB312_598
.LBB312_594:
	s_mov_b32 s0, -1
                                        ; implicit-def: $vgpr2
.LBB312_595:
	s_delay_alu instid0(SALU_CYCLE_1)
	s_and_not1_b32 vcc_lo, exec_lo, s0
	s_cbranch_vccnz .LBB312_597
; %bb.596:
	global_load_b32 v2, v[0:1], off
	s_waitcnt vmcnt(0)
	v_cvt_i32_f32_e32 v2, v2
.LBB312_597:
	s_mov_b32 s0, 0
.LBB312_598:
	s_delay_alu instid0(SALU_CYCLE_1)
	s_and_not1_b32 vcc_lo, exec_lo, s0
	s_cbranch_vccnz .LBB312_600
; %bb.599:
	global_load_b32 v2, v[0:1], off
	s_waitcnt vmcnt(0)
	v_cvt_i16_f16_e32 v2, v2
.LBB312_600:
	s_mov_b32 s0, 0
.LBB312_601:
	s_delay_alu instid0(SALU_CYCLE_1)
	s_and_not1_b32 vcc_lo, exec_lo, s0
	s_cbranch_vccnz .LBB312_612
; %bb.602:
	v_cmp_gt_i16_e32 vcc_lo, 6, v10
	s_cbranch_vccnz .LBB312_605
; %bb.603:
	v_cmp_lt_i16_e32 vcc_lo, 6, v10
	s_cbranch_vccz .LBB312_606
; %bb.604:
	global_load_b64 v[2:3], v[0:1], off
	s_mov_b32 s0, 0
	s_waitcnt vmcnt(0)
	v_cvt_i32_f64_e32 v2, v[2:3]
	s_branch .LBB312_607
.LBB312_605:
	s_mov_b32 s0, -1
                                        ; implicit-def: $vgpr2
	s_branch .LBB312_610
.LBB312_606:
	s_mov_b32 s0, -1
                                        ; implicit-def: $vgpr2
.LBB312_607:
	s_delay_alu instid0(SALU_CYCLE_1)
	s_and_not1_b32 vcc_lo, exec_lo, s0
	s_cbranch_vccnz .LBB312_609
; %bb.608:
	global_load_b32 v2, v[0:1], off
	s_waitcnt vmcnt(0)
	v_cvt_i32_f32_e32 v2, v2
.LBB312_609:
	s_mov_b32 s0, 0
.LBB312_610:
	s_delay_alu instid0(SALU_CYCLE_1)
	s_and_not1_b32 vcc_lo, exec_lo, s0
	s_cbranch_vccnz .LBB312_612
; %bb.611:
	global_load_u16 v2, v[0:1], off
	s_waitcnt vmcnt(0)
	v_cvt_i16_f16_e32 v2, v2
.LBB312_612:
	s_mov_b32 s0, 0
.LBB312_613:
	s_delay_alu instid0(SALU_CYCLE_1)
	s_and_not1_b32 vcc_lo, exec_lo, s0
	s_cbranch_vccnz .LBB312_633
; %bb.614:
	v_cmp_gt_i16_e32 vcc_lo, 2, v10
	s_cbranch_vccnz .LBB312_618
; %bb.615:
	v_cmp_gt_i16_e32 vcc_lo, 3, v10
	s_cbranch_vccnz .LBB312_619
; %bb.616:
	v_cmp_lt_i16_e32 vcc_lo, 3, v10
	s_cbranch_vccz .LBB312_620
; %bb.617:
	global_load_b64 v[2:3], v[0:1], off
	s_mov_b32 s0, 0
	s_branch .LBB312_621
.LBB312_618:
	s_mov_b32 s0, -1
                                        ; implicit-def: $vgpr2
	s_branch .LBB312_627
.LBB312_619:
	s_mov_b32 s0, -1
                                        ; implicit-def: $vgpr2
	s_branch .LBB312_624
.LBB312_620:
	s_mov_b32 s0, -1
                                        ; implicit-def: $vgpr2
.LBB312_621:
	s_delay_alu instid0(SALU_CYCLE_1)
	s_and_not1_b32 vcc_lo, exec_lo, s0
	s_cbranch_vccnz .LBB312_623
; %bb.622:
	global_load_b32 v2, v[0:1], off
.LBB312_623:
	s_mov_b32 s0, 0
.LBB312_624:
	s_delay_alu instid0(SALU_CYCLE_1)
	s_and_not1_b32 vcc_lo, exec_lo, s0
	s_cbranch_vccnz .LBB312_626
; %bb.625:
	global_load_u16 v2, v[0:1], off
.LBB312_626:
	s_mov_b32 s0, 0
.LBB312_627:
	s_delay_alu instid0(SALU_CYCLE_1)
	s_and_not1_b32 vcc_lo, exec_lo, s0
	s_cbranch_vccnz .LBB312_633
; %bb.628:
	v_cmp_lt_i16_e32 vcc_lo, 0, v10
	s_mov_b32 s0, 0
	s_cbranch_vccz .LBB312_630
; %bb.629:
	global_load_i8 v2, v[0:1], off
	s_branch .LBB312_631
.LBB312_630:
	s_mov_b32 s0, -1
                                        ; implicit-def: $vgpr2
.LBB312_631:
	s_delay_alu instid0(SALU_CYCLE_1)
	s_and_not1_b32 vcc_lo, exec_lo, s0
	s_cbranch_vccnz .LBB312_633
; %bb.632:
	global_load_u8 v2, v[0:1], off
.LBB312_633:
	s_mov_b32 s0, -1
.LBB312_634:
	s_delay_alu instid0(SALU_CYCLE_1)
	s_and_not1_b32 vcc_lo, exec_lo, s0
	s_cbranch_vccnz .LBB312_642
; %bb.635:
	v_mul_lo_u32 v0, v9, s8
	s_waitcnt vmcnt(0)
	s_delay_alu instid0(VALU_DEP_2) | instskip(SKIP_1) | instid1(VALU_DEP_2)
	v_max_i16 v1, v2, s10
	v_and_b32_e64 v3, 0xff, s11
	v_min_i16 v2, v1, s1
	s_delay_alu instid0(VALU_DEP_2) | instskip(SKIP_2) | instid1(VALU_DEP_1)
	v_cmp_gt_i16_e32 vcc_lo, 11, v3
	v_ashrrev_i32_e32 v1, 31, v0
	v_add_co_u32 v0, s0, s4, v0
	v_add_co_ci_u32_e64 v1, s0, s5, v1, s0
	s_cbranch_vccnz .LBB312_643
; %bb.636:
	v_cmp_lt_i16_e32 vcc_lo, 25, v3
	s_cbranch_vccz .LBB312_644
; %bb.637:
	v_cmp_lt_i16_e32 vcc_lo, 28, v3
	s_cbranch_vccz .LBB312_645
	;; [unrolled: 3-line block ×4, first 2 shown]
; %bb.640:
	v_cmp_eq_u16_e32 vcc_lo, 46, v3
	s_mov_b32 s22, 0
	s_mov_b32 s0, -1
	s_mov_b32 s21, 0
	s_cbranch_vccz .LBB312_648
; %bb.641:
	v_bfe_i32 v4, v2, 0, 16
	s_mov_b32 s21, -1
	s_mov_b32 s0, 0
	s_delay_alu instid0(VALU_DEP_1) | instskip(NEXT) | instid1(VALU_DEP_1)
	v_cvt_f32_i32_e32 v4, v4
	v_bfe_u32 v5, v4, 16, 1
	s_delay_alu instid0(VALU_DEP_1) | instskip(NEXT) | instid1(VALU_DEP_1)
	v_add3_u32 v4, v4, v5, 0x7fff
	v_lshrrev_b32_e32 v4, 16, v4
	global_store_b32 v[0:1], v4, off
	s_branch .LBB312_648
.LBB312_642:
	s_mov_b32 s22, 0
	s_mov_b32 s0, s17
	s_branch .LBB312_759
.LBB312_643:
	s_mov_b32 s22, -1
	s_mov_b32 s21, 0
	s_mov_b32 s0, s17
	s_branch .LBB312_717
.LBB312_644:
	s_mov_b32 s22, -1
	s_mov_b32 s21, 0
	s_mov_b32 s0, s17
	s_branch .LBB312_675
.LBB312_645:
	s_mov_b32 s22, -1
	s_mov_b32 s21, 0
	s_mov_b32 s0, s17
	s_branch .LBB312_658
.LBB312_646:
	s_mov_b32 s22, -1
	s_mov_b32 s21, 0
	s_mov_b32 s0, s17
	s_branch .LBB312_654
.LBB312_647:
	s_mov_b32 s22, -1
	s_mov_b32 s21, 0
	s_mov_b32 s0, s17
.LBB312_648:
	s_and_b32 vcc_lo, exec_lo, s22
	s_cbranch_vccz .LBB312_653
; %bb.649:
	v_cmp_eq_u16_e32 vcc_lo, 44, v3
	s_mov_b32 s0, -1
	s_cbranch_vccz .LBB312_653
; %bb.650:
	v_bfe_i32 v4, v2, 0, 16
	v_mov_b32_e32 v5, 0xff
	s_mov_b32 s21, exec_lo
	s_delay_alu instid0(VALU_DEP_2) | instskip(NEXT) | instid1(VALU_DEP_1)
	v_cvt_f32_i32_e32 v4, v4
	v_bfe_u32 v6, v4, 23, 8
	s_delay_alu instid0(VALU_DEP_1)
	v_cmpx_ne_u32_e32 0xff, v6
; %bb.651:
	v_and_b32_e32 v5, 0x400000, v4
	v_and_or_b32 v6, 0x3fffff, v4, v6
	v_lshrrev_b32_e32 v4, 23, v4
	s_delay_alu instid0(VALU_DEP_3) | instskip(NEXT) | instid1(VALU_DEP_3)
	v_cmp_ne_u32_e32 vcc_lo, 0, v5
	v_cmp_ne_u32_e64 s0, 0, v6
	s_delay_alu instid0(VALU_DEP_1) | instskip(NEXT) | instid1(SALU_CYCLE_1)
	s_and_b32 s0, vcc_lo, s0
	v_cndmask_b32_e64 v5, 0, 1, s0
	s_delay_alu instid0(VALU_DEP_1)
	v_add_nc_u32_e32 v5, v4, v5
; %bb.652:
	s_or_b32 exec_lo, exec_lo, s21
	s_mov_b32 s21, -1
	s_mov_b32 s0, 0
	global_store_b8 v[0:1], v5, off
.LBB312_653:
	s_mov_b32 s22, 0
.LBB312_654:
	s_delay_alu instid0(SALU_CYCLE_1)
	s_and_b32 vcc_lo, exec_lo, s22
	s_cbranch_vccz .LBB312_657
; %bb.655:
	v_cmp_eq_u16_e32 vcc_lo, 29, v3
	s_mov_b32 s0, -1
	s_cbranch_vccz .LBB312_657
; %bb.656:
	v_bfe_i32 v4, v2, 0, 16
	s_mov_b32 s0, 0
	s_mov_b32 s21, -1
	s_mov_b32 s22, 0
	s_delay_alu instid0(VALU_DEP_1)
	v_ashrrev_i32_e32 v5, 31, v4
	global_store_b64 v[0:1], v[4:5], off
	s_branch .LBB312_658
.LBB312_657:
	s_mov_b32 s22, 0
.LBB312_658:
	s_delay_alu instid0(SALU_CYCLE_1)
	s_and_b32 vcc_lo, exec_lo, s22
	s_cbranch_vccz .LBB312_674
; %bb.659:
	v_cmp_gt_i16_e32 vcc_lo, 27, v3
	s_mov_b32 s21, -1
	s_cbranch_vccnz .LBB312_665
; %bb.660:
	v_cmp_lt_i16_e32 vcc_lo, 27, v3
	s_cbranch_vccz .LBB312_662
; %bb.661:
	v_bfe_i32 v4, v2, 0, 16
	s_mov_b32 s21, 0
	global_store_b32 v[0:1], v4, off
.LBB312_662:
	s_and_not1_b32 vcc_lo, exec_lo, s21
	s_cbranch_vccnz .LBB312_664
; %bb.663:
	global_store_b16 v[0:1], v2, off
.LBB312_664:
	s_mov_b32 s21, 0
.LBB312_665:
	s_delay_alu instid0(SALU_CYCLE_1)
	s_and_not1_b32 vcc_lo, exec_lo, s21
	s_cbranch_vccnz .LBB312_673
; %bb.666:
	v_bfe_i32 v4, v2, 0, 16
	v_mov_b32_e32 v6, 0x80
	s_mov_b32 s21, exec_lo
	s_delay_alu instid0(VALU_DEP_2) | instskip(NEXT) | instid1(VALU_DEP_1)
	v_cvt_f32_i32_e32 v4, v4
	v_and_b32_e32 v5, 0x7fffffff, v4
	s_delay_alu instid0(VALU_DEP_1)
	v_cmpx_gt_u32_e32 0x43800000, v5
	s_cbranch_execz .LBB312_672
; %bb.667:
	v_cmp_lt_u32_e32 vcc_lo, 0x3bffffff, v5
	s_mov_b32 s22, 0
                                        ; implicit-def: $vgpr5
	s_and_saveexec_b32 s23, vcc_lo
	s_delay_alu instid0(SALU_CYCLE_1)
	s_xor_b32 s23, exec_lo, s23
	s_cbranch_execz .LBB312_774
; %bb.668:
	v_bfe_u32 v5, v4, 20, 1
	s_mov_b32 s22, exec_lo
	s_delay_alu instid0(VALU_DEP_1) | instskip(NEXT) | instid1(VALU_DEP_1)
	v_add3_u32 v5, v4, v5, 0x487ffff
	v_lshrrev_b32_e32 v5, 20, v5
	s_or_saveexec_b32 s23, s23
                                        ; implicit-def: $sgpr24
	s_delay_alu instid0(SALU_CYCLE_1)
	s_xor_b32 exec_lo, exec_lo, s23
	s_cbranch_execnz .LBB312_775
.LBB312_669:
	s_or_b32 exec_lo, exec_lo, s23
	v_mov_b32_e32 v6, s24
	s_and_saveexec_b32 s23, s22
.LBB312_670:
	v_lshrrev_b32_e32 v4, 24, v4
	s_delay_alu instid0(VALU_DEP_1)
	v_and_or_b32 v6, 0x80, v4, v5
.LBB312_671:
	s_or_b32 exec_lo, exec_lo, s23
.LBB312_672:
	s_delay_alu instid0(SALU_CYCLE_1)
	s_or_b32 exec_lo, exec_lo, s21
	global_store_b8 v[0:1], v6, off
.LBB312_673:
	s_mov_b32 s21, -1
.LBB312_674:
	s_mov_b32 s22, 0
.LBB312_675:
	s_delay_alu instid0(SALU_CYCLE_1)
	s_and_b32 vcc_lo, exec_lo, s22
	s_cbranch_vccz .LBB312_716
; %bb.676:
	v_cmp_lt_i16_e32 vcc_lo, 22, v3
	s_mov_b32 s22, -1
	s_cbranch_vccz .LBB312_708
; %bb.677:
	v_cmp_gt_i16_e32 vcc_lo, 24, v3
	s_mov_b32 s21, -1
	s_cbranch_vccnz .LBB312_697
; %bb.678:
	v_cmp_lt_i16_e32 vcc_lo, 24, v3
	s_cbranch_vccz .LBB312_686
; %bb.679:
	v_bfe_i32 v4, v2, 0, 16
	v_mov_b32_e32 v6, 0x80
	s_mov_b32 s21, exec_lo
	s_delay_alu instid0(VALU_DEP_2) | instskip(NEXT) | instid1(VALU_DEP_1)
	v_cvt_f32_i32_e32 v4, v4
	v_and_b32_e32 v5, 0x7fffffff, v4
	s_delay_alu instid0(VALU_DEP_1)
	v_cmpx_gt_u32_e32 0x47800000, v5
	s_cbranch_execz .LBB312_685
; %bb.680:
	v_cmp_lt_u32_e32 vcc_lo, 0x37ffffff, v5
	s_mov_b32 s22, 0
                                        ; implicit-def: $vgpr5
	s_and_saveexec_b32 s23, vcc_lo
	s_delay_alu instid0(SALU_CYCLE_1)
	s_xor_b32 s23, exec_lo, s23
	s_cbranch_execz .LBB312_777
; %bb.681:
	v_bfe_u32 v5, v4, 21, 1
	s_mov_b32 s22, exec_lo
	s_delay_alu instid0(VALU_DEP_1) | instskip(NEXT) | instid1(VALU_DEP_1)
	v_add3_u32 v5, v4, v5, 0x88fffff
	v_lshrrev_b32_e32 v5, 21, v5
	s_or_saveexec_b32 s23, s23
                                        ; implicit-def: $sgpr24
	s_delay_alu instid0(SALU_CYCLE_1)
	s_xor_b32 exec_lo, exec_lo, s23
	s_cbranch_execnz .LBB312_778
.LBB312_682:
	s_or_b32 exec_lo, exec_lo, s23
	v_mov_b32_e32 v6, s24
	s_and_saveexec_b32 s23, s22
.LBB312_683:
	v_lshrrev_b32_e32 v4, 24, v4
	s_delay_alu instid0(VALU_DEP_1)
	v_and_or_b32 v6, 0x80, v4, v5
.LBB312_684:
	s_or_b32 exec_lo, exec_lo, s23
.LBB312_685:
	s_delay_alu instid0(SALU_CYCLE_1)
	s_or_b32 exec_lo, exec_lo, s21
	s_mov_b32 s21, 0
	global_store_b8 v[0:1], v6, off
.LBB312_686:
	s_and_b32 vcc_lo, exec_lo, s21
	s_cbranch_vccz .LBB312_696
; %bb.687:
	v_bfe_i32 v4, v2, 0, 16
	s_mov_b32 s21, exec_lo
                                        ; implicit-def: $vgpr5
	s_delay_alu instid0(VALU_DEP_1) | instskip(NEXT) | instid1(VALU_DEP_1)
	v_cvt_f32_i32_e32 v4, v4
	v_and_b32_e32 v6, 0x7fffffff, v4
	s_delay_alu instid0(VALU_DEP_1)
	v_cmpx_gt_u32_e32 0x43f00000, v6
	s_xor_b32 s21, exec_lo, s21
	s_cbranch_execz .LBB312_693
; %bb.688:
	s_mov_b32 s22, exec_lo
                                        ; implicit-def: $vgpr5
	v_cmpx_lt_u32_e32 0x3c7fffff, v6
	s_xor_b32 s22, exec_lo, s22
; %bb.689:
	v_bfe_u32 v5, v4, 20, 1
	s_delay_alu instid0(VALU_DEP_1) | instskip(NEXT) | instid1(VALU_DEP_1)
	v_add3_u32 v5, v4, v5, 0x407ffff
	v_and_b32_e32 v6, 0xff00000, v5
	v_lshrrev_b32_e32 v5, 20, v5
	s_delay_alu instid0(VALU_DEP_2) | instskip(NEXT) | instid1(VALU_DEP_2)
	v_cmp_ne_u32_e32 vcc_lo, 0x7f00000, v6
	v_cndmask_b32_e32 v5, 0x7e, v5, vcc_lo
; %bb.690:
	s_and_not1_saveexec_b32 s22, s22
; %bb.691:
	v_add_f32_e64 v5, 0x46800000, |v4|
; %bb.692:
	s_or_b32 exec_lo, exec_lo, s22
                                        ; implicit-def: $vgpr6
.LBB312_693:
	s_and_not1_saveexec_b32 s21, s21
; %bb.694:
	v_mov_b32_e32 v5, 0x7f
	v_cmp_lt_u32_e32 vcc_lo, 0x7f800000, v6
	s_delay_alu instid0(VALU_DEP_2)
	v_cndmask_b32_e32 v5, 0x7e, v5, vcc_lo
; %bb.695:
	s_or_b32 exec_lo, exec_lo, s21
	v_lshrrev_b32_e32 v4, 24, v4
	s_delay_alu instid0(VALU_DEP_1)
	v_and_or_b32 v4, 0x80, v4, v5
	global_store_b8 v[0:1], v4, off
.LBB312_696:
	s_mov_b32 s21, 0
.LBB312_697:
	s_delay_alu instid0(SALU_CYCLE_1)
	s_and_not1_b32 vcc_lo, exec_lo, s21
	s_cbranch_vccnz .LBB312_707
; %bb.698:
	v_bfe_i32 v4, v2, 0, 16
	s_mov_b32 s21, exec_lo
                                        ; implicit-def: $vgpr5
	s_delay_alu instid0(VALU_DEP_1) | instskip(NEXT) | instid1(VALU_DEP_1)
	v_cvt_f32_i32_e32 v4, v4
	v_and_b32_e32 v6, 0x7fffffff, v4
	s_delay_alu instid0(VALU_DEP_1)
	v_cmpx_gt_u32_e32 0x47800000, v6
	s_xor_b32 s21, exec_lo, s21
	s_cbranch_execz .LBB312_704
; %bb.699:
	s_mov_b32 s22, exec_lo
                                        ; implicit-def: $vgpr5
	v_cmpx_lt_u32_e32 0x387fffff, v6
	s_xor_b32 s22, exec_lo, s22
; %bb.700:
	v_bfe_u32 v5, v4, 21, 1
	s_delay_alu instid0(VALU_DEP_1) | instskip(NEXT) | instid1(VALU_DEP_1)
	v_add3_u32 v5, v4, v5, 0x80fffff
	v_lshrrev_b32_e32 v5, 21, v5
; %bb.701:
	s_and_not1_saveexec_b32 s22, s22
; %bb.702:
	v_add_f32_e64 v5, 0x43000000, |v4|
; %bb.703:
	s_or_b32 exec_lo, exec_lo, s22
                                        ; implicit-def: $vgpr6
.LBB312_704:
	s_and_not1_saveexec_b32 s21, s21
; %bb.705:
	v_mov_b32_e32 v5, 0x7f
	v_cmp_lt_u32_e32 vcc_lo, 0x7f800000, v6
	s_delay_alu instid0(VALU_DEP_2)
	v_cndmask_b32_e32 v5, 0x7c, v5, vcc_lo
; %bb.706:
	s_or_b32 exec_lo, exec_lo, s21
	v_lshrrev_b32_e32 v4, 24, v4
	s_delay_alu instid0(VALU_DEP_1)
	v_and_or_b32 v4, 0x80, v4, v5
	global_store_b8 v[0:1], v4, off
.LBB312_707:
	s_mov_b32 s22, 0
	s_mov_b32 s21, -1
.LBB312_708:
	s_and_not1_b32 vcc_lo, exec_lo, s22
	s_cbranch_vccnz .LBB312_716
; %bb.709:
	v_cmp_lt_i16_e32 vcc_lo, 14, v3
	s_mov_b32 s22, -1
	s_cbranch_vccz .LBB312_713
; %bb.710:
	v_cmp_eq_u16_e32 vcc_lo, 15, v3
	s_mov_b32 s0, -1
	s_cbranch_vccz .LBB312_712
; %bb.711:
	v_bfe_i32 v4, v2, 0, 16
	s_mov_b32 s21, -1
	s_mov_b32 s0, 0
	s_delay_alu instid0(VALU_DEP_1) | instskip(NEXT) | instid1(VALU_DEP_1)
	v_cvt_f32_i32_e32 v4, v4
	v_bfe_u32 v5, v4, 16, 1
	s_delay_alu instid0(VALU_DEP_1)
	v_add3_u32 v4, v4, v5, 0x7fff
	global_store_d16_hi_b16 v[0:1], v4, off
.LBB312_712:
	s_mov_b32 s22, 0
.LBB312_713:
	s_delay_alu instid0(SALU_CYCLE_1)
	s_and_b32 vcc_lo, exec_lo, s22
	s_cbranch_vccz .LBB312_716
; %bb.714:
	v_cmp_eq_u16_e32 vcc_lo, 11, v3
	s_mov_b32 s0, -1
	s_cbranch_vccz .LBB312_716
; %bb.715:
	v_cmp_ne_u16_e32 vcc_lo, 0, v2
	s_mov_b32 s0, 0
	s_mov_b32 s21, -1
	v_cndmask_b32_e64 v4, 0, 1, vcc_lo
	global_store_b8 v[0:1], v4, off
.LBB312_716:
	s_mov_b32 s22, 0
.LBB312_717:
	s_delay_alu instid0(SALU_CYCLE_1)
	s_and_b32 vcc_lo, exec_lo, s22
	s_cbranch_vccz .LBB312_756
; %bb.718:
	v_cmp_gt_i16_e32 vcc_lo, 5, v3
	s_mov_b32 s21, -1
	s_cbranch_vccnz .LBB312_739
; %bb.719:
	v_cmp_gt_i16_e32 vcc_lo, 8, v3
	s_cbranch_vccnz .LBB312_729
; %bb.720:
	v_cmp_gt_i16_e32 vcc_lo, 9, v3
	s_cbranch_vccnz .LBB312_726
; %bb.721:
	v_cmp_lt_i16_e32 vcc_lo, 9, v3
	s_cbranch_vccz .LBB312_723
; %bb.722:
	v_bfe_i32 v4, v2, 0, 16
	v_mov_b32_e32 v6, 0
	s_mov_b32 s21, 0
	s_delay_alu instid0(VALU_DEP_2) | instskip(NEXT) | instid1(VALU_DEP_2)
	v_cvt_f64_i32_e32 v[4:5], v4
	v_mov_b32_e32 v7, v6
	global_store_b128 v[0:1], v[4:7], off
.LBB312_723:
	s_and_not1_b32 vcc_lo, exec_lo, s21
	s_cbranch_vccnz .LBB312_725
; %bb.724:
	v_bfe_i32 v4, v2, 0, 16
	v_mov_b32_e32 v5, 0
	s_delay_alu instid0(VALU_DEP_2)
	v_cvt_f32_i32_e32 v4, v4
	global_store_b64 v[0:1], v[4:5], off
.LBB312_725:
	s_mov_b32 s21, 0
.LBB312_726:
	s_delay_alu instid0(SALU_CYCLE_1)
	s_and_not1_b32 vcc_lo, exec_lo, s21
	s_cbranch_vccnz .LBB312_728
; %bb.727:
	v_cvt_f16_i16_e32 v4, v2
	s_delay_alu instid0(VALU_DEP_1)
	v_and_b32_e32 v4, 0xffff, v4
	global_store_b32 v[0:1], v4, off
.LBB312_728:
	s_mov_b32 s21, 0
.LBB312_729:
	s_delay_alu instid0(SALU_CYCLE_1)
	s_and_not1_b32 vcc_lo, exec_lo, s21
	s_cbranch_vccnz .LBB312_738
; %bb.730:
	v_cmp_gt_i16_e32 vcc_lo, 6, v3
	s_mov_b32 s21, -1
	s_cbranch_vccnz .LBB312_736
; %bb.731:
	v_cmp_lt_i16_e32 vcc_lo, 6, v3
	s_cbranch_vccz .LBB312_733
; %bb.732:
	v_bfe_i32 v4, v2, 0, 16
	s_mov_b32 s21, 0
	s_delay_alu instid0(VALU_DEP_1)
	v_cvt_f64_i32_e32 v[4:5], v4
	global_store_b64 v[0:1], v[4:5], off
.LBB312_733:
	s_and_not1_b32 vcc_lo, exec_lo, s21
	s_cbranch_vccnz .LBB312_735
; %bb.734:
	v_bfe_i32 v4, v2, 0, 16
	s_delay_alu instid0(VALU_DEP_1)
	v_cvt_f32_i32_e32 v4, v4
	global_store_b32 v[0:1], v4, off
.LBB312_735:
	s_mov_b32 s21, 0
.LBB312_736:
	s_delay_alu instid0(SALU_CYCLE_1)
	s_and_not1_b32 vcc_lo, exec_lo, s21
	s_cbranch_vccnz .LBB312_738
; %bb.737:
	v_cvt_f16_i16_e32 v4, v2
	global_store_b16 v[0:1], v4, off
.LBB312_738:
	s_mov_b32 s21, 0
.LBB312_739:
	s_delay_alu instid0(SALU_CYCLE_1)
	s_and_not1_b32 vcc_lo, exec_lo, s21
	s_cbranch_vccnz .LBB312_755
; %bb.740:
	v_cmp_gt_i16_e32 vcc_lo, 2, v3
	s_mov_b32 s21, -1
	s_cbranch_vccnz .LBB312_750
; %bb.741:
	v_cmp_gt_i16_e32 vcc_lo, 3, v3
	s_cbranch_vccnz .LBB312_747
; %bb.742:
	v_cmp_lt_i16_e32 vcc_lo, 3, v3
	s_cbranch_vccz .LBB312_744
; %bb.743:
	v_bfe_i32 v4, v2, 0, 16
	s_mov_b32 s21, 0
	s_delay_alu instid0(VALU_DEP_1)
	v_ashrrev_i32_e32 v5, 31, v4
	global_store_b64 v[0:1], v[4:5], off
.LBB312_744:
	s_and_not1_b32 vcc_lo, exec_lo, s21
	s_cbranch_vccnz .LBB312_746
; %bb.745:
	v_bfe_i32 v4, v2, 0, 16
	global_store_b32 v[0:1], v4, off
.LBB312_746:
	s_mov_b32 s21, 0
.LBB312_747:
	s_delay_alu instid0(SALU_CYCLE_1)
	s_and_not1_b32 vcc_lo, exec_lo, s21
	s_cbranch_vccnz .LBB312_749
; %bb.748:
	global_store_b16 v[0:1], v2, off
.LBB312_749:
	s_mov_b32 s21, 0
.LBB312_750:
	s_delay_alu instid0(SALU_CYCLE_1)
	s_and_not1_b32 vcc_lo, exec_lo, s21
	s_cbranch_vccnz .LBB312_755
; %bb.751:
	v_cmp_lt_i16_e32 vcc_lo, 0, v3
	s_mov_b32 s21, -1
	s_cbranch_vccz .LBB312_753
; %bb.752:
	s_mov_b32 s21, 0
	global_store_b8 v[0:1], v2, off
.LBB312_753:
	s_and_not1_b32 vcc_lo, exec_lo, s21
	s_cbranch_vccnz .LBB312_755
; %bb.754:
	global_store_b8 v[0:1], v2, off
.LBB312_755:
	s_mov_b32 s21, -1
.LBB312_756:
	s_delay_alu instid0(SALU_CYCLE_1)
	s_and_not1_b32 vcc_lo, exec_lo, s21
	s_cbranch_vccnz .LBB312_758
; %bb.757:
	v_add_nc_u32_e32 v9, 0x80, v9
	s_mov_b32 s22, -1
	s_branch .LBB312_760
.LBB312_758:
	s_mov_b32 s22, 0
.LBB312_759:
                                        ; implicit-def: $vgpr9
.LBB312_760:
	s_and_not1_b32 s21, s17, exec_lo
	s_and_b32 s0, s0, exec_lo
	s_and_not1_b32 s23, s16, exec_lo
	s_and_b32 s20, s20, exec_lo
	s_or_b32 s21, s21, s0
	s_or_b32 s20, s23, s20
	s_or_not1_b32 s0, s22, exec_lo
.LBB312_761:
	s_or_b32 exec_lo, exec_lo, s19
	s_mov_b32 s22, 0
	s_mov_b32 s23, 0
	;; [unrolled: 1-line block ×3, first 2 shown]
                                        ; implicit-def: $vgpr0_vgpr1
                                        ; implicit-def: $vgpr2
	s_and_saveexec_b32 s19, s0
	s_cbranch_execz .LBB312_842
; %bb.762:
	v_cmp_gt_i32_e32 vcc_lo, s13, v9
	s_mov_b32 s0, 0
	s_mov_b32 s22, s20
                                        ; implicit-def: $vgpr0_vgpr1
                                        ; implicit-def: $vgpr2
	s_and_saveexec_b32 s13, vcc_lo
	s_cbranch_execz .LBB312_841
; %bb.763:
	v_mul_lo_u32 v0, v9, s9
	v_cmp_gt_i16_e32 vcc_lo, 11, v10
	s_delay_alu instid0(VALU_DEP_2) | instskip(SKIP_1) | instid1(VALU_DEP_1)
	v_ashrrev_i32_e32 v1, 31, v0
	v_add_co_u32 v0, s0, s6, v0
	v_add_co_ci_u32_e64 v1, s0, s7, v1, s0
	s_cbranch_vccnz .LBB312_770
; %bb.764:
	v_cmp_lt_i16_e32 vcc_lo, 25, v10
	s_mov_b32 s22, 0
	s_cbranch_vccz .LBB312_771
; %bb.765:
	v_cmp_lt_i16_e32 vcc_lo, 28, v10
	s_cbranch_vccz .LBB312_772
; %bb.766:
	v_cmp_lt_i16_e32 vcc_lo, 43, v10
	;; [unrolled: 3-line block ×3, first 2 shown]
	s_cbranch_vccz .LBB312_776
; %bb.768:
	v_cmp_eq_u16_e32 vcc_lo, 46, v10
	s_cbranch_vccz .LBB312_779
; %bb.769:
	global_load_b32 v2, v[0:1], off
	s_mov_b32 s0, 0
	s_mov_b32 s23, -1
	s_waitcnt vmcnt(0)
	v_lshlrev_b32_e32 v2, 16, v2
	s_delay_alu instid0(VALU_DEP_1)
	v_cvt_i32_f32_e32 v2, v2
	s_branch .LBB312_781
.LBB312_770:
	s_mov_b32 s25, -1
	s_mov_b32 s22, 0
	s_mov_b32 s0, s20
                                        ; implicit-def: $vgpr2
	s_branch .LBB312_840
.LBB312_771:
	s_mov_b32 s24, -1
	s_mov_b32 s0, s20
                                        ; implicit-def: $vgpr2
	s_branch .LBB312_808
.LBB312_772:
	s_mov_b32 s24, -1
	s_mov_b32 s0, s20
                                        ; implicit-def: $vgpr2
	s_branch .LBB312_791
.LBB312_773:
	s_mov_b32 s24, -1
	s_mov_b32 s0, s20
                                        ; implicit-def: $vgpr2
	s_branch .LBB312_786
.LBB312_774:
	s_or_saveexec_b32 s23, s23
                                        ; implicit-def: $sgpr24
	s_delay_alu instid0(SALU_CYCLE_1)
	s_xor_b32 exec_lo, exec_lo, s23
	s_cbranch_execz .LBB312_669
.LBB312_775:
	v_add_f32_e64 v5, 0x46000000, |v4|
	s_and_not1_b32 s22, s22, exec_lo
	s_mov_b32 s24, 0
	s_delay_alu instid0(VALU_DEP_1) | instskip(NEXT) | instid1(VALU_DEP_1)
	v_and_b32_e32 v5, 0xff, v5
	v_cmp_ne_u32_e32 vcc_lo, 0, v5
	s_and_b32 s25, vcc_lo, exec_lo
	s_delay_alu instid0(SALU_CYCLE_1)
	s_or_b32 s22, s22, s25
	s_or_b32 exec_lo, exec_lo, s23
	v_mov_b32_e32 v6, s24
	s_and_saveexec_b32 s23, s22
	s_cbranch_execnz .LBB312_670
	s_branch .LBB312_671
.LBB312_776:
	s_mov_b32 s24, -1
	s_mov_b32 s0, s20
	s_branch .LBB312_780
.LBB312_777:
	s_or_saveexec_b32 s23, s23
                                        ; implicit-def: $sgpr24
	s_delay_alu instid0(SALU_CYCLE_1)
	s_xor_b32 exec_lo, exec_lo, s23
	s_cbranch_execz .LBB312_682
.LBB312_778:
	v_add_f32_e64 v5, 0x42800000, |v4|
	s_and_not1_b32 s22, s22, exec_lo
	s_mov_b32 s24, 0
	s_delay_alu instid0(VALU_DEP_1) | instskip(NEXT) | instid1(VALU_DEP_1)
	v_and_b32_e32 v5, 0xff, v5
	v_cmp_ne_u32_e32 vcc_lo, 0, v5
	s_and_b32 s25, vcc_lo, exec_lo
	s_delay_alu instid0(SALU_CYCLE_1)
	s_or_b32 s22, s22, s25
	s_or_b32 exec_lo, exec_lo, s23
	v_mov_b32_e32 v6, s24
	s_and_saveexec_b32 s23, s22
	s_cbranch_execnz .LBB312_683
	s_branch .LBB312_684
.LBB312_779:
	s_mov_b32 s0, -1
.LBB312_780:
                                        ; implicit-def: $vgpr2
.LBB312_781:
	s_and_b32 vcc_lo, exec_lo, s24
	s_cbranch_vccz .LBB312_785
; %bb.782:
	v_cmp_eq_u16_e32 vcc_lo, 44, v10
	s_cbranch_vccz .LBB312_784
; %bb.783:
	global_load_u8 v2, v[0:1], off
	s_mov_b32 s0, 0
	s_mov_b32 s23, -1
	s_waitcnt vmcnt(0)
	v_lshlrev_b32_e32 v3, 23, v2
	v_cmp_ne_u32_e32 vcc_lo, 0, v2
	s_delay_alu instid0(VALU_DEP_2) | instskip(NEXT) | instid1(VALU_DEP_1)
	v_cvt_i32_f32_e32 v3, v3
	v_cndmask_b32_e32 v2, 0, v3, vcc_lo
	s_branch .LBB312_785
.LBB312_784:
	s_mov_b32 s0, -1
                                        ; implicit-def: $vgpr2
.LBB312_785:
	s_mov_b32 s24, 0
.LBB312_786:
	s_delay_alu instid0(SALU_CYCLE_1)
	s_and_b32 vcc_lo, exec_lo, s24
	s_cbranch_vccz .LBB312_790
; %bb.787:
	v_cmp_eq_u16_e32 vcc_lo, 29, v10
	s_cbranch_vccz .LBB312_789
; %bb.788:
	global_load_b64 v[2:3], v[0:1], off
	s_mov_b32 s0, 0
	s_mov_b32 s23, -1
	s_branch .LBB312_790
.LBB312_789:
	s_mov_b32 s0, -1
                                        ; implicit-def: $vgpr2
.LBB312_790:
	s_mov_b32 s24, 0
.LBB312_791:
	s_delay_alu instid0(SALU_CYCLE_1)
	s_and_b32 vcc_lo, exec_lo, s24
	s_cbranch_vccz .LBB312_807
; %bb.792:
	v_cmp_gt_i16_e32 vcc_lo, 27, v10
	s_cbranch_vccnz .LBB312_795
; %bb.793:
	v_cmp_lt_i16_e32 vcc_lo, 27, v10
	s_cbranch_vccz .LBB312_796
; %bb.794:
	global_load_b32 v2, v[0:1], off
	s_mov_b32 s23, 0
	s_branch .LBB312_797
.LBB312_795:
	s_mov_b32 s23, -1
                                        ; implicit-def: $vgpr2
	s_branch .LBB312_800
.LBB312_796:
	s_mov_b32 s23, -1
                                        ; implicit-def: $vgpr2
.LBB312_797:
	s_delay_alu instid0(SALU_CYCLE_1)
	s_and_not1_b32 vcc_lo, exec_lo, s23
	s_cbranch_vccnz .LBB312_799
; %bb.798:
	global_load_u16 v2, v[0:1], off
.LBB312_799:
	s_mov_b32 s23, 0
.LBB312_800:
	s_delay_alu instid0(SALU_CYCLE_1)
	s_and_not1_b32 vcc_lo, exec_lo, s23
	s_cbranch_vccnz .LBB312_806
; %bb.801:
	global_load_u8 v3, v[0:1], off
	s_mov_b32 s23, 0
	s_mov_b32 s24, exec_lo
                                        ; implicit-def: $sgpr25
	s_waitcnt vmcnt(0)
	v_cmpx_lt_i16_e32 0x7f, v3
	s_xor_b32 s24, exec_lo, s24
	s_cbranch_execz .LBB312_818
; %bb.802:
	v_cmp_ne_u16_e32 vcc_lo, 0x80, v3
	s_mov_b32 s25, 0
	s_and_b32 s23, vcc_lo, exec_lo
	s_or_saveexec_b32 s24, s24
	v_mov_b32_e32 v2, s25
	s_xor_b32 exec_lo, exec_lo, s24
	s_cbranch_execnz .LBB312_819
.LBB312_803:
	s_or_b32 exec_lo, exec_lo, s24
	s_and_saveexec_b32 s24, s23
	s_cbranch_execz .LBB312_805
.LBB312_804:
	v_and_b32_e32 v2, 0xffff, v3
	s_delay_alu instid0(VALU_DEP_1) | instskip(NEXT) | instid1(VALU_DEP_1)
	v_and_b32_e32 v4, 7, v2
	v_clz_i32_u32_e32 v5, v4
	s_delay_alu instid0(VALU_DEP_1) | instskip(NEXT) | instid1(VALU_DEP_1)
	v_min_u32_e32 v5, 32, v5
	v_subrev_nc_u32_e32 v6, 28, v5
	v_sub_nc_u32_e32 v5, 29, v5
	s_delay_alu instid0(VALU_DEP_2) | instskip(SKIP_1) | instid1(VALU_DEP_2)
	v_lshlrev_b32_e32 v6, v6, v2
	v_bfe_u32 v2, v2, 3, 4
	v_and_b32_e32 v6, 7, v6
	s_delay_alu instid0(VALU_DEP_2) | instskip(SKIP_1) | instid1(VALU_DEP_1)
	v_cmp_eq_u32_e32 vcc_lo, 0, v2
	v_dual_cndmask_b32 v2, v2, v5 :: v_dual_lshlrev_b32 v3, 24, v3
	v_dual_cndmask_b32 v4, v4, v6 :: v_dual_and_b32 v3, 0x80000000, v3
	s_delay_alu instid0(VALU_DEP_2) | instskip(NEXT) | instid1(VALU_DEP_2)
	v_lshl_add_u32 v2, v2, 23, 0x3b800000
	v_lshlrev_b32_e32 v4, 20, v4
	s_delay_alu instid0(VALU_DEP_1) | instskip(NEXT) | instid1(VALU_DEP_1)
	v_or3_b32 v2, v3, v2, v4
	v_cvt_i32_f32_e32 v2, v2
.LBB312_805:
	s_or_b32 exec_lo, exec_lo, s24
.LBB312_806:
	s_mov_b32 s23, -1
.LBB312_807:
	s_mov_b32 s24, 0
.LBB312_808:
	s_delay_alu instid0(SALU_CYCLE_1)
	s_and_b32 vcc_lo, exec_lo, s24
	s_cbranch_vccz .LBB312_839
; %bb.809:
	v_cmp_lt_i16_e32 vcc_lo, 22, v10
	s_cbranch_vccz .LBB312_817
; %bb.810:
	v_cmp_gt_i16_e32 vcc_lo, 24, v10
	s_cbranch_vccnz .LBB312_820
; %bb.811:
	v_cmp_lt_i16_e32 vcc_lo, 24, v10
	s_cbranch_vccz .LBB312_821
; %bb.812:
	global_load_u8 v3, v[0:1], off
	s_mov_b32 s23, exec_lo
                                        ; implicit-def: $sgpr24
	s_waitcnt vmcnt(0)
	v_cmpx_lt_i16_e32 0x7f, v3
	s_xor_b32 s23, exec_lo, s23
	s_cbranch_execz .LBB312_833
; %bb.813:
	v_cmp_ne_u16_e32 vcc_lo, 0x80, v3
	s_mov_b32 s24, 0
	s_and_b32 s22, vcc_lo, exec_lo
	s_or_saveexec_b32 s23, s23
	v_mov_b32_e32 v2, s24
	s_xor_b32 exec_lo, exec_lo, s23
	s_cbranch_execnz .LBB312_834
.LBB312_814:
	s_or_b32 exec_lo, exec_lo, s23
	s_and_saveexec_b32 s23, s22
	s_cbranch_execz .LBB312_816
.LBB312_815:
	v_and_b32_e32 v2, 0xffff, v3
	s_delay_alu instid0(VALU_DEP_1) | instskip(NEXT) | instid1(VALU_DEP_1)
	v_and_b32_e32 v4, 3, v2
	v_clz_i32_u32_e32 v5, v4
	s_delay_alu instid0(VALU_DEP_1) | instskip(NEXT) | instid1(VALU_DEP_1)
	v_min_u32_e32 v5, 32, v5
	v_subrev_nc_u32_e32 v6, 29, v5
	v_sub_nc_u32_e32 v5, 30, v5
	s_delay_alu instid0(VALU_DEP_2) | instskip(SKIP_1) | instid1(VALU_DEP_2)
	v_lshlrev_b32_e32 v6, v6, v2
	v_bfe_u32 v2, v2, 2, 5
	v_and_b32_e32 v6, 3, v6
	s_delay_alu instid0(VALU_DEP_2) | instskip(SKIP_1) | instid1(VALU_DEP_1)
	v_cmp_eq_u32_e32 vcc_lo, 0, v2
	v_dual_cndmask_b32 v2, v2, v5 :: v_dual_lshlrev_b32 v3, 24, v3
	v_dual_cndmask_b32 v4, v4, v6 :: v_dual_and_b32 v3, 0x80000000, v3
	s_delay_alu instid0(VALU_DEP_2) | instskip(NEXT) | instid1(VALU_DEP_2)
	v_lshl_add_u32 v2, v2, 23, 0x37800000
	v_lshlrev_b32_e32 v4, 21, v4
	s_delay_alu instid0(VALU_DEP_1) | instskip(NEXT) | instid1(VALU_DEP_1)
	v_or3_b32 v2, v3, v2, v4
	v_cvt_i32_f32_e32 v2, v2
.LBB312_816:
	s_or_b32 exec_lo, exec_lo, s23
	s_mov_b32 s22, 0
	s_branch .LBB312_822
.LBB312_817:
	s_mov_b32 s22, -1
                                        ; implicit-def: $vgpr2
	s_branch .LBB312_828
.LBB312_818:
	s_or_saveexec_b32 s24, s24
	v_mov_b32_e32 v2, s25
	s_xor_b32 exec_lo, exec_lo, s24
	s_cbranch_execz .LBB312_803
.LBB312_819:
	v_cmp_ne_u16_e32 vcc_lo, 0, v3
	v_mov_b32_e32 v2, 0
	s_and_not1_b32 s23, s23, exec_lo
	s_and_b32 s25, vcc_lo, exec_lo
	s_delay_alu instid0(SALU_CYCLE_1)
	s_or_b32 s23, s23, s25
	s_or_b32 exec_lo, exec_lo, s24
	s_and_saveexec_b32 s24, s23
	s_cbranch_execnz .LBB312_804
	s_branch .LBB312_805
.LBB312_820:
	s_mov_b32 s22, -1
                                        ; implicit-def: $vgpr2
	s_branch .LBB312_825
.LBB312_821:
	s_mov_b32 s22, -1
                                        ; implicit-def: $vgpr2
.LBB312_822:
	s_delay_alu instid0(SALU_CYCLE_1)
	s_and_b32 vcc_lo, exec_lo, s22
	s_cbranch_vccz .LBB312_824
; %bb.823:
	global_load_u8 v2, v[0:1], off
	s_waitcnt vmcnt(0)
	v_lshlrev_b32_e32 v2, 24, v2
	s_delay_alu instid0(VALU_DEP_1) | instskip(NEXT) | instid1(VALU_DEP_1)
	v_and_b32_e32 v3, 0x7f000000, v2
	v_clz_i32_u32_e32 v4, v3
	v_add_nc_u32_e32 v6, 0x1000000, v3
	v_cmp_ne_u32_e32 vcc_lo, 0, v3
	s_delay_alu instid0(VALU_DEP_3) | instskip(NEXT) | instid1(VALU_DEP_1)
	v_min_u32_e32 v4, 32, v4
	v_sub_nc_u32_e64 v4, v4, 4 clamp
	s_delay_alu instid0(VALU_DEP_1) | instskip(SKIP_1) | instid1(VALU_DEP_2)
	v_lshlrev_b32_e32 v5, v4, v3
	v_lshlrev_b32_e32 v4, 23, v4
	v_lshrrev_b32_e32 v5, 4, v5
	s_delay_alu instid0(VALU_DEP_1) | instskip(SKIP_1) | instid1(VALU_DEP_2)
	v_sub_nc_u32_e32 v4, v5, v4
	v_ashrrev_i32_e32 v5, 8, v6
	v_add_nc_u32_e32 v4, 0x3c000000, v4
	s_delay_alu instid0(VALU_DEP_1) | instskip(NEXT) | instid1(VALU_DEP_1)
	v_and_or_b32 v4, 0x7f800000, v5, v4
	v_cndmask_b32_e32 v3, 0, v4, vcc_lo
	s_delay_alu instid0(VALU_DEP_1) | instskip(NEXT) | instid1(VALU_DEP_1)
	v_and_or_b32 v2, 0x80000000, v2, v3
	v_cvt_i32_f32_e32 v2, v2
.LBB312_824:
	s_mov_b32 s22, 0
.LBB312_825:
	s_delay_alu instid0(SALU_CYCLE_1)
	s_and_not1_b32 vcc_lo, exec_lo, s22
	s_cbranch_vccnz .LBB312_827
; %bb.826:
	global_load_u8 v2, v[0:1], off
	s_waitcnt vmcnt(0)
	v_lshlrev_b32_e32 v3, 25, v2
	v_lshlrev_b16 v2, 8, v2
	s_delay_alu instid0(VALU_DEP_2) | instskip(NEXT) | instid1(VALU_DEP_2)
	v_lshrrev_b32_e32 v4, 4, v3
	v_and_or_b32 v5, 0x7f00, v2, 0.5
	v_bfe_i32 v2, v2, 0, 16
	s_delay_alu instid0(VALU_DEP_3) | instskip(NEXT) | instid1(VALU_DEP_1)
	v_or_b32_e32 v4, 0x70000000, v4
	v_dual_add_f32 v5, -0.5, v5 :: v_dual_mul_f32 v4, 0x7800000, v4
	v_cmp_gt_u32_e32 vcc_lo, 0x8000000, v3
	s_delay_alu instid0(VALU_DEP_2) | instskip(NEXT) | instid1(VALU_DEP_1)
	v_cndmask_b32_e32 v3, v4, v5, vcc_lo
	v_and_or_b32 v2, 0x80000000, v2, v3
	s_delay_alu instid0(VALU_DEP_1)
	v_cvt_i32_f32_e32 v2, v2
.LBB312_827:
	s_mov_b32 s22, 0
	s_mov_b32 s23, -1
.LBB312_828:
	s_and_not1_b32 vcc_lo, exec_lo, s22
	s_mov_b32 s22, 0
	s_cbranch_vccnz .LBB312_839
; %bb.829:
	v_cmp_lt_i16_e32 vcc_lo, 14, v10
	s_cbranch_vccz .LBB312_832
; %bb.830:
	v_cmp_eq_u16_e32 vcc_lo, 15, v10
	s_cbranch_vccz .LBB312_835
; %bb.831:
	global_load_u16 v2, v[0:1], off
	s_mov_b32 s0, 0
	s_mov_b32 s23, -1
	s_waitcnt vmcnt(0)
	v_lshlrev_b32_e32 v2, 16, v2
	s_delay_alu instid0(VALU_DEP_1)
	v_cvt_i32_f32_e32 v2, v2
	s_branch .LBB312_837
.LBB312_832:
	s_mov_b32 s22, -1
	s_branch .LBB312_836
.LBB312_833:
	s_or_saveexec_b32 s23, s23
	v_mov_b32_e32 v2, s24
	s_xor_b32 exec_lo, exec_lo, s23
	s_cbranch_execz .LBB312_814
.LBB312_834:
	v_cmp_ne_u16_e32 vcc_lo, 0, v3
	v_mov_b32_e32 v2, 0
	s_and_not1_b32 s22, s22, exec_lo
	s_and_b32 s24, vcc_lo, exec_lo
	s_delay_alu instid0(SALU_CYCLE_1)
	s_or_b32 s22, s22, s24
	s_or_b32 exec_lo, exec_lo, s23
	s_and_saveexec_b32 s23, s22
	s_cbranch_execnz .LBB312_815
	s_branch .LBB312_816
.LBB312_835:
	s_mov_b32 s0, -1
.LBB312_836:
                                        ; implicit-def: $vgpr2
.LBB312_837:
	s_and_b32 vcc_lo, exec_lo, s22
	s_mov_b32 s22, 0
	s_cbranch_vccz .LBB312_839
; %bb.838:
	v_cmp_ne_u16_e32 vcc_lo, 11, v10
	s_and_not1_b32 s0, s0, exec_lo
	s_mov_b32 s22, -1
                                        ; implicit-def: $vgpr2
	s_and_b32 s24, vcc_lo, exec_lo
	s_delay_alu instid0(SALU_CYCLE_1)
	s_or_b32 s0, s0, s24
.LBB312_839:
	s_mov_b32 s25, 0
.LBB312_840:
	s_and_b32 s24, s23, exec_lo
	s_and_b32 s23, s25, exec_lo
	s_and_not1_b32 s25, s20, exec_lo
	s_and_b32 s26, s0, exec_lo
	s_and_b32 s0, s22, exec_lo
	s_or_b32 s22, s25, s26
.LBB312_841:
	s_or_b32 exec_lo, exec_lo, s13
	s_delay_alu instid0(SALU_CYCLE_1)
	s_and_not1_b32 s13, s20, exec_lo
	s_and_b32 s20, s22, exec_lo
	s_and_b32 s24, s24, exec_lo
	s_and_b32 s23, s23, exec_lo
	s_and_b32 s22, s0, exec_lo
	s_or_b32 s20, s13, s20
.LBB312_842:
	s_or_b32 exec_lo, exec_lo, s19
	s_delay_alu instid0(SALU_CYCLE_1)
	s_and_not1_b32 s0, s17, exec_lo
	s_and_b32 s13, s21, exec_lo
	s_and_b32 s21, s23, exec_lo
	s_or_b32 s17, s0, s13
	s_and_not1_b32 s13, s16, exec_lo
	s_and_b32 s16, s20, exec_lo
	s_and_b32 s0, s24, exec_lo
	;; [unrolled: 1-line block ×3, first 2 shown]
	s_or_b32 s16, s13, s16
.LBB312_843:
	s_or_b32 exec_lo, exec_lo, s18
	s_delay_alu instid0(SALU_CYCLE_1)
	s_and_not1_b32 s12, s12, exec_lo
	s_and_b32 s13, s17, exec_lo
	s_and_b32 s0, s0, exec_lo
	s_or_b32 s12, s12, s13
	s_and_not1_b32 s13, s14, exec_lo
	s_and_b32 s14, s16, exec_lo
	s_and_b32 s17, s21, exec_lo
	;; [unrolled: 1-line block ×3, first 2 shown]
	s_or_b32 s14, s13, s14
.LBB312_844:
	s_or_b32 exec_lo, exec_lo, s15
	s_mov_b32 s13, 0
	s_and_saveexec_b32 s15, s14
	s_cbranch_execnz .LBB312_856
; %bb.845:
	s_or_b32 exec_lo, exec_lo, s15
	s_and_saveexec_b32 s14, s16
	s_delay_alu instid0(SALU_CYCLE_1)
	s_xor_b32 s14, exec_lo, s14
	s_cbranch_execz .LBB312_847
.LBB312_846:
	global_load_u8 v2, v[0:1], off
	s_or_b32 s0, s0, exec_lo
	s_waitcnt vmcnt(0)
	v_cmp_ne_u16_e32 vcc_lo, 0, v2
	v_cndmask_b32_e64 v2, 0, 1, vcc_lo
.LBB312_847:
	s_or_b32 exec_lo, exec_lo, s14
	s_and_saveexec_b32 s14, s17
	s_cbranch_execz .LBB312_895
; %bb.848:
	v_cmp_gt_i16_e32 vcc_lo, 5, v10
	s_cbranch_vccnz .LBB312_853
; %bb.849:
	v_cmp_gt_i16_e32 vcc_lo, 8, v10
	s_cbranch_vccnz .LBB312_854
	;; [unrolled: 3-line block ×3, first 2 shown]
; %bb.851:
	v_cmp_lt_i16_e32 vcc_lo, 9, v10
	s_cbranch_vccz .LBB312_858
; %bb.852:
	global_load_b64 v[2:3], v[0:1], off
	s_mov_b32 s15, 0
	s_waitcnt vmcnt(0)
	v_cvt_i32_f64_e32 v2, v[2:3]
	s_branch .LBB312_859
.LBB312_853:
                                        ; implicit-def: $vgpr2
	s_branch .LBB312_876
.LBB312_854:
                                        ; implicit-def: $vgpr2
	s_branch .LBB312_865
.LBB312_855:
	s_mov_b32 s15, -1
                                        ; implicit-def: $vgpr2
	s_branch .LBB312_862
.LBB312_856:
	s_cbranch_execnz .LBB312_904
; %bb.857:
	s_mov_b32 s13, exec_lo
	s_and_not1_b32 s16, s16, exec_lo
                                        ; implicit-def: $vgpr2
	s_or_b32 exec_lo, exec_lo, s15
	s_and_saveexec_b32 s14, s16
	s_delay_alu instid0(SALU_CYCLE_1)
	s_xor_b32 s14, exec_lo, s14
	s_cbranch_execnz .LBB312_846
	s_branch .LBB312_847
.LBB312_858:
	s_mov_b32 s15, -1
                                        ; implicit-def: $vgpr2
.LBB312_859:
	s_delay_alu instid0(SALU_CYCLE_1)
	s_and_not1_b32 vcc_lo, exec_lo, s15
	s_cbranch_vccnz .LBB312_861
; %bb.860:
	global_load_b32 v2, v[0:1], off
	s_waitcnt vmcnt(0)
	v_cvt_i32_f32_e32 v2, v2
.LBB312_861:
	s_mov_b32 s15, 0
.LBB312_862:
	s_delay_alu instid0(SALU_CYCLE_1)
	s_and_not1_b32 vcc_lo, exec_lo, s15
	s_cbranch_vccnz .LBB312_864
; %bb.863:
	global_load_b32 v2, v[0:1], off
	s_waitcnt vmcnt(0)
	v_cvt_i16_f16_e32 v2, v2
.LBB312_864:
	s_cbranch_execnz .LBB312_875
.LBB312_865:
	v_cmp_gt_i16_e32 vcc_lo, 6, v10
	s_cbranch_vccnz .LBB312_868
; %bb.866:
	v_cmp_lt_i16_e32 vcc_lo, 6, v10
	s_cbranch_vccz .LBB312_869
; %bb.867:
	global_load_b64 v[2:3], v[0:1], off
	s_mov_b32 s15, 0
	s_waitcnt vmcnt(0)
	v_cvt_i32_f64_e32 v2, v[2:3]
	s_branch .LBB312_870
.LBB312_868:
	s_mov_b32 s15, -1
                                        ; implicit-def: $vgpr2
	s_branch .LBB312_873
.LBB312_869:
	s_mov_b32 s15, -1
                                        ; implicit-def: $vgpr2
.LBB312_870:
	s_delay_alu instid0(SALU_CYCLE_1)
	s_and_not1_b32 vcc_lo, exec_lo, s15
	s_cbranch_vccnz .LBB312_872
; %bb.871:
	global_load_b32 v2, v[0:1], off
	s_waitcnt vmcnt(0)
	v_cvt_i32_f32_e32 v2, v2
.LBB312_872:
	s_mov_b32 s15, 0
.LBB312_873:
	s_delay_alu instid0(SALU_CYCLE_1)
	s_and_not1_b32 vcc_lo, exec_lo, s15
	s_cbranch_vccnz .LBB312_875
; %bb.874:
	global_load_u16 v2, v[0:1], off
	s_waitcnt vmcnt(0)
	v_cvt_i16_f16_e32 v2, v2
.LBB312_875:
	s_cbranch_execnz .LBB312_894
.LBB312_876:
	v_cmp_gt_i16_e32 vcc_lo, 2, v10
	s_cbranch_vccnz .LBB312_880
; %bb.877:
	v_cmp_gt_i16_e32 vcc_lo, 3, v10
	s_cbranch_vccnz .LBB312_881
; %bb.878:
	v_cmp_lt_i16_e32 vcc_lo, 3, v10
	s_cbranch_vccz .LBB312_882
; %bb.879:
	global_load_b64 v[2:3], v[0:1], off
	s_mov_b32 s15, 0
	s_branch .LBB312_883
.LBB312_880:
                                        ; implicit-def: $vgpr2
	s_branch .LBB312_889
.LBB312_881:
	s_mov_b32 s15, -1
                                        ; implicit-def: $vgpr2
	s_branch .LBB312_886
.LBB312_882:
	s_mov_b32 s15, -1
                                        ; implicit-def: $vgpr2
.LBB312_883:
	s_delay_alu instid0(SALU_CYCLE_1)
	s_and_not1_b32 vcc_lo, exec_lo, s15
	s_cbranch_vccnz .LBB312_885
; %bb.884:
	global_load_b32 v2, v[0:1], off
.LBB312_885:
	s_mov_b32 s15, 0
.LBB312_886:
	s_delay_alu instid0(SALU_CYCLE_1)
	s_and_not1_b32 vcc_lo, exec_lo, s15
	s_cbranch_vccnz .LBB312_888
; %bb.887:
	global_load_u16 v2, v[0:1], off
.LBB312_888:
	s_cbranch_execnz .LBB312_894
.LBB312_889:
	v_cmp_lt_i16_e32 vcc_lo, 0, v10
	s_mov_b32 s15, 0
	s_cbranch_vccz .LBB312_891
; %bb.890:
	global_load_i8 v2, v[0:1], off
	s_branch .LBB312_892
.LBB312_891:
	s_mov_b32 s15, -1
                                        ; implicit-def: $vgpr2
.LBB312_892:
	s_delay_alu instid0(SALU_CYCLE_1)
	s_and_not1_b32 vcc_lo, exec_lo, s15
	s_cbranch_vccnz .LBB312_894
; %bb.893:
	global_load_u8 v2, v[0:1], off
.LBB312_894:
	s_or_b32 s0, s0, exec_lo
.LBB312_895:
	s_or_b32 exec_lo, exec_lo, s14
	s_mov_b32 s16, 0
	s_mov_b32 s15, 0
                                        ; implicit-def: $vgpr4
                                        ; implicit-def: $vgpr0_vgpr1
                                        ; implicit-def: $vgpr3
	s_and_saveexec_b32 s14, s0
	s_cbranch_execz .LBB312_975
; %bb.896:
	v_mul_lo_u32 v0, v9, s8
	s_waitcnt vmcnt(0)
	s_delay_alu instid0(VALU_DEP_2) | instskip(SKIP_1) | instid1(VALU_DEP_2)
	v_max_i16 v1, v2, s10
	v_and_b32_e64 v4, 0xff, s11
	v_min_i16 v3, v1, s1
	s_delay_alu instid0(VALU_DEP_2) | instskip(SKIP_2) | instid1(VALU_DEP_1)
	v_cmp_gt_i16_e32 vcc_lo, 11, v4
	v_ashrrev_i32_e32 v1, 31, v0
	v_add_co_u32 v0, s0, s4, v0
	v_add_co_ci_u32_e64 v1, s0, s5, v1, s0
	s_cbranch_vccnz .LBB312_903
; %bb.897:
	v_cmp_lt_i16_e32 vcc_lo, 25, v4
	s_mov_b32 s15, -1
	s_mov_b32 s0, s12
	s_cbranch_vccz .LBB312_933
; %bb.898:
	v_cmp_lt_i16_e32 vcc_lo, 28, v4
	s_mov_b32 s0, s12
	s_cbranch_vccz .LBB312_917
; %bb.899:
	v_cmp_lt_i16_e32 vcc_lo, 43, v4
	;; [unrolled: 4-line block ×3, first 2 shown]
	s_mov_b32 s0, s12
	s_cbranch_vccz .LBB312_907
; %bb.901:
	v_cmp_eq_u16_e32 vcc_lo, 46, v4
	s_mov_b32 s0, -1
	s_cbranch_vccz .LBB312_906
; %bb.902:
	v_bfe_i32 v2, v3, 0, 16
	s_mov_b32 s0, 0
	s_mov_b32 s15, 0
	s_delay_alu instid0(VALU_DEP_1) | instskip(NEXT) | instid1(VALU_DEP_1)
	v_cvt_f32_i32_e32 v2, v2
	v_bfe_u32 v5, v2, 16, 1
	s_delay_alu instid0(VALU_DEP_1) | instskip(NEXT) | instid1(VALU_DEP_1)
	v_add3_u32 v2, v2, v5, 0x7fff
	v_lshrrev_b32_e32 v2, 16, v2
	global_store_b32 v[0:1], v2, off
	s_branch .LBB312_907
.LBB312_903:
	s_mov_b32 s15, -1
	s_mov_b32 s0, s12
	s_branch .LBB312_974
.LBB312_904:
	s_trap 2
	s_sendmsg_rtn_b32 s0, sendmsg(MSG_RTN_GET_DOORBELL)
	s_mov_b32 ttmp2, m0
	s_waitcnt lgkmcnt(0)
	s_and_b32 s0, s0, 0x3ff
	s_delay_alu instid0(SALU_CYCLE_1) | instskip(NEXT) | instid1(SALU_CYCLE_1)
	s_bitset1_b32 s0, 10
	s_mov_b32 m0, s0
	s_sendmsg sendmsg(MSG_INTERRUPT)
	s_mov_b32 m0, ttmp2
.LBB312_905:                            ; =>This Inner Loop Header: Depth=1
	s_sethalt 5
	s_branch .LBB312_905
.LBB312_906:
	s_mov_b32 s15, 0
.LBB312_907:
	s_delay_alu instid0(SALU_CYCLE_1)
	s_and_b32 vcc_lo, exec_lo, s15
	s_cbranch_vccz .LBB312_912
; %bb.908:
	v_cmp_eq_u16_e32 vcc_lo, 44, v4
	s_mov_b32 s0, -1
	s_cbranch_vccz .LBB312_912
; %bb.909:
	v_bfe_i32 v2, v3, 0, 16
	v_mov_b32_e32 v5, 0xff
	s_mov_b32 s15, exec_lo
	s_delay_alu instid0(VALU_DEP_2) | instskip(NEXT) | instid1(VALU_DEP_1)
	v_cvt_f32_i32_e32 v2, v2
	v_bfe_u32 v6, v2, 23, 8
	s_delay_alu instid0(VALU_DEP_1)
	v_cmpx_ne_u32_e32 0xff, v6
; %bb.910:
	v_and_b32_e32 v5, 0x400000, v2
	v_and_or_b32 v6, 0x3fffff, v2, v6
	v_lshrrev_b32_e32 v2, 23, v2
	s_delay_alu instid0(VALU_DEP_3) | instskip(NEXT) | instid1(VALU_DEP_3)
	v_cmp_ne_u32_e32 vcc_lo, 0, v5
	v_cmp_ne_u32_e64 s0, 0, v6
	s_delay_alu instid0(VALU_DEP_1) | instskip(NEXT) | instid1(SALU_CYCLE_1)
	s_and_b32 s0, vcc_lo, s0
	v_cndmask_b32_e64 v5, 0, 1, s0
	s_delay_alu instid0(VALU_DEP_1)
	v_add_nc_u32_e32 v5, v2, v5
; %bb.911:
	s_or_b32 exec_lo, exec_lo, s15
	s_mov_b32 s0, 0
	global_store_b8 v[0:1], v5, off
.LBB312_912:
	s_mov_b32 s15, 0
.LBB312_913:
	s_delay_alu instid0(SALU_CYCLE_1)
	s_and_b32 vcc_lo, exec_lo, s15
	s_cbranch_vccz .LBB312_916
; %bb.914:
	v_cmp_eq_u16_e32 vcc_lo, 29, v4
	s_mov_b32 s0, -1
	s_cbranch_vccz .LBB312_916
; %bb.915:
	v_bfe_i32 v5, v3, 0, 16
	s_mov_b32 s0, 0
	s_mov_b32 s15, 0
	s_delay_alu instid0(VALU_DEP_1)
	v_ashrrev_i32_e32 v6, 31, v5
	global_store_b64 v[0:1], v[5:6], off
	s_branch .LBB312_917
.LBB312_916:
	s_mov_b32 s15, 0
.LBB312_917:
	s_delay_alu instid0(SALU_CYCLE_1)
	s_and_b32 vcc_lo, exec_lo, s15
	s_cbranch_vccz .LBB312_932
; %bb.918:
	v_cmp_gt_i16_e32 vcc_lo, 27, v4
	s_mov_b32 s15, -1
	s_cbranch_vccnz .LBB312_924
; %bb.919:
	v_cmp_lt_i16_e32 vcc_lo, 27, v4
	s_cbranch_vccz .LBB312_921
; %bb.920:
	v_bfe_i32 v2, v3, 0, 16
	s_mov_b32 s15, 0
	global_store_b32 v[0:1], v2, off
.LBB312_921:
	s_and_not1_b32 vcc_lo, exec_lo, s15
	s_cbranch_vccnz .LBB312_923
; %bb.922:
	global_store_b16 v[0:1], v3, off
.LBB312_923:
	s_mov_b32 s15, 0
.LBB312_924:
	s_delay_alu instid0(SALU_CYCLE_1)
	s_and_not1_b32 vcc_lo, exec_lo, s15
	s_cbranch_vccnz .LBB312_932
; %bb.925:
	v_bfe_i32 v2, v3, 0, 16
	v_mov_b32_e32 v6, 0x80
	s_mov_b32 s15, exec_lo
	s_delay_alu instid0(VALU_DEP_2) | instskip(NEXT) | instid1(VALU_DEP_1)
	v_cvt_f32_i32_e32 v2, v2
	v_and_b32_e32 v5, 0x7fffffff, v2
	s_delay_alu instid0(VALU_DEP_1)
	v_cmpx_gt_u32_e32 0x43800000, v5
	s_cbranch_execz .LBB312_931
; %bb.926:
	v_cmp_lt_u32_e32 vcc_lo, 0x3bffffff, v5
                                        ; implicit-def: $vgpr5
	s_and_saveexec_b32 s17, vcc_lo
	s_delay_alu instid0(SALU_CYCLE_1)
	s_xor_b32 s17, exec_lo, s17
	s_cbranch_execz .LBB312_1161
; %bb.927:
	v_bfe_u32 v5, v2, 20, 1
	s_mov_b32 s16, exec_lo
	s_delay_alu instid0(VALU_DEP_1) | instskip(NEXT) | instid1(VALU_DEP_1)
	v_add3_u32 v5, v2, v5, 0x487ffff
	v_lshrrev_b32_e32 v5, 20, v5
	s_or_saveexec_b32 s17, s17
                                        ; implicit-def: $sgpr18
	s_delay_alu instid0(SALU_CYCLE_1)
	s_xor_b32 exec_lo, exec_lo, s17
	s_cbranch_execnz .LBB312_1162
.LBB312_928:
	s_or_b32 exec_lo, exec_lo, s17
	v_mov_b32_e32 v6, s18
	s_and_saveexec_b32 s17, s16
.LBB312_929:
	v_lshrrev_b32_e32 v2, 24, v2
	s_delay_alu instid0(VALU_DEP_1)
	v_and_or_b32 v6, 0x80, v2, v5
.LBB312_930:
	s_or_b32 exec_lo, exec_lo, s17
.LBB312_931:
	s_delay_alu instid0(SALU_CYCLE_1)
	s_or_b32 exec_lo, exec_lo, s15
	global_store_b8 v[0:1], v6, off
.LBB312_932:
	s_mov_b32 s15, 0
.LBB312_933:
	s_delay_alu instid0(SALU_CYCLE_1)
	s_and_b32 vcc_lo, exec_lo, s15
	s_mov_b32 s15, 0
	s_cbranch_vccz .LBB312_973
; %bb.934:
	v_cmp_lt_i16_e32 vcc_lo, 22, v4
	s_mov_b32 s16, -1
	s_cbranch_vccz .LBB312_966
; %bb.935:
	v_cmp_gt_i16_e32 vcc_lo, 24, v4
	s_cbranch_vccnz .LBB312_955
; %bb.936:
	v_cmp_lt_i16_e32 vcc_lo, 24, v4
	s_cbranch_vccz .LBB312_944
; %bb.937:
	v_bfe_i32 v2, v3, 0, 16
	v_mov_b32_e32 v6, 0x80
	s_mov_b32 s16, exec_lo
	s_delay_alu instid0(VALU_DEP_2) | instskip(NEXT) | instid1(VALU_DEP_1)
	v_cvt_f32_i32_e32 v2, v2
	v_and_b32_e32 v5, 0x7fffffff, v2
	s_delay_alu instid0(VALU_DEP_1)
	v_cmpx_gt_u32_e32 0x47800000, v5
	s_cbranch_execz .LBB312_943
; %bb.938:
	v_cmp_lt_u32_e32 vcc_lo, 0x37ffffff, v5
	s_mov_b32 s17, 0
                                        ; implicit-def: $vgpr5
	s_and_saveexec_b32 s18, vcc_lo
	s_delay_alu instid0(SALU_CYCLE_1)
	s_xor_b32 s18, exec_lo, s18
	s_cbranch_execz .LBB312_1205
; %bb.939:
	v_bfe_u32 v5, v2, 21, 1
	s_mov_b32 s17, exec_lo
	s_delay_alu instid0(VALU_DEP_1) | instskip(NEXT) | instid1(VALU_DEP_1)
	v_add3_u32 v5, v2, v5, 0x88fffff
	v_lshrrev_b32_e32 v5, 21, v5
	s_or_saveexec_b32 s18, s18
                                        ; implicit-def: $sgpr19
	s_delay_alu instid0(SALU_CYCLE_1)
	s_xor_b32 exec_lo, exec_lo, s18
	s_cbranch_execnz .LBB312_1206
.LBB312_940:
	s_or_b32 exec_lo, exec_lo, s18
	v_mov_b32_e32 v6, s19
	s_and_saveexec_b32 s18, s17
.LBB312_941:
	v_lshrrev_b32_e32 v2, 24, v2
	s_delay_alu instid0(VALU_DEP_1)
	v_and_or_b32 v6, 0x80, v2, v5
.LBB312_942:
	s_or_b32 exec_lo, exec_lo, s18
.LBB312_943:
	s_delay_alu instid0(SALU_CYCLE_1)
	s_or_b32 exec_lo, exec_lo, s16
	s_mov_b32 s16, 0
	global_store_b8 v[0:1], v6, off
.LBB312_944:
	s_and_b32 vcc_lo, exec_lo, s16
	s_cbranch_vccz .LBB312_954
; %bb.945:
	v_bfe_i32 v2, v3, 0, 16
	s_mov_b32 s16, exec_lo
                                        ; implicit-def: $vgpr5
	s_delay_alu instid0(VALU_DEP_1) | instskip(NEXT) | instid1(VALU_DEP_1)
	v_cvt_f32_i32_e32 v2, v2
	v_and_b32_e32 v6, 0x7fffffff, v2
	s_delay_alu instid0(VALU_DEP_1)
	v_cmpx_gt_u32_e32 0x43f00000, v6
	s_xor_b32 s16, exec_lo, s16
	s_cbranch_execz .LBB312_951
; %bb.946:
	s_mov_b32 s17, exec_lo
                                        ; implicit-def: $vgpr5
	v_cmpx_lt_u32_e32 0x3c7fffff, v6
	s_xor_b32 s17, exec_lo, s17
; %bb.947:
	v_bfe_u32 v5, v2, 20, 1
	s_delay_alu instid0(VALU_DEP_1) | instskip(NEXT) | instid1(VALU_DEP_1)
	v_add3_u32 v5, v2, v5, 0x407ffff
	v_and_b32_e32 v6, 0xff00000, v5
	v_lshrrev_b32_e32 v5, 20, v5
	s_delay_alu instid0(VALU_DEP_2) | instskip(NEXT) | instid1(VALU_DEP_2)
	v_cmp_ne_u32_e32 vcc_lo, 0x7f00000, v6
	v_cndmask_b32_e32 v5, 0x7e, v5, vcc_lo
; %bb.948:
	s_and_not1_saveexec_b32 s17, s17
; %bb.949:
	v_add_f32_e64 v5, 0x46800000, |v2|
; %bb.950:
	s_or_b32 exec_lo, exec_lo, s17
                                        ; implicit-def: $vgpr6
.LBB312_951:
	s_and_not1_saveexec_b32 s16, s16
; %bb.952:
	v_mov_b32_e32 v5, 0x7f
	v_cmp_lt_u32_e32 vcc_lo, 0x7f800000, v6
	s_delay_alu instid0(VALU_DEP_2)
	v_cndmask_b32_e32 v5, 0x7e, v5, vcc_lo
; %bb.953:
	s_or_b32 exec_lo, exec_lo, s16
	v_lshrrev_b32_e32 v2, 24, v2
	s_delay_alu instid0(VALU_DEP_1)
	v_and_or_b32 v2, 0x80, v2, v5
	global_store_b8 v[0:1], v2, off
.LBB312_954:
	s_mov_b32 s16, 0
.LBB312_955:
	s_delay_alu instid0(SALU_CYCLE_1)
	s_and_not1_b32 vcc_lo, exec_lo, s16
	s_cbranch_vccnz .LBB312_965
; %bb.956:
	v_bfe_i32 v2, v3, 0, 16
	s_mov_b32 s16, exec_lo
                                        ; implicit-def: $vgpr5
	s_delay_alu instid0(VALU_DEP_1) | instskip(NEXT) | instid1(VALU_DEP_1)
	v_cvt_f32_i32_e32 v2, v2
	v_and_b32_e32 v6, 0x7fffffff, v2
	s_delay_alu instid0(VALU_DEP_1)
	v_cmpx_gt_u32_e32 0x47800000, v6
	s_xor_b32 s16, exec_lo, s16
	s_cbranch_execz .LBB312_962
; %bb.957:
	s_mov_b32 s17, exec_lo
                                        ; implicit-def: $vgpr5
	v_cmpx_lt_u32_e32 0x387fffff, v6
	s_xor_b32 s17, exec_lo, s17
; %bb.958:
	v_bfe_u32 v5, v2, 21, 1
	s_delay_alu instid0(VALU_DEP_1) | instskip(NEXT) | instid1(VALU_DEP_1)
	v_add3_u32 v5, v2, v5, 0x80fffff
	v_lshrrev_b32_e32 v5, 21, v5
; %bb.959:
	s_and_not1_saveexec_b32 s17, s17
; %bb.960:
	v_add_f32_e64 v5, 0x43000000, |v2|
; %bb.961:
	s_or_b32 exec_lo, exec_lo, s17
                                        ; implicit-def: $vgpr6
.LBB312_962:
	s_and_not1_saveexec_b32 s16, s16
; %bb.963:
	v_mov_b32_e32 v5, 0x7f
	v_cmp_lt_u32_e32 vcc_lo, 0x7f800000, v6
	s_delay_alu instid0(VALU_DEP_2)
	v_cndmask_b32_e32 v5, 0x7c, v5, vcc_lo
; %bb.964:
	s_or_b32 exec_lo, exec_lo, s16
	v_lshrrev_b32_e32 v2, 24, v2
	s_delay_alu instid0(VALU_DEP_1)
	v_and_or_b32 v2, 0x80, v2, v5
	global_store_b8 v[0:1], v2, off
.LBB312_965:
	s_mov_b32 s16, 0
.LBB312_966:
	s_delay_alu instid0(SALU_CYCLE_1)
	s_and_not1_b32 vcc_lo, exec_lo, s16
	s_mov_b32 s16, 0
	s_cbranch_vccnz .LBB312_974
; %bb.967:
	v_cmp_lt_i16_e32 vcc_lo, 14, v4
	s_mov_b32 s16, -1
	s_cbranch_vccz .LBB312_971
; %bb.968:
	v_cmp_eq_u16_e32 vcc_lo, 15, v4
	s_mov_b32 s0, -1
	s_cbranch_vccz .LBB312_970
; %bb.969:
	v_bfe_i32 v2, v3, 0, 16
	s_mov_b32 s0, 0
	s_delay_alu instid0(VALU_DEP_1) | instskip(NEXT) | instid1(VALU_DEP_1)
	v_cvt_f32_i32_e32 v2, v2
	v_bfe_u32 v5, v2, 16, 1
	s_delay_alu instid0(VALU_DEP_1)
	v_add3_u32 v2, v2, v5, 0x7fff
	global_store_d16_hi_b16 v[0:1], v2, off
.LBB312_970:
	s_mov_b32 s16, 0
.LBB312_971:
	s_delay_alu instid0(SALU_CYCLE_1)
	s_and_b32 vcc_lo, exec_lo, s16
	s_mov_b32 s16, 0
	s_cbranch_vccz .LBB312_974
; %bb.972:
	v_cmp_ne_u16_e32 vcc_lo, 11, v4
	s_and_not1_b32 s0, s0, exec_lo
	s_mov_b32 s16, -1
	s_and_b32 s17, vcc_lo, exec_lo
	s_delay_alu instid0(SALU_CYCLE_1)
	s_or_b32 s0, s0, s17
	s_branch .LBB312_974
.LBB312_973:
	s_mov_b32 s16, 0
.LBB312_974:
	s_and_not1_b32 s12, s12, exec_lo
	s_and_b32 s0, s0, exec_lo
	s_and_b32 s15, s15, exec_lo
	;; [unrolled: 1-line block ×3, first 2 shown]
	s_or_b32 s12, s12, s0
.LBB312_975:
	s_or_b32 exec_lo, exec_lo, s14
	s_and_saveexec_b32 s0, s12
	s_cbranch_execnz .LBB312_1037
; %bb.976:
	s_or_b32 exec_lo, exec_lo, s0
	s_and_saveexec_b32 s0, s16
	s_delay_alu instid0(SALU_CYCLE_1)
	s_xor_b32 s0, exec_lo, s0
	s_cbranch_execz .LBB312_978
.LBB312_977:
	s_waitcnt vmcnt(0)
	v_cmp_ne_u16_e32 vcc_lo, 0, v3
	v_cndmask_b32_e64 v2, 0, 1, vcc_lo
	global_store_b8 v[0:1], v2, off
.LBB312_978:
	s_or_b32 exec_lo, exec_lo, s0
	s_and_saveexec_b32 s0, s15
	s_delay_alu instid0(SALU_CYCLE_1)
	s_xor_b32 s0, exec_lo, s0
	s_cbranch_execz .LBB312_1016
; %bb.979:
	v_cmp_gt_i16_e32 vcc_lo, 5, v4
	s_mov_b32 s12, -1
	s_cbranch_vccnz .LBB312_1000
; %bb.980:
	v_cmp_gt_i16_e32 vcc_lo, 8, v4
	s_cbranch_vccnz .LBB312_990
; %bb.981:
	v_cmp_gt_i16_e32 vcc_lo, 9, v4
	s_cbranch_vccnz .LBB312_987
; %bb.982:
	v_cmp_lt_i16_e32 vcc_lo, 9, v4
	s_cbranch_vccz .LBB312_984
; %bb.983:
	s_waitcnt vmcnt(0)
	v_bfe_i32 v2, v3, 0, 16
	v_mov_b32_e32 v7, 0
	s_mov_b32 s12, 0
	s_delay_alu instid0(VALU_DEP_2) | instskip(NEXT) | instid1(VALU_DEP_2)
	v_cvt_f64_i32_e32 v[5:6], v2
	v_mov_b32_e32 v8, v7
	global_store_b128 v[0:1], v[5:8], off
.LBB312_984:
	s_and_not1_b32 vcc_lo, exec_lo, s12
	s_cbranch_vccnz .LBB312_986
; %bb.985:
	s_waitcnt vmcnt(0)
	v_bfe_i32 v2, v3, 0, 16
	v_mov_b32_e32 v6, 0
	s_delay_alu instid0(VALU_DEP_2)
	v_cvt_f32_i32_e32 v5, v2
	global_store_b64 v[0:1], v[5:6], off
.LBB312_986:
	s_mov_b32 s12, 0
.LBB312_987:
	s_delay_alu instid0(SALU_CYCLE_1)
	s_and_not1_b32 vcc_lo, exec_lo, s12
	s_cbranch_vccnz .LBB312_989
; %bb.988:
	s_waitcnt vmcnt(0)
	v_cvt_f16_i16_e32 v2, v3
	s_delay_alu instid0(VALU_DEP_1)
	v_and_b32_e32 v2, 0xffff, v2
	global_store_b32 v[0:1], v2, off
.LBB312_989:
	s_mov_b32 s12, 0
.LBB312_990:
	s_delay_alu instid0(SALU_CYCLE_1)
	s_and_not1_b32 vcc_lo, exec_lo, s12
	s_cbranch_vccnz .LBB312_999
; %bb.991:
	v_cmp_gt_i16_e32 vcc_lo, 6, v4
	s_mov_b32 s12, -1
	s_cbranch_vccnz .LBB312_997
; %bb.992:
	v_cmp_lt_i16_e32 vcc_lo, 6, v4
	s_cbranch_vccz .LBB312_994
; %bb.993:
	s_waitcnt vmcnt(0)
	v_bfe_i32 v2, v3, 0, 16
	s_mov_b32 s12, 0
	s_delay_alu instid0(VALU_DEP_1)
	v_cvt_f64_i32_e32 v[5:6], v2
	global_store_b64 v[0:1], v[5:6], off
.LBB312_994:
	s_and_not1_b32 vcc_lo, exec_lo, s12
	s_cbranch_vccnz .LBB312_996
; %bb.995:
	s_waitcnt vmcnt(0)
	v_bfe_i32 v2, v3, 0, 16
	s_delay_alu instid0(VALU_DEP_1)
	v_cvt_f32_i32_e32 v2, v2
	global_store_b32 v[0:1], v2, off
.LBB312_996:
	s_mov_b32 s12, 0
.LBB312_997:
	s_delay_alu instid0(SALU_CYCLE_1)
	s_and_not1_b32 vcc_lo, exec_lo, s12
	s_cbranch_vccnz .LBB312_999
; %bb.998:
	s_waitcnt vmcnt(0)
	v_cvt_f16_i16_e32 v2, v3
	global_store_b16 v[0:1], v2, off
.LBB312_999:
	s_mov_b32 s12, 0
.LBB312_1000:
	s_delay_alu instid0(SALU_CYCLE_1)
	s_and_not1_b32 vcc_lo, exec_lo, s12
	s_cbranch_vccnz .LBB312_1016
; %bb.1001:
	v_cmp_gt_i16_e32 vcc_lo, 2, v4
	s_mov_b32 s12, -1
	s_cbranch_vccnz .LBB312_1011
; %bb.1002:
	v_cmp_gt_i16_e32 vcc_lo, 3, v4
	s_cbranch_vccnz .LBB312_1008
; %bb.1003:
	v_cmp_lt_i16_e32 vcc_lo, 3, v4
	s_cbranch_vccz .LBB312_1005
; %bb.1004:
	s_waitcnt vmcnt(0)
	v_bfe_i32 v5, v3, 0, 16
	s_mov_b32 s12, 0
	s_delay_alu instid0(VALU_DEP_1)
	v_ashrrev_i32_e32 v6, 31, v5
	global_store_b64 v[0:1], v[5:6], off
.LBB312_1005:
	s_and_not1_b32 vcc_lo, exec_lo, s12
	s_cbranch_vccnz .LBB312_1007
; %bb.1006:
	s_waitcnt vmcnt(0)
	v_bfe_i32 v2, v3, 0, 16
	global_store_b32 v[0:1], v2, off
.LBB312_1007:
	s_mov_b32 s12, 0
.LBB312_1008:
	s_delay_alu instid0(SALU_CYCLE_1)
	s_and_not1_b32 vcc_lo, exec_lo, s12
	s_cbranch_vccnz .LBB312_1010
; %bb.1009:
	s_waitcnt vmcnt(0)
	global_store_b16 v[0:1], v3, off
.LBB312_1010:
	s_mov_b32 s12, 0
.LBB312_1011:
	s_delay_alu instid0(SALU_CYCLE_1)
	s_and_not1_b32 vcc_lo, exec_lo, s12
	s_cbranch_vccnz .LBB312_1016
; %bb.1012:
	v_cmp_lt_i16_e32 vcc_lo, 0, v4
	s_mov_b32 s12, -1
	s_cbranch_vccz .LBB312_1014
; %bb.1013:
	s_mov_b32 s12, 0
	s_waitcnt vmcnt(0)
	global_store_b8 v[0:1], v3, off
.LBB312_1014:
	s_and_not1_b32 vcc_lo, exec_lo, s12
	s_cbranch_vccnz .LBB312_1016
; %bb.1015:
	s_waitcnt vmcnt(0)
	global_store_b8 v[0:1], v3, off
.LBB312_1016:
	s_or_b32 exec_lo, exec_lo, s0
	s_delay_alu instid0(SALU_CYCLE_1)
	s_and_b32 s12, s13, exec_lo
                                        ; implicit-def: $vgpr9
                                        ; implicit-def: $vgpr10
.LBB312_1017:
	s_or_saveexec_b32 s3, s3
	s_mov_b32 s0, 0
                                        ; implicit-def: $vgpr7
                                        ; implicit-def: $vgpr0_vgpr1
                                        ; implicit-def: $vgpr2
	s_xor_b32 exec_lo, exec_lo, s3
	s_cbranch_execz .LBB312_1965
; %bb.1018:
	s_waitcnt vmcnt(0)
	v_mul_lo_u32 v2, s9, v9
	v_cmp_gt_i16_e32 vcc_lo, 11, v10
	s_delay_alu instid0(VALU_DEP_2) | instskip(SKIP_1) | instid1(VALU_DEP_1)
	v_ashrrev_i32_e32 v1, 31, v2
	v_add_co_u32 v0, s0, s6, v2
	v_add_co_ci_u32_e64 v1, s0, s7, v1, s0
	s_cbranch_vccnz .LBB312_1025
; %bb.1019:
	v_cmp_lt_i16_e32 vcc_lo, 25, v10
	s_mov_b32 s13, 0
	s_cbranch_vccz .LBB312_1031
; %bb.1020:
	v_cmp_lt_i16_e32 vcc_lo, 28, v10
	s_cbranch_vccz .LBB312_1033
; %bb.1021:
	v_cmp_lt_i16_e32 vcc_lo, 43, v10
	;; [unrolled: 3-line block ×3, first 2 shown]
	s_cbranch_vccz .LBB312_1039
; %bb.1023:
	v_cmp_eq_u16_e32 vcc_lo, 46, v10
	s_cbranch_vccz .LBB312_1079
; %bb.1024:
	global_load_b32 v3, v[0:1], off
	s_mov_b32 s0, 0
	s_mov_b32 s14, -1
	s_waitcnt vmcnt(0)
	v_lshlrev_b32_e32 v3, 16, v3
	s_delay_alu instid0(VALU_DEP_1)
	v_cvt_i32_f32_e32 v6, v3
	s_branch .LBB312_1081
.LBB312_1025:
	s_mov_b32 s14, 0
	s_mov_b32 s2, s12
                                        ; implicit-def: $vgpr6
	s_cbranch_execz .LBB312_1139
; %bb.1026:
	v_cmp_gt_i16_e32 vcc_lo, 5, v10
	s_cbranch_vccnz .LBB312_1032
; %bb.1027:
	v_cmp_gt_i16_e32 vcc_lo, 8, v10
	s_cbranch_vccnz .LBB312_1034
	;; [unrolled: 3-line block ×3, first 2 shown]
; %bb.1029:
	v_cmp_lt_i16_e32 vcc_lo, 9, v10
	s_cbranch_vccz .LBB312_1040
; %bb.1030:
	global_load_b64 v[3:4], v[0:1], off
	s_mov_b32 s0, 0
	s_waitcnt vmcnt(0)
	v_cvt_i32_f64_e32 v6, v[3:4]
	s_branch .LBB312_1041
.LBB312_1031:
	s_mov_b32 s14, 0
	s_mov_b32 s0, 0
                                        ; implicit-def: $vgpr6
	s_cbranch_execnz .LBB312_1106
	s_branch .LBB312_1135
.LBB312_1032:
                                        ; implicit-def: $vgpr6
	s_branch .LBB312_1058
.LBB312_1033:
	s_mov_b32 s14, 0
	s_mov_b32 s0, 0
                                        ; implicit-def: $vgpr6
	s_cbranch_execz .LBB312_1105
	s_branch .LBB312_1090
.LBB312_1034:
                                        ; implicit-def: $vgpr6
	s_branch .LBB312_1047
.LBB312_1035:
	s_mov_b32 s14, 0
	s_mov_b32 s0, 0
                                        ; implicit-def: $vgpr6
	s_cbranch_execnz .LBB312_1086
	s_branch .LBB312_1089
.LBB312_1036:
	s_mov_b32 s0, -1
                                        ; implicit-def: $vgpr6
	s_branch .LBB312_1044
.LBB312_1037:
	s_cbranch_execnz .LBB312_1077
; %bb.1038:
	s_or_b32 s13, s13, exec_lo
	s_and_not1_b32 s16, s16, exec_lo
	s_or_b32 exec_lo, exec_lo, s0
	s_and_saveexec_b32 s0, s16
	s_delay_alu instid0(SALU_CYCLE_1)
	s_xor_b32 s0, exec_lo, s0
	s_cbranch_execnz .LBB312_977
	s_branch .LBB312_978
.LBB312_1039:
	s_mov_b32 s2, -1
	s_mov_b32 s14, 0
	s_mov_b32 s0, 0
	s_branch .LBB312_1080
.LBB312_1040:
	s_mov_b32 s0, -1
                                        ; implicit-def: $vgpr6
.LBB312_1041:
	s_delay_alu instid0(SALU_CYCLE_1)
	s_and_not1_b32 vcc_lo, exec_lo, s0
	s_cbranch_vccnz .LBB312_1043
; %bb.1042:
	global_load_b32 v3, v[0:1], off
	s_waitcnt vmcnt(0)
	v_cvt_i32_f32_e32 v6, v3
.LBB312_1043:
	s_mov_b32 s0, 0
.LBB312_1044:
	s_delay_alu instid0(SALU_CYCLE_1)
	s_and_not1_b32 vcc_lo, exec_lo, s0
	s_cbranch_vccnz .LBB312_1046
; %bb.1045:
	global_load_b32 v3, v[0:1], off
	s_waitcnt vmcnt(0)
	v_cvt_i16_f16_e32 v6, v3
.LBB312_1046:
	s_cbranch_execnz .LBB312_1057
.LBB312_1047:
	v_cmp_gt_i16_e32 vcc_lo, 6, v10
	s_cbranch_vccnz .LBB312_1050
; %bb.1048:
	v_cmp_lt_i16_e32 vcc_lo, 6, v10
	s_cbranch_vccz .LBB312_1051
; %bb.1049:
	global_load_b64 v[3:4], v[0:1], off
	s_mov_b32 s0, 0
	s_waitcnt vmcnt(0)
	v_cvt_i32_f64_e32 v6, v[3:4]
	s_branch .LBB312_1052
.LBB312_1050:
	s_mov_b32 s0, -1
                                        ; implicit-def: $vgpr6
	s_branch .LBB312_1055
.LBB312_1051:
	s_mov_b32 s0, -1
                                        ; implicit-def: $vgpr6
.LBB312_1052:
	s_delay_alu instid0(SALU_CYCLE_1)
	s_and_not1_b32 vcc_lo, exec_lo, s0
	s_cbranch_vccnz .LBB312_1054
; %bb.1053:
	global_load_b32 v3, v[0:1], off
	s_waitcnt vmcnt(0)
	v_cvt_i32_f32_e32 v6, v3
.LBB312_1054:
	s_mov_b32 s0, 0
.LBB312_1055:
	s_delay_alu instid0(SALU_CYCLE_1)
	s_and_not1_b32 vcc_lo, exec_lo, s0
	s_cbranch_vccnz .LBB312_1057
; %bb.1056:
	global_load_u16 v3, v[0:1], off
	s_waitcnt vmcnt(0)
	v_cvt_i16_f16_e32 v6, v3
.LBB312_1057:
	s_cbranch_execnz .LBB312_1076
.LBB312_1058:
	v_cmp_gt_i16_e32 vcc_lo, 2, v10
	s_cbranch_vccnz .LBB312_1062
; %bb.1059:
	v_cmp_gt_i16_e32 vcc_lo, 3, v10
	s_cbranch_vccnz .LBB312_1063
; %bb.1060:
	v_cmp_lt_i16_e32 vcc_lo, 3, v10
	s_cbranch_vccz .LBB312_1064
; %bb.1061:
	global_load_b64 v[6:7], v[0:1], off
	s_mov_b32 s0, 0
	s_branch .LBB312_1065
.LBB312_1062:
                                        ; implicit-def: $vgpr6
	s_branch .LBB312_1071
.LBB312_1063:
	s_mov_b32 s0, -1
                                        ; implicit-def: $vgpr6
	s_branch .LBB312_1068
.LBB312_1064:
	s_mov_b32 s0, -1
                                        ; implicit-def: $vgpr6
.LBB312_1065:
	s_delay_alu instid0(SALU_CYCLE_1)
	s_and_not1_b32 vcc_lo, exec_lo, s0
	s_cbranch_vccnz .LBB312_1067
; %bb.1066:
	global_load_b32 v6, v[0:1], off
.LBB312_1067:
	s_mov_b32 s0, 0
.LBB312_1068:
	s_delay_alu instid0(SALU_CYCLE_1)
	s_and_not1_b32 vcc_lo, exec_lo, s0
	s_cbranch_vccnz .LBB312_1070
; %bb.1069:
	global_load_u16 v6, v[0:1], off
.LBB312_1070:
	s_cbranch_execnz .LBB312_1076
.LBB312_1071:
	v_cmp_lt_i16_e32 vcc_lo, 0, v10
	s_mov_b32 s0, 0
	s_cbranch_vccz .LBB312_1073
; %bb.1072:
	global_load_i8 v6, v[0:1], off
	s_branch .LBB312_1074
.LBB312_1073:
	s_mov_b32 s0, -1
                                        ; implicit-def: $vgpr6
.LBB312_1074:
	s_delay_alu instid0(SALU_CYCLE_1)
	s_and_not1_b32 vcc_lo, exec_lo, s0
	s_cbranch_vccnz .LBB312_1076
; %bb.1075:
	global_load_u8 v6, v[0:1], off
.LBB312_1076:
	s_branch .LBB312_1140
.LBB312_1077:
	s_trap 2
	s_sendmsg_rtn_b32 s0, sendmsg(MSG_RTN_GET_DOORBELL)
	s_mov_b32 ttmp2, m0
	s_waitcnt lgkmcnt(0)
	s_and_b32 s0, s0, 0x3ff
	s_delay_alu instid0(SALU_CYCLE_1) | instskip(NEXT) | instid1(SALU_CYCLE_1)
	s_bitset1_b32 s0, 10
	s_mov_b32 m0, s0
	s_sendmsg sendmsg(MSG_INTERRUPT)
	s_mov_b32 m0, ttmp2
.LBB312_1078:                           ; =>This Inner Loop Header: Depth=1
	s_sethalt 5
	s_branch .LBB312_1078
.LBB312_1079:
	s_mov_b32 s0, -1
	s_mov_b32 s14, 0
.LBB312_1080:
                                        ; implicit-def: $vgpr6
.LBB312_1081:
	s_and_b32 vcc_lo, exec_lo, s2
	s_cbranch_vccz .LBB312_1084
; %bb.1082:
	v_cmp_eq_u16_e32 vcc_lo, 44, v10
	s_cbranch_vccz .LBB312_1085
; %bb.1083:
	global_load_u8 v3, v[0:1], off
	s_mov_b32 s0, 0
	s_mov_b32 s14, -1
	s_waitcnt vmcnt(0)
	v_lshlrev_b32_e32 v4, 23, v3
	v_cmp_ne_u32_e32 vcc_lo, 0, v3
	s_delay_alu instid0(VALU_DEP_2) | instskip(NEXT) | instid1(VALU_DEP_1)
	v_cvt_i32_f32_e32 v4, v4
	v_cndmask_b32_e32 v6, 0, v4, vcc_lo
.LBB312_1084:
	s_branch .LBB312_1089
.LBB312_1085:
	s_mov_b32 s0, -1
                                        ; implicit-def: $vgpr6
	s_branch .LBB312_1089
.LBB312_1086:
	v_cmp_eq_u16_e32 vcc_lo, 29, v10
	s_cbranch_vccz .LBB312_1088
; %bb.1087:
	global_load_b64 v[6:7], v[0:1], off
	s_mov_b32 s0, 0
	s_mov_b32 s14, -1
	s_branch .LBB312_1089
.LBB312_1088:
	s_mov_b32 s0, -1
                                        ; implicit-def: $vgpr6
.LBB312_1089:
	s_branch .LBB312_1105
.LBB312_1090:
	v_cmp_gt_i16_e32 vcc_lo, 27, v10
	s_cbranch_vccnz .LBB312_1093
; %bb.1091:
	v_cmp_lt_i16_e32 vcc_lo, 27, v10
	s_cbranch_vccz .LBB312_1094
; %bb.1092:
	global_load_b32 v6, v[0:1], off
	s_mov_b32 s2, 0
	s_branch .LBB312_1095
.LBB312_1093:
	s_mov_b32 s2, -1
                                        ; implicit-def: $vgpr6
	s_branch .LBB312_1098
.LBB312_1094:
	s_mov_b32 s2, -1
                                        ; implicit-def: $vgpr6
.LBB312_1095:
	s_delay_alu instid0(SALU_CYCLE_1)
	s_and_not1_b32 vcc_lo, exec_lo, s2
	s_cbranch_vccnz .LBB312_1097
; %bb.1096:
	global_load_u16 v6, v[0:1], off
.LBB312_1097:
	s_mov_b32 s2, 0
.LBB312_1098:
	s_delay_alu instid0(SALU_CYCLE_1)
	s_and_not1_b32 vcc_lo, exec_lo, s2
	s_cbranch_vccnz .LBB312_1104
; %bb.1099:
	global_load_u8 v3, v[0:1], off
	s_mov_b32 s2, 0
	s_mov_b32 s14, exec_lo
                                        ; implicit-def: $sgpr15
	s_waitcnt vmcnt(0)
	v_cmpx_lt_i16_e32 0x7f, v3
	s_xor_b32 s14, exec_lo, s14
	s_cbranch_execz .LBB312_1115
; %bb.1100:
	v_cmp_ne_u16_e32 vcc_lo, 0x80, v3
	s_mov_b32 s15, 0
	s_and_b32 s2, vcc_lo, exec_lo
	s_or_saveexec_b32 s14, s14
	v_mov_b32_e32 v6, s15
	s_xor_b32 exec_lo, exec_lo, s14
	s_cbranch_execnz .LBB312_1116
.LBB312_1101:
	s_or_b32 exec_lo, exec_lo, s14
	s_and_saveexec_b32 s14, s2
	s_cbranch_execz .LBB312_1103
.LBB312_1102:
	v_and_b32_e32 v4, 0xffff, v3
	v_lshlrev_b32_e32 v3, 24, v3
	s_delay_alu instid0(VALU_DEP_2) | instskip(NEXT) | instid1(VALU_DEP_2)
	v_and_b32_e32 v5, 7, v4
	v_and_b32_e32 v3, 0x80000000, v3
	s_delay_alu instid0(VALU_DEP_2) | instskip(NEXT) | instid1(VALU_DEP_1)
	v_clz_i32_u32_e32 v6, v5
	v_min_u32_e32 v6, 32, v6
	s_delay_alu instid0(VALU_DEP_1) | instskip(SKIP_1) | instid1(VALU_DEP_2)
	v_subrev_nc_u32_e32 v7, 28, v6
	v_sub_nc_u32_e32 v6, 29, v6
	v_lshlrev_b32_e32 v7, v7, v4
	v_bfe_u32 v4, v4, 3, 4
	s_delay_alu instid0(VALU_DEP_2) | instskip(NEXT) | instid1(VALU_DEP_2)
	v_and_b32_e32 v7, 7, v7
	v_cmp_eq_u32_e32 vcc_lo, 0, v4
	s_delay_alu instid0(VALU_DEP_2) | instskip(NEXT) | instid1(VALU_DEP_1)
	v_dual_cndmask_b32 v4, v4, v6 :: v_dual_cndmask_b32 v5, v5, v7
	v_lshl_add_u32 v4, v4, 23, 0x3b800000
	s_delay_alu instid0(VALU_DEP_2) | instskip(NEXT) | instid1(VALU_DEP_1)
	v_lshlrev_b32_e32 v5, 20, v5
	v_or3_b32 v3, v3, v4, v5
	s_delay_alu instid0(VALU_DEP_1)
	v_cvt_i32_f32_e32 v6, v3
.LBB312_1103:
	s_or_b32 exec_lo, exec_lo, s14
.LBB312_1104:
	s_mov_b32 s14, -1
.LBB312_1105:
	s_branch .LBB312_1135
.LBB312_1106:
	v_cmp_lt_i16_e32 vcc_lo, 22, v10
	s_cbranch_vccz .LBB312_1114
; %bb.1107:
	v_cmp_gt_i16_e32 vcc_lo, 24, v10
	s_cbranch_vccnz .LBB312_1117
; %bb.1108:
	v_cmp_lt_i16_e32 vcc_lo, 24, v10
	s_cbranch_vccz .LBB312_1118
; %bb.1109:
	global_load_u8 v3, v[0:1], off
	s_mov_b32 s2, 0
	s_mov_b32 s13, exec_lo
                                        ; implicit-def: $sgpr14
	s_waitcnt vmcnt(0)
	v_cmpx_lt_i16_e32 0x7f, v3
	s_xor_b32 s13, exec_lo, s13
	s_cbranch_execz .LBB312_1129
; %bb.1110:
	v_cmp_ne_u16_e32 vcc_lo, 0x80, v3
	s_mov_b32 s14, 0
	s_and_b32 s2, vcc_lo, exec_lo
	s_or_saveexec_b32 s13, s13
	v_mov_b32_e32 v6, s14
	s_xor_b32 exec_lo, exec_lo, s13
	s_cbranch_execnz .LBB312_1130
.LBB312_1111:
	s_or_b32 exec_lo, exec_lo, s13
	s_and_saveexec_b32 s13, s2
	s_cbranch_execz .LBB312_1113
.LBB312_1112:
	v_and_b32_e32 v4, 0xffff, v3
	v_lshlrev_b32_e32 v3, 24, v3
	s_delay_alu instid0(VALU_DEP_2) | instskip(NEXT) | instid1(VALU_DEP_2)
	v_and_b32_e32 v5, 3, v4
	v_and_b32_e32 v3, 0x80000000, v3
	s_delay_alu instid0(VALU_DEP_2) | instskip(NEXT) | instid1(VALU_DEP_1)
	v_clz_i32_u32_e32 v6, v5
	v_min_u32_e32 v6, 32, v6
	s_delay_alu instid0(VALU_DEP_1) | instskip(SKIP_1) | instid1(VALU_DEP_2)
	v_subrev_nc_u32_e32 v7, 29, v6
	v_sub_nc_u32_e32 v6, 30, v6
	v_lshlrev_b32_e32 v7, v7, v4
	v_bfe_u32 v4, v4, 2, 5
	s_delay_alu instid0(VALU_DEP_2) | instskip(NEXT) | instid1(VALU_DEP_2)
	v_and_b32_e32 v7, 3, v7
	v_cmp_eq_u32_e32 vcc_lo, 0, v4
	s_delay_alu instid0(VALU_DEP_2) | instskip(NEXT) | instid1(VALU_DEP_1)
	v_dual_cndmask_b32 v4, v4, v6 :: v_dual_cndmask_b32 v5, v5, v7
	v_lshl_add_u32 v4, v4, 23, 0x37800000
	s_delay_alu instid0(VALU_DEP_2) | instskip(NEXT) | instid1(VALU_DEP_1)
	v_lshlrev_b32_e32 v5, 21, v5
	v_or3_b32 v3, v3, v4, v5
	s_delay_alu instid0(VALU_DEP_1)
	v_cvt_i32_f32_e32 v6, v3
.LBB312_1113:
	s_or_b32 exec_lo, exec_lo, s13
	s_mov_b32 s2, 0
	s_branch .LBB312_1119
.LBB312_1114:
                                        ; implicit-def: $vgpr6
	s_mov_b32 s13, 0
	s_branch .LBB312_1125
.LBB312_1115:
	s_or_saveexec_b32 s14, s14
	v_mov_b32_e32 v6, s15
	s_xor_b32 exec_lo, exec_lo, s14
	s_cbranch_execz .LBB312_1101
.LBB312_1116:
	v_cmp_ne_u16_e32 vcc_lo, 0, v3
	v_mov_b32_e32 v6, 0
	s_and_not1_b32 s2, s2, exec_lo
	s_and_b32 s15, vcc_lo, exec_lo
	s_delay_alu instid0(SALU_CYCLE_1)
	s_or_b32 s2, s2, s15
	s_or_b32 exec_lo, exec_lo, s14
	s_and_saveexec_b32 s14, s2
	s_cbranch_execnz .LBB312_1102
	s_branch .LBB312_1103
.LBB312_1117:
	s_mov_b32 s2, -1
                                        ; implicit-def: $vgpr6
	s_branch .LBB312_1122
.LBB312_1118:
	s_mov_b32 s2, -1
                                        ; implicit-def: $vgpr6
.LBB312_1119:
	s_delay_alu instid0(SALU_CYCLE_1)
	s_and_b32 vcc_lo, exec_lo, s2
	s_cbranch_vccz .LBB312_1121
; %bb.1120:
	global_load_u8 v3, v[0:1], off
	s_waitcnt vmcnt(0)
	v_lshlrev_b32_e32 v3, 24, v3
	s_delay_alu instid0(VALU_DEP_1) | instskip(NEXT) | instid1(VALU_DEP_1)
	v_and_b32_e32 v4, 0x7f000000, v3
	v_clz_i32_u32_e32 v5, v4
	v_add_nc_u32_e32 v7, 0x1000000, v4
	v_cmp_ne_u32_e32 vcc_lo, 0, v4
	s_delay_alu instid0(VALU_DEP_3) | instskip(NEXT) | instid1(VALU_DEP_1)
	v_min_u32_e32 v5, 32, v5
	v_sub_nc_u32_e64 v5, v5, 4 clamp
	s_delay_alu instid0(VALU_DEP_1) | instskip(SKIP_1) | instid1(VALU_DEP_2)
	v_lshlrev_b32_e32 v6, v5, v4
	v_lshlrev_b32_e32 v5, 23, v5
	v_lshrrev_b32_e32 v6, 4, v6
	s_delay_alu instid0(VALU_DEP_1) | instskip(SKIP_1) | instid1(VALU_DEP_2)
	v_sub_nc_u32_e32 v5, v6, v5
	v_ashrrev_i32_e32 v6, 8, v7
	v_add_nc_u32_e32 v5, 0x3c000000, v5
	s_delay_alu instid0(VALU_DEP_1) | instskip(NEXT) | instid1(VALU_DEP_1)
	v_and_or_b32 v5, 0x7f800000, v6, v5
	v_cndmask_b32_e32 v4, 0, v5, vcc_lo
	s_delay_alu instid0(VALU_DEP_1) | instskip(NEXT) | instid1(VALU_DEP_1)
	v_and_or_b32 v3, 0x80000000, v3, v4
	v_cvt_i32_f32_e32 v6, v3
.LBB312_1121:
	s_mov_b32 s2, 0
.LBB312_1122:
	s_delay_alu instid0(SALU_CYCLE_1)
	s_and_not1_b32 vcc_lo, exec_lo, s2
	s_cbranch_vccnz .LBB312_1124
; %bb.1123:
	global_load_u8 v3, v[0:1], off
	s_waitcnt vmcnt(0)
	v_lshlrev_b32_e32 v4, 25, v3
	v_lshlrev_b16 v3, 8, v3
	s_delay_alu instid0(VALU_DEP_2) | instskip(NEXT) | instid1(VALU_DEP_2)
	v_lshrrev_b32_e32 v5, 4, v4
	v_and_or_b32 v6, 0x7f00, v3, 0.5
	v_bfe_i32 v3, v3, 0, 16
	s_delay_alu instid0(VALU_DEP_3) | instskip(NEXT) | instid1(VALU_DEP_1)
	v_or_b32_e32 v5, 0x70000000, v5
	v_dual_add_f32 v6, -0.5, v6 :: v_dual_mul_f32 v5, 0x7800000, v5
	v_cmp_gt_u32_e32 vcc_lo, 0x8000000, v4
	s_delay_alu instid0(VALU_DEP_2) | instskip(NEXT) | instid1(VALU_DEP_1)
	v_cndmask_b32_e32 v4, v5, v6, vcc_lo
	v_and_or_b32 v3, 0x80000000, v3, v4
	s_delay_alu instid0(VALU_DEP_1)
	v_cvt_i32_f32_e32 v6, v3
.LBB312_1124:
	s_mov_b32 s14, -1
	s_mov_b32 s13, 0
	s_cbranch_execnz .LBB312_1135
.LBB312_1125:
	v_cmp_lt_i16_e32 vcc_lo, 14, v10
	s_cbranch_vccz .LBB312_1128
; %bb.1126:
	v_cmp_eq_u16_e32 vcc_lo, 15, v10
	s_cbranch_vccz .LBB312_1131
; %bb.1127:
	global_load_u16 v3, v[0:1], off
	s_mov_b32 s0, 0
	s_mov_b32 s14, -1
	s_waitcnt vmcnt(0)
	v_lshlrev_b32_e32 v3, 16, v3
	s_delay_alu instid0(VALU_DEP_1)
	v_cvt_i32_f32_e32 v6, v3
	s_branch .LBB312_1132
.LBB312_1128:
	s_mov_b32 s2, -1
                                        ; implicit-def: $vgpr6
	s_branch .LBB312_1133
.LBB312_1129:
	s_or_saveexec_b32 s13, s13
	v_mov_b32_e32 v6, s14
	s_xor_b32 exec_lo, exec_lo, s13
	s_cbranch_execz .LBB312_1111
.LBB312_1130:
	v_cmp_ne_u16_e32 vcc_lo, 0, v3
	v_mov_b32_e32 v6, 0
	s_and_not1_b32 s2, s2, exec_lo
	s_and_b32 s14, vcc_lo, exec_lo
	s_delay_alu instid0(SALU_CYCLE_1)
	s_or_b32 s2, s2, s14
	s_or_b32 exec_lo, exec_lo, s13
	s_and_saveexec_b32 s13, s2
	s_cbranch_execnz .LBB312_1112
	s_branch .LBB312_1113
.LBB312_1131:
	s_mov_b32 s0, -1
                                        ; implicit-def: $vgpr6
.LBB312_1132:
	s_mov_b32 s2, 0
.LBB312_1133:
	s_delay_alu instid0(SALU_CYCLE_1)
	s_and_b32 vcc_lo, exec_lo, s2
	s_cbranch_vccz .LBB312_1135
; %bb.1134:
	v_cmp_ne_u16_e64 s0, 11, v10
	s_mov_b32 s13, -1
                                        ; implicit-def: $vgpr6
.LBB312_1135:
	s_delay_alu instid0(VALU_DEP_1)
	s_and_b32 vcc_lo, exec_lo, s0
	s_mov_b32 s2, s12
	s_cbranch_vccnz .LBB312_1159
; %bb.1136:
	s_and_not1_b32 vcc_lo, exec_lo, s13
	s_cbranch_vccnz .LBB312_1138
.LBB312_1137:
	global_load_u8 v3, v[0:1], off
	s_mov_b32 s14, -1
	s_waitcnt vmcnt(0)
	v_cmp_ne_u16_e32 vcc_lo, 0, v3
	v_cndmask_b32_e64 v6, 0, 1, vcc_lo
.LBB312_1138:
.LBB312_1139:
	s_and_not1_b32 vcc_lo, exec_lo, s14
	s_cbranch_vccnz .LBB312_1963
.LBB312_1140:
	s_lshl_b32 s9, s9, 7
	v_cmp_gt_i16_e32 vcc_lo, 11, v10
	v_add_nc_u32_e32 v2, s9, v2
	s_delay_alu instid0(VALU_DEP_1) | instskip(SKIP_1) | instid1(VALU_DEP_1)
	v_ashrrev_i32_e32 v1, 31, v2
	v_add_co_u32 v0, s0, s6, v2
	v_add_co_ci_u32_e64 v1, s0, s7, v1, s0
	s_cbranch_vccnz .LBB312_1147
; %bb.1141:
	v_cmp_lt_i16_e32 vcc_lo, 25, v10
	s_mov_b32 s13, 0
	s_cbranch_vccz .LBB312_1153
; %bb.1142:
	v_cmp_lt_i16_e32 vcc_lo, 28, v10
	s_cbranch_vccz .LBB312_1155
; %bb.1143:
	v_cmp_lt_i16_e32 vcc_lo, 43, v10
	;; [unrolled: 3-line block ×3, first 2 shown]
	s_cbranch_vccz .LBB312_1163
; %bb.1145:
	v_cmp_eq_u16_e32 vcc_lo, 46, v10
	s_mov_b32 s15, 0
	s_cbranch_vccz .LBB312_1207
; %bb.1146:
	global_load_b32 v3, v[0:1], off
	s_mov_b32 s0, 0
	s_mov_b32 s14, -1
	s_waitcnt vmcnt(0)
	v_lshlrev_b32_e32 v3, 16, v3
	s_delay_alu instid0(VALU_DEP_1)
	v_cvt_i32_f32_e32 v4, v3
	s_branch .LBB312_1209
.LBB312_1147:
	s_mov_b32 s14, 0
                                        ; implicit-def: $vgpr4
	s_cbranch_execz .LBB312_1270
; %bb.1148:
	v_cmp_gt_i16_e32 vcc_lo, 5, v10
	s_cbranch_vccnz .LBB312_1154
; %bb.1149:
	v_cmp_gt_i16_e32 vcc_lo, 8, v10
	s_cbranch_vccnz .LBB312_1156
; %bb.1150:
	v_cmp_gt_i16_e32 vcc_lo, 9, v10
	s_cbranch_vccnz .LBB312_1158
; %bb.1151:
	v_cmp_lt_i16_e32 vcc_lo, 9, v10
	s_cbranch_vccz .LBB312_1164
; %bb.1152:
	global_load_b64 v[3:4], v[0:1], off
	s_mov_b32 s0, 0
	s_waitcnt vmcnt(0)
	v_cvt_i32_f64_e32 v4, v[3:4]
	s_branch .LBB312_1165
.LBB312_1153:
	s_mov_b32 s14, 0
	s_mov_b32 s0, 0
                                        ; implicit-def: $vgpr4
	s_cbranch_execnz .LBB312_1236
	s_branch .LBB312_1266
.LBB312_1154:
                                        ; implicit-def: $vgpr4
	s_branch .LBB312_1183
.LBB312_1155:
	s_mov_b32 s15, -1
	s_mov_b32 s14, 0
	s_mov_b32 s0, 0
                                        ; implicit-def: $vgpr4
	s_branch .LBB312_1219
.LBB312_1156:
	s_mov_b32 s0, -1
                                        ; implicit-def: $vgpr4
	s_branch .LBB312_1171
.LBB312_1157:
	s_mov_b32 s15, -1
	s_mov_b32 s14, 0
	s_mov_b32 s0, 0
                                        ; implicit-def: $vgpr4
	s_branch .LBB312_1214
.LBB312_1158:
	s_mov_b32 s0, -1
                                        ; implicit-def: $vgpr4
	s_branch .LBB312_1168
.LBB312_1159:
	s_cbranch_execnz .LBB312_1203
; %bb.1160:
	s_or_b32 s2, s12, exec_lo
                                        ; implicit-def: $vgpr6
	s_cbranch_execz .LBB312_1137
	s_branch .LBB312_1138
.LBB312_1161:
	s_or_saveexec_b32 s17, s17
                                        ; implicit-def: $sgpr18
	s_delay_alu instid0(SALU_CYCLE_1)
	s_xor_b32 exec_lo, exec_lo, s17
	s_cbranch_execz .LBB312_928
.LBB312_1162:
	v_add_f32_e64 v5, 0x46000000, |v2|
	s_and_not1_b32 s16, s16, exec_lo
	s_mov_b32 s18, 0
	s_delay_alu instid0(VALU_DEP_1) | instskip(NEXT) | instid1(VALU_DEP_1)
	v_and_b32_e32 v5, 0xff, v5
	v_cmp_ne_u32_e32 vcc_lo, 0, v5
	s_and_b32 s19, vcc_lo, exec_lo
	s_delay_alu instid0(SALU_CYCLE_1)
	s_or_b32 s16, s16, s19
	s_or_b32 exec_lo, exec_lo, s17
	v_mov_b32_e32 v6, s18
	s_and_saveexec_b32 s17, s16
	s_cbranch_execnz .LBB312_929
	s_branch .LBB312_930
.LBB312_1163:
	s_mov_b32 s15, -1
	s_mov_b32 s14, 0
	s_mov_b32 s0, 0
	s_branch .LBB312_1208
.LBB312_1164:
	s_mov_b32 s0, -1
                                        ; implicit-def: $vgpr4
.LBB312_1165:
	s_delay_alu instid0(SALU_CYCLE_1)
	s_and_not1_b32 vcc_lo, exec_lo, s0
	s_cbranch_vccnz .LBB312_1167
; %bb.1166:
	global_load_b32 v3, v[0:1], off
	s_waitcnt vmcnt(0)
	v_cvt_i32_f32_e32 v4, v3
.LBB312_1167:
	s_mov_b32 s0, 0
.LBB312_1168:
	s_delay_alu instid0(SALU_CYCLE_1)
	s_and_not1_b32 vcc_lo, exec_lo, s0
	s_cbranch_vccnz .LBB312_1170
; %bb.1169:
	global_load_b32 v3, v[0:1], off
	s_waitcnt vmcnt(0)
	v_cvt_i16_f16_e32 v4, v3
.LBB312_1170:
	s_mov_b32 s0, 0
.LBB312_1171:
	s_delay_alu instid0(SALU_CYCLE_1)
	s_and_not1_b32 vcc_lo, exec_lo, s0
	s_cbranch_vccnz .LBB312_1182
; %bb.1172:
	v_cmp_gt_i16_e32 vcc_lo, 6, v10
	s_cbranch_vccnz .LBB312_1175
; %bb.1173:
	v_cmp_lt_i16_e32 vcc_lo, 6, v10
	s_cbranch_vccz .LBB312_1176
; %bb.1174:
	global_load_b64 v[3:4], v[0:1], off
	s_mov_b32 s0, 0
	s_waitcnt vmcnt(0)
	v_cvt_i32_f64_e32 v4, v[3:4]
	s_branch .LBB312_1177
.LBB312_1175:
	s_mov_b32 s0, -1
                                        ; implicit-def: $vgpr4
	s_branch .LBB312_1180
.LBB312_1176:
	s_mov_b32 s0, -1
                                        ; implicit-def: $vgpr4
.LBB312_1177:
	s_delay_alu instid0(SALU_CYCLE_1)
	s_and_not1_b32 vcc_lo, exec_lo, s0
	s_cbranch_vccnz .LBB312_1179
; %bb.1178:
	global_load_b32 v3, v[0:1], off
	s_waitcnt vmcnt(0)
	v_cvt_i32_f32_e32 v4, v3
.LBB312_1179:
	s_mov_b32 s0, 0
.LBB312_1180:
	s_delay_alu instid0(SALU_CYCLE_1)
	s_and_not1_b32 vcc_lo, exec_lo, s0
	s_cbranch_vccnz .LBB312_1182
; %bb.1181:
	global_load_u16 v3, v[0:1], off
	s_waitcnt vmcnt(0)
	v_cvt_i16_f16_e32 v4, v3
.LBB312_1182:
	s_cbranch_execnz .LBB312_1202
.LBB312_1183:
	v_cmp_gt_i16_e32 vcc_lo, 2, v10
	s_cbranch_vccnz .LBB312_1187
; %bb.1184:
	v_cmp_gt_i16_e32 vcc_lo, 3, v10
	s_cbranch_vccnz .LBB312_1188
; %bb.1185:
	v_cmp_lt_i16_e32 vcc_lo, 3, v10
	s_cbranch_vccz .LBB312_1189
; %bb.1186:
	global_load_b64 v[4:5], v[0:1], off
	s_mov_b32 s0, 0
	s_branch .LBB312_1190
.LBB312_1187:
	s_mov_b32 s0, -1
                                        ; implicit-def: $vgpr4
	s_branch .LBB312_1196
.LBB312_1188:
	s_mov_b32 s0, -1
                                        ; implicit-def: $vgpr4
	s_branch .LBB312_1193
.LBB312_1189:
	s_mov_b32 s0, -1
                                        ; implicit-def: $vgpr4
.LBB312_1190:
	s_delay_alu instid0(SALU_CYCLE_1)
	s_and_not1_b32 vcc_lo, exec_lo, s0
	s_cbranch_vccnz .LBB312_1192
; %bb.1191:
	global_load_b32 v4, v[0:1], off
.LBB312_1192:
	s_mov_b32 s0, 0
.LBB312_1193:
	s_delay_alu instid0(SALU_CYCLE_1)
	s_and_not1_b32 vcc_lo, exec_lo, s0
	s_cbranch_vccnz .LBB312_1195
; %bb.1194:
	global_load_u16 v4, v[0:1], off
.LBB312_1195:
	s_mov_b32 s0, 0
.LBB312_1196:
	s_delay_alu instid0(SALU_CYCLE_1)
	s_and_not1_b32 vcc_lo, exec_lo, s0
	s_cbranch_vccnz .LBB312_1202
; %bb.1197:
	v_cmp_lt_i16_e32 vcc_lo, 0, v10
	s_mov_b32 s0, 0
	s_cbranch_vccz .LBB312_1199
; %bb.1198:
	global_load_i8 v4, v[0:1], off
	s_branch .LBB312_1200
.LBB312_1199:
	s_mov_b32 s0, -1
                                        ; implicit-def: $vgpr4
.LBB312_1200:
	s_delay_alu instid0(SALU_CYCLE_1)
	s_and_not1_b32 vcc_lo, exec_lo, s0
	s_cbranch_vccnz .LBB312_1202
; %bb.1201:
	global_load_u8 v4, v[0:1], off
.LBB312_1202:
	s_branch .LBB312_1271
.LBB312_1203:
	s_trap 2
	s_sendmsg_rtn_b32 s0, sendmsg(MSG_RTN_GET_DOORBELL)
	s_mov_b32 ttmp2, m0
	s_waitcnt lgkmcnt(0)
	s_and_b32 s0, s0, 0x3ff
	s_delay_alu instid0(SALU_CYCLE_1) | instskip(NEXT) | instid1(SALU_CYCLE_1)
	s_bitset1_b32 s0, 10
	s_mov_b32 m0, s0
	s_sendmsg sendmsg(MSG_INTERRUPT)
	s_mov_b32 m0, ttmp2
.LBB312_1204:                           ; =>This Inner Loop Header: Depth=1
	s_sethalt 5
	s_branch .LBB312_1204
.LBB312_1205:
	s_or_saveexec_b32 s18, s18
                                        ; implicit-def: $sgpr19
	s_delay_alu instid0(SALU_CYCLE_1)
	s_xor_b32 exec_lo, exec_lo, s18
	s_cbranch_execz .LBB312_940
.LBB312_1206:
	v_add_f32_e64 v5, 0x42800000, |v2|
	s_and_not1_b32 s17, s17, exec_lo
	s_mov_b32 s19, 0
	s_delay_alu instid0(VALU_DEP_1) | instskip(NEXT) | instid1(VALU_DEP_1)
	v_and_b32_e32 v5, 0xff, v5
	v_cmp_ne_u32_e32 vcc_lo, 0, v5
	s_and_b32 s20, vcc_lo, exec_lo
	s_delay_alu instid0(SALU_CYCLE_1)
	s_or_b32 s17, s17, s20
	s_or_b32 exec_lo, exec_lo, s18
	v_mov_b32_e32 v6, s19
	s_and_saveexec_b32 s18, s17
	s_cbranch_execnz .LBB312_941
	s_branch .LBB312_942
.LBB312_1207:
	s_mov_b32 s0, -1
	s_mov_b32 s14, 0
.LBB312_1208:
                                        ; implicit-def: $vgpr4
.LBB312_1209:
	s_and_b32 vcc_lo, exec_lo, s15
	s_cbranch_vccz .LBB312_1213
; %bb.1210:
	v_cmp_eq_u16_e32 vcc_lo, 44, v10
	s_cbranch_vccz .LBB312_1212
; %bb.1211:
	global_load_u8 v3, v[0:1], off
	s_mov_b32 s0, 0
	s_mov_b32 s14, -1
	s_waitcnt vmcnt(0)
	v_lshlrev_b32_e32 v4, 23, v3
	v_cmp_ne_u32_e32 vcc_lo, 0, v3
	s_delay_alu instid0(VALU_DEP_2) | instskip(NEXT) | instid1(VALU_DEP_1)
	v_cvt_i32_f32_e32 v4, v4
	v_cndmask_b32_e32 v4, 0, v4, vcc_lo
	s_branch .LBB312_1213
.LBB312_1212:
	s_mov_b32 s0, -1
                                        ; implicit-def: $vgpr4
.LBB312_1213:
	s_mov_b32 s15, 0
.LBB312_1214:
	s_delay_alu instid0(SALU_CYCLE_1)
	s_and_b32 vcc_lo, exec_lo, s15
	s_cbranch_vccz .LBB312_1218
; %bb.1215:
	v_cmp_eq_u16_e32 vcc_lo, 29, v10
	s_cbranch_vccz .LBB312_1217
; %bb.1216:
	global_load_b64 v[4:5], v[0:1], off
	s_mov_b32 s0, 0
	s_mov_b32 s14, -1
	s_branch .LBB312_1218
.LBB312_1217:
	s_mov_b32 s0, -1
                                        ; implicit-def: $vgpr4
.LBB312_1218:
	s_mov_b32 s15, 0
.LBB312_1219:
	s_delay_alu instid0(SALU_CYCLE_1)
	s_and_b32 vcc_lo, exec_lo, s15
	s_cbranch_vccz .LBB312_1235
; %bb.1220:
	v_cmp_gt_i16_e32 vcc_lo, 27, v10
	s_cbranch_vccnz .LBB312_1223
; %bb.1221:
	v_cmp_lt_i16_e32 vcc_lo, 27, v10
	s_cbranch_vccz .LBB312_1224
; %bb.1222:
	global_load_b32 v4, v[0:1], off
	s_mov_b32 s14, 0
	s_branch .LBB312_1225
.LBB312_1223:
	s_mov_b32 s14, -1
                                        ; implicit-def: $vgpr4
	s_branch .LBB312_1228
.LBB312_1224:
	s_mov_b32 s14, -1
                                        ; implicit-def: $vgpr4
.LBB312_1225:
	s_delay_alu instid0(SALU_CYCLE_1)
	s_and_not1_b32 vcc_lo, exec_lo, s14
	s_cbranch_vccnz .LBB312_1227
; %bb.1226:
	global_load_u16 v4, v[0:1], off
.LBB312_1227:
	s_mov_b32 s14, 0
.LBB312_1228:
	s_delay_alu instid0(SALU_CYCLE_1)
	s_and_not1_b32 vcc_lo, exec_lo, s14
	s_cbranch_vccnz .LBB312_1234
; %bb.1229:
	global_load_u8 v3, v[0:1], off
	s_mov_b32 s14, 0
	s_mov_b32 s15, exec_lo
                                        ; implicit-def: $sgpr16
	s_waitcnt vmcnt(0)
	v_cmpx_lt_i16_e32 0x7f, v3
	s_xor_b32 s15, exec_lo, s15
	s_cbranch_execz .LBB312_1245
; %bb.1230:
	v_cmp_ne_u16_e32 vcc_lo, 0x80, v3
	s_mov_b32 s16, 0
	s_and_b32 s14, vcc_lo, exec_lo
	s_or_saveexec_b32 s15, s15
	v_mov_b32_e32 v4, s16
	s_xor_b32 exec_lo, exec_lo, s15
	s_cbranch_execnz .LBB312_1246
.LBB312_1231:
	s_or_b32 exec_lo, exec_lo, s15
	s_and_saveexec_b32 s15, s14
	s_cbranch_execz .LBB312_1233
.LBB312_1232:
	v_and_b32_e32 v4, 0xffff, v3
	v_lshlrev_b32_e32 v3, 24, v3
	s_delay_alu instid0(VALU_DEP_2) | instskip(NEXT) | instid1(VALU_DEP_2)
	v_and_b32_e32 v5, 7, v4
	v_and_b32_e32 v3, 0x80000000, v3
	s_delay_alu instid0(VALU_DEP_2) | instskip(NEXT) | instid1(VALU_DEP_1)
	v_clz_i32_u32_e32 v7, v5
	v_min_u32_e32 v7, 32, v7
	s_delay_alu instid0(VALU_DEP_1) | instskip(SKIP_1) | instid1(VALU_DEP_2)
	v_subrev_nc_u32_e32 v8, 28, v7
	v_sub_nc_u32_e32 v7, 29, v7
	v_lshlrev_b32_e32 v8, v8, v4
	v_bfe_u32 v4, v4, 3, 4
	s_delay_alu instid0(VALU_DEP_2) | instskip(NEXT) | instid1(VALU_DEP_2)
	v_and_b32_e32 v8, 7, v8
	v_cmp_eq_u32_e32 vcc_lo, 0, v4
	s_delay_alu instid0(VALU_DEP_2) | instskip(NEXT) | instid1(VALU_DEP_1)
	v_dual_cndmask_b32 v4, v4, v7 :: v_dual_cndmask_b32 v5, v5, v8
	v_lshl_add_u32 v4, v4, 23, 0x3b800000
	s_delay_alu instid0(VALU_DEP_2) | instskip(NEXT) | instid1(VALU_DEP_1)
	v_lshlrev_b32_e32 v5, 20, v5
	v_or3_b32 v3, v3, v4, v5
	s_delay_alu instid0(VALU_DEP_1)
	v_cvt_i32_f32_e32 v4, v3
.LBB312_1233:
	s_or_b32 exec_lo, exec_lo, s15
.LBB312_1234:
	s_mov_b32 s14, -1
.LBB312_1235:
	s_branch .LBB312_1266
.LBB312_1236:
	v_cmp_lt_i16_e32 vcc_lo, 22, v10
	s_cbranch_vccz .LBB312_1244
; %bb.1237:
	v_cmp_gt_i16_e32 vcc_lo, 24, v10
	s_cbranch_vccnz .LBB312_1247
; %bb.1238:
	v_cmp_lt_i16_e32 vcc_lo, 24, v10
	s_cbranch_vccz .LBB312_1248
; %bb.1239:
	global_load_u8 v3, v[0:1], off
	s_mov_b32 s14, exec_lo
                                        ; implicit-def: $sgpr15
	s_waitcnt vmcnt(0)
	v_cmpx_lt_i16_e32 0x7f, v3
	s_xor_b32 s14, exec_lo, s14
	s_cbranch_execz .LBB312_1260
; %bb.1240:
	v_cmp_ne_u16_e32 vcc_lo, 0x80, v3
	s_mov_b32 s15, 0
	s_and_b32 s13, vcc_lo, exec_lo
	s_or_saveexec_b32 s14, s14
	v_mov_b32_e32 v4, s15
	s_xor_b32 exec_lo, exec_lo, s14
	s_cbranch_execnz .LBB312_1261
.LBB312_1241:
	s_or_b32 exec_lo, exec_lo, s14
	s_and_saveexec_b32 s14, s13
	s_cbranch_execz .LBB312_1243
.LBB312_1242:
	v_and_b32_e32 v4, 0xffff, v3
	v_lshlrev_b32_e32 v3, 24, v3
	s_delay_alu instid0(VALU_DEP_2) | instskip(NEXT) | instid1(VALU_DEP_2)
	v_and_b32_e32 v5, 3, v4
	v_and_b32_e32 v3, 0x80000000, v3
	s_delay_alu instid0(VALU_DEP_2) | instskip(NEXT) | instid1(VALU_DEP_1)
	v_clz_i32_u32_e32 v7, v5
	v_min_u32_e32 v7, 32, v7
	s_delay_alu instid0(VALU_DEP_1) | instskip(SKIP_1) | instid1(VALU_DEP_2)
	v_subrev_nc_u32_e32 v8, 29, v7
	v_sub_nc_u32_e32 v7, 30, v7
	v_lshlrev_b32_e32 v8, v8, v4
	v_bfe_u32 v4, v4, 2, 5
	s_delay_alu instid0(VALU_DEP_2) | instskip(NEXT) | instid1(VALU_DEP_2)
	v_and_b32_e32 v8, 3, v8
	v_cmp_eq_u32_e32 vcc_lo, 0, v4
	s_delay_alu instid0(VALU_DEP_2) | instskip(NEXT) | instid1(VALU_DEP_1)
	v_dual_cndmask_b32 v4, v4, v7 :: v_dual_cndmask_b32 v5, v5, v8
	v_lshl_add_u32 v4, v4, 23, 0x37800000
	s_delay_alu instid0(VALU_DEP_2) | instskip(NEXT) | instid1(VALU_DEP_1)
	v_lshlrev_b32_e32 v5, 21, v5
	v_or3_b32 v3, v3, v4, v5
	s_delay_alu instid0(VALU_DEP_1)
	v_cvt_i32_f32_e32 v4, v3
.LBB312_1243:
	s_or_b32 exec_lo, exec_lo, s14
	s_mov_b32 s13, 0
	s_branch .LBB312_1249
.LBB312_1244:
	s_mov_b32 s13, -1
                                        ; implicit-def: $vgpr4
	s_branch .LBB312_1255
.LBB312_1245:
	s_or_saveexec_b32 s15, s15
	v_mov_b32_e32 v4, s16
	s_xor_b32 exec_lo, exec_lo, s15
	s_cbranch_execz .LBB312_1231
.LBB312_1246:
	v_cmp_ne_u16_e32 vcc_lo, 0, v3
	v_mov_b32_e32 v4, 0
	s_and_not1_b32 s14, s14, exec_lo
	s_and_b32 s16, vcc_lo, exec_lo
	s_delay_alu instid0(SALU_CYCLE_1)
	s_or_b32 s14, s14, s16
	s_or_b32 exec_lo, exec_lo, s15
	s_and_saveexec_b32 s15, s14
	s_cbranch_execnz .LBB312_1232
	s_branch .LBB312_1233
.LBB312_1247:
	s_mov_b32 s13, -1
                                        ; implicit-def: $vgpr4
	s_branch .LBB312_1252
.LBB312_1248:
	s_mov_b32 s13, -1
                                        ; implicit-def: $vgpr4
.LBB312_1249:
	s_delay_alu instid0(SALU_CYCLE_1)
	s_and_b32 vcc_lo, exec_lo, s13
	s_cbranch_vccz .LBB312_1251
; %bb.1250:
	global_load_u8 v3, v[0:1], off
	s_waitcnt vmcnt(0)
	v_lshlrev_b32_e32 v3, 24, v3
	s_delay_alu instid0(VALU_DEP_1) | instskip(NEXT) | instid1(VALU_DEP_1)
	v_and_b32_e32 v4, 0x7f000000, v3
	v_clz_i32_u32_e32 v5, v4
	v_add_nc_u32_e32 v8, 0x1000000, v4
	v_cmp_ne_u32_e32 vcc_lo, 0, v4
	s_delay_alu instid0(VALU_DEP_3) | instskip(NEXT) | instid1(VALU_DEP_1)
	v_min_u32_e32 v5, 32, v5
	v_sub_nc_u32_e64 v5, v5, 4 clamp
	s_delay_alu instid0(VALU_DEP_1) | instskip(SKIP_1) | instid1(VALU_DEP_2)
	v_lshlrev_b32_e32 v7, v5, v4
	v_lshlrev_b32_e32 v5, 23, v5
	v_lshrrev_b32_e32 v7, 4, v7
	s_delay_alu instid0(VALU_DEP_1) | instskip(SKIP_1) | instid1(VALU_DEP_2)
	v_sub_nc_u32_e32 v5, v7, v5
	v_ashrrev_i32_e32 v7, 8, v8
	v_add_nc_u32_e32 v5, 0x3c000000, v5
	s_delay_alu instid0(VALU_DEP_1) | instskip(NEXT) | instid1(VALU_DEP_1)
	v_and_or_b32 v5, 0x7f800000, v7, v5
	v_cndmask_b32_e32 v4, 0, v5, vcc_lo
	s_delay_alu instid0(VALU_DEP_1) | instskip(NEXT) | instid1(VALU_DEP_1)
	v_and_or_b32 v3, 0x80000000, v3, v4
	v_cvt_i32_f32_e32 v4, v3
.LBB312_1251:
	s_mov_b32 s13, 0
.LBB312_1252:
	s_delay_alu instid0(SALU_CYCLE_1)
	s_and_not1_b32 vcc_lo, exec_lo, s13
	s_cbranch_vccnz .LBB312_1254
; %bb.1253:
	global_load_u8 v3, v[0:1], off
	s_waitcnt vmcnt(0)
	v_lshlrev_b32_e32 v4, 25, v3
	v_lshlrev_b16 v3, 8, v3
	s_delay_alu instid0(VALU_DEP_2) | instskip(NEXT) | instid1(VALU_DEP_2)
	v_lshrrev_b32_e32 v5, 4, v4
	v_and_or_b32 v7, 0x7f00, v3, 0.5
	v_bfe_i32 v3, v3, 0, 16
	s_delay_alu instid0(VALU_DEP_3) | instskip(NEXT) | instid1(VALU_DEP_3)
	v_or_b32_e32 v5, 0x70000000, v5
	v_add_f32_e32 v7, -0.5, v7
	s_delay_alu instid0(VALU_DEP_2) | instskip(SKIP_1) | instid1(VALU_DEP_2)
	v_mul_f32_e32 v5, 0x7800000, v5
	v_cmp_gt_u32_e32 vcc_lo, 0x8000000, v4
	v_cndmask_b32_e32 v4, v5, v7, vcc_lo
	s_delay_alu instid0(VALU_DEP_1) | instskip(NEXT) | instid1(VALU_DEP_1)
	v_and_or_b32 v3, 0x80000000, v3, v4
	v_cvt_i32_f32_e32 v4, v3
.LBB312_1254:
	s_mov_b32 s13, 0
	s_mov_b32 s14, -1
.LBB312_1255:
	s_and_not1_b32 vcc_lo, exec_lo, s13
	s_mov_b32 s13, 0
	s_cbranch_vccnz .LBB312_1266
; %bb.1256:
	v_cmp_lt_i16_e32 vcc_lo, 14, v10
	s_cbranch_vccz .LBB312_1259
; %bb.1257:
	v_cmp_eq_u16_e32 vcc_lo, 15, v10
	s_cbranch_vccz .LBB312_1262
; %bb.1258:
	global_load_u16 v3, v[0:1], off
	s_mov_b32 s0, 0
	s_mov_b32 s14, -1
	s_waitcnt vmcnt(0)
	v_lshlrev_b32_e32 v3, 16, v3
	s_delay_alu instid0(VALU_DEP_1)
	v_cvt_i32_f32_e32 v4, v3
	s_branch .LBB312_1264
.LBB312_1259:
	s_mov_b32 s13, -1
	s_branch .LBB312_1263
.LBB312_1260:
	s_or_saveexec_b32 s14, s14
	v_mov_b32_e32 v4, s15
	s_xor_b32 exec_lo, exec_lo, s14
	s_cbranch_execz .LBB312_1241
.LBB312_1261:
	v_cmp_ne_u16_e32 vcc_lo, 0, v3
	v_mov_b32_e32 v4, 0
	s_and_not1_b32 s13, s13, exec_lo
	s_and_b32 s15, vcc_lo, exec_lo
	s_delay_alu instid0(SALU_CYCLE_1)
	s_or_b32 s13, s13, s15
	s_or_b32 exec_lo, exec_lo, s14
	s_and_saveexec_b32 s14, s13
	s_cbranch_execnz .LBB312_1242
	s_branch .LBB312_1243
.LBB312_1262:
	s_mov_b32 s0, -1
.LBB312_1263:
                                        ; implicit-def: $vgpr4
.LBB312_1264:
	s_and_b32 vcc_lo, exec_lo, s13
	s_mov_b32 s13, 0
	s_cbranch_vccz .LBB312_1266
; %bb.1265:
	v_cmp_ne_u16_e64 s0, 11, v10
	s_mov_b32 s13, -1
                                        ; implicit-def: $vgpr4
.LBB312_1266:
	s_delay_alu instid0(VALU_DEP_1)
	s_and_b32 vcc_lo, exec_lo, s0
	s_cbranch_vccnz .LBB312_1290
; %bb.1267:
	s_and_not1_b32 vcc_lo, exec_lo, s13
	s_cbranch_vccnz .LBB312_1269
.LBB312_1268:
	global_load_u8 v3, v[0:1], off
	s_mov_b32 s14, -1
	s_waitcnt vmcnt(0)
	v_cmp_ne_u16_e32 vcc_lo, 0, v3
	v_cndmask_b32_e64 v4, 0, 1, vcc_lo
.LBB312_1269:
.LBB312_1270:
	s_and_not1_b32 vcc_lo, exec_lo, s14
	s_cbranch_vccnz .LBB312_1963
.LBB312_1271:
	s_waitcnt vmcnt(0)
	v_add_nc_u32_e32 v5, s9, v2
	v_cmp_gt_i16_e32 vcc_lo, 11, v10
	s_delay_alu instid0(VALU_DEP_2) | instskip(SKIP_1) | instid1(VALU_DEP_1)
	v_ashrrev_i32_e32 v1, 31, v5
	v_add_co_u32 v0, s0, s6, v5
	v_add_co_ci_u32_e64 v1, s0, s7, v1, s0
	s_cbranch_vccnz .LBB312_1278
; %bb.1272:
	v_cmp_lt_i16_e32 vcc_lo, 25, v10
	s_mov_b32 s13, 0
	s_cbranch_vccz .LBB312_1284
; %bb.1273:
	v_cmp_lt_i16_e32 vcc_lo, 28, v10
	s_cbranch_vccz .LBB312_1286
; %bb.1274:
	v_cmp_lt_i16_e32 vcc_lo, 43, v10
	;; [unrolled: 3-line block ×3, first 2 shown]
	s_cbranch_vccz .LBB312_1292
; %bb.1276:
	v_cmp_eq_u16_e32 vcc_lo, 46, v10
	s_mov_b32 s15, 0
	s_cbranch_vccz .LBB312_1335
; %bb.1277:
	global_load_b32 v2, v[0:1], off
	s_mov_b32 s0, 0
	s_mov_b32 s14, -1
	s_waitcnt vmcnt(0)
	v_lshlrev_b32_e32 v2, 16, v2
	s_delay_alu instid0(VALU_DEP_1)
	v_cvt_i32_f32_e32 v2, v2
	s_branch .LBB312_1337
.LBB312_1278:
	s_mov_b32 s14, 0
                                        ; implicit-def: $vgpr2
	s_cbranch_execz .LBB312_1399
; %bb.1279:
	v_cmp_gt_i16_e32 vcc_lo, 5, v10
	s_cbranch_vccnz .LBB312_1285
; %bb.1280:
	v_cmp_gt_i16_e32 vcc_lo, 8, v10
	s_cbranch_vccnz .LBB312_1287
	;; [unrolled: 3-line block ×3, first 2 shown]
; %bb.1282:
	v_cmp_lt_i16_e32 vcc_lo, 9, v10
	s_cbranch_vccz .LBB312_1293
; %bb.1283:
	global_load_b64 v[2:3], v[0:1], off
	s_mov_b32 s0, 0
	s_waitcnt vmcnt(0)
	v_cvt_i32_f64_e32 v2, v[2:3]
	s_branch .LBB312_1294
.LBB312_1284:
	s_mov_b32 s15, -1
	s_mov_b32 s14, 0
	s_mov_b32 s0, 0
                                        ; implicit-def: $vgpr2
	s_branch .LBB312_1364
.LBB312_1285:
	s_mov_b32 s0, -1
                                        ; implicit-def: $vgpr2
	s_branch .LBB312_1312
.LBB312_1286:
	s_mov_b32 s15, -1
	s_mov_b32 s14, 0
	s_mov_b32 s0, 0
                                        ; implicit-def: $vgpr2
	s_branch .LBB312_1347
.LBB312_1287:
	s_mov_b32 s0, -1
                                        ; implicit-def: $vgpr2
	s_branch .LBB312_1300
.LBB312_1288:
	s_mov_b32 s15, -1
	s_mov_b32 s14, 0
	s_mov_b32 s0, 0
                                        ; implicit-def: $vgpr2
	s_branch .LBB312_1342
.LBB312_1289:
	s_mov_b32 s0, -1
                                        ; implicit-def: $vgpr2
	s_branch .LBB312_1297
.LBB312_1290:
	s_cbranch_execnz .LBB312_1333
; %bb.1291:
	s_or_b32 s2, s2, exec_lo
                                        ; implicit-def: $vgpr4
	s_cbranch_execz .LBB312_1268
	s_branch .LBB312_1269
.LBB312_1292:
	s_mov_b32 s15, -1
	s_mov_b32 s14, 0
	s_mov_b32 s0, 0
	s_branch .LBB312_1336
.LBB312_1293:
	s_mov_b32 s0, -1
                                        ; implicit-def: $vgpr2
.LBB312_1294:
	s_delay_alu instid0(SALU_CYCLE_1)
	s_and_not1_b32 vcc_lo, exec_lo, s0
	s_cbranch_vccnz .LBB312_1296
; %bb.1295:
	global_load_b32 v2, v[0:1], off
	s_waitcnt vmcnt(0)
	v_cvt_i32_f32_e32 v2, v2
.LBB312_1296:
	s_mov_b32 s0, 0
.LBB312_1297:
	s_delay_alu instid0(SALU_CYCLE_1)
	s_and_not1_b32 vcc_lo, exec_lo, s0
	s_cbranch_vccnz .LBB312_1299
; %bb.1298:
	global_load_b32 v2, v[0:1], off
	s_waitcnt vmcnt(0)
	v_cvt_i16_f16_e32 v2, v2
.LBB312_1299:
	s_mov_b32 s0, 0
.LBB312_1300:
	s_delay_alu instid0(SALU_CYCLE_1)
	s_and_not1_b32 vcc_lo, exec_lo, s0
	s_cbranch_vccnz .LBB312_1311
; %bb.1301:
	v_cmp_gt_i16_e32 vcc_lo, 6, v10
	s_cbranch_vccnz .LBB312_1304
; %bb.1302:
	v_cmp_lt_i16_e32 vcc_lo, 6, v10
	s_cbranch_vccz .LBB312_1305
; %bb.1303:
	global_load_b64 v[2:3], v[0:1], off
	s_mov_b32 s0, 0
	s_waitcnt vmcnt(0)
	v_cvt_i32_f64_e32 v2, v[2:3]
	s_branch .LBB312_1306
.LBB312_1304:
	s_mov_b32 s0, -1
                                        ; implicit-def: $vgpr2
	s_branch .LBB312_1309
.LBB312_1305:
	s_mov_b32 s0, -1
                                        ; implicit-def: $vgpr2
.LBB312_1306:
	s_delay_alu instid0(SALU_CYCLE_1)
	s_and_not1_b32 vcc_lo, exec_lo, s0
	s_cbranch_vccnz .LBB312_1308
; %bb.1307:
	global_load_b32 v2, v[0:1], off
	s_waitcnt vmcnt(0)
	v_cvt_i32_f32_e32 v2, v2
.LBB312_1308:
	s_mov_b32 s0, 0
.LBB312_1309:
	s_delay_alu instid0(SALU_CYCLE_1)
	s_and_not1_b32 vcc_lo, exec_lo, s0
	s_cbranch_vccnz .LBB312_1311
; %bb.1310:
	global_load_u16 v2, v[0:1], off
	s_waitcnt vmcnt(0)
	v_cvt_i16_f16_e32 v2, v2
.LBB312_1311:
	s_mov_b32 s0, 0
.LBB312_1312:
	s_delay_alu instid0(SALU_CYCLE_1)
	s_and_not1_b32 vcc_lo, exec_lo, s0
	s_cbranch_vccnz .LBB312_1332
; %bb.1313:
	v_cmp_gt_i16_e32 vcc_lo, 2, v10
	s_cbranch_vccnz .LBB312_1317
; %bb.1314:
	v_cmp_gt_i16_e32 vcc_lo, 3, v10
	s_cbranch_vccnz .LBB312_1318
; %bb.1315:
	v_cmp_lt_i16_e32 vcc_lo, 3, v10
	s_cbranch_vccz .LBB312_1319
; %bb.1316:
	global_load_b64 v[2:3], v[0:1], off
	s_mov_b32 s0, 0
	s_branch .LBB312_1320
.LBB312_1317:
	s_mov_b32 s0, -1
                                        ; implicit-def: $vgpr2
	s_branch .LBB312_1326
.LBB312_1318:
	s_mov_b32 s0, -1
                                        ; implicit-def: $vgpr2
	s_branch .LBB312_1323
.LBB312_1319:
	s_mov_b32 s0, -1
                                        ; implicit-def: $vgpr2
.LBB312_1320:
	s_delay_alu instid0(SALU_CYCLE_1)
	s_and_not1_b32 vcc_lo, exec_lo, s0
	s_cbranch_vccnz .LBB312_1322
; %bb.1321:
	global_load_b32 v2, v[0:1], off
.LBB312_1322:
	s_mov_b32 s0, 0
.LBB312_1323:
	s_delay_alu instid0(SALU_CYCLE_1)
	s_and_not1_b32 vcc_lo, exec_lo, s0
	s_cbranch_vccnz .LBB312_1325
; %bb.1324:
	global_load_u16 v2, v[0:1], off
.LBB312_1325:
	s_mov_b32 s0, 0
.LBB312_1326:
	s_delay_alu instid0(SALU_CYCLE_1)
	s_and_not1_b32 vcc_lo, exec_lo, s0
	s_cbranch_vccnz .LBB312_1332
; %bb.1327:
	v_cmp_lt_i16_e32 vcc_lo, 0, v10
	s_mov_b32 s0, 0
	s_cbranch_vccz .LBB312_1329
; %bb.1328:
	global_load_i8 v2, v[0:1], off
	s_branch .LBB312_1330
.LBB312_1329:
	s_mov_b32 s0, -1
                                        ; implicit-def: $vgpr2
.LBB312_1330:
	s_delay_alu instid0(SALU_CYCLE_1)
	s_and_not1_b32 vcc_lo, exec_lo, s0
	s_cbranch_vccnz .LBB312_1332
; %bb.1331:
	global_load_u8 v2, v[0:1], off
.LBB312_1332:
	s_branch .LBB312_1400
.LBB312_1333:
	s_trap 2
	s_sendmsg_rtn_b32 s0, sendmsg(MSG_RTN_GET_DOORBELL)
	s_mov_b32 ttmp2, m0
	s_waitcnt lgkmcnt(0)
	s_and_b32 s0, s0, 0x3ff
	s_delay_alu instid0(SALU_CYCLE_1) | instskip(NEXT) | instid1(SALU_CYCLE_1)
	s_bitset1_b32 s0, 10
	s_mov_b32 m0, s0
	s_sendmsg sendmsg(MSG_INTERRUPT)
	s_mov_b32 m0, ttmp2
.LBB312_1334:                           ; =>This Inner Loop Header: Depth=1
	s_sethalt 5
	s_branch .LBB312_1334
.LBB312_1335:
	s_mov_b32 s0, -1
	s_mov_b32 s14, 0
.LBB312_1336:
                                        ; implicit-def: $vgpr2
.LBB312_1337:
	s_and_b32 vcc_lo, exec_lo, s15
	s_cbranch_vccz .LBB312_1341
; %bb.1338:
	v_cmp_eq_u16_e32 vcc_lo, 44, v10
	s_cbranch_vccz .LBB312_1340
; %bb.1339:
	global_load_u8 v2, v[0:1], off
	s_mov_b32 s0, 0
	s_mov_b32 s14, -1
	s_waitcnt vmcnt(0)
	v_lshlrev_b32_e32 v3, 23, v2
	v_cmp_ne_u32_e32 vcc_lo, 0, v2
	s_delay_alu instid0(VALU_DEP_2) | instskip(NEXT) | instid1(VALU_DEP_1)
	v_cvt_i32_f32_e32 v3, v3
	v_cndmask_b32_e32 v2, 0, v3, vcc_lo
	s_branch .LBB312_1341
.LBB312_1340:
	s_mov_b32 s0, -1
                                        ; implicit-def: $vgpr2
.LBB312_1341:
	s_mov_b32 s15, 0
.LBB312_1342:
	s_delay_alu instid0(SALU_CYCLE_1)
	s_and_b32 vcc_lo, exec_lo, s15
	s_cbranch_vccz .LBB312_1346
; %bb.1343:
	v_cmp_eq_u16_e32 vcc_lo, 29, v10
	s_cbranch_vccz .LBB312_1345
; %bb.1344:
	global_load_b64 v[2:3], v[0:1], off
	s_mov_b32 s0, 0
	s_mov_b32 s14, -1
	s_branch .LBB312_1346
.LBB312_1345:
	s_mov_b32 s0, -1
                                        ; implicit-def: $vgpr2
.LBB312_1346:
	s_mov_b32 s15, 0
.LBB312_1347:
	s_delay_alu instid0(SALU_CYCLE_1)
	s_and_b32 vcc_lo, exec_lo, s15
	s_cbranch_vccz .LBB312_1363
; %bb.1348:
	v_cmp_gt_i16_e32 vcc_lo, 27, v10
	s_cbranch_vccnz .LBB312_1351
; %bb.1349:
	v_cmp_lt_i16_e32 vcc_lo, 27, v10
	s_cbranch_vccz .LBB312_1352
; %bb.1350:
	global_load_b32 v2, v[0:1], off
	s_mov_b32 s14, 0
	s_branch .LBB312_1353
.LBB312_1351:
	s_mov_b32 s14, -1
                                        ; implicit-def: $vgpr2
	s_branch .LBB312_1356
.LBB312_1352:
	s_mov_b32 s14, -1
                                        ; implicit-def: $vgpr2
.LBB312_1353:
	s_delay_alu instid0(SALU_CYCLE_1)
	s_and_not1_b32 vcc_lo, exec_lo, s14
	s_cbranch_vccnz .LBB312_1355
; %bb.1354:
	global_load_u16 v2, v[0:1], off
.LBB312_1355:
	s_mov_b32 s14, 0
.LBB312_1356:
	s_delay_alu instid0(SALU_CYCLE_1)
	s_and_not1_b32 vcc_lo, exec_lo, s14
	s_cbranch_vccnz .LBB312_1362
; %bb.1357:
	global_load_u8 v3, v[0:1], off
	s_mov_b32 s14, 0
	s_mov_b32 s15, exec_lo
                                        ; implicit-def: $sgpr16
	s_waitcnt vmcnt(0)
	v_cmpx_lt_i16_e32 0x7f, v3
	s_xor_b32 s15, exec_lo, s15
	s_cbranch_execz .LBB312_1374
; %bb.1358:
	v_cmp_ne_u16_e32 vcc_lo, 0x80, v3
	s_mov_b32 s16, 0
	s_and_b32 s14, vcc_lo, exec_lo
	s_or_saveexec_b32 s15, s15
	v_mov_b32_e32 v2, s16
	s_xor_b32 exec_lo, exec_lo, s15
	s_cbranch_execnz .LBB312_1375
.LBB312_1359:
	s_or_b32 exec_lo, exec_lo, s15
	s_and_saveexec_b32 s15, s14
	s_cbranch_execz .LBB312_1361
.LBB312_1360:
	v_and_b32_e32 v2, 0xffff, v3
	v_lshlrev_b32_e32 v3, 24, v3
	s_delay_alu instid0(VALU_DEP_2) | instskip(NEXT) | instid1(VALU_DEP_2)
	v_and_b32_e32 v7, 7, v2
	v_and_b32_e32 v3, 0x80000000, v3
	s_delay_alu instid0(VALU_DEP_2) | instskip(NEXT) | instid1(VALU_DEP_1)
	v_clz_i32_u32_e32 v8, v7
	v_min_u32_e32 v8, 32, v8
	s_delay_alu instid0(VALU_DEP_1) | instskip(SKIP_1) | instid1(VALU_DEP_2)
	v_subrev_nc_u32_e32 v11, 28, v8
	v_sub_nc_u32_e32 v8, 29, v8
	v_lshlrev_b32_e32 v11, v11, v2
	v_bfe_u32 v2, v2, 3, 4
	s_delay_alu instid0(VALU_DEP_2) | instskip(NEXT) | instid1(VALU_DEP_2)
	v_and_b32_e32 v11, 7, v11
	v_cmp_eq_u32_e32 vcc_lo, 0, v2
	s_delay_alu instid0(VALU_DEP_2) | instskip(NEXT) | instid1(VALU_DEP_1)
	v_dual_cndmask_b32 v2, v2, v8 :: v_dual_cndmask_b32 v7, v7, v11
	v_lshl_add_u32 v2, v2, 23, 0x3b800000
	s_delay_alu instid0(VALU_DEP_2) | instskip(NEXT) | instid1(VALU_DEP_1)
	v_lshlrev_b32_e32 v7, 20, v7
	v_or3_b32 v2, v3, v2, v7
	s_delay_alu instid0(VALU_DEP_1)
	v_cvt_i32_f32_e32 v2, v2
.LBB312_1361:
	s_or_b32 exec_lo, exec_lo, s15
.LBB312_1362:
	s_mov_b32 s14, -1
.LBB312_1363:
	s_mov_b32 s15, 0
.LBB312_1364:
	s_delay_alu instid0(SALU_CYCLE_1)
	s_and_b32 vcc_lo, exec_lo, s15
	s_cbranch_vccz .LBB312_1395
; %bb.1365:
	v_cmp_lt_i16_e32 vcc_lo, 22, v10
	s_cbranch_vccz .LBB312_1373
; %bb.1366:
	v_cmp_gt_i16_e32 vcc_lo, 24, v10
	s_cbranch_vccnz .LBB312_1376
; %bb.1367:
	v_cmp_lt_i16_e32 vcc_lo, 24, v10
	s_cbranch_vccz .LBB312_1377
; %bb.1368:
	global_load_u8 v3, v[0:1], off
	s_mov_b32 s14, exec_lo
                                        ; implicit-def: $sgpr15
	s_waitcnt vmcnt(0)
	v_cmpx_lt_i16_e32 0x7f, v3
	s_xor_b32 s14, exec_lo, s14
	s_cbranch_execz .LBB312_1389
; %bb.1369:
	v_cmp_ne_u16_e32 vcc_lo, 0x80, v3
	s_mov_b32 s15, 0
	s_and_b32 s13, vcc_lo, exec_lo
	s_or_saveexec_b32 s14, s14
	v_mov_b32_e32 v2, s15
	s_xor_b32 exec_lo, exec_lo, s14
	s_cbranch_execnz .LBB312_1390
.LBB312_1370:
	s_or_b32 exec_lo, exec_lo, s14
	s_and_saveexec_b32 s14, s13
	s_cbranch_execz .LBB312_1372
.LBB312_1371:
	v_and_b32_e32 v2, 0xffff, v3
	v_lshlrev_b32_e32 v3, 24, v3
	s_delay_alu instid0(VALU_DEP_2) | instskip(NEXT) | instid1(VALU_DEP_2)
	v_and_b32_e32 v7, 3, v2
	v_and_b32_e32 v3, 0x80000000, v3
	s_delay_alu instid0(VALU_DEP_2) | instskip(NEXT) | instid1(VALU_DEP_1)
	v_clz_i32_u32_e32 v8, v7
	v_min_u32_e32 v8, 32, v8
	s_delay_alu instid0(VALU_DEP_1) | instskip(SKIP_1) | instid1(VALU_DEP_2)
	v_subrev_nc_u32_e32 v11, 29, v8
	v_sub_nc_u32_e32 v8, 30, v8
	v_lshlrev_b32_e32 v11, v11, v2
	v_bfe_u32 v2, v2, 2, 5
	s_delay_alu instid0(VALU_DEP_2) | instskip(NEXT) | instid1(VALU_DEP_2)
	v_and_b32_e32 v11, 3, v11
	v_cmp_eq_u32_e32 vcc_lo, 0, v2
	s_delay_alu instid0(VALU_DEP_2) | instskip(NEXT) | instid1(VALU_DEP_1)
	v_dual_cndmask_b32 v2, v2, v8 :: v_dual_cndmask_b32 v7, v7, v11
	v_lshl_add_u32 v2, v2, 23, 0x37800000
	s_delay_alu instid0(VALU_DEP_2) | instskip(NEXT) | instid1(VALU_DEP_1)
	v_lshlrev_b32_e32 v7, 21, v7
	v_or3_b32 v2, v3, v2, v7
	s_delay_alu instid0(VALU_DEP_1)
	v_cvt_i32_f32_e32 v2, v2
.LBB312_1372:
	s_or_b32 exec_lo, exec_lo, s14
	s_mov_b32 s13, 0
	s_branch .LBB312_1378
.LBB312_1373:
	s_mov_b32 s13, -1
                                        ; implicit-def: $vgpr2
	s_branch .LBB312_1384
.LBB312_1374:
	s_or_saveexec_b32 s15, s15
	v_mov_b32_e32 v2, s16
	s_xor_b32 exec_lo, exec_lo, s15
	s_cbranch_execz .LBB312_1359
.LBB312_1375:
	v_cmp_ne_u16_e32 vcc_lo, 0, v3
	v_mov_b32_e32 v2, 0
	s_and_not1_b32 s14, s14, exec_lo
	s_and_b32 s16, vcc_lo, exec_lo
	s_delay_alu instid0(SALU_CYCLE_1)
	s_or_b32 s14, s14, s16
	s_or_b32 exec_lo, exec_lo, s15
	s_and_saveexec_b32 s15, s14
	s_cbranch_execnz .LBB312_1360
	s_branch .LBB312_1361
.LBB312_1376:
	s_mov_b32 s13, -1
                                        ; implicit-def: $vgpr2
	s_branch .LBB312_1381
.LBB312_1377:
	s_mov_b32 s13, -1
                                        ; implicit-def: $vgpr2
.LBB312_1378:
	s_delay_alu instid0(SALU_CYCLE_1)
	s_and_b32 vcc_lo, exec_lo, s13
	s_cbranch_vccz .LBB312_1380
; %bb.1379:
	global_load_u8 v2, v[0:1], off
	s_waitcnt vmcnt(0)
	v_lshlrev_b32_e32 v2, 24, v2
	s_delay_alu instid0(VALU_DEP_1) | instskip(NEXT) | instid1(VALU_DEP_1)
	v_and_b32_e32 v3, 0x7f000000, v2
	v_clz_i32_u32_e32 v7, v3
	v_add_nc_u32_e32 v11, 0x1000000, v3
	v_cmp_ne_u32_e32 vcc_lo, 0, v3
	s_delay_alu instid0(VALU_DEP_3) | instskip(NEXT) | instid1(VALU_DEP_1)
	v_min_u32_e32 v7, 32, v7
	v_sub_nc_u32_e64 v7, v7, 4 clamp
	s_delay_alu instid0(VALU_DEP_1) | instskip(SKIP_1) | instid1(VALU_DEP_2)
	v_lshlrev_b32_e32 v8, v7, v3
	v_lshlrev_b32_e32 v7, 23, v7
	v_lshrrev_b32_e32 v8, 4, v8
	s_delay_alu instid0(VALU_DEP_1) | instskip(SKIP_1) | instid1(VALU_DEP_2)
	v_sub_nc_u32_e32 v7, v8, v7
	v_ashrrev_i32_e32 v8, 8, v11
	v_add_nc_u32_e32 v7, 0x3c000000, v7
	s_delay_alu instid0(VALU_DEP_1) | instskip(NEXT) | instid1(VALU_DEP_1)
	v_and_or_b32 v7, 0x7f800000, v8, v7
	v_cndmask_b32_e32 v3, 0, v7, vcc_lo
	s_delay_alu instid0(VALU_DEP_1) | instskip(NEXT) | instid1(VALU_DEP_1)
	v_and_or_b32 v2, 0x80000000, v2, v3
	v_cvt_i32_f32_e32 v2, v2
.LBB312_1380:
	s_mov_b32 s13, 0
.LBB312_1381:
	s_delay_alu instid0(SALU_CYCLE_1)
	s_and_not1_b32 vcc_lo, exec_lo, s13
	s_cbranch_vccnz .LBB312_1383
; %bb.1382:
	global_load_u8 v2, v[0:1], off
	s_waitcnt vmcnt(0)
	v_lshlrev_b32_e32 v3, 25, v2
	v_lshlrev_b16 v2, 8, v2
	s_delay_alu instid0(VALU_DEP_1) | instskip(SKIP_1) | instid1(VALU_DEP_2)
	v_and_or_b32 v8, 0x7f00, v2, 0.5
	v_bfe_i32 v2, v2, 0, 16
	v_add_f32_e32 v8, -0.5, v8
	v_lshrrev_b32_e32 v7, 4, v3
	v_cmp_gt_u32_e32 vcc_lo, 0x8000000, v3
	s_delay_alu instid0(VALU_DEP_2) | instskip(NEXT) | instid1(VALU_DEP_1)
	v_or_b32_e32 v7, 0x70000000, v7
	v_mul_f32_e32 v7, 0x7800000, v7
	s_delay_alu instid0(VALU_DEP_1) | instskip(NEXT) | instid1(VALU_DEP_1)
	v_cndmask_b32_e32 v3, v7, v8, vcc_lo
	v_and_or_b32 v2, 0x80000000, v2, v3
	s_delay_alu instid0(VALU_DEP_1)
	v_cvt_i32_f32_e32 v2, v2
.LBB312_1383:
	s_mov_b32 s13, 0
	s_mov_b32 s14, -1
.LBB312_1384:
	s_and_not1_b32 vcc_lo, exec_lo, s13
	s_mov_b32 s13, 0
	s_cbranch_vccnz .LBB312_1395
; %bb.1385:
	v_cmp_lt_i16_e32 vcc_lo, 14, v10
	s_cbranch_vccz .LBB312_1388
; %bb.1386:
	v_cmp_eq_u16_e32 vcc_lo, 15, v10
	s_cbranch_vccz .LBB312_1391
; %bb.1387:
	global_load_u16 v2, v[0:1], off
	s_mov_b32 s0, 0
	s_mov_b32 s14, -1
	s_waitcnt vmcnt(0)
	v_lshlrev_b32_e32 v2, 16, v2
	s_delay_alu instid0(VALU_DEP_1)
	v_cvt_i32_f32_e32 v2, v2
	s_branch .LBB312_1393
.LBB312_1388:
	s_mov_b32 s13, -1
	s_branch .LBB312_1392
.LBB312_1389:
	s_or_saveexec_b32 s14, s14
	v_mov_b32_e32 v2, s15
	s_xor_b32 exec_lo, exec_lo, s14
	s_cbranch_execz .LBB312_1370
.LBB312_1390:
	v_cmp_ne_u16_e32 vcc_lo, 0, v3
	v_mov_b32_e32 v2, 0
	s_and_not1_b32 s13, s13, exec_lo
	s_and_b32 s15, vcc_lo, exec_lo
	s_delay_alu instid0(SALU_CYCLE_1)
	s_or_b32 s13, s13, s15
	s_or_b32 exec_lo, exec_lo, s14
	s_and_saveexec_b32 s14, s13
	s_cbranch_execnz .LBB312_1371
	s_branch .LBB312_1372
.LBB312_1391:
	s_mov_b32 s0, -1
.LBB312_1392:
                                        ; implicit-def: $vgpr2
.LBB312_1393:
	s_and_b32 vcc_lo, exec_lo, s13
	s_mov_b32 s13, 0
	s_cbranch_vccz .LBB312_1395
; %bb.1394:
	v_cmp_ne_u16_e64 s0, 11, v10
	s_mov_b32 s13, -1
                                        ; implicit-def: $vgpr2
.LBB312_1395:
	s_delay_alu instid0(VALU_DEP_1)
	s_and_b32 vcc_lo, exec_lo, s0
	s_cbranch_vccnz .LBB312_1411
; %bb.1396:
	s_and_not1_b32 vcc_lo, exec_lo, s13
	s_cbranch_vccnz .LBB312_1398
.LBB312_1397:
	global_load_u8 v2, v[0:1], off
	s_mov_b32 s14, -1
	s_waitcnt vmcnt(0)
	v_cmp_ne_u16_e32 vcc_lo, 0, v2
	v_cndmask_b32_e64 v2, 0, 1, vcc_lo
.LBB312_1398:
.LBB312_1399:
	s_and_not1_b32 vcc_lo, exec_lo, s14
	s_cbranch_vccnz .LBB312_1963
.LBB312_1400:
	v_add_nc_u32_e32 v0, s9, v5
	v_cmp_gt_i16_e32 vcc_lo, 11, v10
	s_delay_alu instid0(VALU_DEP_2) | instskip(SKIP_1) | instid1(VALU_DEP_1)
	v_ashrrev_i32_e32 v1, 31, v0
	v_add_co_u32 v7, s0, s6, v0
	v_add_co_ci_u32_e64 v8, s0, s7, v1, s0
	s_cbranch_vccnz .LBB312_1407
; %bb.1401:
	v_cmp_lt_i16_e32 vcc_lo, 25, v10
	s_mov_b32 s6, 0
	s_cbranch_vccz .LBB312_1408
; %bb.1402:
	v_cmp_lt_i16_e32 vcc_lo, 28, v10
	s_cbranch_vccz .LBB312_1409
; %bb.1403:
	v_cmp_lt_i16_e32 vcc_lo, 43, v10
	;; [unrolled: 3-line block ×3, first 2 shown]
	s_cbranch_vccz .LBB312_1413
; %bb.1405:
	v_cmp_eq_u16_e32 vcc_lo, 46, v10
	s_mov_b32 s9, 0
	s_cbranch_vccz .LBB312_1416
; %bb.1406:
	global_load_b32 v0, v[7:8], off
	s_mov_b32 s0, 0
	s_mov_b32 s7, -1
	s_waitcnt vmcnt(0)
	v_lshlrev_b32_e32 v0, 16, v0
	s_delay_alu instid0(VALU_DEP_1)
	v_cvt_i32_f32_e32 v0, v0
	s_branch .LBB312_1418
.LBB312_1407:
	s_mov_b32 s0, -1
	s_mov_b32 s7, 0
                                        ; implicit-def: $vgpr0
	s_branch .LBB312_1480
.LBB312_1408:
	s_mov_b32 s9, -1
	s_mov_b32 s7, 0
	s_mov_b32 s0, 0
                                        ; implicit-def: $vgpr0
	s_branch .LBB312_1445
.LBB312_1409:
	s_mov_b32 s9, -1
	s_mov_b32 s7, 0
	s_mov_b32 s0, 0
                                        ; implicit-def: $vgpr0
	s_branch .LBB312_1428
.LBB312_1410:
	s_mov_b32 s9, -1
	s_mov_b32 s7, 0
	s_mov_b32 s0, 0
                                        ; implicit-def: $vgpr0
	s_branch .LBB312_1423
.LBB312_1411:
	s_cbranch_execnz .LBB312_1414
; %bb.1412:
	s_or_b32 s2, s2, exec_lo
                                        ; implicit-def: $vgpr2
	s_cbranch_execz .LBB312_1397
	s_branch .LBB312_1398
.LBB312_1413:
	s_mov_b32 s9, -1
	s_mov_b32 s7, 0
	s_mov_b32 s0, 0
	s_branch .LBB312_1417
.LBB312_1414:
	s_trap 2
	s_sendmsg_rtn_b32 s0, sendmsg(MSG_RTN_GET_DOORBELL)
	s_mov_b32 ttmp2, m0
	s_waitcnt lgkmcnt(0)
	s_and_b32 s0, s0, 0x3ff
	s_delay_alu instid0(SALU_CYCLE_1) | instskip(NEXT) | instid1(SALU_CYCLE_1)
	s_bitset1_b32 s0, 10
	s_mov_b32 m0, s0
	s_sendmsg sendmsg(MSG_INTERRUPT)
	s_mov_b32 m0, ttmp2
.LBB312_1415:                           ; =>This Inner Loop Header: Depth=1
	s_sethalt 5
	s_branch .LBB312_1415
.LBB312_1416:
	s_mov_b32 s0, -1
	s_mov_b32 s7, 0
.LBB312_1417:
                                        ; implicit-def: $vgpr0
.LBB312_1418:
	s_and_b32 vcc_lo, exec_lo, s9
	s_cbranch_vccz .LBB312_1422
; %bb.1419:
	v_cmp_eq_u16_e32 vcc_lo, 44, v10
	s_cbranch_vccz .LBB312_1421
; %bb.1420:
	global_load_u8 v0, v[7:8], off
	s_mov_b32 s0, 0
	s_mov_b32 s7, -1
	s_waitcnt vmcnt(0)
	v_lshlrev_b32_e32 v1, 23, v0
	v_cmp_ne_u32_e32 vcc_lo, 0, v0
	s_delay_alu instid0(VALU_DEP_2) | instskip(NEXT) | instid1(VALU_DEP_1)
	v_cvt_i32_f32_e32 v1, v1
	v_cndmask_b32_e32 v0, 0, v1, vcc_lo
	s_branch .LBB312_1422
.LBB312_1421:
	s_mov_b32 s0, -1
                                        ; implicit-def: $vgpr0
.LBB312_1422:
	s_mov_b32 s9, 0
.LBB312_1423:
	s_delay_alu instid0(SALU_CYCLE_1)
	s_and_b32 vcc_lo, exec_lo, s9
	s_cbranch_vccz .LBB312_1427
; %bb.1424:
	v_cmp_eq_u16_e32 vcc_lo, 29, v10
	s_cbranch_vccz .LBB312_1426
; %bb.1425:
	global_load_b64 v[0:1], v[7:8], off
	s_mov_b32 s0, 0
	s_mov_b32 s7, -1
	s_branch .LBB312_1427
.LBB312_1426:
	s_mov_b32 s0, -1
                                        ; implicit-def: $vgpr0
.LBB312_1427:
	s_mov_b32 s9, 0
.LBB312_1428:
	s_delay_alu instid0(SALU_CYCLE_1)
	s_and_b32 vcc_lo, exec_lo, s9
	s_cbranch_vccz .LBB312_1444
; %bb.1429:
	v_cmp_gt_i16_e32 vcc_lo, 27, v10
	s_cbranch_vccnz .LBB312_1432
; %bb.1430:
	v_cmp_lt_i16_e32 vcc_lo, 27, v10
	s_cbranch_vccz .LBB312_1433
; %bb.1431:
	global_load_b32 v0, v[7:8], off
	s_mov_b32 s7, 0
	s_branch .LBB312_1434
.LBB312_1432:
	s_mov_b32 s7, -1
                                        ; implicit-def: $vgpr0
	s_branch .LBB312_1437
.LBB312_1433:
	s_mov_b32 s7, -1
                                        ; implicit-def: $vgpr0
.LBB312_1434:
	s_delay_alu instid0(SALU_CYCLE_1)
	s_and_not1_b32 vcc_lo, exec_lo, s7
	s_cbranch_vccnz .LBB312_1436
; %bb.1435:
	global_load_u16 v0, v[7:8], off
.LBB312_1436:
	s_mov_b32 s7, 0
.LBB312_1437:
	s_delay_alu instid0(SALU_CYCLE_1)
	s_and_not1_b32 vcc_lo, exec_lo, s7
	s_cbranch_vccnz .LBB312_1443
; %bb.1438:
	global_load_u8 v1, v[7:8], off
	s_mov_b32 s7, 0
	s_mov_b32 s9, exec_lo
                                        ; implicit-def: $sgpr13
	s_waitcnt vmcnt(0)
	v_cmpx_lt_i16_e32 0x7f, v1
	s_xor_b32 s9, exec_lo, s9
	s_cbranch_execz .LBB312_1455
; %bb.1439:
	v_cmp_ne_u16_e32 vcc_lo, 0x80, v1
	s_mov_b32 s13, 0
	s_and_b32 s7, vcc_lo, exec_lo
	s_or_saveexec_b32 s9, s9
	v_mov_b32_e32 v0, s13
	s_xor_b32 exec_lo, exec_lo, s9
	s_cbranch_execnz .LBB312_1456
.LBB312_1440:
	s_or_b32 exec_lo, exec_lo, s9
	s_and_saveexec_b32 s9, s7
	s_cbranch_execz .LBB312_1442
.LBB312_1441:
	v_and_b32_e32 v0, 0xffff, v1
	v_lshlrev_b32_e32 v1, 24, v1
	s_delay_alu instid0(VALU_DEP_2) | instskip(NEXT) | instid1(VALU_DEP_2)
	v_and_b32_e32 v3, 7, v0
	v_and_b32_e32 v1, 0x80000000, v1
	s_delay_alu instid0(VALU_DEP_2) | instskip(NEXT) | instid1(VALU_DEP_1)
	v_clz_i32_u32_e32 v5, v3
	v_min_u32_e32 v5, 32, v5
	s_delay_alu instid0(VALU_DEP_1) | instskip(SKIP_1) | instid1(VALU_DEP_2)
	v_subrev_nc_u32_e32 v11, 28, v5
	v_sub_nc_u32_e32 v5, 29, v5
	v_lshlrev_b32_e32 v11, v11, v0
	v_bfe_u32 v0, v0, 3, 4
	s_delay_alu instid0(VALU_DEP_2) | instskip(NEXT) | instid1(VALU_DEP_2)
	v_and_b32_e32 v11, 7, v11
	v_cmp_eq_u32_e32 vcc_lo, 0, v0
	s_delay_alu instid0(VALU_DEP_2) | instskip(NEXT) | instid1(VALU_DEP_1)
	v_dual_cndmask_b32 v0, v0, v5 :: v_dual_cndmask_b32 v3, v3, v11
	v_lshl_add_u32 v0, v0, 23, 0x3b800000
	s_delay_alu instid0(VALU_DEP_2) | instskip(NEXT) | instid1(VALU_DEP_1)
	v_lshlrev_b32_e32 v3, 20, v3
	v_or3_b32 v0, v1, v0, v3
	s_delay_alu instid0(VALU_DEP_1)
	v_cvt_i32_f32_e32 v0, v0
.LBB312_1442:
	s_or_b32 exec_lo, exec_lo, s9
.LBB312_1443:
	s_mov_b32 s7, -1
.LBB312_1444:
	s_mov_b32 s9, 0
.LBB312_1445:
	s_delay_alu instid0(SALU_CYCLE_1)
	s_and_b32 vcc_lo, exec_lo, s9
	s_cbranch_vccz .LBB312_1476
; %bb.1446:
	v_cmp_lt_i16_e32 vcc_lo, 22, v10
	s_cbranch_vccz .LBB312_1454
; %bb.1447:
	v_cmp_gt_i16_e32 vcc_lo, 24, v10
	s_cbranch_vccnz .LBB312_1457
; %bb.1448:
	v_cmp_lt_i16_e32 vcc_lo, 24, v10
	s_cbranch_vccz .LBB312_1458
; %bb.1449:
	global_load_u8 v1, v[7:8], off
	s_mov_b32 s7, exec_lo
                                        ; implicit-def: $sgpr9
	s_waitcnt vmcnt(0)
	v_cmpx_lt_i16_e32 0x7f, v1
	s_xor_b32 s7, exec_lo, s7
	s_cbranch_execz .LBB312_1470
; %bb.1450:
	v_cmp_ne_u16_e32 vcc_lo, 0x80, v1
	s_mov_b32 s9, 0
	s_and_b32 s6, vcc_lo, exec_lo
	s_or_saveexec_b32 s7, s7
	v_mov_b32_e32 v0, s9
	s_xor_b32 exec_lo, exec_lo, s7
	s_cbranch_execnz .LBB312_1471
.LBB312_1451:
	s_or_b32 exec_lo, exec_lo, s7
	s_and_saveexec_b32 s7, s6
	s_cbranch_execz .LBB312_1453
.LBB312_1452:
	v_and_b32_e32 v0, 0xffff, v1
	v_lshlrev_b32_e32 v1, 24, v1
	s_delay_alu instid0(VALU_DEP_2) | instskip(NEXT) | instid1(VALU_DEP_2)
	v_and_b32_e32 v3, 3, v0
	v_and_b32_e32 v1, 0x80000000, v1
	s_delay_alu instid0(VALU_DEP_2) | instskip(NEXT) | instid1(VALU_DEP_1)
	v_clz_i32_u32_e32 v5, v3
	v_min_u32_e32 v5, 32, v5
	s_delay_alu instid0(VALU_DEP_1) | instskip(SKIP_1) | instid1(VALU_DEP_2)
	v_subrev_nc_u32_e32 v11, 29, v5
	v_sub_nc_u32_e32 v5, 30, v5
	v_lshlrev_b32_e32 v11, v11, v0
	v_bfe_u32 v0, v0, 2, 5
	s_delay_alu instid0(VALU_DEP_2) | instskip(NEXT) | instid1(VALU_DEP_2)
	v_and_b32_e32 v11, 3, v11
	v_cmp_eq_u32_e32 vcc_lo, 0, v0
	s_delay_alu instid0(VALU_DEP_2) | instskip(NEXT) | instid1(VALU_DEP_1)
	v_dual_cndmask_b32 v0, v0, v5 :: v_dual_cndmask_b32 v3, v3, v11
	v_lshl_add_u32 v0, v0, 23, 0x37800000
	s_delay_alu instid0(VALU_DEP_2) | instskip(NEXT) | instid1(VALU_DEP_1)
	v_lshlrev_b32_e32 v3, 21, v3
	v_or3_b32 v0, v1, v0, v3
	s_delay_alu instid0(VALU_DEP_1)
	v_cvt_i32_f32_e32 v0, v0
.LBB312_1453:
	s_or_b32 exec_lo, exec_lo, s7
	s_mov_b32 s6, 0
	s_branch .LBB312_1459
.LBB312_1454:
	s_mov_b32 s6, -1
                                        ; implicit-def: $vgpr0
	s_branch .LBB312_1465
.LBB312_1455:
	s_or_saveexec_b32 s9, s9
	v_mov_b32_e32 v0, s13
	s_xor_b32 exec_lo, exec_lo, s9
	s_cbranch_execz .LBB312_1440
.LBB312_1456:
	v_cmp_ne_u16_e32 vcc_lo, 0, v1
	v_mov_b32_e32 v0, 0
	s_and_not1_b32 s7, s7, exec_lo
	s_and_b32 s13, vcc_lo, exec_lo
	s_delay_alu instid0(SALU_CYCLE_1)
	s_or_b32 s7, s7, s13
	s_or_b32 exec_lo, exec_lo, s9
	s_and_saveexec_b32 s9, s7
	s_cbranch_execnz .LBB312_1441
	s_branch .LBB312_1442
.LBB312_1457:
	s_mov_b32 s6, -1
                                        ; implicit-def: $vgpr0
	s_branch .LBB312_1462
.LBB312_1458:
	s_mov_b32 s6, -1
                                        ; implicit-def: $vgpr0
.LBB312_1459:
	s_delay_alu instid0(SALU_CYCLE_1)
	s_and_b32 vcc_lo, exec_lo, s6
	s_cbranch_vccz .LBB312_1461
; %bb.1460:
	global_load_u8 v0, v[7:8], off
	s_waitcnt vmcnt(0)
	v_lshlrev_b32_e32 v0, 24, v0
	s_delay_alu instid0(VALU_DEP_1) | instskip(NEXT) | instid1(VALU_DEP_1)
	v_and_b32_e32 v1, 0x7f000000, v0
	v_clz_i32_u32_e32 v3, v1
	v_add_nc_u32_e32 v11, 0x1000000, v1
	v_cmp_ne_u32_e32 vcc_lo, 0, v1
	s_delay_alu instid0(VALU_DEP_3) | instskip(NEXT) | instid1(VALU_DEP_1)
	v_min_u32_e32 v3, 32, v3
	v_sub_nc_u32_e64 v3, v3, 4 clamp
	s_delay_alu instid0(VALU_DEP_1) | instskip(SKIP_1) | instid1(VALU_DEP_2)
	v_lshlrev_b32_e32 v5, v3, v1
	v_lshlrev_b32_e32 v3, 23, v3
	v_lshrrev_b32_e32 v5, 4, v5
	s_delay_alu instid0(VALU_DEP_1) | instskip(SKIP_1) | instid1(VALU_DEP_2)
	v_sub_nc_u32_e32 v3, v5, v3
	v_ashrrev_i32_e32 v5, 8, v11
	v_add_nc_u32_e32 v3, 0x3c000000, v3
	s_delay_alu instid0(VALU_DEP_1) | instskip(NEXT) | instid1(VALU_DEP_1)
	v_and_or_b32 v3, 0x7f800000, v5, v3
	v_cndmask_b32_e32 v1, 0, v3, vcc_lo
	s_delay_alu instid0(VALU_DEP_1) | instskip(NEXT) | instid1(VALU_DEP_1)
	v_and_or_b32 v0, 0x80000000, v0, v1
	v_cvt_i32_f32_e32 v0, v0
.LBB312_1461:
	s_mov_b32 s6, 0
.LBB312_1462:
	s_delay_alu instid0(SALU_CYCLE_1)
	s_and_not1_b32 vcc_lo, exec_lo, s6
	s_cbranch_vccnz .LBB312_1464
; %bb.1463:
	global_load_u8 v0, v[7:8], off
	s_waitcnt vmcnt(0)
	v_lshlrev_b32_e32 v1, 25, v0
	v_lshlrev_b16 v0, 8, v0
	s_delay_alu instid0(VALU_DEP_2) | instskip(NEXT) | instid1(VALU_DEP_2)
	v_lshrrev_b32_e32 v3, 4, v1
	v_and_or_b32 v5, 0x7f00, v0, 0.5
	v_cmp_gt_u32_e32 vcc_lo, 0x8000000, v1
	v_bfe_i32 v0, v0, 0, 16
	s_delay_alu instid0(VALU_DEP_4) | instskip(NEXT) | instid1(VALU_DEP_4)
	v_or_b32_e32 v3, 0x70000000, v3
	v_add_f32_e32 v5, -0.5, v5
	s_delay_alu instid0(VALU_DEP_2) | instskip(NEXT) | instid1(VALU_DEP_1)
	v_mul_f32_e32 v3, 0x7800000, v3
	v_cndmask_b32_e32 v1, v3, v5, vcc_lo
	s_delay_alu instid0(VALU_DEP_1) | instskip(NEXT) | instid1(VALU_DEP_1)
	v_and_or_b32 v0, 0x80000000, v0, v1
	v_cvt_i32_f32_e32 v0, v0
.LBB312_1464:
	s_mov_b32 s6, 0
	s_mov_b32 s7, -1
.LBB312_1465:
	s_and_not1_b32 vcc_lo, exec_lo, s6
	s_mov_b32 s6, 0
	s_cbranch_vccnz .LBB312_1476
; %bb.1466:
	v_cmp_lt_i16_e32 vcc_lo, 14, v10
	s_cbranch_vccz .LBB312_1469
; %bb.1467:
	v_cmp_eq_u16_e32 vcc_lo, 15, v10
	s_cbranch_vccz .LBB312_1472
; %bb.1468:
	global_load_u16 v0, v[7:8], off
	s_mov_b32 s0, 0
	s_mov_b32 s7, -1
	s_waitcnt vmcnt(0)
	v_lshlrev_b32_e32 v0, 16, v0
	s_delay_alu instid0(VALU_DEP_1)
	v_cvt_i32_f32_e32 v0, v0
	s_branch .LBB312_1474
.LBB312_1469:
	s_mov_b32 s6, -1
	s_branch .LBB312_1473
.LBB312_1470:
	s_or_saveexec_b32 s7, s7
	v_mov_b32_e32 v0, s9
	s_xor_b32 exec_lo, exec_lo, s7
	s_cbranch_execz .LBB312_1451
.LBB312_1471:
	v_cmp_ne_u16_e32 vcc_lo, 0, v1
	v_mov_b32_e32 v0, 0
	s_and_not1_b32 s6, s6, exec_lo
	s_and_b32 s9, vcc_lo, exec_lo
	s_delay_alu instid0(SALU_CYCLE_1)
	s_or_b32 s6, s6, s9
	s_or_b32 exec_lo, exec_lo, s7
	s_and_saveexec_b32 s7, s6
	s_cbranch_execnz .LBB312_1452
	s_branch .LBB312_1453
.LBB312_1472:
	s_mov_b32 s0, -1
.LBB312_1473:
                                        ; implicit-def: $vgpr0
.LBB312_1474:
	s_and_b32 vcc_lo, exec_lo, s6
	s_mov_b32 s6, 0
	s_cbranch_vccz .LBB312_1476
; %bb.1475:
	v_cmp_ne_u16_e64 s0, 11, v10
	s_mov_b32 s6, -1
                                        ; implicit-def: $vgpr0
.LBB312_1476:
	s_delay_alu instid0(VALU_DEP_1)
	s_and_b32 vcc_lo, exec_lo, s0
	s_cbranch_vccnz .LBB312_2009
; %bb.1477:
	s_and_not1_b32 vcc_lo, exec_lo, s6
	s_cbranch_vccnz .LBB312_1479
.LBB312_1478:
	global_load_u8 v0, v[7:8], off
	s_mov_b32 s7, -1
	s_waitcnt vmcnt(0)
	v_cmp_ne_u16_e32 vcc_lo, 0, v0
	v_cndmask_b32_e64 v0, 0, 1, vcc_lo
.LBB312_1479:
	s_mov_b32 s0, 0
.LBB312_1480:
	s_delay_alu instid0(SALU_CYCLE_1)
	s_and_b32 vcc_lo, exec_lo, s0
	s_cbranch_vccz .LBB312_1529
; %bb.1481:
	v_cmp_gt_i16_e32 vcc_lo, 5, v10
	s_cbranch_vccnz .LBB312_1486
; %bb.1482:
	v_cmp_gt_i16_e32 vcc_lo, 8, v10
	s_cbranch_vccnz .LBB312_1487
	;; [unrolled: 3-line block ×3, first 2 shown]
; %bb.1484:
	v_cmp_lt_i16_e32 vcc_lo, 9, v10
	s_cbranch_vccz .LBB312_1489
; %bb.1485:
	global_load_b64 v[0:1], v[7:8], off
	s_mov_b32 s0, 0
	s_waitcnt vmcnt(0)
	v_cvt_i32_f64_e32 v0, v[0:1]
	s_branch .LBB312_1490
.LBB312_1486:
	s_mov_b32 s0, -1
                                        ; implicit-def: $vgpr0
	s_branch .LBB312_1508
.LBB312_1487:
	s_mov_b32 s0, -1
                                        ; implicit-def: $vgpr0
	s_branch .LBB312_1496
.LBB312_1488:
	s_mov_b32 s0, -1
                                        ; implicit-def: $vgpr0
	s_branch .LBB312_1493
.LBB312_1489:
	s_mov_b32 s0, -1
                                        ; implicit-def: $vgpr0
.LBB312_1490:
	s_delay_alu instid0(SALU_CYCLE_1)
	s_and_not1_b32 vcc_lo, exec_lo, s0
	s_cbranch_vccnz .LBB312_1492
; %bb.1491:
	global_load_b32 v0, v[7:8], off
	s_waitcnt vmcnt(0)
	v_cvt_i32_f32_e32 v0, v0
.LBB312_1492:
	s_mov_b32 s0, 0
.LBB312_1493:
	s_delay_alu instid0(SALU_CYCLE_1)
	s_and_not1_b32 vcc_lo, exec_lo, s0
	s_cbranch_vccnz .LBB312_1495
; %bb.1494:
	global_load_b32 v0, v[7:8], off
	s_waitcnt vmcnt(0)
	v_cvt_i16_f16_e32 v0, v0
.LBB312_1495:
	s_mov_b32 s0, 0
.LBB312_1496:
	s_delay_alu instid0(SALU_CYCLE_1)
	s_and_not1_b32 vcc_lo, exec_lo, s0
	s_cbranch_vccnz .LBB312_1507
; %bb.1497:
	v_cmp_gt_i16_e32 vcc_lo, 6, v10
	s_cbranch_vccnz .LBB312_1500
; %bb.1498:
	v_cmp_lt_i16_e32 vcc_lo, 6, v10
	s_cbranch_vccz .LBB312_1501
; %bb.1499:
	global_load_b64 v[0:1], v[7:8], off
	s_mov_b32 s0, 0
	s_waitcnt vmcnt(0)
	v_cvt_i32_f64_e32 v0, v[0:1]
	s_branch .LBB312_1502
.LBB312_1500:
	s_mov_b32 s0, -1
                                        ; implicit-def: $vgpr0
	s_branch .LBB312_1505
.LBB312_1501:
	s_mov_b32 s0, -1
                                        ; implicit-def: $vgpr0
.LBB312_1502:
	s_delay_alu instid0(SALU_CYCLE_1)
	s_and_not1_b32 vcc_lo, exec_lo, s0
	s_cbranch_vccnz .LBB312_1504
; %bb.1503:
	global_load_b32 v0, v[7:8], off
	s_waitcnt vmcnt(0)
	v_cvt_i32_f32_e32 v0, v0
.LBB312_1504:
	s_mov_b32 s0, 0
.LBB312_1505:
	s_delay_alu instid0(SALU_CYCLE_1)
	s_and_not1_b32 vcc_lo, exec_lo, s0
	s_cbranch_vccnz .LBB312_1507
; %bb.1506:
	global_load_u16 v0, v[7:8], off
	s_waitcnt vmcnt(0)
	v_cvt_i16_f16_e32 v0, v0
.LBB312_1507:
	s_mov_b32 s0, 0
.LBB312_1508:
	s_delay_alu instid0(SALU_CYCLE_1)
	s_and_not1_b32 vcc_lo, exec_lo, s0
	s_cbranch_vccnz .LBB312_1528
; %bb.1509:
	v_cmp_gt_i16_e32 vcc_lo, 2, v10
	s_cbranch_vccnz .LBB312_1513
; %bb.1510:
	v_cmp_gt_i16_e32 vcc_lo, 3, v10
	s_cbranch_vccnz .LBB312_1514
; %bb.1511:
	v_cmp_lt_i16_e32 vcc_lo, 3, v10
	s_cbranch_vccz .LBB312_1515
; %bb.1512:
	global_load_b64 v[0:1], v[7:8], off
	s_mov_b32 s0, 0
	s_branch .LBB312_1516
.LBB312_1513:
	s_mov_b32 s0, -1
                                        ; implicit-def: $vgpr0
	s_branch .LBB312_1522
.LBB312_1514:
	s_mov_b32 s0, -1
                                        ; implicit-def: $vgpr0
	s_branch .LBB312_1519
.LBB312_1515:
	s_mov_b32 s0, -1
                                        ; implicit-def: $vgpr0
.LBB312_1516:
	s_delay_alu instid0(SALU_CYCLE_1)
	s_and_not1_b32 vcc_lo, exec_lo, s0
	s_cbranch_vccnz .LBB312_1518
; %bb.1517:
	global_load_b32 v0, v[7:8], off
.LBB312_1518:
	s_mov_b32 s0, 0
.LBB312_1519:
	s_delay_alu instid0(SALU_CYCLE_1)
	s_and_not1_b32 vcc_lo, exec_lo, s0
	s_cbranch_vccnz .LBB312_1521
; %bb.1520:
	global_load_u16 v0, v[7:8], off
.LBB312_1521:
	s_mov_b32 s0, 0
.LBB312_1522:
	s_delay_alu instid0(SALU_CYCLE_1)
	s_and_not1_b32 vcc_lo, exec_lo, s0
	s_cbranch_vccnz .LBB312_1528
; %bb.1523:
	v_cmp_lt_i16_e32 vcc_lo, 0, v10
	s_mov_b32 s0, 0
	s_cbranch_vccz .LBB312_1525
; %bb.1524:
	global_load_i8 v0, v[7:8], off
	s_branch .LBB312_1526
.LBB312_1525:
	s_mov_b32 s0, -1
                                        ; implicit-def: $vgpr0
.LBB312_1526:
	s_delay_alu instid0(SALU_CYCLE_1)
	s_and_not1_b32 vcc_lo, exec_lo, s0
	s_cbranch_vccnz .LBB312_1528
; %bb.1527:
	global_load_u8 v0, v[7:8], off
.LBB312_1528:
	s_mov_b32 s7, -1
.LBB312_1529:
	s_delay_alu instid0(SALU_CYCLE_1)
	s_and_not1_b32 vcc_lo, exec_lo, s7
	s_cbranch_vccnz .LBB312_1963
; %bb.1530:
	s_waitcnt vmcnt(0)
	v_mul_lo_u32 v1, s8, v9
	v_and_b32_e64 v7, 0xff, s11
	v_max_i16 v3, v6, s10
	s_delay_alu instid0(VALU_DEP_2) | instskip(NEXT) | instid1(VALU_DEP_2)
	v_cmp_gt_i16_e32 vcc_lo, 11, v7
	v_min_i16 v3, v3, s1
	v_ashrrev_i32_e32 v6, 31, v1
	v_add_co_u32 v5, s0, s4, v1
	s_delay_alu instid0(VALU_DEP_1)
	v_add_co_ci_u32_e64 v6, s0, s5, v6, s0
	s_cbranch_vccnz .LBB312_1608
; %bb.1531:
	v_cmp_lt_i16_e32 vcc_lo, 25, v7
	s_mov_b32 s9, -1
	s_mov_b32 s6, 0
	s_mov_b32 s7, 0
	;; [unrolled: 1-line block ×3, first 2 shown]
	s_cbranch_vccz .LBB312_1564
; %bb.1532:
	v_cmp_lt_i16_e32 vcc_lo, 28, v7
	s_cbranch_vccz .LBB312_1547
; %bb.1533:
	v_cmp_lt_i16_e32 vcc_lo, 43, v7
	;; [unrolled: 3-line block ×3, first 2 shown]
	s_cbranch_vccz .LBB312_1537
; %bb.1535:
	v_cmp_eq_u16_e32 vcc_lo, 46, v7
	s_mov_b32 s0, -1
	s_mov_b32 s9, 0
	s_cbranch_vccz .LBB312_1537
; %bb.1536:
	v_bfe_i32 v8, v3, 0, 16
	s_mov_b32 s0, 0
	s_mov_b32 s7, -1
	s_delay_alu instid0(VALU_DEP_1) | instskip(NEXT) | instid1(VALU_DEP_1)
	v_cvt_f32_i32_e32 v8, v8
	v_bfe_u32 v9, v8, 16, 1
	s_delay_alu instid0(VALU_DEP_1) | instskip(NEXT) | instid1(VALU_DEP_1)
	v_add3_u32 v8, v8, v9, 0x7fff
	v_lshrrev_b32_e32 v8, 16, v8
	global_store_b32 v[5:6], v8, off
.LBB312_1537:
	s_and_b32 vcc_lo, exec_lo, s9
	s_cbranch_vccz .LBB312_1542
; %bb.1538:
	v_cmp_eq_u16_e32 vcc_lo, 44, v7
	s_mov_b32 s0, -1
	s_cbranch_vccz .LBB312_1542
; %bb.1539:
	v_bfe_i32 v8, v3, 0, 16
	v_mov_b32_e32 v9, 0xff
	s_mov_b32 s7, exec_lo
	s_delay_alu instid0(VALU_DEP_2) | instskip(NEXT) | instid1(VALU_DEP_1)
	v_cvt_f32_i32_e32 v8, v8
	v_bfe_u32 v10, v8, 23, 8
	s_delay_alu instid0(VALU_DEP_1)
	v_cmpx_ne_u32_e32 0xff, v10
; %bb.1540:
	v_and_b32_e32 v9, 0x400000, v8
	v_and_or_b32 v10, 0x3fffff, v8, v10
	v_lshrrev_b32_e32 v8, 23, v8
	s_delay_alu instid0(VALU_DEP_3) | instskip(NEXT) | instid1(VALU_DEP_3)
	v_cmp_ne_u32_e32 vcc_lo, 0, v9
	v_cmp_ne_u32_e64 s0, 0, v10
	s_delay_alu instid0(VALU_DEP_1) | instskip(NEXT) | instid1(SALU_CYCLE_1)
	s_and_b32 s0, vcc_lo, s0
	v_cndmask_b32_e64 v9, 0, 1, s0
	s_delay_alu instid0(VALU_DEP_1)
	v_add_nc_u32_e32 v9, v8, v9
; %bb.1541:
	s_or_b32 exec_lo, exec_lo, s7
	s_mov_b32 s0, 0
	s_mov_b32 s7, -1
	global_store_b8 v[5:6], v9, off
.LBB312_1542:
	s_mov_b32 s9, 0
.LBB312_1543:
	s_delay_alu instid0(SALU_CYCLE_1)
	s_and_b32 vcc_lo, exec_lo, s9
	s_cbranch_vccz .LBB312_1546
; %bb.1544:
	v_cmp_eq_u16_e32 vcc_lo, 29, v7
	s_mov_b32 s0, -1
	s_cbranch_vccz .LBB312_1546
; %bb.1545:
	v_bfe_i32 v8, v3, 0, 16
	s_mov_b32 s0, 0
	s_mov_b32 s7, -1
	s_delay_alu instid0(VALU_DEP_1)
	v_ashrrev_i32_e32 v9, 31, v8
	global_store_b64 v[5:6], v[8:9], off
.LBB312_1546:
	s_mov_b32 s9, 0
.LBB312_1547:
	s_delay_alu instid0(SALU_CYCLE_1)
	s_and_b32 vcc_lo, exec_lo, s9
	s_cbranch_vccz .LBB312_1563
; %bb.1548:
	v_cmp_gt_i16_e32 vcc_lo, 27, v7
	s_mov_b32 s7, -1
	s_cbranch_vccnz .LBB312_1554
; %bb.1549:
	v_cmp_lt_i16_e32 vcc_lo, 27, v7
	s_cbranch_vccz .LBB312_1551
; %bb.1550:
	v_bfe_i32 v8, v3, 0, 16
	s_mov_b32 s7, 0
	global_store_b32 v[5:6], v8, off
.LBB312_1551:
	s_and_not1_b32 vcc_lo, exec_lo, s7
	s_cbranch_vccnz .LBB312_1553
; %bb.1552:
	global_store_b16 v[5:6], v3, off
.LBB312_1553:
	s_mov_b32 s7, 0
.LBB312_1554:
	s_delay_alu instid0(SALU_CYCLE_1)
	s_and_not1_b32 vcc_lo, exec_lo, s7
	s_cbranch_vccnz .LBB312_1562
; %bb.1555:
	v_bfe_i32 v8, v3, 0, 16
	v_mov_b32_e32 v10, 0x80
	s_mov_b32 s7, exec_lo
	s_delay_alu instid0(VALU_DEP_2) | instskip(NEXT) | instid1(VALU_DEP_1)
	v_cvt_f32_i32_e32 v8, v8
	v_and_b32_e32 v9, 0x7fffffff, v8
	s_delay_alu instid0(VALU_DEP_1)
	v_cmpx_gt_u32_e32 0x43800000, v9
	s_cbranch_execz .LBB312_1561
; %bb.1556:
	v_cmp_lt_u32_e32 vcc_lo, 0x3bffffff, v9
	s_mov_b32 s9, 0
                                        ; implicit-def: $vgpr9
	s_and_saveexec_b32 s11, vcc_lo
	s_delay_alu instid0(SALU_CYCLE_1)
	s_xor_b32 s11, exec_lo, s11
	s_cbranch_execz .LBB312_2011
; %bb.1557:
	v_bfe_u32 v9, v8, 20, 1
	s_mov_b32 s9, exec_lo
	s_delay_alu instid0(VALU_DEP_1) | instskip(NEXT) | instid1(VALU_DEP_1)
	v_add3_u32 v9, v8, v9, 0x487ffff
	v_lshrrev_b32_e32 v9, 20, v9
	s_or_saveexec_b32 s11, s11
                                        ; implicit-def: $sgpr13
	s_delay_alu instid0(SALU_CYCLE_1)
	s_xor_b32 exec_lo, exec_lo, s11
	s_cbranch_execnz .LBB312_2012
.LBB312_1558:
	s_or_b32 exec_lo, exec_lo, s11
	v_mov_b32_e32 v10, s13
	s_and_saveexec_b32 s11, s9
.LBB312_1559:
	v_lshrrev_b32_e32 v8, 24, v8
	s_delay_alu instid0(VALU_DEP_1)
	v_and_or_b32 v10, 0x80, v8, v9
.LBB312_1560:
	s_or_b32 exec_lo, exec_lo, s11
.LBB312_1561:
	s_delay_alu instid0(SALU_CYCLE_1)
	s_or_b32 exec_lo, exec_lo, s7
	global_store_b8 v[5:6], v10, off
.LBB312_1562:
	s_mov_b32 s7, -1
.LBB312_1563:
	s_mov_b32 s9, 0
.LBB312_1564:
	s_delay_alu instid0(SALU_CYCLE_1)
	s_and_b32 vcc_lo, exec_lo, s9
	s_cbranch_vccz .LBB312_1604
; %bb.1565:
	v_cmp_lt_i16_e32 vcc_lo, 22, v7
	s_mov_b32 s6, -1
	s_cbranch_vccz .LBB312_1597
; %bb.1566:
	v_cmp_gt_i16_e32 vcc_lo, 24, v7
	s_cbranch_vccnz .LBB312_1586
; %bb.1567:
	v_cmp_lt_i16_e32 vcc_lo, 24, v7
	s_cbranch_vccz .LBB312_1575
; %bb.1568:
	v_bfe_i32 v8, v3, 0, 16
	v_mov_b32_e32 v10, 0x80
	s_mov_b32 s6, exec_lo
	s_delay_alu instid0(VALU_DEP_2) | instskip(NEXT) | instid1(VALU_DEP_1)
	v_cvt_f32_i32_e32 v8, v8
	v_and_b32_e32 v9, 0x7fffffff, v8
	s_delay_alu instid0(VALU_DEP_1)
	v_cmpx_gt_u32_e32 0x47800000, v9
	s_cbranch_execz .LBB312_1574
; %bb.1569:
	v_cmp_lt_u32_e32 vcc_lo, 0x37ffffff, v9
	s_mov_b32 s7, 0
                                        ; implicit-def: $vgpr9
	s_and_saveexec_b32 s9, vcc_lo
	s_delay_alu instid0(SALU_CYCLE_1)
	s_xor_b32 s9, exec_lo, s9
	s_cbranch_execz .LBB312_2017
; %bb.1570:
	v_bfe_u32 v9, v8, 21, 1
	s_mov_b32 s7, exec_lo
	s_delay_alu instid0(VALU_DEP_1) | instskip(NEXT) | instid1(VALU_DEP_1)
	v_add3_u32 v9, v8, v9, 0x88fffff
	v_lshrrev_b32_e32 v9, 21, v9
	s_or_saveexec_b32 s9, s9
                                        ; implicit-def: $sgpr11
	s_delay_alu instid0(SALU_CYCLE_1)
	s_xor_b32 exec_lo, exec_lo, s9
	s_cbranch_execnz .LBB312_2018
.LBB312_1571:
	s_or_b32 exec_lo, exec_lo, s9
	v_mov_b32_e32 v10, s11
	s_and_saveexec_b32 s9, s7
.LBB312_1572:
	v_lshrrev_b32_e32 v8, 24, v8
	s_delay_alu instid0(VALU_DEP_1)
	v_and_or_b32 v10, 0x80, v8, v9
.LBB312_1573:
	s_or_b32 exec_lo, exec_lo, s9
.LBB312_1574:
	s_delay_alu instid0(SALU_CYCLE_1)
	s_or_b32 exec_lo, exec_lo, s6
	s_mov_b32 s6, 0
	global_store_b8 v[5:6], v10, off
.LBB312_1575:
	s_and_b32 vcc_lo, exec_lo, s6
	s_cbranch_vccz .LBB312_1585
; %bb.1576:
	v_bfe_i32 v8, v3, 0, 16
	s_mov_b32 s6, exec_lo
                                        ; implicit-def: $vgpr9
	s_delay_alu instid0(VALU_DEP_1) | instskip(NEXT) | instid1(VALU_DEP_1)
	v_cvt_f32_i32_e32 v8, v8
	v_and_b32_e32 v10, 0x7fffffff, v8
	s_delay_alu instid0(VALU_DEP_1)
	v_cmpx_gt_u32_e32 0x43f00000, v10
	s_xor_b32 s6, exec_lo, s6
	s_cbranch_execz .LBB312_1582
; %bb.1577:
	s_mov_b32 s7, exec_lo
                                        ; implicit-def: $vgpr9
	v_cmpx_lt_u32_e32 0x3c7fffff, v10
	s_xor_b32 s7, exec_lo, s7
; %bb.1578:
	v_bfe_u32 v9, v8, 20, 1
	s_delay_alu instid0(VALU_DEP_1) | instskip(NEXT) | instid1(VALU_DEP_1)
	v_add3_u32 v9, v8, v9, 0x407ffff
	v_and_b32_e32 v10, 0xff00000, v9
	v_lshrrev_b32_e32 v9, 20, v9
	s_delay_alu instid0(VALU_DEP_2) | instskip(NEXT) | instid1(VALU_DEP_2)
	v_cmp_ne_u32_e32 vcc_lo, 0x7f00000, v10
	v_cndmask_b32_e32 v9, 0x7e, v9, vcc_lo
; %bb.1579:
	s_and_not1_saveexec_b32 s7, s7
; %bb.1580:
	v_add_f32_e64 v9, 0x46800000, |v8|
; %bb.1581:
	s_or_b32 exec_lo, exec_lo, s7
                                        ; implicit-def: $vgpr10
.LBB312_1582:
	s_and_not1_saveexec_b32 s6, s6
; %bb.1583:
	v_mov_b32_e32 v9, 0x7f
	v_cmp_lt_u32_e32 vcc_lo, 0x7f800000, v10
	s_delay_alu instid0(VALU_DEP_2)
	v_cndmask_b32_e32 v9, 0x7e, v9, vcc_lo
; %bb.1584:
	s_or_b32 exec_lo, exec_lo, s6
	v_lshrrev_b32_e32 v8, 24, v8
	s_delay_alu instid0(VALU_DEP_1)
	v_and_or_b32 v8, 0x80, v8, v9
	global_store_b8 v[5:6], v8, off
.LBB312_1585:
	s_mov_b32 s6, 0
.LBB312_1586:
	s_delay_alu instid0(SALU_CYCLE_1)
	s_and_not1_b32 vcc_lo, exec_lo, s6
	s_cbranch_vccnz .LBB312_1596
; %bb.1587:
	v_bfe_i32 v8, v3, 0, 16
	s_mov_b32 s6, exec_lo
                                        ; implicit-def: $vgpr9
	s_delay_alu instid0(VALU_DEP_1) | instskip(NEXT) | instid1(VALU_DEP_1)
	v_cvt_f32_i32_e32 v8, v8
	v_and_b32_e32 v10, 0x7fffffff, v8
	s_delay_alu instid0(VALU_DEP_1)
	v_cmpx_gt_u32_e32 0x47800000, v10
	s_xor_b32 s6, exec_lo, s6
	s_cbranch_execz .LBB312_1593
; %bb.1588:
	s_mov_b32 s7, exec_lo
                                        ; implicit-def: $vgpr9
	v_cmpx_lt_u32_e32 0x387fffff, v10
	s_xor_b32 s7, exec_lo, s7
; %bb.1589:
	v_bfe_u32 v9, v8, 21, 1
	s_delay_alu instid0(VALU_DEP_1) | instskip(NEXT) | instid1(VALU_DEP_1)
	v_add3_u32 v9, v8, v9, 0x80fffff
	v_lshrrev_b32_e32 v9, 21, v9
; %bb.1590:
	s_and_not1_saveexec_b32 s7, s7
; %bb.1591:
	v_add_f32_e64 v9, 0x43000000, |v8|
; %bb.1592:
	s_or_b32 exec_lo, exec_lo, s7
                                        ; implicit-def: $vgpr10
.LBB312_1593:
	s_and_not1_saveexec_b32 s6, s6
; %bb.1594:
	v_mov_b32_e32 v9, 0x7f
	v_cmp_lt_u32_e32 vcc_lo, 0x7f800000, v10
	s_delay_alu instid0(VALU_DEP_2)
	v_cndmask_b32_e32 v9, 0x7c, v9, vcc_lo
; %bb.1595:
	s_or_b32 exec_lo, exec_lo, s6
	v_lshrrev_b32_e32 v8, 24, v8
	s_delay_alu instid0(VALU_DEP_1)
	v_and_or_b32 v8, 0x80, v8, v9
	global_store_b8 v[5:6], v8, off
.LBB312_1596:
	s_mov_b32 s6, 0
	s_mov_b32 s7, -1
.LBB312_1597:
	s_and_not1_b32 vcc_lo, exec_lo, s6
	s_mov_b32 s6, 0
	s_cbranch_vccnz .LBB312_1604
; %bb.1598:
	v_cmp_lt_i16_e32 vcc_lo, 14, v7
	s_mov_b32 s6, -1
	s_cbranch_vccz .LBB312_1602
; %bb.1599:
	v_cmp_eq_u16_e32 vcc_lo, 15, v7
	s_mov_b32 s0, -1
	s_cbranch_vccz .LBB312_1601
; %bb.1600:
	v_bfe_i32 v8, v3, 0, 16
	s_mov_b32 s0, 0
	s_mov_b32 s7, -1
	s_delay_alu instid0(VALU_DEP_1) | instskip(NEXT) | instid1(VALU_DEP_1)
	v_cvt_f32_i32_e32 v8, v8
	v_bfe_u32 v9, v8, 16, 1
	s_delay_alu instid0(VALU_DEP_1)
	v_add3_u32 v8, v8, v9, 0x7fff
	global_store_d16_hi_b16 v[5:6], v8, off
.LBB312_1601:
	s_mov_b32 s6, 0
.LBB312_1602:
	s_delay_alu instid0(SALU_CYCLE_1)
	s_and_b32 vcc_lo, exec_lo, s6
	s_mov_b32 s6, 0
	s_cbranch_vccz .LBB312_1604
; %bb.1603:
	v_cmp_ne_u16_e64 s0, 11, v7
	s_mov_b32 s6, -1
.LBB312_1604:
	s_delay_alu instid0(VALU_DEP_1)
	s_and_b32 vcc_lo, exec_lo, s0
	s_cbranch_vccnz .LBB312_2015
; %bb.1605:
	s_and_not1_b32 vcc_lo, exec_lo, s6
	s_cbranch_vccnz .LBB312_1607
.LBB312_1606:
	v_cmp_ne_u16_e32 vcc_lo, 0, v3
	s_mov_b32 s7, -1
	v_cndmask_b32_e64 v8, 0, 1, vcc_lo
	global_store_b8 v[5:6], v8, off
.LBB312_1607:
	s_mov_b32 s0, 0
	s_branch .LBB312_1609
.LBB312_1608:
	s_mov_b32 s0, -1
	s_mov_b32 s7, 0
.LBB312_1609:
	s_and_b32 vcc_lo, exec_lo, s0
	s_cbranch_vccz .LBB312_1648
; %bb.1610:
	v_cmp_gt_i16_e32 vcc_lo, 5, v7
	s_mov_b32 s0, -1
	s_cbranch_vccnz .LBB312_1631
; %bb.1611:
	v_cmp_gt_i16_e32 vcc_lo, 8, v7
	s_cbranch_vccnz .LBB312_1621
; %bb.1612:
	v_cmp_gt_i16_e32 vcc_lo, 9, v7
	s_cbranch_vccnz .LBB312_1618
; %bb.1613:
	v_cmp_lt_i16_e32 vcc_lo, 9, v7
	s_cbranch_vccz .LBB312_1615
; %bb.1614:
	v_bfe_i32 v8, v3, 0, 16
	v_mov_b32_e32 v10, 0
	s_mov_b32 s0, 0
	s_delay_alu instid0(VALU_DEP_2) | instskip(NEXT) | instid1(VALU_DEP_2)
	v_cvt_f64_i32_e32 v[8:9], v8
	v_mov_b32_e32 v11, v10
	global_store_b128 v[5:6], v[8:11], off
.LBB312_1615:
	s_and_not1_b32 vcc_lo, exec_lo, s0
	s_cbranch_vccnz .LBB312_1617
; %bb.1616:
	v_bfe_i32 v8, v3, 0, 16
	v_mov_b32_e32 v9, 0
	s_delay_alu instid0(VALU_DEP_2)
	v_cvt_f32_i32_e32 v8, v8
	global_store_b64 v[5:6], v[8:9], off
.LBB312_1617:
	s_mov_b32 s0, 0
.LBB312_1618:
	s_delay_alu instid0(SALU_CYCLE_1)
	s_and_not1_b32 vcc_lo, exec_lo, s0
	s_cbranch_vccnz .LBB312_1620
; %bb.1619:
	v_cvt_f16_i16_e32 v8, v3
	s_delay_alu instid0(VALU_DEP_1)
	v_and_b32_e32 v8, 0xffff, v8
	global_store_b32 v[5:6], v8, off
.LBB312_1620:
	s_mov_b32 s0, 0
.LBB312_1621:
	s_delay_alu instid0(SALU_CYCLE_1)
	s_and_not1_b32 vcc_lo, exec_lo, s0
	s_cbranch_vccnz .LBB312_1630
; %bb.1622:
	v_cmp_gt_i16_e32 vcc_lo, 6, v7
	s_mov_b32 s0, -1
	s_cbranch_vccnz .LBB312_1628
; %bb.1623:
	v_cmp_lt_i16_e32 vcc_lo, 6, v7
	s_cbranch_vccz .LBB312_1625
; %bb.1624:
	v_bfe_i32 v8, v3, 0, 16
	s_mov_b32 s0, 0
	s_delay_alu instid0(VALU_DEP_1)
	v_cvt_f64_i32_e32 v[8:9], v8
	global_store_b64 v[5:6], v[8:9], off
.LBB312_1625:
	s_and_not1_b32 vcc_lo, exec_lo, s0
	s_cbranch_vccnz .LBB312_1627
; %bb.1626:
	v_bfe_i32 v8, v3, 0, 16
	s_delay_alu instid0(VALU_DEP_1)
	v_cvt_f32_i32_e32 v8, v8
	global_store_b32 v[5:6], v8, off
.LBB312_1627:
	s_mov_b32 s0, 0
.LBB312_1628:
	s_delay_alu instid0(SALU_CYCLE_1)
	s_and_not1_b32 vcc_lo, exec_lo, s0
	s_cbranch_vccnz .LBB312_1630
; %bb.1629:
	v_cvt_f16_i16_e32 v8, v3
	global_store_b16 v[5:6], v8, off
.LBB312_1630:
	s_mov_b32 s0, 0
.LBB312_1631:
	s_delay_alu instid0(SALU_CYCLE_1)
	s_and_not1_b32 vcc_lo, exec_lo, s0
	s_cbranch_vccnz .LBB312_1647
; %bb.1632:
	v_cmp_gt_i16_e32 vcc_lo, 2, v7
	s_mov_b32 s0, -1
	s_cbranch_vccnz .LBB312_1642
; %bb.1633:
	v_cmp_gt_i16_e32 vcc_lo, 3, v7
	s_cbranch_vccnz .LBB312_1639
; %bb.1634:
	v_cmp_lt_i16_e32 vcc_lo, 3, v7
	s_cbranch_vccz .LBB312_1636
; %bb.1635:
	v_bfe_i32 v8, v3, 0, 16
	s_mov_b32 s0, 0
	s_delay_alu instid0(VALU_DEP_1)
	v_ashrrev_i32_e32 v9, 31, v8
	global_store_b64 v[5:6], v[8:9], off
.LBB312_1636:
	s_and_not1_b32 vcc_lo, exec_lo, s0
	s_cbranch_vccnz .LBB312_1638
; %bb.1637:
	v_bfe_i32 v8, v3, 0, 16
	global_store_b32 v[5:6], v8, off
.LBB312_1638:
	s_mov_b32 s0, 0
.LBB312_1639:
	s_delay_alu instid0(SALU_CYCLE_1)
	s_and_not1_b32 vcc_lo, exec_lo, s0
	s_cbranch_vccnz .LBB312_1641
; %bb.1640:
	global_store_b16 v[5:6], v3, off
.LBB312_1641:
	s_mov_b32 s0, 0
.LBB312_1642:
	s_delay_alu instid0(SALU_CYCLE_1)
	s_and_not1_b32 vcc_lo, exec_lo, s0
	s_cbranch_vccnz .LBB312_1647
; %bb.1643:
	v_cmp_lt_i16_e32 vcc_lo, 0, v7
	s_mov_b32 s0, -1
	s_cbranch_vccz .LBB312_1645
; %bb.1644:
	s_mov_b32 s0, 0
	global_store_b8 v[5:6], v3, off
.LBB312_1645:
	s_and_not1_b32 vcc_lo, exec_lo, s0
	s_cbranch_vccnz .LBB312_1647
; %bb.1646:
	global_store_b8 v[5:6], v3, off
.LBB312_1647:
	s_mov_b32 s7, -1
.LBB312_1648:
	s_delay_alu instid0(SALU_CYCLE_1)
	s_and_not1_b32 vcc_lo, exec_lo, s7
	s_cbranch_vccnz .LBB312_1963
; %bb.1649:
	s_lshl_b32 s6, s8, 7
	v_max_i16 v3, v4, s10
	v_add_nc_u32_e32 v1, s6, v1
	v_cmp_gt_i16_e32 vcc_lo, 11, v7
	s_delay_alu instid0(VALU_DEP_3) | instskip(NEXT) | instid1(VALU_DEP_3)
	v_min_i16 v8, v3, s1
	v_ashrrev_i32_e32 v4, 31, v1
	v_add_co_u32 v3, s0, s4, v1
	s_delay_alu instid0(VALU_DEP_1)
	v_add_co_ci_u32_e64 v4, s0, s5, v4, s0
	s_cbranch_vccnz .LBB312_1727
; %bb.1650:
	v_cmp_lt_i16_e32 vcc_lo, 25, v7
	s_mov_b32 s9, -1
	s_mov_b32 s7, 0
	s_mov_b32 s8, 0
	;; [unrolled: 1-line block ×3, first 2 shown]
	s_cbranch_vccz .LBB312_1683
; %bb.1651:
	v_cmp_lt_i16_e32 vcc_lo, 28, v7
	s_cbranch_vccz .LBB312_1666
; %bb.1652:
	v_cmp_lt_i16_e32 vcc_lo, 43, v7
	;; [unrolled: 3-line block ×3, first 2 shown]
	s_cbranch_vccz .LBB312_1656
; %bb.1654:
	v_cmp_eq_u16_e32 vcc_lo, 46, v7
	s_mov_b32 s0, -1
	s_mov_b32 s9, 0
	s_cbranch_vccz .LBB312_1656
; %bb.1655:
	v_bfe_i32 v5, v8, 0, 16
	s_mov_b32 s0, 0
	s_mov_b32 s8, -1
	s_delay_alu instid0(VALU_DEP_1) | instskip(NEXT) | instid1(VALU_DEP_1)
	v_cvt_f32_i32_e32 v5, v5
	v_bfe_u32 v6, v5, 16, 1
	s_delay_alu instid0(VALU_DEP_1) | instskip(NEXT) | instid1(VALU_DEP_1)
	v_add3_u32 v5, v5, v6, 0x7fff
	v_lshrrev_b32_e32 v5, 16, v5
	global_store_b32 v[3:4], v5, off
.LBB312_1656:
	s_and_b32 vcc_lo, exec_lo, s9
	s_cbranch_vccz .LBB312_1661
; %bb.1657:
	v_cmp_eq_u16_e32 vcc_lo, 44, v7
	s_mov_b32 s0, -1
	s_cbranch_vccz .LBB312_1661
; %bb.1658:
	v_bfe_i32 v5, v8, 0, 16
	v_mov_b32_e32 v6, 0xff
	s_mov_b32 s8, exec_lo
	s_delay_alu instid0(VALU_DEP_2) | instskip(NEXT) | instid1(VALU_DEP_1)
	v_cvt_f32_i32_e32 v5, v5
	v_bfe_u32 v9, v5, 23, 8
	s_delay_alu instid0(VALU_DEP_1)
	v_cmpx_ne_u32_e32 0xff, v9
; %bb.1659:
	v_and_b32_e32 v6, 0x400000, v5
	v_and_or_b32 v9, 0x3fffff, v5, v9
	v_lshrrev_b32_e32 v5, 23, v5
	s_delay_alu instid0(VALU_DEP_3) | instskip(NEXT) | instid1(VALU_DEP_3)
	v_cmp_ne_u32_e32 vcc_lo, 0, v6
	v_cmp_ne_u32_e64 s0, 0, v9
	s_delay_alu instid0(VALU_DEP_1) | instskip(NEXT) | instid1(SALU_CYCLE_1)
	s_and_b32 s0, vcc_lo, s0
	v_cndmask_b32_e64 v6, 0, 1, s0
	s_delay_alu instid0(VALU_DEP_1)
	v_add_nc_u32_e32 v6, v5, v6
; %bb.1660:
	s_or_b32 exec_lo, exec_lo, s8
	s_mov_b32 s0, 0
	s_mov_b32 s8, -1
	global_store_b8 v[3:4], v6, off
.LBB312_1661:
	s_mov_b32 s9, 0
.LBB312_1662:
	s_delay_alu instid0(SALU_CYCLE_1)
	s_and_b32 vcc_lo, exec_lo, s9
	s_cbranch_vccz .LBB312_1665
; %bb.1663:
	v_cmp_eq_u16_e32 vcc_lo, 29, v7
	s_mov_b32 s0, -1
	s_cbranch_vccz .LBB312_1665
; %bb.1664:
	v_bfe_i32 v5, v8, 0, 16
	s_mov_b32 s0, 0
	s_mov_b32 s8, -1
	s_delay_alu instid0(VALU_DEP_1)
	v_ashrrev_i32_e32 v6, 31, v5
	global_store_b64 v[3:4], v[5:6], off
.LBB312_1665:
	s_mov_b32 s9, 0
.LBB312_1666:
	s_delay_alu instid0(SALU_CYCLE_1)
	s_and_b32 vcc_lo, exec_lo, s9
	s_cbranch_vccz .LBB312_1682
; %bb.1667:
	v_cmp_gt_i16_e32 vcc_lo, 27, v7
	s_mov_b32 s8, -1
	s_cbranch_vccnz .LBB312_1673
; %bb.1668:
	v_cmp_lt_i16_e32 vcc_lo, 27, v7
	s_cbranch_vccz .LBB312_1670
; %bb.1669:
	v_bfe_i32 v5, v8, 0, 16
	s_mov_b32 s8, 0
	global_store_b32 v[3:4], v5, off
.LBB312_1670:
	s_and_not1_b32 vcc_lo, exec_lo, s8
	s_cbranch_vccnz .LBB312_1672
; %bb.1671:
	global_store_b16 v[3:4], v8, off
.LBB312_1672:
	s_mov_b32 s8, 0
.LBB312_1673:
	s_delay_alu instid0(SALU_CYCLE_1)
	s_and_not1_b32 vcc_lo, exec_lo, s8
	s_cbranch_vccnz .LBB312_1681
; %bb.1674:
	v_bfe_i32 v5, v8, 0, 16
	v_mov_b32_e32 v9, 0x80
	s_mov_b32 s8, exec_lo
	s_delay_alu instid0(VALU_DEP_2) | instskip(NEXT) | instid1(VALU_DEP_1)
	v_cvt_f32_i32_e32 v5, v5
	v_and_b32_e32 v6, 0x7fffffff, v5
	s_delay_alu instid0(VALU_DEP_1)
	v_cmpx_gt_u32_e32 0x43800000, v6
	s_cbranch_execz .LBB312_1680
; %bb.1675:
	v_cmp_lt_u32_e32 vcc_lo, 0x3bffffff, v6
	s_mov_b32 s9, 0
                                        ; implicit-def: $vgpr6
	s_and_saveexec_b32 s11, vcc_lo
	s_delay_alu instid0(SALU_CYCLE_1)
	s_xor_b32 s11, exec_lo, s11
	s_cbranch_execz .LBB312_2019
; %bb.1676:
	v_bfe_u32 v6, v5, 20, 1
	s_mov_b32 s9, exec_lo
	s_delay_alu instid0(VALU_DEP_1) | instskip(NEXT) | instid1(VALU_DEP_1)
	v_add3_u32 v6, v5, v6, 0x487ffff
	v_lshrrev_b32_e32 v6, 20, v6
	s_or_saveexec_b32 s11, s11
                                        ; implicit-def: $sgpr13
	s_delay_alu instid0(SALU_CYCLE_1)
	s_xor_b32 exec_lo, exec_lo, s11
	s_cbranch_execnz .LBB312_2020
.LBB312_1677:
	s_or_b32 exec_lo, exec_lo, s11
	v_mov_b32_e32 v9, s13
	s_and_saveexec_b32 s11, s9
.LBB312_1678:
	v_lshrrev_b32_e32 v5, 24, v5
	s_delay_alu instid0(VALU_DEP_1)
	v_and_or_b32 v9, 0x80, v5, v6
.LBB312_1679:
	s_or_b32 exec_lo, exec_lo, s11
.LBB312_1680:
	s_delay_alu instid0(SALU_CYCLE_1)
	s_or_b32 exec_lo, exec_lo, s8
	global_store_b8 v[3:4], v9, off
.LBB312_1681:
	s_mov_b32 s8, -1
.LBB312_1682:
	s_mov_b32 s9, 0
.LBB312_1683:
	s_delay_alu instid0(SALU_CYCLE_1)
	s_and_b32 vcc_lo, exec_lo, s9
	s_cbranch_vccz .LBB312_1723
; %bb.1684:
	v_cmp_lt_i16_e32 vcc_lo, 22, v7
	s_mov_b32 s7, -1
	s_cbranch_vccz .LBB312_1716
; %bb.1685:
	v_cmp_gt_i16_e32 vcc_lo, 24, v7
	s_cbranch_vccnz .LBB312_1705
; %bb.1686:
	v_cmp_lt_i16_e32 vcc_lo, 24, v7
	s_cbranch_vccz .LBB312_1694
; %bb.1687:
	v_bfe_i32 v5, v8, 0, 16
	v_mov_b32_e32 v9, 0x80
	s_mov_b32 s7, exec_lo
	s_delay_alu instid0(VALU_DEP_2) | instskip(NEXT) | instid1(VALU_DEP_1)
	v_cvt_f32_i32_e32 v5, v5
	v_and_b32_e32 v6, 0x7fffffff, v5
	s_delay_alu instid0(VALU_DEP_1)
	v_cmpx_gt_u32_e32 0x47800000, v6
	s_cbranch_execz .LBB312_1693
; %bb.1688:
	v_cmp_lt_u32_e32 vcc_lo, 0x37ffffff, v6
	s_mov_b32 s8, 0
                                        ; implicit-def: $vgpr6
	s_and_saveexec_b32 s9, vcc_lo
	s_delay_alu instid0(SALU_CYCLE_1)
	s_xor_b32 s9, exec_lo, s9
	s_cbranch_execz .LBB312_2025
; %bb.1689:
	v_bfe_u32 v6, v5, 21, 1
	s_mov_b32 s8, exec_lo
	s_delay_alu instid0(VALU_DEP_1) | instskip(NEXT) | instid1(VALU_DEP_1)
	v_add3_u32 v6, v5, v6, 0x88fffff
	v_lshrrev_b32_e32 v6, 21, v6
	s_or_saveexec_b32 s9, s9
                                        ; implicit-def: $sgpr11
	s_delay_alu instid0(SALU_CYCLE_1)
	s_xor_b32 exec_lo, exec_lo, s9
	s_cbranch_execnz .LBB312_2026
.LBB312_1690:
	s_or_b32 exec_lo, exec_lo, s9
	v_mov_b32_e32 v9, s11
	s_and_saveexec_b32 s9, s8
.LBB312_1691:
	v_lshrrev_b32_e32 v5, 24, v5
	s_delay_alu instid0(VALU_DEP_1)
	v_and_or_b32 v9, 0x80, v5, v6
.LBB312_1692:
	s_or_b32 exec_lo, exec_lo, s9
.LBB312_1693:
	s_delay_alu instid0(SALU_CYCLE_1)
	s_or_b32 exec_lo, exec_lo, s7
	s_mov_b32 s7, 0
	global_store_b8 v[3:4], v9, off
.LBB312_1694:
	s_and_b32 vcc_lo, exec_lo, s7
	s_cbranch_vccz .LBB312_1704
; %bb.1695:
	v_bfe_i32 v5, v8, 0, 16
	s_mov_b32 s7, exec_lo
                                        ; implicit-def: $vgpr6
	s_delay_alu instid0(VALU_DEP_1) | instskip(NEXT) | instid1(VALU_DEP_1)
	v_cvt_f32_i32_e32 v5, v5
	v_and_b32_e32 v9, 0x7fffffff, v5
	s_delay_alu instid0(VALU_DEP_1)
	v_cmpx_gt_u32_e32 0x43f00000, v9
	s_xor_b32 s7, exec_lo, s7
	s_cbranch_execz .LBB312_1701
; %bb.1696:
	s_mov_b32 s8, exec_lo
                                        ; implicit-def: $vgpr6
	v_cmpx_lt_u32_e32 0x3c7fffff, v9
	s_xor_b32 s8, exec_lo, s8
; %bb.1697:
	v_bfe_u32 v6, v5, 20, 1
	s_delay_alu instid0(VALU_DEP_1) | instskip(NEXT) | instid1(VALU_DEP_1)
	v_add3_u32 v6, v5, v6, 0x407ffff
	v_and_b32_e32 v9, 0xff00000, v6
	v_lshrrev_b32_e32 v6, 20, v6
	s_delay_alu instid0(VALU_DEP_2) | instskip(NEXT) | instid1(VALU_DEP_2)
	v_cmp_ne_u32_e32 vcc_lo, 0x7f00000, v9
	v_cndmask_b32_e32 v6, 0x7e, v6, vcc_lo
; %bb.1698:
	s_and_not1_saveexec_b32 s8, s8
; %bb.1699:
	v_add_f32_e64 v6, 0x46800000, |v5|
; %bb.1700:
	s_or_b32 exec_lo, exec_lo, s8
                                        ; implicit-def: $vgpr9
.LBB312_1701:
	s_and_not1_saveexec_b32 s7, s7
; %bb.1702:
	v_mov_b32_e32 v6, 0x7f
	v_cmp_lt_u32_e32 vcc_lo, 0x7f800000, v9
	s_delay_alu instid0(VALU_DEP_2)
	v_cndmask_b32_e32 v6, 0x7e, v6, vcc_lo
; %bb.1703:
	s_or_b32 exec_lo, exec_lo, s7
	v_lshrrev_b32_e32 v5, 24, v5
	s_delay_alu instid0(VALU_DEP_1)
	v_and_or_b32 v5, 0x80, v5, v6
	global_store_b8 v[3:4], v5, off
.LBB312_1704:
	s_mov_b32 s7, 0
.LBB312_1705:
	s_delay_alu instid0(SALU_CYCLE_1)
	s_and_not1_b32 vcc_lo, exec_lo, s7
	s_cbranch_vccnz .LBB312_1715
; %bb.1706:
	v_bfe_i32 v5, v8, 0, 16
	s_mov_b32 s7, exec_lo
                                        ; implicit-def: $vgpr6
	s_delay_alu instid0(VALU_DEP_1) | instskip(NEXT) | instid1(VALU_DEP_1)
	v_cvt_f32_i32_e32 v5, v5
	v_and_b32_e32 v9, 0x7fffffff, v5
	s_delay_alu instid0(VALU_DEP_1)
	v_cmpx_gt_u32_e32 0x47800000, v9
	s_xor_b32 s7, exec_lo, s7
	s_cbranch_execz .LBB312_1712
; %bb.1707:
	s_mov_b32 s8, exec_lo
                                        ; implicit-def: $vgpr6
	v_cmpx_lt_u32_e32 0x387fffff, v9
	s_xor_b32 s8, exec_lo, s8
; %bb.1708:
	v_bfe_u32 v6, v5, 21, 1
	s_delay_alu instid0(VALU_DEP_1) | instskip(NEXT) | instid1(VALU_DEP_1)
	v_add3_u32 v6, v5, v6, 0x80fffff
	v_lshrrev_b32_e32 v6, 21, v6
; %bb.1709:
	s_and_not1_saveexec_b32 s8, s8
; %bb.1710:
	v_add_f32_e64 v6, 0x43000000, |v5|
; %bb.1711:
	s_or_b32 exec_lo, exec_lo, s8
                                        ; implicit-def: $vgpr9
.LBB312_1712:
	s_and_not1_saveexec_b32 s7, s7
; %bb.1713:
	v_mov_b32_e32 v6, 0x7f
	v_cmp_lt_u32_e32 vcc_lo, 0x7f800000, v9
	s_delay_alu instid0(VALU_DEP_2)
	v_cndmask_b32_e32 v6, 0x7c, v6, vcc_lo
; %bb.1714:
	s_or_b32 exec_lo, exec_lo, s7
	v_lshrrev_b32_e32 v5, 24, v5
	s_delay_alu instid0(VALU_DEP_1)
	v_and_or_b32 v5, 0x80, v5, v6
	global_store_b8 v[3:4], v5, off
.LBB312_1715:
	s_mov_b32 s7, 0
	s_mov_b32 s8, -1
.LBB312_1716:
	s_and_not1_b32 vcc_lo, exec_lo, s7
	s_mov_b32 s7, 0
	s_cbranch_vccnz .LBB312_1723
; %bb.1717:
	v_cmp_lt_i16_e32 vcc_lo, 14, v7
	s_mov_b32 s7, -1
	s_cbranch_vccz .LBB312_1721
; %bb.1718:
	v_cmp_eq_u16_e32 vcc_lo, 15, v7
	s_mov_b32 s0, -1
	s_cbranch_vccz .LBB312_1720
; %bb.1719:
	v_bfe_i32 v5, v8, 0, 16
	s_mov_b32 s0, 0
	s_mov_b32 s8, -1
	s_delay_alu instid0(VALU_DEP_1) | instskip(NEXT) | instid1(VALU_DEP_1)
	v_cvt_f32_i32_e32 v5, v5
	v_bfe_u32 v6, v5, 16, 1
	s_delay_alu instid0(VALU_DEP_1)
	v_add3_u32 v5, v5, v6, 0x7fff
	global_store_d16_hi_b16 v[3:4], v5, off
.LBB312_1720:
	s_mov_b32 s7, 0
.LBB312_1721:
	s_delay_alu instid0(SALU_CYCLE_1)
	s_and_b32 vcc_lo, exec_lo, s7
	s_mov_b32 s7, 0
	s_cbranch_vccz .LBB312_1723
; %bb.1722:
	v_cmp_ne_u16_e64 s0, 11, v7
	s_mov_b32 s7, -1
.LBB312_1723:
	s_delay_alu instid0(VALU_DEP_1)
	s_and_b32 vcc_lo, exec_lo, s0
	s_cbranch_vccnz .LBB312_2023
; %bb.1724:
	s_and_not1_b32 vcc_lo, exec_lo, s7
	s_cbranch_vccnz .LBB312_1726
.LBB312_1725:
	v_cmp_ne_u16_e32 vcc_lo, 0, v8
	s_mov_b32 s8, -1
	v_cndmask_b32_e64 v5, 0, 1, vcc_lo
	global_store_b8 v[3:4], v5, off
.LBB312_1726:
	s_mov_b32 s0, 0
	s_branch .LBB312_1728
.LBB312_1727:
	s_mov_b32 s0, -1
	s_mov_b32 s8, 0
.LBB312_1728:
	s_and_b32 vcc_lo, exec_lo, s0
	s_cbranch_vccz .LBB312_1767
; %bb.1729:
	v_cmp_gt_i16_e32 vcc_lo, 5, v7
	s_mov_b32 s0, -1
	s_cbranch_vccnz .LBB312_1750
; %bb.1730:
	v_cmp_gt_i16_e32 vcc_lo, 8, v7
	s_cbranch_vccnz .LBB312_1740
; %bb.1731:
	v_cmp_gt_i16_e32 vcc_lo, 9, v7
	s_cbranch_vccnz .LBB312_1737
; %bb.1732:
	v_cmp_lt_i16_e32 vcc_lo, 9, v7
	s_cbranch_vccz .LBB312_1734
; %bb.1733:
	v_bfe_i32 v5, v8, 0, 16
	v_mov_b32_e32 v11, 0
	s_mov_b32 s0, 0
	s_delay_alu instid0(VALU_DEP_2) | instskip(NEXT) | instid1(VALU_DEP_2)
	v_cvt_f64_i32_e32 v[9:10], v5
	v_mov_b32_e32 v12, v11
	global_store_b128 v[3:4], v[9:12], off
.LBB312_1734:
	s_and_not1_b32 vcc_lo, exec_lo, s0
	s_cbranch_vccnz .LBB312_1736
; %bb.1735:
	v_bfe_i32 v5, v8, 0, 16
	v_mov_b32_e32 v6, 0
	s_delay_alu instid0(VALU_DEP_2)
	v_cvt_f32_i32_e32 v5, v5
	global_store_b64 v[3:4], v[5:6], off
.LBB312_1736:
	s_mov_b32 s0, 0
.LBB312_1737:
	s_delay_alu instid0(SALU_CYCLE_1)
	s_and_not1_b32 vcc_lo, exec_lo, s0
	s_cbranch_vccnz .LBB312_1739
; %bb.1738:
	v_cvt_f16_i16_e32 v5, v8
	s_delay_alu instid0(VALU_DEP_1)
	v_and_b32_e32 v5, 0xffff, v5
	global_store_b32 v[3:4], v5, off
.LBB312_1739:
	s_mov_b32 s0, 0
.LBB312_1740:
	s_delay_alu instid0(SALU_CYCLE_1)
	s_and_not1_b32 vcc_lo, exec_lo, s0
	s_cbranch_vccnz .LBB312_1749
; %bb.1741:
	v_cmp_gt_i16_e32 vcc_lo, 6, v7
	s_mov_b32 s0, -1
	s_cbranch_vccnz .LBB312_1747
; %bb.1742:
	v_cmp_lt_i16_e32 vcc_lo, 6, v7
	s_cbranch_vccz .LBB312_1744
; %bb.1743:
	v_bfe_i32 v5, v8, 0, 16
	s_mov_b32 s0, 0
	s_delay_alu instid0(VALU_DEP_1)
	v_cvt_f64_i32_e32 v[5:6], v5
	global_store_b64 v[3:4], v[5:6], off
.LBB312_1744:
	s_and_not1_b32 vcc_lo, exec_lo, s0
	s_cbranch_vccnz .LBB312_1746
; %bb.1745:
	v_bfe_i32 v5, v8, 0, 16
	s_delay_alu instid0(VALU_DEP_1)
	v_cvt_f32_i32_e32 v5, v5
	global_store_b32 v[3:4], v5, off
.LBB312_1746:
	s_mov_b32 s0, 0
.LBB312_1747:
	s_delay_alu instid0(SALU_CYCLE_1)
	s_and_not1_b32 vcc_lo, exec_lo, s0
	s_cbranch_vccnz .LBB312_1749
; %bb.1748:
	v_cvt_f16_i16_e32 v5, v8
	global_store_b16 v[3:4], v5, off
.LBB312_1749:
	s_mov_b32 s0, 0
.LBB312_1750:
	s_delay_alu instid0(SALU_CYCLE_1)
	s_and_not1_b32 vcc_lo, exec_lo, s0
	s_cbranch_vccnz .LBB312_1766
; %bb.1751:
	v_cmp_gt_i16_e32 vcc_lo, 2, v7
	s_mov_b32 s0, -1
	s_cbranch_vccnz .LBB312_1761
; %bb.1752:
	v_cmp_gt_i16_e32 vcc_lo, 3, v7
	s_cbranch_vccnz .LBB312_1758
; %bb.1753:
	v_cmp_lt_i16_e32 vcc_lo, 3, v7
	v_bfe_i32 v5, v8, 0, 16
	s_cbranch_vccz .LBB312_1755
; %bb.1754:
	s_delay_alu instid0(VALU_DEP_1)
	v_ashrrev_i32_e32 v6, 31, v5
	s_mov_b32 s0, 0
	global_store_b64 v[3:4], v[5:6], off
.LBB312_1755:
	s_and_not1_b32 vcc_lo, exec_lo, s0
	s_cbranch_vccnz .LBB312_1757
; %bb.1756:
	global_store_b32 v[3:4], v5, off
.LBB312_1757:
	s_mov_b32 s0, 0
.LBB312_1758:
	s_delay_alu instid0(SALU_CYCLE_1)
	s_and_not1_b32 vcc_lo, exec_lo, s0
	s_cbranch_vccnz .LBB312_1760
; %bb.1759:
	global_store_b16 v[3:4], v8, off
.LBB312_1760:
	s_mov_b32 s0, 0
.LBB312_1761:
	s_delay_alu instid0(SALU_CYCLE_1)
	s_and_not1_b32 vcc_lo, exec_lo, s0
	s_cbranch_vccnz .LBB312_1766
; %bb.1762:
	v_cmp_lt_i16_e32 vcc_lo, 0, v7
	s_mov_b32 s0, -1
	s_cbranch_vccz .LBB312_1764
; %bb.1763:
	s_mov_b32 s0, 0
	global_store_b8 v[3:4], v8, off
.LBB312_1764:
	s_and_not1_b32 vcc_lo, exec_lo, s0
	s_cbranch_vccnz .LBB312_1766
; %bb.1765:
	global_store_b8 v[3:4], v8, off
.LBB312_1766:
	s_mov_b32 s8, -1
.LBB312_1767:
	s_delay_alu instid0(SALU_CYCLE_1)
	s_and_not1_b32 vcc_lo, exec_lo, s8
	s_cbranch_vccnz .LBB312_1963
; %bb.1768:
	v_add_nc_u32_e32 v5, s6, v1
	v_max_i16 v1, v2, s10
	v_cmp_gt_i16_e32 vcc_lo, 11, v7
	s_delay_alu instid0(VALU_DEP_3) | instskip(NEXT) | instid1(VALU_DEP_3)
	v_ashrrev_i32_e32 v2, 31, v5
	v_min_i16 v6, v1, s1
	v_add_co_u32 v1, s0, s4, v5
	s_delay_alu instid0(VALU_DEP_1)
	v_add_co_ci_u32_e64 v2, s0, s5, v2, s0
	s_cbranch_vccnz .LBB312_1846
; %bb.1769:
	v_cmp_lt_i16_e32 vcc_lo, 25, v7
	s_mov_b32 s9, -1
	s_mov_b32 s7, 0
	s_mov_b32 s8, 0
	;; [unrolled: 1-line block ×3, first 2 shown]
	s_cbranch_vccz .LBB312_1802
; %bb.1770:
	v_cmp_lt_i16_e32 vcc_lo, 28, v7
	s_cbranch_vccz .LBB312_1785
; %bb.1771:
	v_cmp_lt_i16_e32 vcc_lo, 43, v7
	;; [unrolled: 3-line block ×3, first 2 shown]
	s_cbranch_vccz .LBB312_1775
; %bb.1773:
	v_cmp_eq_u16_e32 vcc_lo, 46, v7
	s_mov_b32 s0, -1
	s_mov_b32 s9, 0
	s_cbranch_vccz .LBB312_1775
; %bb.1774:
	v_bfe_i32 v3, v6, 0, 16
	s_mov_b32 s0, 0
	s_mov_b32 s8, -1
	s_delay_alu instid0(VALU_DEP_1) | instskip(NEXT) | instid1(VALU_DEP_1)
	v_cvt_f32_i32_e32 v3, v3
	v_bfe_u32 v4, v3, 16, 1
	s_delay_alu instid0(VALU_DEP_1) | instskip(NEXT) | instid1(VALU_DEP_1)
	v_add3_u32 v3, v3, v4, 0x7fff
	v_lshrrev_b32_e32 v3, 16, v3
	global_store_b32 v[1:2], v3, off
.LBB312_1775:
	s_and_b32 vcc_lo, exec_lo, s9
	s_cbranch_vccz .LBB312_1780
; %bb.1776:
	v_cmp_eq_u16_e32 vcc_lo, 44, v7
	s_mov_b32 s0, -1
	s_cbranch_vccz .LBB312_1780
; %bb.1777:
	v_bfe_i32 v3, v6, 0, 16
	v_mov_b32_e32 v4, 0xff
	s_mov_b32 s8, exec_lo
	s_delay_alu instid0(VALU_DEP_2) | instskip(NEXT) | instid1(VALU_DEP_1)
	v_cvt_f32_i32_e32 v3, v3
	v_bfe_u32 v8, v3, 23, 8
	s_delay_alu instid0(VALU_DEP_1)
	v_cmpx_ne_u32_e32 0xff, v8
; %bb.1778:
	v_and_b32_e32 v4, 0x400000, v3
	v_and_or_b32 v8, 0x3fffff, v3, v8
	v_lshrrev_b32_e32 v3, 23, v3
	s_delay_alu instid0(VALU_DEP_3) | instskip(NEXT) | instid1(VALU_DEP_3)
	v_cmp_ne_u32_e32 vcc_lo, 0, v4
	v_cmp_ne_u32_e64 s0, 0, v8
	s_delay_alu instid0(VALU_DEP_1) | instskip(NEXT) | instid1(SALU_CYCLE_1)
	s_and_b32 s0, vcc_lo, s0
	v_cndmask_b32_e64 v4, 0, 1, s0
	s_delay_alu instid0(VALU_DEP_1)
	v_add_nc_u32_e32 v4, v3, v4
; %bb.1779:
	s_or_b32 exec_lo, exec_lo, s8
	s_mov_b32 s0, 0
	s_mov_b32 s8, -1
	global_store_b8 v[1:2], v4, off
.LBB312_1780:
	s_mov_b32 s9, 0
.LBB312_1781:
	s_delay_alu instid0(SALU_CYCLE_1)
	s_and_b32 vcc_lo, exec_lo, s9
	s_cbranch_vccz .LBB312_1784
; %bb.1782:
	v_cmp_eq_u16_e32 vcc_lo, 29, v7
	s_mov_b32 s0, -1
	s_cbranch_vccz .LBB312_1784
; %bb.1783:
	v_bfe_i32 v3, v6, 0, 16
	s_mov_b32 s0, 0
	s_mov_b32 s8, -1
	s_delay_alu instid0(VALU_DEP_1)
	v_ashrrev_i32_e32 v4, 31, v3
	global_store_b64 v[1:2], v[3:4], off
.LBB312_1784:
	s_mov_b32 s9, 0
.LBB312_1785:
	s_delay_alu instid0(SALU_CYCLE_1)
	s_and_b32 vcc_lo, exec_lo, s9
	s_cbranch_vccz .LBB312_1801
; %bb.1786:
	v_cmp_gt_i16_e32 vcc_lo, 27, v7
	s_mov_b32 s8, -1
	s_cbranch_vccnz .LBB312_1792
; %bb.1787:
	v_cmp_lt_i16_e32 vcc_lo, 27, v7
	s_cbranch_vccz .LBB312_1789
; %bb.1788:
	v_bfe_i32 v3, v6, 0, 16
	s_mov_b32 s8, 0
	global_store_b32 v[1:2], v3, off
.LBB312_1789:
	s_and_not1_b32 vcc_lo, exec_lo, s8
	s_cbranch_vccnz .LBB312_1791
; %bb.1790:
	global_store_b16 v[1:2], v6, off
.LBB312_1791:
	s_mov_b32 s8, 0
.LBB312_1792:
	s_delay_alu instid0(SALU_CYCLE_1)
	s_and_not1_b32 vcc_lo, exec_lo, s8
	s_cbranch_vccnz .LBB312_1800
; %bb.1793:
	v_bfe_i32 v3, v6, 0, 16
	v_mov_b32_e32 v8, 0x80
	s_mov_b32 s8, exec_lo
	s_delay_alu instid0(VALU_DEP_2) | instskip(NEXT) | instid1(VALU_DEP_1)
	v_cvt_f32_i32_e32 v3, v3
	v_and_b32_e32 v4, 0x7fffffff, v3
	s_delay_alu instid0(VALU_DEP_1)
	v_cmpx_gt_u32_e32 0x43800000, v4
	s_cbranch_execz .LBB312_1799
; %bb.1794:
	v_cmp_lt_u32_e32 vcc_lo, 0x3bffffff, v4
	s_mov_b32 s9, 0
                                        ; implicit-def: $vgpr4
	s_and_saveexec_b32 s11, vcc_lo
	s_delay_alu instid0(SALU_CYCLE_1)
	s_xor_b32 s11, exec_lo, s11
	s_cbranch_execz .LBB312_2027
; %bb.1795:
	v_bfe_u32 v4, v3, 20, 1
	s_mov_b32 s9, exec_lo
	s_delay_alu instid0(VALU_DEP_1) | instskip(NEXT) | instid1(VALU_DEP_1)
	v_add3_u32 v4, v3, v4, 0x487ffff
	v_lshrrev_b32_e32 v4, 20, v4
	s_or_saveexec_b32 s11, s11
                                        ; implicit-def: $sgpr13
	s_delay_alu instid0(SALU_CYCLE_1)
	s_xor_b32 exec_lo, exec_lo, s11
	s_cbranch_execnz .LBB312_2028
.LBB312_1796:
	s_or_b32 exec_lo, exec_lo, s11
	v_mov_b32_e32 v8, s13
	s_and_saveexec_b32 s11, s9
.LBB312_1797:
	v_lshrrev_b32_e32 v3, 24, v3
	s_delay_alu instid0(VALU_DEP_1)
	v_and_or_b32 v8, 0x80, v3, v4
.LBB312_1798:
	s_or_b32 exec_lo, exec_lo, s11
.LBB312_1799:
	s_delay_alu instid0(SALU_CYCLE_1)
	s_or_b32 exec_lo, exec_lo, s8
	global_store_b8 v[1:2], v8, off
.LBB312_1800:
	s_mov_b32 s8, -1
.LBB312_1801:
	s_mov_b32 s9, 0
.LBB312_1802:
	s_delay_alu instid0(SALU_CYCLE_1)
	s_and_b32 vcc_lo, exec_lo, s9
	s_cbranch_vccz .LBB312_1842
; %bb.1803:
	v_cmp_lt_i16_e32 vcc_lo, 22, v7
	s_mov_b32 s7, -1
	s_cbranch_vccz .LBB312_1835
; %bb.1804:
	v_cmp_gt_i16_e32 vcc_lo, 24, v7
	s_cbranch_vccnz .LBB312_1824
; %bb.1805:
	v_cmp_lt_i16_e32 vcc_lo, 24, v7
	s_cbranch_vccz .LBB312_1813
; %bb.1806:
	v_bfe_i32 v3, v6, 0, 16
	v_mov_b32_e32 v8, 0x80
	s_mov_b32 s7, exec_lo
	s_delay_alu instid0(VALU_DEP_2) | instskip(NEXT) | instid1(VALU_DEP_1)
	v_cvt_f32_i32_e32 v3, v3
	v_and_b32_e32 v4, 0x7fffffff, v3
	s_delay_alu instid0(VALU_DEP_1)
	v_cmpx_gt_u32_e32 0x47800000, v4
	s_cbranch_execz .LBB312_1812
; %bb.1807:
	v_cmp_lt_u32_e32 vcc_lo, 0x37ffffff, v4
	s_mov_b32 s8, 0
                                        ; implicit-def: $vgpr4
	s_and_saveexec_b32 s9, vcc_lo
	s_delay_alu instid0(SALU_CYCLE_1)
	s_xor_b32 s9, exec_lo, s9
	s_cbranch_execz .LBB312_2033
; %bb.1808:
	v_bfe_u32 v4, v3, 21, 1
	s_mov_b32 s8, exec_lo
	s_delay_alu instid0(VALU_DEP_1) | instskip(NEXT) | instid1(VALU_DEP_1)
	v_add3_u32 v4, v3, v4, 0x88fffff
	v_lshrrev_b32_e32 v4, 21, v4
	s_or_saveexec_b32 s9, s9
                                        ; implicit-def: $sgpr11
	s_delay_alu instid0(SALU_CYCLE_1)
	s_xor_b32 exec_lo, exec_lo, s9
	s_cbranch_execnz .LBB312_2034
.LBB312_1809:
	s_or_b32 exec_lo, exec_lo, s9
	v_mov_b32_e32 v8, s11
	s_and_saveexec_b32 s9, s8
.LBB312_1810:
	v_lshrrev_b32_e32 v3, 24, v3
	s_delay_alu instid0(VALU_DEP_1)
	v_and_or_b32 v8, 0x80, v3, v4
.LBB312_1811:
	s_or_b32 exec_lo, exec_lo, s9
.LBB312_1812:
	s_delay_alu instid0(SALU_CYCLE_1)
	s_or_b32 exec_lo, exec_lo, s7
	s_mov_b32 s7, 0
	global_store_b8 v[1:2], v8, off
.LBB312_1813:
	s_and_b32 vcc_lo, exec_lo, s7
	s_cbranch_vccz .LBB312_1823
; %bb.1814:
	v_bfe_i32 v3, v6, 0, 16
	s_mov_b32 s7, exec_lo
                                        ; implicit-def: $vgpr4
	s_delay_alu instid0(VALU_DEP_1) | instskip(NEXT) | instid1(VALU_DEP_1)
	v_cvt_f32_i32_e32 v3, v3
	v_and_b32_e32 v8, 0x7fffffff, v3
	s_delay_alu instid0(VALU_DEP_1)
	v_cmpx_gt_u32_e32 0x43f00000, v8
	s_xor_b32 s7, exec_lo, s7
	s_cbranch_execz .LBB312_1820
; %bb.1815:
	s_mov_b32 s8, exec_lo
                                        ; implicit-def: $vgpr4
	v_cmpx_lt_u32_e32 0x3c7fffff, v8
	s_xor_b32 s8, exec_lo, s8
; %bb.1816:
	v_bfe_u32 v4, v3, 20, 1
	s_delay_alu instid0(VALU_DEP_1) | instskip(NEXT) | instid1(VALU_DEP_1)
	v_add3_u32 v4, v3, v4, 0x407ffff
	v_and_b32_e32 v8, 0xff00000, v4
	v_lshrrev_b32_e32 v4, 20, v4
	s_delay_alu instid0(VALU_DEP_2) | instskip(NEXT) | instid1(VALU_DEP_2)
	v_cmp_ne_u32_e32 vcc_lo, 0x7f00000, v8
	v_cndmask_b32_e32 v4, 0x7e, v4, vcc_lo
; %bb.1817:
	s_and_not1_saveexec_b32 s8, s8
; %bb.1818:
	v_add_f32_e64 v4, 0x46800000, |v3|
; %bb.1819:
	s_or_b32 exec_lo, exec_lo, s8
                                        ; implicit-def: $vgpr8
.LBB312_1820:
	s_and_not1_saveexec_b32 s7, s7
; %bb.1821:
	v_mov_b32_e32 v4, 0x7f
	v_cmp_lt_u32_e32 vcc_lo, 0x7f800000, v8
	s_delay_alu instid0(VALU_DEP_2)
	v_cndmask_b32_e32 v4, 0x7e, v4, vcc_lo
; %bb.1822:
	s_or_b32 exec_lo, exec_lo, s7
	v_lshrrev_b32_e32 v3, 24, v3
	s_delay_alu instid0(VALU_DEP_1)
	v_and_or_b32 v3, 0x80, v3, v4
	global_store_b8 v[1:2], v3, off
.LBB312_1823:
	s_mov_b32 s7, 0
.LBB312_1824:
	s_delay_alu instid0(SALU_CYCLE_1)
	s_and_not1_b32 vcc_lo, exec_lo, s7
	s_cbranch_vccnz .LBB312_1834
; %bb.1825:
	v_bfe_i32 v3, v6, 0, 16
	s_mov_b32 s7, exec_lo
                                        ; implicit-def: $vgpr4
	s_delay_alu instid0(VALU_DEP_1) | instskip(NEXT) | instid1(VALU_DEP_1)
	v_cvt_f32_i32_e32 v3, v3
	v_and_b32_e32 v8, 0x7fffffff, v3
	s_delay_alu instid0(VALU_DEP_1)
	v_cmpx_gt_u32_e32 0x47800000, v8
	s_xor_b32 s7, exec_lo, s7
	s_cbranch_execz .LBB312_1831
; %bb.1826:
	s_mov_b32 s8, exec_lo
                                        ; implicit-def: $vgpr4
	v_cmpx_lt_u32_e32 0x387fffff, v8
	s_xor_b32 s8, exec_lo, s8
; %bb.1827:
	v_bfe_u32 v4, v3, 21, 1
	s_delay_alu instid0(VALU_DEP_1) | instskip(NEXT) | instid1(VALU_DEP_1)
	v_add3_u32 v4, v3, v4, 0x80fffff
	v_lshrrev_b32_e32 v4, 21, v4
; %bb.1828:
	s_and_not1_saveexec_b32 s8, s8
; %bb.1829:
	v_add_f32_e64 v4, 0x43000000, |v3|
; %bb.1830:
	s_or_b32 exec_lo, exec_lo, s8
                                        ; implicit-def: $vgpr8
.LBB312_1831:
	s_and_not1_saveexec_b32 s7, s7
; %bb.1832:
	v_mov_b32_e32 v4, 0x7f
	v_cmp_lt_u32_e32 vcc_lo, 0x7f800000, v8
	s_delay_alu instid0(VALU_DEP_2)
	v_cndmask_b32_e32 v4, 0x7c, v4, vcc_lo
; %bb.1833:
	s_or_b32 exec_lo, exec_lo, s7
	v_lshrrev_b32_e32 v3, 24, v3
	s_delay_alu instid0(VALU_DEP_1)
	v_and_or_b32 v3, 0x80, v3, v4
	global_store_b8 v[1:2], v3, off
.LBB312_1834:
	s_mov_b32 s7, 0
	s_mov_b32 s8, -1
.LBB312_1835:
	s_and_not1_b32 vcc_lo, exec_lo, s7
	s_mov_b32 s7, 0
	s_cbranch_vccnz .LBB312_1842
; %bb.1836:
	v_cmp_lt_i16_e32 vcc_lo, 14, v7
	s_mov_b32 s7, -1
	s_cbranch_vccz .LBB312_1840
; %bb.1837:
	v_cmp_eq_u16_e32 vcc_lo, 15, v7
	s_mov_b32 s0, -1
	s_cbranch_vccz .LBB312_1839
; %bb.1838:
	v_bfe_i32 v3, v6, 0, 16
	s_mov_b32 s0, 0
	s_mov_b32 s8, -1
	s_delay_alu instid0(VALU_DEP_1) | instskip(NEXT) | instid1(VALU_DEP_1)
	v_cvt_f32_i32_e32 v3, v3
	v_bfe_u32 v4, v3, 16, 1
	s_delay_alu instid0(VALU_DEP_1)
	v_add3_u32 v3, v3, v4, 0x7fff
	global_store_d16_hi_b16 v[1:2], v3, off
.LBB312_1839:
	s_mov_b32 s7, 0
.LBB312_1840:
	s_delay_alu instid0(SALU_CYCLE_1)
	s_and_b32 vcc_lo, exec_lo, s7
	s_mov_b32 s7, 0
	s_cbranch_vccz .LBB312_1842
; %bb.1841:
	v_cmp_ne_u16_e64 s0, 11, v7
	s_mov_b32 s7, -1
.LBB312_1842:
	s_delay_alu instid0(VALU_DEP_1)
	s_and_b32 vcc_lo, exec_lo, s0
	s_cbranch_vccnz .LBB312_2031
; %bb.1843:
	s_and_not1_b32 vcc_lo, exec_lo, s7
	s_cbranch_vccnz .LBB312_1845
.LBB312_1844:
	v_cmp_ne_u16_e32 vcc_lo, 0, v6
	s_mov_b32 s8, -1
	v_cndmask_b32_e64 v3, 0, 1, vcc_lo
	global_store_b8 v[1:2], v3, off
.LBB312_1845:
	s_mov_b32 s0, 0
	s_branch .LBB312_1847
.LBB312_1846:
	s_mov_b32 s0, -1
	s_mov_b32 s8, 0
.LBB312_1847:
	s_and_b32 vcc_lo, exec_lo, s0
	s_cbranch_vccz .LBB312_1886
; %bb.1848:
	v_cmp_gt_i16_e32 vcc_lo, 5, v7
	s_mov_b32 s0, -1
	s_cbranch_vccnz .LBB312_1869
; %bb.1849:
	v_cmp_gt_i16_e32 vcc_lo, 8, v7
	s_cbranch_vccnz .LBB312_1859
; %bb.1850:
	v_cmp_gt_i16_e32 vcc_lo, 9, v7
	s_cbranch_vccnz .LBB312_1856
; %bb.1851:
	v_cmp_lt_i16_e32 vcc_lo, 9, v7
	s_cbranch_vccz .LBB312_1853
; %bb.1852:
	v_bfe_i32 v3, v6, 0, 16
	v_mov_b32_e32 v10, 0
	s_mov_b32 s0, 0
	s_delay_alu instid0(VALU_DEP_2) | instskip(NEXT) | instid1(VALU_DEP_2)
	v_cvt_f64_i32_e32 v[8:9], v3
	v_mov_b32_e32 v11, v10
	global_store_b128 v[1:2], v[8:11], off
.LBB312_1853:
	s_and_not1_b32 vcc_lo, exec_lo, s0
	s_cbranch_vccnz .LBB312_1855
; %bb.1854:
	v_bfe_i32 v3, v6, 0, 16
	v_mov_b32_e32 v4, 0
	s_delay_alu instid0(VALU_DEP_2)
	v_cvt_f32_i32_e32 v3, v3
	global_store_b64 v[1:2], v[3:4], off
.LBB312_1855:
	s_mov_b32 s0, 0
.LBB312_1856:
	s_delay_alu instid0(SALU_CYCLE_1)
	s_and_not1_b32 vcc_lo, exec_lo, s0
	s_cbranch_vccnz .LBB312_1858
; %bb.1857:
	v_cvt_f16_i16_e32 v3, v6
	s_delay_alu instid0(VALU_DEP_1)
	v_and_b32_e32 v3, 0xffff, v3
	global_store_b32 v[1:2], v3, off
.LBB312_1858:
	s_mov_b32 s0, 0
.LBB312_1859:
	s_delay_alu instid0(SALU_CYCLE_1)
	s_and_not1_b32 vcc_lo, exec_lo, s0
	s_cbranch_vccnz .LBB312_1868
; %bb.1860:
	v_cmp_gt_i16_e32 vcc_lo, 6, v7
	s_mov_b32 s0, -1
	s_cbranch_vccnz .LBB312_1866
; %bb.1861:
	v_cmp_lt_i16_e32 vcc_lo, 6, v7
	s_cbranch_vccz .LBB312_1863
; %bb.1862:
	v_bfe_i32 v3, v6, 0, 16
	s_mov_b32 s0, 0
	s_delay_alu instid0(VALU_DEP_1)
	v_cvt_f64_i32_e32 v[3:4], v3
	global_store_b64 v[1:2], v[3:4], off
.LBB312_1863:
	s_and_not1_b32 vcc_lo, exec_lo, s0
	s_cbranch_vccnz .LBB312_1865
; %bb.1864:
	v_bfe_i32 v3, v6, 0, 16
	s_delay_alu instid0(VALU_DEP_1)
	v_cvt_f32_i32_e32 v3, v3
	global_store_b32 v[1:2], v3, off
.LBB312_1865:
	s_mov_b32 s0, 0
.LBB312_1866:
	s_delay_alu instid0(SALU_CYCLE_1)
	s_and_not1_b32 vcc_lo, exec_lo, s0
	s_cbranch_vccnz .LBB312_1868
; %bb.1867:
	v_cvt_f16_i16_e32 v3, v6
	global_store_b16 v[1:2], v3, off
.LBB312_1868:
	s_mov_b32 s0, 0
.LBB312_1869:
	s_delay_alu instid0(SALU_CYCLE_1)
	s_and_not1_b32 vcc_lo, exec_lo, s0
	s_cbranch_vccnz .LBB312_1885
; %bb.1870:
	v_cmp_gt_i16_e32 vcc_lo, 2, v7
	s_mov_b32 s0, -1
	s_cbranch_vccnz .LBB312_1880
; %bb.1871:
	v_cmp_gt_i16_e32 vcc_lo, 3, v7
	s_cbranch_vccnz .LBB312_1877
; %bb.1872:
	v_cmp_lt_i16_e32 vcc_lo, 3, v7
	v_bfe_i32 v3, v6, 0, 16
	s_cbranch_vccz .LBB312_1874
; %bb.1873:
	s_delay_alu instid0(VALU_DEP_1)
	v_ashrrev_i32_e32 v4, 31, v3
	s_mov_b32 s0, 0
	global_store_b64 v[1:2], v[3:4], off
.LBB312_1874:
	s_and_not1_b32 vcc_lo, exec_lo, s0
	s_cbranch_vccnz .LBB312_1876
; %bb.1875:
	global_store_b32 v[1:2], v3, off
.LBB312_1876:
	s_mov_b32 s0, 0
.LBB312_1877:
	s_delay_alu instid0(SALU_CYCLE_1)
	s_and_not1_b32 vcc_lo, exec_lo, s0
	s_cbranch_vccnz .LBB312_1879
; %bb.1878:
	global_store_b16 v[1:2], v6, off
.LBB312_1879:
	s_mov_b32 s0, 0
.LBB312_1880:
	s_delay_alu instid0(SALU_CYCLE_1)
	s_and_not1_b32 vcc_lo, exec_lo, s0
	s_cbranch_vccnz .LBB312_1885
; %bb.1881:
	v_cmp_lt_i16_e32 vcc_lo, 0, v7
	s_mov_b32 s0, -1
	s_cbranch_vccz .LBB312_1883
; %bb.1882:
	s_mov_b32 s0, 0
	global_store_b8 v[1:2], v6, off
.LBB312_1883:
	s_and_not1_b32 vcc_lo, exec_lo, s0
	s_cbranch_vccnz .LBB312_1885
; %bb.1884:
	global_store_b8 v[1:2], v6, off
.LBB312_1885:
	s_mov_b32 s8, -1
.LBB312_1886:
	s_delay_alu instid0(SALU_CYCLE_1)
	s_and_not1_b32 vcc_lo, exec_lo, s8
	s_cbranch_vccnz .LBB312_1963
; %bb.1887:
	v_add_nc_u32_e32 v1, s6, v5
	v_max_i16 v0, v0, s10
	v_cmp_gt_i16_e32 vcc_lo, 11, v7
	s_delay_alu instid0(VALU_DEP_3) | instskip(NEXT) | instid1(VALU_DEP_3)
	v_ashrrev_i32_e32 v3, 31, v1
	v_min_i16 v2, v0, s1
	v_add_co_u32 v0, s0, s4, v1
	s_delay_alu instid0(VALU_DEP_1)
	v_add_co_ci_u32_e64 v1, s0, s5, v3, s0
	s_cbranch_vccnz .LBB312_2008
; %bb.1888:
	v_cmp_lt_i16_e32 vcc_lo, 25, v7
	s_mov_b32 s4, -1
	s_mov_b32 s1, 0
	s_mov_b32 s0, 0
	s_cbranch_vccz .LBB312_1921
; %bb.1889:
	v_cmp_lt_i16_e32 vcc_lo, 28, v7
	s_cbranch_vccz .LBB312_1905
; %bb.1890:
	v_cmp_lt_i16_e32 vcc_lo, 43, v7
	;; [unrolled: 3-line block ×3, first 2 shown]
	s_cbranch_vccz .LBB312_1895
; %bb.1892:
	v_cmp_eq_u16_e32 vcc_lo, 46, v7
	s_mov_b32 s0, -1
	s_cbranch_vccz .LBB312_1894
; %bb.1893:
	v_bfe_i32 v3, v2, 0, 16
	s_mov_b32 s0, 0
	s_delay_alu instid0(VALU_DEP_1) | instskip(NEXT) | instid1(VALU_DEP_1)
	v_cvt_f32_i32_e32 v3, v3
	v_bfe_u32 v4, v3, 16, 1
	s_delay_alu instid0(VALU_DEP_1) | instskip(NEXT) | instid1(VALU_DEP_1)
	v_add3_u32 v3, v3, v4, 0x7fff
	v_lshrrev_b32_e32 v3, 16, v3
	global_store_b32 v[0:1], v3, off
.LBB312_1894:
	s_mov_b32 s4, 0
.LBB312_1895:
	s_delay_alu instid0(SALU_CYCLE_1)
	s_and_b32 vcc_lo, exec_lo, s4
	s_cbranch_vccz .LBB312_1900
; %bb.1896:
	v_cmp_eq_u16_e32 vcc_lo, 44, v7
	s_mov_b32 s0, -1
	s_cbranch_vccz .LBB312_1900
; %bb.1897:
	v_bfe_i32 v3, v2, 0, 16
	v_mov_b32_e32 v4, 0xff
	s_mov_b32 s4, exec_lo
	s_delay_alu instid0(VALU_DEP_2) | instskip(NEXT) | instid1(VALU_DEP_1)
	v_cvt_f32_i32_e32 v3, v3
	v_bfe_u32 v5, v3, 23, 8
	s_delay_alu instid0(VALU_DEP_1)
	v_cmpx_ne_u32_e32 0xff, v5
; %bb.1898:
	v_and_b32_e32 v4, 0x400000, v3
	v_and_or_b32 v5, 0x3fffff, v3, v5
	v_lshrrev_b32_e32 v3, 23, v3
	s_delay_alu instid0(VALU_DEP_3) | instskip(NEXT) | instid1(VALU_DEP_3)
	v_cmp_ne_u32_e32 vcc_lo, 0, v4
	v_cmp_ne_u32_e64 s0, 0, v5
	s_delay_alu instid0(VALU_DEP_1) | instskip(NEXT) | instid1(SALU_CYCLE_1)
	s_and_b32 s0, vcc_lo, s0
	v_cndmask_b32_e64 v4, 0, 1, s0
	s_delay_alu instid0(VALU_DEP_1)
	v_add_nc_u32_e32 v4, v3, v4
; %bb.1899:
	s_or_b32 exec_lo, exec_lo, s4
	s_mov_b32 s0, 0
	global_store_b8 v[0:1], v4, off
.LBB312_1900:
	s_mov_b32 s4, 0
.LBB312_1901:
	s_delay_alu instid0(SALU_CYCLE_1)
	s_and_b32 vcc_lo, exec_lo, s4
	s_cbranch_vccz .LBB312_1904
; %bb.1902:
	v_cmp_eq_u16_e32 vcc_lo, 29, v7
	s_mov_b32 s0, -1
	s_cbranch_vccz .LBB312_1904
; %bb.1903:
	v_bfe_i32 v3, v2, 0, 16
	s_mov_b32 s0, 0
	s_delay_alu instid0(VALU_DEP_1)
	v_ashrrev_i32_e32 v4, 31, v3
	global_store_b64 v[0:1], v[3:4], off
.LBB312_1904:
	s_mov_b32 s4, 0
.LBB312_1905:
	s_delay_alu instid0(SALU_CYCLE_1)
	s_and_b32 vcc_lo, exec_lo, s4
	s_cbranch_vccz .LBB312_1920
; %bb.1906:
	v_cmp_gt_i16_e32 vcc_lo, 27, v7
	s_mov_b32 s4, -1
	s_cbranch_vccnz .LBB312_1912
; %bb.1907:
	v_cmp_lt_i16_e32 vcc_lo, 27, v7
	s_cbranch_vccz .LBB312_1909
; %bb.1908:
	v_bfe_i32 v3, v2, 0, 16
	s_mov_b32 s4, 0
	global_store_b32 v[0:1], v3, off
.LBB312_1909:
	s_and_not1_b32 vcc_lo, exec_lo, s4
	s_cbranch_vccnz .LBB312_1911
; %bb.1910:
	global_store_b16 v[0:1], v2, off
.LBB312_1911:
	s_mov_b32 s4, 0
.LBB312_1912:
	s_delay_alu instid0(SALU_CYCLE_1)
	s_and_not1_b32 vcc_lo, exec_lo, s4
	s_cbranch_vccnz .LBB312_1920
; %bb.1913:
	v_bfe_i32 v3, v2, 0, 16
	v_mov_b32_e32 v5, 0x80
	s_mov_b32 s4, exec_lo
	s_delay_alu instid0(VALU_DEP_2) | instskip(NEXT) | instid1(VALU_DEP_1)
	v_cvt_f32_i32_e32 v3, v3
	v_and_b32_e32 v4, 0x7fffffff, v3
	s_delay_alu instid0(VALU_DEP_1)
	v_cmpx_gt_u32_e32 0x43800000, v4
	s_cbranch_execz .LBB312_1919
; %bb.1914:
	v_cmp_lt_u32_e32 vcc_lo, 0x3bffffff, v4
	s_mov_b32 s5, 0
                                        ; implicit-def: $vgpr4
	s_and_saveexec_b32 s6, vcc_lo
	s_delay_alu instid0(SALU_CYCLE_1)
	s_xor_b32 s6, exec_lo, s6
	s_cbranch_execz .LBB312_2035
; %bb.1915:
	v_bfe_u32 v4, v3, 20, 1
	s_mov_b32 s5, exec_lo
	s_delay_alu instid0(VALU_DEP_1) | instskip(NEXT) | instid1(VALU_DEP_1)
	v_add3_u32 v4, v3, v4, 0x487ffff
	v_lshrrev_b32_e32 v4, 20, v4
	s_or_saveexec_b32 s6, s6
                                        ; implicit-def: $sgpr7
	s_delay_alu instid0(SALU_CYCLE_1)
	s_xor_b32 exec_lo, exec_lo, s6
	s_cbranch_execnz .LBB312_2036
.LBB312_1916:
	s_or_b32 exec_lo, exec_lo, s6
	v_mov_b32_e32 v5, s7
	s_and_saveexec_b32 s6, s5
.LBB312_1917:
	v_lshrrev_b32_e32 v3, 24, v3
	s_delay_alu instid0(VALU_DEP_1)
	v_and_or_b32 v5, 0x80, v3, v4
.LBB312_1918:
	s_or_b32 exec_lo, exec_lo, s6
.LBB312_1919:
	s_delay_alu instid0(SALU_CYCLE_1)
	s_or_b32 exec_lo, exec_lo, s4
	global_store_b8 v[0:1], v5, off
.LBB312_1920:
	s_mov_b32 s4, 0
.LBB312_1921:
	s_delay_alu instid0(SALU_CYCLE_1)
	s_and_b32 vcc_lo, exec_lo, s4
	s_cbranch_vccz .LBB312_1961
; %bb.1922:
	v_cmp_lt_i16_e32 vcc_lo, 22, v7
	s_mov_b32 s1, -1
	s_cbranch_vccz .LBB312_1954
; %bb.1923:
	v_cmp_gt_i16_e32 vcc_lo, 24, v7
	s_cbranch_vccnz .LBB312_1943
; %bb.1924:
	v_cmp_lt_i16_e32 vcc_lo, 24, v7
	s_cbranch_vccz .LBB312_1932
; %bb.1925:
	v_bfe_i32 v3, v2, 0, 16
	v_mov_b32_e32 v5, 0x80
	s_mov_b32 s1, exec_lo
	s_delay_alu instid0(VALU_DEP_2) | instskip(NEXT) | instid1(VALU_DEP_1)
	v_cvt_f32_i32_e32 v3, v3
	v_and_b32_e32 v4, 0x7fffffff, v3
	s_delay_alu instid0(VALU_DEP_1)
	v_cmpx_gt_u32_e32 0x47800000, v4
	s_cbranch_execz .LBB312_1931
; %bb.1926:
	v_cmp_lt_u32_e32 vcc_lo, 0x37ffffff, v4
	s_mov_b32 s4, 0
                                        ; implicit-def: $vgpr4
	s_and_saveexec_b32 s5, vcc_lo
	s_delay_alu instid0(SALU_CYCLE_1)
	s_xor_b32 s5, exec_lo, s5
	s_cbranch_execz .LBB312_2041
; %bb.1927:
	v_bfe_u32 v4, v3, 21, 1
	s_mov_b32 s4, exec_lo
	s_delay_alu instid0(VALU_DEP_1) | instskip(NEXT) | instid1(VALU_DEP_1)
	v_add3_u32 v4, v3, v4, 0x88fffff
	v_lshrrev_b32_e32 v4, 21, v4
	s_or_saveexec_b32 s5, s5
                                        ; implicit-def: $sgpr6
	s_delay_alu instid0(SALU_CYCLE_1)
	s_xor_b32 exec_lo, exec_lo, s5
	s_cbranch_execnz .LBB312_2042
.LBB312_1928:
	s_or_b32 exec_lo, exec_lo, s5
	v_mov_b32_e32 v5, s6
	s_and_saveexec_b32 s5, s4
.LBB312_1929:
	v_lshrrev_b32_e32 v3, 24, v3
	s_delay_alu instid0(VALU_DEP_1)
	v_and_or_b32 v5, 0x80, v3, v4
.LBB312_1930:
	s_or_b32 exec_lo, exec_lo, s5
.LBB312_1931:
	s_delay_alu instid0(SALU_CYCLE_1)
	s_or_b32 exec_lo, exec_lo, s1
	s_mov_b32 s1, 0
	global_store_b8 v[0:1], v5, off
.LBB312_1932:
	s_and_b32 vcc_lo, exec_lo, s1
	s_cbranch_vccz .LBB312_1942
; %bb.1933:
	v_bfe_i32 v3, v2, 0, 16
	s_mov_b32 s1, exec_lo
                                        ; implicit-def: $vgpr4
	s_delay_alu instid0(VALU_DEP_1) | instskip(NEXT) | instid1(VALU_DEP_1)
	v_cvt_f32_i32_e32 v3, v3
	v_and_b32_e32 v5, 0x7fffffff, v3
	s_delay_alu instid0(VALU_DEP_1)
	v_cmpx_gt_u32_e32 0x43f00000, v5
	s_xor_b32 s1, exec_lo, s1
	s_cbranch_execz .LBB312_1939
; %bb.1934:
	s_mov_b32 s4, exec_lo
                                        ; implicit-def: $vgpr4
	v_cmpx_lt_u32_e32 0x3c7fffff, v5
	s_xor_b32 s4, exec_lo, s4
; %bb.1935:
	v_bfe_u32 v4, v3, 20, 1
	s_delay_alu instid0(VALU_DEP_1) | instskip(NEXT) | instid1(VALU_DEP_1)
	v_add3_u32 v4, v3, v4, 0x407ffff
	v_and_b32_e32 v5, 0xff00000, v4
	v_lshrrev_b32_e32 v4, 20, v4
	s_delay_alu instid0(VALU_DEP_2) | instskip(NEXT) | instid1(VALU_DEP_2)
	v_cmp_ne_u32_e32 vcc_lo, 0x7f00000, v5
	v_cndmask_b32_e32 v4, 0x7e, v4, vcc_lo
; %bb.1936:
	s_and_not1_saveexec_b32 s4, s4
; %bb.1937:
	v_add_f32_e64 v4, 0x46800000, |v3|
; %bb.1938:
	s_or_b32 exec_lo, exec_lo, s4
                                        ; implicit-def: $vgpr5
.LBB312_1939:
	s_and_not1_saveexec_b32 s1, s1
; %bb.1940:
	v_mov_b32_e32 v4, 0x7f
	v_cmp_lt_u32_e32 vcc_lo, 0x7f800000, v5
	s_delay_alu instid0(VALU_DEP_2)
	v_cndmask_b32_e32 v4, 0x7e, v4, vcc_lo
; %bb.1941:
	s_or_b32 exec_lo, exec_lo, s1
	v_lshrrev_b32_e32 v3, 24, v3
	s_delay_alu instid0(VALU_DEP_1)
	v_and_or_b32 v3, 0x80, v3, v4
	global_store_b8 v[0:1], v3, off
.LBB312_1942:
	s_mov_b32 s1, 0
.LBB312_1943:
	s_delay_alu instid0(SALU_CYCLE_1)
	s_and_not1_b32 vcc_lo, exec_lo, s1
	s_cbranch_vccnz .LBB312_1953
; %bb.1944:
	v_bfe_i32 v3, v2, 0, 16
	s_mov_b32 s1, exec_lo
                                        ; implicit-def: $vgpr4
	s_delay_alu instid0(VALU_DEP_1) | instskip(NEXT) | instid1(VALU_DEP_1)
	v_cvt_f32_i32_e32 v3, v3
	v_and_b32_e32 v5, 0x7fffffff, v3
	s_delay_alu instid0(VALU_DEP_1)
	v_cmpx_gt_u32_e32 0x47800000, v5
	s_xor_b32 s1, exec_lo, s1
	s_cbranch_execz .LBB312_1950
; %bb.1945:
	s_mov_b32 s4, exec_lo
                                        ; implicit-def: $vgpr4
	v_cmpx_lt_u32_e32 0x387fffff, v5
	s_xor_b32 s4, exec_lo, s4
; %bb.1946:
	v_bfe_u32 v4, v3, 21, 1
	s_delay_alu instid0(VALU_DEP_1) | instskip(NEXT) | instid1(VALU_DEP_1)
	v_add3_u32 v4, v3, v4, 0x80fffff
	v_lshrrev_b32_e32 v4, 21, v4
; %bb.1947:
	s_and_not1_saveexec_b32 s4, s4
; %bb.1948:
	v_add_f32_e64 v4, 0x43000000, |v3|
; %bb.1949:
	s_or_b32 exec_lo, exec_lo, s4
                                        ; implicit-def: $vgpr5
.LBB312_1950:
	s_and_not1_saveexec_b32 s1, s1
; %bb.1951:
	v_mov_b32_e32 v4, 0x7f
	v_cmp_lt_u32_e32 vcc_lo, 0x7f800000, v5
	s_delay_alu instid0(VALU_DEP_2)
	v_cndmask_b32_e32 v4, 0x7c, v4, vcc_lo
; %bb.1952:
	s_or_b32 exec_lo, exec_lo, s1
	v_lshrrev_b32_e32 v3, 24, v3
	s_delay_alu instid0(VALU_DEP_1)
	v_and_or_b32 v3, 0x80, v3, v4
	global_store_b8 v[0:1], v3, off
.LBB312_1953:
	s_mov_b32 s1, 0
.LBB312_1954:
	s_delay_alu instid0(SALU_CYCLE_1)
	s_and_not1_b32 vcc_lo, exec_lo, s1
	s_mov_b32 s1, 0
	s_cbranch_vccnz .LBB312_1961
; %bb.1955:
	v_cmp_lt_i16_e32 vcc_lo, 14, v7
	s_mov_b32 s1, -1
	s_cbranch_vccz .LBB312_1959
; %bb.1956:
	v_cmp_eq_u16_e32 vcc_lo, 15, v7
	s_mov_b32 s0, -1
	s_cbranch_vccz .LBB312_1958
; %bb.1957:
	v_bfe_i32 v3, v2, 0, 16
	s_mov_b32 s0, 0
	s_delay_alu instid0(VALU_DEP_1) | instskip(NEXT) | instid1(VALU_DEP_1)
	v_cvt_f32_i32_e32 v3, v3
	v_bfe_u32 v4, v3, 16, 1
	s_delay_alu instid0(VALU_DEP_1)
	v_add3_u32 v3, v3, v4, 0x7fff
	global_store_d16_hi_b16 v[0:1], v3, off
.LBB312_1958:
	s_mov_b32 s1, 0
.LBB312_1959:
	s_delay_alu instid0(SALU_CYCLE_1)
	s_and_b32 vcc_lo, exec_lo, s1
	s_mov_b32 s1, 0
	s_cbranch_vccz .LBB312_1961
; %bb.1960:
	v_cmp_ne_u16_e64 s0, 11, v7
	s_mov_b32 s1, -1
.LBB312_1961:
	s_delay_alu instid0(VALU_DEP_1)
	s_and_b32 vcc_lo, exec_lo, s0
	s_cbranch_vccnz .LBB312_2039
.LBB312_1962:
	s_mov_b32 s0, 0
	s_branch .LBB312_1964
.LBB312_1963:
	s_mov_b32 s0, 0
	s_mov_b32 s1, 0
                                        ; implicit-def: $vgpr7
                                        ; implicit-def: $vgpr0_vgpr1
                                        ; implicit-def: $vgpr2
.LBB312_1964:
	s_and_not1_b32 s4, s12, exec_lo
	s_and_b32 s5, s2, exec_lo
	s_and_b32 s0, s0, exec_lo
	;; [unrolled: 1-line block ×3, first 2 shown]
	s_or_b32 s12, s4, s5
.LBB312_1965:
	s_or_b32 exec_lo, exec_lo, s3
	s_and_saveexec_b32 s1, s12
	s_cbranch_execz .LBB312_1968
; %bb.1966:
	; divergent unreachable
	s_or_b32 exec_lo, exec_lo, s1
	s_and_saveexec_b32 s1, s2
	s_delay_alu instid0(SALU_CYCLE_1)
	s_xor_b32 s1, exec_lo, s1
	s_cbranch_execnz .LBB312_1969
.LBB312_1967:
	s_or_b32 exec_lo, exec_lo, s1
	s_and_saveexec_b32 s1, s0
	s_cbranch_execnz .LBB312_1970
	s_branch .LBB312_2007
.LBB312_1968:
	s_or_b32 exec_lo, exec_lo, s1
	s_and_saveexec_b32 s1, s2
	s_delay_alu instid0(SALU_CYCLE_1)
	s_xor_b32 s1, exec_lo, s1
	s_cbranch_execz .LBB312_1967
.LBB312_1969:
	s_waitcnt vmcnt(0)
	v_cmp_ne_u16_e32 vcc_lo, 0, v2
	v_cndmask_b32_e64 v3, 0, 1, vcc_lo
	global_store_b8 v[0:1], v3, off
	s_or_b32 exec_lo, exec_lo, s1
	s_and_saveexec_b32 s1, s0
	s_cbranch_execz .LBB312_2007
.LBB312_1970:
	s_waitcnt vmcnt(0)
	v_cmp_gt_i16_e32 vcc_lo, 5, v7
	s_mov_b32 s0, -1
	s_cbranch_vccnz .LBB312_1991
; %bb.1971:
	v_cmp_gt_i16_e32 vcc_lo, 8, v7
	s_cbranch_vccnz .LBB312_1981
; %bb.1972:
	v_cmp_gt_i16_e32 vcc_lo, 9, v7
	s_cbranch_vccnz .LBB312_1978
; %bb.1973:
	v_cmp_lt_i16_e32 vcc_lo, 9, v7
	s_cbranch_vccz .LBB312_1975
; %bb.1974:
	v_bfe_i32 v3, v2, 0, 16
	v_mov_b32_e32 v5, 0
	s_mov_b32 s0, 0
	s_delay_alu instid0(VALU_DEP_2) | instskip(NEXT) | instid1(VALU_DEP_2)
	v_cvt_f64_i32_e32 v[3:4], v3
	v_mov_b32_e32 v6, v5
	global_store_b128 v[0:1], v[3:6], off
.LBB312_1975:
	s_and_not1_b32 vcc_lo, exec_lo, s0
	s_cbranch_vccnz .LBB312_1977
; %bb.1976:
	v_bfe_i32 v3, v2, 0, 16
	v_mov_b32_e32 v4, 0
	s_delay_alu instid0(VALU_DEP_2)
	v_cvt_f32_i32_e32 v3, v3
	global_store_b64 v[0:1], v[3:4], off
.LBB312_1977:
	s_mov_b32 s0, 0
.LBB312_1978:
	s_delay_alu instid0(SALU_CYCLE_1)
	s_and_not1_b32 vcc_lo, exec_lo, s0
	s_cbranch_vccnz .LBB312_1980
; %bb.1979:
	v_cvt_f16_i16_e32 v3, v2
	s_delay_alu instid0(VALU_DEP_1)
	v_and_b32_e32 v3, 0xffff, v3
	global_store_b32 v[0:1], v3, off
.LBB312_1980:
	s_mov_b32 s0, 0
.LBB312_1981:
	s_delay_alu instid0(SALU_CYCLE_1)
	s_and_not1_b32 vcc_lo, exec_lo, s0
	s_cbranch_vccnz .LBB312_1990
; %bb.1982:
	v_cmp_gt_i16_e32 vcc_lo, 6, v7
	s_mov_b32 s0, -1
	s_cbranch_vccnz .LBB312_1988
; %bb.1983:
	v_cmp_lt_i16_e32 vcc_lo, 6, v7
	s_cbranch_vccz .LBB312_1985
; %bb.1984:
	v_bfe_i32 v3, v2, 0, 16
	s_mov_b32 s0, 0
	s_delay_alu instid0(VALU_DEP_1)
	v_cvt_f64_i32_e32 v[3:4], v3
	global_store_b64 v[0:1], v[3:4], off
.LBB312_1985:
	s_and_not1_b32 vcc_lo, exec_lo, s0
	s_cbranch_vccnz .LBB312_1987
; %bb.1986:
	v_bfe_i32 v3, v2, 0, 16
	s_delay_alu instid0(VALU_DEP_1)
	v_cvt_f32_i32_e32 v3, v3
	global_store_b32 v[0:1], v3, off
.LBB312_1987:
	s_mov_b32 s0, 0
.LBB312_1988:
	s_delay_alu instid0(SALU_CYCLE_1)
	s_and_not1_b32 vcc_lo, exec_lo, s0
	s_cbranch_vccnz .LBB312_1990
; %bb.1989:
	v_cvt_f16_i16_e32 v3, v2
	global_store_b16 v[0:1], v3, off
.LBB312_1990:
	s_mov_b32 s0, 0
.LBB312_1991:
	s_delay_alu instid0(SALU_CYCLE_1)
	s_and_not1_b32 vcc_lo, exec_lo, s0
	s_cbranch_vccnz .LBB312_2007
; %bb.1992:
	v_cmp_gt_i16_e32 vcc_lo, 2, v7
	s_mov_b32 s0, -1
	s_cbranch_vccnz .LBB312_2002
; %bb.1993:
	v_cmp_gt_i16_e32 vcc_lo, 3, v7
	s_cbranch_vccnz .LBB312_1999
; %bb.1994:
	v_cmp_lt_i16_e32 vcc_lo, 3, v7
	s_cbranch_vccz .LBB312_1996
; %bb.1995:
	v_bfe_i32 v3, v2, 0, 16
	s_mov_b32 s0, 0
	s_delay_alu instid0(VALU_DEP_1)
	v_ashrrev_i32_e32 v4, 31, v3
	global_store_b64 v[0:1], v[3:4], off
.LBB312_1996:
	s_and_not1_b32 vcc_lo, exec_lo, s0
	s_cbranch_vccnz .LBB312_1998
; %bb.1997:
	v_bfe_i32 v3, v2, 0, 16
	global_store_b32 v[0:1], v3, off
.LBB312_1998:
	s_mov_b32 s0, 0
.LBB312_1999:
	s_delay_alu instid0(SALU_CYCLE_1)
	s_and_not1_b32 vcc_lo, exec_lo, s0
	s_cbranch_vccnz .LBB312_2001
; %bb.2000:
	global_store_b16 v[0:1], v2, off
.LBB312_2001:
	s_mov_b32 s0, 0
.LBB312_2002:
	s_delay_alu instid0(SALU_CYCLE_1)
	s_and_not1_b32 vcc_lo, exec_lo, s0
	s_cbranch_vccnz .LBB312_2007
; %bb.2003:
	v_cmp_lt_i16_e32 vcc_lo, 0, v7
	s_mov_b32 s0, -1
	s_cbranch_vccz .LBB312_2005
; %bb.2004:
	s_mov_b32 s0, 0
	global_store_b8 v[0:1], v2, off
.LBB312_2005:
	s_and_not1_b32 vcc_lo, exec_lo, s0
	s_cbranch_vccnz .LBB312_2007
; %bb.2006:
	global_store_b8 v[0:1], v2, off
	s_nop 0
	s_sendmsg sendmsg(MSG_DEALLOC_VGPRS)
	s_endpgm
.LBB312_2007:
	s_nop 0
	s_sendmsg sendmsg(MSG_DEALLOC_VGPRS)
	s_endpgm
.LBB312_2008:
	s_mov_b32 s1, 0
	s_mov_b32 s0, -1
	s_branch .LBB312_1964
.LBB312_2009:
	s_cbranch_execnz .LBB312_2013
; %bb.2010:
	s_or_b32 s2, s2, exec_lo
                                        ; implicit-def: $vgpr0
	s_cbranch_execz .LBB312_1478
	s_branch .LBB312_1479
.LBB312_2011:
	s_or_saveexec_b32 s11, s11
                                        ; implicit-def: $sgpr13
	s_delay_alu instid0(SALU_CYCLE_1)
	s_xor_b32 exec_lo, exec_lo, s11
	s_cbranch_execz .LBB312_1558
.LBB312_2012:
	v_add_f32_e64 v9, 0x46000000, |v8|
	s_and_not1_b32 s9, s9, exec_lo
	s_mov_b32 s13, 0
	s_delay_alu instid0(VALU_DEP_1) | instskip(NEXT) | instid1(VALU_DEP_1)
	v_and_b32_e32 v9, 0xff, v9
	v_cmp_ne_u32_e32 vcc_lo, 0, v9
	s_and_b32 s14, vcc_lo, exec_lo
	s_delay_alu instid0(SALU_CYCLE_1)
	s_or_b32 s9, s9, s14
	s_or_b32 exec_lo, exec_lo, s11
	v_mov_b32_e32 v10, s13
	s_and_saveexec_b32 s11, s9
	s_cbranch_execnz .LBB312_1559
	s_branch .LBB312_1560
.LBB312_2013:
	s_trap 2
	s_sendmsg_rtn_b32 s0, sendmsg(MSG_RTN_GET_DOORBELL)
	s_mov_b32 ttmp2, m0
	s_waitcnt lgkmcnt(0)
	s_and_b32 s0, s0, 0x3ff
	s_delay_alu instid0(SALU_CYCLE_1) | instskip(NEXT) | instid1(SALU_CYCLE_1)
	s_bitset1_b32 s0, 10
	s_mov_b32 m0, s0
	s_sendmsg sendmsg(MSG_INTERRUPT)
	s_mov_b32 m0, ttmp2
.LBB312_2014:                           ; =>This Inner Loop Header: Depth=1
	s_sethalt 5
	s_branch .LBB312_2014
.LBB312_2015:
	s_cbranch_execnz .LBB312_2021
; %bb.2016:
	s_or_b32 s2, s2, exec_lo
	s_cbranch_execz .LBB312_1606
	s_branch .LBB312_1607
.LBB312_2017:
	s_or_saveexec_b32 s9, s9
                                        ; implicit-def: $sgpr11
	s_delay_alu instid0(SALU_CYCLE_1)
	s_xor_b32 exec_lo, exec_lo, s9
	s_cbranch_execz .LBB312_1571
.LBB312_2018:
	v_add_f32_e64 v9, 0x42800000, |v8|
	s_and_not1_b32 s7, s7, exec_lo
	s_mov_b32 s11, 0
	s_delay_alu instid0(VALU_DEP_1) | instskip(NEXT) | instid1(VALU_DEP_1)
	v_and_b32_e32 v9, 0xff, v9
	v_cmp_ne_u32_e32 vcc_lo, 0, v9
	s_and_b32 s13, vcc_lo, exec_lo
	s_delay_alu instid0(SALU_CYCLE_1)
	s_or_b32 s7, s7, s13
	s_or_b32 exec_lo, exec_lo, s9
	v_mov_b32_e32 v10, s11
	s_and_saveexec_b32 s9, s7
	s_cbranch_execnz .LBB312_1572
	s_branch .LBB312_1573
.LBB312_2019:
	s_or_saveexec_b32 s11, s11
                                        ; implicit-def: $sgpr13
	s_delay_alu instid0(SALU_CYCLE_1)
	s_xor_b32 exec_lo, exec_lo, s11
	s_cbranch_execz .LBB312_1677
.LBB312_2020:
	v_add_f32_e64 v6, 0x46000000, |v5|
	s_and_not1_b32 s9, s9, exec_lo
	s_mov_b32 s13, 0
	s_delay_alu instid0(VALU_DEP_1) | instskip(NEXT) | instid1(VALU_DEP_1)
	v_and_b32_e32 v6, 0xff, v6
	v_cmp_ne_u32_e32 vcc_lo, 0, v6
	s_and_b32 s14, vcc_lo, exec_lo
	s_delay_alu instid0(SALU_CYCLE_1)
	s_or_b32 s9, s9, s14
	s_or_b32 exec_lo, exec_lo, s11
	v_mov_b32_e32 v9, s13
	s_and_saveexec_b32 s11, s9
	s_cbranch_execnz .LBB312_1678
	s_branch .LBB312_1679
.LBB312_2021:
	s_trap 2
	s_sendmsg_rtn_b32 s0, sendmsg(MSG_RTN_GET_DOORBELL)
	s_mov_b32 ttmp2, m0
	s_waitcnt lgkmcnt(0)
	s_and_b32 s0, s0, 0x3ff
	s_delay_alu instid0(SALU_CYCLE_1) | instskip(NEXT) | instid1(SALU_CYCLE_1)
	s_bitset1_b32 s0, 10
	s_mov_b32 m0, s0
	s_sendmsg sendmsg(MSG_INTERRUPT)
	s_mov_b32 m0, ttmp2
.LBB312_2022:                           ; =>This Inner Loop Header: Depth=1
	s_sethalt 5
	s_branch .LBB312_2022
.LBB312_2023:
	s_cbranch_execnz .LBB312_2029
; %bb.2024:
	s_or_b32 s2, s2, exec_lo
	s_cbranch_execz .LBB312_1725
	s_branch .LBB312_1726
.LBB312_2025:
	s_or_saveexec_b32 s9, s9
                                        ; implicit-def: $sgpr11
	s_delay_alu instid0(SALU_CYCLE_1)
	s_xor_b32 exec_lo, exec_lo, s9
	s_cbranch_execz .LBB312_1690
.LBB312_2026:
	v_add_f32_e64 v6, 0x42800000, |v5|
	s_and_not1_b32 s8, s8, exec_lo
	s_mov_b32 s11, 0
	s_delay_alu instid0(VALU_DEP_1) | instskip(NEXT) | instid1(VALU_DEP_1)
	v_and_b32_e32 v6, 0xff, v6
	v_cmp_ne_u32_e32 vcc_lo, 0, v6
	s_and_b32 s13, vcc_lo, exec_lo
	s_delay_alu instid0(SALU_CYCLE_1)
	s_or_b32 s8, s8, s13
	s_or_b32 exec_lo, exec_lo, s9
	v_mov_b32_e32 v9, s11
	s_and_saveexec_b32 s9, s8
	s_cbranch_execnz .LBB312_1691
	s_branch .LBB312_1692
.LBB312_2027:
	s_or_saveexec_b32 s11, s11
                                        ; implicit-def: $sgpr13
	s_delay_alu instid0(SALU_CYCLE_1)
	s_xor_b32 exec_lo, exec_lo, s11
	s_cbranch_execz .LBB312_1796
.LBB312_2028:
	v_add_f32_e64 v4, 0x46000000, |v3|
	s_and_not1_b32 s9, s9, exec_lo
	s_mov_b32 s13, 0
	s_delay_alu instid0(VALU_DEP_1) | instskip(NEXT) | instid1(VALU_DEP_1)
	v_and_b32_e32 v4, 0xff, v4
	v_cmp_ne_u32_e32 vcc_lo, 0, v4
	s_and_b32 s14, vcc_lo, exec_lo
	s_delay_alu instid0(SALU_CYCLE_1)
	s_or_b32 s9, s9, s14
	s_or_b32 exec_lo, exec_lo, s11
	v_mov_b32_e32 v8, s13
	s_and_saveexec_b32 s11, s9
	s_cbranch_execnz .LBB312_1797
	s_branch .LBB312_1798
.LBB312_2029:
	s_trap 2
	s_sendmsg_rtn_b32 s0, sendmsg(MSG_RTN_GET_DOORBELL)
	s_mov_b32 ttmp2, m0
	s_waitcnt lgkmcnt(0)
	s_and_b32 s0, s0, 0x3ff
	s_delay_alu instid0(SALU_CYCLE_1) | instskip(NEXT) | instid1(SALU_CYCLE_1)
	s_bitset1_b32 s0, 10
	s_mov_b32 m0, s0
	s_sendmsg sendmsg(MSG_INTERRUPT)
	s_mov_b32 m0, ttmp2
.LBB312_2030:                           ; =>This Inner Loop Header: Depth=1
	s_sethalt 5
	s_branch .LBB312_2030
.LBB312_2031:
	s_cbranch_execnz .LBB312_2037
; %bb.2032:
	s_or_b32 s2, s2, exec_lo
	s_cbranch_execz .LBB312_1844
	s_branch .LBB312_1845
.LBB312_2033:
	s_or_saveexec_b32 s9, s9
                                        ; implicit-def: $sgpr11
	s_delay_alu instid0(SALU_CYCLE_1)
	s_xor_b32 exec_lo, exec_lo, s9
	s_cbranch_execz .LBB312_1809
.LBB312_2034:
	v_add_f32_e64 v4, 0x42800000, |v3|
	s_and_not1_b32 s8, s8, exec_lo
	s_mov_b32 s11, 0
	s_delay_alu instid0(VALU_DEP_1) | instskip(NEXT) | instid1(VALU_DEP_1)
	v_and_b32_e32 v4, 0xff, v4
	v_cmp_ne_u32_e32 vcc_lo, 0, v4
	s_and_b32 s13, vcc_lo, exec_lo
	s_delay_alu instid0(SALU_CYCLE_1)
	s_or_b32 s8, s8, s13
	s_or_b32 exec_lo, exec_lo, s9
	v_mov_b32_e32 v8, s11
	s_and_saveexec_b32 s9, s8
	s_cbranch_execnz .LBB312_1810
	s_branch .LBB312_1811
.LBB312_2035:
	s_or_saveexec_b32 s6, s6
                                        ; implicit-def: $sgpr7
	s_delay_alu instid0(SALU_CYCLE_1)
	s_xor_b32 exec_lo, exec_lo, s6
	s_cbranch_execz .LBB312_1916
.LBB312_2036:
	v_add_f32_e64 v4, 0x46000000, |v3|
	s_and_not1_b32 s5, s5, exec_lo
	s_mov_b32 s7, 0
	s_delay_alu instid0(VALU_DEP_1) | instskip(NEXT) | instid1(VALU_DEP_1)
	v_and_b32_e32 v4, 0xff, v4
	v_cmp_ne_u32_e32 vcc_lo, 0, v4
	s_and_b32 s8, vcc_lo, exec_lo
	s_delay_alu instid0(SALU_CYCLE_1)
	s_or_b32 s5, s5, s8
	s_or_b32 exec_lo, exec_lo, s6
	v_mov_b32_e32 v5, s7
	s_and_saveexec_b32 s6, s5
	s_cbranch_execnz .LBB312_1917
	s_branch .LBB312_1918
.LBB312_2037:
	s_trap 2
	s_sendmsg_rtn_b32 s0, sendmsg(MSG_RTN_GET_DOORBELL)
	s_mov_b32 ttmp2, m0
	s_waitcnt lgkmcnt(0)
	s_and_b32 s0, s0, 0x3ff
	s_delay_alu instid0(SALU_CYCLE_1) | instskip(NEXT) | instid1(SALU_CYCLE_1)
	s_bitset1_b32 s0, 10
	s_mov_b32 m0, s0
	s_sendmsg sendmsg(MSG_INTERRUPT)
	s_mov_b32 m0, ttmp2
.LBB312_2038:                           ; =>This Inner Loop Header: Depth=1
	s_sethalt 5
	s_branch .LBB312_2038
.LBB312_2039:
	s_cbranch_execnz .LBB312_2043
; %bb.2040:
	s_mov_b32 s1, 0
	s_or_b32 s2, s2, exec_lo
	s_branch .LBB312_1962
.LBB312_2041:
	s_or_saveexec_b32 s5, s5
                                        ; implicit-def: $sgpr6
	s_delay_alu instid0(SALU_CYCLE_1)
	s_xor_b32 exec_lo, exec_lo, s5
	s_cbranch_execz .LBB312_1928
.LBB312_2042:
	v_add_f32_e64 v4, 0x42800000, |v3|
	s_and_not1_b32 s4, s4, exec_lo
	s_mov_b32 s6, 0
	s_delay_alu instid0(VALU_DEP_1) | instskip(NEXT) | instid1(VALU_DEP_1)
	v_and_b32_e32 v4, 0xff, v4
	v_cmp_ne_u32_e32 vcc_lo, 0, v4
	s_and_b32 s7, vcc_lo, exec_lo
	s_delay_alu instid0(SALU_CYCLE_1)
	s_or_b32 s4, s4, s7
	s_or_b32 exec_lo, exec_lo, s5
	v_mov_b32_e32 v5, s6
	s_and_saveexec_b32 s5, s4
	s_cbranch_execnz .LBB312_1929
	s_branch .LBB312_1930
.LBB312_2043:
	s_trap 2
	s_sendmsg_rtn_b32 s0, sendmsg(MSG_RTN_GET_DOORBELL)
	s_mov_b32 ttmp2, m0
	s_waitcnt lgkmcnt(0)
	s_and_b32 s0, s0, 0x3ff
	s_delay_alu instid0(SALU_CYCLE_1) | instskip(NEXT) | instid1(SALU_CYCLE_1)
	s_bitset1_b32 s0, 10
	s_mov_b32 m0, s0
	s_sendmsg sendmsg(MSG_INTERRUPT)
	s_mov_b32 m0, ttmp2
.LBB312_2044:                           ; =>This Inner Loop Header: Depth=1
	s_sethalt 5
	s_branch .LBB312_2044
	.section	.rodata,"a",@progbits
	.p2align	6, 0x0
	.amdhsa_kernel _ZN2at6native32elementwise_kernel_manual_unrollILi128ELi4EZNS0_15gpu_kernel_implIZZZNS0_17clamp_kernel_cudaERNS_18TensorIteratorBaseERKN3c106ScalarES8_ENKUlvE_clEvENKUlvE3_clEvEUlsE_EEvS4_RKT_EUlibE_EEviT1_
		.amdhsa_group_segment_fixed_size 0
		.amdhsa_private_segment_fixed_size 0
		.amdhsa_kernarg_size 40
		.amdhsa_user_sgpr_count 15
		.amdhsa_user_sgpr_dispatch_ptr 0
		.amdhsa_user_sgpr_queue_ptr 0
		.amdhsa_user_sgpr_kernarg_segment_ptr 1
		.amdhsa_user_sgpr_dispatch_id 0
		.amdhsa_user_sgpr_private_segment_size 0
		.amdhsa_wavefront_size32 1
		.amdhsa_uses_dynamic_stack 0
		.amdhsa_enable_private_segment 0
		.amdhsa_system_sgpr_workgroup_id_x 1
		.amdhsa_system_sgpr_workgroup_id_y 0
		.amdhsa_system_sgpr_workgroup_id_z 0
		.amdhsa_system_sgpr_workgroup_info 0
		.amdhsa_system_vgpr_workitem_id 0
		.amdhsa_next_free_vgpr 13
		.amdhsa_next_free_sgpr 27
		.amdhsa_reserve_vcc 1
		.amdhsa_float_round_mode_32 0
		.amdhsa_float_round_mode_16_64 0
		.amdhsa_float_denorm_mode_32 3
		.amdhsa_float_denorm_mode_16_64 3
		.amdhsa_dx10_clamp 1
		.amdhsa_ieee_mode 1
		.amdhsa_fp16_overflow 0
		.amdhsa_workgroup_processor_mode 1
		.amdhsa_memory_ordered 1
		.amdhsa_forward_progress 0
		.amdhsa_shared_vgpr_count 0
		.amdhsa_exception_fp_ieee_invalid_op 0
		.amdhsa_exception_fp_denorm_src 0
		.amdhsa_exception_fp_ieee_div_zero 0
		.amdhsa_exception_fp_ieee_overflow 0
		.amdhsa_exception_fp_ieee_underflow 0
		.amdhsa_exception_fp_ieee_inexact 0
		.amdhsa_exception_int_div_zero 0
	.end_amdhsa_kernel
	.section	.text._ZN2at6native32elementwise_kernel_manual_unrollILi128ELi4EZNS0_15gpu_kernel_implIZZZNS0_17clamp_kernel_cudaERNS_18TensorIteratorBaseERKN3c106ScalarES8_ENKUlvE_clEvENKUlvE3_clEvEUlsE_EEvS4_RKT_EUlibE_EEviT1_,"axG",@progbits,_ZN2at6native32elementwise_kernel_manual_unrollILi128ELi4EZNS0_15gpu_kernel_implIZZZNS0_17clamp_kernel_cudaERNS_18TensorIteratorBaseERKN3c106ScalarES8_ENKUlvE_clEvENKUlvE3_clEvEUlsE_EEvS4_RKT_EUlibE_EEviT1_,comdat
.Lfunc_end312:
	.size	_ZN2at6native32elementwise_kernel_manual_unrollILi128ELi4EZNS0_15gpu_kernel_implIZZZNS0_17clamp_kernel_cudaERNS_18TensorIteratorBaseERKN3c106ScalarES8_ENKUlvE_clEvENKUlvE3_clEvEUlsE_EEvS4_RKT_EUlibE_EEviT1_, .Lfunc_end312-_ZN2at6native32elementwise_kernel_manual_unrollILi128ELi4EZNS0_15gpu_kernel_implIZZZNS0_17clamp_kernel_cudaERNS_18TensorIteratorBaseERKN3c106ScalarES8_ENKUlvE_clEvENKUlvE3_clEvEUlsE_EEvS4_RKT_EUlibE_EEviT1_
                                        ; -- End function
	.section	.AMDGPU.csdata,"",@progbits
; Kernel info:
; codeLenInByte = 33808
; NumSgprs: 29
; NumVgprs: 13
; ScratchSize: 0
; MemoryBound: 1
; FloatMode: 240
; IeeeMode: 1
; LDSByteSize: 0 bytes/workgroup (compile time only)
; SGPRBlocks: 3
; VGPRBlocks: 1
; NumSGPRsForWavesPerEU: 29
; NumVGPRsForWavesPerEU: 13
; Occupancy: 16
; WaveLimiterHint : 0
; COMPUTE_PGM_RSRC2:SCRATCH_EN: 0
; COMPUTE_PGM_RSRC2:USER_SGPR: 15
; COMPUTE_PGM_RSRC2:TRAP_HANDLER: 0
; COMPUTE_PGM_RSRC2:TGID_X_EN: 1
; COMPUTE_PGM_RSRC2:TGID_Y_EN: 0
; COMPUTE_PGM_RSRC2:TGID_Z_EN: 0
; COMPUTE_PGM_RSRC2:TIDIG_COMP_CNT: 0
	.section	.text._ZN2at6native32elementwise_kernel_manual_unrollILi128ELi4EZNS0_15gpu_kernel_implIZZZNS0_17clamp_kernel_cudaERNS_18TensorIteratorBaseERKN3c106ScalarES8_ENKUlvE_clEvENKUlvE3_clEvEUlsE_EEvS4_RKT_EUlibE0_EEviT1_,"axG",@progbits,_ZN2at6native32elementwise_kernel_manual_unrollILi128ELi4EZNS0_15gpu_kernel_implIZZZNS0_17clamp_kernel_cudaERNS_18TensorIteratorBaseERKN3c106ScalarES8_ENKUlvE_clEvENKUlvE3_clEvEUlsE_EEvS4_RKT_EUlibE0_EEviT1_,comdat
	.globl	_ZN2at6native32elementwise_kernel_manual_unrollILi128ELi4EZNS0_15gpu_kernel_implIZZZNS0_17clamp_kernel_cudaERNS_18TensorIteratorBaseERKN3c106ScalarES8_ENKUlvE_clEvENKUlvE3_clEvEUlsE_EEvS4_RKT_EUlibE0_EEviT1_ ; -- Begin function _ZN2at6native32elementwise_kernel_manual_unrollILi128ELi4EZNS0_15gpu_kernel_implIZZZNS0_17clamp_kernel_cudaERNS_18TensorIteratorBaseERKN3c106ScalarES8_ENKUlvE_clEvENKUlvE3_clEvEUlsE_EEvS4_RKT_EUlibE0_EEviT1_
	.p2align	8
	.type	_ZN2at6native32elementwise_kernel_manual_unrollILi128ELi4EZNS0_15gpu_kernel_implIZZZNS0_17clamp_kernel_cudaERNS_18TensorIteratorBaseERKN3c106ScalarES8_ENKUlvE_clEvENKUlvE3_clEvEUlsE_EEvS4_RKT_EUlibE0_EEviT1_,@function
_ZN2at6native32elementwise_kernel_manual_unrollILi128ELi4EZNS0_15gpu_kernel_implIZZZNS0_17clamp_kernel_cudaERNS_18TensorIteratorBaseERKN3c106ScalarES8_ENKUlvE_clEvENKUlvE3_clEvEUlsE_EEvS4_RKT_EUlibE0_EEviT1_: ; @_ZN2at6native32elementwise_kernel_manual_unrollILi128ELi4EZNS0_15gpu_kernel_implIZZZNS0_17clamp_kernel_cudaERNS_18TensorIteratorBaseERKN3c106ScalarES8_ENKUlvE_clEvENKUlvE3_clEvEUlsE_EEvS4_RKT_EUlibE0_EEviT1_
; %bb.0:
	s_clause 0x1
	s_load_b32 s26, s[0:1], 0x8
	s_load_b32 s34, s[0:1], 0x0
	v_lshl_or_b32 v8, s15, 9, v0
	s_or_b32 s16, s0, 8
	s_mov_b32 s3, -1
	s_mov_b32 s28, 0
	s_mov_b32 s17, s1
	v_or_b32_e32 v9, 0x180, v8
	s_mov_b32 s8, 0
	s_mov_b32 s2, exec_lo
	s_waitcnt lgkmcnt(0)
	s_add_i32 s27, s26, -1
	s_delay_alu instid0(SALU_CYCLE_1)
	s_cmp_gt_u32 s27, 1
	s_cselect_b32 s29, -1, 0
	v_cmpx_le_i32_e64 s34, v9
	s_xor_b32 s30, exec_lo, s2
	s_cbranch_execz .LBB313_1060
; %bb.1:
	s_clause 0x4
	s_load_b64 s[18:19], s[16:17], 0x158
	s_load_b128 s[12:15], s[16:17], 0x4
	s_load_b64 s[20:21], s[16:17], 0x14
	s_load_b128 s[8:11], s[16:17], 0xc4
	s_load_b128 s[4:7], s[16:17], 0x148
	s_cmp_lg_u32 s26, 0
	s_mov_b32 s40, 0
	s_cselect_b32 s36, -1, 0
	s_add_u32 s22, s16, 0xc4
	s_addc_u32 s23, s17, 0
	s_min_u32 s35, s27, 15
	s_cmp_gt_u32 s26, 1
	s_mov_b32 s38, 0
	s_cselect_b32 s33, -1, 0
	s_mov_b32 s37, 0
	s_mov_b32 s39, exec_lo
	s_waitcnt lgkmcnt(0)
	v_lshrrev_b16 v5, 8, s19
	s_lshr_b32 s31, s18, 16
	v_cmpx_gt_i32_e64 s34, v8
	s_cbranch_execz .LBB313_259
; %bb.2:
	s_and_not1_b32 vcc_lo, exec_lo, s29
	s_cbranch_vccnz .LBB313_7
; %bb.3:
	v_dual_mov_b32 v0, 0 :: v_dual_mov_b32 v1, 0
	s_and_not1_b32 vcc_lo, exec_lo, s36
	s_cbranch_vccnz .LBB313_12
; %bb.4:
	v_mov_b32_e32 v0, 0
	s_add_i32 s41, s35, 1
	s_cmp_eq_u32 s27, 2
	s_cbranch_scc1 .LBB313_8
; %bb.5:
	v_dual_mov_b32 v1, 0 :: v_dual_mov_b32 v0, 0
	v_mov_b32_e32 v2, v8
	s_and_b32 s38, s41, 28
	s_mov_b32 s42, 0
	s_mov_b64 s[2:3], s[22:23]
	s_mov_b64 s[24:25], s[16:17]
.LBB313_6:                              ; =>This Inner Loop Header: Depth=1
	s_clause 0x1
	s_load_b256 s[44:51], s[24:25], 0x4
	s_load_b128 s[60:63], s[24:25], 0x24
	s_load_b256 s[52:59], s[2:3], 0x0
	s_add_u32 s24, s24, 48
	s_addc_u32 s25, s25, 0
	s_add_i32 s42, s42, 4
	s_add_u32 s2, s2, 32
	s_addc_u32 s3, s3, 0
	s_cmp_lg_u32 s38, s42
	s_waitcnt lgkmcnt(0)
	v_mul_hi_u32 v3, s45, v2
	s_delay_alu instid0(VALU_DEP_1) | instskip(NEXT) | instid1(VALU_DEP_1)
	v_add_nc_u32_e32 v3, v2, v3
	v_lshrrev_b32_e32 v3, s46, v3
	s_delay_alu instid0(VALU_DEP_1) | instskip(SKIP_1) | instid1(VALU_DEP_2)
	v_mul_hi_u32 v4, s48, v3
	v_mul_lo_u32 v7, v3, s44
	v_add_nc_u32_e32 v4, v3, v4
	s_delay_alu instid0(VALU_DEP_2) | instskip(NEXT) | instid1(VALU_DEP_2)
	v_sub_nc_u32_e32 v2, v2, v7
	v_lshrrev_b32_e32 v4, s49, v4
	s_delay_alu instid0(VALU_DEP_2) | instskip(SKIP_1) | instid1(VALU_DEP_3)
	v_mul_lo_u32 v7, v2, s52
	v_mul_lo_u32 v10, v2, s53
	v_mul_hi_u32 v6, s51, v4
	s_delay_alu instid0(VALU_DEP_1) | instskip(NEXT) | instid1(VALU_DEP_1)
	v_add_nc_u32_e32 v6, v4, v6
	v_lshrrev_b32_e32 v6, s60, v6
	s_delay_alu instid0(VALU_DEP_1) | instskip(SKIP_1) | instid1(VALU_DEP_2)
	v_mul_hi_u32 v9, s62, v6
	v_mul_lo_u32 v11, v6, s50
	v_add_nc_u32_e32 v2, v6, v9
	v_mul_lo_u32 v9, v4, s47
	s_delay_alu instid0(VALU_DEP_3) | instskip(NEXT) | instid1(VALU_DEP_3)
	v_sub_nc_u32_e32 v4, v4, v11
	v_lshrrev_b32_e32 v2, s63, v2
	s_delay_alu instid0(VALU_DEP_2) | instskip(SKIP_2) | instid1(VALU_DEP_4)
	v_mul_lo_u32 v11, v4, s56
	v_mul_lo_u32 v4, v4, s57
	v_sub_nc_u32_e32 v3, v3, v9
	v_mul_lo_u32 v12, v2, s61
	s_delay_alu instid0(VALU_DEP_2) | instskip(SKIP_1) | instid1(VALU_DEP_3)
	v_mul_lo_u32 v9, v3, s54
	v_mul_lo_u32 v3, v3, s55
	v_sub_nc_u32_e32 v6, v6, v12
	s_delay_alu instid0(VALU_DEP_3) | instskip(NEXT) | instid1(VALU_DEP_2)
	v_add3_u32 v0, v7, v0, v9
	v_mul_lo_u32 v12, v6, s58
	v_mul_lo_u32 v6, v6, s59
	v_add3_u32 v1, v10, v1, v3
	s_delay_alu instid0(VALU_DEP_3) | instskip(NEXT) | instid1(VALU_DEP_2)
	v_add3_u32 v0, v11, v0, v12
	v_add3_u32 v1, v4, v1, v6
	s_cbranch_scc1 .LBB313_6
	s_branch .LBB313_9
.LBB313_7:
	s_mov_b32 s37, -1
                                        ; implicit-def: $vgpr0
                                        ; implicit-def: $vgpr1
	s_branch .LBB313_12
.LBB313_8:
	v_dual_mov_b32 v2, v8 :: v_dual_mov_b32 v1, 0
.LBB313_9:
	s_and_b32 s41, s41, 3
	s_delay_alu instid0(SALU_CYCLE_1)
	s_cmp_eq_u32 s41, 0
	s_cbranch_scc1 .LBB313_12
; %bb.10:
	s_lshl_b32 s2, s38, 3
	s_mul_i32 s24, s38, 12
	s_add_u32 s2, s2, s16
	s_addc_u32 s3, s17, 0
	s_add_u32 s2, s2, 0xc4
	s_addc_u32 s3, s3, 0
	s_add_u32 s24, s16, s24
	s_addc_u32 s25, s17, 0
	.p2align	6
.LBB313_11:                             ; =>This Inner Loop Header: Depth=1
	s_clause 0x1
	s_load_b64 s[42:43], s[24:25], 0x4
	s_load_b32 s38, s[24:25], 0xc
	s_load_b64 s[44:45], s[2:3], 0x0
	s_add_u32 s24, s24, 12
	s_addc_u32 s25, s25, 0
	s_add_u32 s2, s2, 8
	s_addc_u32 s3, s3, 0
	s_add_i32 s41, s41, -1
	s_delay_alu instid0(SALU_CYCLE_1) | instskip(SKIP_2) | instid1(VALU_DEP_1)
	s_cmp_lg_u32 s41, 0
	s_waitcnt lgkmcnt(0)
	v_mul_hi_u32 v3, s43, v2
	v_add_nc_u32_e32 v3, v2, v3
	s_delay_alu instid0(VALU_DEP_1) | instskip(NEXT) | instid1(VALU_DEP_1)
	v_lshrrev_b32_e32 v9, s38, v3
	v_mul_lo_u32 v3, v9, s42
	s_delay_alu instid0(VALU_DEP_1) | instskip(NEXT) | instid1(VALU_DEP_1)
	v_sub_nc_u32_e32 v2, v2, v3
	v_mad_u64_u32 v[3:4], null, v2, s44, v[0:1]
	v_mad_u64_u32 v[6:7], null, v2, s45, v[1:2]
	v_mov_b32_e32 v2, v9
	s_delay_alu instid0(VALU_DEP_2)
	v_dual_mov_b32 v0, v3 :: v_dual_mov_b32 v1, v6
	s_cbranch_scc1 .LBB313_11
.LBB313_12:
	s_and_not1_b32 vcc_lo, exec_lo, s37
	s_cbranch_vccnz .LBB313_15
; %bb.13:
	v_mul_hi_u32 v0, s13, v8
	s_and_not1_b32 vcc_lo, exec_lo, s33
	s_delay_alu instid0(VALU_DEP_1) | instskip(NEXT) | instid1(VALU_DEP_1)
	v_add_nc_u32_e32 v0, v8, v0
	v_lshrrev_b32_e32 v2, s14, v0
	s_delay_alu instid0(VALU_DEP_1) | instskip(NEXT) | instid1(VALU_DEP_1)
	v_mul_lo_u32 v0, v2, s12
	v_sub_nc_u32_e32 v1, v8, v0
	s_delay_alu instid0(VALU_DEP_1)
	v_mul_lo_u32 v0, v1, s8
	v_mul_lo_u32 v1, v1, s9
	s_cbranch_vccnz .LBB313_15
; %bb.14:
	v_mul_hi_u32 v3, s20, v2
	s_delay_alu instid0(VALU_DEP_1) | instskip(NEXT) | instid1(VALU_DEP_1)
	v_add_nc_u32_e32 v3, v2, v3
	v_lshrrev_b32_e32 v3, s21, v3
	s_delay_alu instid0(VALU_DEP_1) | instskip(NEXT) | instid1(VALU_DEP_1)
	v_mul_lo_u32 v3, v3, s15
	v_sub_nc_u32_e32 v6, v2, v3
	s_delay_alu instid0(VALU_DEP_1) | instskip(NEXT) | instid1(VALU_DEP_1)
	v_mad_u64_u32 v[2:3], null, v6, s10, v[0:1]
	v_mad_u64_u32 v[3:4], null, v6, s11, v[1:2]
	s_delay_alu instid0(VALU_DEP_1)
	v_dual_mov_b32 v0, v2 :: v_dual_mov_b32 v1, v3
.LBB313_15:
	v_cmp_gt_i16_e32 vcc_lo, 11, v5
	s_delay_alu instid0(VALU_DEP_2) | instskip(NEXT) | instid1(VALU_DEP_1)
	v_add_co_u32 v1, s2, s6, v1
	v_add_co_ci_u32_e64 v2, null, s7, 0, s2
	s_mov_b32 s3, 0
	s_cbranch_vccnz .LBB313_22
; %bb.16:
	v_cmp_lt_i16_e32 vcc_lo, 25, v5
	s_cbranch_vccz .LBB313_141
; %bb.17:
	v_cmp_lt_i16_e32 vcc_lo, 28, v5
	s_cbranch_vccz .LBB313_142
	;; [unrolled: 3-line block ×4, first 2 shown]
; %bb.20:
	v_cmp_eq_u16_e32 vcc_lo, 46, v5
	s_mov_b32 s24, 0
	s_cbranch_vccz .LBB313_145
; %bb.21:
	global_load_b32 v3, v[1:2], off
	s_mov_b32 s2, -1
	s_waitcnt vmcnt(0)
	v_lshlrev_b32_e32 v3, 16, v3
	s_delay_alu instid0(VALU_DEP_1)
	v_cvt_i32_f32_e32 v3, v3
	s_branch .LBB313_147
.LBB313_22:
	s_mov_b32 s2, 0
                                        ; implicit-def: $vgpr3
	s_cbranch_execnz .LBB313_209
.LBB313_23:
	s_and_not1_b32 vcc_lo, exec_lo, s2
	s_cbranch_vccnz .LBB313_256
.LBB313_24:
	s_waitcnt vmcnt(0)
	s_delay_alu instid0(VALU_DEP_1) | instskip(SKIP_3) | instid1(VALU_DEP_3)
	v_max_i16 v1, v3, s18
	v_and_b32_e64 v3, 0xff, s19
	v_add_co_u32 v0, s24, s4, v0
	s_mov_b32 s2, 0
	v_min_i16 v2, v1, s31
	s_delay_alu instid0(VALU_DEP_3)
	v_cmp_gt_i16_e32 vcc_lo, 11, v3
	v_add_co_ci_u32_e64 v1, null, s5, 0, s24
	s_mov_b32 s25, -1
	s_mov_b32 s24, 0
	s_cbranch_vccnz .LBB313_101
; %bb.25:
	v_cmp_lt_i16_e32 vcc_lo, 25, v3
	s_cbranch_vccz .LBB313_58
; %bb.26:
	v_cmp_lt_i16_e32 vcc_lo, 28, v3
	s_cbranch_vccz .LBB313_41
	;; [unrolled: 3-line block ×4, first 2 shown]
; %bb.29:
	v_cmp_eq_u16_e32 vcc_lo, 46, v3
	s_mov_b32 s25, 0
	s_mov_b32 s2, -1
	s_cbranch_vccz .LBB313_31
; %bb.30:
	v_bfe_i32 v4, v2, 0, 16
	s_mov_b32 s24, -1
	s_mov_b32 s2, 0
	s_delay_alu instid0(VALU_DEP_1) | instskip(NEXT) | instid1(VALU_DEP_1)
	v_cvt_f32_i32_e32 v4, v4
	v_bfe_u32 v6, v4, 16, 1
	s_delay_alu instid0(VALU_DEP_1) | instskip(NEXT) | instid1(VALU_DEP_1)
	v_add3_u32 v4, v4, v6, 0x7fff
	v_lshrrev_b32_e32 v4, 16, v4
	global_store_b32 v[0:1], v4, off
.LBB313_31:
	s_and_b32 vcc_lo, exec_lo, s25
	s_cbranch_vccz .LBB313_36
; %bb.32:
	v_cmp_eq_u16_e32 vcc_lo, 44, v3
	s_mov_b32 s2, -1
	s_cbranch_vccz .LBB313_36
; %bb.33:
	v_bfe_i32 v4, v2, 0, 16
	v_mov_b32_e32 v6, 0xff
	s_mov_b32 s24, exec_lo
	s_delay_alu instid0(VALU_DEP_2) | instskip(NEXT) | instid1(VALU_DEP_1)
	v_cvt_f32_i32_e32 v4, v4
	v_bfe_u32 v7, v4, 23, 8
	s_delay_alu instid0(VALU_DEP_1)
	v_cmpx_ne_u32_e32 0xff, v7
; %bb.34:
	v_and_b32_e32 v6, 0x400000, v4
	v_and_or_b32 v7, 0x3fffff, v4, v7
	v_lshrrev_b32_e32 v4, 23, v4
	s_delay_alu instid0(VALU_DEP_3) | instskip(NEXT) | instid1(VALU_DEP_3)
	v_cmp_ne_u32_e32 vcc_lo, 0, v6
	v_cmp_ne_u32_e64 s2, 0, v7
	s_delay_alu instid0(VALU_DEP_1) | instskip(NEXT) | instid1(SALU_CYCLE_1)
	s_and_b32 s2, vcc_lo, s2
	v_cndmask_b32_e64 v6, 0, 1, s2
	s_delay_alu instid0(VALU_DEP_1)
	v_add_nc_u32_e32 v6, v4, v6
; %bb.35:
	s_or_b32 exec_lo, exec_lo, s24
	s_mov_b32 s24, -1
	s_mov_b32 s2, 0
	global_store_b8 v[0:1], v6, off
.LBB313_36:
	s_mov_b32 s25, 0
.LBB313_37:
	s_delay_alu instid0(SALU_CYCLE_1)
	s_and_b32 vcc_lo, exec_lo, s25
	s_cbranch_vccz .LBB313_40
; %bb.38:
	v_cmp_eq_u16_e32 vcc_lo, 29, v3
	s_mov_b32 s2, -1
	s_cbranch_vccz .LBB313_40
; %bb.39:
	v_bfe_i32 v6, v2, 0, 16
	s_mov_b32 s2, 0
	s_mov_b32 s24, -1
	s_delay_alu instid0(VALU_DEP_1)
	v_ashrrev_i32_e32 v7, 31, v6
	global_store_b64 v[0:1], v[6:7], off
.LBB313_40:
	s_mov_b32 s25, 0
.LBB313_41:
	s_delay_alu instid0(SALU_CYCLE_1)
	s_and_b32 vcc_lo, exec_lo, s25
	s_cbranch_vccz .LBB313_57
; %bb.42:
	v_cmp_gt_i16_e32 vcc_lo, 27, v3
	s_mov_b32 s24, -1
	s_cbranch_vccnz .LBB313_48
; %bb.43:
	v_cmp_lt_i16_e32 vcc_lo, 27, v3
	s_cbranch_vccz .LBB313_45
; %bb.44:
	v_bfe_i32 v4, v2, 0, 16
	s_mov_b32 s24, 0
	global_store_b32 v[0:1], v4, off
.LBB313_45:
	s_and_not1_b32 vcc_lo, exec_lo, s24
	s_cbranch_vccnz .LBB313_47
; %bb.46:
	global_store_b16 v[0:1], v2, off
.LBB313_47:
	s_mov_b32 s24, 0
.LBB313_48:
	s_delay_alu instid0(SALU_CYCLE_1)
	s_and_not1_b32 vcc_lo, exec_lo, s24
	s_cbranch_vccnz .LBB313_56
; %bb.49:
	v_bfe_i32 v4, v2, 0, 16
	v_mov_b32_e32 v7, 0x80
	s_mov_b32 s24, exec_lo
	s_delay_alu instid0(VALU_DEP_2) | instskip(NEXT) | instid1(VALU_DEP_1)
	v_cvt_f32_i32_e32 v4, v4
	v_and_b32_e32 v6, 0x7fffffff, v4
	s_delay_alu instid0(VALU_DEP_1)
	v_cmpx_gt_u32_e32 0x43800000, v6
	s_cbranch_execz .LBB313_55
; %bb.50:
	v_cmp_lt_u32_e32 vcc_lo, 0x3bffffff, v6
	s_mov_b32 s25, 0
                                        ; implicit-def: $vgpr6
	s_and_saveexec_b32 s37, vcc_lo
	s_delay_alu instid0(SALU_CYCLE_1)
	s_xor_b32 s37, exec_lo, s37
	s_cbranch_execz .LBB313_150
; %bb.51:
	v_bfe_u32 v6, v4, 20, 1
	s_mov_b32 s25, exec_lo
	s_delay_alu instid0(VALU_DEP_1) | instskip(NEXT) | instid1(VALU_DEP_1)
	v_add3_u32 v6, v4, v6, 0x487ffff
	v_lshrrev_b32_e32 v6, 20, v6
	s_or_saveexec_b32 s37, s37
                                        ; implicit-def: $sgpr38
	s_delay_alu instid0(SALU_CYCLE_1)
	s_xor_b32 exec_lo, exec_lo, s37
	s_cbranch_execnz .LBB313_151
.LBB313_52:
	s_or_b32 exec_lo, exec_lo, s37
	v_mov_b32_e32 v7, s38
	s_and_saveexec_b32 s37, s25
.LBB313_53:
	v_lshrrev_b32_e32 v4, 24, v4
	s_delay_alu instid0(VALU_DEP_1)
	v_and_or_b32 v7, 0x80, v4, v6
.LBB313_54:
	s_or_b32 exec_lo, exec_lo, s37
.LBB313_55:
	s_delay_alu instid0(SALU_CYCLE_1)
	s_or_b32 exec_lo, exec_lo, s24
	global_store_b8 v[0:1], v7, off
.LBB313_56:
	s_mov_b32 s24, -1
.LBB313_57:
	s_mov_b32 s25, 0
.LBB313_58:
	s_delay_alu instid0(SALU_CYCLE_1)
	s_and_b32 vcc_lo, exec_lo, s25
	s_cbranch_vccz .LBB313_99
; %bb.59:
	v_cmp_lt_i16_e32 vcc_lo, 22, v3
	s_mov_b32 s25, -1
	s_cbranch_vccz .LBB313_91
; %bb.60:
	v_cmp_gt_i16_e32 vcc_lo, 24, v3
	s_mov_b32 s24, -1
	s_cbranch_vccnz .LBB313_80
; %bb.61:
	v_cmp_lt_i16_e32 vcc_lo, 24, v3
	s_cbranch_vccz .LBB313_69
; %bb.62:
	v_bfe_i32 v4, v2, 0, 16
	v_mov_b32_e32 v7, 0x80
	s_mov_b32 s24, exec_lo
	s_delay_alu instid0(VALU_DEP_2) | instskip(NEXT) | instid1(VALU_DEP_1)
	v_cvt_f32_i32_e32 v4, v4
	v_and_b32_e32 v6, 0x7fffffff, v4
	s_delay_alu instid0(VALU_DEP_1)
	v_cmpx_gt_u32_e32 0x47800000, v6
	s_cbranch_execz .LBB313_68
; %bb.63:
	v_cmp_lt_u32_e32 vcc_lo, 0x37ffffff, v6
	s_mov_b32 s25, 0
                                        ; implicit-def: $vgpr6
	s_and_saveexec_b32 s37, vcc_lo
	s_delay_alu instid0(SALU_CYCLE_1)
	s_xor_b32 s37, exec_lo, s37
	s_cbranch_execz .LBB313_337
; %bb.64:
	v_bfe_u32 v6, v4, 21, 1
	s_mov_b32 s25, exec_lo
	s_delay_alu instid0(VALU_DEP_1) | instskip(NEXT) | instid1(VALU_DEP_1)
	v_add3_u32 v6, v4, v6, 0x88fffff
	v_lshrrev_b32_e32 v6, 21, v6
	s_or_saveexec_b32 s37, s37
                                        ; implicit-def: $sgpr38
	s_delay_alu instid0(SALU_CYCLE_1)
	s_xor_b32 exec_lo, exec_lo, s37
	s_cbranch_execnz .LBB313_338
.LBB313_65:
	s_or_b32 exec_lo, exec_lo, s37
	v_mov_b32_e32 v7, s38
	s_and_saveexec_b32 s37, s25
.LBB313_66:
	v_lshrrev_b32_e32 v4, 24, v4
	s_delay_alu instid0(VALU_DEP_1)
	v_and_or_b32 v7, 0x80, v4, v6
.LBB313_67:
	s_or_b32 exec_lo, exec_lo, s37
.LBB313_68:
	s_delay_alu instid0(SALU_CYCLE_1)
	s_or_b32 exec_lo, exec_lo, s24
	s_mov_b32 s24, 0
	global_store_b8 v[0:1], v7, off
.LBB313_69:
	s_and_b32 vcc_lo, exec_lo, s24
	s_cbranch_vccz .LBB313_79
; %bb.70:
	v_bfe_i32 v4, v2, 0, 16
	s_mov_b32 s24, exec_lo
                                        ; implicit-def: $vgpr6
	s_delay_alu instid0(VALU_DEP_1) | instskip(NEXT) | instid1(VALU_DEP_1)
	v_cvt_f32_i32_e32 v4, v4
	v_and_b32_e32 v7, 0x7fffffff, v4
	s_delay_alu instid0(VALU_DEP_1)
	v_cmpx_gt_u32_e32 0x43f00000, v7
	s_xor_b32 s24, exec_lo, s24
	s_cbranch_execz .LBB313_76
; %bb.71:
	s_mov_b32 s25, exec_lo
                                        ; implicit-def: $vgpr6
	v_cmpx_lt_u32_e32 0x3c7fffff, v7
	s_xor_b32 s25, exec_lo, s25
; %bb.72:
	v_bfe_u32 v6, v4, 20, 1
	s_delay_alu instid0(VALU_DEP_1) | instskip(NEXT) | instid1(VALU_DEP_1)
	v_add3_u32 v6, v4, v6, 0x407ffff
	v_and_b32_e32 v7, 0xff00000, v6
	v_lshrrev_b32_e32 v6, 20, v6
	s_delay_alu instid0(VALU_DEP_2) | instskip(NEXT) | instid1(VALU_DEP_2)
	v_cmp_ne_u32_e32 vcc_lo, 0x7f00000, v7
	v_cndmask_b32_e32 v6, 0x7e, v6, vcc_lo
; %bb.73:
	s_and_not1_saveexec_b32 s25, s25
; %bb.74:
	v_add_f32_e64 v6, 0x46800000, |v4|
; %bb.75:
	s_or_b32 exec_lo, exec_lo, s25
                                        ; implicit-def: $vgpr7
.LBB313_76:
	s_and_not1_saveexec_b32 s24, s24
; %bb.77:
	v_mov_b32_e32 v6, 0x7f
	v_cmp_lt_u32_e32 vcc_lo, 0x7f800000, v7
	s_delay_alu instid0(VALU_DEP_2)
	v_cndmask_b32_e32 v6, 0x7e, v6, vcc_lo
; %bb.78:
	s_or_b32 exec_lo, exec_lo, s24
	v_lshrrev_b32_e32 v4, 24, v4
	s_delay_alu instid0(VALU_DEP_1)
	v_and_or_b32 v4, 0x80, v4, v6
	global_store_b8 v[0:1], v4, off
.LBB313_79:
	s_mov_b32 s24, 0
.LBB313_80:
	s_delay_alu instid0(SALU_CYCLE_1)
	s_and_not1_b32 vcc_lo, exec_lo, s24
	s_cbranch_vccnz .LBB313_90
; %bb.81:
	v_bfe_i32 v4, v2, 0, 16
	s_mov_b32 s24, exec_lo
                                        ; implicit-def: $vgpr6
	s_delay_alu instid0(VALU_DEP_1) | instskip(NEXT) | instid1(VALU_DEP_1)
	v_cvt_f32_i32_e32 v4, v4
	v_and_b32_e32 v7, 0x7fffffff, v4
	s_delay_alu instid0(VALU_DEP_1)
	v_cmpx_gt_u32_e32 0x47800000, v7
	s_xor_b32 s24, exec_lo, s24
	s_cbranch_execz .LBB313_87
; %bb.82:
	s_mov_b32 s25, exec_lo
                                        ; implicit-def: $vgpr6
	v_cmpx_lt_u32_e32 0x387fffff, v7
	s_xor_b32 s25, exec_lo, s25
; %bb.83:
	v_bfe_u32 v6, v4, 21, 1
	s_delay_alu instid0(VALU_DEP_1) | instskip(NEXT) | instid1(VALU_DEP_1)
	v_add3_u32 v6, v4, v6, 0x80fffff
	v_lshrrev_b32_e32 v6, 21, v6
; %bb.84:
	s_and_not1_saveexec_b32 s25, s25
; %bb.85:
	v_add_f32_e64 v6, 0x43000000, |v4|
; %bb.86:
	s_or_b32 exec_lo, exec_lo, s25
                                        ; implicit-def: $vgpr7
.LBB313_87:
	s_and_not1_saveexec_b32 s24, s24
; %bb.88:
	v_mov_b32_e32 v6, 0x7f
	v_cmp_lt_u32_e32 vcc_lo, 0x7f800000, v7
	s_delay_alu instid0(VALU_DEP_2)
	v_cndmask_b32_e32 v6, 0x7c, v6, vcc_lo
; %bb.89:
	s_or_b32 exec_lo, exec_lo, s24
	v_lshrrev_b32_e32 v4, 24, v4
	s_delay_alu instid0(VALU_DEP_1)
	v_and_or_b32 v4, 0x80, v4, v6
	global_store_b8 v[0:1], v4, off
.LBB313_90:
	s_mov_b32 s25, 0
	s_mov_b32 s24, -1
.LBB313_91:
	s_and_not1_b32 vcc_lo, exec_lo, s25
	s_cbranch_vccnz .LBB313_99
; %bb.92:
	v_cmp_lt_i16_e32 vcc_lo, 14, v3
	s_mov_b32 s25, -1
	s_cbranch_vccz .LBB313_96
; %bb.93:
	v_cmp_eq_u16_e32 vcc_lo, 15, v3
	s_mov_b32 s2, -1
	s_cbranch_vccz .LBB313_95
; %bb.94:
	v_bfe_i32 v4, v2, 0, 16
	s_mov_b32 s24, -1
	s_mov_b32 s2, 0
	s_delay_alu instid0(VALU_DEP_1) | instskip(NEXT) | instid1(VALU_DEP_1)
	v_cvt_f32_i32_e32 v4, v4
	v_bfe_u32 v6, v4, 16, 1
	s_delay_alu instid0(VALU_DEP_1)
	v_add3_u32 v4, v4, v6, 0x7fff
	global_store_d16_hi_b16 v[0:1], v4, off
.LBB313_95:
	s_mov_b32 s25, 0
.LBB313_96:
	s_delay_alu instid0(SALU_CYCLE_1)
	s_and_b32 vcc_lo, exec_lo, s25
	s_cbranch_vccz .LBB313_99
; %bb.97:
	v_cmp_eq_u16_e32 vcc_lo, 11, v3
	s_mov_b32 s2, -1
	s_cbranch_vccz .LBB313_99
; %bb.98:
	v_cmp_ne_u16_e32 vcc_lo, 0, v2
	s_mov_b32 s2, 0
	s_mov_b32 s24, -1
	v_cndmask_b32_e64 v4, 0, 1, vcc_lo
	global_store_b8 v[0:1], v4, off
.LBB313_99:
.LBB313_100:
	s_and_not1_b32 vcc_lo, exec_lo, s24
	s_cbranch_vccz .LBB313_140
	s_branch .LBB313_257
.LBB313_101:
	s_and_b32 vcc_lo, exec_lo, s25
	s_cbranch_vccz .LBB313_100
; %bb.102:
	v_cmp_gt_i16_e32 vcc_lo, 5, v3
	s_mov_b32 s24, -1
	s_cbranch_vccnz .LBB313_123
; %bb.103:
	v_cmp_gt_i16_e32 vcc_lo, 8, v3
	s_cbranch_vccnz .LBB313_113
; %bb.104:
	v_cmp_gt_i16_e32 vcc_lo, 9, v3
	s_cbranch_vccnz .LBB313_110
; %bb.105:
	v_cmp_lt_i16_e32 vcc_lo, 9, v3
	s_cbranch_vccz .LBB313_107
; %bb.106:
	v_bfe_i32 v4, v2, 0, 16
	v_mov_b32_e32 v11, 0
	s_mov_b32 s24, 0
	s_delay_alu instid0(VALU_DEP_2) | instskip(NEXT) | instid1(VALU_DEP_2)
	v_cvt_f64_i32_e32 v[9:10], v4
	v_mov_b32_e32 v12, v11
	global_store_b128 v[0:1], v[9:12], off
.LBB313_107:
	s_and_not1_b32 vcc_lo, exec_lo, s24
	s_cbranch_vccnz .LBB313_109
; %bb.108:
	v_bfe_i32 v4, v2, 0, 16
	v_mov_b32_e32 v7, 0
	s_delay_alu instid0(VALU_DEP_2)
	v_cvt_f32_i32_e32 v6, v4
	global_store_b64 v[0:1], v[6:7], off
.LBB313_109:
	s_mov_b32 s24, 0
.LBB313_110:
	s_delay_alu instid0(SALU_CYCLE_1)
	s_and_not1_b32 vcc_lo, exec_lo, s24
	s_cbranch_vccnz .LBB313_112
; %bb.111:
	v_cvt_f16_i16_e32 v4, v2
	s_delay_alu instid0(VALU_DEP_1)
	v_and_b32_e32 v4, 0xffff, v4
	global_store_b32 v[0:1], v4, off
.LBB313_112:
	s_mov_b32 s24, 0
.LBB313_113:
	s_delay_alu instid0(SALU_CYCLE_1)
	s_and_not1_b32 vcc_lo, exec_lo, s24
	s_cbranch_vccnz .LBB313_122
; %bb.114:
	v_cmp_gt_i16_e32 vcc_lo, 6, v3
	s_mov_b32 s24, -1
	s_cbranch_vccnz .LBB313_120
; %bb.115:
	v_cmp_lt_i16_e32 vcc_lo, 6, v3
	s_cbranch_vccz .LBB313_117
; %bb.116:
	v_bfe_i32 v4, v2, 0, 16
	s_mov_b32 s24, 0
	s_delay_alu instid0(VALU_DEP_1)
	v_cvt_f64_i32_e32 v[6:7], v4
	global_store_b64 v[0:1], v[6:7], off
.LBB313_117:
	s_and_not1_b32 vcc_lo, exec_lo, s24
	s_cbranch_vccnz .LBB313_119
; %bb.118:
	v_bfe_i32 v4, v2, 0, 16
	s_delay_alu instid0(VALU_DEP_1)
	v_cvt_f32_i32_e32 v4, v4
	global_store_b32 v[0:1], v4, off
.LBB313_119:
	s_mov_b32 s24, 0
.LBB313_120:
	s_delay_alu instid0(SALU_CYCLE_1)
	s_and_not1_b32 vcc_lo, exec_lo, s24
	s_cbranch_vccnz .LBB313_122
; %bb.121:
	v_cvt_f16_i16_e32 v4, v2
	global_store_b16 v[0:1], v4, off
.LBB313_122:
	s_mov_b32 s24, 0
.LBB313_123:
	s_delay_alu instid0(SALU_CYCLE_1)
	s_and_not1_b32 vcc_lo, exec_lo, s24
	s_cbranch_vccnz .LBB313_139
; %bb.124:
	v_cmp_gt_i16_e32 vcc_lo, 2, v3
	s_mov_b32 s24, -1
	s_cbranch_vccnz .LBB313_134
; %bb.125:
	v_cmp_gt_i16_e32 vcc_lo, 3, v3
	s_cbranch_vccnz .LBB313_131
; %bb.126:
	v_cmp_lt_i16_e32 vcc_lo, 3, v3
	s_cbranch_vccz .LBB313_128
; %bb.127:
	v_bfe_i32 v6, v2, 0, 16
	s_mov_b32 s24, 0
	s_delay_alu instid0(VALU_DEP_1)
	v_ashrrev_i32_e32 v7, 31, v6
	global_store_b64 v[0:1], v[6:7], off
.LBB313_128:
	s_and_not1_b32 vcc_lo, exec_lo, s24
	s_cbranch_vccnz .LBB313_130
; %bb.129:
	v_bfe_i32 v4, v2, 0, 16
	global_store_b32 v[0:1], v4, off
.LBB313_130:
	s_mov_b32 s24, 0
.LBB313_131:
	s_delay_alu instid0(SALU_CYCLE_1)
	s_and_not1_b32 vcc_lo, exec_lo, s24
	s_cbranch_vccnz .LBB313_133
; %bb.132:
	global_store_b16 v[0:1], v2, off
.LBB313_133:
	s_mov_b32 s24, 0
.LBB313_134:
	s_delay_alu instid0(SALU_CYCLE_1)
	s_and_not1_b32 vcc_lo, exec_lo, s24
	s_cbranch_vccnz .LBB313_139
; %bb.135:
	v_cmp_lt_i16_e32 vcc_lo, 0, v3
	s_mov_b32 s24, -1
	s_cbranch_vccz .LBB313_137
; %bb.136:
	s_mov_b32 s24, 0
	global_store_b8 v[0:1], v2, off
.LBB313_137:
	s_and_not1_b32 vcc_lo, exec_lo, s24
	s_cbranch_vccnz .LBB313_139
; %bb.138:
	global_store_b8 v[0:1], v2, off
.LBB313_139:
.LBB313_140:
	v_add_nc_u32_e32 v8, 0x80, v8
	s_mov_b32 s24, -1
	s_branch .LBB313_258
.LBB313_141:
	s_mov_b32 s2, 0
                                        ; implicit-def: $vgpr3
	s_cbranch_execnz .LBB313_176
	s_branch .LBB313_208
.LBB313_142:
	s_mov_b32 s24, -1
	s_mov_b32 s2, 0
                                        ; implicit-def: $vgpr3
	s_branch .LBB313_159
.LBB313_143:
	s_mov_b32 s24, -1
	s_mov_b32 s2, 0
                                        ; implicit-def: $vgpr3
	s_branch .LBB313_154
.LBB313_144:
	s_mov_b32 s24, -1
	s_branch .LBB313_146
.LBB313_145:
	s_mov_b32 s3, -1
.LBB313_146:
	s_mov_b32 s2, 0
                                        ; implicit-def: $vgpr3
.LBB313_147:
	s_and_b32 vcc_lo, exec_lo, s24
	s_cbranch_vccz .LBB313_153
; %bb.148:
	v_cmp_eq_u16_e32 vcc_lo, 44, v5
	s_cbranch_vccz .LBB313_152
; %bb.149:
	global_load_u8 v3, v[1:2], off
	s_mov_b32 s3, 0
	s_mov_b32 s2, -1
	s_waitcnt vmcnt(0)
	v_lshlrev_b32_e32 v4, 23, v3
	v_cmp_ne_u32_e32 vcc_lo, 0, v3
	s_delay_alu instid0(VALU_DEP_2) | instskip(NEXT) | instid1(VALU_DEP_1)
	v_cvt_i32_f32_e32 v4, v4
	v_cndmask_b32_e32 v3, 0, v4, vcc_lo
	s_branch .LBB313_153
.LBB313_150:
	s_or_saveexec_b32 s37, s37
                                        ; implicit-def: $sgpr38
	s_delay_alu instid0(SALU_CYCLE_1)
	s_xor_b32 exec_lo, exec_lo, s37
	s_cbranch_execz .LBB313_52
.LBB313_151:
	v_add_f32_e64 v6, 0x46000000, |v4|
	s_and_not1_b32 s25, s25, exec_lo
	s_mov_b32 s38, 0
	s_delay_alu instid0(VALU_DEP_1) | instskip(NEXT) | instid1(VALU_DEP_1)
	v_and_b32_e32 v6, 0xff, v6
	v_cmp_ne_u32_e32 vcc_lo, 0, v6
	s_and_b32 s41, vcc_lo, exec_lo
	s_delay_alu instid0(SALU_CYCLE_1)
	s_or_b32 s25, s25, s41
	s_or_b32 exec_lo, exec_lo, s37
	v_mov_b32_e32 v7, s38
	s_and_saveexec_b32 s37, s25
	s_cbranch_execnz .LBB313_53
	s_branch .LBB313_54
.LBB313_152:
	s_mov_b32 s3, -1
                                        ; implicit-def: $vgpr3
.LBB313_153:
	s_mov_b32 s24, 0
.LBB313_154:
	s_delay_alu instid0(SALU_CYCLE_1)
	s_and_b32 vcc_lo, exec_lo, s24
	s_cbranch_vccz .LBB313_158
; %bb.155:
	v_cmp_eq_u16_e32 vcc_lo, 29, v5
	s_cbranch_vccz .LBB313_157
; %bb.156:
	global_load_b64 v[3:4], v[1:2], off
	s_mov_b32 s2, -1
	s_mov_b32 s3, 0
	s_branch .LBB313_158
.LBB313_157:
	s_mov_b32 s3, -1
                                        ; implicit-def: $vgpr3
.LBB313_158:
	s_mov_b32 s24, 0
.LBB313_159:
	s_delay_alu instid0(SALU_CYCLE_1)
	s_and_b32 vcc_lo, exec_lo, s24
	s_cbranch_vccz .LBB313_175
; %bb.160:
	v_cmp_gt_i16_e32 vcc_lo, 27, v5
	s_cbranch_vccnz .LBB313_163
; %bb.161:
	v_cmp_lt_i16_e32 vcc_lo, 27, v5
	s_cbranch_vccz .LBB313_164
; %bb.162:
	global_load_b32 v3, v[1:2], off
	s_mov_b32 s2, 0
	s_branch .LBB313_165
.LBB313_163:
	s_mov_b32 s2, -1
                                        ; implicit-def: $vgpr3
	s_branch .LBB313_168
.LBB313_164:
	s_mov_b32 s2, -1
                                        ; implicit-def: $vgpr3
.LBB313_165:
	s_delay_alu instid0(SALU_CYCLE_1)
	s_and_not1_b32 vcc_lo, exec_lo, s2
	s_cbranch_vccnz .LBB313_167
; %bb.166:
	global_load_u16 v3, v[1:2], off
.LBB313_167:
	s_mov_b32 s2, 0
.LBB313_168:
	s_delay_alu instid0(SALU_CYCLE_1)
	s_and_not1_b32 vcc_lo, exec_lo, s2
	s_cbranch_vccnz .LBB313_174
; %bb.169:
	global_load_u8 v4, v[1:2], off
	s_mov_b32 s2, 0
	s_mov_b32 s24, exec_lo
                                        ; implicit-def: $sgpr25
	s_waitcnt vmcnt(0)
	v_cmpx_lt_i16_e32 0x7f, v4
	s_xor_b32 s24, exec_lo, s24
	s_cbranch_execz .LBB313_185
; %bb.170:
	v_cmp_ne_u16_e32 vcc_lo, 0x80, v4
	s_mov_b32 s25, 0
	s_and_b32 s2, vcc_lo, exec_lo
	s_or_saveexec_b32 s24, s24
	v_mov_b32_e32 v3, s25
	s_xor_b32 exec_lo, exec_lo, s24
	s_cbranch_execnz .LBB313_186
.LBB313_171:
	s_or_b32 exec_lo, exec_lo, s24
	s_and_saveexec_b32 s24, s2
	s_cbranch_execz .LBB313_173
.LBB313_172:
	v_and_b32_e32 v3, 0xffff, v4
	s_delay_alu instid0(VALU_DEP_1) | instskip(NEXT) | instid1(VALU_DEP_1)
	v_and_b32_e32 v6, 7, v3
	v_clz_i32_u32_e32 v7, v6
	s_delay_alu instid0(VALU_DEP_1) | instskip(NEXT) | instid1(VALU_DEP_1)
	v_min_u32_e32 v7, 32, v7
	v_subrev_nc_u32_e32 v9, 28, v7
	v_sub_nc_u32_e32 v7, 29, v7
	s_delay_alu instid0(VALU_DEP_2) | instskip(SKIP_1) | instid1(VALU_DEP_2)
	v_lshlrev_b32_e32 v9, v9, v3
	v_bfe_u32 v3, v3, 3, 4
	v_and_b32_e32 v9, 7, v9
	s_delay_alu instid0(VALU_DEP_2) | instskip(SKIP_1) | instid1(VALU_DEP_3)
	v_cmp_eq_u32_e32 vcc_lo, 0, v3
	v_dual_cndmask_b32 v3, v3, v7 :: v_dual_lshlrev_b32 v4, 24, v4
	v_cndmask_b32_e32 v6, v6, v9, vcc_lo
	s_delay_alu instid0(VALU_DEP_2) | instskip(NEXT) | instid1(VALU_DEP_3)
	v_and_b32_e32 v4, 0x80000000, v4
	v_lshl_add_u32 v3, v3, 23, 0x3b800000
	s_delay_alu instid0(VALU_DEP_3) | instskip(NEXT) | instid1(VALU_DEP_1)
	v_lshlrev_b32_e32 v6, 20, v6
	v_or3_b32 v3, v4, v3, v6
	s_delay_alu instid0(VALU_DEP_1)
	v_cvt_i32_f32_e32 v3, v3
.LBB313_173:
	s_or_b32 exec_lo, exec_lo, s24
.LBB313_174:
	s_mov_b32 s2, -1
.LBB313_175:
	s_branch .LBB313_208
.LBB313_176:
	v_cmp_lt_i16_e32 vcc_lo, 22, v5
	s_cbranch_vccz .LBB313_184
; %bb.177:
	v_cmp_gt_i16_e32 vcc_lo, 24, v5
	s_cbranch_vccnz .LBB313_187
; %bb.178:
	v_cmp_lt_i16_e32 vcc_lo, 24, v5
	s_cbranch_vccz .LBB313_188
; %bb.179:
	global_load_u8 v4, v[1:2], off
	s_mov_b32 s2, 0
	s_mov_b32 s24, exec_lo
                                        ; implicit-def: $sgpr25
	s_waitcnt vmcnt(0)
	v_cmpx_lt_i16_e32 0x7f, v4
	s_xor_b32 s24, exec_lo, s24
	s_cbranch_execz .LBB313_200
; %bb.180:
	v_cmp_ne_u16_e32 vcc_lo, 0x80, v4
	s_mov_b32 s25, 0
	s_and_b32 s2, vcc_lo, exec_lo
	s_or_saveexec_b32 s24, s24
	v_mov_b32_e32 v3, s25
	s_xor_b32 exec_lo, exec_lo, s24
	s_cbranch_execnz .LBB313_201
.LBB313_181:
	s_or_b32 exec_lo, exec_lo, s24
	s_and_saveexec_b32 s24, s2
	s_cbranch_execz .LBB313_183
.LBB313_182:
	v_and_b32_e32 v3, 0xffff, v4
	s_delay_alu instid0(VALU_DEP_1) | instskip(NEXT) | instid1(VALU_DEP_1)
	v_and_b32_e32 v6, 3, v3
	v_clz_i32_u32_e32 v7, v6
	s_delay_alu instid0(VALU_DEP_1) | instskip(NEXT) | instid1(VALU_DEP_1)
	v_min_u32_e32 v7, 32, v7
	v_subrev_nc_u32_e32 v9, 29, v7
	v_sub_nc_u32_e32 v7, 30, v7
	s_delay_alu instid0(VALU_DEP_2) | instskip(SKIP_1) | instid1(VALU_DEP_2)
	v_lshlrev_b32_e32 v9, v9, v3
	v_bfe_u32 v3, v3, 2, 5
	v_and_b32_e32 v9, 3, v9
	s_delay_alu instid0(VALU_DEP_2) | instskip(SKIP_1) | instid1(VALU_DEP_3)
	v_cmp_eq_u32_e32 vcc_lo, 0, v3
	v_dual_cndmask_b32 v3, v3, v7 :: v_dual_lshlrev_b32 v4, 24, v4
	v_cndmask_b32_e32 v6, v6, v9, vcc_lo
	s_delay_alu instid0(VALU_DEP_2) | instskip(NEXT) | instid1(VALU_DEP_3)
	v_and_b32_e32 v4, 0x80000000, v4
	v_lshl_add_u32 v3, v3, 23, 0x37800000
	s_delay_alu instid0(VALU_DEP_3) | instskip(NEXT) | instid1(VALU_DEP_1)
	v_lshlrev_b32_e32 v6, 21, v6
	v_or3_b32 v3, v4, v3, v6
	s_delay_alu instid0(VALU_DEP_1)
	v_cvt_i32_f32_e32 v3, v3
.LBB313_183:
	s_or_b32 exec_lo, exec_lo, s24
	s_mov_b32 s2, 0
	s_branch .LBB313_189
.LBB313_184:
	s_mov_b32 s24, -1
                                        ; implicit-def: $vgpr3
	s_branch .LBB313_195
.LBB313_185:
	s_or_saveexec_b32 s24, s24
	v_mov_b32_e32 v3, s25
	s_xor_b32 exec_lo, exec_lo, s24
	s_cbranch_execz .LBB313_171
.LBB313_186:
	v_cmp_ne_u16_e32 vcc_lo, 0, v4
	v_mov_b32_e32 v3, 0
	s_and_not1_b32 s2, s2, exec_lo
	s_and_b32 s25, vcc_lo, exec_lo
	s_delay_alu instid0(SALU_CYCLE_1)
	s_or_b32 s2, s2, s25
	s_or_b32 exec_lo, exec_lo, s24
	s_and_saveexec_b32 s24, s2
	s_cbranch_execnz .LBB313_172
	s_branch .LBB313_173
.LBB313_187:
	s_mov_b32 s2, -1
                                        ; implicit-def: $vgpr3
	s_branch .LBB313_192
.LBB313_188:
	s_mov_b32 s2, -1
                                        ; implicit-def: $vgpr3
.LBB313_189:
	s_delay_alu instid0(SALU_CYCLE_1)
	s_and_b32 vcc_lo, exec_lo, s2
	s_cbranch_vccz .LBB313_191
; %bb.190:
	global_load_u8 v3, v[1:2], off
	s_waitcnt vmcnt(0)
	v_lshlrev_b32_e32 v3, 24, v3
	s_delay_alu instid0(VALU_DEP_1) | instskip(NEXT) | instid1(VALU_DEP_1)
	v_and_b32_e32 v4, 0x7f000000, v3
	v_clz_i32_u32_e32 v6, v4
	v_add_nc_u32_e32 v9, 0x1000000, v4
	v_cmp_ne_u32_e32 vcc_lo, 0, v4
	s_delay_alu instid0(VALU_DEP_3) | instskip(NEXT) | instid1(VALU_DEP_1)
	v_min_u32_e32 v6, 32, v6
	v_sub_nc_u32_e64 v6, v6, 4 clamp
	s_delay_alu instid0(VALU_DEP_1) | instskip(SKIP_1) | instid1(VALU_DEP_2)
	v_lshlrev_b32_e32 v7, v6, v4
	v_lshlrev_b32_e32 v6, 23, v6
	v_lshrrev_b32_e32 v7, 4, v7
	s_delay_alu instid0(VALU_DEP_1) | instskip(SKIP_1) | instid1(VALU_DEP_2)
	v_sub_nc_u32_e32 v6, v7, v6
	v_ashrrev_i32_e32 v7, 8, v9
	v_add_nc_u32_e32 v6, 0x3c000000, v6
	s_delay_alu instid0(VALU_DEP_1) | instskip(NEXT) | instid1(VALU_DEP_1)
	v_and_or_b32 v6, 0x7f800000, v7, v6
	v_cndmask_b32_e32 v4, 0, v6, vcc_lo
	s_delay_alu instid0(VALU_DEP_1) | instskip(NEXT) | instid1(VALU_DEP_1)
	v_and_or_b32 v3, 0x80000000, v3, v4
	v_cvt_i32_f32_e32 v3, v3
.LBB313_191:
	s_mov_b32 s2, 0
.LBB313_192:
	s_delay_alu instid0(SALU_CYCLE_1)
	s_and_not1_b32 vcc_lo, exec_lo, s2
	s_cbranch_vccnz .LBB313_194
; %bb.193:
	global_load_u8 v3, v[1:2], off
	s_waitcnt vmcnt(0)
	v_lshlrev_b32_e32 v4, 25, v3
	v_lshlrev_b16 v3, 8, v3
	s_delay_alu instid0(VALU_DEP_2) | instskip(NEXT) | instid1(VALU_DEP_2)
	v_lshrrev_b32_e32 v6, 4, v4
	v_and_or_b32 v7, 0x7f00, v3, 0.5
	v_cmp_gt_u32_e32 vcc_lo, 0x8000000, v4
	v_bfe_i32 v3, v3, 0, 16
	s_delay_alu instid0(VALU_DEP_4) | instskip(NEXT) | instid1(VALU_DEP_1)
	v_or_b32_e32 v6, 0x70000000, v6
	v_dual_add_f32 v7, -0.5, v7 :: v_dual_mul_f32 v6, 0x7800000, v6
	s_delay_alu instid0(VALU_DEP_1) | instskip(NEXT) | instid1(VALU_DEP_1)
	v_cndmask_b32_e32 v4, v6, v7, vcc_lo
	v_and_or_b32 v3, 0x80000000, v3, v4
	s_delay_alu instid0(VALU_DEP_1)
	v_cvt_i32_f32_e32 v3, v3
.LBB313_194:
	s_mov_b32 s24, 0
	s_mov_b32 s2, -1
.LBB313_195:
	s_and_not1_b32 vcc_lo, exec_lo, s24
	s_cbranch_vccnz .LBB313_208
; %bb.196:
	v_cmp_lt_i16_e32 vcc_lo, 14, v5
	s_cbranch_vccz .LBB313_199
; %bb.197:
	v_cmp_eq_u16_e32 vcc_lo, 15, v5
	s_cbranch_vccz .LBB313_202
; %bb.198:
	global_load_u16 v3, v[1:2], off
	s_mov_b32 s2, -1
	s_mov_b32 s3, 0
	s_waitcnt vmcnt(0)
	v_lshlrev_b32_e32 v3, 16, v3
	s_delay_alu instid0(VALU_DEP_1)
	v_cvt_i32_f32_e32 v3, v3
	s_branch .LBB313_203
.LBB313_199:
	s_mov_b32 s24, -1
                                        ; implicit-def: $vgpr3
	s_branch .LBB313_204
.LBB313_200:
	s_or_saveexec_b32 s24, s24
	v_mov_b32_e32 v3, s25
	s_xor_b32 exec_lo, exec_lo, s24
	s_cbranch_execz .LBB313_181
.LBB313_201:
	v_cmp_ne_u16_e32 vcc_lo, 0, v4
	v_mov_b32_e32 v3, 0
	s_and_not1_b32 s2, s2, exec_lo
	s_and_b32 s25, vcc_lo, exec_lo
	s_delay_alu instid0(SALU_CYCLE_1)
	s_or_b32 s2, s2, s25
	s_or_b32 exec_lo, exec_lo, s24
	s_and_saveexec_b32 s24, s2
	s_cbranch_execnz .LBB313_182
	s_branch .LBB313_183
.LBB313_202:
	s_mov_b32 s3, -1
                                        ; implicit-def: $vgpr3
.LBB313_203:
	s_mov_b32 s24, 0
.LBB313_204:
	s_delay_alu instid0(SALU_CYCLE_1)
	s_and_b32 vcc_lo, exec_lo, s24
	s_cbranch_vccz .LBB313_208
; %bb.205:
	v_cmp_eq_u16_e32 vcc_lo, 11, v5
	s_cbranch_vccz .LBB313_207
; %bb.206:
	global_load_u8 v3, v[1:2], off
	s_mov_b32 s3, 0
	s_mov_b32 s2, -1
	s_waitcnt vmcnt(0)
	v_cmp_ne_u16_e32 vcc_lo, 0, v3
	v_cndmask_b32_e64 v3, 0, 1, vcc_lo
	s_branch .LBB313_208
.LBB313_207:
	s_mov_b32 s3, -1
                                        ; implicit-def: $vgpr3
.LBB313_208:
	s_branch .LBB313_23
.LBB313_209:
	v_cmp_gt_i16_e32 vcc_lo, 5, v5
	s_cbranch_vccnz .LBB313_214
; %bb.210:
	v_cmp_gt_i16_e32 vcc_lo, 8, v5
	s_cbranch_vccnz .LBB313_215
; %bb.211:
	;; [unrolled: 3-line block ×3, first 2 shown]
	v_cmp_lt_i16_e32 vcc_lo, 9, v5
	s_cbranch_vccz .LBB313_217
; %bb.213:
	global_load_b64 v[3:4], v[1:2], off
	s_mov_b32 s2, 0
	s_waitcnt vmcnt(0)
	v_cvt_i32_f64_e32 v3, v[3:4]
	s_branch .LBB313_218
.LBB313_214:
                                        ; implicit-def: $vgpr3
	s_branch .LBB313_236
.LBB313_215:
	s_mov_b32 s2, -1
                                        ; implicit-def: $vgpr3
	s_branch .LBB313_224
.LBB313_216:
	s_mov_b32 s2, -1
                                        ; implicit-def: $vgpr3
	s_branch .LBB313_221
.LBB313_217:
	s_mov_b32 s2, -1
                                        ; implicit-def: $vgpr3
.LBB313_218:
	s_delay_alu instid0(SALU_CYCLE_1)
	s_and_not1_b32 vcc_lo, exec_lo, s2
	s_cbranch_vccnz .LBB313_220
; %bb.219:
	global_load_b32 v3, v[1:2], off
	s_waitcnt vmcnt(0)
	v_cvt_i32_f32_e32 v3, v3
.LBB313_220:
	s_mov_b32 s2, 0
.LBB313_221:
	s_delay_alu instid0(SALU_CYCLE_1)
	s_and_not1_b32 vcc_lo, exec_lo, s2
	s_cbranch_vccnz .LBB313_223
; %bb.222:
	global_load_b32 v3, v[1:2], off
	s_waitcnt vmcnt(0)
	v_cvt_i16_f16_e32 v3, v3
.LBB313_223:
	s_mov_b32 s2, 0
.LBB313_224:
	s_delay_alu instid0(SALU_CYCLE_1)
	s_and_not1_b32 vcc_lo, exec_lo, s2
	s_cbranch_vccnz .LBB313_235
; %bb.225:
	v_cmp_gt_i16_e32 vcc_lo, 6, v5
	s_cbranch_vccnz .LBB313_228
; %bb.226:
	v_cmp_lt_i16_e32 vcc_lo, 6, v5
	s_cbranch_vccz .LBB313_229
; %bb.227:
	global_load_b64 v[3:4], v[1:2], off
	s_mov_b32 s2, 0
	s_waitcnt vmcnt(0)
	v_cvt_i32_f64_e32 v3, v[3:4]
	s_branch .LBB313_230
.LBB313_228:
	s_mov_b32 s2, -1
                                        ; implicit-def: $vgpr3
	s_branch .LBB313_233
.LBB313_229:
	s_mov_b32 s2, -1
                                        ; implicit-def: $vgpr3
.LBB313_230:
	s_delay_alu instid0(SALU_CYCLE_1)
	s_and_not1_b32 vcc_lo, exec_lo, s2
	s_cbranch_vccnz .LBB313_232
; %bb.231:
	global_load_b32 v3, v[1:2], off
	s_waitcnt vmcnt(0)
	v_cvt_i32_f32_e32 v3, v3
.LBB313_232:
	s_mov_b32 s2, 0
.LBB313_233:
	s_delay_alu instid0(SALU_CYCLE_1)
	s_and_not1_b32 vcc_lo, exec_lo, s2
	s_cbranch_vccnz .LBB313_235
; %bb.234:
	global_load_u16 v3, v[1:2], off
	s_waitcnt vmcnt(0)
	v_cvt_i16_f16_e32 v3, v3
.LBB313_235:
	s_cbranch_execnz .LBB313_255
.LBB313_236:
	v_cmp_gt_i16_e32 vcc_lo, 2, v5
	s_cbranch_vccnz .LBB313_240
; %bb.237:
	v_cmp_gt_i16_e32 vcc_lo, 3, v5
	s_cbranch_vccnz .LBB313_241
; %bb.238:
	v_cmp_lt_i16_e32 vcc_lo, 3, v5
	s_cbranch_vccz .LBB313_242
; %bb.239:
	global_load_b64 v[3:4], v[1:2], off
	s_mov_b32 s2, 0
	s_branch .LBB313_243
.LBB313_240:
	s_mov_b32 s2, -1
                                        ; implicit-def: $vgpr3
	s_branch .LBB313_249
.LBB313_241:
	s_mov_b32 s2, -1
                                        ; implicit-def: $vgpr3
	s_branch .LBB313_246
.LBB313_242:
	s_mov_b32 s2, -1
                                        ; implicit-def: $vgpr3
.LBB313_243:
	s_delay_alu instid0(SALU_CYCLE_1)
	s_and_not1_b32 vcc_lo, exec_lo, s2
	s_cbranch_vccnz .LBB313_245
; %bb.244:
	global_load_b32 v3, v[1:2], off
.LBB313_245:
	s_mov_b32 s2, 0
.LBB313_246:
	s_delay_alu instid0(SALU_CYCLE_1)
	s_and_not1_b32 vcc_lo, exec_lo, s2
	s_cbranch_vccnz .LBB313_248
; %bb.247:
	global_load_u16 v3, v[1:2], off
.LBB313_248:
	s_mov_b32 s2, 0
.LBB313_249:
	s_delay_alu instid0(SALU_CYCLE_1)
	s_and_not1_b32 vcc_lo, exec_lo, s2
	s_cbranch_vccnz .LBB313_255
; %bb.250:
	v_cmp_lt_i16_e32 vcc_lo, 0, v5
	s_mov_b32 s2, 0
	s_cbranch_vccz .LBB313_252
; %bb.251:
	global_load_i8 v3, v[1:2], off
	s_branch .LBB313_253
.LBB313_252:
	s_mov_b32 s2, -1
                                        ; implicit-def: $vgpr3
.LBB313_253:
	s_delay_alu instid0(SALU_CYCLE_1)
	s_and_not1_b32 vcc_lo, exec_lo, s2
	s_cbranch_vccnz .LBB313_255
; %bb.254:
	global_load_u8 v3, v[1:2], off
.LBB313_255:
	s_branch .LBB313_24
.LBB313_256:
	s_mov_b32 s2, 0
.LBB313_257:
	s_mov_b32 s24, 0
                                        ; implicit-def: $vgpr8
.LBB313_258:
	s_and_b32 s37, s2, exec_lo
	s_and_b32 s38, s3, exec_lo
	s_or_not1_b32 s3, s24, exec_lo
.LBB313_259:
	s_or_b32 exec_lo, exec_lo, s39
	s_mov_b32 s24, 0
	s_mov_b32 s2, 0
                                        ; implicit-def: $vgpr1_vgpr2
                                        ; implicit-def: $vgpr0
                                        ; implicit-def: $vgpr3
	s_and_saveexec_b32 s39, s3
	s_cbranch_execz .LBB313_890
; %bb.260:
	s_mov_b32 s2, -1
	s_mov_b32 s40, s38
	s_mov_b32 s41, s37
	s_mov_b32 s42, exec_lo
	v_cmpx_gt_i32_e64 s34, v8
	s_cbranch_execz .LBB313_525
; %bb.261:
	s_and_not1_b32 vcc_lo, exec_lo, s29
	s_cbranch_vccnz .LBB313_266
; %bb.262:
	v_dual_mov_b32 v0, 0 :: v_dual_mov_b32 v1, 0
	s_and_not1_b32 vcc_lo, exec_lo, s36
	s_mov_b32 s40, 0
	s_cbranch_vccnz .LBB313_271
; %bb.263:
	v_mov_b32_e32 v0, 0
	s_add_i32 s43, s35, 1
	s_cmp_eq_u32 s27, 2
	s_mov_b32 s41, 0
	s_cbranch_scc1 .LBB313_267
; %bb.264:
	v_dual_mov_b32 v1, 0 :: v_dual_mov_b32 v0, 0
	v_mov_b32_e32 v2, v8
	s_and_b32 s41, s43, 28
	s_mov_b32 s44, 0
	s_mov_b64 s[2:3], s[22:23]
	s_mov_b64 s[24:25], s[16:17]
.LBB313_265:                            ; =>This Inner Loop Header: Depth=1
	s_clause 0x1
	s_load_b256 s[48:55], s[24:25], 0x4
	s_load_b128 s[64:67], s[24:25], 0x24
	s_load_b256 s[56:63], s[2:3], 0x0
	s_add_u32 s24, s24, 48
	s_addc_u32 s25, s25, 0
	s_add_i32 s44, s44, 4
	s_add_u32 s2, s2, 32
	s_addc_u32 s3, s3, 0
	s_cmp_eq_u32 s41, s44
	s_waitcnt vmcnt(0) lgkmcnt(0)
	v_mul_hi_u32 v3, s49, v2
	s_delay_alu instid0(VALU_DEP_1) | instskip(NEXT) | instid1(VALU_DEP_1)
	v_add_nc_u32_e32 v3, v2, v3
	v_lshrrev_b32_e32 v3, s50, v3
	s_delay_alu instid0(VALU_DEP_1) | instskip(SKIP_1) | instid1(VALU_DEP_2)
	v_mul_hi_u32 v4, s52, v3
	v_mul_lo_u32 v7, v3, s48
	v_add_nc_u32_e32 v4, v3, v4
	s_delay_alu instid0(VALU_DEP_2) | instskip(NEXT) | instid1(VALU_DEP_2)
	v_sub_nc_u32_e32 v2, v2, v7
	v_lshrrev_b32_e32 v4, s53, v4
	s_delay_alu instid0(VALU_DEP_2) | instskip(SKIP_1) | instid1(VALU_DEP_3)
	v_mul_lo_u32 v7, v2, s56
	v_mul_lo_u32 v10, v2, s57
	v_mul_hi_u32 v6, s55, v4
	s_delay_alu instid0(VALU_DEP_1) | instskip(NEXT) | instid1(VALU_DEP_1)
	v_add_nc_u32_e32 v6, v4, v6
	v_lshrrev_b32_e32 v6, s64, v6
	s_delay_alu instid0(VALU_DEP_1) | instskip(SKIP_1) | instid1(VALU_DEP_2)
	v_mul_hi_u32 v9, s66, v6
	v_mul_lo_u32 v11, v6, s54
	v_add_nc_u32_e32 v2, v6, v9
	v_mul_lo_u32 v9, v4, s51
	s_delay_alu instid0(VALU_DEP_3) | instskip(NEXT) | instid1(VALU_DEP_3)
	v_sub_nc_u32_e32 v4, v4, v11
	v_lshrrev_b32_e32 v2, s67, v2
	s_delay_alu instid0(VALU_DEP_2) | instskip(SKIP_2) | instid1(VALU_DEP_4)
	v_mul_lo_u32 v11, v4, s60
	v_mul_lo_u32 v4, v4, s61
	v_sub_nc_u32_e32 v3, v3, v9
	v_mul_lo_u32 v12, v2, s65
	s_delay_alu instid0(VALU_DEP_2) | instskip(SKIP_1) | instid1(VALU_DEP_3)
	v_mul_lo_u32 v9, v3, s58
	v_mul_lo_u32 v3, v3, s59
	v_sub_nc_u32_e32 v6, v6, v12
	s_delay_alu instid0(VALU_DEP_3) | instskip(NEXT) | instid1(VALU_DEP_2)
	v_add3_u32 v0, v7, v0, v9
	v_mul_lo_u32 v12, v6, s62
	v_mul_lo_u32 v6, v6, s63
	v_add3_u32 v1, v10, v1, v3
	s_delay_alu instid0(VALU_DEP_3) | instskip(NEXT) | instid1(VALU_DEP_2)
	v_add3_u32 v0, v11, v0, v12
	v_add3_u32 v1, v4, v1, v6
	s_cbranch_scc0 .LBB313_265
	s_branch .LBB313_268
.LBB313_266:
	s_mov_b32 s40, -1
                                        ; implicit-def: $vgpr0
                                        ; implicit-def: $vgpr1
	s_branch .LBB313_271
.LBB313_267:
	v_dual_mov_b32 v2, v8 :: v_dual_mov_b32 v1, 0
.LBB313_268:
	s_and_b32 s43, s43, 3
	s_delay_alu instid0(SALU_CYCLE_1)
	s_cmp_eq_u32 s43, 0
	s_cbranch_scc1 .LBB313_271
; %bb.269:
	s_lshl_b32 s2, s41, 3
	s_mul_i32 s24, s41, 12
	s_add_u32 s2, s2, s16
	s_addc_u32 s3, s17, 0
	s_add_u32 s2, s2, 0xc4
	s_addc_u32 s3, s3, 0
	;; [unrolled: 2-line block ×3, first 2 shown]
	.p2align	6
.LBB313_270:                            ; =>This Inner Loop Header: Depth=1
	s_clause 0x1
	s_load_b64 s[44:45], s[24:25], 0x4
	s_load_b32 s41, s[24:25], 0xc
	s_load_b64 s[46:47], s[2:3], 0x0
	s_add_u32 s24, s24, 12
	s_addc_u32 s25, s25, 0
	s_add_u32 s2, s2, 8
	s_addc_u32 s3, s3, 0
	s_add_i32 s43, s43, -1
	s_delay_alu instid0(SALU_CYCLE_1) | instskip(SKIP_2) | instid1(VALU_DEP_1)
	s_cmp_lg_u32 s43, 0
	s_waitcnt vmcnt(0) lgkmcnt(0)
	v_mul_hi_u32 v3, s45, v2
	v_add_nc_u32_e32 v3, v2, v3
	s_delay_alu instid0(VALU_DEP_1) | instskip(NEXT) | instid1(VALU_DEP_1)
	v_lshrrev_b32_e32 v9, s41, v3
	v_mul_lo_u32 v3, v9, s44
	s_delay_alu instid0(VALU_DEP_1) | instskip(NEXT) | instid1(VALU_DEP_1)
	v_sub_nc_u32_e32 v2, v2, v3
	v_mad_u64_u32 v[3:4], null, v2, s46, v[0:1]
	v_mad_u64_u32 v[6:7], null, v2, s47, v[1:2]
	v_mov_b32_e32 v2, v9
	s_delay_alu instid0(VALU_DEP_2)
	v_dual_mov_b32 v0, v3 :: v_dual_mov_b32 v1, v6
	s_cbranch_scc1 .LBB313_270
.LBB313_271:
	s_and_not1_b32 vcc_lo, exec_lo, s40
	s_cbranch_vccnz .LBB313_274
; %bb.272:
	v_mul_hi_u32 v0, s13, v8
	s_and_not1_b32 vcc_lo, exec_lo, s33
	s_delay_alu instid0(VALU_DEP_1) | instskip(NEXT) | instid1(VALU_DEP_1)
	v_add_nc_u32_e32 v0, v8, v0
	v_lshrrev_b32_e32 v2, s14, v0
	s_delay_alu instid0(VALU_DEP_1) | instskip(NEXT) | instid1(VALU_DEP_1)
	v_mul_lo_u32 v0, v2, s12
	v_sub_nc_u32_e32 v1, v8, v0
	s_delay_alu instid0(VALU_DEP_1)
	v_mul_lo_u32 v0, v1, s8
	v_mul_lo_u32 v1, v1, s9
	s_cbranch_vccnz .LBB313_274
; %bb.273:
	s_waitcnt vmcnt(0)
	v_mul_hi_u32 v3, s20, v2
	s_delay_alu instid0(VALU_DEP_1) | instskip(NEXT) | instid1(VALU_DEP_1)
	v_add_nc_u32_e32 v3, v2, v3
	v_lshrrev_b32_e32 v3, s21, v3
	s_delay_alu instid0(VALU_DEP_1) | instskip(NEXT) | instid1(VALU_DEP_1)
	v_mul_lo_u32 v3, v3, s15
	v_sub_nc_u32_e32 v6, v2, v3
	s_delay_alu instid0(VALU_DEP_1) | instskip(NEXT) | instid1(VALU_DEP_1)
	v_mad_u64_u32 v[2:3], null, v6, s10, v[0:1]
	v_mad_u64_u32 v[3:4], null, v6, s11, v[1:2]
	s_delay_alu instid0(VALU_DEP_1)
	v_dual_mov_b32 v0, v2 :: v_dual_mov_b32 v1, v3
.LBB313_274:
	v_cmp_gt_i16_e32 vcc_lo, 11, v5
	s_delay_alu instid0(VALU_DEP_2) | instskip(NEXT) | instid1(VALU_DEP_1)
	v_add_co_u32 v1, s2, s6, v1
	v_add_co_ci_u32_e64 v2, null, s7, 0, s2
	s_mov_b32 s2, 0
	s_cbranch_vccnz .LBB313_281
; %bb.275:
	v_cmp_lt_i16_e32 vcc_lo, 25, v5
	s_cbranch_vccz .LBB313_330
; %bb.276:
	v_cmp_lt_i16_e32 vcc_lo, 28, v5
	s_cbranch_vccz .LBB313_331
; %bb.277:
	v_cmp_lt_i16_e32 vcc_lo, 43, v5
	s_cbranch_vccz .LBB313_333
; %bb.278:
	v_cmp_lt_i16_e32 vcc_lo, 45, v5
	s_cbranch_vccz .LBB313_335
; %bb.279:
	v_cmp_eq_u16_e32 vcc_lo, 46, v5
	s_mov_b32 s24, 0
	s_cbranch_vccz .LBB313_339
; %bb.280:
	global_load_b32 v3, v[1:2], off
	s_mov_b32 s2, -1
	s_mov_b32 s3, 0
	s_waitcnt vmcnt(0)
	v_lshlrev_b32_e32 v3, 16, v3
	s_delay_alu instid0(VALU_DEP_1)
	v_cvt_i32_f32_e32 v3, v3
	s_branch .LBB313_341
.LBB313_281:
	s_mov_b32 s3, s38
                                        ; implicit-def: $vgpr3
	s_cbranch_execnz .LBB313_474
.LBB313_282:
	s_and_not1_b32 vcc_lo, exec_lo, s2
	s_cbranch_vccnz .LBB313_522
.LBB313_283:
	s_waitcnt vmcnt(0)
	s_delay_alu instid0(VALU_DEP_1) | instskip(SKIP_3) | instid1(VALU_DEP_3)
	v_max_i16 v1, v3, s18
	v_and_b32_e64 v3, 0xff, s19
	v_add_co_u32 v0, s2, s4, v0
	s_mov_b32 s24, 0
	v_min_i16 v2, v1, s31
	s_delay_alu instid0(VALU_DEP_3)
	v_cmp_gt_i16_e32 vcc_lo, 11, v3
	v_add_co_ci_u32_e64 v1, null, s5, 0, s2
	s_mov_b32 s25, -1
	s_mov_b32 s2, s37
	s_cbranch_vccnz .LBB313_290
; %bb.284:
	v_cmp_lt_i16_e32 vcc_lo, 25, v3
	s_cbranch_vccz .LBB313_332
; %bb.285:
	v_cmp_lt_i16_e32 vcc_lo, 28, v3
	s_cbranch_vccz .LBB313_334
	;; [unrolled: 3-line block ×4, first 2 shown]
; %bb.288:
	v_cmp_eq_u16_e32 vcc_lo, 46, v3
	s_mov_b32 s25, 0
	s_mov_b32 s2, -1
	s_cbranch_vccz .LBB313_345
; %bb.289:
	v_bfe_i32 v4, v2, 0, 16
	s_mov_b32 s24, -1
	s_mov_b32 s2, 0
	s_delay_alu instid0(VALU_DEP_1) | instskip(NEXT) | instid1(VALU_DEP_1)
	v_cvt_f32_i32_e32 v4, v4
	v_bfe_u32 v6, v4, 16, 1
	s_delay_alu instid0(VALU_DEP_1) | instskip(NEXT) | instid1(VALU_DEP_1)
	v_add3_u32 v4, v4, v6, 0x7fff
	v_lshrrev_b32_e32 v4, 16, v4
	global_store_b32 v[0:1], v4, off
	s_branch .LBB313_345
.LBB313_290:
	s_and_b32 vcc_lo, exec_lo, s25
	s_cbranch_vccz .LBB313_414
; %bb.291:
	v_cmp_gt_i16_e32 vcc_lo, 5, v3
	s_mov_b32 s24, -1
	s_cbranch_vccnz .LBB313_312
; %bb.292:
	v_cmp_gt_i16_e32 vcc_lo, 8, v3
	s_cbranch_vccnz .LBB313_302
; %bb.293:
	v_cmp_gt_i16_e32 vcc_lo, 9, v3
	s_cbranch_vccnz .LBB313_299
; %bb.294:
	v_cmp_lt_i16_e32 vcc_lo, 9, v3
	s_cbranch_vccz .LBB313_296
; %bb.295:
	v_bfe_i32 v4, v2, 0, 16
	v_mov_b32_e32 v11, 0
	s_mov_b32 s24, 0
	s_delay_alu instid0(VALU_DEP_2) | instskip(NEXT) | instid1(VALU_DEP_2)
	v_cvt_f64_i32_e32 v[9:10], v4
	v_mov_b32_e32 v12, v11
	global_store_b128 v[0:1], v[9:12], off
.LBB313_296:
	s_and_not1_b32 vcc_lo, exec_lo, s24
	s_cbranch_vccnz .LBB313_298
; %bb.297:
	v_bfe_i32 v4, v2, 0, 16
	v_mov_b32_e32 v7, 0
	s_delay_alu instid0(VALU_DEP_2)
	v_cvt_f32_i32_e32 v6, v4
	global_store_b64 v[0:1], v[6:7], off
.LBB313_298:
	s_mov_b32 s24, 0
.LBB313_299:
	s_delay_alu instid0(SALU_CYCLE_1)
	s_and_not1_b32 vcc_lo, exec_lo, s24
	s_cbranch_vccnz .LBB313_301
; %bb.300:
	v_cvt_f16_i16_e32 v4, v2
	s_delay_alu instid0(VALU_DEP_1)
	v_and_b32_e32 v4, 0xffff, v4
	global_store_b32 v[0:1], v4, off
.LBB313_301:
	s_mov_b32 s24, 0
.LBB313_302:
	s_delay_alu instid0(SALU_CYCLE_1)
	s_and_not1_b32 vcc_lo, exec_lo, s24
	s_cbranch_vccnz .LBB313_311
; %bb.303:
	v_cmp_gt_i16_e32 vcc_lo, 6, v3
	s_mov_b32 s24, -1
	s_cbranch_vccnz .LBB313_309
; %bb.304:
	v_cmp_lt_i16_e32 vcc_lo, 6, v3
	s_cbranch_vccz .LBB313_306
; %bb.305:
	v_bfe_i32 v4, v2, 0, 16
	s_mov_b32 s24, 0
	s_delay_alu instid0(VALU_DEP_1)
	v_cvt_f64_i32_e32 v[6:7], v4
	global_store_b64 v[0:1], v[6:7], off
.LBB313_306:
	s_and_not1_b32 vcc_lo, exec_lo, s24
	s_cbranch_vccnz .LBB313_308
; %bb.307:
	v_bfe_i32 v4, v2, 0, 16
	s_delay_alu instid0(VALU_DEP_1)
	v_cvt_f32_i32_e32 v4, v4
	global_store_b32 v[0:1], v4, off
.LBB313_308:
	s_mov_b32 s24, 0
.LBB313_309:
	s_delay_alu instid0(SALU_CYCLE_1)
	s_and_not1_b32 vcc_lo, exec_lo, s24
	s_cbranch_vccnz .LBB313_311
; %bb.310:
	v_cvt_f16_i16_e32 v4, v2
	global_store_b16 v[0:1], v4, off
.LBB313_311:
	s_mov_b32 s24, 0
.LBB313_312:
	s_delay_alu instid0(SALU_CYCLE_1)
	s_and_not1_b32 vcc_lo, exec_lo, s24
	s_cbranch_vccnz .LBB313_328
; %bb.313:
	v_cmp_gt_i16_e32 vcc_lo, 2, v3
	s_mov_b32 s24, -1
	s_cbranch_vccnz .LBB313_323
; %bb.314:
	v_cmp_gt_i16_e32 vcc_lo, 3, v3
	s_cbranch_vccnz .LBB313_320
; %bb.315:
	v_cmp_lt_i16_e32 vcc_lo, 3, v3
	s_cbranch_vccz .LBB313_317
; %bb.316:
	v_bfe_i32 v6, v2, 0, 16
	s_mov_b32 s24, 0
	s_delay_alu instid0(VALU_DEP_1)
	v_ashrrev_i32_e32 v7, 31, v6
	global_store_b64 v[0:1], v[6:7], off
.LBB313_317:
	s_and_not1_b32 vcc_lo, exec_lo, s24
	s_cbranch_vccnz .LBB313_319
; %bb.318:
	v_bfe_i32 v4, v2, 0, 16
	global_store_b32 v[0:1], v4, off
.LBB313_319:
	s_mov_b32 s24, 0
.LBB313_320:
	s_delay_alu instid0(SALU_CYCLE_1)
	s_and_not1_b32 vcc_lo, exec_lo, s24
	s_cbranch_vccnz .LBB313_322
; %bb.321:
	global_store_b16 v[0:1], v2, off
.LBB313_322:
	s_mov_b32 s24, 0
.LBB313_323:
	s_delay_alu instid0(SALU_CYCLE_1)
	s_and_not1_b32 vcc_lo, exec_lo, s24
	s_cbranch_vccnz .LBB313_328
; %bb.324:
	v_cmp_lt_i16_e32 vcc_lo, 0, v3
	s_mov_b32 s24, -1
	s_cbranch_vccz .LBB313_326
; %bb.325:
	s_mov_b32 s24, 0
	global_store_b8 v[0:1], v2, off
.LBB313_326:
	s_and_not1_b32 vcc_lo, exec_lo, s24
	s_cbranch_vccnz .LBB313_328
; %bb.327:
	global_store_b8 v[0:1], v2, off
.LBB313_328:
	s_branch .LBB313_415
.LBB313_329:
	s_mov_b32 s24, 0
	s_branch .LBB313_523
.LBB313_330:
	s_mov_b32 s24, -1
	s_mov_b32 s3, s38
                                        ; implicit-def: $vgpr3
	s_branch .LBB313_440
.LBB313_331:
	s_mov_b32 s24, -1
	s_mov_b32 s3, s38
                                        ; implicit-def: $vgpr3
	s_branch .LBB313_423
.LBB313_332:
	s_mov_b32 s2, s37
	s_branch .LBB313_372
.LBB313_333:
	s_mov_b32 s24, -1
	s_mov_b32 s3, s38
                                        ; implicit-def: $vgpr3
	s_branch .LBB313_418
.LBB313_334:
	s_mov_b32 s2, s37
	s_branch .LBB313_355
.LBB313_335:
	s_mov_b32 s24, -1
	s_mov_b32 s3, s38
	s_branch .LBB313_340
.LBB313_336:
	s_mov_b32 s2, s37
	s_branch .LBB313_351
.LBB313_337:
	s_or_saveexec_b32 s37, s37
                                        ; implicit-def: $sgpr38
	s_delay_alu instid0(SALU_CYCLE_1)
	s_xor_b32 exec_lo, exec_lo, s37
	s_cbranch_execz .LBB313_65
.LBB313_338:
	v_add_f32_e64 v6, 0x42800000, |v4|
	s_and_not1_b32 s25, s25, exec_lo
	s_mov_b32 s38, 0
	s_delay_alu instid0(VALU_DEP_1) | instskip(NEXT) | instid1(VALU_DEP_1)
	v_and_b32_e32 v6, 0xff, v6
	v_cmp_ne_u32_e32 vcc_lo, 0, v6
	s_and_b32 s41, vcc_lo, exec_lo
	s_delay_alu instid0(SALU_CYCLE_1)
	s_or_b32 s25, s25, s41
	s_or_b32 exec_lo, exec_lo, s37
	v_mov_b32_e32 v7, s38
	s_and_saveexec_b32 s37, s25
	s_cbranch_execnz .LBB313_66
	s_branch .LBB313_67
.LBB313_339:
	s_mov_b32 s3, -1
.LBB313_340:
                                        ; implicit-def: $vgpr3
.LBB313_341:
	s_and_b32 vcc_lo, exec_lo, s24
	s_cbranch_vccz .LBB313_417
; %bb.342:
	v_cmp_eq_u16_e32 vcc_lo, 44, v5
	s_cbranch_vccz .LBB313_416
; %bb.343:
	global_load_u8 v3, v[1:2], off
	s_mov_b32 s3, 0
	s_mov_b32 s2, -1
	s_waitcnt vmcnt(0)
	v_lshlrev_b32_e32 v4, 23, v3
	v_cmp_ne_u32_e32 vcc_lo, 0, v3
	s_delay_alu instid0(VALU_DEP_2) | instskip(NEXT) | instid1(VALU_DEP_1)
	v_cvt_i32_f32_e32 v4, v4
	v_cndmask_b32_e32 v3, 0, v4, vcc_lo
	s_branch .LBB313_417
.LBB313_344:
	s_mov_b32 s2, s37
.LBB313_345:
	s_and_b32 vcc_lo, exec_lo, s25
	s_cbranch_vccz .LBB313_350
; %bb.346:
	v_cmp_eq_u16_e32 vcc_lo, 44, v3
	s_mov_b32 s2, -1
	s_cbranch_vccz .LBB313_350
; %bb.347:
	v_bfe_i32 v4, v2, 0, 16
	v_mov_b32_e32 v6, 0xff
	s_mov_b32 s24, exec_lo
	s_delay_alu instid0(VALU_DEP_2) | instskip(NEXT) | instid1(VALU_DEP_1)
	v_cvt_f32_i32_e32 v4, v4
	v_bfe_u32 v7, v4, 23, 8
	s_delay_alu instid0(VALU_DEP_1)
	v_cmpx_ne_u32_e32 0xff, v7
; %bb.348:
	v_and_b32_e32 v6, 0x400000, v4
	v_and_or_b32 v7, 0x3fffff, v4, v7
	v_lshrrev_b32_e32 v4, 23, v4
	s_delay_alu instid0(VALU_DEP_3) | instskip(NEXT) | instid1(VALU_DEP_3)
	v_cmp_ne_u32_e32 vcc_lo, 0, v6
	v_cmp_ne_u32_e64 s2, 0, v7
	s_delay_alu instid0(VALU_DEP_1) | instskip(NEXT) | instid1(SALU_CYCLE_1)
	s_and_b32 s2, vcc_lo, s2
	v_cndmask_b32_e64 v6, 0, 1, s2
	s_delay_alu instid0(VALU_DEP_1)
	v_add_nc_u32_e32 v6, v4, v6
; %bb.349:
	s_or_b32 exec_lo, exec_lo, s24
	s_mov_b32 s24, -1
	s_mov_b32 s2, 0
	global_store_b8 v[0:1], v6, off
.LBB313_350:
	s_mov_b32 s25, 0
.LBB313_351:
	s_delay_alu instid0(SALU_CYCLE_1)
	s_and_b32 vcc_lo, exec_lo, s25
	s_cbranch_vccz .LBB313_354
; %bb.352:
	v_cmp_eq_u16_e32 vcc_lo, 29, v3
	s_mov_b32 s2, -1
	s_cbranch_vccz .LBB313_354
; %bb.353:
	v_bfe_i32 v6, v2, 0, 16
	s_mov_b32 s2, 0
	s_mov_b32 s24, -1
	s_mov_b32 s25, 0
	s_delay_alu instid0(VALU_DEP_1)
	v_ashrrev_i32_e32 v7, 31, v6
	global_store_b64 v[0:1], v[6:7], off
	s_branch .LBB313_355
.LBB313_354:
	s_mov_b32 s25, 0
.LBB313_355:
	s_delay_alu instid0(SALU_CYCLE_1)
	s_and_b32 vcc_lo, exec_lo, s25
	s_cbranch_vccz .LBB313_371
; %bb.356:
	v_cmp_gt_i16_e32 vcc_lo, 27, v3
	s_mov_b32 s24, -1
	s_cbranch_vccnz .LBB313_362
; %bb.357:
	v_cmp_lt_i16_e32 vcc_lo, 27, v3
	s_cbranch_vccz .LBB313_359
; %bb.358:
	v_bfe_i32 v4, v2, 0, 16
	s_mov_b32 s24, 0
	global_store_b32 v[0:1], v4, off
.LBB313_359:
	s_and_not1_b32 vcc_lo, exec_lo, s24
	s_cbranch_vccnz .LBB313_361
; %bb.360:
	global_store_b16 v[0:1], v2, off
.LBB313_361:
	s_mov_b32 s24, 0
.LBB313_362:
	s_delay_alu instid0(SALU_CYCLE_1)
	s_and_not1_b32 vcc_lo, exec_lo, s24
	s_cbranch_vccnz .LBB313_370
; %bb.363:
	v_bfe_i32 v4, v2, 0, 16
	v_mov_b32_e32 v7, 0x80
	s_mov_b32 s24, exec_lo
	s_delay_alu instid0(VALU_DEP_2) | instskip(NEXT) | instid1(VALU_DEP_1)
	v_cvt_f32_i32_e32 v4, v4
	v_and_b32_e32 v6, 0x7fffffff, v4
	s_delay_alu instid0(VALU_DEP_1)
	v_cmpx_gt_u32_e32 0x43800000, v6
	s_cbranch_execz .LBB313_369
; %bb.364:
	v_cmp_lt_u32_e32 vcc_lo, 0x3bffffff, v6
	s_mov_b32 s25, 0
                                        ; implicit-def: $vgpr6
	s_and_saveexec_b32 s40, vcc_lo
	s_delay_alu instid0(SALU_CYCLE_1)
	s_xor_b32 s40, exec_lo, s40
	s_cbranch_execz .LBB313_551
; %bb.365:
	v_bfe_u32 v6, v4, 20, 1
	s_mov_b32 s25, exec_lo
	s_delay_alu instid0(VALU_DEP_1) | instskip(NEXT) | instid1(VALU_DEP_1)
	v_add3_u32 v6, v4, v6, 0x487ffff
	v_lshrrev_b32_e32 v6, 20, v6
	s_or_saveexec_b32 s40, s40
                                        ; implicit-def: $sgpr41
	s_delay_alu instid0(SALU_CYCLE_1)
	s_xor_b32 exec_lo, exec_lo, s40
	s_cbranch_execnz .LBB313_552
.LBB313_366:
	s_or_b32 exec_lo, exec_lo, s40
	v_mov_b32_e32 v7, s41
	s_and_saveexec_b32 s40, s25
.LBB313_367:
	v_lshrrev_b32_e32 v4, 24, v4
	s_delay_alu instid0(VALU_DEP_1)
	v_and_or_b32 v7, 0x80, v4, v6
.LBB313_368:
	s_or_b32 exec_lo, exec_lo, s40
.LBB313_369:
	s_delay_alu instid0(SALU_CYCLE_1)
	s_or_b32 exec_lo, exec_lo, s24
	global_store_b8 v[0:1], v7, off
.LBB313_370:
	s_mov_b32 s24, -1
.LBB313_371:
	s_mov_b32 s25, 0
.LBB313_372:
	s_delay_alu instid0(SALU_CYCLE_1)
	s_and_b32 vcc_lo, exec_lo, s25
	s_cbranch_vccz .LBB313_413
; %bb.373:
	v_cmp_lt_i16_e32 vcc_lo, 22, v3
	s_mov_b32 s25, -1
	s_cbranch_vccz .LBB313_405
; %bb.374:
	v_cmp_gt_i16_e32 vcc_lo, 24, v3
	s_mov_b32 s24, -1
	s_cbranch_vccnz .LBB313_394
; %bb.375:
	v_cmp_lt_i16_e32 vcc_lo, 24, v3
	s_cbranch_vccz .LBB313_383
; %bb.376:
	v_bfe_i32 v4, v2, 0, 16
	v_mov_b32_e32 v7, 0x80
	s_mov_b32 s24, exec_lo
	s_delay_alu instid0(VALU_DEP_2) | instskip(NEXT) | instid1(VALU_DEP_1)
	v_cvt_f32_i32_e32 v4, v4
	v_and_b32_e32 v6, 0x7fffffff, v4
	s_delay_alu instid0(VALU_DEP_1)
	v_cmpx_gt_u32_e32 0x47800000, v6
	s_cbranch_execz .LBB313_382
; %bb.377:
	v_cmp_lt_u32_e32 vcc_lo, 0x37ffffff, v6
	s_mov_b32 s25, 0
                                        ; implicit-def: $vgpr6
	s_and_saveexec_b32 s40, vcc_lo
	s_delay_alu instid0(SALU_CYCLE_1)
	s_xor_b32 s40, exec_lo, s40
	s_cbranch_execz .LBB313_554
; %bb.378:
	v_bfe_u32 v6, v4, 21, 1
	s_mov_b32 s25, exec_lo
	s_delay_alu instid0(VALU_DEP_1) | instskip(NEXT) | instid1(VALU_DEP_1)
	v_add3_u32 v6, v4, v6, 0x88fffff
	v_lshrrev_b32_e32 v6, 21, v6
	s_or_saveexec_b32 s40, s40
                                        ; implicit-def: $sgpr41
	s_delay_alu instid0(SALU_CYCLE_1)
	s_xor_b32 exec_lo, exec_lo, s40
	s_cbranch_execnz .LBB313_555
.LBB313_379:
	s_or_b32 exec_lo, exec_lo, s40
	v_mov_b32_e32 v7, s41
	s_and_saveexec_b32 s40, s25
.LBB313_380:
	v_lshrrev_b32_e32 v4, 24, v4
	s_delay_alu instid0(VALU_DEP_1)
	v_and_or_b32 v7, 0x80, v4, v6
.LBB313_381:
	s_or_b32 exec_lo, exec_lo, s40
.LBB313_382:
	s_delay_alu instid0(SALU_CYCLE_1)
	s_or_b32 exec_lo, exec_lo, s24
	s_mov_b32 s24, 0
	global_store_b8 v[0:1], v7, off
.LBB313_383:
	s_and_b32 vcc_lo, exec_lo, s24
	s_cbranch_vccz .LBB313_393
; %bb.384:
	v_bfe_i32 v4, v2, 0, 16
	s_mov_b32 s24, exec_lo
                                        ; implicit-def: $vgpr6
	s_delay_alu instid0(VALU_DEP_1) | instskip(NEXT) | instid1(VALU_DEP_1)
	v_cvt_f32_i32_e32 v4, v4
	v_and_b32_e32 v7, 0x7fffffff, v4
	s_delay_alu instid0(VALU_DEP_1)
	v_cmpx_gt_u32_e32 0x43f00000, v7
	s_xor_b32 s24, exec_lo, s24
	s_cbranch_execz .LBB313_390
; %bb.385:
	s_mov_b32 s25, exec_lo
                                        ; implicit-def: $vgpr6
	v_cmpx_lt_u32_e32 0x3c7fffff, v7
	s_xor_b32 s25, exec_lo, s25
; %bb.386:
	v_bfe_u32 v6, v4, 20, 1
	s_delay_alu instid0(VALU_DEP_1) | instskip(NEXT) | instid1(VALU_DEP_1)
	v_add3_u32 v6, v4, v6, 0x407ffff
	v_and_b32_e32 v7, 0xff00000, v6
	v_lshrrev_b32_e32 v6, 20, v6
	s_delay_alu instid0(VALU_DEP_2) | instskip(NEXT) | instid1(VALU_DEP_2)
	v_cmp_ne_u32_e32 vcc_lo, 0x7f00000, v7
	v_cndmask_b32_e32 v6, 0x7e, v6, vcc_lo
; %bb.387:
	s_and_not1_saveexec_b32 s25, s25
; %bb.388:
	v_add_f32_e64 v6, 0x46800000, |v4|
; %bb.389:
	s_or_b32 exec_lo, exec_lo, s25
                                        ; implicit-def: $vgpr7
.LBB313_390:
	s_and_not1_saveexec_b32 s24, s24
; %bb.391:
	v_mov_b32_e32 v6, 0x7f
	v_cmp_lt_u32_e32 vcc_lo, 0x7f800000, v7
	s_delay_alu instid0(VALU_DEP_2)
	v_cndmask_b32_e32 v6, 0x7e, v6, vcc_lo
; %bb.392:
	s_or_b32 exec_lo, exec_lo, s24
	v_lshrrev_b32_e32 v4, 24, v4
	s_delay_alu instid0(VALU_DEP_1)
	v_and_or_b32 v4, 0x80, v4, v6
	global_store_b8 v[0:1], v4, off
.LBB313_393:
	s_mov_b32 s24, 0
.LBB313_394:
	s_delay_alu instid0(SALU_CYCLE_1)
	s_and_not1_b32 vcc_lo, exec_lo, s24
	s_cbranch_vccnz .LBB313_404
; %bb.395:
	v_bfe_i32 v4, v2, 0, 16
	s_mov_b32 s24, exec_lo
                                        ; implicit-def: $vgpr6
	s_delay_alu instid0(VALU_DEP_1) | instskip(NEXT) | instid1(VALU_DEP_1)
	v_cvt_f32_i32_e32 v4, v4
	v_and_b32_e32 v7, 0x7fffffff, v4
	s_delay_alu instid0(VALU_DEP_1)
	v_cmpx_gt_u32_e32 0x47800000, v7
	s_xor_b32 s24, exec_lo, s24
	s_cbranch_execz .LBB313_401
; %bb.396:
	s_mov_b32 s25, exec_lo
                                        ; implicit-def: $vgpr6
	v_cmpx_lt_u32_e32 0x387fffff, v7
	s_xor_b32 s25, exec_lo, s25
; %bb.397:
	v_bfe_u32 v6, v4, 21, 1
	s_delay_alu instid0(VALU_DEP_1) | instskip(NEXT) | instid1(VALU_DEP_1)
	v_add3_u32 v6, v4, v6, 0x80fffff
	v_lshrrev_b32_e32 v6, 21, v6
; %bb.398:
	s_and_not1_saveexec_b32 s25, s25
; %bb.399:
	v_add_f32_e64 v6, 0x43000000, |v4|
; %bb.400:
	s_or_b32 exec_lo, exec_lo, s25
                                        ; implicit-def: $vgpr7
.LBB313_401:
	s_and_not1_saveexec_b32 s24, s24
; %bb.402:
	v_mov_b32_e32 v6, 0x7f
	v_cmp_lt_u32_e32 vcc_lo, 0x7f800000, v7
	s_delay_alu instid0(VALU_DEP_2)
	v_cndmask_b32_e32 v6, 0x7c, v6, vcc_lo
; %bb.403:
	s_or_b32 exec_lo, exec_lo, s24
	v_lshrrev_b32_e32 v4, 24, v4
	s_delay_alu instid0(VALU_DEP_1)
	v_and_or_b32 v4, 0x80, v4, v6
	global_store_b8 v[0:1], v4, off
.LBB313_404:
	s_mov_b32 s25, 0
	s_mov_b32 s24, -1
.LBB313_405:
	s_and_not1_b32 vcc_lo, exec_lo, s25
	s_cbranch_vccnz .LBB313_413
; %bb.406:
	v_cmp_lt_i16_e32 vcc_lo, 14, v3
	s_mov_b32 s25, -1
	s_cbranch_vccz .LBB313_410
; %bb.407:
	v_cmp_eq_u16_e32 vcc_lo, 15, v3
	s_mov_b32 s2, -1
	s_cbranch_vccz .LBB313_409
; %bb.408:
	v_bfe_i32 v4, v2, 0, 16
	s_mov_b32 s24, -1
	s_mov_b32 s2, 0
	s_delay_alu instid0(VALU_DEP_1) | instskip(NEXT) | instid1(VALU_DEP_1)
	v_cvt_f32_i32_e32 v4, v4
	v_bfe_u32 v6, v4, 16, 1
	s_delay_alu instid0(VALU_DEP_1)
	v_add3_u32 v4, v4, v6, 0x7fff
	global_store_d16_hi_b16 v[0:1], v4, off
.LBB313_409:
	s_mov_b32 s25, 0
.LBB313_410:
	s_delay_alu instid0(SALU_CYCLE_1)
	s_and_b32 vcc_lo, exec_lo, s25
	s_cbranch_vccz .LBB313_413
; %bb.411:
	v_cmp_eq_u16_e32 vcc_lo, 11, v3
	s_mov_b32 s2, -1
	s_cbranch_vccz .LBB313_413
; %bb.412:
	v_cmp_ne_u16_e32 vcc_lo, 0, v2
	s_mov_b32 s2, 0
	s_mov_b32 s24, -1
	v_cndmask_b32_e64 v4, 0, 1, vcc_lo
	global_store_b8 v[0:1], v4, off
.LBB313_413:
.LBB313_414:
	s_and_not1_b32 vcc_lo, exec_lo, s24
	s_cbranch_vccnz .LBB313_329
.LBB313_415:
	v_add_nc_u32_e32 v8, 0x80, v8
	s_mov_b32 s24, -1
	s_branch .LBB313_524
.LBB313_416:
	s_mov_b32 s3, -1
                                        ; implicit-def: $vgpr3
.LBB313_417:
	s_mov_b32 s24, 0
.LBB313_418:
	s_delay_alu instid0(SALU_CYCLE_1)
	s_and_b32 vcc_lo, exec_lo, s24
	s_cbranch_vccz .LBB313_422
; %bb.419:
	v_cmp_eq_u16_e32 vcc_lo, 29, v5
	s_cbranch_vccz .LBB313_421
; %bb.420:
	global_load_b64 v[3:4], v[1:2], off
	s_mov_b32 s2, -1
	s_mov_b32 s3, 0
	s_branch .LBB313_422
.LBB313_421:
	s_mov_b32 s3, -1
                                        ; implicit-def: $vgpr3
.LBB313_422:
	s_mov_b32 s24, 0
.LBB313_423:
	s_delay_alu instid0(SALU_CYCLE_1)
	s_and_b32 vcc_lo, exec_lo, s24
	s_cbranch_vccz .LBB313_439
; %bb.424:
	v_cmp_gt_i16_e32 vcc_lo, 27, v5
	s_cbranch_vccnz .LBB313_427
; %bb.425:
	v_cmp_lt_i16_e32 vcc_lo, 27, v5
	s_cbranch_vccz .LBB313_428
; %bb.426:
	global_load_b32 v3, v[1:2], off
	s_mov_b32 s2, 0
	s_branch .LBB313_429
.LBB313_427:
	s_mov_b32 s2, -1
                                        ; implicit-def: $vgpr3
	s_branch .LBB313_432
.LBB313_428:
	s_mov_b32 s2, -1
                                        ; implicit-def: $vgpr3
.LBB313_429:
	s_delay_alu instid0(SALU_CYCLE_1)
	s_and_not1_b32 vcc_lo, exec_lo, s2
	s_cbranch_vccnz .LBB313_431
; %bb.430:
	global_load_u16 v3, v[1:2], off
.LBB313_431:
	s_mov_b32 s2, 0
.LBB313_432:
	s_delay_alu instid0(SALU_CYCLE_1)
	s_and_not1_b32 vcc_lo, exec_lo, s2
	s_cbranch_vccnz .LBB313_438
; %bb.433:
	global_load_u8 v4, v[1:2], off
	s_mov_b32 s2, 0
	s_mov_b32 s24, exec_lo
                                        ; implicit-def: $sgpr25
	s_waitcnt vmcnt(0)
	v_cmpx_lt_i16_e32 0x7f, v4
	s_xor_b32 s24, exec_lo, s24
	s_cbranch_execz .LBB313_450
; %bb.434:
	v_cmp_ne_u16_e32 vcc_lo, 0x80, v4
	s_mov_b32 s25, 0
	s_and_b32 s2, vcc_lo, exec_lo
	s_or_saveexec_b32 s24, s24
	v_mov_b32_e32 v3, s25
	s_xor_b32 exec_lo, exec_lo, s24
	s_cbranch_execnz .LBB313_451
.LBB313_435:
	s_or_b32 exec_lo, exec_lo, s24
	s_and_saveexec_b32 s24, s2
	s_cbranch_execz .LBB313_437
.LBB313_436:
	v_and_b32_e32 v3, 0xffff, v4
	s_delay_alu instid0(VALU_DEP_1) | instskip(NEXT) | instid1(VALU_DEP_1)
	v_and_b32_e32 v6, 7, v3
	v_clz_i32_u32_e32 v7, v6
	s_delay_alu instid0(VALU_DEP_1) | instskip(NEXT) | instid1(VALU_DEP_1)
	v_min_u32_e32 v7, 32, v7
	v_subrev_nc_u32_e32 v9, 28, v7
	v_sub_nc_u32_e32 v7, 29, v7
	s_delay_alu instid0(VALU_DEP_2) | instskip(SKIP_1) | instid1(VALU_DEP_2)
	v_lshlrev_b32_e32 v9, v9, v3
	v_bfe_u32 v3, v3, 3, 4
	v_and_b32_e32 v9, 7, v9
	s_delay_alu instid0(VALU_DEP_2) | instskip(SKIP_1) | instid1(VALU_DEP_3)
	v_cmp_eq_u32_e32 vcc_lo, 0, v3
	v_dual_cndmask_b32 v3, v3, v7 :: v_dual_lshlrev_b32 v4, 24, v4
	v_cndmask_b32_e32 v6, v6, v9, vcc_lo
	s_delay_alu instid0(VALU_DEP_2) | instskip(NEXT) | instid1(VALU_DEP_3)
	v_and_b32_e32 v4, 0x80000000, v4
	v_lshl_add_u32 v3, v3, 23, 0x3b800000
	s_delay_alu instid0(VALU_DEP_3) | instskip(NEXT) | instid1(VALU_DEP_1)
	v_lshlrev_b32_e32 v6, 20, v6
	v_or3_b32 v3, v4, v3, v6
	s_delay_alu instid0(VALU_DEP_1)
	v_cvt_i32_f32_e32 v3, v3
.LBB313_437:
	s_or_b32 exec_lo, exec_lo, s24
.LBB313_438:
	s_mov_b32 s2, -1
.LBB313_439:
	s_mov_b32 s24, 0
.LBB313_440:
	s_delay_alu instid0(SALU_CYCLE_1)
	s_and_b32 vcc_lo, exec_lo, s24
	s_cbranch_vccz .LBB313_473
; %bb.441:
	v_cmp_lt_i16_e32 vcc_lo, 22, v5
	s_cbranch_vccz .LBB313_449
; %bb.442:
	v_cmp_gt_i16_e32 vcc_lo, 24, v5
	s_cbranch_vccnz .LBB313_452
; %bb.443:
	v_cmp_lt_i16_e32 vcc_lo, 24, v5
	s_cbranch_vccz .LBB313_453
; %bb.444:
	global_load_u8 v4, v[1:2], off
	s_mov_b32 s2, 0
	s_mov_b32 s24, exec_lo
                                        ; implicit-def: $sgpr25
	s_waitcnt vmcnt(0)
	v_cmpx_lt_i16_e32 0x7f, v4
	s_xor_b32 s24, exec_lo, s24
	s_cbranch_execz .LBB313_465
; %bb.445:
	v_cmp_ne_u16_e32 vcc_lo, 0x80, v4
	s_mov_b32 s25, 0
	s_and_b32 s2, vcc_lo, exec_lo
	s_or_saveexec_b32 s24, s24
	v_mov_b32_e32 v3, s25
	s_xor_b32 exec_lo, exec_lo, s24
	s_cbranch_execnz .LBB313_466
.LBB313_446:
	s_or_b32 exec_lo, exec_lo, s24
	s_and_saveexec_b32 s24, s2
	s_cbranch_execz .LBB313_448
.LBB313_447:
	v_and_b32_e32 v3, 0xffff, v4
	s_delay_alu instid0(VALU_DEP_1) | instskip(NEXT) | instid1(VALU_DEP_1)
	v_and_b32_e32 v6, 3, v3
	v_clz_i32_u32_e32 v7, v6
	s_delay_alu instid0(VALU_DEP_1) | instskip(NEXT) | instid1(VALU_DEP_1)
	v_min_u32_e32 v7, 32, v7
	v_subrev_nc_u32_e32 v9, 29, v7
	v_sub_nc_u32_e32 v7, 30, v7
	s_delay_alu instid0(VALU_DEP_2) | instskip(SKIP_1) | instid1(VALU_DEP_2)
	v_lshlrev_b32_e32 v9, v9, v3
	v_bfe_u32 v3, v3, 2, 5
	v_and_b32_e32 v9, 3, v9
	s_delay_alu instid0(VALU_DEP_2) | instskip(SKIP_1) | instid1(VALU_DEP_3)
	v_cmp_eq_u32_e32 vcc_lo, 0, v3
	v_dual_cndmask_b32 v3, v3, v7 :: v_dual_lshlrev_b32 v4, 24, v4
	v_cndmask_b32_e32 v6, v6, v9, vcc_lo
	s_delay_alu instid0(VALU_DEP_2) | instskip(NEXT) | instid1(VALU_DEP_3)
	v_and_b32_e32 v4, 0x80000000, v4
	v_lshl_add_u32 v3, v3, 23, 0x37800000
	s_delay_alu instid0(VALU_DEP_3) | instskip(NEXT) | instid1(VALU_DEP_1)
	v_lshlrev_b32_e32 v6, 21, v6
	v_or3_b32 v3, v4, v3, v6
	s_delay_alu instid0(VALU_DEP_1)
	v_cvt_i32_f32_e32 v3, v3
.LBB313_448:
	s_or_b32 exec_lo, exec_lo, s24
	s_mov_b32 s2, 0
	s_branch .LBB313_454
.LBB313_449:
	s_mov_b32 s24, -1
                                        ; implicit-def: $vgpr3
	s_branch .LBB313_460
.LBB313_450:
	s_or_saveexec_b32 s24, s24
	v_mov_b32_e32 v3, s25
	s_xor_b32 exec_lo, exec_lo, s24
	s_cbranch_execz .LBB313_435
.LBB313_451:
	v_cmp_ne_u16_e32 vcc_lo, 0, v4
	v_mov_b32_e32 v3, 0
	s_and_not1_b32 s2, s2, exec_lo
	s_and_b32 s25, vcc_lo, exec_lo
	s_delay_alu instid0(SALU_CYCLE_1)
	s_or_b32 s2, s2, s25
	s_or_b32 exec_lo, exec_lo, s24
	s_and_saveexec_b32 s24, s2
	s_cbranch_execnz .LBB313_436
	s_branch .LBB313_437
.LBB313_452:
	s_mov_b32 s2, -1
                                        ; implicit-def: $vgpr3
	s_branch .LBB313_457
.LBB313_453:
	s_mov_b32 s2, -1
                                        ; implicit-def: $vgpr3
.LBB313_454:
	s_delay_alu instid0(SALU_CYCLE_1)
	s_and_b32 vcc_lo, exec_lo, s2
	s_cbranch_vccz .LBB313_456
; %bb.455:
	global_load_u8 v3, v[1:2], off
	s_waitcnt vmcnt(0)
	v_lshlrev_b32_e32 v3, 24, v3
	s_delay_alu instid0(VALU_DEP_1) | instskip(NEXT) | instid1(VALU_DEP_1)
	v_and_b32_e32 v4, 0x7f000000, v3
	v_clz_i32_u32_e32 v6, v4
	v_add_nc_u32_e32 v9, 0x1000000, v4
	v_cmp_ne_u32_e32 vcc_lo, 0, v4
	s_delay_alu instid0(VALU_DEP_3) | instskip(NEXT) | instid1(VALU_DEP_1)
	v_min_u32_e32 v6, 32, v6
	v_sub_nc_u32_e64 v6, v6, 4 clamp
	s_delay_alu instid0(VALU_DEP_1) | instskip(SKIP_1) | instid1(VALU_DEP_2)
	v_lshlrev_b32_e32 v7, v6, v4
	v_lshlrev_b32_e32 v6, 23, v6
	v_lshrrev_b32_e32 v7, 4, v7
	s_delay_alu instid0(VALU_DEP_1) | instskip(SKIP_1) | instid1(VALU_DEP_2)
	v_sub_nc_u32_e32 v6, v7, v6
	v_ashrrev_i32_e32 v7, 8, v9
	v_add_nc_u32_e32 v6, 0x3c000000, v6
	s_delay_alu instid0(VALU_DEP_1) | instskip(NEXT) | instid1(VALU_DEP_1)
	v_and_or_b32 v6, 0x7f800000, v7, v6
	v_cndmask_b32_e32 v4, 0, v6, vcc_lo
	s_delay_alu instid0(VALU_DEP_1) | instskip(NEXT) | instid1(VALU_DEP_1)
	v_and_or_b32 v3, 0x80000000, v3, v4
	v_cvt_i32_f32_e32 v3, v3
.LBB313_456:
	s_mov_b32 s2, 0
.LBB313_457:
	s_delay_alu instid0(SALU_CYCLE_1)
	s_and_not1_b32 vcc_lo, exec_lo, s2
	s_cbranch_vccnz .LBB313_459
; %bb.458:
	global_load_u8 v3, v[1:2], off
	s_waitcnt vmcnt(0)
	v_lshlrev_b32_e32 v4, 25, v3
	v_lshlrev_b16 v3, 8, v3
	s_delay_alu instid0(VALU_DEP_2) | instskip(NEXT) | instid1(VALU_DEP_2)
	v_lshrrev_b32_e32 v6, 4, v4
	v_and_or_b32 v7, 0x7f00, v3, 0.5
	v_cmp_gt_u32_e32 vcc_lo, 0x8000000, v4
	v_bfe_i32 v3, v3, 0, 16
	s_delay_alu instid0(VALU_DEP_4) | instskip(NEXT) | instid1(VALU_DEP_1)
	v_or_b32_e32 v6, 0x70000000, v6
	v_dual_add_f32 v7, -0.5, v7 :: v_dual_mul_f32 v6, 0x7800000, v6
	s_delay_alu instid0(VALU_DEP_1) | instskip(NEXT) | instid1(VALU_DEP_1)
	v_cndmask_b32_e32 v4, v6, v7, vcc_lo
	v_and_or_b32 v3, 0x80000000, v3, v4
	s_delay_alu instid0(VALU_DEP_1)
	v_cvt_i32_f32_e32 v3, v3
.LBB313_459:
	s_mov_b32 s24, 0
	s_mov_b32 s2, -1
.LBB313_460:
	s_and_not1_b32 vcc_lo, exec_lo, s24
	s_cbranch_vccnz .LBB313_473
; %bb.461:
	v_cmp_lt_i16_e32 vcc_lo, 14, v5
	s_cbranch_vccz .LBB313_464
; %bb.462:
	v_cmp_eq_u16_e32 vcc_lo, 15, v5
	s_cbranch_vccz .LBB313_467
; %bb.463:
	global_load_u16 v3, v[1:2], off
	s_mov_b32 s2, -1
	s_mov_b32 s3, 0
	s_waitcnt vmcnt(0)
	v_lshlrev_b32_e32 v3, 16, v3
	s_delay_alu instid0(VALU_DEP_1)
	v_cvt_i32_f32_e32 v3, v3
	s_branch .LBB313_468
.LBB313_464:
	s_mov_b32 s24, -1
                                        ; implicit-def: $vgpr3
	s_branch .LBB313_469
.LBB313_465:
	s_or_saveexec_b32 s24, s24
	v_mov_b32_e32 v3, s25
	s_xor_b32 exec_lo, exec_lo, s24
	s_cbranch_execz .LBB313_446
.LBB313_466:
	v_cmp_ne_u16_e32 vcc_lo, 0, v4
	v_mov_b32_e32 v3, 0
	s_and_not1_b32 s2, s2, exec_lo
	s_and_b32 s25, vcc_lo, exec_lo
	s_delay_alu instid0(SALU_CYCLE_1)
	s_or_b32 s2, s2, s25
	s_or_b32 exec_lo, exec_lo, s24
	s_and_saveexec_b32 s24, s2
	s_cbranch_execnz .LBB313_447
	s_branch .LBB313_448
.LBB313_467:
	s_mov_b32 s3, -1
                                        ; implicit-def: $vgpr3
.LBB313_468:
	s_mov_b32 s24, 0
.LBB313_469:
	s_delay_alu instid0(SALU_CYCLE_1)
	s_and_b32 vcc_lo, exec_lo, s24
	s_cbranch_vccz .LBB313_473
; %bb.470:
	v_cmp_eq_u16_e32 vcc_lo, 11, v5
	s_cbranch_vccz .LBB313_472
; %bb.471:
	global_load_u8 v3, v[1:2], off
	s_mov_b32 s3, 0
	s_mov_b32 s2, -1
	s_waitcnt vmcnt(0)
	v_cmp_ne_u16_e32 vcc_lo, 0, v3
	v_cndmask_b32_e64 v3, 0, 1, vcc_lo
	s_branch .LBB313_473
.LBB313_472:
	s_mov_b32 s3, -1
                                        ; implicit-def: $vgpr3
.LBB313_473:
	s_branch .LBB313_282
.LBB313_474:
	v_cmp_gt_i16_e32 vcc_lo, 5, v5
	s_cbranch_vccnz .LBB313_479
; %bb.475:
	v_cmp_gt_i16_e32 vcc_lo, 8, v5
	s_cbranch_vccnz .LBB313_480
; %bb.476:
	v_cmp_gt_i16_e32 vcc_lo, 9, v5
	s_cbranch_vccnz .LBB313_481
; %bb.477:
	v_cmp_lt_i16_e32 vcc_lo, 9, v5
	s_cbranch_vccz .LBB313_482
; %bb.478:
	global_load_b64 v[3:4], v[1:2], off
	s_mov_b32 s2, 0
	s_waitcnt vmcnt(0)
	v_cvt_i32_f64_e32 v3, v[3:4]
	s_branch .LBB313_483
.LBB313_479:
	s_mov_b32 s2, -1
                                        ; implicit-def: $vgpr3
	s_branch .LBB313_501
.LBB313_480:
	s_mov_b32 s2, -1
                                        ; implicit-def: $vgpr3
	s_branch .LBB313_489
.LBB313_481:
	s_mov_b32 s2, -1
                                        ; implicit-def: $vgpr3
	s_branch .LBB313_486
.LBB313_482:
	s_mov_b32 s2, -1
                                        ; implicit-def: $vgpr3
.LBB313_483:
	s_delay_alu instid0(SALU_CYCLE_1)
	s_and_not1_b32 vcc_lo, exec_lo, s2
	s_cbranch_vccnz .LBB313_485
; %bb.484:
	global_load_b32 v3, v[1:2], off
	s_waitcnt vmcnt(0)
	v_cvt_i32_f32_e32 v3, v3
.LBB313_485:
	s_mov_b32 s2, 0
.LBB313_486:
	s_delay_alu instid0(SALU_CYCLE_1)
	s_and_not1_b32 vcc_lo, exec_lo, s2
	s_cbranch_vccnz .LBB313_488
; %bb.487:
	global_load_b32 v3, v[1:2], off
	s_waitcnt vmcnt(0)
	v_cvt_i16_f16_e32 v3, v3
.LBB313_488:
	s_mov_b32 s2, 0
.LBB313_489:
	s_delay_alu instid0(SALU_CYCLE_1)
	s_and_not1_b32 vcc_lo, exec_lo, s2
	s_cbranch_vccnz .LBB313_500
; %bb.490:
	v_cmp_gt_i16_e32 vcc_lo, 6, v5
	s_cbranch_vccnz .LBB313_493
; %bb.491:
	v_cmp_lt_i16_e32 vcc_lo, 6, v5
	s_cbranch_vccz .LBB313_494
; %bb.492:
	global_load_b64 v[3:4], v[1:2], off
	s_mov_b32 s2, 0
	s_waitcnt vmcnt(0)
	v_cvt_i32_f64_e32 v3, v[3:4]
	s_branch .LBB313_495
.LBB313_493:
	s_mov_b32 s2, -1
                                        ; implicit-def: $vgpr3
	s_branch .LBB313_498
.LBB313_494:
	s_mov_b32 s2, -1
                                        ; implicit-def: $vgpr3
.LBB313_495:
	s_delay_alu instid0(SALU_CYCLE_1)
	s_and_not1_b32 vcc_lo, exec_lo, s2
	s_cbranch_vccnz .LBB313_497
; %bb.496:
	global_load_b32 v3, v[1:2], off
	s_waitcnt vmcnt(0)
	v_cvt_i32_f32_e32 v3, v3
.LBB313_497:
	s_mov_b32 s2, 0
.LBB313_498:
	s_delay_alu instid0(SALU_CYCLE_1)
	s_and_not1_b32 vcc_lo, exec_lo, s2
	s_cbranch_vccnz .LBB313_500
; %bb.499:
	global_load_u16 v3, v[1:2], off
	s_waitcnt vmcnt(0)
	v_cvt_i16_f16_e32 v3, v3
.LBB313_500:
	s_mov_b32 s2, 0
.LBB313_501:
	s_delay_alu instid0(SALU_CYCLE_1)
	s_and_not1_b32 vcc_lo, exec_lo, s2
	s_cbranch_vccnz .LBB313_521
; %bb.502:
	v_cmp_gt_i16_e32 vcc_lo, 2, v5
	s_cbranch_vccnz .LBB313_506
; %bb.503:
	v_cmp_gt_i16_e32 vcc_lo, 3, v5
	s_cbranch_vccnz .LBB313_507
; %bb.504:
	v_cmp_lt_i16_e32 vcc_lo, 3, v5
	s_cbranch_vccz .LBB313_508
; %bb.505:
	global_load_b64 v[3:4], v[1:2], off
	s_mov_b32 s2, 0
	s_branch .LBB313_509
.LBB313_506:
	s_mov_b32 s2, -1
                                        ; implicit-def: $vgpr3
	s_branch .LBB313_515
.LBB313_507:
	s_mov_b32 s2, -1
                                        ; implicit-def: $vgpr3
	s_branch .LBB313_512
.LBB313_508:
	s_mov_b32 s2, -1
                                        ; implicit-def: $vgpr3
.LBB313_509:
	s_delay_alu instid0(SALU_CYCLE_1)
	s_and_not1_b32 vcc_lo, exec_lo, s2
	s_cbranch_vccnz .LBB313_511
; %bb.510:
	global_load_b32 v3, v[1:2], off
.LBB313_511:
	s_mov_b32 s2, 0
.LBB313_512:
	s_delay_alu instid0(SALU_CYCLE_1)
	s_and_not1_b32 vcc_lo, exec_lo, s2
	s_cbranch_vccnz .LBB313_514
; %bb.513:
	global_load_u16 v3, v[1:2], off
.LBB313_514:
	s_mov_b32 s2, 0
.LBB313_515:
	s_delay_alu instid0(SALU_CYCLE_1)
	s_and_not1_b32 vcc_lo, exec_lo, s2
	s_cbranch_vccnz .LBB313_521
; %bb.516:
	v_cmp_lt_i16_e32 vcc_lo, 0, v5
	s_mov_b32 s2, 0
	s_cbranch_vccz .LBB313_518
; %bb.517:
	global_load_i8 v3, v[1:2], off
	s_branch .LBB313_519
.LBB313_518:
	s_mov_b32 s2, -1
                                        ; implicit-def: $vgpr3
.LBB313_519:
	s_delay_alu instid0(SALU_CYCLE_1)
	s_and_not1_b32 vcc_lo, exec_lo, s2
	s_cbranch_vccnz .LBB313_521
; %bb.520:
	global_load_u8 v3, v[1:2], off
.LBB313_521:
	s_branch .LBB313_283
.LBB313_522:
	s_mov_b32 s24, 0
	s_mov_b32 s2, s37
.LBB313_523:
                                        ; implicit-def: $vgpr8
.LBB313_524:
	s_and_not1_b32 s25, s37, exec_lo
	s_and_b32 s2, s2, exec_lo
	s_and_not1_b32 s40, s38, exec_lo
	s_and_b32 s3, s3, exec_lo
	s_or_b32 s41, s25, s2
	s_or_b32 s40, s40, s3
	s_or_not1_b32 s2, s24, exec_lo
.LBB313_525:
	s_or_b32 exec_lo, exec_lo, s42
	s_mov_b32 s3, 0
	s_mov_b32 s25, 0
	;; [unrolled: 1-line block ×3, first 2 shown]
                                        ; implicit-def: $vgpr1_vgpr2
                                        ; implicit-def: $vgpr0
                                        ; implicit-def: $vgpr3
	s_and_saveexec_b32 s42, s2
	s_cbranch_execz .LBB313_889
; %bb.526:
	s_mov_b32 s45, -1
	s_mov_b32 s24, s40
	s_mov_b32 s25, s41
	s_mov_b32 s43, exec_lo
	v_cmpx_gt_i32_e64 s34, v8
	s_cbranch_execz .LBB313_794
; %bb.527:
	s_and_not1_b32 vcc_lo, exec_lo, s29
	s_cbranch_vccnz .LBB313_532
; %bb.528:
	v_dual_mov_b32 v0, 0 :: v_dual_mov_b32 v1, 0
	s_and_not1_b32 vcc_lo, exec_lo, s36
	s_mov_b32 s44, 0
	s_cbranch_vccnz .LBB313_537
; %bb.529:
	v_mov_b32_e32 v0, 0
	s_add_i32 s46, s35, 1
	s_cmp_eq_u32 s27, 2
	s_mov_b32 s45, 0
	s_cbranch_scc1 .LBB313_533
; %bb.530:
	v_dual_mov_b32 v1, 0 :: v_dual_mov_b32 v0, 0
	v_mov_b32_e32 v2, v8
	s_and_b32 s45, s46, 28
	s_mov_b32 s47, 0
	s_mov_b64 s[2:3], s[22:23]
	s_mov_b64 s[24:25], s[16:17]
.LBB313_531:                            ; =>This Inner Loop Header: Depth=1
	s_clause 0x1
	s_load_b256 s[48:55], s[24:25], 0x4
	s_load_b128 s[64:67], s[24:25], 0x24
	s_load_b256 s[56:63], s[2:3], 0x0
	s_add_u32 s24, s24, 48
	s_addc_u32 s25, s25, 0
	s_add_i32 s47, s47, 4
	s_add_u32 s2, s2, 32
	s_addc_u32 s3, s3, 0
	s_cmp_eq_u32 s45, s47
	s_waitcnt vmcnt(0) lgkmcnt(0)
	v_mul_hi_u32 v3, s49, v2
	s_delay_alu instid0(VALU_DEP_1) | instskip(NEXT) | instid1(VALU_DEP_1)
	v_add_nc_u32_e32 v3, v2, v3
	v_lshrrev_b32_e32 v3, s50, v3
	s_delay_alu instid0(VALU_DEP_1) | instskip(SKIP_1) | instid1(VALU_DEP_2)
	v_mul_hi_u32 v4, s52, v3
	v_mul_lo_u32 v7, v3, s48
	v_add_nc_u32_e32 v4, v3, v4
	s_delay_alu instid0(VALU_DEP_2) | instskip(NEXT) | instid1(VALU_DEP_2)
	v_sub_nc_u32_e32 v2, v2, v7
	v_lshrrev_b32_e32 v4, s53, v4
	s_delay_alu instid0(VALU_DEP_2) | instskip(SKIP_1) | instid1(VALU_DEP_3)
	v_mul_lo_u32 v7, v2, s56
	v_mul_lo_u32 v10, v2, s57
	v_mul_hi_u32 v6, s55, v4
	s_delay_alu instid0(VALU_DEP_1) | instskip(NEXT) | instid1(VALU_DEP_1)
	v_add_nc_u32_e32 v6, v4, v6
	v_lshrrev_b32_e32 v6, s64, v6
	s_delay_alu instid0(VALU_DEP_1) | instskip(SKIP_1) | instid1(VALU_DEP_2)
	v_mul_hi_u32 v9, s66, v6
	v_mul_lo_u32 v11, v6, s54
	v_add_nc_u32_e32 v2, v6, v9
	v_mul_lo_u32 v9, v4, s51
	s_delay_alu instid0(VALU_DEP_3) | instskip(NEXT) | instid1(VALU_DEP_3)
	v_sub_nc_u32_e32 v4, v4, v11
	v_lshrrev_b32_e32 v2, s67, v2
	s_delay_alu instid0(VALU_DEP_2) | instskip(SKIP_2) | instid1(VALU_DEP_4)
	v_mul_lo_u32 v11, v4, s60
	v_mul_lo_u32 v4, v4, s61
	v_sub_nc_u32_e32 v3, v3, v9
	v_mul_lo_u32 v12, v2, s65
	s_delay_alu instid0(VALU_DEP_2) | instskip(SKIP_1) | instid1(VALU_DEP_3)
	v_mul_lo_u32 v9, v3, s58
	v_mul_lo_u32 v3, v3, s59
	v_sub_nc_u32_e32 v6, v6, v12
	s_delay_alu instid0(VALU_DEP_3) | instskip(NEXT) | instid1(VALU_DEP_2)
	v_add3_u32 v0, v7, v0, v9
	v_mul_lo_u32 v12, v6, s62
	v_mul_lo_u32 v6, v6, s63
	v_add3_u32 v1, v10, v1, v3
	s_delay_alu instid0(VALU_DEP_3) | instskip(NEXT) | instid1(VALU_DEP_2)
	v_add3_u32 v0, v11, v0, v12
	v_add3_u32 v1, v4, v1, v6
	s_cbranch_scc0 .LBB313_531
	s_branch .LBB313_534
.LBB313_532:
	s_mov_b32 s44, -1
                                        ; implicit-def: $vgpr0
                                        ; implicit-def: $vgpr1
	s_branch .LBB313_537
.LBB313_533:
	v_dual_mov_b32 v2, v8 :: v_dual_mov_b32 v1, 0
.LBB313_534:
	s_and_b32 s46, s46, 3
	s_delay_alu instid0(SALU_CYCLE_1)
	s_cmp_eq_u32 s46, 0
	s_cbranch_scc1 .LBB313_537
; %bb.535:
	s_lshl_b32 s2, s45, 3
	s_mul_i32 s24, s45, 12
	s_add_u32 s2, s2, s16
	s_addc_u32 s3, s17, 0
	s_add_u32 s2, s2, 0xc4
	s_addc_u32 s3, s3, 0
	;; [unrolled: 2-line block ×3, first 2 shown]
	.p2align	6
.LBB313_536:                            ; =>This Inner Loop Header: Depth=1
	s_clause 0x1
	s_load_b64 s[48:49], s[24:25], 0x4
	s_load_b32 s45, s[24:25], 0xc
	s_load_b64 s[50:51], s[2:3], 0x0
	s_add_u32 s24, s24, 12
	s_addc_u32 s25, s25, 0
	s_add_u32 s2, s2, 8
	s_addc_u32 s3, s3, 0
	s_add_i32 s46, s46, -1
	s_delay_alu instid0(SALU_CYCLE_1) | instskip(SKIP_2) | instid1(VALU_DEP_1)
	s_cmp_lg_u32 s46, 0
	s_waitcnt vmcnt(0) lgkmcnt(0)
	v_mul_hi_u32 v3, s49, v2
	v_add_nc_u32_e32 v3, v2, v3
	s_delay_alu instid0(VALU_DEP_1) | instskip(NEXT) | instid1(VALU_DEP_1)
	v_lshrrev_b32_e32 v9, s45, v3
	v_mul_lo_u32 v3, v9, s48
	s_delay_alu instid0(VALU_DEP_1) | instskip(NEXT) | instid1(VALU_DEP_1)
	v_sub_nc_u32_e32 v2, v2, v3
	v_mad_u64_u32 v[3:4], null, v2, s50, v[0:1]
	v_mad_u64_u32 v[6:7], null, v2, s51, v[1:2]
	v_mov_b32_e32 v2, v9
	s_delay_alu instid0(VALU_DEP_2)
	v_dual_mov_b32 v0, v3 :: v_dual_mov_b32 v1, v6
	s_cbranch_scc1 .LBB313_536
.LBB313_537:
	s_and_not1_b32 vcc_lo, exec_lo, s44
	s_cbranch_vccnz .LBB313_540
; %bb.538:
	v_mul_hi_u32 v0, s13, v8
	s_and_not1_b32 vcc_lo, exec_lo, s33
	s_delay_alu instid0(VALU_DEP_1) | instskip(NEXT) | instid1(VALU_DEP_1)
	v_add_nc_u32_e32 v0, v8, v0
	v_lshrrev_b32_e32 v2, s14, v0
	s_delay_alu instid0(VALU_DEP_1) | instskip(NEXT) | instid1(VALU_DEP_1)
	v_mul_lo_u32 v0, v2, s12
	v_sub_nc_u32_e32 v1, v8, v0
	s_delay_alu instid0(VALU_DEP_1)
	v_mul_lo_u32 v0, v1, s8
	v_mul_lo_u32 v1, v1, s9
	s_cbranch_vccnz .LBB313_540
; %bb.539:
	s_waitcnt vmcnt(0)
	v_mul_hi_u32 v3, s20, v2
	s_delay_alu instid0(VALU_DEP_1) | instskip(NEXT) | instid1(VALU_DEP_1)
	v_add_nc_u32_e32 v3, v2, v3
	v_lshrrev_b32_e32 v3, s21, v3
	s_delay_alu instid0(VALU_DEP_1) | instskip(NEXT) | instid1(VALU_DEP_1)
	v_mul_lo_u32 v3, v3, s15
	v_sub_nc_u32_e32 v6, v2, v3
	s_delay_alu instid0(VALU_DEP_1) | instskip(NEXT) | instid1(VALU_DEP_1)
	v_mad_u64_u32 v[2:3], null, v6, s10, v[0:1]
	v_mad_u64_u32 v[3:4], null, v6, s11, v[1:2]
	s_delay_alu instid0(VALU_DEP_1)
	v_dual_mov_b32 v0, v2 :: v_dual_mov_b32 v1, v3
.LBB313_540:
	v_cmp_gt_i16_e32 vcc_lo, 11, v5
	s_delay_alu instid0(VALU_DEP_2) | instskip(NEXT) | instid1(VALU_DEP_1)
	v_add_co_u32 v1, s2, s6, v1
	v_add_co_ci_u32_e64 v2, null, s7, 0, s2
	s_mov_b32 s2, 0
	s_cbranch_vccnz .LBB313_547
; %bb.541:
	v_cmp_lt_i16_e32 vcc_lo, 25, v5
	s_cbranch_vccz .LBB313_548
; %bb.542:
	v_cmp_lt_i16_e32 vcc_lo, 28, v5
	s_cbranch_vccz .LBB313_549
	;; [unrolled: 3-line block ×4, first 2 shown]
; %bb.545:
	v_cmp_eq_u16_e32 vcc_lo, 46, v5
	s_mov_b32 s24, 0
	s_cbranch_vccz .LBB313_556
; %bb.546:
	global_load_b32 v3, v[1:2], off
	s_mov_b32 s2, -1
	s_mov_b32 s3, 0
	s_waitcnt vmcnt(0)
	v_lshlrev_b32_e32 v3, 16, v3
	s_delay_alu instid0(VALU_DEP_1)
	v_cvt_i32_f32_e32 v3, v3
	s_branch .LBB313_558
.LBB313_547:
	s_mov_b32 s24, -1
	s_mov_b32 s3, s40
                                        ; implicit-def: $vgpr3
	s_branch .LBB313_619
.LBB313_548:
	s_mov_b32 s24, -1
	s_mov_b32 s3, s40
                                        ; implicit-def: $vgpr3
	s_branch .LBB313_585
.LBB313_549:
	s_mov_b32 s24, -1
	s_mov_b32 s3, s40
                                        ; implicit-def: $vgpr3
	s_branch .LBB313_568
.LBB313_550:
	s_mov_b32 s24, -1
	s_mov_b32 s3, s40
                                        ; implicit-def: $vgpr3
	s_branch .LBB313_563
.LBB313_551:
	s_or_saveexec_b32 s40, s40
                                        ; implicit-def: $sgpr41
	s_delay_alu instid0(SALU_CYCLE_1)
	s_xor_b32 exec_lo, exec_lo, s40
	s_cbranch_execz .LBB313_366
.LBB313_552:
	v_add_f32_e64 v6, 0x46000000, |v4|
	s_and_not1_b32 s25, s25, exec_lo
	s_mov_b32 s41, 0
	s_delay_alu instid0(VALU_DEP_1) | instskip(NEXT) | instid1(VALU_DEP_1)
	v_and_b32_e32 v6, 0xff, v6
	v_cmp_ne_u32_e32 vcc_lo, 0, v6
	s_and_b32 s43, vcc_lo, exec_lo
	s_delay_alu instid0(SALU_CYCLE_1)
	s_or_b32 s25, s25, s43
	s_or_b32 exec_lo, exec_lo, s40
	v_mov_b32_e32 v7, s41
	s_and_saveexec_b32 s40, s25
	s_cbranch_execnz .LBB313_367
	s_branch .LBB313_368
.LBB313_553:
	s_mov_b32 s24, -1
	s_mov_b32 s3, s40
	s_branch .LBB313_557
.LBB313_554:
	s_or_saveexec_b32 s40, s40
                                        ; implicit-def: $sgpr41
	s_delay_alu instid0(SALU_CYCLE_1)
	s_xor_b32 exec_lo, exec_lo, s40
	s_cbranch_execz .LBB313_379
.LBB313_555:
	v_add_f32_e64 v6, 0x42800000, |v4|
	s_and_not1_b32 s25, s25, exec_lo
	s_mov_b32 s41, 0
	s_delay_alu instid0(VALU_DEP_1) | instskip(NEXT) | instid1(VALU_DEP_1)
	v_and_b32_e32 v6, 0xff, v6
	v_cmp_ne_u32_e32 vcc_lo, 0, v6
	s_and_b32 s43, vcc_lo, exec_lo
	s_delay_alu instid0(SALU_CYCLE_1)
	s_or_b32 s25, s25, s43
	s_or_b32 exec_lo, exec_lo, s40
	v_mov_b32_e32 v7, s41
	s_and_saveexec_b32 s40, s25
	s_cbranch_execnz .LBB313_380
	s_branch .LBB313_381
.LBB313_556:
	s_mov_b32 s3, -1
.LBB313_557:
                                        ; implicit-def: $vgpr3
.LBB313_558:
	s_and_b32 vcc_lo, exec_lo, s24
	s_cbranch_vccz .LBB313_562
; %bb.559:
	v_cmp_eq_u16_e32 vcc_lo, 44, v5
	s_cbranch_vccz .LBB313_561
; %bb.560:
	global_load_u8 v3, v[1:2], off
	s_mov_b32 s3, 0
	s_mov_b32 s2, -1
	s_waitcnt vmcnt(0)
	v_lshlrev_b32_e32 v4, 23, v3
	v_cmp_ne_u32_e32 vcc_lo, 0, v3
	s_delay_alu instid0(VALU_DEP_2) | instskip(NEXT) | instid1(VALU_DEP_1)
	v_cvt_i32_f32_e32 v4, v4
	v_cndmask_b32_e32 v3, 0, v4, vcc_lo
	s_branch .LBB313_562
.LBB313_561:
	s_mov_b32 s3, -1
                                        ; implicit-def: $vgpr3
.LBB313_562:
	s_mov_b32 s24, 0
.LBB313_563:
	s_delay_alu instid0(SALU_CYCLE_1)
	s_and_b32 vcc_lo, exec_lo, s24
	s_cbranch_vccz .LBB313_567
; %bb.564:
	v_cmp_eq_u16_e32 vcc_lo, 29, v5
	s_cbranch_vccz .LBB313_566
; %bb.565:
	global_load_b64 v[3:4], v[1:2], off
	s_mov_b32 s2, -1
	s_mov_b32 s3, 0
	s_branch .LBB313_567
.LBB313_566:
	s_mov_b32 s3, -1
                                        ; implicit-def: $vgpr3
.LBB313_567:
	s_mov_b32 s24, 0
.LBB313_568:
	s_delay_alu instid0(SALU_CYCLE_1)
	s_and_b32 vcc_lo, exec_lo, s24
	s_cbranch_vccz .LBB313_584
; %bb.569:
	v_cmp_gt_i16_e32 vcc_lo, 27, v5
	s_cbranch_vccnz .LBB313_572
; %bb.570:
	v_cmp_lt_i16_e32 vcc_lo, 27, v5
	s_cbranch_vccz .LBB313_573
; %bb.571:
	global_load_b32 v3, v[1:2], off
	s_mov_b32 s2, 0
	s_branch .LBB313_574
.LBB313_572:
	s_mov_b32 s2, -1
                                        ; implicit-def: $vgpr3
	s_branch .LBB313_577
.LBB313_573:
	s_mov_b32 s2, -1
                                        ; implicit-def: $vgpr3
.LBB313_574:
	s_delay_alu instid0(SALU_CYCLE_1)
	s_and_not1_b32 vcc_lo, exec_lo, s2
	s_cbranch_vccnz .LBB313_576
; %bb.575:
	global_load_u16 v3, v[1:2], off
.LBB313_576:
	s_mov_b32 s2, 0
.LBB313_577:
	s_delay_alu instid0(SALU_CYCLE_1)
	s_and_not1_b32 vcc_lo, exec_lo, s2
	s_cbranch_vccnz .LBB313_583
; %bb.578:
	global_load_u8 v4, v[1:2], off
	s_mov_b32 s2, 0
	s_mov_b32 s24, exec_lo
                                        ; implicit-def: $sgpr25
	s_waitcnt vmcnt(0)
	v_cmpx_lt_i16_e32 0x7f, v4
	s_xor_b32 s24, exec_lo, s24
	s_cbranch_execz .LBB313_595
; %bb.579:
	v_cmp_ne_u16_e32 vcc_lo, 0x80, v4
	s_mov_b32 s25, 0
	s_and_b32 s2, vcc_lo, exec_lo
	s_or_saveexec_b32 s24, s24
	v_mov_b32_e32 v3, s25
	s_xor_b32 exec_lo, exec_lo, s24
	s_cbranch_execnz .LBB313_596
.LBB313_580:
	s_or_b32 exec_lo, exec_lo, s24
	s_and_saveexec_b32 s24, s2
	s_cbranch_execz .LBB313_582
.LBB313_581:
	v_and_b32_e32 v3, 0xffff, v4
	s_delay_alu instid0(VALU_DEP_1) | instskip(NEXT) | instid1(VALU_DEP_1)
	v_and_b32_e32 v6, 7, v3
	v_clz_i32_u32_e32 v7, v6
	s_delay_alu instid0(VALU_DEP_1) | instskip(NEXT) | instid1(VALU_DEP_1)
	v_min_u32_e32 v7, 32, v7
	v_subrev_nc_u32_e32 v9, 28, v7
	v_sub_nc_u32_e32 v7, 29, v7
	s_delay_alu instid0(VALU_DEP_2) | instskip(SKIP_1) | instid1(VALU_DEP_2)
	v_lshlrev_b32_e32 v9, v9, v3
	v_bfe_u32 v3, v3, 3, 4
	v_and_b32_e32 v9, 7, v9
	s_delay_alu instid0(VALU_DEP_2) | instskip(SKIP_1) | instid1(VALU_DEP_3)
	v_cmp_eq_u32_e32 vcc_lo, 0, v3
	v_dual_cndmask_b32 v3, v3, v7 :: v_dual_lshlrev_b32 v4, 24, v4
	v_cndmask_b32_e32 v6, v6, v9, vcc_lo
	s_delay_alu instid0(VALU_DEP_2) | instskip(NEXT) | instid1(VALU_DEP_3)
	v_and_b32_e32 v4, 0x80000000, v4
	v_lshl_add_u32 v3, v3, 23, 0x3b800000
	s_delay_alu instid0(VALU_DEP_3) | instskip(NEXT) | instid1(VALU_DEP_1)
	v_lshlrev_b32_e32 v6, 20, v6
	v_or3_b32 v3, v4, v3, v6
	s_delay_alu instid0(VALU_DEP_1)
	v_cvt_i32_f32_e32 v3, v3
.LBB313_582:
	s_or_b32 exec_lo, exec_lo, s24
.LBB313_583:
	s_mov_b32 s2, -1
.LBB313_584:
	s_mov_b32 s24, 0
.LBB313_585:
	s_delay_alu instid0(SALU_CYCLE_1)
	s_and_b32 vcc_lo, exec_lo, s24
	s_cbranch_vccz .LBB313_618
; %bb.586:
	v_cmp_lt_i16_e32 vcc_lo, 22, v5
	s_cbranch_vccz .LBB313_594
; %bb.587:
	v_cmp_gt_i16_e32 vcc_lo, 24, v5
	s_cbranch_vccnz .LBB313_597
; %bb.588:
	v_cmp_lt_i16_e32 vcc_lo, 24, v5
	s_cbranch_vccz .LBB313_598
; %bb.589:
	global_load_u8 v4, v[1:2], off
	s_mov_b32 s2, 0
	s_mov_b32 s24, exec_lo
                                        ; implicit-def: $sgpr25
	s_waitcnt vmcnt(0)
	v_cmpx_lt_i16_e32 0x7f, v4
	s_xor_b32 s24, exec_lo, s24
	s_cbranch_execz .LBB313_610
; %bb.590:
	v_cmp_ne_u16_e32 vcc_lo, 0x80, v4
	s_mov_b32 s25, 0
	s_and_b32 s2, vcc_lo, exec_lo
	s_or_saveexec_b32 s24, s24
	v_mov_b32_e32 v3, s25
	s_xor_b32 exec_lo, exec_lo, s24
	s_cbranch_execnz .LBB313_611
.LBB313_591:
	s_or_b32 exec_lo, exec_lo, s24
	s_and_saveexec_b32 s24, s2
	s_cbranch_execz .LBB313_593
.LBB313_592:
	v_and_b32_e32 v3, 0xffff, v4
	s_delay_alu instid0(VALU_DEP_1) | instskip(NEXT) | instid1(VALU_DEP_1)
	v_and_b32_e32 v6, 3, v3
	v_clz_i32_u32_e32 v7, v6
	s_delay_alu instid0(VALU_DEP_1) | instskip(NEXT) | instid1(VALU_DEP_1)
	v_min_u32_e32 v7, 32, v7
	v_subrev_nc_u32_e32 v9, 29, v7
	v_sub_nc_u32_e32 v7, 30, v7
	s_delay_alu instid0(VALU_DEP_2) | instskip(SKIP_1) | instid1(VALU_DEP_2)
	v_lshlrev_b32_e32 v9, v9, v3
	v_bfe_u32 v3, v3, 2, 5
	v_and_b32_e32 v9, 3, v9
	s_delay_alu instid0(VALU_DEP_2) | instskip(SKIP_1) | instid1(VALU_DEP_3)
	v_cmp_eq_u32_e32 vcc_lo, 0, v3
	v_dual_cndmask_b32 v3, v3, v7 :: v_dual_lshlrev_b32 v4, 24, v4
	v_cndmask_b32_e32 v6, v6, v9, vcc_lo
	s_delay_alu instid0(VALU_DEP_2) | instskip(NEXT) | instid1(VALU_DEP_3)
	v_and_b32_e32 v4, 0x80000000, v4
	v_lshl_add_u32 v3, v3, 23, 0x37800000
	s_delay_alu instid0(VALU_DEP_3) | instskip(NEXT) | instid1(VALU_DEP_1)
	v_lshlrev_b32_e32 v6, 21, v6
	v_or3_b32 v3, v4, v3, v6
	s_delay_alu instid0(VALU_DEP_1)
	v_cvt_i32_f32_e32 v3, v3
.LBB313_593:
	s_or_b32 exec_lo, exec_lo, s24
	s_mov_b32 s2, 0
	s_branch .LBB313_599
.LBB313_594:
	s_mov_b32 s24, -1
                                        ; implicit-def: $vgpr3
	s_branch .LBB313_605
.LBB313_595:
	s_or_saveexec_b32 s24, s24
	v_mov_b32_e32 v3, s25
	s_xor_b32 exec_lo, exec_lo, s24
	s_cbranch_execz .LBB313_580
.LBB313_596:
	v_cmp_ne_u16_e32 vcc_lo, 0, v4
	v_mov_b32_e32 v3, 0
	s_and_not1_b32 s2, s2, exec_lo
	s_and_b32 s25, vcc_lo, exec_lo
	s_delay_alu instid0(SALU_CYCLE_1)
	s_or_b32 s2, s2, s25
	s_or_b32 exec_lo, exec_lo, s24
	s_and_saveexec_b32 s24, s2
	s_cbranch_execnz .LBB313_581
	s_branch .LBB313_582
.LBB313_597:
	s_mov_b32 s2, -1
                                        ; implicit-def: $vgpr3
	s_branch .LBB313_602
.LBB313_598:
	s_mov_b32 s2, -1
                                        ; implicit-def: $vgpr3
.LBB313_599:
	s_delay_alu instid0(SALU_CYCLE_1)
	s_and_b32 vcc_lo, exec_lo, s2
	s_cbranch_vccz .LBB313_601
; %bb.600:
	global_load_u8 v3, v[1:2], off
	s_waitcnt vmcnt(0)
	v_lshlrev_b32_e32 v3, 24, v3
	s_delay_alu instid0(VALU_DEP_1) | instskip(NEXT) | instid1(VALU_DEP_1)
	v_and_b32_e32 v4, 0x7f000000, v3
	v_clz_i32_u32_e32 v6, v4
	v_add_nc_u32_e32 v9, 0x1000000, v4
	v_cmp_ne_u32_e32 vcc_lo, 0, v4
	s_delay_alu instid0(VALU_DEP_3) | instskip(NEXT) | instid1(VALU_DEP_1)
	v_min_u32_e32 v6, 32, v6
	v_sub_nc_u32_e64 v6, v6, 4 clamp
	s_delay_alu instid0(VALU_DEP_1) | instskip(SKIP_1) | instid1(VALU_DEP_2)
	v_lshlrev_b32_e32 v7, v6, v4
	v_lshlrev_b32_e32 v6, 23, v6
	v_lshrrev_b32_e32 v7, 4, v7
	s_delay_alu instid0(VALU_DEP_1) | instskip(SKIP_1) | instid1(VALU_DEP_2)
	v_sub_nc_u32_e32 v6, v7, v6
	v_ashrrev_i32_e32 v7, 8, v9
	v_add_nc_u32_e32 v6, 0x3c000000, v6
	s_delay_alu instid0(VALU_DEP_1) | instskip(NEXT) | instid1(VALU_DEP_1)
	v_and_or_b32 v6, 0x7f800000, v7, v6
	v_cndmask_b32_e32 v4, 0, v6, vcc_lo
	s_delay_alu instid0(VALU_DEP_1) | instskip(NEXT) | instid1(VALU_DEP_1)
	v_and_or_b32 v3, 0x80000000, v3, v4
	v_cvt_i32_f32_e32 v3, v3
.LBB313_601:
	s_mov_b32 s2, 0
.LBB313_602:
	s_delay_alu instid0(SALU_CYCLE_1)
	s_and_not1_b32 vcc_lo, exec_lo, s2
	s_cbranch_vccnz .LBB313_604
; %bb.603:
	global_load_u8 v3, v[1:2], off
	s_waitcnt vmcnt(0)
	v_lshlrev_b32_e32 v4, 25, v3
	v_lshlrev_b16 v3, 8, v3
	s_delay_alu instid0(VALU_DEP_2) | instskip(NEXT) | instid1(VALU_DEP_2)
	v_lshrrev_b32_e32 v6, 4, v4
	v_and_or_b32 v7, 0x7f00, v3, 0.5
	v_cmp_gt_u32_e32 vcc_lo, 0x8000000, v4
	v_bfe_i32 v3, v3, 0, 16
	s_delay_alu instid0(VALU_DEP_4) | instskip(NEXT) | instid1(VALU_DEP_1)
	v_or_b32_e32 v6, 0x70000000, v6
	v_dual_add_f32 v7, -0.5, v7 :: v_dual_mul_f32 v6, 0x7800000, v6
	s_delay_alu instid0(VALU_DEP_1) | instskip(NEXT) | instid1(VALU_DEP_1)
	v_cndmask_b32_e32 v4, v6, v7, vcc_lo
	v_and_or_b32 v3, 0x80000000, v3, v4
	s_delay_alu instid0(VALU_DEP_1)
	v_cvt_i32_f32_e32 v3, v3
.LBB313_604:
	s_mov_b32 s24, 0
	s_mov_b32 s2, -1
.LBB313_605:
	s_and_not1_b32 vcc_lo, exec_lo, s24
	s_cbranch_vccnz .LBB313_618
; %bb.606:
	v_cmp_lt_i16_e32 vcc_lo, 14, v5
	s_cbranch_vccz .LBB313_609
; %bb.607:
	v_cmp_eq_u16_e32 vcc_lo, 15, v5
	s_cbranch_vccz .LBB313_612
; %bb.608:
	global_load_u16 v3, v[1:2], off
	s_mov_b32 s2, -1
	s_mov_b32 s3, 0
	s_waitcnt vmcnt(0)
	v_lshlrev_b32_e32 v3, 16, v3
	s_delay_alu instid0(VALU_DEP_1)
	v_cvt_i32_f32_e32 v3, v3
	s_branch .LBB313_613
.LBB313_609:
	s_mov_b32 s24, -1
                                        ; implicit-def: $vgpr3
	s_branch .LBB313_614
.LBB313_610:
	s_or_saveexec_b32 s24, s24
	v_mov_b32_e32 v3, s25
	s_xor_b32 exec_lo, exec_lo, s24
	s_cbranch_execz .LBB313_591
.LBB313_611:
	v_cmp_ne_u16_e32 vcc_lo, 0, v4
	v_mov_b32_e32 v3, 0
	s_and_not1_b32 s2, s2, exec_lo
	s_and_b32 s25, vcc_lo, exec_lo
	s_delay_alu instid0(SALU_CYCLE_1)
	s_or_b32 s2, s2, s25
	s_or_b32 exec_lo, exec_lo, s24
	s_and_saveexec_b32 s24, s2
	s_cbranch_execnz .LBB313_592
	s_branch .LBB313_593
.LBB313_612:
	s_mov_b32 s3, -1
                                        ; implicit-def: $vgpr3
.LBB313_613:
	s_mov_b32 s24, 0
.LBB313_614:
	s_delay_alu instid0(SALU_CYCLE_1)
	s_and_b32 vcc_lo, exec_lo, s24
	s_cbranch_vccz .LBB313_618
; %bb.615:
	v_cmp_eq_u16_e32 vcc_lo, 11, v5
	s_cbranch_vccz .LBB313_617
; %bb.616:
	global_load_u8 v3, v[1:2], off
	s_mov_b32 s3, 0
	s_mov_b32 s2, -1
	s_waitcnt vmcnt(0)
	v_cmp_ne_u16_e32 vcc_lo, 0, v3
	v_cndmask_b32_e64 v3, 0, 1, vcc_lo
	s_branch .LBB313_618
.LBB313_617:
	s_mov_b32 s3, -1
                                        ; implicit-def: $vgpr3
.LBB313_618:
	s_mov_b32 s24, 0
.LBB313_619:
	s_delay_alu instid0(SALU_CYCLE_1)
	s_and_b32 vcc_lo, exec_lo, s24
	s_cbranch_vccz .LBB313_668
; %bb.620:
	v_cmp_gt_i16_e32 vcc_lo, 5, v5
	s_cbranch_vccnz .LBB313_625
; %bb.621:
	v_cmp_gt_i16_e32 vcc_lo, 8, v5
	s_cbranch_vccnz .LBB313_626
; %bb.622:
	v_cmp_gt_i16_e32 vcc_lo, 9, v5
	s_cbranch_vccnz .LBB313_627
; %bb.623:
	v_cmp_lt_i16_e32 vcc_lo, 9, v5
	s_cbranch_vccz .LBB313_628
; %bb.624:
	global_load_b64 v[3:4], v[1:2], off
	s_mov_b32 s2, 0
	s_waitcnt vmcnt(0)
	v_cvt_i32_f64_e32 v3, v[3:4]
	s_branch .LBB313_629
.LBB313_625:
	s_mov_b32 s2, -1
                                        ; implicit-def: $vgpr3
	s_branch .LBB313_647
.LBB313_626:
	s_mov_b32 s2, -1
                                        ; implicit-def: $vgpr3
	s_branch .LBB313_635
.LBB313_627:
	s_mov_b32 s2, -1
                                        ; implicit-def: $vgpr3
	s_branch .LBB313_632
.LBB313_628:
	s_mov_b32 s2, -1
                                        ; implicit-def: $vgpr3
.LBB313_629:
	s_delay_alu instid0(SALU_CYCLE_1)
	s_and_not1_b32 vcc_lo, exec_lo, s2
	s_cbranch_vccnz .LBB313_631
; %bb.630:
	global_load_b32 v3, v[1:2], off
	s_waitcnt vmcnt(0)
	v_cvt_i32_f32_e32 v3, v3
.LBB313_631:
	s_mov_b32 s2, 0
.LBB313_632:
	s_delay_alu instid0(SALU_CYCLE_1)
	s_and_not1_b32 vcc_lo, exec_lo, s2
	s_cbranch_vccnz .LBB313_634
; %bb.633:
	global_load_b32 v3, v[1:2], off
	s_waitcnt vmcnt(0)
	v_cvt_i16_f16_e32 v3, v3
.LBB313_634:
	s_mov_b32 s2, 0
.LBB313_635:
	s_delay_alu instid0(SALU_CYCLE_1)
	s_and_not1_b32 vcc_lo, exec_lo, s2
	s_cbranch_vccnz .LBB313_646
; %bb.636:
	v_cmp_gt_i16_e32 vcc_lo, 6, v5
	s_cbranch_vccnz .LBB313_639
; %bb.637:
	v_cmp_lt_i16_e32 vcc_lo, 6, v5
	s_cbranch_vccz .LBB313_640
; %bb.638:
	global_load_b64 v[3:4], v[1:2], off
	s_mov_b32 s2, 0
	s_waitcnt vmcnt(0)
	v_cvt_i32_f64_e32 v3, v[3:4]
	s_branch .LBB313_641
.LBB313_639:
	s_mov_b32 s2, -1
                                        ; implicit-def: $vgpr3
	s_branch .LBB313_644
.LBB313_640:
	s_mov_b32 s2, -1
                                        ; implicit-def: $vgpr3
.LBB313_641:
	s_delay_alu instid0(SALU_CYCLE_1)
	s_and_not1_b32 vcc_lo, exec_lo, s2
	s_cbranch_vccnz .LBB313_643
; %bb.642:
	global_load_b32 v3, v[1:2], off
	s_waitcnt vmcnt(0)
	v_cvt_i32_f32_e32 v3, v3
.LBB313_643:
	s_mov_b32 s2, 0
.LBB313_644:
	s_delay_alu instid0(SALU_CYCLE_1)
	s_and_not1_b32 vcc_lo, exec_lo, s2
	s_cbranch_vccnz .LBB313_646
; %bb.645:
	global_load_u16 v3, v[1:2], off
	s_waitcnt vmcnt(0)
	v_cvt_i16_f16_e32 v3, v3
.LBB313_646:
	s_mov_b32 s2, 0
.LBB313_647:
	s_delay_alu instid0(SALU_CYCLE_1)
	s_and_not1_b32 vcc_lo, exec_lo, s2
	s_cbranch_vccnz .LBB313_667
; %bb.648:
	v_cmp_gt_i16_e32 vcc_lo, 2, v5
	s_cbranch_vccnz .LBB313_652
; %bb.649:
	v_cmp_gt_i16_e32 vcc_lo, 3, v5
	s_cbranch_vccnz .LBB313_653
; %bb.650:
	v_cmp_lt_i16_e32 vcc_lo, 3, v5
	s_cbranch_vccz .LBB313_654
; %bb.651:
	global_load_b64 v[3:4], v[1:2], off
	s_mov_b32 s2, 0
	s_branch .LBB313_655
.LBB313_652:
	s_mov_b32 s2, -1
                                        ; implicit-def: $vgpr3
	s_branch .LBB313_661
.LBB313_653:
	s_mov_b32 s2, -1
                                        ; implicit-def: $vgpr3
	s_branch .LBB313_658
.LBB313_654:
	s_mov_b32 s2, -1
                                        ; implicit-def: $vgpr3
.LBB313_655:
	s_delay_alu instid0(SALU_CYCLE_1)
	s_and_not1_b32 vcc_lo, exec_lo, s2
	s_cbranch_vccnz .LBB313_657
; %bb.656:
	global_load_b32 v3, v[1:2], off
.LBB313_657:
	s_mov_b32 s2, 0
.LBB313_658:
	s_delay_alu instid0(SALU_CYCLE_1)
	s_and_not1_b32 vcc_lo, exec_lo, s2
	s_cbranch_vccnz .LBB313_660
; %bb.659:
	global_load_u16 v3, v[1:2], off
.LBB313_660:
	s_mov_b32 s2, 0
.LBB313_661:
	s_delay_alu instid0(SALU_CYCLE_1)
	s_and_not1_b32 vcc_lo, exec_lo, s2
	s_cbranch_vccnz .LBB313_667
; %bb.662:
	v_cmp_lt_i16_e32 vcc_lo, 0, v5
	s_mov_b32 s2, 0
	s_cbranch_vccz .LBB313_664
; %bb.663:
	global_load_i8 v3, v[1:2], off
	s_branch .LBB313_665
.LBB313_664:
	s_mov_b32 s2, -1
                                        ; implicit-def: $vgpr3
.LBB313_665:
	s_delay_alu instid0(SALU_CYCLE_1)
	s_and_not1_b32 vcc_lo, exec_lo, s2
	s_cbranch_vccnz .LBB313_667
; %bb.666:
	global_load_u8 v3, v[1:2], off
.LBB313_667:
	s_mov_b32 s2, -1
.LBB313_668:
	s_delay_alu instid0(SALU_CYCLE_1)
	s_and_not1_b32 vcc_lo, exec_lo, s2
	s_cbranch_vccnz .LBB313_676
; %bb.669:
	s_waitcnt vmcnt(0)
	s_delay_alu instid0(VALU_DEP_1) | instskip(SKIP_3) | instid1(VALU_DEP_3)
	v_max_i16 v1, v3, s18
	v_and_b32_e64 v3, 0xff, s19
	v_add_co_u32 v0, s2, s4, v0
	s_mov_b32 s24, 0
	v_min_i16 v2, v1, s31
	s_delay_alu instid0(VALU_DEP_3)
	v_cmp_gt_i16_e32 vcc_lo, 11, v3
	v_add_co_ci_u32_e64 v1, null, s5, 0, s2
	s_mov_b32 s25, -1
	s_mov_b32 s2, s41
	s_cbranch_vccnz .LBB313_677
; %bb.670:
	v_cmp_lt_i16_e32 vcc_lo, 25, v3
	s_cbranch_vccz .LBB313_718
; %bb.671:
	v_cmp_lt_i16_e32 vcc_lo, 28, v3
	s_cbranch_vccz .LBB313_719
	;; [unrolled: 3-line block ×4, first 2 shown]
; %bb.674:
	v_cmp_eq_u16_e32 vcc_lo, 46, v3
	s_mov_b32 s25, 0
	s_mov_b32 s2, -1
	s_cbranch_vccz .LBB313_722
; %bb.675:
	v_bfe_i32 v4, v2, 0, 16
	s_mov_b32 s24, -1
	s_mov_b32 s2, 0
	s_delay_alu instid0(VALU_DEP_1) | instskip(NEXT) | instid1(VALU_DEP_1)
	v_cvt_f32_i32_e32 v4, v4
	v_bfe_u32 v6, v4, 16, 1
	s_delay_alu instid0(VALU_DEP_1) | instskip(NEXT) | instid1(VALU_DEP_1)
	v_add3_u32 v4, v4, v6, 0x7fff
	v_lshrrev_b32_e32 v4, 16, v4
	global_store_b32 v[0:1], v4, off
	s_branch .LBB313_722
.LBB313_676:
	s_mov_b32 s44, 0
	s_mov_b32 s2, s41
	s_branch .LBB313_717
.LBB313_677:
	s_and_b32 vcc_lo, exec_lo, s25
	s_cbranch_vccz .LBB313_791
; %bb.678:
	v_cmp_gt_i16_e32 vcc_lo, 5, v3
	s_mov_b32 s24, -1
	s_cbranch_vccnz .LBB313_699
; %bb.679:
	v_cmp_gt_i16_e32 vcc_lo, 8, v3
	s_cbranch_vccnz .LBB313_689
; %bb.680:
	v_cmp_gt_i16_e32 vcc_lo, 9, v3
	s_cbranch_vccnz .LBB313_686
; %bb.681:
	v_cmp_lt_i16_e32 vcc_lo, 9, v3
	s_cbranch_vccz .LBB313_683
; %bb.682:
	v_bfe_i32 v4, v2, 0, 16
	v_mov_b32_e32 v11, 0
	s_mov_b32 s24, 0
	s_delay_alu instid0(VALU_DEP_2) | instskip(NEXT) | instid1(VALU_DEP_2)
	v_cvt_f64_i32_e32 v[9:10], v4
	v_mov_b32_e32 v12, v11
	global_store_b128 v[0:1], v[9:12], off
.LBB313_683:
	s_and_not1_b32 vcc_lo, exec_lo, s24
	s_cbranch_vccnz .LBB313_685
; %bb.684:
	v_bfe_i32 v4, v2, 0, 16
	v_mov_b32_e32 v7, 0
	s_delay_alu instid0(VALU_DEP_2)
	v_cvt_f32_i32_e32 v6, v4
	global_store_b64 v[0:1], v[6:7], off
.LBB313_685:
	s_mov_b32 s24, 0
.LBB313_686:
	s_delay_alu instid0(SALU_CYCLE_1)
	s_and_not1_b32 vcc_lo, exec_lo, s24
	s_cbranch_vccnz .LBB313_688
; %bb.687:
	v_cvt_f16_i16_e32 v4, v2
	s_delay_alu instid0(VALU_DEP_1)
	v_and_b32_e32 v4, 0xffff, v4
	global_store_b32 v[0:1], v4, off
.LBB313_688:
	s_mov_b32 s24, 0
.LBB313_689:
	s_delay_alu instid0(SALU_CYCLE_1)
	s_and_not1_b32 vcc_lo, exec_lo, s24
	s_cbranch_vccnz .LBB313_698
; %bb.690:
	v_cmp_gt_i16_e32 vcc_lo, 6, v3
	s_mov_b32 s24, -1
	s_cbranch_vccnz .LBB313_696
; %bb.691:
	v_cmp_lt_i16_e32 vcc_lo, 6, v3
	s_cbranch_vccz .LBB313_693
; %bb.692:
	v_bfe_i32 v4, v2, 0, 16
	s_mov_b32 s24, 0
	s_delay_alu instid0(VALU_DEP_1)
	v_cvt_f64_i32_e32 v[6:7], v4
	global_store_b64 v[0:1], v[6:7], off
.LBB313_693:
	s_and_not1_b32 vcc_lo, exec_lo, s24
	s_cbranch_vccnz .LBB313_695
; %bb.694:
	v_bfe_i32 v4, v2, 0, 16
	s_delay_alu instid0(VALU_DEP_1)
	v_cvt_f32_i32_e32 v4, v4
	global_store_b32 v[0:1], v4, off
.LBB313_695:
	s_mov_b32 s24, 0
.LBB313_696:
	s_delay_alu instid0(SALU_CYCLE_1)
	s_and_not1_b32 vcc_lo, exec_lo, s24
	s_cbranch_vccnz .LBB313_698
; %bb.697:
	v_cvt_f16_i16_e32 v4, v2
	global_store_b16 v[0:1], v4, off
.LBB313_698:
	s_mov_b32 s24, 0
.LBB313_699:
	s_delay_alu instid0(SALU_CYCLE_1)
	s_and_not1_b32 vcc_lo, exec_lo, s24
	s_cbranch_vccnz .LBB313_715
; %bb.700:
	v_cmp_gt_i16_e32 vcc_lo, 2, v3
	s_mov_b32 s24, -1
	s_cbranch_vccnz .LBB313_710
; %bb.701:
	v_cmp_gt_i16_e32 vcc_lo, 3, v3
	s_cbranch_vccnz .LBB313_707
; %bb.702:
	v_cmp_lt_i16_e32 vcc_lo, 3, v3
	s_cbranch_vccz .LBB313_704
; %bb.703:
	v_bfe_i32 v6, v2, 0, 16
	s_mov_b32 s24, 0
	s_delay_alu instid0(VALU_DEP_1)
	v_ashrrev_i32_e32 v7, 31, v6
	global_store_b64 v[0:1], v[6:7], off
.LBB313_704:
	s_and_not1_b32 vcc_lo, exec_lo, s24
	s_cbranch_vccnz .LBB313_706
; %bb.705:
	v_bfe_i32 v4, v2, 0, 16
	global_store_b32 v[0:1], v4, off
.LBB313_706:
	s_mov_b32 s24, 0
.LBB313_707:
	s_delay_alu instid0(SALU_CYCLE_1)
	s_and_not1_b32 vcc_lo, exec_lo, s24
	s_cbranch_vccnz .LBB313_709
; %bb.708:
	global_store_b16 v[0:1], v2, off
.LBB313_709:
	s_mov_b32 s24, 0
.LBB313_710:
	s_delay_alu instid0(SALU_CYCLE_1)
	s_and_not1_b32 vcc_lo, exec_lo, s24
	s_cbranch_vccnz .LBB313_715
; %bb.711:
	v_cmp_lt_i16_e32 vcc_lo, 0, v3
	s_mov_b32 s24, -1
	s_cbranch_vccz .LBB313_713
; %bb.712:
	s_mov_b32 s24, 0
	global_store_b8 v[0:1], v2, off
.LBB313_713:
	s_and_not1_b32 vcc_lo, exec_lo, s24
	s_cbranch_vccnz .LBB313_715
; %bb.714:
	global_store_b8 v[0:1], v2, off
.LBB313_715:
	s_branch .LBB313_792
.LBB313_716:
	s_mov_b32 s44, 0
.LBB313_717:
                                        ; implicit-def: $vgpr8
	s_branch .LBB313_793
.LBB313_718:
	s_mov_b32 s2, s41
	s_branch .LBB313_749
.LBB313_719:
	s_mov_b32 s2, s41
	s_branch .LBB313_732
.LBB313_720:
	s_mov_b32 s2, s41
	s_branch .LBB313_728
.LBB313_721:
	s_mov_b32 s2, s41
.LBB313_722:
	s_and_b32 vcc_lo, exec_lo, s25
	s_cbranch_vccz .LBB313_727
; %bb.723:
	v_cmp_eq_u16_e32 vcc_lo, 44, v3
	s_mov_b32 s2, -1
	s_cbranch_vccz .LBB313_727
; %bb.724:
	v_bfe_i32 v4, v2, 0, 16
	v_mov_b32_e32 v6, 0xff
	s_mov_b32 s24, exec_lo
	s_delay_alu instid0(VALU_DEP_2) | instskip(NEXT) | instid1(VALU_DEP_1)
	v_cvt_f32_i32_e32 v4, v4
	v_bfe_u32 v7, v4, 23, 8
	s_delay_alu instid0(VALU_DEP_1)
	v_cmpx_ne_u32_e32 0xff, v7
; %bb.725:
	v_and_b32_e32 v6, 0x400000, v4
	v_and_or_b32 v7, 0x3fffff, v4, v7
	v_lshrrev_b32_e32 v4, 23, v4
	s_delay_alu instid0(VALU_DEP_3) | instskip(NEXT) | instid1(VALU_DEP_3)
	v_cmp_ne_u32_e32 vcc_lo, 0, v6
	v_cmp_ne_u32_e64 s2, 0, v7
	s_delay_alu instid0(VALU_DEP_1) | instskip(NEXT) | instid1(SALU_CYCLE_1)
	s_and_b32 s2, vcc_lo, s2
	v_cndmask_b32_e64 v6, 0, 1, s2
	s_delay_alu instid0(VALU_DEP_1)
	v_add_nc_u32_e32 v6, v4, v6
; %bb.726:
	s_or_b32 exec_lo, exec_lo, s24
	s_mov_b32 s24, -1
	s_mov_b32 s2, 0
	global_store_b8 v[0:1], v6, off
.LBB313_727:
	s_mov_b32 s25, 0
.LBB313_728:
	s_delay_alu instid0(SALU_CYCLE_1)
	s_and_b32 vcc_lo, exec_lo, s25
	s_cbranch_vccz .LBB313_731
; %bb.729:
	v_cmp_eq_u16_e32 vcc_lo, 29, v3
	s_mov_b32 s2, -1
	s_cbranch_vccz .LBB313_731
; %bb.730:
	v_bfe_i32 v6, v2, 0, 16
	s_mov_b32 s2, 0
	s_mov_b32 s24, -1
	s_mov_b32 s25, 0
	s_delay_alu instid0(VALU_DEP_1)
	v_ashrrev_i32_e32 v7, 31, v6
	global_store_b64 v[0:1], v[6:7], off
	s_branch .LBB313_732
.LBB313_731:
	s_mov_b32 s25, 0
.LBB313_732:
	s_delay_alu instid0(SALU_CYCLE_1)
	s_and_b32 vcc_lo, exec_lo, s25
	s_cbranch_vccz .LBB313_748
; %bb.733:
	v_cmp_gt_i16_e32 vcc_lo, 27, v3
	s_mov_b32 s24, -1
	s_cbranch_vccnz .LBB313_739
; %bb.734:
	v_cmp_lt_i16_e32 vcc_lo, 27, v3
	s_cbranch_vccz .LBB313_736
; %bb.735:
	v_bfe_i32 v4, v2, 0, 16
	s_mov_b32 s24, 0
	global_store_b32 v[0:1], v4, off
.LBB313_736:
	s_and_not1_b32 vcc_lo, exec_lo, s24
	s_cbranch_vccnz .LBB313_738
; %bb.737:
	global_store_b16 v[0:1], v2, off
.LBB313_738:
	s_mov_b32 s24, 0
.LBB313_739:
	s_delay_alu instid0(SALU_CYCLE_1)
	s_and_not1_b32 vcc_lo, exec_lo, s24
	s_cbranch_vccnz .LBB313_747
; %bb.740:
	v_bfe_i32 v4, v2, 0, 16
	v_mov_b32_e32 v7, 0x80
	s_mov_b32 s24, exec_lo
	s_delay_alu instid0(VALU_DEP_2) | instskip(NEXT) | instid1(VALU_DEP_1)
	v_cvt_f32_i32_e32 v4, v4
	v_and_b32_e32 v6, 0x7fffffff, v4
	s_delay_alu instid0(VALU_DEP_1)
	v_cmpx_gt_u32_e32 0x43800000, v6
	s_cbranch_execz .LBB313_746
; %bb.741:
	v_cmp_lt_u32_e32 vcc_lo, 0x3bffffff, v6
	s_mov_b32 s25, 0
                                        ; implicit-def: $vgpr6
	s_and_saveexec_b32 s44, vcc_lo
	s_delay_alu instid0(SALU_CYCLE_1)
	s_xor_b32 s44, exec_lo, s44
	s_cbranch_execz .LBB313_820
; %bb.742:
	v_bfe_u32 v6, v4, 20, 1
	s_mov_b32 s25, exec_lo
	s_delay_alu instid0(VALU_DEP_1) | instskip(NEXT) | instid1(VALU_DEP_1)
	v_add3_u32 v6, v4, v6, 0x487ffff
	v_lshrrev_b32_e32 v6, 20, v6
	s_or_saveexec_b32 s44, s44
                                        ; implicit-def: $sgpr45
	s_delay_alu instid0(SALU_CYCLE_1)
	s_xor_b32 exec_lo, exec_lo, s44
	s_cbranch_execnz .LBB313_821
.LBB313_743:
	s_or_b32 exec_lo, exec_lo, s44
	v_mov_b32_e32 v7, s45
	s_and_saveexec_b32 s44, s25
.LBB313_744:
	v_lshrrev_b32_e32 v4, 24, v4
	s_delay_alu instid0(VALU_DEP_1)
	v_and_or_b32 v7, 0x80, v4, v6
.LBB313_745:
	s_or_b32 exec_lo, exec_lo, s44
.LBB313_746:
	s_delay_alu instid0(SALU_CYCLE_1)
	s_or_b32 exec_lo, exec_lo, s24
	global_store_b8 v[0:1], v7, off
.LBB313_747:
	s_mov_b32 s24, -1
.LBB313_748:
	s_mov_b32 s25, 0
.LBB313_749:
	s_delay_alu instid0(SALU_CYCLE_1)
	s_and_b32 vcc_lo, exec_lo, s25
	s_cbranch_vccz .LBB313_790
; %bb.750:
	v_cmp_lt_i16_e32 vcc_lo, 22, v3
	s_mov_b32 s25, -1
	s_cbranch_vccz .LBB313_782
; %bb.751:
	v_cmp_gt_i16_e32 vcc_lo, 24, v3
	s_mov_b32 s24, -1
	s_cbranch_vccnz .LBB313_771
; %bb.752:
	v_cmp_lt_i16_e32 vcc_lo, 24, v3
	s_cbranch_vccz .LBB313_760
; %bb.753:
	v_bfe_i32 v4, v2, 0, 16
	v_mov_b32_e32 v7, 0x80
	s_mov_b32 s24, exec_lo
	s_delay_alu instid0(VALU_DEP_2) | instskip(NEXT) | instid1(VALU_DEP_1)
	v_cvt_f32_i32_e32 v4, v4
	v_and_b32_e32 v6, 0x7fffffff, v4
	s_delay_alu instid0(VALU_DEP_1)
	v_cmpx_gt_u32_e32 0x47800000, v6
	s_cbranch_execz .LBB313_759
; %bb.754:
	v_cmp_lt_u32_e32 vcc_lo, 0x37ffffff, v6
	s_mov_b32 s25, 0
                                        ; implicit-def: $vgpr6
	s_and_saveexec_b32 s44, vcc_lo
	s_delay_alu instid0(SALU_CYCLE_1)
	s_xor_b32 s44, exec_lo, s44
	s_cbranch_execz .LBB313_823
; %bb.755:
	v_bfe_u32 v6, v4, 21, 1
	s_mov_b32 s25, exec_lo
	s_delay_alu instid0(VALU_DEP_1) | instskip(NEXT) | instid1(VALU_DEP_1)
	v_add3_u32 v6, v4, v6, 0x88fffff
	v_lshrrev_b32_e32 v6, 21, v6
	s_or_saveexec_b32 s44, s44
                                        ; implicit-def: $sgpr45
	s_delay_alu instid0(SALU_CYCLE_1)
	s_xor_b32 exec_lo, exec_lo, s44
	s_cbranch_execnz .LBB313_824
.LBB313_756:
	s_or_b32 exec_lo, exec_lo, s44
	v_mov_b32_e32 v7, s45
	s_and_saveexec_b32 s44, s25
.LBB313_757:
	v_lshrrev_b32_e32 v4, 24, v4
	s_delay_alu instid0(VALU_DEP_1)
	v_and_or_b32 v7, 0x80, v4, v6
.LBB313_758:
	s_or_b32 exec_lo, exec_lo, s44
.LBB313_759:
	s_delay_alu instid0(SALU_CYCLE_1)
	s_or_b32 exec_lo, exec_lo, s24
	s_mov_b32 s24, 0
	global_store_b8 v[0:1], v7, off
.LBB313_760:
	s_and_b32 vcc_lo, exec_lo, s24
	s_cbranch_vccz .LBB313_770
; %bb.761:
	v_bfe_i32 v4, v2, 0, 16
	s_mov_b32 s24, exec_lo
                                        ; implicit-def: $vgpr6
	s_delay_alu instid0(VALU_DEP_1) | instskip(NEXT) | instid1(VALU_DEP_1)
	v_cvt_f32_i32_e32 v4, v4
	v_and_b32_e32 v7, 0x7fffffff, v4
	s_delay_alu instid0(VALU_DEP_1)
	v_cmpx_gt_u32_e32 0x43f00000, v7
	s_xor_b32 s24, exec_lo, s24
	s_cbranch_execz .LBB313_767
; %bb.762:
	s_mov_b32 s25, exec_lo
                                        ; implicit-def: $vgpr6
	v_cmpx_lt_u32_e32 0x3c7fffff, v7
	s_xor_b32 s25, exec_lo, s25
; %bb.763:
	v_bfe_u32 v6, v4, 20, 1
	s_delay_alu instid0(VALU_DEP_1) | instskip(NEXT) | instid1(VALU_DEP_1)
	v_add3_u32 v6, v4, v6, 0x407ffff
	v_and_b32_e32 v7, 0xff00000, v6
	v_lshrrev_b32_e32 v6, 20, v6
	s_delay_alu instid0(VALU_DEP_2) | instskip(NEXT) | instid1(VALU_DEP_2)
	v_cmp_ne_u32_e32 vcc_lo, 0x7f00000, v7
	v_cndmask_b32_e32 v6, 0x7e, v6, vcc_lo
; %bb.764:
	s_and_not1_saveexec_b32 s25, s25
; %bb.765:
	v_add_f32_e64 v6, 0x46800000, |v4|
; %bb.766:
	s_or_b32 exec_lo, exec_lo, s25
                                        ; implicit-def: $vgpr7
.LBB313_767:
	s_and_not1_saveexec_b32 s24, s24
; %bb.768:
	v_mov_b32_e32 v6, 0x7f
	v_cmp_lt_u32_e32 vcc_lo, 0x7f800000, v7
	s_delay_alu instid0(VALU_DEP_2)
	v_cndmask_b32_e32 v6, 0x7e, v6, vcc_lo
; %bb.769:
	s_or_b32 exec_lo, exec_lo, s24
	v_lshrrev_b32_e32 v4, 24, v4
	s_delay_alu instid0(VALU_DEP_1)
	v_and_or_b32 v4, 0x80, v4, v6
	global_store_b8 v[0:1], v4, off
.LBB313_770:
	s_mov_b32 s24, 0
.LBB313_771:
	s_delay_alu instid0(SALU_CYCLE_1)
	s_and_not1_b32 vcc_lo, exec_lo, s24
	s_cbranch_vccnz .LBB313_781
; %bb.772:
	v_bfe_i32 v4, v2, 0, 16
	s_mov_b32 s24, exec_lo
                                        ; implicit-def: $vgpr6
	s_delay_alu instid0(VALU_DEP_1) | instskip(NEXT) | instid1(VALU_DEP_1)
	v_cvt_f32_i32_e32 v4, v4
	v_and_b32_e32 v7, 0x7fffffff, v4
	s_delay_alu instid0(VALU_DEP_1)
	v_cmpx_gt_u32_e32 0x47800000, v7
	s_xor_b32 s24, exec_lo, s24
	s_cbranch_execz .LBB313_778
; %bb.773:
	s_mov_b32 s25, exec_lo
                                        ; implicit-def: $vgpr6
	v_cmpx_lt_u32_e32 0x387fffff, v7
	s_xor_b32 s25, exec_lo, s25
; %bb.774:
	v_bfe_u32 v6, v4, 21, 1
	s_delay_alu instid0(VALU_DEP_1) | instskip(NEXT) | instid1(VALU_DEP_1)
	v_add3_u32 v6, v4, v6, 0x80fffff
	v_lshrrev_b32_e32 v6, 21, v6
; %bb.775:
	s_and_not1_saveexec_b32 s25, s25
; %bb.776:
	v_add_f32_e64 v6, 0x43000000, |v4|
; %bb.777:
	s_or_b32 exec_lo, exec_lo, s25
                                        ; implicit-def: $vgpr7
.LBB313_778:
	s_and_not1_saveexec_b32 s24, s24
; %bb.779:
	v_mov_b32_e32 v6, 0x7f
	v_cmp_lt_u32_e32 vcc_lo, 0x7f800000, v7
	s_delay_alu instid0(VALU_DEP_2)
	v_cndmask_b32_e32 v6, 0x7c, v6, vcc_lo
; %bb.780:
	s_or_b32 exec_lo, exec_lo, s24
	v_lshrrev_b32_e32 v4, 24, v4
	s_delay_alu instid0(VALU_DEP_1)
	v_and_or_b32 v4, 0x80, v4, v6
	global_store_b8 v[0:1], v4, off
.LBB313_781:
	s_mov_b32 s25, 0
	s_mov_b32 s24, -1
.LBB313_782:
	s_and_not1_b32 vcc_lo, exec_lo, s25
	s_cbranch_vccnz .LBB313_790
; %bb.783:
	v_cmp_lt_i16_e32 vcc_lo, 14, v3
	s_mov_b32 s25, -1
	s_cbranch_vccz .LBB313_787
; %bb.784:
	v_cmp_eq_u16_e32 vcc_lo, 15, v3
	s_mov_b32 s2, -1
	s_cbranch_vccz .LBB313_786
; %bb.785:
	v_bfe_i32 v4, v2, 0, 16
	s_mov_b32 s24, -1
	s_mov_b32 s2, 0
	s_delay_alu instid0(VALU_DEP_1) | instskip(NEXT) | instid1(VALU_DEP_1)
	v_cvt_f32_i32_e32 v4, v4
	v_bfe_u32 v6, v4, 16, 1
	s_delay_alu instid0(VALU_DEP_1)
	v_add3_u32 v4, v4, v6, 0x7fff
	global_store_d16_hi_b16 v[0:1], v4, off
.LBB313_786:
	s_mov_b32 s25, 0
.LBB313_787:
	s_delay_alu instid0(SALU_CYCLE_1)
	s_and_b32 vcc_lo, exec_lo, s25
	s_cbranch_vccz .LBB313_790
; %bb.788:
	v_cmp_eq_u16_e32 vcc_lo, 11, v3
	s_mov_b32 s2, -1
	s_cbranch_vccz .LBB313_790
; %bb.789:
	v_cmp_ne_u16_e32 vcc_lo, 0, v2
	s_mov_b32 s2, 0
	s_mov_b32 s24, -1
	v_cndmask_b32_e64 v4, 0, 1, vcc_lo
	global_store_b8 v[0:1], v4, off
.LBB313_790:
.LBB313_791:
	s_and_not1_b32 vcc_lo, exec_lo, s24
	s_cbranch_vccnz .LBB313_716
.LBB313_792:
	v_add_nc_u32_e32 v8, 0x80, v8
	s_mov_b32 s44, -1
.LBB313_793:
	s_and_not1_b32 s24, s41, exec_lo
	s_and_b32 s2, s2, exec_lo
	s_and_not1_b32 s45, s40, exec_lo
	s_and_b32 s3, s3, exec_lo
	s_or_b32 s25, s24, s2
	s_or_b32 s24, s45, s3
	s_or_not1_b32 s45, s44, exec_lo
.LBB313_794:
	s_or_b32 exec_lo, exec_lo, s43
	s_mov_b32 s2, 0
	s_mov_b32 s3, 0
	;; [unrolled: 1-line block ×3, first 2 shown]
                                        ; implicit-def: $vgpr1_vgpr2
                                        ; implicit-def: $vgpr0
                                        ; implicit-def: $vgpr3
	s_and_saveexec_b32 s43, s45
	s_cbranch_execz .LBB313_888
; %bb.795:
	v_cmp_gt_i32_e32 vcc_lo, s34, v8
	s_mov_b32 s46, s24
	s_mov_b32 s45, 0
                                        ; implicit-def: $vgpr1_vgpr2
                                        ; implicit-def: $vgpr0
                                        ; implicit-def: $vgpr3
	s_and_saveexec_b32 s34, vcc_lo
	s_cbranch_execz .LBB313_887
; %bb.796:
	s_and_not1_b32 vcc_lo, exec_lo, s29
	s_cbranch_vccnz .LBB313_801
; %bb.797:
	v_dual_mov_b32 v0, 0 :: v_dual_mov_b32 v1, 0
	s_and_not1_b32 vcc_lo, exec_lo, s36
	s_mov_b32 s36, 0
	s_cbranch_vccnz .LBB313_806
; %bb.798:
	v_mov_b32_e32 v0, 0
	s_add_i32 s44, s35, 1
	s_cmp_eq_u32 s27, 2
	s_mov_b32 s35, 0
	s_cbranch_scc1 .LBB313_802
; %bb.799:
	v_dual_mov_b32 v1, 0 :: v_dual_mov_b32 v0, 0
	v_mov_b32_e32 v2, v8
	s_and_b32 s35, s44, 28
	s_mov_b64 s[2:3], s[16:17]
.LBB313_800:                            ; =>This Inner Loop Header: Depth=1
	s_clause 0x1
	s_load_b256 s[48:55], s[2:3], 0x4
	s_load_b128 s[64:67], s[2:3], 0x24
	s_load_b256 s[56:63], s[22:23], 0x0
	s_add_u32 s2, s2, 48
	s_addc_u32 s3, s3, 0
	s_add_i32 s45, s45, 4
	s_add_u32 s22, s22, 32
	s_addc_u32 s23, s23, 0
	s_cmp_eq_u32 s35, s45
	s_waitcnt vmcnt(0) lgkmcnt(0)
	v_mul_hi_u32 v3, s49, v2
	s_delay_alu instid0(VALU_DEP_1) | instskip(NEXT) | instid1(VALU_DEP_1)
	v_add_nc_u32_e32 v3, v2, v3
	v_lshrrev_b32_e32 v3, s50, v3
	s_delay_alu instid0(VALU_DEP_1) | instskip(SKIP_1) | instid1(VALU_DEP_2)
	v_mul_hi_u32 v4, s52, v3
	v_mul_lo_u32 v7, v3, s48
	v_add_nc_u32_e32 v4, v3, v4
	s_delay_alu instid0(VALU_DEP_2) | instskip(NEXT) | instid1(VALU_DEP_2)
	v_sub_nc_u32_e32 v2, v2, v7
	v_lshrrev_b32_e32 v4, s53, v4
	s_delay_alu instid0(VALU_DEP_2) | instskip(SKIP_1) | instid1(VALU_DEP_3)
	v_mul_lo_u32 v7, v2, s56
	v_mul_lo_u32 v10, v2, s57
	v_mul_hi_u32 v6, s55, v4
	s_delay_alu instid0(VALU_DEP_1) | instskip(NEXT) | instid1(VALU_DEP_1)
	v_add_nc_u32_e32 v6, v4, v6
	v_lshrrev_b32_e32 v6, s64, v6
	s_delay_alu instid0(VALU_DEP_1) | instskip(SKIP_1) | instid1(VALU_DEP_2)
	v_mul_hi_u32 v9, s66, v6
	v_mul_lo_u32 v11, v6, s54
	v_add_nc_u32_e32 v2, v6, v9
	v_mul_lo_u32 v9, v4, s51
	s_delay_alu instid0(VALU_DEP_3) | instskip(NEXT) | instid1(VALU_DEP_3)
	v_sub_nc_u32_e32 v4, v4, v11
	v_lshrrev_b32_e32 v2, s67, v2
	s_delay_alu instid0(VALU_DEP_2) | instskip(SKIP_2) | instid1(VALU_DEP_4)
	v_mul_lo_u32 v11, v4, s60
	v_mul_lo_u32 v4, v4, s61
	v_sub_nc_u32_e32 v3, v3, v9
	v_mul_lo_u32 v12, v2, s65
	s_delay_alu instid0(VALU_DEP_2) | instskip(SKIP_1) | instid1(VALU_DEP_3)
	v_mul_lo_u32 v9, v3, s58
	v_mul_lo_u32 v3, v3, s59
	v_sub_nc_u32_e32 v6, v6, v12
	s_delay_alu instid0(VALU_DEP_3) | instskip(NEXT) | instid1(VALU_DEP_2)
	v_add3_u32 v0, v7, v0, v9
	v_mul_lo_u32 v12, v6, s62
	v_mul_lo_u32 v6, v6, s63
	v_add3_u32 v1, v10, v1, v3
	s_delay_alu instid0(VALU_DEP_3) | instskip(NEXT) | instid1(VALU_DEP_2)
	v_add3_u32 v0, v11, v0, v12
	v_add3_u32 v1, v4, v1, v6
	s_cbranch_scc0 .LBB313_800
	s_branch .LBB313_803
.LBB313_801:
	s_mov_b32 s36, -1
                                        ; implicit-def: $vgpr0
                                        ; implicit-def: $vgpr1
	s_branch .LBB313_806
.LBB313_802:
	v_dual_mov_b32 v2, v8 :: v_dual_mov_b32 v1, 0
.LBB313_803:
	s_and_b32 s44, s44, 3
	s_delay_alu instid0(SALU_CYCLE_1)
	s_cmp_eq_u32 s44, 0
	s_cbranch_scc1 .LBB313_806
; %bb.804:
	s_lshl_b32 s2, s35, 3
	s_mul_i32 s22, s35, 12
	s_add_u32 s2, s2, s16
	s_addc_u32 s3, s17, 0
	s_add_u32 s2, s2, 0xc4
	s_addc_u32 s3, s3, 0
	;; [unrolled: 2-line block ×3, first 2 shown]
.LBB313_805:                            ; =>This Inner Loop Header: Depth=1
	s_clause 0x1
	s_load_b64 s[46:47], s[22:23], 0x4
	s_load_b32 s35, s[22:23], 0xc
	s_load_b64 s[48:49], s[2:3], 0x0
	s_add_u32 s22, s22, 12
	s_addc_u32 s23, s23, 0
	s_add_u32 s2, s2, 8
	s_addc_u32 s3, s3, 0
	s_add_i32 s44, s44, -1
	s_delay_alu instid0(SALU_CYCLE_1) | instskip(SKIP_2) | instid1(VALU_DEP_1)
	s_cmp_lg_u32 s44, 0
	s_waitcnt vmcnt(0) lgkmcnt(0)
	v_mul_hi_u32 v3, s47, v2
	v_add_nc_u32_e32 v3, v2, v3
	s_delay_alu instid0(VALU_DEP_1) | instskip(NEXT) | instid1(VALU_DEP_1)
	v_lshrrev_b32_e32 v9, s35, v3
	v_mul_lo_u32 v3, v9, s46
	s_delay_alu instid0(VALU_DEP_1) | instskip(NEXT) | instid1(VALU_DEP_1)
	v_sub_nc_u32_e32 v2, v2, v3
	v_mad_u64_u32 v[3:4], null, v2, s48, v[0:1]
	v_mad_u64_u32 v[6:7], null, v2, s49, v[1:2]
	v_mov_b32_e32 v2, v9
	s_delay_alu instid0(VALU_DEP_2)
	v_dual_mov_b32 v0, v3 :: v_dual_mov_b32 v1, v6
	s_cbranch_scc1 .LBB313_805
.LBB313_806:
	s_and_not1_b32 vcc_lo, exec_lo, s36
	s_cbranch_vccnz .LBB313_809
; %bb.807:
	v_mul_hi_u32 v0, s13, v8
	s_and_not1_b32 vcc_lo, exec_lo, s33
	s_delay_alu instid0(VALU_DEP_1) | instskip(NEXT) | instid1(VALU_DEP_1)
	v_add_nc_u32_e32 v0, v8, v0
	v_lshrrev_b32_e32 v2, s14, v0
	s_delay_alu instid0(VALU_DEP_1) | instskip(NEXT) | instid1(VALU_DEP_1)
	v_mul_lo_u32 v0, v2, s12
	v_sub_nc_u32_e32 v1, v8, v0
	s_delay_alu instid0(VALU_DEP_1)
	v_mul_lo_u32 v0, v1, s8
	v_mul_lo_u32 v1, v1, s9
	s_cbranch_vccnz .LBB313_809
; %bb.808:
	s_waitcnt vmcnt(0)
	v_mul_hi_u32 v3, s20, v2
	s_delay_alu instid0(VALU_DEP_1) | instskip(NEXT) | instid1(VALU_DEP_1)
	v_add_nc_u32_e32 v3, v2, v3
	v_lshrrev_b32_e32 v3, s21, v3
	s_delay_alu instid0(VALU_DEP_1) | instskip(NEXT) | instid1(VALU_DEP_1)
	v_mul_lo_u32 v3, v3, s15
	v_sub_nc_u32_e32 v6, v2, v3
	s_delay_alu instid0(VALU_DEP_1) | instskip(NEXT) | instid1(VALU_DEP_1)
	v_mad_u64_u32 v[2:3], null, v6, s10, v[0:1]
	v_mad_u64_u32 v[3:4], null, v6, s11, v[1:2]
	s_delay_alu instid0(VALU_DEP_1)
	v_dual_mov_b32 v0, v2 :: v_dual_mov_b32 v1, v3
.LBB313_809:
	v_cmp_gt_i16_e32 vcc_lo, 11, v5
	s_delay_alu instid0(VALU_DEP_2) | instskip(NEXT) | instid1(VALU_DEP_1)
	v_add_co_u32 v1, s2, s6, v1
	v_add_co_ci_u32_e64 v2, null, s7, 0, s2
	s_mov_b32 s6, 0
	s_cbranch_vccnz .LBB313_816
; %bb.810:
	v_cmp_lt_i16_e32 vcc_lo, 25, v5
	s_mov_b32 s3, 0
	s_cbranch_vccz .LBB313_817
; %bb.811:
	v_cmp_lt_i16_e32 vcc_lo, 28, v5
	s_cbranch_vccz .LBB313_818
; %bb.812:
	v_cmp_lt_i16_e32 vcc_lo, 43, v5
	;; [unrolled: 3-line block ×3, first 2 shown]
	s_cbranch_vccz .LBB313_822
; %bb.814:
	v_cmp_eq_u16_e32 vcc_lo, 46, v5
	s_mov_b32 s7, 0
	s_cbranch_vccz .LBB313_825
; %bb.815:
	global_load_b32 v3, v[1:2], off
	s_mov_b32 s2, 0
	s_mov_b32 s6, -1
	s_waitcnt vmcnt(0)
	v_lshlrev_b32_e32 v3, 16, v3
	s_delay_alu instid0(VALU_DEP_1)
	v_cvt_i32_f32_e32 v3, v3
	s_branch .LBB313_827
.LBB313_816:
	s_mov_b32 s7, -1
	s_mov_b32 s3, 0
	s_mov_b32 s2, s24
                                        ; implicit-def: $vgpr3
	s_branch .LBB313_886
.LBB313_817:
	s_mov_b32 s7, -1
	s_mov_b32 s2, s24
                                        ; implicit-def: $vgpr3
	s_branch .LBB313_854
.LBB313_818:
	s_mov_b32 s7, -1
	s_mov_b32 s2, s24
                                        ; implicit-def: $vgpr3
	s_branch .LBB313_837
.LBB313_819:
	s_mov_b32 s7, -1
	s_mov_b32 s2, s24
                                        ; implicit-def: $vgpr3
	s_branch .LBB313_832
.LBB313_820:
	s_or_saveexec_b32 s44, s44
                                        ; implicit-def: $sgpr45
	s_delay_alu instid0(SALU_CYCLE_1)
	s_xor_b32 exec_lo, exec_lo, s44
	s_cbranch_execz .LBB313_743
.LBB313_821:
	v_add_f32_e64 v6, 0x46000000, |v4|
	s_and_not1_b32 s25, s25, exec_lo
	s_mov_b32 s45, 0
	s_delay_alu instid0(VALU_DEP_1) | instskip(NEXT) | instid1(VALU_DEP_1)
	v_and_b32_e32 v6, 0xff, v6
	v_cmp_ne_u32_e32 vcc_lo, 0, v6
	s_and_b32 s46, vcc_lo, exec_lo
	s_delay_alu instid0(SALU_CYCLE_1)
	s_or_b32 s25, s25, s46
	s_or_b32 exec_lo, exec_lo, s44
	v_mov_b32_e32 v7, s45
	s_and_saveexec_b32 s44, s25
	s_cbranch_execnz .LBB313_744
	s_branch .LBB313_745
.LBB313_822:
	s_mov_b32 s7, -1
	s_mov_b32 s2, s24
	s_branch .LBB313_826
.LBB313_823:
	s_or_saveexec_b32 s44, s44
                                        ; implicit-def: $sgpr45
	s_delay_alu instid0(SALU_CYCLE_1)
	s_xor_b32 exec_lo, exec_lo, s44
	s_cbranch_execz .LBB313_756
.LBB313_824:
	v_add_f32_e64 v6, 0x42800000, |v4|
	s_and_not1_b32 s25, s25, exec_lo
	s_mov_b32 s45, 0
	s_delay_alu instid0(VALU_DEP_1) | instskip(NEXT) | instid1(VALU_DEP_1)
	v_and_b32_e32 v6, 0xff, v6
	v_cmp_ne_u32_e32 vcc_lo, 0, v6
	s_and_b32 s46, vcc_lo, exec_lo
	s_delay_alu instid0(SALU_CYCLE_1)
	s_or_b32 s25, s25, s46
	s_or_b32 exec_lo, exec_lo, s44
	v_mov_b32_e32 v7, s45
	s_and_saveexec_b32 s44, s25
	s_cbranch_execnz .LBB313_757
	s_branch .LBB313_758
.LBB313_825:
	s_mov_b32 s2, -1
.LBB313_826:
                                        ; implicit-def: $vgpr3
.LBB313_827:
	s_and_b32 vcc_lo, exec_lo, s7
	s_cbranch_vccz .LBB313_831
; %bb.828:
	v_cmp_eq_u16_e32 vcc_lo, 44, v5
	s_cbranch_vccz .LBB313_830
; %bb.829:
	global_load_u8 v3, v[1:2], off
	s_mov_b32 s2, 0
	s_mov_b32 s6, -1
	s_waitcnt vmcnt(0)
	v_lshlrev_b32_e32 v4, 23, v3
	v_cmp_ne_u32_e32 vcc_lo, 0, v3
	s_delay_alu instid0(VALU_DEP_2) | instskip(NEXT) | instid1(VALU_DEP_1)
	v_cvt_i32_f32_e32 v4, v4
	v_cndmask_b32_e32 v3, 0, v4, vcc_lo
	s_branch .LBB313_831
.LBB313_830:
	s_mov_b32 s2, -1
                                        ; implicit-def: $vgpr3
.LBB313_831:
	s_mov_b32 s7, 0
.LBB313_832:
	s_delay_alu instid0(SALU_CYCLE_1)
	s_and_b32 vcc_lo, exec_lo, s7
	s_cbranch_vccz .LBB313_836
; %bb.833:
	v_cmp_eq_u16_e32 vcc_lo, 29, v5
	s_cbranch_vccz .LBB313_835
; %bb.834:
	global_load_b64 v[3:4], v[1:2], off
	s_mov_b32 s2, 0
	s_mov_b32 s6, -1
	s_branch .LBB313_836
.LBB313_835:
	s_mov_b32 s2, -1
                                        ; implicit-def: $vgpr3
.LBB313_836:
	s_mov_b32 s7, 0
.LBB313_837:
	s_delay_alu instid0(SALU_CYCLE_1)
	s_and_b32 vcc_lo, exec_lo, s7
	s_cbranch_vccz .LBB313_853
; %bb.838:
	v_cmp_gt_i16_e32 vcc_lo, 27, v5
	s_cbranch_vccnz .LBB313_841
; %bb.839:
	v_cmp_lt_i16_e32 vcc_lo, 27, v5
	s_cbranch_vccz .LBB313_842
; %bb.840:
	global_load_b32 v3, v[1:2], off
	s_mov_b32 s6, 0
	s_branch .LBB313_843
.LBB313_841:
	s_mov_b32 s6, -1
                                        ; implicit-def: $vgpr3
	s_branch .LBB313_846
.LBB313_842:
	s_mov_b32 s6, -1
                                        ; implicit-def: $vgpr3
.LBB313_843:
	s_delay_alu instid0(SALU_CYCLE_1)
	s_and_not1_b32 vcc_lo, exec_lo, s6
	s_cbranch_vccnz .LBB313_845
; %bb.844:
	global_load_u16 v3, v[1:2], off
.LBB313_845:
	s_mov_b32 s6, 0
.LBB313_846:
	s_delay_alu instid0(SALU_CYCLE_1)
	s_and_not1_b32 vcc_lo, exec_lo, s6
	s_cbranch_vccnz .LBB313_852
; %bb.847:
	global_load_u8 v4, v[1:2], off
	s_mov_b32 s6, 0
	s_mov_b32 s7, exec_lo
                                        ; implicit-def: $sgpr8
	s_waitcnt vmcnt(0)
	v_cmpx_lt_i16_e32 0x7f, v4
	s_xor_b32 s7, exec_lo, s7
	s_cbranch_execz .LBB313_864
; %bb.848:
	v_cmp_ne_u16_e32 vcc_lo, 0x80, v4
	s_mov_b32 s8, 0
	s_and_b32 s6, vcc_lo, exec_lo
	s_or_saveexec_b32 s7, s7
	v_mov_b32_e32 v3, s8
	s_xor_b32 exec_lo, exec_lo, s7
	s_cbranch_execnz .LBB313_865
.LBB313_849:
	s_or_b32 exec_lo, exec_lo, s7
	s_and_saveexec_b32 s7, s6
	s_cbranch_execz .LBB313_851
.LBB313_850:
	v_and_b32_e32 v3, 0xffff, v4
	v_lshlrev_b32_e32 v4, 24, v4
	s_delay_alu instid0(VALU_DEP_2) | instskip(NEXT) | instid1(VALU_DEP_2)
	v_and_b32_e32 v6, 7, v3
	v_and_b32_e32 v4, 0x80000000, v4
	s_delay_alu instid0(VALU_DEP_2) | instskip(NEXT) | instid1(VALU_DEP_1)
	v_clz_i32_u32_e32 v7, v6
	v_min_u32_e32 v7, 32, v7
	s_delay_alu instid0(VALU_DEP_1) | instskip(SKIP_1) | instid1(VALU_DEP_2)
	v_subrev_nc_u32_e32 v8, 28, v7
	v_sub_nc_u32_e32 v7, 29, v7
	v_lshlrev_b32_e32 v8, v8, v3
	v_bfe_u32 v3, v3, 3, 4
	s_delay_alu instid0(VALU_DEP_1) | instskip(NEXT) | instid1(VALU_DEP_3)
	v_cmp_eq_u32_e32 vcc_lo, 0, v3
	v_dual_cndmask_b32 v3, v3, v7 :: v_dual_and_b32 v8, 7, v8
	s_delay_alu instid0(VALU_DEP_1) | instskip(NEXT) | instid1(VALU_DEP_2)
	v_cndmask_b32_e32 v6, v6, v8, vcc_lo
	v_lshl_add_u32 v3, v3, 23, 0x3b800000
	s_delay_alu instid0(VALU_DEP_2) | instskip(NEXT) | instid1(VALU_DEP_1)
	v_lshlrev_b32_e32 v6, 20, v6
	v_or3_b32 v3, v4, v3, v6
	s_delay_alu instid0(VALU_DEP_1)
	v_cvt_i32_f32_e32 v3, v3
.LBB313_851:
	s_or_b32 exec_lo, exec_lo, s7
.LBB313_852:
	s_mov_b32 s6, -1
.LBB313_853:
	s_mov_b32 s7, 0
.LBB313_854:
	s_delay_alu instid0(SALU_CYCLE_1)
	s_and_b32 vcc_lo, exec_lo, s7
	s_cbranch_vccz .LBB313_885
; %bb.855:
	v_cmp_lt_i16_e32 vcc_lo, 22, v5
	s_cbranch_vccz .LBB313_863
; %bb.856:
	v_cmp_gt_i16_e32 vcc_lo, 24, v5
	s_cbranch_vccnz .LBB313_866
; %bb.857:
	v_cmp_lt_i16_e32 vcc_lo, 24, v5
	s_cbranch_vccz .LBB313_867
; %bb.858:
	global_load_u8 v4, v[1:2], off
	s_mov_b32 s6, exec_lo
                                        ; implicit-def: $sgpr7
	s_waitcnt vmcnt(0)
	v_cmpx_lt_i16_e32 0x7f, v4
	s_xor_b32 s6, exec_lo, s6
	s_cbranch_execz .LBB313_879
; %bb.859:
	v_cmp_ne_u16_e32 vcc_lo, 0x80, v4
	s_mov_b32 s7, 0
	s_and_b32 s3, vcc_lo, exec_lo
	s_or_saveexec_b32 s6, s6
	v_mov_b32_e32 v3, s7
	s_xor_b32 exec_lo, exec_lo, s6
	s_cbranch_execnz .LBB313_880
.LBB313_860:
	s_or_b32 exec_lo, exec_lo, s6
	s_and_saveexec_b32 s6, s3
	s_cbranch_execz .LBB313_862
.LBB313_861:
	v_and_b32_e32 v3, 0xffff, v4
	v_lshlrev_b32_e32 v4, 24, v4
	s_delay_alu instid0(VALU_DEP_2) | instskip(NEXT) | instid1(VALU_DEP_2)
	v_and_b32_e32 v6, 3, v3
	v_and_b32_e32 v4, 0x80000000, v4
	s_delay_alu instid0(VALU_DEP_2) | instskip(NEXT) | instid1(VALU_DEP_1)
	v_clz_i32_u32_e32 v7, v6
	v_min_u32_e32 v7, 32, v7
	s_delay_alu instid0(VALU_DEP_1) | instskip(SKIP_1) | instid1(VALU_DEP_2)
	v_subrev_nc_u32_e32 v8, 29, v7
	v_sub_nc_u32_e32 v7, 30, v7
	v_lshlrev_b32_e32 v8, v8, v3
	v_bfe_u32 v3, v3, 2, 5
	s_delay_alu instid0(VALU_DEP_1) | instskip(NEXT) | instid1(VALU_DEP_3)
	v_cmp_eq_u32_e32 vcc_lo, 0, v3
	v_dual_cndmask_b32 v3, v3, v7 :: v_dual_and_b32 v8, 3, v8
	s_delay_alu instid0(VALU_DEP_1) | instskip(NEXT) | instid1(VALU_DEP_2)
	v_cndmask_b32_e32 v6, v6, v8, vcc_lo
	v_lshl_add_u32 v3, v3, 23, 0x37800000
	s_delay_alu instid0(VALU_DEP_2) | instskip(NEXT) | instid1(VALU_DEP_1)
	v_lshlrev_b32_e32 v6, 21, v6
	v_or3_b32 v3, v4, v3, v6
	s_delay_alu instid0(VALU_DEP_1)
	v_cvt_i32_f32_e32 v3, v3
.LBB313_862:
	s_or_b32 exec_lo, exec_lo, s6
	s_mov_b32 s3, 0
	s_branch .LBB313_868
.LBB313_863:
	s_mov_b32 s3, -1
                                        ; implicit-def: $vgpr3
	s_branch .LBB313_874
.LBB313_864:
	s_or_saveexec_b32 s7, s7
	v_mov_b32_e32 v3, s8
	s_xor_b32 exec_lo, exec_lo, s7
	s_cbranch_execz .LBB313_849
.LBB313_865:
	v_cmp_ne_u16_e32 vcc_lo, 0, v4
	v_mov_b32_e32 v3, 0
	s_and_not1_b32 s6, s6, exec_lo
	s_and_b32 s8, vcc_lo, exec_lo
	s_delay_alu instid0(SALU_CYCLE_1)
	s_or_b32 s6, s6, s8
	s_or_b32 exec_lo, exec_lo, s7
	s_and_saveexec_b32 s7, s6
	s_cbranch_execnz .LBB313_850
	s_branch .LBB313_851
.LBB313_866:
	s_mov_b32 s3, -1
                                        ; implicit-def: $vgpr3
	s_branch .LBB313_871
.LBB313_867:
	s_mov_b32 s3, -1
                                        ; implicit-def: $vgpr3
.LBB313_868:
	s_delay_alu instid0(SALU_CYCLE_1)
	s_and_b32 vcc_lo, exec_lo, s3
	s_cbranch_vccz .LBB313_870
; %bb.869:
	global_load_u8 v3, v[1:2], off
	s_waitcnt vmcnt(0)
	v_lshlrev_b32_e32 v3, 24, v3
	s_delay_alu instid0(VALU_DEP_1) | instskip(NEXT) | instid1(VALU_DEP_1)
	v_and_b32_e32 v4, 0x7f000000, v3
	v_clz_i32_u32_e32 v6, v4
	v_add_nc_u32_e32 v8, 0x1000000, v4
	v_cmp_ne_u32_e32 vcc_lo, 0, v4
	s_delay_alu instid0(VALU_DEP_3) | instskip(NEXT) | instid1(VALU_DEP_1)
	v_min_u32_e32 v6, 32, v6
	v_sub_nc_u32_e64 v6, v6, 4 clamp
	s_delay_alu instid0(VALU_DEP_1) | instskip(SKIP_1) | instid1(VALU_DEP_2)
	v_lshlrev_b32_e32 v7, v6, v4
	v_lshlrev_b32_e32 v6, 23, v6
	v_lshrrev_b32_e32 v7, 4, v7
	s_delay_alu instid0(VALU_DEP_1) | instskip(SKIP_1) | instid1(VALU_DEP_2)
	v_sub_nc_u32_e32 v6, v7, v6
	v_ashrrev_i32_e32 v7, 8, v8
	v_add_nc_u32_e32 v6, 0x3c000000, v6
	s_delay_alu instid0(VALU_DEP_1) | instskip(NEXT) | instid1(VALU_DEP_1)
	v_and_or_b32 v6, 0x7f800000, v7, v6
	v_cndmask_b32_e32 v4, 0, v6, vcc_lo
	s_delay_alu instid0(VALU_DEP_1) | instskip(NEXT) | instid1(VALU_DEP_1)
	v_and_or_b32 v3, 0x80000000, v3, v4
	v_cvt_i32_f32_e32 v3, v3
.LBB313_870:
	s_mov_b32 s3, 0
.LBB313_871:
	s_delay_alu instid0(SALU_CYCLE_1)
	s_and_not1_b32 vcc_lo, exec_lo, s3
	s_cbranch_vccnz .LBB313_873
; %bb.872:
	global_load_u8 v3, v[1:2], off
	s_waitcnt vmcnt(0)
	v_lshlrev_b32_e32 v4, 25, v3
	v_lshlrev_b16 v3, 8, v3
	s_delay_alu instid0(VALU_DEP_2) | instskip(NEXT) | instid1(VALU_DEP_2)
	v_lshrrev_b32_e32 v6, 4, v4
	v_and_or_b32 v7, 0x7f00, v3, 0.5
	v_cmp_gt_u32_e32 vcc_lo, 0x8000000, v4
	v_bfe_i32 v3, v3, 0, 16
	s_delay_alu instid0(VALU_DEP_4) | instskip(NEXT) | instid1(VALU_DEP_1)
	v_or_b32_e32 v6, 0x70000000, v6
	v_dual_add_f32 v7, -0.5, v7 :: v_dual_mul_f32 v6, 0x7800000, v6
	s_delay_alu instid0(VALU_DEP_1) | instskip(NEXT) | instid1(VALU_DEP_1)
	v_cndmask_b32_e32 v4, v6, v7, vcc_lo
	v_and_or_b32 v3, 0x80000000, v3, v4
	s_delay_alu instid0(VALU_DEP_1)
	v_cvt_i32_f32_e32 v3, v3
.LBB313_873:
	s_mov_b32 s3, 0
	s_mov_b32 s6, -1
.LBB313_874:
	s_and_not1_b32 vcc_lo, exec_lo, s3
	s_mov_b32 s3, 0
	s_cbranch_vccnz .LBB313_885
; %bb.875:
	v_cmp_lt_i16_e32 vcc_lo, 14, v5
	s_cbranch_vccz .LBB313_878
; %bb.876:
	v_cmp_eq_u16_e32 vcc_lo, 15, v5
	s_cbranch_vccz .LBB313_881
; %bb.877:
	global_load_u16 v3, v[1:2], off
	s_mov_b32 s2, 0
	s_mov_b32 s6, -1
	s_waitcnt vmcnt(0)
	v_lshlrev_b32_e32 v3, 16, v3
	s_delay_alu instid0(VALU_DEP_1)
	v_cvt_i32_f32_e32 v3, v3
	s_branch .LBB313_883
.LBB313_878:
	s_mov_b32 s3, -1
	s_branch .LBB313_882
.LBB313_879:
	s_or_saveexec_b32 s6, s6
	v_mov_b32_e32 v3, s7
	s_xor_b32 exec_lo, exec_lo, s6
	s_cbranch_execz .LBB313_860
.LBB313_880:
	v_cmp_ne_u16_e32 vcc_lo, 0, v4
	v_mov_b32_e32 v3, 0
	s_and_not1_b32 s3, s3, exec_lo
	s_and_b32 s7, vcc_lo, exec_lo
	s_delay_alu instid0(SALU_CYCLE_1)
	s_or_b32 s3, s3, s7
	s_or_b32 exec_lo, exec_lo, s6
	s_and_saveexec_b32 s6, s3
	s_cbranch_execnz .LBB313_861
	s_branch .LBB313_862
.LBB313_881:
	s_mov_b32 s2, -1
.LBB313_882:
                                        ; implicit-def: $vgpr3
.LBB313_883:
	s_and_b32 vcc_lo, exec_lo, s3
	s_mov_b32 s3, 0
	s_cbranch_vccz .LBB313_885
; %bb.884:
	v_cmp_ne_u16_e32 vcc_lo, 11, v5
	s_and_not1_b32 s2, s2, exec_lo
	s_mov_b32 s3, -1
                                        ; implicit-def: $vgpr3
	s_and_b32 s7, vcc_lo, exec_lo
	s_delay_alu instid0(SALU_CYCLE_1)
	s_or_b32 s2, s2, s7
.LBB313_885:
	s_mov_b32 s7, 0
.LBB313_886:
	s_and_b32 s44, s6, exec_lo
	s_and_b32 s45, s7, exec_lo
	s_and_not1_b32 s6, s24, exec_lo
	s_and_b32 s7, s2, exec_lo
	s_and_b32 s2, s3, exec_lo
	s_or_b32 s46, s6, s7
.LBB313_887:
	s_or_b32 exec_lo, exec_lo, s34
	s_delay_alu instid0(SALU_CYCLE_1)
	s_and_not1_b32 s6, s24, exec_lo
	s_and_b32 s7, s46, exec_lo
	s_and_b32 s44, s44, exec_lo
	;; [unrolled: 1-line block ×4, first 2 shown]
	s_or_b32 s24, s6, s7
.LBB313_888:
	s_or_b32 exec_lo, exec_lo, s43
	s_delay_alu instid0(SALU_CYCLE_1)
	s_and_not1_b32 s6, s41, exec_lo
	s_and_b32 s7, s25, exec_lo
	s_and_b32 s43, s44, exec_lo
	s_or_b32 s41, s6, s7
	s_and_not1_b32 s6, s40, exec_lo
	s_and_b32 s7, s24, exec_lo
	s_and_b32 s25, s3, exec_lo
	;; [unrolled: 1-line block ×3, first 2 shown]
	s_or_b32 s40, s6, s7
.LBB313_889:
	s_or_b32 exec_lo, exec_lo, s42
	s_delay_alu instid0(SALU_CYCLE_1)
	s_and_not1_b32 s2, s37, exec_lo
	s_and_b32 s6, s41, exec_lo
	s_and_b32 s7, s40, exec_lo
	s_or_b32 s37, s2, s6
	s_and_not1_b32 s6, s38, exec_lo
	s_and_b32 s2, s43, exec_lo
	s_and_b32 s24, s25, exec_lo
	;; [unrolled: 1-line block ×3, first 2 shown]
	s_or_b32 s38, s6, s7
.LBB313_890:
	s_or_b32 exec_lo, exec_lo, s39
	s_mov_b32 s3, 0
	s_and_saveexec_b32 s6, s38
	s_cbranch_execnz .LBB313_902
; %bb.891:
	s_or_b32 exec_lo, exec_lo, s6
	s_and_saveexec_b32 s6, s40
	s_delay_alu instid0(SALU_CYCLE_1)
	s_xor_b32 s6, exec_lo, s6
	s_cbranch_execz .LBB313_893
.LBB313_892:
	global_load_u8 v3, v[1:2], off
	s_or_b32 s2, s2, exec_lo
	s_waitcnt vmcnt(0)
	v_cmp_ne_u16_e32 vcc_lo, 0, v3
	v_cndmask_b32_e64 v3, 0, 1, vcc_lo
.LBB313_893:
	s_or_b32 exec_lo, exec_lo, s6
	s_and_saveexec_b32 s6, s24
	s_cbranch_execz .LBB313_941
; %bb.894:
	v_cmp_gt_i16_e32 vcc_lo, 5, v5
	s_cbranch_vccnz .LBB313_899
; %bb.895:
	v_cmp_gt_i16_e32 vcc_lo, 8, v5
	s_cbranch_vccnz .LBB313_900
; %bb.896:
	v_cmp_gt_i16_e32 vcc_lo, 9, v5
	s_cbranch_vccnz .LBB313_901
; %bb.897:
	v_cmp_lt_i16_e32 vcc_lo, 9, v5
	s_cbranch_vccz .LBB313_904
; %bb.898:
	global_load_b64 v[3:4], v[1:2], off
	s_mov_b32 s7, 0
	s_waitcnt vmcnt(0)
	v_cvt_i32_f64_e32 v3, v[3:4]
	s_branch .LBB313_905
.LBB313_899:
                                        ; implicit-def: $vgpr3
	s_branch .LBB313_922
.LBB313_900:
                                        ; implicit-def: $vgpr3
	s_branch .LBB313_911
.LBB313_901:
	s_mov_b32 s7, -1
                                        ; implicit-def: $vgpr3
	s_branch .LBB313_908
.LBB313_902:
	s_cbranch_execnz .LBB313_1172
; %bb.903:
	s_mov_b32 s3, exec_lo
	s_and_not1_b32 s40, s40, exec_lo
                                        ; implicit-def: $vgpr3
	s_or_b32 exec_lo, exec_lo, s6
	s_and_saveexec_b32 s6, s40
	s_delay_alu instid0(SALU_CYCLE_1)
	s_xor_b32 s6, exec_lo, s6
	s_cbranch_execnz .LBB313_892
	s_branch .LBB313_893
.LBB313_904:
	s_mov_b32 s7, -1
                                        ; implicit-def: $vgpr3
.LBB313_905:
	s_delay_alu instid0(SALU_CYCLE_1)
	s_and_not1_b32 vcc_lo, exec_lo, s7
	s_cbranch_vccnz .LBB313_907
; %bb.906:
	global_load_b32 v3, v[1:2], off
	s_waitcnt vmcnt(0)
	v_cvt_i32_f32_e32 v3, v3
.LBB313_907:
	s_mov_b32 s7, 0
.LBB313_908:
	s_delay_alu instid0(SALU_CYCLE_1)
	s_and_not1_b32 vcc_lo, exec_lo, s7
	s_cbranch_vccnz .LBB313_910
; %bb.909:
	global_load_b32 v3, v[1:2], off
	s_waitcnt vmcnt(0)
	v_cvt_i16_f16_e32 v3, v3
.LBB313_910:
	s_cbranch_execnz .LBB313_921
.LBB313_911:
	v_cmp_gt_i16_e32 vcc_lo, 6, v5
	s_cbranch_vccnz .LBB313_914
; %bb.912:
	v_cmp_lt_i16_e32 vcc_lo, 6, v5
	s_cbranch_vccz .LBB313_915
; %bb.913:
	global_load_b64 v[3:4], v[1:2], off
	s_mov_b32 s7, 0
	s_waitcnt vmcnt(0)
	v_cvt_i32_f64_e32 v3, v[3:4]
	s_branch .LBB313_916
.LBB313_914:
	s_mov_b32 s7, -1
                                        ; implicit-def: $vgpr3
	s_branch .LBB313_919
.LBB313_915:
	s_mov_b32 s7, -1
                                        ; implicit-def: $vgpr3
.LBB313_916:
	s_delay_alu instid0(SALU_CYCLE_1)
	s_and_not1_b32 vcc_lo, exec_lo, s7
	s_cbranch_vccnz .LBB313_918
; %bb.917:
	global_load_b32 v3, v[1:2], off
	s_waitcnt vmcnt(0)
	v_cvt_i32_f32_e32 v3, v3
.LBB313_918:
	s_mov_b32 s7, 0
.LBB313_919:
	s_delay_alu instid0(SALU_CYCLE_1)
	s_and_not1_b32 vcc_lo, exec_lo, s7
	s_cbranch_vccnz .LBB313_921
; %bb.920:
	global_load_u16 v3, v[1:2], off
	s_waitcnt vmcnt(0)
	v_cvt_i16_f16_e32 v3, v3
.LBB313_921:
	s_cbranch_execnz .LBB313_940
.LBB313_922:
	v_cmp_gt_i16_e32 vcc_lo, 2, v5
	s_cbranch_vccnz .LBB313_926
; %bb.923:
	v_cmp_gt_i16_e32 vcc_lo, 3, v5
	s_cbranch_vccnz .LBB313_927
; %bb.924:
	v_cmp_lt_i16_e32 vcc_lo, 3, v5
	s_cbranch_vccz .LBB313_928
; %bb.925:
	global_load_b64 v[3:4], v[1:2], off
	s_mov_b32 s7, 0
	s_branch .LBB313_929
.LBB313_926:
                                        ; implicit-def: $vgpr3
	s_branch .LBB313_935
.LBB313_927:
	s_mov_b32 s7, -1
                                        ; implicit-def: $vgpr3
	s_branch .LBB313_932
.LBB313_928:
	s_mov_b32 s7, -1
                                        ; implicit-def: $vgpr3
.LBB313_929:
	s_delay_alu instid0(SALU_CYCLE_1)
	s_and_not1_b32 vcc_lo, exec_lo, s7
	s_cbranch_vccnz .LBB313_931
; %bb.930:
	global_load_b32 v3, v[1:2], off
.LBB313_931:
	s_mov_b32 s7, 0
.LBB313_932:
	s_delay_alu instid0(SALU_CYCLE_1)
	s_and_not1_b32 vcc_lo, exec_lo, s7
	s_cbranch_vccnz .LBB313_934
; %bb.933:
	global_load_u16 v3, v[1:2], off
.LBB313_934:
	s_cbranch_execnz .LBB313_940
.LBB313_935:
	v_cmp_lt_i16_e32 vcc_lo, 0, v5
	s_mov_b32 s7, 0
	s_cbranch_vccz .LBB313_937
; %bb.936:
	global_load_i8 v3, v[1:2], off
	s_branch .LBB313_938
.LBB313_937:
	s_mov_b32 s7, -1
                                        ; implicit-def: $vgpr3
.LBB313_938:
	s_delay_alu instid0(SALU_CYCLE_1)
	s_and_not1_b32 vcc_lo, exec_lo, s7
	s_cbranch_vccnz .LBB313_940
; %bb.939:
	global_load_u8 v3, v[1:2], off
.LBB313_940:
	s_or_b32 s2, s2, exec_lo
.LBB313_941:
	s_or_b32 exec_lo, exec_lo, s6
	s_mov_b32 s8, 0
	s_mov_b32 s7, 0
                                        ; implicit-def: $vgpr5
                                        ; implicit-def: $vgpr1_vgpr2
                                        ; implicit-def: $vgpr4
	s_and_saveexec_b32 s6, s2
	s_cbranch_execz .LBB313_1018
; %bb.942:
	s_waitcnt vmcnt(0)
	s_delay_alu instid0(VALU_DEP_1) | instskip(SKIP_1) | instid1(VALU_DEP_2)
	v_max_i16 v1, v3, s18
	v_and_b32_e64 v5, 0xff, s19
	v_min_i16 v4, v1, s31
	s_delay_alu instid0(VALU_DEP_2) | instskip(SKIP_1) | instid1(VALU_DEP_1)
	v_cmp_gt_i16_e32 vcc_lo, 11, v5
	v_add_co_u32 v1, s2, s4, v0
	v_add_co_ci_u32_e64 v2, null, s5, 0, s2
	s_mov_b32 s4, -1
	s_mov_b32 s2, s37
	s_cbranch_vccnz .LBB313_1017
; %bb.943:
	v_cmp_lt_i16_e32 vcc_lo, 25, v5
	s_mov_b32 s2, s37
	s_cbranch_vccz .LBB313_976
; %bb.944:
	v_cmp_lt_i16_e32 vcc_lo, 28, v5
	s_mov_b32 s2, s37
	s_cbranch_vccz .LBB313_960
	;; [unrolled: 4-line block ×4, first 2 shown]
; %bb.947:
	v_cmp_eq_u16_e32 vcc_lo, 46, v5
	s_mov_b32 s2, -1
	s_cbranch_vccz .LBB313_949
; %bb.948:
	v_bfe_i32 v0, v4, 0, 16
	s_mov_b32 s2, 0
	s_delay_alu instid0(VALU_DEP_1) | instskip(NEXT) | instid1(VALU_DEP_1)
	v_cvt_f32_i32_e32 v0, v0
	v_bfe_u32 v3, v0, 16, 1
	s_delay_alu instid0(VALU_DEP_1) | instskip(NEXT) | instid1(VALU_DEP_1)
	v_add3_u32 v0, v0, v3, 0x7fff
	v_lshrrev_b32_e32 v0, 16, v0
	global_store_b32 v[1:2], v0, off
.LBB313_949:
	s_mov_b32 s4, 0
.LBB313_950:
	s_delay_alu instid0(SALU_CYCLE_1)
	s_and_b32 vcc_lo, exec_lo, s4
	s_cbranch_vccz .LBB313_955
; %bb.951:
	v_cmp_eq_u16_e32 vcc_lo, 44, v5
	s_mov_b32 s2, -1
	s_cbranch_vccz .LBB313_955
; %bb.952:
	v_bfe_i32 v0, v4, 0, 16
	v_mov_b32_e32 v3, 0xff
	s_mov_b32 s4, exec_lo
	s_delay_alu instid0(VALU_DEP_2) | instskip(NEXT) | instid1(VALU_DEP_1)
	v_cvt_f32_i32_e32 v0, v0
	v_bfe_u32 v6, v0, 23, 8
	s_delay_alu instid0(VALU_DEP_1)
	v_cmpx_ne_u32_e32 0xff, v6
; %bb.953:
	v_and_b32_e32 v3, 0x400000, v0
	v_and_or_b32 v6, 0x3fffff, v0, v6
	v_lshrrev_b32_e32 v0, 23, v0
	s_delay_alu instid0(VALU_DEP_3) | instskip(NEXT) | instid1(VALU_DEP_3)
	v_cmp_ne_u32_e32 vcc_lo, 0, v3
	v_cmp_ne_u32_e64 s2, 0, v6
	s_delay_alu instid0(VALU_DEP_1) | instskip(NEXT) | instid1(SALU_CYCLE_1)
	s_and_b32 s2, vcc_lo, s2
	v_cndmask_b32_e64 v3, 0, 1, s2
	s_delay_alu instid0(VALU_DEP_1)
	v_add_nc_u32_e32 v3, v0, v3
; %bb.954:
	s_or_b32 exec_lo, exec_lo, s4
	s_mov_b32 s2, 0
	global_store_b8 v[1:2], v3, off
.LBB313_955:
	s_mov_b32 s4, 0
.LBB313_956:
	s_delay_alu instid0(SALU_CYCLE_1)
	s_and_b32 vcc_lo, exec_lo, s4
	s_cbranch_vccz .LBB313_959
; %bb.957:
	v_cmp_eq_u16_e32 vcc_lo, 29, v5
	s_mov_b32 s2, -1
	s_cbranch_vccz .LBB313_959
; %bb.958:
	v_bfe_i32 v6, v4, 0, 16
	s_mov_b32 s2, 0
	s_delay_alu instid0(VALU_DEP_1)
	v_ashrrev_i32_e32 v7, 31, v6
	global_store_b64 v[1:2], v[6:7], off
.LBB313_959:
	s_mov_b32 s4, 0
.LBB313_960:
	s_delay_alu instid0(SALU_CYCLE_1)
	s_and_b32 vcc_lo, exec_lo, s4
	s_cbranch_vccz .LBB313_975
; %bb.961:
	v_cmp_gt_i16_e32 vcc_lo, 27, v5
	s_mov_b32 s4, -1
	s_cbranch_vccnz .LBB313_967
; %bb.962:
	v_cmp_lt_i16_e32 vcc_lo, 27, v5
	s_cbranch_vccz .LBB313_964
; %bb.963:
	v_bfe_i32 v0, v4, 0, 16
	s_mov_b32 s4, 0
	global_store_b32 v[1:2], v0, off
.LBB313_964:
	s_and_not1_b32 vcc_lo, exec_lo, s4
	s_cbranch_vccnz .LBB313_966
; %bb.965:
	global_store_b16 v[1:2], v4, off
.LBB313_966:
	s_mov_b32 s4, 0
.LBB313_967:
	s_delay_alu instid0(SALU_CYCLE_1)
	s_and_not1_b32 vcc_lo, exec_lo, s4
	s_cbranch_vccnz .LBB313_975
; %bb.968:
	v_bfe_i32 v0, v4, 0, 16
	v_mov_b32_e32 v6, 0x80
	s_mov_b32 s4, exec_lo
	s_delay_alu instid0(VALU_DEP_2) | instskip(NEXT) | instid1(VALU_DEP_1)
	v_cvt_f32_i32_e32 v0, v0
	v_and_b32_e32 v3, 0x7fffffff, v0
	s_delay_alu instid0(VALU_DEP_1)
	v_cmpx_gt_u32_e32 0x43800000, v3
	s_cbranch_execz .LBB313_974
; %bb.969:
	v_cmp_lt_u32_e32 vcc_lo, 0x3bffffff, v3
	s_mov_b32 s5, 0
                                        ; implicit-def: $vgpr3
	s_and_saveexec_b32 s7, vcc_lo
	s_delay_alu instid0(SALU_CYCLE_1)
	s_xor_b32 s7, exec_lo, s7
	s_cbranch_execz .LBB313_1258
; %bb.970:
	v_bfe_u32 v3, v0, 20, 1
	s_mov_b32 s5, exec_lo
	s_delay_alu instid0(VALU_DEP_1) | instskip(NEXT) | instid1(VALU_DEP_1)
	v_add3_u32 v3, v0, v3, 0x487ffff
	v_lshrrev_b32_e32 v3, 20, v3
	s_or_saveexec_b32 s7, s7
                                        ; implicit-def: $sgpr8
	s_delay_alu instid0(SALU_CYCLE_1)
	s_xor_b32 exec_lo, exec_lo, s7
	s_cbranch_execnz .LBB313_1259
.LBB313_971:
	s_or_b32 exec_lo, exec_lo, s7
	v_mov_b32_e32 v6, s8
	s_and_saveexec_b32 s7, s5
.LBB313_972:
	v_lshrrev_b32_e32 v0, 24, v0
	s_delay_alu instid0(VALU_DEP_1)
	v_and_or_b32 v6, 0x80, v0, v3
.LBB313_973:
	s_or_b32 exec_lo, exec_lo, s7
.LBB313_974:
	s_delay_alu instid0(SALU_CYCLE_1)
	s_or_b32 exec_lo, exec_lo, s4
	global_store_b8 v[1:2], v6, off
.LBB313_975:
	s_mov_b32 s4, 0
.LBB313_976:
	s_delay_alu instid0(SALU_CYCLE_1)
	s_and_b32 vcc_lo, exec_lo, s4
	s_mov_b32 s4, 0
	s_cbranch_vccz .LBB313_1016
; %bb.977:
	v_cmp_lt_i16_e32 vcc_lo, 22, v5
	s_mov_b32 s5, -1
	s_cbranch_vccz .LBB313_1009
; %bb.978:
	v_cmp_gt_i16_e32 vcc_lo, 24, v5
	s_cbranch_vccnz .LBB313_998
; %bb.979:
	v_cmp_lt_i16_e32 vcc_lo, 24, v5
	s_cbranch_vccz .LBB313_987
; %bb.980:
	v_bfe_i32 v0, v4, 0, 16
	v_mov_b32_e32 v6, 0x80
	s_mov_b32 s5, exec_lo
	s_delay_alu instid0(VALU_DEP_2) | instskip(NEXT) | instid1(VALU_DEP_1)
	v_cvt_f32_i32_e32 v0, v0
	v_and_b32_e32 v3, 0x7fffffff, v0
	s_delay_alu instid0(VALU_DEP_1)
	v_cmpx_gt_u32_e32 0x47800000, v3
	s_cbranch_execz .LBB313_986
; %bb.981:
	v_cmp_lt_u32_e32 vcc_lo, 0x37ffffff, v3
	s_mov_b32 s7, 0
                                        ; implicit-def: $vgpr3
	s_and_saveexec_b32 s8, vcc_lo
	s_delay_alu instid0(SALU_CYCLE_1)
	s_xor_b32 s8, exec_lo, s8
	s_cbranch_execz .LBB313_1302
; %bb.982:
	v_bfe_u32 v3, v0, 21, 1
	s_mov_b32 s7, exec_lo
	s_delay_alu instid0(VALU_DEP_1) | instskip(NEXT) | instid1(VALU_DEP_1)
	v_add3_u32 v3, v0, v3, 0x88fffff
	v_lshrrev_b32_e32 v3, 21, v3
	s_or_saveexec_b32 s8, s8
                                        ; implicit-def: $sgpr9
	s_delay_alu instid0(SALU_CYCLE_1)
	s_xor_b32 exec_lo, exec_lo, s8
	s_cbranch_execnz .LBB313_1303
.LBB313_983:
	s_or_b32 exec_lo, exec_lo, s8
	v_mov_b32_e32 v6, s9
	s_and_saveexec_b32 s8, s7
.LBB313_984:
	v_lshrrev_b32_e32 v0, 24, v0
	s_delay_alu instid0(VALU_DEP_1)
	v_and_or_b32 v6, 0x80, v0, v3
.LBB313_985:
	s_or_b32 exec_lo, exec_lo, s8
.LBB313_986:
	s_delay_alu instid0(SALU_CYCLE_1)
	s_or_b32 exec_lo, exec_lo, s5
	s_mov_b32 s5, 0
	global_store_b8 v[1:2], v6, off
.LBB313_987:
	s_and_b32 vcc_lo, exec_lo, s5
	s_cbranch_vccz .LBB313_997
; %bb.988:
	v_bfe_i32 v0, v4, 0, 16
	s_mov_b32 s5, exec_lo
                                        ; implicit-def: $vgpr3
	s_delay_alu instid0(VALU_DEP_1) | instskip(NEXT) | instid1(VALU_DEP_1)
	v_cvt_f32_i32_e32 v0, v0
	v_and_b32_e32 v6, 0x7fffffff, v0
	s_delay_alu instid0(VALU_DEP_1)
	v_cmpx_gt_u32_e32 0x43f00000, v6
	s_xor_b32 s5, exec_lo, s5
	s_cbranch_execz .LBB313_994
; %bb.989:
	s_mov_b32 s7, exec_lo
                                        ; implicit-def: $vgpr3
	v_cmpx_lt_u32_e32 0x3c7fffff, v6
	s_xor_b32 s7, exec_lo, s7
; %bb.990:
	v_bfe_u32 v3, v0, 20, 1
	s_delay_alu instid0(VALU_DEP_1) | instskip(NEXT) | instid1(VALU_DEP_1)
	v_add3_u32 v3, v0, v3, 0x407ffff
	v_and_b32_e32 v6, 0xff00000, v3
	v_lshrrev_b32_e32 v3, 20, v3
	s_delay_alu instid0(VALU_DEP_2) | instskip(NEXT) | instid1(VALU_DEP_2)
	v_cmp_ne_u32_e32 vcc_lo, 0x7f00000, v6
	v_cndmask_b32_e32 v3, 0x7e, v3, vcc_lo
; %bb.991:
	s_and_not1_saveexec_b32 s7, s7
; %bb.992:
	v_add_f32_e64 v3, 0x46800000, |v0|
; %bb.993:
	s_or_b32 exec_lo, exec_lo, s7
                                        ; implicit-def: $vgpr6
.LBB313_994:
	s_and_not1_saveexec_b32 s5, s5
; %bb.995:
	v_mov_b32_e32 v3, 0x7f
	v_cmp_lt_u32_e32 vcc_lo, 0x7f800000, v6
	s_delay_alu instid0(VALU_DEP_2)
	v_cndmask_b32_e32 v3, 0x7e, v3, vcc_lo
; %bb.996:
	s_or_b32 exec_lo, exec_lo, s5
	v_lshrrev_b32_e32 v0, 24, v0
	s_delay_alu instid0(VALU_DEP_1)
	v_and_or_b32 v0, 0x80, v0, v3
	global_store_b8 v[1:2], v0, off
.LBB313_997:
	s_mov_b32 s5, 0
.LBB313_998:
	s_delay_alu instid0(SALU_CYCLE_1)
	s_and_not1_b32 vcc_lo, exec_lo, s5
	s_cbranch_vccnz .LBB313_1008
; %bb.999:
	v_bfe_i32 v0, v4, 0, 16
	s_mov_b32 s5, exec_lo
                                        ; implicit-def: $vgpr3
	s_delay_alu instid0(VALU_DEP_1) | instskip(NEXT) | instid1(VALU_DEP_1)
	v_cvt_f32_i32_e32 v0, v0
	v_and_b32_e32 v6, 0x7fffffff, v0
	s_delay_alu instid0(VALU_DEP_1)
	v_cmpx_gt_u32_e32 0x47800000, v6
	s_xor_b32 s5, exec_lo, s5
	s_cbranch_execz .LBB313_1005
; %bb.1000:
	s_mov_b32 s7, exec_lo
                                        ; implicit-def: $vgpr3
	v_cmpx_lt_u32_e32 0x387fffff, v6
	s_xor_b32 s7, exec_lo, s7
; %bb.1001:
	v_bfe_u32 v3, v0, 21, 1
	s_delay_alu instid0(VALU_DEP_1) | instskip(NEXT) | instid1(VALU_DEP_1)
	v_add3_u32 v3, v0, v3, 0x80fffff
	v_lshrrev_b32_e32 v3, 21, v3
; %bb.1002:
	s_and_not1_saveexec_b32 s7, s7
; %bb.1003:
	v_add_f32_e64 v3, 0x43000000, |v0|
; %bb.1004:
	s_or_b32 exec_lo, exec_lo, s7
                                        ; implicit-def: $vgpr6
.LBB313_1005:
	s_and_not1_saveexec_b32 s5, s5
; %bb.1006:
	v_mov_b32_e32 v3, 0x7f
	v_cmp_lt_u32_e32 vcc_lo, 0x7f800000, v6
	s_delay_alu instid0(VALU_DEP_2)
	v_cndmask_b32_e32 v3, 0x7c, v3, vcc_lo
; %bb.1007:
	s_or_b32 exec_lo, exec_lo, s5
	v_lshrrev_b32_e32 v0, 24, v0
	s_delay_alu instid0(VALU_DEP_1)
	v_and_or_b32 v0, 0x80, v0, v3
	global_store_b8 v[1:2], v0, off
.LBB313_1008:
	s_mov_b32 s5, 0
.LBB313_1009:
	s_delay_alu instid0(SALU_CYCLE_1)
	s_and_not1_b32 vcc_lo, exec_lo, s5
	s_mov_b32 s8, 0
	s_cbranch_vccnz .LBB313_1017
; %bb.1010:
	v_cmp_lt_i16_e32 vcc_lo, 14, v5
	s_mov_b32 s5, -1
	s_cbranch_vccz .LBB313_1014
; %bb.1011:
	v_cmp_eq_u16_e32 vcc_lo, 15, v5
	s_mov_b32 s2, -1
	s_cbranch_vccz .LBB313_1013
; %bb.1012:
	v_bfe_i32 v0, v4, 0, 16
	s_mov_b32 s2, 0
	s_delay_alu instid0(VALU_DEP_1) | instskip(NEXT) | instid1(VALU_DEP_1)
	v_cvt_f32_i32_e32 v0, v0
	v_bfe_u32 v3, v0, 16, 1
	s_delay_alu instid0(VALU_DEP_1)
	v_add3_u32 v0, v0, v3, 0x7fff
	global_store_d16_hi_b16 v[1:2], v0, off
.LBB313_1013:
	s_mov_b32 s5, 0
.LBB313_1014:
	s_delay_alu instid0(SALU_CYCLE_1)
	s_and_b32 vcc_lo, exec_lo, s5
	s_cbranch_vccz .LBB313_1017
; %bb.1015:
	v_cmp_ne_u16_e32 vcc_lo, 11, v5
	s_and_not1_b32 s2, s2, exec_lo
	s_mov_b32 s8, -1
	s_and_b32 s5, vcc_lo, exec_lo
	s_delay_alu instid0(SALU_CYCLE_1)
	s_or_b32 s2, s2, s5
	s_branch .LBB313_1017
.LBB313_1016:
	s_mov_b32 s8, 0
.LBB313_1017:
	s_and_b32 s7, s4, exec_lo
	s_and_not1_b32 s4, s37, exec_lo
	s_and_b32 s2, s2, exec_lo
	s_and_b32 s8, s8, exec_lo
	s_or_b32 s37, s4, s2
.LBB313_1018:
	s_or_b32 exec_lo, exec_lo, s6
	s_and_saveexec_b32 s2, s37
	s_cbranch_execnz .LBB313_1132
; %bb.1019:
	s_or_b32 exec_lo, exec_lo, s2
	s_and_saveexec_b32 s2, s8
	s_delay_alu instid0(SALU_CYCLE_1)
	s_xor_b32 s2, exec_lo, s2
	s_cbranch_execz .LBB313_1021
.LBB313_1020:
	s_waitcnt vmcnt(0)
	v_cmp_ne_u16_e32 vcc_lo, 0, v4
	v_cndmask_b32_e64 v0, 0, 1, vcc_lo
	global_store_b8 v[1:2], v0, off
.LBB313_1021:
	s_or_b32 exec_lo, exec_lo, s2
	s_and_saveexec_b32 s2, s7
	s_delay_alu instid0(SALU_CYCLE_1)
	s_xor_b32 s2, exec_lo, s2
	s_cbranch_execz .LBB313_1059
; %bb.1022:
	v_cmp_gt_i16_e32 vcc_lo, 5, v5
	s_mov_b32 s4, -1
	s_cbranch_vccnz .LBB313_1043
; %bb.1023:
	v_cmp_gt_i16_e32 vcc_lo, 8, v5
	s_cbranch_vccnz .LBB313_1033
; %bb.1024:
	v_cmp_gt_i16_e32 vcc_lo, 9, v5
	s_cbranch_vccnz .LBB313_1030
; %bb.1025:
	v_cmp_lt_i16_e32 vcc_lo, 9, v5
	s_cbranch_vccz .LBB313_1027
; %bb.1026:
	s_waitcnt vmcnt(0)
	v_bfe_i32 v0, v4, 0, 16
	v_mov_b32_e32 v8, 0
	s_mov_b32 s4, 0
	s_delay_alu instid0(VALU_DEP_2) | instskip(NEXT) | instid1(VALU_DEP_2)
	v_cvt_f64_i32_e32 v[6:7], v0
	v_mov_b32_e32 v9, v8
	global_store_b128 v[1:2], v[6:9], off
.LBB313_1027:
	s_and_not1_b32 vcc_lo, exec_lo, s4
	s_cbranch_vccnz .LBB313_1029
; %bb.1028:
	s_waitcnt vmcnt(0)
	v_bfe_i32 v0, v4, 0, 16
	v_mov_b32_e32 v7, 0
	s_delay_alu instid0(VALU_DEP_2)
	v_cvt_f32_i32_e32 v6, v0
	global_store_b64 v[1:2], v[6:7], off
.LBB313_1029:
	s_mov_b32 s4, 0
.LBB313_1030:
	s_delay_alu instid0(SALU_CYCLE_1)
	s_and_not1_b32 vcc_lo, exec_lo, s4
	s_cbranch_vccnz .LBB313_1032
; %bb.1031:
	s_waitcnt vmcnt(0)
	v_cvt_f16_i16_e32 v0, v4
	s_delay_alu instid0(VALU_DEP_1)
	v_and_b32_e32 v0, 0xffff, v0
	global_store_b32 v[1:2], v0, off
.LBB313_1032:
	s_mov_b32 s4, 0
.LBB313_1033:
	s_delay_alu instid0(SALU_CYCLE_1)
	s_and_not1_b32 vcc_lo, exec_lo, s4
	s_cbranch_vccnz .LBB313_1042
; %bb.1034:
	v_cmp_gt_i16_e32 vcc_lo, 6, v5
	s_mov_b32 s4, -1
	s_cbranch_vccnz .LBB313_1040
; %bb.1035:
	v_cmp_lt_i16_e32 vcc_lo, 6, v5
	s_cbranch_vccz .LBB313_1037
; %bb.1036:
	s_waitcnt vmcnt(0)
	v_bfe_i32 v0, v4, 0, 16
	s_mov_b32 s4, 0
	s_delay_alu instid0(VALU_DEP_1)
	v_cvt_f64_i32_e32 v[6:7], v0
	global_store_b64 v[1:2], v[6:7], off
.LBB313_1037:
	s_and_not1_b32 vcc_lo, exec_lo, s4
	s_cbranch_vccnz .LBB313_1039
; %bb.1038:
	s_waitcnt vmcnt(0)
	v_bfe_i32 v0, v4, 0, 16
	s_delay_alu instid0(VALU_DEP_1)
	v_cvt_f32_i32_e32 v0, v0
	global_store_b32 v[1:2], v0, off
.LBB313_1039:
	s_mov_b32 s4, 0
.LBB313_1040:
	s_delay_alu instid0(SALU_CYCLE_1)
	s_and_not1_b32 vcc_lo, exec_lo, s4
	s_cbranch_vccnz .LBB313_1042
; %bb.1041:
	s_waitcnt vmcnt(0)
	v_cvt_f16_i16_e32 v0, v4
	global_store_b16 v[1:2], v0, off
.LBB313_1042:
	s_mov_b32 s4, 0
.LBB313_1043:
	s_delay_alu instid0(SALU_CYCLE_1)
	s_and_not1_b32 vcc_lo, exec_lo, s4
	s_cbranch_vccnz .LBB313_1059
; %bb.1044:
	v_cmp_gt_i16_e32 vcc_lo, 2, v5
	s_mov_b32 s4, -1
	s_cbranch_vccnz .LBB313_1054
; %bb.1045:
	v_cmp_gt_i16_e32 vcc_lo, 3, v5
	s_cbranch_vccnz .LBB313_1051
; %bb.1046:
	v_cmp_lt_i16_e32 vcc_lo, 3, v5
	s_cbranch_vccz .LBB313_1048
; %bb.1047:
	s_waitcnt vmcnt(0)
	v_bfe_i32 v6, v4, 0, 16
	s_mov_b32 s4, 0
	s_delay_alu instid0(VALU_DEP_1)
	v_ashrrev_i32_e32 v7, 31, v6
	global_store_b64 v[1:2], v[6:7], off
.LBB313_1048:
	s_and_not1_b32 vcc_lo, exec_lo, s4
	s_cbranch_vccnz .LBB313_1050
; %bb.1049:
	s_waitcnt vmcnt(0)
	v_bfe_i32 v0, v4, 0, 16
	global_store_b32 v[1:2], v0, off
.LBB313_1050:
	s_mov_b32 s4, 0
.LBB313_1051:
	s_delay_alu instid0(SALU_CYCLE_1)
	s_and_not1_b32 vcc_lo, exec_lo, s4
	s_cbranch_vccnz .LBB313_1053
; %bb.1052:
	s_waitcnt vmcnt(0)
	global_store_b16 v[1:2], v4, off
.LBB313_1053:
	s_mov_b32 s4, 0
.LBB313_1054:
	s_delay_alu instid0(SALU_CYCLE_1)
	s_and_not1_b32 vcc_lo, exec_lo, s4
	s_cbranch_vccnz .LBB313_1059
; %bb.1055:
	v_cmp_lt_i16_e32 vcc_lo, 0, v5
	s_mov_b32 s4, -1
	s_cbranch_vccz .LBB313_1057
; %bb.1056:
	s_mov_b32 s4, 0
	s_waitcnt vmcnt(0)
	global_store_b8 v[1:2], v4, off
.LBB313_1057:
	s_and_not1_b32 vcc_lo, exec_lo, s4
	s_cbranch_vccnz .LBB313_1059
; %bb.1058:
	s_waitcnt vmcnt(0)
	global_store_b8 v[1:2], v4, off
.LBB313_1059:
	s_or_b32 exec_lo, exec_lo, s2
	s_delay_alu instid0(SALU_CYCLE_1)
	s_and_b32 s8, s3, exec_lo
                                        ; implicit-def: $vgpr9
                                        ; implicit-def: $vgpr8
.LBB313_1060:
	s_or_saveexec_b32 s9, s30
	s_mov_b32 s4, 0
                                        ; implicit-def: $vgpr0_vgpr1
                                        ; implicit-def: $sgpr3
                                        ; implicit-def: $vgpr2
	s_xor_b32 exec_lo, exec_lo, s9
	s_cbranch_execz .LBB313_2018
; %bb.1061:
	v_cndmask_b32_e64 v0, 0, 1, s29
	s_and_not1_b32 vcc_lo, exec_lo, s29
	s_cbranch_vccnz .LBB313_1067
; %bb.1062:
	s_waitcnt vmcnt(0)
	v_mov_b32_e32 v3, 0
	v_mov_b32_e32 v7, 0
	s_cmp_lg_u32 s26, 0
	s_mov_b32 s6, 0
	s_cbranch_scc0 .LBB313_1071
; %bb.1063:
	s_min_u32 s7, s27, 15
	v_mov_b32_e32 v3, 0
	s_add_i32 s7, s7, 1
	s_cmp_eq_u32 s27, 2
	s_mov_b32 s10, 0
	s_cbranch_scc1 .LBB313_1068
; %bb.1064:
	v_mov_b32_e32 v7, 0
	v_mov_b32_e32 v3, 0
	;; [unrolled: 1-line block ×3, first 2 shown]
	s_add_u32 s2, s16, 0xc4
	s_addc_u32 s3, s17, 0
	s_and_b32 s10, s7, 28
	s_mov_b32 s11, 0
	s_mov_b64 s[4:5], s[16:17]
.LBB313_1065:                           ; =>This Inner Loop Header: Depth=1
	s_clause 0x1
	s_load_b256 s[36:43], s[4:5], 0x4
	s_load_b128 s[12:15], s[4:5], 0x24
	s_load_b256 s[44:51], s[2:3], 0x0
	s_add_u32 s4, s4, 48
	s_addc_u32 s5, s5, 0
	s_add_i32 s11, s11, 4
	s_add_u32 s2, s2, 32
	s_addc_u32 s3, s3, 0
	s_cmp_lg_u32 s10, s11
	s_waitcnt lgkmcnt(0)
	v_mul_hi_u32 v2, s37, v1
	s_delay_alu instid0(VALU_DEP_1) | instskip(NEXT) | instid1(VALU_DEP_1)
	v_add_nc_u32_e32 v2, v1, v2
	v_lshrrev_b32_e32 v2, s38, v2
	s_delay_alu instid0(VALU_DEP_1) | instskip(SKIP_1) | instid1(VALU_DEP_2)
	v_mul_hi_u32 v4, s40, v2
	v_mul_lo_u32 v6, v2, s36
	v_add_nc_u32_e32 v4, v2, v4
	s_delay_alu instid0(VALU_DEP_2) | instskip(NEXT) | instid1(VALU_DEP_2)
	v_sub_nc_u32_e32 v1, v1, v6
	v_lshrrev_b32_e32 v4, s41, v4
	s_delay_alu instid0(VALU_DEP_2) | instskip(SKIP_1) | instid1(VALU_DEP_3)
	v_mul_lo_u32 v6, v1, s44
	v_mul_lo_u32 v11, v1, s45
	v_mul_hi_u32 v5, s43, v4
	s_delay_alu instid0(VALU_DEP_1) | instskip(NEXT) | instid1(VALU_DEP_1)
	v_add_nc_u32_e32 v5, v4, v5
	v_lshrrev_b32_e32 v5, s12, v5
	s_delay_alu instid0(VALU_DEP_1) | instskip(SKIP_1) | instid1(VALU_DEP_2)
	v_mul_hi_u32 v10, s14, v5
	v_mul_lo_u32 v12, v5, s42
	v_add_nc_u32_e32 v1, v5, v10
	v_mul_lo_u32 v10, v4, s39
	s_delay_alu instid0(VALU_DEP_3) | instskip(NEXT) | instid1(VALU_DEP_3)
	v_sub_nc_u32_e32 v4, v4, v12
	v_lshrrev_b32_e32 v1, s15, v1
	s_delay_alu instid0(VALU_DEP_2) | instskip(SKIP_2) | instid1(VALU_DEP_4)
	v_mul_lo_u32 v12, v4, s48
	v_mul_lo_u32 v4, v4, s49
	v_sub_nc_u32_e32 v2, v2, v10
	v_mul_lo_u32 v13, v1, s13
	s_delay_alu instid0(VALU_DEP_2) | instskip(SKIP_1) | instid1(VALU_DEP_3)
	v_mul_lo_u32 v10, v2, s46
	v_mul_lo_u32 v2, v2, s47
	v_sub_nc_u32_e32 v5, v5, v13
	s_delay_alu instid0(VALU_DEP_3) | instskip(NEXT) | instid1(VALU_DEP_2)
	v_add3_u32 v3, v6, v3, v10
	v_mul_lo_u32 v13, v5, s50
	v_mul_lo_u32 v5, v5, s51
	v_add3_u32 v2, v11, v7, v2
	s_delay_alu instid0(VALU_DEP_3) | instskip(NEXT) | instid1(VALU_DEP_2)
	v_add3_u32 v3, v12, v3, v13
	v_add3_u32 v7, v4, v2, v5
	s_cbranch_scc1 .LBB313_1065
; %bb.1066:
	s_and_b32 s7, s7, 3
	s_delay_alu instid0(SALU_CYCLE_1)
	s_cmp_eq_u32 s7, 0
	s_cbranch_scc0 .LBB313_1069
	s_branch .LBB313_1071
.LBB313_1067:
	s_mov_b32 s6, -1
                                        ; implicit-def: $vgpr3
                                        ; implicit-def: $vgpr7
	s_branch .LBB313_1071
.LBB313_1068:
	v_mov_b32_e32 v1, v8
	v_mov_b32_e32 v7, 0
	s_and_b32 s7, s7, 3
	s_delay_alu instid0(SALU_CYCLE_1)
	s_cmp_eq_u32 s7, 0
	s_cbranch_scc1 .LBB313_1071
.LBB313_1069:
	s_lshl_b32 s2, s10, 3
	s_mul_i32 s4, s10, 12
	s_add_u32 s2, s2, s16
	s_addc_u32 s3, 0, s17
	s_add_u32 s2, s2, 0xc4
	s_addc_u32 s3, s3, 0
	;; [unrolled: 2-line block ×3, first 2 shown]
	.p2align	6
.LBB313_1070:                           ; =>This Inner Loop Header: Depth=1
	s_clause 0x1
	s_load_b64 s[10:11], s[4:5], 0x4
	s_load_b32 s14, s[4:5], 0xc
	s_load_b64 s[12:13], s[2:3], 0x0
	s_add_u32 s4, s4, 12
	s_addc_u32 s5, s5, 0
	s_add_u32 s2, s2, 8
	s_addc_u32 s3, s3, 0
	s_add_i32 s7, s7, -1
	s_delay_alu instid0(SALU_CYCLE_1) | instskip(SKIP_2) | instid1(VALU_DEP_1)
	s_cmp_lg_u32 s7, 0
	s_waitcnt lgkmcnt(0)
	v_mul_hi_u32 v2, s11, v1
	v_add_nc_u32_e32 v2, v1, v2
	s_delay_alu instid0(VALU_DEP_1) | instskip(NEXT) | instid1(VALU_DEP_1)
	v_lshrrev_b32_e32 v6, s14, v2
	v_mul_lo_u32 v2, v6, s10
	s_delay_alu instid0(VALU_DEP_1) | instskip(NEXT) | instid1(VALU_DEP_1)
	v_sub_nc_u32_e32 v1, v1, v2
	v_mad_u64_u32 v[4:5], null, v1, s12, v[3:4]
	v_mad_u64_u32 v[2:3], null, v1, s13, v[7:8]
	v_mov_b32_e32 v1, v6
	s_delay_alu instid0(VALU_DEP_3) | instskip(NEXT) | instid1(VALU_DEP_3)
	v_mov_b32_e32 v3, v4
	v_mov_b32_e32 v7, v2
	s_cbranch_scc1 .LBB313_1070
.LBB313_1071:
	s_and_not1_b32 vcc_lo, exec_lo, s6
	s_cbranch_vccnz .LBB313_1074
; %bb.1072:
	s_clause 0x1
	s_load_b128 s[4:7], s[16:17], 0x4
	s_load_b64 s[2:3], s[16:17], 0xc4
	s_cmp_lt_u32 s26, 2
	s_waitcnt lgkmcnt(0)
	v_mul_hi_u32 v1, s5, v8
	s_delay_alu instid0(VALU_DEP_1) | instskip(NEXT) | instid1(VALU_DEP_1)
	v_add_nc_u32_e32 v1, v8, v1
	v_lshrrev_b32_e32 v1, s6, v1
	s_delay_alu instid0(VALU_DEP_1) | instskip(NEXT) | instid1(VALU_DEP_1)
	v_mul_lo_u32 v2, v1, s4
	v_sub_nc_u32_e32 v2, v8, v2
	s_waitcnt vmcnt(0)
	s_delay_alu instid0(VALU_DEP_1)
	v_mul_lo_u32 v3, v2, s2
	v_mul_lo_u32 v7, v2, s3
	s_cbranch_scc1 .LBB313_1074
; %bb.1073:
	s_clause 0x1
	s_load_b128 s[4:7], s[16:17], 0x10
	s_load_b64 s[2:3], s[16:17], 0xcc
	s_waitcnt lgkmcnt(0)
	v_mul_hi_u32 v2, s5, v1
	s_delay_alu instid0(VALU_DEP_1) | instskip(NEXT) | instid1(VALU_DEP_1)
	v_add_nc_u32_e32 v2, v1, v2
	v_lshrrev_b32_e32 v2, s6, v2
	s_delay_alu instid0(VALU_DEP_1) | instskip(NEXT) | instid1(VALU_DEP_1)
	v_mul_lo_u32 v2, v2, s4
	v_sub_nc_u32_e32 v4, v1, v2
	s_delay_alu instid0(VALU_DEP_1) | instskip(SKIP_1) | instid1(VALU_DEP_2)
	v_mad_u64_u32 v[1:2], null, v4, s2, v[3:4]
	v_mad_u64_u32 v[2:3], null, v4, s3, v[7:8]
	v_mov_b32_e32 v3, v1
	s_delay_alu instid0(VALU_DEP_2)
	v_mov_b32_e32 v7, v2
.LBB313_1074:
	v_cmp_ne_u32_e32 vcc_lo, 1, v0
	v_add_nc_u32_e32 v1, 0x80, v8
	s_cbranch_vccnz .LBB313_1080
; %bb.1075:
	v_mov_b32_e32 v2, 0
	v_mov_b32_e32 v6, 0
	s_cmp_lg_u32 s26, 0
	s_mov_b32 s6, 0
	s_cbranch_scc0 .LBB313_1084
; %bb.1076:
	s_min_u32 s7, s27, 15
	v_mov_b32_e32 v2, 0
	s_add_i32 s7, s7, 1
	s_cmp_eq_u32 s27, 2
	s_mov_b32 s10, 0
	s_cbranch_scc1 .LBB313_1081
; %bb.1077:
	v_mov_b32_e32 v6, 0
	v_mov_b32_e32 v2, 0
	s_waitcnt vmcnt(0)
	v_mov_b32_e32 v4, v1
	s_add_u32 s2, s16, 0xc4
	s_addc_u32 s3, s17, 0
	s_and_b32 s10, s7, 28
	s_mov_b32 s11, 0
	s_mov_b64 s[4:5], s[16:17]
.LBB313_1078:                           ; =>This Inner Loop Header: Depth=1
	s_clause 0x1
	s_load_b256 s[36:43], s[4:5], 0x4
	s_load_b128 s[12:15], s[4:5], 0x24
	s_load_b256 s[44:51], s[2:3], 0x0
	s_add_u32 s4, s4, 48
	s_addc_u32 s5, s5, 0
	s_add_i32 s11, s11, 4
	s_add_u32 s2, s2, 32
	s_addc_u32 s3, s3, 0
	s_cmp_lg_u32 s10, s11
	s_waitcnt lgkmcnt(0)
	v_mul_hi_u32 v5, s37, v4
	s_delay_alu instid0(VALU_DEP_1) | instskip(NEXT) | instid1(VALU_DEP_1)
	v_add_nc_u32_e32 v5, v4, v5
	v_lshrrev_b32_e32 v5, s38, v5
	s_delay_alu instid0(VALU_DEP_1) | instskip(SKIP_1) | instid1(VALU_DEP_2)
	v_mul_hi_u32 v10, s40, v5
	v_mul_lo_u32 v12, v5, s36
	v_add_nc_u32_e32 v10, v5, v10
	s_delay_alu instid0(VALU_DEP_2) | instskip(NEXT) | instid1(VALU_DEP_2)
	v_sub_nc_u32_e32 v4, v4, v12
	v_lshrrev_b32_e32 v10, s41, v10
	s_delay_alu instid0(VALU_DEP_2) | instskip(SKIP_1) | instid1(VALU_DEP_3)
	v_mul_lo_u32 v12, v4, s44
	v_mul_lo_u32 v14, v4, s45
	v_mul_hi_u32 v11, s43, v10
	s_delay_alu instid0(VALU_DEP_1) | instskip(NEXT) | instid1(VALU_DEP_1)
	v_add_nc_u32_e32 v11, v10, v11
	v_lshrrev_b32_e32 v11, s12, v11
	s_delay_alu instid0(VALU_DEP_1) | instskip(SKIP_1) | instid1(VALU_DEP_2)
	v_mul_hi_u32 v13, s14, v11
	v_mul_lo_u32 v15, v11, s42
	v_add_nc_u32_e32 v4, v11, v13
	v_mul_lo_u32 v13, v10, s39
	s_delay_alu instid0(VALU_DEP_3) | instskip(NEXT) | instid1(VALU_DEP_3)
	v_sub_nc_u32_e32 v10, v10, v15
	v_lshrrev_b32_e32 v4, s15, v4
	s_delay_alu instid0(VALU_DEP_2) | instskip(SKIP_2) | instid1(VALU_DEP_4)
	v_mul_lo_u32 v15, v10, s48
	v_mul_lo_u32 v10, v10, s49
	v_sub_nc_u32_e32 v5, v5, v13
	v_mul_lo_u32 v16, v4, s13
	s_delay_alu instid0(VALU_DEP_2) | instskip(SKIP_1) | instid1(VALU_DEP_3)
	v_mul_lo_u32 v13, v5, s46
	v_mul_lo_u32 v5, v5, s47
	v_sub_nc_u32_e32 v11, v11, v16
	s_delay_alu instid0(VALU_DEP_3) | instskip(NEXT) | instid1(VALU_DEP_2)
	v_add3_u32 v2, v12, v2, v13
	v_mul_lo_u32 v16, v11, s50
	v_mul_lo_u32 v11, v11, s51
	v_add3_u32 v5, v14, v6, v5
	s_delay_alu instid0(VALU_DEP_3) | instskip(NEXT) | instid1(VALU_DEP_2)
	v_add3_u32 v2, v15, v2, v16
	v_add3_u32 v6, v10, v5, v11
	s_cbranch_scc1 .LBB313_1078
; %bb.1079:
	s_and_b32 s7, s7, 3
	s_delay_alu instid0(SALU_CYCLE_1)
	s_cmp_eq_u32 s7, 0
	s_cbranch_scc0 .LBB313_1082
	s_branch .LBB313_1084
.LBB313_1080:
	s_mov_b32 s6, -1
                                        ; implicit-def: $vgpr2
                                        ; implicit-def: $vgpr6
	s_branch .LBB313_1084
.LBB313_1081:
	s_waitcnt vmcnt(0)
	v_mov_b32_e32 v4, v1
	v_mov_b32_e32 v6, 0
	s_and_b32 s7, s7, 3
	s_delay_alu instid0(SALU_CYCLE_1)
	s_cmp_eq_u32 s7, 0
	s_cbranch_scc1 .LBB313_1084
.LBB313_1082:
	s_lshl_b32 s2, s10, 3
	s_mul_i32 s4, s10, 12
	s_add_u32 s2, s2, s16
	s_addc_u32 s3, 0, s17
	s_add_u32 s2, s2, 0xc4
	s_addc_u32 s3, s3, 0
	;; [unrolled: 2-line block ×3, first 2 shown]
	.p2align	6
.LBB313_1083:                           ; =>This Inner Loop Header: Depth=1
	s_clause 0x1
	s_load_b64 s[10:11], s[4:5], 0x4
	s_load_b32 s14, s[4:5], 0xc
	s_load_b64 s[12:13], s[2:3], 0x0
	s_add_u32 s4, s4, 12
	s_addc_u32 s5, s5, 0
	s_add_u32 s2, s2, 8
	s_addc_u32 s3, s3, 0
	s_add_i32 s7, s7, -1
	s_delay_alu instid0(SALU_CYCLE_1) | instskip(SKIP_2) | instid1(VALU_DEP_1)
	s_cmp_lg_u32 s7, 0
	s_waitcnt lgkmcnt(0)
	v_mul_hi_u32 v5, s11, v4
	v_add_nc_u32_e32 v5, v4, v5
	s_delay_alu instid0(VALU_DEP_1) | instskip(NEXT) | instid1(VALU_DEP_1)
	v_lshrrev_b32_e32 v5, s14, v5
	v_mul_lo_u32 v10, v5, s10
	s_delay_alu instid0(VALU_DEP_1) | instskip(NEXT) | instid1(VALU_DEP_1)
	v_sub_nc_u32_e32 v4, v4, v10
	v_mad_u64_u32 v[10:11], null, v4, s12, v[2:3]
	v_mad_u64_u32 v[11:12], null, v4, s13, v[6:7]
	v_mov_b32_e32 v4, v5
	s_delay_alu instid0(VALU_DEP_3) | instskip(NEXT) | instid1(VALU_DEP_3)
	v_mov_b32_e32 v2, v10
	v_mov_b32_e32 v6, v11
	s_cbranch_scc1 .LBB313_1083
.LBB313_1084:
	s_and_not1_b32 vcc_lo, exec_lo, s6
	s_cbranch_vccnz .LBB313_1087
; %bb.1085:
	s_clause 0x1
	s_load_b128 s[4:7], s[16:17], 0x4
	s_load_b64 s[2:3], s[16:17], 0xc4
	s_cmp_lt_u32 s26, 2
	s_waitcnt lgkmcnt(0)
	v_mul_hi_u32 v2, s5, v1
	s_delay_alu instid0(VALU_DEP_1) | instskip(SKIP_1) | instid1(VALU_DEP_1)
	v_add_nc_u32_e32 v2, v1, v2
	s_waitcnt vmcnt(0)
	v_lshrrev_b32_e32 v4, s6, v2
	s_delay_alu instid0(VALU_DEP_1) | instskip(NEXT) | instid1(VALU_DEP_1)
	v_mul_lo_u32 v2, v4, s4
	v_sub_nc_u32_e32 v1, v1, v2
	s_delay_alu instid0(VALU_DEP_1)
	v_mul_lo_u32 v2, v1, s2
	v_mul_lo_u32 v6, v1, s3
	s_cbranch_scc1 .LBB313_1087
; %bb.1086:
	s_clause 0x1
	s_load_b128 s[4:7], s[16:17], 0x10
	s_load_b64 s[2:3], s[16:17], 0xcc
	s_waitcnt lgkmcnt(0)
	v_mul_hi_u32 v1, s5, v4
	s_delay_alu instid0(VALU_DEP_1) | instskip(NEXT) | instid1(VALU_DEP_1)
	v_add_nc_u32_e32 v1, v4, v1
	v_lshrrev_b32_e32 v1, s6, v1
	s_delay_alu instid0(VALU_DEP_1) | instskip(NEXT) | instid1(VALU_DEP_1)
	v_mul_lo_u32 v1, v1, s4
	v_sub_nc_u32_e32 v10, v4, v1
	s_delay_alu instid0(VALU_DEP_1) | instskip(SKIP_1) | instid1(VALU_DEP_2)
	v_mad_u64_u32 v[4:5], null, v10, s2, v[2:3]
	v_mad_u64_u32 v[1:2], null, v10, s3, v[6:7]
	v_mov_b32_e32 v2, v4
	s_delay_alu instid0(VALU_DEP_2)
	v_mov_b32_e32 v6, v1
.LBB313_1087:
	v_cmp_ne_u32_e32 vcc_lo, 1, v0
	s_waitcnt vmcnt(0)
	v_add_nc_u32_e32 v4, 0x100, v8
	s_cbranch_vccnz .LBB313_1093
; %bb.1088:
	v_mov_b32_e32 v1, 0
	v_mov_b32_e32 v5, 0
	s_cmp_lg_u32 s26, 0
	s_mov_b32 s6, 0
	s_cbranch_scc0 .LBB313_1097
; %bb.1089:
	s_min_u32 s7, s27, 15
	v_mov_b32_e32 v1, 0
	s_add_i32 s7, s7, 1
	s_cmp_eq_u32 s27, 2
	s_mov_b32 s10, 0
	s_cbranch_scc1 .LBB313_1094
; %bb.1090:
	v_dual_mov_b32 v5, 0 :: v_dual_mov_b32 v8, v4
	v_mov_b32_e32 v1, 0
	s_add_u32 s2, s16, 0xc4
	s_addc_u32 s3, s17, 0
	s_and_b32 s10, s7, 28
	s_mov_b32 s11, 0
	s_mov_b64 s[4:5], s[16:17]
.LBB313_1091:                           ; =>This Inner Loop Header: Depth=1
	s_clause 0x1
	s_load_b256 s[36:43], s[4:5], 0x4
	s_load_b128 s[12:15], s[4:5], 0x24
	s_load_b256 s[44:51], s[2:3], 0x0
	s_add_u32 s4, s4, 48
	s_addc_u32 s5, s5, 0
	s_add_i32 s11, s11, 4
	s_add_u32 s2, s2, 32
	s_addc_u32 s3, s3, 0
	s_cmp_lg_u32 s10, s11
	s_waitcnt lgkmcnt(0)
	v_mul_hi_u32 v10, s37, v8
	s_delay_alu instid0(VALU_DEP_1) | instskip(NEXT) | instid1(VALU_DEP_1)
	v_add_nc_u32_e32 v10, v8, v10
	v_lshrrev_b32_e32 v10, s38, v10
	s_delay_alu instid0(VALU_DEP_1) | instskip(SKIP_1) | instid1(VALU_DEP_2)
	v_mul_hi_u32 v11, s40, v10
	v_mul_lo_u32 v13, v10, s36
	v_add_nc_u32_e32 v11, v10, v11
	s_delay_alu instid0(VALU_DEP_2) | instskip(NEXT) | instid1(VALU_DEP_2)
	v_sub_nc_u32_e32 v8, v8, v13
	v_lshrrev_b32_e32 v11, s41, v11
	s_delay_alu instid0(VALU_DEP_2) | instskip(SKIP_1) | instid1(VALU_DEP_3)
	v_mul_lo_u32 v13, v8, s44
	v_mul_lo_u32 v15, v8, s45
	v_mul_hi_u32 v12, s43, v11
	s_delay_alu instid0(VALU_DEP_1) | instskip(NEXT) | instid1(VALU_DEP_1)
	v_add_nc_u32_e32 v12, v11, v12
	v_lshrrev_b32_e32 v12, s12, v12
	s_delay_alu instid0(VALU_DEP_1) | instskip(SKIP_1) | instid1(VALU_DEP_2)
	v_mul_hi_u32 v14, s14, v12
	v_mul_lo_u32 v16, v12, s42
	v_add_nc_u32_e32 v8, v12, v14
	v_mul_lo_u32 v14, v11, s39
	s_delay_alu instid0(VALU_DEP_3) | instskip(NEXT) | instid1(VALU_DEP_3)
	v_sub_nc_u32_e32 v11, v11, v16
	v_lshrrev_b32_e32 v8, s15, v8
	s_delay_alu instid0(VALU_DEP_2) | instskip(SKIP_2) | instid1(VALU_DEP_4)
	v_mul_lo_u32 v16, v11, s48
	v_mul_lo_u32 v11, v11, s49
	v_sub_nc_u32_e32 v10, v10, v14
	v_mul_lo_u32 v17, v8, s13
	s_delay_alu instid0(VALU_DEP_2) | instskip(SKIP_1) | instid1(VALU_DEP_3)
	v_mul_lo_u32 v14, v10, s46
	v_mul_lo_u32 v10, v10, s47
	v_sub_nc_u32_e32 v12, v12, v17
	s_delay_alu instid0(VALU_DEP_3) | instskip(NEXT) | instid1(VALU_DEP_2)
	v_add3_u32 v1, v13, v1, v14
	v_mul_lo_u32 v17, v12, s50
	v_mul_lo_u32 v12, v12, s51
	v_add3_u32 v5, v15, v5, v10
	s_delay_alu instid0(VALU_DEP_3) | instskip(NEXT) | instid1(VALU_DEP_2)
	v_add3_u32 v1, v16, v1, v17
	v_add3_u32 v5, v11, v5, v12
	s_cbranch_scc1 .LBB313_1091
; %bb.1092:
	s_and_b32 s7, s7, 3
	s_delay_alu instid0(SALU_CYCLE_1)
	s_cmp_eq_u32 s7, 0
	s_cbranch_scc0 .LBB313_1095
	s_branch .LBB313_1097
.LBB313_1093:
	s_mov_b32 s6, -1
                                        ; implicit-def: $vgpr1
                                        ; implicit-def: $vgpr5
	s_branch .LBB313_1097
.LBB313_1094:
	v_dual_mov_b32 v8, v4 :: v_dual_mov_b32 v5, 0
	s_and_b32 s7, s7, 3
	s_delay_alu instid0(SALU_CYCLE_1)
	s_cmp_eq_u32 s7, 0
	s_cbranch_scc1 .LBB313_1097
.LBB313_1095:
	s_lshl_b32 s2, s10, 3
	s_mul_i32 s4, s10, 12
	s_add_u32 s2, s2, s16
	s_addc_u32 s3, 0, s17
	s_add_u32 s2, s2, 0xc4
	s_addc_u32 s3, s3, 0
	;; [unrolled: 2-line block ×3, first 2 shown]
	.p2align	6
.LBB313_1096:                           ; =>This Inner Loop Header: Depth=1
	s_clause 0x1
	s_load_b64 s[10:11], s[4:5], 0x4
	s_load_b32 s14, s[4:5], 0xc
	s_load_b64 s[12:13], s[2:3], 0x0
	s_add_u32 s4, s4, 12
	s_addc_u32 s5, s5, 0
	s_add_u32 s2, s2, 8
	s_addc_u32 s3, s3, 0
	s_add_i32 s7, s7, -1
	s_delay_alu instid0(SALU_CYCLE_1) | instskip(SKIP_2) | instid1(VALU_DEP_1)
	s_cmp_lg_u32 s7, 0
	s_waitcnt lgkmcnt(0)
	v_mul_hi_u32 v10, s11, v8
	v_add_nc_u32_e32 v10, v8, v10
	s_delay_alu instid0(VALU_DEP_1) | instskip(NEXT) | instid1(VALU_DEP_1)
	v_lshrrev_b32_e32 v13, s14, v10
	v_mul_lo_u32 v10, v13, s10
	s_delay_alu instid0(VALU_DEP_1) | instskip(NEXT) | instid1(VALU_DEP_1)
	v_sub_nc_u32_e32 v8, v8, v10
	v_mad_u64_u32 v[10:11], null, v8, s12, v[1:2]
	v_mad_u64_u32 v[11:12], null, v8, s13, v[5:6]
	s_delay_alu instid0(VALU_DEP_2) | instskip(NEXT) | instid1(VALU_DEP_2)
	v_dual_mov_b32 v8, v13 :: v_dual_mov_b32 v1, v10
	v_mov_b32_e32 v5, v11
	s_cbranch_scc1 .LBB313_1096
.LBB313_1097:
	s_and_not1_b32 vcc_lo, exec_lo, s6
	s_cbranch_vccnz .LBB313_1100
; %bb.1098:
	s_clause 0x1
	s_load_b128 s[4:7], s[16:17], 0x4
	s_load_b64 s[2:3], s[16:17], 0xc4
	s_cmp_lt_u32 s26, 2
	s_waitcnt lgkmcnt(0)
	v_mul_hi_u32 v1, s5, v4
	s_delay_alu instid0(VALU_DEP_1) | instskip(NEXT) | instid1(VALU_DEP_1)
	v_add_nc_u32_e32 v1, v4, v1
	v_lshrrev_b32_e32 v8, s6, v1
	s_delay_alu instid0(VALU_DEP_1) | instskip(NEXT) | instid1(VALU_DEP_1)
	v_mul_lo_u32 v1, v8, s4
	v_sub_nc_u32_e32 v4, v4, v1
	s_delay_alu instid0(VALU_DEP_1)
	v_mul_lo_u32 v1, v4, s2
	v_mul_lo_u32 v5, v4, s3
	s_cbranch_scc1 .LBB313_1100
; %bb.1099:
	s_clause 0x1
	s_load_b128 s[4:7], s[16:17], 0x10
	s_load_b64 s[2:3], s[16:17], 0xcc
	s_waitcnt lgkmcnt(0)
	v_mul_hi_u32 v4, s5, v8
	s_delay_alu instid0(VALU_DEP_1) | instskip(NEXT) | instid1(VALU_DEP_1)
	v_add_nc_u32_e32 v4, v8, v4
	v_lshrrev_b32_e32 v4, s6, v4
	s_delay_alu instid0(VALU_DEP_1) | instskip(NEXT) | instid1(VALU_DEP_1)
	v_mul_lo_u32 v4, v4, s4
	v_sub_nc_u32_e32 v4, v8, v4
	s_delay_alu instid0(VALU_DEP_1) | instskip(SKIP_1) | instid1(VALU_DEP_2)
	v_mad_u64_u32 v[10:11], null, v4, s2, v[1:2]
	v_mad_u64_u32 v[11:12], null, v4, s3, v[5:6]
	v_mov_b32_e32 v1, v10
	s_delay_alu instid0(VALU_DEP_2)
	v_mov_b32_e32 v5, v11
.LBB313_1100:
	v_cmp_ne_u32_e32 vcc_lo, 1, v0
	s_cbranch_vccnz .LBB313_1106
; %bb.1101:
	v_mov_b32_e32 v0, 0
	v_mov_b32_e32 v4, 0
	s_cmp_lg_u32 s26, 0
	s_mov_b32 s6, 0
	s_cbranch_scc0 .LBB313_1110
; %bb.1102:
	s_min_u32 s7, s27, 15
	v_mov_b32_e32 v0, 0
	s_add_i32 s7, s7, 1
	s_cmp_eq_u32 s27, 2
	s_mov_b32 s10, 0
	s_cbranch_scc1 .LBB313_1107
; %bb.1103:
	v_mov_b32_e32 v4, 0
	v_mov_b32_e32 v0, 0
	v_mov_b32_e32 v8, v9
	s_add_u32 s2, s16, 0xc4
	s_addc_u32 s3, s17, 0
	s_and_b32 s10, s7, 28
	s_mov_b32 s11, 0
	s_mov_b64 s[4:5], s[16:17]
.LBB313_1104:                           ; =>This Inner Loop Header: Depth=1
	s_clause 0x1
	s_load_b256 s[36:43], s[4:5], 0x4
	s_load_b128 s[12:15], s[4:5], 0x24
	s_load_b256 s[44:51], s[2:3], 0x0
	s_add_u32 s4, s4, 48
	s_addc_u32 s5, s5, 0
	s_add_i32 s11, s11, 4
	s_add_u32 s2, s2, 32
	s_addc_u32 s3, s3, 0
	s_cmp_lg_u32 s10, s11
	s_waitcnt lgkmcnt(0)
	v_mul_hi_u32 v10, s37, v8
	s_delay_alu instid0(VALU_DEP_1) | instskip(NEXT) | instid1(VALU_DEP_1)
	v_add_nc_u32_e32 v10, v8, v10
	v_lshrrev_b32_e32 v10, s38, v10
	s_delay_alu instid0(VALU_DEP_1) | instskip(SKIP_1) | instid1(VALU_DEP_2)
	v_mul_hi_u32 v11, s40, v10
	v_mul_lo_u32 v13, v10, s36
	v_add_nc_u32_e32 v11, v10, v11
	s_delay_alu instid0(VALU_DEP_2) | instskip(NEXT) | instid1(VALU_DEP_2)
	v_sub_nc_u32_e32 v8, v8, v13
	v_lshrrev_b32_e32 v11, s41, v11
	s_delay_alu instid0(VALU_DEP_2) | instskip(SKIP_1) | instid1(VALU_DEP_3)
	v_mul_lo_u32 v13, v8, s44
	v_mul_lo_u32 v15, v8, s45
	v_mul_hi_u32 v12, s43, v11
	s_delay_alu instid0(VALU_DEP_1) | instskip(NEXT) | instid1(VALU_DEP_1)
	v_add_nc_u32_e32 v12, v11, v12
	v_lshrrev_b32_e32 v12, s12, v12
	s_delay_alu instid0(VALU_DEP_1) | instskip(SKIP_1) | instid1(VALU_DEP_2)
	v_mul_hi_u32 v14, s14, v12
	v_mul_lo_u32 v16, v12, s42
	v_add_nc_u32_e32 v8, v12, v14
	v_mul_lo_u32 v14, v11, s39
	s_delay_alu instid0(VALU_DEP_3) | instskip(NEXT) | instid1(VALU_DEP_3)
	v_sub_nc_u32_e32 v11, v11, v16
	v_lshrrev_b32_e32 v8, s15, v8
	s_delay_alu instid0(VALU_DEP_2) | instskip(SKIP_2) | instid1(VALU_DEP_4)
	v_mul_lo_u32 v16, v11, s48
	v_mul_lo_u32 v11, v11, s49
	v_sub_nc_u32_e32 v10, v10, v14
	v_mul_lo_u32 v17, v8, s13
	s_delay_alu instid0(VALU_DEP_2) | instskip(SKIP_1) | instid1(VALU_DEP_3)
	v_mul_lo_u32 v14, v10, s46
	v_mul_lo_u32 v10, v10, s47
	v_sub_nc_u32_e32 v12, v12, v17
	s_delay_alu instid0(VALU_DEP_3) | instskip(NEXT) | instid1(VALU_DEP_2)
	v_add3_u32 v0, v13, v0, v14
	v_mul_lo_u32 v17, v12, s50
	v_mul_lo_u32 v12, v12, s51
	v_add3_u32 v4, v15, v4, v10
	s_delay_alu instid0(VALU_DEP_3) | instskip(NEXT) | instid1(VALU_DEP_2)
	v_add3_u32 v0, v16, v0, v17
	v_add3_u32 v4, v11, v4, v12
	s_cbranch_scc1 .LBB313_1104
; %bb.1105:
	s_and_b32 s7, s7, 3
	s_delay_alu instid0(SALU_CYCLE_1)
	s_cmp_eq_u32 s7, 0
	s_cbranch_scc0 .LBB313_1108
	s_branch .LBB313_1110
.LBB313_1106:
	s_mov_b32 s6, -1
                                        ; implicit-def: $vgpr0
                                        ; implicit-def: $vgpr4
	s_branch .LBB313_1110
.LBB313_1107:
	v_mov_b32_e32 v8, v9
	v_mov_b32_e32 v4, 0
	s_and_b32 s7, s7, 3
	s_delay_alu instid0(SALU_CYCLE_1)
	s_cmp_eq_u32 s7, 0
	s_cbranch_scc1 .LBB313_1110
.LBB313_1108:
	s_lshl_b32 s2, s10, 3
	s_mul_i32 s4, s10, 12
	s_add_u32 s2, s2, s16
	s_addc_u32 s3, 0, s17
	s_add_u32 s2, s2, 0xc4
	s_addc_u32 s3, s3, 0
	;; [unrolled: 2-line block ×3, first 2 shown]
	.p2align	6
.LBB313_1109:                           ; =>This Inner Loop Header: Depth=1
	s_clause 0x1
	s_load_b64 s[10:11], s[4:5], 0x4
	s_load_b32 s14, s[4:5], 0xc
	s_load_b64 s[12:13], s[2:3], 0x0
	s_add_u32 s4, s4, 12
	s_addc_u32 s5, s5, 0
	s_add_u32 s2, s2, 8
	s_addc_u32 s3, s3, 0
	s_add_i32 s7, s7, -1
	s_delay_alu instid0(SALU_CYCLE_1) | instskip(SKIP_2) | instid1(VALU_DEP_1)
	s_cmp_lg_u32 s7, 0
	s_waitcnt lgkmcnt(0)
	v_mul_hi_u32 v10, s11, v8
	v_add_nc_u32_e32 v10, v8, v10
	s_delay_alu instid0(VALU_DEP_1) | instskip(NEXT) | instid1(VALU_DEP_1)
	v_lshrrev_b32_e32 v13, s14, v10
	v_mul_lo_u32 v10, v13, s10
	s_delay_alu instid0(VALU_DEP_1) | instskip(NEXT) | instid1(VALU_DEP_1)
	v_sub_nc_u32_e32 v8, v8, v10
	v_mad_u64_u32 v[10:11], null, v8, s12, v[0:1]
	v_mad_u64_u32 v[11:12], null, v8, s13, v[4:5]
	v_mov_b32_e32 v8, v13
	s_delay_alu instid0(VALU_DEP_3) | instskip(NEXT) | instid1(VALU_DEP_3)
	v_mov_b32_e32 v0, v10
	v_mov_b32_e32 v4, v11
	s_cbranch_scc1 .LBB313_1109
.LBB313_1110:
	s_and_not1_b32 vcc_lo, exec_lo, s6
	s_cbranch_vccnz .LBB313_1113
; %bb.1111:
	s_clause 0x1
	s_load_b128 s[4:7], s[16:17], 0x4
	s_load_b64 s[2:3], s[16:17], 0xc4
	s_cmp_lt_u32 s26, 2
	s_waitcnt lgkmcnt(0)
	v_mul_hi_u32 v0, s5, v9
	s_delay_alu instid0(VALU_DEP_1) | instskip(NEXT) | instid1(VALU_DEP_1)
	v_add_nc_u32_e32 v0, v9, v0
	v_lshrrev_b32_e32 v8, s6, v0
	s_delay_alu instid0(VALU_DEP_1) | instskip(NEXT) | instid1(VALU_DEP_1)
	v_mul_lo_u32 v0, v8, s4
	v_sub_nc_u32_e32 v4, v9, v0
	s_delay_alu instid0(VALU_DEP_1)
	v_mul_lo_u32 v0, v4, s2
	v_mul_lo_u32 v4, v4, s3
	s_cbranch_scc1 .LBB313_1113
; %bb.1112:
	s_clause 0x1
	s_load_b128 s[4:7], s[16:17], 0x10
	s_load_b64 s[2:3], s[16:17], 0xcc
	s_waitcnt lgkmcnt(0)
	v_mul_hi_u32 v9, s5, v8
	s_delay_alu instid0(VALU_DEP_1) | instskip(NEXT) | instid1(VALU_DEP_1)
	v_add_nc_u32_e32 v9, v8, v9
	v_lshrrev_b32_e32 v9, s6, v9
	s_delay_alu instid0(VALU_DEP_1) | instskip(NEXT) | instid1(VALU_DEP_1)
	v_mul_lo_u32 v9, v9, s4
	v_sub_nc_u32_e32 v11, v8, v9
	s_delay_alu instid0(VALU_DEP_1) | instskip(SKIP_1) | instid1(VALU_DEP_2)
	v_mad_u64_u32 v[8:9], null, v11, s2, v[0:1]
	v_mad_u64_u32 v[9:10], null, v11, s3, v[4:5]
	v_mov_b32_e32 v0, v8
	s_delay_alu instid0(VALU_DEP_2)
	v_mov_b32_e32 v4, v9
.LBB313_1113:
	s_clause 0x1
	s_load_b32 s0, s[0:1], 0x164
	s_load_b128 s[4:7], s[16:17], 0x148
	s_mov_b32 s3, 0
	s_waitcnt lgkmcnt(0)
	s_lshr_b32 s0, s0, 8
	s_delay_alu instid0(SALU_CYCLE_1) | instskip(SKIP_1) | instid1(VALU_DEP_1)
	v_and_b32_e64 v13, 0xff, s0
	v_add_co_u32 v7, s0, s6, v7
	v_add_co_ci_u32_e64 v8, null, s7, 0, s0
	s_delay_alu instid0(VALU_DEP_3)
	v_cmp_gt_i16_e32 vcc_lo, 11, v13
	s_cbranch_vccnz .LBB313_1120
; %bb.1114:
	v_cmp_lt_i16_e32 vcc_lo, 25, v13
	s_mov_b32 s2, 0
	s_cbranch_vccz .LBB313_1126
; %bb.1115:
	v_cmp_lt_i16_e32 vcc_lo, 28, v13
	s_cbranch_vccz .LBB313_1128
; %bb.1116:
	v_cmp_lt_i16_e32 vcc_lo, 43, v13
	;; [unrolled: 3-line block ×3, first 2 shown]
	s_cbranch_vccz .LBB313_1134
; %bb.1118:
	v_cmp_eq_u16_e32 vcc_lo, 46, v13
	s_mov_b32 s1, 0
	s_cbranch_vccz .LBB313_1176
; %bb.1119:
	global_load_b32 v9, v[7:8], off
	s_mov_b32 s0, 0
	s_mov_b32 s3, -1
	s_waitcnt vmcnt(0)
	v_lshlrev_b32_e32 v9, 16, v9
	s_delay_alu instid0(VALU_DEP_1)
	v_cvt_i32_f32_e32 v10, v9
	s_branch .LBB313_1178
.LBB313_1120:
	s_mov_b32 s1, s8
                                        ; implicit-def: $vgpr10
	s_cbranch_execz .LBB313_1236
; %bb.1121:
	v_cmp_gt_i16_e32 vcc_lo, 5, v13
	s_cbranch_vccnz .LBB313_1127
; %bb.1122:
	v_cmp_gt_i16_e32 vcc_lo, 8, v13
	s_cbranch_vccnz .LBB313_1129
	;; [unrolled: 3-line block ×3, first 2 shown]
; %bb.1124:
	v_cmp_lt_i16_e32 vcc_lo, 9, v13
	s_cbranch_vccz .LBB313_1135
; %bb.1125:
	global_load_b64 v[9:10], v[7:8], off
	s_mov_b32 s0, 0
	s_waitcnt vmcnt(0)
	v_cvt_i32_f64_e32 v10, v[9:10]
	s_branch .LBB313_1136
.LBB313_1126:
	s_mov_b32 s0, 0
                                        ; implicit-def: $vgpr10
	s_cbranch_execnz .LBB313_1203
	s_branch .LBB313_1232
.LBB313_1127:
                                        ; implicit-def: $vgpr10
	s_branch .LBB313_1153
.LBB313_1128:
	s_mov_b32 s0, 0
                                        ; implicit-def: $vgpr10
	s_cbranch_execz .LBB313_1202
	s_branch .LBB313_1187
.LBB313_1129:
                                        ; implicit-def: $vgpr10
	s_branch .LBB313_1142
.LBB313_1130:
	s_mov_b32 s0, 0
                                        ; implicit-def: $vgpr10
	s_cbranch_execnz .LBB313_1183
	s_branch .LBB313_1186
.LBB313_1131:
	s_mov_b32 s0, -1
                                        ; implicit-def: $vgpr10
	s_branch .LBB313_1139
.LBB313_1132:
	s_cbranch_execnz .LBB313_1174
; %bb.1133:
	s_or_b32 s3, s3, exec_lo
	s_and_not1_b32 s8, s8, exec_lo
	s_or_b32 exec_lo, exec_lo, s2
	s_and_saveexec_b32 s2, s8
	s_delay_alu instid0(SALU_CYCLE_1)
	s_xor_b32 s2, exec_lo, s2
	s_cbranch_execnz .LBB313_1020
	s_branch .LBB313_1021
.LBB313_1134:
	s_mov_b32 s1, -1
	s_mov_b32 s0, 0
	s_branch .LBB313_1177
.LBB313_1135:
	s_mov_b32 s0, -1
                                        ; implicit-def: $vgpr10
.LBB313_1136:
	s_delay_alu instid0(SALU_CYCLE_1)
	s_and_not1_b32 vcc_lo, exec_lo, s0
	s_cbranch_vccnz .LBB313_1138
; %bb.1137:
	global_load_b32 v9, v[7:8], off
	s_waitcnt vmcnt(0)
	v_cvt_i32_f32_e32 v10, v9
.LBB313_1138:
	s_mov_b32 s0, 0
.LBB313_1139:
	s_delay_alu instid0(SALU_CYCLE_1)
	s_and_not1_b32 vcc_lo, exec_lo, s0
	s_cbranch_vccnz .LBB313_1141
; %bb.1140:
	global_load_b32 v9, v[7:8], off
	s_waitcnt vmcnt(0)
	v_cvt_i16_f16_e32 v10, v9
.LBB313_1141:
	s_cbranch_execnz .LBB313_1152
.LBB313_1142:
	v_cmp_gt_i16_e32 vcc_lo, 6, v13
	s_cbranch_vccnz .LBB313_1145
; %bb.1143:
	v_cmp_lt_i16_e32 vcc_lo, 6, v13
	s_cbranch_vccz .LBB313_1146
; %bb.1144:
	global_load_b64 v[9:10], v[7:8], off
	s_mov_b32 s0, 0
	s_waitcnt vmcnt(0)
	v_cvt_i32_f64_e32 v10, v[9:10]
	s_branch .LBB313_1147
.LBB313_1145:
	s_mov_b32 s0, -1
                                        ; implicit-def: $vgpr10
	s_branch .LBB313_1150
.LBB313_1146:
	s_mov_b32 s0, -1
                                        ; implicit-def: $vgpr10
.LBB313_1147:
	s_delay_alu instid0(SALU_CYCLE_1)
	s_and_not1_b32 vcc_lo, exec_lo, s0
	s_cbranch_vccnz .LBB313_1149
; %bb.1148:
	global_load_b32 v9, v[7:8], off
	s_waitcnt vmcnt(0)
	v_cvt_i32_f32_e32 v10, v9
.LBB313_1149:
	s_mov_b32 s0, 0
.LBB313_1150:
	s_delay_alu instid0(SALU_CYCLE_1)
	s_and_not1_b32 vcc_lo, exec_lo, s0
	s_cbranch_vccnz .LBB313_1152
; %bb.1151:
	global_load_u16 v9, v[7:8], off
	s_waitcnt vmcnt(0)
	v_cvt_i16_f16_e32 v10, v9
.LBB313_1152:
	s_cbranch_execnz .LBB313_1171
.LBB313_1153:
	v_cmp_gt_i16_e32 vcc_lo, 2, v13
	s_cbranch_vccnz .LBB313_1157
; %bb.1154:
	v_cmp_gt_i16_e32 vcc_lo, 3, v13
	s_cbranch_vccnz .LBB313_1158
; %bb.1155:
	v_cmp_lt_i16_e32 vcc_lo, 3, v13
	s_cbranch_vccz .LBB313_1159
; %bb.1156:
	global_load_b64 v[10:11], v[7:8], off
	s_mov_b32 s0, 0
	s_branch .LBB313_1160
.LBB313_1157:
                                        ; implicit-def: $vgpr10
	s_branch .LBB313_1166
.LBB313_1158:
	s_mov_b32 s0, -1
                                        ; implicit-def: $vgpr10
	s_branch .LBB313_1163
.LBB313_1159:
	s_mov_b32 s0, -1
                                        ; implicit-def: $vgpr10
.LBB313_1160:
	s_delay_alu instid0(SALU_CYCLE_1)
	s_and_not1_b32 vcc_lo, exec_lo, s0
	s_cbranch_vccnz .LBB313_1162
; %bb.1161:
	global_load_b32 v10, v[7:8], off
.LBB313_1162:
	s_mov_b32 s0, 0
.LBB313_1163:
	s_delay_alu instid0(SALU_CYCLE_1)
	s_and_not1_b32 vcc_lo, exec_lo, s0
	s_cbranch_vccnz .LBB313_1165
; %bb.1164:
	global_load_u16 v10, v[7:8], off
.LBB313_1165:
	s_cbranch_execnz .LBB313_1171
.LBB313_1166:
	v_cmp_lt_i16_e32 vcc_lo, 0, v13
	s_mov_b32 s0, 0
	s_cbranch_vccz .LBB313_1168
; %bb.1167:
	global_load_i8 v10, v[7:8], off
	s_branch .LBB313_1169
.LBB313_1168:
	s_mov_b32 s0, -1
                                        ; implicit-def: $vgpr10
.LBB313_1169:
	s_delay_alu instid0(SALU_CYCLE_1)
	s_and_not1_b32 vcc_lo, exec_lo, s0
	s_cbranch_vccnz .LBB313_1171
; %bb.1170:
	global_load_u8 v10, v[7:8], off
.LBB313_1171:
	s_branch .LBB313_1237
.LBB313_1172:
	s_trap 2
	s_sendmsg_rtn_b32 s0, sendmsg(MSG_RTN_GET_DOORBELL)
	s_mov_b32 ttmp2, m0
	s_waitcnt lgkmcnt(0)
	s_and_b32 s0, s0, 0x3ff
	s_delay_alu instid0(SALU_CYCLE_1) | instskip(NEXT) | instid1(SALU_CYCLE_1)
	s_bitset1_b32 s0, 10
	s_mov_b32 m0, s0
	s_sendmsg sendmsg(MSG_INTERRUPT)
	s_mov_b32 m0, ttmp2
.LBB313_1173:                           ; =>This Inner Loop Header: Depth=1
	s_sethalt 5
	s_branch .LBB313_1173
.LBB313_1174:
	s_trap 2
	s_sendmsg_rtn_b32 s0, sendmsg(MSG_RTN_GET_DOORBELL)
	s_mov_b32 ttmp2, m0
	s_waitcnt lgkmcnt(0)
	s_and_b32 s0, s0, 0x3ff
	s_delay_alu instid0(SALU_CYCLE_1) | instskip(NEXT) | instid1(SALU_CYCLE_1)
	s_bitset1_b32 s0, 10
	s_mov_b32 m0, s0
	s_sendmsg sendmsg(MSG_INTERRUPT)
	s_mov_b32 m0, ttmp2
.LBB313_1175:                           ; =>This Inner Loop Header: Depth=1
	s_sethalt 5
	s_branch .LBB313_1175
.LBB313_1176:
	s_mov_b32 s0, -1
.LBB313_1177:
                                        ; implicit-def: $vgpr10
.LBB313_1178:
	s_and_b32 vcc_lo, exec_lo, s1
	s_cbranch_vccz .LBB313_1181
; %bb.1179:
	v_cmp_eq_u16_e32 vcc_lo, 44, v13
	s_cbranch_vccz .LBB313_1182
; %bb.1180:
	global_load_u8 v9, v[7:8], off
	s_mov_b32 s0, 0
	s_mov_b32 s3, -1
	s_waitcnt vmcnt(0)
	v_lshlrev_b32_e32 v10, 23, v9
	v_cmp_ne_u32_e32 vcc_lo, 0, v9
	s_delay_alu instid0(VALU_DEP_2) | instskip(NEXT) | instid1(VALU_DEP_1)
	v_cvt_i32_f32_e32 v10, v10
	v_cndmask_b32_e32 v10, 0, v10, vcc_lo
.LBB313_1181:
	s_branch .LBB313_1186
.LBB313_1182:
	s_mov_b32 s0, -1
                                        ; implicit-def: $vgpr10
	s_branch .LBB313_1186
.LBB313_1183:
	v_cmp_eq_u16_e32 vcc_lo, 29, v13
	s_cbranch_vccz .LBB313_1185
; %bb.1184:
	global_load_b64 v[10:11], v[7:8], off
	s_mov_b32 s0, 0
	s_mov_b32 s3, -1
	s_branch .LBB313_1186
.LBB313_1185:
	s_mov_b32 s0, -1
                                        ; implicit-def: $vgpr10
.LBB313_1186:
	s_branch .LBB313_1202
.LBB313_1187:
	v_cmp_gt_i16_e32 vcc_lo, 27, v13
	s_cbranch_vccnz .LBB313_1190
; %bb.1188:
	v_cmp_lt_i16_e32 vcc_lo, 27, v13
	s_cbranch_vccz .LBB313_1191
; %bb.1189:
	global_load_b32 v10, v[7:8], off
	s_mov_b32 s1, 0
	s_branch .LBB313_1192
.LBB313_1190:
	s_mov_b32 s1, -1
                                        ; implicit-def: $vgpr10
	s_branch .LBB313_1195
.LBB313_1191:
	s_mov_b32 s1, -1
                                        ; implicit-def: $vgpr10
.LBB313_1192:
	s_delay_alu instid0(SALU_CYCLE_1)
	s_and_not1_b32 vcc_lo, exec_lo, s1
	s_cbranch_vccnz .LBB313_1194
; %bb.1193:
	global_load_u16 v10, v[7:8], off
.LBB313_1194:
	s_mov_b32 s1, 0
.LBB313_1195:
	s_delay_alu instid0(SALU_CYCLE_1)
	s_and_not1_b32 vcc_lo, exec_lo, s1
	s_cbranch_vccnz .LBB313_1201
; %bb.1196:
	global_load_u8 v9, v[7:8], off
	s_mov_b32 s1, 0
	s_mov_b32 s3, exec_lo
                                        ; implicit-def: $sgpr10
	s_waitcnt vmcnt(0)
	v_cmpx_lt_i16_e32 0x7f, v9
	s_xor_b32 s3, exec_lo, s3
	s_cbranch_execz .LBB313_1212
; %bb.1197:
	v_cmp_ne_u16_e32 vcc_lo, 0x80, v9
	s_mov_b32 s10, 0
	s_and_b32 s1, vcc_lo, exec_lo
	s_or_saveexec_b32 s3, s3
	v_mov_b32_e32 v10, s10
	s_xor_b32 exec_lo, exec_lo, s3
	s_cbranch_execnz .LBB313_1213
.LBB313_1198:
	s_or_b32 exec_lo, exec_lo, s3
	s_and_saveexec_b32 s3, s1
	s_cbranch_execz .LBB313_1200
.LBB313_1199:
	v_and_b32_e32 v10, 0xffff, v9
	v_lshlrev_b32_e32 v9, 24, v9
	s_delay_alu instid0(VALU_DEP_2) | instskip(NEXT) | instid1(VALU_DEP_2)
	v_and_b32_e32 v11, 7, v10
	v_and_b32_e32 v9, 0x80000000, v9
	s_delay_alu instid0(VALU_DEP_2) | instskip(NEXT) | instid1(VALU_DEP_1)
	v_clz_i32_u32_e32 v12, v11
	v_min_u32_e32 v12, 32, v12
	s_delay_alu instid0(VALU_DEP_1) | instskip(SKIP_1) | instid1(VALU_DEP_2)
	v_subrev_nc_u32_e32 v14, 28, v12
	v_sub_nc_u32_e32 v12, 29, v12
	v_lshlrev_b32_e32 v14, v14, v10
	v_bfe_u32 v10, v10, 3, 4
	s_delay_alu instid0(VALU_DEP_2) | instskip(NEXT) | instid1(VALU_DEP_2)
	v_and_b32_e32 v14, 7, v14
	v_cmp_eq_u32_e32 vcc_lo, 0, v10
	s_delay_alu instid0(VALU_DEP_2) | instskip(NEXT) | instid1(VALU_DEP_1)
	v_dual_cndmask_b32 v10, v10, v12 :: v_dual_cndmask_b32 v11, v11, v14
	v_lshl_add_u32 v10, v10, 23, 0x3b800000
	s_delay_alu instid0(VALU_DEP_2) | instskip(NEXT) | instid1(VALU_DEP_1)
	v_lshlrev_b32_e32 v11, 20, v11
	v_or3_b32 v9, v9, v10, v11
	s_delay_alu instid0(VALU_DEP_1)
	v_cvt_i32_f32_e32 v10, v9
.LBB313_1200:
	s_or_b32 exec_lo, exec_lo, s3
.LBB313_1201:
	s_mov_b32 s3, -1
.LBB313_1202:
	s_branch .LBB313_1232
.LBB313_1203:
	v_cmp_lt_i16_e32 vcc_lo, 22, v13
	s_cbranch_vccz .LBB313_1211
; %bb.1204:
	v_cmp_gt_i16_e32 vcc_lo, 24, v13
	s_cbranch_vccnz .LBB313_1214
; %bb.1205:
	v_cmp_lt_i16_e32 vcc_lo, 24, v13
	s_cbranch_vccz .LBB313_1215
; %bb.1206:
	global_load_u8 v9, v[7:8], off
	s_mov_b32 s1, 0
	s_mov_b32 s2, exec_lo
                                        ; implicit-def: $sgpr3
	s_waitcnt vmcnt(0)
	v_cmpx_lt_i16_e32 0x7f, v9
	s_xor_b32 s2, exec_lo, s2
	s_cbranch_execz .LBB313_1226
; %bb.1207:
	v_cmp_ne_u16_e32 vcc_lo, 0x80, v9
	s_mov_b32 s3, 0
	s_and_b32 s1, vcc_lo, exec_lo
	s_or_saveexec_b32 s2, s2
	v_mov_b32_e32 v10, s3
	s_xor_b32 exec_lo, exec_lo, s2
	s_cbranch_execnz .LBB313_1227
.LBB313_1208:
	s_or_b32 exec_lo, exec_lo, s2
	s_and_saveexec_b32 s2, s1
	s_cbranch_execz .LBB313_1210
.LBB313_1209:
	v_and_b32_e32 v10, 0xffff, v9
	v_lshlrev_b32_e32 v9, 24, v9
	s_delay_alu instid0(VALU_DEP_2) | instskip(NEXT) | instid1(VALU_DEP_2)
	v_and_b32_e32 v11, 3, v10
	v_and_b32_e32 v9, 0x80000000, v9
	s_delay_alu instid0(VALU_DEP_2) | instskip(NEXT) | instid1(VALU_DEP_1)
	v_clz_i32_u32_e32 v12, v11
	v_min_u32_e32 v12, 32, v12
	s_delay_alu instid0(VALU_DEP_1) | instskip(SKIP_1) | instid1(VALU_DEP_2)
	v_subrev_nc_u32_e32 v14, 29, v12
	v_sub_nc_u32_e32 v12, 30, v12
	v_lshlrev_b32_e32 v14, v14, v10
	v_bfe_u32 v10, v10, 2, 5
	s_delay_alu instid0(VALU_DEP_2) | instskip(NEXT) | instid1(VALU_DEP_2)
	v_and_b32_e32 v14, 3, v14
	v_cmp_eq_u32_e32 vcc_lo, 0, v10
	s_delay_alu instid0(VALU_DEP_2) | instskip(NEXT) | instid1(VALU_DEP_1)
	v_dual_cndmask_b32 v10, v10, v12 :: v_dual_cndmask_b32 v11, v11, v14
	v_lshl_add_u32 v10, v10, 23, 0x37800000
	s_delay_alu instid0(VALU_DEP_2) | instskip(NEXT) | instid1(VALU_DEP_1)
	v_lshlrev_b32_e32 v11, 21, v11
	v_or3_b32 v9, v9, v10, v11
	s_delay_alu instid0(VALU_DEP_1)
	v_cvt_i32_f32_e32 v10, v9
.LBB313_1210:
	s_or_b32 exec_lo, exec_lo, s2
	s_mov_b32 s1, 0
	s_branch .LBB313_1216
.LBB313_1211:
                                        ; implicit-def: $vgpr10
	s_mov_b32 s2, 0
	s_branch .LBB313_1222
.LBB313_1212:
	s_or_saveexec_b32 s3, s3
	v_mov_b32_e32 v10, s10
	s_xor_b32 exec_lo, exec_lo, s3
	s_cbranch_execz .LBB313_1198
.LBB313_1213:
	v_cmp_ne_u16_e32 vcc_lo, 0, v9
	v_mov_b32_e32 v10, 0
	s_and_not1_b32 s1, s1, exec_lo
	s_and_b32 s10, vcc_lo, exec_lo
	s_delay_alu instid0(SALU_CYCLE_1)
	s_or_b32 s1, s1, s10
	s_or_b32 exec_lo, exec_lo, s3
	s_and_saveexec_b32 s3, s1
	s_cbranch_execnz .LBB313_1199
	s_branch .LBB313_1200
.LBB313_1214:
	s_mov_b32 s1, -1
                                        ; implicit-def: $vgpr10
	s_branch .LBB313_1219
.LBB313_1215:
	s_mov_b32 s1, -1
                                        ; implicit-def: $vgpr10
.LBB313_1216:
	s_delay_alu instid0(SALU_CYCLE_1)
	s_and_b32 vcc_lo, exec_lo, s1
	s_cbranch_vccz .LBB313_1218
; %bb.1217:
	global_load_u8 v9, v[7:8], off
	s_waitcnt vmcnt(0)
	v_lshlrev_b32_e32 v9, 24, v9
	s_delay_alu instid0(VALU_DEP_1) | instskip(NEXT) | instid1(VALU_DEP_1)
	v_and_b32_e32 v10, 0x7f000000, v9
	v_clz_i32_u32_e32 v11, v10
	v_add_nc_u32_e32 v14, 0x1000000, v10
	v_cmp_ne_u32_e32 vcc_lo, 0, v10
	s_delay_alu instid0(VALU_DEP_3) | instskip(NEXT) | instid1(VALU_DEP_1)
	v_min_u32_e32 v11, 32, v11
	v_sub_nc_u32_e64 v11, v11, 4 clamp
	s_delay_alu instid0(VALU_DEP_1) | instskip(SKIP_1) | instid1(VALU_DEP_2)
	v_lshlrev_b32_e32 v12, v11, v10
	v_lshlrev_b32_e32 v11, 23, v11
	v_lshrrev_b32_e32 v12, 4, v12
	s_delay_alu instid0(VALU_DEP_1) | instskip(SKIP_1) | instid1(VALU_DEP_2)
	v_sub_nc_u32_e32 v11, v12, v11
	v_ashrrev_i32_e32 v12, 8, v14
	v_add_nc_u32_e32 v11, 0x3c000000, v11
	s_delay_alu instid0(VALU_DEP_1) | instskip(NEXT) | instid1(VALU_DEP_1)
	v_and_or_b32 v11, 0x7f800000, v12, v11
	v_cndmask_b32_e32 v10, 0, v11, vcc_lo
	s_delay_alu instid0(VALU_DEP_1) | instskip(NEXT) | instid1(VALU_DEP_1)
	v_and_or_b32 v9, 0x80000000, v9, v10
	v_cvt_i32_f32_e32 v10, v9
.LBB313_1218:
	s_mov_b32 s1, 0
.LBB313_1219:
	s_delay_alu instid0(SALU_CYCLE_1)
	s_and_not1_b32 vcc_lo, exec_lo, s1
	s_cbranch_vccnz .LBB313_1221
; %bb.1220:
	global_load_u8 v9, v[7:8], off
	s_waitcnt vmcnt(0)
	v_lshlrev_b32_e32 v10, 25, v9
	v_lshlrev_b16 v9, 8, v9
	s_delay_alu instid0(VALU_DEP_2) | instskip(NEXT) | instid1(VALU_DEP_2)
	v_lshrrev_b32_e32 v11, 4, v10
	v_and_or_b32 v12, 0x7f00, v9, 0.5
	v_bfe_i32 v9, v9, 0, 16
	s_delay_alu instid0(VALU_DEP_3) | instskip(NEXT) | instid1(VALU_DEP_1)
	v_or_b32_e32 v11, 0x70000000, v11
	v_dual_add_f32 v12, -0.5, v12 :: v_dual_mul_f32 v11, 0x7800000, v11
	v_cmp_gt_u32_e32 vcc_lo, 0x8000000, v10
	s_delay_alu instid0(VALU_DEP_2) | instskip(NEXT) | instid1(VALU_DEP_1)
	v_cndmask_b32_e32 v10, v11, v12, vcc_lo
	v_and_or_b32 v9, 0x80000000, v9, v10
	s_delay_alu instid0(VALU_DEP_1)
	v_cvt_i32_f32_e32 v10, v9
.LBB313_1221:
	s_mov_b32 s3, -1
	s_mov_b32 s2, 0
	s_cbranch_execnz .LBB313_1232
.LBB313_1222:
	v_cmp_lt_i16_e32 vcc_lo, 14, v13
	s_cbranch_vccz .LBB313_1225
; %bb.1223:
	v_cmp_eq_u16_e32 vcc_lo, 15, v13
	s_cbranch_vccz .LBB313_1228
; %bb.1224:
	global_load_u16 v9, v[7:8], off
	s_mov_b32 s0, 0
	s_mov_b32 s3, -1
	s_waitcnt vmcnt(0)
	v_lshlrev_b32_e32 v9, 16, v9
	s_delay_alu instid0(VALU_DEP_1)
	v_cvt_i32_f32_e32 v10, v9
	s_branch .LBB313_1229
.LBB313_1225:
	s_mov_b32 s1, -1
                                        ; implicit-def: $vgpr10
	s_branch .LBB313_1230
.LBB313_1226:
	s_or_saveexec_b32 s2, s2
	v_mov_b32_e32 v10, s3
	s_xor_b32 exec_lo, exec_lo, s2
	s_cbranch_execz .LBB313_1208
.LBB313_1227:
	v_cmp_ne_u16_e32 vcc_lo, 0, v9
	v_mov_b32_e32 v10, 0
	s_and_not1_b32 s1, s1, exec_lo
	s_and_b32 s3, vcc_lo, exec_lo
	s_delay_alu instid0(SALU_CYCLE_1)
	s_or_b32 s1, s1, s3
	s_or_b32 exec_lo, exec_lo, s2
	s_and_saveexec_b32 s2, s1
	s_cbranch_execnz .LBB313_1209
	s_branch .LBB313_1210
.LBB313_1228:
	s_mov_b32 s0, -1
                                        ; implicit-def: $vgpr10
.LBB313_1229:
	s_mov_b32 s1, 0
.LBB313_1230:
	s_delay_alu instid0(SALU_CYCLE_1)
	s_and_b32 vcc_lo, exec_lo, s1
	s_cbranch_vccz .LBB313_1232
; %bb.1231:
	v_cmp_ne_u16_e64 s0, 11, v13
	s_mov_b32 s2, -1
                                        ; implicit-def: $vgpr10
.LBB313_1232:
	s_delay_alu instid0(VALU_DEP_1)
	s_and_b32 vcc_lo, exec_lo, s0
	s_mov_b32 s1, s8
	s_cbranch_vccnz .LBB313_1256
; %bb.1233:
	s_and_not1_b32 vcc_lo, exec_lo, s2
	s_cbranch_vccnz .LBB313_1235
.LBB313_1234:
	global_load_u8 v9, v[7:8], off
	s_mov_b32 s3, -1
	s_waitcnt vmcnt(0)
	v_cmp_ne_u16_e32 vcc_lo, 0, v9
	v_cndmask_b32_e64 v10, 0, 1, vcc_lo
.LBB313_1235:
.LBB313_1236:
	s_and_not1_b32 vcc_lo, exec_lo, s3
	s_cbranch_vccnz .LBB313_2016
.LBB313_1237:
	v_cmp_gt_i16_e32 vcc_lo, 11, v13
	v_add_co_u32 v6, s0, s6, v6
	s_delay_alu instid0(VALU_DEP_1)
	v_add_co_ci_u32_e64 v7, null, s7, 0, s0
	s_mov_b32 s3, 0
	s_cbranch_vccnz .LBB313_1244
; %bb.1238:
	v_cmp_lt_i16_e32 vcc_lo, 25, v13
	s_mov_b32 s2, 0
	s_cbranch_vccz .LBB313_1250
; %bb.1239:
	v_cmp_lt_i16_e32 vcc_lo, 28, v13
	s_cbranch_vccz .LBB313_1252
; %bb.1240:
	v_cmp_lt_i16_e32 vcc_lo, 43, v13
	;; [unrolled: 3-line block ×3, first 2 shown]
	s_cbranch_vccz .LBB313_1260
; %bb.1242:
	v_cmp_eq_u16_e32 vcc_lo, 46, v13
	s_mov_b32 s10, 0
	s_cbranch_vccz .LBB313_1304
; %bb.1243:
	global_load_b32 v8, v[6:7], off
	s_mov_b32 s0, 0
	s_mov_b32 s3, -1
	s_waitcnt vmcnt(0)
	v_lshlrev_b32_e32 v8, 16, v8
	s_delay_alu instid0(VALU_DEP_1)
	v_cvt_i32_f32_e32 v8, v8
	s_branch .LBB313_1306
.LBB313_1244:
                                        ; implicit-def: $vgpr8
	s_cbranch_execz .LBB313_1367
; %bb.1245:
	v_cmp_gt_i16_e32 vcc_lo, 5, v13
	s_cbranch_vccnz .LBB313_1251
; %bb.1246:
	v_cmp_gt_i16_e32 vcc_lo, 8, v13
	s_cbranch_vccnz .LBB313_1253
	;; [unrolled: 3-line block ×3, first 2 shown]
; %bb.1248:
	v_cmp_lt_i16_e32 vcc_lo, 9, v13
	s_cbranch_vccz .LBB313_1261
; %bb.1249:
	global_load_b64 v[8:9], v[6:7], off
	s_mov_b32 s0, 0
	s_waitcnt vmcnt(0)
	v_cvt_i32_f64_e32 v8, v[8:9]
	s_branch .LBB313_1262
.LBB313_1250:
	s_mov_b32 s0, 0
                                        ; implicit-def: $vgpr8
	s_cbranch_execnz .LBB313_1333
	s_branch .LBB313_1363
.LBB313_1251:
                                        ; implicit-def: $vgpr8
	s_branch .LBB313_1280
.LBB313_1252:
	s_mov_b32 s10, -1
	s_mov_b32 s0, 0
                                        ; implicit-def: $vgpr8
	s_branch .LBB313_1316
.LBB313_1253:
	s_mov_b32 s0, -1
                                        ; implicit-def: $vgpr8
	s_branch .LBB313_1268
.LBB313_1254:
	s_mov_b32 s10, -1
	s_mov_b32 s0, 0
                                        ; implicit-def: $vgpr8
	s_branch .LBB313_1311
.LBB313_1255:
	s_mov_b32 s0, -1
                                        ; implicit-def: $vgpr8
	s_branch .LBB313_1265
.LBB313_1256:
	s_cbranch_execnz .LBB313_1300
; %bb.1257:
	s_or_b32 s1, s8, exec_lo
                                        ; implicit-def: $vgpr10
	s_cbranch_execz .LBB313_1234
	s_branch .LBB313_1235
.LBB313_1258:
	s_or_saveexec_b32 s7, s7
                                        ; implicit-def: $sgpr8
	s_delay_alu instid0(SALU_CYCLE_1)
	s_xor_b32 exec_lo, exec_lo, s7
	s_cbranch_execz .LBB313_971
.LBB313_1259:
	v_add_f32_e64 v3, 0x46000000, |v0|
	s_and_not1_b32 s5, s5, exec_lo
	s_mov_b32 s8, 0
	s_delay_alu instid0(VALU_DEP_1) | instskip(NEXT) | instid1(VALU_DEP_1)
	v_and_b32_e32 v3, 0xff, v3
	v_cmp_ne_u32_e32 vcc_lo, 0, v3
	s_and_b32 s9, vcc_lo, exec_lo
	s_delay_alu instid0(SALU_CYCLE_1)
	s_or_b32 s5, s5, s9
	s_or_b32 exec_lo, exec_lo, s7
	v_mov_b32_e32 v6, s8
	s_and_saveexec_b32 s7, s5
	s_cbranch_execnz .LBB313_972
	s_branch .LBB313_973
.LBB313_1260:
	s_mov_b32 s10, -1
	s_mov_b32 s0, 0
	s_branch .LBB313_1305
.LBB313_1261:
	s_mov_b32 s0, -1
                                        ; implicit-def: $vgpr8
.LBB313_1262:
	s_delay_alu instid0(SALU_CYCLE_1)
	s_and_not1_b32 vcc_lo, exec_lo, s0
	s_cbranch_vccnz .LBB313_1264
; %bb.1263:
	global_load_b32 v8, v[6:7], off
	s_waitcnt vmcnt(0)
	v_cvt_i32_f32_e32 v8, v8
.LBB313_1264:
	s_mov_b32 s0, 0
.LBB313_1265:
	s_delay_alu instid0(SALU_CYCLE_1)
	s_and_not1_b32 vcc_lo, exec_lo, s0
	s_cbranch_vccnz .LBB313_1267
; %bb.1266:
	global_load_b32 v8, v[6:7], off
	s_waitcnt vmcnt(0)
	v_cvt_i16_f16_e32 v8, v8
.LBB313_1267:
	s_mov_b32 s0, 0
.LBB313_1268:
	s_delay_alu instid0(SALU_CYCLE_1)
	s_and_not1_b32 vcc_lo, exec_lo, s0
	s_cbranch_vccnz .LBB313_1279
; %bb.1269:
	v_cmp_gt_i16_e32 vcc_lo, 6, v13
	s_cbranch_vccnz .LBB313_1272
; %bb.1270:
	v_cmp_lt_i16_e32 vcc_lo, 6, v13
	s_cbranch_vccz .LBB313_1273
; %bb.1271:
	global_load_b64 v[8:9], v[6:7], off
	s_mov_b32 s0, 0
	s_waitcnt vmcnt(0)
	v_cvt_i32_f64_e32 v8, v[8:9]
	s_branch .LBB313_1274
.LBB313_1272:
	s_mov_b32 s0, -1
                                        ; implicit-def: $vgpr8
	s_branch .LBB313_1277
.LBB313_1273:
	s_mov_b32 s0, -1
                                        ; implicit-def: $vgpr8
.LBB313_1274:
	s_delay_alu instid0(SALU_CYCLE_1)
	s_and_not1_b32 vcc_lo, exec_lo, s0
	s_cbranch_vccnz .LBB313_1276
; %bb.1275:
	global_load_b32 v8, v[6:7], off
	s_waitcnt vmcnt(0)
	v_cvt_i32_f32_e32 v8, v8
.LBB313_1276:
	s_mov_b32 s0, 0
.LBB313_1277:
	s_delay_alu instid0(SALU_CYCLE_1)
	s_and_not1_b32 vcc_lo, exec_lo, s0
	s_cbranch_vccnz .LBB313_1279
; %bb.1278:
	global_load_u16 v8, v[6:7], off
	s_waitcnt vmcnt(0)
	v_cvt_i16_f16_e32 v8, v8
.LBB313_1279:
	s_cbranch_execnz .LBB313_1299
.LBB313_1280:
	v_cmp_gt_i16_e32 vcc_lo, 2, v13
	s_cbranch_vccnz .LBB313_1284
; %bb.1281:
	v_cmp_gt_i16_e32 vcc_lo, 3, v13
	s_cbranch_vccnz .LBB313_1285
; %bb.1282:
	v_cmp_lt_i16_e32 vcc_lo, 3, v13
	s_cbranch_vccz .LBB313_1286
; %bb.1283:
	global_load_b64 v[8:9], v[6:7], off
	s_mov_b32 s0, 0
	s_branch .LBB313_1287
.LBB313_1284:
	s_mov_b32 s0, -1
                                        ; implicit-def: $vgpr8
	s_branch .LBB313_1293
.LBB313_1285:
	s_mov_b32 s0, -1
                                        ; implicit-def: $vgpr8
	s_branch .LBB313_1290
.LBB313_1286:
	s_mov_b32 s0, -1
                                        ; implicit-def: $vgpr8
.LBB313_1287:
	s_delay_alu instid0(SALU_CYCLE_1)
	s_and_not1_b32 vcc_lo, exec_lo, s0
	s_cbranch_vccnz .LBB313_1289
; %bb.1288:
	global_load_b32 v8, v[6:7], off
.LBB313_1289:
	s_mov_b32 s0, 0
.LBB313_1290:
	s_delay_alu instid0(SALU_CYCLE_1)
	s_and_not1_b32 vcc_lo, exec_lo, s0
	s_cbranch_vccnz .LBB313_1292
; %bb.1291:
	global_load_u16 v8, v[6:7], off
.LBB313_1292:
	s_mov_b32 s0, 0
.LBB313_1293:
	s_delay_alu instid0(SALU_CYCLE_1)
	s_and_not1_b32 vcc_lo, exec_lo, s0
	s_cbranch_vccnz .LBB313_1299
; %bb.1294:
	v_cmp_lt_i16_e32 vcc_lo, 0, v13
	s_mov_b32 s0, 0
	s_cbranch_vccz .LBB313_1296
; %bb.1295:
	global_load_i8 v8, v[6:7], off
	s_branch .LBB313_1297
.LBB313_1296:
	s_mov_b32 s0, -1
                                        ; implicit-def: $vgpr8
.LBB313_1297:
	s_delay_alu instid0(SALU_CYCLE_1)
	s_and_not1_b32 vcc_lo, exec_lo, s0
	s_cbranch_vccnz .LBB313_1299
; %bb.1298:
	global_load_u8 v8, v[6:7], off
.LBB313_1299:
	s_branch .LBB313_1368
.LBB313_1300:
	s_trap 2
	s_sendmsg_rtn_b32 s0, sendmsg(MSG_RTN_GET_DOORBELL)
	s_mov_b32 ttmp2, m0
	s_waitcnt lgkmcnt(0)
	s_and_b32 s0, s0, 0x3ff
	s_delay_alu instid0(SALU_CYCLE_1) | instskip(NEXT) | instid1(SALU_CYCLE_1)
	s_bitset1_b32 s0, 10
	s_mov_b32 m0, s0
	s_sendmsg sendmsg(MSG_INTERRUPT)
	s_mov_b32 m0, ttmp2
.LBB313_1301:                           ; =>This Inner Loop Header: Depth=1
	s_sethalt 5
	s_branch .LBB313_1301
.LBB313_1302:
	s_or_saveexec_b32 s8, s8
                                        ; implicit-def: $sgpr9
	s_delay_alu instid0(SALU_CYCLE_1)
	s_xor_b32 exec_lo, exec_lo, s8
	s_cbranch_execz .LBB313_983
.LBB313_1303:
	v_add_f32_e64 v3, 0x42800000, |v0|
	s_and_not1_b32 s7, s7, exec_lo
	s_mov_b32 s9, 0
	s_delay_alu instid0(VALU_DEP_1) | instskip(NEXT) | instid1(VALU_DEP_1)
	v_and_b32_e32 v3, 0xff, v3
	v_cmp_ne_u32_e32 vcc_lo, 0, v3
	s_and_b32 s10, vcc_lo, exec_lo
	s_delay_alu instid0(SALU_CYCLE_1)
	s_or_b32 s7, s7, s10
	s_or_b32 exec_lo, exec_lo, s8
	v_mov_b32_e32 v6, s9
	s_and_saveexec_b32 s8, s7
	s_cbranch_execnz .LBB313_984
	s_branch .LBB313_985
.LBB313_1304:
	s_mov_b32 s0, -1
.LBB313_1305:
                                        ; implicit-def: $vgpr8
.LBB313_1306:
	s_and_b32 vcc_lo, exec_lo, s10
	s_cbranch_vccz .LBB313_1310
; %bb.1307:
	v_cmp_eq_u16_e32 vcc_lo, 44, v13
	s_cbranch_vccz .LBB313_1309
; %bb.1308:
	global_load_u8 v8, v[6:7], off
	s_mov_b32 s0, 0
	s_mov_b32 s3, -1
	s_waitcnt vmcnt(0)
	v_lshlrev_b32_e32 v9, 23, v8
	v_cmp_ne_u32_e32 vcc_lo, 0, v8
	s_delay_alu instid0(VALU_DEP_2) | instskip(NEXT) | instid1(VALU_DEP_1)
	v_cvt_i32_f32_e32 v9, v9
	v_cndmask_b32_e32 v8, 0, v9, vcc_lo
	s_branch .LBB313_1310
.LBB313_1309:
	s_mov_b32 s0, -1
                                        ; implicit-def: $vgpr8
.LBB313_1310:
	s_mov_b32 s10, 0
.LBB313_1311:
	s_delay_alu instid0(SALU_CYCLE_1)
	s_and_b32 vcc_lo, exec_lo, s10
	s_cbranch_vccz .LBB313_1315
; %bb.1312:
	v_cmp_eq_u16_e32 vcc_lo, 29, v13
	s_cbranch_vccz .LBB313_1314
; %bb.1313:
	global_load_b64 v[8:9], v[6:7], off
	s_mov_b32 s0, 0
	s_mov_b32 s3, -1
	s_branch .LBB313_1315
.LBB313_1314:
	s_mov_b32 s0, -1
                                        ; implicit-def: $vgpr8
.LBB313_1315:
	s_mov_b32 s10, 0
.LBB313_1316:
	s_delay_alu instid0(SALU_CYCLE_1)
	s_and_b32 vcc_lo, exec_lo, s10
	s_cbranch_vccz .LBB313_1332
; %bb.1317:
	v_cmp_gt_i16_e32 vcc_lo, 27, v13
	s_cbranch_vccnz .LBB313_1320
; %bb.1318:
	v_cmp_lt_i16_e32 vcc_lo, 27, v13
	s_cbranch_vccz .LBB313_1321
; %bb.1319:
	global_load_b32 v8, v[6:7], off
	s_mov_b32 s3, 0
	s_branch .LBB313_1322
.LBB313_1320:
	s_mov_b32 s3, -1
                                        ; implicit-def: $vgpr8
	s_branch .LBB313_1325
.LBB313_1321:
	s_mov_b32 s3, -1
                                        ; implicit-def: $vgpr8
.LBB313_1322:
	s_delay_alu instid0(SALU_CYCLE_1)
	s_and_not1_b32 vcc_lo, exec_lo, s3
	s_cbranch_vccnz .LBB313_1324
; %bb.1323:
	global_load_u16 v8, v[6:7], off
.LBB313_1324:
	s_mov_b32 s3, 0
.LBB313_1325:
	s_delay_alu instid0(SALU_CYCLE_1)
	s_and_not1_b32 vcc_lo, exec_lo, s3
	s_cbranch_vccnz .LBB313_1331
; %bb.1326:
	global_load_u8 v9, v[6:7], off
	s_mov_b32 s3, 0
	s_mov_b32 s10, exec_lo
                                        ; implicit-def: $sgpr11
	s_waitcnt vmcnt(0)
	v_cmpx_lt_i16_e32 0x7f, v9
	s_xor_b32 s10, exec_lo, s10
	s_cbranch_execz .LBB313_1342
; %bb.1327:
	v_cmp_ne_u16_e32 vcc_lo, 0x80, v9
	s_mov_b32 s11, 0
	s_and_b32 s3, vcc_lo, exec_lo
	s_or_saveexec_b32 s10, s10
	v_mov_b32_e32 v8, s11
	s_xor_b32 exec_lo, exec_lo, s10
	s_cbranch_execnz .LBB313_1343
.LBB313_1328:
	s_or_b32 exec_lo, exec_lo, s10
	s_and_saveexec_b32 s10, s3
	s_cbranch_execz .LBB313_1330
.LBB313_1329:
	v_and_b32_e32 v8, 0xffff, v9
	s_delay_alu instid0(VALU_DEP_1) | instskip(NEXT) | instid1(VALU_DEP_1)
	v_and_b32_e32 v11, 7, v8
	v_clz_i32_u32_e32 v12, v11
	s_delay_alu instid0(VALU_DEP_1) | instskip(NEXT) | instid1(VALU_DEP_1)
	v_min_u32_e32 v12, 32, v12
	v_subrev_nc_u32_e32 v14, 28, v12
	v_sub_nc_u32_e32 v12, 29, v12
	s_delay_alu instid0(VALU_DEP_2) | instskip(SKIP_1) | instid1(VALU_DEP_2)
	v_lshlrev_b32_e32 v14, v14, v8
	v_bfe_u32 v8, v8, 3, 4
	v_and_b32_e32 v14, 7, v14
	s_delay_alu instid0(VALU_DEP_2) | instskip(SKIP_1) | instid1(VALU_DEP_3)
	v_cmp_eq_u32_e32 vcc_lo, 0, v8
	v_dual_cndmask_b32 v8, v8, v12 :: v_dual_lshlrev_b32 v9, 24, v9
	v_cndmask_b32_e32 v11, v11, v14, vcc_lo
	s_delay_alu instid0(VALU_DEP_2) | instskip(NEXT) | instid1(VALU_DEP_3)
	v_and_b32_e32 v9, 0x80000000, v9
	v_lshl_add_u32 v8, v8, 23, 0x3b800000
	s_delay_alu instid0(VALU_DEP_3) | instskip(NEXT) | instid1(VALU_DEP_1)
	v_lshlrev_b32_e32 v11, 20, v11
	v_or3_b32 v8, v9, v8, v11
	s_delay_alu instid0(VALU_DEP_1)
	v_cvt_i32_f32_e32 v8, v8
.LBB313_1330:
	s_or_b32 exec_lo, exec_lo, s10
.LBB313_1331:
	s_mov_b32 s3, -1
.LBB313_1332:
	s_branch .LBB313_1363
.LBB313_1333:
	v_cmp_lt_i16_e32 vcc_lo, 22, v13
	s_cbranch_vccz .LBB313_1341
; %bb.1334:
	v_cmp_gt_i16_e32 vcc_lo, 24, v13
	s_cbranch_vccnz .LBB313_1344
; %bb.1335:
	v_cmp_lt_i16_e32 vcc_lo, 24, v13
	s_cbranch_vccz .LBB313_1345
; %bb.1336:
	global_load_u8 v9, v[6:7], off
	s_mov_b32 s3, exec_lo
                                        ; implicit-def: $sgpr10
	s_waitcnt vmcnt(0)
	v_cmpx_lt_i16_e32 0x7f, v9
	s_xor_b32 s3, exec_lo, s3
	s_cbranch_execz .LBB313_1357
; %bb.1337:
	v_cmp_ne_u16_e32 vcc_lo, 0x80, v9
	s_mov_b32 s10, 0
	s_and_b32 s2, vcc_lo, exec_lo
	s_or_saveexec_b32 s3, s3
	v_mov_b32_e32 v8, s10
	s_xor_b32 exec_lo, exec_lo, s3
	s_cbranch_execnz .LBB313_1358
.LBB313_1338:
	s_or_b32 exec_lo, exec_lo, s3
	s_and_saveexec_b32 s3, s2
	s_cbranch_execz .LBB313_1340
.LBB313_1339:
	v_and_b32_e32 v8, 0xffff, v9
	s_delay_alu instid0(VALU_DEP_1) | instskip(NEXT) | instid1(VALU_DEP_1)
	v_and_b32_e32 v11, 3, v8
	v_clz_i32_u32_e32 v12, v11
	s_delay_alu instid0(VALU_DEP_1) | instskip(NEXT) | instid1(VALU_DEP_1)
	v_min_u32_e32 v12, 32, v12
	v_subrev_nc_u32_e32 v14, 29, v12
	v_sub_nc_u32_e32 v12, 30, v12
	s_delay_alu instid0(VALU_DEP_2) | instskip(SKIP_1) | instid1(VALU_DEP_2)
	v_lshlrev_b32_e32 v14, v14, v8
	v_bfe_u32 v8, v8, 2, 5
	v_and_b32_e32 v14, 3, v14
	s_delay_alu instid0(VALU_DEP_2) | instskip(SKIP_1) | instid1(VALU_DEP_3)
	v_cmp_eq_u32_e32 vcc_lo, 0, v8
	v_dual_cndmask_b32 v8, v8, v12 :: v_dual_lshlrev_b32 v9, 24, v9
	v_cndmask_b32_e32 v11, v11, v14, vcc_lo
	s_delay_alu instid0(VALU_DEP_2) | instskip(NEXT) | instid1(VALU_DEP_3)
	v_and_b32_e32 v9, 0x80000000, v9
	v_lshl_add_u32 v8, v8, 23, 0x37800000
	s_delay_alu instid0(VALU_DEP_3) | instskip(NEXT) | instid1(VALU_DEP_1)
	v_lshlrev_b32_e32 v11, 21, v11
	v_or3_b32 v8, v9, v8, v11
	s_delay_alu instid0(VALU_DEP_1)
	v_cvt_i32_f32_e32 v8, v8
.LBB313_1340:
	s_or_b32 exec_lo, exec_lo, s3
	s_mov_b32 s2, 0
	s_branch .LBB313_1346
.LBB313_1341:
	s_mov_b32 s2, -1
                                        ; implicit-def: $vgpr8
	s_branch .LBB313_1352
.LBB313_1342:
	s_or_saveexec_b32 s10, s10
	v_mov_b32_e32 v8, s11
	s_xor_b32 exec_lo, exec_lo, s10
	s_cbranch_execz .LBB313_1328
.LBB313_1343:
	v_cmp_ne_u16_e32 vcc_lo, 0, v9
	v_mov_b32_e32 v8, 0
	s_and_not1_b32 s3, s3, exec_lo
	s_and_b32 s11, vcc_lo, exec_lo
	s_delay_alu instid0(SALU_CYCLE_1)
	s_or_b32 s3, s3, s11
	s_or_b32 exec_lo, exec_lo, s10
	s_and_saveexec_b32 s10, s3
	s_cbranch_execnz .LBB313_1329
	s_branch .LBB313_1330
.LBB313_1344:
	s_mov_b32 s2, -1
                                        ; implicit-def: $vgpr8
	s_branch .LBB313_1349
.LBB313_1345:
	s_mov_b32 s2, -1
                                        ; implicit-def: $vgpr8
.LBB313_1346:
	s_delay_alu instid0(SALU_CYCLE_1)
	s_and_b32 vcc_lo, exec_lo, s2
	s_cbranch_vccz .LBB313_1348
; %bb.1347:
	global_load_u8 v8, v[6:7], off
	s_waitcnt vmcnt(0)
	v_lshlrev_b32_e32 v8, 24, v8
	s_delay_alu instid0(VALU_DEP_1) | instskip(NEXT) | instid1(VALU_DEP_1)
	v_and_b32_e32 v9, 0x7f000000, v8
	v_clz_i32_u32_e32 v11, v9
	v_add_nc_u32_e32 v14, 0x1000000, v9
	v_cmp_ne_u32_e32 vcc_lo, 0, v9
	s_delay_alu instid0(VALU_DEP_3) | instskip(NEXT) | instid1(VALU_DEP_1)
	v_min_u32_e32 v11, 32, v11
	v_sub_nc_u32_e64 v11, v11, 4 clamp
	s_delay_alu instid0(VALU_DEP_1) | instskip(SKIP_1) | instid1(VALU_DEP_2)
	v_lshlrev_b32_e32 v12, v11, v9
	v_lshlrev_b32_e32 v11, 23, v11
	v_lshrrev_b32_e32 v12, 4, v12
	s_delay_alu instid0(VALU_DEP_1) | instskip(SKIP_1) | instid1(VALU_DEP_2)
	v_sub_nc_u32_e32 v11, v12, v11
	v_ashrrev_i32_e32 v12, 8, v14
	v_add_nc_u32_e32 v11, 0x3c000000, v11
	s_delay_alu instid0(VALU_DEP_1) | instskip(NEXT) | instid1(VALU_DEP_1)
	v_and_or_b32 v11, 0x7f800000, v12, v11
	v_cndmask_b32_e32 v9, 0, v11, vcc_lo
	s_delay_alu instid0(VALU_DEP_1) | instskip(NEXT) | instid1(VALU_DEP_1)
	v_and_or_b32 v8, 0x80000000, v8, v9
	v_cvt_i32_f32_e32 v8, v8
.LBB313_1348:
	s_mov_b32 s2, 0
.LBB313_1349:
	s_delay_alu instid0(SALU_CYCLE_1)
	s_and_not1_b32 vcc_lo, exec_lo, s2
	s_cbranch_vccnz .LBB313_1351
; %bb.1350:
	global_load_u8 v8, v[6:7], off
	s_waitcnt vmcnt(0)
	v_lshlrev_b32_e32 v9, 25, v8
	v_lshlrev_b16 v8, 8, v8
	s_delay_alu instid0(VALU_DEP_2) | instskip(NEXT) | instid1(VALU_DEP_2)
	v_lshrrev_b32_e32 v11, 4, v9
	v_and_or_b32 v12, 0x7f00, v8, 0.5
	v_cmp_gt_u32_e32 vcc_lo, 0x8000000, v9
	v_bfe_i32 v8, v8, 0, 16
	s_delay_alu instid0(VALU_DEP_4) | instskip(NEXT) | instid1(VALU_DEP_1)
	v_or_b32_e32 v11, 0x70000000, v11
	v_dual_add_f32 v12, -0.5, v12 :: v_dual_mul_f32 v11, 0x7800000, v11
	s_delay_alu instid0(VALU_DEP_1) | instskip(NEXT) | instid1(VALU_DEP_1)
	v_cndmask_b32_e32 v9, v11, v12, vcc_lo
	v_and_or_b32 v8, 0x80000000, v8, v9
	s_delay_alu instid0(VALU_DEP_1)
	v_cvt_i32_f32_e32 v8, v8
.LBB313_1351:
	s_mov_b32 s2, 0
	s_mov_b32 s3, -1
.LBB313_1352:
	s_and_not1_b32 vcc_lo, exec_lo, s2
	s_mov_b32 s2, 0
	s_cbranch_vccnz .LBB313_1363
; %bb.1353:
	v_cmp_lt_i16_e32 vcc_lo, 14, v13
	s_cbranch_vccz .LBB313_1356
; %bb.1354:
	v_cmp_eq_u16_e32 vcc_lo, 15, v13
	s_cbranch_vccz .LBB313_1359
; %bb.1355:
	global_load_u16 v8, v[6:7], off
	s_mov_b32 s0, 0
	s_mov_b32 s3, -1
	s_waitcnt vmcnt(0)
	v_lshlrev_b32_e32 v8, 16, v8
	s_delay_alu instid0(VALU_DEP_1)
	v_cvt_i32_f32_e32 v8, v8
	s_branch .LBB313_1361
.LBB313_1356:
	s_mov_b32 s2, -1
	s_branch .LBB313_1360
.LBB313_1357:
	s_or_saveexec_b32 s3, s3
	v_mov_b32_e32 v8, s10
	s_xor_b32 exec_lo, exec_lo, s3
	s_cbranch_execz .LBB313_1338
.LBB313_1358:
	v_cmp_ne_u16_e32 vcc_lo, 0, v9
	v_mov_b32_e32 v8, 0
	s_and_not1_b32 s2, s2, exec_lo
	s_and_b32 s10, vcc_lo, exec_lo
	s_delay_alu instid0(SALU_CYCLE_1)
	s_or_b32 s2, s2, s10
	s_or_b32 exec_lo, exec_lo, s3
	s_and_saveexec_b32 s3, s2
	s_cbranch_execnz .LBB313_1339
	s_branch .LBB313_1340
.LBB313_1359:
	s_mov_b32 s0, -1
.LBB313_1360:
                                        ; implicit-def: $vgpr8
.LBB313_1361:
	s_and_b32 vcc_lo, exec_lo, s2
	s_mov_b32 s2, 0
	s_cbranch_vccz .LBB313_1363
; %bb.1362:
	v_cmp_ne_u16_e64 s0, 11, v13
	s_mov_b32 s2, -1
                                        ; implicit-def: $vgpr8
.LBB313_1363:
	s_delay_alu instid0(VALU_DEP_1)
	s_and_b32 vcc_lo, exec_lo, s0
	s_cbranch_vccnz .LBB313_1387
; %bb.1364:
	s_and_not1_b32 vcc_lo, exec_lo, s2
	s_cbranch_vccnz .LBB313_1366
.LBB313_1365:
	global_load_u8 v8, v[6:7], off
	s_mov_b32 s3, -1
	s_waitcnt vmcnt(0)
	v_cmp_ne_u16_e32 vcc_lo, 0, v8
	v_cndmask_b32_e64 v8, 0, 1, vcc_lo
.LBB313_1366:
.LBB313_1367:
	s_and_not1_b32 vcc_lo, exec_lo, s3
	s_cbranch_vccnz .LBB313_2016
.LBB313_1368:
	v_cmp_gt_i16_e32 vcc_lo, 11, v13
	s_waitcnt vmcnt(0)
	v_add_co_u32 v11, s0, s6, v5
	s_delay_alu instid0(VALU_DEP_1)
	v_add_co_ci_u32_e64 v12, null, s7, 0, s0
	s_mov_b32 s3, 0
	s_cbranch_vccnz .LBB313_1375
; %bb.1369:
	v_cmp_lt_i16_e32 vcc_lo, 25, v13
	s_mov_b32 s2, 0
	s_cbranch_vccz .LBB313_1381
; %bb.1370:
	v_cmp_lt_i16_e32 vcc_lo, 28, v13
	s_cbranch_vccz .LBB313_1383
; %bb.1371:
	v_cmp_lt_i16_e32 vcc_lo, 43, v13
	;; [unrolled: 3-line block ×3, first 2 shown]
	s_cbranch_vccz .LBB313_1389
; %bb.1373:
	v_cmp_eq_u16_e32 vcc_lo, 46, v13
	s_mov_b32 s10, 0
	s_cbranch_vccz .LBB313_1432
; %bb.1374:
	global_load_b32 v5, v[11:12], off
	s_mov_b32 s0, 0
	s_mov_b32 s3, -1
	s_waitcnt vmcnt(0)
	v_lshlrev_b32_e32 v5, 16, v5
	s_delay_alu instid0(VALU_DEP_1)
	v_cvt_i32_f32_e32 v6, v5
	s_branch .LBB313_1434
.LBB313_1375:
                                        ; implicit-def: $vgpr6
	s_cbranch_execz .LBB313_1496
; %bb.1376:
	v_cmp_gt_i16_e32 vcc_lo, 5, v13
	s_cbranch_vccnz .LBB313_1382
; %bb.1377:
	v_cmp_gt_i16_e32 vcc_lo, 8, v13
	s_cbranch_vccnz .LBB313_1384
	;; [unrolled: 3-line block ×3, first 2 shown]
; %bb.1379:
	v_cmp_lt_i16_e32 vcc_lo, 9, v13
	s_cbranch_vccz .LBB313_1390
; %bb.1380:
	global_load_b64 v[5:6], v[11:12], off
	s_mov_b32 s0, 0
	s_waitcnt vmcnt(0)
	v_cvt_i32_f64_e32 v6, v[5:6]
	s_branch .LBB313_1391
.LBB313_1381:
	s_mov_b32 s10, -1
	s_mov_b32 s0, 0
                                        ; implicit-def: $vgpr6
	s_branch .LBB313_1461
.LBB313_1382:
	s_mov_b32 s0, -1
                                        ; implicit-def: $vgpr6
	s_branch .LBB313_1409
.LBB313_1383:
	s_mov_b32 s10, -1
	s_mov_b32 s0, 0
                                        ; implicit-def: $vgpr6
	s_branch .LBB313_1444
.LBB313_1384:
	s_mov_b32 s0, -1
                                        ; implicit-def: $vgpr6
	s_branch .LBB313_1397
.LBB313_1385:
	s_mov_b32 s10, -1
	s_mov_b32 s0, 0
                                        ; implicit-def: $vgpr6
	s_branch .LBB313_1439
.LBB313_1386:
	s_mov_b32 s0, -1
                                        ; implicit-def: $vgpr6
	s_branch .LBB313_1394
.LBB313_1387:
	s_cbranch_execnz .LBB313_1430
; %bb.1388:
	s_or_b32 s1, s1, exec_lo
                                        ; implicit-def: $vgpr8
	s_cbranch_execz .LBB313_1365
	s_branch .LBB313_1366
.LBB313_1389:
	s_mov_b32 s10, -1
	s_mov_b32 s0, 0
	s_branch .LBB313_1433
.LBB313_1390:
	s_mov_b32 s0, -1
                                        ; implicit-def: $vgpr6
.LBB313_1391:
	s_delay_alu instid0(SALU_CYCLE_1)
	s_and_not1_b32 vcc_lo, exec_lo, s0
	s_cbranch_vccnz .LBB313_1393
; %bb.1392:
	global_load_b32 v5, v[11:12], off
	s_waitcnt vmcnt(0)
	v_cvt_i32_f32_e32 v6, v5
.LBB313_1393:
	s_mov_b32 s0, 0
.LBB313_1394:
	s_delay_alu instid0(SALU_CYCLE_1)
	s_and_not1_b32 vcc_lo, exec_lo, s0
	s_cbranch_vccnz .LBB313_1396
; %bb.1395:
	global_load_b32 v5, v[11:12], off
	s_waitcnt vmcnt(0)
	v_cvt_i16_f16_e32 v6, v5
.LBB313_1396:
	s_mov_b32 s0, 0
.LBB313_1397:
	s_delay_alu instid0(SALU_CYCLE_1)
	s_and_not1_b32 vcc_lo, exec_lo, s0
	s_cbranch_vccnz .LBB313_1408
; %bb.1398:
	v_cmp_gt_i16_e32 vcc_lo, 6, v13
	s_cbranch_vccnz .LBB313_1401
; %bb.1399:
	v_cmp_lt_i16_e32 vcc_lo, 6, v13
	s_cbranch_vccz .LBB313_1402
; %bb.1400:
	global_load_b64 v[5:6], v[11:12], off
	s_mov_b32 s0, 0
	s_waitcnt vmcnt(0)
	v_cvt_i32_f64_e32 v6, v[5:6]
	s_branch .LBB313_1403
.LBB313_1401:
	s_mov_b32 s0, -1
                                        ; implicit-def: $vgpr6
	s_branch .LBB313_1406
.LBB313_1402:
	s_mov_b32 s0, -1
                                        ; implicit-def: $vgpr6
.LBB313_1403:
	s_delay_alu instid0(SALU_CYCLE_1)
	s_and_not1_b32 vcc_lo, exec_lo, s0
	s_cbranch_vccnz .LBB313_1405
; %bb.1404:
	global_load_b32 v5, v[11:12], off
	s_waitcnt vmcnt(0)
	v_cvt_i32_f32_e32 v6, v5
.LBB313_1405:
	s_mov_b32 s0, 0
.LBB313_1406:
	s_delay_alu instid0(SALU_CYCLE_1)
	s_and_not1_b32 vcc_lo, exec_lo, s0
	s_cbranch_vccnz .LBB313_1408
; %bb.1407:
	global_load_u16 v5, v[11:12], off
	s_waitcnt vmcnt(0)
	v_cvt_i16_f16_e32 v6, v5
.LBB313_1408:
	s_mov_b32 s0, 0
.LBB313_1409:
	s_delay_alu instid0(SALU_CYCLE_1)
	s_and_not1_b32 vcc_lo, exec_lo, s0
	s_cbranch_vccnz .LBB313_1429
; %bb.1410:
	v_cmp_gt_i16_e32 vcc_lo, 2, v13
	s_cbranch_vccnz .LBB313_1414
; %bb.1411:
	v_cmp_gt_i16_e32 vcc_lo, 3, v13
	s_cbranch_vccnz .LBB313_1415
; %bb.1412:
	v_cmp_lt_i16_e32 vcc_lo, 3, v13
	s_cbranch_vccz .LBB313_1416
; %bb.1413:
	global_load_b64 v[6:7], v[11:12], off
	s_mov_b32 s0, 0
	s_branch .LBB313_1417
.LBB313_1414:
	s_mov_b32 s0, -1
                                        ; implicit-def: $vgpr6
	s_branch .LBB313_1423
.LBB313_1415:
	s_mov_b32 s0, -1
                                        ; implicit-def: $vgpr6
	s_branch .LBB313_1420
.LBB313_1416:
	s_mov_b32 s0, -1
                                        ; implicit-def: $vgpr6
.LBB313_1417:
	s_delay_alu instid0(SALU_CYCLE_1)
	s_and_not1_b32 vcc_lo, exec_lo, s0
	s_cbranch_vccnz .LBB313_1419
; %bb.1418:
	global_load_b32 v6, v[11:12], off
.LBB313_1419:
	s_mov_b32 s0, 0
.LBB313_1420:
	s_delay_alu instid0(SALU_CYCLE_1)
	s_and_not1_b32 vcc_lo, exec_lo, s0
	s_cbranch_vccnz .LBB313_1422
; %bb.1421:
	global_load_u16 v6, v[11:12], off
.LBB313_1422:
	s_mov_b32 s0, 0
.LBB313_1423:
	s_delay_alu instid0(SALU_CYCLE_1)
	s_and_not1_b32 vcc_lo, exec_lo, s0
	s_cbranch_vccnz .LBB313_1429
; %bb.1424:
	v_cmp_lt_i16_e32 vcc_lo, 0, v13
	s_mov_b32 s0, 0
	s_cbranch_vccz .LBB313_1426
; %bb.1425:
	global_load_i8 v6, v[11:12], off
	s_branch .LBB313_1427
.LBB313_1426:
	s_mov_b32 s0, -1
                                        ; implicit-def: $vgpr6
.LBB313_1427:
	s_delay_alu instid0(SALU_CYCLE_1)
	s_and_not1_b32 vcc_lo, exec_lo, s0
	s_cbranch_vccnz .LBB313_1429
; %bb.1428:
	global_load_u8 v6, v[11:12], off
.LBB313_1429:
	s_branch .LBB313_1497
.LBB313_1430:
	s_trap 2
	s_sendmsg_rtn_b32 s0, sendmsg(MSG_RTN_GET_DOORBELL)
	s_mov_b32 ttmp2, m0
	s_waitcnt lgkmcnt(0)
	s_and_b32 s0, s0, 0x3ff
	s_delay_alu instid0(SALU_CYCLE_1) | instskip(NEXT) | instid1(SALU_CYCLE_1)
	s_bitset1_b32 s0, 10
	s_mov_b32 m0, s0
	s_sendmsg sendmsg(MSG_INTERRUPT)
	s_mov_b32 m0, ttmp2
.LBB313_1431:                           ; =>This Inner Loop Header: Depth=1
	s_sethalt 5
	s_branch .LBB313_1431
.LBB313_1432:
	s_mov_b32 s0, -1
.LBB313_1433:
                                        ; implicit-def: $vgpr6
.LBB313_1434:
	s_and_b32 vcc_lo, exec_lo, s10
	s_cbranch_vccz .LBB313_1438
; %bb.1435:
	v_cmp_eq_u16_e32 vcc_lo, 44, v13
	s_cbranch_vccz .LBB313_1437
; %bb.1436:
	global_load_u8 v5, v[11:12], off
	s_mov_b32 s0, 0
	s_mov_b32 s3, -1
	s_waitcnt vmcnt(0)
	v_lshlrev_b32_e32 v6, 23, v5
	v_cmp_ne_u32_e32 vcc_lo, 0, v5
	s_delay_alu instid0(VALU_DEP_2) | instskip(NEXT) | instid1(VALU_DEP_1)
	v_cvt_i32_f32_e32 v6, v6
	v_cndmask_b32_e32 v6, 0, v6, vcc_lo
	s_branch .LBB313_1438
.LBB313_1437:
	s_mov_b32 s0, -1
                                        ; implicit-def: $vgpr6
.LBB313_1438:
	s_mov_b32 s10, 0
.LBB313_1439:
	s_delay_alu instid0(SALU_CYCLE_1)
	s_and_b32 vcc_lo, exec_lo, s10
	s_cbranch_vccz .LBB313_1443
; %bb.1440:
	v_cmp_eq_u16_e32 vcc_lo, 29, v13
	s_cbranch_vccz .LBB313_1442
; %bb.1441:
	global_load_b64 v[6:7], v[11:12], off
	s_mov_b32 s0, 0
	s_mov_b32 s3, -1
	s_branch .LBB313_1443
.LBB313_1442:
	s_mov_b32 s0, -1
                                        ; implicit-def: $vgpr6
.LBB313_1443:
	s_mov_b32 s10, 0
.LBB313_1444:
	s_delay_alu instid0(SALU_CYCLE_1)
	s_and_b32 vcc_lo, exec_lo, s10
	s_cbranch_vccz .LBB313_1460
; %bb.1445:
	v_cmp_gt_i16_e32 vcc_lo, 27, v13
	s_cbranch_vccnz .LBB313_1448
; %bb.1446:
	v_cmp_lt_i16_e32 vcc_lo, 27, v13
	s_cbranch_vccz .LBB313_1449
; %bb.1447:
	global_load_b32 v6, v[11:12], off
	s_mov_b32 s3, 0
	s_branch .LBB313_1450
.LBB313_1448:
	s_mov_b32 s3, -1
                                        ; implicit-def: $vgpr6
	s_branch .LBB313_1453
.LBB313_1449:
	s_mov_b32 s3, -1
                                        ; implicit-def: $vgpr6
.LBB313_1450:
	s_delay_alu instid0(SALU_CYCLE_1)
	s_and_not1_b32 vcc_lo, exec_lo, s3
	s_cbranch_vccnz .LBB313_1452
; %bb.1451:
	global_load_u16 v6, v[11:12], off
.LBB313_1452:
	s_mov_b32 s3, 0
.LBB313_1453:
	s_delay_alu instid0(SALU_CYCLE_1)
	s_and_not1_b32 vcc_lo, exec_lo, s3
	s_cbranch_vccnz .LBB313_1459
; %bb.1454:
	global_load_u8 v5, v[11:12], off
	s_mov_b32 s3, 0
	s_mov_b32 s10, exec_lo
                                        ; implicit-def: $sgpr11
	s_waitcnt vmcnt(0)
	v_cmpx_lt_i16_e32 0x7f, v5
	s_xor_b32 s10, exec_lo, s10
	s_cbranch_execz .LBB313_1471
; %bb.1455:
	v_cmp_ne_u16_e32 vcc_lo, 0x80, v5
	s_mov_b32 s11, 0
	s_and_b32 s3, vcc_lo, exec_lo
	s_or_saveexec_b32 s10, s10
	v_mov_b32_e32 v6, s11
	s_xor_b32 exec_lo, exec_lo, s10
	s_cbranch_execnz .LBB313_1472
.LBB313_1456:
	s_or_b32 exec_lo, exec_lo, s10
	s_and_saveexec_b32 s10, s3
	s_cbranch_execz .LBB313_1458
.LBB313_1457:
	v_and_b32_e32 v6, 0xffff, v5
	v_lshlrev_b32_e32 v5, 24, v5
	s_delay_alu instid0(VALU_DEP_2) | instskip(NEXT) | instid1(VALU_DEP_2)
	v_and_b32_e32 v7, 7, v6
	v_and_b32_e32 v5, 0x80000000, v5
	s_delay_alu instid0(VALU_DEP_2) | instskip(NEXT) | instid1(VALU_DEP_1)
	v_clz_i32_u32_e32 v9, v7
	v_min_u32_e32 v9, 32, v9
	s_delay_alu instid0(VALU_DEP_1) | instskip(SKIP_1) | instid1(VALU_DEP_2)
	v_subrev_nc_u32_e32 v14, 28, v9
	v_sub_nc_u32_e32 v9, 29, v9
	v_lshlrev_b32_e32 v14, v14, v6
	v_bfe_u32 v6, v6, 3, 4
	s_delay_alu instid0(VALU_DEP_2) | instskip(NEXT) | instid1(VALU_DEP_2)
	v_and_b32_e32 v14, 7, v14
	v_cmp_eq_u32_e32 vcc_lo, 0, v6
	s_delay_alu instid0(VALU_DEP_2) | instskip(NEXT) | instid1(VALU_DEP_1)
	v_dual_cndmask_b32 v6, v6, v9 :: v_dual_cndmask_b32 v7, v7, v14
	v_lshl_add_u32 v6, v6, 23, 0x3b800000
	s_delay_alu instid0(VALU_DEP_2) | instskip(NEXT) | instid1(VALU_DEP_1)
	v_lshlrev_b32_e32 v7, 20, v7
	v_or3_b32 v5, v5, v6, v7
	s_delay_alu instid0(VALU_DEP_1)
	v_cvt_i32_f32_e32 v6, v5
.LBB313_1458:
	s_or_b32 exec_lo, exec_lo, s10
.LBB313_1459:
	s_mov_b32 s3, -1
.LBB313_1460:
	s_mov_b32 s10, 0
.LBB313_1461:
	s_delay_alu instid0(SALU_CYCLE_1)
	s_and_b32 vcc_lo, exec_lo, s10
	s_cbranch_vccz .LBB313_1492
; %bb.1462:
	v_cmp_lt_i16_e32 vcc_lo, 22, v13
	s_cbranch_vccz .LBB313_1470
; %bb.1463:
	v_cmp_gt_i16_e32 vcc_lo, 24, v13
	s_cbranch_vccnz .LBB313_1473
; %bb.1464:
	v_cmp_lt_i16_e32 vcc_lo, 24, v13
	s_cbranch_vccz .LBB313_1474
; %bb.1465:
	global_load_u8 v5, v[11:12], off
	s_mov_b32 s3, exec_lo
                                        ; implicit-def: $sgpr10
	s_waitcnt vmcnt(0)
	v_cmpx_lt_i16_e32 0x7f, v5
	s_xor_b32 s3, exec_lo, s3
	s_cbranch_execz .LBB313_1486
; %bb.1466:
	v_cmp_ne_u16_e32 vcc_lo, 0x80, v5
	s_mov_b32 s10, 0
	s_and_b32 s2, vcc_lo, exec_lo
	s_or_saveexec_b32 s3, s3
	v_mov_b32_e32 v6, s10
	s_xor_b32 exec_lo, exec_lo, s3
	s_cbranch_execnz .LBB313_1487
.LBB313_1467:
	s_or_b32 exec_lo, exec_lo, s3
	s_and_saveexec_b32 s3, s2
	s_cbranch_execz .LBB313_1469
.LBB313_1468:
	v_and_b32_e32 v6, 0xffff, v5
	v_lshlrev_b32_e32 v5, 24, v5
	s_delay_alu instid0(VALU_DEP_2) | instskip(NEXT) | instid1(VALU_DEP_2)
	v_and_b32_e32 v7, 3, v6
	v_and_b32_e32 v5, 0x80000000, v5
	s_delay_alu instid0(VALU_DEP_2) | instskip(NEXT) | instid1(VALU_DEP_1)
	v_clz_i32_u32_e32 v9, v7
	v_min_u32_e32 v9, 32, v9
	s_delay_alu instid0(VALU_DEP_1) | instskip(SKIP_1) | instid1(VALU_DEP_2)
	v_subrev_nc_u32_e32 v14, 29, v9
	v_sub_nc_u32_e32 v9, 30, v9
	v_lshlrev_b32_e32 v14, v14, v6
	v_bfe_u32 v6, v6, 2, 5
	s_delay_alu instid0(VALU_DEP_2) | instskip(NEXT) | instid1(VALU_DEP_2)
	v_and_b32_e32 v14, 3, v14
	v_cmp_eq_u32_e32 vcc_lo, 0, v6
	s_delay_alu instid0(VALU_DEP_2) | instskip(NEXT) | instid1(VALU_DEP_1)
	v_dual_cndmask_b32 v6, v6, v9 :: v_dual_cndmask_b32 v7, v7, v14
	v_lshl_add_u32 v6, v6, 23, 0x37800000
	s_delay_alu instid0(VALU_DEP_2) | instskip(NEXT) | instid1(VALU_DEP_1)
	v_lshlrev_b32_e32 v7, 21, v7
	v_or3_b32 v5, v5, v6, v7
	s_delay_alu instid0(VALU_DEP_1)
	v_cvt_i32_f32_e32 v6, v5
.LBB313_1469:
	s_or_b32 exec_lo, exec_lo, s3
	s_mov_b32 s2, 0
	s_branch .LBB313_1475
.LBB313_1470:
	s_mov_b32 s2, -1
                                        ; implicit-def: $vgpr6
	s_branch .LBB313_1481
.LBB313_1471:
	s_or_saveexec_b32 s10, s10
	v_mov_b32_e32 v6, s11
	s_xor_b32 exec_lo, exec_lo, s10
	s_cbranch_execz .LBB313_1456
.LBB313_1472:
	v_cmp_ne_u16_e32 vcc_lo, 0, v5
	v_mov_b32_e32 v6, 0
	s_and_not1_b32 s3, s3, exec_lo
	s_and_b32 s11, vcc_lo, exec_lo
	s_delay_alu instid0(SALU_CYCLE_1)
	s_or_b32 s3, s3, s11
	s_or_b32 exec_lo, exec_lo, s10
	s_and_saveexec_b32 s10, s3
	s_cbranch_execnz .LBB313_1457
	s_branch .LBB313_1458
.LBB313_1473:
	s_mov_b32 s2, -1
                                        ; implicit-def: $vgpr6
	s_branch .LBB313_1478
.LBB313_1474:
	s_mov_b32 s2, -1
                                        ; implicit-def: $vgpr6
.LBB313_1475:
	s_delay_alu instid0(SALU_CYCLE_1)
	s_and_b32 vcc_lo, exec_lo, s2
	s_cbranch_vccz .LBB313_1477
; %bb.1476:
	global_load_u8 v5, v[11:12], off
	s_waitcnt vmcnt(0)
	v_lshlrev_b32_e32 v5, 24, v5
	s_delay_alu instid0(VALU_DEP_1) | instskip(NEXT) | instid1(VALU_DEP_1)
	v_and_b32_e32 v6, 0x7f000000, v5
	v_clz_i32_u32_e32 v7, v6
	v_add_nc_u32_e32 v14, 0x1000000, v6
	v_cmp_ne_u32_e32 vcc_lo, 0, v6
	s_delay_alu instid0(VALU_DEP_3) | instskip(NEXT) | instid1(VALU_DEP_1)
	v_min_u32_e32 v7, 32, v7
	v_sub_nc_u32_e64 v7, v7, 4 clamp
	s_delay_alu instid0(VALU_DEP_1) | instskip(SKIP_1) | instid1(VALU_DEP_2)
	v_lshlrev_b32_e32 v9, v7, v6
	v_lshlrev_b32_e32 v7, 23, v7
	v_lshrrev_b32_e32 v9, 4, v9
	s_delay_alu instid0(VALU_DEP_1) | instskip(SKIP_1) | instid1(VALU_DEP_2)
	v_sub_nc_u32_e32 v7, v9, v7
	v_ashrrev_i32_e32 v9, 8, v14
	v_add_nc_u32_e32 v7, 0x3c000000, v7
	s_delay_alu instid0(VALU_DEP_1) | instskip(NEXT) | instid1(VALU_DEP_1)
	v_and_or_b32 v7, 0x7f800000, v9, v7
	v_cndmask_b32_e32 v6, 0, v7, vcc_lo
	s_delay_alu instid0(VALU_DEP_1) | instskip(NEXT) | instid1(VALU_DEP_1)
	v_and_or_b32 v5, 0x80000000, v5, v6
	v_cvt_i32_f32_e32 v6, v5
.LBB313_1477:
	s_mov_b32 s2, 0
.LBB313_1478:
	s_delay_alu instid0(SALU_CYCLE_1)
	s_and_not1_b32 vcc_lo, exec_lo, s2
	s_cbranch_vccnz .LBB313_1480
; %bb.1479:
	global_load_u8 v5, v[11:12], off
	s_waitcnt vmcnt(0)
	v_lshlrev_b32_e32 v6, 25, v5
	v_lshlrev_b16 v5, 8, v5
	s_delay_alu instid0(VALU_DEP_2) | instskip(NEXT) | instid1(VALU_DEP_2)
	v_lshrrev_b32_e32 v7, 4, v6
	v_and_or_b32 v9, 0x7f00, v5, 0.5
	v_bfe_i32 v5, v5, 0, 16
	s_delay_alu instid0(VALU_DEP_3) | instskip(NEXT) | instid1(VALU_DEP_3)
	v_or_b32_e32 v7, 0x70000000, v7
	v_add_f32_e32 v9, -0.5, v9
	s_delay_alu instid0(VALU_DEP_2) | instskip(SKIP_1) | instid1(VALU_DEP_2)
	v_mul_f32_e32 v7, 0x7800000, v7
	v_cmp_gt_u32_e32 vcc_lo, 0x8000000, v6
	v_cndmask_b32_e32 v6, v7, v9, vcc_lo
	s_delay_alu instid0(VALU_DEP_1) | instskip(NEXT) | instid1(VALU_DEP_1)
	v_and_or_b32 v5, 0x80000000, v5, v6
	v_cvt_i32_f32_e32 v6, v5
.LBB313_1480:
	s_mov_b32 s2, 0
	s_mov_b32 s3, -1
.LBB313_1481:
	s_and_not1_b32 vcc_lo, exec_lo, s2
	s_mov_b32 s2, 0
	s_cbranch_vccnz .LBB313_1492
; %bb.1482:
	v_cmp_lt_i16_e32 vcc_lo, 14, v13
	s_cbranch_vccz .LBB313_1485
; %bb.1483:
	v_cmp_eq_u16_e32 vcc_lo, 15, v13
	s_cbranch_vccz .LBB313_1488
; %bb.1484:
	global_load_u16 v5, v[11:12], off
	s_mov_b32 s0, 0
	s_mov_b32 s3, -1
	s_waitcnt vmcnt(0)
	v_lshlrev_b32_e32 v5, 16, v5
	s_delay_alu instid0(VALU_DEP_1)
	v_cvt_i32_f32_e32 v6, v5
	s_branch .LBB313_1490
.LBB313_1485:
	s_mov_b32 s2, -1
	s_branch .LBB313_1489
.LBB313_1486:
	s_or_saveexec_b32 s3, s3
	v_mov_b32_e32 v6, s10
	s_xor_b32 exec_lo, exec_lo, s3
	s_cbranch_execz .LBB313_1467
.LBB313_1487:
	v_cmp_ne_u16_e32 vcc_lo, 0, v5
	v_mov_b32_e32 v6, 0
	s_and_not1_b32 s2, s2, exec_lo
	s_and_b32 s10, vcc_lo, exec_lo
	s_delay_alu instid0(SALU_CYCLE_1)
	s_or_b32 s2, s2, s10
	s_or_b32 exec_lo, exec_lo, s3
	s_and_saveexec_b32 s3, s2
	s_cbranch_execnz .LBB313_1468
	s_branch .LBB313_1469
.LBB313_1488:
	s_mov_b32 s0, -1
.LBB313_1489:
                                        ; implicit-def: $vgpr6
.LBB313_1490:
	s_and_b32 vcc_lo, exec_lo, s2
	s_mov_b32 s2, 0
	s_cbranch_vccz .LBB313_1492
; %bb.1491:
	v_cmp_ne_u16_e64 s0, 11, v13
	s_mov_b32 s2, -1
                                        ; implicit-def: $vgpr6
.LBB313_1492:
	s_delay_alu instid0(VALU_DEP_1)
	s_and_b32 vcc_lo, exec_lo, s0
	s_cbranch_vccnz .LBB313_1508
; %bb.1493:
	s_and_not1_b32 vcc_lo, exec_lo, s2
	s_cbranch_vccnz .LBB313_1495
.LBB313_1494:
	global_load_u8 v5, v[11:12], off
	s_mov_b32 s3, -1
	s_waitcnt vmcnt(0)
	v_cmp_ne_u16_e32 vcc_lo, 0, v5
	v_cndmask_b32_e64 v6, 0, 1, vcc_lo
.LBB313_1495:
.LBB313_1496:
	s_and_not1_b32 vcc_lo, exec_lo, s3
	s_cbranch_vccnz .LBB313_2016
.LBB313_1497:
	v_cmp_gt_i16_e32 vcc_lo, 11, v13
	v_add_co_u32 v11, s0, s6, v4
	s_delay_alu instid0(VALU_DEP_1)
	v_add_co_ci_u32_e64 v12, null, s7, 0, s0
	s_mov_b32 s3, 0
	s_cbranch_vccnz .LBB313_1504
; %bb.1498:
	v_cmp_lt_i16_e32 vcc_lo, 25, v13
	s_mov_b32 s2, 0
	s_cbranch_vccz .LBB313_1505
; %bb.1499:
	v_cmp_lt_i16_e32 vcc_lo, 28, v13
	s_cbranch_vccz .LBB313_1506
; %bb.1500:
	v_cmp_lt_i16_e32 vcc_lo, 43, v13
	;; [unrolled: 3-line block ×3, first 2 shown]
	s_cbranch_vccz .LBB313_1510
; %bb.1502:
	v_cmp_eq_u16_e32 vcc_lo, 46, v13
	s_mov_b32 s6, 0
	s_cbranch_vccz .LBB313_1513
; %bb.1503:
	global_load_b32 v4, v[11:12], off
	s_mov_b32 s0, 0
	s_mov_b32 s3, -1
	s_waitcnt vmcnt(0)
	v_lshlrev_b32_e32 v4, 16, v4
	s_delay_alu instid0(VALU_DEP_1)
	v_cvt_i32_f32_e32 v4, v4
	s_branch .LBB313_1515
.LBB313_1504:
	s_mov_b32 s0, -1
                                        ; implicit-def: $vgpr4
	s_branch .LBB313_1577
.LBB313_1505:
	s_mov_b32 s6, -1
	s_mov_b32 s0, 0
                                        ; implicit-def: $vgpr4
	s_branch .LBB313_1542
.LBB313_1506:
	s_mov_b32 s6, -1
	s_mov_b32 s0, 0
                                        ; implicit-def: $vgpr4
	s_branch .LBB313_1525
.LBB313_1507:
	s_mov_b32 s6, -1
	s_mov_b32 s0, 0
                                        ; implicit-def: $vgpr4
	s_branch .LBB313_1520
.LBB313_1508:
	s_cbranch_execnz .LBB313_1511
; %bb.1509:
	s_or_b32 s1, s1, exec_lo
                                        ; implicit-def: $vgpr6
	s_cbranch_execz .LBB313_1494
	s_branch .LBB313_1495
.LBB313_1510:
	s_mov_b32 s6, -1
	s_mov_b32 s0, 0
	s_branch .LBB313_1514
.LBB313_1511:
	s_trap 2
	s_sendmsg_rtn_b32 s0, sendmsg(MSG_RTN_GET_DOORBELL)
	s_mov_b32 ttmp2, m0
	s_waitcnt lgkmcnt(0)
	s_and_b32 s0, s0, 0x3ff
	s_delay_alu instid0(SALU_CYCLE_1) | instskip(NEXT) | instid1(SALU_CYCLE_1)
	s_bitset1_b32 s0, 10
	s_mov_b32 m0, s0
	s_sendmsg sendmsg(MSG_INTERRUPT)
	s_mov_b32 m0, ttmp2
.LBB313_1512:                           ; =>This Inner Loop Header: Depth=1
	s_sethalt 5
	s_branch .LBB313_1512
.LBB313_1513:
	s_mov_b32 s0, -1
.LBB313_1514:
                                        ; implicit-def: $vgpr4
.LBB313_1515:
	s_and_b32 vcc_lo, exec_lo, s6
	s_cbranch_vccz .LBB313_1519
; %bb.1516:
	v_cmp_eq_u16_e32 vcc_lo, 44, v13
	s_cbranch_vccz .LBB313_1518
; %bb.1517:
	global_load_u8 v4, v[11:12], off
	s_mov_b32 s0, 0
	s_mov_b32 s3, -1
	s_waitcnt vmcnt(0)
	v_lshlrev_b32_e32 v5, 23, v4
	v_cmp_ne_u32_e32 vcc_lo, 0, v4
	s_delay_alu instid0(VALU_DEP_2) | instskip(NEXT) | instid1(VALU_DEP_1)
	v_cvt_i32_f32_e32 v5, v5
	v_cndmask_b32_e32 v4, 0, v5, vcc_lo
	s_branch .LBB313_1519
.LBB313_1518:
	s_mov_b32 s0, -1
                                        ; implicit-def: $vgpr4
.LBB313_1519:
	s_mov_b32 s6, 0
.LBB313_1520:
	s_delay_alu instid0(SALU_CYCLE_1)
	s_and_b32 vcc_lo, exec_lo, s6
	s_cbranch_vccz .LBB313_1524
; %bb.1521:
	v_cmp_eq_u16_e32 vcc_lo, 29, v13
	s_cbranch_vccz .LBB313_1523
; %bb.1522:
	global_load_b64 v[4:5], v[11:12], off
	s_mov_b32 s0, 0
	s_mov_b32 s3, -1
	s_branch .LBB313_1524
.LBB313_1523:
	s_mov_b32 s0, -1
                                        ; implicit-def: $vgpr4
.LBB313_1524:
	s_mov_b32 s6, 0
.LBB313_1525:
	s_delay_alu instid0(SALU_CYCLE_1)
	s_and_b32 vcc_lo, exec_lo, s6
	s_cbranch_vccz .LBB313_1541
; %bb.1526:
	v_cmp_gt_i16_e32 vcc_lo, 27, v13
	s_cbranch_vccnz .LBB313_1529
; %bb.1527:
	v_cmp_lt_i16_e32 vcc_lo, 27, v13
	s_cbranch_vccz .LBB313_1530
; %bb.1528:
	global_load_b32 v4, v[11:12], off
	s_mov_b32 s3, 0
	s_branch .LBB313_1531
.LBB313_1529:
	s_mov_b32 s3, -1
                                        ; implicit-def: $vgpr4
	s_branch .LBB313_1534
.LBB313_1530:
	s_mov_b32 s3, -1
                                        ; implicit-def: $vgpr4
.LBB313_1531:
	s_delay_alu instid0(SALU_CYCLE_1)
	s_and_not1_b32 vcc_lo, exec_lo, s3
	s_cbranch_vccnz .LBB313_1533
; %bb.1532:
	global_load_u16 v4, v[11:12], off
.LBB313_1533:
	s_mov_b32 s3, 0
.LBB313_1534:
	s_delay_alu instid0(SALU_CYCLE_1)
	s_and_not1_b32 vcc_lo, exec_lo, s3
	s_cbranch_vccnz .LBB313_1540
; %bb.1535:
	global_load_u8 v5, v[11:12], off
	s_mov_b32 s3, 0
	s_mov_b32 s6, exec_lo
                                        ; implicit-def: $sgpr7
	s_waitcnt vmcnt(0)
	v_cmpx_lt_i16_e32 0x7f, v5
	s_xor_b32 s6, exec_lo, s6
	s_cbranch_execz .LBB313_1552
; %bb.1536:
	v_cmp_ne_u16_e32 vcc_lo, 0x80, v5
	s_mov_b32 s7, 0
	s_and_b32 s3, vcc_lo, exec_lo
	s_or_saveexec_b32 s6, s6
	v_mov_b32_e32 v4, s7
	s_xor_b32 exec_lo, exec_lo, s6
	s_cbranch_execnz .LBB313_1553
.LBB313_1537:
	s_or_b32 exec_lo, exec_lo, s6
	s_and_saveexec_b32 s6, s3
	s_cbranch_execz .LBB313_1539
.LBB313_1538:
	v_and_b32_e32 v4, 0xffff, v5
	v_lshlrev_b32_e32 v5, 24, v5
	s_delay_alu instid0(VALU_DEP_2) | instskip(NEXT) | instid1(VALU_DEP_2)
	v_and_b32_e32 v7, 7, v4
	v_and_b32_e32 v5, 0x80000000, v5
	s_delay_alu instid0(VALU_DEP_2) | instskip(NEXT) | instid1(VALU_DEP_1)
	v_clz_i32_u32_e32 v9, v7
	v_min_u32_e32 v9, 32, v9
	s_delay_alu instid0(VALU_DEP_1) | instskip(SKIP_1) | instid1(VALU_DEP_2)
	v_subrev_nc_u32_e32 v14, 28, v9
	v_sub_nc_u32_e32 v9, 29, v9
	v_lshlrev_b32_e32 v14, v14, v4
	v_bfe_u32 v4, v4, 3, 4
	s_delay_alu instid0(VALU_DEP_2) | instskip(NEXT) | instid1(VALU_DEP_2)
	v_and_b32_e32 v14, 7, v14
	v_cmp_eq_u32_e32 vcc_lo, 0, v4
	s_delay_alu instid0(VALU_DEP_2) | instskip(NEXT) | instid1(VALU_DEP_1)
	v_dual_cndmask_b32 v4, v4, v9 :: v_dual_cndmask_b32 v7, v7, v14
	v_lshl_add_u32 v4, v4, 23, 0x3b800000
	s_delay_alu instid0(VALU_DEP_2) | instskip(NEXT) | instid1(VALU_DEP_1)
	v_lshlrev_b32_e32 v7, 20, v7
	v_or3_b32 v4, v5, v4, v7
	s_delay_alu instid0(VALU_DEP_1)
	v_cvt_i32_f32_e32 v4, v4
.LBB313_1539:
	s_or_b32 exec_lo, exec_lo, s6
.LBB313_1540:
	s_mov_b32 s3, -1
.LBB313_1541:
	s_mov_b32 s6, 0
.LBB313_1542:
	s_delay_alu instid0(SALU_CYCLE_1)
	s_and_b32 vcc_lo, exec_lo, s6
	s_cbranch_vccz .LBB313_1573
; %bb.1543:
	v_cmp_lt_i16_e32 vcc_lo, 22, v13
	s_cbranch_vccz .LBB313_1551
; %bb.1544:
	v_cmp_gt_i16_e32 vcc_lo, 24, v13
	s_cbranch_vccnz .LBB313_1554
; %bb.1545:
	v_cmp_lt_i16_e32 vcc_lo, 24, v13
	s_cbranch_vccz .LBB313_1555
; %bb.1546:
	global_load_u8 v5, v[11:12], off
	s_mov_b32 s3, exec_lo
                                        ; implicit-def: $sgpr6
	s_waitcnt vmcnt(0)
	v_cmpx_lt_i16_e32 0x7f, v5
	s_xor_b32 s3, exec_lo, s3
	s_cbranch_execz .LBB313_1567
; %bb.1547:
	v_cmp_ne_u16_e32 vcc_lo, 0x80, v5
	s_mov_b32 s6, 0
	s_and_b32 s2, vcc_lo, exec_lo
	s_or_saveexec_b32 s3, s3
	v_mov_b32_e32 v4, s6
	s_xor_b32 exec_lo, exec_lo, s3
	s_cbranch_execnz .LBB313_1568
.LBB313_1548:
	s_or_b32 exec_lo, exec_lo, s3
	s_and_saveexec_b32 s3, s2
	s_cbranch_execz .LBB313_1550
.LBB313_1549:
	v_and_b32_e32 v4, 0xffff, v5
	v_lshlrev_b32_e32 v5, 24, v5
	s_delay_alu instid0(VALU_DEP_2) | instskip(NEXT) | instid1(VALU_DEP_2)
	v_and_b32_e32 v7, 3, v4
	v_and_b32_e32 v5, 0x80000000, v5
	s_delay_alu instid0(VALU_DEP_2) | instskip(NEXT) | instid1(VALU_DEP_1)
	v_clz_i32_u32_e32 v9, v7
	v_min_u32_e32 v9, 32, v9
	s_delay_alu instid0(VALU_DEP_1) | instskip(SKIP_1) | instid1(VALU_DEP_2)
	v_subrev_nc_u32_e32 v14, 29, v9
	v_sub_nc_u32_e32 v9, 30, v9
	v_lshlrev_b32_e32 v14, v14, v4
	v_bfe_u32 v4, v4, 2, 5
	s_delay_alu instid0(VALU_DEP_2) | instskip(NEXT) | instid1(VALU_DEP_2)
	v_and_b32_e32 v14, 3, v14
	v_cmp_eq_u32_e32 vcc_lo, 0, v4
	s_delay_alu instid0(VALU_DEP_2) | instskip(NEXT) | instid1(VALU_DEP_1)
	v_dual_cndmask_b32 v4, v4, v9 :: v_dual_cndmask_b32 v7, v7, v14
	v_lshl_add_u32 v4, v4, 23, 0x37800000
	s_delay_alu instid0(VALU_DEP_2) | instskip(NEXT) | instid1(VALU_DEP_1)
	v_lshlrev_b32_e32 v7, 21, v7
	v_or3_b32 v4, v5, v4, v7
	s_delay_alu instid0(VALU_DEP_1)
	v_cvt_i32_f32_e32 v4, v4
.LBB313_1550:
	s_or_b32 exec_lo, exec_lo, s3
	s_mov_b32 s2, 0
	s_branch .LBB313_1556
.LBB313_1551:
	s_mov_b32 s2, -1
                                        ; implicit-def: $vgpr4
	s_branch .LBB313_1562
.LBB313_1552:
	s_or_saveexec_b32 s6, s6
	v_mov_b32_e32 v4, s7
	s_xor_b32 exec_lo, exec_lo, s6
	s_cbranch_execz .LBB313_1537
.LBB313_1553:
	v_cmp_ne_u16_e32 vcc_lo, 0, v5
	v_mov_b32_e32 v4, 0
	s_and_not1_b32 s3, s3, exec_lo
	s_and_b32 s7, vcc_lo, exec_lo
	s_delay_alu instid0(SALU_CYCLE_1)
	s_or_b32 s3, s3, s7
	s_or_b32 exec_lo, exec_lo, s6
	s_and_saveexec_b32 s6, s3
	s_cbranch_execnz .LBB313_1538
	s_branch .LBB313_1539
.LBB313_1554:
	s_mov_b32 s2, -1
                                        ; implicit-def: $vgpr4
	s_branch .LBB313_1559
.LBB313_1555:
	s_mov_b32 s2, -1
                                        ; implicit-def: $vgpr4
.LBB313_1556:
	s_delay_alu instid0(SALU_CYCLE_1)
	s_and_b32 vcc_lo, exec_lo, s2
	s_cbranch_vccz .LBB313_1558
; %bb.1557:
	global_load_u8 v4, v[11:12], off
	s_waitcnt vmcnt(0)
	v_lshlrev_b32_e32 v4, 24, v4
	s_delay_alu instid0(VALU_DEP_1) | instskip(NEXT) | instid1(VALU_DEP_1)
	v_and_b32_e32 v5, 0x7f000000, v4
	v_clz_i32_u32_e32 v7, v5
	v_add_nc_u32_e32 v14, 0x1000000, v5
	v_cmp_ne_u32_e32 vcc_lo, 0, v5
	s_delay_alu instid0(VALU_DEP_3) | instskip(NEXT) | instid1(VALU_DEP_1)
	v_min_u32_e32 v7, 32, v7
	v_sub_nc_u32_e64 v7, v7, 4 clamp
	s_delay_alu instid0(VALU_DEP_1) | instskip(SKIP_1) | instid1(VALU_DEP_2)
	v_lshlrev_b32_e32 v9, v7, v5
	v_lshlrev_b32_e32 v7, 23, v7
	v_lshrrev_b32_e32 v9, 4, v9
	s_delay_alu instid0(VALU_DEP_1) | instskip(SKIP_1) | instid1(VALU_DEP_2)
	v_sub_nc_u32_e32 v7, v9, v7
	v_ashrrev_i32_e32 v9, 8, v14
	v_add_nc_u32_e32 v7, 0x3c000000, v7
	s_delay_alu instid0(VALU_DEP_1) | instskip(NEXT) | instid1(VALU_DEP_1)
	v_and_or_b32 v7, 0x7f800000, v9, v7
	v_cndmask_b32_e32 v5, 0, v7, vcc_lo
	s_delay_alu instid0(VALU_DEP_1) | instskip(NEXT) | instid1(VALU_DEP_1)
	v_and_or_b32 v4, 0x80000000, v4, v5
	v_cvt_i32_f32_e32 v4, v4
.LBB313_1558:
	s_mov_b32 s2, 0
.LBB313_1559:
	s_delay_alu instid0(SALU_CYCLE_1)
	s_and_not1_b32 vcc_lo, exec_lo, s2
	s_cbranch_vccnz .LBB313_1561
; %bb.1560:
	global_load_u8 v4, v[11:12], off
	s_waitcnt vmcnt(0)
	v_lshlrev_b32_e32 v5, 25, v4
	v_lshlrev_b16 v4, 8, v4
	s_delay_alu instid0(VALU_DEP_2) | instskip(NEXT) | instid1(VALU_DEP_2)
	v_lshrrev_b32_e32 v7, 4, v5
	v_and_or_b32 v9, 0x7f00, v4, 0.5
	v_cmp_gt_u32_e32 vcc_lo, 0x8000000, v5
	v_bfe_i32 v4, v4, 0, 16
	s_delay_alu instid0(VALU_DEP_4) | instskip(NEXT) | instid1(VALU_DEP_4)
	v_or_b32_e32 v7, 0x70000000, v7
	v_add_f32_e32 v9, -0.5, v9
	s_delay_alu instid0(VALU_DEP_2) | instskip(NEXT) | instid1(VALU_DEP_1)
	v_mul_f32_e32 v7, 0x7800000, v7
	v_cndmask_b32_e32 v5, v7, v9, vcc_lo
	s_delay_alu instid0(VALU_DEP_1) | instskip(NEXT) | instid1(VALU_DEP_1)
	v_and_or_b32 v4, 0x80000000, v4, v5
	v_cvt_i32_f32_e32 v4, v4
.LBB313_1561:
	s_mov_b32 s2, 0
	s_mov_b32 s3, -1
.LBB313_1562:
	s_and_not1_b32 vcc_lo, exec_lo, s2
	s_mov_b32 s2, 0
	s_cbranch_vccnz .LBB313_1573
; %bb.1563:
	v_cmp_lt_i16_e32 vcc_lo, 14, v13
	s_cbranch_vccz .LBB313_1566
; %bb.1564:
	v_cmp_eq_u16_e32 vcc_lo, 15, v13
	s_cbranch_vccz .LBB313_1569
; %bb.1565:
	global_load_u16 v4, v[11:12], off
	s_mov_b32 s0, 0
	s_mov_b32 s3, -1
	s_waitcnt vmcnt(0)
	v_lshlrev_b32_e32 v4, 16, v4
	s_delay_alu instid0(VALU_DEP_1)
	v_cvt_i32_f32_e32 v4, v4
	s_branch .LBB313_1571
.LBB313_1566:
	s_mov_b32 s2, -1
	s_branch .LBB313_1570
.LBB313_1567:
	s_or_saveexec_b32 s3, s3
	v_mov_b32_e32 v4, s6
	s_xor_b32 exec_lo, exec_lo, s3
	s_cbranch_execz .LBB313_1548
.LBB313_1568:
	v_cmp_ne_u16_e32 vcc_lo, 0, v5
	v_mov_b32_e32 v4, 0
	s_and_not1_b32 s2, s2, exec_lo
	s_and_b32 s6, vcc_lo, exec_lo
	s_delay_alu instid0(SALU_CYCLE_1)
	s_or_b32 s2, s2, s6
	s_or_b32 exec_lo, exec_lo, s3
	s_and_saveexec_b32 s3, s2
	s_cbranch_execnz .LBB313_1549
	s_branch .LBB313_1550
.LBB313_1569:
	s_mov_b32 s0, -1
.LBB313_1570:
                                        ; implicit-def: $vgpr4
.LBB313_1571:
	s_and_b32 vcc_lo, exec_lo, s2
	s_mov_b32 s2, 0
	s_cbranch_vccz .LBB313_1573
; %bb.1572:
	v_cmp_ne_u16_e64 s0, 11, v13
	s_mov_b32 s2, -1
                                        ; implicit-def: $vgpr4
.LBB313_1573:
	s_delay_alu instid0(VALU_DEP_1)
	s_and_b32 vcc_lo, exec_lo, s0
	s_cbranch_vccnz .LBB313_1636
; %bb.1574:
	s_and_not1_b32 vcc_lo, exec_lo, s2
	s_cbranch_vccnz .LBB313_1576
.LBB313_1575:
	global_load_u8 v4, v[11:12], off
	s_mov_b32 s3, -1
	s_waitcnt vmcnt(0)
	v_cmp_ne_u16_e32 vcc_lo, 0, v4
	v_cndmask_b32_e64 v4, 0, 1, vcc_lo
.LBB313_1576:
	s_mov_b32 s0, 0
.LBB313_1577:
	s_delay_alu instid0(SALU_CYCLE_1)
	s_and_b32 vcc_lo, exec_lo, s0
	s_cbranch_vccz .LBB313_1626
; %bb.1578:
	v_cmp_gt_i16_e32 vcc_lo, 5, v13
	s_cbranch_vccnz .LBB313_1583
; %bb.1579:
	v_cmp_gt_i16_e32 vcc_lo, 8, v13
	s_cbranch_vccnz .LBB313_1584
	;; [unrolled: 3-line block ×3, first 2 shown]
; %bb.1581:
	v_cmp_lt_i16_e32 vcc_lo, 9, v13
	s_cbranch_vccz .LBB313_1586
; %bb.1582:
	global_load_b64 v[4:5], v[11:12], off
	s_mov_b32 s0, 0
	s_waitcnt vmcnt(0)
	v_cvt_i32_f64_e32 v4, v[4:5]
	s_branch .LBB313_1587
.LBB313_1583:
	s_mov_b32 s0, -1
                                        ; implicit-def: $vgpr4
	s_branch .LBB313_1605
.LBB313_1584:
	s_mov_b32 s0, -1
                                        ; implicit-def: $vgpr4
	s_branch .LBB313_1593
.LBB313_1585:
	s_mov_b32 s0, -1
                                        ; implicit-def: $vgpr4
	s_branch .LBB313_1590
.LBB313_1586:
	s_mov_b32 s0, -1
                                        ; implicit-def: $vgpr4
.LBB313_1587:
	s_delay_alu instid0(SALU_CYCLE_1)
	s_and_not1_b32 vcc_lo, exec_lo, s0
	s_cbranch_vccnz .LBB313_1589
; %bb.1588:
	global_load_b32 v4, v[11:12], off
	s_waitcnt vmcnt(0)
	v_cvt_i32_f32_e32 v4, v4
.LBB313_1589:
	s_mov_b32 s0, 0
.LBB313_1590:
	s_delay_alu instid0(SALU_CYCLE_1)
	s_and_not1_b32 vcc_lo, exec_lo, s0
	s_cbranch_vccnz .LBB313_1592
; %bb.1591:
	global_load_b32 v4, v[11:12], off
	s_waitcnt vmcnt(0)
	v_cvt_i16_f16_e32 v4, v4
.LBB313_1592:
	s_mov_b32 s0, 0
.LBB313_1593:
	s_delay_alu instid0(SALU_CYCLE_1)
	s_and_not1_b32 vcc_lo, exec_lo, s0
	s_cbranch_vccnz .LBB313_1604
; %bb.1594:
	v_cmp_gt_i16_e32 vcc_lo, 6, v13
	s_cbranch_vccnz .LBB313_1597
; %bb.1595:
	v_cmp_lt_i16_e32 vcc_lo, 6, v13
	s_cbranch_vccz .LBB313_1598
; %bb.1596:
	global_load_b64 v[4:5], v[11:12], off
	s_mov_b32 s0, 0
	s_waitcnt vmcnt(0)
	v_cvt_i32_f64_e32 v4, v[4:5]
	s_branch .LBB313_1599
.LBB313_1597:
	s_mov_b32 s0, -1
                                        ; implicit-def: $vgpr4
	s_branch .LBB313_1602
.LBB313_1598:
	s_mov_b32 s0, -1
                                        ; implicit-def: $vgpr4
.LBB313_1599:
	s_delay_alu instid0(SALU_CYCLE_1)
	s_and_not1_b32 vcc_lo, exec_lo, s0
	s_cbranch_vccnz .LBB313_1601
; %bb.1600:
	global_load_b32 v4, v[11:12], off
	s_waitcnt vmcnt(0)
	v_cvt_i32_f32_e32 v4, v4
.LBB313_1601:
	s_mov_b32 s0, 0
.LBB313_1602:
	s_delay_alu instid0(SALU_CYCLE_1)
	s_and_not1_b32 vcc_lo, exec_lo, s0
	s_cbranch_vccnz .LBB313_1604
; %bb.1603:
	global_load_u16 v4, v[11:12], off
	s_waitcnt vmcnt(0)
	v_cvt_i16_f16_e32 v4, v4
.LBB313_1604:
	s_mov_b32 s0, 0
.LBB313_1605:
	s_delay_alu instid0(SALU_CYCLE_1)
	s_and_not1_b32 vcc_lo, exec_lo, s0
	s_cbranch_vccnz .LBB313_1625
; %bb.1606:
	v_cmp_gt_i16_e32 vcc_lo, 2, v13
	s_cbranch_vccnz .LBB313_1610
; %bb.1607:
	v_cmp_gt_i16_e32 vcc_lo, 3, v13
	s_cbranch_vccnz .LBB313_1611
; %bb.1608:
	v_cmp_lt_i16_e32 vcc_lo, 3, v13
	s_cbranch_vccz .LBB313_1612
; %bb.1609:
	global_load_b64 v[4:5], v[11:12], off
	s_mov_b32 s0, 0
	s_branch .LBB313_1613
.LBB313_1610:
	s_mov_b32 s0, -1
                                        ; implicit-def: $vgpr4
	s_branch .LBB313_1619
.LBB313_1611:
	s_mov_b32 s0, -1
                                        ; implicit-def: $vgpr4
	s_branch .LBB313_1616
.LBB313_1612:
	s_mov_b32 s0, -1
                                        ; implicit-def: $vgpr4
.LBB313_1613:
	s_delay_alu instid0(SALU_CYCLE_1)
	s_and_not1_b32 vcc_lo, exec_lo, s0
	s_cbranch_vccnz .LBB313_1615
; %bb.1614:
	global_load_b32 v4, v[11:12], off
.LBB313_1615:
	s_mov_b32 s0, 0
.LBB313_1616:
	s_delay_alu instid0(SALU_CYCLE_1)
	s_and_not1_b32 vcc_lo, exec_lo, s0
	s_cbranch_vccnz .LBB313_1618
; %bb.1617:
	global_load_u16 v4, v[11:12], off
.LBB313_1618:
	s_mov_b32 s0, 0
.LBB313_1619:
	s_delay_alu instid0(SALU_CYCLE_1)
	s_and_not1_b32 vcc_lo, exec_lo, s0
	s_cbranch_vccnz .LBB313_1625
; %bb.1620:
	v_cmp_lt_i16_e32 vcc_lo, 0, v13
	s_mov_b32 s0, 0
	s_cbranch_vccz .LBB313_1622
; %bb.1621:
	global_load_i8 v4, v[11:12], off
	s_branch .LBB313_1623
.LBB313_1622:
	s_mov_b32 s0, -1
                                        ; implicit-def: $vgpr4
.LBB313_1623:
	s_delay_alu instid0(SALU_CYCLE_1)
	s_and_not1_b32 vcc_lo, exec_lo, s0
	s_cbranch_vccnz .LBB313_1625
; %bb.1624:
	global_load_u8 v4, v[11:12], off
.LBB313_1625:
	s_mov_b32 s3, -1
.LBB313_1626:
	s_delay_alu instid0(SALU_CYCLE_1)
	s_and_not1_b32 vcc_lo, exec_lo, s3
	s_cbranch_vccnz .LBB313_2016
; %bb.1627:
	s_load_b64 s[2:3], s[16:17], 0x158
	v_add_co_u32 v9, s7, s4, v3
	s_mov_b32 s10, 0
	s_waitcnt vmcnt(0) lgkmcnt(0)
	v_max_i16 v5, v10, s2
	s_and_b32 s3, s3, 0xff
	s_lshr_b32 s6, s2, 16
	v_cmp_lt_i16_e64 s0, s3, 11
	v_add_co_ci_u32_e64 v10, null, s5, 0, s7
	v_min_i16 v5, v5, s6
	s_delay_alu instid0(VALU_DEP_3)
	s_and_b32 vcc_lo, exec_lo, s0
	s_mov_b32 s0, -1
	s_cbranch_vccnz .LBB313_1710
; %bb.1628:
	v_cmp_gt_i16_e64 s0, s3, 25
	s_mov_b32 s11, -1
	s_mov_b32 s7, 0
	s_delay_alu instid0(VALU_DEP_1)
	s_and_b32 vcc_lo, exec_lo, s0
	s_mov_b32 s0, 0
	s_cbranch_vccz .LBB313_1666
; %bb.1629:
	v_cmp_gt_i16_e64 s0, s3, 28
	s_delay_alu instid0(VALU_DEP_1)
	s_and_b32 vcc_lo, exec_lo, s0
	s_cbranch_vccz .LBB313_1634
; %bb.1630:
	v_cmp_gt_i16_e64 s0, s3, 43
	s_delay_alu instid0(VALU_DEP_1)
	s_and_b32 vcc_lo, exec_lo, s0
	;; [unrolled: 5-line block ×3, first 2 shown]
	s_cbranch_vccz .LBB313_1638
; %bb.1632:
	v_cmp_eq_u16_e64 s10, s3, 46
	s_mov_b32 s0, -1
	s_mov_b32 s11, 0
	s_delay_alu instid0(VALU_DEP_1)
	s_and_b32 vcc_lo, exec_lo, s10
	s_mov_b32 s10, 0
	s_cbranch_vccz .LBB313_1639
; %bb.1633:
	v_bfe_i32 v3, v5, 0, 16
	s_mov_b32 s0, 0
	s_mov_b32 s10, -1
	s_delay_alu instid0(VALU_DEP_1) | instskip(NEXT) | instid1(VALU_DEP_1)
	v_cvt_f32_i32_e32 v3, v3
	v_bfe_u32 v7, v3, 16, 1
	s_delay_alu instid0(VALU_DEP_1) | instskip(NEXT) | instid1(VALU_DEP_1)
	v_add3_u32 v3, v3, v7, 0x7fff
	v_lshrrev_b32_e32 v3, 16, v3
	global_store_b32 v[9:10], v3, off
	s_branch .LBB313_1639
.LBB313_1634:
	s_mov_b32 s0, 0
	s_branch .LBB313_1649
.LBB313_1635:
	s_mov_b32 s0, 0
	s_branch .LBB313_1645
.LBB313_1636:
	s_cbranch_execnz .LBB313_1761
; %bb.1637:
	s_or_b32 s1, s1, exec_lo
                                        ; implicit-def: $vgpr4
	s_cbranch_execz .LBB313_1575
	s_branch .LBB313_1576
.LBB313_1638:
	s_mov_b32 s0, 0
.LBB313_1639:
	s_and_b32 vcc_lo, exec_lo, s11
	s_cbranch_vccz .LBB313_1644
; %bb.1640:
	v_cmp_eq_u16_e64 s0, s3, 44
	s_delay_alu instid0(VALU_DEP_1)
	s_and_b32 vcc_lo, exec_lo, s0
	s_mov_b32 s0, -1
	s_cbranch_vccz .LBB313_1644
; %bb.1641:
	v_bfe_i32 v3, v5, 0, 16
	v_mov_b32_e32 v7, 0xff
	s_mov_b32 s10, exec_lo
	s_delay_alu instid0(VALU_DEP_2) | instskip(NEXT) | instid1(VALU_DEP_1)
	v_cvt_f32_i32_e32 v3, v3
	v_bfe_u32 v11, v3, 23, 8
	s_delay_alu instid0(VALU_DEP_1)
	v_cmpx_ne_u32_e32 0xff, v11
; %bb.1642:
	v_and_b32_e32 v7, 0x400000, v3
	v_and_or_b32 v11, 0x3fffff, v3, v11
	v_lshrrev_b32_e32 v3, 23, v3
	s_delay_alu instid0(VALU_DEP_3) | instskip(NEXT) | instid1(VALU_DEP_3)
	v_cmp_ne_u32_e32 vcc_lo, 0, v7
	v_cmp_ne_u32_e64 s0, 0, v11
	s_delay_alu instid0(VALU_DEP_1) | instskip(NEXT) | instid1(SALU_CYCLE_1)
	s_and_b32 s0, vcc_lo, s0
	v_cndmask_b32_e64 v7, 0, 1, s0
	s_delay_alu instid0(VALU_DEP_1)
	v_add_nc_u32_e32 v7, v3, v7
; %bb.1643:
	s_or_b32 exec_lo, exec_lo, s10
	s_mov_b32 s0, 0
	s_mov_b32 s10, -1
	global_store_b8 v[9:10], v7, off
.LBB313_1644:
	s_mov_b32 s11, 0
.LBB313_1645:
	s_delay_alu instid0(SALU_CYCLE_1)
	s_and_b32 vcc_lo, exec_lo, s11
	s_cbranch_vccz .LBB313_1648
; %bb.1646:
	v_cmp_eq_u16_e64 s0, s3, 29
	s_delay_alu instid0(VALU_DEP_1)
	s_and_b32 vcc_lo, exec_lo, s0
	s_mov_b32 s0, -1
	s_cbranch_vccz .LBB313_1648
; %bb.1647:
	v_bfe_i32 v11, v5, 0, 16
	s_mov_b32 s0, 0
	s_mov_b32 s10, -1
	s_mov_b32 s11, 0
	s_delay_alu instid0(VALU_DEP_1)
	v_ashrrev_i32_e32 v12, 31, v11
	global_store_b64 v[9:10], v[11:12], off
	s_branch .LBB313_1649
.LBB313_1648:
	s_mov_b32 s11, 0
.LBB313_1649:
	s_delay_alu instid0(SALU_CYCLE_1)
	s_and_b32 vcc_lo, exec_lo, s11
	s_cbranch_vccz .LBB313_1665
; %bb.1650:
	v_cmp_lt_i16_e64 s10, s3, 27
	s_delay_alu instid0(VALU_DEP_1)
	s_and_b32 vcc_lo, exec_lo, s10
	s_mov_b32 s10, -1
	s_cbranch_vccnz .LBB313_1656
; %bb.1651:
	v_cmp_gt_i16_e64 s10, s3, 27
	s_delay_alu instid0(VALU_DEP_1)
	s_and_b32 vcc_lo, exec_lo, s10
	s_mov_b32 s10, -1
	s_cbranch_vccz .LBB313_1653
; %bb.1652:
	v_bfe_i32 v3, v5, 0, 16
	s_mov_b32 s10, 0
	global_store_b32 v[9:10], v3, off
.LBB313_1653:
	s_and_not1_b32 vcc_lo, exec_lo, s10
	s_cbranch_vccnz .LBB313_1655
; %bb.1654:
	global_store_b16 v[9:10], v5, off
.LBB313_1655:
	s_mov_b32 s10, 0
.LBB313_1656:
	s_delay_alu instid0(SALU_CYCLE_1)
	s_and_not1_b32 vcc_lo, exec_lo, s10
	s_cbranch_vccnz .LBB313_1664
; %bb.1657:
	v_bfe_i32 v3, v5, 0, 16
	v_mov_b32_e32 v11, 0x80
	s_mov_b32 s10, exec_lo
	s_delay_alu instid0(VALU_DEP_2) | instskip(NEXT) | instid1(VALU_DEP_1)
	v_cvt_f32_i32_e32 v3, v3
	v_and_b32_e32 v7, 0x7fffffff, v3
	s_delay_alu instid0(VALU_DEP_1)
	v_cmpx_gt_u32_e32 0x43800000, v7
	s_cbranch_execz .LBB313_1663
; %bb.1658:
	v_cmp_lt_u32_e32 vcc_lo, 0x3bffffff, v7
	s_mov_b32 s11, 0
                                        ; implicit-def: $vgpr7
	s_and_saveexec_b32 s12, vcc_lo
	s_delay_alu instid0(SALU_CYCLE_1)
	s_xor_b32 s12, exec_lo, s12
	s_cbranch_execz .LBB313_1758
; %bb.1659:
	v_bfe_u32 v7, v3, 20, 1
	s_mov_b32 s11, exec_lo
	s_delay_alu instid0(VALU_DEP_1) | instskip(NEXT) | instid1(VALU_DEP_1)
	v_add3_u32 v7, v3, v7, 0x487ffff
	v_lshrrev_b32_e32 v7, 20, v7
	s_or_saveexec_b32 s12, s12
                                        ; implicit-def: $sgpr13
	s_delay_alu instid0(SALU_CYCLE_1)
	s_xor_b32 exec_lo, exec_lo, s12
	s_cbranch_execnz .LBB313_1759
.LBB313_1660:
	s_or_b32 exec_lo, exec_lo, s12
	v_mov_b32_e32 v11, s13
	s_and_saveexec_b32 s12, s11
.LBB313_1661:
	v_lshrrev_b32_e32 v3, 24, v3
	s_delay_alu instid0(VALU_DEP_1)
	v_and_or_b32 v11, 0x80, v3, v7
.LBB313_1662:
	s_or_b32 exec_lo, exec_lo, s12
.LBB313_1663:
	s_delay_alu instid0(SALU_CYCLE_1)
	s_or_b32 exec_lo, exec_lo, s10
	global_store_b8 v[9:10], v11, off
.LBB313_1664:
	s_mov_b32 s10, -1
.LBB313_1665:
	s_mov_b32 s11, 0
.LBB313_1666:
	s_delay_alu instid0(SALU_CYCLE_1)
	s_and_b32 vcc_lo, exec_lo, s11
	s_cbranch_vccz .LBB313_1706
; %bb.1667:
	v_cmp_gt_i16_e64 s7, s3, 22
	s_delay_alu instid0(VALU_DEP_1)
	s_and_b32 vcc_lo, exec_lo, s7
	s_mov_b32 s7, -1
	s_cbranch_vccz .LBB313_1699
; %bb.1668:
	v_cmp_lt_i16_e64 s7, s3, 24
	s_delay_alu instid0(VALU_DEP_1)
	s_and_b32 vcc_lo, exec_lo, s7
	s_mov_b32 s7, -1
	s_cbranch_vccnz .LBB313_1688
; %bb.1669:
	v_cmp_gt_i16_e64 s7, s3, 24
	s_delay_alu instid0(VALU_DEP_1)
	s_and_b32 vcc_lo, exec_lo, s7
	s_mov_b32 s7, -1
	s_cbranch_vccz .LBB313_1677
; %bb.1670:
	v_bfe_i32 v3, v5, 0, 16
	v_mov_b32_e32 v11, 0x80
	s_mov_b32 s7, exec_lo
	s_delay_alu instid0(VALU_DEP_2) | instskip(NEXT) | instid1(VALU_DEP_1)
	v_cvt_f32_i32_e32 v3, v3
	v_and_b32_e32 v7, 0x7fffffff, v3
	s_delay_alu instid0(VALU_DEP_1)
	v_cmpx_gt_u32_e32 0x47800000, v7
	s_cbranch_execz .LBB313_1676
; %bb.1671:
	v_cmp_lt_u32_e32 vcc_lo, 0x37ffffff, v7
	s_mov_b32 s10, 0
                                        ; implicit-def: $vgpr7
	s_and_saveexec_b32 s11, vcc_lo
	s_delay_alu instid0(SALU_CYCLE_1)
	s_xor_b32 s11, exec_lo, s11
	s_cbranch_execz .LBB313_1765
; %bb.1672:
	v_bfe_u32 v7, v3, 21, 1
	s_mov_b32 s10, exec_lo
	s_delay_alu instid0(VALU_DEP_1) | instskip(NEXT) | instid1(VALU_DEP_1)
	v_add3_u32 v7, v3, v7, 0x88fffff
	v_lshrrev_b32_e32 v7, 21, v7
	s_or_saveexec_b32 s11, s11
                                        ; implicit-def: $sgpr12
	s_delay_alu instid0(SALU_CYCLE_1)
	s_xor_b32 exec_lo, exec_lo, s11
	s_cbranch_execnz .LBB313_1766
.LBB313_1673:
	s_or_b32 exec_lo, exec_lo, s11
	v_mov_b32_e32 v11, s12
	s_and_saveexec_b32 s11, s10
.LBB313_1674:
	v_lshrrev_b32_e32 v3, 24, v3
	s_delay_alu instid0(VALU_DEP_1)
	v_and_or_b32 v11, 0x80, v3, v7
.LBB313_1675:
	s_or_b32 exec_lo, exec_lo, s11
.LBB313_1676:
	s_delay_alu instid0(SALU_CYCLE_1)
	s_or_b32 exec_lo, exec_lo, s7
	s_mov_b32 s7, 0
	global_store_b8 v[9:10], v11, off
.LBB313_1677:
	s_and_b32 vcc_lo, exec_lo, s7
	s_cbranch_vccz .LBB313_1687
; %bb.1678:
	v_bfe_i32 v3, v5, 0, 16
	s_mov_b32 s7, exec_lo
                                        ; implicit-def: $vgpr7
	s_delay_alu instid0(VALU_DEP_1) | instskip(NEXT) | instid1(VALU_DEP_1)
	v_cvt_f32_i32_e32 v3, v3
	v_and_b32_e32 v11, 0x7fffffff, v3
	s_delay_alu instid0(VALU_DEP_1)
	v_cmpx_gt_u32_e32 0x43f00000, v11
	s_xor_b32 s7, exec_lo, s7
	s_cbranch_execz .LBB313_1684
; %bb.1679:
	s_mov_b32 s10, exec_lo
                                        ; implicit-def: $vgpr7
	v_cmpx_lt_u32_e32 0x3c7fffff, v11
	s_xor_b32 s10, exec_lo, s10
; %bb.1680:
	v_bfe_u32 v7, v3, 20, 1
	s_delay_alu instid0(VALU_DEP_1) | instskip(NEXT) | instid1(VALU_DEP_1)
	v_add3_u32 v7, v3, v7, 0x407ffff
	v_and_b32_e32 v11, 0xff00000, v7
	v_lshrrev_b32_e32 v7, 20, v7
	s_delay_alu instid0(VALU_DEP_2) | instskip(NEXT) | instid1(VALU_DEP_2)
	v_cmp_ne_u32_e32 vcc_lo, 0x7f00000, v11
	v_cndmask_b32_e32 v7, 0x7e, v7, vcc_lo
; %bb.1681:
	s_and_not1_saveexec_b32 s10, s10
; %bb.1682:
	v_add_f32_e64 v7, 0x46800000, |v3|
; %bb.1683:
	s_or_b32 exec_lo, exec_lo, s10
                                        ; implicit-def: $vgpr11
.LBB313_1684:
	s_and_not1_saveexec_b32 s7, s7
; %bb.1685:
	v_mov_b32_e32 v7, 0x7f
	v_cmp_lt_u32_e32 vcc_lo, 0x7f800000, v11
	s_delay_alu instid0(VALU_DEP_2)
	v_cndmask_b32_e32 v7, 0x7e, v7, vcc_lo
; %bb.1686:
	s_or_b32 exec_lo, exec_lo, s7
	v_lshrrev_b32_e32 v3, 24, v3
	s_delay_alu instid0(VALU_DEP_1)
	v_and_or_b32 v3, 0x80, v3, v7
	global_store_b8 v[9:10], v3, off
.LBB313_1687:
	s_mov_b32 s7, 0
.LBB313_1688:
	s_delay_alu instid0(SALU_CYCLE_1)
	s_and_not1_b32 vcc_lo, exec_lo, s7
	s_cbranch_vccnz .LBB313_1698
; %bb.1689:
	v_bfe_i32 v3, v5, 0, 16
	s_mov_b32 s7, exec_lo
                                        ; implicit-def: $vgpr7
	s_delay_alu instid0(VALU_DEP_1) | instskip(NEXT) | instid1(VALU_DEP_1)
	v_cvt_f32_i32_e32 v3, v3
	v_and_b32_e32 v11, 0x7fffffff, v3
	s_delay_alu instid0(VALU_DEP_1)
	v_cmpx_gt_u32_e32 0x47800000, v11
	s_xor_b32 s7, exec_lo, s7
	s_cbranch_execz .LBB313_1695
; %bb.1690:
	s_mov_b32 s10, exec_lo
                                        ; implicit-def: $vgpr7
	v_cmpx_lt_u32_e32 0x387fffff, v11
	s_xor_b32 s10, exec_lo, s10
; %bb.1691:
	v_bfe_u32 v7, v3, 21, 1
	s_delay_alu instid0(VALU_DEP_1) | instskip(NEXT) | instid1(VALU_DEP_1)
	v_add3_u32 v7, v3, v7, 0x80fffff
	v_lshrrev_b32_e32 v7, 21, v7
; %bb.1692:
	s_and_not1_saveexec_b32 s10, s10
; %bb.1693:
	v_add_f32_e64 v7, 0x43000000, |v3|
; %bb.1694:
	s_or_b32 exec_lo, exec_lo, s10
                                        ; implicit-def: $vgpr11
.LBB313_1695:
	s_and_not1_saveexec_b32 s7, s7
; %bb.1696:
	v_mov_b32_e32 v7, 0x7f
	v_cmp_lt_u32_e32 vcc_lo, 0x7f800000, v11
	s_delay_alu instid0(VALU_DEP_2)
	v_cndmask_b32_e32 v7, 0x7c, v7, vcc_lo
; %bb.1697:
	s_or_b32 exec_lo, exec_lo, s7
	v_lshrrev_b32_e32 v3, 24, v3
	s_delay_alu instid0(VALU_DEP_1)
	v_and_or_b32 v3, 0x80, v3, v7
	global_store_b8 v[9:10], v3, off
.LBB313_1698:
	s_mov_b32 s7, 0
	s_mov_b32 s10, -1
.LBB313_1699:
	s_and_not1_b32 vcc_lo, exec_lo, s7
	s_mov_b32 s7, 0
	s_cbranch_vccnz .LBB313_1706
; %bb.1700:
	v_cmp_gt_i16_e64 s7, s3, 14
	s_delay_alu instid0(VALU_DEP_1)
	s_and_b32 vcc_lo, exec_lo, s7
	s_mov_b32 s7, -1
	s_cbranch_vccz .LBB313_1704
; %bb.1701:
	v_cmp_eq_u16_e64 s0, s3, 15
	s_delay_alu instid0(VALU_DEP_1)
	s_and_b32 vcc_lo, exec_lo, s0
	s_mov_b32 s0, -1
	s_cbranch_vccz .LBB313_1703
; %bb.1702:
	v_bfe_i32 v3, v5, 0, 16
	s_mov_b32 s0, 0
	s_mov_b32 s10, -1
	s_delay_alu instid0(VALU_DEP_1) | instskip(NEXT) | instid1(VALU_DEP_1)
	v_cvt_f32_i32_e32 v3, v3
	v_bfe_u32 v7, v3, 16, 1
	s_delay_alu instid0(VALU_DEP_1)
	v_add3_u32 v3, v3, v7, 0x7fff
	global_store_d16_hi_b16 v[9:10], v3, off
.LBB313_1703:
	s_mov_b32 s7, 0
.LBB313_1704:
	s_delay_alu instid0(SALU_CYCLE_1)
	s_and_b32 vcc_lo, exec_lo, s7
	s_mov_b32 s7, 0
	s_cbranch_vccz .LBB313_1706
; %bb.1705:
	v_cmp_ne_u16_e64 s0, s3, 11
	s_mov_b32 s7, -1
.LBB313_1706:
	s_delay_alu instid0(VALU_DEP_1)
	s_and_b32 vcc_lo, exec_lo, s0
	s_cbranch_vccnz .LBB313_1763
; %bb.1707:
	s_and_not1_b32 vcc_lo, exec_lo, s7
	s_cbranch_vccnz .LBB313_1709
.LBB313_1708:
	v_cmp_ne_u16_e32 vcc_lo, 0, v5
	s_mov_b32 s10, -1
	v_cndmask_b32_e64 v3, 0, 1, vcc_lo
	global_store_b8 v[9:10], v3, off
.LBB313_1709:
	s_mov_b32 s0, 0
.LBB313_1710:
	s_delay_alu instid0(SALU_CYCLE_1)
	s_and_b32 vcc_lo, exec_lo, s0
	s_cbranch_vccz .LBB313_1749
; %bb.1711:
	v_cmp_lt_i16_e64 s0, s3, 5
	s_delay_alu instid0(VALU_DEP_1)
	s_and_b32 vcc_lo, exec_lo, s0
	s_mov_b32 s0, -1
	s_cbranch_vccnz .LBB313_1732
; %bb.1712:
	v_cmp_lt_i16_e64 s0, s3, 8
	s_delay_alu instid0(VALU_DEP_1)
	s_and_b32 vcc_lo, exec_lo, s0
	s_mov_b32 s0, -1
	s_cbranch_vccnz .LBB313_1722
	;; [unrolled: 6-line block ×3, first 2 shown]
; %bb.1714:
	v_cmp_gt_i16_e64 s0, s3, 9
	s_delay_alu instid0(VALU_DEP_1)
	s_and_b32 vcc_lo, exec_lo, s0
	s_mov_b32 s0, -1
	s_cbranch_vccz .LBB313_1716
; %bb.1715:
	v_bfe_i32 v3, v5, 0, 16
	v_mov_b32_e32 v13, 0
	s_mov_b32 s0, 0
	s_delay_alu instid0(VALU_DEP_2) | instskip(NEXT) | instid1(VALU_DEP_2)
	v_cvt_f64_i32_e32 v[11:12], v3
	v_mov_b32_e32 v14, v13
	global_store_b128 v[9:10], v[11:14], off
.LBB313_1716:
	s_and_not1_b32 vcc_lo, exec_lo, s0
	s_cbranch_vccnz .LBB313_1718
; %bb.1717:
	v_bfe_i32 v3, v5, 0, 16
	v_mov_b32_e32 v12, 0
	s_delay_alu instid0(VALU_DEP_2)
	v_cvt_f32_i32_e32 v11, v3
	global_store_b64 v[9:10], v[11:12], off
.LBB313_1718:
	s_mov_b32 s0, 0
.LBB313_1719:
	s_delay_alu instid0(SALU_CYCLE_1)
	s_and_not1_b32 vcc_lo, exec_lo, s0
	s_cbranch_vccnz .LBB313_1721
; %bb.1720:
	v_cvt_f16_i16_e32 v3, v5
	s_delay_alu instid0(VALU_DEP_1)
	v_and_b32_e32 v3, 0xffff, v3
	global_store_b32 v[9:10], v3, off
.LBB313_1721:
	s_mov_b32 s0, 0
.LBB313_1722:
	s_delay_alu instid0(SALU_CYCLE_1)
	s_and_not1_b32 vcc_lo, exec_lo, s0
	s_cbranch_vccnz .LBB313_1731
; %bb.1723:
	v_cmp_lt_i16_e64 s0, s3, 6
	s_delay_alu instid0(VALU_DEP_1)
	s_and_b32 vcc_lo, exec_lo, s0
	s_mov_b32 s0, -1
	s_cbranch_vccnz .LBB313_1729
; %bb.1724:
	v_cmp_gt_i16_e64 s0, s3, 6
	s_delay_alu instid0(VALU_DEP_1)
	s_and_b32 vcc_lo, exec_lo, s0
	s_mov_b32 s0, -1
	s_cbranch_vccz .LBB313_1726
; %bb.1725:
	v_bfe_i32 v3, v5, 0, 16
	s_mov_b32 s0, 0
	s_delay_alu instid0(VALU_DEP_1)
	v_cvt_f64_i32_e32 v[11:12], v3
	global_store_b64 v[9:10], v[11:12], off
.LBB313_1726:
	s_and_not1_b32 vcc_lo, exec_lo, s0
	s_cbranch_vccnz .LBB313_1728
; %bb.1727:
	v_bfe_i32 v3, v5, 0, 16
	s_delay_alu instid0(VALU_DEP_1)
	v_cvt_f32_i32_e32 v3, v3
	global_store_b32 v[9:10], v3, off
.LBB313_1728:
	s_mov_b32 s0, 0
.LBB313_1729:
	s_delay_alu instid0(SALU_CYCLE_1)
	s_and_not1_b32 vcc_lo, exec_lo, s0
	s_cbranch_vccnz .LBB313_1731
; %bb.1730:
	v_cvt_f16_i16_e32 v3, v5
	global_store_b16 v[9:10], v3, off
.LBB313_1731:
	s_mov_b32 s0, 0
.LBB313_1732:
	s_delay_alu instid0(SALU_CYCLE_1)
	s_and_not1_b32 vcc_lo, exec_lo, s0
	s_cbranch_vccnz .LBB313_1748
; %bb.1733:
	v_cmp_lt_i16_e64 s0, s3, 2
	s_delay_alu instid0(VALU_DEP_1)
	s_and_b32 vcc_lo, exec_lo, s0
	s_mov_b32 s0, -1
	s_cbranch_vccnz .LBB313_1743
; %bb.1734:
	v_cmp_lt_i16_e64 s0, s3, 3
	s_delay_alu instid0(VALU_DEP_1)
	s_and_b32 vcc_lo, exec_lo, s0
	s_mov_b32 s0, -1
	s_cbranch_vccnz .LBB313_1740
; %bb.1735:
	v_cmp_gt_i16_e64 s0, s3, 3
	s_delay_alu instid0(VALU_DEP_1)
	s_and_b32 vcc_lo, exec_lo, s0
	s_mov_b32 s0, -1
	s_cbranch_vccz .LBB313_1737
; %bb.1736:
	v_bfe_i32 v11, v5, 0, 16
	s_mov_b32 s0, 0
	s_delay_alu instid0(VALU_DEP_1)
	v_ashrrev_i32_e32 v12, 31, v11
	global_store_b64 v[9:10], v[11:12], off
.LBB313_1737:
	s_and_not1_b32 vcc_lo, exec_lo, s0
	s_cbranch_vccnz .LBB313_1739
; %bb.1738:
	v_bfe_i32 v3, v5, 0, 16
	global_store_b32 v[9:10], v3, off
.LBB313_1739:
	s_mov_b32 s0, 0
.LBB313_1740:
	s_delay_alu instid0(SALU_CYCLE_1)
	s_and_not1_b32 vcc_lo, exec_lo, s0
	s_cbranch_vccnz .LBB313_1742
; %bb.1741:
	global_store_b16 v[9:10], v5, off
.LBB313_1742:
	s_mov_b32 s0, 0
.LBB313_1743:
	s_delay_alu instid0(SALU_CYCLE_1)
	s_and_not1_b32 vcc_lo, exec_lo, s0
	s_cbranch_vccnz .LBB313_1748
; %bb.1744:
	v_cmp_gt_i16_e64 s0, s3, 0
	s_delay_alu instid0(VALU_DEP_1)
	s_and_b32 vcc_lo, exec_lo, s0
	s_mov_b32 s0, -1
	s_cbranch_vccz .LBB313_1746
; %bb.1745:
	s_mov_b32 s0, 0
	global_store_b8 v[9:10], v5, off
.LBB313_1746:
	s_and_not1_b32 vcc_lo, exec_lo, s0
	s_cbranch_vccnz .LBB313_1748
; %bb.1747:
	global_store_b8 v[9:10], v5, off
.LBB313_1748:
	s_mov_b32 s10, -1
.LBB313_1749:
	s_delay_alu instid0(SALU_CYCLE_1)
	s_and_not1_b32 vcc_lo, exec_lo, s10
	s_cbranch_vccnz .LBB313_2016
; %bb.1750:
	v_max_i16 v3, v8, s2
	v_cmp_lt_i16_e64 s0, s3, 11
	v_add_co_u32 v2, s7, s4, v2
	s_mov_b32 s10, 0
	s_delay_alu instid0(VALU_DEP_3)
	v_min_i16 v5, v3, s6
	v_add_co_ci_u32_e64 v3, null, s5, 0, s7
	s_and_b32 vcc_lo, exec_lo, s0
	s_mov_b32 s0, -1
	s_cbranch_vccnz .LBB313_1839
; %bb.1751:
	v_cmp_gt_i16_e64 s0, s3, 25
	s_mov_b32 s11, -1
	s_mov_b32 s7, 0
	s_delay_alu instid0(VALU_DEP_1)
	s_and_b32 vcc_lo, exec_lo, s0
	s_mov_b32 s0, 0
	s_cbranch_vccz .LBB313_1795
; %bb.1752:
	v_cmp_gt_i16_e64 s0, s3, 28
	s_delay_alu instid0(VALU_DEP_1)
	s_and_b32 vcc_lo, exec_lo, s0
	s_cbranch_vccz .LBB313_1757
; %bb.1753:
	v_cmp_gt_i16_e64 s0, s3, 43
	s_delay_alu instid0(VALU_DEP_1)
	s_and_b32 vcc_lo, exec_lo, s0
	;; [unrolled: 5-line block ×3, first 2 shown]
	s_cbranch_vccz .LBB313_1767
; %bb.1755:
	v_cmp_eq_u16_e64 s10, s3, 46
	s_mov_b32 s0, -1
	s_mov_b32 s11, 0
	s_delay_alu instid0(VALU_DEP_1)
	s_and_b32 vcc_lo, exec_lo, s10
	s_mov_b32 s10, 0
	s_cbranch_vccz .LBB313_1768
; %bb.1756:
	v_bfe_i32 v7, v5, 0, 16
	s_mov_b32 s0, 0
	s_mov_b32 s10, -1
	s_delay_alu instid0(VALU_DEP_1) | instskip(NEXT) | instid1(VALU_DEP_1)
	v_cvt_f32_i32_e32 v7, v7
	v_bfe_u32 v8, v7, 16, 1
	s_delay_alu instid0(VALU_DEP_1) | instskip(NEXT) | instid1(VALU_DEP_1)
	v_add3_u32 v7, v7, v8, 0x7fff
	v_lshrrev_b32_e32 v7, 16, v7
	global_store_b32 v[2:3], v7, off
	s_branch .LBB313_1768
.LBB313_1757:
	s_mov_b32 s0, 0
	s_branch .LBB313_1778
.LBB313_1758:
	s_or_saveexec_b32 s12, s12
                                        ; implicit-def: $sgpr13
	s_delay_alu instid0(SALU_CYCLE_1)
	s_xor_b32 exec_lo, exec_lo, s12
	s_cbranch_execz .LBB313_1660
.LBB313_1759:
	v_add_f32_e64 v7, 0x46000000, |v3|
	s_and_not1_b32 s11, s11, exec_lo
	s_mov_b32 s13, 0
	s_delay_alu instid0(VALU_DEP_1) | instskip(NEXT) | instid1(VALU_DEP_1)
	v_and_b32_e32 v7, 0xff, v7
	v_cmp_ne_u32_e32 vcc_lo, 0, v7
	s_and_b32 s14, vcc_lo, exec_lo
	s_delay_alu instid0(SALU_CYCLE_1)
	s_or_b32 s11, s11, s14
	s_or_b32 exec_lo, exec_lo, s12
	v_mov_b32_e32 v11, s13
	s_and_saveexec_b32 s12, s11
	s_cbranch_execnz .LBB313_1661
	s_branch .LBB313_1662
.LBB313_1760:
	s_mov_b32 s0, 0
	s_branch .LBB313_1774
.LBB313_1761:
	s_trap 2
	s_sendmsg_rtn_b32 s0, sendmsg(MSG_RTN_GET_DOORBELL)
	s_mov_b32 ttmp2, m0
	s_waitcnt lgkmcnt(0)
	s_and_b32 s0, s0, 0x3ff
	s_delay_alu instid0(SALU_CYCLE_1) | instskip(NEXT) | instid1(SALU_CYCLE_1)
	s_bitset1_b32 s0, 10
	s_mov_b32 m0, s0
	s_sendmsg sendmsg(MSG_INTERRUPT)
	s_mov_b32 m0, ttmp2
.LBB313_1762:                           ; =>This Inner Loop Header: Depth=1
	s_sethalt 5
	s_branch .LBB313_1762
.LBB313_1763:
	s_cbranch_execnz .LBB313_1890
; %bb.1764:
	s_or_b32 s1, s1, exec_lo
	s_cbranch_execz .LBB313_1708
	s_branch .LBB313_1709
.LBB313_1765:
	s_or_saveexec_b32 s11, s11
                                        ; implicit-def: $sgpr12
	s_delay_alu instid0(SALU_CYCLE_1)
	s_xor_b32 exec_lo, exec_lo, s11
	s_cbranch_execz .LBB313_1673
.LBB313_1766:
	v_add_f32_e64 v7, 0x42800000, |v3|
	s_and_not1_b32 s10, s10, exec_lo
	s_mov_b32 s12, 0
	s_delay_alu instid0(VALU_DEP_1) | instskip(NEXT) | instid1(VALU_DEP_1)
	v_and_b32_e32 v7, 0xff, v7
	v_cmp_ne_u32_e32 vcc_lo, 0, v7
	s_and_b32 s13, vcc_lo, exec_lo
	s_delay_alu instid0(SALU_CYCLE_1)
	s_or_b32 s10, s10, s13
	s_or_b32 exec_lo, exec_lo, s11
	v_mov_b32_e32 v11, s12
	s_and_saveexec_b32 s11, s10
	s_cbranch_execnz .LBB313_1674
	s_branch .LBB313_1675
.LBB313_1767:
	s_mov_b32 s0, 0
.LBB313_1768:
	s_and_b32 vcc_lo, exec_lo, s11
	s_cbranch_vccz .LBB313_1773
; %bb.1769:
	v_cmp_eq_u16_e64 s0, s3, 44
	s_delay_alu instid0(VALU_DEP_1)
	s_and_b32 vcc_lo, exec_lo, s0
	s_mov_b32 s0, -1
	s_cbranch_vccz .LBB313_1773
; %bb.1770:
	v_bfe_i32 v7, v5, 0, 16
	v_mov_b32_e32 v8, 0xff
	s_mov_b32 s10, exec_lo
	s_delay_alu instid0(VALU_DEP_2) | instskip(NEXT) | instid1(VALU_DEP_1)
	v_cvt_f32_i32_e32 v7, v7
	v_bfe_u32 v9, v7, 23, 8
	s_delay_alu instid0(VALU_DEP_1)
	v_cmpx_ne_u32_e32 0xff, v9
; %bb.1771:
	v_and_b32_e32 v8, 0x400000, v7
	v_and_or_b32 v9, 0x3fffff, v7, v9
	v_lshrrev_b32_e32 v7, 23, v7
	s_delay_alu instid0(VALU_DEP_3) | instskip(NEXT) | instid1(VALU_DEP_3)
	v_cmp_ne_u32_e32 vcc_lo, 0, v8
	v_cmp_ne_u32_e64 s0, 0, v9
	s_delay_alu instid0(VALU_DEP_1) | instskip(NEXT) | instid1(SALU_CYCLE_1)
	s_and_b32 s0, vcc_lo, s0
	v_cndmask_b32_e64 v8, 0, 1, s0
	s_delay_alu instid0(VALU_DEP_1)
	v_add_nc_u32_e32 v8, v7, v8
; %bb.1772:
	s_or_b32 exec_lo, exec_lo, s10
	s_mov_b32 s0, 0
	s_mov_b32 s10, -1
	global_store_b8 v[2:3], v8, off
.LBB313_1773:
	s_mov_b32 s11, 0
.LBB313_1774:
	s_delay_alu instid0(SALU_CYCLE_1)
	s_and_b32 vcc_lo, exec_lo, s11
	s_cbranch_vccz .LBB313_1777
; %bb.1775:
	v_cmp_eq_u16_e64 s0, s3, 29
	s_delay_alu instid0(VALU_DEP_1)
	s_and_b32 vcc_lo, exec_lo, s0
	s_mov_b32 s0, -1
	s_cbranch_vccz .LBB313_1777
; %bb.1776:
	v_bfe_i32 v7, v5, 0, 16
	s_mov_b32 s0, 0
	s_mov_b32 s10, -1
	s_mov_b32 s11, 0
	s_delay_alu instid0(VALU_DEP_1)
	v_ashrrev_i32_e32 v8, 31, v7
	global_store_b64 v[2:3], v[7:8], off
	s_branch .LBB313_1778
.LBB313_1777:
	s_mov_b32 s11, 0
.LBB313_1778:
	s_delay_alu instid0(SALU_CYCLE_1)
	s_and_b32 vcc_lo, exec_lo, s11
	s_cbranch_vccz .LBB313_1794
; %bb.1779:
	v_cmp_lt_i16_e64 s10, s3, 27
	s_delay_alu instid0(VALU_DEP_1)
	s_and_b32 vcc_lo, exec_lo, s10
	s_mov_b32 s10, -1
	s_cbranch_vccnz .LBB313_1785
; %bb.1780:
	v_cmp_gt_i16_e64 s10, s3, 27
	s_delay_alu instid0(VALU_DEP_1)
	s_and_b32 vcc_lo, exec_lo, s10
	s_mov_b32 s10, -1
	s_cbranch_vccz .LBB313_1782
; %bb.1781:
	v_bfe_i32 v7, v5, 0, 16
	s_mov_b32 s10, 0
	global_store_b32 v[2:3], v7, off
.LBB313_1782:
	s_and_not1_b32 vcc_lo, exec_lo, s10
	s_cbranch_vccnz .LBB313_1784
; %bb.1783:
	global_store_b16 v[2:3], v5, off
.LBB313_1784:
	s_mov_b32 s10, 0
.LBB313_1785:
	s_delay_alu instid0(SALU_CYCLE_1)
	s_and_not1_b32 vcc_lo, exec_lo, s10
	s_cbranch_vccnz .LBB313_1793
; %bb.1786:
	v_bfe_i32 v7, v5, 0, 16
	v_mov_b32_e32 v9, 0x80
	s_mov_b32 s10, exec_lo
	s_delay_alu instid0(VALU_DEP_2) | instskip(NEXT) | instid1(VALU_DEP_1)
	v_cvt_f32_i32_e32 v7, v7
	v_and_b32_e32 v8, 0x7fffffff, v7
	s_delay_alu instid0(VALU_DEP_1)
	v_cmpx_gt_u32_e32 0x43800000, v8
	s_cbranch_execz .LBB313_1792
; %bb.1787:
	v_cmp_lt_u32_e32 vcc_lo, 0x3bffffff, v8
	s_mov_b32 s11, 0
                                        ; implicit-def: $vgpr8
	s_and_saveexec_b32 s12, vcc_lo
	s_delay_alu instid0(SALU_CYCLE_1)
	s_xor_b32 s12, exec_lo, s12
	s_cbranch_execz .LBB313_1887
; %bb.1788:
	v_bfe_u32 v8, v7, 20, 1
	s_mov_b32 s11, exec_lo
	s_delay_alu instid0(VALU_DEP_1) | instskip(NEXT) | instid1(VALU_DEP_1)
	v_add3_u32 v8, v7, v8, 0x487ffff
	v_lshrrev_b32_e32 v8, 20, v8
	s_or_saveexec_b32 s12, s12
                                        ; implicit-def: $sgpr13
	s_delay_alu instid0(SALU_CYCLE_1)
	s_xor_b32 exec_lo, exec_lo, s12
	s_cbranch_execnz .LBB313_1888
.LBB313_1789:
	s_or_b32 exec_lo, exec_lo, s12
	v_mov_b32_e32 v9, s13
	s_and_saveexec_b32 s12, s11
.LBB313_1790:
	v_lshrrev_b32_e32 v7, 24, v7
	s_delay_alu instid0(VALU_DEP_1)
	v_and_or_b32 v9, 0x80, v7, v8
.LBB313_1791:
	s_or_b32 exec_lo, exec_lo, s12
.LBB313_1792:
	s_delay_alu instid0(SALU_CYCLE_1)
	s_or_b32 exec_lo, exec_lo, s10
	global_store_b8 v[2:3], v9, off
.LBB313_1793:
	s_mov_b32 s10, -1
.LBB313_1794:
	s_mov_b32 s11, 0
.LBB313_1795:
	s_delay_alu instid0(SALU_CYCLE_1)
	s_and_b32 vcc_lo, exec_lo, s11
	s_cbranch_vccz .LBB313_1835
; %bb.1796:
	v_cmp_gt_i16_e64 s7, s3, 22
	s_delay_alu instid0(VALU_DEP_1)
	s_and_b32 vcc_lo, exec_lo, s7
	s_mov_b32 s7, -1
	s_cbranch_vccz .LBB313_1828
; %bb.1797:
	v_cmp_lt_i16_e64 s7, s3, 24
	s_delay_alu instid0(VALU_DEP_1)
	s_and_b32 vcc_lo, exec_lo, s7
	s_mov_b32 s7, -1
	s_cbranch_vccnz .LBB313_1817
; %bb.1798:
	v_cmp_gt_i16_e64 s7, s3, 24
	s_delay_alu instid0(VALU_DEP_1)
	s_and_b32 vcc_lo, exec_lo, s7
	s_mov_b32 s7, -1
	s_cbranch_vccz .LBB313_1806
; %bb.1799:
	v_bfe_i32 v7, v5, 0, 16
	v_mov_b32_e32 v9, 0x80
	s_mov_b32 s7, exec_lo
	s_delay_alu instid0(VALU_DEP_2) | instskip(NEXT) | instid1(VALU_DEP_1)
	v_cvt_f32_i32_e32 v7, v7
	v_and_b32_e32 v8, 0x7fffffff, v7
	s_delay_alu instid0(VALU_DEP_1)
	v_cmpx_gt_u32_e32 0x47800000, v8
	s_cbranch_execz .LBB313_1805
; %bb.1800:
	v_cmp_lt_u32_e32 vcc_lo, 0x37ffffff, v8
	s_mov_b32 s10, 0
                                        ; implicit-def: $vgpr8
	s_and_saveexec_b32 s11, vcc_lo
	s_delay_alu instid0(SALU_CYCLE_1)
	s_xor_b32 s11, exec_lo, s11
	s_cbranch_execz .LBB313_1894
; %bb.1801:
	v_bfe_u32 v8, v7, 21, 1
	s_mov_b32 s10, exec_lo
	s_delay_alu instid0(VALU_DEP_1) | instskip(NEXT) | instid1(VALU_DEP_1)
	v_add3_u32 v8, v7, v8, 0x88fffff
	v_lshrrev_b32_e32 v8, 21, v8
	s_or_saveexec_b32 s11, s11
                                        ; implicit-def: $sgpr12
	s_delay_alu instid0(SALU_CYCLE_1)
	s_xor_b32 exec_lo, exec_lo, s11
	s_cbranch_execnz .LBB313_1895
.LBB313_1802:
	s_or_b32 exec_lo, exec_lo, s11
	v_mov_b32_e32 v9, s12
	s_and_saveexec_b32 s11, s10
.LBB313_1803:
	v_lshrrev_b32_e32 v7, 24, v7
	s_delay_alu instid0(VALU_DEP_1)
	v_and_or_b32 v9, 0x80, v7, v8
.LBB313_1804:
	s_or_b32 exec_lo, exec_lo, s11
.LBB313_1805:
	s_delay_alu instid0(SALU_CYCLE_1)
	s_or_b32 exec_lo, exec_lo, s7
	s_mov_b32 s7, 0
	global_store_b8 v[2:3], v9, off
.LBB313_1806:
	s_and_b32 vcc_lo, exec_lo, s7
	s_cbranch_vccz .LBB313_1816
; %bb.1807:
	v_bfe_i32 v7, v5, 0, 16
	s_mov_b32 s7, exec_lo
                                        ; implicit-def: $vgpr8
	s_delay_alu instid0(VALU_DEP_1) | instskip(NEXT) | instid1(VALU_DEP_1)
	v_cvt_f32_i32_e32 v7, v7
	v_and_b32_e32 v9, 0x7fffffff, v7
	s_delay_alu instid0(VALU_DEP_1)
	v_cmpx_gt_u32_e32 0x43f00000, v9
	s_xor_b32 s7, exec_lo, s7
	s_cbranch_execz .LBB313_1813
; %bb.1808:
	s_mov_b32 s10, exec_lo
                                        ; implicit-def: $vgpr8
	v_cmpx_lt_u32_e32 0x3c7fffff, v9
	s_xor_b32 s10, exec_lo, s10
; %bb.1809:
	v_bfe_u32 v8, v7, 20, 1
	s_delay_alu instid0(VALU_DEP_1) | instskip(NEXT) | instid1(VALU_DEP_1)
	v_add3_u32 v8, v7, v8, 0x407ffff
	v_and_b32_e32 v9, 0xff00000, v8
	v_lshrrev_b32_e32 v8, 20, v8
	s_delay_alu instid0(VALU_DEP_2) | instskip(NEXT) | instid1(VALU_DEP_2)
	v_cmp_ne_u32_e32 vcc_lo, 0x7f00000, v9
	v_cndmask_b32_e32 v8, 0x7e, v8, vcc_lo
; %bb.1810:
	s_and_not1_saveexec_b32 s10, s10
; %bb.1811:
	v_add_f32_e64 v8, 0x46800000, |v7|
; %bb.1812:
	s_or_b32 exec_lo, exec_lo, s10
                                        ; implicit-def: $vgpr9
.LBB313_1813:
	s_and_not1_saveexec_b32 s7, s7
; %bb.1814:
	v_mov_b32_e32 v8, 0x7f
	v_cmp_lt_u32_e32 vcc_lo, 0x7f800000, v9
	s_delay_alu instid0(VALU_DEP_2)
	v_cndmask_b32_e32 v8, 0x7e, v8, vcc_lo
; %bb.1815:
	s_or_b32 exec_lo, exec_lo, s7
	v_lshrrev_b32_e32 v7, 24, v7
	s_delay_alu instid0(VALU_DEP_1)
	v_and_or_b32 v7, 0x80, v7, v8
	global_store_b8 v[2:3], v7, off
.LBB313_1816:
	s_mov_b32 s7, 0
.LBB313_1817:
	s_delay_alu instid0(SALU_CYCLE_1)
	s_and_not1_b32 vcc_lo, exec_lo, s7
	s_cbranch_vccnz .LBB313_1827
; %bb.1818:
	v_bfe_i32 v7, v5, 0, 16
	s_mov_b32 s7, exec_lo
                                        ; implicit-def: $vgpr8
	s_delay_alu instid0(VALU_DEP_1) | instskip(NEXT) | instid1(VALU_DEP_1)
	v_cvt_f32_i32_e32 v7, v7
	v_and_b32_e32 v9, 0x7fffffff, v7
	s_delay_alu instid0(VALU_DEP_1)
	v_cmpx_gt_u32_e32 0x47800000, v9
	s_xor_b32 s7, exec_lo, s7
	s_cbranch_execz .LBB313_1824
; %bb.1819:
	s_mov_b32 s10, exec_lo
                                        ; implicit-def: $vgpr8
	v_cmpx_lt_u32_e32 0x387fffff, v9
	s_xor_b32 s10, exec_lo, s10
; %bb.1820:
	v_bfe_u32 v8, v7, 21, 1
	s_delay_alu instid0(VALU_DEP_1) | instskip(NEXT) | instid1(VALU_DEP_1)
	v_add3_u32 v8, v7, v8, 0x80fffff
	v_lshrrev_b32_e32 v8, 21, v8
; %bb.1821:
	s_and_not1_saveexec_b32 s10, s10
; %bb.1822:
	v_add_f32_e64 v8, 0x43000000, |v7|
; %bb.1823:
	s_or_b32 exec_lo, exec_lo, s10
                                        ; implicit-def: $vgpr9
.LBB313_1824:
	s_and_not1_saveexec_b32 s7, s7
; %bb.1825:
	v_mov_b32_e32 v8, 0x7f
	v_cmp_lt_u32_e32 vcc_lo, 0x7f800000, v9
	s_delay_alu instid0(VALU_DEP_2)
	v_cndmask_b32_e32 v8, 0x7c, v8, vcc_lo
; %bb.1826:
	s_or_b32 exec_lo, exec_lo, s7
	v_lshrrev_b32_e32 v7, 24, v7
	s_delay_alu instid0(VALU_DEP_1)
	v_and_or_b32 v7, 0x80, v7, v8
	global_store_b8 v[2:3], v7, off
.LBB313_1827:
	s_mov_b32 s7, 0
	s_mov_b32 s10, -1
.LBB313_1828:
	s_and_not1_b32 vcc_lo, exec_lo, s7
	s_mov_b32 s7, 0
	s_cbranch_vccnz .LBB313_1835
; %bb.1829:
	v_cmp_gt_i16_e64 s7, s3, 14
	s_delay_alu instid0(VALU_DEP_1)
	s_and_b32 vcc_lo, exec_lo, s7
	s_mov_b32 s7, -1
	s_cbranch_vccz .LBB313_1833
; %bb.1830:
	v_cmp_eq_u16_e64 s0, s3, 15
	s_delay_alu instid0(VALU_DEP_1)
	s_and_b32 vcc_lo, exec_lo, s0
	s_mov_b32 s0, -1
	s_cbranch_vccz .LBB313_1832
; %bb.1831:
	v_bfe_i32 v7, v5, 0, 16
	s_mov_b32 s0, 0
	s_mov_b32 s10, -1
	s_delay_alu instid0(VALU_DEP_1) | instskip(NEXT) | instid1(VALU_DEP_1)
	v_cvt_f32_i32_e32 v7, v7
	v_bfe_u32 v8, v7, 16, 1
	s_delay_alu instid0(VALU_DEP_1)
	v_add3_u32 v7, v7, v8, 0x7fff
	global_store_d16_hi_b16 v[2:3], v7, off
.LBB313_1832:
	s_mov_b32 s7, 0
.LBB313_1833:
	s_delay_alu instid0(SALU_CYCLE_1)
	s_and_b32 vcc_lo, exec_lo, s7
	s_mov_b32 s7, 0
	s_cbranch_vccz .LBB313_1835
; %bb.1834:
	v_cmp_ne_u16_e64 s0, s3, 11
	s_mov_b32 s7, -1
.LBB313_1835:
	s_delay_alu instid0(VALU_DEP_1)
	s_and_b32 vcc_lo, exec_lo, s0
	s_cbranch_vccnz .LBB313_1892
; %bb.1836:
	s_and_not1_b32 vcc_lo, exec_lo, s7
	s_cbranch_vccnz .LBB313_1838
.LBB313_1837:
	v_cmp_ne_u16_e32 vcc_lo, 0, v5
	s_mov_b32 s10, -1
	v_cndmask_b32_e64 v7, 0, 1, vcc_lo
	global_store_b8 v[2:3], v7, off
.LBB313_1838:
	s_mov_b32 s0, 0
.LBB313_1839:
	s_delay_alu instid0(SALU_CYCLE_1)
	s_and_b32 vcc_lo, exec_lo, s0
	s_cbranch_vccz .LBB313_1878
; %bb.1840:
	v_cmp_lt_i16_e64 s0, s3, 5
	s_delay_alu instid0(VALU_DEP_1)
	s_and_b32 vcc_lo, exec_lo, s0
	s_mov_b32 s0, -1
	s_cbranch_vccnz .LBB313_1861
; %bb.1841:
	v_cmp_lt_i16_e64 s0, s3, 8
	s_delay_alu instid0(VALU_DEP_1)
	s_and_b32 vcc_lo, exec_lo, s0
	s_mov_b32 s0, -1
	s_cbranch_vccnz .LBB313_1851
	;; [unrolled: 6-line block ×3, first 2 shown]
; %bb.1843:
	v_cmp_gt_i16_e64 s0, s3, 9
	s_delay_alu instid0(VALU_DEP_1)
	s_and_b32 vcc_lo, exec_lo, s0
	s_mov_b32 s0, -1
	s_cbranch_vccz .LBB313_1845
; %bb.1844:
	v_bfe_i32 v7, v5, 0, 16
	v_mov_b32_e32 v9, 0
	s_mov_b32 s0, 0
	s_delay_alu instid0(VALU_DEP_2) | instskip(NEXT) | instid1(VALU_DEP_2)
	v_cvt_f64_i32_e32 v[7:8], v7
	v_mov_b32_e32 v10, v9
	global_store_b128 v[2:3], v[7:10], off
.LBB313_1845:
	s_and_not1_b32 vcc_lo, exec_lo, s0
	s_cbranch_vccnz .LBB313_1847
; %bb.1846:
	v_bfe_i32 v7, v5, 0, 16
	v_mov_b32_e32 v8, 0
	s_delay_alu instid0(VALU_DEP_2)
	v_cvt_f32_i32_e32 v7, v7
	global_store_b64 v[2:3], v[7:8], off
.LBB313_1847:
	s_mov_b32 s0, 0
.LBB313_1848:
	s_delay_alu instid0(SALU_CYCLE_1)
	s_and_not1_b32 vcc_lo, exec_lo, s0
	s_cbranch_vccnz .LBB313_1850
; %bb.1849:
	v_cvt_f16_i16_e32 v7, v5
	s_delay_alu instid0(VALU_DEP_1)
	v_and_b32_e32 v7, 0xffff, v7
	global_store_b32 v[2:3], v7, off
.LBB313_1850:
	s_mov_b32 s0, 0
.LBB313_1851:
	s_delay_alu instid0(SALU_CYCLE_1)
	s_and_not1_b32 vcc_lo, exec_lo, s0
	s_cbranch_vccnz .LBB313_1860
; %bb.1852:
	v_cmp_lt_i16_e64 s0, s3, 6
	s_delay_alu instid0(VALU_DEP_1)
	s_and_b32 vcc_lo, exec_lo, s0
	s_mov_b32 s0, -1
	s_cbranch_vccnz .LBB313_1858
; %bb.1853:
	v_cmp_gt_i16_e64 s0, s3, 6
	s_delay_alu instid0(VALU_DEP_1)
	s_and_b32 vcc_lo, exec_lo, s0
	s_mov_b32 s0, -1
	s_cbranch_vccz .LBB313_1855
; %bb.1854:
	v_bfe_i32 v7, v5, 0, 16
	s_mov_b32 s0, 0
	s_delay_alu instid0(VALU_DEP_1)
	v_cvt_f64_i32_e32 v[7:8], v7
	global_store_b64 v[2:3], v[7:8], off
.LBB313_1855:
	s_and_not1_b32 vcc_lo, exec_lo, s0
	s_cbranch_vccnz .LBB313_1857
; %bb.1856:
	v_bfe_i32 v7, v5, 0, 16
	s_delay_alu instid0(VALU_DEP_1)
	v_cvt_f32_i32_e32 v7, v7
	global_store_b32 v[2:3], v7, off
.LBB313_1857:
	s_mov_b32 s0, 0
.LBB313_1858:
	s_delay_alu instid0(SALU_CYCLE_1)
	s_and_not1_b32 vcc_lo, exec_lo, s0
	s_cbranch_vccnz .LBB313_1860
; %bb.1859:
	v_cvt_f16_i16_e32 v7, v5
	global_store_b16 v[2:3], v7, off
.LBB313_1860:
	s_mov_b32 s0, 0
.LBB313_1861:
	s_delay_alu instid0(SALU_CYCLE_1)
	s_and_not1_b32 vcc_lo, exec_lo, s0
	s_cbranch_vccnz .LBB313_1877
; %bb.1862:
	v_cmp_lt_i16_e64 s0, s3, 2
	s_delay_alu instid0(VALU_DEP_1)
	s_and_b32 vcc_lo, exec_lo, s0
	s_mov_b32 s0, -1
	s_cbranch_vccnz .LBB313_1872
; %bb.1863:
	v_cmp_lt_i16_e64 s0, s3, 3
	s_delay_alu instid0(VALU_DEP_1)
	s_and_b32 vcc_lo, exec_lo, s0
	s_mov_b32 s0, -1
	s_cbranch_vccnz .LBB313_1869
; %bb.1864:
	v_cmp_gt_i16_e64 s0, s3, 3
	v_bfe_i32 v7, v5, 0, 16
	s_delay_alu instid0(VALU_DEP_2)
	s_and_b32 vcc_lo, exec_lo, s0
	s_mov_b32 s0, -1
	s_cbranch_vccz .LBB313_1866
; %bb.1865:
	s_delay_alu instid0(VALU_DEP_1)
	v_ashrrev_i32_e32 v8, 31, v7
	s_mov_b32 s0, 0
	global_store_b64 v[2:3], v[7:8], off
.LBB313_1866:
	s_and_not1_b32 vcc_lo, exec_lo, s0
	s_cbranch_vccnz .LBB313_1868
; %bb.1867:
	global_store_b32 v[2:3], v7, off
.LBB313_1868:
	s_mov_b32 s0, 0
.LBB313_1869:
	s_delay_alu instid0(SALU_CYCLE_1)
	s_and_not1_b32 vcc_lo, exec_lo, s0
	s_cbranch_vccnz .LBB313_1871
; %bb.1870:
	global_store_b16 v[2:3], v5, off
.LBB313_1871:
	s_mov_b32 s0, 0
.LBB313_1872:
	s_delay_alu instid0(SALU_CYCLE_1)
	s_and_not1_b32 vcc_lo, exec_lo, s0
	s_cbranch_vccnz .LBB313_1877
; %bb.1873:
	v_cmp_gt_i16_e64 s0, s3, 0
	s_delay_alu instid0(VALU_DEP_1)
	s_and_b32 vcc_lo, exec_lo, s0
	s_mov_b32 s0, -1
	s_cbranch_vccz .LBB313_1875
; %bb.1874:
	s_mov_b32 s0, 0
	global_store_b8 v[2:3], v5, off
.LBB313_1875:
	s_and_not1_b32 vcc_lo, exec_lo, s0
	s_cbranch_vccnz .LBB313_1877
; %bb.1876:
	global_store_b8 v[2:3], v5, off
.LBB313_1877:
	s_mov_b32 s10, -1
.LBB313_1878:
	s_delay_alu instid0(SALU_CYCLE_1)
	s_and_not1_b32 vcc_lo, exec_lo, s10
	s_cbranch_vccnz .LBB313_2016
; %bb.1879:
	v_max_i16 v2, v6, s2
	v_cmp_lt_i16_e64 s0, s3, 11
	v_add_co_u32 v1, s7, s4, v1
	s_mov_b32 s10, 0
	s_delay_alu instid0(VALU_DEP_3)
	v_min_i16 v3, v2, s6
	v_add_co_ci_u32_e64 v2, null, s5, 0, s7
	s_and_b32 vcc_lo, exec_lo, s0
	s_mov_b32 s0, -1
	s_cbranch_vccnz .LBB313_1968
; %bb.1880:
	v_cmp_gt_i16_e64 s0, s3, 25
	s_mov_b32 s11, -1
	s_mov_b32 s7, 0
	s_delay_alu instid0(VALU_DEP_1)
	s_and_b32 vcc_lo, exec_lo, s0
	s_mov_b32 s0, 0
	s_cbranch_vccz .LBB313_1924
; %bb.1881:
	v_cmp_gt_i16_e64 s0, s3, 28
	s_delay_alu instid0(VALU_DEP_1)
	s_and_b32 vcc_lo, exec_lo, s0
	s_cbranch_vccz .LBB313_1886
; %bb.1882:
	v_cmp_gt_i16_e64 s0, s3, 43
	s_delay_alu instid0(VALU_DEP_1)
	s_and_b32 vcc_lo, exec_lo, s0
	s_cbranch_vccz .LBB313_1889
; %bb.1883:
	v_cmp_gt_i16_e64 s0, s3, 45
	s_delay_alu instid0(VALU_DEP_1)
	s_and_b32 vcc_lo, exec_lo, s0
	s_cbranch_vccz .LBB313_1896
; %bb.1884:
	v_cmp_eq_u16_e64 s10, s3, 46
	s_mov_b32 s0, -1
	s_mov_b32 s11, 0
	s_delay_alu instid0(VALU_DEP_1)
	s_and_b32 vcc_lo, exec_lo, s10
	s_mov_b32 s10, 0
	s_cbranch_vccz .LBB313_1897
; %bb.1885:
	v_bfe_i32 v5, v3, 0, 16
	s_mov_b32 s0, 0
	s_mov_b32 s10, -1
	s_delay_alu instid0(VALU_DEP_1) | instskip(NEXT) | instid1(VALU_DEP_1)
	v_cvt_f32_i32_e32 v5, v5
	v_bfe_u32 v6, v5, 16, 1
	s_delay_alu instid0(VALU_DEP_1) | instskip(NEXT) | instid1(VALU_DEP_1)
	v_add3_u32 v5, v5, v6, 0x7fff
	v_lshrrev_b32_e32 v5, 16, v5
	global_store_b32 v[1:2], v5, off
	s_branch .LBB313_1897
.LBB313_1886:
	s_mov_b32 s0, 0
	s_branch .LBB313_1907
.LBB313_1887:
	s_or_saveexec_b32 s12, s12
                                        ; implicit-def: $sgpr13
	s_delay_alu instid0(SALU_CYCLE_1)
	s_xor_b32 exec_lo, exec_lo, s12
	s_cbranch_execz .LBB313_1789
.LBB313_1888:
	v_add_f32_e64 v8, 0x46000000, |v7|
	s_and_not1_b32 s11, s11, exec_lo
	s_mov_b32 s13, 0
	s_delay_alu instid0(VALU_DEP_1) | instskip(NEXT) | instid1(VALU_DEP_1)
	v_and_b32_e32 v8, 0xff, v8
	v_cmp_ne_u32_e32 vcc_lo, 0, v8
	s_and_b32 s14, vcc_lo, exec_lo
	s_delay_alu instid0(SALU_CYCLE_1)
	s_or_b32 s11, s11, s14
	s_or_b32 exec_lo, exec_lo, s12
	v_mov_b32_e32 v9, s13
	s_and_saveexec_b32 s12, s11
	s_cbranch_execnz .LBB313_1790
	s_branch .LBB313_1791
.LBB313_1889:
	s_mov_b32 s0, 0
	s_branch .LBB313_1903
.LBB313_1890:
	s_trap 2
	s_sendmsg_rtn_b32 s0, sendmsg(MSG_RTN_GET_DOORBELL)
	s_mov_b32 ttmp2, m0
	s_waitcnt lgkmcnt(0)
	s_and_b32 s0, s0, 0x3ff
	s_delay_alu instid0(SALU_CYCLE_1) | instskip(NEXT) | instid1(SALU_CYCLE_1)
	s_bitset1_b32 s0, 10
	s_mov_b32 m0, s0
	s_sendmsg sendmsg(MSG_INTERRUPT)
	s_mov_b32 m0, ttmp2
.LBB313_1891:                           ; =>This Inner Loop Header: Depth=1
	s_sethalt 5
	s_branch .LBB313_1891
.LBB313_1892:
	s_cbranch_execnz .LBB313_2065
; %bb.1893:
	s_or_b32 s1, s1, exec_lo
	s_cbranch_execz .LBB313_1837
	s_branch .LBB313_1838
.LBB313_1894:
	s_or_saveexec_b32 s11, s11
                                        ; implicit-def: $sgpr12
	s_delay_alu instid0(SALU_CYCLE_1)
	s_xor_b32 exec_lo, exec_lo, s11
	s_cbranch_execz .LBB313_1802
.LBB313_1895:
	v_add_f32_e64 v8, 0x42800000, |v7|
	s_and_not1_b32 s10, s10, exec_lo
	s_mov_b32 s12, 0
	s_delay_alu instid0(VALU_DEP_1) | instskip(NEXT) | instid1(VALU_DEP_1)
	v_and_b32_e32 v8, 0xff, v8
	v_cmp_ne_u32_e32 vcc_lo, 0, v8
	s_and_b32 s13, vcc_lo, exec_lo
	s_delay_alu instid0(SALU_CYCLE_1)
	s_or_b32 s10, s10, s13
	s_or_b32 exec_lo, exec_lo, s11
	v_mov_b32_e32 v9, s12
	s_and_saveexec_b32 s11, s10
	s_cbranch_execnz .LBB313_1803
	s_branch .LBB313_1804
.LBB313_1896:
	s_mov_b32 s0, 0
.LBB313_1897:
	s_and_b32 vcc_lo, exec_lo, s11
	s_cbranch_vccz .LBB313_1902
; %bb.1898:
	v_cmp_eq_u16_e64 s0, s3, 44
	s_delay_alu instid0(VALU_DEP_1)
	s_and_b32 vcc_lo, exec_lo, s0
	s_mov_b32 s0, -1
	s_cbranch_vccz .LBB313_1902
; %bb.1899:
	v_bfe_i32 v5, v3, 0, 16
	v_mov_b32_e32 v6, 0xff
	s_mov_b32 s10, exec_lo
	s_delay_alu instid0(VALU_DEP_2) | instskip(NEXT) | instid1(VALU_DEP_1)
	v_cvt_f32_i32_e32 v5, v5
	v_bfe_u32 v7, v5, 23, 8
	s_delay_alu instid0(VALU_DEP_1)
	v_cmpx_ne_u32_e32 0xff, v7
; %bb.1900:
	v_and_b32_e32 v6, 0x400000, v5
	v_and_or_b32 v7, 0x3fffff, v5, v7
	v_lshrrev_b32_e32 v5, 23, v5
	s_delay_alu instid0(VALU_DEP_3) | instskip(NEXT) | instid1(VALU_DEP_3)
	v_cmp_ne_u32_e32 vcc_lo, 0, v6
	v_cmp_ne_u32_e64 s0, 0, v7
	s_delay_alu instid0(VALU_DEP_1) | instskip(NEXT) | instid1(SALU_CYCLE_1)
	s_and_b32 s0, vcc_lo, s0
	v_cndmask_b32_e64 v6, 0, 1, s0
	s_delay_alu instid0(VALU_DEP_1)
	v_add_nc_u32_e32 v6, v5, v6
; %bb.1901:
	s_or_b32 exec_lo, exec_lo, s10
	s_mov_b32 s0, 0
	s_mov_b32 s10, -1
	global_store_b8 v[1:2], v6, off
.LBB313_1902:
	s_mov_b32 s11, 0
.LBB313_1903:
	s_delay_alu instid0(SALU_CYCLE_1)
	s_and_b32 vcc_lo, exec_lo, s11
	s_cbranch_vccz .LBB313_1906
; %bb.1904:
	v_cmp_eq_u16_e64 s0, s3, 29
	s_delay_alu instid0(VALU_DEP_1)
	s_and_b32 vcc_lo, exec_lo, s0
	s_mov_b32 s0, -1
	s_cbranch_vccz .LBB313_1906
; %bb.1905:
	v_bfe_i32 v5, v3, 0, 16
	s_mov_b32 s0, 0
	s_mov_b32 s10, -1
	s_mov_b32 s11, 0
	s_delay_alu instid0(VALU_DEP_1)
	v_ashrrev_i32_e32 v6, 31, v5
	global_store_b64 v[1:2], v[5:6], off
	s_branch .LBB313_1907
.LBB313_1906:
	s_mov_b32 s11, 0
.LBB313_1907:
	s_delay_alu instid0(SALU_CYCLE_1)
	s_and_b32 vcc_lo, exec_lo, s11
	s_cbranch_vccz .LBB313_1923
; %bb.1908:
	v_cmp_lt_i16_e64 s10, s3, 27
	s_delay_alu instid0(VALU_DEP_1)
	s_and_b32 vcc_lo, exec_lo, s10
	s_mov_b32 s10, -1
	s_cbranch_vccnz .LBB313_1914
; %bb.1909:
	v_cmp_gt_i16_e64 s10, s3, 27
	s_delay_alu instid0(VALU_DEP_1)
	s_and_b32 vcc_lo, exec_lo, s10
	s_mov_b32 s10, -1
	s_cbranch_vccz .LBB313_1911
; %bb.1910:
	v_bfe_i32 v5, v3, 0, 16
	s_mov_b32 s10, 0
	global_store_b32 v[1:2], v5, off
.LBB313_1911:
	s_and_not1_b32 vcc_lo, exec_lo, s10
	s_cbranch_vccnz .LBB313_1913
; %bb.1912:
	global_store_b16 v[1:2], v3, off
.LBB313_1913:
	s_mov_b32 s10, 0
.LBB313_1914:
	s_delay_alu instid0(SALU_CYCLE_1)
	s_and_not1_b32 vcc_lo, exec_lo, s10
	s_cbranch_vccnz .LBB313_1922
; %bb.1915:
	v_bfe_i32 v5, v3, 0, 16
	v_mov_b32_e32 v7, 0x80
	s_mov_b32 s10, exec_lo
	s_delay_alu instid0(VALU_DEP_2) | instskip(NEXT) | instid1(VALU_DEP_1)
	v_cvt_f32_i32_e32 v5, v5
	v_and_b32_e32 v6, 0x7fffffff, v5
	s_delay_alu instid0(VALU_DEP_1)
	v_cmpx_gt_u32_e32 0x43800000, v6
	s_cbranch_execz .LBB313_1921
; %bb.1916:
	v_cmp_lt_u32_e32 vcc_lo, 0x3bffffff, v6
	s_mov_b32 s11, 0
                                        ; implicit-def: $vgpr6
	s_and_saveexec_b32 s12, vcc_lo
	s_delay_alu instid0(SALU_CYCLE_1)
	s_xor_b32 s12, exec_lo, s12
	s_cbranch_execz .LBB313_2062
; %bb.1917:
	v_bfe_u32 v6, v5, 20, 1
	s_mov_b32 s11, exec_lo
	s_delay_alu instid0(VALU_DEP_1) | instskip(NEXT) | instid1(VALU_DEP_1)
	v_add3_u32 v6, v5, v6, 0x487ffff
	v_lshrrev_b32_e32 v6, 20, v6
	s_or_saveexec_b32 s12, s12
                                        ; implicit-def: $sgpr13
	s_delay_alu instid0(SALU_CYCLE_1)
	s_xor_b32 exec_lo, exec_lo, s12
	s_cbranch_execnz .LBB313_2063
.LBB313_1918:
	s_or_b32 exec_lo, exec_lo, s12
	v_mov_b32_e32 v7, s13
	s_and_saveexec_b32 s12, s11
.LBB313_1919:
	v_lshrrev_b32_e32 v5, 24, v5
	s_delay_alu instid0(VALU_DEP_1)
	v_and_or_b32 v7, 0x80, v5, v6
.LBB313_1920:
	s_or_b32 exec_lo, exec_lo, s12
.LBB313_1921:
	s_delay_alu instid0(SALU_CYCLE_1)
	s_or_b32 exec_lo, exec_lo, s10
	global_store_b8 v[1:2], v7, off
.LBB313_1922:
	s_mov_b32 s10, -1
.LBB313_1923:
	s_mov_b32 s11, 0
.LBB313_1924:
	s_delay_alu instid0(SALU_CYCLE_1)
	s_and_b32 vcc_lo, exec_lo, s11
	s_cbranch_vccz .LBB313_1964
; %bb.1925:
	v_cmp_gt_i16_e64 s7, s3, 22
	s_delay_alu instid0(VALU_DEP_1)
	s_and_b32 vcc_lo, exec_lo, s7
	s_mov_b32 s7, -1
	s_cbranch_vccz .LBB313_1957
; %bb.1926:
	v_cmp_lt_i16_e64 s7, s3, 24
	s_delay_alu instid0(VALU_DEP_1)
	s_and_b32 vcc_lo, exec_lo, s7
	s_mov_b32 s7, -1
	s_cbranch_vccnz .LBB313_1946
; %bb.1927:
	v_cmp_gt_i16_e64 s7, s3, 24
	s_delay_alu instid0(VALU_DEP_1)
	s_and_b32 vcc_lo, exec_lo, s7
	s_mov_b32 s7, -1
	s_cbranch_vccz .LBB313_1935
; %bb.1928:
	v_bfe_i32 v5, v3, 0, 16
	v_mov_b32_e32 v7, 0x80
	s_mov_b32 s7, exec_lo
	s_delay_alu instid0(VALU_DEP_2) | instskip(NEXT) | instid1(VALU_DEP_1)
	v_cvt_f32_i32_e32 v5, v5
	v_and_b32_e32 v6, 0x7fffffff, v5
	s_delay_alu instid0(VALU_DEP_1)
	v_cmpx_gt_u32_e32 0x47800000, v6
	s_cbranch_execz .LBB313_1934
; %bb.1929:
	v_cmp_lt_u32_e32 vcc_lo, 0x37ffffff, v6
	s_mov_b32 s10, 0
                                        ; implicit-def: $vgpr6
	s_and_saveexec_b32 s11, vcc_lo
	s_delay_alu instid0(SALU_CYCLE_1)
	s_xor_b32 s11, exec_lo, s11
	s_cbranch_execz .LBB313_2069
; %bb.1930:
	v_bfe_u32 v6, v5, 21, 1
	s_mov_b32 s10, exec_lo
	s_delay_alu instid0(VALU_DEP_1) | instskip(NEXT) | instid1(VALU_DEP_1)
	v_add3_u32 v6, v5, v6, 0x88fffff
	v_lshrrev_b32_e32 v6, 21, v6
	s_or_saveexec_b32 s11, s11
                                        ; implicit-def: $sgpr12
	s_delay_alu instid0(SALU_CYCLE_1)
	s_xor_b32 exec_lo, exec_lo, s11
	s_cbranch_execnz .LBB313_2070
.LBB313_1931:
	s_or_b32 exec_lo, exec_lo, s11
	v_mov_b32_e32 v7, s12
	s_and_saveexec_b32 s11, s10
.LBB313_1932:
	v_lshrrev_b32_e32 v5, 24, v5
	s_delay_alu instid0(VALU_DEP_1)
	v_and_or_b32 v7, 0x80, v5, v6
.LBB313_1933:
	s_or_b32 exec_lo, exec_lo, s11
.LBB313_1934:
	s_delay_alu instid0(SALU_CYCLE_1)
	s_or_b32 exec_lo, exec_lo, s7
	s_mov_b32 s7, 0
	global_store_b8 v[1:2], v7, off
.LBB313_1935:
	s_and_b32 vcc_lo, exec_lo, s7
	s_cbranch_vccz .LBB313_1945
; %bb.1936:
	v_bfe_i32 v5, v3, 0, 16
	s_mov_b32 s7, exec_lo
                                        ; implicit-def: $vgpr6
	s_delay_alu instid0(VALU_DEP_1) | instskip(NEXT) | instid1(VALU_DEP_1)
	v_cvt_f32_i32_e32 v5, v5
	v_and_b32_e32 v7, 0x7fffffff, v5
	s_delay_alu instid0(VALU_DEP_1)
	v_cmpx_gt_u32_e32 0x43f00000, v7
	s_xor_b32 s7, exec_lo, s7
	s_cbranch_execz .LBB313_1942
; %bb.1937:
	s_mov_b32 s10, exec_lo
                                        ; implicit-def: $vgpr6
	v_cmpx_lt_u32_e32 0x3c7fffff, v7
	s_xor_b32 s10, exec_lo, s10
; %bb.1938:
	v_bfe_u32 v6, v5, 20, 1
	s_delay_alu instid0(VALU_DEP_1) | instskip(NEXT) | instid1(VALU_DEP_1)
	v_add3_u32 v6, v5, v6, 0x407ffff
	v_and_b32_e32 v7, 0xff00000, v6
	v_lshrrev_b32_e32 v6, 20, v6
	s_delay_alu instid0(VALU_DEP_2) | instskip(NEXT) | instid1(VALU_DEP_2)
	v_cmp_ne_u32_e32 vcc_lo, 0x7f00000, v7
	v_cndmask_b32_e32 v6, 0x7e, v6, vcc_lo
; %bb.1939:
	s_and_not1_saveexec_b32 s10, s10
; %bb.1940:
	v_add_f32_e64 v6, 0x46800000, |v5|
; %bb.1941:
	s_or_b32 exec_lo, exec_lo, s10
                                        ; implicit-def: $vgpr7
.LBB313_1942:
	s_and_not1_saveexec_b32 s7, s7
; %bb.1943:
	v_mov_b32_e32 v6, 0x7f
	v_cmp_lt_u32_e32 vcc_lo, 0x7f800000, v7
	s_delay_alu instid0(VALU_DEP_2)
	v_cndmask_b32_e32 v6, 0x7e, v6, vcc_lo
; %bb.1944:
	s_or_b32 exec_lo, exec_lo, s7
	v_lshrrev_b32_e32 v5, 24, v5
	s_delay_alu instid0(VALU_DEP_1)
	v_and_or_b32 v5, 0x80, v5, v6
	global_store_b8 v[1:2], v5, off
.LBB313_1945:
	s_mov_b32 s7, 0
.LBB313_1946:
	s_delay_alu instid0(SALU_CYCLE_1)
	s_and_not1_b32 vcc_lo, exec_lo, s7
	s_cbranch_vccnz .LBB313_1956
; %bb.1947:
	v_bfe_i32 v5, v3, 0, 16
	s_mov_b32 s7, exec_lo
                                        ; implicit-def: $vgpr6
	s_delay_alu instid0(VALU_DEP_1) | instskip(NEXT) | instid1(VALU_DEP_1)
	v_cvt_f32_i32_e32 v5, v5
	v_and_b32_e32 v7, 0x7fffffff, v5
	s_delay_alu instid0(VALU_DEP_1)
	v_cmpx_gt_u32_e32 0x47800000, v7
	s_xor_b32 s7, exec_lo, s7
	s_cbranch_execz .LBB313_1953
; %bb.1948:
	s_mov_b32 s10, exec_lo
                                        ; implicit-def: $vgpr6
	v_cmpx_lt_u32_e32 0x387fffff, v7
	s_xor_b32 s10, exec_lo, s10
; %bb.1949:
	v_bfe_u32 v6, v5, 21, 1
	s_delay_alu instid0(VALU_DEP_1) | instskip(NEXT) | instid1(VALU_DEP_1)
	v_add3_u32 v6, v5, v6, 0x80fffff
	v_lshrrev_b32_e32 v6, 21, v6
; %bb.1950:
	s_and_not1_saveexec_b32 s10, s10
; %bb.1951:
	v_add_f32_e64 v6, 0x43000000, |v5|
; %bb.1952:
	s_or_b32 exec_lo, exec_lo, s10
                                        ; implicit-def: $vgpr7
.LBB313_1953:
	s_and_not1_saveexec_b32 s7, s7
; %bb.1954:
	v_mov_b32_e32 v6, 0x7f
	v_cmp_lt_u32_e32 vcc_lo, 0x7f800000, v7
	s_delay_alu instid0(VALU_DEP_2)
	v_cndmask_b32_e32 v6, 0x7c, v6, vcc_lo
; %bb.1955:
	s_or_b32 exec_lo, exec_lo, s7
	v_lshrrev_b32_e32 v5, 24, v5
	s_delay_alu instid0(VALU_DEP_1)
	v_and_or_b32 v5, 0x80, v5, v6
	global_store_b8 v[1:2], v5, off
.LBB313_1956:
	s_mov_b32 s7, 0
	s_mov_b32 s10, -1
.LBB313_1957:
	s_and_not1_b32 vcc_lo, exec_lo, s7
	s_mov_b32 s7, 0
	s_cbranch_vccnz .LBB313_1964
; %bb.1958:
	v_cmp_gt_i16_e64 s7, s3, 14
	s_delay_alu instid0(VALU_DEP_1)
	s_and_b32 vcc_lo, exec_lo, s7
	s_mov_b32 s7, -1
	s_cbranch_vccz .LBB313_1962
; %bb.1959:
	v_cmp_eq_u16_e64 s0, s3, 15
	s_delay_alu instid0(VALU_DEP_1)
	s_and_b32 vcc_lo, exec_lo, s0
	s_mov_b32 s0, -1
	s_cbranch_vccz .LBB313_1961
; %bb.1960:
	v_bfe_i32 v5, v3, 0, 16
	s_mov_b32 s0, 0
	s_mov_b32 s10, -1
	s_delay_alu instid0(VALU_DEP_1) | instskip(NEXT) | instid1(VALU_DEP_1)
	v_cvt_f32_i32_e32 v5, v5
	v_bfe_u32 v6, v5, 16, 1
	s_delay_alu instid0(VALU_DEP_1)
	v_add3_u32 v5, v5, v6, 0x7fff
	global_store_d16_hi_b16 v[1:2], v5, off
.LBB313_1961:
	s_mov_b32 s7, 0
.LBB313_1962:
	s_delay_alu instid0(SALU_CYCLE_1)
	s_and_b32 vcc_lo, exec_lo, s7
	s_mov_b32 s7, 0
	s_cbranch_vccz .LBB313_1964
; %bb.1963:
	v_cmp_ne_u16_e64 s0, s3, 11
	s_mov_b32 s7, -1
.LBB313_1964:
	s_delay_alu instid0(VALU_DEP_1)
	s_and_b32 vcc_lo, exec_lo, s0
	s_cbranch_vccnz .LBB313_2067
; %bb.1965:
	s_and_not1_b32 vcc_lo, exec_lo, s7
	s_cbranch_vccnz .LBB313_1967
.LBB313_1966:
	v_cmp_ne_u16_e32 vcc_lo, 0, v3
	s_mov_b32 s10, -1
	v_cndmask_b32_e64 v5, 0, 1, vcc_lo
	global_store_b8 v[1:2], v5, off
.LBB313_1967:
	s_mov_b32 s0, 0
.LBB313_1968:
	s_delay_alu instid0(SALU_CYCLE_1)
	s_and_b32 vcc_lo, exec_lo, s0
	s_cbranch_vccz .LBB313_2007
; %bb.1969:
	v_cmp_lt_i16_e64 s0, s3, 5
	s_delay_alu instid0(VALU_DEP_1)
	s_and_b32 vcc_lo, exec_lo, s0
	s_mov_b32 s0, -1
	s_cbranch_vccnz .LBB313_1990
; %bb.1970:
	v_cmp_lt_i16_e64 s0, s3, 8
	s_delay_alu instid0(VALU_DEP_1)
	s_and_b32 vcc_lo, exec_lo, s0
	s_mov_b32 s0, -1
	s_cbranch_vccnz .LBB313_1980
	;; [unrolled: 6-line block ×3, first 2 shown]
; %bb.1972:
	v_cmp_gt_i16_e64 s0, s3, 9
	s_delay_alu instid0(VALU_DEP_1)
	s_and_b32 vcc_lo, exec_lo, s0
	s_mov_b32 s0, -1
	s_cbranch_vccz .LBB313_1974
; %bb.1973:
	v_bfe_i32 v5, v3, 0, 16
	v_mov_b32_e32 v7, 0
	s_mov_b32 s0, 0
	s_delay_alu instid0(VALU_DEP_2) | instskip(NEXT) | instid1(VALU_DEP_2)
	v_cvt_f64_i32_e32 v[5:6], v5
	v_mov_b32_e32 v8, v7
	global_store_b128 v[1:2], v[5:8], off
.LBB313_1974:
	s_and_not1_b32 vcc_lo, exec_lo, s0
	s_cbranch_vccnz .LBB313_1976
; %bb.1975:
	v_bfe_i32 v5, v3, 0, 16
	v_mov_b32_e32 v6, 0
	s_delay_alu instid0(VALU_DEP_2)
	v_cvt_f32_i32_e32 v5, v5
	global_store_b64 v[1:2], v[5:6], off
.LBB313_1976:
	s_mov_b32 s0, 0
.LBB313_1977:
	s_delay_alu instid0(SALU_CYCLE_1)
	s_and_not1_b32 vcc_lo, exec_lo, s0
	s_cbranch_vccnz .LBB313_1979
; %bb.1978:
	v_cvt_f16_i16_e32 v5, v3
	s_delay_alu instid0(VALU_DEP_1)
	v_and_b32_e32 v5, 0xffff, v5
	global_store_b32 v[1:2], v5, off
.LBB313_1979:
	s_mov_b32 s0, 0
.LBB313_1980:
	s_delay_alu instid0(SALU_CYCLE_1)
	s_and_not1_b32 vcc_lo, exec_lo, s0
	s_cbranch_vccnz .LBB313_1989
; %bb.1981:
	v_cmp_lt_i16_e64 s0, s3, 6
	s_delay_alu instid0(VALU_DEP_1)
	s_and_b32 vcc_lo, exec_lo, s0
	s_mov_b32 s0, -1
	s_cbranch_vccnz .LBB313_1987
; %bb.1982:
	v_cmp_gt_i16_e64 s0, s3, 6
	s_delay_alu instid0(VALU_DEP_1)
	s_and_b32 vcc_lo, exec_lo, s0
	s_mov_b32 s0, -1
	s_cbranch_vccz .LBB313_1984
; %bb.1983:
	v_bfe_i32 v5, v3, 0, 16
	s_mov_b32 s0, 0
	s_delay_alu instid0(VALU_DEP_1)
	v_cvt_f64_i32_e32 v[5:6], v5
	global_store_b64 v[1:2], v[5:6], off
.LBB313_1984:
	s_and_not1_b32 vcc_lo, exec_lo, s0
	s_cbranch_vccnz .LBB313_1986
; %bb.1985:
	v_bfe_i32 v5, v3, 0, 16
	s_delay_alu instid0(VALU_DEP_1)
	v_cvt_f32_i32_e32 v5, v5
	global_store_b32 v[1:2], v5, off
.LBB313_1986:
	s_mov_b32 s0, 0
.LBB313_1987:
	s_delay_alu instid0(SALU_CYCLE_1)
	s_and_not1_b32 vcc_lo, exec_lo, s0
	s_cbranch_vccnz .LBB313_1989
; %bb.1988:
	v_cvt_f16_i16_e32 v5, v3
	global_store_b16 v[1:2], v5, off
.LBB313_1989:
	s_mov_b32 s0, 0
.LBB313_1990:
	s_delay_alu instid0(SALU_CYCLE_1)
	s_and_not1_b32 vcc_lo, exec_lo, s0
	s_cbranch_vccnz .LBB313_2006
; %bb.1991:
	v_cmp_lt_i16_e64 s0, s3, 2
	s_delay_alu instid0(VALU_DEP_1)
	s_and_b32 vcc_lo, exec_lo, s0
	s_mov_b32 s0, -1
	s_cbranch_vccnz .LBB313_2001
; %bb.1992:
	v_cmp_lt_i16_e64 s0, s3, 3
	s_delay_alu instid0(VALU_DEP_1)
	s_and_b32 vcc_lo, exec_lo, s0
	s_mov_b32 s0, -1
	s_cbranch_vccnz .LBB313_1998
; %bb.1993:
	v_cmp_gt_i16_e64 s0, s3, 3
	v_bfe_i32 v5, v3, 0, 16
	s_delay_alu instid0(VALU_DEP_2)
	s_and_b32 vcc_lo, exec_lo, s0
	s_mov_b32 s0, -1
	s_cbranch_vccz .LBB313_1995
; %bb.1994:
	s_delay_alu instid0(VALU_DEP_1)
	v_ashrrev_i32_e32 v6, 31, v5
	s_mov_b32 s0, 0
	global_store_b64 v[1:2], v[5:6], off
.LBB313_1995:
	s_and_not1_b32 vcc_lo, exec_lo, s0
	s_cbranch_vccnz .LBB313_1997
; %bb.1996:
	global_store_b32 v[1:2], v5, off
.LBB313_1997:
	s_mov_b32 s0, 0
.LBB313_1998:
	s_delay_alu instid0(SALU_CYCLE_1)
	s_and_not1_b32 vcc_lo, exec_lo, s0
	s_cbranch_vccnz .LBB313_2000
; %bb.1999:
	global_store_b16 v[1:2], v3, off
.LBB313_2000:
	s_mov_b32 s0, 0
.LBB313_2001:
	s_delay_alu instid0(SALU_CYCLE_1)
	s_and_not1_b32 vcc_lo, exec_lo, s0
	s_cbranch_vccnz .LBB313_2006
; %bb.2002:
	v_cmp_gt_i16_e64 s0, s3, 0
	s_delay_alu instid0(VALU_DEP_1)
	s_and_b32 vcc_lo, exec_lo, s0
	s_mov_b32 s0, -1
	s_cbranch_vccz .LBB313_2004
; %bb.2003:
	s_mov_b32 s0, 0
	global_store_b8 v[1:2], v3, off
.LBB313_2004:
	s_and_not1_b32 vcc_lo, exec_lo, s0
	s_cbranch_vccnz .LBB313_2006
; %bb.2005:
	global_store_b8 v[1:2], v3, off
.LBB313_2006:
	s_mov_b32 s10, -1
.LBB313_2007:
	s_delay_alu instid0(SALU_CYCLE_1)
	s_and_not1_b32 vcc_lo, exec_lo, s10
	s_cbranch_vccnz .LBB313_2016
; %bb.2008:
	v_max_i16 v1, v4, s2
	v_cmp_lt_i16_e64 s0, s3, 11
	v_add_co_u32 v0, s4, s4, v0
	s_mov_b32 s2, 0
	s_delay_alu instid0(VALU_DEP_3)
	v_min_i16 v2, v1, s6
	v_add_co_ci_u32_e64 v1, null, s5, 0, s4
	s_and_b32 vcc_lo, exec_lo, s0
	s_mov_b32 s0, -1
	s_cbranch_vccnz .LBB313_2017
; %bb.2009:
	v_cmp_gt_i16_e64 s0, s3, 25
	s_mov_b32 s4, -1
	s_delay_alu instid0(VALU_DEP_1)
	s_and_b32 vcc_lo, exec_lo, s0
	s_mov_b32 s0, 0
	s_cbranch_vccz .LBB313_2098
; %bb.2010:
	v_cmp_gt_i16_e64 s0, s3, 28
	s_delay_alu instid0(VALU_DEP_1)
	s_and_b32 vcc_lo, exec_lo, s0
	s_cbranch_vccz .LBB313_2061
; %bb.2011:
	v_cmp_gt_i16_e64 s0, s3, 43
	s_delay_alu instid0(VALU_DEP_1)
	s_and_b32 vcc_lo, exec_lo, s0
	;; [unrolled: 5-line block ×3, first 2 shown]
	s_cbranch_vccz .LBB313_2071
; %bb.2013:
	v_cmp_eq_u16_e64 s0, s3, 46
	s_delay_alu instid0(VALU_DEP_1)
	s_and_b32 vcc_lo, exec_lo, s0
	s_mov_b32 s0, -1
	s_cbranch_vccz .LBB313_2015
; %bb.2014:
	v_bfe_i32 v3, v2, 0, 16
	s_mov_b32 s0, 0
	s_delay_alu instid0(VALU_DEP_1) | instskip(NEXT) | instid1(VALU_DEP_1)
	v_cvt_f32_i32_e32 v3, v3
	v_bfe_u32 v4, v3, 16, 1
	s_delay_alu instid0(VALU_DEP_1) | instskip(NEXT) | instid1(VALU_DEP_1)
	v_add3_u32 v3, v3, v4, 0x7fff
	v_lshrrev_b32_e32 v3, 16, v3
	global_store_b32 v[0:1], v3, off
.LBB313_2015:
	s_mov_b32 s4, 0
	s_branch .LBB313_2072
.LBB313_2016:
	s_mov_b32 s0, 0
	s_mov_b32 s2, 0
                                        ; implicit-def: $vgpr0_vgpr1
                                        ; implicit-def: $sgpr3
                                        ; implicit-def: $vgpr2
.LBB313_2017:
	s_and_b32 s4, s0, exec_lo
	s_and_not1_b32 s0, s8, exec_lo
	s_and_b32 s1, s1, exec_lo
	s_and_b32 s28, s2, exec_lo
	s_or_b32 s8, s0, s1
.LBB313_2018:
	s_or_b32 exec_lo, exec_lo, s9
	s_and_saveexec_b32 s0, s8
	s_cbranch_execz .LBB313_2021
; %bb.2019:
	; divergent unreachable
	s_or_b32 exec_lo, exec_lo, s0
	s_and_saveexec_b32 s0, s28
	s_delay_alu instid0(SALU_CYCLE_1)
	s_xor_b32 s0, exec_lo, s0
	s_cbranch_execnz .LBB313_2022
.LBB313_2020:
	s_or_b32 exec_lo, exec_lo, s0
	s_and_saveexec_b32 s0, s4
	s_cbranch_execnz .LBB313_2023
	s_branch .LBB313_2060
.LBB313_2021:
	s_or_b32 exec_lo, exec_lo, s0
	s_and_saveexec_b32 s0, s28
	s_delay_alu instid0(SALU_CYCLE_1)
	s_xor_b32 s0, exec_lo, s0
	s_cbranch_execz .LBB313_2020
.LBB313_2022:
	v_cmp_ne_u16_e32 vcc_lo, 0, v2
	s_waitcnt vmcnt(0)
	v_cndmask_b32_e64 v3, 0, 1, vcc_lo
	global_store_b8 v[0:1], v3, off
	s_or_b32 exec_lo, exec_lo, s0
	s_and_saveexec_b32 s0, s4
	s_cbranch_execz .LBB313_2060
.LBB313_2023:
	v_cmp_lt_i16_e64 s0, s3, 5
	s_delay_alu instid0(VALU_DEP_1)
	s_and_b32 vcc_lo, exec_lo, s0
	s_mov_b32 s0, -1
	s_cbranch_vccnz .LBB313_2044
; %bb.2024:
	v_cmp_lt_i16_e64 s0, s3, 8
	s_delay_alu instid0(VALU_DEP_1)
	s_and_b32 vcc_lo, exec_lo, s0
	s_mov_b32 s0, -1
	s_cbranch_vccnz .LBB313_2034
; %bb.2025:
	;; [unrolled: 6-line block ×3, first 2 shown]
	v_cmp_gt_i16_e64 s0, s3, 9
	s_delay_alu instid0(VALU_DEP_1)
	s_and_b32 vcc_lo, exec_lo, s0
	s_mov_b32 s0, -1
	s_cbranch_vccz .LBB313_2028
; %bb.2027:
	s_waitcnt vmcnt(0)
	v_bfe_i32 v3, v2, 0, 16
	v_mov_b32_e32 v5, 0
	s_mov_b32 s0, 0
	s_delay_alu instid0(VALU_DEP_2) | instskip(NEXT) | instid1(VALU_DEP_2)
	v_cvt_f64_i32_e32 v[3:4], v3
	v_mov_b32_e32 v6, v5
	global_store_b128 v[0:1], v[3:6], off
.LBB313_2028:
	s_and_not1_b32 vcc_lo, exec_lo, s0
	s_cbranch_vccnz .LBB313_2030
; %bb.2029:
	s_waitcnt vmcnt(0)
	v_bfe_i32 v3, v2, 0, 16
	v_mov_b32_e32 v4, 0
	s_delay_alu instid0(VALU_DEP_2)
	v_cvt_f32_i32_e32 v3, v3
	global_store_b64 v[0:1], v[3:4], off
.LBB313_2030:
	s_mov_b32 s0, 0
.LBB313_2031:
	s_delay_alu instid0(SALU_CYCLE_1)
	s_and_not1_b32 vcc_lo, exec_lo, s0
	s_cbranch_vccnz .LBB313_2033
; %bb.2032:
	s_waitcnt vmcnt(0)
	v_cvt_f16_i16_e32 v3, v2
	s_delay_alu instid0(VALU_DEP_1)
	v_and_b32_e32 v3, 0xffff, v3
	global_store_b32 v[0:1], v3, off
.LBB313_2033:
	s_mov_b32 s0, 0
.LBB313_2034:
	s_delay_alu instid0(SALU_CYCLE_1)
	s_and_not1_b32 vcc_lo, exec_lo, s0
	s_cbranch_vccnz .LBB313_2043
; %bb.2035:
	v_cmp_lt_i16_e64 s0, s3, 6
	s_delay_alu instid0(VALU_DEP_1)
	s_and_b32 vcc_lo, exec_lo, s0
	s_mov_b32 s0, -1
	s_cbranch_vccnz .LBB313_2041
; %bb.2036:
	v_cmp_gt_i16_e64 s0, s3, 6
	s_delay_alu instid0(VALU_DEP_1)
	s_and_b32 vcc_lo, exec_lo, s0
	s_mov_b32 s0, -1
	s_cbranch_vccz .LBB313_2038
; %bb.2037:
	s_waitcnt vmcnt(0)
	v_bfe_i32 v3, v2, 0, 16
	s_mov_b32 s0, 0
	s_delay_alu instid0(VALU_DEP_1)
	v_cvt_f64_i32_e32 v[3:4], v3
	global_store_b64 v[0:1], v[3:4], off
.LBB313_2038:
	s_and_not1_b32 vcc_lo, exec_lo, s0
	s_cbranch_vccnz .LBB313_2040
; %bb.2039:
	s_waitcnt vmcnt(0)
	v_bfe_i32 v3, v2, 0, 16
	s_delay_alu instid0(VALU_DEP_1)
	v_cvt_f32_i32_e32 v3, v3
	global_store_b32 v[0:1], v3, off
.LBB313_2040:
	s_mov_b32 s0, 0
.LBB313_2041:
	s_delay_alu instid0(SALU_CYCLE_1)
	s_and_not1_b32 vcc_lo, exec_lo, s0
	s_cbranch_vccnz .LBB313_2043
; %bb.2042:
	s_waitcnt vmcnt(0)
	v_cvt_f16_i16_e32 v3, v2
	global_store_b16 v[0:1], v3, off
.LBB313_2043:
	s_mov_b32 s0, 0
.LBB313_2044:
	s_delay_alu instid0(SALU_CYCLE_1)
	s_and_not1_b32 vcc_lo, exec_lo, s0
	s_cbranch_vccnz .LBB313_2060
; %bb.2045:
	v_cmp_lt_i16_e64 s0, s3, 2
	s_delay_alu instid0(VALU_DEP_1)
	s_and_b32 vcc_lo, exec_lo, s0
	s_mov_b32 s0, -1
	s_cbranch_vccnz .LBB313_2055
; %bb.2046:
	v_cmp_lt_i16_e64 s0, s3, 3
	s_delay_alu instid0(VALU_DEP_1)
	s_and_b32 vcc_lo, exec_lo, s0
	s_mov_b32 s0, -1
	s_cbranch_vccnz .LBB313_2052
; %bb.2047:
	v_cmp_gt_i16_e64 s0, s3, 3
	s_delay_alu instid0(VALU_DEP_1)
	s_and_b32 vcc_lo, exec_lo, s0
	s_mov_b32 s0, -1
	s_cbranch_vccz .LBB313_2049
; %bb.2048:
	s_waitcnt vmcnt(0)
	v_bfe_i32 v3, v2, 0, 16
	s_mov_b32 s0, 0
	s_delay_alu instid0(VALU_DEP_1)
	v_ashrrev_i32_e32 v4, 31, v3
	global_store_b64 v[0:1], v[3:4], off
.LBB313_2049:
	s_and_not1_b32 vcc_lo, exec_lo, s0
	s_cbranch_vccnz .LBB313_2051
; %bb.2050:
	s_waitcnt vmcnt(0)
	v_bfe_i32 v3, v2, 0, 16
	global_store_b32 v[0:1], v3, off
.LBB313_2051:
	s_mov_b32 s0, 0
.LBB313_2052:
	s_delay_alu instid0(SALU_CYCLE_1)
	s_and_not1_b32 vcc_lo, exec_lo, s0
	s_cbranch_vccnz .LBB313_2054
; %bb.2053:
	global_store_b16 v[0:1], v2, off
.LBB313_2054:
	s_mov_b32 s0, 0
.LBB313_2055:
	s_delay_alu instid0(SALU_CYCLE_1)
	s_and_not1_b32 vcc_lo, exec_lo, s0
	s_cbranch_vccnz .LBB313_2060
; %bb.2056:
	v_cmp_gt_i16_e64 s0, s3, 0
	s_delay_alu instid0(VALU_DEP_1)
	s_and_b32 vcc_lo, exec_lo, s0
	s_mov_b32 s0, -1
	s_cbranch_vccz .LBB313_2058
; %bb.2057:
	s_mov_b32 s0, 0
	global_store_b8 v[0:1], v2, off
.LBB313_2058:
	s_and_not1_b32 vcc_lo, exec_lo, s0
	s_cbranch_vccnz .LBB313_2060
; %bb.2059:
	global_store_b8 v[0:1], v2, off
	s_nop 0
	s_sendmsg sendmsg(MSG_DEALLOC_VGPRS)
	s_endpgm
.LBB313_2060:
	s_nop 0
	s_sendmsg sendmsg(MSG_DEALLOC_VGPRS)
	s_endpgm
.LBB313_2061:
	s_mov_b32 s0, 0
	s_branch .LBB313_2082
.LBB313_2062:
	s_or_saveexec_b32 s12, s12
                                        ; implicit-def: $sgpr13
	s_delay_alu instid0(SALU_CYCLE_1)
	s_xor_b32 exec_lo, exec_lo, s12
	s_cbranch_execz .LBB313_1918
.LBB313_2063:
	v_add_f32_e64 v6, 0x46000000, |v5|
	s_and_not1_b32 s11, s11, exec_lo
	s_mov_b32 s13, 0
	s_delay_alu instid0(VALU_DEP_1) | instskip(NEXT) | instid1(VALU_DEP_1)
	v_and_b32_e32 v6, 0xff, v6
	v_cmp_ne_u32_e32 vcc_lo, 0, v6
	s_and_b32 s14, vcc_lo, exec_lo
	s_delay_alu instid0(SALU_CYCLE_1)
	s_or_b32 s11, s11, s14
	s_or_b32 exec_lo, exec_lo, s12
	v_mov_b32_e32 v7, s13
	s_and_saveexec_b32 s12, s11
	s_cbranch_execnz .LBB313_1919
	s_branch .LBB313_1920
.LBB313_2064:
	s_mov_b32 s0, 0
	s_branch .LBB313_2078
.LBB313_2065:
	s_trap 2
	s_sendmsg_rtn_b32 s0, sendmsg(MSG_RTN_GET_DOORBELL)
	s_mov_b32 ttmp2, m0
	s_waitcnt lgkmcnt(0)
	s_and_b32 s0, s0, 0x3ff
	s_delay_alu instid0(SALU_CYCLE_1) | instskip(NEXT) | instid1(SALU_CYCLE_1)
	s_bitset1_b32 s0, 10
	s_mov_b32 m0, s0
	s_sendmsg sendmsg(MSG_INTERRUPT)
	s_mov_b32 m0, ttmp2
.LBB313_2066:                           ; =>This Inner Loop Header: Depth=1
	s_sethalt 5
	s_branch .LBB313_2066
.LBB313_2067:
	s_cbranch_execnz .LBB313_2142
; %bb.2068:
	s_or_b32 s1, s1, exec_lo
	s_cbranch_execz .LBB313_1966
	s_branch .LBB313_1967
.LBB313_2069:
	s_or_saveexec_b32 s11, s11
                                        ; implicit-def: $sgpr12
	s_delay_alu instid0(SALU_CYCLE_1)
	s_xor_b32 exec_lo, exec_lo, s11
	s_cbranch_execz .LBB313_1931
.LBB313_2070:
	v_add_f32_e64 v6, 0x42800000, |v5|
	s_and_not1_b32 s10, s10, exec_lo
	s_mov_b32 s12, 0
	s_delay_alu instid0(VALU_DEP_1) | instskip(NEXT) | instid1(VALU_DEP_1)
	v_and_b32_e32 v6, 0xff, v6
	v_cmp_ne_u32_e32 vcc_lo, 0, v6
	s_and_b32 s13, vcc_lo, exec_lo
	s_delay_alu instid0(SALU_CYCLE_1)
	s_or_b32 s10, s10, s13
	s_or_b32 exec_lo, exec_lo, s11
	v_mov_b32_e32 v7, s12
	s_and_saveexec_b32 s11, s10
	s_cbranch_execnz .LBB313_1932
	s_branch .LBB313_1933
.LBB313_2071:
	s_mov_b32 s0, 0
.LBB313_2072:
	s_and_b32 vcc_lo, exec_lo, s4
	s_cbranch_vccz .LBB313_2077
; %bb.2073:
	v_cmp_eq_u16_e64 s0, s3, 44
	s_delay_alu instid0(VALU_DEP_1)
	s_and_b32 vcc_lo, exec_lo, s0
	s_mov_b32 s0, -1
	s_cbranch_vccz .LBB313_2077
; %bb.2074:
	v_bfe_i32 v3, v2, 0, 16
	v_mov_b32_e32 v4, 0xff
	s_mov_b32 s4, exec_lo
	s_delay_alu instid0(VALU_DEP_2) | instskip(NEXT) | instid1(VALU_DEP_1)
	v_cvt_f32_i32_e32 v3, v3
	v_bfe_u32 v5, v3, 23, 8
	s_delay_alu instid0(VALU_DEP_1)
	v_cmpx_ne_u32_e32 0xff, v5
; %bb.2075:
	v_and_b32_e32 v4, 0x400000, v3
	v_and_or_b32 v5, 0x3fffff, v3, v5
	v_lshrrev_b32_e32 v3, 23, v3
	s_delay_alu instid0(VALU_DEP_3) | instskip(NEXT) | instid1(VALU_DEP_3)
	v_cmp_ne_u32_e32 vcc_lo, 0, v4
	v_cmp_ne_u32_e64 s0, 0, v5
	s_delay_alu instid0(VALU_DEP_1) | instskip(NEXT) | instid1(SALU_CYCLE_1)
	s_and_b32 s0, vcc_lo, s0
	v_cndmask_b32_e64 v4, 0, 1, s0
	s_delay_alu instid0(VALU_DEP_1)
	v_add_nc_u32_e32 v4, v3, v4
; %bb.2076:
	s_or_b32 exec_lo, exec_lo, s4
	s_mov_b32 s0, 0
	global_store_b8 v[0:1], v4, off
.LBB313_2077:
	s_mov_b32 s4, 0
.LBB313_2078:
	s_delay_alu instid0(SALU_CYCLE_1)
	s_and_b32 vcc_lo, exec_lo, s4
	s_cbranch_vccz .LBB313_2081
; %bb.2079:
	v_cmp_eq_u16_e64 s0, s3, 29
	s_delay_alu instid0(VALU_DEP_1)
	s_and_b32 vcc_lo, exec_lo, s0
	s_mov_b32 s0, -1
	s_cbranch_vccz .LBB313_2081
; %bb.2080:
	v_bfe_i32 v3, v2, 0, 16
	s_mov_b32 s0, 0
	s_delay_alu instid0(VALU_DEP_1)
	v_ashrrev_i32_e32 v4, 31, v3
	global_store_b64 v[0:1], v[3:4], off
.LBB313_2081:
	s_mov_b32 s4, 0
.LBB313_2082:
	s_delay_alu instid0(SALU_CYCLE_1)
	s_and_b32 vcc_lo, exec_lo, s4
	s_cbranch_vccz .LBB313_2097
; %bb.2083:
	v_cmp_lt_i16_e64 s4, s3, 27
	s_delay_alu instid0(VALU_DEP_1)
	s_and_b32 vcc_lo, exec_lo, s4
	s_mov_b32 s4, -1
	s_cbranch_vccnz .LBB313_2089
; %bb.2084:
	v_cmp_gt_i16_e64 s4, s3, 27
	s_delay_alu instid0(VALU_DEP_1)
	s_and_b32 vcc_lo, exec_lo, s4
	s_mov_b32 s4, -1
	s_cbranch_vccz .LBB313_2086
; %bb.2085:
	v_bfe_i32 v3, v2, 0, 16
	s_mov_b32 s4, 0
	global_store_b32 v[0:1], v3, off
.LBB313_2086:
	s_and_not1_b32 vcc_lo, exec_lo, s4
	s_cbranch_vccnz .LBB313_2088
; %bb.2087:
	global_store_b16 v[0:1], v2, off
.LBB313_2088:
	s_mov_b32 s4, 0
.LBB313_2089:
	s_delay_alu instid0(SALU_CYCLE_1)
	s_and_not1_b32 vcc_lo, exec_lo, s4
	s_cbranch_vccnz .LBB313_2097
; %bb.2090:
	v_bfe_i32 v3, v2, 0, 16
	v_mov_b32_e32 v5, 0x80
	s_mov_b32 s4, exec_lo
	s_delay_alu instid0(VALU_DEP_2) | instskip(NEXT) | instid1(VALU_DEP_1)
	v_cvt_f32_i32_e32 v3, v3
	v_and_b32_e32 v4, 0x7fffffff, v3
	s_delay_alu instid0(VALU_DEP_1)
	v_cmpx_gt_u32_e32 0x43800000, v4
	s_cbranch_execz .LBB313_2096
; %bb.2091:
	v_cmp_lt_u32_e32 vcc_lo, 0x3bffffff, v4
	s_mov_b32 s5, 0
                                        ; implicit-def: $vgpr4
	s_and_saveexec_b32 s6, vcc_lo
	s_delay_alu instid0(SALU_CYCLE_1)
	s_xor_b32 s6, exec_lo, s6
	s_cbranch_execz .LBB313_2140
; %bb.2092:
	v_bfe_u32 v4, v3, 20, 1
	s_mov_b32 s5, exec_lo
	s_delay_alu instid0(VALU_DEP_1) | instskip(NEXT) | instid1(VALU_DEP_1)
	v_add3_u32 v4, v3, v4, 0x487ffff
	v_lshrrev_b32_e32 v4, 20, v4
	s_or_saveexec_b32 s6, s6
                                        ; implicit-def: $sgpr7
	s_delay_alu instid0(SALU_CYCLE_1)
	s_xor_b32 exec_lo, exec_lo, s6
	s_cbranch_execnz .LBB313_2141
.LBB313_2093:
	s_or_b32 exec_lo, exec_lo, s6
	v_mov_b32_e32 v5, s7
	s_and_saveexec_b32 s6, s5
.LBB313_2094:
	v_lshrrev_b32_e32 v3, 24, v3
	s_delay_alu instid0(VALU_DEP_1)
	v_and_or_b32 v5, 0x80, v3, v4
.LBB313_2095:
	s_or_b32 exec_lo, exec_lo, s6
.LBB313_2096:
	s_delay_alu instid0(SALU_CYCLE_1)
	s_or_b32 exec_lo, exec_lo, s4
	global_store_b8 v[0:1], v5, off
.LBB313_2097:
	s_mov_b32 s4, 0
.LBB313_2098:
	s_delay_alu instid0(SALU_CYCLE_1)
	s_and_b32 vcc_lo, exec_lo, s4
	s_cbranch_vccz .LBB313_2138
; %bb.2099:
	v_cmp_gt_i16_e64 s2, s3, 22
	s_delay_alu instid0(VALU_DEP_1)
	s_and_b32 vcc_lo, exec_lo, s2
	s_mov_b32 s2, -1
	s_cbranch_vccz .LBB313_2131
; %bb.2100:
	v_cmp_lt_i16_e64 s2, s3, 24
	s_delay_alu instid0(VALU_DEP_1)
	s_and_b32 vcc_lo, exec_lo, s2
	s_mov_b32 s2, -1
	s_cbranch_vccnz .LBB313_2120
; %bb.2101:
	v_cmp_gt_i16_e64 s2, s3, 24
	s_delay_alu instid0(VALU_DEP_1)
	s_and_b32 vcc_lo, exec_lo, s2
	s_mov_b32 s2, -1
	s_cbranch_vccz .LBB313_2109
; %bb.2102:
	v_bfe_i32 v3, v2, 0, 16
	v_mov_b32_e32 v5, 0x80
	s_mov_b32 s2, exec_lo
	s_delay_alu instid0(VALU_DEP_2) | instskip(NEXT) | instid1(VALU_DEP_1)
	v_cvt_f32_i32_e32 v3, v3
	v_and_b32_e32 v4, 0x7fffffff, v3
	s_delay_alu instid0(VALU_DEP_1)
	v_cmpx_gt_u32_e32 0x47800000, v4
	s_cbranch_execz .LBB313_2108
; %bb.2103:
	v_cmp_lt_u32_e32 vcc_lo, 0x37ffffff, v4
	s_mov_b32 s4, 0
                                        ; implicit-def: $vgpr4
	s_and_saveexec_b32 s5, vcc_lo
	s_delay_alu instid0(SALU_CYCLE_1)
	s_xor_b32 s5, exec_lo, s5
	s_cbranch_execz .LBB313_2146
; %bb.2104:
	v_bfe_u32 v4, v3, 21, 1
	s_mov_b32 s4, exec_lo
	s_delay_alu instid0(VALU_DEP_1) | instskip(NEXT) | instid1(VALU_DEP_1)
	v_add3_u32 v4, v3, v4, 0x88fffff
	v_lshrrev_b32_e32 v4, 21, v4
	s_or_saveexec_b32 s5, s5
                                        ; implicit-def: $sgpr6
	s_delay_alu instid0(SALU_CYCLE_1)
	s_xor_b32 exec_lo, exec_lo, s5
	s_cbranch_execnz .LBB313_2147
.LBB313_2105:
	s_or_b32 exec_lo, exec_lo, s5
	v_mov_b32_e32 v5, s6
	s_and_saveexec_b32 s5, s4
.LBB313_2106:
	v_lshrrev_b32_e32 v3, 24, v3
	s_delay_alu instid0(VALU_DEP_1)
	v_and_or_b32 v5, 0x80, v3, v4
.LBB313_2107:
	s_or_b32 exec_lo, exec_lo, s5
.LBB313_2108:
	s_delay_alu instid0(SALU_CYCLE_1)
	s_or_b32 exec_lo, exec_lo, s2
	s_mov_b32 s2, 0
	global_store_b8 v[0:1], v5, off
.LBB313_2109:
	s_and_b32 vcc_lo, exec_lo, s2
	s_cbranch_vccz .LBB313_2119
; %bb.2110:
	v_bfe_i32 v3, v2, 0, 16
	s_mov_b32 s2, exec_lo
                                        ; implicit-def: $vgpr4
	s_delay_alu instid0(VALU_DEP_1) | instskip(NEXT) | instid1(VALU_DEP_1)
	v_cvt_f32_i32_e32 v3, v3
	v_and_b32_e32 v5, 0x7fffffff, v3
	s_delay_alu instid0(VALU_DEP_1)
	v_cmpx_gt_u32_e32 0x43f00000, v5
	s_xor_b32 s2, exec_lo, s2
	s_cbranch_execz .LBB313_2116
; %bb.2111:
	s_mov_b32 s4, exec_lo
                                        ; implicit-def: $vgpr4
	v_cmpx_lt_u32_e32 0x3c7fffff, v5
	s_xor_b32 s4, exec_lo, s4
; %bb.2112:
	v_bfe_u32 v4, v3, 20, 1
	s_delay_alu instid0(VALU_DEP_1) | instskip(NEXT) | instid1(VALU_DEP_1)
	v_add3_u32 v4, v3, v4, 0x407ffff
	v_and_b32_e32 v5, 0xff00000, v4
	v_lshrrev_b32_e32 v4, 20, v4
	s_delay_alu instid0(VALU_DEP_2) | instskip(NEXT) | instid1(VALU_DEP_2)
	v_cmp_ne_u32_e32 vcc_lo, 0x7f00000, v5
	v_cndmask_b32_e32 v4, 0x7e, v4, vcc_lo
; %bb.2113:
	s_and_not1_saveexec_b32 s4, s4
; %bb.2114:
	v_add_f32_e64 v4, 0x46800000, |v3|
; %bb.2115:
	s_or_b32 exec_lo, exec_lo, s4
                                        ; implicit-def: $vgpr5
.LBB313_2116:
	s_and_not1_saveexec_b32 s2, s2
; %bb.2117:
	v_mov_b32_e32 v4, 0x7f
	v_cmp_lt_u32_e32 vcc_lo, 0x7f800000, v5
	s_delay_alu instid0(VALU_DEP_2)
	v_cndmask_b32_e32 v4, 0x7e, v4, vcc_lo
; %bb.2118:
	s_or_b32 exec_lo, exec_lo, s2
	v_lshrrev_b32_e32 v3, 24, v3
	s_delay_alu instid0(VALU_DEP_1)
	v_and_or_b32 v3, 0x80, v3, v4
	global_store_b8 v[0:1], v3, off
.LBB313_2119:
	s_mov_b32 s2, 0
.LBB313_2120:
	s_delay_alu instid0(SALU_CYCLE_1)
	s_and_not1_b32 vcc_lo, exec_lo, s2
	s_cbranch_vccnz .LBB313_2130
; %bb.2121:
	v_bfe_i32 v3, v2, 0, 16
	s_mov_b32 s2, exec_lo
                                        ; implicit-def: $vgpr4
	s_delay_alu instid0(VALU_DEP_1) | instskip(NEXT) | instid1(VALU_DEP_1)
	v_cvt_f32_i32_e32 v3, v3
	v_and_b32_e32 v5, 0x7fffffff, v3
	s_delay_alu instid0(VALU_DEP_1)
	v_cmpx_gt_u32_e32 0x47800000, v5
	s_xor_b32 s2, exec_lo, s2
	s_cbranch_execz .LBB313_2127
; %bb.2122:
	s_mov_b32 s4, exec_lo
                                        ; implicit-def: $vgpr4
	v_cmpx_lt_u32_e32 0x387fffff, v5
	s_xor_b32 s4, exec_lo, s4
; %bb.2123:
	v_bfe_u32 v4, v3, 21, 1
	s_delay_alu instid0(VALU_DEP_1) | instskip(NEXT) | instid1(VALU_DEP_1)
	v_add3_u32 v4, v3, v4, 0x80fffff
	v_lshrrev_b32_e32 v4, 21, v4
; %bb.2124:
	s_and_not1_saveexec_b32 s4, s4
; %bb.2125:
	v_add_f32_e64 v4, 0x43000000, |v3|
; %bb.2126:
	s_or_b32 exec_lo, exec_lo, s4
                                        ; implicit-def: $vgpr5
.LBB313_2127:
	s_and_not1_saveexec_b32 s2, s2
; %bb.2128:
	v_mov_b32_e32 v4, 0x7f
	v_cmp_lt_u32_e32 vcc_lo, 0x7f800000, v5
	s_delay_alu instid0(VALU_DEP_2)
	v_cndmask_b32_e32 v4, 0x7c, v4, vcc_lo
; %bb.2129:
	s_or_b32 exec_lo, exec_lo, s2
	v_lshrrev_b32_e32 v3, 24, v3
	s_delay_alu instid0(VALU_DEP_1)
	v_and_or_b32 v3, 0x80, v3, v4
	global_store_b8 v[0:1], v3, off
.LBB313_2130:
	s_mov_b32 s2, 0
.LBB313_2131:
	s_delay_alu instid0(SALU_CYCLE_1)
	s_and_not1_b32 vcc_lo, exec_lo, s2
	s_mov_b32 s2, 0
	s_cbranch_vccnz .LBB313_2138
; %bb.2132:
	v_cmp_gt_i16_e64 s2, s3, 14
	s_delay_alu instid0(VALU_DEP_1)
	s_and_b32 vcc_lo, exec_lo, s2
	s_mov_b32 s2, -1
	s_cbranch_vccz .LBB313_2136
; %bb.2133:
	v_cmp_eq_u16_e64 s0, s3, 15
	s_delay_alu instid0(VALU_DEP_1)
	s_and_b32 vcc_lo, exec_lo, s0
	s_mov_b32 s0, -1
	s_cbranch_vccz .LBB313_2135
; %bb.2134:
	v_bfe_i32 v3, v2, 0, 16
	s_mov_b32 s0, 0
	s_delay_alu instid0(VALU_DEP_1) | instskip(NEXT) | instid1(VALU_DEP_1)
	v_cvt_f32_i32_e32 v3, v3
	v_bfe_u32 v4, v3, 16, 1
	s_delay_alu instid0(VALU_DEP_1)
	v_add3_u32 v3, v3, v4, 0x7fff
	global_store_d16_hi_b16 v[0:1], v3, off
.LBB313_2135:
	s_mov_b32 s2, 0
.LBB313_2136:
	s_delay_alu instid0(SALU_CYCLE_1)
	s_and_b32 vcc_lo, exec_lo, s2
	s_mov_b32 s2, 0
	s_cbranch_vccz .LBB313_2138
; %bb.2137:
	v_cmp_ne_u16_e64 s0, s3, 11
	s_mov_b32 s2, -1
.LBB313_2138:
	s_delay_alu instid0(VALU_DEP_1)
	s_and_b32 vcc_lo, exec_lo, s0
	s_cbranch_vccnz .LBB313_2144
.LBB313_2139:
	s_mov_b32 s0, 0
	s_branch .LBB313_2017
.LBB313_2140:
	s_or_saveexec_b32 s6, s6
                                        ; implicit-def: $sgpr7
	s_delay_alu instid0(SALU_CYCLE_1)
	s_xor_b32 exec_lo, exec_lo, s6
	s_cbranch_execz .LBB313_2093
.LBB313_2141:
	v_add_f32_e64 v4, 0x46000000, |v3|
	s_and_not1_b32 s5, s5, exec_lo
	s_mov_b32 s7, 0
	s_delay_alu instid0(VALU_DEP_1) | instskip(NEXT) | instid1(VALU_DEP_1)
	v_and_b32_e32 v4, 0xff, v4
	v_cmp_ne_u32_e32 vcc_lo, 0, v4
	s_and_b32 s10, vcc_lo, exec_lo
	s_delay_alu instid0(SALU_CYCLE_1)
	s_or_b32 s5, s5, s10
	s_or_b32 exec_lo, exec_lo, s6
	v_mov_b32_e32 v5, s7
	s_and_saveexec_b32 s6, s5
	s_cbranch_execnz .LBB313_2094
	s_branch .LBB313_2095
.LBB313_2142:
	s_trap 2
	s_sendmsg_rtn_b32 s0, sendmsg(MSG_RTN_GET_DOORBELL)
	s_mov_b32 ttmp2, m0
	s_waitcnt lgkmcnt(0)
	s_and_b32 s0, s0, 0x3ff
	s_delay_alu instid0(SALU_CYCLE_1) | instskip(NEXT) | instid1(SALU_CYCLE_1)
	s_bitset1_b32 s0, 10
	s_mov_b32 m0, s0
	s_sendmsg sendmsg(MSG_INTERRUPT)
	s_mov_b32 m0, ttmp2
.LBB313_2143:                           ; =>This Inner Loop Header: Depth=1
	s_sethalt 5
	s_branch .LBB313_2143
.LBB313_2144:
	s_cbranch_execnz .LBB313_2148
; %bb.2145:
	s_mov_b32 s2, 0
	s_or_b32 s1, s1, exec_lo
	s_branch .LBB313_2139
.LBB313_2146:
	s_or_saveexec_b32 s5, s5
                                        ; implicit-def: $sgpr6
	s_delay_alu instid0(SALU_CYCLE_1)
	s_xor_b32 exec_lo, exec_lo, s5
	s_cbranch_execz .LBB313_2105
.LBB313_2147:
	v_add_f32_e64 v4, 0x42800000, |v3|
	s_and_not1_b32 s4, s4, exec_lo
	s_mov_b32 s6, 0
	s_delay_alu instid0(VALU_DEP_1) | instskip(NEXT) | instid1(VALU_DEP_1)
	v_and_b32_e32 v4, 0xff, v4
	v_cmp_ne_u32_e32 vcc_lo, 0, v4
	s_and_b32 s7, vcc_lo, exec_lo
	s_delay_alu instid0(SALU_CYCLE_1)
	s_or_b32 s4, s4, s7
	s_or_b32 exec_lo, exec_lo, s5
	v_mov_b32_e32 v5, s6
	s_and_saveexec_b32 s5, s4
	s_cbranch_execnz .LBB313_2106
	s_branch .LBB313_2107
.LBB313_2148:
	s_trap 2
	s_sendmsg_rtn_b32 s0, sendmsg(MSG_RTN_GET_DOORBELL)
	s_mov_b32 ttmp2, m0
	s_waitcnt lgkmcnt(0)
	s_and_b32 s0, s0, 0x3ff
	s_delay_alu instid0(SALU_CYCLE_1) | instskip(NEXT) | instid1(SALU_CYCLE_1)
	s_bitset1_b32 s0, 10
	s_mov_b32 m0, s0
	s_sendmsg sendmsg(MSG_INTERRUPT)
	s_mov_b32 m0, ttmp2
.LBB313_2149:                           ; =>This Inner Loop Header: Depth=1
	s_sethalt 5
	s_branch .LBB313_2149
	.section	.rodata,"a",@progbits
	.p2align	6, 0x0
	.amdhsa_kernel _ZN2at6native32elementwise_kernel_manual_unrollILi128ELi4EZNS0_15gpu_kernel_implIZZZNS0_17clamp_kernel_cudaERNS_18TensorIteratorBaseERKN3c106ScalarES8_ENKUlvE_clEvENKUlvE3_clEvEUlsE_EEvS4_RKT_EUlibE0_EEviT1_
		.amdhsa_group_segment_fixed_size 0
		.amdhsa_private_segment_fixed_size 0
		.amdhsa_kernarg_size 360
		.amdhsa_user_sgpr_count 15
		.amdhsa_user_sgpr_dispatch_ptr 0
		.amdhsa_user_sgpr_queue_ptr 0
		.amdhsa_user_sgpr_kernarg_segment_ptr 1
		.amdhsa_user_sgpr_dispatch_id 0
		.amdhsa_user_sgpr_private_segment_size 0
		.amdhsa_wavefront_size32 1
		.amdhsa_uses_dynamic_stack 0
		.amdhsa_enable_private_segment 0
		.amdhsa_system_sgpr_workgroup_id_x 1
		.amdhsa_system_sgpr_workgroup_id_y 0
		.amdhsa_system_sgpr_workgroup_id_z 0
		.amdhsa_system_sgpr_workgroup_info 0
		.amdhsa_system_vgpr_workitem_id 0
		.amdhsa_next_free_vgpr 18
		.amdhsa_next_free_sgpr 68
		.amdhsa_reserve_vcc 1
		.amdhsa_float_round_mode_32 0
		.amdhsa_float_round_mode_16_64 0
		.amdhsa_float_denorm_mode_32 3
		.amdhsa_float_denorm_mode_16_64 3
		.amdhsa_dx10_clamp 1
		.amdhsa_ieee_mode 1
		.amdhsa_fp16_overflow 0
		.amdhsa_workgroup_processor_mode 1
		.amdhsa_memory_ordered 1
		.amdhsa_forward_progress 0
		.amdhsa_shared_vgpr_count 0
		.amdhsa_exception_fp_ieee_invalid_op 0
		.amdhsa_exception_fp_denorm_src 0
		.amdhsa_exception_fp_ieee_div_zero 0
		.amdhsa_exception_fp_ieee_overflow 0
		.amdhsa_exception_fp_ieee_underflow 0
		.amdhsa_exception_fp_ieee_inexact 0
		.amdhsa_exception_int_div_zero 0
	.end_amdhsa_kernel
	.section	.text._ZN2at6native32elementwise_kernel_manual_unrollILi128ELi4EZNS0_15gpu_kernel_implIZZZNS0_17clamp_kernel_cudaERNS_18TensorIteratorBaseERKN3c106ScalarES8_ENKUlvE_clEvENKUlvE3_clEvEUlsE_EEvS4_RKT_EUlibE0_EEviT1_,"axG",@progbits,_ZN2at6native32elementwise_kernel_manual_unrollILi128ELi4EZNS0_15gpu_kernel_implIZZZNS0_17clamp_kernel_cudaERNS_18TensorIteratorBaseERKN3c106ScalarES8_ENKUlvE_clEvENKUlvE3_clEvEUlsE_EEvS4_RKT_EUlibE0_EEviT1_,comdat
.Lfunc_end313:
	.size	_ZN2at6native32elementwise_kernel_manual_unrollILi128ELi4EZNS0_15gpu_kernel_implIZZZNS0_17clamp_kernel_cudaERNS_18TensorIteratorBaseERKN3c106ScalarES8_ENKUlvE_clEvENKUlvE3_clEvEUlsE_EEvS4_RKT_EUlibE0_EEviT1_, .Lfunc_end313-_ZN2at6native32elementwise_kernel_manual_unrollILi128ELi4EZNS0_15gpu_kernel_implIZZZNS0_17clamp_kernel_cudaERNS_18TensorIteratorBaseERKN3c106ScalarES8_ENKUlvE_clEvENKUlvE3_clEvEUlsE_EEvS4_RKT_EUlibE0_EEviT1_
                                        ; -- End function
	.section	.AMDGPU.csdata,"",@progbits
; Kernel info:
; codeLenInByte = 41168
; NumSgprs: 70
; NumVgprs: 18
; ScratchSize: 0
; MemoryBound: 1
; FloatMode: 240
; IeeeMode: 1
; LDSByteSize: 0 bytes/workgroup (compile time only)
; SGPRBlocks: 8
; VGPRBlocks: 2
; NumSGPRsForWavesPerEU: 70
; NumVGPRsForWavesPerEU: 18
; Occupancy: 16
; WaveLimiterHint : 1
; COMPUTE_PGM_RSRC2:SCRATCH_EN: 0
; COMPUTE_PGM_RSRC2:USER_SGPR: 15
; COMPUTE_PGM_RSRC2:TRAP_HANDLER: 0
; COMPUTE_PGM_RSRC2:TGID_X_EN: 1
; COMPUTE_PGM_RSRC2:TGID_Y_EN: 0
; COMPUTE_PGM_RSRC2:TGID_Z_EN: 0
; COMPUTE_PGM_RSRC2:TIDIG_COMP_CNT: 0
	.section	.text._ZN2at6native29vectorized_elementwise_kernelILi16EZZZNS0_17clamp_kernel_cudaERNS_18TensorIteratorBaseERKN3c106ScalarES7_ENKUlvE_clEvENKUlvE4_clEvEUldE_St5arrayIPcLm2EEEEviT0_T1_,"axG",@progbits,_ZN2at6native29vectorized_elementwise_kernelILi16EZZZNS0_17clamp_kernel_cudaERNS_18TensorIteratorBaseERKN3c106ScalarES7_ENKUlvE_clEvENKUlvE4_clEvEUldE_St5arrayIPcLm2EEEEviT0_T1_,comdat
	.globl	_ZN2at6native29vectorized_elementwise_kernelILi16EZZZNS0_17clamp_kernel_cudaERNS_18TensorIteratorBaseERKN3c106ScalarES7_ENKUlvE_clEvENKUlvE4_clEvEUldE_St5arrayIPcLm2EEEEviT0_T1_ ; -- Begin function _ZN2at6native29vectorized_elementwise_kernelILi16EZZZNS0_17clamp_kernel_cudaERNS_18TensorIteratorBaseERKN3c106ScalarES7_ENKUlvE_clEvENKUlvE4_clEvEUldE_St5arrayIPcLm2EEEEviT0_T1_
	.p2align	8
	.type	_ZN2at6native29vectorized_elementwise_kernelILi16EZZZNS0_17clamp_kernel_cudaERNS_18TensorIteratorBaseERKN3c106ScalarES7_ENKUlvE_clEvENKUlvE4_clEvEUldE_St5arrayIPcLm2EEEEviT0_T1_,@function
_ZN2at6native29vectorized_elementwise_kernelILi16EZZZNS0_17clamp_kernel_cudaERNS_18TensorIteratorBaseERKN3c106ScalarES7_ENKUlvE_clEvENKUlvE4_clEvEUldE_St5arrayIPcLm2EEEEviT0_T1_: ; @_ZN2at6native29vectorized_elementwise_kernelILi16EZZZNS0_17clamp_kernel_cudaERNS_18TensorIteratorBaseERKN3c106ScalarES7_ENKUlvE_clEvENKUlvE4_clEvEUldE_St5arrayIPcLm2EEEEviT0_T1_
; %bb.0:
	s_clause 0x1
	s_load_b256 s[4:11], s[0:1], 0x8
	s_load_b32 s0, s[0:1], 0x0
	s_waitcnt lgkmcnt(0)
	v_max_f64 v[3:4], s[4:5], s[4:5]
	v_max_f64 v[1:2], s[6:7], s[6:7]
	s_lshl_b32 s4, s15, 10
	s_delay_alu instid0(SALU_CYCLE_1)
	s_sub_i32 s6, s0, s4
	s_mov_b32 s0, -1
	s_cmpk_gt_i32 s6, 0x3ff
	s_cbranch_scc0 .LBB314_2
; %bb.1:
	s_ashr_i32 s5, s4, 31
	v_lshlrev_b32_e32 v21, 5, v0
	s_lshl_b64 s[12:13], s[4:5], 3
	s_delay_alu instid0(SALU_CYCLE_1)
	s_add_u32 s0, s10, s12
	s_addc_u32 s1, s11, s13
	s_clause 0x1
	global_load_b128 v[5:8], v21, s[0:1]
	global_load_b128 v[9:12], v21, s[0:1] offset:16
	s_waitcnt vmcnt(1)
	v_max_f64 v[13:14], v[5:6], v[5:6]
	v_max_f64 v[15:16], v[7:8], v[7:8]
	s_waitcnt vmcnt(0)
	v_max_f64 v[17:18], v[9:10], v[9:10]
	v_max_f64 v[19:20], v[11:12], v[11:12]
	v_cmp_u_f64_e32 vcc_lo, v[5:6], v[5:6]
	v_cmp_u_f64_e64 s0, v[7:8], v[7:8]
	v_cmp_u_f64_e64 s1, v[9:10], v[9:10]
	;; [unrolled: 1-line block ×3, first 2 shown]
	v_max_f64 v[13:14], v[13:14], v[3:4]
	v_max_f64 v[15:16], v[15:16], v[3:4]
	;; [unrolled: 1-line block ×4, first 2 shown]
	s_delay_alu instid0(VALU_DEP_4) | instskip(NEXT) | instid1(VALU_DEP_4)
	v_min_f64 v[13:14], v[13:14], v[1:2]
	v_min_f64 v[15:16], v[15:16], v[1:2]
	s_delay_alu instid0(VALU_DEP_4) | instskip(NEXT) | instid1(VALU_DEP_4)
	v_min_f64 v[17:18], v[17:18], v[1:2]
	v_min_f64 v[19:20], v[19:20], v[1:2]
	s_delay_alu instid0(VALU_DEP_4) | instskip(NEXT) | instid1(VALU_DEP_4)
	v_dual_cndmask_b32 v6, v14, v6 :: v_dual_cndmask_b32 v5, v13, v5
	v_cndmask_b32_e64 v8, v16, v8, s0
	v_cndmask_b32_e64 v7, v15, v7, s0
	;; [unrolled: 1-line block ×6, first 2 shown]
	s_add_u32 s2, s8, s12
	s_addc_u32 s3, s9, s13
	s_mov_b32 s0, 0
	s_clause 0x1
	global_store_b128 v21, v[5:8], s[2:3]
	global_store_b128 v21, v[9:12], s[2:3] offset:16
.LBB314_2:
	s_and_not1_b32 vcc_lo, exec_lo, s0
	s_cbranch_vccnz .LBB314_16
; %bb.3:
	v_dual_mov_b32 v7, 0 :: v_dual_mov_b32 v6, v0
	v_mov_b32_e32 v8, 0
	v_cmp_gt_i32_e32 vcc_lo, s6, v0
	v_or_b32_e32 v5, s4, v0
	v_or_b32_e32 v15, 0x100, v0
	s_delay_alu instid0(VALU_DEP_4)
	v_dual_mov_b32 v10, v8 :: v_dual_mov_b32 v9, v7
	s_and_saveexec_b32 s1, vcc_lo
	s_cbranch_execz .LBB314_5
; %bb.4:
	v_mov_b32_e32 v6, 0
	s_delay_alu instid0(VALU_DEP_1) | instskip(SKIP_1) | instid1(VALU_DEP_2)
	v_lshlrev_b64 v[9:10], 3, v[5:6]
	v_or_b32_e32 v6, 0x100, v0
	v_add_co_u32 v9, s0, s10, v9
	s_delay_alu instid0(VALU_DEP_1)
	v_add_co_ci_u32_e64 v10, s0, s11, v10, s0
	global_load_b64 v[9:10], v[9:10], off
.LBB314_5:
	s_or_b32 exec_lo, exec_lo, s1
	s_delay_alu instid0(SALU_CYCLE_1)
	s_mov_b32 s1, exec_lo
	v_cmpx_gt_i32_e64 s6, v6
	s_cbranch_execz .LBB314_7
; %bb.6:
	v_dual_mov_b32 v8, 0 :: v_dual_add_nc_u32 v7, s4, v6
	v_add_nc_u32_e32 v6, 0x100, v6
	s_delay_alu instid0(VALU_DEP_2) | instskip(NEXT) | instid1(VALU_DEP_1)
	v_lshlrev_b64 v[7:8], 3, v[7:8]
	v_add_co_u32 v7, s0, s10, v7
	s_delay_alu instid0(VALU_DEP_1)
	v_add_co_ci_u32_e64 v8, s0, s11, v8, s0
	global_load_b64 v[7:8], v[7:8], off
.LBB314_7:
	s_or_b32 exec_lo, exec_lo, s1
	v_mov_b32_e32 v11, 0
	v_mov_b32_e32 v12, 0
	s_mov_b32 s1, exec_lo
	s_delay_alu instid0(VALU_DEP_1)
	v_dual_mov_b32 v14, v12 :: v_dual_mov_b32 v13, v11
	v_cmpx_gt_i32_e64 s6, v6
	s_cbranch_execz .LBB314_9
; %bb.8:
	v_dual_mov_b32 v14, 0 :: v_dual_add_nc_u32 v13, s4, v6
	v_add_nc_u32_e32 v6, 0x100, v6
	s_delay_alu instid0(VALU_DEP_2) | instskip(NEXT) | instid1(VALU_DEP_1)
	v_lshlrev_b64 v[13:14], 3, v[13:14]
	v_add_co_u32 v13, s0, s10, v13
	s_delay_alu instid0(VALU_DEP_1)
	v_add_co_ci_u32_e64 v14, s0, s11, v14, s0
	global_load_b64 v[13:14], v[13:14], off
.LBB314_9:
	s_or_b32 exec_lo, exec_lo, s1
	s_delay_alu instid0(SALU_CYCLE_1)
	s_mov_b32 s1, exec_lo
	v_cmpx_gt_i32_e64 s6, v6
	s_cbranch_execz .LBB314_11
; %bb.10:
	v_dual_mov_b32 v12, 0 :: v_dual_add_nc_u32 v11, s4, v6
	s_delay_alu instid0(VALU_DEP_1) | instskip(NEXT) | instid1(VALU_DEP_1)
	v_lshlrev_b64 v[11:12], 3, v[11:12]
	v_add_co_u32 v11, s0, s10, v11
	s_delay_alu instid0(VALU_DEP_1)
	v_add_co_ci_u32_e64 v12, s0, s11, v12, s0
	global_load_b64 v[11:12], v[11:12], off
.LBB314_11:
	s_or_b32 exec_lo, exec_lo, s1
	s_waitcnt vmcnt(0)
	v_max_f64 v[16:17], v[9:10], v[9:10]
	v_max_f64 v[18:19], v[7:8], v[7:8]
	;; [unrolled: 1-line block ×4, first 2 shown]
	v_cmp_u_f64_e64 s0, v[9:10], v[9:10]
	v_cmp_u_f64_e64 s1, v[7:8], v[7:8]
	;; [unrolled: 1-line block ×4, first 2 shown]
	v_max_f64 v[16:17], v[16:17], v[3:4]
	v_max_f64 v[18:19], v[18:19], v[3:4]
	;; [unrolled: 1-line block ×4, first 2 shown]
	s_delay_alu instid0(VALU_DEP_4) | instskip(NEXT) | instid1(VALU_DEP_4)
	v_min_f64 v[16:17], v[16:17], v[1:2]
	v_min_f64 v[18:19], v[18:19], v[1:2]
	s_delay_alu instid0(VALU_DEP_4) | instskip(NEXT) | instid1(VALU_DEP_4)
	v_min_f64 v[20:21], v[20:21], v[1:2]
	v_min_f64 v[1:2], v[3:4], v[1:2]
	s_delay_alu instid0(VALU_DEP_4)
	v_cndmask_b32_e64 v10, v17, v10, s0
	v_cndmask_b32_e64 v9, v16, v9, s0
	;; [unrolled: 1-line block ×8, first 2 shown]
	s_and_saveexec_b32 s0, vcc_lo
	s_cbranch_execnz .LBB314_17
; %bb.12:
	s_or_b32 exec_lo, exec_lo, s0
	s_delay_alu instid0(SALU_CYCLE_1)
	s_mov_b32 s0, exec_lo
	v_cmpx_gt_i32_e64 s6, v0
	s_cbranch_execnz .LBB314_18
.LBB314_13:
	s_or_b32 exec_lo, exec_lo, s0
	s_delay_alu instid0(SALU_CYCLE_1)
	s_mov_b32 s0, exec_lo
	v_cmpx_gt_i32_e64 s6, v0
	s_cbranch_execnz .LBB314_19
.LBB314_14:
	s_or_b32 exec_lo, exec_lo, s0
	s_delay_alu instid0(SALU_CYCLE_1)
	s_mov_b32 s0, exec_lo
	v_cmpx_gt_i32_e64 s6, v0
	s_cbranch_execz .LBB314_16
.LBB314_15:
	v_dual_mov_b32 v4, 0 :: v_dual_add_nc_u32 v3, s4, v0
	s_delay_alu instid0(VALU_DEP_1) | instskip(NEXT) | instid1(VALU_DEP_1)
	v_lshlrev_b64 v[3:4], 3, v[3:4]
	v_add_co_u32 v3, vcc_lo, s8, v3
	s_delay_alu instid0(VALU_DEP_2)
	v_add_co_ci_u32_e32 v4, vcc_lo, s9, v4, vcc_lo
	global_store_b64 v[3:4], v[1:2], off
.LBB314_16:
	s_nop 0
	s_sendmsg sendmsg(MSG_DEALLOC_VGPRS)
	s_endpgm
.LBB314_17:
	v_mov_b32_e32 v6, 0
	v_mov_b32_e32 v0, v15
	s_delay_alu instid0(VALU_DEP_2) | instskip(NEXT) | instid1(VALU_DEP_1)
	v_lshlrev_b64 v[5:6], 3, v[5:6]
	v_add_co_u32 v5, vcc_lo, s8, v5
	s_delay_alu instid0(VALU_DEP_2) | instskip(SKIP_2) | instid1(SALU_CYCLE_1)
	v_add_co_ci_u32_e32 v6, vcc_lo, s9, v6, vcc_lo
	global_store_b64 v[5:6], v[9:10], off
	s_or_b32 exec_lo, exec_lo, s0
	s_mov_b32 s0, exec_lo
	v_cmpx_gt_i32_e64 s6, v0
	s_cbranch_execz .LBB314_13
.LBB314_18:
	v_dual_mov_b32 v6, 0 :: v_dual_add_nc_u32 v5, s4, v0
	v_add_nc_u32_e32 v0, 0x100, v0
	s_delay_alu instid0(VALU_DEP_2) | instskip(NEXT) | instid1(VALU_DEP_1)
	v_lshlrev_b64 v[5:6], 3, v[5:6]
	v_add_co_u32 v5, vcc_lo, s8, v5
	s_delay_alu instid0(VALU_DEP_2) | instskip(SKIP_2) | instid1(SALU_CYCLE_1)
	v_add_co_ci_u32_e32 v6, vcc_lo, s9, v6, vcc_lo
	global_store_b64 v[5:6], v[7:8], off
	s_or_b32 exec_lo, exec_lo, s0
	s_mov_b32 s0, exec_lo
	v_cmpx_gt_i32_e64 s6, v0
	s_cbranch_execz .LBB314_14
.LBB314_19:
	v_dual_mov_b32 v6, 0 :: v_dual_add_nc_u32 v5, s4, v0
	v_add_nc_u32_e32 v0, 0x100, v0
	s_delay_alu instid0(VALU_DEP_2) | instskip(NEXT) | instid1(VALU_DEP_1)
	v_lshlrev_b64 v[5:6], 3, v[5:6]
	v_add_co_u32 v5, vcc_lo, s8, v5
	s_delay_alu instid0(VALU_DEP_2) | instskip(SKIP_2) | instid1(SALU_CYCLE_1)
	v_add_co_ci_u32_e32 v6, vcc_lo, s9, v6, vcc_lo
	global_store_b64 v[5:6], v[3:4], off
	s_or_b32 exec_lo, exec_lo, s0
	s_mov_b32 s0, exec_lo
	v_cmpx_gt_i32_e64 s6, v0
	s_cbranch_execnz .LBB314_15
	s_branch .LBB314_16
	.section	.rodata,"a",@progbits
	.p2align	6, 0x0
	.amdhsa_kernel _ZN2at6native29vectorized_elementwise_kernelILi16EZZZNS0_17clamp_kernel_cudaERNS_18TensorIteratorBaseERKN3c106ScalarES7_ENKUlvE_clEvENKUlvE4_clEvEUldE_St5arrayIPcLm2EEEEviT0_T1_
		.amdhsa_group_segment_fixed_size 0
		.amdhsa_private_segment_fixed_size 0
		.amdhsa_kernarg_size 40
		.amdhsa_user_sgpr_count 15
		.amdhsa_user_sgpr_dispatch_ptr 0
		.amdhsa_user_sgpr_queue_ptr 0
		.amdhsa_user_sgpr_kernarg_segment_ptr 1
		.amdhsa_user_sgpr_dispatch_id 0
		.amdhsa_user_sgpr_private_segment_size 0
		.amdhsa_wavefront_size32 1
		.amdhsa_uses_dynamic_stack 0
		.amdhsa_enable_private_segment 0
		.amdhsa_system_sgpr_workgroup_id_x 1
		.amdhsa_system_sgpr_workgroup_id_y 0
		.amdhsa_system_sgpr_workgroup_id_z 0
		.amdhsa_system_sgpr_workgroup_info 0
		.amdhsa_system_vgpr_workitem_id 0
		.amdhsa_next_free_vgpr 24
		.amdhsa_next_free_sgpr 16
		.amdhsa_reserve_vcc 1
		.amdhsa_float_round_mode_32 0
		.amdhsa_float_round_mode_16_64 0
		.amdhsa_float_denorm_mode_32 3
		.amdhsa_float_denorm_mode_16_64 3
		.amdhsa_dx10_clamp 1
		.amdhsa_ieee_mode 1
		.amdhsa_fp16_overflow 0
		.amdhsa_workgroup_processor_mode 1
		.amdhsa_memory_ordered 1
		.amdhsa_forward_progress 0
		.amdhsa_shared_vgpr_count 0
		.amdhsa_exception_fp_ieee_invalid_op 0
		.amdhsa_exception_fp_denorm_src 0
		.amdhsa_exception_fp_ieee_div_zero 0
		.amdhsa_exception_fp_ieee_overflow 0
		.amdhsa_exception_fp_ieee_underflow 0
		.amdhsa_exception_fp_ieee_inexact 0
		.amdhsa_exception_int_div_zero 0
	.end_amdhsa_kernel
	.section	.text._ZN2at6native29vectorized_elementwise_kernelILi16EZZZNS0_17clamp_kernel_cudaERNS_18TensorIteratorBaseERKN3c106ScalarES7_ENKUlvE_clEvENKUlvE4_clEvEUldE_St5arrayIPcLm2EEEEviT0_T1_,"axG",@progbits,_ZN2at6native29vectorized_elementwise_kernelILi16EZZZNS0_17clamp_kernel_cudaERNS_18TensorIteratorBaseERKN3c106ScalarES7_ENKUlvE_clEvENKUlvE4_clEvEUldE_St5arrayIPcLm2EEEEviT0_T1_,comdat
.Lfunc_end314:
	.size	_ZN2at6native29vectorized_elementwise_kernelILi16EZZZNS0_17clamp_kernel_cudaERNS_18TensorIteratorBaseERKN3c106ScalarES7_ENKUlvE_clEvENKUlvE4_clEvEUldE_St5arrayIPcLm2EEEEviT0_T1_, .Lfunc_end314-_ZN2at6native29vectorized_elementwise_kernelILi16EZZZNS0_17clamp_kernel_cudaERNS_18TensorIteratorBaseERKN3c106ScalarES7_ENKUlvE_clEvENKUlvE4_clEvEUldE_St5arrayIPcLm2EEEEviT0_T1_
                                        ; -- End function
	.section	.AMDGPU.csdata,"",@progbits
; Kernel info:
; codeLenInByte = 1256
; NumSgprs: 18
; NumVgprs: 24
; ScratchSize: 0
; MemoryBound: 0
; FloatMode: 240
; IeeeMode: 1
; LDSByteSize: 0 bytes/workgroup (compile time only)
; SGPRBlocks: 2
; VGPRBlocks: 2
; NumSGPRsForWavesPerEU: 18
; NumVGPRsForWavesPerEU: 24
; Occupancy: 16
; WaveLimiterHint : 0
; COMPUTE_PGM_RSRC2:SCRATCH_EN: 0
; COMPUTE_PGM_RSRC2:USER_SGPR: 15
; COMPUTE_PGM_RSRC2:TRAP_HANDLER: 0
; COMPUTE_PGM_RSRC2:TGID_X_EN: 1
; COMPUTE_PGM_RSRC2:TGID_Y_EN: 0
; COMPUTE_PGM_RSRC2:TGID_Z_EN: 0
; COMPUTE_PGM_RSRC2:TIDIG_COMP_CNT: 0
	.section	.text._ZN2at6native29vectorized_elementwise_kernelILi8EZZZNS0_17clamp_kernel_cudaERNS_18TensorIteratorBaseERKN3c106ScalarES7_ENKUlvE_clEvENKUlvE4_clEvEUldE_St5arrayIPcLm2EEEEviT0_T1_,"axG",@progbits,_ZN2at6native29vectorized_elementwise_kernelILi8EZZZNS0_17clamp_kernel_cudaERNS_18TensorIteratorBaseERKN3c106ScalarES7_ENKUlvE_clEvENKUlvE4_clEvEUldE_St5arrayIPcLm2EEEEviT0_T1_,comdat
	.globl	_ZN2at6native29vectorized_elementwise_kernelILi8EZZZNS0_17clamp_kernel_cudaERNS_18TensorIteratorBaseERKN3c106ScalarES7_ENKUlvE_clEvENKUlvE4_clEvEUldE_St5arrayIPcLm2EEEEviT0_T1_ ; -- Begin function _ZN2at6native29vectorized_elementwise_kernelILi8EZZZNS0_17clamp_kernel_cudaERNS_18TensorIteratorBaseERKN3c106ScalarES7_ENKUlvE_clEvENKUlvE4_clEvEUldE_St5arrayIPcLm2EEEEviT0_T1_
	.p2align	8
	.type	_ZN2at6native29vectorized_elementwise_kernelILi8EZZZNS0_17clamp_kernel_cudaERNS_18TensorIteratorBaseERKN3c106ScalarES7_ENKUlvE_clEvENKUlvE4_clEvEUldE_St5arrayIPcLm2EEEEviT0_T1_,@function
_ZN2at6native29vectorized_elementwise_kernelILi8EZZZNS0_17clamp_kernel_cudaERNS_18TensorIteratorBaseERKN3c106ScalarES7_ENKUlvE_clEvENKUlvE4_clEvEUldE_St5arrayIPcLm2EEEEviT0_T1_: ; @_ZN2at6native29vectorized_elementwise_kernelILi8EZZZNS0_17clamp_kernel_cudaERNS_18TensorIteratorBaseERKN3c106ScalarES7_ENKUlvE_clEvENKUlvE4_clEvEUldE_St5arrayIPcLm2EEEEviT0_T1_
; %bb.0:
	s_clause 0x1
	s_load_b256 s[4:11], s[0:1], 0x8
	s_load_b32 s0, s[0:1], 0x0
	s_waitcnt lgkmcnt(0)
	v_max_f64 v[3:4], s[4:5], s[4:5]
	v_max_f64 v[1:2], s[6:7], s[6:7]
	s_lshl_b32 s4, s15, 10
	s_delay_alu instid0(SALU_CYCLE_1)
	s_sub_i32 s6, s0, s4
	s_mov_b32 s0, -1
	s_cmpk_gt_i32 s6, 0x3ff
	s_cbranch_scc0 .LBB315_2
; %bb.1:
	s_ashr_i32 s5, s4, 31
	v_lshlrev_b32_e32 v21, 5, v0
	s_lshl_b64 s[12:13], s[4:5], 3
	s_delay_alu instid0(SALU_CYCLE_1)
	s_add_u32 s0, s10, s12
	s_addc_u32 s1, s11, s13
	s_clause 0x1
	global_load_b128 v[5:8], v21, s[0:1]
	global_load_b128 v[9:12], v21, s[0:1] offset:16
	s_waitcnt vmcnt(1)
	v_max_f64 v[13:14], v[5:6], v[5:6]
	v_max_f64 v[15:16], v[7:8], v[7:8]
	s_waitcnt vmcnt(0)
	v_max_f64 v[17:18], v[9:10], v[9:10]
	v_max_f64 v[19:20], v[11:12], v[11:12]
	v_cmp_u_f64_e32 vcc_lo, v[5:6], v[5:6]
	v_cmp_u_f64_e64 s0, v[7:8], v[7:8]
	v_cmp_u_f64_e64 s1, v[9:10], v[9:10]
	;; [unrolled: 1-line block ×3, first 2 shown]
	v_max_f64 v[13:14], v[13:14], v[3:4]
	v_max_f64 v[15:16], v[15:16], v[3:4]
	;; [unrolled: 1-line block ×4, first 2 shown]
	s_delay_alu instid0(VALU_DEP_4) | instskip(NEXT) | instid1(VALU_DEP_4)
	v_min_f64 v[13:14], v[13:14], v[1:2]
	v_min_f64 v[15:16], v[15:16], v[1:2]
	s_delay_alu instid0(VALU_DEP_4) | instskip(NEXT) | instid1(VALU_DEP_4)
	v_min_f64 v[17:18], v[17:18], v[1:2]
	v_min_f64 v[19:20], v[19:20], v[1:2]
	s_delay_alu instid0(VALU_DEP_4) | instskip(NEXT) | instid1(VALU_DEP_4)
	v_dual_cndmask_b32 v6, v14, v6 :: v_dual_cndmask_b32 v5, v13, v5
	v_cndmask_b32_e64 v8, v16, v8, s0
	v_cndmask_b32_e64 v7, v15, v7, s0
	;; [unrolled: 1-line block ×6, first 2 shown]
	s_add_u32 s2, s8, s12
	s_addc_u32 s3, s9, s13
	s_mov_b32 s0, 0
	s_clause 0x1
	global_store_b128 v21, v[5:8], s[2:3]
	global_store_b128 v21, v[9:12], s[2:3] offset:16
.LBB315_2:
	s_and_not1_b32 vcc_lo, exec_lo, s0
	s_cbranch_vccnz .LBB315_16
; %bb.3:
	v_dual_mov_b32 v7, 0 :: v_dual_mov_b32 v6, v0
	v_mov_b32_e32 v8, 0
	v_cmp_gt_i32_e32 vcc_lo, s6, v0
	v_or_b32_e32 v5, s4, v0
	v_or_b32_e32 v15, 0x100, v0
	s_delay_alu instid0(VALU_DEP_4)
	v_dual_mov_b32 v10, v8 :: v_dual_mov_b32 v9, v7
	s_and_saveexec_b32 s1, vcc_lo
	s_cbranch_execz .LBB315_5
; %bb.4:
	v_mov_b32_e32 v6, 0
	s_delay_alu instid0(VALU_DEP_1) | instskip(SKIP_1) | instid1(VALU_DEP_2)
	v_lshlrev_b64 v[9:10], 3, v[5:6]
	v_or_b32_e32 v6, 0x100, v0
	v_add_co_u32 v9, s0, s10, v9
	s_delay_alu instid0(VALU_DEP_1)
	v_add_co_ci_u32_e64 v10, s0, s11, v10, s0
	global_load_b64 v[9:10], v[9:10], off
.LBB315_5:
	s_or_b32 exec_lo, exec_lo, s1
	s_delay_alu instid0(SALU_CYCLE_1)
	s_mov_b32 s1, exec_lo
	v_cmpx_gt_i32_e64 s6, v6
	s_cbranch_execz .LBB315_7
; %bb.6:
	v_dual_mov_b32 v8, 0 :: v_dual_add_nc_u32 v7, s4, v6
	v_add_nc_u32_e32 v6, 0x100, v6
	s_delay_alu instid0(VALU_DEP_2) | instskip(NEXT) | instid1(VALU_DEP_1)
	v_lshlrev_b64 v[7:8], 3, v[7:8]
	v_add_co_u32 v7, s0, s10, v7
	s_delay_alu instid0(VALU_DEP_1)
	v_add_co_ci_u32_e64 v8, s0, s11, v8, s0
	global_load_b64 v[7:8], v[7:8], off
.LBB315_7:
	s_or_b32 exec_lo, exec_lo, s1
	v_mov_b32_e32 v11, 0
	v_mov_b32_e32 v12, 0
	s_mov_b32 s1, exec_lo
	s_delay_alu instid0(VALU_DEP_1)
	v_dual_mov_b32 v14, v12 :: v_dual_mov_b32 v13, v11
	v_cmpx_gt_i32_e64 s6, v6
	s_cbranch_execz .LBB315_9
; %bb.8:
	v_dual_mov_b32 v14, 0 :: v_dual_add_nc_u32 v13, s4, v6
	v_add_nc_u32_e32 v6, 0x100, v6
	s_delay_alu instid0(VALU_DEP_2) | instskip(NEXT) | instid1(VALU_DEP_1)
	v_lshlrev_b64 v[13:14], 3, v[13:14]
	v_add_co_u32 v13, s0, s10, v13
	s_delay_alu instid0(VALU_DEP_1)
	v_add_co_ci_u32_e64 v14, s0, s11, v14, s0
	global_load_b64 v[13:14], v[13:14], off
.LBB315_9:
	s_or_b32 exec_lo, exec_lo, s1
	s_delay_alu instid0(SALU_CYCLE_1)
	s_mov_b32 s1, exec_lo
	v_cmpx_gt_i32_e64 s6, v6
	s_cbranch_execz .LBB315_11
; %bb.10:
	v_dual_mov_b32 v12, 0 :: v_dual_add_nc_u32 v11, s4, v6
	s_delay_alu instid0(VALU_DEP_1) | instskip(NEXT) | instid1(VALU_DEP_1)
	v_lshlrev_b64 v[11:12], 3, v[11:12]
	v_add_co_u32 v11, s0, s10, v11
	s_delay_alu instid0(VALU_DEP_1)
	v_add_co_ci_u32_e64 v12, s0, s11, v12, s0
	global_load_b64 v[11:12], v[11:12], off
.LBB315_11:
	s_or_b32 exec_lo, exec_lo, s1
	s_waitcnt vmcnt(0)
	v_max_f64 v[16:17], v[9:10], v[9:10]
	v_max_f64 v[18:19], v[7:8], v[7:8]
	;; [unrolled: 1-line block ×4, first 2 shown]
	v_cmp_u_f64_e64 s0, v[9:10], v[9:10]
	v_cmp_u_f64_e64 s1, v[7:8], v[7:8]
	;; [unrolled: 1-line block ×4, first 2 shown]
	v_max_f64 v[16:17], v[16:17], v[3:4]
	v_max_f64 v[18:19], v[18:19], v[3:4]
	;; [unrolled: 1-line block ×4, first 2 shown]
	s_delay_alu instid0(VALU_DEP_4) | instskip(NEXT) | instid1(VALU_DEP_4)
	v_min_f64 v[16:17], v[16:17], v[1:2]
	v_min_f64 v[18:19], v[18:19], v[1:2]
	s_delay_alu instid0(VALU_DEP_4) | instskip(NEXT) | instid1(VALU_DEP_4)
	v_min_f64 v[20:21], v[20:21], v[1:2]
	v_min_f64 v[1:2], v[3:4], v[1:2]
	s_delay_alu instid0(VALU_DEP_4)
	v_cndmask_b32_e64 v10, v17, v10, s0
	v_cndmask_b32_e64 v9, v16, v9, s0
	;; [unrolled: 1-line block ×8, first 2 shown]
	s_and_saveexec_b32 s0, vcc_lo
	s_cbranch_execnz .LBB315_17
; %bb.12:
	s_or_b32 exec_lo, exec_lo, s0
	s_delay_alu instid0(SALU_CYCLE_1)
	s_mov_b32 s0, exec_lo
	v_cmpx_gt_i32_e64 s6, v0
	s_cbranch_execnz .LBB315_18
.LBB315_13:
	s_or_b32 exec_lo, exec_lo, s0
	s_delay_alu instid0(SALU_CYCLE_1)
	s_mov_b32 s0, exec_lo
	v_cmpx_gt_i32_e64 s6, v0
	s_cbranch_execnz .LBB315_19
.LBB315_14:
	s_or_b32 exec_lo, exec_lo, s0
	s_delay_alu instid0(SALU_CYCLE_1)
	s_mov_b32 s0, exec_lo
	v_cmpx_gt_i32_e64 s6, v0
	s_cbranch_execz .LBB315_16
.LBB315_15:
	v_dual_mov_b32 v4, 0 :: v_dual_add_nc_u32 v3, s4, v0
	s_delay_alu instid0(VALU_DEP_1) | instskip(NEXT) | instid1(VALU_DEP_1)
	v_lshlrev_b64 v[3:4], 3, v[3:4]
	v_add_co_u32 v3, vcc_lo, s8, v3
	s_delay_alu instid0(VALU_DEP_2)
	v_add_co_ci_u32_e32 v4, vcc_lo, s9, v4, vcc_lo
	global_store_b64 v[3:4], v[1:2], off
.LBB315_16:
	s_nop 0
	s_sendmsg sendmsg(MSG_DEALLOC_VGPRS)
	s_endpgm
.LBB315_17:
	v_mov_b32_e32 v6, 0
	v_mov_b32_e32 v0, v15
	s_delay_alu instid0(VALU_DEP_2) | instskip(NEXT) | instid1(VALU_DEP_1)
	v_lshlrev_b64 v[5:6], 3, v[5:6]
	v_add_co_u32 v5, vcc_lo, s8, v5
	s_delay_alu instid0(VALU_DEP_2) | instskip(SKIP_2) | instid1(SALU_CYCLE_1)
	v_add_co_ci_u32_e32 v6, vcc_lo, s9, v6, vcc_lo
	global_store_b64 v[5:6], v[9:10], off
	s_or_b32 exec_lo, exec_lo, s0
	s_mov_b32 s0, exec_lo
	v_cmpx_gt_i32_e64 s6, v0
	s_cbranch_execz .LBB315_13
.LBB315_18:
	v_dual_mov_b32 v6, 0 :: v_dual_add_nc_u32 v5, s4, v0
	v_add_nc_u32_e32 v0, 0x100, v0
	s_delay_alu instid0(VALU_DEP_2) | instskip(NEXT) | instid1(VALU_DEP_1)
	v_lshlrev_b64 v[5:6], 3, v[5:6]
	v_add_co_u32 v5, vcc_lo, s8, v5
	s_delay_alu instid0(VALU_DEP_2) | instskip(SKIP_2) | instid1(SALU_CYCLE_1)
	v_add_co_ci_u32_e32 v6, vcc_lo, s9, v6, vcc_lo
	global_store_b64 v[5:6], v[7:8], off
	s_or_b32 exec_lo, exec_lo, s0
	s_mov_b32 s0, exec_lo
	v_cmpx_gt_i32_e64 s6, v0
	s_cbranch_execz .LBB315_14
.LBB315_19:
	v_dual_mov_b32 v6, 0 :: v_dual_add_nc_u32 v5, s4, v0
	v_add_nc_u32_e32 v0, 0x100, v0
	s_delay_alu instid0(VALU_DEP_2) | instskip(NEXT) | instid1(VALU_DEP_1)
	v_lshlrev_b64 v[5:6], 3, v[5:6]
	v_add_co_u32 v5, vcc_lo, s8, v5
	s_delay_alu instid0(VALU_DEP_2) | instskip(SKIP_2) | instid1(SALU_CYCLE_1)
	v_add_co_ci_u32_e32 v6, vcc_lo, s9, v6, vcc_lo
	global_store_b64 v[5:6], v[3:4], off
	s_or_b32 exec_lo, exec_lo, s0
	s_mov_b32 s0, exec_lo
	v_cmpx_gt_i32_e64 s6, v0
	s_cbranch_execnz .LBB315_15
	s_branch .LBB315_16
	.section	.rodata,"a",@progbits
	.p2align	6, 0x0
	.amdhsa_kernel _ZN2at6native29vectorized_elementwise_kernelILi8EZZZNS0_17clamp_kernel_cudaERNS_18TensorIteratorBaseERKN3c106ScalarES7_ENKUlvE_clEvENKUlvE4_clEvEUldE_St5arrayIPcLm2EEEEviT0_T1_
		.amdhsa_group_segment_fixed_size 0
		.amdhsa_private_segment_fixed_size 0
		.amdhsa_kernarg_size 40
		.amdhsa_user_sgpr_count 15
		.amdhsa_user_sgpr_dispatch_ptr 0
		.amdhsa_user_sgpr_queue_ptr 0
		.amdhsa_user_sgpr_kernarg_segment_ptr 1
		.amdhsa_user_sgpr_dispatch_id 0
		.amdhsa_user_sgpr_private_segment_size 0
		.amdhsa_wavefront_size32 1
		.amdhsa_uses_dynamic_stack 0
		.amdhsa_enable_private_segment 0
		.amdhsa_system_sgpr_workgroup_id_x 1
		.amdhsa_system_sgpr_workgroup_id_y 0
		.amdhsa_system_sgpr_workgroup_id_z 0
		.amdhsa_system_sgpr_workgroup_info 0
		.amdhsa_system_vgpr_workitem_id 0
		.amdhsa_next_free_vgpr 24
		.amdhsa_next_free_sgpr 16
		.amdhsa_reserve_vcc 1
		.amdhsa_float_round_mode_32 0
		.amdhsa_float_round_mode_16_64 0
		.amdhsa_float_denorm_mode_32 3
		.amdhsa_float_denorm_mode_16_64 3
		.amdhsa_dx10_clamp 1
		.amdhsa_ieee_mode 1
		.amdhsa_fp16_overflow 0
		.amdhsa_workgroup_processor_mode 1
		.amdhsa_memory_ordered 1
		.amdhsa_forward_progress 0
		.amdhsa_shared_vgpr_count 0
		.amdhsa_exception_fp_ieee_invalid_op 0
		.amdhsa_exception_fp_denorm_src 0
		.amdhsa_exception_fp_ieee_div_zero 0
		.amdhsa_exception_fp_ieee_overflow 0
		.amdhsa_exception_fp_ieee_underflow 0
		.amdhsa_exception_fp_ieee_inexact 0
		.amdhsa_exception_int_div_zero 0
	.end_amdhsa_kernel
	.section	.text._ZN2at6native29vectorized_elementwise_kernelILi8EZZZNS0_17clamp_kernel_cudaERNS_18TensorIteratorBaseERKN3c106ScalarES7_ENKUlvE_clEvENKUlvE4_clEvEUldE_St5arrayIPcLm2EEEEviT0_T1_,"axG",@progbits,_ZN2at6native29vectorized_elementwise_kernelILi8EZZZNS0_17clamp_kernel_cudaERNS_18TensorIteratorBaseERKN3c106ScalarES7_ENKUlvE_clEvENKUlvE4_clEvEUldE_St5arrayIPcLm2EEEEviT0_T1_,comdat
.Lfunc_end315:
	.size	_ZN2at6native29vectorized_elementwise_kernelILi8EZZZNS0_17clamp_kernel_cudaERNS_18TensorIteratorBaseERKN3c106ScalarES7_ENKUlvE_clEvENKUlvE4_clEvEUldE_St5arrayIPcLm2EEEEviT0_T1_, .Lfunc_end315-_ZN2at6native29vectorized_elementwise_kernelILi8EZZZNS0_17clamp_kernel_cudaERNS_18TensorIteratorBaseERKN3c106ScalarES7_ENKUlvE_clEvENKUlvE4_clEvEUldE_St5arrayIPcLm2EEEEviT0_T1_
                                        ; -- End function
	.section	.AMDGPU.csdata,"",@progbits
; Kernel info:
; codeLenInByte = 1256
; NumSgprs: 18
; NumVgprs: 24
; ScratchSize: 0
; MemoryBound: 0
; FloatMode: 240
; IeeeMode: 1
; LDSByteSize: 0 bytes/workgroup (compile time only)
; SGPRBlocks: 2
; VGPRBlocks: 2
; NumSGPRsForWavesPerEU: 18
; NumVGPRsForWavesPerEU: 24
; Occupancy: 16
; WaveLimiterHint : 0
; COMPUTE_PGM_RSRC2:SCRATCH_EN: 0
; COMPUTE_PGM_RSRC2:USER_SGPR: 15
; COMPUTE_PGM_RSRC2:TRAP_HANDLER: 0
; COMPUTE_PGM_RSRC2:TGID_X_EN: 1
; COMPUTE_PGM_RSRC2:TGID_Y_EN: 0
; COMPUTE_PGM_RSRC2:TGID_Z_EN: 0
; COMPUTE_PGM_RSRC2:TIDIG_COMP_CNT: 0
	.section	.text._ZN2at6native29vectorized_elementwise_kernelILi4EZZZNS0_17clamp_kernel_cudaERNS_18TensorIteratorBaseERKN3c106ScalarES7_ENKUlvE_clEvENKUlvE4_clEvEUldE_St5arrayIPcLm2EEEEviT0_T1_,"axG",@progbits,_ZN2at6native29vectorized_elementwise_kernelILi4EZZZNS0_17clamp_kernel_cudaERNS_18TensorIteratorBaseERKN3c106ScalarES7_ENKUlvE_clEvENKUlvE4_clEvEUldE_St5arrayIPcLm2EEEEviT0_T1_,comdat
	.globl	_ZN2at6native29vectorized_elementwise_kernelILi4EZZZNS0_17clamp_kernel_cudaERNS_18TensorIteratorBaseERKN3c106ScalarES7_ENKUlvE_clEvENKUlvE4_clEvEUldE_St5arrayIPcLm2EEEEviT0_T1_ ; -- Begin function _ZN2at6native29vectorized_elementwise_kernelILi4EZZZNS0_17clamp_kernel_cudaERNS_18TensorIteratorBaseERKN3c106ScalarES7_ENKUlvE_clEvENKUlvE4_clEvEUldE_St5arrayIPcLm2EEEEviT0_T1_
	.p2align	8
	.type	_ZN2at6native29vectorized_elementwise_kernelILi4EZZZNS0_17clamp_kernel_cudaERNS_18TensorIteratorBaseERKN3c106ScalarES7_ENKUlvE_clEvENKUlvE4_clEvEUldE_St5arrayIPcLm2EEEEviT0_T1_,@function
_ZN2at6native29vectorized_elementwise_kernelILi4EZZZNS0_17clamp_kernel_cudaERNS_18TensorIteratorBaseERKN3c106ScalarES7_ENKUlvE_clEvENKUlvE4_clEvEUldE_St5arrayIPcLm2EEEEviT0_T1_: ; @_ZN2at6native29vectorized_elementwise_kernelILi4EZZZNS0_17clamp_kernel_cudaERNS_18TensorIteratorBaseERKN3c106ScalarES7_ENKUlvE_clEvENKUlvE4_clEvEUldE_St5arrayIPcLm2EEEEviT0_T1_
; %bb.0:
	s_clause 0x1
	s_load_b256 s[4:11], s[0:1], 0x8
	s_load_b32 s0, s[0:1], 0x0
	s_waitcnt lgkmcnt(0)
	v_max_f64 v[3:4], s[4:5], s[4:5]
	v_max_f64 v[1:2], s[6:7], s[6:7]
	s_lshl_b32 s4, s15, 10
	s_delay_alu instid0(SALU_CYCLE_1)
	s_sub_i32 s6, s0, s4
	s_mov_b32 s0, -1
	s_cmpk_gt_i32 s6, 0x3ff
	s_cbranch_scc0 .LBB316_2
; %bb.1:
	s_ashr_i32 s5, s4, 31
	v_lshlrev_b32_e32 v21, 5, v0
	s_lshl_b64 s[12:13], s[4:5], 3
	s_delay_alu instid0(SALU_CYCLE_1)
	s_add_u32 s0, s10, s12
	s_addc_u32 s1, s11, s13
	s_clause 0x1
	global_load_b128 v[5:8], v21, s[0:1]
	global_load_b128 v[9:12], v21, s[0:1] offset:16
	s_waitcnt vmcnt(1)
	v_max_f64 v[13:14], v[5:6], v[5:6]
	v_max_f64 v[15:16], v[7:8], v[7:8]
	s_waitcnt vmcnt(0)
	v_max_f64 v[17:18], v[9:10], v[9:10]
	v_max_f64 v[19:20], v[11:12], v[11:12]
	v_cmp_u_f64_e32 vcc_lo, v[5:6], v[5:6]
	v_cmp_u_f64_e64 s0, v[7:8], v[7:8]
	v_cmp_u_f64_e64 s1, v[9:10], v[9:10]
	;; [unrolled: 1-line block ×3, first 2 shown]
	v_max_f64 v[13:14], v[13:14], v[3:4]
	v_max_f64 v[15:16], v[15:16], v[3:4]
	;; [unrolled: 1-line block ×4, first 2 shown]
	s_delay_alu instid0(VALU_DEP_4) | instskip(NEXT) | instid1(VALU_DEP_4)
	v_min_f64 v[13:14], v[13:14], v[1:2]
	v_min_f64 v[15:16], v[15:16], v[1:2]
	s_delay_alu instid0(VALU_DEP_4) | instskip(NEXT) | instid1(VALU_DEP_4)
	v_min_f64 v[17:18], v[17:18], v[1:2]
	v_min_f64 v[19:20], v[19:20], v[1:2]
	s_delay_alu instid0(VALU_DEP_4) | instskip(NEXT) | instid1(VALU_DEP_4)
	v_dual_cndmask_b32 v6, v14, v6 :: v_dual_cndmask_b32 v5, v13, v5
	v_cndmask_b32_e64 v8, v16, v8, s0
	v_cndmask_b32_e64 v7, v15, v7, s0
	;; [unrolled: 1-line block ×6, first 2 shown]
	s_add_u32 s2, s8, s12
	s_addc_u32 s3, s9, s13
	s_mov_b32 s0, 0
	s_clause 0x1
	global_store_b128 v21, v[5:8], s[2:3]
	global_store_b128 v21, v[9:12], s[2:3] offset:16
.LBB316_2:
	s_and_not1_b32 vcc_lo, exec_lo, s0
	s_cbranch_vccnz .LBB316_16
; %bb.3:
	v_dual_mov_b32 v7, 0 :: v_dual_mov_b32 v6, v0
	v_mov_b32_e32 v8, 0
	v_cmp_gt_i32_e32 vcc_lo, s6, v0
	v_or_b32_e32 v5, s4, v0
	v_or_b32_e32 v15, 0x100, v0
	s_delay_alu instid0(VALU_DEP_4)
	v_dual_mov_b32 v10, v8 :: v_dual_mov_b32 v9, v7
	s_and_saveexec_b32 s1, vcc_lo
	s_cbranch_execz .LBB316_5
; %bb.4:
	v_mov_b32_e32 v6, 0
	s_delay_alu instid0(VALU_DEP_1) | instskip(SKIP_1) | instid1(VALU_DEP_2)
	v_lshlrev_b64 v[9:10], 3, v[5:6]
	v_or_b32_e32 v6, 0x100, v0
	v_add_co_u32 v9, s0, s10, v9
	s_delay_alu instid0(VALU_DEP_1)
	v_add_co_ci_u32_e64 v10, s0, s11, v10, s0
	global_load_b64 v[9:10], v[9:10], off
.LBB316_5:
	s_or_b32 exec_lo, exec_lo, s1
	s_delay_alu instid0(SALU_CYCLE_1)
	s_mov_b32 s1, exec_lo
	v_cmpx_gt_i32_e64 s6, v6
	s_cbranch_execz .LBB316_7
; %bb.6:
	v_dual_mov_b32 v8, 0 :: v_dual_add_nc_u32 v7, s4, v6
	v_add_nc_u32_e32 v6, 0x100, v6
	s_delay_alu instid0(VALU_DEP_2) | instskip(NEXT) | instid1(VALU_DEP_1)
	v_lshlrev_b64 v[7:8], 3, v[7:8]
	v_add_co_u32 v7, s0, s10, v7
	s_delay_alu instid0(VALU_DEP_1)
	v_add_co_ci_u32_e64 v8, s0, s11, v8, s0
	global_load_b64 v[7:8], v[7:8], off
.LBB316_7:
	s_or_b32 exec_lo, exec_lo, s1
	v_mov_b32_e32 v11, 0
	v_mov_b32_e32 v12, 0
	s_mov_b32 s1, exec_lo
	s_delay_alu instid0(VALU_DEP_1)
	v_dual_mov_b32 v14, v12 :: v_dual_mov_b32 v13, v11
	v_cmpx_gt_i32_e64 s6, v6
	s_cbranch_execz .LBB316_9
; %bb.8:
	v_dual_mov_b32 v14, 0 :: v_dual_add_nc_u32 v13, s4, v6
	v_add_nc_u32_e32 v6, 0x100, v6
	s_delay_alu instid0(VALU_DEP_2) | instskip(NEXT) | instid1(VALU_DEP_1)
	v_lshlrev_b64 v[13:14], 3, v[13:14]
	v_add_co_u32 v13, s0, s10, v13
	s_delay_alu instid0(VALU_DEP_1)
	v_add_co_ci_u32_e64 v14, s0, s11, v14, s0
	global_load_b64 v[13:14], v[13:14], off
.LBB316_9:
	s_or_b32 exec_lo, exec_lo, s1
	s_delay_alu instid0(SALU_CYCLE_1)
	s_mov_b32 s1, exec_lo
	v_cmpx_gt_i32_e64 s6, v6
	s_cbranch_execz .LBB316_11
; %bb.10:
	v_dual_mov_b32 v12, 0 :: v_dual_add_nc_u32 v11, s4, v6
	s_delay_alu instid0(VALU_DEP_1) | instskip(NEXT) | instid1(VALU_DEP_1)
	v_lshlrev_b64 v[11:12], 3, v[11:12]
	v_add_co_u32 v11, s0, s10, v11
	s_delay_alu instid0(VALU_DEP_1)
	v_add_co_ci_u32_e64 v12, s0, s11, v12, s0
	global_load_b64 v[11:12], v[11:12], off
.LBB316_11:
	s_or_b32 exec_lo, exec_lo, s1
	s_waitcnt vmcnt(0)
	v_max_f64 v[16:17], v[9:10], v[9:10]
	v_max_f64 v[18:19], v[7:8], v[7:8]
	;; [unrolled: 1-line block ×4, first 2 shown]
	v_cmp_u_f64_e64 s0, v[9:10], v[9:10]
	v_cmp_u_f64_e64 s1, v[7:8], v[7:8]
	;; [unrolled: 1-line block ×4, first 2 shown]
	v_max_f64 v[16:17], v[16:17], v[3:4]
	v_max_f64 v[18:19], v[18:19], v[3:4]
	;; [unrolled: 1-line block ×4, first 2 shown]
	s_delay_alu instid0(VALU_DEP_4) | instskip(NEXT) | instid1(VALU_DEP_4)
	v_min_f64 v[16:17], v[16:17], v[1:2]
	v_min_f64 v[18:19], v[18:19], v[1:2]
	s_delay_alu instid0(VALU_DEP_4) | instskip(NEXT) | instid1(VALU_DEP_4)
	v_min_f64 v[20:21], v[20:21], v[1:2]
	v_min_f64 v[1:2], v[3:4], v[1:2]
	s_delay_alu instid0(VALU_DEP_4)
	v_cndmask_b32_e64 v10, v17, v10, s0
	v_cndmask_b32_e64 v9, v16, v9, s0
	;; [unrolled: 1-line block ×8, first 2 shown]
	s_and_saveexec_b32 s0, vcc_lo
	s_cbranch_execnz .LBB316_17
; %bb.12:
	s_or_b32 exec_lo, exec_lo, s0
	s_delay_alu instid0(SALU_CYCLE_1)
	s_mov_b32 s0, exec_lo
	v_cmpx_gt_i32_e64 s6, v0
	s_cbranch_execnz .LBB316_18
.LBB316_13:
	s_or_b32 exec_lo, exec_lo, s0
	s_delay_alu instid0(SALU_CYCLE_1)
	s_mov_b32 s0, exec_lo
	v_cmpx_gt_i32_e64 s6, v0
	s_cbranch_execnz .LBB316_19
.LBB316_14:
	s_or_b32 exec_lo, exec_lo, s0
	s_delay_alu instid0(SALU_CYCLE_1)
	s_mov_b32 s0, exec_lo
	v_cmpx_gt_i32_e64 s6, v0
	s_cbranch_execz .LBB316_16
.LBB316_15:
	v_dual_mov_b32 v4, 0 :: v_dual_add_nc_u32 v3, s4, v0
	s_delay_alu instid0(VALU_DEP_1) | instskip(NEXT) | instid1(VALU_DEP_1)
	v_lshlrev_b64 v[3:4], 3, v[3:4]
	v_add_co_u32 v3, vcc_lo, s8, v3
	s_delay_alu instid0(VALU_DEP_2)
	v_add_co_ci_u32_e32 v4, vcc_lo, s9, v4, vcc_lo
	global_store_b64 v[3:4], v[1:2], off
.LBB316_16:
	s_nop 0
	s_sendmsg sendmsg(MSG_DEALLOC_VGPRS)
	s_endpgm
.LBB316_17:
	v_mov_b32_e32 v6, 0
	v_mov_b32_e32 v0, v15
	s_delay_alu instid0(VALU_DEP_2) | instskip(NEXT) | instid1(VALU_DEP_1)
	v_lshlrev_b64 v[5:6], 3, v[5:6]
	v_add_co_u32 v5, vcc_lo, s8, v5
	s_delay_alu instid0(VALU_DEP_2) | instskip(SKIP_2) | instid1(SALU_CYCLE_1)
	v_add_co_ci_u32_e32 v6, vcc_lo, s9, v6, vcc_lo
	global_store_b64 v[5:6], v[9:10], off
	s_or_b32 exec_lo, exec_lo, s0
	s_mov_b32 s0, exec_lo
	v_cmpx_gt_i32_e64 s6, v0
	s_cbranch_execz .LBB316_13
.LBB316_18:
	v_dual_mov_b32 v6, 0 :: v_dual_add_nc_u32 v5, s4, v0
	v_add_nc_u32_e32 v0, 0x100, v0
	s_delay_alu instid0(VALU_DEP_2) | instskip(NEXT) | instid1(VALU_DEP_1)
	v_lshlrev_b64 v[5:6], 3, v[5:6]
	v_add_co_u32 v5, vcc_lo, s8, v5
	s_delay_alu instid0(VALU_DEP_2) | instskip(SKIP_2) | instid1(SALU_CYCLE_1)
	v_add_co_ci_u32_e32 v6, vcc_lo, s9, v6, vcc_lo
	global_store_b64 v[5:6], v[7:8], off
	s_or_b32 exec_lo, exec_lo, s0
	s_mov_b32 s0, exec_lo
	v_cmpx_gt_i32_e64 s6, v0
	s_cbranch_execz .LBB316_14
.LBB316_19:
	v_dual_mov_b32 v6, 0 :: v_dual_add_nc_u32 v5, s4, v0
	v_add_nc_u32_e32 v0, 0x100, v0
	s_delay_alu instid0(VALU_DEP_2) | instskip(NEXT) | instid1(VALU_DEP_1)
	v_lshlrev_b64 v[5:6], 3, v[5:6]
	v_add_co_u32 v5, vcc_lo, s8, v5
	s_delay_alu instid0(VALU_DEP_2) | instskip(SKIP_2) | instid1(SALU_CYCLE_1)
	v_add_co_ci_u32_e32 v6, vcc_lo, s9, v6, vcc_lo
	global_store_b64 v[5:6], v[3:4], off
	s_or_b32 exec_lo, exec_lo, s0
	s_mov_b32 s0, exec_lo
	v_cmpx_gt_i32_e64 s6, v0
	s_cbranch_execnz .LBB316_15
	s_branch .LBB316_16
	.section	.rodata,"a",@progbits
	.p2align	6, 0x0
	.amdhsa_kernel _ZN2at6native29vectorized_elementwise_kernelILi4EZZZNS0_17clamp_kernel_cudaERNS_18TensorIteratorBaseERKN3c106ScalarES7_ENKUlvE_clEvENKUlvE4_clEvEUldE_St5arrayIPcLm2EEEEviT0_T1_
		.amdhsa_group_segment_fixed_size 0
		.amdhsa_private_segment_fixed_size 0
		.amdhsa_kernarg_size 40
		.amdhsa_user_sgpr_count 15
		.amdhsa_user_sgpr_dispatch_ptr 0
		.amdhsa_user_sgpr_queue_ptr 0
		.amdhsa_user_sgpr_kernarg_segment_ptr 1
		.amdhsa_user_sgpr_dispatch_id 0
		.amdhsa_user_sgpr_private_segment_size 0
		.amdhsa_wavefront_size32 1
		.amdhsa_uses_dynamic_stack 0
		.amdhsa_enable_private_segment 0
		.amdhsa_system_sgpr_workgroup_id_x 1
		.amdhsa_system_sgpr_workgroup_id_y 0
		.amdhsa_system_sgpr_workgroup_id_z 0
		.amdhsa_system_sgpr_workgroup_info 0
		.amdhsa_system_vgpr_workitem_id 0
		.amdhsa_next_free_vgpr 24
		.amdhsa_next_free_sgpr 16
		.amdhsa_reserve_vcc 1
		.amdhsa_float_round_mode_32 0
		.amdhsa_float_round_mode_16_64 0
		.amdhsa_float_denorm_mode_32 3
		.amdhsa_float_denorm_mode_16_64 3
		.amdhsa_dx10_clamp 1
		.amdhsa_ieee_mode 1
		.amdhsa_fp16_overflow 0
		.amdhsa_workgroup_processor_mode 1
		.amdhsa_memory_ordered 1
		.amdhsa_forward_progress 0
		.amdhsa_shared_vgpr_count 0
		.amdhsa_exception_fp_ieee_invalid_op 0
		.amdhsa_exception_fp_denorm_src 0
		.amdhsa_exception_fp_ieee_div_zero 0
		.amdhsa_exception_fp_ieee_overflow 0
		.amdhsa_exception_fp_ieee_underflow 0
		.amdhsa_exception_fp_ieee_inexact 0
		.amdhsa_exception_int_div_zero 0
	.end_amdhsa_kernel
	.section	.text._ZN2at6native29vectorized_elementwise_kernelILi4EZZZNS0_17clamp_kernel_cudaERNS_18TensorIteratorBaseERKN3c106ScalarES7_ENKUlvE_clEvENKUlvE4_clEvEUldE_St5arrayIPcLm2EEEEviT0_T1_,"axG",@progbits,_ZN2at6native29vectorized_elementwise_kernelILi4EZZZNS0_17clamp_kernel_cudaERNS_18TensorIteratorBaseERKN3c106ScalarES7_ENKUlvE_clEvENKUlvE4_clEvEUldE_St5arrayIPcLm2EEEEviT0_T1_,comdat
.Lfunc_end316:
	.size	_ZN2at6native29vectorized_elementwise_kernelILi4EZZZNS0_17clamp_kernel_cudaERNS_18TensorIteratorBaseERKN3c106ScalarES7_ENKUlvE_clEvENKUlvE4_clEvEUldE_St5arrayIPcLm2EEEEviT0_T1_, .Lfunc_end316-_ZN2at6native29vectorized_elementwise_kernelILi4EZZZNS0_17clamp_kernel_cudaERNS_18TensorIteratorBaseERKN3c106ScalarES7_ENKUlvE_clEvENKUlvE4_clEvEUldE_St5arrayIPcLm2EEEEviT0_T1_
                                        ; -- End function
	.section	.AMDGPU.csdata,"",@progbits
; Kernel info:
; codeLenInByte = 1256
; NumSgprs: 18
; NumVgprs: 24
; ScratchSize: 0
; MemoryBound: 0
; FloatMode: 240
; IeeeMode: 1
; LDSByteSize: 0 bytes/workgroup (compile time only)
; SGPRBlocks: 2
; VGPRBlocks: 2
; NumSGPRsForWavesPerEU: 18
; NumVGPRsForWavesPerEU: 24
; Occupancy: 16
; WaveLimiterHint : 0
; COMPUTE_PGM_RSRC2:SCRATCH_EN: 0
; COMPUTE_PGM_RSRC2:USER_SGPR: 15
; COMPUTE_PGM_RSRC2:TRAP_HANDLER: 0
; COMPUTE_PGM_RSRC2:TGID_X_EN: 1
; COMPUTE_PGM_RSRC2:TGID_Y_EN: 0
; COMPUTE_PGM_RSRC2:TGID_Z_EN: 0
; COMPUTE_PGM_RSRC2:TIDIG_COMP_CNT: 0
	.section	.text._ZN2at6native29vectorized_elementwise_kernelILi2EZZZNS0_17clamp_kernel_cudaERNS_18TensorIteratorBaseERKN3c106ScalarES7_ENKUlvE_clEvENKUlvE4_clEvEUldE_St5arrayIPcLm2EEEEviT0_T1_,"axG",@progbits,_ZN2at6native29vectorized_elementwise_kernelILi2EZZZNS0_17clamp_kernel_cudaERNS_18TensorIteratorBaseERKN3c106ScalarES7_ENKUlvE_clEvENKUlvE4_clEvEUldE_St5arrayIPcLm2EEEEviT0_T1_,comdat
	.globl	_ZN2at6native29vectorized_elementwise_kernelILi2EZZZNS0_17clamp_kernel_cudaERNS_18TensorIteratorBaseERKN3c106ScalarES7_ENKUlvE_clEvENKUlvE4_clEvEUldE_St5arrayIPcLm2EEEEviT0_T1_ ; -- Begin function _ZN2at6native29vectorized_elementwise_kernelILi2EZZZNS0_17clamp_kernel_cudaERNS_18TensorIteratorBaseERKN3c106ScalarES7_ENKUlvE_clEvENKUlvE4_clEvEUldE_St5arrayIPcLm2EEEEviT0_T1_
	.p2align	8
	.type	_ZN2at6native29vectorized_elementwise_kernelILi2EZZZNS0_17clamp_kernel_cudaERNS_18TensorIteratorBaseERKN3c106ScalarES7_ENKUlvE_clEvENKUlvE4_clEvEUldE_St5arrayIPcLm2EEEEviT0_T1_,@function
_ZN2at6native29vectorized_elementwise_kernelILi2EZZZNS0_17clamp_kernel_cudaERNS_18TensorIteratorBaseERKN3c106ScalarES7_ENKUlvE_clEvENKUlvE4_clEvEUldE_St5arrayIPcLm2EEEEviT0_T1_: ; @_ZN2at6native29vectorized_elementwise_kernelILi2EZZZNS0_17clamp_kernel_cudaERNS_18TensorIteratorBaseERKN3c106ScalarES7_ENKUlvE_clEvENKUlvE4_clEvEUldE_St5arrayIPcLm2EEEEviT0_T1_
; %bb.0:
	s_clause 0x1
	s_load_b256 s[4:11], s[0:1], 0x8
	s_load_b32 s0, s[0:1], 0x0
	s_waitcnt lgkmcnt(0)
	v_max_f64 v[3:4], s[4:5], s[4:5]
	v_max_f64 v[1:2], s[6:7], s[6:7]
	s_lshl_b32 s4, s15, 10
	s_delay_alu instid0(SALU_CYCLE_1)
	s_sub_i32 s6, s0, s4
	s_mov_b32 s0, -1
	s_cmpk_gt_i32 s6, 0x3ff
	s_cbranch_scc0 .LBB317_2
; %bb.1:
	s_ashr_i32 s5, s4, 31
	v_lshlrev_b32_e32 v21, 4, v0
	s_lshl_b64 s[12:13], s[4:5], 3
	s_delay_alu instid0(SALU_CYCLE_1) | instskip(SKIP_1) | instid1(VALU_DEP_1)
	s_add_u32 s0, s10, s12
	s_addc_u32 s1, s11, s13
	v_add_co_u32 v5, s2, s0, v21
	s_delay_alu instid0(VALU_DEP_1) | instskip(SKIP_1) | instid1(VALU_DEP_2)
	v_add_co_ci_u32_e64 v6, null, s1, 0, s2
	s_add_u32 s12, s8, s12
	v_add_co_u32 v9, vcc_lo, 0x1000, v5
	s_delay_alu instid0(VALU_DEP_2)
	v_add_co_ci_u32_e32 v10, vcc_lo, 0, v6, vcc_lo
	s_addc_u32 s13, s9, s13
	s_clause 0x1
	global_load_b128 v[5:8], v21, s[0:1]
	global_load_b128 v[9:12], v[9:10], off
	s_waitcnt vmcnt(1)
	v_max_f64 v[13:14], v[5:6], v[5:6]
	v_max_f64 v[15:16], v[7:8], v[7:8]
	s_waitcnt vmcnt(0)
	v_max_f64 v[17:18], v[9:10], v[9:10]
	v_max_f64 v[19:20], v[11:12], v[11:12]
	v_cmp_u_f64_e32 vcc_lo, v[5:6], v[5:6]
	v_cmp_u_f64_e64 s0, v[7:8], v[7:8]
	v_cmp_u_f64_e64 s1, v[9:10], v[9:10]
	;; [unrolled: 1-line block ×3, first 2 shown]
	v_max_f64 v[13:14], v[13:14], v[3:4]
	v_max_f64 v[15:16], v[15:16], v[3:4]
	;; [unrolled: 1-line block ×4, first 2 shown]
	s_delay_alu instid0(VALU_DEP_4) | instskip(NEXT) | instid1(VALU_DEP_4)
	v_min_f64 v[13:14], v[13:14], v[1:2]
	v_min_f64 v[15:16], v[15:16], v[1:2]
	s_delay_alu instid0(VALU_DEP_4) | instskip(NEXT) | instid1(VALU_DEP_4)
	v_min_f64 v[17:18], v[17:18], v[1:2]
	v_min_f64 v[19:20], v[19:20], v[1:2]
	s_delay_alu instid0(VALU_DEP_4) | instskip(SKIP_1) | instid1(VALU_DEP_1)
	v_cndmask_b32_e32 v6, v14, v6, vcc_lo
	v_add_co_u32 v22, s3, s12, v21
	v_add_co_ci_u32_e64 v23, null, s13, 0, s3
	v_cndmask_b32_e32 v5, v13, v5, vcc_lo
	s_delay_alu instid0(VALU_DEP_3)
	v_add_co_u32 v13, vcc_lo, 0x1000, v22
	v_cndmask_b32_e64 v8, v16, v8, s0
	v_cndmask_b32_e64 v7, v15, v7, s0
	;; [unrolled: 1-line block ×6, first 2 shown]
	v_add_co_ci_u32_e32 v14, vcc_lo, 0, v23, vcc_lo
	s_mov_b32 s0, 0
	s_clause 0x1
	global_store_b128 v21, v[5:8], s[12:13]
	global_store_b128 v[13:14], v[9:12], off
.LBB317_2:
	s_and_not1_b32 vcc_lo, exec_lo, s0
	s_cbranch_vccnz .LBB317_16
; %bb.3:
	v_dual_mov_b32 v7, 0 :: v_dual_mov_b32 v6, v0
	v_mov_b32_e32 v8, 0
	v_cmp_gt_i32_e32 vcc_lo, s6, v0
	v_or_b32_e32 v5, s4, v0
	v_or_b32_e32 v15, 0x100, v0
	s_delay_alu instid0(VALU_DEP_4)
	v_dual_mov_b32 v10, v8 :: v_dual_mov_b32 v9, v7
	s_and_saveexec_b32 s1, vcc_lo
	s_cbranch_execz .LBB317_5
; %bb.4:
	v_mov_b32_e32 v6, 0
	s_delay_alu instid0(VALU_DEP_1) | instskip(SKIP_1) | instid1(VALU_DEP_2)
	v_lshlrev_b64 v[9:10], 3, v[5:6]
	v_or_b32_e32 v6, 0x100, v0
	v_add_co_u32 v9, s0, s10, v9
	s_delay_alu instid0(VALU_DEP_1)
	v_add_co_ci_u32_e64 v10, s0, s11, v10, s0
	global_load_b64 v[9:10], v[9:10], off
.LBB317_5:
	s_or_b32 exec_lo, exec_lo, s1
	s_delay_alu instid0(SALU_CYCLE_1)
	s_mov_b32 s1, exec_lo
	v_cmpx_gt_i32_e64 s6, v6
	s_cbranch_execz .LBB317_7
; %bb.6:
	v_dual_mov_b32 v8, 0 :: v_dual_add_nc_u32 v7, s4, v6
	v_add_nc_u32_e32 v6, 0x100, v6
	s_delay_alu instid0(VALU_DEP_2) | instskip(NEXT) | instid1(VALU_DEP_1)
	v_lshlrev_b64 v[7:8], 3, v[7:8]
	v_add_co_u32 v7, s0, s10, v7
	s_delay_alu instid0(VALU_DEP_1)
	v_add_co_ci_u32_e64 v8, s0, s11, v8, s0
	global_load_b64 v[7:8], v[7:8], off
.LBB317_7:
	s_or_b32 exec_lo, exec_lo, s1
	v_mov_b32_e32 v11, 0
	v_mov_b32_e32 v12, 0
	s_mov_b32 s1, exec_lo
	s_delay_alu instid0(VALU_DEP_1)
	v_dual_mov_b32 v14, v12 :: v_dual_mov_b32 v13, v11
	v_cmpx_gt_i32_e64 s6, v6
	s_cbranch_execz .LBB317_9
; %bb.8:
	v_dual_mov_b32 v14, 0 :: v_dual_add_nc_u32 v13, s4, v6
	v_add_nc_u32_e32 v6, 0x100, v6
	s_delay_alu instid0(VALU_DEP_2) | instskip(NEXT) | instid1(VALU_DEP_1)
	v_lshlrev_b64 v[13:14], 3, v[13:14]
	v_add_co_u32 v13, s0, s10, v13
	s_delay_alu instid0(VALU_DEP_1)
	v_add_co_ci_u32_e64 v14, s0, s11, v14, s0
	global_load_b64 v[13:14], v[13:14], off
.LBB317_9:
	s_or_b32 exec_lo, exec_lo, s1
	s_delay_alu instid0(SALU_CYCLE_1)
	s_mov_b32 s1, exec_lo
	v_cmpx_gt_i32_e64 s6, v6
	s_cbranch_execz .LBB317_11
; %bb.10:
	v_dual_mov_b32 v12, 0 :: v_dual_add_nc_u32 v11, s4, v6
	s_delay_alu instid0(VALU_DEP_1) | instskip(NEXT) | instid1(VALU_DEP_1)
	v_lshlrev_b64 v[11:12], 3, v[11:12]
	v_add_co_u32 v11, s0, s10, v11
	s_delay_alu instid0(VALU_DEP_1)
	v_add_co_ci_u32_e64 v12, s0, s11, v12, s0
	global_load_b64 v[11:12], v[11:12], off
.LBB317_11:
	s_or_b32 exec_lo, exec_lo, s1
	s_waitcnt vmcnt(0)
	v_max_f64 v[16:17], v[9:10], v[9:10]
	v_max_f64 v[18:19], v[7:8], v[7:8]
	;; [unrolled: 1-line block ×4, first 2 shown]
	v_cmp_u_f64_e64 s0, v[9:10], v[9:10]
	v_cmp_u_f64_e64 s1, v[7:8], v[7:8]
	;; [unrolled: 1-line block ×4, first 2 shown]
	v_max_f64 v[16:17], v[16:17], v[3:4]
	v_max_f64 v[18:19], v[18:19], v[3:4]
	;; [unrolled: 1-line block ×4, first 2 shown]
	s_delay_alu instid0(VALU_DEP_4) | instskip(NEXT) | instid1(VALU_DEP_4)
	v_min_f64 v[16:17], v[16:17], v[1:2]
	v_min_f64 v[18:19], v[18:19], v[1:2]
	s_delay_alu instid0(VALU_DEP_4) | instskip(NEXT) | instid1(VALU_DEP_4)
	v_min_f64 v[20:21], v[20:21], v[1:2]
	v_min_f64 v[1:2], v[3:4], v[1:2]
	s_delay_alu instid0(VALU_DEP_4)
	v_cndmask_b32_e64 v10, v17, v10, s0
	v_cndmask_b32_e64 v9, v16, v9, s0
	;; [unrolled: 1-line block ×8, first 2 shown]
	s_and_saveexec_b32 s0, vcc_lo
	s_cbranch_execnz .LBB317_17
; %bb.12:
	s_or_b32 exec_lo, exec_lo, s0
	s_delay_alu instid0(SALU_CYCLE_1)
	s_mov_b32 s0, exec_lo
	v_cmpx_gt_i32_e64 s6, v0
	s_cbranch_execnz .LBB317_18
.LBB317_13:
	s_or_b32 exec_lo, exec_lo, s0
	s_delay_alu instid0(SALU_CYCLE_1)
	s_mov_b32 s0, exec_lo
	v_cmpx_gt_i32_e64 s6, v0
	s_cbranch_execnz .LBB317_19
.LBB317_14:
	s_or_b32 exec_lo, exec_lo, s0
	s_delay_alu instid0(SALU_CYCLE_1)
	s_mov_b32 s0, exec_lo
	v_cmpx_gt_i32_e64 s6, v0
	s_cbranch_execz .LBB317_16
.LBB317_15:
	v_dual_mov_b32 v4, 0 :: v_dual_add_nc_u32 v3, s4, v0
	s_delay_alu instid0(VALU_DEP_1) | instskip(NEXT) | instid1(VALU_DEP_1)
	v_lshlrev_b64 v[3:4], 3, v[3:4]
	v_add_co_u32 v3, vcc_lo, s8, v3
	s_delay_alu instid0(VALU_DEP_2)
	v_add_co_ci_u32_e32 v4, vcc_lo, s9, v4, vcc_lo
	global_store_b64 v[3:4], v[1:2], off
.LBB317_16:
	s_nop 0
	s_sendmsg sendmsg(MSG_DEALLOC_VGPRS)
	s_endpgm
.LBB317_17:
	v_mov_b32_e32 v6, 0
	v_mov_b32_e32 v0, v15
	s_delay_alu instid0(VALU_DEP_2) | instskip(NEXT) | instid1(VALU_DEP_1)
	v_lshlrev_b64 v[5:6], 3, v[5:6]
	v_add_co_u32 v5, vcc_lo, s8, v5
	s_delay_alu instid0(VALU_DEP_2) | instskip(SKIP_2) | instid1(SALU_CYCLE_1)
	v_add_co_ci_u32_e32 v6, vcc_lo, s9, v6, vcc_lo
	global_store_b64 v[5:6], v[9:10], off
	s_or_b32 exec_lo, exec_lo, s0
	s_mov_b32 s0, exec_lo
	v_cmpx_gt_i32_e64 s6, v0
	s_cbranch_execz .LBB317_13
.LBB317_18:
	v_dual_mov_b32 v6, 0 :: v_dual_add_nc_u32 v5, s4, v0
	v_add_nc_u32_e32 v0, 0x100, v0
	s_delay_alu instid0(VALU_DEP_2) | instskip(NEXT) | instid1(VALU_DEP_1)
	v_lshlrev_b64 v[5:6], 3, v[5:6]
	v_add_co_u32 v5, vcc_lo, s8, v5
	s_delay_alu instid0(VALU_DEP_2) | instskip(SKIP_2) | instid1(SALU_CYCLE_1)
	v_add_co_ci_u32_e32 v6, vcc_lo, s9, v6, vcc_lo
	global_store_b64 v[5:6], v[7:8], off
	s_or_b32 exec_lo, exec_lo, s0
	s_mov_b32 s0, exec_lo
	v_cmpx_gt_i32_e64 s6, v0
	s_cbranch_execz .LBB317_14
.LBB317_19:
	v_dual_mov_b32 v6, 0 :: v_dual_add_nc_u32 v5, s4, v0
	v_add_nc_u32_e32 v0, 0x100, v0
	s_delay_alu instid0(VALU_DEP_2) | instskip(NEXT) | instid1(VALU_DEP_1)
	v_lshlrev_b64 v[5:6], 3, v[5:6]
	v_add_co_u32 v5, vcc_lo, s8, v5
	s_delay_alu instid0(VALU_DEP_2) | instskip(SKIP_2) | instid1(SALU_CYCLE_1)
	v_add_co_ci_u32_e32 v6, vcc_lo, s9, v6, vcc_lo
	global_store_b64 v[5:6], v[3:4], off
	s_or_b32 exec_lo, exec_lo, s0
	s_mov_b32 s0, exec_lo
	v_cmpx_gt_i32_e64 s6, v0
	s_cbranch_execnz .LBB317_15
	s_branch .LBB317_16
	.section	.rodata,"a",@progbits
	.p2align	6, 0x0
	.amdhsa_kernel _ZN2at6native29vectorized_elementwise_kernelILi2EZZZNS0_17clamp_kernel_cudaERNS_18TensorIteratorBaseERKN3c106ScalarES7_ENKUlvE_clEvENKUlvE4_clEvEUldE_St5arrayIPcLm2EEEEviT0_T1_
		.amdhsa_group_segment_fixed_size 0
		.amdhsa_private_segment_fixed_size 0
		.amdhsa_kernarg_size 40
		.amdhsa_user_sgpr_count 15
		.amdhsa_user_sgpr_dispatch_ptr 0
		.amdhsa_user_sgpr_queue_ptr 0
		.amdhsa_user_sgpr_kernarg_segment_ptr 1
		.amdhsa_user_sgpr_dispatch_id 0
		.amdhsa_user_sgpr_private_segment_size 0
		.amdhsa_wavefront_size32 1
		.amdhsa_uses_dynamic_stack 0
		.amdhsa_enable_private_segment 0
		.amdhsa_system_sgpr_workgroup_id_x 1
		.amdhsa_system_sgpr_workgroup_id_y 0
		.amdhsa_system_sgpr_workgroup_id_z 0
		.amdhsa_system_sgpr_workgroup_info 0
		.amdhsa_system_vgpr_workitem_id 0
		.amdhsa_next_free_vgpr 24
		.amdhsa_next_free_sgpr 16
		.amdhsa_reserve_vcc 1
		.amdhsa_float_round_mode_32 0
		.amdhsa_float_round_mode_16_64 0
		.amdhsa_float_denorm_mode_32 3
		.amdhsa_float_denorm_mode_16_64 3
		.amdhsa_dx10_clamp 1
		.amdhsa_ieee_mode 1
		.amdhsa_fp16_overflow 0
		.amdhsa_workgroup_processor_mode 1
		.amdhsa_memory_ordered 1
		.amdhsa_forward_progress 0
		.amdhsa_shared_vgpr_count 0
		.amdhsa_exception_fp_ieee_invalid_op 0
		.amdhsa_exception_fp_denorm_src 0
		.amdhsa_exception_fp_ieee_div_zero 0
		.amdhsa_exception_fp_ieee_overflow 0
		.amdhsa_exception_fp_ieee_underflow 0
		.amdhsa_exception_fp_ieee_inexact 0
		.amdhsa_exception_int_div_zero 0
	.end_amdhsa_kernel
	.section	.text._ZN2at6native29vectorized_elementwise_kernelILi2EZZZNS0_17clamp_kernel_cudaERNS_18TensorIteratorBaseERKN3c106ScalarES7_ENKUlvE_clEvENKUlvE4_clEvEUldE_St5arrayIPcLm2EEEEviT0_T1_,"axG",@progbits,_ZN2at6native29vectorized_elementwise_kernelILi2EZZZNS0_17clamp_kernel_cudaERNS_18TensorIteratorBaseERKN3c106ScalarES7_ENKUlvE_clEvENKUlvE4_clEvEUldE_St5arrayIPcLm2EEEEviT0_T1_,comdat
.Lfunc_end317:
	.size	_ZN2at6native29vectorized_elementwise_kernelILi2EZZZNS0_17clamp_kernel_cudaERNS_18TensorIteratorBaseERKN3c106ScalarES7_ENKUlvE_clEvENKUlvE4_clEvEUldE_St5arrayIPcLm2EEEEviT0_T1_, .Lfunc_end317-_ZN2at6native29vectorized_elementwise_kernelILi2EZZZNS0_17clamp_kernel_cudaERNS_18TensorIteratorBaseERKN3c106ScalarES7_ENKUlvE_clEvENKUlvE4_clEvEUldE_St5arrayIPcLm2EEEEviT0_T1_
                                        ; -- End function
	.section	.AMDGPU.csdata,"",@progbits
; Kernel info:
; codeLenInByte = 1332
; NumSgprs: 18
; NumVgprs: 24
; ScratchSize: 0
; MemoryBound: 0
; FloatMode: 240
; IeeeMode: 1
; LDSByteSize: 0 bytes/workgroup (compile time only)
; SGPRBlocks: 2
; VGPRBlocks: 2
; NumSGPRsForWavesPerEU: 18
; NumVGPRsForWavesPerEU: 24
; Occupancy: 16
; WaveLimiterHint : 1
; COMPUTE_PGM_RSRC2:SCRATCH_EN: 0
; COMPUTE_PGM_RSRC2:USER_SGPR: 15
; COMPUTE_PGM_RSRC2:TRAP_HANDLER: 0
; COMPUTE_PGM_RSRC2:TGID_X_EN: 1
; COMPUTE_PGM_RSRC2:TGID_Y_EN: 0
; COMPUTE_PGM_RSRC2:TGID_Z_EN: 0
; COMPUTE_PGM_RSRC2:TIDIG_COMP_CNT: 0
	.section	.text._ZN2at6native27unrolled_elementwise_kernelIZZZNS0_17clamp_kernel_cudaERNS_18TensorIteratorBaseERKN3c106ScalarES7_ENKUlvE_clEvENKUlvE4_clEvEUldE_St5arrayIPcLm2EELi4E23TrivialOffsetCalculatorILi1EjESF_NS0_6memory15LoadWithoutCastENSG_16StoreWithoutCastEEEviT_T0_T2_T3_T4_T5_,"axG",@progbits,_ZN2at6native27unrolled_elementwise_kernelIZZZNS0_17clamp_kernel_cudaERNS_18TensorIteratorBaseERKN3c106ScalarES7_ENKUlvE_clEvENKUlvE4_clEvEUldE_St5arrayIPcLm2EELi4E23TrivialOffsetCalculatorILi1EjESF_NS0_6memory15LoadWithoutCastENSG_16StoreWithoutCastEEEviT_T0_T2_T3_T4_T5_,comdat
	.globl	_ZN2at6native27unrolled_elementwise_kernelIZZZNS0_17clamp_kernel_cudaERNS_18TensorIteratorBaseERKN3c106ScalarES7_ENKUlvE_clEvENKUlvE4_clEvEUldE_St5arrayIPcLm2EELi4E23TrivialOffsetCalculatorILi1EjESF_NS0_6memory15LoadWithoutCastENSG_16StoreWithoutCastEEEviT_T0_T2_T3_T4_T5_ ; -- Begin function _ZN2at6native27unrolled_elementwise_kernelIZZZNS0_17clamp_kernel_cudaERNS_18TensorIteratorBaseERKN3c106ScalarES7_ENKUlvE_clEvENKUlvE4_clEvEUldE_St5arrayIPcLm2EELi4E23TrivialOffsetCalculatorILi1EjESF_NS0_6memory15LoadWithoutCastENSG_16StoreWithoutCastEEEviT_T0_T2_T3_T4_T5_
	.p2align	8
	.type	_ZN2at6native27unrolled_elementwise_kernelIZZZNS0_17clamp_kernel_cudaERNS_18TensorIteratorBaseERKN3c106ScalarES7_ENKUlvE_clEvENKUlvE4_clEvEUldE_St5arrayIPcLm2EELi4E23TrivialOffsetCalculatorILi1EjESF_NS0_6memory15LoadWithoutCastENSG_16StoreWithoutCastEEEviT_T0_T2_T3_T4_T5_,@function
_ZN2at6native27unrolled_elementwise_kernelIZZZNS0_17clamp_kernel_cudaERNS_18TensorIteratorBaseERKN3c106ScalarES7_ENKUlvE_clEvENKUlvE4_clEvEUldE_St5arrayIPcLm2EELi4E23TrivialOffsetCalculatorILi1EjESF_NS0_6memory15LoadWithoutCastENSG_16StoreWithoutCastEEEviT_T0_T2_T3_T4_T5_: ; @_ZN2at6native27unrolled_elementwise_kernelIZZZNS0_17clamp_kernel_cudaERNS_18TensorIteratorBaseERKN3c106ScalarES7_ENKUlvE_clEvENKUlvE4_clEvEUldE_St5arrayIPcLm2EELi4E23TrivialOffsetCalculatorILi1EjESF_NS0_6memory15LoadWithoutCastENSG_16StoreWithoutCastEEEviT_T0_T2_T3_T4_T5_
; %bb.0:
	s_clause 0x1
	s_load_b32 s2, s[0:1], 0x0
	s_load_b256 s[4:11], s[0:1], 0x8
	v_dual_mov_b32 v3, 0 :: v_dual_mov_b32 v2, v0
	v_mov_b32_e32 v4, 0
	s_lshl_b32 s12, s15, 10
	v_or_b32_e32 v15, 0x100, v0
	v_or_b32_e32 v1, s12, v0
	s_delay_alu instid0(VALU_DEP_3) | instskip(SKIP_2) | instid1(SALU_CYCLE_1)
	v_dual_mov_b32 v6, v4 :: v_dual_mov_b32 v5, v3
	s_waitcnt lgkmcnt(0)
	s_sub_i32 s13, s2, s12
	v_cmp_gt_i32_e32 vcc_lo, s13, v0
	s_and_saveexec_b32 s1, vcc_lo
	s_cbranch_execz .LBB318_2
; %bb.1:
	v_mov_b32_e32 v2, 0
	s_delay_alu instid0(VALU_DEP_1) | instskip(SKIP_1) | instid1(VALU_DEP_2)
	v_lshlrev_b64 v[5:6], 3, v[1:2]
	v_or_b32_e32 v2, 0x100, v0
	v_add_co_u32 v5, s0, s10, v5
	s_delay_alu instid0(VALU_DEP_1)
	v_add_co_ci_u32_e64 v6, s0, s11, v6, s0
	global_load_b64 v[5:6], v[5:6], off
.LBB318_2:
	s_or_b32 exec_lo, exec_lo, s1
	s_delay_alu instid0(SALU_CYCLE_1)
	s_mov_b32 s1, exec_lo
	v_cmpx_gt_i32_e64 s13, v2
	s_cbranch_execz .LBB318_4
; %bb.3:
	v_dual_mov_b32 v4, 0 :: v_dual_add_nc_u32 v3, s12, v2
	v_add_nc_u32_e32 v2, 0x100, v2
	s_delay_alu instid0(VALU_DEP_2) | instskip(NEXT) | instid1(VALU_DEP_1)
	v_lshlrev_b64 v[3:4], 3, v[3:4]
	v_add_co_u32 v3, s0, s10, v3
	s_delay_alu instid0(VALU_DEP_1)
	v_add_co_ci_u32_e64 v4, s0, s11, v4, s0
	global_load_b64 v[3:4], v[3:4], off
.LBB318_4:
	s_or_b32 exec_lo, exec_lo, s1
	v_mov_b32_e32 v7, 0
	v_mov_b32_e32 v8, 0
	s_mov_b32 s1, exec_lo
	s_delay_alu instid0(VALU_DEP_1)
	v_dual_mov_b32 v10, v8 :: v_dual_mov_b32 v9, v7
	v_cmpx_gt_i32_e64 s13, v2
	s_cbranch_execz .LBB318_6
; %bb.5:
	v_dual_mov_b32 v10, 0 :: v_dual_add_nc_u32 v9, s12, v2
	v_add_nc_u32_e32 v2, 0x100, v2
	s_delay_alu instid0(VALU_DEP_2) | instskip(NEXT) | instid1(VALU_DEP_1)
	v_lshlrev_b64 v[9:10], 3, v[9:10]
	v_add_co_u32 v9, s0, s10, v9
	s_delay_alu instid0(VALU_DEP_1)
	v_add_co_ci_u32_e64 v10, s0, s11, v10, s0
	global_load_b64 v[9:10], v[9:10], off
.LBB318_6:
	s_or_b32 exec_lo, exec_lo, s1
	s_delay_alu instid0(SALU_CYCLE_1)
	s_mov_b32 s1, exec_lo
	v_cmpx_gt_i32_e64 s13, v2
	s_cbranch_execz .LBB318_8
; %bb.7:
	v_dual_mov_b32 v8, 0 :: v_dual_add_nc_u32 v7, s12, v2
	s_delay_alu instid0(VALU_DEP_1) | instskip(NEXT) | instid1(VALU_DEP_1)
	v_lshlrev_b64 v[7:8], 3, v[7:8]
	v_add_co_u32 v7, s0, s10, v7
	s_delay_alu instid0(VALU_DEP_1)
	v_add_co_ci_u32_e64 v8, s0, s11, v8, s0
	global_load_b64 v[7:8], v[7:8], off
.LBB318_8:
	s_or_b32 exec_lo, exec_lo, s1
	v_max_f64 v[11:12], s[4:5], s[4:5]
	s_waitcnt vmcnt(0)
	v_max_f64 v[13:14], v[5:6], v[5:6]
	v_max_f64 v[16:17], v[3:4], v[3:4]
	;; [unrolled: 1-line block ×5, first 2 shown]
	v_cmp_u_f64_e64 s0, v[5:6], v[5:6]
	v_cmp_u_f64_e64 s1, v[3:4], v[3:4]
	;; [unrolled: 1-line block ×4, first 2 shown]
	v_max_f64 v[13:14], v[13:14], v[11:12]
	v_max_f64 v[16:17], v[16:17], v[11:12]
	v_max_f64 v[18:19], v[18:19], v[11:12]
	v_max_f64 v[11:12], v[20:21], v[11:12]
	s_delay_alu instid0(VALU_DEP_4) | instskip(NEXT) | instid1(VALU_DEP_4)
	v_min_f64 v[13:14], v[13:14], v[22:23]
	v_min_f64 v[16:17], v[16:17], v[22:23]
	s_delay_alu instid0(VALU_DEP_4) | instskip(NEXT) | instid1(VALU_DEP_4)
	v_min_f64 v[18:19], v[18:19], v[22:23]
	v_min_f64 v[20:21], v[11:12], v[22:23]
	s_delay_alu instid0(VALU_DEP_4)
	v_cndmask_b32_e64 v14, v14, v6, s0
	v_cndmask_b32_e64 v13, v13, v5, s0
	v_cndmask_b32_e64 v12, v17, v4, s1
	v_cndmask_b32_e64 v11, v16, v3, s1
	v_cndmask_b32_e64 v6, v19, v10, s2
	v_cndmask_b32_e64 v5, v18, v9, s2
	v_cndmask_b32_e64 v4, v21, v8, s3
	v_cndmask_b32_e64 v3, v20, v7, s3
	s_and_saveexec_b32 s0, vcc_lo
	s_cbranch_execnz .LBB318_13
; %bb.9:
	s_or_b32 exec_lo, exec_lo, s0
	s_delay_alu instid0(SALU_CYCLE_1)
	s_mov_b32 s0, exec_lo
	v_cmpx_gt_i32_e64 s13, v0
	s_cbranch_execnz .LBB318_14
.LBB318_10:
	s_or_b32 exec_lo, exec_lo, s0
	s_delay_alu instid0(SALU_CYCLE_1)
	s_mov_b32 s0, exec_lo
	v_cmpx_gt_i32_e64 s13, v0
	s_cbranch_execnz .LBB318_15
.LBB318_11:
	s_or_b32 exec_lo, exec_lo, s0
	s_delay_alu instid0(SALU_CYCLE_1)
	s_mov_b32 s0, exec_lo
	v_cmpx_gt_i32_e64 s13, v0
	s_cbranch_execnz .LBB318_16
.LBB318_12:
	s_nop 0
	s_sendmsg sendmsg(MSG_DEALLOC_VGPRS)
	s_endpgm
.LBB318_13:
	v_mov_b32_e32 v2, 0
	s_delay_alu instid0(VALU_DEP_1) | instskip(NEXT) | instid1(VALU_DEP_1)
	v_lshlrev_b64 v[0:1], 3, v[1:2]
	v_add_co_u32 v7, vcc_lo, s8, v0
	s_delay_alu instid0(VALU_DEP_2) | instskip(SKIP_3) | instid1(SALU_CYCLE_1)
	v_add_co_ci_u32_e32 v8, vcc_lo, s9, v1, vcc_lo
	v_mov_b32_e32 v0, v15
	global_store_b64 v[7:8], v[13:14], off
	s_or_b32 exec_lo, exec_lo, s0
	s_mov_b32 s0, exec_lo
	v_cmpx_gt_i32_e64 s13, v0
	s_cbranch_execz .LBB318_10
.LBB318_14:
	v_dual_mov_b32 v2, 0 :: v_dual_add_nc_u32 v1, s12, v0
	v_add_nc_u32_e32 v0, 0x100, v0
	s_delay_alu instid0(VALU_DEP_2) | instskip(NEXT) | instid1(VALU_DEP_1)
	v_lshlrev_b64 v[1:2], 3, v[1:2]
	v_add_co_u32 v1, vcc_lo, s8, v1
	s_delay_alu instid0(VALU_DEP_2) | instskip(SKIP_2) | instid1(SALU_CYCLE_1)
	v_add_co_ci_u32_e32 v2, vcc_lo, s9, v2, vcc_lo
	global_store_b64 v[1:2], v[11:12], off
	s_or_b32 exec_lo, exec_lo, s0
	s_mov_b32 s0, exec_lo
	v_cmpx_gt_i32_e64 s13, v0
	s_cbranch_execz .LBB318_11
.LBB318_15:
	v_dual_mov_b32 v2, 0 :: v_dual_add_nc_u32 v1, s12, v0
	v_add_nc_u32_e32 v0, 0x100, v0
	s_delay_alu instid0(VALU_DEP_2) | instskip(NEXT) | instid1(VALU_DEP_1)
	v_lshlrev_b64 v[1:2], 3, v[1:2]
	v_add_co_u32 v1, vcc_lo, s8, v1
	s_delay_alu instid0(VALU_DEP_2) | instskip(SKIP_2) | instid1(SALU_CYCLE_1)
	v_add_co_ci_u32_e32 v2, vcc_lo, s9, v2, vcc_lo
	global_store_b64 v[1:2], v[5:6], off
	s_or_b32 exec_lo, exec_lo, s0
	s_mov_b32 s0, exec_lo
	v_cmpx_gt_i32_e64 s13, v0
	s_cbranch_execz .LBB318_12
.LBB318_16:
	v_dual_mov_b32 v1, 0 :: v_dual_add_nc_u32 v0, s12, v0
	s_delay_alu instid0(VALU_DEP_1) | instskip(NEXT) | instid1(VALU_DEP_1)
	v_lshlrev_b64 v[0:1], 3, v[0:1]
	v_add_co_u32 v0, vcc_lo, s8, v0
	s_delay_alu instid0(VALU_DEP_2)
	v_add_co_ci_u32_e32 v1, vcc_lo, s9, v1, vcc_lo
	global_store_b64 v[0:1], v[3:4], off
	s_nop 0
	s_sendmsg sendmsg(MSG_DEALLOC_VGPRS)
	s_endpgm
	.section	.rodata,"a",@progbits
	.p2align	6, 0x0
	.amdhsa_kernel _ZN2at6native27unrolled_elementwise_kernelIZZZNS0_17clamp_kernel_cudaERNS_18TensorIteratorBaseERKN3c106ScalarES7_ENKUlvE_clEvENKUlvE4_clEvEUldE_St5arrayIPcLm2EELi4E23TrivialOffsetCalculatorILi1EjESF_NS0_6memory15LoadWithoutCastENSG_16StoreWithoutCastEEEviT_T0_T2_T3_T4_T5_
		.amdhsa_group_segment_fixed_size 0
		.amdhsa_private_segment_fixed_size 0
		.amdhsa_kernarg_size 44
		.amdhsa_user_sgpr_count 15
		.amdhsa_user_sgpr_dispatch_ptr 0
		.amdhsa_user_sgpr_queue_ptr 0
		.amdhsa_user_sgpr_kernarg_segment_ptr 1
		.amdhsa_user_sgpr_dispatch_id 0
		.amdhsa_user_sgpr_private_segment_size 0
		.amdhsa_wavefront_size32 1
		.amdhsa_uses_dynamic_stack 0
		.amdhsa_enable_private_segment 0
		.amdhsa_system_sgpr_workgroup_id_x 1
		.amdhsa_system_sgpr_workgroup_id_y 0
		.amdhsa_system_sgpr_workgroup_id_z 0
		.amdhsa_system_sgpr_workgroup_info 0
		.amdhsa_system_vgpr_workitem_id 0
		.amdhsa_next_free_vgpr 24
		.amdhsa_next_free_sgpr 16
		.amdhsa_reserve_vcc 1
		.amdhsa_float_round_mode_32 0
		.amdhsa_float_round_mode_16_64 0
		.amdhsa_float_denorm_mode_32 3
		.amdhsa_float_denorm_mode_16_64 3
		.amdhsa_dx10_clamp 1
		.amdhsa_ieee_mode 1
		.amdhsa_fp16_overflow 0
		.amdhsa_workgroup_processor_mode 1
		.amdhsa_memory_ordered 1
		.amdhsa_forward_progress 0
		.amdhsa_shared_vgpr_count 0
		.amdhsa_exception_fp_ieee_invalid_op 0
		.amdhsa_exception_fp_denorm_src 0
		.amdhsa_exception_fp_ieee_div_zero 0
		.amdhsa_exception_fp_ieee_overflow 0
		.amdhsa_exception_fp_ieee_underflow 0
		.amdhsa_exception_fp_ieee_inexact 0
		.amdhsa_exception_int_div_zero 0
	.end_amdhsa_kernel
	.section	.text._ZN2at6native27unrolled_elementwise_kernelIZZZNS0_17clamp_kernel_cudaERNS_18TensorIteratorBaseERKN3c106ScalarES7_ENKUlvE_clEvENKUlvE4_clEvEUldE_St5arrayIPcLm2EELi4E23TrivialOffsetCalculatorILi1EjESF_NS0_6memory15LoadWithoutCastENSG_16StoreWithoutCastEEEviT_T0_T2_T3_T4_T5_,"axG",@progbits,_ZN2at6native27unrolled_elementwise_kernelIZZZNS0_17clamp_kernel_cudaERNS_18TensorIteratorBaseERKN3c106ScalarES7_ENKUlvE_clEvENKUlvE4_clEvEUldE_St5arrayIPcLm2EELi4E23TrivialOffsetCalculatorILi1EjESF_NS0_6memory15LoadWithoutCastENSG_16StoreWithoutCastEEEviT_T0_T2_T3_T4_T5_,comdat
.Lfunc_end318:
	.size	_ZN2at6native27unrolled_elementwise_kernelIZZZNS0_17clamp_kernel_cudaERNS_18TensorIteratorBaseERKN3c106ScalarES7_ENKUlvE_clEvENKUlvE4_clEvEUldE_St5arrayIPcLm2EELi4E23TrivialOffsetCalculatorILi1EjESF_NS0_6memory15LoadWithoutCastENSG_16StoreWithoutCastEEEviT_T0_T2_T3_T4_T5_, .Lfunc_end318-_ZN2at6native27unrolled_elementwise_kernelIZZZNS0_17clamp_kernel_cudaERNS_18TensorIteratorBaseERKN3c106ScalarES7_ENKUlvE_clEvENKUlvE4_clEvEUldE_St5arrayIPcLm2EELi4E23TrivialOffsetCalculatorILi1EjESF_NS0_6memory15LoadWithoutCastENSG_16StoreWithoutCastEEEviT_T0_T2_T3_T4_T5_
                                        ; -- End function
	.section	.AMDGPU.csdata,"",@progbits
; Kernel info:
; codeLenInByte = 964
; NumSgprs: 18
; NumVgprs: 24
; ScratchSize: 0
; MemoryBound: 0
; FloatMode: 240
; IeeeMode: 1
; LDSByteSize: 0 bytes/workgroup (compile time only)
; SGPRBlocks: 2
; VGPRBlocks: 2
; NumSGPRsForWavesPerEU: 18
; NumVGPRsForWavesPerEU: 24
; Occupancy: 16
; WaveLimiterHint : 0
; COMPUTE_PGM_RSRC2:SCRATCH_EN: 0
; COMPUTE_PGM_RSRC2:USER_SGPR: 15
; COMPUTE_PGM_RSRC2:TRAP_HANDLER: 0
; COMPUTE_PGM_RSRC2:TGID_X_EN: 1
; COMPUTE_PGM_RSRC2:TGID_Y_EN: 0
; COMPUTE_PGM_RSRC2:TGID_Z_EN: 0
; COMPUTE_PGM_RSRC2:TIDIG_COMP_CNT: 0
	.section	.text._ZN2at6native32elementwise_kernel_manual_unrollILi128ELi4EZNS0_22gpu_kernel_impl_nocastIZZZNS0_17clamp_kernel_cudaERNS_18TensorIteratorBaseERKN3c106ScalarES8_ENKUlvE_clEvENKUlvE4_clEvEUldE_EEvS4_RKT_EUlibE_EEviT1_,"axG",@progbits,_ZN2at6native32elementwise_kernel_manual_unrollILi128ELi4EZNS0_22gpu_kernel_impl_nocastIZZZNS0_17clamp_kernel_cudaERNS_18TensorIteratorBaseERKN3c106ScalarES8_ENKUlvE_clEvENKUlvE4_clEvEUldE_EEvS4_RKT_EUlibE_EEviT1_,comdat
	.globl	_ZN2at6native32elementwise_kernel_manual_unrollILi128ELi4EZNS0_22gpu_kernel_impl_nocastIZZZNS0_17clamp_kernel_cudaERNS_18TensorIteratorBaseERKN3c106ScalarES8_ENKUlvE_clEvENKUlvE4_clEvEUldE_EEvS4_RKT_EUlibE_EEviT1_ ; -- Begin function _ZN2at6native32elementwise_kernel_manual_unrollILi128ELi4EZNS0_22gpu_kernel_impl_nocastIZZZNS0_17clamp_kernel_cudaERNS_18TensorIteratorBaseERKN3c106ScalarES8_ENKUlvE_clEvENKUlvE4_clEvEUldE_EEvS4_RKT_EUlibE_EEviT1_
	.p2align	8
	.type	_ZN2at6native32elementwise_kernel_manual_unrollILi128ELi4EZNS0_22gpu_kernel_impl_nocastIZZZNS0_17clamp_kernel_cudaERNS_18TensorIteratorBaseERKN3c106ScalarES8_ENKUlvE_clEvENKUlvE4_clEvEUldE_EEvS4_RKT_EUlibE_EEviT1_,@function
_ZN2at6native32elementwise_kernel_manual_unrollILi128ELi4EZNS0_22gpu_kernel_impl_nocastIZZZNS0_17clamp_kernel_cudaERNS_18TensorIteratorBaseERKN3c106ScalarES8_ENKUlvE_clEvENKUlvE4_clEvEUldE_EEvS4_RKT_EUlibE_EEviT1_: ; @_ZN2at6native32elementwise_kernel_manual_unrollILi128ELi4EZNS0_22gpu_kernel_impl_nocastIZZZNS0_17clamp_kernel_cudaERNS_18TensorIteratorBaseERKN3c106ScalarES8_ENKUlvE_clEvENKUlvE4_clEvEUldE_EEvS4_RKT_EUlibE_EEviT1_
; %bb.0:
	s_clause 0x1
	s_load_b32 s26, s[0:1], 0x8
	s_load_b32 s31, s[0:1], 0x0
	v_lshl_or_b32 v4, s15, 9, v0
	s_or_b32 s0, s0, 8
	s_mov_b32 s2, exec_lo
	s_delay_alu instid0(VALU_DEP_1) | instskip(SKIP_2) | instid1(SALU_CYCLE_1)
	v_or_b32_e32 v8, 0x180, v4
	s_waitcnt lgkmcnt(0)
	s_add_i32 s27, s26, -1
	s_cmp_gt_u32 s27, 1
	s_cselect_b32 s28, -1, 0
	v_cmpx_le_i32_e64 s31, v8
	s_xor_b32 s29, exec_lo, s2
	s_cbranch_execz .LBB319_7
; %bb.1:
	s_clause 0x3
	s_load_b128 s[16:19], s[0:1], 0x4
	s_load_b64 s[2:3], s[0:1], 0x14
	s_load_b128 s[12:15], s[0:1], 0xc4
	s_load_b256 s[4:11], s[0:1], 0x148
	s_cmp_lg_u32 s26, 0
	s_mov_b32 s35, exec_lo
	s_cselect_b32 s34, -1, 0
	s_add_u32 s20, s0, 0xc4
	s_addc_u32 s21, s1, 0
	s_min_u32 s33, s27, 15
	s_cmp_gt_u32 s26, 1
	s_cselect_b32 s30, -1, 0
	v_cmpx_gt_i32_e64 s31, v4
	s_cbranch_execz .LBB319_14
; %bb.2:
	s_and_not1_b32 vcc_lo, exec_lo, s28
	s_cbranch_vccnz .LBB319_21
; %bb.3:
	v_dual_mov_b32 v0, 0 :: v_dual_mov_b32 v1, 0
	s_and_not1_b32 vcc_lo, exec_lo, s34
	s_mov_b32 s36, 0
	s_cbranch_vccnz .LBB319_73
; %bb.4:
	v_mov_b32_e32 v0, 0
	s_add_i32 s38, s33, 1
	s_cmp_eq_u32 s27, 2
	s_mov_b32 s37, 0
	s_cbranch_scc1 .LBB319_69
; %bb.5:
	v_dual_mov_b32 v1, 0 :: v_dual_mov_b32 v0, 0
	v_mov_b32_e32 v2, v4
	s_and_b32 s37, s38, 28
	s_mov_b32 s39, 0
	s_mov_b64 s[22:23], s[20:21]
	s_mov_b64 s[24:25], s[0:1]
.LBB319_6:                              ; =>This Inner Loop Header: Depth=1
	s_clause 0x1
	s_load_b256 s[40:47], s[24:25], 0x4
	s_load_b128 s[56:59], s[24:25], 0x24
	s_load_b256 s[48:55], s[22:23], 0x0
	s_add_u32 s24, s24, 48
	s_addc_u32 s25, s25, 0
	s_add_i32 s39, s39, 4
	s_add_u32 s22, s22, 32
	s_addc_u32 s23, s23, 0
	s_cmp_lg_u32 s37, s39
	s_waitcnt lgkmcnt(0)
	v_mul_hi_u32 v3, s41, v2
	s_delay_alu instid0(VALU_DEP_1) | instskip(NEXT) | instid1(VALU_DEP_1)
	v_add_nc_u32_e32 v3, v2, v3
	v_lshrrev_b32_e32 v3, s42, v3
	s_delay_alu instid0(VALU_DEP_1) | instskip(SKIP_1) | instid1(VALU_DEP_2)
	v_mul_hi_u32 v5, s44, v3
	v_mul_lo_u32 v7, v3, s40
	v_add_nc_u32_e32 v5, v3, v5
	s_delay_alu instid0(VALU_DEP_2) | instskip(NEXT) | instid1(VALU_DEP_2)
	v_sub_nc_u32_e32 v2, v2, v7
	v_lshrrev_b32_e32 v5, s45, v5
	s_delay_alu instid0(VALU_DEP_2) | instskip(SKIP_1) | instid1(VALU_DEP_3)
	v_mul_lo_u32 v7, v2, s48
	v_mul_lo_u32 v9, v2, s49
	v_mul_hi_u32 v6, s47, v5
	s_delay_alu instid0(VALU_DEP_1) | instskip(NEXT) | instid1(VALU_DEP_1)
	v_add_nc_u32_e32 v6, v5, v6
	v_lshrrev_b32_e32 v6, s56, v6
	s_delay_alu instid0(VALU_DEP_1) | instskip(SKIP_1) | instid1(VALU_DEP_2)
	v_mul_hi_u32 v8, s58, v6
	v_mul_lo_u32 v10, v6, s46
	v_add_nc_u32_e32 v2, v6, v8
	v_mul_lo_u32 v8, v5, s43
	s_delay_alu instid0(VALU_DEP_3) | instskip(NEXT) | instid1(VALU_DEP_3)
	v_sub_nc_u32_e32 v5, v5, v10
	v_lshrrev_b32_e32 v2, s59, v2
	s_delay_alu instid0(VALU_DEP_2) | instskip(SKIP_2) | instid1(VALU_DEP_4)
	v_mul_lo_u32 v10, v5, s52
	v_mul_lo_u32 v5, v5, s53
	v_sub_nc_u32_e32 v3, v3, v8
	v_mul_lo_u32 v11, v2, s57
	s_delay_alu instid0(VALU_DEP_2) | instskip(SKIP_1) | instid1(VALU_DEP_3)
	v_mul_lo_u32 v8, v3, s50
	v_mul_lo_u32 v3, v3, s51
	v_sub_nc_u32_e32 v6, v6, v11
	s_delay_alu instid0(VALU_DEP_3) | instskip(NEXT) | instid1(VALU_DEP_2)
	v_add3_u32 v0, v7, v0, v8
	v_mul_lo_u32 v11, v6, s54
	v_mul_lo_u32 v6, v6, s55
	v_add3_u32 v1, v9, v1, v3
	s_delay_alu instid0(VALU_DEP_3) | instskip(NEXT) | instid1(VALU_DEP_2)
	v_add3_u32 v0, v10, v0, v11
	v_add3_u32 v1, v5, v1, v6
	s_cbranch_scc1 .LBB319_6
	s_branch .LBB319_70
.LBB319_7:
	s_and_not1_saveexec_b32 s2, s29
	s_cbranch_execz .LBB319_94
.LBB319_8:
	v_cndmask_b32_e64 v6, 0, 1, s28
	s_and_not1_b32 vcc_lo, exec_lo, s28
	s_cbranch_vccnz .LBB319_20
; %bb.9:
	v_dual_mov_b32 v0, 0 :: v_dual_mov_b32 v1, 0
	s_cmp_lg_u32 s26, 0
	s_mov_b32 s6, 0
	s_cbranch_scc0 .LBB319_26
; %bb.10:
	s_min_u32 s7, s27, 15
	v_mov_b32_e32 v0, 0
	s_add_i32 s7, s7, 1
	s_cmp_eq_u32 s27, 2
	s_mov_b32 s8, 0
	s_cbranch_scc1 .LBB319_23
; %bb.11:
	v_dual_mov_b32 v1, 0 :: v_dual_mov_b32 v0, 0
	v_mov_b32_e32 v2, v4
	s_add_u32 s2, s0, 0xc4
	s_addc_u32 s3, s1, 0
	s_and_b32 s8, s7, 28
	s_mov_b32 s9, 0
	s_mov_b64 s[4:5], s[0:1]
.LBB319_12:                             ; =>This Inner Loop Header: Depth=1
	s_clause 0x1
	s_load_b256 s[12:19], s[4:5], 0x4
	s_load_b128 s[20:23], s[4:5], 0x24
	s_load_b256 s[36:43], s[2:3], 0x0
	s_add_u32 s4, s4, 48
	s_addc_u32 s5, s5, 0
	s_add_i32 s9, s9, 4
	s_add_u32 s2, s2, 32
	s_addc_u32 s3, s3, 0
	s_cmp_lg_u32 s8, s9
	s_waitcnt lgkmcnt(0)
	v_mul_hi_u32 v3, s13, v2
	s_delay_alu instid0(VALU_DEP_1) | instskip(NEXT) | instid1(VALU_DEP_1)
	v_add_nc_u32_e32 v3, v2, v3
	v_lshrrev_b32_e32 v3, s14, v3
	s_delay_alu instid0(VALU_DEP_1) | instskip(SKIP_1) | instid1(VALU_DEP_2)
	v_mul_hi_u32 v5, s16, v3
	v_mul_lo_u32 v9, v3, s12
	v_add_nc_u32_e32 v5, v3, v5
	s_delay_alu instid0(VALU_DEP_2) | instskip(NEXT) | instid1(VALU_DEP_2)
	v_sub_nc_u32_e32 v2, v2, v9
	v_lshrrev_b32_e32 v5, s17, v5
	s_delay_alu instid0(VALU_DEP_2) | instskip(SKIP_1) | instid1(VALU_DEP_3)
	v_mul_lo_u32 v9, v2, s36
	v_mul_lo_u32 v11, v2, s37
	v_mul_hi_u32 v7, s19, v5
	s_delay_alu instid0(VALU_DEP_1) | instskip(NEXT) | instid1(VALU_DEP_1)
	v_add_nc_u32_e32 v7, v5, v7
	v_lshrrev_b32_e32 v7, s20, v7
	s_delay_alu instid0(VALU_DEP_1) | instskip(SKIP_1) | instid1(VALU_DEP_2)
	v_mul_hi_u32 v10, s22, v7
	v_mul_lo_u32 v12, v7, s18
	v_add_nc_u32_e32 v2, v7, v10
	v_mul_lo_u32 v10, v5, s15
	s_delay_alu instid0(VALU_DEP_3) | instskip(NEXT) | instid1(VALU_DEP_3)
	v_sub_nc_u32_e32 v5, v5, v12
	v_lshrrev_b32_e32 v2, s23, v2
	s_delay_alu instid0(VALU_DEP_2) | instskip(SKIP_2) | instid1(VALU_DEP_4)
	v_mul_lo_u32 v12, v5, s40
	v_mul_lo_u32 v5, v5, s41
	v_sub_nc_u32_e32 v3, v3, v10
	v_mul_lo_u32 v13, v2, s21
	s_delay_alu instid0(VALU_DEP_2) | instskip(SKIP_1) | instid1(VALU_DEP_3)
	v_mul_lo_u32 v10, v3, s38
	v_mul_lo_u32 v3, v3, s39
	v_sub_nc_u32_e32 v7, v7, v13
	s_delay_alu instid0(VALU_DEP_3) | instskip(NEXT) | instid1(VALU_DEP_2)
	v_add3_u32 v0, v9, v0, v10
	v_mul_lo_u32 v13, v7, s42
	v_mul_lo_u32 v7, v7, s43
	v_add3_u32 v1, v11, v1, v3
	s_delay_alu instid0(VALU_DEP_3) | instskip(NEXT) | instid1(VALU_DEP_2)
	v_add3_u32 v0, v12, v0, v13
	v_add3_u32 v1, v5, v1, v7
	s_cbranch_scc1 .LBB319_12
; %bb.13:
	s_and_b32 s7, s7, 3
	s_delay_alu instid0(SALU_CYCLE_1)
	s_cmp_eq_u32 s7, 0
	s_cbranch_scc0 .LBB319_24
	s_branch .LBB319_26
.LBB319_14:
	s_or_b32 exec_lo, exec_lo, s35
	s_delay_alu instid0(SALU_CYCLE_1)
	s_mov_b32 s35, exec_lo
	v_cmpx_gt_i32_e64 s31, v4
	s_cbranch_execz .LBB319_77
.LBB319_15:
	s_and_not1_b32 vcc_lo, exec_lo, s28
	s_cbranch_vccnz .LBB319_22
; %bb.16:
	v_dual_mov_b32 v0, 0 :: v_dual_mov_b32 v1, 0
	s_and_not1_b32 vcc_lo, exec_lo, s34
	s_mov_b32 s36, 0
	s_cbranch_vccnz .LBB319_88
; %bb.17:
	v_mov_b32_e32 v0, 0
	s_add_i32 s38, s33, 1
	s_cmp_eq_u32 s27, 2
	s_mov_b32 s37, 0
	s_cbranch_scc1 .LBB319_84
; %bb.18:
	v_dual_mov_b32 v1, 0 :: v_dual_mov_b32 v0, 0
	v_mov_b32_e32 v2, v4
	s_and_b32 s37, s38, 28
	s_mov_b32 s39, 0
	s_mov_b64 s[22:23], s[20:21]
	s_mov_b64 s[24:25], s[0:1]
.LBB319_19:                             ; =>This Inner Loop Header: Depth=1
	s_clause 0x1
	s_load_b256 s[40:47], s[24:25], 0x4
	s_load_b128 s[56:59], s[24:25], 0x24
	s_load_b256 s[48:55], s[22:23], 0x0
	s_add_u32 s24, s24, 48
	s_addc_u32 s25, s25, 0
	s_add_i32 s39, s39, 4
	s_add_u32 s22, s22, 32
	s_addc_u32 s23, s23, 0
	s_cmp_eq_u32 s37, s39
	s_waitcnt lgkmcnt(0)
	v_mul_hi_u32 v3, s41, v2
	s_delay_alu instid0(VALU_DEP_1) | instskip(NEXT) | instid1(VALU_DEP_1)
	v_add_nc_u32_e32 v3, v2, v3
	v_lshrrev_b32_e32 v3, s42, v3
	s_delay_alu instid0(VALU_DEP_1) | instskip(SKIP_1) | instid1(VALU_DEP_2)
	v_mul_hi_u32 v5, s44, v3
	v_mul_lo_u32 v7, v3, s40
	v_add_nc_u32_e32 v5, v3, v5
	s_delay_alu instid0(VALU_DEP_2) | instskip(NEXT) | instid1(VALU_DEP_2)
	v_sub_nc_u32_e32 v2, v2, v7
	v_lshrrev_b32_e32 v5, s45, v5
	s_delay_alu instid0(VALU_DEP_2) | instskip(SKIP_1) | instid1(VALU_DEP_3)
	v_mul_lo_u32 v7, v2, s48
	v_mul_lo_u32 v9, v2, s49
	v_mul_hi_u32 v6, s47, v5
	s_delay_alu instid0(VALU_DEP_1) | instskip(NEXT) | instid1(VALU_DEP_1)
	v_add_nc_u32_e32 v6, v5, v6
	v_lshrrev_b32_e32 v6, s56, v6
	s_delay_alu instid0(VALU_DEP_1) | instskip(SKIP_1) | instid1(VALU_DEP_2)
	v_mul_hi_u32 v8, s58, v6
	v_mul_lo_u32 v10, v6, s46
	v_add_nc_u32_e32 v2, v6, v8
	v_mul_lo_u32 v8, v5, s43
	s_delay_alu instid0(VALU_DEP_3) | instskip(NEXT) | instid1(VALU_DEP_3)
	v_sub_nc_u32_e32 v5, v5, v10
	v_lshrrev_b32_e32 v2, s59, v2
	s_delay_alu instid0(VALU_DEP_2) | instskip(SKIP_2) | instid1(VALU_DEP_4)
	v_mul_lo_u32 v10, v5, s52
	v_mul_lo_u32 v5, v5, s53
	v_sub_nc_u32_e32 v3, v3, v8
	v_mul_lo_u32 v11, v2, s57
	s_delay_alu instid0(VALU_DEP_2) | instskip(SKIP_1) | instid1(VALU_DEP_3)
	v_mul_lo_u32 v8, v3, s50
	v_mul_lo_u32 v3, v3, s51
	v_sub_nc_u32_e32 v6, v6, v11
	s_delay_alu instid0(VALU_DEP_3) | instskip(NEXT) | instid1(VALU_DEP_2)
	v_add3_u32 v0, v7, v0, v8
	v_mul_lo_u32 v11, v6, s54
	v_mul_lo_u32 v6, v6, s55
	v_add3_u32 v1, v9, v1, v3
	s_delay_alu instid0(VALU_DEP_3) | instskip(NEXT) | instid1(VALU_DEP_2)
	v_add3_u32 v0, v10, v0, v11
	v_add3_u32 v1, v5, v1, v6
	s_cbranch_scc0 .LBB319_19
	s_branch .LBB319_85
.LBB319_20:
	s_mov_b32 s6, -1
                                        ; implicit-def: $vgpr0
                                        ; implicit-def: $vgpr1
	s_branch .LBB319_26
.LBB319_21:
	s_mov_b32 s36, -1
                                        ; implicit-def: $vgpr0
                                        ; implicit-def: $vgpr1
	s_branch .LBB319_73
.LBB319_22:
	s_mov_b32 s36, -1
                                        ; implicit-def: $vgpr0
                                        ; implicit-def: $vgpr1
	s_branch .LBB319_88
.LBB319_23:
	v_dual_mov_b32 v2, v4 :: v_dual_mov_b32 v1, 0
	s_and_b32 s7, s7, 3
	s_delay_alu instid0(SALU_CYCLE_1)
	s_cmp_eq_u32 s7, 0
	s_cbranch_scc1 .LBB319_26
.LBB319_24:
	s_lshl_b32 s2, s8, 3
	s_mul_i32 s4, s8, 12
	s_add_u32 s2, s2, s0
	s_addc_u32 s3, 0, s1
	s_add_u32 s2, s2, 0xc4
	s_addc_u32 s3, s3, 0
	;; [unrolled: 2-line block ×3, first 2 shown]
	.p2align	6
.LBB319_25:                             ; =>This Inner Loop Header: Depth=1
	s_clause 0x1
	s_load_b64 s[8:9], s[4:5], 0x4
	s_load_b32 s12, s[4:5], 0xc
	s_load_b64 s[10:11], s[2:3], 0x0
	s_add_u32 s4, s4, 12
	s_addc_u32 s5, s5, 0
	s_add_u32 s2, s2, 8
	s_addc_u32 s3, s3, 0
	s_add_i32 s7, s7, -1
	s_delay_alu instid0(SALU_CYCLE_1) | instskip(SKIP_2) | instid1(VALU_DEP_1)
	s_cmp_lg_u32 s7, 0
	s_waitcnt lgkmcnt(0)
	v_mul_hi_u32 v3, s9, v2
	v_add_nc_u32_e32 v3, v2, v3
	s_delay_alu instid0(VALU_DEP_1) | instskip(NEXT) | instid1(VALU_DEP_1)
	v_lshrrev_b32_e32 v3, s12, v3
	v_mul_lo_u32 v5, v3, s8
	s_delay_alu instid0(VALU_DEP_1) | instskip(NEXT) | instid1(VALU_DEP_1)
	v_sub_nc_u32_e32 v2, v2, v5
	v_mad_u64_u32 v[9:10], null, v2, s10, v[0:1]
	v_mad_u64_u32 v[10:11], null, v2, s11, v[1:2]
	v_mov_b32_e32 v2, v3
	s_delay_alu instid0(VALU_DEP_2)
	v_dual_mov_b32 v0, v9 :: v_dual_mov_b32 v1, v10
	s_cbranch_scc1 .LBB319_25
.LBB319_26:
	s_and_not1_b32 vcc_lo, exec_lo, s6
	s_cbranch_vccnz .LBB319_29
; %bb.27:
	s_clause 0x1
	s_load_b128 s[4:7], s[0:1], 0x4
	s_load_b64 s[2:3], s[0:1], 0xc4
	s_cmp_lt_u32 s26, 2
	s_waitcnt lgkmcnt(0)
	v_mul_hi_u32 v0, s5, v4
	s_delay_alu instid0(VALU_DEP_1) | instskip(NEXT) | instid1(VALU_DEP_1)
	v_add_nc_u32_e32 v0, v4, v0
	v_lshrrev_b32_e32 v2, s6, v0
	s_delay_alu instid0(VALU_DEP_1) | instskip(NEXT) | instid1(VALU_DEP_1)
	v_mul_lo_u32 v0, v2, s4
	v_sub_nc_u32_e32 v1, v4, v0
	s_delay_alu instid0(VALU_DEP_1)
	v_mul_lo_u32 v0, v1, s2
	v_mul_lo_u32 v1, v1, s3
	s_cbranch_scc1 .LBB319_29
; %bb.28:
	s_clause 0x1
	s_load_b128 s[4:7], s[0:1], 0x10
	s_load_b64 s[2:3], s[0:1], 0xcc
	s_waitcnt lgkmcnt(0)
	v_mul_hi_u32 v3, s5, v2
	s_delay_alu instid0(VALU_DEP_1) | instskip(NEXT) | instid1(VALU_DEP_1)
	v_add_nc_u32_e32 v3, v2, v3
	v_lshrrev_b32_e32 v3, s6, v3
	s_delay_alu instid0(VALU_DEP_1) | instskip(NEXT) | instid1(VALU_DEP_1)
	v_mul_lo_u32 v3, v3, s4
	v_sub_nc_u32_e32 v5, v2, v3
	s_delay_alu instid0(VALU_DEP_1) | instskip(NEXT) | instid1(VALU_DEP_1)
	v_mad_u64_u32 v[2:3], null, v5, s2, v[0:1]
	v_mad_u64_u32 v[9:10], null, v5, s3, v[1:2]
	s_delay_alu instid0(VALU_DEP_1)
	v_dual_mov_b32 v0, v2 :: v_dual_mov_b32 v1, v9
.LBB319_29:
	v_cmp_ne_u32_e32 vcc_lo, 1, v6
	v_add_nc_u32_e32 v5, 0x80, v4
	s_cbranch_vccnz .LBB319_35
; %bb.30:
	v_dual_mov_b32 v2, 0 :: v_dual_mov_b32 v3, 0
	s_cmp_lg_u32 s26, 0
	s_mov_b32 s6, 0
	s_cbranch_scc0 .LBB319_39
; %bb.31:
	s_min_u32 s7, s27, 15
	v_mov_b32_e32 v2, 0
	s_add_i32 s7, s7, 1
	s_cmp_eq_u32 s27, 2
	s_mov_b32 s8, 0
	s_cbranch_scc1 .LBB319_36
; %bb.32:
	v_dual_mov_b32 v3, 0 :: v_dual_mov_b32 v2, 0
	v_mov_b32_e32 v7, v5
	s_add_u32 s2, s0, 0xc4
	s_addc_u32 s3, s1, 0
	s_and_b32 s8, s7, 28
	s_mov_b32 s9, 0
	s_mov_b64 s[4:5], s[0:1]
.LBB319_33:                             ; =>This Inner Loop Header: Depth=1
	s_clause 0x1
	s_load_b256 s[12:19], s[4:5], 0x4
	s_load_b128 s[20:23], s[4:5], 0x24
	s_load_b256 s[36:43], s[2:3], 0x0
	s_add_u32 s4, s4, 48
	s_addc_u32 s5, s5, 0
	s_add_i32 s9, s9, 4
	s_add_u32 s2, s2, 32
	s_addc_u32 s3, s3, 0
	s_cmp_lg_u32 s8, s9
	s_waitcnt lgkmcnt(0)
	v_mul_hi_u32 v9, s13, v7
	s_delay_alu instid0(VALU_DEP_1) | instskip(NEXT) | instid1(VALU_DEP_1)
	v_add_nc_u32_e32 v9, v7, v9
	v_lshrrev_b32_e32 v9, s14, v9
	s_delay_alu instid0(VALU_DEP_1) | instskip(SKIP_1) | instid1(VALU_DEP_2)
	v_mul_hi_u32 v10, s16, v9
	v_mul_lo_u32 v12, v9, s12
	v_add_nc_u32_e32 v10, v9, v10
	s_delay_alu instid0(VALU_DEP_2) | instskip(NEXT) | instid1(VALU_DEP_2)
	v_sub_nc_u32_e32 v7, v7, v12
	v_lshrrev_b32_e32 v10, s17, v10
	s_delay_alu instid0(VALU_DEP_2) | instskip(SKIP_1) | instid1(VALU_DEP_3)
	v_mul_lo_u32 v12, v7, s36
	v_mul_lo_u32 v14, v7, s37
	v_mul_hi_u32 v11, s19, v10
	s_delay_alu instid0(VALU_DEP_1) | instskip(NEXT) | instid1(VALU_DEP_1)
	v_add_nc_u32_e32 v11, v10, v11
	v_lshrrev_b32_e32 v11, s20, v11
	s_delay_alu instid0(VALU_DEP_1) | instskip(SKIP_1) | instid1(VALU_DEP_2)
	v_mul_hi_u32 v13, s22, v11
	v_mul_lo_u32 v15, v11, s18
	v_add_nc_u32_e32 v7, v11, v13
	v_mul_lo_u32 v13, v10, s15
	s_delay_alu instid0(VALU_DEP_3) | instskip(NEXT) | instid1(VALU_DEP_3)
	v_sub_nc_u32_e32 v10, v10, v15
	v_lshrrev_b32_e32 v7, s23, v7
	s_delay_alu instid0(VALU_DEP_2) | instskip(SKIP_2) | instid1(VALU_DEP_4)
	v_mul_lo_u32 v15, v10, s40
	v_mul_lo_u32 v10, v10, s41
	v_sub_nc_u32_e32 v9, v9, v13
	v_mul_lo_u32 v16, v7, s21
	s_delay_alu instid0(VALU_DEP_2) | instskip(SKIP_1) | instid1(VALU_DEP_3)
	v_mul_lo_u32 v13, v9, s38
	v_mul_lo_u32 v9, v9, s39
	v_sub_nc_u32_e32 v11, v11, v16
	s_delay_alu instid0(VALU_DEP_3) | instskip(NEXT) | instid1(VALU_DEP_2)
	v_add3_u32 v2, v12, v2, v13
	v_mul_lo_u32 v16, v11, s42
	v_mul_lo_u32 v11, v11, s43
	v_add3_u32 v3, v14, v3, v9
	s_delay_alu instid0(VALU_DEP_3) | instskip(NEXT) | instid1(VALU_DEP_2)
	v_add3_u32 v2, v15, v2, v16
	v_add3_u32 v3, v10, v3, v11
	s_cbranch_scc1 .LBB319_33
; %bb.34:
	s_and_b32 s7, s7, 3
	s_delay_alu instid0(SALU_CYCLE_1)
	s_cmp_eq_u32 s7, 0
	s_cbranch_scc0 .LBB319_37
	s_branch .LBB319_39
.LBB319_35:
	s_mov_b32 s6, -1
                                        ; implicit-def: $vgpr2
                                        ; implicit-def: $vgpr3
	s_branch .LBB319_39
.LBB319_36:
	v_mov_b32_e32 v7, v5
	v_mov_b32_e32 v3, 0
	s_and_b32 s7, s7, 3
	s_delay_alu instid0(SALU_CYCLE_1)
	s_cmp_eq_u32 s7, 0
	s_cbranch_scc1 .LBB319_39
.LBB319_37:
	s_lshl_b32 s2, s8, 3
	s_mul_i32 s4, s8, 12
	s_add_u32 s2, s2, s0
	s_addc_u32 s3, 0, s1
	s_add_u32 s2, s2, 0xc4
	s_addc_u32 s3, s3, 0
	;; [unrolled: 2-line block ×3, first 2 shown]
	.p2align	6
.LBB319_38:                             ; =>This Inner Loop Header: Depth=1
	s_clause 0x1
	s_load_b64 s[8:9], s[4:5], 0x4
	s_load_b32 s12, s[4:5], 0xc
	s_load_b64 s[10:11], s[2:3], 0x0
	s_add_u32 s4, s4, 12
	s_addc_u32 s5, s5, 0
	s_add_u32 s2, s2, 8
	s_addc_u32 s3, s3, 0
	s_add_i32 s7, s7, -1
	s_delay_alu instid0(SALU_CYCLE_1) | instskip(SKIP_2) | instid1(VALU_DEP_1)
	s_cmp_lg_u32 s7, 0
	s_waitcnt lgkmcnt(0)
	v_mul_hi_u32 v9, s9, v7
	v_add_nc_u32_e32 v9, v7, v9
	s_delay_alu instid0(VALU_DEP_1) | instskip(NEXT) | instid1(VALU_DEP_1)
	v_lshrrev_b32_e32 v12, s12, v9
	v_mul_lo_u32 v9, v12, s8
	s_delay_alu instid0(VALU_DEP_1) | instskip(NEXT) | instid1(VALU_DEP_1)
	v_sub_nc_u32_e32 v7, v7, v9
	v_mad_u64_u32 v[9:10], null, v7, s10, v[2:3]
	v_mad_u64_u32 v[10:11], null, v7, s11, v[3:4]
	s_delay_alu instid0(VALU_DEP_2) | instskip(NEXT) | instid1(VALU_DEP_2)
	v_dual_mov_b32 v7, v12 :: v_dual_mov_b32 v2, v9
	v_mov_b32_e32 v3, v10
	s_cbranch_scc1 .LBB319_38
.LBB319_39:
	s_and_not1_b32 vcc_lo, exec_lo, s6
	s_cbranch_vccnz .LBB319_42
; %bb.40:
	s_clause 0x1
	s_load_b128 s[4:7], s[0:1], 0x4
	s_load_b64 s[2:3], s[0:1], 0xc4
	s_cmp_lt_u32 s26, 2
	s_waitcnt lgkmcnt(0)
	v_mul_hi_u32 v2, s5, v5
	s_delay_alu instid0(VALU_DEP_1) | instskip(NEXT) | instid1(VALU_DEP_1)
	v_add_nc_u32_e32 v2, v5, v2
	v_lshrrev_b32_e32 v7, s6, v2
	s_delay_alu instid0(VALU_DEP_1) | instskip(NEXT) | instid1(VALU_DEP_1)
	v_mul_lo_u32 v2, v7, s4
	v_sub_nc_u32_e32 v3, v5, v2
	s_delay_alu instid0(VALU_DEP_1)
	v_mul_lo_u32 v2, v3, s2
	v_mul_lo_u32 v3, v3, s3
	s_cbranch_scc1 .LBB319_42
; %bb.41:
	s_clause 0x1
	s_load_b128 s[4:7], s[0:1], 0x10
	s_load_b64 s[2:3], s[0:1], 0xcc
	s_waitcnt lgkmcnt(0)
	v_mul_hi_u32 v5, s5, v7
	s_delay_alu instid0(VALU_DEP_1) | instskip(NEXT) | instid1(VALU_DEP_1)
	v_add_nc_u32_e32 v5, v7, v5
	v_lshrrev_b32_e32 v5, s6, v5
	s_delay_alu instid0(VALU_DEP_1) | instskip(NEXT) | instid1(VALU_DEP_1)
	v_mul_lo_u32 v5, v5, s4
	v_sub_nc_u32_e32 v5, v7, v5
	s_delay_alu instid0(VALU_DEP_1) | instskip(SKIP_1) | instid1(VALU_DEP_1)
	v_mad_u64_u32 v[9:10], null, v5, s2, v[2:3]
	v_mad_u64_u32 v[10:11], null, v5, s3, v[3:4]
	v_dual_mov_b32 v2, v9 :: v_dual_mov_b32 v3, v10
.LBB319_42:
	v_cmp_ne_u32_e32 vcc_lo, 1, v6
	v_add_nc_u32_e32 v7, 0x100, v4
	s_cbranch_vccnz .LBB319_48
; %bb.43:
	v_dual_mov_b32 v4, 0 :: v_dual_mov_b32 v5, 0
	s_cmp_lg_u32 s26, 0
	s_mov_b32 s6, 0
	s_cbranch_scc0 .LBB319_52
; %bb.44:
	s_min_u32 s7, s27, 15
	v_mov_b32_e32 v4, 0
	s_add_i32 s7, s7, 1
	s_cmp_eq_u32 s27, 2
	s_mov_b32 s8, 0
	s_cbranch_scc1 .LBB319_49
; %bb.45:
	v_dual_mov_b32 v5, 0 :: v_dual_mov_b32 v4, 0
	v_mov_b32_e32 v9, v7
	s_add_u32 s2, s0, 0xc4
	s_addc_u32 s3, s1, 0
	s_and_b32 s8, s7, 28
	s_mov_b32 s9, 0
	s_mov_b64 s[4:5], s[0:1]
.LBB319_46:                             ; =>This Inner Loop Header: Depth=1
	s_clause 0x1
	s_load_b256 s[12:19], s[4:5], 0x4
	s_load_b128 s[20:23], s[4:5], 0x24
	s_load_b256 s[36:43], s[2:3], 0x0
	s_add_u32 s4, s4, 48
	s_addc_u32 s5, s5, 0
	s_add_i32 s9, s9, 4
	s_add_u32 s2, s2, 32
	s_addc_u32 s3, s3, 0
	s_cmp_lg_u32 s8, s9
	s_waitcnt lgkmcnt(0)
	v_mul_hi_u32 v10, s13, v9
	s_delay_alu instid0(VALU_DEP_1) | instskip(NEXT) | instid1(VALU_DEP_1)
	v_add_nc_u32_e32 v10, v9, v10
	v_lshrrev_b32_e32 v10, s14, v10
	s_delay_alu instid0(VALU_DEP_1) | instskip(SKIP_1) | instid1(VALU_DEP_2)
	v_mul_hi_u32 v11, s16, v10
	v_mul_lo_u32 v13, v10, s12
	v_add_nc_u32_e32 v11, v10, v11
	s_delay_alu instid0(VALU_DEP_2) | instskip(NEXT) | instid1(VALU_DEP_2)
	v_sub_nc_u32_e32 v9, v9, v13
	v_lshrrev_b32_e32 v11, s17, v11
	s_delay_alu instid0(VALU_DEP_2) | instskip(SKIP_1) | instid1(VALU_DEP_3)
	v_mul_lo_u32 v13, v9, s36
	v_mul_lo_u32 v15, v9, s37
	v_mul_hi_u32 v12, s19, v11
	s_delay_alu instid0(VALU_DEP_1) | instskip(NEXT) | instid1(VALU_DEP_1)
	v_add_nc_u32_e32 v12, v11, v12
	v_lshrrev_b32_e32 v12, s20, v12
	s_delay_alu instid0(VALU_DEP_1) | instskip(SKIP_1) | instid1(VALU_DEP_2)
	v_mul_hi_u32 v14, s22, v12
	v_mul_lo_u32 v16, v12, s18
	v_add_nc_u32_e32 v9, v12, v14
	v_mul_lo_u32 v14, v11, s15
	s_delay_alu instid0(VALU_DEP_3) | instskip(NEXT) | instid1(VALU_DEP_3)
	v_sub_nc_u32_e32 v11, v11, v16
	v_lshrrev_b32_e32 v9, s23, v9
	s_delay_alu instid0(VALU_DEP_2) | instskip(SKIP_2) | instid1(VALU_DEP_4)
	v_mul_lo_u32 v16, v11, s40
	v_mul_lo_u32 v11, v11, s41
	v_sub_nc_u32_e32 v10, v10, v14
	v_mul_lo_u32 v17, v9, s21
	s_delay_alu instid0(VALU_DEP_2) | instskip(SKIP_1) | instid1(VALU_DEP_3)
	v_mul_lo_u32 v14, v10, s38
	v_mul_lo_u32 v10, v10, s39
	v_sub_nc_u32_e32 v12, v12, v17
	s_delay_alu instid0(VALU_DEP_3) | instskip(NEXT) | instid1(VALU_DEP_2)
	v_add3_u32 v4, v13, v4, v14
	v_mul_lo_u32 v17, v12, s42
	v_mul_lo_u32 v12, v12, s43
	v_add3_u32 v5, v15, v5, v10
	s_delay_alu instid0(VALU_DEP_3) | instskip(NEXT) | instid1(VALU_DEP_2)
	v_add3_u32 v4, v16, v4, v17
	v_add3_u32 v5, v11, v5, v12
	s_cbranch_scc1 .LBB319_46
; %bb.47:
	s_and_b32 s7, s7, 3
	s_delay_alu instid0(SALU_CYCLE_1)
	s_cmp_eq_u32 s7, 0
	s_cbranch_scc0 .LBB319_50
	s_branch .LBB319_52
.LBB319_48:
	s_mov_b32 s6, -1
                                        ; implicit-def: $vgpr4
                                        ; implicit-def: $vgpr5
	s_branch .LBB319_52
.LBB319_49:
	v_mov_b32_e32 v9, v7
	v_mov_b32_e32 v5, 0
	s_and_b32 s7, s7, 3
	s_delay_alu instid0(SALU_CYCLE_1)
	s_cmp_eq_u32 s7, 0
	s_cbranch_scc1 .LBB319_52
.LBB319_50:
	s_lshl_b32 s2, s8, 3
	s_mul_i32 s4, s8, 12
	s_add_u32 s2, s2, s0
	s_addc_u32 s3, 0, s1
	s_add_u32 s2, s2, 0xc4
	s_addc_u32 s3, s3, 0
	s_add_u32 s4, s0, s4
	s_addc_u32 s5, 0, s1
	.p2align	6
.LBB319_51:                             ; =>This Inner Loop Header: Depth=1
	s_clause 0x1
	s_load_b64 s[8:9], s[4:5], 0x4
	s_load_b32 s12, s[4:5], 0xc
	s_load_b64 s[10:11], s[2:3], 0x0
	s_add_u32 s4, s4, 12
	s_addc_u32 s5, s5, 0
	s_add_u32 s2, s2, 8
	s_addc_u32 s3, s3, 0
	s_add_i32 s7, s7, -1
	s_delay_alu instid0(SALU_CYCLE_1) | instskip(SKIP_2) | instid1(VALU_DEP_1)
	s_cmp_lg_u32 s7, 0
	s_waitcnt lgkmcnt(0)
	v_mul_hi_u32 v10, s9, v9
	v_add_nc_u32_e32 v10, v9, v10
	s_delay_alu instid0(VALU_DEP_1) | instskip(NEXT) | instid1(VALU_DEP_1)
	v_lshrrev_b32_e32 v13, s12, v10
	v_mul_lo_u32 v10, v13, s8
	s_delay_alu instid0(VALU_DEP_1) | instskip(NEXT) | instid1(VALU_DEP_1)
	v_sub_nc_u32_e32 v9, v9, v10
	v_mad_u64_u32 v[10:11], null, v9, s10, v[4:5]
	v_mad_u64_u32 v[11:12], null, v9, s11, v[5:6]
	s_delay_alu instid0(VALU_DEP_2) | instskip(NEXT) | instid1(VALU_DEP_2)
	v_dual_mov_b32 v9, v13 :: v_dual_mov_b32 v4, v10
	v_mov_b32_e32 v5, v11
	s_cbranch_scc1 .LBB319_51
.LBB319_52:
	s_and_not1_b32 vcc_lo, exec_lo, s6
	s_cbranch_vccnz .LBB319_55
; %bb.53:
	s_clause 0x1
	s_load_b128 s[4:7], s[0:1], 0x4
	s_load_b64 s[2:3], s[0:1], 0xc4
	s_cmp_lt_u32 s26, 2
	s_waitcnt lgkmcnt(0)
	v_mul_hi_u32 v4, s5, v7
	s_delay_alu instid0(VALU_DEP_1) | instskip(NEXT) | instid1(VALU_DEP_1)
	v_add_nc_u32_e32 v4, v7, v4
	v_lshrrev_b32_e32 v9, s6, v4
	s_delay_alu instid0(VALU_DEP_1) | instskip(NEXT) | instid1(VALU_DEP_1)
	v_mul_lo_u32 v4, v9, s4
	v_sub_nc_u32_e32 v5, v7, v4
	s_delay_alu instid0(VALU_DEP_1)
	v_mul_lo_u32 v4, v5, s2
	v_mul_lo_u32 v5, v5, s3
	s_cbranch_scc1 .LBB319_55
; %bb.54:
	s_clause 0x1
	s_load_b128 s[4:7], s[0:1], 0x10
	s_load_b64 s[2:3], s[0:1], 0xcc
	s_waitcnt lgkmcnt(0)
	v_mul_hi_u32 v7, s5, v9
	s_delay_alu instid0(VALU_DEP_1) | instskip(NEXT) | instid1(VALU_DEP_1)
	v_add_nc_u32_e32 v7, v9, v7
	v_lshrrev_b32_e32 v7, s6, v7
	s_delay_alu instid0(VALU_DEP_1) | instskip(NEXT) | instid1(VALU_DEP_1)
	v_mul_lo_u32 v7, v7, s4
	v_sub_nc_u32_e32 v7, v9, v7
	s_delay_alu instid0(VALU_DEP_1) | instskip(SKIP_1) | instid1(VALU_DEP_1)
	v_mad_u64_u32 v[9:10], null, v7, s2, v[4:5]
	v_mad_u64_u32 v[10:11], null, v7, s3, v[5:6]
	v_dual_mov_b32 v4, v9 :: v_dual_mov_b32 v5, v10
.LBB319_55:
	v_cmp_ne_u32_e32 vcc_lo, 1, v6
	s_cbranch_vccnz .LBB319_61
; %bb.56:
	v_dual_mov_b32 v6, 0 :: v_dual_mov_b32 v7, 0
	s_cmp_lg_u32 s26, 0
	s_mov_b32 s6, 0
	s_cbranch_scc0 .LBB319_65
; %bb.57:
	s_min_u32 s7, s27, 15
	v_mov_b32_e32 v6, 0
	s_add_i32 s7, s7, 1
	s_cmp_eq_u32 s27, 2
	s_mov_b32 s8, 0
	s_cbranch_scc1 .LBB319_62
; %bb.58:
	v_dual_mov_b32 v7, 0 :: v_dual_mov_b32 v6, 0
	v_mov_b32_e32 v9, v8
	s_add_u32 s2, s0, 0xc4
	s_addc_u32 s3, s1, 0
	s_and_b32 s8, s7, 28
	s_mov_b32 s9, 0
	s_mov_b64 s[4:5], s[0:1]
.LBB319_59:                             ; =>This Inner Loop Header: Depth=1
	s_clause 0x1
	s_load_b256 s[12:19], s[4:5], 0x4
	s_load_b128 s[20:23], s[4:5], 0x24
	s_load_b256 s[36:43], s[2:3], 0x0
	s_add_u32 s4, s4, 48
	s_addc_u32 s5, s5, 0
	s_add_i32 s9, s9, 4
	s_add_u32 s2, s2, 32
	s_addc_u32 s3, s3, 0
	s_cmp_lg_u32 s8, s9
	s_waitcnt lgkmcnt(0)
	v_mul_hi_u32 v10, s13, v9
	s_delay_alu instid0(VALU_DEP_1) | instskip(NEXT) | instid1(VALU_DEP_1)
	v_add_nc_u32_e32 v10, v9, v10
	v_lshrrev_b32_e32 v10, s14, v10
	s_delay_alu instid0(VALU_DEP_1) | instskip(SKIP_1) | instid1(VALU_DEP_2)
	v_mul_hi_u32 v11, s16, v10
	v_mul_lo_u32 v13, v10, s12
	v_add_nc_u32_e32 v11, v10, v11
	s_delay_alu instid0(VALU_DEP_2) | instskip(NEXT) | instid1(VALU_DEP_2)
	v_sub_nc_u32_e32 v9, v9, v13
	v_lshrrev_b32_e32 v11, s17, v11
	s_delay_alu instid0(VALU_DEP_2) | instskip(SKIP_1) | instid1(VALU_DEP_3)
	v_mul_lo_u32 v13, v9, s36
	v_mul_lo_u32 v15, v9, s37
	v_mul_hi_u32 v12, s19, v11
	s_delay_alu instid0(VALU_DEP_1) | instskip(NEXT) | instid1(VALU_DEP_1)
	v_add_nc_u32_e32 v12, v11, v12
	v_lshrrev_b32_e32 v12, s20, v12
	s_delay_alu instid0(VALU_DEP_1) | instskip(SKIP_1) | instid1(VALU_DEP_2)
	v_mul_hi_u32 v14, s22, v12
	v_mul_lo_u32 v16, v12, s18
	v_add_nc_u32_e32 v9, v12, v14
	v_mul_lo_u32 v14, v11, s15
	s_delay_alu instid0(VALU_DEP_3) | instskip(NEXT) | instid1(VALU_DEP_3)
	v_sub_nc_u32_e32 v11, v11, v16
	v_lshrrev_b32_e32 v9, s23, v9
	s_delay_alu instid0(VALU_DEP_2) | instskip(SKIP_2) | instid1(VALU_DEP_4)
	v_mul_lo_u32 v16, v11, s40
	v_mul_lo_u32 v11, v11, s41
	v_sub_nc_u32_e32 v10, v10, v14
	v_mul_lo_u32 v17, v9, s21
	s_delay_alu instid0(VALU_DEP_2) | instskip(SKIP_1) | instid1(VALU_DEP_3)
	v_mul_lo_u32 v14, v10, s38
	v_mul_lo_u32 v10, v10, s39
	v_sub_nc_u32_e32 v12, v12, v17
	s_delay_alu instid0(VALU_DEP_3) | instskip(NEXT) | instid1(VALU_DEP_2)
	v_add3_u32 v6, v13, v6, v14
	v_mul_lo_u32 v17, v12, s42
	v_mul_lo_u32 v12, v12, s43
	v_add3_u32 v7, v15, v7, v10
	s_delay_alu instid0(VALU_DEP_3) | instskip(NEXT) | instid1(VALU_DEP_2)
	v_add3_u32 v6, v16, v6, v17
	v_add3_u32 v7, v11, v7, v12
	s_cbranch_scc1 .LBB319_59
; %bb.60:
	s_and_b32 s7, s7, 3
	s_delay_alu instid0(SALU_CYCLE_1)
	s_cmp_eq_u32 s7, 0
	s_cbranch_scc0 .LBB319_63
	s_branch .LBB319_65
.LBB319_61:
	s_mov_b32 s6, -1
                                        ; implicit-def: $vgpr6
                                        ; implicit-def: $vgpr7
	s_branch .LBB319_65
.LBB319_62:
	v_mov_b32_e32 v9, v8
	v_mov_b32_e32 v7, 0
	s_and_b32 s7, s7, 3
	s_delay_alu instid0(SALU_CYCLE_1)
	s_cmp_eq_u32 s7, 0
	s_cbranch_scc1 .LBB319_65
.LBB319_63:
	s_lshl_b32 s2, s8, 3
	s_mul_i32 s4, s8, 12
	s_add_u32 s2, s2, s0
	s_addc_u32 s3, 0, s1
	s_add_u32 s2, s2, 0xc4
	s_addc_u32 s3, s3, 0
	;; [unrolled: 2-line block ×3, first 2 shown]
	.p2align	6
.LBB319_64:                             ; =>This Inner Loop Header: Depth=1
	s_clause 0x1
	s_load_b64 s[8:9], s[4:5], 0x4
	s_load_b32 s12, s[4:5], 0xc
	s_load_b64 s[10:11], s[2:3], 0x0
	s_add_u32 s4, s4, 12
	s_addc_u32 s5, s5, 0
	s_add_u32 s2, s2, 8
	s_addc_u32 s3, s3, 0
	s_add_i32 s7, s7, -1
	s_delay_alu instid0(SALU_CYCLE_1) | instskip(SKIP_2) | instid1(VALU_DEP_1)
	s_cmp_lg_u32 s7, 0
	s_waitcnt lgkmcnt(0)
	v_mul_hi_u32 v10, s9, v9
	v_add_nc_u32_e32 v10, v9, v10
	s_delay_alu instid0(VALU_DEP_1) | instskip(NEXT) | instid1(VALU_DEP_1)
	v_lshrrev_b32_e32 v13, s12, v10
	v_mul_lo_u32 v10, v13, s8
	s_delay_alu instid0(VALU_DEP_1) | instskip(NEXT) | instid1(VALU_DEP_1)
	v_sub_nc_u32_e32 v9, v9, v10
	v_mad_u64_u32 v[10:11], null, v9, s10, v[6:7]
	v_mad_u64_u32 v[11:12], null, v9, s11, v[7:8]
	s_delay_alu instid0(VALU_DEP_2) | instskip(NEXT) | instid1(VALU_DEP_2)
	v_dual_mov_b32 v9, v13 :: v_dual_mov_b32 v6, v10
	v_mov_b32_e32 v7, v11
	s_cbranch_scc1 .LBB319_64
.LBB319_65:
	s_and_not1_b32 vcc_lo, exec_lo, s6
	s_cbranch_vccnz .LBB319_68
; %bb.66:
	s_clause 0x1
	s_load_b128 s[4:7], s[0:1], 0x4
	s_load_b64 s[2:3], s[0:1], 0xc4
	s_cmp_lt_u32 s26, 2
	s_waitcnt lgkmcnt(0)
	v_mul_hi_u32 v6, s5, v8
	s_delay_alu instid0(VALU_DEP_1) | instskip(NEXT) | instid1(VALU_DEP_1)
	v_add_nc_u32_e32 v6, v8, v6
	v_lshrrev_b32_e32 v9, s6, v6
	s_delay_alu instid0(VALU_DEP_1) | instskip(NEXT) | instid1(VALU_DEP_1)
	v_mul_lo_u32 v6, v9, s4
	v_sub_nc_u32_e32 v7, v8, v6
	s_delay_alu instid0(VALU_DEP_1)
	v_mul_lo_u32 v6, v7, s2
	v_mul_lo_u32 v7, v7, s3
	s_cbranch_scc1 .LBB319_68
; %bb.67:
	s_clause 0x1
	s_load_b128 s[4:7], s[0:1], 0x10
	s_load_b64 s[2:3], s[0:1], 0xcc
	s_waitcnt lgkmcnt(0)
	v_mul_hi_u32 v8, s5, v9
	s_delay_alu instid0(VALU_DEP_1) | instskip(NEXT) | instid1(VALU_DEP_1)
	v_add_nc_u32_e32 v8, v9, v8
	v_lshrrev_b32_e32 v8, s6, v8
	s_delay_alu instid0(VALU_DEP_1) | instskip(NEXT) | instid1(VALU_DEP_1)
	v_mul_lo_u32 v8, v8, s4
	v_sub_nc_u32_e32 v11, v9, v8
	s_delay_alu instid0(VALU_DEP_1) | instskip(NEXT) | instid1(VALU_DEP_1)
	v_mad_u64_u32 v[8:9], null, v11, s2, v[6:7]
	v_mad_u64_u32 v[9:10], null, v11, s3, v[7:8]
	s_delay_alu instid0(VALU_DEP_1)
	v_dual_mov_b32 v6, v8 :: v_dual_mov_b32 v7, v9
.LBB319_68:
	s_load_b256 s[4:11], s[0:1], 0x148
	s_waitcnt lgkmcnt(0)
	s_clause 0x3
	global_load_b64 v[8:9], v1, s[6:7]
	global_load_b64 v[10:11], v3, s[6:7]
	;; [unrolled: 1-line block ×4, first 2 shown]
	v_max_f64 v[16:17], s[8:9], s[8:9]
	v_max_f64 v[26:27], s[10:11], s[10:11]
	s_waitcnt vmcnt(3)
	v_max_f64 v[18:19], v[8:9], v[8:9]
	s_waitcnt vmcnt(2)
	;; [unrolled: 2-line block ×4, first 2 shown]
	v_max_f64 v[24:25], v[14:15], v[14:15]
	v_cmp_u_f64_e32 vcc_lo, v[8:9], v[8:9]
	v_cmp_u_f64_e64 s0, v[10:11], v[10:11]
	v_cmp_u_f64_e64 s1, v[12:13], v[12:13]
	;; [unrolled: 1-line block ×3, first 2 shown]
	v_max_f64 v[18:19], v[18:19], v[16:17]
	v_max_f64 v[20:21], v[20:21], v[16:17]
	;; [unrolled: 1-line block ×4, first 2 shown]
	s_delay_alu instid0(VALU_DEP_4) | instskip(NEXT) | instid1(VALU_DEP_4)
	v_min_f64 v[18:19], v[18:19], v[26:27]
	v_min_f64 v[20:21], v[20:21], v[26:27]
	s_delay_alu instid0(VALU_DEP_4) | instskip(NEXT) | instid1(VALU_DEP_4)
	v_min_f64 v[22:23], v[22:23], v[26:27]
	v_min_f64 v[16:17], v[16:17], v[26:27]
	s_delay_alu instid0(VALU_DEP_4) | instskip(NEXT) | instid1(VALU_DEP_4)
	v_dual_cndmask_b32 v9, v19, v9 :: v_dual_cndmask_b32 v8, v18, v8
	v_cndmask_b32_e64 v11, v21, v11, s0
	v_cndmask_b32_e64 v10, v20, v10, s0
	;; [unrolled: 1-line block ×6, first 2 shown]
	s_clause 0x3
	global_store_b64 v0, v[8:9], s[4:5]
	global_store_b64 v2, v[10:11], s[4:5]
	;; [unrolled: 1-line block ×4, first 2 shown]
	s_nop 0
	s_sendmsg sendmsg(MSG_DEALLOC_VGPRS)
	s_endpgm
.LBB319_69:
	v_dual_mov_b32 v2, v4 :: v_dual_mov_b32 v1, 0
.LBB319_70:
	s_and_b32 s38, s38, 3
	s_delay_alu instid0(SALU_CYCLE_1)
	s_cmp_eq_u32 s38, 0
	s_cbranch_scc1 .LBB319_73
; %bb.71:
	s_lshl_b32 s22, s37, 3
	s_mul_i32 s24, s37, 12
	s_add_u32 s22, s22, s0
	s_addc_u32 s23, s1, 0
	s_add_u32 s22, s22, 0xc4
	s_addc_u32 s23, s23, 0
	;; [unrolled: 2-line block ×3, first 2 shown]
	.p2align	6
.LBB319_72:                             ; =>This Inner Loop Header: Depth=1
	s_clause 0x1
	s_load_b64 s[40:41], s[24:25], 0x4
	s_load_b32 s37, s[24:25], 0xc
	s_load_b64 s[42:43], s[22:23], 0x0
	s_add_u32 s24, s24, 12
	s_addc_u32 s25, s25, 0
	s_add_u32 s22, s22, 8
	s_addc_u32 s23, s23, 0
	s_add_i32 s38, s38, -1
	s_delay_alu instid0(SALU_CYCLE_1) | instskip(SKIP_2) | instid1(VALU_DEP_1)
	s_cmp_lg_u32 s38, 0
	s_waitcnt lgkmcnt(0)
	v_mul_hi_u32 v3, s41, v2
	v_add_nc_u32_e32 v3, v2, v3
	s_delay_alu instid0(VALU_DEP_1) | instskip(NEXT) | instid1(VALU_DEP_1)
	v_lshrrev_b32_e32 v3, s37, v3
	v_mul_lo_u32 v5, v3, s40
	s_delay_alu instid0(VALU_DEP_1) | instskip(NEXT) | instid1(VALU_DEP_1)
	v_sub_nc_u32_e32 v2, v2, v5
	v_mad_u64_u32 v[5:6], null, v2, s42, v[0:1]
	v_mad_u64_u32 v[6:7], null, v2, s43, v[1:2]
	v_mov_b32_e32 v2, v3
	s_delay_alu instid0(VALU_DEP_2)
	v_dual_mov_b32 v0, v5 :: v_dual_mov_b32 v1, v6
	s_cbranch_scc1 .LBB319_72
.LBB319_73:
	s_and_not1_b32 vcc_lo, exec_lo, s36
	s_cbranch_vccnz .LBB319_76
; %bb.74:
	s_waitcnt lgkmcnt(0)
	v_mul_hi_u32 v0, s17, v4
	s_and_not1_b32 vcc_lo, exec_lo, s30
	s_delay_alu instid0(VALU_DEP_1) | instskip(NEXT) | instid1(VALU_DEP_1)
	v_add_nc_u32_e32 v0, v4, v0
	v_lshrrev_b32_e32 v2, s18, v0
	s_delay_alu instid0(VALU_DEP_1) | instskip(NEXT) | instid1(VALU_DEP_1)
	v_mul_lo_u32 v0, v2, s16
	v_sub_nc_u32_e32 v1, v4, v0
	s_delay_alu instid0(VALU_DEP_1)
	v_mul_lo_u32 v0, v1, s12
	v_mul_lo_u32 v1, v1, s13
	s_cbranch_vccnz .LBB319_76
; %bb.75:
	v_mul_hi_u32 v3, s2, v2
	s_delay_alu instid0(VALU_DEP_1) | instskip(NEXT) | instid1(VALU_DEP_1)
	v_add_nc_u32_e32 v3, v2, v3
	v_lshrrev_b32_e32 v3, s3, v3
	s_delay_alu instid0(VALU_DEP_1) | instskip(NEXT) | instid1(VALU_DEP_1)
	v_mul_lo_u32 v3, v3, s19
	v_sub_nc_u32_e32 v7, v2, v3
	s_delay_alu instid0(VALU_DEP_1) | instskip(NEXT) | instid1(VALU_DEP_1)
	v_mad_u64_u32 v[2:3], null, v7, s14, v[0:1]
	v_mad_u64_u32 v[5:6], null, v7, s15, v[1:2]
	s_delay_alu instid0(VALU_DEP_1)
	v_dual_mov_b32 v0, v2 :: v_dual_mov_b32 v1, v5
.LBB319_76:
	s_waitcnt lgkmcnt(0)
	global_load_b64 v[1:2], v1, s[6:7]
	v_max_f64 v[5:6], s[8:9], s[8:9]
	v_max_f64 v[9:10], s[10:11], s[10:11]
	v_add_nc_u32_e32 v4, 0x80, v4
	s_waitcnt vmcnt(0)
	v_max_f64 v[7:8], v[1:2], v[1:2]
	v_cmp_u_f64_e32 vcc_lo, v[1:2], v[1:2]
	s_delay_alu instid0(VALU_DEP_2) | instskip(NEXT) | instid1(VALU_DEP_1)
	v_max_f64 v[5:6], v[7:8], v[5:6]
	v_min_f64 v[5:6], v[5:6], v[9:10]
	s_delay_alu instid0(VALU_DEP_1) | instskip(SKIP_2) | instid1(SALU_CYCLE_1)
	v_dual_cndmask_b32 v2, v6, v2 :: v_dual_cndmask_b32 v1, v5, v1
	global_store_b64 v0, v[1:2], s[4:5]
	s_or_b32 exec_lo, exec_lo, s35
	s_mov_b32 s35, exec_lo
	v_cmpx_gt_i32_e64 s31, v4
	s_cbranch_execnz .LBB319_15
.LBB319_77:
	s_or_b32 exec_lo, exec_lo, s35
	s_delay_alu instid0(SALU_CYCLE_1)
	s_mov_b32 s35, exec_lo
	v_cmpx_gt_i32_e64 s31, v4
	s_cbranch_execz .LBB319_92
.LBB319_78:
	s_and_not1_b32 vcc_lo, exec_lo, s28
	s_cbranch_vccnz .LBB319_83
; %bb.79:
	v_dual_mov_b32 v0, 0 :: v_dual_mov_b32 v1, 0
	s_and_not1_b32 vcc_lo, exec_lo, s34
	s_mov_b32 s36, 0
	s_cbranch_vccnz .LBB319_99
; %bb.80:
	v_mov_b32_e32 v0, 0
	s_add_i32 s38, s33, 1
	s_cmp_eq_u32 s27, 2
	s_mov_b32 s37, 0
	s_cbranch_scc1 .LBB319_95
; %bb.81:
	v_dual_mov_b32 v1, 0 :: v_dual_mov_b32 v0, 0
	v_mov_b32_e32 v2, v4
	s_and_b32 s37, s38, 28
	s_mov_b32 s39, 0
	s_mov_b64 s[22:23], s[20:21]
	s_mov_b64 s[24:25], s[0:1]
.LBB319_82:                             ; =>This Inner Loop Header: Depth=1
	s_clause 0x1
	s_load_b256 s[40:47], s[24:25], 0x4
	s_load_b128 s[56:59], s[24:25], 0x24
	s_load_b256 s[48:55], s[22:23], 0x0
	s_add_u32 s24, s24, 48
	s_addc_u32 s25, s25, 0
	s_add_i32 s39, s39, 4
	s_add_u32 s22, s22, 32
	s_addc_u32 s23, s23, 0
	s_cmp_eq_u32 s37, s39
	s_waitcnt lgkmcnt(0)
	v_mul_hi_u32 v3, s41, v2
	s_delay_alu instid0(VALU_DEP_1) | instskip(NEXT) | instid1(VALU_DEP_1)
	v_add_nc_u32_e32 v3, v2, v3
	v_lshrrev_b32_e32 v3, s42, v3
	s_delay_alu instid0(VALU_DEP_1) | instskip(SKIP_1) | instid1(VALU_DEP_2)
	v_mul_hi_u32 v5, s44, v3
	v_mul_lo_u32 v7, v3, s40
	v_add_nc_u32_e32 v5, v3, v5
	s_delay_alu instid0(VALU_DEP_2) | instskip(NEXT) | instid1(VALU_DEP_2)
	v_sub_nc_u32_e32 v2, v2, v7
	v_lshrrev_b32_e32 v5, s45, v5
	s_delay_alu instid0(VALU_DEP_2) | instskip(SKIP_1) | instid1(VALU_DEP_3)
	v_mul_lo_u32 v7, v2, s48
	v_mul_lo_u32 v9, v2, s49
	v_mul_hi_u32 v6, s47, v5
	s_delay_alu instid0(VALU_DEP_1) | instskip(NEXT) | instid1(VALU_DEP_1)
	v_add_nc_u32_e32 v6, v5, v6
	v_lshrrev_b32_e32 v6, s56, v6
	s_delay_alu instid0(VALU_DEP_1) | instskip(SKIP_1) | instid1(VALU_DEP_2)
	v_mul_hi_u32 v8, s58, v6
	v_mul_lo_u32 v10, v6, s46
	v_add_nc_u32_e32 v2, v6, v8
	v_mul_lo_u32 v8, v5, s43
	s_delay_alu instid0(VALU_DEP_3) | instskip(NEXT) | instid1(VALU_DEP_3)
	v_sub_nc_u32_e32 v5, v5, v10
	v_lshrrev_b32_e32 v2, s59, v2
	s_delay_alu instid0(VALU_DEP_2) | instskip(SKIP_2) | instid1(VALU_DEP_4)
	v_mul_lo_u32 v10, v5, s52
	v_mul_lo_u32 v5, v5, s53
	v_sub_nc_u32_e32 v3, v3, v8
	v_mul_lo_u32 v11, v2, s57
	s_delay_alu instid0(VALU_DEP_2) | instskip(SKIP_1) | instid1(VALU_DEP_3)
	v_mul_lo_u32 v8, v3, s50
	v_mul_lo_u32 v3, v3, s51
	v_sub_nc_u32_e32 v6, v6, v11
	s_delay_alu instid0(VALU_DEP_3) | instskip(NEXT) | instid1(VALU_DEP_2)
	v_add3_u32 v0, v7, v0, v8
	v_mul_lo_u32 v11, v6, s54
	v_mul_lo_u32 v6, v6, s55
	v_add3_u32 v1, v9, v1, v3
	s_delay_alu instid0(VALU_DEP_3) | instskip(NEXT) | instid1(VALU_DEP_2)
	v_add3_u32 v0, v10, v0, v11
	v_add3_u32 v1, v5, v1, v6
	s_cbranch_scc0 .LBB319_82
	s_branch .LBB319_96
.LBB319_83:
	s_mov_b32 s36, -1
                                        ; implicit-def: $vgpr0
                                        ; implicit-def: $vgpr1
	s_branch .LBB319_99
.LBB319_84:
	v_dual_mov_b32 v2, v4 :: v_dual_mov_b32 v1, 0
.LBB319_85:
	s_and_b32 s38, s38, 3
	s_delay_alu instid0(SALU_CYCLE_1)
	s_cmp_eq_u32 s38, 0
	s_cbranch_scc1 .LBB319_88
; %bb.86:
	s_lshl_b32 s22, s37, 3
	s_mul_i32 s24, s37, 12
	s_add_u32 s22, s22, s0
	s_addc_u32 s23, s1, 0
	s_add_u32 s22, s22, 0xc4
	s_addc_u32 s23, s23, 0
	;; [unrolled: 2-line block ×3, first 2 shown]
	.p2align	6
.LBB319_87:                             ; =>This Inner Loop Header: Depth=1
	s_clause 0x1
	s_load_b64 s[40:41], s[24:25], 0x4
	s_load_b32 s37, s[24:25], 0xc
	s_load_b64 s[42:43], s[22:23], 0x0
	s_add_u32 s24, s24, 12
	s_addc_u32 s25, s25, 0
	s_add_u32 s22, s22, 8
	s_addc_u32 s23, s23, 0
	s_add_i32 s38, s38, -1
	s_delay_alu instid0(SALU_CYCLE_1) | instskip(SKIP_2) | instid1(VALU_DEP_1)
	s_cmp_lg_u32 s38, 0
	s_waitcnt lgkmcnt(0)
	v_mul_hi_u32 v3, s41, v2
	v_add_nc_u32_e32 v3, v2, v3
	s_delay_alu instid0(VALU_DEP_1) | instskip(NEXT) | instid1(VALU_DEP_1)
	v_lshrrev_b32_e32 v3, s37, v3
	v_mul_lo_u32 v5, v3, s40
	s_delay_alu instid0(VALU_DEP_1) | instskip(NEXT) | instid1(VALU_DEP_1)
	v_sub_nc_u32_e32 v2, v2, v5
	v_mad_u64_u32 v[5:6], null, v2, s42, v[0:1]
	v_mad_u64_u32 v[6:7], null, v2, s43, v[1:2]
	v_mov_b32_e32 v2, v3
	s_delay_alu instid0(VALU_DEP_2)
	v_dual_mov_b32 v0, v5 :: v_dual_mov_b32 v1, v6
	s_cbranch_scc1 .LBB319_87
.LBB319_88:
	s_and_not1_b32 vcc_lo, exec_lo, s36
	s_cbranch_vccnz .LBB319_91
; %bb.89:
	s_waitcnt lgkmcnt(0)
	v_mul_hi_u32 v0, s17, v4
	s_and_not1_b32 vcc_lo, exec_lo, s30
	s_delay_alu instid0(VALU_DEP_1) | instskip(NEXT) | instid1(VALU_DEP_1)
	v_add_nc_u32_e32 v0, v4, v0
	v_lshrrev_b32_e32 v2, s18, v0
	s_delay_alu instid0(VALU_DEP_1) | instskip(NEXT) | instid1(VALU_DEP_1)
	v_mul_lo_u32 v0, v2, s16
	v_sub_nc_u32_e32 v1, v4, v0
	s_delay_alu instid0(VALU_DEP_1)
	v_mul_lo_u32 v0, v1, s12
	v_mul_lo_u32 v1, v1, s13
	s_cbranch_vccnz .LBB319_91
; %bb.90:
	v_mul_hi_u32 v3, s2, v2
	s_delay_alu instid0(VALU_DEP_1) | instskip(NEXT) | instid1(VALU_DEP_1)
	v_add_nc_u32_e32 v3, v2, v3
	v_lshrrev_b32_e32 v3, s3, v3
	s_delay_alu instid0(VALU_DEP_1) | instskip(NEXT) | instid1(VALU_DEP_1)
	v_mul_lo_u32 v3, v3, s19
	v_sub_nc_u32_e32 v7, v2, v3
	s_delay_alu instid0(VALU_DEP_1) | instskip(NEXT) | instid1(VALU_DEP_1)
	v_mad_u64_u32 v[2:3], null, v7, s14, v[0:1]
	v_mad_u64_u32 v[5:6], null, v7, s15, v[1:2]
	s_delay_alu instid0(VALU_DEP_1)
	v_dual_mov_b32 v0, v2 :: v_dual_mov_b32 v1, v5
.LBB319_91:
	s_waitcnt lgkmcnt(0)
	global_load_b64 v[1:2], v1, s[6:7]
	v_max_f64 v[5:6], s[8:9], s[8:9]
	v_max_f64 v[9:10], s[10:11], s[10:11]
	v_add_nc_u32_e32 v4, 0x80, v4
	s_waitcnt vmcnt(0)
	v_max_f64 v[7:8], v[1:2], v[1:2]
	v_cmp_u_f64_e32 vcc_lo, v[1:2], v[1:2]
	s_delay_alu instid0(VALU_DEP_2) | instskip(NEXT) | instid1(VALU_DEP_1)
	v_max_f64 v[5:6], v[7:8], v[5:6]
	v_min_f64 v[5:6], v[5:6], v[9:10]
	s_delay_alu instid0(VALU_DEP_1) | instskip(SKIP_2) | instid1(SALU_CYCLE_1)
	v_dual_cndmask_b32 v2, v6, v2 :: v_dual_cndmask_b32 v1, v5, v1
	global_store_b64 v0, v[1:2], s[4:5]
	s_or_b32 exec_lo, exec_lo, s35
	s_mov_b32 s35, exec_lo
	v_cmpx_gt_i32_e64 s31, v4
	s_cbranch_execnz .LBB319_78
.LBB319_92:
	s_or_b32 exec_lo, exec_lo, s35
	s_delay_alu instid0(SALU_CYCLE_1)
	s_mov_b32 s24, exec_lo
	v_cmpx_gt_i32_e64 s31, v4
	s_cbranch_execnz .LBB319_103
.LBB319_93:
	s_or_b32 exec_lo, exec_lo, s24
                                        ; implicit-def: $vgpr8
                                        ; implicit-def: $vgpr4
	s_waitcnt lgkmcnt(0)
	s_and_not1_saveexec_b32 s2, s29
	s_cbranch_execnz .LBB319_8
.LBB319_94:
	s_nop 0
	s_sendmsg sendmsg(MSG_DEALLOC_VGPRS)
	s_endpgm
.LBB319_95:
	v_dual_mov_b32 v2, v4 :: v_dual_mov_b32 v1, 0
.LBB319_96:
	s_and_b32 s38, s38, 3
	s_delay_alu instid0(SALU_CYCLE_1)
	s_cmp_eq_u32 s38, 0
	s_cbranch_scc1 .LBB319_99
; %bb.97:
	s_lshl_b32 s22, s37, 3
	s_mul_i32 s24, s37, 12
	s_add_u32 s22, s22, s0
	s_addc_u32 s23, s1, 0
	s_add_u32 s22, s22, 0xc4
	s_addc_u32 s23, s23, 0
	;; [unrolled: 2-line block ×3, first 2 shown]
	.p2align	6
.LBB319_98:                             ; =>This Inner Loop Header: Depth=1
	s_clause 0x1
	s_load_b64 s[40:41], s[24:25], 0x4
	s_load_b32 s37, s[24:25], 0xc
	s_load_b64 s[42:43], s[22:23], 0x0
	s_add_u32 s24, s24, 12
	s_addc_u32 s25, s25, 0
	s_add_u32 s22, s22, 8
	s_addc_u32 s23, s23, 0
	s_add_i32 s38, s38, -1
	s_delay_alu instid0(SALU_CYCLE_1) | instskip(SKIP_2) | instid1(VALU_DEP_1)
	s_cmp_lg_u32 s38, 0
	s_waitcnt lgkmcnt(0)
	v_mul_hi_u32 v3, s41, v2
	v_add_nc_u32_e32 v3, v2, v3
	s_delay_alu instid0(VALU_DEP_1) | instskip(NEXT) | instid1(VALU_DEP_1)
	v_lshrrev_b32_e32 v3, s37, v3
	v_mul_lo_u32 v5, v3, s40
	s_delay_alu instid0(VALU_DEP_1) | instskip(NEXT) | instid1(VALU_DEP_1)
	v_sub_nc_u32_e32 v2, v2, v5
	v_mad_u64_u32 v[5:6], null, v2, s42, v[0:1]
	v_mad_u64_u32 v[6:7], null, v2, s43, v[1:2]
	v_mov_b32_e32 v2, v3
	s_delay_alu instid0(VALU_DEP_2)
	v_dual_mov_b32 v0, v5 :: v_dual_mov_b32 v1, v6
	s_cbranch_scc1 .LBB319_98
.LBB319_99:
	s_and_not1_b32 vcc_lo, exec_lo, s36
	s_cbranch_vccnz .LBB319_102
; %bb.100:
	s_waitcnt lgkmcnt(0)
	v_mul_hi_u32 v0, s17, v4
	s_and_not1_b32 vcc_lo, exec_lo, s30
	s_delay_alu instid0(VALU_DEP_1) | instskip(NEXT) | instid1(VALU_DEP_1)
	v_add_nc_u32_e32 v0, v4, v0
	v_lshrrev_b32_e32 v2, s18, v0
	s_delay_alu instid0(VALU_DEP_1) | instskip(NEXT) | instid1(VALU_DEP_1)
	v_mul_lo_u32 v0, v2, s16
	v_sub_nc_u32_e32 v1, v4, v0
	s_delay_alu instid0(VALU_DEP_1)
	v_mul_lo_u32 v0, v1, s12
	v_mul_lo_u32 v1, v1, s13
	s_cbranch_vccnz .LBB319_102
; %bb.101:
	v_mul_hi_u32 v3, s2, v2
	s_delay_alu instid0(VALU_DEP_1) | instskip(NEXT) | instid1(VALU_DEP_1)
	v_add_nc_u32_e32 v3, v2, v3
	v_lshrrev_b32_e32 v3, s3, v3
	s_delay_alu instid0(VALU_DEP_1) | instskip(NEXT) | instid1(VALU_DEP_1)
	v_mul_lo_u32 v3, v3, s19
	v_sub_nc_u32_e32 v7, v2, v3
	s_delay_alu instid0(VALU_DEP_1) | instskip(NEXT) | instid1(VALU_DEP_1)
	v_mad_u64_u32 v[2:3], null, v7, s14, v[0:1]
	v_mad_u64_u32 v[5:6], null, v7, s15, v[1:2]
	s_delay_alu instid0(VALU_DEP_1)
	v_dual_mov_b32 v0, v2 :: v_dual_mov_b32 v1, v5
.LBB319_102:
	s_waitcnt lgkmcnt(0)
	global_load_b64 v[1:2], v1, s[6:7]
	v_max_f64 v[5:6], s[8:9], s[8:9]
	v_max_f64 v[9:10], s[10:11], s[10:11]
	v_add_nc_u32_e32 v4, 0x80, v4
	s_waitcnt vmcnt(0)
	v_max_f64 v[7:8], v[1:2], v[1:2]
	v_cmp_u_f64_e32 vcc_lo, v[1:2], v[1:2]
	s_delay_alu instid0(VALU_DEP_2) | instskip(NEXT) | instid1(VALU_DEP_1)
	v_max_f64 v[5:6], v[7:8], v[5:6]
	v_min_f64 v[5:6], v[5:6], v[9:10]
	s_delay_alu instid0(VALU_DEP_1) | instskip(SKIP_2) | instid1(SALU_CYCLE_1)
	v_dual_cndmask_b32 v2, v6, v2 :: v_dual_cndmask_b32 v1, v5, v1
	global_store_b64 v0, v[1:2], s[4:5]
	s_or_b32 exec_lo, exec_lo, s35
	s_mov_b32 s24, exec_lo
	v_cmpx_gt_i32_e64 s31, v4
	s_cbranch_execz .LBB319_93
.LBB319_103:
	s_and_not1_b32 vcc_lo, exec_lo, s28
	s_cbranch_vccnz .LBB319_108
; %bb.104:
	v_dual_mov_b32 v0, 0 :: v_dual_mov_b32 v1, 0
	s_and_not1_b32 vcc_lo, exec_lo, s34
	s_mov_b32 s25, 0
	s_cbranch_vccnz .LBB319_113
; %bb.105:
	v_mov_b32_e32 v0, 0
	s_add_i32 s33, s33, 1
	s_cmp_eq_u32 s27, 2
	s_mov_b32 s31, 0
	s_cbranch_scc1 .LBB319_109
; %bb.106:
	v_dual_mov_b32 v1, 0 :: v_dual_mov_b32 v0, 0
	v_mov_b32_e32 v2, v4
	s_and_b32 s31, s33, 28
	s_mov_b32 s34, 0
	s_mov_b64 s[22:23], s[0:1]
.LBB319_107:                            ; =>This Inner Loop Header: Depth=1
	s_clause 0x1
	s_load_b256 s[36:43], s[22:23], 0x4
	s_load_b128 s[52:55], s[22:23], 0x24
	s_load_b256 s[44:51], s[20:21], 0x0
	s_add_u32 s22, s22, 48
	s_addc_u32 s23, s23, 0
	s_add_i32 s34, s34, 4
	s_add_u32 s20, s20, 32
	s_addc_u32 s21, s21, 0
	s_cmp_eq_u32 s31, s34
	s_waitcnt lgkmcnt(0)
	v_mul_hi_u32 v3, s37, v2
	s_delay_alu instid0(VALU_DEP_1) | instskip(NEXT) | instid1(VALU_DEP_1)
	v_add_nc_u32_e32 v3, v2, v3
	v_lshrrev_b32_e32 v3, s38, v3
	s_delay_alu instid0(VALU_DEP_1) | instskip(SKIP_1) | instid1(VALU_DEP_2)
	v_mul_hi_u32 v5, s40, v3
	v_mul_lo_u32 v7, v3, s36
	v_add_nc_u32_e32 v5, v3, v5
	s_delay_alu instid0(VALU_DEP_2) | instskip(NEXT) | instid1(VALU_DEP_2)
	v_sub_nc_u32_e32 v2, v2, v7
	v_lshrrev_b32_e32 v5, s41, v5
	s_delay_alu instid0(VALU_DEP_2) | instskip(SKIP_1) | instid1(VALU_DEP_3)
	v_mul_lo_u32 v7, v2, s44
	v_mul_lo_u32 v9, v2, s45
	v_mul_hi_u32 v6, s43, v5
	s_delay_alu instid0(VALU_DEP_1) | instskip(NEXT) | instid1(VALU_DEP_1)
	v_add_nc_u32_e32 v6, v5, v6
	v_lshrrev_b32_e32 v6, s52, v6
	s_delay_alu instid0(VALU_DEP_1) | instskip(SKIP_1) | instid1(VALU_DEP_2)
	v_mul_hi_u32 v8, s54, v6
	v_mul_lo_u32 v10, v6, s42
	v_add_nc_u32_e32 v2, v6, v8
	v_mul_lo_u32 v8, v5, s39
	s_delay_alu instid0(VALU_DEP_3) | instskip(NEXT) | instid1(VALU_DEP_3)
	v_sub_nc_u32_e32 v5, v5, v10
	v_lshrrev_b32_e32 v2, s55, v2
	s_delay_alu instid0(VALU_DEP_2) | instskip(SKIP_2) | instid1(VALU_DEP_4)
	v_mul_lo_u32 v10, v5, s48
	v_mul_lo_u32 v5, v5, s49
	v_sub_nc_u32_e32 v3, v3, v8
	v_mul_lo_u32 v11, v2, s53
	s_delay_alu instid0(VALU_DEP_2) | instskip(SKIP_1) | instid1(VALU_DEP_3)
	v_mul_lo_u32 v8, v3, s46
	v_mul_lo_u32 v3, v3, s47
	v_sub_nc_u32_e32 v6, v6, v11
	s_delay_alu instid0(VALU_DEP_3) | instskip(NEXT) | instid1(VALU_DEP_2)
	v_add3_u32 v0, v7, v0, v8
	v_mul_lo_u32 v11, v6, s50
	v_mul_lo_u32 v6, v6, s51
	v_add3_u32 v1, v9, v1, v3
	s_delay_alu instid0(VALU_DEP_3) | instskip(NEXT) | instid1(VALU_DEP_2)
	v_add3_u32 v0, v10, v0, v11
	v_add3_u32 v1, v5, v1, v6
	s_cbranch_scc0 .LBB319_107
	s_branch .LBB319_110
.LBB319_108:
	s_mov_b32 s25, -1
                                        ; implicit-def: $vgpr0
                                        ; implicit-def: $vgpr1
	s_branch .LBB319_113
.LBB319_109:
	v_dual_mov_b32 v2, v4 :: v_dual_mov_b32 v1, 0
.LBB319_110:
	s_and_b32 s33, s33, 3
	s_delay_alu instid0(SALU_CYCLE_1)
	s_cmp_eq_u32 s33, 0
	s_cbranch_scc1 .LBB319_113
; %bb.111:
	s_lshl_b32 s20, s31, 3
	s_mul_i32 s22, s31, 12
	s_add_u32 s20, s20, s0
	s_addc_u32 s21, s1, 0
	s_add_u32 s20, s20, 0xc4
	s_addc_u32 s21, s21, 0
	;; [unrolled: 2-line block ×3, first 2 shown]
	.p2align	6
.LBB319_112:                            ; =>This Inner Loop Header: Depth=1
	s_clause 0x1
	s_load_b64 s[34:35], s[22:23], 0x4
	s_load_b32 s31, s[22:23], 0xc
	s_load_b64 s[36:37], s[20:21], 0x0
	s_add_u32 s22, s22, 12
	s_addc_u32 s23, s23, 0
	s_add_u32 s20, s20, 8
	s_addc_u32 s21, s21, 0
	s_add_i32 s33, s33, -1
	s_delay_alu instid0(SALU_CYCLE_1) | instskip(SKIP_2) | instid1(VALU_DEP_1)
	s_cmp_lg_u32 s33, 0
	s_waitcnt lgkmcnt(0)
	v_mul_hi_u32 v3, s35, v2
	v_add_nc_u32_e32 v3, v2, v3
	s_delay_alu instid0(VALU_DEP_1) | instskip(NEXT) | instid1(VALU_DEP_1)
	v_lshrrev_b32_e32 v3, s31, v3
	v_mul_lo_u32 v5, v3, s34
	s_delay_alu instid0(VALU_DEP_1) | instskip(NEXT) | instid1(VALU_DEP_1)
	v_sub_nc_u32_e32 v2, v2, v5
	v_mad_u64_u32 v[5:6], null, v2, s36, v[0:1]
	v_mad_u64_u32 v[6:7], null, v2, s37, v[1:2]
	v_mov_b32_e32 v2, v3
	s_delay_alu instid0(VALU_DEP_2)
	v_dual_mov_b32 v0, v5 :: v_dual_mov_b32 v1, v6
	s_cbranch_scc1 .LBB319_112
.LBB319_113:
	s_and_not1_b32 vcc_lo, exec_lo, s25
	s_cbranch_vccnz .LBB319_116
; %bb.114:
	s_waitcnt lgkmcnt(0)
	v_mul_hi_u32 v0, s17, v4
	s_and_not1_b32 vcc_lo, exec_lo, s30
	s_delay_alu instid0(VALU_DEP_1) | instskip(NEXT) | instid1(VALU_DEP_1)
	v_add_nc_u32_e32 v0, v4, v0
	v_lshrrev_b32_e32 v2, s18, v0
	s_delay_alu instid0(VALU_DEP_1) | instskip(NEXT) | instid1(VALU_DEP_1)
	v_mul_lo_u32 v0, v2, s16
	v_sub_nc_u32_e32 v1, v4, v0
	s_delay_alu instid0(VALU_DEP_1)
	v_mul_lo_u32 v0, v1, s12
	v_mul_lo_u32 v1, v1, s13
	s_cbranch_vccnz .LBB319_116
; %bb.115:
	v_mul_hi_u32 v3, s2, v2
	s_delay_alu instid0(VALU_DEP_1) | instskip(NEXT) | instid1(VALU_DEP_1)
	v_add_nc_u32_e32 v3, v2, v3
	v_lshrrev_b32_e32 v3, s3, v3
	s_delay_alu instid0(VALU_DEP_1) | instskip(NEXT) | instid1(VALU_DEP_1)
	v_mul_lo_u32 v3, v3, s19
	v_sub_nc_u32_e32 v5, v2, v3
	s_delay_alu instid0(VALU_DEP_1) | instskip(NEXT) | instid1(VALU_DEP_1)
	v_mad_u64_u32 v[2:3], null, v5, s14, v[0:1]
	v_mad_u64_u32 v[3:4], null, v5, s15, v[1:2]
	s_delay_alu instid0(VALU_DEP_1)
	v_dual_mov_b32 v0, v2 :: v_dual_mov_b32 v1, v3
.LBB319_116:
	s_waitcnt lgkmcnt(0)
	global_load_b64 v[1:2], v1, s[6:7]
	v_max_f64 v[3:4], s[8:9], s[8:9]
	v_max_f64 v[7:8], s[10:11], s[10:11]
	s_waitcnt vmcnt(0)
	v_max_f64 v[5:6], v[1:2], v[1:2]
	v_cmp_u_f64_e32 vcc_lo, v[1:2], v[1:2]
	s_delay_alu instid0(VALU_DEP_2) | instskip(NEXT) | instid1(VALU_DEP_1)
	v_max_f64 v[3:4], v[5:6], v[3:4]
	v_min_f64 v[3:4], v[3:4], v[7:8]
	s_delay_alu instid0(VALU_DEP_1)
	v_dual_cndmask_b32 v2, v4, v2 :: v_dual_cndmask_b32 v1, v3, v1
	global_store_b64 v0, v[1:2], s[4:5]
	s_or_b32 exec_lo, exec_lo, s24
                                        ; implicit-def: $vgpr8
                                        ; implicit-def: $vgpr4
	s_and_not1_saveexec_b32 s2, s29
	s_cbranch_execz .LBB319_94
	s_branch .LBB319_8
	.section	.rodata,"a",@progbits
	.p2align	6, 0x0
	.amdhsa_kernel _ZN2at6native32elementwise_kernel_manual_unrollILi128ELi4EZNS0_22gpu_kernel_impl_nocastIZZZNS0_17clamp_kernel_cudaERNS_18TensorIteratorBaseERKN3c106ScalarES8_ENKUlvE_clEvENKUlvE4_clEvEUldE_EEvS4_RKT_EUlibE_EEviT1_
		.amdhsa_group_segment_fixed_size 0
		.amdhsa_private_segment_fixed_size 0
		.amdhsa_kernarg_size 368
		.amdhsa_user_sgpr_count 15
		.amdhsa_user_sgpr_dispatch_ptr 0
		.amdhsa_user_sgpr_queue_ptr 0
		.amdhsa_user_sgpr_kernarg_segment_ptr 1
		.amdhsa_user_sgpr_dispatch_id 0
		.amdhsa_user_sgpr_private_segment_size 0
		.amdhsa_wavefront_size32 1
		.amdhsa_uses_dynamic_stack 0
		.amdhsa_enable_private_segment 0
		.amdhsa_system_sgpr_workgroup_id_x 1
		.amdhsa_system_sgpr_workgroup_id_y 0
		.amdhsa_system_sgpr_workgroup_id_z 0
		.amdhsa_system_sgpr_workgroup_info 0
		.amdhsa_system_vgpr_workitem_id 0
		.amdhsa_next_free_vgpr 28
		.amdhsa_next_free_sgpr 60
		.amdhsa_reserve_vcc 1
		.amdhsa_float_round_mode_32 0
		.amdhsa_float_round_mode_16_64 0
		.amdhsa_float_denorm_mode_32 3
		.amdhsa_float_denorm_mode_16_64 3
		.amdhsa_dx10_clamp 1
		.amdhsa_ieee_mode 1
		.amdhsa_fp16_overflow 0
		.amdhsa_workgroup_processor_mode 1
		.amdhsa_memory_ordered 1
		.amdhsa_forward_progress 0
		.amdhsa_shared_vgpr_count 0
		.amdhsa_exception_fp_ieee_invalid_op 0
		.amdhsa_exception_fp_denorm_src 0
		.amdhsa_exception_fp_ieee_div_zero 0
		.amdhsa_exception_fp_ieee_overflow 0
		.amdhsa_exception_fp_ieee_underflow 0
		.amdhsa_exception_fp_ieee_inexact 0
		.amdhsa_exception_int_div_zero 0
	.end_amdhsa_kernel
	.section	.text._ZN2at6native32elementwise_kernel_manual_unrollILi128ELi4EZNS0_22gpu_kernel_impl_nocastIZZZNS0_17clamp_kernel_cudaERNS_18TensorIteratorBaseERKN3c106ScalarES8_ENKUlvE_clEvENKUlvE4_clEvEUldE_EEvS4_RKT_EUlibE_EEviT1_,"axG",@progbits,_ZN2at6native32elementwise_kernel_manual_unrollILi128ELi4EZNS0_22gpu_kernel_impl_nocastIZZZNS0_17clamp_kernel_cudaERNS_18TensorIteratorBaseERKN3c106ScalarES8_ENKUlvE_clEvENKUlvE4_clEvEUldE_EEvS4_RKT_EUlibE_EEviT1_,comdat
.Lfunc_end319:
	.size	_ZN2at6native32elementwise_kernel_manual_unrollILi128ELi4EZNS0_22gpu_kernel_impl_nocastIZZZNS0_17clamp_kernel_cudaERNS_18TensorIteratorBaseERKN3c106ScalarES8_ENKUlvE_clEvENKUlvE4_clEvEUldE_EEvS4_RKT_EUlibE_EEviT1_, .Lfunc_end319-_ZN2at6native32elementwise_kernel_manual_unrollILi128ELi4EZNS0_22gpu_kernel_impl_nocastIZZZNS0_17clamp_kernel_cudaERNS_18TensorIteratorBaseERKN3c106ScalarES8_ENKUlvE_clEvENKUlvE4_clEvEUldE_EEvS4_RKT_EUlibE_EEviT1_
                                        ; -- End function
	.section	.AMDGPU.csdata,"",@progbits
; Kernel info:
; codeLenInByte = 7216
; NumSgprs: 62
; NumVgprs: 28
; ScratchSize: 0
; MemoryBound: 0
; FloatMode: 240
; IeeeMode: 1
; LDSByteSize: 0 bytes/workgroup (compile time only)
; SGPRBlocks: 7
; VGPRBlocks: 3
; NumSGPRsForWavesPerEU: 62
; NumVGPRsForWavesPerEU: 28
; Occupancy: 16
; WaveLimiterHint : 1
; COMPUTE_PGM_RSRC2:SCRATCH_EN: 0
; COMPUTE_PGM_RSRC2:USER_SGPR: 15
; COMPUTE_PGM_RSRC2:TRAP_HANDLER: 0
; COMPUTE_PGM_RSRC2:TGID_X_EN: 1
; COMPUTE_PGM_RSRC2:TGID_Y_EN: 0
; COMPUTE_PGM_RSRC2:TGID_Z_EN: 0
; COMPUTE_PGM_RSRC2:TIDIG_COMP_CNT: 0
	.section	.text._ZN2at6native32elementwise_kernel_manual_unrollILi128ELi4EZNS0_15gpu_kernel_implIZZZNS0_17clamp_kernel_cudaERNS_18TensorIteratorBaseERKN3c106ScalarES8_ENKUlvE_clEvENKUlvE4_clEvEUldE_EEvS4_RKT_EUlibE_EEviT1_,"axG",@progbits,_ZN2at6native32elementwise_kernel_manual_unrollILi128ELi4EZNS0_15gpu_kernel_implIZZZNS0_17clamp_kernel_cudaERNS_18TensorIteratorBaseERKN3c106ScalarES8_ENKUlvE_clEvENKUlvE4_clEvEUldE_EEvS4_RKT_EUlibE_EEviT1_,comdat
	.globl	_ZN2at6native32elementwise_kernel_manual_unrollILi128ELi4EZNS0_15gpu_kernel_implIZZZNS0_17clamp_kernel_cudaERNS_18TensorIteratorBaseERKN3c106ScalarES8_ENKUlvE_clEvENKUlvE4_clEvEUldE_EEvS4_RKT_EUlibE_EEviT1_ ; -- Begin function _ZN2at6native32elementwise_kernel_manual_unrollILi128ELi4EZNS0_15gpu_kernel_implIZZZNS0_17clamp_kernel_cudaERNS_18TensorIteratorBaseERKN3c106ScalarES8_ENKUlvE_clEvENKUlvE4_clEvEUldE_EEvS4_RKT_EUlibE_EEviT1_
	.p2align	8
	.type	_ZN2at6native32elementwise_kernel_manual_unrollILi128ELi4EZNS0_15gpu_kernel_implIZZZNS0_17clamp_kernel_cudaERNS_18TensorIteratorBaseERKN3c106ScalarES8_ENKUlvE_clEvENKUlvE4_clEvEUldE_EEvS4_RKT_EUlibE_EEviT1_,@function
_ZN2at6native32elementwise_kernel_manual_unrollILi128ELi4EZNS0_15gpu_kernel_implIZZZNS0_17clamp_kernel_cudaERNS_18TensorIteratorBaseERKN3c106ScalarES8_ENKUlvE_clEvENKUlvE4_clEvEUldE_EEvS4_RKT_EUlibE_EEviT1_: ; @_ZN2at6native32elementwise_kernel_manual_unrollILi128ELi4EZNS0_15gpu_kernel_implIZZZNS0_17clamp_kernel_cudaERNS_18TensorIteratorBaseERKN3c106ScalarES8_ENKUlvE_clEvENKUlvE4_clEvEUldE_EEvS4_RKT_EUlibE_EEviT1_
; %bb.0:
	s_clause 0x4
	s_load_b32 s12, s[0:1], 0x30
	s_load_b32 s16, s[0:1], 0x0
	s_load_b128 s[4:7], s[0:1], 0x8
	s_load_b64 s[2:3], s[0:1], 0x18
	s_load_b128 s[8:11], s[0:1], 0x20
	v_lshl_or_b32 v14, s15, 9, v0
	s_mov_b32 s13, 0
	s_mov_b32 s15, 0
	s_mov_b32 s0, exec_lo
	s_delay_alu instid0(VALU_DEP_1) | instskip(SKIP_2) | instid1(VALU_DEP_2)
	v_or_b32_e32 v0, 0x180, v14
	s_waitcnt lgkmcnt(0)
	v_lshrrev_b16 v10, 8, s12
	v_cmpx_le_i32_e64 s16, v0
	s_xor_b32 s14, exec_lo, s0
	s_cbranch_execz .LBB320_1032
; %bb.1:
	s_mov_b32 s1, -1
	s_mov_b32 s19, 0
	s_mov_b32 s17, 0
	s_mov_b32 s18, exec_lo
	v_cmpx_gt_i32_e64 s16, v14
	s_cbranch_execz .LBB320_251
; %bb.2:
	v_mul_lo_u32 v0, v14, s3
	v_cmp_gt_i16_e32 vcc_lo, 11, v10
	s_delay_alu instid0(VALU_DEP_2) | instskip(SKIP_1) | instid1(VALU_DEP_1)
	v_ashrrev_i32_e32 v1, 31, v0
	v_add_co_u32 v0, s0, s6, v0
	v_add_co_ci_u32_e64 v1, s0, s7, v1, s0
	s_cbranch_vccnz .LBB320_9
; %bb.3:
	v_cmp_lt_i16_e32 vcc_lo, 25, v10
	s_cbranch_vccz .LBB320_18
; %bb.4:
	v_cmp_lt_i16_e32 vcc_lo, 28, v10
	s_cbranch_vccz .LBB320_21
	;; [unrolled: 3-line block ×4, first 2 shown]
; %bb.7:
	v_cmp_eq_u16_e32 vcc_lo, 46, v10
	s_mov_b32 s1, 0
	s_cbranch_vccz .LBB320_26
; %bb.8:
	global_load_b32 v2, v[0:1], off
	s_mov_b32 s0, -1
	s_waitcnt vmcnt(0)
	v_lshlrev_b32_e32 v2, 16, v2
	s_delay_alu instid0(VALU_DEP_1)
	v_cvt_f64_f32_e32 v[2:3], v2
	s_branch .LBB320_28
.LBB320_9:
	s_mov_b32 s0, 0
                                        ; implicit-def: $vgpr2_vgpr3
	s_and_b32 vcc_lo, exec_lo, s1
	s_cbranch_vccnz .LBB320_201
.LBB320_10:
	s_and_not1_b32 vcc_lo, exec_lo, s0
	s_cbranch_vccnz .LBB320_248
.LBB320_11:
	v_max_f64 v[0:1], s[8:9], s[8:9]
	s_waitcnt vmcnt(0)
	s_delay_alu instid0(VALU_DEP_2) | instskip(SKIP_2) | instid1(VALU_DEP_3)
	v_max_f64 v[4:5], v[2:3], v[2:3]
	v_max_f64 v[6:7], s[10:11], s[10:11]
	v_cmp_u_f64_e32 vcc_lo, v[2:3], v[2:3]
	v_max_f64 v[0:1], v[4:5], v[0:1]
	v_mul_lo_u32 v4, v14, s2
	s_delay_alu instid0(VALU_DEP_1) | instskip(SKIP_1) | instid1(VALU_DEP_1)
	v_ashrrev_i32_e32 v5, 31, v4
	v_add_co_u32 v4, s1, s4, v4
	v_add_co_ci_u32_e64 v5, s1, s5, v5, s1
	v_min_f64 v[0:1], v[0:1], v[6:7]
	v_and_b32_e64 v6, 0xff, s12
	s_delay_alu instid0(VALU_DEP_1) | instskip(NEXT) | instid1(VALU_DEP_3)
	v_cmp_gt_i16_e64 s0, 11, v6
	v_dual_cndmask_b32 v1, v1, v3 :: v_dual_cndmask_b32 v0, v0, v2
	s_delay_alu instid0(VALU_DEP_2)
	s_and_b32 vcc_lo, exec_lo, s0
	s_cbranch_vccnz .LBB320_19
; %bb.12:
	v_cmp_lt_i16_e32 vcc_lo, 25, v6
	s_cbranch_vccz .LBB320_22
; %bb.13:
	v_cmp_lt_i16_e32 vcc_lo, 28, v6
	s_cbranch_vccz .LBB320_24
	;; [unrolled: 3-line block ×4, first 2 shown]
; %bb.16:
	v_cmp_eq_u16_e32 vcc_lo, 46, v6
	s_mov_b32 s15, 0
	s_mov_b32 s0, -1
	s_mov_b32 s1, 0
	s_cbranch_vccz .LBB320_32
; %bb.17:
	v_cvt_f32_f64_e32 v2, v[0:1]
	s_mov_b32 s1, -1
	s_mov_b32 s0, 0
	s_delay_alu instid0(VALU_DEP_1) | instskip(SKIP_1) | instid1(VALU_DEP_2)
	v_bfe_u32 v3, v2, 16, 1
	v_cmp_o_f32_e32 vcc_lo, v2, v2
	v_add3_u32 v3, v2, v3, 0x7fff
	s_delay_alu instid0(VALU_DEP_1) | instskip(NEXT) | instid1(VALU_DEP_1)
	v_lshrrev_b32_e32 v3, 16, v3
	v_cndmask_b32_e32 v2, 0x7fc0, v3, vcc_lo
	global_store_b32 v[4:5], v2, off
	s_branch .LBB320_32
.LBB320_18:
	s_mov_b32 s0, 0
                                        ; implicit-def: $vgpr2_vgpr3
	s_and_b32 vcc_lo, exec_lo, s1
	s_cbranch_vccnz .LBB320_168
	s_branch .LBB320_200
.LBB320_19:
	s_mov_b32 s0, 0
	s_mov_b32 s1, 0
	s_cbranch_execnz .LBB320_101
.LBB320_20:
	s_and_not1_b32 vcc_lo, exec_lo, s1
	s_cbranch_vccnz .LBB320_249
	s_branch .LBB320_139
.LBB320_21:
	s_mov_b32 s0, 0
                                        ; implicit-def: $vgpr2_vgpr3
	s_branch .LBB320_147
.LBB320_22:
	s_mov_b32 s15, -1
	s_mov_b32 s0, 0
	s_mov_b32 s1, 0
	s_branch .LBB320_59
.LBB320_23:
	s_mov_b32 s0, 0
                                        ; implicit-def: $vgpr2_vgpr3
	s_branch .LBB320_142
.LBB320_24:
	s_mov_b32 s15, -1
	s_mov_b32 s0, 0
	s_mov_b32 s1, 0
	s_branch .LBB320_42
.LBB320_25:
	s_mov_b32 s15, -1
	s_mov_b32 s0, 0
	s_mov_b32 s1, 0
	s_branch .LBB320_38
.LBB320_26:
	s_mov_b32 s17, -1
.LBB320_27:
	s_mov_b32 s0, 0
                                        ; implicit-def: $vgpr2_vgpr3
.LBB320_28:
	s_and_b32 vcc_lo, exec_lo, s1
	s_cbranch_vccz .LBB320_141
; %bb.29:
	v_cmp_eq_u16_e32 vcc_lo, 44, v10
	s_cbranch_vccz .LBB320_140
; %bb.30:
	global_load_u8 v4, v[0:1], off
	s_mov_b32 s17, 0
	s_mov_b32 s0, -1
	s_waitcnt vmcnt(0)
	v_cmp_ne_u32_e32 vcc_lo, 0xff, v4
	v_lshlrev_b32_e32 v2, 23, v4
	s_delay_alu instid0(VALU_DEP_1) | instskip(NEXT) | instid1(VALU_DEP_1)
	v_cvt_f64_f32_e32 v[2:3], v2
	v_cndmask_b32_e32 v3, 0x7ff80000, v3, vcc_lo
	s_delay_alu instid0(VALU_DEP_2) | instskip(SKIP_1) | instid1(VALU_DEP_3)
	v_cndmask_b32_e32 v2, 0x20000000, v2, vcc_lo
	v_cmp_ne_u32_e32 vcc_lo, 0, v4
	v_cndmask_b32_e32 v3, 0x38000000, v3, vcc_lo
	s_delay_alu instid0(VALU_DEP_3)
	v_cndmask_b32_e32 v2, 0, v2, vcc_lo
	s_branch .LBB320_141
.LBB320_31:
	s_mov_b32 s15, -1
	s_mov_b32 s0, 0
	s_mov_b32 s1, 0
.LBB320_32:
	s_and_b32 vcc_lo, exec_lo, s15
	s_cbranch_vccz .LBB320_37
; %bb.33:
	v_cmp_eq_u16_e32 vcc_lo, 44, v6
	s_mov_b32 s0, -1
	s_cbranch_vccz .LBB320_37
; %bb.34:
	v_cvt_f32_f64_e32 v2, v[0:1]
	v_mov_b32_e32 v3, 0xff
	s_mov_b32 s1, exec_lo
	s_delay_alu instid0(VALU_DEP_2) | instskip(NEXT) | instid1(VALU_DEP_1)
	v_bfe_u32 v7, v2, 23, 8
	v_cmpx_ne_u32_e32 0xff, v7
; %bb.35:
	v_and_b32_e32 v3, 0x400000, v2
	v_and_or_b32 v7, 0x3fffff, v2, v7
	v_lshrrev_b32_e32 v2, 23, v2
	s_delay_alu instid0(VALU_DEP_3) | instskip(NEXT) | instid1(VALU_DEP_3)
	v_cmp_ne_u32_e32 vcc_lo, 0, v3
	v_cmp_ne_u32_e64 s0, 0, v7
	s_delay_alu instid0(VALU_DEP_1) | instskip(NEXT) | instid1(SALU_CYCLE_1)
	s_and_b32 s0, vcc_lo, s0
	v_cndmask_b32_e64 v3, 0, 1, s0
	s_delay_alu instid0(VALU_DEP_1)
	v_add_nc_u32_e32 v3, v2, v3
; %bb.36:
	s_or_b32 exec_lo, exec_lo, s1
	s_mov_b32 s1, -1
	s_mov_b32 s0, 0
	global_store_b8 v[4:5], v3, off
.LBB320_37:
	s_mov_b32 s15, 0
.LBB320_38:
	s_delay_alu instid0(SALU_CYCLE_1)
	s_and_b32 vcc_lo, exec_lo, s15
	s_cbranch_vccz .LBB320_41
; %bb.39:
	v_cmp_eq_u16_e32 vcc_lo, 29, v6
	s_mov_b32 s0, -1
	s_cbranch_vccz .LBB320_41
; %bb.40:
	v_trunc_f64_e32 v[2:3], v[0:1]
	s_mov_b32 s1, -1
	s_mov_b32 s0, 0
	s_mov_b32 s15, 0
	s_delay_alu instid0(VALU_DEP_1) | instskip(NEXT) | instid1(VALU_DEP_1)
	v_ldexp_f64 v[7:8], v[2:3], 0xffffffe0
	v_floor_f64_e32 v[7:8], v[7:8]
	s_delay_alu instid0(VALU_DEP_1) | instskip(SKIP_1) | instid1(VALU_DEP_2)
	v_fma_f64 v[2:3], 0xc1f00000, v[7:8], v[2:3]
	v_cvt_u32_f64_e32 v8, v[7:8]
	v_cvt_u32_f64_e32 v7, v[2:3]
	global_store_b64 v[4:5], v[7:8], off
	s_branch .LBB320_42
.LBB320_41:
	s_mov_b32 s15, 0
.LBB320_42:
	s_delay_alu instid0(SALU_CYCLE_1)
	s_and_b32 vcc_lo, exec_lo, s15
	s_cbranch_vccz .LBB320_58
; %bb.43:
	v_cmp_gt_i16_e32 vcc_lo, 27, v6
	s_mov_b32 s1, -1
	s_cbranch_vccnz .LBB320_49
; %bb.44:
	v_cmp_lt_i16_e32 vcc_lo, 27, v6
	s_cbranch_vccz .LBB320_46
; %bb.45:
	v_cvt_u32_f64_e32 v2, v[0:1]
	s_mov_b32 s1, 0
	global_store_b32 v[4:5], v2, off
.LBB320_46:
	s_and_not1_b32 vcc_lo, exec_lo, s1
	s_cbranch_vccnz .LBB320_48
; %bb.47:
	v_cvt_u32_f64_e32 v2, v[0:1]
	global_store_b16 v[4:5], v2, off
.LBB320_48:
	s_mov_b32 s1, 0
.LBB320_49:
	s_delay_alu instid0(SALU_CYCLE_1)
	s_and_not1_b32 vcc_lo, exec_lo, s1
	s_cbranch_vccnz .LBB320_57
; %bb.50:
	v_cvt_f32_f64_e32 v2, v[0:1]
	v_mov_b32_e32 v7, 0x80
	s_mov_b32 s1, exec_lo
	s_delay_alu instid0(VALU_DEP_2) | instskip(NEXT) | instid1(VALU_DEP_1)
	v_and_b32_e32 v3, 0x7fffffff, v2
	v_cmpx_gt_u32_e32 0x43800000, v3
	s_cbranch_execz .LBB320_56
; %bb.51:
	v_cmp_lt_u32_e32 vcc_lo, 0x3bffffff, v3
	s_mov_b32 s15, 0
                                        ; implicit-def: $vgpr3
	s_and_saveexec_b32 s20, vcc_lo
	s_delay_alu instid0(SALU_CYCLE_1)
	s_xor_b32 s20, exec_lo, s20
	s_cbranch_execz .LBB320_275
; %bb.52:
	v_bfe_u32 v3, v2, 20, 1
	s_mov_b32 s15, exec_lo
	s_delay_alu instid0(VALU_DEP_1) | instskip(NEXT) | instid1(VALU_DEP_1)
	v_add3_u32 v3, v2, v3, 0x487ffff
	v_lshrrev_b32_e32 v3, 20, v3
	s_or_saveexec_b32 s20, s20
                                        ; implicit-def: $sgpr21
	s_delay_alu instid0(SALU_CYCLE_1)
	s_xor_b32 exec_lo, exec_lo, s20
	s_cbranch_execnz .LBB320_276
.LBB320_53:
	s_or_b32 exec_lo, exec_lo, s20
	v_mov_b32_e32 v7, s21
	s_and_saveexec_b32 s20, s15
.LBB320_54:
	v_lshrrev_b32_e32 v2, 24, v2
	s_delay_alu instid0(VALU_DEP_1)
	v_and_or_b32 v7, 0x80, v2, v3
.LBB320_55:
	s_or_b32 exec_lo, exec_lo, s20
.LBB320_56:
	s_delay_alu instid0(SALU_CYCLE_1)
	s_or_b32 exec_lo, exec_lo, s1
	global_store_b8 v[4:5], v7, off
.LBB320_57:
	s_mov_b32 s1, -1
.LBB320_58:
	s_mov_b32 s15, 0
.LBB320_59:
	s_delay_alu instid0(SALU_CYCLE_1)
	s_and_b32 vcc_lo, exec_lo, s15
	s_cbranch_vccz .LBB320_100
; %bb.60:
	v_cmp_lt_i16_e32 vcc_lo, 22, v6
	s_mov_b32 s15, -1
	s_cbranch_vccz .LBB320_92
; %bb.61:
	v_cmp_gt_i16_e32 vcc_lo, 24, v6
	s_mov_b32 s1, -1
	s_cbranch_vccnz .LBB320_81
; %bb.62:
	v_cmp_lt_i16_e32 vcc_lo, 24, v6
	s_cbranch_vccz .LBB320_70
; %bb.63:
	v_cvt_f32_f64_e32 v2, v[0:1]
	v_mov_b32_e32 v7, 0x80
	s_mov_b32 s1, exec_lo
	s_delay_alu instid0(VALU_DEP_2) | instskip(NEXT) | instid1(VALU_DEP_1)
	v_and_b32_e32 v3, 0x7fffffff, v2
	v_cmpx_gt_u32_e32 0x47800000, v3
	s_cbranch_execz .LBB320_69
; %bb.64:
	v_cmp_lt_u32_e32 vcc_lo, 0x37ffffff, v3
	s_mov_b32 s15, 0
                                        ; implicit-def: $vgpr3
	s_and_saveexec_b32 s20, vcc_lo
	s_delay_alu instid0(SALU_CYCLE_1)
	s_xor_b32 s20, exec_lo, s20
	s_cbranch_execz .LBB320_279
; %bb.65:
	v_bfe_u32 v3, v2, 21, 1
	s_mov_b32 s15, exec_lo
	s_delay_alu instid0(VALU_DEP_1) | instskip(NEXT) | instid1(VALU_DEP_1)
	v_add3_u32 v3, v2, v3, 0x88fffff
	v_lshrrev_b32_e32 v3, 21, v3
	s_or_saveexec_b32 s20, s20
                                        ; implicit-def: $sgpr21
	s_delay_alu instid0(SALU_CYCLE_1)
	s_xor_b32 exec_lo, exec_lo, s20
	s_cbranch_execnz .LBB320_280
.LBB320_66:
	s_or_b32 exec_lo, exec_lo, s20
	v_mov_b32_e32 v7, s21
	s_and_saveexec_b32 s20, s15
.LBB320_67:
	v_lshrrev_b32_e32 v2, 24, v2
	s_delay_alu instid0(VALU_DEP_1)
	v_and_or_b32 v7, 0x80, v2, v3
.LBB320_68:
	s_or_b32 exec_lo, exec_lo, s20
.LBB320_69:
	s_delay_alu instid0(SALU_CYCLE_1)
	s_or_b32 exec_lo, exec_lo, s1
	s_mov_b32 s1, 0
	global_store_b8 v[4:5], v7, off
.LBB320_70:
	s_and_b32 vcc_lo, exec_lo, s1
	s_cbranch_vccz .LBB320_80
; %bb.71:
	v_cvt_f32_f64_e32 v2, v[0:1]
	s_mov_b32 s1, exec_lo
                                        ; implicit-def: $vgpr3
	s_delay_alu instid0(VALU_DEP_1) | instskip(NEXT) | instid1(VALU_DEP_1)
	v_and_b32_e32 v7, 0x7fffffff, v2
	v_cmpx_gt_u32_e32 0x43f00000, v7
	s_xor_b32 s1, exec_lo, s1
	s_cbranch_execz .LBB320_77
; %bb.72:
	s_mov_b32 s15, exec_lo
                                        ; implicit-def: $vgpr3
	v_cmpx_lt_u32_e32 0x3c7fffff, v7
	s_xor_b32 s15, exec_lo, s15
; %bb.73:
	v_bfe_u32 v3, v2, 20, 1
	s_delay_alu instid0(VALU_DEP_1) | instskip(NEXT) | instid1(VALU_DEP_1)
	v_add3_u32 v3, v2, v3, 0x407ffff
	v_and_b32_e32 v7, 0xff00000, v3
	v_lshrrev_b32_e32 v3, 20, v3
	s_delay_alu instid0(VALU_DEP_2) | instskip(NEXT) | instid1(VALU_DEP_2)
	v_cmp_ne_u32_e32 vcc_lo, 0x7f00000, v7
	v_cndmask_b32_e32 v3, 0x7e, v3, vcc_lo
; %bb.74:
	s_and_not1_saveexec_b32 s15, s15
; %bb.75:
	v_add_f32_e64 v3, 0x46800000, |v2|
; %bb.76:
	s_or_b32 exec_lo, exec_lo, s15
                                        ; implicit-def: $vgpr7
.LBB320_77:
	s_and_not1_saveexec_b32 s1, s1
; %bb.78:
	v_mov_b32_e32 v3, 0x7f
	v_cmp_lt_u32_e32 vcc_lo, 0x7f800000, v7
	s_delay_alu instid0(VALU_DEP_2)
	v_cndmask_b32_e32 v3, 0x7e, v3, vcc_lo
; %bb.79:
	s_or_b32 exec_lo, exec_lo, s1
	v_lshrrev_b32_e32 v2, 24, v2
	s_delay_alu instid0(VALU_DEP_1)
	v_and_or_b32 v2, 0x80, v2, v3
	global_store_b8 v[4:5], v2, off
.LBB320_80:
	s_mov_b32 s1, 0
.LBB320_81:
	s_delay_alu instid0(SALU_CYCLE_1)
	s_and_not1_b32 vcc_lo, exec_lo, s1
	s_cbranch_vccnz .LBB320_91
; %bb.82:
	v_cvt_f32_f64_e32 v2, v[0:1]
	s_mov_b32 s1, exec_lo
                                        ; implicit-def: $vgpr3
	s_delay_alu instid0(VALU_DEP_1) | instskip(NEXT) | instid1(VALU_DEP_1)
	v_and_b32_e32 v7, 0x7fffffff, v2
	v_cmpx_gt_u32_e32 0x47800000, v7
	s_xor_b32 s1, exec_lo, s1
	s_cbranch_execz .LBB320_88
; %bb.83:
	s_mov_b32 s15, exec_lo
                                        ; implicit-def: $vgpr3
	v_cmpx_lt_u32_e32 0x387fffff, v7
	s_xor_b32 s15, exec_lo, s15
; %bb.84:
	v_bfe_u32 v3, v2, 21, 1
	s_delay_alu instid0(VALU_DEP_1) | instskip(NEXT) | instid1(VALU_DEP_1)
	v_add3_u32 v3, v2, v3, 0x80fffff
	v_lshrrev_b32_e32 v3, 21, v3
; %bb.85:
	s_and_not1_saveexec_b32 s15, s15
; %bb.86:
	v_add_f32_e64 v3, 0x43000000, |v2|
; %bb.87:
	s_or_b32 exec_lo, exec_lo, s15
                                        ; implicit-def: $vgpr7
.LBB320_88:
	s_and_not1_saveexec_b32 s1, s1
; %bb.89:
	v_mov_b32_e32 v3, 0x7f
	v_cmp_lt_u32_e32 vcc_lo, 0x7f800000, v7
	s_delay_alu instid0(VALU_DEP_2)
	v_cndmask_b32_e32 v3, 0x7c, v3, vcc_lo
; %bb.90:
	s_or_b32 exec_lo, exec_lo, s1
	v_lshrrev_b32_e32 v2, 24, v2
	s_delay_alu instid0(VALU_DEP_1)
	v_and_or_b32 v2, 0x80, v2, v3
	global_store_b8 v[4:5], v2, off
.LBB320_91:
	s_mov_b32 s15, 0
	s_mov_b32 s1, -1
.LBB320_92:
	s_and_not1_b32 vcc_lo, exec_lo, s15
	s_cbranch_vccnz .LBB320_100
; %bb.93:
	v_cmp_lt_i16_e32 vcc_lo, 14, v6
	s_mov_b32 s15, -1
	s_cbranch_vccz .LBB320_97
; %bb.94:
	v_cmp_eq_u16_e32 vcc_lo, 15, v6
	s_mov_b32 s0, -1
	s_cbranch_vccz .LBB320_96
; %bb.95:
	v_cvt_f32_f64_e32 v2, v[0:1]
	s_mov_b32 s1, -1
	s_mov_b32 s0, 0
	s_delay_alu instid0(VALU_DEP_1) | instskip(SKIP_1) | instid1(VALU_DEP_2)
	v_bfe_u32 v3, v2, 16, 1
	v_cmp_o_f32_e32 vcc_lo, v2, v2
	v_add3_u32 v3, v2, v3, 0x7fff
	s_delay_alu instid0(VALU_DEP_1) | instskip(NEXT) | instid1(VALU_DEP_1)
	v_lshrrev_b32_e32 v3, 16, v3
	v_cndmask_b32_e32 v2, 0x7fc0, v3, vcc_lo
	global_store_b16 v[4:5], v2, off
.LBB320_96:
	s_mov_b32 s15, 0
.LBB320_97:
	s_delay_alu instid0(SALU_CYCLE_1)
	s_and_b32 vcc_lo, exec_lo, s15
	s_cbranch_vccz .LBB320_100
; %bb.98:
	v_cmp_eq_u16_e32 vcc_lo, 11, v6
	s_mov_b32 s0, -1
	s_cbranch_vccz .LBB320_100
; %bb.99:
	v_cmp_neq_f64_e32 vcc_lo, 0, v[0:1]
	s_mov_b32 s1, -1
	s_mov_b32 s0, 0
	v_cndmask_b32_e64 v2, 0, 1, vcc_lo
	global_store_b8 v[4:5], v2, off
.LBB320_100:
	s_branch .LBB320_20
.LBB320_101:
	v_cmp_gt_i16_e32 vcc_lo, 5, v6
	s_mov_b32 s1, -1
	s_cbranch_vccnz .LBB320_122
; %bb.102:
	v_cmp_gt_i16_e32 vcc_lo, 8, v6
	s_cbranch_vccnz .LBB320_112
; %bb.103:
	v_cmp_gt_i16_e32 vcc_lo, 9, v6
	s_cbranch_vccnz .LBB320_109
; %bb.104:
	v_cmp_lt_i16_e32 vcc_lo, 9, v6
	s_cbranch_vccz .LBB320_106
; %bb.105:
	v_mov_b32_e32 v2, 0
	s_mov_b32 s1, 0
	s_delay_alu instid0(VALU_DEP_1)
	v_mov_b32_e32 v3, v2
	global_store_b128 v[4:5], v[0:3], off
.LBB320_106:
	s_and_not1_b32 vcc_lo, exec_lo, s1
	s_cbranch_vccnz .LBB320_108
; %bb.107:
	v_cvt_f32_f64_e32 v2, v[0:1]
	v_mov_b32_e32 v3, 0
	global_store_b64 v[4:5], v[2:3], off
.LBB320_108:
	s_mov_b32 s1, 0
.LBB320_109:
	s_delay_alu instid0(SALU_CYCLE_1)
	s_and_not1_b32 vcc_lo, exec_lo, s1
	s_cbranch_vccnz .LBB320_111
; %bb.110:
	v_cvt_f32_f64_e32 v2, v[0:1]
	s_delay_alu instid0(VALU_DEP_1) | instskip(NEXT) | instid1(VALU_DEP_1)
	v_cvt_f16_f32_e32 v2, v2
	v_and_b32_e32 v2, 0xffff, v2
	global_store_b32 v[4:5], v2, off
.LBB320_111:
	s_mov_b32 s1, 0
.LBB320_112:
	s_delay_alu instid0(SALU_CYCLE_1)
	s_and_not1_b32 vcc_lo, exec_lo, s1
	s_cbranch_vccnz .LBB320_121
; %bb.113:
	v_cmp_gt_i16_e32 vcc_lo, 6, v6
	s_mov_b32 s1, -1
	s_cbranch_vccnz .LBB320_119
; %bb.114:
	v_cmp_lt_i16_e32 vcc_lo, 6, v6
	s_cbranch_vccz .LBB320_116
; %bb.115:
	s_mov_b32 s1, 0
	global_store_b64 v[4:5], v[0:1], off
.LBB320_116:
	s_and_not1_b32 vcc_lo, exec_lo, s1
	s_cbranch_vccnz .LBB320_118
; %bb.117:
	v_cvt_f32_f64_e32 v2, v[0:1]
	global_store_b32 v[4:5], v2, off
.LBB320_118:
	s_mov_b32 s1, 0
.LBB320_119:
	s_delay_alu instid0(SALU_CYCLE_1)
	s_and_not1_b32 vcc_lo, exec_lo, s1
	s_cbranch_vccnz .LBB320_121
; %bb.120:
	v_cvt_f32_f64_e32 v2, v[0:1]
	s_delay_alu instid0(VALU_DEP_1)
	v_cvt_f16_f32_e32 v2, v2
	global_store_b16 v[4:5], v2, off
.LBB320_121:
	s_mov_b32 s1, 0
.LBB320_122:
	s_delay_alu instid0(SALU_CYCLE_1)
	s_and_not1_b32 vcc_lo, exec_lo, s1
	s_cbranch_vccnz .LBB320_138
; %bb.123:
	v_cmp_gt_i16_e32 vcc_lo, 2, v6
	s_mov_b32 s1, -1
	s_cbranch_vccnz .LBB320_133
; %bb.124:
	v_cmp_gt_i16_e32 vcc_lo, 3, v6
	s_cbranch_vccnz .LBB320_130
; %bb.125:
	v_cmp_lt_i16_e32 vcc_lo, 3, v6
	s_cbranch_vccz .LBB320_127
; %bb.126:
	v_trunc_f64_e32 v[2:3], v[0:1]
	s_mov_b32 s1, 0
	s_delay_alu instid0(VALU_DEP_1) | instskip(NEXT) | instid1(VALU_DEP_1)
	v_ldexp_f64 v[7:8], v[2:3], 0xffffffe0
	v_floor_f64_e32 v[7:8], v[7:8]
	s_delay_alu instid0(VALU_DEP_1) | instskip(SKIP_1) | instid1(VALU_DEP_2)
	v_fma_f64 v[2:3], 0xc1f00000, v[7:8], v[2:3]
	v_cvt_i32_f64_e32 v8, v[7:8]
	v_cvt_u32_f64_e32 v7, v[2:3]
	global_store_b64 v[4:5], v[7:8], off
.LBB320_127:
	s_and_not1_b32 vcc_lo, exec_lo, s1
	s_cbranch_vccnz .LBB320_129
; %bb.128:
	v_cvt_i32_f64_e32 v2, v[0:1]
	global_store_b32 v[4:5], v2, off
.LBB320_129:
	s_mov_b32 s1, 0
.LBB320_130:
	s_delay_alu instid0(SALU_CYCLE_1)
	s_and_not1_b32 vcc_lo, exec_lo, s1
	s_cbranch_vccnz .LBB320_132
; %bb.131:
	v_cvt_i32_f64_e32 v2, v[0:1]
	global_store_b16 v[4:5], v2, off
.LBB320_132:
	s_mov_b32 s1, 0
.LBB320_133:
	s_delay_alu instid0(SALU_CYCLE_1)
	s_and_not1_b32 vcc_lo, exec_lo, s1
	s_cbranch_vccnz .LBB320_138
; %bb.134:
	v_cmp_lt_i16_e32 vcc_lo, 0, v6
	s_mov_b32 s1, -1
	s_cbranch_vccz .LBB320_136
; %bb.135:
	v_cvt_i32_f64_e32 v2, v[0:1]
	s_mov_b32 s1, 0
	global_store_b8 v[4:5], v2, off
.LBB320_136:
	s_and_not1_b32 vcc_lo, exec_lo, s1
	s_cbranch_vccnz .LBB320_138
; %bb.137:
	v_trunc_f64_e32 v[0:1], v[0:1]
	s_delay_alu instid0(VALU_DEP_1) | instskip(NEXT) | instid1(VALU_DEP_1)
	v_ldexp_f64 v[2:3], v[0:1], 0xffffffe0
	v_floor_f64_e32 v[2:3], v[2:3]
	s_delay_alu instid0(VALU_DEP_1) | instskip(NEXT) | instid1(VALU_DEP_1)
	v_fma_f64 v[0:1], 0xc1f00000, v[2:3], v[0:1]
	v_cvt_u32_f64_e32 v0, v[0:1]
	global_store_b8 v[4:5], v0, off
.LBB320_138:
.LBB320_139:
	v_add_nc_u32_e32 v14, 0x80, v14
	s_mov_b32 s1, -1
	s_branch .LBB320_250
.LBB320_140:
	s_mov_b32 s17, -1
                                        ; implicit-def: $vgpr2_vgpr3
.LBB320_141:
	s_mov_b32 s1, 0
.LBB320_142:
	s_delay_alu instid0(SALU_CYCLE_1)
	s_and_b32 vcc_lo, exec_lo, s1
	s_cbranch_vccz .LBB320_146
; %bb.143:
	v_cmp_eq_u16_e32 vcc_lo, 29, v10
	s_cbranch_vccz .LBB320_145
; %bb.144:
	global_load_b64 v[2:3], v[0:1], off
	s_mov_b32 s0, -1
	s_mov_b32 s17, 0
	s_mov_b32 s1, 0
	s_waitcnt vmcnt(0)
	v_cvt_f64_u32_e32 v[3:4], v3
	v_cvt_f64_u32_e32 v[5:6], v2
	s_delay_alu instid0(VALU_DEP_2) | instskip(NEXT) | instid1(VALU_DEP_1)
	v_ldexp_f64 v[3:4], v[3:4], 32
	v_add_f64 v[2:3], v[3:4], v[5:6]
	s_branch .LBB320_147
.LBB320_145:
	s_mov_b32 s17, -1
                                        ; implicit-def: $vgpr2_vgpr3
.LBB320_146:
	s_mov_b32 s1, 0
.LBB320_147:
	s_delay_alu instid0(SALU_CYCLE_1)
	s_and_b32 vcc_lo, exec_lo, s1
	s_cbranch_vccz .LBB320_167
; %bb.148:
	v_cmp_gt_i16_e32 vcc_lo, 27, v10
	s_cbranch_vccnz .LBB320_151
; %bb.149:
	v_cmp_lt_i16_e32 vcc_lo, 27, v10
	s_cbranch_vccz .LBB320_152
; %bb.150:
	global_load_b32 v2, v[0:1], off
	s_mov_b32 s0, 0
	s_waitcnt vmcnt(0)
	v_cvt_f64_u32_e32 v[2:3], v2
	s_branch .LBB320_153
.LBB320_151:
	s_mov_b32 s0, -1
                                        ; implicit-def: $vgpr2_vgpr3
	s_branch .LBB320_156
.LBB320_152:
	s_mov_b32 s0, -1
                                        ; implicit-def: $vgpr2_vgpr3
.LBB320_153:
	s_delay_alu instid0(SALU_CYCLE_1)
	s_and_not1_b32 vcc_lo, exec_lo, s0
	s_cbranch_vccnz .LBB320_155
; %bb.154:
	global_load_u16 v2, v[0:1], off
	s_waitcnt vmcnt(0)
	v_cvt_f64_u32_e32 v[2:3], v2
.LBB320_155:
	s_mov_b32 s0, 0
.LBB320_156:
	s_delay_alu instid0(SALU_CYCLE_1)
	s_and_not1_b32 vcc_lo, exec_lo, s0
	s_cbranch_vccnz .LBB320_166
; %bb.157:
	global_load_u8 v4, v[0:1], off
	s_mov_b32 s20, exec_lo
                                        ; implicit-def: $sgpr0_sgpr1
	s_waitcnt vmcnt(0)
	v_cmpx_lt_i16_e32 0x7f, v4
	s_xor_b32 s20, exec_lo, s20
	s_cbranch_execz .LBB320_161
; %bb.158:
	s_mov_b32 s21, -1
	s_mov_b32 s15, exec_lo
                                        ; implicit-def: $sgpr0_sgpr1
	v_cmpx_eq_u16_e32 0x80, v4
; %bb.159:
	s_mov_b32 s1, 0x7ff80000
	s_brev_b32 s0, 4
	s_xor_b32 s21, exec_lo, -1
; %bb.160:
	s_or_b32 exec_lo, exec_lo, s15
	s_delay_alu instid0(SALU_CYCLE_1)
	s_and_b32 s15, s21, exec_lo
.LBB320_161:
	s_or_saveexec_b32 s20, s20
	v_dual_mov_b32 v3, s1 :: v_dual_mov_b32 v2, s0
	s_xor_b32 exec_lo, exec_lo, s20
; %bb.162:
	v_cmp_ne_u16_e32 vcc_lo, 0, v4
	v_mov_b32_e32 v2, 0
	v_mov_b32_e32 v3, 0
	s_and_not1_b32 s0, s15, exec_lo
	s_and_b32 s1, vcc_lo, exec_lo
	s_delay_alu instid0(SALU_CYCLE_1)
	s_or_b32 s15, s0, s1
; %bb.163:
	s_or_b32 exec_lo, exec_lo, s20
	s_and_saveexec_b32 s0, s15
	s_cbranch_execz .LBB320_165
; %bb.164:
	v_and_b32_e32 v2, 0xffff, v4
	v_lshlrev_b32_e32 v4, 24, v4
	s_delay_alu instid0(VALU_DEP_2) | instskip(NEXT) | instid1(VALU_DEP_2)
	v_and_b32_e32 v3, 7, v2
	v_and_b32_e32 v4, 0x80000000, v4
	s_delay_alu instid0(VALU_DEP_2) | instskip(NEXT) | instid1(VALU_DEP_1)
	v_clz_i32_u32_e32 v5, v3
	v_min_u32_e32 v5, 32, v5
	s_delay_alu instid0(VALU_DEP_1) | instskip(SKIP_1) | instid1(VALU_DEP_2)
	v_subrev_nc_u32_e32 v6, 28, v5
	v_sub_nc_u32_e32 v5, 29, v5
	v_lshlrev_b32_e32 v6, v6, v2
	v_bfe_u32 v2, v2, 3, 4
	s_delay_alu instid0(VALU_DEP_2) | instskip(NEXT) | instid1(VALU_DEP_2)
	v_and_b32_e32 v6, 7, v6
	v_cmp_eq_u32_e32 vcc_lo, 0, v2
	s_delay_alu instid0(VALU_DEP_2) | instskip(NEXT) | instid1(VALU_DEP_1)
	v_dual_cndmask_b32 v2, v2, v5 :: v_dual_cndmask_b32 v3, v3, v6
	v_lshl_add_u32 v2, v2, 23, 0x3b800000
	s_delay_alu instid0(VALU_DEP_2) | instskip(NEXT) | instid1(VALU_DEP_1)
	v_lshlrev_b32_e32 v3, 20, v3
	v_or3_b32 v2, v4, v2, v3
	s_delay_alu instid0(VALU_DEP_1)
	v_cvt_f64_f32_e32 v[2:3], v2
.LBB320_165:
	s_or_b32 exec_lo, exec_lo, s0
.LBB320_166:
	s_mov_b32 s0, -1
.LBB320_167:
	s_branch .LBB320_200
.LBB320_168:
	v_cmp_lt_i16_e32 vcc_lo, 22, v10
	s_cbranch_vccz .LBB320_180
; %bb.169:
	v_cmp_gt_i16_e32 vcc_lo, 24, v10
	s_cbranch_vccnz .LBB320_181
; %bb.170:
	v_cmp_lt_i16_e32 vcc_lo, 24, v10
	s_cbranch_vccz .LBB320_182
; %bb.171:
	global_load_u8 v4, v[0:1], off
	s_mov_b32 s15, 0
	s_mov_b32 s20, exec_lo
                                        ; implicit-def: $sgpr0_sgpr1
	s_waitcnt vmcnt(0)
	v_cmpx_lt_i16_e32 0x7f, v4
	s_xor_b32 s20, exec_lo, s20
	s_cbranch_execz .LBB320_175
; %bb.172:
	s_mov_b32 s21, -1
	s_mov_b32 s15, exec_lo
                                        ; implicit-def: $sgpr0_sgpr1
	v_cmpx_eq_u16_e32 0x80, v4
; %bb.173:
	s_mov_b32 s1, 0x7ff80000
	s_brev_b32 s0, 4
	s_xor_b32 s21, exec_lo, -1
; %bb.174:
	s_or_b32 exec_lo, exec_lo, s15
	s_delay_alu instid0(SALU_CYCLE_1)
	s_and_b32 s15, s21, exec_lo
.LBB320_175:
	s_or_saveexec_b32 s20, s20
	v_dual_mov_b32 v3, s1 :: v_dual_mov_b32 v2, s0
	s_xor_b32 exec_lo, exec_lo, s20
; %bb.176:
	v_cmp_ne_u16_e32 vcc_lo, 0, v4
	v_mov_b32_e32 v2, 0
	v_mov_b32_e32 v3, 0
	s_and_not1_b32 s0, s15, exec_lo
	s_and_b32 s1, vcc_lo, exec_lo
	s_delay_alu instid0(SALU_CYCLE_1)
	s_or_b32 s15, s0, s1
; %bb.177:
	s_or_b32 exec_lo, exec_lo, s20
	s_and_saveexec_b32 s0, s15
	s_cbranch_execz .LBB320_179
; %bb.178:
	v_and_b32_e32 v2, 0xffff, v4
	v_lshlrev_b32_e32 v4, 24, v4
	s_delay_alu instid0(VALU_DEP_2) | instskip(NEXT) | instid1(VALU_DEP_2)
	v_and_b32_e32 v3, 3, v2
	v_and_b32_e32 v4, 0x80000000, v4
	s_delay_alu instid0(VALU_DEP_2) | instskip(NEXT) | instid1(VALU_DEP_1)
	v_clz_i32_u32_e32 v5, v3
	v_min_u32_e32 v5, 32, v5
	s_delay_alu instid0(VALU_DEP_1) | instskip(SKIP_1) | instid1(VALU_DEP_2)
	v_subrev_nc_u32_e32 v6, 29, v5
	v_sub_nc_u32_e32 v5, 30, v5
	v_lshlrev_b32_e32 v6, v6, v2
	v_bfe_u32 v2, v2, 2, 5
	s_delay_alu instid0(VALU_DEP_2) | instskip(NEXT) | instid1(VALU_DEP_2)
	v_and_b32_e32 v6, 3, v6
	v_cmp_eq_u32_e32 vcc_lo, 0, v2
	s_delay_alu instid0(VALU_DEP_2) | instskip(NEXT) | instid1(VALU_DEP_1)
	v_dual_cndmask_b32 v2, v2, v5 :: v_dual_cndmask_b32 v3, v3, v6
	v_lshl_add_u32 v2, v2, 23, 0x37800000
	s_delay_alu instid0(VALU_DEP_2) | instskip(NEXT) | instid1(VALU_DEP_1)
	v_lshlrev_b32_e32 v3, 21, v3
	v_or3_b32 v2, v4, v2, v3
	s_delay_alu instid0(VALU_DEP_1)
	v_cvt_f64_f32_e32 v[2:3], v2
.LBB320_179:
	s_or_b32 exec_lo, exec_lo, s0
	s_mov_b32 s0, 0
	s_branch .LBB320_183
.LBB320_180:
	s_mov_b32 s1, -1
                                        ; implicit-def: $vgpr2_vgpr3
	s_branch .LBB320_189
.LBB320_181:
	s_mov_b32 s0, -1
                                        ; implicit-def: $vgpr2_vgpr3
	s_branch .LBB320_186
.LBB320_182:
	s_mov_b32 s0, -1
                                        ; implicit-def: $vgpr2_vgpr3
.LBB320_183:
	s_delay_alu instid0(SALU_CYCLE_1)
	s_and_b32 vcc_lo, exec_lo, s0
	s_cbranch_vccz .LBB320_185
; %bb.184:
	global_load_u8 v2, v[0:1], off
	s_waitcnt vmcnt(0)
	v_lshlrev_b32_e32 v2, 24, v2
	s_delay_alu instid0(VALU_DEP_1) | instskip(NEXT) | instid1(VALU_DEP_1)
	v_and_b32_e32 v3, 0x7f000000, v2
	v_clz_i32_u32_e32 v4, v3
	v_add_nc_u32_e32 v6, 0x1000000, v3
	v_cmp_ne_u32_e32 vcc_lo, 0, v3
	s_delay_alu instid0(VALU_DEP_3) | instskip(NEXT) | instid1(VALU_DEP_1)
	v_min_u32_e32 v4, 32, v4
	v_sub_nc_u32_e64 v4, v4, 4 clamp
	s_delay_alu instid0(VALU_DEP_1) | instskip(SKIP_1) | instid1(VALU_DEP_2)
	v_lshlrev_b32_e32 v5, v4, v3
	v_lshlrev_b32_e32 v4, 23, v4
	v_lshrrev_b32_e32 v5, 4, v5
	s_delay_alu instid0(VALU_DEP_1) | instskip(SKIP_1) | instid1(VALU_DEP_2)
	v_sub_nc_u32_e32 v4, v5, v4
	v_ashrrev_i32_e32 v5, 8, v6
	v_add_nc_u32_e32 v4, 0x3c000000, v4
	s_delay_alu instid0(VALU_DEP_1) | instskip(NEXT) | instid1(VALU_DEP_1)
	v_and_or_b32 v4, 0x7f800000, v5, v4
	v_cndmask_b32_e32 v3, 0, v4, vcc_lo
	s_delay_alu instid0(VALU_DEP_1) | instskip(NEXT) | instid1(VALU_DEP_1)
	v_and_or_b32 v2, 0x80000000, v2, v3
	v_cvt_f64_f32_e32 v[2:3], v2
.LBB320_185:
	s_mov_b32 s0, 0
.LBB320_186:
	s_delay_alu instid0(SALU_CYCLE_1)
	s_and_not1_b32 vcc_lo, exec_lo, s0
	s_cbranch_vccnz .LBB320_188
; %bb.187:
	global_load_u8 v2, v[0:1], off
	s_waitcnt vmcnt(0)
	v_lshlrev_b32_e32 v3, 25, v2
	v_lshlrev_b16 v2, 8, v2
	s_delay_alu instid0(VALU_DEP_2) | instskip(NEXT) | instid1(VALU_DEP_2)
	v_lshrrev_b32_e32 v4, 4, v3
	v_and_or_b32 v5, 0x7f00, v2, 0.5
	v_bfe_i32 v2, v2, 0, 16
	s_delay_alu instid0(VALU_DEP_3) | instskip(NEXT) | instid1(VALU_DEP_1)
	v_or_b32_e32 v4, 0x70000000, v4
	v_dual_add_f32 v5, -0.5, v5 :: v_dual_mul_f32 v4, 0x7800000, v4
	v_cmp_gt_u32_e32 vcc_lo, 0x8000000, v3
	s_delay_alu instid0(VALU_DEP_2) | instskip(NEXT) | instid1(VALU_DEP_1)
	v_cndmask_b32_e32 v3, v4, v5, vcc_lo
	v_and_or_b32 v2, 0x80000000, v2, v3
	s_delay_alu instid0(VALU_DEP_1)
	v_cvt_f64_f32_e32 v[2:3], v2
.LBB320_188:
	s_mov_b32 s1, 0
	s_mov_b32 s0, -1
.LBB320_189:
	s_and_not1_b32 vcc_lo, exec_lo, s1
	s_cbranch_vccnz .LBB320_200
; %bb.190:
	v_cmp_lt_i16_e32 vcc_lo, 14, v10
	s_cbranch_vccz .LBB320_193
; %bb.191:
	v_cmp_eq_u16_e32 vcc_lo, 15, v10
	s_cbranch_vccz .LBB320_194
; %bb.192:
	global_load_u16 v2, v[0:1], off
	s_mov_b32 s0, -1
	s_mov_b32 s17, 0
	s_waitcnt vmcnt(0)
	v_lshlrev_b32_e32 v2, 16, v2
	s_delay_alu instid0(VALU_DEP_1)
	v_cvt_f64_f32_e32 v[2:3], v2
	s_branch .LBB320_195
.LBB320_193:
	s_mov_b32 s1, -1
                                        ; implicit-def: $vgpr2_vgpr3
	s_branch .LBB320_196
.LBB320_194:
	s_mov_b32 s17, -1
                                        ; implicit-def: $vgpr2_vgpr3
.LBB320_195:
	s_mov_b32 s1, 0
.LBB320_196:
	s_delay_alu instid0(SALU_CYCLE_1)
	s_and_b32 vcc_lo, exec_lo, s1
	s_cbranch_vccz .LBB320_200
; %bb.197:
	v_cmp_eq_u16_e32 vcc_lo, 11, v10
	s_cbranch_vccz .LBB320_199
; %bb.198:
	global_load_u8 v2, v[0:1], off
	s_mov_b32 s17, 0
	s_mov_b32 s0, -1
	s_waitcnt vmcnt(0)
	v_cmp_ne_u16_e32 vcc_lo, 0, v2
	v_mov_b32_e32 v2, 0
	v_cndmask_b32_e64 v3, 0, 0x3ff00000, vcc_lo
	s_branch .LBB320_200
.LBB320_199:
	s_mov_b32 s17, -1
                                        ; implicit-def: $vgpr2_vgpr3
.LBB320_200:
	s_branch .LBB320_10
.LBB320_201:
	v_cmp_gt_i16_e32 vcc_lo, 5, v10
	s_cbranch_vccnz .LBB320_206
; %bb.202:
	v_cmp_gt_i16_e32 vcc_lo, 8, v10
	s_cbranch_vccnz .LBB320_207
; %bb.203:
	;; [unrolled: 3-line block ×3, first 2 shown]
	v_cmp_lt_i16_e32 vcc_lo, 9, v10
	s_cbranch_vccz .LBB320_209
; %bb.205:
	global_load_b64 v[2:3], v[0:1], off
	s_mov_b32 s0, 0
	s_branch .LBB320_210
.LBB320_206:
                                        ; implicit-def: $vgpr2_vgpr3
	s_branch .LBB320_228
.LBB320_207:
	s_mov_b32 s0, -1
                                        ; implicit-def: $vgpr2_vgpr3
	s_branch .LBB320_216
.LBB320_208:
	s_mov_b32 s0, -1
                                        ; implicit-def: $vgpr2_vgpr3
	s_branch .LBB320_213
.LBB320_209:
	s_mov_b32 s0, -1
                                        ; implicit-def: $vgpr2_vgpr3
.LBB320_210:
	s_delay_alu instid0(SALU_CYCLE_1)
	s_and_not1_b32 vcc_lo, exec_lo, s0
	s_cbranch_vccnz .LBB320_212
; %bb.211:
	global_load_b32 v2, v[0:1], off
	s_waitcnt vmcnt(0)
	v_cvt_f64_f32_e32 v[2:3], v2
.LBB320_212:
	s_mov_b32 s0, 0
.LBB320_213:
	s_delay_alu instid0(SALU_CYCLE_1)
	s_and_not1_b32 vcc_lo, exec_lo, s0
	s_cbranch_vccnz .LBB320_215
; %bb.214:
	global_load_b32 v2, v[0:1], off
	s_waitcnt vmcnt(0)
	v_cvt_f32_f16_e32 v2, v2
	s_delay_alu instid0(VALU_DEP_1)
	v_cvt_f64_f32_e32 v[2:3], v2
.LBB320_215:
	s_mov_b32 s0, 0
.LBB320_216:
	s_delay_alu instid0(SALU_CYCLE_1)
	s_and_not1_b32 vcc_lo, exec_lo, s0
	s_cbranch_vccnz .LBB320_227
; %bb.217:
	v_cmp_gt_i16_e32 vcc_lo, 6, v10
	s_cbranch_vccnz .LBB320_220
; %bb.218:
	v_cmp_lt_i16_e32 vcc_lo, 6, v10
	s_cbranch_vccz .LBB320_221
; %bb.219:
	global_load_b64 v[2:3], v[0:1], off
	s_mov_b32 s0, 0
	s_branch .LBB320_222
.LBB320_220:
	s_mov_b32 s0, -1
                                        ; implicit-def: $vgpr2_vgpr3
	s_branch .LBB320_225
.LBB320_221:
	s_mov_b32 s0, -1
                                        ; implicit-def: $vgpr2_vgpr3
.LBB320_222:
	s_delay_alu instid0(SALU_CYCLE_1)
	s_and_not1_b32 vcc_lo, exec_lo, s0
	s_cbranch_vccnz .LBB320_224
; %bb.223:
	global_load_b32 v2, v[0:1], off
	s_waitcnt vmcnt(0)
	v_cvt_f64_f32_e32 v[2:3], v2
.LBB320_224:
	s_mov_b32 s0, 0
.LBB320_225:
	s_delay_alu instid0(SALU_CYCLE_1)
	s_and_not1_b32 vcc_lo, exec_lo, s0
	s_cbranch_vccnz .LBB320_227
; %bb.226:
	global_load_u16 v2, v[0:1], off
	s_waitcnt vmcnt(0)
	v_cvt_f32_f16_e32 v2, v2
	s_delay_alu instid0(VALU_DEP_1)
	v_cvt_f64_f32_e32 v[2:3], v2
.LBB320_227:
	s_cbranch_execnz .LBB320_247
.LBB320_228:
	v_cmp_gt_i16_e32 vcc_lo, 2, v10
	s_cbranch_vccnz .LBB320_232
; %bb.229:
	v_cmp_gt_i16_e32 vcc_lo, 3, v10
	s_cbranch_vccnz .LBB320_233
; %bb.230:
	v_cmp_lt_i16_e32 vcc_lo, 3, v10
	s_cbranch_vccz .LBB320_234
; %bb.231:
	global_load_b64 v[2:3], v[0:1], off
	s_mov_b32 s0, 0
	s_waitcnt vmcnt(0)
	v_cvt_f64_i32_e32 v[3:4], v3
	v_cvt_f64_u32_e32 v[5:6], v2
	s_delay_alu instid0(VALU_DEP_2) | instskip(NEXT) | instid1(VALU_DEP_1)
	v_ldexp_f64 v[3:4], v[3:4], 32
	v_add_f64 v[2:3], v[3:4], v[5:6]
	s_branch .LBB320_235
.LBB320_232:
	s_mov_b32 s0, -1
                                        ; implicit-def: $vgpr2_vgpr3
	s_branch .LBB320_241
.LBB320_233:
	s_mov_b32 s0, -1
                                        ; implicit-def: $vgpr2_vgpr3
	s_branch .LBB320_238
.LBB320_234:
	s_mov_b32 s0, -1
                                        ; implicit-def: $vgpr2_vgpr3
.LBB320_235:
	s_delay_alu instid0(SALU_CYCLE_1)
	s_and_not1_b32 vcc_lo, exec_lo, s0
	s_cbranch_vccnz .LBB320_237
; %bb.236:
	global_load_b32 v2, v[0:1], off
	s_waitcnt vmcnt(0)
	v_cvt_f64_i32_e32 v[2:3], v2
.LBB320_237:
	s_mov_b32 s0, 0
.LBB320_238:
	s_delay_alu instid0(SALU_CYCLE_1)
	s_and_not1_b32 vcc_lo, exec_lo, s0
	s_cbranch_vccnz .LBB320_240
; %bb.239:
	global_load_i16 v2, v[0:1], off
	s_waitcnt vmcnt(0)
	v_cvt_f64_i32_e32 v[2:3], v2
.LBB320_240:
	s_mov_b32 s0, 0
.LBB320_241:
	s_delay_alu instid0(SALU_CYCLE_1)
	s_and_not1_b32 vcc_lo, exec_lo, s0
	s_cbranch_vccnz .LBB320_247
; %bb.242:
	v_cmp_lt_i16_e32 vcc_lo, 0, v10
	s_mov_b32 s0, 0
	s_cbranch_vccz .LBB320_244
; %bb.243:
	global_load_i8 v2, v[0:1], off
	s_waitcnt vmcnt(0)
	v_cvt_f64_i32_e32 v[2:3], v2
	s_branch .LBB320_245
.LBB320_244:
	s_mov_b32 s0, -1
                                        ; implicit-def: $vgpr2_vgpr3
.LBB320_245:
	s_delay_alu instid0(SALU_CYCLE_1)
	s_and_not1_b32 vcc_lo, exec_lo, s0
	s_cbranch_vccnz .LBB320_247
; %bb.246:
	global_load_u8 v0, v[0:1], off
	s_waitcnt vmcnt(0)
	v_cvt_f64_u32_e32 v[2:3], v0
.LBB320_247:
	s_branch .LBB320_11
.LBB320_248:
	s_mov_b32 s0, 0
.LBB320_249:
	s_mov_b32 s1, 0
                                        ; implicit-def: $vgpr14
.LBB320_250:
	s_and_b32 s15, s0, exec_lo
	s_and_b32 s17, s17, exec_lo
	s_or_not1_b32 s1, s1, exec_lo
.LBB320_251:
	s_or_b32 exec_lo, exec_lo, s18
	s_mov_b32 s20, 0
	s_mov_b32 s0, 0
                                        ; implicit-def: $vgpr0_vgpr1
                                        ; implicit-def: $vgpr2_vgpr3
	s_and_saveexec_b32 s18, s1
	s_cbranch_execz .LBB320_859
; %bb.252:
	s_mov_b32 s23, -1
	s_mov_b32 s19, s17
	s_mov_b32 s20, s15
	s_mov_b32 s21, exec_lo
	v_cmpx_gt_i32_e64 s16, v14
	s_cbranch_execz .LBB320_511
; %bb.253:
	v_mul_lo_u32 v0, v14, s3
	v_cmp_gt_i16_e32 vcc_lo, 11, v10
	s_delay_alu instid0(VALU_DEP_2) | instskip(SKIP_1) | instid1(VALU_DEP_1)
	v_ashrrev_i32_e32 v1, 31, v0
	v_add_co_u32 v0, s0, s6, v0
	v_add_co_ci_u32_e64 v1, s0, s7, v1, s0
	s_cbranch_vccnz .LBB320_260
; %bb.254:
	v_cmp_lt_i16_e32 vcc_lo, 25, v10
	s_cbranch_vccz .LBB320_269
; %bb.255:
	v_cmp_lt_i16_e32 vcc_lo, 28, v10
	s_cbranch_vccz .LBB320_271
	;; [unrolled: 3-line block ×4, first 2 shown]
; %bb.258:
	v_cmp_eq_u16_e32 vcc_lo, 46, v10
	s_mov_b32 s1, 0
	s_cbranch_vccz .LBB320_281
; %bb.259:
	global_load_b32 v2, v[0:1], off
	s_mov_b32 s0, -1
	s_mov_b32 s19, 0
	s_waitcnt vmcnt(0)
	v_lshlrev_b32_e32 v2, 16, v2
	s_delay_alu instid0(VALU_DEP_1)
	v_cvt_f64_f32_e32 v[2:3], v2
	s_branch .LBB320_283
.LBB320_260:
	s_mov_b32 s0, 0
	s_mov_b32 s19, s17
                                        ; implicit-def: $vgpr2_vgpr3
	s_cbranch_execnz .LBB320_460
.LBB320_261:
	s_and_not1_b32 vcc_lo, exec_lo, s0
	s_cbranch_vccnz .LBB320_508
.LBB320_262:
	v_max_f64 v[0:1], s[8:9], s[8:9]
	s_waitcnt vmcnt(0)
	s_delay_alu instid0(VALU_DEP_2) | instskip(SKIP_2) | instid1(VALU_DEP_3)
	v_max_f64 v[4:5], v[2:3], v[2:3]
	v_max_f64 v[6:7], s[10:11], s[10:11]
	v_cmp_u_f64_e32 vcc_lo, v[2:3], v[2:3]
	v_max_f64 v[0:1], v[4:5], v[0:1]
	v_mul_lo_u32 v4, v14, s2
	s_delay_alu instid0(VALU_DEP_1) | instskip(SKIP_1) | instid1(VALU_DEP_1)
	v_ashrrev_i32_e32 v5, 31, v4
	v_add_co_u32 v4, s1, s4, v4
	v_add_co_ci_u32_e64 v5, s1, s5, v5, s1
	v_min_f64 v[0:1], v[0:1], v[6:7]
	v_and_b32_e64 v6, 0xff, s12
	s_delay_alu instid0(VALU_DEP_1) | instskip(NEXT) | instid1(VALU_DEP_3)
	v_cmp_gt_i16_e64 s0, 11, v6
	v_dual_cndmask_b32 v1, v1, v3 :: v_dual_cndmask_b32 v0, v0, v2
	s_delay_alu instid0(VALU_DEP_2)
	s_and_b32 vcc_lo, exec_lo, s0
	s_cbranch_vccnz .LBB320_270
; %bb.263:
	v_cmp_lt_i16_e32 vcc_lo, 25, v6
	s_cbranch_vccz .LBB320_272
; %bb.264:
	v_cmp_lt_i16_e32 vcc_lo, 28, v6
	s_cbranch_vccz .LBB320_274
	;; [unrolled: 3-line block ×4, first 2 shown]
; %bb.267:
	v_cmp_eq_u16_e32 vcc_lo, 46, v6
	s_mov_b32 s20, 0
	s_mov_b32 s0, -1
	s_mov_b32 s1, 0
	s_cbranch_vccz .LBB320_287
; %bb.268:
	v_cvt_f32_f64_e32 v2, v[0:1]
	s_mov_b32 s1, -1
	s_mov_b32 s0, 0
	s_delay_alu instid0(VALU_DEP_1) | instskip(SKIP_1) | instid1(VALU_DEP_2)
	v_bfe_u32 v3, v2, 16, 1
	v_cmp_o_f32_e32 vcc_lo, v2, v2
	v_add3_u32 v3, v2, v3, 0x7fff
	s_delay_alu instid0(VALU_DEP_1) | instskip(NEXT) | instid1(VALU_DEP_1)
	v_lshrrev_b32_e32 v3, 16, v3
	v_cndmask_b32_e32 v2, 0x7fc0, v3, vcc_lo
	global_store_b32 v[4:5], v2, off
	s_branch .LBB320_287
.LBB320_269:
	s_mov_b32 s1, -1
	s_mov_b32 s0, 0
	s_mov_b32 s19, s17
                                        ; implicit-def: $vgpr2_vgpr3
	s_branch .LBB320_426
.LBB320_270:
	s_mov_b32 s20, -1
	s_mov_b32 s1, 0
	s_mov_b32 s0, s15
	s_branch .LBB320_356
.LBB320_271:
	s_mov_b32 s1, -1
	s_mov_b32 s0, 0
	s_mov_b32 s19, s17
                                        ; implicit-def: $vgpr2_vgpr3
	s_branch .LBB320_405
.LBB320_272:
	s_mov_b32 s20, -1
	s_mov_b32 s1, 0
	s_mov_b32 s0, s15
	s_branch .LBB320_314
.LBB320_273:
	s_mov_b32 s1, -1
	s_mov_b32 s0, 0
	s_mov_b32 s19, s17
                                        ; implicit-def: $vgpr2_vgpr3
	s_branch .LBB320_400
.LBB320_274:
	s_mov_b32 s20, -1
	s_mov_b32 s1, 0
	s_mov_b32 s0, s15
	s_branch .LBB320_297
.LBB320_275:
	s_or_saveexec_b32 s20, s20
                                        ; implicit-def: $sgpr21
	s_delay_alu instid0(SALU_CYCLE_1)
	s_xor_b32 exec_lo, exec_lo, s20
	s_cbranch_execz .LBB320_53
.LBB320_276:
	v_add_f32_e64 v3, 0x46000000, |v2|
	s_and_not1_b32 s15, s15, exec_lo
	s_mov_b32 s21, 0
	s_delay_alu instid0(VALU_DEP_1) | instskip(NEXT) | instid1(VALU_DEP_1)
	v_and_b32_e32 v3, 0xff, v3
	v_cmp_ne_u32_e32 vcc_lo, 0, v3
	s_and_b32 s22, vcc_lo, exec_lo
	s_delay_alu instid0(SALU_CYCLE_1)
	s_or_b32 s15, s15, s22
	s_or_b32 exec_lo, exec_lo, s20
	v_mov_b32_e32 v7, s21
	s_and_saveexec_b32 s20, s15
	s_cbranch_execnz .LBB320_54
	s_branch .LBB320_55
.LBB320_277:
	s_mov_b32 s1, -1
	s_mov_b32 s0, 0
	s_mov_b32 s19, s17
	s_branch .LBB320_282
.LBB320_278:
	s_mov_b32 s20, -1
	s_mov_b32 s1, 0
	s_mov_b32 s0, s15
	s_branch .LBB320_293
.LBB320_279:
	s_or_saveexec_b32 s20, s20
                                        ; implicit-def: $sgpr21
	s_delay_alu instid0(SALU_CYCLE_1)
	s_xor_b32 exec_lo, exec_lo, s20
	s_cbranch_execz .LBB320_66
.LBB320_280:
	v_add_f32_e64 v3, 0x42800000, |v2|
	s_and_not1_b32 s15, s15, exec_lo
	s_mov_b32 s21, 0
	s_delay_alu instid0(VALU_DEP_1) | instskip(NEXT) | instid1(VALU_DEP_1)
	v_and_b32_e32 v3, 0xff, v3
	v_cmp_ne_u32_e32 vcc_lo, 0, v3
	s_and_b32 s22, vcc_lo, exec_lo
	s_delay_alu instid0(SALU_CYCLE_1)
	s_or_b32 s15, s15, s22
	s_or_b32 exec_lo, exec_lo, s20
	v_mov_b32_e32 v7, s21
	s_and_saveexec_b32 s20, s15
	s_cbranch_execnz .LBB320_67
	s_branch .LBB320_68
.LBB320_281:
	s_mov_b32 s19, -1
	s_mov_b32 s0, 0
.LBB320_282:
                                        ; implicit-def: $vgpr2_vgpr3
.LBB320_283:
	s_and_b32 vcc_lo, exec_lo, s1
	s_cbranch_vccz .LBB320_399
; %bb.284:
	v_cmp_eq_u16_e32 vcc_lo, 44, v10
	s_cbranch_vccz .LBB320_398
; %bb.285:
	global_load_u8 v4, v[0:1], off
	s_mov_b32 s19, 0
	s_mov_b32 s0, -1
	s_waitcnt vmcnt(0)
	v_cmp_ne_u32_e32 vcc_lo, 0xff, v4
	v_lshlrev_b32_e32 v2, 23, v4
	s_delay_alu instid0(VALU_DEP_1) | instskip(NEXT) | instid1(VALU_DEP_1)
	v_cvt_f64_f32_e32 v[2:3], v2
	v_cndmask_b32_e32 v3, 0x7ff80000, v3, vcc_lo
	s_delay_alu instid0(VALU_DEP_2) | instskip(SKIP_1) | instid1(VALU_DEP_3)
	v_cndmask_b32_e32 v2, 0x20000000, v2, vcc_lo
	v_cmp_ne_u32_e32 vcc_lo, 0, v4
	v_cndmask_b32_e32 v3, 0x38000000, v3, vcc_lo
	s_delay_alu instid0(VALU_DEP_3)
	v_cndmask_b32_e32 v2, 0, v2, vcc_lo
	s_branch .LBB320_399
.LBB320_286:
	s_mov_b32 s20, -1
	s_mov_b32 s1, 0
	s_mov_b32 s0, s15
.LBB320_287:
	s_and_b32 vcc_lo, exec_lo, s20
	s_cbranch_vccz .LBB320_292
; %bb.288:
	v_cmp_eq_u16_e32 vcc_lo, 44, v6
	s_mov_b32 s0, -1
	s_cbranch_vccz .LBB320_292
; %bb.289:
	v_cvt_f32_f64_e32 v2, v[0:1]
	v_mov_b32_e32 v3, 0xff
	s_mov_b32 s1, exec_lo
	s_delay_alu instid0(VALU_DEP_2) | instskip(NEXT) | instid1(VALU_DEP_1)
	v_bfe_u32 v7, v2, 23, 8
	v_cmpx_ne_u32_e32 0xff, v7
; %bb.290:
	v_and_b32_e32 v3, 0x400000, v2
	v_and_or_b32 v7, 0x3fffff, v2, v7
	v_lshrrev_b32_e32 v2, 23, v2
	s_delay_alu instid0(VALU_DEP_3) | instskip(NEXT) | instid1(VALU_DEP_3)
	v_cmp_ne_u32_e32 vcc_lo, 0, v3
	v_cmp_ne_u32_e64 s0, 0, v7
	s_delay_alu instid0(VALU_DEP_1) | instskip(NEXT) | instid1(SALU_CYCLE_1)
	s_and_b32 s0, vcc_lo, s0
	v_cndmask_b32_e64 v3, 0, 1, s0
	s_delay_alu instid0(VALU_DEP_1)
	v_add_nc_u32_e32 v3, v2, v3
; %bb.291:
	s_or_b32 exec_lo, exec_lo, s1
	s_mov_b32 s1, -1
	s_mov_b32 s0, 0
	global_store_b8 v[4:5], v3, off
.LBB320_292:
	s_mov_b32 s20, 0
.LBB320_293:
	s_delay_alu instid0(SALU_CYCLE_1)
	s_and_b32 vcc_lo, exec_lo, s20
	s_cbranch_vccz .LBB320_296
; %bb.294:
	v_cmp_eq_u16_e32 vcc_lo, 29, v6
	s_mov_b32 s0, -1
	s_cbranch_vccz .LBB320_296
; %bb.295:
	v_trunc_f64_e32 v[2:3], v[0:1]
	s_mov_b32 s1, -1
	s_mov_b32 s0, 0
	s_mov_b32 s20, 0
	s_delay_alu instid0(VALU_DEP_1) | instskip(NEXT) | instid1(VALU_DEP_1)
	v_ldexp_f64 v[7:8], v[2:3], 0xffffffe0
	v_floor_f64_e32 v[7:8], v[7:8]
	s_delay_alu instid0(VALU_DEP_1) | instskip(SKIP_1) | instid1(VALU_DEP_2)
	v_fma_f64 v[2:3], 0xc1f00000, v[7:8], v[2:3]
	v_cvt_u32_f64_e32 v8, v[7:8]
	v_cvt_u32_f64_e32 v7, v[2:3]
	global_store_b64 v[4:5], v[7:8], off
	s_branch .LBB320_297
.LBB320_296:
	s_mov_b32 s20, 0
.LBB320_297:
	s_delay_alu instid0(SALU_CYCLE_1)
	s_and_b32 vcc_lo, exec_lo, s20
	s_cbranch_vccz .LBB320_313
; %bb.298:
	v_cmp_gt_i16_e32 vcc_lo, 27, v6
	s_mov_b32 s1, -1
	s_cbranch_vccnz .LBB320_304
; %bb.299:
	v_cmp_lt_i16_e32 vcc_lo, 27, v6
	s_cbranch_vccz .LBB320_301
; %bb.300:
	v_cvt_u32_f64_e32 v2, v[0:1]
	s_mov_b32 s1, 0
	global_store_b32 v[4:5], v2, off
.LBB320_301:
	s_and_not1_b32 vcc_lo, exec_lo, s1
	s_cbranch_vccnz .LBB320_303
; %bb.302:
	v_cvt_u32_f64_e32 v2, v[0:1]
	global_store_b16 v[4:5], v2, off
.LBB320_303:
	s_mov_b32 s1, 0
.LBB320_304:
	s_delay_alu instid0(SALU_CYCLE_1)
	s_and_not1_b32 vcc_lo, exec_lo, s1
	s_cbranch_vccnz .LBB320_312
; %bb.305:
	v_cvt_f32_f64_e32 v2, v[0:1]
	v_mov_b32_e32 v7, 0x80
	s_mov_b32 s1, exec_lo
	s_delay_alu instid0(VALU_DEP_2) | instskip(NEXT) | instid1(VALU_DEP_1)
	v_and_b32_e32 v3, 0x7fffffff, v2
	v_cmpx_gt_u32_e32 0x43800000, v3
	s_cbranch_execz .LBB320_311
; %bb.306:
	v_cmp_lt_u32_e32 vcc_lo, 0x3bffffff, v3
	s_mov_b32 s20, 0
                                        ; implicit-def: $vgpr3
	s_and_saveexec_b32 s22, vcc_lo
	s_delay_alu instid0(SALU_CYCLE_1)
	s_xor_b32 s22, exec_lo, s22
	s_cbranch_execz .LBB320_524
; %bb.307:
	v_bfe_u32 v3, v2, 20, 1
	s_mov_b32 s20, exec_lo
	s_delay_alu instid0(VALU_DEP_1) | instskip(NEXT) | instid1(VALU_DEP_1)
	v_add3_u32 v3, v2, v3, 0x487ffff
	v_lshrrev_b32_e32 v3, 20, v3
	s_or_saveexec_b32 s22, s22
                                        ; implicit-def: $sgpr23
	s_delay_alu instid0(SALU_CYCLE_1)
	s_xor_b32 exec_lo, exec_lo, s22
	s_cbranch_execnz .LBB320_525
.LBB320_308:
	s_or_b32 exec_lo, exec_lo, s22
	v_mov_b32_e32 v7, s23
	s_and_saveexec_b32 s22, s20
.LBB320_309:
	v_lshrrev_b32_e32 v2, 24, v2
	s_delay_alu instid0(VALU_DEP_1)
	v_and_or_b32 v7, 0x80, v2, v3
.LBB320_310:
	s_or_b32 exec_lo, exec_lo, s22
.LBB320_311:
	s_delay_alu instid0(SALU_CYCLE_1)
	s_or_b32 exec_lo, exec_lo, s1
	global_store_b8 v[4:5], v7, off
.LBB320_312:
	s_mov_b32 s1, -1
.LBB320_313:
	s_mov_b32 s20, 0
.LBB320_314:
	s_delay_alu instid0(SALU_CYCLE_1)
	s_and_b32 vcc_lo, exec_lo, s20
	s_cbranch_vccz .LBB320_355
; %bb.315:
	v_cmp_lt_i16_e32 vcc_lo, 22, v6
	s_mov_b32 s20, -1
	s_cbranch_vccz .LBB320_347
; %bb.316:
	v_cmp_gt_i16_e32 vcc_lo, 24, v6
	s_mov_b32 s1, -1
	s_cbranch_vccnz .LBB320_336
; %bb.317:
	v_cmp_lt_i16_e32 vcc_lo, 24, v6
	s_cbranch_vccz .LBB320_325
; %bb.318:
	v_cvt_f32_f64_e32 v2, v[0:1]
	v_mov_b32_e32 v7, 0x80
	s_mov_b32 s1, exec_lo
	s_delay_alu instid0(VALU_DEP_2) | instskip(NEXT) | instid1(VALU_DEP_1)
	v_and_b32_e32 v3, 0x7fffffff, v2
	v_cmpx_gt_u32_e32 0x47800000, v3
	s_cbranch_execz .LBB320_324
; %bb.319:
	v_cmp_lt_u32_e32 vcc_lo, 0x37ffffff, v3
	s_mov_b32 s20, 0
                                        ; implicit-def: $vgpr3
	s_and_saveexec_b32 s22, vcc_lo
	s_delay_alu instid0(SALU_CYCLE_1)
	s_xor_b32 s22, exec_lo, s22
	s_cbranch_execz .LBB320_527
; %bb.320:
	v_bfe_u32 v3, v2, 21, 1
	s_mov_b32 s20, exec_lo
	s_delay_alu instid0(VALU_DEP_1) | instskip(NEXT) | instid1(VALU_DEP_1)
	v_add3_u32 v3, v2, v3, 0x88fffff
	v_lshrrev_b32_e32 v3, 21, v3
	s_or_saveexec_b32 s22, s22
                                        ; implicit-def: $sgpr23
	s_delay_alu instid0(SALU_CYCLE_1)
	s_xor_b32 exec_lo, exec_lo, s22
	s_cbranch_execnz .LBB320_528
.LBB320_321:
	s_or_b32 exec_lo, exec_lo, s22
	v_mov_b32_e32 v7, s23
	s_and_saveexec_b32 s22, s20
.LBB320_322:
	v_lshrrev_b32_e32 v2, 24, v2
	s_delay_alu instid0(VALU_DEP_1)
	v_and_or_b32 v7, 0x80, v2, v3
.LBB320_323:
	s_or_b32 exec_lo, exec_lo, s22
.LBB320_324:
	s_delay_alu instid0(SALU_CYCLE_1)
	s_or_b32 exec_lo, exec_lo, s1
	s_mov_b32 s1, 0
	global_store_b8 v[4:5], v7, off
.LBB320_325:
	s_and_b32 vcc_lo, exec_lo, s1
	s_cbranch_vccz .LBB320_335
; %bb.326:
	v_cvt_f32_f64_e32 v2, v[0:1]
	s_mov_b32 s1, exec_lo
                                        ; implicit-def: $vgpr3
	s_delay_alu instid0(VALU_DEP_1) | instskip(NEXT) | instid1(VALU_DEP_1)
	v_and_b32_e32 v7, 0x7fffffff, v2
	v_cmpx_gt_u32_e32 0x43f00000, v7
	s_xor_b32 s1, exec_lo, s1
	s_cbranch_execz .LBB320_332
; %bb.327:
	s_mov_b32 s20, exec_lo
                                        ; implicit-def: $vgpr3
	v_cmpx_lt_u32_e32 0x3c7fffff, v7
	s_xor_b32 s20, exec_lo, s20
; %bb.328:
	v_bfe_u32 v3, v2, 20, 1
	s_delay_alu instid0(VALU_DEP_1) | instskip(NEXT) | instid1(VALU_DEP_1)
	v_add3_u32 v3, v2, v3, 0x407ffff
	v_and_b32_e32 v7, 0xff00000, v3
	v_lshrrev_b32_e32 v3, 20, v3
	s_delay_alu instid0(VALU_DEP_2) | instskip(NEXT) | instid1(VALU_DEP_2)
	v_cmp_ne_u32_e32 vcc_lo, 0x7f00000, v7
	v_cndmask_b32_e32 v3, 0x7e, v3, vcc_lo
; %bb.329:
	s_and_not1_saveexec_b32 s20, s20
; %bb.330:
	v_add_f32_e64 v3, 0x46800000, |v2|
; %bb.331:
	s_or_b32 exec_lo, exec_lo, s20
                                        ; implicit-def: $vgpr7
.LBB320_332:
	s_and_not1_saveexec_b32 s1, s1
; %bb.333:
	v_mov_b32_e32 v3, 0x7f
	v_cmp_lt_u32_e32 vcc_lo, 0x7f800000, v7
	s_delay_alu instid0(VALU_DEP_2)
	v_cndmask_b32_e32 v3, 0x7e, v3, vcc_lo
; %bb.334:
	s_or_b32 exec_lo, exec_lo, s1
	v_lshrrev_b32_e32 v2, 24, v2
	s_delay_alu instid0(VALU_DEP_1)
	v_and_or_b32 v2, 0x80, v2, v3
	global_store_b8 v[4:5], v2, off
.LBB320_335:
	s_mov_b32 s1, 0
.LBB320_336:
	s_delay_alu instid0(SALU_CYCLE_1)
	s_and_not1_b32 vcc_lo, exec_lo, s1
	s_cbranch_vccnz .LBB320_346
; %bb.337:
	v_cvt_f32_f64_e32 v2, v[0:1]
	s_mov_b32 s1, exec_lo
                                        ; implicit-def: $vgpr3
	s_delay_alu instid0(VALU_DEP_1) | instskip(NEXT) | instid1(VALU_DEP_1)
	v_and_b32_e32 v7, 0x7fffffff, v2
	v_cmpx_gt_u32_e32 0x47800000, v7
	s_xor_b32 s1, exec_lo, s1
	s_cbranch_execz .LBB320_343
; %bb.338:
	s_mov_b32 s20, exec_lo
                                        ; implicit-def: $vgpr3
	v_cmpx_lt_u32_e32 0x387fffff, v7
	s_xor_b32 s20, exec_lo, s20
; %bb.339:
	v_bfe_u32 v3, v2, 21, 1
	s_delay_alu instid0(VALU_DEP_1) | instskip(NEXT) | instid1(VALU_DEP_1)
	v_add3_u32 v3, v2, v3, 0x80fffff
	v_lshrrev_b32_e32 v3, 21, v3
; %bb.340:
	s_and_not1_saveexec_b32 s20, s20
; %bb.341:
	v_add_f32_e64 v3, 0x43000000, |v2|
; %bb.342:
	s_or_b32 exec_lo, exec_lo, s20
                                        ; implicit-def: $vgpr7
.LBB320_343:
	s_and_not1_saveexec_b32 s1, s1
; %bb.344:
	v_mov_b32_e32 v3, 0x7f
	v_cmp_lt_u32_e32 vcc_lo, 0x7f800000, v7
	s_delay_alu instid0(VALU_DEP_2)
	v_cndmask_b32_e32 v3, 0x7c, v3, vcc_lo
; %bb.345:
	s_or_b32 exec_lo, exec_lo, s1
	v_lshrrev_b32_e32 v2, 24, v2
	s_delay_alu instid0(VALU_DEP_1)
	v_and_or_b32 v2, 0x80, v2, v3
	global_store_b8 v[4:5], v2, off
.LBB320_346:
	s_mov_b32 s20, 0
	s_mov_b32 s1, -1
.LBB320_347:
	s_and_not1_b32 vcc_lo, exec_lo, s20
	s_cbranch_vccnz .LBB320_355
; %bb.348:
	v_cmp_lt_i16_e32 vcc_lo, 14, v6
	s_mov_b32 s20, -1
	s_cbranch_vccz .LBB320_352
; %bb.349:
	v_cmp_eq_u16_e32 vcc_lo, 15, v6
	s_mov_b32 s0, -1
	s_cbranch_vccz .LBB320_351
; %bb.350:
	v_cvt_f32_f64_e32 v2, v[0:1]
	s_mov_b32 s1, -1
	s_mov_b32 s0, 0
	s_delay_alu instid0(VALU_DEP_1) | instskip(SKIP_1) | instid1(VALU_DEP_2)
	v_bfe_u32 v3, v2, 16, 1
	v_cmp_o_f32_e32 vcc_lo, v2, v2
	v_add3_u32 v3, v2, v3, 0x7fff
	s_delay_alu instid0(VALU_DEP_1) | instskip(NEXT) | instid1(VALU_DEP_1)
	v_lshrrev_b32_e32 v3, 16, v3
	v_cndmask_b32_e32 v2, 0x7fc0, v3, vcc_lo
	global_store_b16 v[4:5], v2, off
.LBB320_351:
	s_mov_b32 s20, 0
.LBB320_352:
	s_delay_alu instid0(SALU_CYCLE_1)
	s_and_b32 vcc_lo, exec_lo, s20
	s_cbranch_vccz .LBB320_355
; %bb.353:
	v_cmp_eq_u16_e32 vcc_lo, 11, v6
	s_mov_b32 s0, -1
	s_cbranch_vccz .LBB320_355
; %bb.354:
	v_cmp_neq_f64_e32 vcc_lo, 0, v[0:1]
	s_mov_b32 s1, -1
	s_mov_b32 s0, 0
	v_cndmask_b32_e64 v2, 0, 1, vcc_lo
	global_store_b8 v[4:5], v2, off
.LBB320_355:
	s_mov_b32 s20, 0
.LBB320_356:
	s_delay_alu instid0(SALU_CYCLE_1)
	s_and_b32 vcc_lo, exec_lo, s20
	s_cbranch_vccz .LBB320_395
; %bb.357:
	v_cmp_gt_i16_e32 vcc_lo, 5, v6
	s_mov_b32 s1, -1
	s_cbranch_vccnz .LBB320_378
; %bb.358:
	v_cmp_gt_i16_e32 vcc_lo, 8, v6
	s_cbranch_vccnz .LBB320_368
; %bb.359:
	v_cmp_gt_i16_e32 vcc_lo, 9, v6
	s_cbranch_vccnz .LBB320_365
; %bb.360:
	v_cmp_lt_i16_e32 vcc_lo, 9, v6
	s_cbranch_vccz .LBB320_362
; %bb.361:
	v_mov_b32_e32 v2, 0
	s_mov_b32 s1, 0
	s_delay_alu instid0(VALU_DEP_1)
	v_mov_b32_e32 v3, v2
	global_store_b128 v[4:5], v[0:3], off
.LBB320_362:
	s_and_not1_b32 vcc_lo, exec_lo, s1
	s_cbranch_vccnz .LBB320_364
; %bb.363:
	v_cvt_f32_f64_e32 v2, v[0:1]
	v_mov_b32_e32 v3, 0
	global_store_b64 v[4:5], v[2:3], off
.LBB320_364:
	s_mov_b32 s1, 0
.LBB320_365:
	s_delay_alu instid0(SALU_CYCLE_1)
	s_and_not1_b32 vcc_lo, exec_lo, s1
	s_cbranch_vccnz .LBB320_367
; %bb.366:
	v_cvt_f32_f64_e32 v2, v[0:1]
	s_delay_alu instid0(VALU_DEP_1) | instskip(NEXT) | instid1(VALU_DEP_1)
	v_cvt_f16_f32_e32 v2, v2
	v_and_b32_e32 v2, 0xffff, v2
	global_store_b32 v[4:5], v2, off
.LBB320_367:
	s_mov_b32 s1, 0
.LBB320_368:
	s_delay_alu instid0(SALU_CYCLE_1)
	s_and_not1_b32 vcc_lo, exec_lo, s1
	s_cbranch_vccnz .LBB320_377
; %bb.369:
	v_cmp_gt_i16_e32 vcc_lo, 6, v6
	s_mov_b32 s1, -1
	s_cbranch_vccnz .LBB320_375
; %bb.370:
	v_cmp_lt_i16_e32 vcc_lo, 6, v6
	s_cbranch_vccz .LBB320_372
; %bb.371:
	s_mov_b32 s1, 0
	global_store_b64 v[4:5], v[0:1], off
.LBB320_372:
	s_and_not1_b32 vcc_lo, exec_lo, s1
	s_cbranch_vccnz .LBB320_374
; %bb.373:
	v_cvt_f32_f64_e32 v2, v[0:1]
	global_store_b32 v[4:5], v2, off
.LBB320_374:
	s_mov_b32 s1, 0
.LBB320_375:
	s_delay_alu instid0(SALU_CYCLE_1)
	s_and_not1_b32 vcc_lo, exec_lo, s1
	s_cbranch_vccnz .LBB320_377
; %bb.376:
	v_cvt_f32_f64_e32 v2, v[0:1]
	s_delay_alu instid0(VALU_DEP_1)
	v_cvt_f16_f32_e32 v2, v2
	global_store_b16 v[4:5], v2, off
.LBB320_377:
	s_mov_b32 s1, 0
.LBB320_378:
	s_delay_alu instid0(SALU_CYCLE_1)
	s_and_not1_b32 vcc_lo, exec_lo, s1
	s_cbranch_vccnz .LBB320_394
; %bb.379:
	v_cmp_gt_i16_e32 vcc_lo, 2, v6
	s_mov_b32 s1, -1
	s_cbranch_vccnz .LBB320_389
; %bb.380:
	v_cmp_gt_i16_e32 vcc_lo, 3, v6
	s_cbranch_vccnz .LBB320_386
; %bb.381:
	v_cmp_lt_i16_e32 vcc_lo, 3, v6
	s_cbranch_vccz .LBB320_383
; %bb.382:
	v_trunc_f64_e32 v[2:3], v[0:1]
	s_mov_b32 s1, 0
	s_delay_alu instid0(VALU_DEP_1) | instskip(NEXT) | instid1(VALU_DEP_1)
	v_ldexp_f64 v[7:8], v[2:3], 0xffffffe0
	v_floor_f64_e32 v[7:8], v[7:8]
	s_delay_alu instid0(VALU_DEP_1) | instskip(SKIP_1) | instid1(VALU_DEP_2)
	v_fma_f64 v[2:3], 0xc1f00000, v[7:8], v[2:3]
	v_cvt_i32_f64_e32 v8, v[7:8]
	v_cvt_u32_f64_e32 v7, v[2:3]
	global_store_b64 v[4:5], v[7:8], off
.LBB320_383:
	s_and_not1_b32 vcc_lo, exec_lo, s1
	s_cbranch_vccnz .LBB320_385
; %bb.384:
	v_cvt_i32_f64_e32 v2, v[0:1]
	global_store_b32 v[4:5], v2, off
.LBB320_385:
	s_mov_b32 s1, 0
.LBB320_386:
	s_delay_alu instid0(SALU_CYCLE_1)
	s_and_not1_b32 vcc_lo, exec_lo, s1
	s_cbranch_vccnz .LBB320_388
; %bb.387:
	v_cvt_i32_f64_e32 v2, v[0:1]
	global_store_b16 v[4:5], v2, off
.LBB320_388:
	s_mov_b32 s1, 0
.LBB320_389:
	s_delay_alu instid0(SALU_CYCLE_1)
	s_and_not1_b32 vcc_lo, exec_lo, s1
	s_cbranch_vccnz .LBB320_394
; %bb.390:
	v_cmp_lt_i16_e32 vcc_lo, 0, v6
	s_mov_b32 s1, -1
	s_cbranch_vccz .LBB320_392
; %bb.391:
	v_cvt_i32_f64_e32 v2, v[0:1]
	s_mov_b32 s1, 0
	global_store_b8 v[4:5], v2, off
.LBB320_392:
	s_and_not1_b32 vcc_lo, exec_lo, s1
	s_cbranch_vccnz .LBB320_394
; %bb.393:
	v_trunc_f64_e32 v[0:1], v[0:1]
	s_delay_alu instid0(VALU_DEP_1) | instskip(NEXT) | instid1(VALU_DEP_1)
	v_ldexp_f64 v[2:3], v[0:1], 0xffffffe0
	v_floor_f64_e32 v[2:3], v[2:3]
	s_delay_alu instid0(VALU_DEP_1) | instskip(NEXT) | instid1(VALU_DEP_1)
	v_fma_f64 v[0:1], 0xc1f00000, v[2:3], v[0:1]
	v_cvt_u32_f64_e32 v0, v[0:1]
	global_store_b8 v[4:5], v0, off
.LBB320_394:
	s_mov_b32 s1, -1
.LBB320_395:
	s_delay_alu instid0(SALU_CYCLE_1)
	s_and_not1_b32 vcc_lo, exec_lo, s1
	s_cbranch_vccnz .LBB320_397
; %bb.396:
	v_add_nc_u32_e32 v14, 0x80, v14
	s_mov_b32 s1, -1
	s_branch .LBB320_510
.LBB320_397:
	s_mov_b32 s1, 0
	s_branch .LBB320_509
.LBB320_398:
	s_mov_b32 s19, -1
                                        ; implicit-def: $vgpr2_vgpr3
.LBB320_399:
	s_mov_b32 s1, 0
.LBB320_400:
	s_delay_alu instid0(SALU_CYCLE_1)
	s_and_b32 vcc_lo, exec_lo, s1
	s_cbranch_vccz .LBB320_404
; %bb.401:
	v_cmp_eq_u16_e32 vcc_lo, 29, v10
	s_cbranch_vccz .LBB320_403
; %bb.402:
	global_load_b64 v[2:3], v[0:1], off
	s_mov_b32 s0, -1
	s_mov_b32 s19, 0
	s_mov_b32 s1, 0
	s_waitcnt vmcnt(0)
	v_cvt_f64_u32_e32 v[3:4], v3
	v_cvt_f64_u32_e32 v[5:6], v2
	s_delay_alu instid0(VALU_DEP_2) | instskip(NEXT) | instid1(VALU_DEP_1)
	v_ldexp_f64 v[3:4], v[3:4], 32
	v_add_f64 v[2:3], v[3:4], v[5:6]
	s_branch .LBB320_405
.LBB320_403:
	s_mov_b32 s19, -1
                                        ; implicit-def: $vgpr2_vgpr3
.LBB320_404:
	s_mov_b32 s1, 0
.LBB320_405:
	s_delay_alu instid0(SALU_CYCLE_1)
	s_and_b32 vcc_lo, exec_lo, s1
	s_cbranch_vccz .LBB320_425
; %bb.406:
	v_cmp_gt_i16_e32 vcc_lo, 27, v10
	s_cbranch_vccnz .LBB320_409
; %bb.407:
	v_cmp_lt_i16_e32 vcc_lo, 27, v10
	s_cbranch_vccz .LBB320_410
; %bb.408:
	global_load_b32 v2, v[0:1], off
	s_mov_b32 s0, 0
	s_waitcnt vmcnt(0)
	v_cvt_f64_u32_e32 v[2:3], v2
	s_branch .LBB320_411
.LBB320_409:
	s_mov_b32 s0, -1
                                        ; implicit-def: $vgpr2_vgpr3
	s_branch .LBB320_414
.LBB320_410:
	s_mov_b32 s0, -1
                                        ; implicit-def: $vgpr2_vgpr3
.LBB320_411:
	s_delay_alu instid0(SALU_CYCLE_1)
	s_and_not1_b32 vcc_lo, exec_lo, s0
	s_cbranch_vccnz .LBB320_413
; %bb.412:
	global_load_u16 v2, v[0:1], off
	s_waitcnt vmcnt(0)
	v_cvt_f64_u32_e32 v[2:3], v2
.LBB320_413:
	s_mov_b32 s0, 0
.LBB320_414:
	s_delay_alu instid0(SALU_CYCLE_1)
	s_and_not1_b32 vcc_lo, exec_lo, s0
	s_cbranch_vccnz .LBB320_424
; %bb.415:
	global_load_u8 v4, v[0:1], off
	s_mov_b32 s20, 0
	s_mov_b32 s22, exec_lo
                                        ; implicit-def: $sgpr0_sgpr1
	s_waitcnt vmcnt(0)
	v_cmpx_lt_i16_e32 0x7f, v4
	s_xor_b32 s22, exec_lo, s22
	s_cbranch_execz .LBB320_419
; %bb.416:
	s_mov_b32 s20, exec_lo
                                        ; implicit-def: $sgpr0_sgpr1
	v_cmpx_eq_u16_e32 0x80, v4
; %bb.417:
	s_mov_b32 s1, 0x7ff80000
	s_brev_b32 s0, 4
	s_xor_b32 s23, exec_lo, -1
; %bb.418:
	s_or_b32 exec_lo, exec_lo, s20
	s_delay_alu instid0(SALU_CYCLE_1)
	s_and_b32 s20, s23, exec_lo
.LBB320_419:
	s_or_saveexec_b32 s22, s22
	v_dual_mov_b32 v3, s1 :: v_dual_mov_b32 v2, s0
	s_xor_b32 exec_lo, exec_lo, s22
; %bb.420:
	v_cmp_ne_u16_e32 vcc_lo, 0, v4
	v_mov_b32_e32 v2, 0
	v_mov_b32_e32 v3, 0
	s_and_not1_b32 s0, s20, exec_lo
	s_and_b32 s1, vcc_lo, exec_lo
	s_delay_alu instid0(SALU_CYCLE_1)
	s_or_b32 s20, s0, s1
; %bb.421:
	s_or_b32 exec_lo, exec_lo, s22
	s_and_saveexec_b32 s0, s20
	s_cbranch_execz .LBB320_423
; %bb.422:
	v_and_b32_e32 v2, 0xffff, v4
	v_lshlrev_b32_e32 v4, 24, v4
	s_delay_alu instid0(VALU_DEP_2) | instskip(NEXT) | instid1(VALU_DEP_2)
	v_and_b32_e32 v3, 7, v2
	v_and_b32_e32 v4, 0x80000000, v4
	s_delay_alu instid0(VALU_DEP_2) | instskip(NEXT) | instid1(VALU_DEP_1)
	v_clz_i32_u32_e32 v5, v3
	v_min_u32_e32 v5, 32, v5
	s_delay_alu instid0(VALU_DEP_1) | instskip(SKIP_1) | instid1(VALU_DEP_2)
	v_subrev_nc_u32_e32 v6, 28, v5
	v_sub_nc_u32_e32 v5, 29, v5
	v_lshlrev_b32_e32 v6, v6, v2
	v_bfe_u32 v2, v2, 3, 4
	s_delay_alu instid0(VALU_DEP_2) | instskip(NEXT) | instid1(VALU_DEP_2)
	v_and_b32_e32 v6, 7, v6
	v_cmp_eq_u32_e32 vcc_lo, 0, v2
	s_delay_alu instid0(VALU_DEP_2) | instskip(NEXT) | instid1(VALU_DEP_1)
	v_dual_cndmask_b32 v2, v2, v5 :: v_dual_cndmask_b32 v3, v3, v6
	v_lshl_add_u32 v2, v2, 23, 0x3b800000
	s_delay_alu instid0(VALU_DEP_2) | instskip(NEXT) | instid1(VALU_DEP_1)
	v_lshlrev_b32_e32 v3, 20, v3
	v_or3_b32 v2, v4, v2, v3
	s_delay_alu instid0(VALU_DEP_1)
	v_cvt_f64_f32_e32 v[2:3], v2
.LBB320_423:
	s_or_b32 exec_lo, exec_lo, s0
.LBB320_424:
	s_mov_b32 s0, -1
.LBB320_425:
	s_mov_b32 s1, 0
.LBB320_426:
	s_delay_alu instid0(SALU_CYCLE_1)
	s_and_b32 vcc_lo, exec_lo, s1
	s_cbranch_vccz .LBB320_459
; %bb.427:
	v_cmp_lt_i16_e32 vcc_lo, 22, v10
	s_cbranch_vccz .LBB320_439
; %bb.428:
	v_cmp_gt_i16_e32 vcc_lo, 24, v10
	s_cbranch_vccnz .LBB320_440
; %bb.429:
	v_cmp_lt_i16_e32 vcc_lo, 24, v10
	s_cbranch_vccz .LBB320_441
; %bb.430:
	global_load_u8 v4, v[0:1], off
	s_mov_b32 s20, 0
	s_mov_b32 s22, exec_lo
                                        ; implicit-def: $sgpr0_sgpr1
	s_waitcnt vmcnt(0)
	v_cmpx_lt_i16_e32 0x7f, v4
	s_xor_b32 s22, exec_lo, s22
	s_cbranch_execz .LBB320_434
; %bb.431:
	s_mov_b32 s23, -1
	s_mov_b32 s20, exec_lo
                                        ; implicit-def: $sgpr0_sgpr1
	v_cmpx_eq_u16_e32 0x80, v4
; %bb.432:
	s_mov_b32 s1, 0x7ff80000
	s_brev_b32 s0, 4
	s_xor_b32 s23, exec_lo, -1
; %bb.433:
	s_or_b32 exec_lo, exec_lo, s20
	s_delay_alu instid0(SALU_CYCLE_1)
	s_and_b32 s20, s23, exec_lo
.LBB320_434:
	s_or_saveexec_b32 s22, s22
	v_dual_mov_b32 v3, s1 :: v_dual_mov_b32 v2, s0
	s_xor_b32 exec_lo, exec_lo, s22
; %bb.435:
	v_cmp_ne_u16_e32 vcc_lo, 0, v4
	v_mov_b32_e32 v2, 0
	v_mov_b32_e32 v3, 0
	s_and_not1_b32 s0, s20, exec_lo
	s_and_b32 s1, vcc_lo, exec_lo
	s_delay_alu instid0(SALU_CYCLE_1)
	s_or_b32 s20, s0, s1
; %bb.436:
	s_or_b32 exec_lo, exec_lo, s22
	s_and_saveexec_b32 s0, s20
	s_cbranch_execz .LBB320_438
; %bb.437:
	v_and_b32_e32 v2, 0xffff, v4
	v_lshlrev_b32_e32 v4, 24, v4
	s_delay_alu instid0(VALU_DEP_2) | instskip(NEXT) | instid1(VALU_DEP_2)
	v_and_b32_e32 v3, 3, v2
	v_and_b32_e32 v4, 0x80000000, v4
	s_delay_alu instid0(VALU_DEP_2) | instskip(NEXT) | instid1(VALU_DEP_1)
	v_clz_i32_u32_e32 v5, v3
	v_min_u32_e32 v5, 32, v5
	s_delay_alu instid0(VALU_DEP_1) | instskip(SKIP_1) | instid1(VALU_DEP_2)
	v_subrev_nc_u32_e32 v6, 29, v5
	v_sub_nc_u32_e32 v5, 30, v5
	v_lshlrev_b32_e32 v6, v6, v2
	v_bfe_u32 v2, v2, 2, 5
	s_delay_alu instid0(VALU_DEP_2) | instskip(NEXT) | instid1(VALU_DEP_2)
	v_and_b32_e32 v6, 3, v6
	v_cmp_eq_u32_e32 vcc_lo, 0, v2
	s_delay_alu instid0(VALU_DEP_2) | instskip(NEXT) | instid1(VALU_DEP_1)
	v_dual_cndmask_b32 v2, v2, v5 :: v_dual_cndmask_b32 v3, v3, v6
	v_lshl_add_u32 v2, v2, 23, 0x37800000
	s_delay_alu instid0(VALU_DEP_2) | instskip(NEXT) | instid1(VALU_DEP_1)
	v_lshlrev_b32_e32 v3, 21, v3
	v_or3_b32 v2, v4, v2, v3
	s_delay_alu instid0(VALU_DEP_1)
	v_cvt_f64_f32_e32 v[2:3], v2
.LBB320_438:
	s_or_b32 exec_lo, exec_lo, s0
	s_mov_b32 s0, 0
	s_branch .LBB320_442
.LBB320_439:
	s_mov_b32 s1, -1
                                        ; implicit-def: $vgpr2_vgpr3
	s_branch .LBB320_448
.LBB320_440:
	s_mov_b32 s0, -1
                                        ; implicit-def: $vgpr2_vgpr3
	s_branch .LBB320_445
.LBB320_441:
	s_mov_b32 s0, -1
                                        ; implicit-def: $vgpr2_vgpr3
.LBB320_442:
	s_delay_alu instid0(SALU_CYCLE_1)
	s_and_b32 vcc_lo, exec_lo, s0
	s_cbranch_vccz .LBB320_444
; %bb.443:
	global_load_u8 v2, v[0:1], off
	s_waitcnt vmcnt(0)
	v_lshlrev_b32_e32 v2, 24, v2
	s_delay_alu instid0(VALU_DEP_1) | instskip(NEXT) | instid1(VALU_DEP_1)
	v_and_b32_e32 v3, 0x7f000000, v2
	v_clz_i32_u32_e32 v4, v3
	v_add_nc_u32_e32 v6, 0x1000000, v3
	v_cmp_ne_u32_e32 vcc_lo, 0, v3
	s_delay_alu instid0(VALU_DEP_3) | instskip(NEXT) | instid1(VALU_DEP_1)
	v_min_u32_e32 v4, 32, v4
	v_sub_nc_u32_e64 v4, v4, 4 clamp
	s_delay_alu instid0(VALU_DEP_1) | instskip(SKIP_1) | instid1(VALU_DEP_2)
	v_lshlrev_b32_e32 v5, v4, v3
	v_lshlrev_b32_e32 v4, 23, v4
	v_lshrrev_b32_e32 v5, 4, v5
	s_delay_alu instid0(VALU_DEP_1) | instskip(SKIP_1) | instid1(VALU_DEP_2)
	v_sub_nc_u32_e32 v4, v5, v4
	v_ashrrev_i32_e32 v5, 8, v6
	v_add_nc_u32_e32 v4, 0x3c000000, v4
	s_delay_alu instid0(VALU_DEP_1) | instskip(NEXT) | instid1(VALU_DEP_1)
	v_and_or_b32 v4, 0x7f800000, v5, v4
	v_cndmask_b32_e32 v3, 0, v4, vcc_lo
	s_delay_alu instid0(VALU_DEP_1) | instskip(NEXT) | instid1(VALU_DEP_1)
	v_and_or_b32 v2, 0x80000000, v2, v3
	v_cvt_f64_f32_e32 v[2:3], v2
.LBB320_444:
	s_mov_b32 s0, 0
.LBB320_445:
	s_delay_alu instid0(SALU_CYCLE_1)
	s_and_not1_b32 vcc_lo, exec_lo, s0
	s_cbranch_vccnz .LBB320_447
; %bb.446:
	global_load_u8 v2, v[0:1], off
	s_waitcnt vmcnt(0)
	v_lshlrev_b32_e32 v3, 25, v2
	v_lshlrev_b16 v2, 8, v2
	s_delay_alu instid0(VALU_DEP_2) | instskip(NEXT) | instid1(VALU_DEP_2)
	v_lshrrev_b32_e32 v4, 4, v3
	v_and_or_b32 v5, 0x7f00, v2, 0.5
	v_bfe_i32 v2, v2, 0, 16
	s_delay_alu instid0(VALU_DEP_3) | instskip(NEXT) | instid1(VALU_DEP_1)
	v_or_b32_e32 v4, 0x70000000, v4
	v_dual_add_f32 v5, -0.5, v5 :: v_dual_mul_f32 v4, 0x7800000, v4
	v_cmp_gt_u32_e32 vcc_lo, 0x8000000, v3
	s_delay_alu instid0(VALU_DEP_2) | instskip(NEXT) | instid1(VALU_DEP_1)
	v_cndmask_b32_e32 v3, v4, v5, vcc_lo
	v_and_or_b32 v2, 0x80000000, v2, v3
	s_delay_alu instid0(VALU_DEP_1)
	v_cvt_f64_f32_e32 v[2:3], v2
.LBB320_447:
	s_mov_b32 s1, 0
	s_mov_b32 s0, -1
.LBB320_448:
	s_and_not1_b32 vcc_lo, exec_lo, s1
	s_cbranch_vccnz .LBB320_459
; %bb.449:
	v_cmp_lt_i16_e32 vcc_lo, 14, v10
	s_cbranch_vccz .LBB320_452
; %bb.450:
	v_cmp_eq_u16_e32 vcc_lo, 15, v10
	s_cbranch_vccz .LBB320_453
; %bb.451:
	global_load_u16 v2, v[0:1], off
	s_mov_b32 s0, -1
	s_mov_b32 s19, 0
	s_waitcnt vmcnt(0)
	v_lshlrev_b32_e32 v2, 16, v2
	s_delay_alu instid0(VALU_DEP_1)
	v_cvt_f64_f32_e32 v[2:3], v2
	s_branch .LBB320_454
.LBB320_452:
	s_mov_b32 s1, -1
                                        ; implicit-def: $vgpr2_vgpr3
	s_branch .LBB320_455
.LBB320_453:
	s_mov_b32 s19, -1
                                        ; implicit-def: $vgpr2_vgpr3
.LBB320_454:
	s_mov_b32 s1, 0
.LBB320_455:
	s_delay_alu instid0(SALU_CYCLE_1)
	s_and_b32 vcc_lo, exec_lo, s1
	s_cbranch_vccz .LBB320_459
; %bb.456:
	v_cmp_eq_u16_e32 vcc_lo, 11, v10
	s_cbranch_vccz .LBB320_458
; %bb.457:
	global_load_u8 v2, v[0:1], off
	s_mov_b32 s19, 0
	s_mov_b32 s0, -1
	s_waitcnt vmcnt(0)
	v_cmp_ne_u16_e32 vcc_lo, 0, v2
	v_mov_b32_e32 v2, 0
	v_cndmask_b32_e64 v3, 0, 0x3ff00000, vcc_lo
	s_branch .LBB320_459
.LBB320_458:
	s_mov_b32 s19, -1
                                        ; implicit-def: $vgpr2_vgpr3
.LBB320_459:
	s_branch .LBB320_261
.LBB320_460:
	v_cmp_gt_i16_e32 vcc_lo, 5, v10
	s_cbranch_vccnz .LBB320_465
; %bb.461:
	v_cmp_gt_i16_e32 vcc_lo, 8, v10
	s_cbranch_vccnz .LBB320_466
; %bb.462:
	;; [unrolled: 3-line block ×3, first 2 shown]
	v_cmp_lt_i16_e32 vcc_lo, 9, v10
	s_cbranch_vccz .LBB320_468
; %bb.464:
	global_load_b64 v[2:3], v[0:1], off
	s_mov_b32 s0, 0
	s_branch .LBB320_469
.LBB320_465:
	s_mov_b32 s0, -1
                                        ; implicit-def: $vgpr2_vgpr3
	s_branch .LBB320_487
.LBB320_466:
	s_mov_b32 s0, -1
                                        ; implicit-def: $vgpr2_vgpr3
	s_branch .LBB320_475
.LBB320_467:
	s_mov_b32 s0, -1
                                        ; implicit-def: $vgpr2_vgpr3
	s_branch .LBB320_472
.LBB320_468:
	s_mov_b32 s0, -1
                                        ; implicit-def: $vgpr2_vgpr3
.LBB320_469:
	s_delay_alu instid0(SALU_CYCLE_1)
	s_and_not1_b32 vcc_lo, exec_lo, s0
	s_cbranch_vccnz .LBB320_471
; %bb.470:
	global_load_b32 v2, v[0:1], off
	s_waitcnt vmcnt(0)
	v_cvt_f64_f32_e32 v[2:3], v2
.LBB320_471:
	s_mov_b32 s0, 0
.LBB320_472:
	s_delay_alu instid0(SALU_CYCLE_1)
	s_and_not1_b32 vcc_lo, exec_lo, s0
	s_cbranch_vccnz .LBB320_474
; %bb.473:
	global_load_b32 v2, v[0:1], off
	s_waitcnt vmcnt(0)
	v_cvt_f32_f16_e32 v2, v2
	s_delay_alu instid0(VALU_DEP_1)
	v_cvt_f64_f32_e32 v[2:3], v2
.LBB320_474:
	s_mov_b32 s0, 0
.LBB320_475:
	s_delay_alu instid0(SALU_CYCLE_1)
	s_and_not1_b32 vcc_lo, exec_lo, s0
	s_cbranch_vccnz .LBB320_486
; %bb.476:
	v_cmp_gt_i16_e32 vcc_lo, 6, v10
	s_cbranch_vccnz .LBB320_479
; %bb.477:
	v_cmp_lt_i16_e32 vcc_lo, 6, v10
	s_cbranch_vccz .LBB320_480
; %bb.478:
	global_load_b64 v[2:3], v[0:1], off
	s_mov_b32 s0, 0
	s_branch .LBB320_481
.LBB320_479:
	s_mov_b32 s0, -1
                                        ; implicit-def: $vgpr2_vgpr3
	s_branch .LBB320_484
.LBB320_480:
	s_mov_b32 s0, -1
                                        ; implicit-def: $vgpr2_vgpr3
.LBB320_481:
	s_delay_alu instid0(SALU_CYCLE_1)
	s_and_not1_b32 vcc_lo, exec_lo, s0
	s_cbranch_vccnz .LBB320_483
; %bb.482:
	global_load_b32 v2, v[0:1], off
	s_waitcnt vmcnt(0)
	v_cvt_f64_f32_e32 v[2:3], v2
.LBB320_483:
	s_mov_b32 s0, 0
.LBB320_484:
	s_delay_alu instid0(SALU_CYCLE_1)
	s_and_not1_b32 vcc_lo, exec_lo, s0
	s_cbranch_vccnz .LBB320_486
; %bb.485:
	global_load_u16 v2, v[0:1], off
	s_waitcnt vmcnt(0)
	v_cvt_f32_f16_e32 v2, v2
	s_delay_alu instid0(VALU_DEP_1)
	v_cvt_f64_f32_e32 v[2:3], v2
.LBB320_486:
	s_mov_b32 s0, 0
.LBB320_487:
	s_delay_alu instid0(SALU_CYCLE_1)
	s_and_not1_b32 vcc_lo, exec_lo, s0
	s_cbranch_vccnz .LBB320_507
; %bb.488:
	v_cmp_gt_i16_e32 vcc_lo, 2, v10
	s_cbranch_vccnz .LBB320_492
; %bb.489:
	v_cmp_gt_i16_e32 vcc_lo, 3, v10
	s_cbranch_vccnz .LBB320_493
; %bb.490:
	v_cmp_lt_i16_e32 vcc_lo, 3, v10
	s_cbranch_vccz .LBB320_494
; %bb.491:
	global_load_b64 v[2:3], v[0:1], off
	s_mov_b32 s0, 0
	s_waitcnt vmcnt(0)
	v_cvt_f64_i32_e32 v[3:4], v3
	v_cvt_f64_u32_e32 v[5:6], v2
	s_delay_alu instid0(VALU_DEP_2) | instskip(NEXT) | instid1(VALU_DEP_1)
	v_ldexp_f64 v[3:4], v[3:4], 32
	v_add_f64 v[2:3], v[3:4], v[5:6]
	s_branch .LBB320_495
.LBB320_492:
	s_mov_b32 s0, -1
                                        ; implicit-def: $vgpr2_vgpr3
	s_branch .LBB320_501
.LBB320_493:
	s_mov_b32 s0, -1
                                        ; implicit-def: $vgpr2_vgpr3
	s_branch .LBB320_498
.LBB320_494:
	s_mov_b32 s0, -1
                                        ; implicit-def: $vgpr2_vgpr3
.LBB320_495:
	s_delay_alu instid0(SALU_CYCLE_1)
	s_and_not1_b32 vcc_lo, exec_lo, s0
	s_cbranch_vccnz .LBB320_497
; %bb.496:
	global_load_b32 v2, v[0:1], off
	s_waitcnt vmcnt(0)
	v_cvt_f64_i32_e32 v[2:3], v2
.LBB320_497:
	s_mov_b32 s0, 0
.LBB320_498:
	s_delay_alu instid0(SALU_CYCLE_1)
	s_and_not1_b32 vcc_lo, exec_lo, s0
	s_cbranch_vccnz .LBB320_500
; %bb.499:
	global_load_i16 v2, v[0:1], off
	s_waitcnt vmcnt(0)
	v_cvt_f64_i32_e32 v[2:3], v2
.LBB320_500:
	s_mov_b32 s0, 0
.LBB320_501:
	s_delay_alu instid0(SALU_CYCLE_1)
	s_and_not1_b32 vcc_lo, exec_lo, s0
	s_cbranch_vccnz .LBB320_507
; %bb.502:
	v_cmp_lt_i16_e32 vcc_lo, 0, v10
	s_mov_b32 s0, 0
	s_cbranch_vccz .LBB320_504
; %bb.503:
	global_load_i8 v2, v[0:1], off
	s_waitcnt vmcnt(0)
	v_cvt_f64_i32_e32 v[2:3], v2
	s_branch .LBB320_505
.LBB320_504:
	s_mov_b32 s0, -1
                                        ; implicit-def: $vgpr2_vgpr3
.LBB320_505:
	s_delay_alu instid0(SALU_CYCLE_1)
	s_and_not1_b32 vcc_lo, exec_lo, s0
	s_cbranch_vccnz .LBB320_507
; %bb.506:
	global_load_u8 v0, v[0:1], off
	s_waitcnt vmcnt(0)
	v_cvt_f64_u32_e32 v[2:3], v0
.LBB320_507:
	s_branch .LBB320_262
.LBB320_508:
	s_mov_b32 s1, 0
	s_mov_b32 s0, s15
.LBB320_509:
                                        ; implicit-def: $vgpr14
.LBB320_510:
	s_and_not1_b32 s20, s15, exec_lo
	s_and_b32 s0, s0, exec_lo
	s_and_not1_b32 s22, s17, exec_lo
	s_and_b32 s19, s19, exec_lo
	s_or_b32 s20, s20, s0
	s_or_b32 s19, s22, s19
	s_or_not1_b32 s23, s1, exec_lo
.LBB320_511:
	s_or_b32 exec_lo, exec_lo, s21
	s_mov_b32 s1, 0
	s_mov_b32 s22, 0
	;; [unrolled: 1-line block ×3, first 2 shown]
                                        ; implicit-def: $vgpr0_vgpr1
                                        ; implicit-def: $vgpr2_vgpr3
	s_and_saveexec_b32 s21, s23
	s_cbranch_execz .LBB320_858
; %bb.512:
	s_mov_b32 s0, -1
	s_mov_b32 s23, s19
	s_mov_b32 s24, s20
	s_mov_b32 s22, exec_lo
	v_cmpx_gt_i32_e64 s16, v14
	s_cbranch_execz .LBB320_772
; %bb.513:
	v_mul_lo_u32 v0, v14, s3
	v_cmp_gt_i16_e32 vcc_lo, 11, v10
	s_delay_alu instid0(VALU_DEP_2) | instskip(SKIP_1) | instid1(VALU_DEP_1)
	v_ashrrev_i32_e32 v1, 31, v0
	v_add_co_u32 v0, s0, s6, v0
	v_add_co_ci_u32_e64 v1, s0, s7, v1, s0
	s_cbranch_vccnz .LBB320_520
; %bb.514:
	v_cmp_lt_i16_e32 vcc_lo, 25, v10
	s_cbranch_vccz .LBB320_521
; %bb.515:
	v_cmp_lt_i16_e32 vcc_lo, 28, v10
	s_cbranch_vccz .LBB320_522
	;; [unrolled: 3-line block ×4, first 2 shown]
; %bb.518:
	v_cmp_eq_u16_e32 vcc_lo, 46, v10
	s_cbranch_vccz .LBB320_529
; %bb.519:
	global_load_b32 v2, v[0:1], off
	s_mov_b32 s0, -1
	s_mov_b32 s23, 0
	s_waitcnt vmcnt(0)
	v_lshlrev_b32_e32 v2, 16, v2
	s_delay_alu instid0(VALU_DEP_1)
	v_cvt_f64_f32_e32 v[2:3], v2
	s_branch .LBB320_531
.LBB320_520:
	s_mov_b32 s1, -1
	s_mov_b32 s0, 0
	s_mov_b32 s23, s19
                                        ; implicit-def: $vgpr2_vgpr3
	s_branch .LBB320_596
.LBB320_521:
	s_mov_b32 s1, -1
	s_mov_b32 s0, 0
	s_mov_b32 s23, s19
                                        ; implicit-def: $vgpr2_vgpr3
	s_branch .LBB320_562
.LBB320_522:
	s_mov_b32 s1, -1
	s_mov_b32 s0, 0
	s_mov_b32 s23, s19
                                        ; implicit-def: $vgpr2_vgpr3
	s_branch .LBB320_541
.LBB320_523:
	s_mov_b32 s1, -1
	s_mov_b32 s0, 0
	s_mov_b32 s23, s19
                                        ; implicit-def: $vgpr2_vgpr3
	s_branch .LBB320_536
.LBB320_524:
	s_or_saveexec_b32 s22, s22
                                        ; implicit-def: $sgpr23
	s_delay_alu instid0(SALU_CYCLE_1)
	s_xor_b32 exec_lo, exec_lo, s22
	s_cbranch_execz .LBB320_308
.LBB320_525:
	v_add_f32_e64 v3, 0x46000000, |v2|
	s_and_not1_b32 s20, s20, exec_lo
	s_mov_b32 s23, 0
	s_delay_alu instid0(VALU_DEP_1) | instskip(NEXT) | instid1(VALU_DEP_1)
	v_and_b32_e32 v3, 0xff, v3
	v_cmp_ne_u32_e32 vcc_lo, 0, v3
	s_and_b32 s24, vcc_lo, exec_lo
	s_delay_alu instid0(SALU_CYCLE_1)
	s_or_b32 s20, s20, s24
	s_or_b32 exec_lo, exec_lo, s22
	v_mov_b32_e32 v7, s23
	s_and_saveexec_b32 s22, s20
	s_cbranch_execnz .LBB320_309
	s_branch .LBB320_310
.LBB320_526:
	s_mov_b32 s1, -1
	s_mov_b32 s0, 0
	s_mov_b32 s23, s19
	s_branch .LBB320_530
.LBB320_527:
	s_or_saveexec_b32 s22, s22
                                        ; implicit-def: $sgpr23
	s_delay_alu instid0(SALU_CYCLE_1)
	s_xor_b32 exec_lo, exec_lo, s22
	s_cbranch_execz .LBB320_321
.LBB320_528:
	v_add_f32_e64 v3, 0x42800000, |v2|
	s_and_not1_b32 s20, s20, exec_lo
	s_mov_b32 s23, 0
	s_delay_alu instid0(VALU_DEP_1) | instskip(NEXT) | instid1(VALU_DEP_1)
	v_and_b32_e32 v3, 0xff, v3
	v_cmp_ne_u32_e32 vcc_lo, 0, v3
	s_and_b32 s24, vcc_lo, exec_lo
	s_delay_alu instid0(SALU_CYCLE_1)
	s_or_b32 s20, s20, s24
	s_or_b32 exec_lo, exec_lo, s22
	v_mov_b32_e32 v7, s23
	s_and_saveexec_b32 s22, s20
	s_cbranch_execnz .LBB320_322
	s_branch .LBB320_323
.LBB320_529:
	s_mov_b32 s23, -1
	s_mov_b32 s0, 0
.LBB320_530:
                                        ; implicit-def: $vgpr2_vgpr3
.LBB320_531:
	s_and_b32 vcc_lo, exec_lo, s1
	s_cbranch_vccz .LBB320_535
; %bb.532:
	v_cmp_eq_u16_e32 vcc_lo, 44, v10
	s_cbranch_vccz .LBB320_534
; %bb.533:
	global_load_u8 v4, v[0:1], off
	s_mov_b32 s23, 0
	s_mov_b32 s0, -1
	s_waitcnt vmcnt(0)
	v_cmp_ne_u32_e32 vcc_lo, 0xff, v4
	v_lshlrev_b32_e32 v2, 23, v4
	s_delay_alu instid0(VALU_DEP_1) | instskip(NEXT) | instid1(VALU_DEP_1)
	v_cvt_f64_f32_e32 v[2:3], v2
	v_cndmask_b32_e32 v3, 0x7ff80000, v3, vcc_lo
	s_delay_alu instid0(VALU_DEP_2) | instskip(SKIP_1) | instid1(VALU_DEP_3)
	v_cndmask_b32_e32 v2, 0x20000000, v2, vcc_lo
	v_cmp_ne_u32_e32 vcc_lo, 0, v4
	v_cndmask_b32_e32 v3, 0x38000000, v3, vcc_lo
	s_delay_alu instid0(VALU_DEP_3)
	v_cndmask_b32_e32 v2, 0, v2, vcc_lo
	s_branch .LBB320_535
.LBB320_534:
	s_mov_b32 s23, -1
                                        ; implicit-def: $vgpr2_vgpr3
.LBB320_535:
	s_mov_b32 s1, 0
.LBB320_536:
	s_delay_alu instid0(SALU_CYCLE_1)
	s_and_b32 vcc_lo, exec_lo, s1
	s_cbranch_vccz .LBB320_540
; %bb.537:
	v_cmp_eq_u16_e32 vcc_lo, 29, v10
	s_cbranch_vccz .LBB320_539
; %bb.538:
	global_load_b64 v[2:3], v[0:1], off
	s_mov_b32 s0, -1
	s_mov_b32 s23, 0
	s_mov_b32 s1, 0
	s_waitcnt vmcnt(0)
	v_cvt_f64_u32_e32 v[3:4], v3
	v_cvt_f64_u32_e32 v[5:6], v2
	s_delay_alu instid0(VALU_DEP_2) | instskip(NEXT) | instid1(VALU_DEP_1)
	v_ldexp_f64 v[3:4], v[3:4], 32
	v_add_f64 v[2:3], v[3:4], v[5:6]
	s_branch .LBB320_541
.LBB320_539:
	s_mov_b32 s23, -1
                                        ; implicit-def: $vgpr2_vgpr3
.LBB320_540:
	s_mov_b32 s1, 0
.LBB320_541:
	s_delay_alu instid0(SALU_CYCLE_1)
	s_and_b32 vcc_lo, exec_lo, s1
	s_cbranch_vccz .LBB320_561
; %bb.542:
	v_cmp_gt_i16_e32 vcc_lo, 27, v10
	s_cbranch_vccnz .LBB320_545
; %bb.543:
	v_cmp_lt_i16_e32 vcc_lo, 27, v10
	s_cbranch_vccz .LBB320_546
; %bb.544:
	global_load_b32 v2, v[0:1], off
	s_mov_b32 s0, 0
	s_waitcnt vmcnt(0)
	v_cvt_f64_u32_e32 v[2:3], v2
	s_branch .LBB320_547
.LBB320_545:
	s_mov_b32 s0, -1
                                        ; implicit-def: $vgpr2_vgpr3
	s_branch .LBB320_550
.LBB320_546:
	s_mov_b32 s0, -1
                                        ; implicit-def: $vgpr2_vgpr3
.LBB320_547:
	s_delay_alu instid0(SALU_CYCLE_1)
	s_and_not1_b32 vcc_lo, exec_lo, s0
	s_cbranch_vccnz .LBB320_549
; %bb.548:
	global_load_u16 v2, v[0:1], off
	s_waitcnt vmcnt(0)
	v_cvt_f64_u32_e32 v[2:3], v2
.LBB320_549:
	s_mov_b32 s0, 0
.LBB320_550:
	s_delay_alu instid0(SALU_CYCLE_1)
	s_and_not1_b32 vcc_lo, exec_lo, s0
	s_cbranch_vccnz .LBB320_560
; %bb.551:
	global_load_u8 v4, v[0:1], off
	s_mov_b32 s24, 0
	s_mov_b32 s25, exec_lo
                                        ; implicit-def: $sgpr0_sgpr1
	s_waitcnt vmcnt(0)
	v_cmpx_lt_i16_e32 0x7f, v4
	s_xor_b32 s25, exec_lo, s25
	s_cbranch_execz .LBB320_555
; %bb.552:
	s_mov_b32 s26, -1
	s_mov_b32 s24, exec_lo
                                        ; implicit-def: $sgpr0_sgpr1
	v_cmpx_eq_u16_e32 0x80, v4
; %bb.553:
	s_mov_b32 s1, 0x7ff80000
	s_brev_b32 s0, 4
	s_xor_b32 s26, exec_lo, -1
; %bb.554:
	s_or_b32 exec_lo, exec_lo, s24
	s_delay_alu instid0(SALU_CYCLE_1)
	s_and_b32 s24, s26, exec_lo
.LBB320_555:
	s_or_saveexec_b32 s25, s25
	v_dual_mov_b32 v3, s1 :: v_dual_mov_b32 v2, s0
	s_xor_b32 exec_lo, exec_lo, s25
; %bb.556:
	v_cmp_ne_u16_e32 vcc_lo, 0, v4
	v_mov_b32_e32 v2, 0
	v_mov_b32_e32 v3, 0
	s_and_not1_b32 s0, s24, exec_lo
	s_and_b32 s1, vcc_lo, exec_lo
	s_delay_alu instid0(SALU_CYCLE_1)
	s_or_b32 s24, s0, s1
; %bb.557:
	s_or_b32 exec_lo, exec_lo, s25
	s_and_saveexec_b32 s0, s24
	s_cbranch_execz .LBB320_559
; %bb.558:
	v_and_b32_e32 v2, 0xffff, v4
	v_lshlrev_b32_e32 v4, 24, v4
	s_delay_alu instid0(VALU_DEP_2) | instskip(NEXT) | instid1(VALU_DEP_2)
	v_and_b32_e32 v3, 7, v2
	v_and_b32_e32 v4, 0x80000000, v4
	s_delay_alu instid0(VALU_DEP_2) | instskip(NEXT) | instid1(VALU_DEP_1)
	v_clz_i32_u32_e32 v5, v3
	v_min_u32_e32 v5, 32, v5
	s_delay_alu instid0(VALU_DEP_1) | instskip(SKIP_1) | instid1(VALU_DEP_2)
	v_subrev_nc_u32_e32 v6, 28, v5
	v_sub_nc_u32_e32 v5, 29, v5
	v_lshlrev_b32_e32 v6, v6, v2
	v_bfe_u32 v2, v2, 3, 4
	s_delay_alu instid0(VALU_DEP_2) | instskip(NEXT) | instid1(VALU_DEP_2)
	v_and_b32_e32 v6, 7, v6
	v_cmp_eq_u32_e32 vcc_lo, 0, v2
	s_delay_alu instid0(VALU_DEP_2) | instskip(NEXT) | instid1(VALU_DEP_1)
	v_dual_cndmask_b32 v2, v2, v5 :: v_dual_cndmask_b32 v3, v3, v6
	v_lshl_add_u32 v2, v2, 23, 0x3b800000
	s_delay_alu instid0(VALU_DEP_2) | instskip(NEXT) | instid1(VALU_DEP_1)
	v_lshlrev_b32_e32 v3, 20, v3
	v_or3_b32 v2, v4, v2, v3
	s_delay_alu instid0(VALU_DEP_1)
	v_cvt_f64_f32_e32 v[2:3], v2
.LBB320_559:
	s_or_b32 exec_lo, exec_lo, s0
.LBB320_560:
	s_mov_b32 s0, -1
.LBB320_561:
	s_mov_b32 s1, 0
.LBB320_562:
	s_delay_alu instid0(SALU_CYCLE_1)
	s_and_b32 vcc_lo, exec_lo, s1
	s_cbranch_vccz .LBB320_595
; %bb.563:
	v_cmp_lt_i16_e32 vcc_lo, 22, v10
	s_cbranch_vccz .LBB320_575
; %bb.564:
	v_cmp_gt_i16_e32 vcc_lo, 24, v10
	s_cbranch_vccnz .LBB320_576
; %bb.565:
	v_cmp_lt_i16_e32 vcc_lo, 24, v10
	s_cbranch_vccz .LBB320_577
; %bb.566:
	global_load_u8 v4, v[0:1], off
	s_mov_b32 s24, 0
	s_mov_b32 s25, exec_lo
                                        ; implicit-def: $sgpr0_sgpr1
	s_waitcnt vmcnt(0)
	v_cmpx_lt_i16_e32 0x7f, v4
	s_xor_b32 s25, exec_lo, s25
	s_cbranch_execz .LBB320_570
; %bb.567:
	s_mov_b32 s26, -1
	s_mov_b32 s24, exec_lo
                                        ; implicit-def: $sgpr0_sgpr1
	v_cmpx_eq_u16_e32 0x80, v4
; %bb.568:
	s_mov_b32 s1, 0x7ff80000
	s_brev_b32 s0, 4
	s_xor_b32 s26, exec_lo, -1
; %bb.569:
	s_or_b32 exec_lo, exec_lo, s24
	s_delay_alu instid0(SALU_CYCLE_1)
	s_and_b32 s24, s26, exec_lo
.LBB320_570:
	s_or_saveexec_b32 s25, s25
	v_dual_mov_b32 v3, s1 :: v_dual_mov_b32 v2, s0
	s_xor_b32 exec_lo, exec_lo, s25
; %bb.571:
	v_cmp_ne_u16_e32 vcc_lo, 0, v4
	v_mov_b32_e32 v2, 0
	v_mov_b32_e32 v3, 0
	s_and_not1_b32 s0, s24, exec_lo
	s_and_b32 s1, vcc_lo, exec_lo
	s_delay_alu instid0(SALU_CYCLE_1)
	s_or_b32 s24, s0, s1
; %bb.572:
	s_or_b32 exec_lo, exec_lo, s25
	s_and_saveexec_b32 s0, s24
	s_cbranch_execz .LBB320_574
; %bb.573:
	v_and_b32_e32 v2, 0xffff, v4
	v_lshlrev_b32_e32 v4, 24, v4
	s_delay_alu instid0(VALU_DEP_2) | instskip(NEXT) | instid1(VALU_DEP_2)
	v_and_b32_e32 v3, 3, v2
	v_and_b32_e32 v4, 0x80000000, v4
	s_delay_alu instid0(VALU_DEP_2) | instskip(NEXT) | instid1(VALU_DEP_1)
	v_clz_i32_u32_e32 v5, v3
	v_min_u32_e32 v5, 32, v5
	s_delay_alu instid0(VALU_DEP_1) | instskip(SKIP_1) | instid1(VALU_DEP_2)
	v_subrev_nc_u32_e32 v6, 29, v5
	v_sub_nc_u32_e32 v5, 30, v5
	v_lshlrev_b32_e32 v6, v6, v2
	v_bfe_u32 v2, v2, 2, 5
	s_delay_alu instid0(VALU_DEP_2) | instskip(NEXT) | instid1(VALU_DEP_2)
	v_and_b32_e32 v6, 3, v6
	v_cmp_eq_u32_e32 vcc_lo, 0, v2
	s_delay_alu instid0(VALU_DEP_2) | instskip(NEXT) | instid1(VALU_DEP_1)
	v_dual_cndmask_b32 v2, v2, v5 :: v_dual_cndmask_b32 v3, v3, v6
	v_lshl_add_u32 v2, v2, 23, 0x37800000
	s_delay_alu instid0(VALU_DEP_2) | instskip(NEXT) | instid1(VALU_DEP_1)
	v_lshlrev_b32_e32 v3, 21, v3
	v_or3_b32 v2, v4, v2, v3
	s_delay_alu instid0(VALU_DEP_1)
	v_cvt_f64_f32_e32 v[2:3], v2
.LBB320_574:
	s_or_b32 exec_lo, exec_lo, s0
	s_mov_b32 s0, 0
	s_branch .LBB320_578
.LBB320_575:
	s_mov_b32 s1, -1
                                        ; implicit-def: $vgpr2_vgpr3
	s_branch .LBB320_584
.LBB320_576:
	s_mov_b32 s0, -1
                                        ; implicit-def: $vgpr2_vgpr3
	s_branch .LBB320_581
.LBB320_577:
	s_mov_b32 s0, -1
                                        ; implicit-def: $vgpr2_vgpr3
.LBB320_578:
	s_delay_alu instid0(SALU_CYCLE_1)
	s_and_b32 vcc_lo, exec_lo, s0
	s_cbranch_vccz .LBB320_580
; %bb.579:
	global_load_u8 v2, v[0:1], off
	s_waitcnt vmcnt(0)
	v_lshlrev_b32_e32 v2, 24, v2
	s_delay_alu instid0(VALU_DEP_1) | instskip(NEXT) | instid1(VALU_DEP_1)
	v_and_b32_e32 v3, 0x7f000000, v2
	v_clz_i32_u32_e32 v4, v3
	v_add_nc_u32_e32 v6, 0x1000000, v3
	v_cmp_ne_u32_e32 vcc_lo, 0, v3
	s_delay_alu instid0(VALU_DEP_3) | instskip(NEXT) | instid1(VALU_DEP_1)
	v_min_u32_e32 v4, 32, v4
	v_sub_nc_u32_e64 v4, v4, 4 clamp
	s_delay_alu instid0(VALU_DEP_1) | instskip(SKIP_1) | instid1(VALU_DEP_2)
	v_lshlrev_b32_e32 v5, v4, v3
	v_lshlrev_b32_e32 v4, 23, v4
	v_lshrrev_b32_e32 v5, 4, v5
	s_delay_alu instid0(VALU_DEP_1) | instskip(SKIP_1) | instid1(VALU_DEP_2)
	v_sub_nc_u32_e32 v4, v5, v4
	v_ashrrev_i32_e32 v5, 8, v6
	v_add_nc_u32_e32 v4, 0x3c000000, v4
	s_delay_alu instid0(VALU_DEP_1) | instskip(NEXT) | instid1(VALU_DEP_1)
	v_and_or_b32 v4, 0x7f800000, v5, v4
	v_cndmask_b32_e32 v3, 0, v4, vcc_lo
	s_delay_alu instid0(VALU_DEP_1) | instskip(NEXT) | instid1(VALU_DEP_1)
	v_and_or_b32 v2, 0x80000000, v2, v3
	v_cvt_f64_f32_e32 v[2:3], v2
.LBB320_580:
	s_mov_b32 s0, 0
.LBB320_581:
	s_delay_alu instid0(SALU_CYCLE_1)
	s_and_not1_b32 vcc_lo, exec_lo, s0
	s_cbranch_vccnz .LBB320_583
; %bb.582:
	global_load_u8 v2, v[0:1], off
	s_waitcnt vmcnt(0)
	v_lshlrev_b32_e32 v3, 25, v2
	v_lshlrev_b16 v2, 8, v2
	s_delay_alu instid0(VALU_DEP_2) | instskip(NEXT) | instid1(VALU_DEP_2)
	v_lshrrev_b32_e32 v4, 4, v3
	v_and_or_b32 v5, 0x7f00, v2, 0.5
	v_bfe_i32 v2, v2, 0, 16
	s_delay_alu instid0(VALU_DEP_3) | instskip(NEXT) | instid1(VALU_DEP_1)
	v_or_b32_e32 v4, 0x70000000, v4
	v_dual_add_f32 v5, -0.5, v5 :: v_dual_mul_f32 v4, 0x7800000, v4
	v_cmp_gt_u32_e32 vcc_lo, 0x8000000, v3
	s_delay_alu instid0(VALU_DEP_2) | instskip(NEXT) | instid1(VALU_DEP_1)
	v_cndmask_b32_e32 v3, v4, v5, vcc_lo
	v_and_or_b32 v2, 0x80000000, v2, v3
	s_delay_alu instid0(VALU_DEP_1)
	v_cvt_f64_f32_e32 v[2:3], v2
.LBB320_583:
	s_mov_b32 s1, 0
	s_mov_b32 s0, -1
.LBB320_584:
	s_and_not1_b32 vcc_lo, exec_lo, s1
	s_cbranch_vccnz .LBB320_595
; %bb.585:
	v_cmp_lt_i16_e32 vcc_lo, 14, v10
	s_cbranch_vccz .LBB320_588
; %bb.586:
	v_cmp_eq_u16_e32 vcc_lo, 15, v10
	s_cbranch_vccz .LBB320_589
; %bb.587:
	global_load_u16 v2, v[0:1], off
	s_mov_b32 s0, -1
	s_mov_b32 s23, 0
	s_waitcnt vmcnt(0)
	v_lshlrev_b32_e32 v2, 16, v2
	s_delay_alu instid0(VALU_DEP_1)
	v_cvt_f64_f32_e32 v[2:3], v2
	s_branch .LBB320_590
.LBB320_588:
	s_mov_b32 s1, -1
                                        ; implicit-def: $vgpr2_vgpr3
	s_branch .LBB320_591
.LBB320_589:
	s_mov_b32 s23, -1
                                        ; implicit-def: $vgpr2_vgpr3
.LBB320_590:
	s_mov_b32 s1, 0
.LBB320_591:
	s_delay_alu instid0(SALU_CYCLE_1)
	s_and_b32 vcc_lo, exec_lo, s1
	s_cbranch_vccz .LBB320_595
; %bb.592:
	v_cmp_eq_u16_e32 vcc_lo, 11, v10
	s_cbranch_vccz .LBB320_594
; %bb.593:
	global_load_u8 v2, v[0:1], off
	s_mov_b32 s23, 0
	s_mov_b32 s0, -1
	s_waitcnt vmcnt(0)
	v_cmp_ne_u16_e32 vcc_lo, 0, v2
	v_mov_b32_e32 v2, 0
	v_cndmask_b32_e64 v3, 0, 0x3ff00000, vcc_lo
	s_branch .LBB320_595
.LBB320_594:
	s_mov_b32 s23, -1
                                        ; implicit-def: $vgpr2_vgpr3
.LBB320_595:
	s_mov_b32 s1, 0
.LBB320_596:
	s_delay_alu instid0(SALU_CYCLE_1)
	s_and_b32 vcc_lo, exec_lo, s1
	s_cbranch_vccz .LBB320_645
; %bb.597:
	v_cmp_gt_i16_e32 vcc_lo, 5, v10
	s_cbranch_vccnz .LBB320_602
; %bb.598:
	v_cmp_gt_i16_e32 vcc_lo, 8, v10
	s_cbranch_vccnz .LBB320_603
	;; [unrolled: 3-line block ×3, first 2 shown]
; %bb.600:
	v_cmp_lt_i16_e32 vcc_lo, 9, v10
	s_cbranch_vccz .LBB320_605
; %bb.601:
	global_load_b64 v[2:3], v[0:1], off
	s_mov_b32 s0, 0
	s_branch .LBB320_606
.LBB320_602:
	s_mov_b32 s0, -1
                                        ; implicit-def: $vgpr2_vgpr3
	s_branch .LBB320_624
.LBB320_603:
	s_mov_b32 s0, -1
                                        ; implicit-def: $vgpr2_vgpr3
	s_branch .LBB320_612
.LBB320_604:
	s_mov_b32 s0, -1
                                        ; implicit-def: $vgpr2_vgpr3
	s_branch .LBB320_609
.LBB320_605:
	s_mov_b32 s0, -1
                                        ; implicit-def: $vgpr2_vgpr3
.LBB320_606:
	s_delay_alu instid0(SALU_CYCLE_1)
	s_and_not1_b32 vcc_lo, exec_lo, s0
	s_cbranch_vccnz .LBB320_608
; %bb.607:
	global_load_b32 v2, v[0:1], off
	s_waitcnt vmcnt(0)
	v_cvt_f64_f32_e32 v[2:3], v2
.LBB320_608:
	s_mov_b32 s0, 0
.LBB320_609:
	s_delay_alu instid0(SALU_CYCLE_1)
	s_and_not1_b32 vcc_lo, exec_lo, s0
	s_cbranch_vccnz .LBB320_611
; %bb.610:
	global_load_b32 v2, v[0:1], off
	s_waitcnt vmcnt(0)
	v_cvt_f32_f16_e32 v2, v2
	s_delay_alu instid0(VALU_DEP_1)
	v_cvt_f64_f32_e32 v[2:3], v2
.LBB320_611:
	s_mov_b32 s0, 0
.LBB320_612:
	s_delay_alu instid0(SALU_CYCLE_1)
	s_and_not1_b32 vcc_lo, exec_lo, s0
	s_cbranch_vccnz .LBB320_623
; %bb.613:
	v_cmp_gt_i16_e32 vcc_lo, 6, v10
	s_cbranch_vccnz .LBB320_616
; %bb.614:
	v_cmp_lt_i16_e32 vcc_lo, 6, v10
	s_cbranch_vccz .LBB320_617
; %bb.615:
	global_load_b64 v[2:3], v[0:1], off
	s_mov_b32 s0, 0
	s_branch .LBB320_618
.LBB320_616:
	s_mov_b32 s0, -1
                                        ; implicit-def: $vgpr2_vgpr3
	s_branch .LBB320_621
.LBB320_617:
	s_mov_b32 s0, -1
                                        ; implicit-def: $vgpr2_vgpr3
.LBB320_618:
	s_delay_alu instid0(SALU_CYCLE_1)
	s_and_not1_b32 vcc_lo, exec_lo, s0
	s_cbranch_vccnz .LBB320_620
; %bb.619:
	global_load_b32 v2, v[0:1], off
	s_waitcnt vmcnt(0)
	v_cvt_f64_f32_e32 v[2:3], v2
.LBB320_620:
	s_mov_b32 s0, 0
.LBB320_621:
	s_delay_alu instid0(SALU_CYCLE_1)
	s_and_not1_b32 vcc_lo, exec_lo, s0
	s_cbranch_vccnz .LBB320_623
; %bb.622:
	global_load_u16 v2, v[0:1], off
	s_waitcnt vmcnt(0)
	v_cvt_f32_f16_e32 v2, v2
	s_delay_alu instid0(VALU_DEP_1)
	v_cvt_f64_f32_e32 v[2:3], v2
.LBB320_623:
	s_mov_b32 s0, 0
.LBB320_624:
	s_delay_alu instid0(SALU_CYCLE_1)
	s_and_not1_b32 vcc_lo, exec_lo, s0
	s_cbranch_vccnz .LBB320_644
; %bb.625:
	v_cmp_gt_i16_e32 vcc_lo, 2, v10
	s_cbranch_vccnz .LBB320_629
; %bb.626:
	v_cmp_gt_i16_e32 vcc_lo, 3, v10
	s_cbranch_vccnz .LBB320_630
; %bb.627:
	v_cmp_lt_i16_e32 vcc_lo, 3, v10
	s_cbranch_vccz .LBB320_631
; %bb.628:
	global_load_b64 v[2:3], v[0:1], off
	s_mov_b32 s0, 0
	s_waitcnt vmcnt(0)
	v_cvt_f64_i32_e32 v[3:4], v3
	v_cvt_f64_u32_e32 v[5:6], v2
	s_delay_alu instid0(VALU_DEP_2) | instskip(NEXT) | instid1(VALU_DEP_1)
	v_ldexp_f64 v[3:4], v[3:4], 32
	v_add_f64 v[2:3], v[3:4], v[5:6]
	s_branch .LBB320_632
.LBB320_629:
	s_mov_b32 s0, -1
                                        ; implicit-def: $vgpr2_vgpr3
	s_branch .LBB320_638
.LBB320_630:
	s_mov_b32 s0, -1
                                        ; implicit-def: $vgpr2_vgpr3
	s_branch .LBB320_635
.LBB320_631:
	s_mov_b32 s0, -1
                                        ; implicit-def: $vgpr2_vgpr3
.LBB320_632:
	s_delay_alu instid0(SALU_CYCLE_1)
	s_and_not1_b32 vcc_lo, exec_lo, s0
	s_cbranch_vccnz .LBB320_634
; %bb.633:
	global_load_b32 v2, v[0:1], off
	s_waitcnt vmcnt(0)
	v_cvt_f64_i32_e32 v[2:3], v2
.LBB320_634:
	s_mov_b32 s0, 0
.LBB320_635:
	s_delay_alu instid0(SALU_CYCLE_1)
	s_and_not1_b32 vcc_lo, exec_lo, s0
	s_cbranch_vccnz .LBB320_637
; %bb.636:
	global_load_i16 v2, v[0:1], off
	s_waitcnt vmcnt(0)
	v_cvt_f64_i32_e32 v[2:3], v2
.LBB320_637:
	s_mov_b32 s0, 0
.LBB320_638:
	s_delay_alu instid0(SALU_CYCLE_1)
	s_and_not1_b32 vcc_lo, exec_lo, s0
	s_cbranch_vccnz .LBB320_644
; %bb.639:
	v_cmp_lt_i16_e32 vcc_lo, 0, v10
	s_mov_b32 s0, 0
	s_cbranch_vccz .LBB320_641
; %bb.640:
	global_load_i8 v2, v[0:1], off
	s_waitcnt vmcnt(0)
	v_cvt_f64_i32_e32 v[2:3], v2
	s_branch .LBB320_642
.LBB320_641:
	s_mov_b32 s0, -1
                                        ; implicit-def: $vgpr2_vgpr3
.LBB320_642:
	s_delay_alu instid0(SALU_CYCLE_1)
	s_and_not1_b32 vcc_lo, exec_lo, s0
	s_cbranch_vccnz .LBB320_644
; %bb.643:
	global_load_u8 v0, v[0:1], off
	s_waitcnt vmcnt(0)
	v_cvt_f64_u32_e32 v[2:3], v0
.LBB320_644:
	s_mov_b32 s0, -1
.LBB320_645:
	s_delay_alu instid0(SALU_CYCLE_1)
	s_and_not1_b32 vcc_lo, exec_lo, s0
	s_cbranch_vccnz .LBB320_653
; %bb.646:
	v_max_f64 v[0:1], s[8:9], s[8:9]
	s_waitcnt vmcnt(0)
	s_delay_alu instid0(VALU_DEP_2) | instskip(SKIP_2) | instid1(VALU_DEP_3)
	v_max_f64 v[4:5], v[2:3], v[2:3]
	v_max_f64 v[6:7], s[10:11], s[10:11]
	v_cmp_u_f64_e32 vcc_lo, v[2:3], v[2:3]
	v_max_f64 v[0:1], v[4:5], v[0:1]
	v_mul_lo_u32 v4, v14, s2
	s_delay_alu instid0(VALU_DEP_1) | instskip(SKIP_1) | instid1(VALU_DEP_1)
	v_ashrrev_i32_e32 v5, 31, v4
	v_add_co_u32 v4, s1, s4, v4
	v_add_co_ci_u32_e64 v5, s1, s5, v5, s1
	v_min_f64 v[0:1], v[0:1], v[6:7]
	v_and_b32_e64 v6, 0xff, s12
	s_delay_alu instid0(VALU_DEP_1) | instskip(NEXT) | instid1(VALU_DEP_3)
	v_cmp_gt_i16_e64 s0, 11, v6
	v_dual_cndmask_b32 v1, v1, v3 :: v_dual_cndmask_b32 v0, v0, v2
	s_delay_alu instid0(VALU_DEP_2)
	s_and_b32 vcc_lo, exec_lo, s0
	s_cbranch_vccnz .LBB320_654
; %bb.647:
	v_cmp_lt_i16_e32 vcc_lo, 25, v6
	s_cbranch_vccz .LBB320_655
; %bb.648:
	v_cmp_lt_i16_e32 vcc_lo, 28, v6
	s_cbranch_vccz .LBB320_656
	;; [unrolled: 3-line block ×4, first 2 shown]
; %bb.651:
	v_cmp_eq_u16_e32 vcc_lo, 46, v6
	s_mov_b32 s24, 0
	s_mov_b32 s0, -1
	s_mov_b32 s1, 0
	s_cbranch_vccz .LBB320_659
; %bb.652:
	v_cvt_f32_f64_e32 v2, v[0:1]
	s_mov_b32 s1, -1
	s_mov_b32 s0, 0
	s_delay_alu instid0(VALU_DEP_1) | instskip(SKIP_1) | instid1(VALU_DEP_2)
	v_bfe_u32 v3, v2, 16, 1
	v_cmp_o_f32_e32 vcc_lo, v2, v2
	v_add3_u32 v3, v2, v3, 0x7fff
	s_delay_alu instid0(VALU_DEP_1) | instskip(NEXT) | instid1(VALU_DEP_1)
	v_lshrrev_b32_e32 v3, 16, v3
	v_cndmask_b32_e32 v2, 0x7fc0, v3, vcc_lo
	global_store_b32 v[4:5], v2, off
	s_branch .LBB320_659
.LBB320_653:
	s_mov_b32 s1, 0
	s_mov_b32 s0, s20
	s_branch .LBB320_770
.LBB320_654:
	s_mov_b32 s24, -1
	s_mov_b32 s1, 0
	s_mov_b32 s0, s20
	s_branch .LBB320_728
.LBB320_655:
	s_mov_b32 s24, -1
	s_mov_b32 s1, 0
	s_mov_b32 s0, s20
	s_branch .LBB320_686
.LBB320_656:
	s_mov_b32 s24, -1
	s_mov_b32 s1, 0
	s_mov_b32 s0, s20
	s_branch .LBB320_669
.LBB320_657:
	s_mov_b32 s24, -1
	s_mov_b32 s1, 0
	s_mov_b32 s0, s20
	s_branch .LBB320_665
.LBB320_658:
	s_mov_b32 s24, -1
	s_mov_b32 s1, 0
	s_mov_b32 s0, s20
.LBB320_659:
	s_and_b32 vcc_lo, exec_lo, s24
	s_cbranch_vccz .LBB320_664
; %bb.660:
	v_cmp_eq_u16_e32 vcc_lo, 44, v6
	s_mov_b32 s0, -1
	s_cbranch_vccz .LBB320_664
; %bb.661:
	v_cvt_f32_f64_e32 v2, v[0:1]
	v_mov_b32_e32 v3, 0xff
	s_mov_b32 s1, exec_lo
	s_delay_alu instid0(VALU_DEP_2) | instskip(NEXT) | instid1(VALU_DEP_1)
	v_bfe_u32 v7, v2, 23, 8
	v_cmpx_ne_u32_e32 0xff, v7
; %bb.662:
	v_and_b32_e32 v3, 0x400000, v2
	v_and_or_b32 v7, 0x3fffff, v2, v7
	v_lshrrev_b32_e32 v2, 23, v2
	s_delay_alu instid0(VALU_DEP_3) | instskip(NEXT) | instid1(VALU_DEP_3)
	v_cmp_ne_u32_e32 vcc_lo, 0, v3
	v_cmp_ne_u32_e64 s0, 0, v7
	s_delay_alu instid0(VALU_DEP_1) | instskip(NEXT) | instid1(SALU_CYCLE_1)
	s_and_b32 s0, vcc_lo, s0
	v_cndmask_b32_e64 v3, 0, 1, s0
	s_delay_alu instid0(VALU_DEP_1)
	v_add_nc_u32_e32 v3, v2, v3
; %bb.663:
	s_or_b32 exec_lo, exec_lo, s1
	s_mov_b32 s1, -1
	s_mov_b32 s0, 0
	global_store_b8 v[4:5], v3, off
.LBB320_664:
	s_mov_b32 s24, 0
.LBB320_665:
	s_delay_alu instid0(SALU_CYCLE_1)
	s_and_b32 vcc_lo, exec_lo, s24
	s_cbranch_vccz .LBB320_668
; %bb.666:
	v_cmp_eq_u16_e32 vcc_lo, 29, v6
	s_mov_b32 s0, -1
	s_cbranch_vccz .LBB320_668
; %bb.667:
	v_trunc_f64_e32 v[2:3], v[0:1]
	s_mov_b32 s1, -1
	s_mov_b32 s0, 0
	s_mov_b32 s24, 0
	s_delay_alu instid0(VALU_DEP_1) | instskip(NEXT) | instid1(VALU_DEP_1)
	v_ldexp_f64 v[7:8], v[2:3], 0xffffffe0
	v_floor_f64_e32 v[7:8], v[7:8]
	s_delay_alu instid0(VALU_DEP_1) | instskip(SKIP_1) | instid1(VALU_DEP_2)
	v_fma_f64 v[2:3], 0xc1f00000, v[7:8], v[2:3]
	v_cvt_u32_f64_e32 v8, v[7:8]
	v_cvt_u32_f64_e32 v7, v[2:3]
	global_store_b64 v[4:5], v[7:8], off
	s_branch .LBB320_669
.LBB320_668:
	s_mov_b32 s24, 0
.LBB320_669:
	s_delay_alu instid0(SALU_CYCLE_1)
	s_and_b32 vcc_lo, exec_lo, s24
	s_cbranch_vccz .LBB320_685
; %bb.670:
	v_cmp_gt_i16_e32 vcc_lo, 27, v6
	s_mov_b32 s1, -1
	s_cbranch_vccnz .LBB320_676
; %bb.671:
	v_cmp_lt_i16_e32 vcc_lo, 27, v6
	s_cbranch_vccz .LBB320_673
; %bb.672:
	v_cvt_u32_f64_e32 v2, v[0:1]
	s_mov_b32 s1, 0
	global_store_b32 v[4:5], v2, off
.LBB320_673:
	s_and_not1_b32 vcc_lo, exec_lo, s1
	s_cbranch_vccnz .LBB320_675
; %bb.674:
	v_cvt_u32_f64_e32 v2, v[0:1]
	global_store_b16 v[4:5], v2, off
.LBB320_675:
	s_mov_b32 s1, 0
.LBB320_676:
	s_delay_alu instid0(SALU_CYCLE_1)
	s_and_not1_b32 vcc_lo, exec_lo, s1
	s_cbranch_vccnz .LBB320_684
; %bb.677:
	v_cvt_f32_f64_e32 v2, v[0:1]
	v_mov_b32_e32 v7, 0x80
	s_mov_b32 s1, exec_lo
	s_delay_alu instid0(VALU_DEP_2) | instskip(NEXT) | instid1(VALU_DEP_1)
	v_and_b32_e32 v3, 0x7fffffff, v2
	v_cmpx_gt_u32_e32 0x43800000, v3
	s_cbranch_execz .LBB320_683
; %bb.678:
	v_cmp_lt_u32_e32 vcc_lo, 0x3bffffff, v3
	s_mov_b32 s24, 0
                                        ; implicit-def: $vgpr3
	s_and_saveexec_b32 s25, vcc_lo
	s_delay_alu instid0(SALU_CYCLE_1)
	s_xor_b32 s25, exec_lo, s25
	s_cbranch_execz .LBB320_785
; %bb.679:
	v_bfe_u32 v3, v2, 20, 1
	s_mov_b32 s24, exec_lo
	s_delay_alu instid0(VALU_DEP_1) | instskip(NEXT) | instid1(VALU_DEP_1)
	v_add3_u32 v3, v2, v3, 0x487ffff
	v_lshrrev_b32_e32 v3, 20, v3
	s_or_saveexec_b32 s25, s25
                                        ; implicit-def: $sgpr26
	s_delay_alu instid0(SALU_CYCLE_1)
	s_xor_b32 exec_lo, exec_lo, s25
	s_cbranch_execnz .LBB320_786
.LBB320_680:
	s_or_b32 exec_lo, exec_lo, s25
	v_mov_b32_e32 v7, s26
	s_and_saveexec_b32 s25, s24
.LBB320_681:
	v_lshrrev_b32_e32 v2, 24, v2
	s_delay_alu instid0(VALU_DEP_1)
	v_and_or_b32 v7, 0x80, v2, v3
.LBB320_682:
	s_or_b32 exec_lo, exec_lo, s25
.LBB320_683:
	s_delay_alu instid0(SALU_CYCLE_1)
	s_or_b32 exec_lo, exec_lo, s1
	global_store_b8 v[4:5], v7, off
.LBB320_684:
	s_mov_b32 s1, -1
.LBB320_685:
	s_mov_b32 s24, 0
.LBB320_686:
	s_delay_alu instid0(SALU_CYCLE_1)
	s_and_b32 vcc_lo, exec_lo, s24
	s_cbranch_vccz .LBB320_727
; %bb.687:
	v_cmp_lt_i16_e32 vcc_lo, 22, v6
	s_mov_b32 s24, -1
	s_cbranch_vccz .LBB320_719
; %bb.688:
	v_cmp_gt_i16_e32 vcc_lo, 24, v6
	s_mov_b32 s1, -1
	s_cbranch_vccnz .LBB320_708
; %bb.689:
	v_cmp_lt_i16_e32 vcc_lo, 24, v6
	s_cbranch_vccz .LBB320_697
; %bb.690:
	v_cvt_f32_f64_e32 v2, v[0:1]
	v_mov_b32_e32 v7, 0x80
	s_mov_b32 s1, exec_lo
	s_delay_alu instid0(VALU_DEP_2) | instskip(NEXT) | instid1(VALU_DEP_1)
	v_and_b32_e32 v3, 0x7fffffff, v2
	v_cmpx_gt_u32_e32 0x47800000, v3
	s_cbranch_execz .LBB320_696
; %bb.691:
	v_cmp_lt_u32_e32 vcc_lo, 0x37ffffff, v3
	s_mov_b32 s24, 0
                                        ; implicit-def: $vgpr3
	s_and_saveexec_b32 s25, vcc_lo
	s_delay_alu instid0(SALU_CYCLE_1)
	s_xor_b32 s25, exec_lo, s25
	s_cbranch_execz .LBB320_788
; %bb.692:
	v_bfe_u32 v3, v2, 21, 1
	s_mov_b32 s24, exec_lo
	s_delay_alu instid0(VALU_DEP_1) | instskip(NEXT) | instid1(VALU_DEP_1)
	v_add3_u32 v3, v2, v3, 0x88fffff
	v_lshrrev_b32_e32 v3, 21, v3
	s_or_saveexec_b32 s25, s25
                                        ; implicit-def: $sgpr26
	s_delay_alu instid0(SALU_CYCLE_1)
	s_xor_b32 exec_lo, exec_lo, s25
	s_cbranch_execnz .LBB320_789
.LBB320_693:
	s_or_b32 exec_lo, exec_lo, s25
	v_mov_b32_e32 v7, s26
	s_and_saveexec_b32 s25, s24
.LBB320_694:
	v_lshrrev_b32_e32 v2, 24, v2
	s_delay_alu instid0(VALU_DEP_1)
	v_and_or_b32 v7, 0x80, v2, v3
.LBB320_695:
	s_or_b32 exec_lo, exec_lo, s25
.LBB320_696:
	s_delay_alu instid0(SALU_CYCLE_1)
	s_or_b32 exec_lo, exec_lo, s1
	s_mov_b32 s1, 0
	global_store_b8 v[4:5], v7, off
.LBB320_697:
	s_and_b32 vcc_lo, exec_lo, s1
	s_cbranch_vccz .LBB320_707
; %bb.698:
	v_cvt_f32_f64_e32 v2, v[0:1]
	s_mov_b32 s1, exec_lo
                                        ; implicit-def: $vgpr3
	s_delay_alu instid0(VALU_DEP_1) | instskip(NEXT) | instid1(VALU_DEP_1)
	v_and_b32_e32 v7, 0x7fffffff, v2
	v_cmpx_gt_u32_e32 0x43f00000, v7
	s_xor_b32 s1, exec_lo, s1
	s_cbranch_execz .LBB320_704
; %bb.699:
	s_mov_b32 s24, exec_lo
                                        ; implicit-def: $vgpr3
	v_cmpx_lt_u32_e32 0x3c7fffff, v7
	s_xor_b32 s24, exec_lo, s24
; %bb.700:
	v_bfe_u32 v3, v2, 20, 1
	s_delay_alu instid0(VALU_DEP_1) | instskip(NEXT) | instid1(VALU_DEP_1)
	v_add3_u32 v3, v2, v3, 0x407ffff
	v_and_b32_e32 v7, 0xff00000, v3
	v_lshrrev_b32_e32 v3, 20, v3
	s_delay_alu instid0(VALU_DEP_2) | instskip(NEXT) | instid1(VALU_DEP_2)
	v_cmp_ne_u32_e32 vcc_lo, 0x7f00000, v7
	v_cndmask_b32_e32 v3, 0x7e, v3, vcc_lo
; %bb.701:
	s_and_not1_saveexec_b32 s24, s24
; %bb.702:
	v_add_f32_e64 v3, 0x46800000, |v2|
; %bb.703:
	s_or_b32 exec_lo, exec_lo, s24
                                        ; implicit-def: $vgpr7
.LBB320_704:
	s_and_not1_saveexec_b32 s1, s1
; %bb.705:
	v_mov_b32_e32 v3, 0x7f
	v_cmp_lt_u32_e32 vcc_lo, 0x7f800000, v7
	s_delay_alu instid0(VALU_DEP_2)
	v_cndmask_b32_e32 v3, 0x7e, v3, vcc_lo
; %bb.706:
	s_or_b32 exec_lo, exec_lo, s1
	v_lshrrev_b32_e32 v2, 24, v2
	s_delay_alu instid0(VALU_DEP_1)
	v_and_or_b32 v2, 0x80, v2, v3
	global_store_b8 v[4:5], v2, off
.LBB320_707:
	s_mov_b32 s1, 0
.LBB320_708:
	s_delay_alu instid0(SALU_CYCLE_1)
	s_and_not1_b32 vcc_lo, exec_lo, s1
	s_cbranch_vccnz .LBB320_718
; %bb.709:
	v_cvt_f32_f64_e32 v2, v[0:1]
	s_mov_b32 s1, exec_lo
                                        ; implicit-def: $vgpr3
	s_delay_alu instid0(VALU_DEP_1) | instskip(NEXT) | instid1(VALU_DEP_1)
	v_and_b32_e32 v7, 0x7fffffff, v2
	v_cmpx_gt_u32_e32 0x47800000, v7
	s_xor_b32 s1, exec_lo, s1
	s_cbranch_execz .LBB320_715
; %bb.710:
	s_mov_b32 s24, exec_lo
                                        ; implicit-def: $vgpr3
	v_cmpx_lt_u32_e32 0x387fffff, v7
	s_xor_b32 s24, exec_lo, s24
; %bb.711:
	v_bfe_u32 v3, v2, 21, 1
	s_delay_alu instid0(VALU_DEP_1) | instskip(NEXT) | instid1(VALU_DEP_1)
	v_add3_u32 v3, v2, v3, 0x80fffff
	v_lshrrev_b32_e32 v3, 21, v3
; %bb.712:
	s_and_not1_saveexec_b32 s24, s24
; %bb.713:
	v_add_f32_e64 v3, 0x43000000, |v2|
; %bb.714:
	s_or_b32 exec_lo, exec_lo, s24
                                        ; implicit-def: $vgpr7
.LBB320_715:
	s_and_not1_saveexec_b32 s1, s1
; %bb.716:
	v_mov_b32_e32 v3, 0x7f
	v_cmp_lt_u32_e32 vcc_lo, 0x7f800000, v7
	s_delay_alu instid0(VALU_DEP_2)
	v_cndmask_b32_e32 v3, 0x7c, v3, vcc_lo
; %bb.717:
	s_or_b32 exec_lo, exec_lo, s1
	v_lshrrev_b32_e32 v2, 24, v2
	s_delay_alu instid0(VALU_DEP_1)
	v_and_or_b32 v2, 0x80, v2, v3
	global_store_b8 v[4:5], v2, off
.LBB320_718:
	s_mov_b32 s24, 0
	s_mov_b32 s1, -1
.LBB320_719:
	s_and_not1_b32 vcc_lo, exec_lo, s24
	s_cbranch_vccnz .LBB320_727
; %bb.720:
	v_cmp_lt_i16_e32 vcc_lo, 14, v6
	s_mov_b32 s24, -1
	s_cbranch_vccz .LBB320_724
; %bb.721:
	v_cmp_eq_u16_e32 vcc_lo, 15, v6
	s_mov_b32 s0, -1
	s_cbranch_vccz .LBB320_723
; %bb.722:
	v_cvt_f32_f64_e32 v2, v[0:1]
	s_mov_b32 s1, -1
	s_mov_b32 s0, 0
	s_delay_alu instid0(VALU_DEP_1) | instskip(SKIP_1) | instid1(VALU_DEP_2)
	v_bfe_u32 v3, v2, 16, 1
	v_cmp_o_f32_e32 vcc_lo, v2, v2
	v_add3_u32 v3, v2, v3, 0x7fff
	s_delay_alu instid0(VALU_DEP_1) | instskip(NEXT) | instid1(VALU_DEP_1)
	v_lshrrev_b32_e32 v3, 16, v3
	v_cndmask_b32_e32 v2, 0x7fc0, v3, vcc_lo
	global_store_b16 v[4:5], v2, off
.LBB320_723:
	s_mov_b32 s24, 0
.LBB320_724:
	s_delay_alu instid0(SALU_CYCLE_1)
	s_and_b32 vcc_lo, exec_lo, s24
	s_cbranch_vccz .LBB320_727
; %bb.725:
	v_cmp_eq_u16_e32 vcc_lo, 11, v6
	s_mov_b32 s0, -1
	s_cbranch_vccz .LBB320_727
; %bb.726:
	v_cmp_neq_f64_e32 vcc_lo, 0, v[0:1]
	s_mov_b32 s1, -1
	s_mov_b32 s0, 0
	v_cndmask_b32_e64 v2, 0, 1, vcc_lo
	global_store_b8 v[4:5], v2, off
.LBB320_727:
	s_mov_b32 s24, 0
.LBB320_728:
	s_delay_alu instid0(SALU_CYCLE_1)
	s_and_b32 vcc_lo, exec_lo, s24
	s_cbranch_vccz .LBB320_767
; %bb.729:
	v_cmp_gt_i16_e32 vcc_lo, 5, v6
	s_mov_b32 s1, -1
	s_cbranch_vccnz .LBB320_750
; %bb.730:
	v_cmp_gt_i16_e32 vcc_lo, 8, v6
	s_cbranch_vccnz .LBB320_740
; %bb.731:
	v_cmp_gt_i16_e32 vcc_lo, 9, v6
	s_cbranch_vccnz .LBB320_737
; %bb.732:
	v_cmp_lt_i16_e32 vcc_lo, 9, v6
	s_cbranch_vccz .LBB320_734
; %bb.733:
	v_mov_b32_e32 v2, 0
	s_mov_b32 s1, 0
	s_delay_alu instid0(VALU_DEP_1)
	v_mov_b32_e32 v3, v2
	global_store_b128 v[4:5], v[0:3], off
.LBB320_734:
	s_and_not1_b32 vcc_lo, exec_lo, s1
	s_cbranch_vccnz .LBB320_736
; %bb.735:
	v_cvt_f32_f64_e32 v2, v[0:1]
	v_mov_b32_e32 v3, 0
	global_store_b64 v[4:5], v[2:3], off
.LBB320_736:
	s_mov_b32 s1, 0
.LBB320_737:
	s_delay_alu instid0(SALU_CYCLE_1)
	s_and_not1_b32 vcc_lo, exec_lo, s1
	s_cbranch_vccnz .LBB320_739
; %bb.738:
	v_cvt_f32_f64_e32 v2, v[0:1]
	s_delay_alu instid0(VALU_DEP_1) | instskip(NEXT) | instid1(VALU_DEP_1)
	v_cvt_f16_f32_e32 v2, v2
	v_and_b32_e32 v2, 0xffff, v2
	global_store_b32 v[4:5], v2, off
.LBB320_739:
	s_mov_b32 s1, 0
.LBB320_740:
	s_delay_alu instid0(SALU_CYCLE_1)
	s_and_not1_b32 vcc_lo, exec_lo, s1
	s_cbranch_vccnz .LBB320_749
; %bb.741:
	v_cmp_gt_i16_e32 vcc_lo, 6, v6
	s_mov_b32 s1, -1
	s_cbranch_vccnz .LBB320_747
; %bb.742:
	v_cmp_lt_i16_e32 vcc_lo, 6, v6
	s_cbranch_vccz .LBB320_744
; %bb.743:
	s_mov_b32 s1, 0
	global_store_b64 v[4:5], v[0:1], off
.LBB320_744:
	s_and_not1_b32 vcc_lo, exec_lo, s1
	s_cbranch_vccnz .LBB320_746
; %bb.745:
	v_cvt_f32_f64_e32 v2, v[0:1]
	global_store_b32 v[4:5], v2, off
.LBB320_746:
	s_mov_b32 s1, 0
.LBB320_747:
	s_delay_alu instid0(SALU_CYCLE_1)
	s_and_not1_b32 vcc_lo, exec_lo, s1
	s_cbranch_vccnz .LBB320_749
; %bb.748:
	v_cvt_f32_f64_e32 v2, v[0:1]
	s_delay_alu instid0(VALU_DEP_1)
	v_cvt_f16_f32_e32 v2, v2
	global_store_b16 v[4:5], v2, off
.LBB320_749:
	s_mov_b32 s1, 0
.LBB320_750:
	s_delay_alu instid0(SALU_CYCLE_1)
	s_and_not1_b32 vcc_lo, exec_lo, s1
	s_cbranch_vccnz .LBB320_766
; %bb.751:
	v_cmp_gt_i16_e32 vcc_lo, 2, v6
	s_mov_b32 s1, -1
	s_cbranch_vccnz .LBB320_761
; %bb.752:
	v_cmp_gt_i16_e32 vcc_lo, 3, v6
	s_cbranch_vccnz .LBB320_758
; %bb.753:
	v_cmp_lt_i16_e32 vcc_lo, 3, v6
	s_cbranch_vccz .LBB320_755
; %bb.754:
	v_trunc_f64_e32 v[2:3], v[0:1]
	s_mov_b32 s1, 0
	s_delay_alu instid0(VALU_DEP_1) | instskip(NEXT) | instid1(VALU_DEP_1)
	v_ldexp_f64 v[7:8], v[2:3], 0xffffffe0
	v_floor_f64_e32 v[7:8], v[7:8]
	s_delay_alu instid0(VALU_DEP_1) | instskip(SKIP_1) | instid1(VALU_DEP_2)
	v_fma_f64 v[2:3], 0xc1f00000, v[7:8], v[2:3]
	v_cvt_i32_f64_e32 v8, v[7:8]
	v_cvt_u32_f64_e32 v7, v[2:3]
	global_store_b64 v[4:5], v[7:8], off
.LBB320_755:
	s_and_not1_b32 vcc_lo, exec_lo, s1
	s_cbranch_vccnz .LBB320_757
; %bb.756:
	v_cvt_i32_f64_e32 v2, v[0:1]
	global_store_b32 v[4:5], v2, off
.LBB320_757:
	s_mov_b32 s1, 0
.LBB320_758:
	s_delay_alu instid0(SALU_CYCLE_1)
	s_and_not1_b32 vcc_lo, exec_lo, s1
	s_cbranch_vccnz .LBB320_760
; %bb.759:
	v_cvt_i32_f64_e32 v2, v[0:1]
	global_store_b16 v[4:5], v2, off
.LBB320_760:
	s_mov_b32 s1, 0
.LBB320_761:
	s_delay_alu instid0(SALU_CYCLE_1)
	s_and_not1_b32 vcc_lo, exec_lo, s1
	s_cbranch_vccnz .LBB320_766
; %bb.762:
	v_cmp_lt_i16_e32 vcc_lo, 0, v6
	s_mov_b32 s1, -1
	s_cbranch_vccz .LBB320_764
; %bb.763:
	v_cvt_i32_f64_e32 v2, v[0:1]
	s_mov_b32 s1, 0
	global_store_b8 v[4:5], v2, off
.LBB320_764:
	s_and_not1_b32 vcc_lo, exec_lo, s1
	s_cbranch_vccnz .LBB320_766
; %bb.765:
	v_trunc_f64_e32 v[0:1], v[0:1]
	s_delay_alu instid0(VALU_DEP_1) | instskip(NEXT) | instid1(VALU_DEP_1)
	v_ldexp_f64 v[2:3], v[0:1], 0xffffffe0
	v_floor_f64_e32 v[2:3], v[2:3]
	s_delay_alu instid0(VALU_DEP_1) | instskip(NEXT) | instid1(VALU_DEP_1)
	v_fma_f64 v[0:1], 0xc1f00000, v[2:3], v[0:1]
	v_cvt_u32_f64_e32 v0, v[0:1]
	global_store_b8 v[4:5], v0, off
.LBB320_766:
	s_mov_b32 s1, -1
.LBB320_767:
	s_delay_alu instid0(SALU_CYCLE_1)
	s_and_not1_b32 vcc_lo, exec_lo, s1
	s_cbranch_vccnz .LBB320_769
; %bb.768:
	v_add_nc_u32_e32 v14, 0x80, v14
	s_mov_b32 s1, -1
	s_branch .LBB320_771
.LBB320_769:
	s_mov_b32 s1, 0
.LBB320_770:
                                        ; implicit-def: $vgpr14
.LBB320_771:
	s_and_not1_b32 s24, s20, exec_lo
	s_and_b32 s0, s0, exec_lo
	s_and_not1_b32 s25, s19, exec_lo
	s_and_b32 s23, s23, exec_lo
	s_or_b32 s24, s24, s0
	s_or_b32 s23, s25, s23
	s_or_not1_b32 s0, s1, exec_lo
.LBB320_772:
	s_or_b32 exec_lo, exec_lo, s22
	s_mov_b32 s1, 0
	s_mov_b32 s25, 0
	;; [unrolled: 1-line block ×3, first 2 shown]
                                        ; implicit-def: $vgpr0_vgpr1
                                        ; implicit-def: $vgpr2_vgpr3
	s_and_saveexec_b32 s22, s0
	s_cbranch_execz .LBB320_857
; %bb.773:
	v_cmp_gt_i32_e32 vcc_lo, s16, v14
	s_mov_b32 s0, 0
	s_mov_b32 s27, s23
	;; [unrolled: 1-line block ×3, first 2 shown]
                                        ; implicit-def: $vgpr0_vgpr1
                                        ; implicit-def: $vgpr2_vgpr3
	s_and_saveexec_b32 s16, vcc_lo
	s_cbranch_execz .LBB320_856
; %bb.774:
	v_mul_lo_u32 v0, v14, s3
	v_cmp_gt_i16_e32 vcc_lo, 11, v10
	s_delay_alu instid0(VALU_DEP_2) | instskip(SKIP_1) | instid1(VALU_DEP_1)
	v_ashrrev_i32_e32 v1, 31, v0
	v_add_co_u32 v0, s0, s6, v0
	v_add_co_ci_u32_e64 v1, s0, s7, v1, s0
	s_cbranch_vccnz .LBB320_781
; %bb.775:
	v_cmp_lt_i16_e32 vcc_lo, 25, v10
	s_cbranch_vccz .LBB320_782
; %bb.776:
	v_cmp_lt_i16_e32 vcc_lo, 28, v10
	s_cbranch_vccz .LBB320_783
; %bb.777:
	v_cmp_lt_i16_e32 vcc_lo, 43, v10
	s_cbranch_vccz .LBB320_784
; %bb.778:
	v_cmp_lt_i16_e32 vcc_lo, 45, v10
	s_cbranch_vccz .LBB320_787
; %bb.779:
	v_cmp_eq_u16_e32 vcc_lo, 46, v10
	s_cbranch_vccz .LBB320_790
; %bb.780:
	global_load_b32 v2, v[0:1], off
	s_mov_b32 s0, -1
	s_waitcnt vmcnt(0)
	v_lshlrev_b32_e32 v2, 16, v2
	s_delay_alu instid0(VALU_DEP_1)
	v_cvt_f64_f32_e32 v[2:3], v2
	s_branch .LBB320_792
.LBB320_781:
	s_mov_b32 s1, -1
	s_mov_b32 s0, 0
	s_mov_b32 s25, s23
                                        ; implicit-def: $vgpr2_vgpr3
	s_branch .LBB320_855
.LBB320_782:
	s_mov_b32 s1, -1
	s_mov_b32 s0, 0
	s_mov_b32 s25, s23
                                        ; implicit-def: $vgpr2_vgpr3
	s_branch .LBB320_823
.LBB320_783:
	s_mov_b32 s1, -1
	s_mov_b32 s0, 0
	s_mov_b32 s25, s23
                                        ; implicit-def: $vgpr2_vgpr3
	s_branch .LBB320_802
.LBB320_784:
	s_mov_b32 s1, -1
	s_mov_b32 s0, 0
	s_mov_b32 s25, s23
                                        ; implicit-def: $vgpr2_vgpr3
	s_branch .LBB320_797
.LBB320_785:
	s_or_saveexec_b32 s25, s25
                                        ; implicit-def: $sgpr26
	s_delay_alu instid0(SALU_CYCLE_1)
	s_xor_b32 exec_lo, exec_lo, s25
	s_cbranch_execz .LBB320_680
.LBB320_786:
	v_add_f32_e64 v3, 0x46000000, |v2|
	s_and_not1_b32 s24, s24, exec_lo
	s_mov_b32 s26, 0
	s_delay_alu instid0(VALU_DEP_1) | instskip(NEXT) | instid1(VALU_DEP_1)
	v_and_b32_e32 v3, 0xff, v3
	v_cmp_ne_u32_e32 vcc_lo, 0, v3
	s_and_b32 s27, vcc_lo, exec_lo
	s_delay_alu instid0(SALU_CYCLE_1)
	s_or_b32 s24, s24, s27
	s_or_b32 exec_lo, exec_lo, s25
	v_mov_b32_e32 v7, s26
	s_and_saveexec_b32 s25, s24
	s_cbranch_execnz .LBB320_681
	s_branch .LBB320_682
.LBB320_787:
	s_mov_b32 s1, -1
	s_mov_b32 s0, 0
	s_mov_b32 s25, s23
	s_branch .LBB320_791
.LBB320_788:
	s_or_saveexec_b32 s25, s25
                                        ; implicit-def: $sgpr26
	s_delay_alu instid0(SALU_CYCLE_1)
	s_xor_b32 exec_lo, exec_lo, s25
	s_cbranch_execz .LBB320_693
.LBB320_789:
	v_add_f32_e64 v3, 0x42800000, |v2|
	s_and_not1_b32 s24, s24, exec_lo
	s_mov_b32 s26, 0
	s_delay_alu instid0(VALU_DEP_1) | instskip(NEXT) | instid1(VALU_DEP_1)
	v_and_b32_e32 v3, 0xff, v3
	v_cmp_ne_u32_e32 vcc_lo, 0, v3
	s_and_b32 s27, vcc_lo, exec_lo
	s_delay_alu instid0(SALU_CYCLE_1)
	s_or_b32 s24, s24, s27
	s_or_b32 exec_lo, exec_lo, s25
	v_mov_b32_e32 v7, s26
	s_and_saveexec_b32 s25, s24
	s_cbranch_execnz .LBB320_694
	s_branch .LBB320_695
.LBB320_790:
	s_mov_b32 s25, -1
	s_mov_b32 s0, 0
.LBB320_791:
                                        ; implicit-def: $vgpr2_vgpr3
.LBB320_792:
	s_and_b32 vcc_lo, exec_lo, s1
	s_cbranch_vccz .LBB320_796
; %bb.793:
	v_cmp_eq_u16_e32 vcc_lo, 44, v10
	s_cbranch_vccz .LBB320_795
; %bb.794:
	global_load_u8 v4, v[0:1], off
	s_mov_b32 s25, 0
	s_mov_b32 s0, -1
	s_waitcnt vmcnt(0)
	v_cmp_ne_u32_e32 vcc_lo, 0xff, v4
	v_lshlrev_b32_e32 v2, 23, v4
	s_delay_alu instid0(VALU_DEP_1) | instskip(NEXT) | instid1(VALU_DEP_1)
	v_cvt_f64_f32_e32 v[2:3], v2
	v_cndmask_b32_e32 v3, 0x7ff80000, v3, vcc_lo
	s_delay_alu instid0(VALU_DEP_2) | instskip(SKIP_1) | instid1(VALU_DEP_3)
	v_cndmask_b32_e32 v2, 0x20000000, v2, vcc_lo
	v_cmp_ne_u32_e32 vcc_lo, 0, v4
	v_cndmask_b32_e32 v3, 0x38000000, v3, vcc_lo
	s_delay_alu instid0(VALU_DEP_3)
	v_cndmask_b32_e32 v2, 0, v2, vcc_lo
	s_branch .LBB320_796
.LBB320_795:
	s_mov_b32 s25, -1
                                        ; implicit-def: $vgpr2_vgpr3
.LBB320_796:
	s_mov_b32 s1, 0
.LBB320_797:
	s_delay_alu instid0(SALU_CYCLE_1)
	s_and_b32 vcc_lo, exec_lo, s1
	s_cbranch_vccz .LBB320_801
; %bb.798:
	v_cmp_eq_u16_e32 vcc_lo, 29, v10
	s_cbranch_vccz .LBB320_800
; %bb.799:
	global_load_b64 v[2:3], v[0:1], off
	s_mov_b32 s25, 0
	s_mov_b32 s0, -1
	s_mov_b32 s1, 0
	s_waitcnt vmcnt(0)
	v_cvt_f64_u32_e32 v[3:4], v3
	v_cvt_f64_u32_e32 v[5:6], v2
	s_delay_alu instid0(VALU_DEP_2) | instskip(NEXT) | instid1(VALU_DEP_1)
	v_ldexp_f64 v[3:4], v[3:4], 32
	v_add_f64 v[2:3], v[3:4], v[5:6]
	s_branch .LBB320_802
.LBB320_800:
	s_mov_b32 s25, -1
                                        ; implicit-def: $vgpr2_vgpr3
.LBB320_801:
	s_mov_b32 s1, 0
.LBB320_802:
	s_delay_alu instid0(SALU_CYCLE_1)
	s_and_b32 vcc_lo, exec_lo, s1
	s_cbranch_vccz .LBB320_822
; %bb.803:
	v_cmp_gt_i16_e32 vcc_lo, 27, v10
	s_cbranch_vccnz .LBB320_806
; %bb.804:
	v_cmp_lt_i16_e32 vcc_lo, 27, v10
	s_cbranch_vccz .LBB320_807
; %bb.805:
	global_load_b32 v2, v[0:1], off
	s_mov_b32 s0, 0
	s_waitcnt vmcnt(0)
	v_cvt_f64_u32_e32 v[2:3], v2
	s_branch .LBB320_808
.LBB320_806:
	s_mov_b32 s0, -1
                                        ; implicit-def: $vgpr2_vgpr3
	s_branch .LBB320_811
.LBB320_807:
	s_mov_b32 s0, -1
                                        ; implicit-def: $vgpr2_vgpr3
.LBB320_808:
	s_delay_alu instid0(SALU_CYCLE_1)
	s_and_not1_b32 vcc_lo, exec_lo, s0
	s_cbranch_vccnz .LBB320_810
; %bb.809:
	global_load_u16 v2, v[0:1], off
	s_waitcnt vmcnt(0)
	v_cvt_f64_u32_e32 v[2:3], v2
.LBB320_810:
	s_mov_b32 s0, 0
.LBB320_811:
	s_delay_alu instid0(SALU_CYCLE_1)
	s_and_not1_b32 vcc_lo, exec_lo, s0
	s_cbranch_vccnz .LBB320_821
; %bb.812:
	global_load_u8 v4, v[0:1], off
	s_mov_b32 s27, 0
	s_mov_b32 s28, exec_lo
                                        ; implicit-def: $sgpr0_sgpr1
	s_waitcnt vmcnt(0)
	v_cmpx_lt_i16_e32 0x7f, v4
	s_xor_b32 s28, exec_lo, s28
	s_cbranch_execz .LBB320_816
; %bb.813:
	s_mov_b32 s29, -1
	s_mov_b32 s27, exec_lo
                                        ; implicit-def: $sgpr0_sgpr1
	v_cmpx_eq_u16_e32 0x80, v4
; %bb.814:
	s_mov_b32 s1, 0x7ff80000
	s_brev_b32 s0, 4
	s_xor_b32 s29, exec_lo, -1
; %bb.815:
	s_or_b32 exec_lo, exec_lo, s27
	s_delay_alu instid0(SALU_CYCLE_1)
	s_and_b32 s27, s29, exec_lo
.LBB320_816:
	s_or_saveexec_b32 s28, s28
	v_dual_mov_b32 v3, s1 :: v_dual_mov_b32 v2, s0
	s_xor_b32 exec_lo, exec_lo, s28
; %bb.817:
	v_cmp_ne_u16_e32 vcc_lo, 0, v4
	v_mov_b32_e32 v2, 0
	v_mov_b32_e32 v3, 0
	s_and_not1_b32 s0, s27, exec_lo
	s_and_b32 s1, vcc_lo, exec_lo
	s_delay_alu instid0(SALU_CYCLE_1)
	s_or_b32 s27, s0, s1
; %bb.818:
	s_or_b32 exec_lo, exec_lo, s28
	s_and_saveexec_b32 s0, s27
	s_cbranch_execz .LBB320_820
; %bb.819:
	v_and_b32_e32 v2, 0xffff, v4
	v_lshlrev_b32_e32 v4, 24, v4
	s_delay_alu instid0(VALU_DEP_2) | instskip(NEXT) | instid1(VALU_DEP_2)
	v_and_b32_e32 v3, 7, v2
	v_and_b32_e32 v4, 0x80000000, v4
	s_delay_alu instid0(VALU_DEP_2) | instskip(NEXT) | instid1(VALU_DEP_1)
	v_clz_i32_u32_e32 v5, v3
	v_min_u32_e32 v5, 32, v5
	s_delay_alu instid0(VALU_DEP_1) | instskip(SKIP_1) | instid1(VALU_DEP_2)
	v_subrev_nc_u32_e32 v6, 28, v5
	v_sub_nc_u32_e32 v5, 29, v5
	v_lshlrev_b32_e32 v6, v6, v2
	v_bfe_u32 v2, v2, 3, 4
	s_delay_alu instid0(VALU_DEP_2) | instskip(NEXT) | instid1(VALU_DEP_2)
	v_and_b32_e32 v6, 7, v6
	v_cmp_eq_u32_e32 vcc_lo, 0, v2
	s_delay_alu instid0(VALU_DEP_2) | instskip(NEXT) | instid1(VALU_DEP_1)
	v_dual_cndmask_b32 v2, v2, v5 :: v_dual_cndmask_b32 v3, v3, v6
	v_lshl_add_u32 v2, v2, 23, 0x3b800000
	s_delay_alu instid0(VALU_DEP_2) | instskip(NEXT) | instid1(VALU_DEP_1)
	v_lshlrev_b32_e32 v3, 20, v3
	v_or3_b32 v2, v4, v2, v3
	s_delay_alu instid0(VALU_DEP_1)
	v_cvt_f64_f32_e32 v[2:3], v2
.LBB320_820:
	s_or_b32 exec_lo, exec_lo, s0
.LBB320_821:
	s_mov_b32 s0, -1
.LBB320_822:
	s_mov_b32 s1, 0
.LBB320_823:
	s_delay_alu instid0(SALU_CYCLE_1)
	s_and_b32 vcc_lo, exec_lo, s1
	s_cbranch_vccz .LBB320_854
; %bb.824:
	v_cmp_lt_i16_e32 vcc_lo, 22, v10
	s_cbranch_vccz .LBB320_836
; %bb.825:
	v_cmp_gt_i16_e32 vcc_lo, 24, v10
	s_cbranch_vccnz .LBB320_837
; %bb.826:
	v_cmp_lt_i16_e32 vcc_lo, 24, v10
	s_cbranch_vccz .LBB320_838
; %bb.827:
	global_load_u8 v4, v[0:1], off
	s_mov_b32 s27, exec_lo
                                        ; implicit-def: $sgpr0_sgpr1
	s_waitcnt vmcnt(0)
	v_cmpx_lt_i16_e32 0x7f, v4
	s_xor_b32 s27, exec_lo, s27
	s_cbranch_execz .LBB320_831
; %bb.828:
	s_mov_b32 s28, -1
	s_mov_b32 s26, exec_lo
                                        ; implicit-def: $sgpr0_sgpr1
	v_cmpx_eq_u16_e32 0x80, v4
; %bb.829:
	s_mov_b32 s1, 0x7ff80000
	s_brev_b32 s0, 4
	s_xor_b32 s28, exec_lo, -1
; %bb.830:
	s_or_b32 exec_lo, exec_lo, s26
	s_delay_alu instid0(SALU_CYCLE_1)
	s_and_b32 s26, s28, exec_lo
.LBB320_831:
	s_or_saveexec_b32 s27, s27
	v_dual_mov_b32 v3, s1 :: v_dual_mov_b32 v2, s0
	s_xor_b32 exec_lo, exec_lo, s27
; %bb.832:
	v_cmp_ne_u16_e32 vcc_lo, 0, v4
	v_mov_b32_e32 v2, 0
	v_mov_b32_e32 v3, 0
	s_and_not1_b32 s0, s26, exec_lo
	s_and_b32 s1, vcc_lo, exec_lo
	s_delay_alu instid0(SALU_CYCLE_1)
	s_or_b32 s26, s0, s1
; %bb.833:
	s_or_b32 exec_lo, exec_lo, s27
	s_and_saveexec_b32 s0, s26
	s_cbranch_execz .LBB320_835
; %bb.834:
	v_and_b32_e32 v2, 0xffff, v4
	v_lshlrev_b32_e32 v4, 24, v4
	s_delay_alu instid0(VALU_DEP_2) | instskip(NEXT) | instid1(VALU_DEP_2)
	v_and_b32_e32 v3, 3, v2
	v_and_b32_e32 v4, 0x80000000, v4
	s_delay_alu instid0(VALU_DEP_2) | instskip(NEXT) | instid1(VALU_DEP_1)
	v_clz_i32_u32_e32 v5, v3
	v_min_u32_e32 v5, 32, v5
	s_delay_alu instid0(VALU_DEP_1) | instskip(SKIP_1) | instid1(VALU_DEP_2)
	v_subrev_nc_u32_e32 v6, 29, v5
	v_sub_nc_u32_e32 v5, 30, v5
	v_lshlrev_b32_e32 v6, v6, v2
	v_bfe_u32 v2, v2, 2, 5
	s_delay_alu instid0(VALU_DEP_2) | instskip(NEXT) | instid1(VALU_DEP_2)
	v_and_b32_e32 v6, 3, v6
	v_cmp_eq_u32_e32 vcc_lo, 0, v2
	s_delay_alu instid0(VALU_DEP_2) | instskip(NEXT) | instid1(VALU_DEP_1)
	v_dual_cndmask_b32 v2, v2, v5 :: v_dual_cndmask_b32 v3, v3, v6
	v_lshl_add_u32 v2, v2, 23, 0x37800000
	s_delay_alu instid0(VALU_DEP_2) | instskip(NEXT) | instid1(VALU_DEP_1)
	v_lshlrev_b32_e32 v3, 21, v3
	v_or3_b32 v2, v4, v2, v3
	s_delay_alu instid0(VALU_DEP_1)
	v_cvt_f64_f32_e32 v[2:3], v2
.LBB320_835:
	s_or_b32 exec_lo, exec_lo, s0
	s_mov_b32 s0, 0
	s_branch .LBB320_839
.LBB320_836:
	s_mov_b32 s1, -1
                                        ; implicit-def: $vgpr2_vgpr3
	s_branch .LBB320_845
.LBB320_837:
	s_mov_b32 s0, -1
                                        ; implicit-def: $vgpr2_vgpr3
	s_branch .LBB320_842
.LBB320_838:
	s_mov_b32 s0, -1
                                        ; implicit-def: $vgpr2_vgpr3
.LBB320_839:
	s_delay_alu instid0(SALU_CYCLE_1)
	s_and_b32 vcc_lo, exec_lo, s0
	s_cbranch_vccz .LBB320_841
; %bb.840:
	global_load_u8 v2, v[0:1], off
	s_waitcnt vmcnt(0)
	v_lshlrev_b32_e32 v2, 24, v2
	s_delay_alu instid0(VALU_DEP_1) | instskip(NEXT) | instid1(VALU_DEP_1)
	v_and_b32_e32 v3, 0x7f000000, v2
	v_clz_i32_u32_e32 v4, v3
	v_add_nc_u32_e32 v6, 0x1000000, v3
	v_cmp_ne_u32_e32 vcc_lo, 0, v3
	s_delay_alu instid0(VALU_DEP_3) | instskip(NEXT) | instid1(VALU_DEP_1)
	v_min_u32_e32 v4, 32, v4
	v_sub_nc_u32_e64 v4, v4, 4 clamp
	s_delay_alu instid0(VALU_DEP_1) | instskip(SKIP_1) | instid1(VALU_DEP_2)
	v_lshlrev_b32_e32 v5, v4, v3
	v_lshlrev_b32_e32 v4, 23, v4
	v_lshrrev_b32_e32 v5, 4, v5
	s_delay_alu instid0(VALU_DEP_1) | instskip(SKIP_1) | instid1(VALU_DEP_2)
	v_sub_nc_u32_e32 v4, v5, v4
	v_ashrrev_i32_e32 v5, 8, v6
	v_add_nc_u32_e32 v4, 0x3c000000, v4
	s_delay_alu instid0(VALU_DEP_1) | instskip(NEXT) | instid1(VALU_DEP_1)
	v_and_or_b32 v4, 0x7f800000, v5, v4
	v_cndmask_b32_e32 v3, 0, v4, vcc_lo
	s_delay_alu instid0(VALU_DEP_1) | instskip(NEXT) | instid1(VALU_DEP_1)
	v_and_or_b32 v2, 0x80000000, v2, v3
	v_cvt_f64_f32_e32 v[2:3], v2
.LBB320_841:
	s_mov_b32 s0, 0
.LBB320_842:
	s_delay_alu instid0(SALU_CYCLE_1)
	s_and_not1_b32 vcc_lo, exec_lo, s0
	s_cbranch_vccnz .LBB320_844
; %bb.843:
	global_load_u8 v2, v[0:1], off
	s_waitcnt vmcnt(0)
	v_lshlrev_b32_e32 v3, 25, v2
	v_lshlrev_b16 v2, 8, v2
	s_delay_alu instid0(VALU_DEP_2) | instskip(NEXT) | instid1(VALU_DEP_2)
	v_lshrrev_b32_e32 v4, 4, v3
	v_and_or_b32 v5, 0x7f00, v2, 0.5
	v_bfe_i32 v2, v2, 0, 16
	s_delay_alu instid0(VALU_DEP_3) | instskip(NEXT) | instid1(VALU_DEP_1)
	v_or_b32_e32 v4, 0x70000000, v4
	v_dual_add_f32 v5, -0.5, v5 :: v_dual_mul_f32 v4, 0x7800000, v4
	v_cmp_gt_u32_e32 vcc_lo, 0x8000000, v3
	s_delay_alu instid0(VALU_DEP_2) | instskip(NEXT) | instid1(VALU_DEP_1)
	v_cndmask_b32_e32 v3, v4, v5, vcc_lo
	v_and_or_b32 v2, 0x80000000, v2, v3
	s_delay_alu instid0(VALU_DEP_1)
	v_cvt_f64_f32_e32 v[2:3], v2
.LBB320_844:
	s_mov_b32 s1, 0
	s_mov_b32 s0, -1
.LBB320_845:
	s_and_not1_b32 vcc_lo, exec_lo, s1
	s_mov_b32 s26, 0
	s_cbranch_vccnz .LBB320_854
; %bb.846:
	v_cmp_lt_i16_e32 vcc_lo, 14, v10
	s_cbranch_vccz .LBB320_849
; %bb.847:
	v_cmp_eq_u16_e32 vcc_lo, 15, v10
	s_cbranch_vccz .LBB320_850
; %bb.848:
	global_load_u16 v2, v[0:1], off
	s_mov_b32 s25, 0
	s_mov_b32 s0, -1
	s_waitcnt vmcnt(0)
	v_lshlrev_b32_e32 v2, 16, v2
	s_delay_alu instid0(VALU_DEP_1)
	v_cvt_f64_f32_e32 v[2:3], v2
	s_branch .LBB320_851
.LBB320_849:
	s_mov_b32 s1, -1
                                        ; implicit-def: $vgpr2_vgpr3
	s_branch .LBB320_852
.LBB320_850:
	s_mov_b32 s25, -1
                                        ; implicit-def: $vgpr2_vgpr3
.LBB320_851:
	s_mov_b32 s1, 0
.LBB320_852:
	s_delay_alu instid0(SALU_CYCLE_1)
	s_and_b32 vcc_lo, exec_lo, s1
	s_cbranch_vccz .LBB320_854
; %bb.853:
	v_cmp_ne_u16_e32 vcc_lo, 11, v10
	s_and_not1_b32 s1, s25, exec_lo
	s_mov_b32 s26, -1
                                        ; implicit-def: $vgpr2_vgpr3
	s_and_b32 s25, vcc_lo, exec_lo
	s_delay_alu instid0(SALU_CYCLE_1)
	s_or_b32 s25, s1, s25
.LBB320_854:
	s_mov_b32 s1, 0
.LBB320_855:
	s_and_not1_b32 s27, s23, exec_lo
	s_and_b32 s25, s25, exec_lo
	s_and_b32 s28, s0, exec_lo
	;; [unrolled: 1-line block ×4, first 2 shown]
	s_or_b32 s27, s27, s25
.LBB320_856:
	s_or_b32 exec_lo, exec_lo, s16
	s_delay_alu instid0(SALU_CYCLE_1)
	s_and_not1_b32 s16, s23, exec_lo
	s_and_b32 s23, s27, exec_lo
	s_and_b32 s26, s28, exec_lo
	;; [unrolled: 1-line block ×4, first 2 shown]
	s_or_b32 s23, s16, s23
.LBB320_857:
	s_or_b32 exec_lo, exec_lo, s22
	s_delay_alu instid0(SALU_CYCLE_1)
	s_and_not1_b32 s0, s20, exec_lo
	s_and_b32 s16, s24, exec_lo
	s_and_b32 s22, s25, exec_lo
	s_or_b32 s20, s0, s16
	s_and_not1_b32 s16, s19, exec_lo
	s_and_b32 s19, s23, exec_lo
	s_and_b32 s0, s26, exec_lo
	;; [unrolled: 1-line block ×3, first 2 shown]
	s_or_b32 s19, s16, s19
.LBB320_858:
	s_or_b32 exec_lo, exec_lo, s21
	s_delay_alu instid0(SALU_CYCLE_1)
	s_and_not1_b32 s15, s15, exec_lo
	s_and_b32 s16, s20, exec_lo
	s_and_b32 s0, s0, exec_lo
	s_or_b32 s15, s15, s16
	s_and_not1_b32 s16, s17, exec_lo
	s_and_b32 s17, s19, exec_lo
	s_and_b32 s20, s22, exec_lo
	;; [unrolled: 1-line block ×3, first 2 shown]
	s_or_b32 s17, s16, s17
.LBB320_859:
	s_or_b32 exec_lo, exec_lo, s18
	s_mov_b32 s16, 0
	s_and_saveexec_b32 s1, s17
	s_cbranch_execnz .LBB320_871
; %bb.860:
	s_or_b32 exec_lo, exec_lo, s1
	s_and_saveexec_b32 s1, s19
	s_delay_alu instid0(SALU_CYCLE_1)
	s_xor_b32 s1, exec_lo, s1
	s_cbranch_execz .LBB320_862
.LBB320_861:
	global_load_u8 v2, v[0:1], off
	s_or_b32 s0, s0, exec_lo
	s_waitcnt vmcnt(0)
	v_cmp_ne_u16_e32 vcc_lo, 0, v2
	v_mov_b32_e32 v2, 0
	v_cndmask_b32_e64 v3, 0, 0x3ff00000, vcc_lo
.LBB320_862:
	s_or_b32 exec_lo, exec_lo, s1
	s_and_saveexec_b32 s1, s20
	s_cbranch_execz .LBB320_910
; %bb.863:
	v_cmp_gt_i16_e32 vcc_lo, 5, v10
	s_cbranch_vccnz .LBB320_868
; %bb.864:
	v_cmp_gt_i16_e32 vcc_lo, 8, v10
	s_cbranch_vccnz .LBB320_869
	;; [unrolled: 3-line block ×3, first 2 shown]
; %bb.866:
	v_cmp_lt_i16_e32 vcc_lo, 9, v10
	s_cbranch_vccz .LBB320_873
; %bb.867:
	global_load_b64 v[2:3], v[0:1], off
	s_mov_b32 s17, 0
	s_branch .LBB320_874
.LBB320_868:
                                        ; implicit-def: $vgpr2_vgpr3
	s_branch .LBB320_891
.LBB320_869:
                                        ; implicit-def: $vgpr2_vgpr3
	s_branch .LBB320_880
.LBB320_870:
	s_mov_b32 s17, -1
                                        ; implicit-def: $vgpr2_vgpr3
	s_branch .LBB320_877
.LBB320_871:
	s_cbranch_execnz .LBB320_919
; %bb.872:
	s_mov_b32 s16, exec_lo
	s_and_not1_b32 s19, s19, exec_lo
                                        ; implicit-def: $vgpr2_vgpr3
	s_or_b32 exec_lo, exec_lo, s1
	s_and_saveexec_b32 s1, s19
	s_delay_alu instid0(SALU_CYCLE_1)
	s_xor_b32 s1, exec_lo, s1
	s_cbranch_execnz .LBB320_861
	s_branch .LBB320_862
.LBB320_873:
	s_mov_b32 s17, -1
                                        ; implicit-def: $vgpr2_vgpr3
.LBB320_874:
	s_delay_alu instid0(SALU_CYCLE_1)
	s_and_not1_b32 vcc_lo, exec_lo, s17
	s_cbranch_vccnz .LBB320_876
; %bb.875:
	global_load_b32 v2, v[0:1], off
	s_waitcnt vmcnt(0)
	v_cvt_f64_f32_e32 v[2:3], v2
.LBB320_876:
	s_mov_b32 s17, 0
.LBB320_877:
	s_delay_alu instid0(SALU_CYCLE_1)
	s_and_not1_b32 vcc_lo, exec_lo, s17
	s_cbranch_vccnz .LBB320_879
; %bb.878:
	global_load_b32 v2, v[0:1], off
	s_waitcnt vmcnt(0)
	v_cvt_f32_f16_e32 v2, v2
	s_delay_alu instid0(VALU_DEP_1)
	v_cvt_f64_f32_e32 v[2:3], v2
.LBB320_879:
	s_cbranch_execnz .LBB320_890
.LBB320_880:
	v_cmp_gt_i16_e32 vcc_lo, 6, v10
	s_cbranch_vccnz .LBB320_883
; %bb.881:
	v_cmp_lt_i16_e32 vcc_lo, 6, v10
	s_cbranch_vccz .LBB320_884
; %bb.882:
	global_load_b64 v[2:3], v[0:1], off
	s_mov_b32 s17, 0
	s_branch .LBB320_885
.LBB320_883:
	s_mov_b32 s17, -1
                                        ; implicit-def: $vgpr2_vgpr3
	s_branch .LBB320_888
.LBB320_884:
	s_mov_b32 s17, -1
                                        ; implicit-def: $vgpr2_vgpr3
.LBB320_885:
	s_delay_alu instid0(SALU_CYCLE_1)
	s_and_not1_b32 vcc_lo, exec_lo, s17
	s_cbranch_vccnz .LBB320_887
; %bb.886:
	global_load_b32 v2, v[0:1], off
	s_waitcnt vmcnt(0)
	v_cvt_f64_f32_e32 v[2:3], v2
.LBB320_887:
	s_mov_b32 s17, 0
.LBB320_888:
	s_delay_alu instid0(SALU_CYCLE_1)
	s_and_not1_b32 vcc_lo, exec_lo, s17
	s_cbranch_vccnz .LBB320_890
; %bb.889:
	global_load_u16 v2, v[0:1], off
	s_waitcnt vmcnt(0)
	v_cvt_f32_f16_e32 v2, v2
	s_delay_alu instid0(VALU_DEP_1)
	v_cvt_f64_f32_e32 v[2:3], v2
.LBB320_890:
	s_cbranch_execnz .LBB320_909
.LBB320_891:
	v_cmp_gt_i16_e32 vcc_lo, 2, v10
	s_cbranch_vccnz .LBB320_895
; %bb.892:
	v_cmp_gt_i16_e32 vcc_lo, 3, v10
	s_cbranch_vccnz .LBB320_896
; %bb.893:
	v_cmp_lt_i16_e32 vcc_lo, 3, v10
	s_cbranch_vccz .LBB320_897
; %bb.894:
	global_load_b64 v[2:3], v[0:1], off
	s_mov_b32 s17, 0
	s_waitcnt vmcnt(0)
	v_cvt_f64_i32_e32 v[3:4], v3
	v_cvt_f64_u32_e32 v[5:6], v2
	s_delay_alu instid0(VALU_DEP_2) | instskip(NEXT) | instid1(VALU_DEP_1)
	v_ldexp_f64 v[3:4], v[3:4], 32
	v_add_f64 v[2:3], v[3:4], v[5:6]
	s_branch .LBB320_898
.LBB320_895:
                                        ; implicit-def: $vgpr2_vgpr3
	s_branch .LBB320_904
.LBB320_896:
	s_mov_b32 s17, -1
                                        ; implicit-def: $vgpr2_vgpr3
	s_branch .LBB320_901
.LBB320_897:
	s_mov_b32 s17, -1
                                        ; implicit-def: $vgpr2_vgpr3
.LBB320_898:
	s_delay_alu instid0(SALU_CYCLE_1)
	s_and_not1_b32 vcc_lo, exec_lo, s17
	s_cbranch_vccnz .LBB320_900
; %bb.899:
	global_load_b32 v2, v[0:1], off
	s_waitcnt vmcnt(0)
	v_cvt_f64_i32_e32 v[2:3], v2
.LBB320_900:
	s_mov_b32 s17, 0
.LBB320_901:
	s_delay_alu instid0(SALU_CYCLE_1)
	s_and_not1_b32 vcc_lo, exec_lo, s17
	s_cbranch_vccnz .LBB320_903
; %bb.902:
	global_load_i16 v2, v[0:1], off
	s_waitcnt vmcnt(0)
	v_cvt_f64_i32_e32 v[2:3], v2
.LBB320_903:
	s_cbranch_execnz .LBB320_909
.LBB320_904:
	v_cmp_lt_i16_e32 vcc_lo, 0, v10
	s_mov_b32 s17, 0
	s_cbranch_vccz .LBB320_906
; %bb.905:
	global_load_i8 v2, v[0:1], off
	s_waitcnt vmcnt(0)
	v_cvt_f64_i32_e32 v[2:3], v2
	s_branch .LBB320_907
.LBB320_906:
	s_mov_b32 s17, -1
                                        ; implicit-def: $vgpr2_vgpr3
.LBB320_907:
	s_delay_alu instid0(SALU_CYCLE_1)
	s_and_not1_b32 vcc_lo, exec_lo, s17
	s_cbranch_vccnz .LBB320_909
; %bb.908:
	global_load_u8 v0, v[0:1], off
	s_waitcnt vmcnt(0)
	v_cvt_f64_u32_e32 v[2:3], v0
.LBB320_909:
	s_or_b32 s0, s0, exec_lo
.LBB320_910:
	s_or_b32 exec_lo, exec_lo, s1
	s_mov_b32 s18, 0
	s_mov_b32 s1, 0
                                        ; implicit-def: $vgpr6
                                        ; implicit-def: $vgpr4_vgpr5
                                        ; implicit-def: $vgpr0_vgpr1
	s_and_saveexec_b32 s17, s0
	s_cbranch_execz .LBB320_990
; %bb.911:
	v_max_f64 v[0:1], s[8:9], s[8:9]
	s_waitcnt vmcnt(0)
	s_delay_alu instid0(VALU_DEP_2) | instskip(SKIP_2) | instid1(VALU_DEP_3)
	v_max_f64 v[4:5], v[2:3], v[2:3]
	v_max_f64 v[6:7], s[10:11], s[10:11]
	v_cmp_u_f64_e32 vcc_lo, v[2:3], v[2:3]
	v_max_f64 v[0:1], v[4:5], v[0:1]
	v_mul_lo_u32 v4, v14, s2
	s_delay_alu instid0(VALU_DEP_1) | instskip(SKIP_1) | instid1(VALU_DEP_1)
	v_ashrrev_i32_e32 v5, 31, v4
	v_add_co_u32 v4, s1, s4, v4
	v_add_co_ci_u32_e64 v5, s1, s5, v5, s1
	v_min_f64 v[0:1], v[0:1], v[6:7]
	v_and_b32_e64 v6, 0xff, s12
	s_delay_alu instid0(VALU_DEP_1) | instskip(NEXT) | instid1(VALU_DEP_3)
	v_cmp_gt_i16_e64 s0, 11, v6
	v_dual_cndmask_b32 v1, v1, v3 :: v_dual_cndmask_b32 v0, v0, v2
	s_delay_alu instid0(VALU_DEP_2)
	s_and_b32 vcc_lo, exec_lo, s0
	s_cbranch_vccnz .LBB320_918
; %bb.912:
	v_cmp_lt_i16_e32 vcc_lo, 25, v6
	s_mov_b32 s1, -1
	s_mov_b32 s0, s15
	s_cbranch_vccz .LBB320_948
; %bb.913:
	v_cmp_lt_i16_e32 vcc_lo, 28, v6
	s_mov_b32 s0, s15
	s_cbranch_vccz .LBB320_932
; %bb.914:
	v_cmp_lt_i16_e32 vcc_lo, 43, v6
	;; [unrolled: 4-line block ×3, first 2 shown]
	s_mov_b32 s0, s15
	s_cbranch_vccz .LBB320_922
; %bb.916:
	v_cmp_eq_u16_e32 vcc_lo, 46, v6
	s_mov_b32 s0, -1
	s_cbranch_vccz .LBB320_921
; %bb.917:
	v_cvt_f32_f64_e32 v2, v[0:1]
	s_mov_b32 s0, 0
	s_mov_b32 s1, 0
	s_delay_alu instid0(VALU_DEP_1) | instskip(SKIP_1) | instid1(VALU_DEP_2)
	v_bfe_u32 v3, v2, 16, 1
	v_cmp_o_f32_e32 vcc_lo, v2, v2
	v_add3_u32 v3, v2, v3, 0x7fff
	s_delay_alu instid0(VALU_DEP_1) | instskip(NEXT) | instid1(VALU_DEP_1)
	v_lshrrev_b32_e32 v3, 16, v3
	v_cndmask_b32_e32 v2, 0x7fc0, v3, vcc_lo
	global_store_b32 v[4:5], v2, off
	s_branch .LBB320_922
.LBB320_918:
	s_mov_b32 s1, -1
	s_mov_b32 s0, s15
	s_branch .LBB320_989
.LBB320_919:
	s_trap 2
	s_sendmsg_rtn_b32 s0, sendmsg(MSG_RTN_GET_DOORBELL)
	s_mov_b32 ttmp2, m0
	s_waitcnt lgkmcnt(0)
	s_and_b32 s0, s0, 0x3ff
	s_delay_alu instid0(SALU_CYCLE_1) | instskip(NEXT) | instid1(SALU_CYCLE_1)
	s_bitset1_b32 s0, 10
	s_mov_b32 m0, s0
	s_sendmsg sendmsg(MSG_INTERRUPT)
	s_mov_b32 m0, ttmp2
.LBB320_920:                            ; =>This Inner Loop Header: Depth=1
	s_sethalt 5
	s_branch .LBB320_920
.LBB320_921:
	s_mov_b32 s1, 0
.LBB320_922:
	s_delay_alu instid0(SALU_CYCLE_1)
	s_and_b32 vcc_lo, exec_lo, s1
	s_cbranch_vccz .LBB320_927
; %bb.923:
	v_cmp_eq_u16_e32 vcc_lo, 44, v6
	s_mov_b32 s0, -1
	s_cbranch_vccz .LBB320_927
; %bb.924:
	v_cvt_f32_f64_e32 v2, v[0:1]
	v_mov_b32_e32 v3, 0xff
	s_mov_b32 s1, exec_lo
	s_delay_alu instid0(VALU_DEP_2) | instskip(NEXT) | instid1(VALU_DEP_1)
	v_bfe_u32 v7, v2, 23, 8
	v_cmpx_ne_u32_e32 0xff, v7
; %bb.925:
	v_and_b32_e32 v3, 0x400000, v2
	v_and_or_b32 v7, 0x3fffff, v2, v7
	v_lshrrev_b32_e32 v2, 23, v2
	s_delay_alu instid0(VALU_DEP_3) | instskip(NEXT) | instid1(VALU_DEP_3)
	v_cmp_ne_u32_e32 vcc_lo, 0, v3
	v_cmp_ne_u32_e64 s0, 0, v7
	s_delay_alu instid0(VALU_DEP_1) | instskip(NEXT) | instid1(SALU_CYCLE_1)
	s_and_b32 s0, vcc_lo, s0
	v_cndmask_b32_e64 v3, 0, 1, s0
	s_delay_alu instid0(VALU_DEP_1)
	v_add_nc_u32_e32 v3, v2, v3
; %bb.926:
	s_or_b32 exec_lo, exec_lo, s1
	s_mov_b32 s0, 0
	global_store_b8 v[4:5], v3, off
.LBB320_927:
	s_mov_b32 s1, 0
.LBB320_928:
	s_delay_alu instid0(SALU_CYCLE_1)
	s_and_b32 vcc_lo, exec_lo, s1
	s_cbranch_vccz .LBB320_931
; %bb.929:
	v_cmp_eq_u16_e32 vcc_lo, 29, v6
	s_mov_b32 s0, -1
	s_cbranch_vccz .LBB320_931
; %bb.930:
	v_trunc_f64_e32 v[2:3], v[0:1]
	s_mov_b32 s0, 0
	s_mov_b32 s1, 0
	s_delay_alu instid0(VALU_DEP_1) | instskip(NEXT) | instid1(VALU_DEP_1)
	v_ldexp_f64 v[7:8], v[2:3], 0xffffffe0
	v_floor_f64_e32 v[7:8], v[7:8]
	s_delay_alu instid0(VALU_DEP_1) | instskip(SKIP_1) | instid1(VALU_DEP_2)
	v_fma_f64 v[2:3], 0xc1f00000, v[7:8], v[2:3]
	v_cvt_u32_f64_e32 v8, v[7:8]
	v_cvt_u32_f64_e32 v7, v[2:3]
	global_store_b64 v[4:5], v[7:8], off
	s_branch .LBB320_932
.LBB320_931:
	s_mov_b32 s1, 0
.LBB320_932:
	s_delay_alu instid0(SALU_CYCLE_1)
	s_and_b32 vcc_lo, exec_lo, s1
	s_cbranch_vccz .LBB320_947
; %bb.933:
	v_cmp_gt_i16_e32 vcc_lo, 27, v6
	s_mov_b32 s1, -1
	s_cbranch_vccnz .LBB320_939
; %bb.934:
	v_cvt_u32_f64_e32 v2, v[0:1]
	v_cmp_lt_i16_e32 vcc_lo, 27, v6
	s_cbranch_vccz .LBB320_936
; %bb.935:
	s_mov_b32 s1, 0
	global_store_b32 v[4:5], v2, off
.LBB320_936:
	s_and_not1_b32 vcc_lo, exec_lo, s1
	s_cbranch_vccnz .LBB320_938
; %bb.937:
	global_store_b16 v[4:5], v2, off
.LBB320_938:
	s_mov_b32 s1, 0
.LBB320_939:
	s_delay_alu instid0(SALU_CYCLE_1)
	s_and_not1_b32 vcc_lo, exec_lo, s1
	s_cbranch_vccnz .LBB320_947
; %bb.940:
	v_cvt_f32_f64_e32 v2, v[0:1]
	v_mov_b32_e32 v7, 0x80
	s_mov_b32 s1, exec_lo
	s_delay_alu instid0(VALU_DEP_2) | instskip(NEXT) | instid1(VALU_DEP_1)
	v_and_b32_e32 v3, 0x7fffffff, v2
	v_cmpx_gt_u32_e32 0x43800000, v3
	s_cbranch_execz .LBB320_946
; %bb.941:
	v_cmp_lt_u32_e32 vcc_lo, 0x3bffffff, v3
                                        ; implicit-def: $vgpr3
	s_and_saveexec_b32 s19, vcc_lo
	s_delay_alu instid0(SALU_CYCLE_1)
	s_xor_b32 s19, exec_lo, s19
	s_cbranch_execz .LBB320_1181
; %bb.942:
	v_bfe_u32 v3, v2, 20, 1
	s_mov_b32 s18, exec_lo
	s_delay_alu instid0(VALU_DEP_1) | instskip(NEXT) | instid1(VALU_DEP_1)
	v_add3_u32 v3, v2, v3, 0x487ffff
	v_lshrrev_b32_e32 v3, 20, v3
	s_or_saveexec_b32 s19, s19
                                        ; implicit-def: $sgpr20
	s_delay_alu instid0(SALU_CYCLE_1)
	s_xor_b32 exec_lo, exec_lo, s19
	s_cbranch_execnz .LBB320_1182
.LBB320_943:
	s_or_b32 exec_lo, exec_lo, s19
	v_mov_b32_e32 v7, s20
	s_and_saveexec_b32 s19, s18
.LBB320_944:
	v_lshrrev_b32_e32 v2, 24, v2
	s_delay_alu instid0(VALU_DEP_1)
	v_and_or_b32 v7, 0x80, v2, v3
.LBB320_945:
	s_or_b32 exec_lo, exec_lo, s19
.LBB320_946:
	s_delay_alu instid0(SALU_CYCLE_1)
	s_or_b32 exec_lo, exec_lo, s1
	global_store_b8 v[4:5], v7, off
.LBB320_947:
	s_mov_b32 s1, 0
.LBB320_948:
	s_delay_alu instid0(SALU_CYCLE_1)
	s_and_b32 vcc_lo, exec_lo, s1
	s_mov_b32 s1, 0
	s_cbranch_vccz .LBB320_988
; %bb.949:
	v_cmp_lt_i16_e32 vcc_lo, 22, v6
	s_mov_b32 s18, -1
	s_cbranch_vccz .LBB320_981
; %bb.950:
	v_cmp_gt_i16_e32 vcc_lo, 24, v6
	s_cbranch_vccnz .LBB320_970
; %bb.951:
	v_cmp_lt_i16_e32 vcc_lo, 24, v6
	s_cbranch_vccz .LBB320_959
; %bb.952:
	v_cvt_f32_f64_e32 v2, v[0:1]
	v_mov_b32_e32 v7, 0x80
	s_mov_b32 s18, exec_lo
	s_delay_alu instid0(VALU_DEP_2) | instskip(NEXT) | instid1(VALU_DEP_1)
	v_and_b32_e32 v3, 0x7fffffff, v2
	v_cmpx_gt_u32_e32 0x47800000, v3
	s_cbranch_execz .LBB320_958
; %bb.953:
	v_cmp_lt_u32_e32 vcc_lo, 0x37ffffff, v3
	s_mov_b32 s19, 0
                                        ; implicit-def: $vgpr3
	s_and_saveexec_b32 s20, vcc_lo
	s_delay_alu instid0(SALU_CYCLE_1)
	s_xor_b32 s20, exec_lo, s20
	s_cbranch_execz .LBB320_1225
; %bb.954:
	v_bfe_u32 v3, v2, 21, 1
	s_mov_b32 s19, exec_lo
	s_delay_alu instid0(VALU_DEP_1) | instskip(NEXT) | instid1(VALU_DEP_1)
	v_add3_u32 v3, v2, v3, 0x88fffff
	v_lshrrev_b32_e32 v3, 21, v3
	s_or_saveexec_b32 s20, s20
                                        ; implicit-def: $sgpr21
	s_delay_alu instid0(SALU_CYCLE_1)
	s_xor_b32 exec_lo, exec_lo, s20
	s_cbranch_execnz .LBB320_1226
.LBB320_955:
	s_or_b32 exec_lo, exec_lo, s20
	v_mov_b32_e32 v7, s21
	s_and_saveexec_b32 s20, s19
.LBB320_956:
	v_lshrrev_b32_e32 v2, 24, v2
	s_delay_alu instid0(VALU_DEP_1)
	v_and_or_b32 v7, 0x80, v2, v3
.LBB320_957:
	s_or_b32 exec_lo, exec_lo, s20
.LBB320_958:
	s_delay_alu instid0(SALU_CYCLE_1)
	s_or_b32 exec_lo, exec_lo, s18
	s_mov_b32 s18, 0
	global_store_b8 v[4:5], v7, off
.LBB320_959:
	s_and_b32 vcc_lo, exec_lo, s18
	s_cbranch_vccz .LBB320_969
; %bb.960:
	v_cvt_f32_f64_e32 v2, v[0:1]
	s_mov_b32 s18, exec_lo
                                        ; implicit-def: $vgpr3
	s_delay_alu instid0(VALU_DEP_1) | instskip(NEXT) | instid1(VALU_DEP_1)
	v_and_b32_e32 v7, 0x7fffffff, v2
	v_cmpx_gt_u32_e32 0x43f00000, v7
	s_xor_b32 s18, exec_lo, s18
	s_cbranch_execz .LBB320_966
; %bb.961:
	s_mov_b32 s19, exec_lo
                                        ; implicit-def: $vgpr3
	v_cmpx_lt_u32_e32 0x3c7fffff, v7
	s_xor_b32 s19, exec_lo, s19
; %bb.962:
	v_bfe_u32 v3, v2, 20, 1
	s_delay_alu instid0(VALU_DEP_1) | instskip(NEXT) | instid1(VALU_DEP_1)
	v_add3_u32 v3, v2, v3, 0x407ffff
	v_and_b32_e32 v7, 0xff00000, v3
	v_lshrrev_b32_e32 v3, 20, v3
	s_delay_alu instid0(VALU_DEP_2) | instskip(NEXT) | instid1(VALU_DEP_2)
	v_cmp_ne_u32_e32 vcc_lo, 0x7f00000, v7
	v_cndmask_b32_e32 v3, 0x7e, v3, vcc_lo
; %bb.963:
	s_and_not1_saveexec_b32 s19, s19
; %bb.964:
	v_add_f32_e64 v3, 0x46800000, |v2|
; %bb.965:
	s_or_b32 exec_lo, exec_lo, s19
                                        ; implicit-def: $vgpr7
.LBB320_966:
	s_and_not1_saveexec_b32 s18, s18
; %bb.967:
	v_mov_b32_e32 v3, 0x7f
	v_cmp_lt_u32_e32 vcc_lo, 0x7f800000, v7
	s_delay_alu instid0(VALU_DEP_2)
	v_cndmask_b32_e32 v3, 0x7e, v3, vcc_lo
; %bb.968:
	s_or_b32 exec_lo, exec_lo, s18
	v_lshrrev_b32_e32 v2, 24, v2
	s_delay_alu instid0(VALU_DEP_1)
	v_and_or_b32 v2, 0x80, v2, v3
	global_store_b8 v[4:5], v2, off
.LBB320_969:
	s_mov_b32 s18, 0
.LBB320_970:
	s_delay_alu instid0(SALU_CYCLE_1)
	s_and_not1_b32 vcc_lo, exec_lo, s18
	s_cbranch_vccnz .LBB320_980
; %bb.971:
	v_cvt_f32_f64_e32 v2, v[0:1]
	s_mov_b32 s18, exec_lo
                                        ; implicit-def: $vgpr3
	s_delay_alu instid0(VALU_DEP_1) | instskip(NEXT) | instid1(VALU_DEP_1)
	v_and_b32_e32 v7, 0x7fffffff, v2
	v_cmpx_gt_u32_e32 0x47800000, v7
	s_xor_b32 s18, exec_lo, s18
	s_cbranch_execz .LBB320_977
; %bb.972:
	s_mov_b32 s19, exec_lo
                                        ; implicit-def: $vgpr3
	v_cmpx_lt_u32_e32 0x387fffff, v7
	s_xor_b32 s19, exec_lo, s19
; %bb.973:
	v_bfe_u32 v3, v2, 21, 1
	s_delay_alu instid0(VALU_DEP_1) | instskip(NEXT) | instid1(VALU_DEP_1)
	v_add3_u32 v3, v2, v3, 0x80fffff
	v_lshrrev_b32_e32 v3, 21, v3
; %bb.974:
	s_and_not1_saveexec_b32 s19, s19
; %bb.975:
	v_add_f32_e64 v3, 0x43000000, |v2|
; %bb.976:
	s_or_b32 exec_lo, exec_lo, s19
                                        ; implicit-def: $vgpr7
.LBB320_977:
	s_and_not1_saveexec_b32 s18, s18
; %bb.978:
	v_mov_b32_e32 v3, 0x7f
	v_cmp_lt_u32_e32 vcc_lo, 0x7f800000, v7
	s_delay_alu instid0(VALU_DEP_2)
	v_cndmask_b32_e32 v3, 0x7c, v3, vcc_lo
; %bb.979:
	s_or_b32 exec_lo, exec_lo, s18
	v_lshrrev_b32_e32 v2, 24, v2
	s_delay_alu instid0(VALU_DEP_1)
	v_and_or_b32 v2, 0x80, v2, v3
	global_store_b8 v[4:5], v2, off
.LBB320_980:
	s_mov_b32 s18, 0
.LBB320_981:
	s_delay_alu instid0(SALU_CYCLE_1)
	s_and_not1_b32 vcc_lo, exec_lo, s18
	s_mov_b32 s18, 0
	s_cbranch_vccnz .LBB320_989
; %bb.982:
	v_cmp_lt_i16_e32 vcc_lo, 14, v6
	s_mov_b32 s18, -1
	s_cbranch_vccz .LBB320_986
; %bb.983:
	v_cmp_eq_u16_e32 vcc_lo, 15, v6
	s_mov_b32 s0, -1
	s_cbranch_vccz .LBB320_985
; %bb.984:
	v_cvt_f32_f64_e32 v2, v[0:1]
	s_mov_b32 s0, 0
	s_delay_alu instid0(VALU_DEP_1) | instskip(SKIP_1) | instid1(VALU_DEP_2)
	v_bfe_u32 v3, v2, 16, 1
	v_cmp_o_f32_e32 vcc_lo, v2, v2
	v_add3_u32 v3, v2, v3, 0x7fff
	s_delay_alu instid0(VALU_DEP_1) | instskip(NEXT) | instid1(VALU_DEP_1)
	v_lshrrev_b32_e32 v3, 16, v3
	v_cndmask_b32_e32 v2, 0x7fc0, v3, vcc_lo
	global_store_b16 v[4:5], v2, off
.LBB320_985:
	s_mov_b32 s18, 0
.LBB320_986:
	s_delay_alu instid0(SALU_CYCLE_1)
	s_and_b32 vcc_lo, exec_lo, s18
	s_mov_b32 s18, 0
	s_cbranch_vccz .LBB320_989
; %bb.987:
	v_cmp_ne_u16_e32 vcc_lo, 11, v6
	s_and_not1_b32 s0, s0, exec_lo
	s_mov_b32 s18, -1
	s_and_b32 s19, vcc_lo, exec_lo
	s_delay_alu instid0(SALU_CYCLE_1)
	s_or_b32 s0, s0, s19
	s_branch .LBB320_989
.LBB320_988:
	s_mov_b32 s18, 0
.LBB320_989:
	s_and_not1_b32 s15, s15, exec_lo
	s_and_b32 s0, s0, exec_lo
	s_and_b32 s1, s1, exec_lo
	;; [unrolled: 1-line block ×3, first 2 shown]
	s_or_b32 s15, s15, s0
.LBB320_990:
	s_or_b32 exec_lo, exec_lo, s17
	s_and_saveexec_b32 s0, s15
	s_cbranch_execnz .LBB320_1052
; %bb.991:
	s_or_b32 exec_lo, exec_lo, s0
	s_and_saveexec_b32 s0, s18
	s_delay_alu instid0(SALU_CYCLE_1)
	s_xor_b32 s0, exec_lo, s0
	s_cbranch_execz .LBB320_993
.LBB320_992:
	v_cmp_neq_f64_e32 vcc_lo, 0, v[0:1]
	s_waitcnt vmcnt(0)
	v_cndmask_b32_e64 v2, 0, 1, vcc_lo
	global_store_b8 v[4:5], v2, off
.LBB320_993:
	s_or_b32 exec_lo, exec_lo, s0
	s_and_saveexec_b32 s0, s1
	s_delay_alu instid0(SALU_CYCLE_1)
	s_xor_b32 s0, exec_lo, s0
	s_cbranch_execz .LBB320_1031
; %bb.994:
	v_cmp_gt_i16_e32 vcc_lo, 5, v6
	s_mov_b32 s1, -1
	s_cbranch_vccnz .LBB320_1015
; %bb.995:
	v_cmp_gt_i16_e32 vcc_lo, 8, v6
	s_cbranch_vccnz .LBB320_1005
; %bb.996:
	v_cmp_gt_i16_e32 vcc_lo, 9, v6
	s_cbranch_vccnz .LBB320_1002
; %bb.997:
	v_cmp_lt_i16_e32 vcc_lo, 9, v6
	s_cbranch_vccz .LBB320_999
; %bb.998:
	s_waitcnt vmcnt(0)
	v_mov_b32_e32 v2, 0
	s_mov_b32 s1, 0
	s_delay_alu instid0(VALU_DEP_1)
	v_mov_b32_e32 v3, v2
	global_store_b128 v[4:5], v[0:3], off
.LBB320_999:
	s_and_not1_b32 vcc_lo, exec_lo, s1
	s_cbranch_vccnz .LBB320_1001
; %bb.1000:
	s_waitcnt vmcnt(0)
	v_cvt_f32_f64_e32 v2, v[0:1]
	v_mov_b32_e32 v3, 0
	global_store_b64 v[4:5], v[2:3], off
.LBB320_1001:
	s_mov_b32 s1, 0
.LBB320_1002:
	s_delay_alu instid0(SALU_CYCLE_1)
	s_and_not1_b32 vcc_lo, exec_lo, s1
	s_cbranch_vccnz .LBB320_1004
; %bb.1003:
	s_waitcnt vmcnt(0)
	v_cvt_f32_f64_e32 v2, v[0:1]
	s_delay_alu instid0(VALU_DEP_1) | instskip(NEXT) | instid1(VALU_DEP_1)
	v_cvt_f16_f32_e32 v2, v2
	v_and_b32_e32 v2, 0xffff, v2
	global_store_b32 v[4:5], v2, off
.LBB320_1004:
	s_mov_b32 s1, 0
.LBB320_1005:
	s_delay_alu instid0(SALU_CYCLE_1)
	s_and_not1_b32 vcc_lo, exec_lo, s1
	s_cbranch_vccnz .LBB320_1014
; %bb.1006:
	v_cmp_gt_i16_e32 vcc_lo, 6, v6
	s_mov_b32 s1, -1
	s_cbranch_vccnz .LBB320_1012
; %bb.1007:
	v_cmp_lt_i16_e32 vcc_lo, 6, v6
	s_cbranch_vccz .LBB320_1009
; %bb.1008:
	s_mov_b32 s1, 0
	global_store_b64 v[4:5], v[0:1], off
.LBB320_1009:
	s_and_not1_b32 vcc_lo, exec_lo, s1
	s_cbranch_vccnz .LBB320_1011
; %bb.1010:
	s_waitcnt vmcnt(0)
	v_cvt_f32_f64_e32 v2, v[0:1]
	global_store_b32 v[4:5], v2, off
.LBB320_1011:
	s_mov_b32 s1, 0
.LBB320_1012:
	s_delay_alu instid0(SALU_CYCLE_1)
	s_and_not1_b32 vcc_lo, exec_lo, s1
	s_cbranch_vccnz .LBB320_1014
; %bb.1013:
	s_waitcnt vmcnt(0)
	v_cvt_f32_f64_e32 v2, v[0:1]
	s_delay_alu instid0(VALU_DEP_1)
	v_cvt_f16_f32_e32 v2, v2
	global_store_b16 v[4:5], v2, off
.LBB320_1014:
	s_mov_b32 s1, 0
.LBB320_1015:
	s_delay_alu instid0(SALU_CYCLE_1)
	s_and_not1_b32 vcc_lo, exec_lo, s1
	s_cbranch_vccnz .LBB320_1031
; %bb.1016:
	v_cmp_gt_i16_e32 vcc_lo, 2, v6
	s_mov_b32 s1, -1
	s_cbranch_vccnz .LBB320_1026
; %bb.1017:
	v_cmp_gt_i16_e32 vcc_lo, 3, v6
	s_cbranch_vccnz .LBB320_1023
; %bb.1018:
	v_cmp_lt_i16_e32 vcc_lo, 3, v6
	s_cbranch_vccz .LBB320_1020
; %bb.1019:
	s_waitcnt vmcnt(0)
	v_trunc_f64_e32 v[2:3], v[0:1]
	s_mov_b32 s1, 0
	s_delay_alu instid0(VALU_DEP_1) | instskip(NEXT) | instid1(VALU_DEP_1)
	v_ldexp_f64 v[7:8], v[2:3], 0xffffffe0
	v_floor_f64_e32 v[7:8], v[7:8]
	s_delay_alu instid0(VALU_DEP_1) | instskip(SKIP_1) | instid1(VALU_DEP_2)
	v_fma_f64 v[2:3], 0xc1f00000, v[7:8], v[2:3]
	v_cvt_i32_f64_e32 v8, v[7:8]
	v_cvt_u32_f64_e32 v7, v[2:3]
	global_store_b64 v[4:5], v[7:8], off
.LBB320_1020:
	s_and_not1_b32 vcc_lo, exec_lo, s1
	s_cbranch_vccnz .LBB320_1022
; %bb.1021:
	s_waitcnt vmcnt(0)
	v_cvt_i32_f64_e32 v2, v[0:1]
	global_store_b32 v[4:5], v2, off
.LBB320_1022:
	s_mov_b32 s1, 0
.LBB320_1023:
	s_delay_alu instid0(SALU_CYCLE_1)
	s_and_not1_b32 vcc_lo, exec_lo, s1
	s_cbranch_vccnz .LBB320_1025
; %bb.1024:
	s_waitcnt vmcnt(0)
	v_cvt_i32_f64_e32 v2, v[0:1]
	global_store_b16 v[4:5], v2, off
.LBB320_1025:
	s_mov_b32 s1, 0
.LBB320_1026:
	s_delay_alu instid0(SALU_CYCLE_1)
	s_and_not1_b32 vcc_lo, exec_lo, s1
	s_cbranch_vccnz .LBB320_1031
; %bb.1027:
	v_cmp_lt_i16_e32 vcc_lo, 0, v6
	s_mov_b32 s1, -1
	s_cbranch_vccz .LBB320_1029
; %bb.1028:
	s_waitcnt vmcnt(0)
	v_cvt_i32_f64_e32 v2, v[0:1]
	s_mov_b32 s1, 0
	global_store_b8 v[4:5], v2, off
.LBB320_1029:
	s_and_not1_b32 vcc_lo, exec_lo, s1
	s_cbranch_vccnz .LBB320_1031
; %bb.1030:
	v_trunc_f64_e32 v[0:1], v[0:1]
	s_waitcnt vmcnt(0)
	s_delay_alu instid0(VALU_DEP_1) | instskip(NEXT) | instid1(VALU_DEP_1)
	v_ldexp_f64 v[2:3], v[0:1], 0xffffffe0
	v_floor_f64_e32 v[2:3], v[2:3]
	s_delay_alu instid0(VALU_DEP_1) | instskip(NEXT) | instid1(VALU_DEP_1)
	v_fma_f64 v[0:1], 0xc1f00000, v[2:3], v[0:1]
	v_cvt_u32_f64_e32 v0, v[0:1]
	global_store_b8 v[4:5], v0, off
.LBB320_1031:
	s_or_b32 exec_lo, exec_lo, s0
	s_delay_alu instid0(SALU_CYCLE_1)
	s_and_b32 s15, s16, exec_lo
                                        ; implicit-def: $vgpr14
                                        ; implicit-def: $vgpr10
.LBB320_1032:
	s_or_saveexec_b32 s14, s14
	s_mov_b32 s0, 0
                                        ; implicit-def: $vgpr16
                                        ; implicit-def: $vgpr4_vgpr5
                                        ; implicit-def: $vgpr0_vgpr1
	s_xor_b32 exec_lo, exec_lo, s14
	s_cbranch_execz .LBB320_1997
; %bb.1033:
	v_mul_lo_u32 v4, s3, v14
	v_cmp_gt_i16_e32 vcc_lo, 11, v10
	s_and_b32 vcc_lo, exec_lo, vcc_lo
	s_delay_alu instid0(VALU_DEP_2) | instskip(SKIP_2) | instid1(VALU_DEP_1)
	v_ashrrev_i32_e32 v0, 31, v4
	s_waitcnt vmcnt(0)
	v_add_co_u32 v2, s0, s6, v4
	v_add_co_ci_u32_e64 v3, s0, s7, v0, s0
	s_cbranch_vccnz .LBB320_1040
; %bb.1034:
	v_cmp_lt_i16_e32 vcc_lo, 25, v10
	s_mov_b32 s16, 0
	s_cbranch_vccz .LBB320_1046
; %bb.1035:
	v_cmp_lt_i16_e32 vcc_lo, 28, v10
	s_cbranch_vccz .LBB320_1048
; %bb.1036:
	v_cmp_lt_i16_e32 vcc_lo, 43, v10
	;; [unrolled: 3-line block ×3, first 2 shown]
	s_cbranch_vccz .LBB320_1054
; %bb.1038:
	v_cmp_eq_u16_e32 vcc_lo, 46, v10
	s_mov_b32 s1, 0
	s_cbranch_vccz .LBB320_1094
; %bb.1039:
	global_load_b32 v0, v[2:3], off
	s_mov_b32 s0, -1
	s_waitcnt vmcnt(0)
	v_lshlrev_b32_e32 v0, 16, v0
	s_delay_alu instid0(VALU_DEP_1)
	v_cvt_f64_f32_e32 v[0:1], v0
	s_branch .LBB320_1096
.LBB320_1040:
	s_mov_b32 s0, 0
	s_mov_b32 s13, s15
                                        ; implicit-def: $vgpr0_vgpr1
	s_cbranch_execz .LBB320_1159
; %bb.1041:
	v_cmp_gt_i16_e32 vcc_lo, 5, v10
	s_cbranch_vccnz .LBB320_1047
; %bb.1042:
	v_cmp_gt_i16_e32 vcc_lo, 8, v10
	s_cbranch_vccnz .LBB320_1049
	;; [unrolled: 3-line block ×3, first 2 shown]
; %bb.1044:
	v_cmp_lt_i16_e32 vcc_lo, 9, v10
	s_cbranch_vccz .LBB320_1055
; %bb.1045:
	global_load_b64 v[0:1], v[2:3], off
	s_mov_b32 s0, 0
	s_branch .LBB320_1056
.LBB320_1046:
	s_mov_b32 s0, 0
                                        ; implicit-def: $vgpr0_vgpr1
	s_cbranch_execnz .LBB320_1126
	s_branch .LBB320_1155
.LBB320_1047:
                                        ; implicit-def: $vgpr0_vgpr1
	s_branch .LBB320_1073
.LBB320_1048:
	s_mov_b32 s1, -1
	s_mov_b32 s0, 0
                                        ; implicit-def: $vgpr0_vgpr1
	s_branch .LBB320_1105
.LBB320_1049:
                                        ; implicit-def: $vgpr0_vgpr1
	s_branch .LBB320_1062
.LBB320_1050:
	s_mov_b32 s0, 0
                                        ; implicit-def: $vgpr0_vgpr1
	s_cbranch_execnz .LBB320_1101
	s_branch .LBB320_1104
.LBB320_1051:
	s_mov_b32 s0, -1
                                        ; implicit-def: $vgpr0_vgpr1
	s_branch .LBB320_1059
.LBB320_1052:
	s_cbranch_execnz .LBB320_1092
; %bb.1053:
	s_or_b32 s16, s16, exec_lo
	s_and_not1_b32 s18, s18, exec_lo
	s_or_b32 exec_lo, exec_lo, s0
	s_and_saveexec_b32 s0, s18
	s_delay_alu instid0(SALU_CYCLE_1)
	s_xor_b32 s0, exec_lo, s0
	s_cbranch_execnz .LBB320_992
	s_branch .LBB320_993
.LBB320_1054:
	s_mov_b32 s1, -1
	s_branch .LBB320_1095
.LBB320_1055:
	s_mov_b32 s0, -1
                                        ; implicit-def: $vgpr0_vgpr1
.LBB320_1056:
	s_delay_alu instid0(SALU_CYCLE_1)
	s_and_not1_b32 vcc_lo, exec_lo, s0
	s_cbranch_vccnz .LBB320_1058
; %bb.1057:
	global_load_b32 v0, v[2:3], off
	s_waitcnt vmcnt(0)
	v_cvt_f64_f32_e32 v[0:1], v0
.LBB320_1058:
	s_mov_b32 s0, 0
.LBB320_1059:
	s_delay_alu instid0(SALU_CYCLE_1)
	s_and_not1_b32 vcc_lo, exec_lo, s0
	s_cbranch_vccnz .LBB320_1061
; %bb.1060:
	global_load_b32 v0, v[2:3], off
	s_waitcnt vmcnt(0)
	v_cvt_f32_f16_e32 v0, v0
	s_delay_alu instid0(VALU_DEP_1)
	v_cvt_f64_f32_e32 v[0:1], v0
.LBB320_1061:
	s_cbranch_execnz .LBB320_1072
.LBB320_1062:
	v_cmp_gt_i16_e32 vcc_lo, 6, v10
	s_cbranch_vccnz .LBB320_1065
; %bb.1063:
	v_cmp_lt_i16_e32 vcc_lo, 6, v10
	s_cbranch_vccz .LBB320_1066
; %bb.1064:
	global_load_b64 v[0:1], v[2:3], off
	s_mov_b32 s0, 0
	s_branch .LBB320_1067
.LBB320_1065:
	s_mov_b32 s0, -1
                                        ; implicit-def: $vgpr0_vgpr1
	s_branch .LBB320_1070
.LBB320_1066:
	s_mov_b32 s0, -1
                                        ; implicit-def: $vgpr0_vgpr1
.LBB320_1067:
	s_delay_alu instid0(SALU_CYCLE_1)
	s_and_not1_b32 vcc_lo, exec_lo, s0
	s_cbranch_vccnz .LBB320_1069
; %bb.1068:
	global_load_b32 v0, v[2:3], off
	s_waitcnt vmcnt(0)
	v_cvt_f64_f32_e32 v[0:1], v0
.LBB320_1069:
	s_mov_b32 s0, 0
.LBB320_1070:
	s_delay_alu instid0(SALU_CYCLE_1)
	s_and_not1_b32 vcc_lo, exec_lo, s0
	s_cbranch_vccnz .LBB320_1072
; %bb.1071:
	global_load_u16 v0, v[2:3], off
	s_waitcnt vmcnt(0)
	v_cvt_f32_f16_e32 v0, v0
	s_delay_alu instid0(VALU_DEP_1)
	v_cvt_f64_f32_e32 v[0:1], v0
.LBB320_1072:
	s_cbranch_execnz .LBB320_1091
.LBB320_1073:
	v_cmp_gt_i16_e32 vcc_lo, 2, v10
	s_cbranch_vccnz .LBB320_1077
; %bb.1074:
	v_cmp_gt_i16_e32 vcc_lo, 3, v10
	s_cbranch_vccnz .LBB320_1078
; %bb.1075:
	v_cmp_lt_i16_e32 vcc_lo, 3, v10
	s_cbranch_vccz .LBB320_1079
; %bb.1076:
	global_load_b64 v[0:1], v[2:3], off
	s_mov_b32 s0, 0
	s_waitcnt vmcnt(0)
	v_cvt_f64_i32_e32 v[5:6], v1
	v_cvt_f64_u32_e32 v[0:1], v0
	s_delay_alu instid0(VALU_DEP_2) | instskip(NEXT) | instid1(VALU_DEP_1)
	v_ldexp_f64 v[5:6], v[5:6], 32
	v_add_f64 v[0:1], v[5:6], v[0:1]
	s_branch .LBB320_1080
.LBB320_1077:
                                        ; implicit-def: $vgpr0_vgpr1
	s_branch .LBB320_1086
.LBB320_1078:
	s_mov_b32 s0, -1
                                        ; implicit-def: $vgpr0_vgpr1
	s_branch .LBB320_1083
.LBB320_1079:
	s_mov_b32 s0, -1
                                        ; implicit-def: $vgpr0_vgpr1
.LBB320_1080:
	s_delay_alu instid0(SALU_CYCLE_1)
	s_and_not1_b32 vcc_lo, exec_lo, s0
	s_cbranch_vccnz .LBB320_1082
; %bb.1081:
	global_load_b32 v0, v[2:3], off
	s_waitcnt vmcnt(0)
	v_cvt_f64_i32_e32 v[0:1], v0
.LBB320_1082:
	s_mov_b32 s0, 0
.LBB320_1083:
	s_delay_alu instid0(SALU_CYCLE_1)
	s_and_not1_b32 vcc_lo, exec_lo, s0
	s_cbranch_vccnz .LBB320_1085
; %bb.1084:
	global_load_i16 v0, v[2:3], off
	s_waitcnt vmcnt(0)
	v_cvt_f64_i32_e32 v[0:1], v0
.LBB320_1085:
	s_cbranch_execnz .LBB320_1091
.LBB320_1086:
	v_cmp_lt_i16_e32 vcc_lo, 0, v10
	s_mov_b32 s0, 0
	s_cbranch_vccz .LBB320_1088
; %bb.1087:
	global_load_i8 v0, v[2:3], off
	s_waitcnt vmcnt(0)
	v_cvt_f64_i32_e32 v[0:1], v0
	s_branch .LBB320_1089
.LBB320_1088:
	s_mov_b32 s0, -1
                                        ; implicit-def: $vgpr0_vgpr1
.LBB320_1089:
	s_delay_alu instid0(SALU_CYCLE_1)
	s_and_not1_b32 vcc_lo, exec_lo, s0
	s_cbranch_vccnz .LBB320_1091
; %bb.1090:
	global_load_u8 v0, v[2:3], off
	s_waitcnt vmcnt(0)
	v_cvt_f64_u32_e32 v[0:1], v0
.LBB320_1091:
                                        ; implicit-def: $vgpr2_vgpr3
	s_branch .LBB320_1160
.LBB320_1092:
	s_trap 2
	s_sendmsg_rtn_b32 s0, sendmsg(MSG_RTN_GET_DOORBELL)
	s_mov_b32 ttmp2, m0
	s_waitcnt lgkmcnt(0)
	s_and_b32 s0, s0, 0x3ff
	s_delay_alu instid0(SALU_CYCLE_1) | instskip(NEXT) | instid1(SALU_CYCLE_1)
	s_bitset1_b32 s0, 10
	s_mov_b32 m0, s0
	s_sendmsg sendmsg(MSG_INTERRUPT)
	s_mov_b32 m0, ttmp2
.LBB320_1093:                           ; =>This Inner Loop Header: Depth=1
	s_sethalt 5
	s_branch .LBB320_1093
.LBB320_1094:
	s_mov_b32 s13, -1
.LBB320_1095:
	s_mov_b32 s0, 0
                                        ; implicit-def: $vgpr0_vgpr1
.LBB320_1096:
	s_and_b32 vcc_lo, exec_lo, s1
	s_cbranch_vccz .LBB320_1099
; %bb.1097:
	v_cmp_eq_u16_e32 vcc_lo, 44, v10
	s_cbranch_vccz .LBB320_1100
; %bb.1098:
	global_load_u8 v5, v[2:3], off
	s_mov_b32 s13, 0
	s_mov_b32 s0, -1
	s_waitcnt vmcnt(0)
	v_lshlrev_b32_e32 v0, 23, v5
	v_cmp_ne_u32_e32 vcc_lo, 0xff, v5
	s_delay_alu instid0(VALU_DEP_2) | instskip(NEXT) | instid1(VALU_DEP_1)
	v_cvt_f64_f32_e32 v[0:1], v0
	v_cndmask_b32_e32 v0, 0x20000000, v0, vcc_lo
	s_delay_alu instid0(VALU_DEP_2) | instskip(SKIP_1) | instid1(VALU_DEP_2)
	v_cndmask_b32_e32 v1, 0x7ff80000, v1, vcc_lo
	v_cmp_ne_u32_e32 vcc_lo, 0, v5
	v_cndmask_b32_e32 v1, 0x38000000, v1, vcc_lo
	s_delay_alu instid0(VALU_DEP_4)
	v_cndmask_b32_e32 v0, 0, v0, vcc_lo
.LBB320_1099:
	s_branch .LBB320_1104
.LBB320_1100:
	s_mov_b32 s13, -1
                                        ; implicit-def: $vgpr0_vgpr1
	s_branch .LBB320_1104
.LBB320_1101:
	v_cmp_eq_u16_e32 vcc_lo, 29, v10
	s_cbranch_vccz .LBB320_1103
; %bb.1102:
	global_load_b64 v[0:1], v[2:3], off
	s_mov_b32 s13, 0
	s_mov_b32 s0, -1
	s_mov_b32 s1, 0
	s_waitcnt vmcnt(0)
	v_cvt_f64_u32_e32 v[5:6], v1
	v_cvt_f64_u32_e32 v[0:1], v0
	s_delay_alu instid0(VALU_DEP_2) | instskip(NEXT) | instid1(VALU_DEP_1)
	v_ldexp_f64 v[5:6], v[5:6], 32
	v_add_f64 v[0:1], v[5:6], v[0:1]
	s_branch .LBB320_1105
.LBB320_1103:
	s_mov_b32 s13, -1
                                        ; implicit-def: $vgpr0_vgpr1
.LBB320_1104:
	s_mov_b32 s1, 0
.LBB320_1105:
	s_delay_alu instid0(SALU_CYCLE_1)
	s_and_b32 vcc_lo, exec_lo, s1
	s_cbranch_vccz .LBB320_1125
; %bb.1106:
	v_cmp_gt_i16_e32 vcc_lo, 27, v10
	s_cbranch_vccnz .LBB320_1109
; %bb.1107:
	v_cmp_lt_i16_e32 vcc_lo, 27, v10
	s_cbranch_vccz .LBB320_1110
; %bb.1108:
	global_load_b32 v0, v[2:3], off
	s_mov_b32 s0, 0
	s_waitcnt vmcnt(0)
	v_cvt_f64_u32_e32 v[0:1], v0
	s_branch .LBB320_1111
.LBB320_1109:
	s_mov_b32 s0, -1
                                        ; implicit-def: $vgpr0_vgpr1
	s_branch .LBB320_1114
.LBB320_1110:
	s_mov_b32 s0, -1
                                        ; implicit-def: $vgpr0_vgpr1
.LBB320_1111:
	s_delay_alu instid0(SALU_CYCLE_1)
	s_and_not1_b32 vcc_lo, exec_lo, s0
	s_cbranch_vccnz .LBB320_1113
; %bb.1112:
	global_load_u16 v0, v[2:3], off
	s_waitcnt vmcnt(0)
	v_cvt_f64_u32_e32 v[0:1], v0
.LBB320_1113:
	s_mov_b32 s0, 0
.LBB320_1114:
	s_delay_alu instid0(SALU_CYCLE_1)
	s_and_not1_b32 vcc_lo, exec_lo, s0
	s_cbranch_vccnz .LBB320_1124
; %bb.1115:
	global_load_u8 v5, v[2:3], off
	s_mov_b32 s17, 0
	s_mov_b32 s18, exec_lo
                                        ; implicit-def: $sgpr0_sgpr1
	s_waitcnt vmcnt(0)
	v_cmpx_lt_i16_e32 0x7f, v5
	s_xor_b32 s18, exec_lo, s18
	s_cbranch_execz .LBB320_1119
; %bb.1116:
	s_mov_b32 s19, -1
	s_mov_b32 s17, exec_lo
                                        ; implicit-def: $sgpr0_sgpr1
	v_cmpx_eq_u16_e32 0x80, v5
; %bb.1117:
	s_mov_b32 s1, 0x7ff80000
	s_brev_b32 s0, 4
	s_xor_b32 s19, exec_lo, -1
; %bb.1118:
	s_or_b32 exec_lo, exec_lo, s17
	s_delay_alu instid0(SALU_CYCLE_1)
	s_and_b32 s17, s19, exec_lo
.LBB320_1119:
	s_or_saveexec_b32 s18, s18
	v_dual_mov_b32 v0, s0 :: v_dual_mov_b32 v1, s1
	s_xor_b32 exec_lo, exec_lo, s18
; %bb.1120:
	v_cmp_ne_u16_e32 vcc_lo, 0, v5
	v_mov_b32_e32 v0, 0
	v_mov_b32_e32 v1, 0
	s_and_not1_b32 s0, s17, exec_lo
	s_and_b32 s1, vcc_lo, exec_lo
	s_delay_alu instid0(SALU_CYCLE_1)
	s_or_b32 s17, s0, s1
; %bb.1121:
	s_or_b32 exec_lo, exec_lo, s18
	s_and_saveexec_b32 s0, s17
	s_cbranch_execz .LBB320_1123
; %bb.1122:
	v_and_b32_e32 v0, 0xffff, v5
	v_lshlrev_b32_e32 v5, 24, v5
	s_delay_alu instid0(VALU_DEP_2) | instskip(NEXT) | instid1(VALU_DEP_2)
	v_and_b32_e32 v1, 7, v0
	v_and_b32_e32 v5, 0x80000000, v5
	s_delay_alu instid0(VALU_DEP_2) | instskip(NEXT) | instid1(VALU_DEP_1)
	v_clz_i32_u32_e32 v6, v1
	v_min_u32_e32 v6, 32, v6
	s_delay_alu instid0(VALU_DEP_1) | instskip(SKIP_1) | instid1(VALU_DEP_2)
	v_subrev_nc_u32_e32 v7, 28, v6
	v_sub_nc_u32_e32 v6, 29, v6
	v_lshlrev_b32_e32 v7, v7, v0
	v_bfe_u32 v0, v0, 3, 4
	s_delay_alu instid0(VALU_DEP_2) | instskip(NEXT) | instid1(VALU_DEP_2)
	v_and_b32_e32 v7, 7, v7
	v_cmp_eq_u32_e32 vcc_lo, 0, v0
	s_delay_alu instid0(VALU_DEP_2) | instskip(NEXT) | instid1(VALU_DEP_1)
	v_dual_cndmask_b32 v0, v0, v6 :: v_dual_cndmask_b32 v1, v1, v7
	v_lshl_add_u32 v0, v0, 23, 0x3b800000
	s_delay_alu instid0(VALU_DEP_2) | instskip(NEXT) | instid1(VALU_DEP_1)
	v_lshlrev_b32_e32 v1, 20, v1
	v_or3_b32 v0, v5, v0, v1
	s_delay_alu instid0(VALU_DEP_1)
	v_cvt_f64_f32_e32 v[0:1], v0
.LBB320_1123:
	s_or_b32 exec_lo, exec_lo, s0
.LBB320_1124:
	s_mov_b32 s0, -1
.LBB320_1125:
	s_branch .LBB320_1155
.LBB320_1126:
	v_cmp_lt_i16_e32 vcc_lo, 22, v10
	s_cbranch_vccz .LBB320_1138
; %bb.1127:
	v_cmp_gt_i16_e32 vcc_lo, 24, v10
	s_cbranch_vccnz .LBB320_1139
; %bb.1128:
	v_cmp_lt_i16_e32 vcc_lo, 24, v10
	s_cbranch_vccz .LBB320_1140
; %bb.1129:
	global_load_u8 v5, v[2:3], off
	s_mov_b32 s17, exec_lo
                                        ; implicit-def: $sgpr0_sgpr1
	s_waitcnt vmcnt(0)
	v_cmpx_lt_i16_e32 0x7f, v5
	s_xor_b32 s17, exec_lo, s17
	s_cbranch_execz .LBB320_1133
; %bb.1130:
	s_mov_b32 s18, -1
	s_mov_b32 s16, exec_lo
                                        ; implicit-def: $sgpr0_sgpr1
	v_cmpx_eq_u16_e32 0x80, v5
; %bb.1131:
	s_mov_b32 s1, 0x7ff80000
	s_brev_b32 s0, 4
	s_xor_b32 s18, exec_lo, -1
; %bb.1132:
	s_or_b32 exec_lo, exec_lo, s16
	s_delay_alu instid0(SALU_CYCLE_1)
	s_and_b32 s16, s18, exec_lo
.LBB320_1133:
	s_or_saveexec_b32 s17, s17
	v_dual_mov_b32 v0, s0 :: v_dual_mov_b32 v1, s1
	s_xor_b32 exec_lo, exec_lo, s17
; %bb.1134:
	v_cmp_ne_u16_e32 vcc_lo, 0, v5
	v_mov_b32_e32 v0, 0
	v_mov_b32_e32 v1, 0
	s_and_not1_b32 s0, s16, exec_lo
	s_and_b32 s1, vcc_lo, exec_lo
	s_delay_alu instid0(SALU_CYCLE_1)
	s_or_b32 s16, s0, s1
; %bb.1135:
	s_or_b32 exec_lo, exec_lo, s17
	s_and_saveexec_b32 s0, s16
	s_cbranch_execz .LBB320_1137
; %bb.1136:
	v_and_b32_e32 v0, 0xffff, v5
	v_lshlrev_b32_e32 v5, 24, v5
	s_delay_alu instid0(VALU_DEP_2) | instskip(NEXT) | instid1(VALU_DEP_2)
	v_and_b32_e32 v1, 3, v0
	v_and_b32_e32 v5, 0x80000000, v5
	s_delay_alu instid0(VALU_DEP_2) | instskip(NEXT) | instid1(VALU_DEP_1)
	v_clz_i32_u32_e32 v6, v1
	v_min_u32_e32 v6, 32, v6
	s_delay_alu instid0(VALU_DEP_1) | instskip(SKIP_1) | instid1(VALU_DEP_2)
	v_subrev_nc_u32_e32 v7, 29, v6
	v_sub_nc_u32_e32 v6, 30, v6
	v_lshlrev_b32_e32 v7, v7, v0
	v_bfe_u32 v0, v0, 2, 5
	s_delay_alu instid0(VALU_DEP_2) | instskip(NEXT) | instid1(VALU_DEP_2)
	v_and_b32_e32 v7, 3, v7
	v_cmp_eq_u32_e32 vcc_lo, 0, v0
	s_delay_alu instid0(VALU_DEP_2) | instskip(NEXT) | instid1(VALU_DEP_1)
	v_dual_cndmask_b32 v0, v0, v6 :: v_dual_cndmask_b32 v1, v1, v7
	v_lshl_add_u32 v0, v0, 23, 0x37800000
	s_delay_alu instid0(VALU_DEP_2) | instskip(NEXT) | instid1(VALU_DEP_1)
	v_lshlrev_b32_e32 v1, 21, v1
	v_or3_b32 v0, v5, v0, v1
	s_delay_alu instid0(VALU_DEP_1)
	v_cvt_f64_f32_e32 v[0:1], v0
.LBB320_1137:
	s_or_b32 exec_lo, exec_lo, s0
	s_mov_b32 s0, 0
	s_branch .LBB320_1141
.LBB320_1138:
                                        ; implicit-def: $vgpr0_vgpr1
	s_mov_b32 s16, 0
	s_branch .LBB320_1147
.LBB320_1139:
	s_mov_b32 s0, -1
                                        ; implicit-def: $vgpr0_vgpr1
	s_branch .LBB320_1144
.LBB320_1140:
	s_mov_b32 s0, -1
                                        ; implicit-def: $vgpr0_vgpr1
.LBB320_1141:
	s_delay_alu instid0(SALU_CYCLE_1)
	s_and_b32 vcc_lo, exec_lo, s0
	s_cbranch_vccz .LBB320_1143
; %bb.1142:
	global_load_u8 v0, v[2:3], off
	s_waitcnt vmcnt(0)
	v_lshlrev_b32_e32 v0, 24, v0
	s_delay_alu instid0(VALU_DEP_1) | instskip(NEXT) | instid1(VALU_DEP_1)
	v_and_b32_e32 v1, 0x7f000000, v0
	v_clz_i32_u32_e32 v5, v1
	v_add_nc_u32_e32 v7, 0x1000000, v1
	v_cmp_ne_u32_e32 vcc_lo, 0, v1
	s_delay_alu instid0(VALU_DEP_3) | instskip(NEXT) | instid1(VALU_DEP_1)
	v_min_u32_e32 v5, 32, v5
	v_sub_nc_u32_e64 v5, v5, 4 clamp
	s_delay_alu instid0(VALU_DEP_1) | instskip(SKIP_1) | instid1(VALU_DEP_2)
	v_lshlrev_b32_e32 v6, v5, v1
	v_lshlrev_b32_e32 v5, 23, v5
	v_lshrrev_b32_e32 v6, 4, v6
	s_delay_alu instid0(VALU_DEP_1) | instskip(SKIP_1) | instid1(VALU_DEP_2)
	v_sub_nc_u32_e32 v5, v6, v5
	v_ashrrev_i32_e32 v6, 8, v7
	v_add_nc_u32_e32 v5, 0x3c000000, v5
	s_delay_alu instid0(VALU_DEP_1) | instskip(NEXT) | instid1(VALU_DEP_1)
	v_and_or_b32 v5, 0x7f800000, v6, v5
	v_cndmask_b32_e32 v1, 0, v5, vcc_lo
	s_delay_alu instid0(VALU_DEP_1) | instskip(NEXT) | instid1(VALU_DEP_1)
	v_and_or_b32 v0, 0x80000000, v0, v1
	v_cvt_f64_f32_e32 v[0:1], v0
.LBB320_1143:
	s_mov_b32 s0, 0
.LBB320_1144:
	s_delay_alu instid0(SALU_CYCLE_1)
	s_and_not1_b32 vcc_lo, exec_lo, s0
	s_cbranch_vccnz .LBB320_1146
; %bb.1145:
	global_load_u8 v0, v[2:3], off
	s_waitcnt vmcnt(0)
	v_lshlrev_b32_e32 v1, 25, v0
	v_lshlrev_b16 v0, 8, v0
	s_delay_alu instid0(VALU_DEP_1) | instskip(SKIP_1) | instid1(VALU_DEP_2)
	v_and_or_b32 v6, 0x7f00, v0, 0.5
	v_bfe_i32 v0, v0, 0, 16
	v_add_f32_e32 v6, -0.5, v6
	v_lshrrev_b32_e32 v5, 4, v1
	v_cmp_gt_u32_e32 vcc_lo, 0x8000000, v1
	s_delay_alu instid0(VALU_DEP_2) | instskip(NEXT) | instid1(VALU_DEP_1)
	v_or_b32_e32 v5, 0x70000000, v5
	v_mul_f32_e32 v5, 0x7800000, v5
	s_delay_alu instid0(VALU_DEP_1) | instskip(NEXT) | instid1(VALU_DEP_1)
	v_cndmask_b32_e32 v1, v5, v6, vcc_lo
	v_and_or_b32 v0, 0x80000000, v0, v1
	s_delay_alu instid0(VALU_DEP_1)
	v_cvt_f64_f32_e32 v[0:1], v0
.LBB320_1146:
	s_mov_b32 s0, -1
	s_mov_b32 s16, 0
	s_cbranch_execnz .LBB320_1155
.LBB320_1147:
	v_cmp_lt_i16_e32 vcc_lo, 14, v10
	s_cbranch_vccz .LBB320_1150
; %bb.1148:
	v_cmp_eq_u16_e32 vcc_lo, 15, v10
	s_cbranch_vccz .LBB320_1151
; %bb.1149:
	global_load_u16 v0, v[2:3], off
	s_mov_b32 s13, 0
	s_mov_b32 s0, -1
	s_waitcnt vmcnt(0)
	v_lshlrev_b32_e32 v0, 16, v0
	s_delay_alu instid0(VALU_DEP_1)
	v_cvt_f64_f32_e32 v[0:1], v0
	s_branch .LBB320_1152
.LBB320_1150:
	s_mov_b32 s1, -1
                                        ; implicit-def: $vgpr0_vgpr1
	s_branch .LBB320_1153
.LBB320_1151:
	s_mov_b32 s13, -1
                                        ; implicit-def: $vgpr0_vgpr1
.LBB320_1152:
	s_mov_b32 s1, 0
.LBB320_1153:
	s_delay_alu instid0(SALU_CYCLE_1)
	s_and_b32 vcc_lo, exec_lo, s1
	s_cbranch_vccz .LBB320_1155
; %bb.1154:
	v_cmp_ne_u16_e64 s13, 11, v10
	s_mov_b32 s16, -1
                                        ; implicit-def: $vgpr0_vgpr1
.LBB320_1155:
	s_delay_alu instid0(VALU_DEP_1)
	s_and_b32 vcc_lo, exec_lo, s13
	s_mov_b32 s13, s15
	s_cbranch_vccnz .LBB320_1179
; %bb.1156:
	s_and_not1_b32 vcc_lo, exec_lo, s16
	s_cbranch_vccnz .LBB320_1158
.LBB320_1157:
	global_load_u8 v0, v[2:3], off
	s_mov_b32 s0, -1
	s_waitcnt vmcnt(0)
	v_cmp_ne_u16_e32 vcc_lo, 0, v0
	v_mov_b32_e32 v0, 0
	v_cndmask_b32_e64 v1, 0, 0x3ff00000, vcc_lo
.LBB320_1158:
.LBB320_1159:
	s_and_not1_b32 vcc_lo, exec_lo, s0
                                        ; implicit-def: $vgpr2_vgpr3
	s_cbranch_vccnz .LBB320_1995
.LBB320_1160:
	s_lshl_b32 s3, s3, 7
	v_cmp_gt_i16_e32 vcc_lo, 11, v10
	v_add_nc_u32_e32 v6, s3, v4
	s_delay_alu instid0(VALU_DEP_1) | instskip(SKIP_1) | instid1(VALU_DEP_1)
	v_ashrrev_i32_e32 v3, 31, v6
	v_add_co_u32 v2, s0, s6, v6
	v_add_co_ci_u32_e64 v3, s0, s7, v3, s0
	s_cbranch_vccnz .LBB320_1167
; %bb.1161:
	v_cmp_lt_i16_e32 vcc_lo, 25, v10
	s_mov_b32 s17, 0
	s_cbranch_vccz .LBB320_1173
; %bb.1162:
	v_cmp_lt_i16_e32 vcc_lo, 28, v10
	s_cbranch_vccz .LBB320_1175
; %bb.1163:
	v_cmp_lt_i16_e32 vcc_lo, 43, v10
	s_cbranch_vccz .LBB320_1177
; %bb.1164:
	v_cmp_lt_i16_e32 vcc_lo, 45, v10
	s_cbranch_vccz .LBB320_1183
; %bb.1165:
	v_cmp_eq_u16_e32 vcc_lo, 46, v10
	s_mov_b32 s1, 0
	s_cbranch_vccz .LBB320_1227
; %bb.1166:
	global_load_b32 v4, v[2:3], off
	s_mov_b32 s16, 0
	s_mov_b32 s0, -1
	s_waitcnt vmcnt(0)
	v_lshlrev_b32_e32 v4, 16, v4
	s_delay_alu instid0(VALU_DEP_1)
	v_cvt_f64_f32_e32 v[4:5], v4
	s_branch .LBB320_1229
.LBB320_1167:
	s_mov_b32 s0, 0
                                        ; implicit-def: $vgpr4_vgpr5
	s_cbranch_execz .LBB320_1294
; %bb.1168:
	v_cmp_gt_i16_e32 vcc_lo, 5, v10
	s_cbranch_vccnz .LBB320_1174
; %bb.1169:
	v_cmp_gt_i16_e32 vcc_lo, 8, v10
	s_cbranch_vccnz .LBB320_1176
	;; [unrolled: 3-line block ×3, first 2 shown]
; %bb.1171:
	v_cmp_lt_i16_e32 vcc_lo, 9, v10
	s_cbranch_vccz .LBB320_1184
; %bb.1172:
	global_load_b64 v[4:5], v[2:3], off
	s_mov_b32 s0, 0
	s_branch .LBB320_1185
.LBB320_1173:
	s_mov_b32 s0, 0
	s_mov_b32 s16, 0
                                        ; implicit-def: $vgpr4_vgpr5
	s_cbranch_execnz .LBB320_1260
	s_branch .LBB320_1290
.LBB320_1174:
                                        ; implicit-def: $vgpr4_vgpr5
	s_branch .LBB320_1203
.LBB320_1175:
	s_mov_b32 s1, -1
	s_mov_b32 s0, 0
	s_mov_b32 s16, 0
                                        ; implicit-def: $vgpr4_vgpr5
	s_branch .LBB320_1239
.LBB320_1176:
	s_mov_b32 s0, -1
                                        ; implicit-def: $vgpr4_vgpr5
	s_branch .LBB320_1191
.LBB320_1177:
	s_mov_b32 s1, -1
	s_mov_b32 s0, 0
	s_mov_b32 s16, 0
                                        ; implicit-def: $vgpr4_vgpr5
	s_branch .LBB320_1234
.LBB320_1178:
	s_mov_b32 s0, -1
                                        ; implicit-def: $vgpr4_vgpr5
	s_branch .LBB320_1188
.LBB320_1179:
	s_cbranch_execnz .LBB320_1223
; %bb.1180:
	s_or_b32 s13, s15, exec_lo
                                        ; implicit-def: $vgpr0_vgpr1
	s_cbranch_execz .LBB320_1157
	s_branch .LBB320_1158
.LBB320_1181:
	s_or_saveexec_b32 s19, s19
                                        ; implicit-def: $sgpr20
	s_delay_alu instid0(SALU_CYCLE_1)
	s_xor_b32 exec_lo, exec_lo, s19
	s_cbranch_execz .LBB320_943
.LBB320_1182:
	v_add_f32_e64 v3, 0x46000000, |v2|
	s_and_not1_b32 s18, s18, exec_lo
	s_mov_b32 s20, 0
	s_delay_alu instid0(VALU_DEP_1) | instskip(NEXT) | instid1(VALU_DEP_1)
	v_and_b32_e32 v3, 0xff, v3
	v_cmp_ne_u32_e32 vcc_lo, 0, v3
	s_and_b32 s21, vcc_lo, exec_lo
	s_delay_alu instid0(SALU_CYCLE_1)
	s_or_b32 s18, s18, s21
	s_or_b32 exec_lo, exec_lo, s19
	v_mov_b32_e32 v7, s20
	s_and_saveexec_b32 s19, s18
	s_cbranch_execnz .LBB320_944
	s_branch .LBB320_945
.LBB320_1183:
	s_mov_b32 s1, -1
	s_mov_b32 s0, 0
	s_mov_b32 s16, 0
	s_branch .LBB320_1228
.LBB320_1184:
	s_mov_b32 s0, -1
                                        ; implicit-def: $vgpr4_vgpr5
.LBB320_1185:
	s_delay_alu instid0(SALU_CYCLE_1)
	s_and_not1_b32 vcc_lo, exec_lo, s0
	s_cbranch_vccnz .LBB320_1187
; %bb.1186:
	global_load_b32 v4, v[2:3], off
	s_waitcnt vmcnt(0)
	v_cvt_f64_f32_e32 v[4:5], v4
.LBB320_1187:
	s_mov_b32 s0, 0
.LBB320_1188:
	s_delay_alu instid0(SALU_CYCLE_1)
	s_and_not1_b32 vcc_lo, exec_lo, s0
	s_cbranch_vccnz .LBB320_1190
; %bb.1189:
	global_load_b32 v4, v[2:3], off
	s_waitcnt vmcnt(0)
	v_cvt_f32_f16_e32 v4, v4
	s_delay_alu instid0(VALU_DEP_1)
	v_cvt_f64_f32_e32 v[4:5], v4
.LBB320_1190:
	s_mov_b32 s0, 0
.LBB320_1191:
	s_delay_alu instid0(SALU_CYCLE_1)
	s_and_not1_b32 vcc_lo, exec_lo, s0
	s_cbranch_vccnz .LBB320_1202
; %bb.1192:
	v_cmp_gt_i16_e32 vcc_lo, 6, v10
	s_cbranch_vccnz .LBB320_1195
; %bb.1193:
	v_cmp_lt_i16_e32 vcc_lo, 6, v10
	s_cbranch_vccz .LBB320_1196
; %bb.1194:
	global_load_b64 v[4:5], v[2:3], off
	s_mov_b32 s0, 0
	s_branch .LBB320_1197
.LBB320_1195:
	s_mov_b32 s0, -1
                                        ; implicit-def: $vgpr4_vgpr5
	s_branch .LBB320_1200
.LBB320_1196:
	s_mov_b32 s0, -1
                                        ; implicit-def: $vgpr4_vgpr5
.LBB320_1197:
	s_delay_alu instid0(SALU_CYCLE_1)
	s_and_not1_b32 vcc_lo, exec_lo, s0
	s_cbranch_vccnz .LBB320_1199
; %bb.1198:
	global_load_b32 v4, v[2:3], off
	s_waitcnt vmcnt(0)
	v_cvt_f64_f32_e32 v[4:5], v4
.LBB320_1199:
	s_mov_b32 s0, 0
.LBB320_1200:
	s_delay_alu instid0(SALU_CYCLE_1)
	s_and_not1_b32 vcc_lo, exec_lo, s0
	s_cbranch_vccnz .LBB320_1202
; %bb.1201:
	global_load_u16 v4, v[2:3], off
	s_waitcnt vmcnt(0)
	v_cvt_f32_f16_e32 v4, v4
	s_delay_alu instid0(VALU_DEP_1)
	v_cvt_f64_f32_e32 v[4:5], v4
.LBB320_1202:
	s_cbranch_execnz .LBB320_1222
.LBB320_1203:
	v_cmp_gt_i16_e32 vcc_lo, 2, v10
	s_cbranch_vccnz .LBB320_1207
; %bb.1204:
	v_cmp_gt_i16_e32 vcc_lo, 3, v10
	s_cbranch_vccnz .LBB320_1208
; %bb.1205:
	v_cmp_lt_i16_e32 vcc_lo, 3, v10
	s_cbranch_vccz .LBB320_1209
; %bb.1206:
	global_load_b64 v[4:5], v[2:3], off
	s_mov_b32 s0, 0
	s_waitcnt vmcnt(0)
	v_cvt_f64_i32_e32 v[7:8], v5
	v_cvt_f64_u32_e32 v[4:5], v4
	s_delay_alu instid0(VALU_DEP_2) | instskip(NEXT) | instid1(VALU_DEP_1)
	v_ldexp_f64 v[7:8], v[7:8], 32
	v_add_f64 v[4:5], v[7:8], v[4:5]
	s_branch .LBB320_1210
.LBB320_1207:
	s_mov_b32 s0, -1
                                        ; implicit-def: $vgpr4_vgpr5
	s_branch .LBB320_1216
.LBB320_1208:
	s_mov_b32 s0, -1
                                        ; implicit-def: $vgpr4_vgpr5
	s_branch .LBB320_1213
.LBB320_1209:
	s_mov_b32 s0, -1
                                        ; implicit-def: $vgpr4_vgpr5
.LBB320_1210:
	s_delay_alu instid0(SALU_CYCLE_1)
	s_and_not1_b32 vcc_lo, exec_lo, s0
	s_cbranch_vccnz .LBB320_1212
; %bb.1211:
	global_load_b32 v4, v[2:3], off
	s_waitcnt vmcnt(0)
	v_cvt_f64_i32_e32 v[4:5], v4
.LBB320_1212:
	s_mov_b32 s0, 0
.LBB320_1213:
	s_delay_alu instid0(SALU_CYCLE_1)
	s_and_not1_b32 vcc_lo, exec_lo, s0
	s_cbranch_vccnz .LBB320_1215
; %bb.1214:
	global_load_i16 v4, v[2:3], off
	s_waitcnt vmcnt(0)
	v_cvt_f64_i32_e32 v[4:5], v4
.LBB320_1215:
	s_mov_b32 s0, 0
.LBB320_1216:
	s_delay_alu instid0(SALU_CYCLE_1)
	s_and_not1_b32 vcc_lo, exec_lo, s0
	s_cbranch_vccnz .LBB320_1222
; %bb.1217:
	v_cmp_lt_i16_e32 vcc_lo, 0, v10
	s_mov_b32 s0, 0
	s_cbranch_vccz .LBB320_1219
; %bb.1218:
	global_load_i8 v4, v[2:3], off
	s_waitcnt vmcnt(0)
	v_cvt_f64_i32_e32 v[4:5], v4
	s_branch .LBB320_1220
.LBB320_1219:
	s_mov_b32 s0, -1
                                        ; implicit-def: $vgpr4_vgpr5
.LBB320_1220:
	s_delay_alu instid0(SALU_CYCLE_1)
	s_and_not1_b32 vcc_lo, exec_lo, s0
	s_cbranch_vccnz .LBB320_1222
; %bb.1221:
	global_load_u8 v2, v[2:3], off
	s_waitcnt vmcnt(0)
	v_cvt_f64_u32_e32 v[4:5], v2
.LBB320_1222:
	s_branch .LBB320_1295
.LBB320_1223:
	s_trap 2
	s_sendmsg_rtn_b32 s0, sendmsg(MSG_RTN_GET_DOORBELL)
	s_mov_b32 ttmp2, m0
	s_waitcnt lgkmcnt(0)
	s_and_b32 s0, s0, 0x3ff
	s_delay_alu instid0(SALU_CYCLE_1) | instskip(NEXT) | instid1(SALU_CYCLE_1)
	s_bitset1_b32 s0, 10
	s_mov_b32 m0, s0
	s_sendmsg sendmsg(MSG_INTERRUPT)
	s_mov_b32 m0, ttmp2
.LBB320_1224:                           ; =>This Inner Loop Header: Depth=1
	s_sethalt 5
	s_branch .LBB320_1224
.LBB320_1225:
	s_or_saveexec_b32 s20, s20
                                        ; implicit-def: $sgpr21
	s_delay_alu instid0(SALU_CYCLE_1)
	s_xor_b32 exec_lo, exec_lo, s20
	s_cbranch_execz .LBB320_955
.LBB320_1226:
	v_add_f32_e64 v3, 0x42800000, |v2|
	s_and_not1_b32 s19, s19, exec_lo
	s_mov_b32 s21, 0
	s_delay_alu instid0(VALU_DEP_1) | instskip(NEXT) | instid1(VALU_DEP_1)
	v_and_b32_e32 v3, 0xff, v3
	v_cmp_ne_u32_e32 vcc_lo, 0, v3
	s_and_b32 s22, vcc_lo, exec_lo
	s_delay_alu instid0(SALU_CYCLE_1)
	s_or_b32 s19, s19, s22
	s_or_b32 exec_lo, exec_lo, s20
	v_mov_b32_e32 v7, s21
	s_and_saveexec_b32 s20, s19
	s_cbranch_execnz .LBB320_956
	s_branch .LBB320_957
.LBB320_1227:
	s_mov_b32 s16, -1
	s_mov_b32 s0, 0
.LBB320_1228:
                                        ; implicit-def: $vgpr4_vgpr5
.LBB320_1229:
	s_and_b32 vcc_lo, exec_lo, s1
	s_cbranch_vccz .LBB320_1233
; %bb.1230:
	v_cmp_eq_u16_e32 vcc_lo, 44, v10
	s_cbranch_vccz .LBB320_1232
; %bb.1231:
	global_load_u8 v7, v[2:3], off
	s_mov_b32 s16, 0
	s_mov_b32 s0, -1
	s_waitcnt vmcnt(0)
	v_cmp_ne_u32_e32 vcc_lo, 0xff, v7
	v_lshlrev_b32_e32 v4, 23, v7
	s_delay_alu instid0(VALU_DEP_1) | instskip(NEXT) | instid1(VALU_DEP_1)
	v_cvt_f64_f32_e32 v[4:5], v4
	v_cndmask_b32_e32 v5, 0x7ff80000, v5, vcc_lo
	s_delay_alu instid0(VALU_DEP_2) | instskip(SKIP_1) | instid1(VALU_DEP_3)
	v_cndmask_b32_e32 v4, 0x20000000, v4, vcc_lo
	v_cmp_ne_u32_e32 vcc_lo, 0, v7
	v_cndmask_b32_e32 v5, 0x38000000, v5, vcc_lo
	s_delay_alu instid0(VALU_DEP_3)
	v_cndmask_b32_e32 v4, 0, v4, vcc_lo
	s_branch .LBB320_1233
.LBB320_1232:
	s_mov_b32 s16, -1
                                        ; implicit-def: $vgpr4_vgpr5
.LBB320_1233:
	s_mov_b32 s1, 0
.LBB320_1234:
	s_delay_alu instid0(SALU_CYCLE_1)
	s_and_b32 vcc_lo, exec_lo, s1
	s_cbranch_vccz .LBB320_1238
; %bb.1235:
	v_cmp_eq_u16_e32 vcc_lo, 29, v10
	s_cbranch_vccz .LBB320_1237
; %bb.1236:
	global_load_b64 v[4:5], v[2:3], off
	s_mov_b32 s16, 0
	s_mov_b32 s0, -1
	s_mov_b32 s1, 0
	s_waitcnt vmcnt(0)
	v_cvt_f64_u32_e32 v[7:8], v5
	v_cvt_f64_u32_e32 v[4:5], v4
	s_delay_alu instid0(VALU_DEP_2) | instskip(NEXT) | instid1(VALU_DEP_1)
	v_ldexp_f64 v[7:8], v[7:8], 32
	v_add_f64 v[4:5], v[7:8], v[4:5]
	s_branch .LBB320_1239
.LBB320_1237:
	s_mov_b32 s16, -1
                                        ; implicit-def: $vgpr4_vgpr5
.LBB320_1238:
	s_mov_b32 s1, 0
.LBB320_1239:
	s_delay_alu instid0(SALU_CYCLE_1)
	s_and_b32 vcc_lo, exec_lo, s1
	s_cbranch_vccz .LBB320_1259
; %bb.1240:
	v_cmp_gt_i16_e32 vcc_lo, 27, v10
	s_cbranch_vccnz .LBB320_1243
; %bb.1241:
	v_cmp_lt_i16_e32 vcc_lo, 27, v10
	s_cbranch_vccz .LBB320_1244
; %bb.1242:
	global_load_b32 v4, v[2:3], off
	s_mov_b32 s0, 0
	s_waitcnt vmcnt(0)
	v_cvt_f64_u32_e32 v[4:5], v4
	s_branch .LBB320_1245
.LBB320_1243:
	s_mov_b32 s0, -1
                                        ; implicit-def: $vgpr4_vgpr5
	s_branch .LBB320_1248
.LBB320_1244:
	s_mov_b32 s0, -1
                                        ; implicit-def: $vgpr4_vgpr5
.LBB320_1245:
	s_delay_alu instid0(SALU_CYCLE_1)
	s_and_not1_b32 vcc_lo, exec_lo, s0
	s_cbranch_vccnz .LBB320_1247
; %bb.1246:
	global_load_u16 v4, v[2:3], off
	s_waitcnt vmcnt(0)
	v_cvt_f64_u32_e32 v[4:5], v4
.LBB320_1247:
	s_mov_b32 s0, 0
.LBB320_1248:
	s_delay_alu instid0(SALU_CYCLE_1)
	s_and_not1_b32 vcc_lo, exec_lo, s0
	s_cbranch_vccnz .LBB320_1258
; %bb.1249:
	global_load_u8 v7, v[2:3], off
	s_mov_b32 s18, 0
	s_mov_b32 s19, exec_lo
                                        ; implicit-def: $sgpr0_sgpr1
	s_waitcnt vmcnt(0)
	v_cmpx_lt_i16_e32 0x7f, v7
	s_xor_b32 s19, exec_lo, s19
	s_cbranch_execz .LBB320_1253
; %bb.1250:
	s_mov_b32 s20, -1
	s_mov_b32 s18, exec_lo
                                        ; implicit-def: $sgpr0_sgpr1
	v_cmpx_eq_u16_e32 0x80, v7
; %bb.1251:
	s_mov_b32 s1, 0x7ff80000
	s_brev_b32 s0, 4
	s_xor_b32 s20, exec_lo, -1
; %bb.1252:
	s_or_b32 exec_lo, exec_lo, s18
	s_delay_alu instid0(SALU_CYCLE_1)
	s_and_b32 s18, s20, exec_lo
.LBB320_1253:
	s_or_saveexec_b32 s19, s19
	v_dual_mov_b32 v5, s1 :: v_dual_mov_b32 v4, s0
	s_xor_b32 exec_lo, exec_lo, s19
; %bb.1254:
	v_cmp_ne_u16_e32 vcc_lo, 0, v7
	v_mov_b32_e32 v4, 0
	v_mov_b32_e32 v5, 0
	s_and_not1_b32 s0, s18, exec_lo
	s_and_b32 s1, vcc_lo, exec_lo
	s_delay_alu instid0(SALU_CYCLE_1)
	s_or_b32 s18, s0, s1
; %bb.1255:
	s_or_b32 exec_lo, exec_lo, s19
	s_and_saveexec_b32 s0, s18
	s_cbranch_execz .LBB320_1257
; %bb.1256:
	v_and_b32_e32 v4, 0xffff, v7
	v_lshlrev_b32_e32 v7, 24, v7
	s_delay_alu instid0(VALU_DEP_2) | instskip(NEXT) | instid1(VALU_DEP_2)
	v_and_b32_e32 v5, 7, v4
	v_and_b32_e32 v7, 0x80000000, v7
	s_delay_alu instid0(VALU_DEP_2) | instskip(NEXT) | instid1(VALU_DEP_1)
	v_clz_i32_u32_e32 v8, v5
	v_min_u32_e32 v8, 32, v8
	s_delay_alu instid0(VALU_DEP_1) | instskip(SKIP_1) | instid1(VALU_DEP_2)
	v_subrev_nc_u32_e32 v9, 28, v8
	v_sub_nc_u32_e32 v8, 29, v8
	v_lshlrev_b32_e32 v9, v9, v4
	v_bfe_u32 v4, v4, 3, 4
	s_delay_alu instid0(VALU_DEP_1) | instskip(NEXT) | instid1(VALU_DEP_3)
	v_cmp_eq_u32_e32 vcc_lo, 0, v4
	v_dual_cndmask_b32 v4, v4, v8 :: v_dual_and_b32 v9, 7, v9
	s_delay_alu instid0(VALU_DEP_1) | instskip(NEXT) | instid1(VALU_DEP_2)
	v_cndmask_b32_e32 v5, v5, v9, vcc_lo
	v_lshl_add_u32 v4, v4, 23, 0x3b800000
	s_delay_alu instid0(VALU_DEP_2) | instskip(NEXT) | instid1(VALU_DEP_1)
	v_lshlrev_b32_e32 v5, 20, v5
	v_or3_b32 v4, v7, v4, v5
	s_delay_alu instid0(VALU_DEP_1)
	v_cvt_f64_f32_e32 v[4:5], v4
.LBB320_1257:
	s_or_b32 exec_lo, exec_lo, s0
.LBB320_1258:
	s_mov_b32 s0, -1
.LBB320_1259:
	s_branch .LBB320_1290
.LBB320_1260:
	v_cmp_lt_i16_e32 vcc_lo, 22, v10
	s_cbranch_vccz .LBB320_1272
; %bb.1261:
	v_cmp_gt_i16_e32 vcc_lo, 24, v10
	s_cbranch_vccnz .LBB320_1273
; %bb.1262:
	v_cmp_lt_i16_e32 vcc_lo, 24, v10
	s_cbranch_vccz .LBB320_1274
; %bb.1263:
	global_load_u8 v7, v[2:3], off
	s_mov_b32 s18, exec_lo
                                        ; implicit-def: $sgpr0_sgpr1
	s_waitcnt vmcnt(0)
	v_cmpx_lt_i16_e32 0x7f, v7
	s_xor_b32 s18, exec_lo, s18
	s_cbranch_execz .LBB320_1267
; %bb.1264:
	s_mov_b32 s19, -1
	s_mov_b32 s17, exec_lo
                                        ; implicit-def: $sgpr0_sgpr1
	v_cmpx_eq_u16_e32 0x80, v7
; %bb.1265:
	s_mov_b32 s1, 0x7ff80000
	s_brev_b32 s0, 4
	s_xor_b32 s19, exec_lo, -1
; %bb.1266:
	s_or_b32 exec_lo, exec_lo, s17
	s_delay_alu instid0(SALU_CYCLE_1)
	s_and_b32 s17, s19, exec_lo
.LBB320_1267:
	s_or_saveexec_b32 s18, s18
	v_dual_mov_b32 v5, s1 :: v_dual_mov_b32 v4, s0
	s_xor_b32 exec_lo, exec_lo, s18
; %bb.1268:
	v_cmp_ne_u16_e32 vcc_lo, 0, v7
	v_mov_b32_e32 v4, 0
	v_mov_b32_e32 v5, 0
	s_and_not1_b32 s0, s17, exec_lo
	s_and_b32 s1, vcc_lo, exec_lo
	s_delay_alu instid0(SALU_CYCLE_1)
	s_or_b32 s17, s0, s1
; %bb.1269:
	s_or_b32 exec_lo, exec_lo, s18
	s_and_saveexec_b32 s0, s17
	s_cbranch_execz .LBB320_1271
; %bb.1270:
	v_and_b32_e32 v4, 0xffff, v7
	v_lshlrev_b32_e32 v7, 24, v7
	s_delay_alu instid0(VALU_DEP_2) | instskip(NEXT) | instid1(VALU_DEP_2)
	v_and_b32_e32 v5, 3, v4
	v_and_b32_e32 v7, 0x80000000, v7
	s_delay_alu instid0(VALU_DEP_2) | instskip(NEXT) | instid1(VALU_DEP_1)
	v_clz_i32_u32_e32 v8, v5
	v_min_u32_e32 v8, 32, v8
	s_delay_alu instid0(VALU_DEP_1) | instskip(SKIP_1) | instid1(VALU_DEP_2)
	v_subrev_nc_u32_e32 v9, 29, v8
	v_sub_nc_u32_e32 v8, 30, v8
	v_lshlrev_b32_e32 v9, v9, v4
	v_bfe_u32 v4, v4, 2, 5
	s_delay_alu instid0(VALU_DEP_1) | instskip(NEXT) | instid1(VALU_DEP_3)
	v_cmp_eq_u32_e32 vcc_lo, 0, v4
	v_dual_cndmask_b32 v4, v4, v8 :: v_dual_and_b32 v9, 3, v9
	s_delay_alu instid0(VALU_DEP_1) | instskip(NEXT) | instid1(VALU_DEP_2)
	v_cndmask_b32_e32 v5, v5, v9, vcc_lo
	v_lshl_add_u32 v4, v4, 23, 0x37800000
	s_delay_alu instid0(VALU_DEP_2) | instskip(NEXT) | instid1(VALU_DEP_1)
	v_lshlrev_b32_e32 v5, 21, v5
	v_or3_b32 v4, v7, v4, v5
	s_delay_alu instid0(VALU_DEP_1)
	v_cvt_f64_f32_e32 v[4:5], v4
.LBB320_1271:
	s_or_b32 exec_lo, exec_lo, s0
	s_mov_b32 s0, 0
	s_branch .LBB320_1275
.LBB320_1272:
	s_mov_b32 s1, -1
                                        ; implicit-def: $vgpr4_vgpr5
	s_branch .LBB320_1281
.LBB320_1273:
	s_mov_b32 s0, -1
                                        ; implicit-def: $vgpr4_vgpr5
	s_branch .LBB320_1278
.LBB320_1274:
	s_mov_b32 s0, -1
                                        ; implicit-def: $vgpr4_vgpr5
.LBB320_1275:
	s_delay_alu instid0(SALU_CYCLE_1)
	s_and_b32 vcc_lo, exec_lo, s0
	s_cbranch_vccz .LBB320_1277
; %bb.1276:
	global_load_u8 v4, v[2:3], off
	s_waitcnt vmcnt(0)
	v_lshlrev_b32_e32 v4, 24, v4
	s_delay_alu instid0(VALU_DEP_1) | instskip(NEXT) | instid1(VALU_DEP_1)
	v_and_b32_e32 v5, 0x7f000000, v4
	v_clz_i32_u32_e32 v7, v5
	v_add_nc_u32_e32 v9, 0x1000000, v5
	v_cmp_ne_u32_e32 vcc_lo, 0, v5
	s_delay_alu instid0(VALU_DEP_3) | instskip(NEXT) | instid1(VALU_DEP_1)
	v_min_u32_e32 v7, 32, v7
	v_sub_nc_u32_e64 v7, v7, 4 clamp
	s_delay_alu instid0(VALU_DEP_1) | instskip(SKIP_1) | instid1(VALU_DEP_2)
	v_lshlrev_b32_e32 v8, v7, v5
	v_lshlrev_b32_e32 v7, 23, v7
	v_lshrrev_b32_e32 v8, 4, v8
	s_delay_alu instid0(VALU_DEP_1) | instskip(SKIP_1) | instid1(VALU_DEP_2)
	v_sub_nc_u32_e32 v7, v8, v7
	v_ashrrev_i32_e32 v8, 8, v9
	v_add_nc_u32_e32 v7, 0x3c000000, v7
	s_delay_alu instid0(VALU_DEP_1) | instskip(NEXT) | instid1(VALU_DEP_1)
	v_and_or_b32 v7, 0x7f800000, v8, v7
	v_cndmask_b32_e32 v5, 0, v7, vcc_lo
	s_delay_alu instid0(VALU_DEP_1) | instskip(NEXT) | instid1(VALU_DEP_1)
	v_and_or_b32 v4, 0x80000000, v4, v5
	v_cvt_f64_f32_e32 v[4:5], v4
.LBB320_1277:
	s_mov_b32 s0, 0
.LBB320_1278:
	s_delay_alu instid0(SALU_CYCLE_1)
	s_and_not1_b32 vcc_lo, exec_lo, s0
	s_cbranch_vccnz .LBB320_1280
; %bb.1279:
	global_load_u8 v4, v[2:3], off
	s_waitcnt vmcnt(0)
	v_lshlrev_b32_e32 v5, 25, v4
	v_lshlrev_b16 v4, 8, v4
	s_delay_alu instid0(VALU_DEP_2) | instskip(NEXT) | instid1(VALU_DEP_2)
	v_lshrrev_b32_e32 v7, 4, v5
	v_and_or_b32 v8, 0x7f00, v4, 0.5
	v_cmp_gt_u32_e32 vcc_lo, 0x8000000, v5
	v_bfe_i32 v4, v4, 0, 16
	s_delay_alu instid0(VALU_DEP_4) | instskip(NEXT) | instid1(VALU_DEP_1)
	v_or_b32_e32 v7, 0x70000000, v7
	v_dual_add_f32 v8, -0.5, v8 :: v_dual_mul_f32 v7, 0x7800000, v7
	s_delay_alu instid0(VALU_DEP_1) | instskip(NEXT) | instid1(VALU_DEP_1)
	v_cndmask_b32_e32 v5, v7, v8, vcc_lo
	v_and_or_b32 v4, 0x80000000, v4, v5
	s_delay_alu instid0(VALU_DEP_1)
	v_cvt_f64_f32_e32 v[4:5], v4
.LBB320_1280:
	s_mov_b32 s1, 0
	s_mov_b32 s0, -1
.LBB320_1281:
	s_and_not1_b32 vcc_lo, exec_lo, s1
	s_mov_b32 s17, 0
	s_cbranch_vccnz .LBB320_1290
; %bb.1282:
	v_cmp_lt_i16_e32 vcc_lo, 14, v10
	s_cbranch_vccz .LBB320_1285
; %bb.1283:
	v_cmp_eq_u16_e32 vcc_lo, 15, v10
	s_cbranch_vccz .LBB320_1286
; %bb.1284:
	global_load_u16 v4, v[2:3], off
	s_mov_b32 s16, 0
	s_mov_b32 s0, -1
	s_waitcnt vmcnt(0)
	v_lshlrev_b32_e32 v4, 16, v4
	s_delay_alu instid0(VALU_DEP_1)
	v_cvt_f64_f32_e32 v[4:5], v4
	s_branch .LBB320_1287
.LBB320_1285:
	s_mov_b32 s1, -1
                                        ; implicit-def: $vgpr4_vgpr5
	s_branch .LBB320_1288
.LBB320_1286:
	s_mov_b32 s16, -1
                                        ; implicit-def: $vgpr4_vgpr5
.LBB320_1287:
	s_mov_b32 s1, 0
.LBB320_1288:
	s_delay_alu instid0(SALU_CYCLE_1)
	s_and_b32 vcc_lo, exec_lo, s1
	s_cbranch_vccz .LBB320_1290
; %bb.1289:
	v_cmp_ne_u16_e64 s16, 11, v10
	s_mov_b32 s17, -1
                                        ; implicit-def: $vgpr4_vgpr5
.LBB320_1290:
	s_delay_alu instid0(VALU_DEP_1)
	s_and_b32 vcc_lo, exec_lo, s16
	s_cbranch_vccnz .LBB320_1314
; %bb.1291:
	s_and_not1_b32 vcc_lo, exec_lo, s17
	s_cbranch_vccnz .LBB320_1293
.LBB320_1292:
	global_load_u8 v4, v[2:3], off
	s_mov_b32 s0, -1
	s_waitcnt vmcnt(0)
	v_cmp_ne_u16_e32 vcc_lo, 0, v4
	v_mov_b32_e32 v4, 0
	v_cndmask_b32_e64 v5, 0, 0x3ff00000, vcc_lo
.LBB320_1293:
.LBB320_1294:
	s_and_not1_b32 vcc_lo, exec_lo, s0
	s_cbranch_vccnz .LBB320_1995
.LBB320_1295:
	v_add_nc_u32_e32 v8, s3, v6
	v_cmp_gt_i16_e32 vcc_lo, 11, v10
	s_delay_alu instid0(VALU_DEP_2) | instskip(SKIP_1) | instid1(VALU_DEP_1)
	v_ashrrev_i32_e32 v3, 31, v8
	v_add_co_u32 v2, s0, s6, v8
	v_add_co_ci_u32_e64 v3, s0, s7, v3, s0
	s_cbranch_vccnz .LBB320_1302
; %bb.1296:
	v_cmp_lt_i16_e32 vcc_lo, 25, v10
	s_mov_b32 s17, 0
	s_cbranch_vccz .LBB320_1308
; %bb.1297:
	v_cmp_lt_i16_e32 vcc_lo, 28, v10
	s_cbranch_vccz .LBB320_1310
; %bb.1298:
	v_cmp_lt_i16_e32 vcc_lo, 43, v10
	;; [unrolled: 3-line block ×3, first 2 shown]
	s_cbranch_vccz .LBB320_1316
; %bb.1300:
	v_cmp_eq_u16_e32 vcc_lo, 46, v10
	s_mov_b32 s1, 0
	s_cbranch_vccz .LBB320_1359
; %bb.1301:
	global_load_b32 v6, v[2:3], off
	s_mov_b32 s16, 0
	s_mov_b32 s0, -1
	s_waitcnt vmcnt(0)
	v_lshlrev_b32_e32 v6, 16, v6
	s_delay_alu instid0(VALU_DEP_1)
	v_cvt_f64_f32_e32 v[6:7], v6
	s_branch .LBB320_1361
.LBB320_1302:
	s_mov_b32 s0, 0
                                        ; implicit-def: $vgpr6_vgpr7
	s_cbranch_execz .LBB320_1427
; %bb.1303:
	v_cmp_gt_i16_e32 vcc_lo, 5, v10
	s_cbranch_vccnz .LBB320_1309
; %bb.1304:
	v_cmp_gt_i16_e32 vcc_lo, 8, v10
	s_cbranch_vccnz .LBB320_1311
	;; [unrolled: 3-line block ×3, first 2 shown]
; %bb.1306:
	v_cmp_lt_i16_e32 vcc_lo, 9, v10
	s_cbranch_vccz .LBB320_1317
; %bb.1307:
	global_load_b64 v[6:7], v[2:3], off
	s_mov_b32 s0, 0
	s_branch .LBB320_1318
.LBB320_1308:
	s_mov_b32 s1, -1
	s_mov_b32 s0, 0
	s_mov_b32 s16, 0
                                        ; implicit-def: $vgpr6_vgpr7
	s_branch .LBB320_1392
.LBB320_1309:
	s_mov_b32 s0, -1
                                        ; implicit-def: $vgpr6_vgpr7
	s_branch .LBB320_1336
.LBB320_1310:
	s_mov_b32 s1, -1
	s_mov_b32 s0, 0
	s_mov_b32 s16, 0
                                        ; implicit-def: $vgpr6_vgpr7
	s_branch .LBB320_1371
.LBB320_1311:
	s_mov_b32 s0, -1
                                        ; implicit-def: $vgpr6_vgpr7
	s_branch .LBB320_1324
.LBB320_1312:
	s_mov_b32 s1, -1
	s_mov_b32 s0, 0
	s_mov_b32 s16, 0
                                        ; implicit-def: $vgpr6_vgpr7
	s_branch .LBB320_1366
.LBB320_1313:
	s_mov_b32 s0, -1
                                        ; implicit-def: $vgpr6_vgpr7
	s_branch .LBB320_1321
.LBB320_1314:
	s_cbranch_execnz .LBB320_1357
; %bb.1315:
	s_or_b32 s13, s13, exec_lo
                                        ; implicit-def: $vgpr4_vgpr5
	s_cbranch_execz .LBB320_1292
	s_branch .LBB320_1293
.LBB320_1316:
	s_mov_b32 s1, -1
	s_mov_b32 s0, 0
	s_mov_b32 s16, 0
	s_branch .LBB320_1360
.LBB320_1317:
	s_mov_b32 s0, -1
                                        ; implicit-def: $vgpr6_vgpr7
.LBB320_1318:
	s_delay_alu instid0(SALU_CYCLE_1)
	s_and_not1_b32 vcc_lo, exec_lo, s0
	s_cbranch_vccnz .LBB320_1320
; %bb.1319:
	global_load_b32 v6, v[2:3], off
	s_waitcnt vmcnt(0)
	v_cvt_f64_f32_e32 v[6:7], v6
.LBB320_1320:
	s_mov_b32 s0, 0
.LBB320_1321:
	s_delay_alu instid0(SALU_CYCLE_1)
	s_and_not1_b32 vcc_lo, exec_lo, s0
	s_cbranch_vccnz .LBB320_1323
; %bb.1322:
	global_load_b32 v6, v[2:3], off
	s_waitcnt vmcnt(0)
	v_cvt_f32_f16_e32 v6, v6
	s_delay_alu instid0(VALU_DEP_1)
	v_cvt_f64_f32_e32 v[6:7], v6
.LBB320_1323:
	s_mov_b32 s0, 0
.LBB320_1324:
	s_delay_alu instid0(SALU_CYCLE_1)
	s_and_not1_b32 vcc_lo, exec_lo, s0
	s_cbranch_vccnz .LBB320_1335
; %bb.1325:
	v_cmp_gt_i16_e32 vcc_lo, 6, v10
	s_cbranch_vccnz .LBB320_1328
; %bb.1326:
	v_cmp_lt_i16_e32 vcc_lo, 6, v10
	s_cbranch_vccz .LBB320_1329
; %bb.1327:
	global_load_b64 v[6:7], v[2:3], off
	s_mov_b32 s0, 0
	s_branch .LBB320_1330
.LBB320_1328:
	s_mov_b32 s0, -1
                                        ; implicit-def: $vgpr6_vgpr7
	s_branch .LBB320_1333
.LBB320_1329:
	s_mov_b32 s0, -1
                                        ; implicit-def: $vgpr6_vgpr7
.LBB320_1330:
	s_delay_alu instid0(SALU_CYCLE_1)
	s_and_not1_b32 vcc_lo, exec_lo, s0
	s_cbranch_vccnz .LBB320_1332
; %bb.1331:
	global_load_b32 v6, v[2:3], off
	s_waitcnt vmcnt(0)
	v_cvt_f64_f32_e32 v[6:7], v6
.LBB320_1332:
	s_mov_b32 s0, 0
.LBB320_1333:
	s_delay_alu instid0(SALU_CYCLE_1)
	s_and_not1_b32 vcc_lo, exec_lo, s0
	s_cbranch_vccnz .LBB320_1335
; %bb.1334:
	global_load_u16 v6, v[2:3], off
	s_waitcnt vmcnt(0)
	v_cvt_f32_f16_e32 v6, v6
	s_delay_alu instid0(VALU_DEP_1)
	v_cvt_f64_f32_e32 v[6:7], v6
.LBB320_1335:
	s_mov_b32 s0, 0
.LBB320_1336:
	s_delay_alu instid0(SALU_CYCLE_1)
	s_and_not1_b32 vcc_lo, exec_lo, s0
	s_cbranch_vccnz .LBB320_1356
; %bb.1337:
	v_cmp_gt_i16_e32 vcc_lo, 2, v10
	s_cbranch_vccnz .LBB320_1341
; %bb.1338:
	v_cmp_gt_i16_e32 vcc_lo, 3, v10
	s_cbranch_vccnz .LBB320_1342
; %bb.1339:
	v_cmp_lt_i16_e32 vcc_lo, 3, v10
	s_cbranch_vccz .LBB320_1343
; %bb.1340:
	global_load_b64 v[6:7], v[2:3], off
	s_mov_b32 s0, 0
	s_waitcnt vmcnt(0)
	v_cvt_f64_i32_e32 v[11:12], v7
	v_cvt_f64_u32_e32 v[6:7], v6
	s_delay_alu instid0(VALU_DEP_2) | instskip(NEXT) | instid1(VALU_DEP_1)
	v_ldexp_f64 v[11:12], v[11:12], 32
	v_add_f64 v[6:7], v[11:12], v[6:7]
	s_branch .LBB320_1344
.LBB320_1341:
	s_mov_b32 s0, -1
                                        ; implicit-def: $vgpr6_vgpr7
	s_branch .LBB320_1350
.LBB320_1342:
	s_mov_b32 s0, -1
                                        ; implicit-def: $vgpr6_vgpr7
	s_branch .LBB320_1347
.LBB320_1343:
	s_mov_b32 s0, -1
                                        ; implicit-def: $vgpr6_vgpr7
.LBB320_1344:
	s_delay_alu instid0(SALU_CYCLE_1)
	s_and_not1_b32 vcc_lo, exec_lo, s0
	s_cbranch_vccnz .LBB320_1346
; %bb.1345:
	global_load_b32 v6, v[2:3], off
	s_waitcnt vmcnt(0)
	v_cvt_f64_i32_e32 v[6:7], v6
.LBB320_1346:
	s_mov_b32 s0, 0
.LBB320_1347:
	s_delay_alu instid0(SALU_CYCLE_1)
	s_and_not1_b32 vcc_lo, exec_lo, s0
	s_cbranch_vccnz .LBB320_1349
; %bb.1348:
	global_load_i16 v6, v[2:3], off
	s_waitcnt vmcnt(0)
	v_cvt_f64_i32_e32 v[6:7], v6
.LBB320_1349:
	s_mov_b32 s0, 0
.LBB320_1350:
	s_delay_alu instid0(SALU_CYCLE_1)
	s_and_not1_b32 vcc_lo, exec_lo, s0
	s_cbranch_vccnz .LBB320_1356
; %bb.1351:
	v_cmp_lt_i16_e32 vcc_lo, 0, v10
	s_mov_b32 s0, 0
	s_cbranch_vccz .LBB320_1353
; %bb.1352:
	global_load_i8 v6, v[2:3], off
	s_waitcnt vmcnt(0)
	v_cvt_f64_i32_e32 v[6:7], v6
	s_branch .LBB320_1354
.LBB320_1353:
	s_mov_b32 s0, -1
                                        ; implicit-def: $vgpr6_vgpr7
.LBB320_1354:
	s_delay_alu instid0(SALU_CYCLE_1)
	s_and_not1_b32 vcc_lo, exec_lo, s0
	s_cbranch_vccnz .LBB320_1356
; %bb.1355:
	global_load_u8 v2, v[2:3], off
	s_waitcnt vmcnt(0)
	v_cvt_f64_u32_e32 v[6:7], v2
.LBB320_1356:
	s_branch .LBB320_1428
.LBB320_1357:
	s_trap 2
	s_sendmsg_rtn_b32 s0, sendmsg(MSG_RTN_GET_DOORBELL)
	s_mov_b32 ttmp2, m0
	s_waitcnt lgkmcnt(0)
	s_and_b32 s0, s0, 0x3ff
	s_delay_alu instid0(SALU_CYCLE_1) | instskip(NEXT) | instid1(SALU_CYCLE_1)
	s_bitset1_b32 s0, 10
	s_mov_b32 m0, s0
	s_sendmsg sendmsg(MSG_INTERRUPT)
	s_mov_b32 m0, ttmp2
.LBB320_1358:                           ; =>This Inner Loop Header: Depth=1
	s_sethalt 5
	s_branch .LBB320_1358
.LBB320_1359:
	s_mov_b32 s16, -1
	s_mov_b32 s0, 0
.LBB320_1360:
                                        ; implicit-def: $vgpr6_vgpr7
.LBB320_1361:
	s_and_b32 vcc_lo, exec_lo, s1
	s_cbranch_vccz .LBB320_1365
; %bb.1362:
	v_cmp_eq_u16_e32 vcc_lo, 44, v10
	s_cbranch_vccz .LBB320_1364
; %bb.1363:
	global_load_u8 v9, v[2:3], off
	s_mov_b32 s16, 0
	s_mov_b32 s0, -1
	s_waitcnt vmcnt(0)
	v_cmp_ne_u32_e32 vcc_lo, 0xff, v9
	v_lshlrev_b32_e32 v6, 23, v9
	s_delay_alu instid0(VALU_DEP_1) | instskip(NEXT) | instid1(VALU_DEP_1)
	v_cvt_f64_f32_e32 v[6:7], v6
	v_cndmask_b32_e32 v7, 0x7ff80000, v7, vcc_lo
	s_delay_alu instid0(VALU_DEP_2) | instskip(SKIP_1) | instid1(VALU_DEP_3)
	v_cndmask_b32_e32 v6, 0x20000000, v6, vcc_lo
	v_cmp_ne_u32_e32 vcc_lo, 0, v9
	v_cndmask_b32_e32 v7, 0x38000000, v7, vcc_lo
	s_delay_alu instid0(VALU_DEP_3)
	v_cndmask_b32_e32 v6, 0, v6, vcc_lo
	s_branch .LBB320_1365
.LBB320_1364:
	s_mov_b32 s16, -1
                                        ; implicit-def: $vgpr6_vgpr7
.LBB320_1365:
	s_mov_b32 s1, 0
.LBB320_1366:
	s_delay_alu instid0(SALU_CYCLE_1)
	s_and_b32 vcc_lo, exec_lo, s1
	s_cbranch_vccz .LBB320_1370
; %bb.1367:
	v_cmp_eq_u16_e32 vcc_lo, 29, v10
	s_cbranch_vccz .LBB320_1369
; %bb.1368:
	global_load_b64 v[6:7], v[2:3], off
	s_mov_b32 s16, 0
	s_mov_b32 s0, -1
	s_mov_b32 s1, 0
	s_waitcnt vmcnt(0)
	v_cvt_f64_u32_e32 v[11:12], v7
	v_cvt_f64_u32_e32 v[6:7], v6
	s_delay_alu instid0(VALU_DEP_2) | instskip(NEXT) | instid1(VALU_DEP_1)
	v_ldexp_f64 v[11:12], v[11:12], 32
	v_add_f64 v[6:7], v[11:12], v[6:7]
	s_branch .LBB320_1371
.LBB320_1369:
	s_mov_b32 s16, -1
                                        ; implicit-def: $vgpr6_vgpr7
.LBB320_1370:
	s_mov_b32 s1, 0
.LBB320_1371:
	s_delay_alu instid0(SALU_CYCLE_1)
	s_and_b32 vcc_lo, exec_lo, s1
	s_cbranch_vccz .LBB320_1391
; %bb.1372:
	v_cmp_gt_i16_e32 vcc_lo, 27, v10
	s_cbranch_vccnz .LBB320_1375
; %bb.1373:
	v_cmp_lt_i16_e32 vcc_lo, 27, v10
	s_cbranch_vccz .LBB320_1376
; %bb.1374:
	global_load_b32 v6, v[2:3], off
	s_mov_b32 s0, 0
	s_waitcnt vmcnt(0)
	v_cvt_f64_u32_e32 v[6:7], v6
	s_branch .LBB320_1377
.LBB320_1375:
	s_mov_b32 s0, -1
                                        ; implicit-def: $vgpr6_vgpr7
	s_branch .LBB320_1380
.LBB320_1376:
	s_mov_b32 s0, -1
                                        ; implicit-def: $vgpr6_vgpr7
.LBB320_1377:
	s_delay_alu instid0(SALU_CYCLE_1)
	s_and_not1_b32 vcc_lo, exec_lo, s0
	s_cbranch_vccnz .LBB320_1379
; %bb.1378:
	global_load_u16 v6, v[2:3], off
	s_waitcnt vmcnt(0)
	v_cvt_f64_u32_e32 v[6:7], v6
.LBB320_1379:
	s_mov_b32 s0, 0
.LBB320_1380:
	s_delay_alu instid0(SALU_CYCLE_1)
	s_and_not1_b32 vcc_lo, exec_lo, s0
	s_cbranch_vccnz .LBB320_1390
; %bb.1381:
	global_load_u8 v9, v[2:3], off
	s_mov_b32 s18, 0
	s_mov_b32 s19, exec_lo
                                        ; implicit-def: $sgpr0_sgpr1
	s_waitcnt vmcnt(0)
	v_cmpx_lt_i16_e32 0x7f, v9
	s_xor_b32 s19, exec_lo, s19
	s_cbranch_execz .LBB320_1385
; %bb.1382:
	s_mov_b32 s20, -1
	s_mov_b32 s18, exec_lo
                                        ; implicit-def: $sgpr0_sgpr1
	v_cmpx_eq_u16_e32 0x80, v9
; %bb.1383:
	s_mov_b32 s1, 0x7ff80000
	s_brev_b32 s0, 4
	s_xor_b32 s20, exec_lo, -1
; %bb.1384:
	s_or_b32 exec_lo, exec_lo, s18
	s_delay_alu instid0(SALU_CYCLE_1)
	s_and_b32 s18, s20, exec_lo
.LBB320_1385:
	s_or_saveexec_b32 s19, s19
	v_dual_mov_b32 v7, s1 :: v_dual_mov_b32 v6, s0
	s_xor_b32 exec_lo, exec_lo, s19
; %bb.1386:
	v_cmp_ne_u16_e32 vcc_lo, 0, v9
	v_mov_b32_e32 v6, 0
	v_mov_b32_e32 v7, 0
	s_and_not1_b32 s0, s18, exec_lo
	s_and_b32 s1, vcc_lo, exec_lo
	s_delay_alu instid0(SALU_CYCLE_1)
	s_or_b32 s18, s0, s1
; %bb.1387:
	s_or_b32 exec_lo, exec_lo, s19
	s_and_saveexec_b32 s0, s18
	s_cbranch_execz .LBB320_1389
; %bb.1388:
	v_and_b32_e32 v6, 0xffff, v9
	v_lshlrev_b32_e32 v9, 24, v9
	s_delay_alu instid0(VALU_DEP_2) | instskip(NEXT) | instid1(VALU_DEP_2)
	v_and_b32_e32 v7, 7, v6
	v_and_b32_e32 v9, 0x80000000, v9
	s_delay_alu instid0(VALU_DEP_2) | instskip(NEXT) | instid1(VALU_DEP_1)
	v_clz_i32_u32_e32 v11, v7
	v_min_u32_e32 v11, 32, v11
	s_delay_alu instid0(VALU_DEP_1) | instskip(SKIP_1) | instid1(VALU_DEP_2)
	v_subrev_nc_u32_e32 v12, 28, v11
	v_sub_nc_u32_e32 v11, 29, v11
	v_lshlrev_b32_e32 v12, v12, v6
	v_bfe_u32 v6, v6, 3, 4
	s_delay_alu instid0(VALU_DEP_2) | instskip(NEXT) | instid1(VALU_DEP_2)
	v_and_b32_e32 v12, 7, v12
	v_cmp_eq_u32_e32 vcc_lo, 0, v6
	s_delay_alu instid0(VALU_DEP_2) | instskip(NEXT) | instid1(VALU_DEP_1)
	v_dual_cndmask_b32 v6, v6, v11 :: v_dual_cndmask_b32 v7, v7, v12
	v_lshl_add_u32 v6, v6, 23, 0x3b800000
	s_delay_alu instid0(VALU_DEP_2) | instskip(NEXT) | instid1(VALU_DEP_1)
	v_lshlrev_b32_e32 v7, 20, v7
	v_or3_b32 v6, v9, v6, v7
	s_delay_alu instid0(VALU_DEP_1)
	v_cvt_f64_f32_e32 v[6:7], v6
.LBB320_1389:
	s_or_b32 exec_lo, exec_lo, s0
.LBB320_1390:
	s_mov_b32 s0, -1
.LBB320_1391:
	s_mov_b32 s1, 0
.LBB320_1392:
	s_delay_alu instid0(SALU_CYCLE_1)
	s_and_b32 vcc_lo, exec_lo, s1
	s_cbranch_vccz .LBB320_1423
; %bb.1393:
	v_cmp_lt_i16_e32 vcc_lo, 22, v10
	s_cbranch_vccz .LBB320_1405
; %bb.1394:
	v_cmp_gt_i16_e32 vcc_lo, 24, v10
	s_cbranch_vccnz .LBB320_1406
; %bb.1395:
	v_cmp_lt_i16_e32 vcc_lo, 24, v10
	s_cbranch_vccz .LBB320_1407
; %bb.1396:
	global_load_u8 v9, v[2:3], off
	s_mov_b32 s18, exec_lo
                                        ; implicit-def: $sgpr0_sgpr1
	s_waitcnt vmcnt(0)
	v_cmpx_lt_i16_e32 0x7f, v9
	s_xor_b32 s18, exec_lo, s18
	s_cbranch_execz .LBB320_1400
; %bb.1397:
	s_mov_b32 s19, -1
	s_mov_b32 s17, exec_lo
                                        ; implicit-def: $sgpr0_sgpr1
	v_cmpx_eq_u16_e32 0x80, v9
; %bb.1398:
	s_mov_b32 s1, 0x7ff80000
	s_brev_b32 s0, 4
	s_xor_b32 s19, exec_lo, -1
; %bb.1399:
	s_or_b32 exec_lo, exec_lo, s17
	s_delay_alu instid0(SALU_CYCLE_1)
	s_and_b32 s17, s19, exec_lo
.LBB320_1400:
	s_or_saveexec_b32 s18, s18
	v_dual_mov_b32 v7, s1 :: v_dual_mov_b32 v6, s0
	s_xor_b32 exec_lo, exec_lo, s18
; %bb.1401:
	v_cmp_ne_u16_e32 vcc_lo, 0, v9
	v_mov_b32_e32 v6, 0
	v_mov_b32_e32 v7, 0
	s_and_not1_b32 s0, s17, exec_lo
	s_and_b32 s1, vcc_lo, exec_lo
	s_delay_alu instid0(SALU_CYCLE_1)
	s_or_b32 s17, s0, s1
; %bb.1402:
	s_or_b32 exec_lo, exec_lo, s18
	s_and_saveexec_b32 s0, s17
	s_cbranch_execz .LBB320_1404
; %bb.1403:
	v_and_b32_e32 v6, 0xffff, v9
	v_lshlrev_b32_e32 v9, 24, v9
	s_delay_alu instid0(VALU_DEP_2) | instskip(NEXT) | instid1(VALU_DEP_2)
	v_and_b32_e32 v7, 3, v6
	v_and_b32_e32 v9, 0x80000000, v9
	s_delay_alu instid0(VALU_DEP_2) | instskip(NEXT) | instid1(VALU_DEP_1)
	v_clz_i32_u32_e32 v11, v7
	v_min_u32_e32 v11, 32, v11
	s_delay_alu instid0(VALU_DEP_1) | instskip(SKIP_1) | instid1(VALU_DEP_2)
	v_subrev_nc_u32_e32 v12, 29, v11
	v_sub_nc_u32_e32 v11, 30, v11
	v_lshlrev_b32_e32 v12, v12, v6
	v_bfe_u32 v6, v6, 2, 5
	s_delay_alu instid0(VALU_DEP_2) | instskip(NEXT) | instid1(VALU_DEP_2)
	v_and_b32_e32 v12, 3, v12
	v_cmp_eq_u32_e32 vcc_lo, 0, v6
	s_delay_alu instid0(VALU_DEP_2) | instskip(NEXT) | instid1(VALU_DEP_1)
	v_dual_cndmask_b32 v6, v6, v11 :: v_dual_cndmask_b32 v7, v7, v12
	v_lshl_add_u32 v6, v6, 23, 0x37800000
	s_delay_alu instid0(VALU_DEP_2) | instskip(NEXT) | instid1(VALU_DEP_1)
	v_lshlrev_b32_e32 v7, 21, v7
	v_or3_b32 v6, v9, v6, v7
	s_delay_alu instid0(VALU_DEP_1)
	v_cvt_f64_f32_e32 v[6:7], v6
.LBB320_1404:
	s_or_b32 exec_lo, exec_lo, s0
	s_mov_b32 s0, 0
	s_branch .LBB320_1408
.LBB320_1405:
	s_mov_b32 s1, -1
                                        ; implicit-def: $vgpr6_vgpr7
	s_branch .LBB320_1414
.LBB320_1406:
	s_mov_b32 s0, -1
                                        ; implicit-def: $vgpr6_vgpr7
	s_branch .LBB320_1411
.LBB320_1407:
	s_mov_b32 s0, -1
                                        ; implicit-def: $vgpr6_vgpr7
.LBB320_1408:
	s_delay_alu instid0(SALU_CYCLE_1)
	s_and_b32 vcc_lo, exec_lo, s0
	s_cbranch_vccz .LBB320_1410
; %bb.1409:
	global_load_u8 v6, v[2:3], off
	s_waitcnt vmcnt(0)
	v_lshlrev_b32_e32 v6, 24, v6
	s_delay_alu instid0(VALU_DEP_1) | instskip(NEXT) | instid1(VALU_DEP_1)
	v_and_b32_e32 v7, 0x7f000000, v6
	v_clz_i32_u32_e32 v9, v7
	v_add_nc_u32_e32 v12, 0x1000000, v7
	v_cmp_ne_u32_e32 vcc_lo, 0, v7
	s_delay_alu instid0(VALU_DEP_3) | instskip(NEXT) | instid1(VALU_DEP_1)
	v_min_u32_e32 v9, 32, v9
	v_sub_nc_u32_e64 v9, v9, 4 clamp
	s_delay_alu instid0(VALU_DEP_1) | instskip(SKIP_1) | instid1(VALU_DEP_2)
	v_lshlrev_b32_e32 v11, v9, v7
	v_lshlrev_b32_e32 v9, 23, v9
	v_lshrrev_b32_e32 v11, 4, v11
	s_delay_alu instid0(VALU_DEP_1) | instskip(SKIP_1) | instid1(VALU_DEP_2)
	v_sub_nc_u32_e32 v9, v11, v9
	v_ashrrev_i32_e32 v11, 8, v12
	v_add_nc_u32_e32 v9, 0x3c000000, v9
	s_delay_alu instid0(VALU_DEP_1) | instskip(NEXT) | instid1(VALU_DEP_1)
	v_and_or_b32 v9, 0x7f800000, v11, v9
	v_cndmask_b32_e32 v7, 0, v9, vcc_lo
	s_delay_alu instid0(VALU_DEP_1) | instskip(NEXT) | instid1(VALU_DEP_1)
	v_and_or_b32 v6, 0x80000000, v6, v7
	v_cvt_f64_f32_e32 v[6:7], v6
.LBB320_1410:
	s_mov_b32 s0, 0
.LBB320_1411:
	s_delay_alu instid0(SALU_CYCLE_1)
	s_and_not1_b32 vcc_lo, exec_lo, s0
	s_cbranch_vccnz .LBB320_1413
; %bb.1412:
	global_load_u8 v6, v[2:3], off
	s_waitcnt vmcnt(0)
	v_lshlrev_b32_e32 v7, 25, v6
	v_lshlrev_b16 v6, 8, v6
	s_delay_alu instid0(VALU_DEP_2) | instskip(NEXT) | instid1(VALU_DEP_2)
	v_lshrrev_b32_e32 v9, 4, v7
	v_and_or_b32 v11, 0x7f00, v6, 0.5
	v_cmp_gt_u32_e32 vcc_lo, 0x8000000, v7
	v_bfe_i32 v6, v6, 0, 16
	s_delay_alu instid0(VALU_DEP_4) | instskip(NEXT) | instid1(VALU_DEP_4)
	v_or_b32_e32 v9, 0x70000000, v9
	v_add_f32_e32 v11, -0.5, v11
	s_delay_alu instid0(VALU_DEP_2) | instskip(NEXT) | instid1(VALU_DEP_1)
	v_mul_f32_e32 v9, 0x7800000, v9
	v_cndmask_b32_e32 v7, v9, v11, vcc_lo
	s_delay_alu instid0(VALU_DEP_1) | instskip(NEXT) | instid1(VALU_DEP_1)
	v_and_or_b32 v6, 0x80000000, v6, v7
	v_cvt_f64_f32_e32 v[6:7], v6
.LBB320_1413:
	s_mov_b32 s1, 0
	s_mov_b32 s0, -1
.LBB320_1414:
	s_and_not1_b32 vcc_lo, exec_lo, s1
	s_mov_b32 s17, 0
	s_cbranch_vccnz .LBB320_1423
; %bb.1415:
	v_cmp_lt_i16_e32 vcc_lo, 14, v10
	s_cbranch_vccz .LBB320_1418
; %bb.1416:
	v_cmp_eq_u16_e32 vcc_lo, 15, v10
	s_cbranch_vccz .LBB320_1419
; %bb.1417:
	global_load_u16 v6, v[2:3], off
	s_mov_b32 s16, 0
	s_mov_b32 s0, -1
	s_waitcnt vmcnt(0)
	v_lshlrev_b32_e32 v6, 16, v6
	s_delay_alu instid0(VALU_DEP_1)
	v_cvt_f64_f32_e32 v[6:7], v6
	s_branch .LBB320_1420
.LBB320_1418:
	s_mov_b32 s1, -1
                                        ; implicit-def: $vgpr6_vgpr7
	s_branch .LBB320_1421
.LBB320_1419:
	s_mov_b32 s16, -1
                                        ; implicit-def: $vgpr6_vgpr7
.LBB320_1420:
	s_mov_b32 s1, 0
.LBB320_1421:
	s_delay_alu instid0(SALU_CYCLE_1)
	s_and_b32 vcc_lo, exec_lo, s1
	s_cbranch_vccz .LBB320_1423
; %bb.1422:
	v_cmp_ne_u16_e64 s16, 11, v10
	s_mov_b32 s17, -1
                                        ; implicit-def: $vgpr6_vgpr7
.LBB320_1423:
	s_delay_alu instid0(VALU_DEP_1)
	s_and_b32 vcc_lo, exec_lo, s16
	s_cbranch_vccnz .LBB320_1439
; %bb.1424:
	s_and_not1_b32 vcc_lo, exec_lo, s17
	s_cbranch_vccnz .LBB320_1426
.LBB320_1425:
	global_load_u8 v6, v[2:3], off
	s_mov_b32 s0, -1
	s_waitcnt vmcnt(0)
	v_cmp_ne_u16_e32 vcc_lo, 0, v6
	v_mov_b32_e32 v6, 0
	v_cndmask_b32_e64 v7, 0, 0x3ff00000, vcc_lo
.LBB320_1426:
.LBB320_1427:
	s_and_not1_b32 vcc_lo, exec_lo, s0
	s_cbranch_vccnz .LBB320_1995
.LBB320_1428:
	v_add_nc_u32_e32 v2, s3, v8
	v_cmp_gt_i16_e32 vcc_lo, 11, v10
	s_delay_alu instid0(VALU_DEP_2) | instskip(SKIP_1) | instid1(VALU_DEP_1)
	v_ashrrev_i32_e32 v3, 31, v2
	v_add_co_u32 v2, s0, s6, v2
	v_add_co_ci_u32_e64 v3, s0, s7, v3, s0
	s_cbranch_vccnz .LBB320_1435
; %bb.1429:
	v_cmp_lt_i16_e32 vcc_lo, 25, v10
	s_mov_b32 s6, 0
	s_cbranch_vccz .LBB320_1436
; %bb.1430:
	v_cmp_lt_i16_e32 vcc_lo, 28, v10
	s_cbranch_vccz .LBB320_1437
; %bb.1431:
	v_cmp_lt_i16_e32 vcc_lo, 43, v10
	;; [unrolled: 3-line block ×3, first 2 shown]
	s_cbranch_vccz .LBB320_1441
; %bb.1433:
	v_cmp_eq_u16_e32 vcc_lo, 46, v10
	s_mov_b32 s1, 0
	s_cbranch_vccz .LBB320_1444
; %bb.1434:
	global_load_b32 v8, v[2:3], off
	s_mov_b32 s3, 0
	s_mov_b32 s0, -1
	s_waitcnt vmcnt(0)
	v_lshlrev_b32_e32 v8, 16, v8
	s_delay_alu instid0(VALU_DEP_1)
	v_cvt_f64_f32_e32 v[8:9], v8
	s_branch .LBB320_1446
.LBB320_1435:
	s_mov_b32 s1, -1
	s_mov_b32 s0, 0
                                        ; implicit-def: $vgpr8_vgpr9
	s_branch .LBB320_1512
.LBB320_1436:
	s_mov_b32 s1, -1
	s_mov_b32 s0, 0
	s_mov_b32 s3, 0
                                        ; implicit-def: $vgpr8_vgpr9
	s_branch .LBB320_1477
.LBB320_1437:
	s_mov_b32 s1, -1
	s_mov_b32 s0, 0
	s_mov_b32 s3, 0
                                        ; implicit-def: $vgpr8_vgpr9
	s_branch .LBB320_1456
.LBB320_1438:
	s_mov_b32 s1, -1
	s_mov_b32 s0, 0
	s_mov_b32 s3, 0
                                        ; implicit-def: $vgpr8_vgpr9
	s_branch .LBB320_1451
.LBB320_1439:
	s_cbranch_execnz .LBB320_1442
; %bb.1440:
	s_or_b32 s13, s13, exec_lo
                                        ; implicit-def: $vgpr6_vgpr7
	s_cbranch_execz .LBB320_1425
	s_branch .LBB320_1426
.LBB320_1441:
	s_mov_b32 s1, -1
	s_mov_b32 s0, 0
	s_mov_b32 s3, 0
	s_branch .LBB320_1445
.LBB320_1442:
	s_trap 2
	s_sendmsg_rtn_b32 s0, sendmsg(MSG_RTN_GET_DOORBELL)
	s_mov_b32 ttmp2, m0
	s_waitcnt lgkmcnt(0)
	s_and_b32 s0, s0, 0x3ff
	s_delay_alu instid0(SALU_CYCLE_1) | instskip(NEXT) | instid1(SALU_CYCLE_1)
	s_bitset1_b32 s0, 10
	s_mov_b32 m0, s0
	s_sendmsg sendmsg(MSG_INTERRUPT)
	s_mov_b32 m0, ttmp2
.LBB320_1443:                           ; =>This Inner Loop Header: Depth=1
	s_sethalt 5
	s_branch .LBB320_1443
.LBB320_1444:
	s_mov_b32 s3, -1
	s_mov_b32 s0, 0
.LBB320_1445:
                                        ; implicit-def: $vgpr8_vgpr9
.LBB320_1446:
	s_and_b32 vcc_lo, exec_lo, s1
	s_cbranch_vccz .LBB320_1450
; %bb.1447:
	v_cmp_eq_u16_e32 vcc_lo, 44, v10
	s_cbranch_vccz .LBB320_1449
; %bb.1448:
	global_load_u8 v11, v[2:3], off
	s_mov_b32 s3, 0
	s_mov_b32 s0, -1
	s_waitcnt vmcnt(0)
	v_cmp_ne_u32_e32 vcc_lo, 0xff, v11
	v_lshlrev_b32_e32 v8, 23, v11
	s_delay_alu instid0(VALU_DEP_1) | instskip(NEXT) | instid1(VALU_DEP_1)
	v_cvt_f64_f32_e32 v[8:9], v8
	v_cndmask_b32_e32 v9, 0x7ff80000, v9, vcc_lo
	s_delay_alu instid0(VALU_DEP_2) | instskip(SKIP_1) | instid1(VALU_DEP_3)
	v_cndmask_b32_e32 v8, 0x20000000, v8, vcc_lo
	v_cmp_ne_u32_e32 vcc_lo, 0, v11
	v_cndmask_b32_e32 v9, 0x38000000, v9, vcc_lo
	s_delay_alu instid0(VALU_DEP_3)
	v_cndmask_b32_e32 v8, 0, v8, vcc_lo
	s_branch .LBB320_1450
.LBB320_1449:
	s_mov_b32 s3, -1
                                        ; implicit-def: $vgpr8_vgpr9
.LBB320_1450:
	s_mov_b32 s1, 0
.LBB320_1451:
	s_delay_alu instid0(SALU_CYCLE_1)
	s_and_b32 vcc_lo, exec_lo, s1
	s_cbranch_vccz .LBB320_1455
; %bb.1452:
	v_cmp_eq_u16_e32 vcc_lo, 29, v10
	s_cbranch_vccz .LBB320_1454
; %bb.1453:
	global_load_b64 v[8:9], v[2:3], off
	s_mov_b32 s3, 0
	s_mov_b32 s0, -1
	s_mov_b32 s1, 0
	s_waitcnt vmcnt(0)
	v_cvt_f64_u32_e32 v[11:12], v9
	v_cvt_f64_u32_e32 v[8:9], v8
	s_delay_alu instid0(VALU_DEP_2) | instskip(NEXT) | instid1(VALU_DEP_1)
	v_ldexp_f64 v[11:12], v[11:12], 32
	v_add_f64 v[8:9], v[11:12], v[8:9]
	s_branch .LBB320_1456
.LBB320_1454:
	s_mov_b32 s3, -1
                                        ; implicit-def: $vgpr8_vgpr9
.LBB320_1455:
	s_mov_b32 s1, 0
.LBB320_1456:
	s_delay_alu instid0(SALU_CYCLE_1)
	s_and_b32 vcc_lo, exec_lo, s1
	s_cbranch_vccz .LBB320_1476
; %bb.1457:
	v_cmp_gt_i16_e32 vcc_lo, 27, v10
	s_cbranch_vccnz .LBB320_1460
; %bb.1458:
	v_cmp_lt_i16_e32 vcc_lo, 27, v10
	s_cbranch_vccz .LBB320_1461
; %bb.1459:
	global_load_b32 v8, v[2:3], off
	s_mov_b32 s0, 0
	s_waitcnt vmcnt(0)
	v_cvt_f64_u32_e32 v[8:9], v8
	s_branch .LBB320_1462
.LBB320_1460:
	s_mov_b32 s0, -1
                                        ; implicit-def: $vgpr8_vgpr9
	s_branch .LBB320_1465
.LBB320_1461:
	s_mov_b32 s0, -1
                                        ; implicit-def: $vgpr8_vgpr9
.LBB320_1462:
	s_delay_alu instid0(SALU_CYCLE_1)
	s_and_not1_b32 vcc_lo, exec_lo, s0
	s_cbranch_vccnz .LBB320_1464
; %bb.1463:
	global_load_u16 v8, v[2:3], off
	s_waitcnt vmcnt(0)
	v_cvt_f64_u32_e32 v[8:9], v8
.LBB320_1464:
	s_mov_b32 s0, 0
.LBB320_1465:
	s_delay_alu instid0(SALU_CYCLE_1)
	s_and_not1_b32 vcc_lo, exec_lo, s0
	s_cbranch_vccnz .LBB320_1475
; %bb.1466:
	global_load_u8 v11, v[2:3], off
	s_mov_b32 s7, 0
	s_mov_b32 s16, exec_lo
                                        ; implicit-def: $sgpr0_sgpr1
	s_waitcnt vmcnt(0)
	v_cmpx_lt_i16_e32 0x7f, v11
	s_xor_b32 s16, exec_lo, s16
	s_cbranch_execz .LBB320_1470
; %bb.1467:
	s_mov_b32 s17, -1
	s_mov_b32 s7, exec_lo
                                        ; implicit-def: $sgpr0_sgpr1
	v_cmpx_eq_u16_e32 0x80, v11
; %bb.1468:
	s_mov_b32 s1, 0x7ff80000
	s_brev_b32 s0, 4
	s_xor_b32 s17, exec_lo, -1
; %bb.1469:
	s_or_b32 exec_lo, exec_lo, s7
	s_delay_alu instid0(SALU_CYCLE_1)
	s_and_b32 s7, s17, exec_lo
.LBB320_1470:
	s_or_saveexec_b32 s16, s16
	v_dual_mov_b32 v9, s1 :: v_dual_mov_b32 v8, s0
	s_xor_b32 exec_lo, exec_lo, s16
; %bb.1471:
	v_cmp_ne_u16_e32 vcc_lo, 0, v11
	v_mov_b32_e32 v8, 0
	v_mov_b32_e32 v9, 0
	s_and_not1_b32 s0, s7, exec_lo
	s_and_b32 s1, vcc_lo, exec_lo
	s_delay_alu instid0(SALU_CYCLE_1)
	s_or_b32 s7, s0, s1
; %bb.1472:
	s_or_b32 exec_lo, exec_lo, s16
	s_and_saveexec_b32 s0, s7
	s_cbranch_execz .LBB320_1474
; %bb.1473:
	v_and_b32_e32 v8, 0xffff, v11
	v_lshlrev_b32_e32 v11, 24, v11
	s_delay_alu instid0(VALU_DEP_2) | instskip(NEXT) | instid1(VALU_DEP_2)
	v_and_b32_e32 v9, 7, v8
	v_and_b32_e32 v11, 0x80000000, v11
	s_delay_alu instid0(VALU_DEP_2) | instskip(NEXT) | instid1(VALU_DEP_1)
	v_clz_i32_u32_e32 v12, v9
	v_min_u32_e32 v12, 32, v12
	s_delay_alu instid0(VALU_DEP_1) | instskip(SKIP_1) | instid1(VALU_DEP_2)
	v_subrev_nc_u32_e32 v13, 28, v12
	v_sub_nc_u32_e32 v12, 29, v12
	v_lshlrev_b32_e32 v13, v13, v8
	v_bfe_u32 v8, v8, 3, 4
	s_delay_alu instid0(VALU_DEP_1) | instskip(NEXT) | instid1(VALU_DEP_3)
	v_cmp_eq_u32_e32 vcc_lo, 0, v8
	v_dual_cndmask_b32 v8, v8, v12 :: v_dual_and_b32 v13, 7, v13
	s_delay_alu instid0(VALU_DEP_1) | instskip(NEXT) | instid1(VALU_DEP_2)
	v_cndmask_b32_e32 v9, v9, v13, vcc_lo
	v_lshl_add_u32 v8, v8, 23, 0x3b800000
	s_delay_alu instid0(VALU_DEP_2) | instskip(NEXT) | instid1(VALU_DEP_1)
	v_lshlrev_b32_e32 v9, 20, v9
	v_or3_b32 v8, v11, v8, v9
	s_delay_alu instid0(VALU_DEP_1)
	v_cvt_f64_f32_e32 v[8:9], v8
.LBB320_1474:
	s_or_b32 exec_lo, exec_lo, s0
.LBB320_1475:
	s_mov_b32 s0, -1
.LBB320_1476:
	s_mov_b32 s1, 0
.LBB320_1477:
	s_delay_alu instid0(SALU_CYCLE_1)
	s_and_b32 vcc_lo, exec_lo, s1
	s_cbranch_vccz .LBB320_1508
; %bb.1478:
	v_cmp_lt_i16_e32 vcc_lo, 22, v10
	s_cbranch_vccz .LBB320_1490
; %bb.1479:
	v_cmp_gt_i16_e32 vcc_lo, 24, v10
	s_cbranch_vccnz .LBB320_1491
; %bb.1480:
	v_cmp_lt_i16_e32 vcc_lo, 24, v10
	s_cbranch_vccz .LBB320_1492
; %bb.1481:
	global_load_u8 v11, v[2:3], off
	s_mov_b32 s7, exec_lo
                                        ; implicit-def: $sgpr0_sgpr1
	s_waitcnt vmcnt(0)
	v_cmpx_lt_i16_e32 0x7f, v11
	s_xor_b32 s7, exec_lo, s7
	s_cbranch_execz .LBB320_1485
; %bb.1482:
	s_mov_b32 s16, -1
	s_mov_b32 s6, exec_lo
                                        ; implicit-def: $sgpr0_sgpr1
	v_cmpx_eq_u16_e32 0x80, v11
; %bb.1483:
	s_mov_b32 s1, 0x7ff80000
	s_brev_b32 s0, 4
	s_xor_b32 s16, exec_lo, -1
; %bb.1484:
	s_or_b32 exec_lo, exec_lo, s6
	s_delay_alu instid0(SALU_CYCLE_1)
	s_and_b32 s6, s16, exec_lo
.LBB320_1485:
	s_or_saveexec_b32 s7, s7
	v_dual_mov_b32 v9, s1 :: v_dual_mov_b32 v8, s0
	s_xor_b32 exec_lo, exec_lo, s7
; %bb.1486:
	v_cmp_ne_u16_e32 vcc_lo, 0, v11
	v_mov_b32_e32 v8, 0
	v_mov_b32_e32 v9, 0
	s_and_not1_b32 s0, s6, exec_lo
	s_and_b32 s1, vcc_lo, exec_lo
	s_delay_alu instid0(SALU_CYCLE_1)
	s_or_b32 s6, s0, s1
; %bb.1487:
	s_or_b32 exec_lo, exec_lo, s7
	s_and_saveexec_b32 s0, s6
	s_cbranch_execz .LBB320_1489
; %bb.1488:
	v_and_b32_e32 v8, 0xffff, v11
	v_lshlrev_b32_e32 v11, 24, v11
	s_delay_alu instid0(VALU_DEP_2) | instskip(NEXT) | instid1(VALU_DEP_2)
	v_and_b32_e32 v9, 3, v8
	v_and_b32_e32 v11, 0x80000000, v11
	s_delay_alu instid0(VALU_DEP_2) | instskip(NEXT) | instid1(VALU_DEP_1)
	v_clz_i32_u32_e32 v12, v9
	v_min_u32_e32 v12, 32, v12
	s_delay_alu instid0(VALU_DEP_1) | instskip(SKIP_1) | instid1(VALU_DEP_2)
	v_subrev_nc_u32_e32 v13, 29, v12
	v_sub_nc_u32_e32 v12, 30, v12
	v_lshlrev_b32_e32 v13, v13, v8
	v_bfe_u32 v8, v8, 2, 5
	s_delay_alu instid0(VALU_DEP_1) | instskip(NEXT) | instid1(VALU_DEP_3)
	v_cmp_eq_u32_e32 vcc_lo, 0, v8
	v_dual_cndmask_b32 v8, v8, v12 :: v_dual_and_b32 v13, 3, v13
	s_delay_alu instid0(VALU_DEP_1) | instskip(NEXT) | instid1(VALU_DEP_2)
	v_cndmask_b32_e32 v9, v9, v13, vcc_lo
	v_lshl_add_u32 v8, v8, 23, 0x37800000
	s_delay_alu instid0(VALU_DEP_2) | instskip(NEXT) | instid1(VALU_DEP_1)
	v_lshlrev_b32_e32 v9, 21, v9
	v_or3_b32 v8, v11, v8, v9
	s_delay_alu instid0(VALU_DEP_1)
	v_cvt_f64_f32_e32 v[8:9], v8
.LBB320_1489:
	s_or_b32 exec_lo, exec_lo, s0
	s_mov_b32 s0, 0
	s_branch .LBB320_1493
.LBB320_1490:
	s_mov_b32 s1, -1
                                        ; implicit-def: $vgpr8_vgpr9
	s_branch .LBB320_1499
.LBB320_1491:
	s_mov_b32 s0, -1
                                        ; implicit-def: $vgpr8_vgpr9
	s_branch .LBB320_1496
.LBB320_1492:
	s_mov_b32 s0, -1
                                        ; implicit-def: $vgpr8_vgpr9
.LBB320_1493:
	s_delay_alu instid0(SALU_CYCLE_1)
	s_and_b32 vcc_lo, exec_lo, s0
	s_cbranch_vccz .LBB320_1495
; %bb.1494:
	global_load_u8 v8, v[2:3], off
	s_waitcnt vmcnt(0)
	v_lshlrev_b32_e32 v8, 24, v8
	s_delay_alu instid0(VALU_DEP_1) | instskip(NEXT) | instid1(VALU_DEP_1)
	v_and_b32_e32 v9, 0x7f000000, v8
	v_clz_i32_u32_e32 v11, v9
	v_add_nc_u32_e32 v13, 0x1000000, v9
	v_cmp_ne_u32_e32 vcc_lo, 0, v9
	s_delay_alu instid0(VALU_DEP_3) | instskip(NEXT) | instid1(VALU_DEP_1)
	v_min_u32_e32 v11, 32, v11
	v_sub_nc_u32_e64 v11, v11, 4 clamp
	s_delay_alu instid0(VALU_DEP_1) | instskip(SKIP_1) | instid1(VALU_DEP_2)
	v_lshlrev_b32_e32 v12, v11, v9
	v_lshlrev_b32_e32 v11, 23, v11
	v_lshrrev_b32_e32 v12, 4, v12
	s_delay_alu instid0(VALU_DEP_1) | instskip(SKIP_1) | instid1(VALU_DEP_2)
	v_sub_nc_u32_e32 v11, v12, v11
	v_ashrrev_i32_e32 v12, 8, v13
	v_add_nc_u32_e32 v11, 0x3c000000, v11
	s_delay_alu instid0(VALU_DEP_1) | instskip(NEXT) | instid1(VALU_DEP_1)
	v_and_or_b32 v11, 0x7f800000, v12, v11
	v_cndmask_b32_e32 v9, 0, v11, vcc_lo
	s_delay_alu instid0(VALU_DEP_1) | instskip(NEXT) | instid1(VALU_DEP_1)
	v_and_or_b32 v8, 0x80000000, v8, v9
	v_cvt_f64_f32_e32 v[8:9], v8
.LBB320_1495:
	s_mov_b32 s0, 0
.LBB320_1496:
	s_delay_alu instid0(SALU_CYCLE_1)
	s_and_not1_b32 vcc_lo, exec_lo, s0
	s_cbranch_vccnz .LBB320_1498
; %bb.1497:
	global_load_u8 v8, v[2:3], off
	s_waitcnt vmcnt(0)
	v_lshlrev_b32_e32 v9, 25, v8
	v_lshlrev_b16 v8, 8, v8
	s_delay_alu instid0(VALU_DEP_2) | instskip(NEXT) | instid1(VALU_DEP_2)
	v_lshrrev_b32_e32 v11, 4, v9
	v_and_or_b32 v12, 0x7f00, v8, 0.5
	v_cmp_gt_u32_e32 vcc_lo, 0x8000000, v9
	v_bfe_i32 v8, v8, 0, 16
	s_delay_alu instid0(VALU_DEP_4) | instskip(NEXT) | instid1(VALU_DEP_1)
	v_or_b32_e32 v11, 0x70000000, v11
	v_dual_add_f32 v12, -0.5, v12 :: v_dual_mul_f32 v11, 0x7800000, v11
	s_delay_alu instid0(VALU_DEP_1) | instskip(NEXT) | instid1(VALU_DEP_1)
	v_cndmask_b32_e32 v9, v11, v12, vcc_lo
	v_and_or_b32 v8, 0x80000000, v8, v9
	s_delay_alu instid0(VALU_DEP_1)
	v_cvt_f64_f32_e32 v[8:9], v8
.LBB320_1498:
	s_mov_b32 s1, 0
	s_mov_b32 s0, -1
.LBB320_1499:
	s_and_not1_b32 vcc_lo, exec_lo, s1
	s_mov_b32 s6, 0
	s_cbranch_vccnz .LBB320_1508
; %bb.1500:
	v_cmp_lt_i16_e32 vcc_lo, 14, v10
	s_cbranch_vccz .LBB320_1503
; %bb.1501:
	v_cmp_eq_u16_e32 vcc_lo, 15, v10
	s_cbranch_vccz .LBB320_1504
; %bb.1502:
	global_load_u16 v8, v[2:3], off
	s_mov_b32 s3, 0
	s_mov_b32 s0, -1
	s_waitcnt vmcnt(0)
	v_lshlrev_b32_e32 v8, 16, v8
	s_delay_alu instid0(VALU_DEP_1)
	v_cvt_f64_f32_e32 v[8:9], v8
	s_branch .LBB320_1505
.LBB320_1503:
	s_mov_b32 s1, -1
                                        ; implicit-def: $vgpr8_vgpr9
	s_branch .LBB320_1506
.LBB320_1504:
	s_mov_b32 s3, -1
                                        ; implicit-def: $vgpr8_vgpr9
.LBB320_1505:
	s_mov_b32 s1, 0
.LBB320_1506:
	s_delay_alu instid0(SALU_CYCLE_1)
	s_and_b32 vcc_lo, exec_lo, s1
	s_cbranch_vccz .LBB320_1508
; %bb.1507:
	v_cmp_ne_u16_e64 s3, 11, v10
	s_mov_b32 s6, -1
                                        ; implicit-def: $vgpr8_vgpr9
.LBB320_1508:
	s_delay_alu instid0(VALU_DEP_1)
	s_and_b32 vcc_lo, exec_lo, s3
	s_cbranch_vccnz .LBB320_2041
; %bb.1509:
	s_and_not1_b32 vcc_lo, exec_lo, s6
	s_cbranch_vccnz .LBB320_1511
.LBB320_1510:
	global_load_u8 v8, v[2:3], off
	s_mov_b32 s0, -1
	s_waitcnt vmcnt(0)
	v_cmp_ne_u16_e32 vcc_lo, 0, v8
	v_mov_b32_e32 v8, 0
	v_cndmask_b32_e64 v9, 0, 0x3ff00000, vcc_lo
.LBB320_1511:
	s_mov_b32 s1, 0
.LBB320_1512:
	s_delay_alu instid0(SALU_CYCLE_1)
	s_and_b32 vcc_lo, exec_lo, s1
	s_cbranch_vccz .LBB320_1561
; %bb.1513:
	v_cmp_gt_i16_e32 vcc_lo, 5, v10
	s_cbranch_vccnz .LBB320_1518
; %bb.1514:
	v_cmp_gt_i16_e32 vcc_lo, 8, v10
	s_cbranch_vccnz .LBB320_1519
	;; [unrolled: 3-line block ×3, first 2 shown]
; %bb.1516:
	v_cmp_lt_i16_e32 vcc_lo, 9, v10
	s_cbranch_vccz .LBB320_1521
; %bb.1517:
	global_load_b64 v[8:9], v[2:3], off
	s_mov_b32 s0, 0
	s_branch .LBB320_1522
.LBB320_1518:
	s_mov_b32 s0, -1
                                        ; implicit-def: $vgpr8_vgpr9
	s_branch .LBB320_1540
.LBB320_1519:
	s_mov_b32 s0, -1
                                        ; implicit-def: $vgpr8_vgpr9
	s_branch .LBB320_1528
.LBB320_1520:
	s_mov_b32 s0, -1
                                        ; implicit-def: $vgpr8_vgpr9
	s_branch .LBB320_1525
.LBB320_1521:
	s_mov_b32 s0, -1
                                        ; implicit-def: $vgpr8_vgpr9
.LBB320_1522:
	s_delay_alu instid0(SALU_CYCLE_1)
	s_and_not1_b32 vcc_lo, exec_lo, s0
	s_cbranch_vccnz .LBB320_1524
; %bb.1523:
	global_load_b32 v8, v[2:3], off
	s_waitcnt vmcnt(0)
	v_cvt_f64_f32_e32 v[8:9], v8
.LBB320_1524:
	s_mov_b32 s0, 0
.LBB320_1525:
	s_delay_alu instid0(SALU_CYCLE_1)
	s_and_not1_b32 vcc_lo, exec_lo, s0
	s_cbranch_vccnz .LBB320_1527
; %bb.1526:
	global_load_b32 v8, v[2:3], off
	s_waitcnt vmcnt(0)
	v_cvt_f32_f16_e32 v8, v8
	s_delay_alu instid0(VALU_DEP_1)
	v_cvt_f64_f32_e32 v[8:9], v8
.LBB320_1527:
	s_mov_b32 s0, 0
.LBB320_1528:
	s_delay_alu instid0(SALU_CYCLE_1)
	s_and_not1_b32 vcc_lo, exec_lo, s0
	s_cbranch_vccnz .LBB320_1539
; %bb.1529:
	v_cmp_gt_i16_e32 vcc_lo, 6, v10
	s_cbranch_vccnz .LBB320_1532
; %bb.1530:
	v_cmp_lt_i16_e32 vcc_lo, 6, v10
	s_cbranch_vccz .LBB320_1533
; %bb.1531:
	global_load_b64 v[8:9], v[2:3], off
	s_mov_b32 s0, 0
	s_branch .LBB320_1534
.LBB320_1532:
	s_mov_b32 s0, -1
                                        ; implicit-def: $vgpr8_vgpr9
	s_branch .LBB320_1537
.LBB320_1533:
	s_mov_b32 s0, -1
                                        ; implicit-def: $vgpr8_vgpr9
.LBB320_1534:
	s_delay_alu instid0(SALU_CYCLE_1)
	s_and_not1_b32 vcc_lo, exec_lo, s0
	s_cbranch_vccnz .LBB320_1536
; %bb.1535:
	global_load_b32 v8, v[2:3], off
	s_waitcnt vmcnt(0)
	v_cvt_f64_f32_e32 v[8:9], v8
.LBB320_1536:
	s_mov_b32 s0, 0
.LBB320_1537:
	s_delay_alu instid0(SALU_CYCLE_1)
	s_and_not1_b32 vcc_lo, exec_lo, s0
	s_cbranch_vccnz .LBB320_1539
; %bb.1538:
	global_load_u16 v8, v[2:3], off
	s_waitcnt vmcnt(0)
	v_cvt_f32_f16_e32 v8, v8
	s_delay_alu instid0(VALU_DEP_1)
	v_cvt_f64_f32_e32 v[8:9], v8
.LBB320_1539:
	s_mov_b32 s0, 0
.LBB320_1540:
	s_delay_alu instid0(SALU_CYCLE_1)
	s_and_not1_b32 vcc_lo, exec_lo, s0
	s_cbranch_vccnz .LBB320_1560
; %bb.1541:
	v_cmp_gt_i16_e32 vcc_lo, 2, v10
	s_cbranch_vccnz .LBB320_1545
; %bb.1542:
	v_cmp_gt_i16_e32 vcc_lo, 3, v10
	s_cbranch_vccnz .LBB320_1546
; %bb.1543:
	v_cmp_lt_i16_e32 vcc_lo, 3, v10
	s_cbranch_vccz .LBB320_1547
; %bb.1544:
	global_load_b64 v[8:9], v[2:3], off
	s_mov_b32 s0, 0
	s_waitcnt vmcnt(0)
	v_cvt_f64_i32_e32 v[11:12], v9
	v_cvt_f64_u32_e32 v[8:9], v8
	s_delay_alu instid0(VALU_DEP_2) | instskip(NEXT) | instid1(VALU_DEP_1)
	v_ldexp_f64 v[11:12], v[11:12], 32
	v_add_f64 v[8:9], v[11:12], v[8:9]
	s_branch .LBB320_1548
.LBB320_1545:
	s_mov_b32 s0, -1
                                        ; implicit-def: $vgpr8_vgpr9
	s_branch .LBB320_1554
.LBB320_1546:
	s_mov_b32 s0, -1
                                        ; implicit-def: $vgpr8_vgpr9
	s_branch .LBB320_1551
.LBB320_1547:
	s_mov_b32 s0, -1
                                        ; implicit-def: $vgpr8_vgpr9
.LBB320_1548:
	s_delay_alu instid0(SALU_CYCLE_1)
	s_and_not1_b32 vcc_lo, exec_lo, s0
	s_cbranch_vccnz .LBB320_1550
; %bb.1549:
	global_load_b32 v8, v[2:3], off
	s_waitcnt vmcnt(0)
	v_cvt_f64_i32_e32 v[8:9], v8
.LBB320_1550:
	s_mov_b32 s0, 0
.LBB320_1551:
	s_delay_alu instid0(SALU_CYCLE_1)
	s_and_not1_b32 vcc_lo, exec_lo, s0
	s_cbranch_vccnz .LBB320_1553
; %bb.1552:
	global_load_i16 v8, v[2:3], off
	s_waitcnt vmcnt(0)
	v_cvt_f64_i32_e32 v[8:9], v8
.LBB320_1553:
	s_mov_b32 s0, 0
.LBB320_1554:
	s_delay_alu instid0(SALU_CYCLE_1)
	s_and_not1_b32 vcc_lo, exec_lo, s0
	s_cbranch_vccnz .LBB320_1560
; %bb.1555:
	v_cmp_lt_i16_e32 vcc_lo, 0, v10
	s_mov_b32 s0, 0
	s_cbranch_vccz .LBB320_1557
; %bb.1556:
	global_load_i8 v8, v[2:3], off
	s_waitcnt vmcnt(0)
	v_cvt_f64_i32_e32 v[8:9], v8
	s_branch .LBB320_1558
.LBB320_1557:
	s_mov_b32 s0, -1
                                        ; implicit-def: $vgpr8_vgpr9
.LBB320_1558:
	s_delay_alu instid0(SALU_CYCLE_1)
	s_and_not1_b32 vcc_lo, exec_lo, s0
	s_cbranch_vccnz .LBB320_1560
; %bb.1559:
	global_load_u8 v2, v[2:3], off
	s_waitcnt vmcnt(0)
	v_cvt_f64_u32_e32 v[8:9], v2
.LBB320_1560:
	s_mov_b32 s0, -1
.LBB320_1561:
	s_delay_alu instid0(SALU_CYCLE_1)
	s_and_not1_b32 vcc_lo, exec_lo, s0
	s_cbranch_vccnz .LBB320_1995
; %bb.1562:
	v_max_f64 v[10:11], s[8:9], s[8:9]
	s_waitcnt vmcnt(0)
	v_max_f64 v[2:3], v[0:1], v[0:1]
	v_max_f64 v[12:13], s[10:11], s[10:11]
	v_cmp_u_f64_e32 vcc_lo, v[0:1], v[0:1]
	v_mul_lo_u32 v17, s2, v14
	v_and_b32_e64 v16, 0xff, s12
	s_delay_alu instid0(VALU_DEP_1) | instskip(NEXT) | instid1(VALU_DEP_3)
	v_cmp_gt_i16_e64 s0, 11, v16
	v_ashrrev_i32_e32 v15, 31, v17
	v_add_co_u32 v14, s1, s4, v17
	s_delay_alu instid0(VALU_DEP_1) | instskip(SKIP_1) | instid1(VALU_DEP_1)
	v_add_co_ci_u32_e64 v15, s1, s5, v15, s1
	v_max_f64 v[2:3], v[2:3], v[10:11]
	v_min_f64 v[2:3], v[2:3], v[12:13]
	s_delay_alu instid0(VALU_DEP_1)
	v_dual_cndmask_b32 v1, v3, v1 :: v_dual_cndmask_b32 v0, v2, v0
	s_and_b32 vcc_lo, exec_lo, s0
	s_cbranch_vccnz .LBB320_1640
; %bb.1563:
	v_cmp_lt_i16_e32 vcc_lo, 25, v16
	s_mov_b32 s6, -1
	s_mov_b32 s1, 0
	s_mov_b32 s3, 0
	;; [unrolled: 1-line block ×3, first 2 shown]
	s_cbranch_vccz .LBB320_1596
; %bb.1564:
	v_cmp_lt_i16_e32 vcc_lo, 28, v16
	s_cbranch_vccz .LBB320_1579
; %bb.1565:
	v_cmp_lt_i16_e32 vcc_lo, 43, v16
	;; [unrolled: 3-line block ×3, first 2 shown]
	s_cbranch_vccz .LBB320_1569
; %bb.1567:
	v_cmp_eq_u16_e32 vcc_lo, 46, v16
	s_mov_b32 s0, -1
	s_mov_b32 s6, 0
	s_cbranch_vccz .LBB320_1569
; %bb.1568:
	v_cvt_f32_f64_e32 v2, v[0:1]
	s_mov_b32 s0, 0
	s_mov_b32 s3, -1
	s_delay_alu instid0(VALU_DEP_1) | instskip(SKIP_1) | instid1(VALU_DEP_2)
	v_bfe_u32 v3, v2, 16, 1
	v_cmp_o_f32_e32 vcc_lo, v2, v2
	v_add3_u32 v3, v2, v3, 0x7fff
	s_delay_alu instid0(VALU_DEP_1) | instskip(NEXT) | instid1(VALU_DEP_1)
	v_lshrrev_b32_e32 v3, 16, v3
	v_cndmask_b32_e32 v2, 0x7fc0, v3, vcc_lo
	global_store_b32 v[14:15], v2, off
.LBB320_1569:
	s_and_b32 vcc_lo, exec_lo, s6
	s_cbranch_vccz .LBB320_1574
; %bb.1570:
	v_cmp_eq_u16_e32 vcc_lo, 44, v16
	s_mov_b32 s0, -1
	s_cbranch_vccz .LBB320_1574
; %bb.1571:
	v_cvt_f32_f64_e32 v2, v[0:1]
	v_mov_b32_e32 v3, 0xff
	s_mov_b32 s3, exec_lo
	s_delay_alu instid0(VALU_DEP_2) | instskip(NEXT) | instid1(VALU_DEP_1)
	v_bfe_u32 v18, v2, 23, 8
	v_cmpx_ne_u32_e32 0xff, v18
; %bb.1572:
	v_and_b32_e32 v3, 0x400000, v2
	v_and_or_b32 v18, 0x3fffff, v2, v18
	v_lshrrev_b32_e32 v2, 23, v2
	s_delay_alu instid0(VALU_DEP_3) | instskip(NEXT) | instid1(VALU_DEP_3)
	v_cmp_ne_u32_e32 vcc_lo, 0, v3
	v_cmp_ne_u32_e64 s0, 0, v18
	s_delay_alu instid0(VALU_DEP_1) | instskip(NEXT) | instid1(SALU_CYCLE_1)
	s_and_b32 s0, vcc_lo, s0
	v_cndmask_b32_e64 v3, 0, 1, s0
	s_delay_alu instid0(VALU_DEP_1)
	v_add_nc_u32_e32 v3, v2, v3
; %bb.1573:
	s_or_b32 exec_lo, exec_lo, s3
	s_mov_b32 s0, 0
	s_mov_b32 s3, -1
	global_store_b8 v[14:15], v3, off
.LBB320_1574:
	s_mov_b32 s6, 0
.LBB320_1575:
	s_delay_alu instid0(SALU_CYCLE_1)
	s_and_b32 vcc_lo, exec_lo, s6
	s_cbranch_vccz .LBB320_1578
; %bb.1576:
	v_cmp_eq_u16_e32 vcc_lo, 29, v16
	s_mov_b32 s0, -1
	s_cbranch_vccz .LBB320_1578
; %bb.1577:
	v_trunc_f64_e32 v[2:3], v[0:1]
	s_mov_b32 s0, 0
	s_mov_b32 s3, -1
	s_delay_alu instid0(VALU_DEP_1) | instskip(NEXT) | instid1(VALU_DEP_1)
	v_ldexp_f64 v[18:19], v[2:3], 0xffffffe0
	v_floor_f64_e32 v[18:19], v[18:19]
	s_delay_alu instid0(VALU_DEP_1) | instskip(SKIP_1) | instid1(VALU_DEP_2)
	v_fma_f64 v[2:3], 0xc1f00000, v[18:19], v[2:3]
	v_cvt_u32_f64_e32 v19, v[18:19]
	v_cvt_u32_f64_e32 v18, v[2:3]
	global_store_b64 v[14:15], v[18:19], off
.LBB320_1578:
	s_mov_b32 s6, 0
.LBB320_1579:
	s_delay_alu instid0(SALU_CYCLE_1)
	s_and_b32 vcc_lo, exec_lo, s6
	s_cbranch_vccz .LBB320_1595
; %bb.1580:
	v_cmp_gt_i16_e32 vcc_lo, 27, v16
	s_mov_b32 s3, -1
	s_cbranch_vccnz .LBB320_1586
; %bb.1581:
	v_cvt_u32_f64_e32 v2, v[0:1]
	v_cmp_lt_i16_e32 vcc_lo, 27, v16
	s_cbranch_vccz .LBB320_1583
; %bb.1582:
	s_mov_b32 s3, 0
	global_store_b32 v[14:15], v2, off
.LBB320_1583:
	s_and_not1_b32 vcc_lo, exec_lo, s3
	s_cbranch_vccnz .LBB320_1585
; %bb.1584:
	global_store_b16 v[14:15], v2, off
.LBB320_1585:
	s_mov_b32 s3, 0
.LBB320_1586:
	s_delay_alu instid0(SALU_CYCLE_1)
	s_and_not1_b32 vcc_lo, exec_lo, s3
	s_cbranch_vccnz .LBB320_1594
; %bb.1587:
	v_cvt_f32_f64_e32 v2, v[0:1]
	v_mov_b32_e32 v18, 0x80
	s_mov_b32 s3, exec_lo
	s_delay_alu instid0(VALU_DEP_2) | instskip(NEXT) | instid1(VALU_DEP_1)
	v_and_b32_e32 v3, 0x7fffffff, v2
	v_cmpx_gt_u32_e32 0x43800000, v3
	s_cbranch_execz .LBB320_1593
; %bb.1588:
	v_cmp_lt_u32_e32 vcc_lo, 0x3bffffff, v3
	s_mov_b32 s6, 0
                                        ; implicit-def: $vgpr3
	s_and_saveexec_b32 s7, vcc_lo
	s_delay_alu instid0(SALU_CYCLE_1)
	s_xor_b32 s7, exec_lo, s7
	s_cbranch_execz .LBB320_2043
; %bb.1589:
	v_bfe_u32 v3, v2, 20, 1
	s_mov_b32 s6, exec_lo
	s_delay_alu instid0(VALU_DEP_1) | instskip(NEXT) | instid1(VALU_DEP_1)
	v_add3_u32 v3, v2, v3, 0x487ffff
	v_lshrrev_b32_e32 v3, 20, v3
	s_or_saveexec_b32 s7, s7
                                        ; implicit-def: $sgpr8
	s_delay_alu instid0(SALU_CYCLE_1)
	s_xor_b32 exec_lo, exec_lo, s7
	s_cbranch_execnz .LBB320_2044
.LBB320_1590:
	s_or_b32 exec_lo, exec_lo, s7
	v_mov_b32_e32 v18, s8
	s_and_saveexec_b32 s7, s6
.LBB320_1591:
	v_lshrrev_b32_e32 v2, 24, v2
	s_delay_alu instid0(VALU_DEP_1)
	v_and_or_b32 v18, 0x80, v2, v3
.LBB320_1592:
	s_or_b32 exec_lo, exec_lo, s7
.LBB320_1593:
	s_delay_alu instid0(SALU_CYCLE_1)
	s_or_b32 exec_lo, exec_lo, s3
	global_store_b8 v[14:15], v18, off
.LBB320_1594:
	s_mov_b32 s3, -1
.LBB320_1595:
	s_mov_b32 s6, 0
.LBB320_1596:
	s_delay_alu instid0(SALU_CYCLE_1)
	s_and_b32 vcc_lo, exec_lo, s6
	s_cbranch_vccz .LBB320_1636
; %bb.1597:
	v_cmp_lt_i16_e32 vcc_lo, 22, v16
	s_mov_b32 s1, -1
	s_cbranch_vccz .LBB320_1629
; %bb.1598:
	v_cmp_gt_i16_e32 vcc_lo, 24, v16
	s_cbranch_vccnz .LBB320_1618
; %bb.1599:
	v_cmp_lt_i16_e32 vcc_lo, 24, v16
	s_cbranch_vccz .LBB320_1607
; %bb.1600:
	v_cvt_f32_f64_e32 v2, v[0:1]
	v_mov_b32_e32 v18, 0x80
	s_mov_b32 s1, exec_lo
	s_delay_alu instid0(VALU_DEP_2) | instskip(NEXT) | instid1(VALU_DEP_1)
	v_and_b32_e32 v3, 0x7fffffff, v2
	v_cmpx_gt_u32_e32 0x47800000, v3
	s_cbranch_execz .LBB320_1606
; %bb.1601:
	v_cmp_lt_u32_e32 vcc_lo, 0x37ffffff, v3
	s_mov_b32 s3, 0
                                        ; implicit-def: $vgpr3
	s_and_saveexec_b32 s6, vcc_lo
	s_delay_alu instid0(SALU_CYCLE_1)
	s_xor_b32 s6, exec_lo, s6
	s_cbranch_execz .LBB320_2049
; %bb.1602:
	v_bfe_u32 v3, v2, 21, 1
	s_mov_b32 s3, exec_lo
	s_delay_alu instid0(VALU_DEP_1) | instskip(NEXT) | instid1(VALU_DEP_1)
	v_add3_u32 v3, v2, v3, 0x88fffff
	v_lshrrev_b32_e32 v3, 21, v3
	s_or_saveexec_b32 s6, s6
                                        ; implicit-def: $sgpr7
	s_delay_alu instid0(SALU_CYCLE_1)
	s_xor_b32 exec_lo, exec_lo, s6
	s_cbranch_execnz .LBB320_2050
.LBB320_1603:
	s_or_b32 exec_lo, exec_lo, s6
	v_mov_b32_e32 v18, s7
	s_and_saveexec_b32 s6, s3
.LBB320_1604:
	v_lshrrev_b32_e32 v2, 24, v2
	s_delay_alu instid0(VALU_DEP_1)
	v_and_or_b32 v18, 0x80, v2, v3
.LBB320_1605:
	s_or_b32 exec_lo, exec_lo, s6
.LBB320_1606:
	s_delay_alu instid0(SALU_CYCLE_1)
	s_or_b32 exec_lo, exec_lo, s1
	s_mov_b32 s1, 0
	global_store_b8 v[14:15], v18, off
.LBB320_1607:
	s_and_b32 vcc_lo, exec_lo, s1
	s_cbranch_vccz .LBB320_1617
; %bb.1608:
	v_cvt_f32_f64_e32 v2, v[0:1]
	s_mov_b32 s1, exec_lo
                                        ; implicit-def: $vgpr3
	s_delay_alu instid0(VALU_DEP_1) | instskip(NEXT) | instid1(VALU_DEP_1)
	v_and_b32_e32 v18, 0x7fffffff, v2
	v_cmpx_gt_u32_e32 0x43f00000, v18
	s_xor_b32 s1, exec_lo, s1
	s_cbranch_execz .LBB320_1614
; %bb.1609:
	s_mov_b32 s3, exec_lo
                                        ; implicit-def: $vgpr3
	v_cmpx_lt_u32_e32 0x3c7fffff, v18
	s_xor_b32 s3, exec_lo, s3
; %bb.1610:
	v_bfe_u32 v3, v2, 20, 1
	s_delay_alu instid0(VALU_DEP_1) | instskip(NEXT) | instid1(VALU_DEP_1)
	v_add3_u32 v3, v2, v3, 0x407ffff
	v_and_b32_e32 v18, 0xff00000, v3
	v_lshrrev_b32_e32 v3, 20, v3
	s_delay_alu instid0(VALU_DEP_2) | instskip(NEXT) | instid1(VALU_DEP_2)
	v_cmp_ne_u32_e32 vcc_lo, 0x7f00000, v18
	v_cndmask_b32_e32 v3, 0x7e, v3, vcc_lo
; %bb.1611:
	s_and_not1_saveexec_b32 s3, s3
; %bb.1612:
	v_add_f32_e64 v3, 0x46800000, |v2|
; %bb.1613:
	s_or_b32 exec_lo, exec_lo, s3
                                        ; implicit-def: $vgpr18
.LBB320_1614:
	s_and_not1_saveexec_b32 s1, s1
; %bb.1615:
	v_mov_b32_e32 v3, 0x7f
	v_cmp_lt_u32_e32 vcc_lo, 0x7f800000, v18
	s_delay_alu instid0(VALU_DEP_2)
	v_cndmask_b32_e32 v3, 0x7e, v3, vcc_lo
; %bb.1616:
	s_or_b32 exec_lo, exec_lo, s1
	v_lshrrev_b32_e32 v2, 24, v2
	s_delay_alu instid0(VALU_DEP_1)
	v_and_or_b32 v2, 0x80, v2, v3
	global_store_b8 v[14:15], v2, off
.LBB320_1617:
	s_mov_b32 s1, 0
.LBB320_1618:
	s_delay_alu instid0(SALU_CYCLE_1)
	s_and_not1_b32 vcc_lo, exec_lo, s1
	s_cbranch_vccnz .LBB320_1628
; %bb.1619:
	v_cvt_f32_f64_e32 v2, v[0:1]
	s_mov_b32 s1, exec_lo
                                        ; implicit-def: $vgpr3
	s_delay_alu instid0(VALU_DEP_1) | instskip(NEXT) | instid1(VALU_DEP_1)
	v_and_b32_e32 v18, 0x7fffffff, v2
	v_cmpx_gt_u32_e32 0x47800000, v18
	s_xor_b32 s1, exec_lo, s1
	s_cbranch_execz .LBB320_1625
; %bb.1620:
	s_mov_b32 s3, exec_lo
                                        ; implicit-def: $vgpr3
	v_cmpx_lt_u32_e32 0x387fffff, v18
	s_xor_b32 s3, exec_lo, s3
; %bb.1621:
	v_bfe_u32 v3, v2, 21, 1
	s_delay_alu instid0(VALU_DEP_1) | instskip(NEXT) | instid1(VALU_DEP_1)
	v_add3_u32 v3, v2, v3, 0x80fffff
	v_lshrrev_b32_e32 v3, 21, v3
; %bb.1622:
	s_and_not1_saveexec_b32 s3, s3
; %bb.1623:
	v_add_f32_e64 v3, 0x43000000, |v2|
; %bb.1624:
	s_or_b32 exec_lo, exec_lo, s3
                                        ; implicit-def: $vgpr18
.LBB320_1625:
	s_and_not1_saveexec_b32 s1, s1
; %bb.1626:
	v_mov_b32_e32 v3, 0x7f
	v_cmp_lt_u32_e32 vcc_lo, 0x7f800000, v18
	s_delay_alu instid0(VALU_DEP_2)
	v_cndmask_b32_e32 v3, 0x7c, v3, vcc_lo
; %bb.1627:
	s_or_b32 exec_lo, exec_lo, s1
	v_lshrrev_b32_e32 v2, 24, v2
	s_delay_alu instid0(VALU_DEP_1)
	v_and_or_b32 v2, 0x80, v2, v3
	global_store_b8 v[14:15], v2, off
.LBB320_1628:
	s_mov_b32 s1, 0
	s_mov_b32 s3, -1
.LBB320_1629:
	s_and_not1_b32 vcc_lo, exec_lo, s1
	s_mov_b32 s1, 0
	s_cbranch_vccnz .LBB320_1636
; %bb.1630:
	v_cmp_lt_i16_e32 vcc_lo, 14, v16
	s_mov_b32 s1, -1
	s_cbranch_vccz .LBB320_1634
; %bb.1631:
	v_cmp_eq_u16_e32 vcc_lo, 15, v16
	s_mov_b32 s0, -1
	s_cbranch_vccz .LBB320_1633
; %bb.1632:
	v_cvt_f32_f64_e32 v2, v[0:1]
	s_mov_b32 s0, 0
	s_mov_b32 s3, -1
	s_delay_alu instid0(VALU_DEP_1) | instskip(SKIP_1) | instid1(VALU_DEP_2)
	v_bfe_u32 v3, v2, 16, 1
	v_cmp_o_f32_e32 vcc_lo, v2, v2
	v_add3_u32 v3, v2, v3, 0x7fff
	s_delay_alu instid0(VALU_DEP_1) | instskip(NEXT) | instid1(VALU_DEP_1)
	v_lshrrev_b32_e32 v3, 16, v3
	v_cndmask_b32_e32 v2, 0x7fc0, v3, vcc_lo
	global_store_b16 v[14:15], v2, off
.LBB320_1633:
	s_mov_b32 s1, 0
.LBB320_1634:
	s_delay_alu instid0(SALU_CYCLE_1)
	s_and_b32 vcc_lo, exec_lo, s1
	s_mov_b32 s1, 0
	s_cbranch_vccz .LBB320_1636
; %bb.1635:
	v_cmp_ne_u16_e64 s0, 11, v16
	s_mov_b32 s1, -1
.LBB320_1636:
	s_delay_alu instid0(VALU_DEP_1)
	s_and_b32 vcc_lo, exec_lo, s0
	s_cbranch_vccnz .LBB320_2047
; %bb.1637:
	s_and_not1_b32 vcc_lo, exec_lo, s1
	s_cbranch_vccnz .LBB320_1639
.LBB320_1638:
	v_cmp_neq_f64_e32 vcc_lo, 0, v[0:1]
	s_mov_b32 s3, -1
	v_cndmask_b32_e64 v2, 0, 1, vcc_lo
	global_store_b8 v[14:15], v2, off
.LBB320_1639:
	s_mov_b32 s0, 0
	s_branch .LBB320_1641
.LBB320_1640:
	s_mov_b32 s0, -1
	s_mov_b32 s3, 0
.LBB320_1641:
	s_and_b32 vcc_lo, exec_lo, s0
	s_cbranch_vccz .LBB320_1680
; %bb.1642:
	v_cmp_gt_i16_e32 vcc_lo, 5, v16
	s_mov_b32 s0, -1
	s_cbranch_vccnz .LBB320_1663
; %bb.1643:
	v_cmp_gt_i16_e32 vcc_lo, 8, v16
	s_cbranch_vccnz .LBB320_1653
; %bb.1644:
	v_cmp_gt_i16_e32 vcc_lo, 9, v16
	s_cbranch_vccnz .LBB320_1650
; %bb.1645:
	v_cmp_lt_i16_e32 vcc_lo, 9, v16
	s_cbranch_vccz .LBB320_1647
; %bb.1646:
	v_mov_b32_e32 v2, 0
	s_mov_b32 s0, 0
	s_delay_alu instid0(VALU_DEP_1)
	v_mov_b32_e32 v3, v2
	global_store_b128 v[14:15], v[0:3], off
.LBB320_1647:
	s_and_not1_b32 vcc_lo, exec_lo, s0
	s_cbranch_vccnz .LBB320_1649
; %bb.1648:
	v_cvt_f32_f64_e32 v2, v[0:1]
	v_mov_b32_e32 v3, 0
	global_store_b64 v[14:15], v[2:3], off
.LBB320_1649:
	s_mov_b32 s0, 0
.LBB320_1650:
	s_delay_alu instid0(SALU_CYCLE_1)
	s_and_not1_b32 vcc_lo, exec_lo, s0
	s_cbranch_vccnz .LBB320_1652
; %bb.1651:
	v_cvt_f32_f64_e32 v2, v[0:1]
	s_delay_alu instid0(VALU_DEP_1) | instskip(NEXT) | instid1(VALU_DEP_1)
	v_cvt_f16_f32_e32 v2, v2
	v_and_b32_e32 v2, 0xffff, v2
	global_store_b32 v[14:15], v2, off
.LBB320_1652:
	s_mov_b32 s0, 0
.LBB320_1653:
	s_delay_alu instid0(SALU_CYCLE_1)
	s_and_not1_b32 vcc_lo, exec_lo, s0
	s_cbranch_vccnz .LBB320_1662
; %bb.1654:
	v_cmp_gt_i16_e32 vcc_lo, 6, v16
	s_mov_b32 s0, -1
	s_cbranch_vccnz .LBB320_1660
; %bb.1655:
	v_cmp_lt_i16_e32 vcc_lo, 6, v16
	s_cbranch_vccz .LBB320_1657
; %bb.1656:
	s_mov_b32 s0, 0
	global_store_b64 v[14:15], v[0:1], off
.LBB320_1657:
	s_and_not1_b32 vcc_lo, exec_lo, s0
	s_cbranch_vccnz .LBB320_1659
; %bb.1658:
	v_cvt_f32_f64_e32 v2, v[0:1]
	global_store_b32 v[14:15], v2, off
.LBB320_1659:
	s_mov_b32 s0, 0
.LBB320_1660:
	s_delay_alu instid0(SALU_CYCLE_1)
	s_and_not1_b32 vcc_lo, exec_lo, s0
	s_cbranch_vccnz .LBB320_1662
; %bb.1661:
	v_cvt_f32_f64_e32 v2, v[0:1]
	s_delay_alu instid0(VALU_DEP_1)
	v_cvt_f16_f32_e32 v2, v2
	global_store_b16 v[14:15], v2, off
.LBB320_1662:
	s_mov_b32 s0, 0
.LBB320_1663:
	s_delay_alu instid0(SALU_CYCLE_1)
	s_and_not1_b32 vcc_lo, exec_lo, s0
	s_cbranch_vccnz .LBB320_1679
; %bb.1664:
	v_cmp_gt_i16_e32 vcc_lo, 2, v16
	s_mov_b32 s0, -1
	s_cbranch_vccnz .LBB320_1674
; %bb.1665:
	v_cmp_gt_i16_e32 vcc_lo, 3, v16
	s_cbranch_vccnz .LBB320_1671
; %bb.1666:
	v_cmp_lt_i16_e32 vcc_lo, 3, v16
	s_cbranch_vccz .LBB320_1668
; %bb.1667:
	v_trunc_f64_e32 v[2:3], v[0:1]
	s_mov_b32 s0, 0
	s_delay_alu instid0(VALU_DEP_1) | instskip(NEXT) | instid1(VALU_DEP_1)
	v_ldexp_f64 v[18:19], v[2:3], 0xffffffe0
	v_floor_f64_e32 v[18:19], v[18:19]
	s_delay_alu instid0(VALU_DEP_1) | instskip(SKIP_1) | instid1(VALU_DEP_2)
	v_fma_f64 v[2:3], 0xc1f00000, v[18:19], v[2:3]
	v_cvt_i32_f64_e32 v19, v[18:19]
	v_cvt_u32_f64_e32 v18, v[2:3]
	global_store_b64 v[14:15], v[18:19], off
.LBB320_1668:
	s_and_not1_b32 vcc_lo, exec_lo, s0
	s_cbranch_vccnz .LBB320_1670
; %bb.1669:
	v_cvt_i32_f64_e32 v2, v[0:1]
	global_store_b32 v[14:15], v2, off
.LBB320_1670:
	s_mov_b32 s0, 0
.LBB320_1671:
	s_delay_alu instid0(SALU_CYCLE_1)
	s_and_not1_b32 vcc_lo, exec_lo, s0
	s_cbranch_vccnz .LBB320_1673
; %bb.1672:
	v_cvt_i32_f64_e32 v2, v[0:1]
	global_store_b16 v[14:15], v2, off
.LBB320_1673:
	s_mov_b32 s0, 0
.LBB320_1674:
	s_delay_alu instid0(SALU_CYCLE_1)
	s_and_not1_b32 vcc_lo, exec_lo, s0
	s_cbranch_vccnz .LBB320_1679
; %bb.1675:
	v_cmp_lt_i16_e32 vcc_lo, 0, v16
	s_mov_b32 s0, -1
	s_cbranch_vccz .LBB320_1677
; %bb.1676:
	v_cvt_i32_f64_e32 v2, v[0:1]
	s_mov_b32 s0, 0
	global_store_b8 v[14:15], v2, off
.LBB320_1677:
	s_and_not1_b32 vcc_lo, exec_lo, s0
	s_cbranch_vccnz .LBB320_1679
; %bb.1678:
	v_trunc_f64_e32 v[0:1], v[0:1]
	s_delay_alu instid0(VALU_DEP_1) | instskip(NEXT) | instid1(VALU_DEP_1)
	v_ldexp_f64 v[2:3], v[0:1], 0xffffffe0
	v_floor_f64_e32 v[2:3], v[2:3]
	s_delay_alu instid0(VALU_DEP_1) | instskip(NEXT) | instid1(VALU_DEP_1)
	v_fma_f64 v[0:1], 0xc1f00000, v[2:3], v[0:1]
	v_cvt_u32_f64_e32 v0, v[0:1]
	global_store_b8 v[14:15], v0, off
.LBB320_1679:
	s_mov_b32 s3, -1
.LBB320_1680:
	s_delay_alu instid0(SALU_CYCLE_1)
	s_and_not1_b32 vcc_lo, exec_lo, s3
	s_cbranch_vccnz .LBB320_1995
; %bb.1681:
	v_max_f64 v[0:1], v[4:5], v[4:5]
	v_cmp_u_f64_e32 vcc_lo, v[4:5], v[4:5]
	s_lshl_b32 s2, s2, 7
	v_cmp_gt_i16_e64 s0, 11, v16
	s_delay_alu instid0(VALU_DEP_3) | instskip(NEXT) | instid1(VALU_DEP_1)
	v_max_f64 v[0:1], v[0:1], v[10:11]
	v_min_f64 v[0:1], v[0:1], v[12:13]
	s_delay_alu instid0(VALU_DEP_1) | instskip(NEXT) | instid1(VALU_DEP_1)
	v_dual_cndmask_b32 v0, v0, v4 :: v_dual_add_nc_u32 v17, s2, v17
	v_ashrrev_i32_e32 v2, 31, v17
	v_add_co_u32 v14, s1, s4, v17
	s_delay_alu instid0(VALU_DEP_4) | instskip(SKIP_1) | instid1(VALU_DEP_3)
	v_cndmask_b32_e32 v1, v1, v5, vcc_lo
	s_and_b32 vcc_lo, exec_lo, s0
	v_add_co_ci_u32_e64 v15, s1, s5, v2, s1
	s_cbranch_vccnz .LBB320_1759
; %bb.1682:
	v_cmp_lt_i16_e32 vcc_lo, 25, v16
	s_mov_b32 s6, -1
	s_mov_b32 s1, 0
	s_mov_b32 s3, 0
	;; [unrolled: 1-line block ×3, first 2 shown]
	s_cbranch_vccz .LBB320_1715
; %bb.1683:
	v_cmp_lt_i16_e32 vcc_lo, 28, v16
	s_cbranch_vccz .LBB320_1698
; %bb.1684:
	v_cmp_lt_i16_e32 vcc_lo, 43, v16
	;; [unrolled: 3-line block ×3, first 2 shown]
	s_cbranch_vccz .LBB320_1688
; %bb.1686:
	v_cmp_eq_u16_e32 vcc_lo, 46, v16
	s_mov_b32 s0, -1
	s_mov_b32 s6, 0
	s_cbranch_vccz .LBB320_1688
; %bb.1687:
	v_cvt_f32_f64_e32 v2, v[0:1]
	s_mov_b32 s0, 0
	s_mov_b32 s3, -1
	s_delay_alu instid0(VALU_DEP_1) | instskip(SKIP_1) | instid1(VALU_DEP_2)
	v_bfe_u32 v3, v2, 16, 1
	v_cmp_o_f32_e32 vcc_lo, v2, v2
	v_add3_u32 v3, v2, v3, 0x7fff
	s_delay_alu instid0(VALU_DEP_1) | instskip(NEXT) | instid1(VALU_DEP_1)
	v_lshrrev_b32_e32 v3, 16, v3
	v_cndmask_b32_e32 v2, 0x7fc0, v3, vcc_lo
	global_store_b32 v[14:15], v2, off
.LBB320_1688:
	s_and_b32 vcc_lo, exec_lo, s6
	s_cbranch_vccz .LBB320_1693
; %bb.1689:
	v_cmp_eq_u16_e32 vcc_lo, 44, v16
	s_mov_b32 s0, -1
	s_cbranch_vccz .LBB320_1693
; %bb.1690:
	v_cvt_f32_f64_e32 v2, v[0:1]
	v_mov_b32_e32 v3, 0xff
	s_mov_b32 s3, exec_lo
	s_delay_alu instid0(VALU_DEP_2) | instskip(NEXT) | instid1(VALU_DEP_1)
	v_bfe_u32 v4, v2, 23, 8
	v_cmpx_ne_u32_e32 0xff, v4
; %bb.1691:
	v_and_b32_e32 v3, 0x400000, v2
	v_and_or_b32 v4, 0x3fffff, v2, v4
	v_lshrrev_b32_e32 v2, 23, v2
	s_delay_alu instid0(VALU_DEP_3) | instskip(NEXT) | instid1(VALU_DEP_3)
	v_cmp_ne_u32_e32 vcc_lo, 0, v3
	v_cmp_ne_u32_e64 s0, 0, v4
	s_delay_alu instid0(VALU_DEP_1) | instskip(NEXT) | instid1(SALU_CYCLE_1)
	s_and_b32 s0, vcc_lo, s0
	v_cndmask_b32_e64 v3, 0, 1, s0
	s_delay_alu instid0(VALU_DEP_1)
	v_add_nc_u32_e32 v3, v2, v3
; %bb.1692:
	s_or_b32 exec_lo, exec_lo, s3
	s_mov_b32 s0, 0
	s_mov_b32 s3, -1
	global_store_b8 v[14:15], v3, off
.LBB320_1693:
	s_mov_b32 s6, 0
.LBB320_1694:
	s_delay_alu instid0(SALU_CYCLE_1)
	s_and_b32 vcc_lo, exec_lo, s6
	s_cbranch_vccz .LBB320_1697
; %bb.1695:
	v_cmp_eq_u16_e32 vcc_lo, 29, v16
	s_mov_b32 s0, -1
	s_cbranch_vccz .LBB320_1697
; %bb.1696:
	v_trunc_f64_e32 v[2:3], v[0:1]
	s_mov_b32 s0, 0
	s_mov_b32 s3, -1
	s_delay_alu instid0(VALU_DEP_1) | instskip(NEXT) | instid1(VALU_DEP_1)
	v_ldexp_f64 v[4:5], v[2:3], 0xffffffe0
	v_floor_f64_e32 v[4:5], v[4:5]
	s_delay_alu instid0(VALU_DEP_1) | instskip(SKIP_1) | instid1(VALU_DEP_2)
	v_fma_f64 v[2:3], 0xc1f00000, v[4:5], v[2:3]
	v_cvt_u32_f64_e32 v4, v[4:5]
	v_cvt_u32_f64_e32 v3, v[2:3]
	global_store_b64 v[14:15], v[3:4], off
.LBB320_1697:
	s_mov_b32 s6, 0
.LBB320_1698:
	s_delay_alu instid0(SALU_CYCLE_1)
	s_and_b32 vcc_lo, exec_lo, s6
	s_cbranch_vccz .LBB320_1714
; %bb.1699:
	v_cmp_gt_i16_e32 vcc_lo, 27, v16
	s_mov_b32 s3, -1
	s_cbranch_vccnz .LBB320_1705
; %bb.1700:
	v_cvt_u32_f64_e32 v2, v[0:1]
	v_cmp_lt_i16_e32 vcc_lo, 27, v16
	s_cbranch_vccz .LBB320_1702
; %bb.1701:
	s_mov_b32 s3, 0
	global_store_b32 v[14:15], v2, off
.LBB320_1702:
	s_and_not1_b32 vcc_lo, exec_lo, s3
	s_cbranch_vccnz .LBB320_1704
; %bb.1703:
	global_store_b16 v[14:15], v2, off
.LBB320_1704:
	s_mov_b32 s3, 0
.LBB320_1705:
	s_delay_alu instid0(SALU_CYCLE_1)
	s_and_not1_b32 vcc_lo, exec_lo, s3
	s_cbranch_vccnz .LBB320_1713
; %bb.1706:
	v_cvt_f32_f64_e32 v2, v[0:1]
	v_mov_b32_e32 v4, 0x80
	s_mov_b32 s3, exec_lo
	s_delay_alu instid0(VALU_DEP_2) | instskip(NEXT) | instid1(VALU_DEP_1)
	v_and_b32_e32 v3, 0x7fffffff, v2
	v_cmpx_gt_u32_e32 0x43800000, v3
	s_cbranch_execz .LBB320_1712
; %bb.1707:
	v_cmp_lt_u32_e32 vcc_lo, 0x3bffffff, v3
	s_mov_b32 s6, 0
                                        ; implicit-def: $vgpr3
	s_and_saveexec_b32 s7, vcc_lo
	s_delay_alu instid0(SALU_CYCLE_1)
	s_xor_b32 s7, exec_lo, s7
	s_cbranch_execz .LBB320_2051
; %bb.1708:
	v_bfe_u32 v3, v2, 20, 1
	s_mov_b32 s6, exec_lo
	s_delay_alu instid0(VALU_DEP_1) | instskip(NEXT) | instid1(VALU_DEP_1)
	v_add3_u32 v3, v2, v3, 0x487ffff
	v_lshrrev_b32_e32 v3, 20, v3
	s_or_saveexec_b32 s7, s7
                                        ; implicit-def: $sgpr8
	s_delay_alu instid0(SALU_CYCLE_1)
	s_xor_b32 exec_lo, exec_lo, s7
	s_cbranch_execnz .LBB320_2052
.LBB320_1709:
	s_or_b32 exec_lo, exec_lo, s7
	v_mov_b32_e32 v4, s8
	s_and_saveexec_b32 s7, s6
.LBB320_1710:
	v_lshrrev_b32_e32 v2, 24, v2
	s_delay_alu instid0(VALU_DEP_1)
	v_and_or_b32 v4, 0x80, v2, v3
.LBB320_1711:
	s_or_b32 exec_lo, exec_lo, s7
.LBB320_1712:
	s_delay_alu instid0(SALU_CYCLE_1)
	s_or_b32 exec_lo, exec_lo, s3
	global_store_b8 v[14:15], v4, off
.LBB320_1713:
	s_mov_b32 s3, -1
.LBB320_1714:
	s_mov_b32 s6, 0
.LBB320_1715:
	s_delay_alu instid0(SALU_CYCLE_1)
	s_and_b32 vcc_lo, exec_lo, s6
	s_cbranch_vccz .LBB320_1755
; %bb.1716:
	v_cmp_lt_i16_e32 vcc_lo, 22, v16
	s_mov_b32 s1, -1
	s_cbranch_vccz .LBB320_1748
; %bb.1717:
	v_cmp_gt_i16_e32 vcc_lo, 24, v16
	s_cbranch_vccnz .LBB320_1737
; %bb.1718:
	v_cmp_lt_i16_e32 vcc_lo, 24, v16
	s_cbranch_vccz .LBB320_1726
; %bb.1719:
	v_cvt_f32_f64_e32 v2, v[0:1]
	v_mov_b32_e32 v4, 0x80
	s_mov_b32 s1, exec_lo
	s_delay_alu instid0(VALU_DEP_2) | instskip(NEXT) | instid1(VALU_DEP_1)
	v_and_b32_e32 v3, 0x7fffffff, v2
	v_cmpx_gt_u32_e32 0x47800000, v3
	s_cbranch_execz .LBB320_1725
; %bb.1720:
	v_cmp_lt_u32_e32 vcc_lo, 0x37ffffff, v3
	s_mov_b32 s3, 0
                                        ; implicit-def: $vgpr3
	s_and_saveexec_b32 s6, vcc_lo
	s_delay_alu instid0(SALU_CYCLE_1)
	s_xor_b32 s6, exec_lo, s6
	s_cbranch_execz .LBB320_2057
; %bb.1721:
	v_bfe_u32 v3, v2, 21, 1
	s_mov_b32 s3, exec_lo
	s_delay_alu instid0(VALU_DEP_1) | instskip(NEXT) | instid1(VALU_DEP_1)
	v_add3_u32 v3, v2, v3, 0x88fffff
	v_lshrrev_b32_e32 v3, 21, v3
	s_or_saveexec_b32 s6, s6
                                        ; implicit-def: $sgpr7
	s_delay_alu instid0(SALU_CYCLE_1)
	s_xor_b32 exec_lo, exec_lo, s6
	s_cbranch_execnz .LBB320_2058
.LBB320_1722:
	s_or_b32 exec_lo, exec_lo, s6
	v_mov_b32_e32 v4, s7
	s_and_saveexec_b32 s6, s3
.LBB320_1723:
	v_lshrrev_b32_e32 v2, 24, v2
	s_delay_alu instid0(VALU_DEP_1)
	v_and_or_b32 v4, 0x80, v2, v3
.LBB320_1724:
	s_or_b32 exec_lo, exec_lo, s6
.LBB320_1725:
	s_delay_alu instid0(SALU_CYCLE_1)
	s_or_b32 exec_lo, exec_lo, s1
	s_mov_b32 s1, 0
	global_store_b8 v[14:15], v4, off
.LBB320_1726:
	s_and_b32 vcc_lo, exec_lo, s1
	s_cbranch_vccz .LBB320_1736
; %bb.1727:
	v_cvt_f32_f64_e32 v2, v[0:1]
	s_mov_b32 s1, exec_lo
                                        ; implicit-def: $vgpr3
	s_delay_alu instid0(VALU_DEP_1) | instskip(NEXT) | instid1(VALU_DEP_1)
	v_and_b32_e32 v4, 0x7fffffff, v2
	v_cmpx_gt_u32_e32 0x43f00000, v4
	s_xor_b32 s1, exec_lo, s1
	s_cbranch_execz .LBB320_1733
; %bb.1728:
	s_mov_b32 s3, exec_lo
                                        ; implicit-def: $vgpr3
	v_cmpx_lt_u32_e32 0x3c7fffff, v4
	s_xor_b32 s3, exec_lo, s3
; %bb.1729:
	v_bfe_u32 v3, v2, 20, 1
	s_delay_alu instid0(VALU_DEP_1) | instskip(NEXT) | instid1(VALU_DEP_1)
	v_add3_u32 v3, v2, v3, 0x407ffff
	v_and_b32_e32 v4, 0xff00000, v3
	v_lshrrev_b32_e32 v3, 20, v3
	s_delay_alu instid0(VALU_DEP_2) | instskip(NEXT) | instid1(VALU_DEP_2)
	v_cmp_ne_u32_e32 vcc_lo, 0x7f00000, v4
	v_cndmask_b32_e32 v3, 0x7e, v3, vcc_lo
; %bb.1730:
	s_and_not1_saveexec_b32 s3, s3
; %bb.1731:
	v_add_f32_e64 v3, 0x46800000, |v2|
; %bb.1732:
	s_or_b32 exec_lo, exec_lo, s3
                                        ; implicit-def: $vgpr4
.LBB320_1733:
	s_and_not1_saveexec_b32 s1, s1
; %bb.1734:
	v_mov_b32_e32 v3, 0x7f
	v_cmp_lt_u32_e32 vcc_lo, 0x7f800000, v4
	s_delay_alu instid0(VALU_DEP_2)
	v_cndmask_b32_e32 v3, 0x7e, v3, vcc_lo
; %bb.1735:
	s_or_b32 exec_lo, exec_lo, s1
	v_lshrrev_b32_e32 v2, 24, v2
	s_delay_alu instid0(VALU_DEP_1)
	v_and_or_b32 v2, 0x80, v2, v3
	global_store_b8 v[14:15], v2, off
.LBB320_1736:
	s_mov_b32 s1, 0
.LBB320_1737:
	s_delay_alu instid0(SALU_CYCLE_1)
	s_and_not1_b32 vcc_lo, exec_lo, s1
	s_cbranch_vccnz .LBB320_1747
; %bb.1738:
	v_cvt_f32_f64_e32 v2, v[0:1]
	s_mov_b32 s1, exec_lo
                                        ; implicit-def: $vgpr3
	s_delay_alu instid0(VALU_DEP_1) | instskip(NEXT) | instid1(VALU_DEP_1)
	v_and_b32_e32 v4, 0x7fffffff, v2
	v_cmpx_gt_u32_e32 0x47800000, v4
	s_xor_b32 s1, exec_lo, s1
	s_cbranch_execz .LBB320_1744
; %bb.1739:
	s_mov_b32 s3, exec_lo
                                        ; implicit-def: $vgpr3
	v_cmpx_lt_u32_e32 0x387fffff, v4
	s_xor_b32 s3, exec_lo, s3
; %bb.1740:
	v_bfe_u32 v3, v2, 21, 1
	s_delay_alu instid0(VALU_DEP_1) | instskip(NEXT) | instid1(VALU_DEP_1)
	v_add3_u32 v3, v2, v3, 0x80fffff
	v_lshrrev_b32_e32 v3, 21, v3
; %bb.1741:
	s_and_not1_saveexec_b32 s3, s3
; %bb.1742:
	v_add_f32_e64 v3, 0x43000000, |v2|
; %bb.1743:
	s_or_b32 exec_lo, exec_lo, s3
                                        ; implicit-def: $vgpr4
.LBB320_1744:
	s_and_not1_saveexec_b32 s1, s1
; %bb.1745:
	v_mov_b32_e32 v3, 0x7f
	v_cmp_lt_u32_e32 vcc_lo, 0x7f800000, v4
	s_delay_alu instid0(VALU_DEP_2)
	v_cndmask_b32_e32 v3, 0x7c, v3, vcc_lo
; %bb.1746:
	s_or_b32 exec_lo, exec_lo, s1
	v_lshrrev_b32_e32 v2, 24, v2
	s_delay_alu instid0(VALU_DEP_1)
	v_and_or_b32 v2, 0x80, v2, v3
	global_store_b8 v[14:15], v2, off
.LBB320_1747:
	s_mov_b32 s1, 0
	s_mov_b32 s3, -1
.LBB320_1748:
	s_and_not1_b32 vcc_lo, exec_lo, s1
	s_mov_b32 s1, 0
	s_cbranch_vccnz .LBB320_1755
; %bb.1749:
	v_cmp_lt_i16_e32 vcc_lo, 14, v16
	s_mov_b32 s1, -1
	s_cbranch_vccz .LBB320_1753
; %bb.1750:
	v_cmp_eq_u16_e32 vcc_lo, 15, v16
	s_mov_b32 s0, -1
	s_cbranch_vccz .LBB320_1752
; %bb.1751:
	v_cvt_f32_f64_e32 v2, v[0:1]
	s_mov_b32 s0, 0
	s_mov_b32 s3, -1
	s_delay_alu instid0(VALU_DEP_1) | instskip(SKIP_1) | instid1(VALU_DEP_2)
	v_bfe_u32 v3, v2, 16, 1
	v_cmp_o_f32_e32 vcc_lo, v2, v2
	v_add3_u32 v3, v2, v3, 0x7fff
	s_delay_alu instid0(VALU_DEP_1) | instskip(NEXT) | instid1(VALU_DEP_1)
	v_lshrrev_b32_e32 v3, 16, v3
	v_cndmask_b32_e32 v2, 0x7fc0, v3, vcc_lo
	global_store_b16 v[14:15], v2, off
.LBB320_1752:
	s_mov_b32 s1, 0
.LBB320_1753:
	s_delay_alu instid0(SALU_CYCLE_1)
	s_and_b32 vcc_lo, exec_lo, s1
	s_mov_b32 s1, 0
	s_cbranch_vccz .LBB320_1755
; %bb.1754:
	v_cmp_ne_u16_e64 s0, 11, v16
	s_mov_b32 s1, -1
.LBB320_1755:
	s_delay_alu instid0(VALU_DEP_1)
	s_and_b32 vcc_lo, exec_lo, s0
	s_cbranch_vccnz .LBB320_2055
; %bb.1756:
	s_and_not1_b32 vcc_lo, exec_lo, s1
	s_cbranch_vccnz .LBB320_1758
.LBB320_1757:
	v_cmp_neq_f64_e32 vcc_lo, 0, v[0:1]
	s_mov_b32 s3, -1
	v_cndmask_b32_e64 v2, 0, 1, vcc_lo
	global_store_b8 v[14:15], v2, off
.LBB320_1758:
	s_mov_b32 s0, 0
	s_branch .LBB320_1760
.LBB320_1759:
	s_mov_b32 s0, -1
	s_mov_b32 s3, 0
.LBB320_1760:
	s_and_b32 vcc_lo, exec_lo, s0
	s_cbranch_vccz .LBB320_1799
; %bb.1761:
	v_cmp_gt_i16_e32 vcc_lo, 5, v16
	s_mov_b32 s0, -1
	s_cbranch_vccnz .LBB320_1782
; %bb.1762:
	v_cmp_gt_i16_e32 vcc_lo, 8, v16
	s_cbranch_vccnz .LBB320_1772
; %bb.1763:
	v_cmp_gt_i16_e32 vcc_lo, 9, v16
	s_cbranch_vccnz .LBB320_1769
; %bb.1764:
	v_cmp_lt_i16_e32 vcc_lo, 9, v16
	s_cbranch_vccz .LBB320_1766
; %bb.1765:
	v_mov_b32_e32 v2, 0
	s_mov_b32 s0, 0
	s_delay_alu instid0(VALU_DEP_1)
	v_mov_b32_e32 v3, v2
	global_store_b128 v[14:15], v[0:3], off
.LBB320_1766:
	s_and_not1_b32 vcc_lo, exec_lo, s0
	s_cbranch_vccnz .LBB320_1768
; %bb.1767:
	v_cvt_f32_f64_e32 v2, v[0:1]
	v_mov_b32_e32 v3, 0
	global_store_b64 v[14:15], v[2:3], off
.LBB320_1768:
	s_mov_b32 s0, 0
.LBB320_1769:
	s_delay_alu instid0(SALU_CYCLE_1)
	s_and_not1_b32 vcc_lo, exec_lo, s0
	s_cbranch_vccnz .LBB320_1771
; %bb.1770:
	v_cvt_f32_f64_e32 v2, v[0:1]
	s_delay_alu instid0(VALU_DEP_1) | instskip(NEXT) | instid1(VALU_DEP_1)
	v_cvt_f16_f32_e32 v2, v2
	v_and_b32_e32 v2, 0xffff, v2
	global_store_b32 v[14:15], v2, off
.LBB320_1771:
	s_mov_b32 s0, 0
.LBB320_1772:
	s_delay_alu instid0(SALU_CYCLE_1)
	s_and_not1_b32 vcc_lo, exec_lo, s0
	s_cbranch_vccnz .LBB320_1781
; %bb.1773:
	v_cmp_gt_i16_e32 vcc_lo, 6, v16
	s_mov_b32 s0, -1
	s_cbranch_vccnz .LBB320_1779
; %bb.1774:
	v_cmp_lt_i16_e32 vcc_lo, 6, v16
	s_cbranch_vccz .LBB320_1776
; %bb.1775:
	s_mov_b32 s0, 0
	global_store_b64 v[14:15], v[0:1], off
.LBB320_1776:
	s_and_not1_b32 vcc_lo, exec_lo, s0
	s_cbranch_vccnz .LBB320_1778
; %bb.1777:
	v_cvt_f32_f64_e32 v2, v[0:1]
	global_store_b32 v[14:15], v2, off
.LBB320_1778:
	s_mov_b32 s0, 0
.LBB320_1779:
	s_delay_alu instid0(SALU_CYCLE_1)
	s_and_not1_b32 vcc_lo, exec_lo, s0
	s_cbranch_vccnz .LBB320_1781
; %bb.1780:
	v_cvt_f32_f64_e32 v2, v[0:1]
	s_delay_alu instid0(VALU_DEP_1)
	v_cvt_f16_f32_e32 v2, v2
	global_store_b16 v[14:15], v2, off
.LBB320_1781:
	s_mov_b32 s0, 0
.LBB320_1782:
	s_delay_alu instid0(SALU_CYCLE_1)
	s_and_not1_b32 vcc_lo, exec_lo, s0
	s_cbranch_vccnz .LBB320_1798
; %bb.1783:
	v_cmp_gt_i16_e32 vcc_lo, 2, v16
	s_mov_b32 s0, -1
	s_cbranch_vccnz .LBB320_1793
; %bb.1784:
	v_cmp_gt_i16_e32 vcc_lo, 3, v16
	s_cbranch_vccnz .LBB320_1790
; %bb.1785:
	v_cmp_lt_i16_e32 vcc_lo, 3, v16
	s_cbranch_vccz .LBB320_1787
; %bb.1786:
	v_trunc_f64_e32 v[2:3], v[0:1]
	s_mov_b32 s0, 0
	s_delay_alu instid0(VALU_DEP_1) | instskip(NEXT) | instid1(VALU_DEP_1)
	v_ldexp_f64 v[4:5], v[2:3], 0xffffffe0
	v_floor_f64_e32 v[4:5], v[4:5]
	s_delay_alu instid0(VALU_DEP_1) | instskip(SKIP_1) | instid1(VALU_DEP_2)
	v_fma_f64 v[2:3], 0xc1f00000, v[4:5], v[2:3]
	v_cvt_i32_f64_e32 v4, v[4:5]
	v_cvt_u32_f64_e32 v3, v[2:3]
	global_store_b64 v[14:15], v[3:4], off
.LBB320_1787:
	s_and_not1_b32 vcc_lo, exec_lo, s0
	s_cbranch_vccnz .LBB320_1789
; %bb.1788:
	v_cvt_i32_f64_e32 v2, v[0:1]
	global_store_b32 v[14:15], v2, off
.LBB320_1789:
	s_mov_b32 s0, 0
.LBB320_1790:
	s_delay_alu instid0(SALU_CYCLE_1)
	s_and_not1_b32 vcc_lo, exec_lo, s0
	s_cbranch_vccnz .LBB320_1792
; %bb.1791:
	v_cvt_i32_f64_e32 v2, v[0:1]
	global_store_b16 v[14:15], v2, off
.LBB320_1792:
	s_mov_b32 s0, 0
.LBB320_1793:
	s_delay_alu instid0(SALU_CYCLE_1)
	s_and_not1_b32 vcc_lo, exec_lo, s0
	s_cbranch_vccnz .LBB320_1798
; %bb.1794:
	v_cmp_lt_i16_e32 vcc_lo, 0, v16
	s_mov_b32 s0, -1
	s_cbranch_vccz .LBB320_1796
; %bb.1795:
	v_cvt_i32_f64_e32 v2, v[0:1]
	s_mov_b32 s0, 0
	global_store_b8 v[14:15], v2, off
.LBB320_1796:
	s_and_not1_b32 vcc_lo, exec_lo, s0
	s_cbranch_vccnz .LBB320_1798
; %bb.1797:
	v_trunc_f64_e32 v[0:1], v[0:1]
	s_delay_alu instid0(VALU_DEP_1) | instskip(NEXT) | instid1(VALU_DEP_1)
	v_ldexp_f64 v[2:3], v[0:1], 0xffffffe0
	v_floor_f64_e32 v[2:3], v[2:3]
	s_delay_alu instid0(VALU_DEP_1) | instskip(NEXT) | instid1(VALU_DEP_1)
	v_fma_f64 v[0:1], 0xc1f00000, v[2:3], v[0:1]
	v_cvt_u32_f64_e32 v0, v[0:1]
	global_store_b8 v[14:15], v0, off
.LBB320_1798:
	s_mov_b32 s3, -1
.LBB320_1799:
	s_delay_alu instid0(SALU_CYCLE_1)
	s_and_not1_b32 vcc_lo, exec_lo, s3
	s_cbranch_vccnz .LBB320_1995
; %bb.1800:
	v_max_f64 v[0:1], v[6:7], v[6:7]
	v_cmp_u_f64_e32 vcc_lo, v[6:7], v[6:7]
	v_cmp_gt_i16_e64 s0, 11, v16
	s_delay_alu instid0(VALU_DEP_3) | instskip(NEXT) | instid1(VALU_DEP_1)
	v_max_f64 v[0:1], v[0:1], v[10:11]
	v_min_f64 v[0:1], v[0:1], v[12:13]
	s_delay_alu instid0(VALU_DEP_1) | instskip(NEXT) | instid1(VALU_DEP_1)
	v_dual_cndmask_b32 v1, v1, v7 :: v_dual_add_nc_u32 v14, s2, v17
	v_ashrrev_i32_e32 v2, 31, v14
	v_add_co_u32 v4, s1, s4, v14
	s_delay_alu instid0(VALU_DEP_4) | instskip(SKIP_1) | instid1(VALU_DEP_3)
	v_cndmask_b32_e32 v0, v0, v6, vcc_lo
	s_and_b32 vcc_lo, exec_lo, s0
	v_add_co_ci_u32_e64 v5, s1, s5, v2, s1
	s_cbranch_vccnz .LBB320_1878
; %bb.1801:
	v_cmp_lt_i16_e32 vcc_lo, 25, v16
	s_mov_b32 s6, -1
	s_mov_b32 s1, 0
	s_mov_b32 s3, 0
	;; [unrolled: 1-line block ×3, first 2 shown]
	s_cbranch_vccz .LBB320_1834
; %bb.1802:
	v_cmp_lt_i16_e32 vcc_lo, 28, v16
	s_cbranch_vccz .LBB320_1817
; %bb.1803:
	v_cmp_lt_i16_e32 vcc_lo, 43, v16
	;; [unrolled: 3-line block ×3, first 2 shown]
	s_cbranch_vccz .LBB320_1807
; %bb.1805:
	v_cmp_eq_u16_e32 vcc_lo, 46, v16
	s_mov_b32 s0, -1
	s_mov_b32 s6, 0
	s_cbranch_vccz .LBB320_1807
; %bb.1806:
	v_cvt_f32_f64_e32 v2, v[0:1]
	s_mov_b32 s0, 0
	s_mov_b32 s3, -1
	s_delay_alu instid0(VALU_DEP_1) | instskip(SKIP_1) | instid1(VALU_DEP_2)
	v_bfe_u32 v3, v2, 16, 1
	v_cmp_o_f32_e32 vcc_lo, v2, v2
	v_add3_u32 v3, v2, v3, 0x7fff
	s_delay_alu instid0(VALU_DEP_1) | instskip(NEXT) | instid1(VALU_DEP_1)
	v_lshrrev_b32_e32 v3, 16, v3
	v_cndmask_b32_e32 v2, 0x7fc0, v3, vcc_lo
	global_store_b32 v[4:5], v2, off
.LBB320_1807:
	s_and_b32 vcc_lo, exec_lo, s6
	s_cbranch_vccz .LBB320_1812
; %bb.1808:
	v_cmp_eq_u16_e32 vcc_lo, 44, v16
	s_mov_b32 s0, -1
	s_cbranch_vccz .LBB320_1812
; %bb.1809:
	v_cvt_f32_f64_e32 v2, v[0:1]
	v_mov_b32_e32 v3, 0xff
	s_mov_b32 s3, exec_lo
	s_delay_alu instid0(VALU_DEP_2) | instskip(NEXT) | instid1(VALU_DEP_1)
	v_bfe_u32 v6, v2, 23, 8
	v_cmpx_ne_u32_e32 0xff, v6
; %bb.1810:
	v_and_b32_e32 v3, 0x400000, v2
	v_and_or_b32 v6, 0x3fffff, v2, v6
	v_lshrrev_b32_e32 v2, 23, v2
	s_delay_alu instid0(VALU_DEP_3) | instskip(NEXT) | instid1(VALU_DEP_3)
	v_cmp_ne_u32_e32 vcc_lo, 0, v3
	v_cmp_ne_u32_e64 s0, 0, v6
	s_delay_alu instid0(VALU_DEP_1) | instskip(NEXT) | instid1(SALU_CYCLE_1)
	s_and_b32 s0, vcc_lo, s0
	v_cndmask_b32_e64 v3, 0, 1, s0
	s_delay_alu instid0(VALU_DEP_1)
	v_add_nc_u32_e32 v3, v2, v3
; %bb.1811:
	s_or_b32 exec_lo, exec_lo, s3
	s_mov_b32 s0, 0
	s_mov_b32 s3, -1
	global_store_b8 v[4:5], v3, off
.LBB320_1812:
	s_mov_b32 s6, 0
.LBB320_1813:
	s_delay_alu instid0(SALU_CYCLE_1)
	s_and_b32 vcc_lo, exec_lo, s6
	s_cbranch_vccz .LBB320_1816
; %bb.1814:
	v_cmp_eq_u16_e32 vcc_lo, 29, v16
	s_mov_b32 s0, -1
	s_cbranch_vccz .LBB320_1816
; %bb.1815:
	v_trunc_f64_e32 v[2:3], v[0:1]
	s_mov_b32 s0, 0
	s_mov_b32 s3, -1
	s_delay_alu instid0(VALU_DEP_1) | instskip(NEXT) | instid1(VALU_DEP_1)
	v_ldexp_f64 v[6:7], v[2:3], 0xffffffe0
	v_floor_f64_e32 v[6:7], v[6:7]
	s_delay_alu instid0(VALU_DEP_1) | instskip(SKIP_1) | instid1(VALU_DEP_2)
	v_fma_f64 v[2:3], 0xc1f00000, v[6:7], v[2:3]
	v_cvt_u32_f64_e32 v7, v[6:7]
	v_cvt_u32_f64_e32 v6, v[2:3]
	global_store_b64 v[4:5], v[6:7], off
.LBB320_1816:
	s_mov_b32 s6, 0
.LBB320_1817:
	s_delay_alu instid0(SALU_CYCLE_1)
	s_and_b32 vcc_lo, exec_lo, s6
	s_cbranch_vccz .LBB320_1833
; %bb.1818:
	v_cmp_gt_i16_e32 vcc_lo, 27, v16
	s_mov_b32 s3, -1
	s_cbranch_vccnz .LBB320_1824
; %bb.1819:
	v_cvt_u32_f64_e32 v2, v[0:1]
	v_cmp_lt_i16_e32 vcc_lo, 27, v16
	s_cbranch_vccz .LBB320_1821
; %bb.1820:
	s_mov_b32 s3, 0
	global_store_b32 v[4:5], v2, off
.LBB320_1821:
	s_and_not1_b32 vcc_lo, exec_lo, s3
	s_cbranch_vccnz .LBB320_1823
; %bb.1822:
	global_store_b16 v[4:5], v2, off
.LBB320_1823:
	s_mov_b32 s3, 0
.LBB320_1824:
	s_delay_alu instid0(SALU_CYCLE_1)
	s_and_not1_b32 vcc_lo, exec_lo, s3
	s_cbranch_vccnz .LBB320_1832
; %bb.1825:
	v_cvt_f32_f64_e32 v2, v[0:1]
	v_mov_b32_e32 v6, 0x80
	s_mov_b32 s3, exec_lo
	s_delay_alu instid0(VALU_DEP_2) | instskip(NEXT) | instid1(VALU_DEP_1)
	v_and_b32_e32 v3, 0x7fffffff, v2
	v_cmpx_gt_u32_e32 0x43800000, v3
	s_cbranch_execz .LBB320_1831
; %bb.1826:
	v_cmp_lt_u32_e32 vcc_lo, 0x3bffffff, v3
	s_mov_b32 s6, 0
                                        ; implicit-def: $vgpr3
	s_and_saveexec_b32 s7, vcc_lo
	s_delay_alu instid0(SALU_CYCLE_1)
	s_xor_b32 s7, exec_lo, s7
	s_cbranch_execz .LBB320_2059
; %bb.1827:
	v_bfe_u32 v3, v2, 20, 1
	s_mov_b32 s6, exec_lo
	s_delay_alu instid0(VALU_DEP_1) | instskip(NEXT) | instid1(VALU_DEP_1)
	v_add3_u32 v3, v2, v3, 0x487ffff
	v_lshrrev_b32_e32 v3, 20, v3
	s_or_saveexec_b32 s7, s7
                                        ; implicit-def: $sgpr8
	s_delay_alu instid0(SALU_CYCLE_1)
	s_xor_b32 exec_lo, exec_lo, s7
	s_cbranch_execnz .LBB320_2060
.LBB320_1828:
	s_or_b32 exec_lo, exec_lo, s7
	v_mov_b32_e32 v6, s8
	s_and_saveexec_b32 s7, s6
.LBB320_1829:
	v_lshrrev_b32_e32 v2, 24, v2
	s_delay_alu instid0(VALU_DEP_1)
	v_and_or_b32 v6, 0x80, v2, v3
.LBB320_1830:
	s_or_b32 exec_lo, exec_lo, s7
.LBB320_1831:
	s_delay_alu instid0(SALU_CYCLE_1)
	s_or_b32 exec_lo, exec_lo, s3
	global_store_b8 v[4:5], v6, off
.LBB320_1832:
	s_mov_b32 s3, -1
.LBB320_1833:
	s_mov_b32 s6, 0
.LBB320_1834:
	s_delay_alu instid0(SALU_CYCLE_1)
	s_and_b32 vcc_lo, exec_lo, s6
	s_cbranch_vccz .LBB320_1874
; %bb.1835:
	v_cmp_lt_i16_e32 vcc_lo, 22, v16
	s_mov_b32 s1, -1
	s_cbranch_vccz .LBB320_1867
; %bb.1836:
	v_cmp_gt_i16_e32 vcc_lo, 24, v16
	s_cbranch_vccnz .LBB320_1856
; %bb.1837:
	v_cmp_lt_i16_e32 vcc_lo, 24, v16
	s_cbranch_vccz .LBB320_1845
; %bb.1838:
	v_cvt_f32_f64_e32 v2, v[0:1]
	v_mov_b32_e32 v6, 0x80
	s_mov_b32 s1, exec_lo
	s_delay_alu instid0(VALU_DEP_2) | instskip(NEXT) | instid1(VALU_DEP_1)
	v_and_b32_e32 v3, 0x7fffffff, v2
	v_cmpx_gt_u32_e32 0x47800000, v3
	s_cbranch_execz .LBB320_1844
; %bb.1839:
	v_cmp_lt_u32_e32 vcc_lo, 0x37ffffff, v3
	s_mov_b32 s3, 0
                                        ; implicit-def: $vgpr3
	s_and_saveexec_b32 s6, vcc_lo
	s_delay_alu instid0(SALU_CYCLE_1)
	s_xor_b32 s6, exec_lo, s6
	s_cbranch_execz .LBB320_2065
; %bb.1840:
	v_bfe_u32 v3, v2, 21, 1
	s_mov_b32 s3, exec_lo
	s_delay_alu instid0(VALU_DEP_1) | instskip(NEXT) | instid1(VALU_DEP_1)
	v_add3_u32 v3, v2, v3, 0x88fffff
	v_lshrrev_b32_e32 v3, 21, v3
	s_or_saveexec_b32 s6, s6
                                        ; implicit-def: $sgpr7
	s_delay_alu instid0(SALU_CYCLE_1)
	s_xor_b32 exec_lo, exec_lo, s6
	s_cbranch_execnz .LBB320_2066
.LBB320_1841:
	s_or_b32 exec_lo, exec_lo, s6
	v_mov_b32_e32 v6, s7
	s_and_saveexec_b32 s6, s3
.LBB320_1842:
	v_lshrrev_b32_e32 v2, 24, v2
	s_delay_alu instid0(VALU_DEP_1)
	v_and_or_b32 v6, 0x80, v2, v3
.LBB320_1843:
	s_or_b32 exec_lo, exec_lo, s6
.LBB320_1844:
	s_delay_alu instid0(SALU_CYCLE_1)
	s_or_b32 exec_lo, exec_lo, s1
	s_mov_b32 s1, 0
	global_store_b8 v[4:5], v6, off
.LBB320_1845:
	s_and_b32 vcc_lo, exec_lo, s1
	s_cbranch_vccz .LBB320_1855
; %bb.1846:
	v_cvt_f32_f64_e32 v2, v[0:1]
	s_mov_b32 s1, exec_lo
                                        ; implicit-def: $vgpr3
	s_delay_alu instid0(VALU_DEP_1) | instskip(NEXT) | instid1(VALU_DEP_1)
	v_and_b32_e32 v6, 0x7fffffff, v2
	v_cmpx_gt_u32_e32 0x43f00000, v6
	s_xor_b32 s1, exec_lo, s1
	s_cbranch_execz .LBB320_1852
; %bb.1847:
	s_mov_b32 s3, exec_lo
                                        ; implicit-def: $vgpr3
	v_cmpx_lt_u32_e32 0x3c7fffff, v6
	s_xor_b32 s3, exec_lo, s3
; %bb.1848:
	v_bfe_u32 v3, v2, 20, 1
	s_delay_alu instid0(VALU_DEP_1) | instskip(NEXT) | instid1(VALU_DEP_1)
	v_add3_u32 v3, v2, v3, 0x407ffff
	v_and_b32_e32 v6, 0xff00000, v3
	v_lshrrev_b32_e32 v3, 20, v3
	s_delay_alu instid0(VALU_DEP_2) | instskip(NEXT) | instid1(VALU_DEP_2)
	v_cmp_ne_u32_e32 vcc_lo, 0x7f00000, v6
	v_cndmask_b32_e32 v3, 0x7e, v3, vcc_lo
; %bb.1849:
	s_and_not1_saveexec_b32 s3, s3
; %bb.1850:
	v_add_f32_e64 v3, 0x46800000, |v2|
; %bb.1851:
	s_or_b32 exec_lo, exec_lo, s3
                                        ; implicit-def: $vgpr6
.LBB320_1852:
	s_and_not1_saveexec_b32 s1, s1
; %bb.1853:
	v_mov_b32_e32 v3, 0x7f
	v_cmp_lt_u32_e32 vcc_lo, 0x7f800000, v6
	s_delay_alu instid0(VALU_DEP_2)
	v_cndmask_b32_e32 v3, 0x7e, v3, vcc_lo
; %bb.1854:
	s_or_b32 exec_lo, exec_lo, s1
	v_lshrrev_b32_e32 v2, 24, v2
	s_delay_alu instid0(VALU_DEP_1)
	v_and_or_b32 v2, 0x80, v2, v3
	global_store_b8 v[4:5], v2, off
.LBB320_1855:
	s_mov_b32 s1, 0
.LBB320_1856:
	s_delay_alu instid0(SALU_CYCLE_1)
	s_and_not1_b32 vcc_lo, exec_lo, s1
	s_cbranch_vccnz .LBB320_1866
; %bb.1857:
	v_cvt_f32_f64_e32 v2, v[0:1]
	s_mov_b32 s1, exec_lo
                                        ; implicit-def: $vgpr3
	s_delay_alu instid0(VALU_DEP_1) | instskip(NEXT) | instid1(VALU_DEP_1)
	v_and_b32_e32 v6, 0x7fffffff, v2
	v_cmpx_gt_u32_e32 0x47800000, v6
	s_xor_b32 s1, exec_lo, s1
	s_cbranch_execz .LBB320_1863
; %bb.1858:
	s_mov_b32 s3, exec_lo
                                        ; implicit-def: $vgpr3
	v_cmpx_lt_u32_e32 0x387fffff, v6
	s_xor_b32 s3, exec_lo, s3
; %bb.1859:
	v_bfe_u32 v3, v2, 21, 1
	s_delay_alu instid0(VALU_DEP_1) | instskip(NEXT) | instid1(VALU_DEP_1)
	v_add3_u32 v3, v2, v3, 0x80fffff
	v_lshrrev_b32_e32 v3, 21, v3
; %bb.1860:
	s_and_not1_saveexec_b32 s3, s3
; %bb.1861:
	v_add_f32_e64 v3, 0x43000000, |v2|
; %bb.1862:
	s_or_b32 exec_lo, exec_lo, s3
                                        ; implicit-def: $vgpr6
.LBB320_1863:
	s_and_not1_saveexec_b32 s1, s1
; %bb.1864:
	v_mov_b32_e32 v3, 0x7f
	v_cmp_lt_u32_e32 vcc_lo, 0x7f800000, v6
	s_delay_alu instid0(VALU_DEP_2)
	v_cndmask_b32_e32 v3, 0x7c, v3, vcc_lo
; %bb.1865:
	s_or_b32 exec_lo, exec_lo, s1
	v_lshrrev_b32_e32 v2, 24, v2
	s_delay_alu instid0(VALU_DEP_1)
	v_and_or_b32 v2, 0x80, v2, v3
	global_store_b8 v[4:5], v2, off
.LBB320_1866:
	s_mov_b32 s1, 0
	s_mov_b32 s3, -1
.LBB320_1867:
	s_and_not1_b32 vcc_lo, exec_lo, s1
	s_mov_b32 s1, 0
	s_cbranch_vccnz .LBB320_1874
; %bb.1868:
	v_cmp_lt_i16_e32 vcc_lo, 14, v16
	s_mov_b32 s1, -1
	s_cbranch_vccz .LBB320_1872
; %bb.1869:
	v_cmp_eq_u16_e32 vcc_lo, 15, v16
	s_mov_b32 s0, -1
	s_cbranch_vccz .LBB320_1871
; %bb.1870:
	v_cvt_f32_f64_e32 v2, v[0:1]
	s_mov_b32 s0, 0
	s_mov_b32 s3, -1
	s_delay_alu instid0(VALU_DEP_1) | instskip(SKIP_1) | instid1(VALU_DEP_2)
	v_bfe_u32 v3, v2, 16, 1
	v_cmp_o_f32_e32 vcc_lo, v2, v2
	v_add3_u32 v3, v2, v3, 0x7fff
	s_delay_alu instid0(VALU_DEP_1) | instskip(NEXT) | instid1(VALU_DEP_1)
	v_lshrrev_b32_e32 v3, 16, v3
	v_cndmask_b32_e32 v2, 0x7fc0, v3, vcc_lo
	global_store_b16 v[4:5], v2, off
.LBB320_1871:
	s_mov_b32 s1, 0
.LBB320_1872:
	s_delay_alu instid0(SALU_CYCLE_1)
	s_and_b32 vcc_lo, exec_lo, s1
	s_mov_b32 s1, 0
	s_cbranch_vccz .LBB320_1874
; %bb.1873:
	v_cmp_ne_u16_e64 s0, 11, v16
	s_mov_b32 s1, -1
.LBB320_1874:
	s_delay_alu instid0(VALU_DEP_1)
	s_and_b32 vcc_lo, exec_lo, s0
	s_cbranch_vccnz .LBB320_2063
; %bb.1875:
	s_and_not1_b32 vcc_lo, exec_lo, s1
	s_cbranch_vccnz .LBB320_1877
.LBB320_1876:
	v_cmp_neq_f64_e32 vcc_lo, 0, v[0:1]
	s_mov_b32 s3, -1
	v_cndmask_b32_e64 v2, 0, 1, vcc_lo
	global_store_b8 v[4:5], v2, off
.LBB320_1877:
	s_mov_b32 s0, 0
	s_branch .LBB320_1879
.LBB320_1878:
	s_mov_b32 s0, -1
	s_mov_b32 s3, 0
.LBB320_1879:
	s_and_b32 vcc_lo, exec_lo, s0
	s_cbranch_vccz .LBB320_1918
; %bb.1880:
	v_cmp_gt_i16_e32 vcc_lo, 5, v16
	s_mov_b32 s0, -1
	s_cbranch_vccnz .LBB320_1901
; %bb.1881:
	v_cmp_gt_i16_e32 vcc_lo, 8, v16
	s_cbranch_vccnz .LBB320_1891
; %bb.1882:
	v_cmp_gt_i16_e32 vcc_lo, 9, v16
	s_cbranch_vccnz .LBB320_1888
; %bb.1883:
	v_cmp_lt_i16_e32 vcc_lo, 9, v16
	s_cbranch_vccz .LBB320_1885
; %bb.1884:
	v_mov_b32_e32 v2, 0
	s_mov_b32 s0, 0
	s_delay_alu instid0(VALU_DEP_1)
	v_mov_b32_e32 v3, v2
	global_store_b128 v[4:5], v[0:3], off
.LBB320_1885:
	s_and_not1_b32 vcc_lo, exec_lo, s0
	s_cbranch_vccnz .LBB320_1887
; %bb.1886:
	v_cvt_f32_f64_e32 v2, v[0:1]
	v_mov_b32_e32 v3, 0
	global_store_b64 v[4:5], v[2:3], off
.LBB320_1887:
	s_mov_b32 s0, 0
.LBB320_1888:
	s_delay_alu instid0(SALU_CYCLE_1)
	s_and_not1_b32 vcc_lo, exec_lo, s0
	s_cbranch_vccnz .LBB320_1890
; %bb.1889:
	v_cvt_f32_f64_e32 v2, v[0:1]
	s_delay_alu instid0(VALU_DEP_1) | instskip(NEXT) | instid1(VALU_DEP_1)
	v_cvt_f16_f32_e32 v2, v2
	v_and_b32_e32 v2, 0xffff, v2
	global_store_b32 v[4:5], v2, off
.LBB320_1890:
	s_mov_b32 s0, 0
.LBB320_1891:
	s_delay_alu instid0(SALU_CYCLE_1)
	s_and_not1_b32 vcc_lo, exec_lo, s0
	s_cbranch_vccnz .LBB320_1900
; %bb.1892:
	v_cmp_gt_i16_e32 vcc_lo, 6, v16
	s_mov_b32 s0, -1
	s_cbranch_vccnz .LBB320_1898
; %bb.1893:
	v_cmp_lt_i16_e32 vcc_lo, 6, v16
	s_cbranch_vccz .LBB320_1895
; %bb.1894:
	s_mov_b32 s0, 0
	global_store_b64 v[4:5], v[0:1], off
.LBB320_1895:
	s_and_not1_b32 vcc_lo, exec_lo, s0
	s_cbranch_vccnz .LBB320_1897
; %bb.1896:
	v_cvt_f32_f64_e32 v2, v[0:1]
	global_store_b32 v[4:5], v2, off
.LBB320_1897:
	s_mov_b32 s0, 0
.LBB320_1898:
	s_delay_alu instid0(SALU_CYCLE_1)
	s_and_not1_b32 vcc_lo, exec_lo, s0
	s_cbranch_vccnz .LBB320_1900
; %bb.1899:
	v_cvt_f32_f64_e32 v2, v[0:1]
	s_delay_alu instid0(VALU_DEP_1)
	v_cvt_f16_f32_e32 v2, v2
	global_store_b16 v[4:5], v2, off
.LBB320_1900:
	s_mov_b32 s0, 0
.LBB320_1901:
	s_delay_alu instid0(SALU_CYCLE_1)
	s_and_not1_b32 vcc_lo, exec_lo, s0
	s_cbranch_vccnz .LBB320_1917
; %bb.1902:
	v_cmp_gt_i16_e32 vcc_lo, 2, v16
	s_mov_b32 s0, -1
	s_cbranch_vccnz .LBB320_1912
; %bb.1903:
	v_cmp_gt_i16_e32 vcc_lo, 3, v16
	s_cbranch_vccnz .LBB320_1909
; %bb.1904:
	v_cmp_lt_i16_e32 vcc_lo, 3, v16
	s_cbranch_vccz .LBB320_1906
; %bb.1905:
	v_trunc_f64_e32 v[2:3], v[0:1]
	s_mov_b32 s0, 0
	s_delay_alu instid0(VALU_DEP_1) | instskip(NEXT) | instid1(VALU_DEP_1)
	v_ldexp_f64 v[6:7], v[2:3], 0xffffffe0
	v_floor_f64_e32 v[6:7], v[6:7]
	s_delay_alu instid0(VALU_DEP_1) | instskip(SKIP_1) | instid1(VALU_DEP_2)
	v_fma_f64 v[2:3], 0xc1f00000, v[6:7], v[2:3]
	v_cvt_i32_f64_e32 v7, v[6:7]
	v_cvt_u32_f64_e32 v6, v[2:3]
	global_store_b64 v[4:5], v[6:7], off
.LBB320_1906:
	s_and_not1_b32 vcc_lo, exec_lo, s0
	s_cbranch_vccnz .LBB320_1908
; %bb.1907:
	v_cvt_i32_f64_e32 v2, v[0:1]
	global_store_b32 v[4:5], v2, off
.LBB320_1908:
	s_mov_b32 s0, 0
.LBB320_1909:
	s_delay_alu instid0(SALU_CYCLE_1)
	s_and_not1_b32 vcc_lo, exec_lo, s0
	s_cbranch_vccnz .LBB320_1911
; %bb.1910:
	v_cvt_i32_f64_e32 v2, v[0:1]
	global_store_b16 v[4:5], v2, off
.LBB320_1911:
	s_mov_b32 s0, 0
.LBB320_1912:
	s_delay_alu instid0(SALU_CYCLE_1)
	s_and_not1_b32 vcc_lo, exec_lo, s0
	s_cbranch_vccnz .LBB320_1917
; %bb.1913:
	v_cmp_lt_i16_e32 vcc_lo, 0, v16
	s_mov_b32 s0, -1
	s_cbranch_vccz .LBB320_1915
; %bb.1914:
	v_cvt_i32_f64_e32 v2, v[0:1]
	s_mov_b32 s0, 0
	global_store_b8 v[4:5], v2, off
.LBB320_1915:
	s_and_not1_b32 vcc_lo, exec_lo, s0
	s_cbranch_vccnz .LBB320_1917
; %bb.1916:
	v_trunc_f64_e32 v[0:1], v[0:1]
	s_delay_alu instid0(VALU_DEP_1) | instskip(NEXT) | instid1(VALU_DEP_1)
	v_ldexp_f64 v[2:3], v[0:1], 0xffffffe0
	v_floor_f64_e32 v[2:3], v[2:3]
	s_delay_alu instid0(VALU_DEP_1) | instskip(NEXT) | instid1(VALU_DEP_1)
	v_fma_f64 v[0:1], 0xc1f00000, v[2:3], v[0:1]
	v_cvt_u32_f64_e32 v0, v[0:1]
	global_store_b8 v[4:5], v0, off
.LBB320_1917:
	s_mov_b32 s3, -1
.LBB320_1918:
	s_delay_alu instid0(SALU_CYCLE_1)
	s_and_not1_b32 vcc_lo, exec_lo, s3
	s_cbranch_vccnz .LBB320_1995
; %bb.1919:
	v_max_f64 v[0:1], v[8:9], v[8:9]
	v_cmp_u_f64_e32 vcc_lo, v[8:9], v[8:9]
	v_cmp_gt_i16_e64 s0, 11, v16
	s_delay_alu instid0(VALU_DEP_3) | instskip(NEXT) | instid1(VALU_DEP_1)
	v_max_f64 v[0:1], v[0:1], v[10:11]
	v_min_f64 v[0:1], v[0:1], v[12:13]
	s_delay_alu instid0(VALU_DEP_1) | instskip(NEXT) | instid1(VALU_DEP_1)
	v_dual_cndmask_b32 v1, v1, v9 :: v_dual_add_nc_u32 v2, s2, v14
	v_ashrrev_i32_e32 v3, 31, v2
	v_add_co_u32 v4, s1, s4, v2
	s_delay_alu instid0(VALU_DEP_4) | instskip(SKIP_1) | instid1(VALU_DEP_3)
	v_cndmask_b32_e32 v0, v0, v8, vcc_lo
	s_and_b32 vcc_lo, exec_lo, s0
	v_add_co_ci_u32_e64 v5, s1, s5, v3, s1
	s_cbranch_vccnz .LBB320_2040
; %bb.1920:
	v_cmp_lt_i16_e32 vcc_lo, 25, v16
	s_mov_b32 s2, -1
	s_mov_b32 s1, 0
	s_mov_b32 s0, 0
	s_cbranch_vccz .LBB320_1953
; %bb.1921:
	v_cmp_lt_i16_e32 vcc_lo, 28, v16
	s_cbranch_vccz .LBB320_1937
; %bb.1922:
	v_cmp_lt_i16_e32 vcc_lo, 43, v16
	;; [unrolled: 3-line block ×3, first 2 shown]
	s_cbranch_vccz .LBB320_1927
; %bb.1924:
	v_cmp_eq_u16_e32 vcc_lo, 46, v16
	s_mov_b32 s0, -1
	s_cbranch_vccz .LBB320_1926
; %bb.1925:
	v_cvt_f32_f64_e32 v2, v[0:1]
	s_mov_b32 s0, 0
	s_delay_alu instid0(VALU_DEP_1) | instskip(SKIP_1) | instid1(VALU_DEP_2)
	v_bfe_u32 v3, v2, 16, 1
	v_cmp_o_f32_e32 vcc_lo, v2, v2
	v_add3_u32 v3, v2, v3, 0x7fff
	s_delay_alu instid0(VALU_DEP_1) | instskip(NEXT) | instid1(VALU_DEP_1)
	v_lshrrev_b32_e32 v3, 16, v3
	v_cndmask_b32_e32 v2, 0x7fc0, v3, vcc_lo
	global_store_b32 v[4:5], v2, off
.LBB320_1926:
	s_mov_b32 s2, 0
.LBB320_1927:
	s_delay_alu instid0(SALU_CYCLE_1)
	s_and_b32 vcc_lo, exec_lo, s2
	s_cbranch_vccz .LBB320_1932
; %bb.1928:
	v_cmp_eq_u16_e32 vcc_lo, 44, v16
	s_mov_b32 s0, -1
	s_cbranch_vccz .LBB320_1932
; %bb.1929:
	v_cvt_f32_f64_e32 v2, v[0:1]
	v_mov_b32_e32 v3, 0xff
	s_mov_b32 s2, exec_lo
	s_delay_alu instid0(VALU_DEP_2) | instskip(NEXT) | instid1(VALU_DEP_1)
	v_bfe_u32 v6, v2, 23, 8
	v_cmpx_ne_u32_e32 0xff, v6
; %bb.1930:
	v_and_b32_e32 v3, 0x400000, v2
	v_and_or_b32 v6, 0x3fffff, v2, v6
	v_lshrrev_b32_e32 v2, 23, v2
	s_delay_alu instid0(VALU_DEP_3) | instskip(NEXT) | instid1(VALU_DEP_3)
	v_cmp_ne_u32_e32 vcc_lo, 0, v3
	v_cmp_ne_u32_e64 s0, 0, v6
	s_delay_alu instid0(VALU_DEP_1) | instskip(NEXT) | instid1(SALU_CYCLE_1)
	s_and_b32 s0, vcc_lo, s0
	v_cndmask_b32_e64 v3, 0, 1, s0
	s_delay_alu instid0(VALU_DEP_1)
	v_add_nc_u32_e32 v3, v2, v3
; %bb.1931:
	s_or_b32 exec_lo, exec_lo, s2
	s_mov_b32 s0, 0
	global_store_b8 v[4:5], v3, off
.LBB320_1932:
	s_mov_b32 s2, 0
.LBB320_1933:
	s_delay_alu instid0(SALU_CYCLE_1)
	s_and_b32 vcc_lo, exec_lo, s2
	s_cbranch_vccz .LBB320_1936
; %bb.1934:
	v_cmp_eq_u16_e32 vcc_lo, 29, v16
	s_mov_b32 s0, -1
	s_cbranch_vccz .LBB320_1936
; %bb.1935:
	v_trunc_f64_e32 v[2:3], v[0:1]
	s_mov_b32 s0, 0
	s_delay_alu instid0(VALU_DEP_1) | instskip(NEXT) | instid1(VALU_DEP_1)
	v_ldexp_f64 v[6:7], v[2:3], 0xffffffe0
	v_floor_f64_e32 v[6:7], v[6:7]
	s_delay_alu instid0(VALU_DEP_1) | instskip(SKIP_1) | instid1(VALU_DEP_2)
	v_fma_f64 v[2:3], 0xc1f00000, v[6:7], v[2:3]
	v_cvt_u32_f64_e32 v7, v[6:7]
	v_cvt_u32_f64_e32 v6, v[2:3]
	global_store_b64 v[4:5], v[6:7], off
.LBB320_1936:
	s_mov_b32 s2, 0
.LBB320_1937:
	s_delay_alu instid0(SALU_CYCLE_1)
	s_and_b32 vcc_lo, exec_lo, s2
	s_cbranch_vccz .LBB320_1952
; %bb.1938:
	v_cmp_gt_i16_e32 vcc_lo, 27, v16
	s_mov_b32 s2, -1
	s_cbranch_vccnz .LBB320_1944
; %bb.1939:
	v_cvt_u32_f64_e32 v2, v[0:1]
	v_cmp_lt_i16_e32 vcc_lo, 27, v16
	s_cbranch_vccz .LBB320_1941
; %bb.1940:
	s_mov_b32 s2, 0
	global_store_b32 v[4:5], v2, off
.LBB320_1941:
	s_and_not1_b32 vcc_lo, exec_lo, s2
	s_cbranch_vccnz .LBB320_1943
; %bb.1942:
	global_store_b16 v[4:5], v2, off
.LBB320_1943:
	s_mov_b32 s2, 0
.LBB320_1944:
	s_delay_alu instid0(SALU_CYCLE_1)
	s_and_not1_b32 vcc_lo, exec_lo, s2
	s_cbranch_vccnz .LBB320_1952
; %bb.1945:
	v_cvt_f32_f64_e32 v2, v[0:1]
	v_mov_b32_e32 v6, 0x80
	s_mov_b32 s2, exec_lo
	s_delay_alu instid0(VALU_DEP_2) | instskip(NEXT) | instid1(VALU_DEP_1)
	v_and_b32_e32 v3, 0x7fffffff, v2
	v_cmpx_gt_u32_e32 0x43800000, v3
	s_cbranch_execz .LBB320_1951
; %bb.1946:
	v_cmp_lt_u32_e32 vcc_lo, 0x3bffffff, v3
	s_mov_b32 s3, 0
                                        ; implicit-def: $vgpr3
	s_and_saveexec_b32 s4, vcc_lo
	s_delay_alu instid0(SALU_CYCLE_1)
	s_xor_b32 s4, exec_lo, s4
	s_cbranch_execz .LBB320_2067
; %bb.1947:
	v_bfe_u32 v3, v2, 20, 1
	s_mov_b32 s3, exec_lo
	s_delay_alu instid0(VALU_DEP_1) | instskip(NEXT) | instid1(VALU_DEP_1)
	v_add3_u32 v3, v2, v3, 0x487ffff
	v_lshrrev_b32_e32 v3, 20, v3
	s_or_saveexec_b32 s4, s4
                                        ; implicit-def: $sgpr5
	s_delay_alu instid0(SALU_CYCLE_1)
	s_xor_b32 exec_lo, exec_lo, s4
	s_cbranch_execnz .LBB320_2068
.LBB320_1948:
	s_or_b32 exec_lo, exec_lo, s4
	v_mov_b32_e32 v6, s5
	s_and_saveexec_b32 s4, s3
.LBB320_1949:
	v_lshrrev_b32_e32 v2, 24, v2
	s_delay_alu instid0(VALU_DEP_1)
	v_and_or_b32 v6, 0x80, v2, v3
.LBB320_1950:
	s_or_b32 exec_lo, exec_lo, s4
.LBB320_1951:
	s_delay_alu instid0(SALU_CYCLE_1)
	s_or_b32 exec_lo, exec_lo, s2
	global_store_b8 v[4:5], v6, off
.LBB320_1952:
	s_mov_b32 s2, 0
.LBB320_1953:
	s_delay_alu instid0(SALU_CYCLE_1)
	s_and_b32 vcc_lo, exec_lo, s2
	s_cbranch_vccz .LBB320_1993
; %bb.1954:
	v_cmp_lt_i16_e32 vcc_lo, 22, v16
	s_mov_b32 s1, -1
	s_cbranch_vccz .LBB320_1986
; %bb.1955:
	v_cmp_gt_i16_e32 vcc_lo, 24, v16
	s_cbranch_vccnz .LBB320_1975
; %bb.1956:
	v_cmp_lt_i16_e32 vcc_lo, 24, v16
	s_cbranch_vccz .LBB320_1964
; %bb.1957:
	v_cvt_f32_f64_e32 v2, v[0:1]
	v_mov_b32_e32 v6, 0x80
	s_mov_b32 s1, exec_lo
	s_delay_alu instid0(VALU_DEP_2) | instskip(NEXT) | instid1(VALU_DEP_1)
	v_and_b32_e32 v3, 0x7fffffff, v2
	v_cmpx_gt_u32_e32 0x47800000, v3
	s_cbranch_execz .LBB320_1963
; %bb.1958:
	v_cmp_lt_u32_e32 vcc_lo, 0x37ffffff, v3
	s_mov_b32 s2, 0
                                        ; implicit-def: $vgpr3
	s_and_saveexec_b32 s3, vcc_lo
	s_delay_alu instid0(SALU_CYCLE_1)
	s_xor_b32 s3, exec_lo, s3
	s_cbranch_execz .LBB320_2073
; %bb.1959:
	v_bfe_u32 v3, v2, 21, 1
	s_mov_b32 s2, exec_lo
	s_delay_alu instid0(VALU_DEP_1) | instskip(NEXT) | instid1(VALU_DEP_1)
	v_add3_u32 v3, v2, v3, 0x88fffff
	v_lshrrev_b32_e32 v3, 21, v3
	s_or_saveexec_b32 s3, s3
                                        ; implicit-def: $sgpr4
	s_delay_alu instid0(SALU_CYCLE_1)
	s_xor_b32 exec_lo, exec_lo, s3
	s_cbranch_execnz .LBB320_2074
.LBB320_1960:
	s_or_b32 exec_lo, exec_lo, s3
	v_mov_b32_e32 v6, s4
	s_and_saveexec_b32 s3, s2
.LBB320_1961:
	v_lshrrev_b32_e32 v2, 24, v2
	s_delay_alu instid0(VALU_DEP_1)
	v_and_or_b32 v6, 0x80, v2, v3
.LBB320_1962:
	s_or_b32 exec_lo, exec_lo, s3
.LBB320_1963:
	s_delay_alu instid0(SALU_CYCLE_1)
	s_or_b32 exec_lo, exec_lo, s1
	s_mov_b32 s1, 0
	global_store_b8 v[4:5], v6, off
.LBB320_1964:
	s_and_b32 vcc_lo, exec_lo, s1
	s_cbranch_vccz .LBB320_1974
; %bb.1965:
	v_cvt_f32_f64_e32 v2, v[0:1]
	s_mov_b32 s1, exec_lo
                                        ; implicit-def: $vgpr3
	s_delay_alu instid0(VALU_DEP_1) | instskip(NEXT) | instid1(VALU_DEP_1)
	v_and_b32_e32 v6, 0x7fffffff, v2
	v_cmpx_gt_u32_e32 0x43f00000, v6
	s_xor_b32 s1, exec_lo, s1
	s_cbranch_execz .LBB320_1971
; %bb.1966:
	s_mov_b32 s2, exec_lo
                                        ; implicit-def: $vgpr3
	v_cmpx_lt_u32_e32 0x3c7fffff, v6
	s_xor_b32 s2, exec_lo, s2
; %bb.1967:
	v_bfe_u32 v3, v2, 20, 1
	s_delay_alu instid0(VALU_DEP_1) | instskip(NEXT) | instid1(VALU_DEP_1)
	v_add3_u32 v3, v2, v3, 0x407ffff
	v_and_b32_e32 v6, 0xff00000, v3
	v_lshrrev_b32_e32 v3, 20, v3
	s_delay_alu instid0(VALU_DEP_2) | instskip(NEXT) | instid1(VALU_DEP_2)
	v_cmp_ne_u32_e32 vcc_lo, 0x7f00000, v6
	v_cndmask_b32_e32 v3, 0x7e, v3, vcc_lo
; %bb.1968:
	s_and_not1_saveexec_b32 s2, s2
; %bb.1969:
	v_add_f32_e64 v3, 0x46800000, |v2|
; %bb.1970:
	s_or_b32 exec_lo, exec_lo, s2
                                        ; implicit-def: $vgpr6
.LBB320_1971:
	s_and_not1_saveexec_b32 s1, s1
; %bb.1972:
	v_mov_b32_e32 v3, 0x7f
	v_cmp_lt_u32_e32 vcc_lo, 0x7f800000, v6
	s_delay_alu instid0(VALU_DEP_2)
	v_cndmask_b32_e32 v3, 0x7e, v3, vcc_lo
; %bb.1973:
	s_or_b32 exec_lo, exec_lo, s1
	v_lshrrev_b32_e32 v2, 24, v2
	s_delay_alu instid0(VALU_DEP_1)
	v_and_or_b32 v2, 0x80, v2, v3
	global_store_b8 v[4:5], v2, off
.LBB320_1974:
	s_mov_b32 s1, 0
.LBB320_1975:
	s_delay_alu instid0(SALU_CYCLE_1)
	s_and_not1_b32 vcc_lo, exec_lo, s1
	s_cbranch_vccnz .LBB320_1985
; %bb.1976:
	v_cvt_f32_f64_e32 v2, v[0:1]
	s_mov_b32 s1, exec_lo
                                        ; implicit-def: $vgpr3
	s_delay_alu instid0(VALU_DEP_1) | instskip(NEXT) | instid1(VALU_DEP_1)
	v_and_b32_e32 v6, 0x7fffffff, v2
	v_cmpx_gt_u32_e32 0x47800000, v6
	s_xor_b32 s1, exec_lo, s1
	s_cbranch_execz .LBB320_1982
; %bb.1977:
	s_mov_b32 s2, exec_lo
                                        ; implicit-def: $vgpr3
	v_cmpx_lt_u32_e32 0x387fffff, v6
	s_xor_b32 s2, exec_lo, s2
; %bb.1978:
	v_bfe_u32 v3, v2, 21, 1
	s_delay_alu instid0(VALU_DEP_1) | instskip(NEXT) | instid1(VALU_DEP_1)
	v_add3_u32 v3, v2, v3, 0x80fffff
	v_lshrrev_b32_e32 v3, 21, v3
; %bb.1979:
	s_and_not1_saveexec_b32 s2, s2
; %bb.1980:
	v_add_f32_e64 v3, 0x43000000, |v2|
; %bb.1981:
	s_or_b32 exec_lo, exec_lo, s2
                                        ; implicit-def: $vgpr6
.LBB320_1982:
	s_and_not1_saveexec_b32 s1, s1
; %bb.1983:
	v_mov_b32_e32 v3, 0x7f
	v_cmp_lt_u32_e32 vcc_lo, 0x7f800000, v6
	s_delay_alu instid0(VALU_DEP_2)
	v_cndmask_b32_e32 v3, 0x7c, v3, vcc_lo
; %bb.1984:
	s_or_b32 exec_lo, exec_lo, s1
	v_lshrrev_b32_e32 v2, 24, v2
	s_delay_alu instid0(VALU_DEP_1)
	v_and_or_b32 v2, 0x80, v2, v3
	global_store_b8 v[4:5], v2, off
.LBB320_1985:
	s_mov_b32 s1, 0
.LBB320_1986:
	s_delay_alu instid0(SALU_CYCLE_1)
	s_and_not1_b32 vcc_lo, exec_lo, s1
	s_mov_b32 s1, 0
	s_cbranch_vccnz .LBB320_1993
; %bb.1987:
	v_cmp_lt_i16_e32 vcc_lo, 14, v16
	s_mov_b32 s1, -1
	s_cbranch_vccz .LBB320_1991
; %bb.1988:
	v_cmp_eq_u16_e32 vcc_lo, 15, v16
	s_mov_b32 s0, -1
	s_cbranch_vccz .LBB320_1990
; %bb.1989:
	v_cvt_f32_f64_e32 v2, v[0:1]
	s_mov_b32 s0, 0
	s_delay_alu instid0(VALU_DEP_1) | instskip(SKIP_1) | instid1(VALU_DEP_2)
	v_bfe_u32 v3, v2, 16, 1
	v_cmp_o_f32_e32 vcc_lo, v2, v2
	v_add3_u32 v3, v2, v3, 0x7fff
	s_delay_alu instid0(VALU_DEP_1) | instskip(NEXT) | instid1(VALU_DEP_1)
	v_lshrrev_b32_e32 v3, 16, v3
	v_cndmask_b32_e32 v2, 0x7fc0, v3, vcc_lo
	global_store_b16 v[4:5], v2, off
.LBB320_1990:
	s_mov_b32 s1, 0
.LBB320_1991:
	s_delay_alu instid0(SALU_CYCLE_1)
	s_and_b32 vcc_lo, exec_lo, s1
	s_mov_b32 s1, 0
	s_cbranch_vccz .LBB320_1993
; %bb.1992:
	v_cmp_ne_u16_e64 s0, 11, v16
	s_mov_b32 s1, -1
.LBB320_1993:
	s_delay_alu instid0(VALU_DEP_1)
	s_and_b32 vcc_lo, exec_lo, s0
	s_cbranch_vccnz .LBB320_2071
.LBB320_1994:
	s_mov_b32 s0, 0
	s_branch .LBB320_1996
.LBB320_1995:
	s_mov_b32 s0, 0
	s_mov_b32 s1, 0
                                        ; implicit-def: $vgpr16
                                        ; implicit-def: $vgpr4_vgpr5
                                        ; implicit-def: $vgpr0_vgpr1
.LBB320_1996:
	s_and_not1_b32 s2, s15, exec_lo
	s_and_b32 s3, s13, exec_lo
	s_and_b32 s0, s0, exec_lo
	;; [unrolled: 1-line block ×3, first 2 shown]
	s_or_b32 s15, s2, s3
.LBB320_1997:
	s_or_b32 exec_lo, exec_lo, s14
	s_and_saveexec_b32 s1, s15
	s_cbranch_execz .LBB320_2000
; %bb.1998:
	; divergent unreachable
	s_or_b32 exec_lo, exec_lo, s1
	s_and_saveexec_b32 s1, s13
	s_delay_alu instid0(SALU_CYCLE_1)
	s_xor_b32 s1, exec_lo, s1
	s_cbranch_execnz .LBB320_2001
.LBB320_1999:
	s_or_b32 exec_lo, exec_lo, s1
	s_and_saveexec_b32 s1, s0
	s_cbranch_execnz .LBB320_2002
	s_branch .LBB320_2039
.LBB320_2000:
	s_or_b32 exec_lo, exec_lo, s1
	s_and_saveexec_b32 s1, s13
	s_delay_alu instid0(SALU_CYCLE_1)
	s_xor_b32 s1, exec_lo, s1
	s_cbranch_execz .LBB320_1999
.LBB320_2001:
	s_waitcnt vmcnt(0)
	s_delay_alu instid0(VALU_DEP_1)
	v_cmp_neq_f64_e32 vcc_lo, 0, v[0:1]
	v_cndmask_b32_e64 v2, 0, 1, vcc_lo
	global_store_b8 v[4:5], v2, off
	s_or_b32 exec_lo, exec_lo, s1
	s_and_saveexec_b32 s1, s0
	s_cbranch_execz .LBB320_2039
.LBB320_2002:
	v_cmp_gt_i16_e32 vcc_lo, 5, v16
	s_mov_b32 s0, -1
	s_cbranch_vccnz .LBB320_2023
; %bb.2003:
	v_cmp_gt_i16_e32 vcc_lo, 8, v16
	s_cbranch_vccnz .LBB320_2013
; %bb.2004:
	v_cmp_gt_i16_e32 vcc_lo, 9, v16
	s_cbranch_vccnz .LBB320_2010
; %bb.2005:
	v_cmp_lt_i16_e32 vcc_lo, 9, v16
	s_cbranch_vccz .LBB320_2007
; %bb.2006:
	s_waitcnt vmcnt(0)
	v_mov_b32_e32 v2, 0
	s_mov_b32 s0, 0
	s_delay_alu instid0(VALU_DEP_1)
	v_mov_b32_e32 v3, v2
	global_store_b128 v[4:5], v[0:3], off
.LBB320_2007:
	s_and_not1_b32 vcc_lo, exec_lo, s0
	s_cbranch_vccnz .LBB320_2009
; %bb.2008:
	s_waitcnt vmcnt(0)
	v_cvt_f32_f64_e32 v2, v[0:1]
	v_mov_b32_e32 v3, 0
	global_store_b64 v[4:5], v[2:3], off
.LBB320_2009:
	s_mov_b32 s0, 0
.LBB320_2010:
	s_delay_alu instid0(SALU_CYCLE_1)
	s_and_not1_b32 vcc_lo, exec_lo, s0
	s_cbranch_vccnz .LBB320_2012
; %bb.2011:
	s_waitcnt vmcnt(0)
	v_cvt_f32_f64_e32 v2, v[0:1]
	s_delay_alu instid0(VALU_DEP_1) | instskip(NEXT) | instid1(VALU_DEP_1)
	v_cvt_f16_f32_e32 v2, v2
	v_and_b32_e32 v2, 0xffff, v2
	global_store_b32 v[4:5], v2, off
.LBB320_2012:
	s_mov_b32 s0, 0
.LBB320_2013:
	s_delay_alu instid0(SALU_CYCLE_1)
	s_and_not1_b32 vcc_lo, exec_lo, s0
	s_cbranch_vccnz .LBB320_2022
; %bb.2014:
	v_cmp_gt_i16_e32 vcc_lo, 6, v16
	s_mov_b32 s0, -1
	s_cbranch_vccnz .LBB320_2020
; %bb.2015:
	v_cmp_lt_i16_e32 vcc_lo, 6, v16
	s_cbranch_vccz .LBB320_2017
; %bb.2016:
	s_mov_b32 s0, 0
	s_waitcnt vmcnt(0)
	global_store_b64 v[4:5], v[0:1], off
.LBB320_2017:
	s_and_not1_b32 vcc_lo, exec_lo, s0
	s_cbranch_vccnz .LBB320_2019
; %bb.2018:
	s_waitcnt vmcnt(0)
	v_cvt_f32_f64_e32 v2, v[0:1]
	global_store_b32 v[4:5], v2, off
.LBB320_2019:
	s_mov_b32 s0, 0
.LBB320_2020:
	s_delay_alu instid0(SALU_CYCLE_1)
	s_and_not1_b32 vcc_lo, exec_lo, s0
	s_cbranch_vccnz .LBB320_2022
; %bb.2021:
	s_waitcnt vmcnt(0)
	v_cvt_f32_f64_e32 v2, v[0:1]
	s_delay_alu instid0(VALU_DEP_1)
	v_cvt_f16_f32_e32 v2, v2
	global_store_b16 v[4:5], v2, off
.LBB320_2022:
	s_mov_b32 s0, 0
.LBB320_2023:
	s_delay_alu instid0(SALU_CYCLE_1)
	s_and_not1_b32 vcc_lo, exec_lo, s0
	s_cbranch_vccnz .LBB320_2039
; %bb.2024:
	v_cmp_gt_i16_e32 vcc_lo, 2, v16
	s_mov_b32 s0, -1
	s_cbranch_vccnz .LBB320_2034
; %bb.2025:
	v_cmp_gt_i16_e32 vcc_lo, 3, v16
	s_cbranch_vccnz .LBB320_2031
; %bb.2026:
	v_cmp_lt_i16_e32 vcc_lo, 3, v16
	s_cbranch_vccz .LBB320_2028
; %bb.2027:
	s_waitcnt vmcnt(0)
	v_trunc_f64_e32 v[2:3], v[0:1]
	s_mov_b32 s0, 0
	s_delay_alu instid0(VALU_DEP_1) | instskip(NEXT) | instid1(VALU_DEP_1)
	v_ldexp_f64 v[6:7], v[2:3], 0xffffffe0
	v_floor_f64_e32 v[6:7], v[6:7]
	s_delay_alu instid0(VALU_DEP_1) | instskip(SKIP_1) | instid1(VALU_DEP_2)
	v_fma_f64 v[2:3], 0xc1f00000, v[6:7], v[2:3]
	v_cvt_i32_f64_e32 v7, v[6:7]
	v_cvt_u32_f64_e32 v6, v[2:3]
	global_store_b64 v[4:5], v[6:7], off
.LBB320_2028:
	s_and_not1_b32 vcc_lo, exec_lo, s0
	s_cbranch_vccnz .LBB320_2030
; %bb.2029:
	s_waitcnt vmcnt(0)
	v_cvt_i32_f64_e32 v2, v[0:1]
	global_store_b32 v[4:5], v2, off
.LBB320_2030:
	s_mov_b32 s0, 0
.LBB320_2031:
	s_delay_alu instid0(SALU_CYCLE_1)
	s_and_not1_b32 vcc_lo, exec_lo, s0
	s_cbranch_vccnz .LBB320_2033
; %bb.2032:
	s_waitcnt vmcnt(0)
	v_cvt_i32_f64_e32 v2, v[0:1]
	global_store_b16 v[4:5], v2, off
.LBB320_2033:
	s_mov_b32 s0, 0
.LBB320_2034:
	s_delay_alu instid0(SALU_CYCLE_1)
	s_and_not1_b32 vcc_lo, exec_lo, s0
	s_cbranch_vccnz .LBB320_2039
; %bb.2035:
	v_cmp_lt_i16_e32 vcc_lo, 0, v16
	s_mov_b32 s0, -1
	s_cbranch_vccz .LBB320_2037
; %bb.2036:
	s_waitcnt vmcnt(0)
	v_cvt_i32_f64_e32 v2, v[0:1]
	s_mov_b32 s0, 0
	global_store_b8 v[4:5], v2, off
.LBB320_2037:
	s_and_not1_b32 vcc_lo, exec_lo, s0
	s_cbranch_vccnz .LBB320_2039
; %bb.2038:
	s_waitcnt vmcnt(0)
	v_trunc_f64_e32 v[0:1], v[0:1]
	s_delay_alu instid0(VALU_DEP_1) | instskip(NEXT) | instid1(VALU_DEP_1)
	v_ldexp_f64 v[2:3], v[0:1], 0xffffffe0
	v_floor_f64_e32 v[2:3], v[2:3]
	s_delay_alu instid0(VALU_DEP_1) | instskip(NEXT) | instid1(VALU_DEP_1)
	v_fma_f64 v[0:1], 0xc1f00000, v[2:3], v[0:1]
	v_cvt_u32_f64_e32 v0, v[0:1]
	global_store_b8 v[4:5], v0, off
	s_nop 0
	s_sendmsg sendmsg(MSG_DEALLOC_VGPRS)
	s_endpgm
.LBB320_2039:
	s_nop 0
	s_sendmsg sendmsg(MSG_DEALLOC_VGPRS)
	s_endpgm
.LBB320_2040:
	s_mov_b32 s1, 0
	s_mov_b32 s0, -1
	s_branch .LBB320_1996
.LBB320_2041:
	s_cbranch_execnz .LBB320_2045
; %bb.2042:
	s_or_b32 s13, s13, exec_lo
                                        ; implicit-def: $vgpr8_vgpr9
	s_cbranch_execz .LBB320_1510
	s_branch .LBB320_1511
.LBB320_2043:
	s_or_saveexec_b32 s7, s7
                                        ; implicit-def: $sgpr8
	s_delay_alu instid0(SALU_CYCLE_1)
	s_xor_b32 exec_lo, exec_lo, s7
	s_cbranch_execz .LBB320_1590
.LBB320_2044:
	v_add_f32_e64 v3, 0x46000000, |v2|
	s_and_not1_b32 s6, s6, exec_lo
	s_mov_b32 s8, 0
	s_delay_alu instid0(VALU_DEP_1) | instskip(NEXT) | instid1(VALU_DEP_1)
	v_and_b32_e32 v3, 0xff, v3
	v_cmp_ne_u32_e32 vcc_lo, 0, v3
	s_and_b32 s9, vcc_lo, exec_lo
	s_delay_alu instid0(SALU_CYCLE_1)
	s_or_b32 s6, s6, s9
	s_or_b32 exec_lo, exec_lo, s7
	v_mov_b32_e32 v18, s8
	s_and_saveexec_b32 s7, s6
	s_cbranch_execnz .LBB320_1591
	s_branch .LBB320_1592
.LBB320_2045:
	s_trap 2
	s_sendmsg_rtn_b32 s0, sendmsg(MSG_RTN_GET_DOORBELL)
	s_mov_b32 ttmp2, m0
	s_waitcnt lgkmcnt(0)
	s_and_b32 s0, s0, 0x3ff
	s_delay_alu instid0(SALU_CYCLE_1) | instskip(NEXT) | instid1(SALU_CYCLE_1)
	s_bitset1_b32 s0, 10
	s_mov_b32 m0, s0
	s_sendmsg sendmsg(MSG_INTERRUPT)
	s_mov_b32 m0, ttmp2
.LBB320_2046:                           ; =>This Inner Loop Header: Depth=1
	s_sethalt 5
	s_branch .LBB320_2046
.LBB320_2047:
	s_cbranch_execnz .LBB320_2053
; %bb.2048:
	s_or_b32 s13, s13, exec_lo
	s_cbranch_execz .LBB320_1638
	s_branch .LBB320_1639
.LBB320_2049:
	s_or_saveexec_b32 s6, s6
                                        ; implicit-def: $sgpr7
	s_delay_alu instid0(SALU_CYCLE_1)
	s_xor_b32 exec_lo, exec_lo, s6
	s_cbranch_execz .LBB320_1603
.LBB320_2050:
	v_add_f32_e64 v3, 0x42800000, |v2|
	s_and_not1_b32 s3, s3, exec_lo
	s_mov_b32 s7, 0
	s_delay_alu instid0(VALU_DEP_1) | instskip(NEXT) | instid1(VALU_DEP_1)
	v_and_b32_e32 v3, 0xff, v3
	v_cmp_ne_u32_e32 vcc_lo, 0, v3
	s_and_b32 s8, vcc_lo, exec_lo
	s_delay_alu instid0(SALU_CYCLE_1)
	s_or_b32 s3, s3, s8
	s_or_b32 exec_lo, exec_lo, s6
	v_mov_b32_e32 v18, s7
	s_and_saveexec_b32 s6, s3
	s_cbranch_execnz .LBB320_1604
	s_branch .LBB320_1605
.LBB320_2051:
	s_or_saveexec_b32 s7, s7
                                        ; implicit-def: $sgpr8
	s_delay_alu instid0(SALU_CYCLE_1)
	s_xor_b32 exec_lo, exec_lo, s7
	s_cbranch_execz .LBB320_1709
.LBB320_2052:
	v_add_f32_e64 v3, 0x46000000, |v2|
	s_and_not1_b32 s6, s6, exec_lo
	s_mov_b32 s8, 0
	s_delay_alu instid0(VALU_DEP_1) | instskip(NEXT) | instid1(VALU_DEP_1)
	v_and_b32_e32 v3, 0xff, v3
	v_cmp_ne_u32_e32 vcc_lo, 0, v3
	s_and_b32 s9, vcc_lo, exec_lo
	s_delay_alu instid0(SALU_CYCLE_1)
	s_or_b32 s6, s6, s9
	s_or_b32 exec_lo, exec_lo, s7
	v_mov_b32_e32 v4, s8
	s_and_saveexec_b32 s7, s6
	s_cbranch_execnz .LBB320_1710
	s_branch .LBB320_1711
.LBB320_2053:
	s_trap 2
	s_sendmsg_rtn_b32 s0, sendmsg(MSG_RTN_GET_DOORBELL)
	s_mov_b32 ttmp2, m0
	s_waitcnt lgkmcnt(0)
	s_and_b32 s0, s0, 0x3ff
	s_delay_alu instid0(SALU_CYCLE_1) | instskip(NEXT) | instid1(SALU_CYCLE_1)
	s_bitset1_b32 s0, 10
	s_mov_b32 m0, s0
	s_sendmsg sendmsg(MSG_INTERRUPT)
	s_mov_b32 m0, ttmp2
.LBB320_2054:                           ; =>This Inner Loop Header: Depth=1
	s_sethalt 5
	s_branch .LBB320_2054
.LBB320_2055:
	s_cbranch_execnz .LBB320_2061
; %bb.2056:
	s_or_b32 s13, s13, exec_lo
	s_cbranch_execz .LBB320_1757
	s_branch .LBB320_1758
.LBB320_2057:
	s_or_saveexec_b32 s6, s6
                                        ; implicit-def: $sgpr7
	s_delay_alu instid0(SALU_CYCLE_1)
	s_xor_b32 exec_lo, exec_lo, s6
	s_cbranch_execz .LBB320_1722
.LBB320_2058:
	v_add_f32_e64 v3, 0x42800000, |v2|
	s_and_not1_b32 s3, s3, exec_lo
	s_mov_b32 s7, 0
	s_delay_alu instid0(VALU_DEP_1) | instskip(NEXT) | instid1(VALU_DEP_1)
	v_and_b32_e32 v3, 0xff, v3
	v_cmp_ne_u32_e32 vcc_lo, 0, v3
	s_and_b32 s8, vcc_lo, exec_lo
	s_delay_alu instid0(SALU_CYCLE_1)
	s_or_b32 s3, s3, s8
	s_or_b32 exec_lo, exec_lo, s6
	v_mov_b32_e32 v4, s7
	s_and_saveexec_b32 s6, s3
	s_cbranch_execnz .LBB320_1723
	s_branch .LBB320_1724
.LBB320_2059:
	s_or_saveexec_b32 s7, s7
                                        ; implicit-def: $sgpr8
	s_delay_alu instid0(SALU_CYCLE_1)
	s_xor_b32 exec_lo, exec_lo, s7
	s_cbranch_execz .LBB320_1828
.LBB320_2060:
	v_add_f32_e64 v3, 0x46000000, |v2|
	s_and_not1_b32 s6, s6, exec_lo
	s_mov_b32 s8, 0
	s_delay_alu instid0(VALU_DEP_1) | instskip(NEXT) | instid1(VALU_DEP_1)
	v_and_b32_e32 v3, 0xff, v3
	v_cmp_ne_u32_e32 vcc_lo, 0, v3
	s_and_b32 s9, vcc_lo, exec_lo
	s_delay_alu instid0(SALU_CYCLE_1)
	s_or_b32 s6, s6, s9
	s_or_b32 exec_lo, exec_lo, s7
	v_mov_b32_e32 v6, s8
	s_and_saveexec_b32 s7, s6
	s_cbranch_execnz .LBB320_1829
	s_branch .LBB320_1830
.LBB320_2061:
	s_trap 2
	s_sendmsg_rtn_b32 s0, sendmsg(MSG_RTN_GET_DOORBELL)
	s_mov_b32 ttmp2, m0
	s_waitcnt lgkmcnt(0)
	s_and_b32 s0, s0, 0x3ff
	s_delay_alu instid0(SALU_CYCLE_1) | instskip(NEXT) | instid1(SALU_CYCLE_1)
	s_bitset1_b32 s0, 10
	s_mov_b32 m0, s0
	s_sendmsg sendmsg(MSG_INTERRUPT)
	s_mov_b32 m0, ttmp2
.LBB320_2062:                           ; =>This Inner Loop Header: Depth=1
	s_sethalt 5
	s_branch .LBB320_2062
.LBB320_2063:
	s_cbranch_execnz .LBB320_2069
; %bb.2064:
	s_or_b32 s13, s13, exec_lo
	s_cbranch_execz .LBB320_1876
	s_branch .LBB320_1877
.LBB320_2065:
	s_or_saveexec_b32 s6, s6
                                        ; implicit-def: $sgpr7
	s_delay_alu instid0(SALU_CYCLE_1)
	s_xor_b32 exec_lo, exec_lo, s6
	s_cbranch_execz .LBB320_1841
.LBB320_2066:
	v_add_f32_e64 v3, 0x42800000, |v2|
	s_and_not1_b32 s3, s3, exec_lo
	s_mov_b32 s7, 0
	s_delay_alu instid0(VALU_DEP_1) | instskip(NEXT) | instid1(VALU_DEP_1)
	v_and_b32_e32 v3, 0xff, v3
	v_cmp_ne_u32_e32 vcc_lo, 0, v3
	s_and_b32 s8, vcc_lo, exec_lo
	s_delay_alu instid0(SALU_CYCLE_1)
	s_or_b32 s3, s3, s8
	s_or_b32 exec_lo, exec_lo, s6
	v_mov_b32_e32 v6, s7
	s_and_saveexec_b32 s6, s3
	s_cbranch_execnz .LBB320_1842
	s_branch .LBB320_1843
.LBB320_2067:
	s_or_saveexec_b32 s4, s4
                                        ; implicit-def: $sgpr5
	s_delay_alu instid0(SALU_CYCLE_1)
	s_xor_b32 exec_lo, exec_lo, s4
	s_cbranch_execz .LBB320_1948
.LBB320_2068:
	v_add_f32_e64 v3, 0x46000000, |v2|
	s_and_not1_b32 s3, s3, exec_lo
	s_mov_b32 s5, 0
	s_delay_alu instid0(VALU_DEP_1) | instskip(NEXT) | instid1(VALU_DEP_1)
	v_and_b32_e32 v3, 0xff, v3
	v_cmp_ne_u32_e32 vcc_lo, 0, v3
	s_and_b32 s6, vcc_lo, exec_lo
	s_delay_alu instid0(SALU_CYCLE_1)
	s_or_b32 s3, s3, s6
	s_or_b32 exec_lo, exec_lo, s4
	v_mov_b32_e32 v6, s5
	s_and_saveexec_b32 s4, s3
	s_cbranch_execnz .LBB320_1949
	s_branch .LBB320_1950
.LBB320_2069:
	s_trap 2
	s_sendmsg_rtn_b32 s0, sendmsg(MSG_RTN_GET_DOORBELL)
	s_mov_b32 ttmp2, m0
	s_waitcnt lgkmcnt(0)
	s_and_b32 s0, s0, 0x3ff
	s_delay_alu instid0(SALU_CYCLE_1) | instskip(NEXT) | instid1(SALU_CYCLE_1)
	s_bitset1_b32 s0, 10
	s_mov_b32 m0, s0
	s_sendmsg sendmsg(MSG_INTERRUPT)
	s_mov_b32 m0, ttmp2
.LBB320_2070:                           ; =>This Inner Loop Header: Depth=1
	s_sethalt 5
	s_branch .LBB320_2070
.LBB320_2071:
	s_cbranch_execnz .LBB320_2075
; %bb.2072:
	s_mov_b32 s1, 0
	s_or_b32 s13, s13, exec_lo
	s_branch .LBB320_1994
.LBB320_2073:
	s_or_saveexec_b32 s3, s3
                                        ; implicit-def: $sgpr4
	s_delay_alu instid0(SALU_CYCLE_1)
	s_xor_b32 exec_lo, exec_lo, s3
	s_cbranch_execz .LBB320_1960
.LBB320_2074:
	v_add_f32_e64 v3, 0x42800000, |v2|
	s_and_not1_b32 s2, s2, exec_lo
	s_mov_b32 s4, 0
	s_delay_alu instid0(VALU_DEP_1) | instskip(NEXT) | instid1(VALU_DEP_1)
	v_and_b32_e32 v3, 0xff, v3
	v_cmp_ne_u32_e32 vcc_lo, 0, v3
	s_and_b32 s5, vcc_lo, exec_lo
	s_delay_alu instid0(SALU_CYCLE_1)
	s_or_b32 s2, s2, s5
	s_or_b32 exec_lo, exec_lo, s3
	v_mov_b32_e32 v6, s4
	s_and_saveexec_b32 s3, s2
	s_cbranch_execnz .LBB320_1961
	s_branch .LBB320_1962
.LBB320_2075:
	s_trap 2
	s_sendmsg_rtn_b32 s0, sendmsg(MSG_RTN_GET_DOORBELL)
	s_mov_b32 ttmp2, m0
	s_waitcnt lgkmcnt(0)
	s_and_b32 s0, s0, 0x3ff
	s_delay_alu instid0(SALU_CYCLE_1) | instskip(NEXT) | instid1(SALU_CYCLE_1)
	s_bitset1_b32 s0, 10
	s_mov_b32 m0, s0
	s_sendmsg sendmsg(MSG_INTERRUPT)
	s_mov_b32 m0, ttmp2
.LBB320_2076:                           ; =>This Inner Loop Header: Depth=1
	s_sethalt 5
	s_branch .LBB320_2076
	.section	.rodata,"a",@progbits
	.p2align	6, 0x0
	.amdhsa_kernel _ZN2at6native32elementwise_kernel_manual_unrollILi128ELi4EZNS0_15gpu_kernel_implIZZZNS0_17clamp_kernel_cudaERNS_18TensorIteratorBaseERKN3c106ScalarES8_ENKUlvE_clEvENKUlvE4_clEvEUldE_EEvS4_RKT_EUlibE_EEviT1_
		.amdhsa_group_segment_fixed_size 0
		.amdhsa_private_segment_fixed_size 0
		.amdhsa_kernarg_size 56
		.amdhsa_user_sgpr_count 15
		.amdhsa_user_sgpr_dispatch_ptr 0
		.amdhsa_user_sgpr_queue_ptr 0
		.amdhsa_user_sgpr_kernarg_segment_ptr 1
		.amdhsa_user_sgpr_dispatch_id 0
		.amdhsa_user_sgpr_private_segment_size 0
		.amdhsa_wavefront_size32 1
		.amdhsa_uses_dynamic_stack 0
		.amdhsa_enable_private_segment 0
		.amdhsa_system_sgpr_workgroup_id_x 1
		.amdhsa_system_sgpr_workgroup_id_y 0
		.amdhsa_system_sgpr_workgroup_id_z 0
		.amdhsa_system_sgpr_workgroup_info 0
		.amdhsa_system_vgpr_workitem_id 0
		.amdhsa_next_free_vgpr 20
		.amdhsa_next_free_sgpr 30
		.amdhsa_reserve_vcc 1
		.amdhsa_float_round_mode_32 0
		.amdhsa_float_round_mode_16_64 0
		.amdhsa_float_denorm_mode_32 3
		.amdhsa_float_denorm_mode_16_64 3
		.amdhsa_dx10_clamp 1
		.amdhsa_ieee_mode 1
		.amdhsa_fp16_overflow 0
		.amdhsa_workgroup_processor_mode 1
		.amdhsa_memory_ordered 1
		.amdhsa_forward_progress 0
		.amdhsa_shared_vgpr_count 0
		.amdhsa_exception_fp_ieee_invalid_op 0
		.amdhsa_exception_fp_denorm_src 0
		.amdhsa_exception_fp_ieee_div_zero 0
		.amdhsa_exception_fp_ieee_overflow 0
		.amdhsa_exception_fp_ieee_underflow 0
		.amdhsa_exception_fp_ieee_inexact 0
		.amdhsa_exception_int_div_zero 0
	.end_amdhsa_kernel
	.section	.text._ZN2at6native32elementwise_kernel_manual_unrollILi128ELi4EZNS0_15gpu_kernel_implIZZZNS0_17clamp_kernel_cudaERNS_18TensorIteratorBaseERKN3c106ScalarES8_ENKUlvE_clEvENKUlvE4_clEvEUldE_EEvS4_RKT_EUlibE_EEviT1_,"axG",@progbits,_ZN2at6native32elementwise_kernel_manual_unrollILi128ELi4EZNS0_15gpu_kernel_implIZZZNS0_17clamp_kernel_cudaERNS_18TensorIteratorBaseERKN3c106ScalarES8_ENKUlvE_clEvENKUlvE4_clEvEUldE_EEvS4_RKT_EUlibE_EEviT1_,comdat
.Lfunc_end320:
	.size	_ZN2at6native32elementwise_kernel_manual_unrollILi128ELi4EZNS0_15gpu_kernel_implIZZZNS0_17clamp_kernel_cudaERNS_18TensorIteratorBaseERKN3c106ScalarES8_ENKUlvE_clEvENKUlvE4_clEvEUldE_EEvS4_RKT_EUlibE_EEviT1_, .Lfunc_end320-_ZN2at6native32elementwise_kernel_manual_unrollILi128ELi4EZNS0_15gpu_kernel_implIZZZNS0_17clamp_kernel_cudaERNS_18TensorIteratorBaseERKN3c106ScalarES8_ENKUlvE_clEvENKUlvE4_clEvEUldE_EEvS4_RKT_EUlibE_EEviT1_
                                        ; -- End function
	.section	.AMDGPU.csdata,"",@progbits
; Kernel info:
; codeLenInByte = 35756
; NumSgprs: 32
; NumVgprs: 20
; ScratchSize: 0
; MemoryBound: 1
; FloatMode: 240
; IeeeMode: 1
; LDSByteSize: 0 bytes/workgroup (compile time only)
; SGPRBlocks: 3
; VGPRBlocks: 2
; NumSGPRsForWavesPerEU: 32
; NumVGPRsForWavesPerEU: 20
; Occupancy: 16
; WaveLimiterHint : 0
; COMPUTE_PGM_RSRC2:SCRATCH_EN: 0
; COMPUTE_PGM_RSRC2:USER_SGPR: 15
; COMPUTE_PGM_RSRC2:TRAP_HANDLER: 0
; COMPUTE_PGM_RSRC2:TGID_X_EN: 1
; COMPUTE_PGM_RSRC2:TGID_Y_EN: 0
; COMPUTE_PGM_RSRC2:TGID_Z_EN: 0
; COMPUTE_PGM_RSRC2:TIDIG_COMP_CNT: 0
	.section	.text._ZN2at6native32elementwise_kernel_manual_unrollILi128ELi4EZNS0_15gpu_kernel_implIZZZNS0_17clamp_kernel_cudaERNS_18TensorIteratorBaseERKN3c106ScalarES8_ENKUlvE_clEvENKUlvE4_clEvEUldE_EEvS4_RKT_EUlibE0_EEviT1_,"axG",@progbits,_ZN2at6native32elementwise_kernel_manual_unrollILi128ELi4EZNS0_15gpu_kernel_implIZZZNS0_17clamp_kernel_cudaERNS_18TensorIteratorBaseERKN3c106ScalarES8_ENKUlvE_clEvENKUlvE4_clEvEUldE_EEvS4_RKT_EUlibE0_EEviT1_,comdat
	.globl	_ZN2at6native32elementwise_kernel_manual_unrollILi128ELi4EZNS0_15gpu_kernel_implIZZZNS0_17clamp_kernel_cudaERNS_18TensorIteratorBaseERKN3c106ScalarES8_ENKUlvE_clEvENKUlvE4_clEvEUldE_EEvS4_RKT_EUlibE0_EEviT1_ ; -- Begin function _ZN2at6native32elementwise_kernel_manual_unrollILi128ELi4EZNS0_15gpu_kernel_implIZZZNS0_17clamp_kernel_cudaERNS_18TensorIteratorBaseERKN3c106ScalarES8_ENKUlvE_clEvENKUlvE4_clEvEUldE_EEvS4_RKT_EUlibE0_EEviT1_
	.p2align	8
	.type	_ZN2at6native32elementwise_kernel_manual_unrollILi128ELi4EZNS0_15gpu_kernel_implIZZZNS0_17clamp_kernel_cudaERNS_18TensorIteratorBaseERKN3c106ScalarES8_ENKUlvE_clEvENKUlvE4_clEvEUldE_EEvS4_RKT_EUlibE0_EEviT1_,@function
_ZN2at6native32elementwise_kernel_manual_unrollILi128ELi4EZNS0_15gpu_kernel_implIZZZNS0_17clamp_kernel_cudaERNS_18TensorIteratorBaseERKN3c106ScalarES8_ENKUlvE_clEvENKUlvE4_clEvEUldE_EEvS4_RKT_EUlibE0_EEviT1_: ; @_ZN2at6native32elementwise_kernel_manual_unrollILi128ELi4EZNS0_15gpu_kernel_implIZZZNS0_17clamp_kernel_cudaERNS_18TensorIteratorBaseERKN3c106ScalarES8_ENKUlvE_clEvENKUlvE4_clEvEUldE_EEvS4_RKT_EUlibE0_EEviT1_
; %bb.0:
	s_clause 0x1
	s_load_b32 s28, s[0:1], 0x8
	s_load_b32 s36, s[0:1], 0x0
	v_lshl_or_b32 v9, s15, 9, v0
	s_or_b32 s20, s0, 8
	s_mov_b32 s3, -1
	s_mov_b32 s30, 0
	s_mov_b32 s21, s1
	v_or_b32_e32 v3, 0x180, v9
	s_mov_b32 s12, 0
	s_mov_b32 s2, exec_lo
	s_waitcnt lgkmcnt(0)
	s_add_i32 s29, s28, -1
	s_delay_alu instid0(SALU_CYCLE_1)
	s_cmp_gt_u32 s29, 1
	s_cselect_b32 s31, -1, 0
	v_cmpx_le_i32_e64 s36, v3
	s_xor_b32 s33, exec_lo, s2
	s_cbranch_execz .LBB321_1076
; %bb.1:
	s_clause 0x4
	s_load_b32 s34, s[20:21], 0x168
	s_load_b128 s[16:19], s[20:21], 0x4
	s_load_b64 s[22:23], s[20:21], 0x14
	s_load_b128 s[12:15], s[20:21], 0xc4
	s_load_b256 s[4:11], s[20:21], 0x148
	s_cmp_lg_u32 s28, 0
	s_mov_b32 s42, 0
	s_cselect_b32 s38, -1, 0
	s_add_u32 s24, s20, 0xc4
	s_addc_u32 s25, s21, 0
	s_min_u32 s37, s29, 15
	s_cmp_gt_u32 s28, 1
	s_mov_b32 s40, 0
	s_cselect_b32 s35, -1, 0
	s_mov_b32 s39, 0
	s_mov_b32 s41, exec_lo
	s_waitcnt lgkmcnt(0)
	v_lshrrev_b16 v8, 8, s34
	v_cmpx_gt_i32_e64 s36, v9
	s_cbranch_execz .LBB321_263
; %bb.2:
	s_and_not1_b32 vcc_lo, exec_lo, s31
	s_cbranch_vccnz .LBB321_7
; %bb.3:
	v_dual_mov_b32 v0, 0 :: v_dual_mov_b32 v1, 0
	s_and_not1_b32 vcc_lo, exec_lo, s38
	s_cbranch_vccnz .LBB321_12
; %bb.4:
	v_mov_b32_e32 v0, 0
	s_add_i32 s43, s37, 1
	s_cmp_eq_u32 s29, 2
	s_cbranch_scc1 .LBB321_8
; %bb.5:
	v_dual_mov_b32 v1, 0 :: v_dual_mov_b32 v0, 0
	v_mov_b32_e32 v2, v9
	s_and_b32 s40, s43, 28
	s_mov_b32 s44, 0
	s_mov_b64 s[2:3], s[24:25]
	s_mov_b64 s[26:27], s[20:21]
.LBB321_6:                              ; =>This Inner Loop Header: Depth=1
	s_clause 0x1
	s_load_b256 s[48:55], s[26:27], 0x4
	s_load_b128 s[64:67], s[26:27], 0x24
	s_load_b256 s[56:63], s[2:3], 0x0
	s_add_u32 s26, s26, 48
	s_addc_u32 s27, s27, 0
	s_add_i32 s44, s44, 4
	s_add_u32 s2, s2, 32
	s_addc_u32 s3, s3, 0
	s_cmp_lg_u32 s40, s44
	s_waitcnt lgkmcnt(0)
	v_mul_hi_u32 v3, s49, v2
	s_delay_alu instid0(VALU_DEP_1) | instskip(NEXT) | instid1(VALU_DEP_1)
	v_add_nc_u32_e32 v3, v2, v3
	v_lshrrev_b32_e32 v3, s50, v3
	s_delay_alu instid0(VALU_DEP_1) | instskip(SKIP_1) | instid1(VALU_DEP_2)
	v_mul_hi_u32 v4, s52, v3
	v_mul_lo_u32 v6, v3, s48
	v_add_nc_u32_e32 v4, v3, v4
	s_delay_alu instid0(VALU_DEP_2) | instskip(NEXT) | instid1(VALU_DEP_2)
	v_sub_nc_u32_e32 v2, v2, v6
	v_lshrrev_b32_e32 v4, s53, v4
	s_delay_alu instid0(VALU_DEP_2) | instskip(SKIP_1) | instid1(VALU_DEP_3)
	v_mul_lo_u32 v6, v2, s56
	v_mul_lo_u32 v10, v2, s57
	v_mul_hi_u32 v5, s55, v4
	s_delay_alu instid0(VALU_DEP_1) | instskip(NEXT) | instid1(VALU_DEP_1)
	v_add_nc_u32_e32 v5, v4, v5
	v_lshrrev_b32_e32 v5, s64, v5
	s_delay_alu instid0(VALU_DEP_1) | instskip(SKIP_1) | instid1(VALU_DEP_2)
	v_mul_hi_u32 v7, s66, v5
	v_mul_lo_u32 v11, v5, s54
	v_add_nc_u32_e32 v2, v5, v7
	v_mul_lo_u32 v7, v4, s51
	s_delay_alu instid0(VALU_DEP_3) | instskip(NEXT) | instid1(VALU_DEP_3)
	v_sub_nc_u32_e32 v4, v4, v11
	v_lshrrev_b32_e32 v2, s67, v2
	s_delay_alu instid0(VALU_DEP_2) | instskip(SKIP_2) | instid1(VALU_DEP_4)
	v_mul_lo_u32 v11, v4, s60
	v_mul_lo_u32 v4, v4, s61
	v_sub_nc_u32_e32 v3, v3, v7
	v_mul_lo_u32 v12, v2, s65
	s_delay_alu instid0(VALU_DEP_2) | instskip(SKIP_1) | instid1(VALU_DEP_3)
	v_mul_lo_u32 v7, v3, s58
	v_mul_lo_u32 v3, v3, s59
	v_sub_nc_u32_e32 v5, v5, v12
	s_delay_alu instid0(VALU_DEP_3) | instskip(NEXT) | instid1(VALU_DEP_2)
	v_add3_u32 v0, v6, v0, v7
	v_mul_lo_u32 v12, v5, s62
	v_mul_lo_u32 v5, v5, s63
	v_add3_u32 v1, v10, v1, v3
	s_delay_alu instid0(VALU_DEP_3) | instskip(NEXT) | instid1(VALU_DEP_2)
	v_add3_u32 v0, v11, v0, v12
	v_add3_u32 v1, v4, v1, v5
	s_cbranch_scc1 .LBB321_6
	s_branch .LBB321_9
.LBB321_7:
	s_mov_b32 s39, -1
                                        ; implicit-def: $vgpr0
                                        ; implicit-def: $vgpr1
	s_branch .LBB321_12
.LBB321_8:
	v_dual_mov_b32 v2, v9 :: v_dual_mov_b32 v1, 0
.LBB321_9:
	s_and_b32 s43, s43, 3
	s_delay_alu instid0(SALU_CYCLE_1)
	s_cmp_eq_u32 s43, 0
	s_cbranch_scc1 .LBB321_12
; %bb.10:
	s_lshl_b32 s2, s40, 3
	s_mul_i32 s26, s40, 12
	s_add_u32 s2, s2, s20
	s_addc_u32 s3, s21, 0
	s_add_u32 s2, s2, 0xc4
	s_addc_u32 s3, s3, 0
	;; [unrolled: 2-line block ×3, first 2 shown]
	.p2align	6
.LBB321_11:                             ; =>This Inner Loop Header: Depth=1
	s_clause 0x1
	s_load_b64 s[44:45], s[26:27], 0x4
	s_load_b32 s40, s[26:27], 0xc
	s_load_b64 s[46:47], s[2:3], 0x0
	s_add_u32 s26, s26, 12
	s_addc_u32 s27, s27, 0
	s_add_u32 s2, s2, 8
	s_addc_u32 s3, s3, 0
	s_add_i32 s43, s43, -1
	s_delay_alu instid0(SALU_CYCLE_1) | instskip(SKIP_2) | instid1(VALU_DEP_1)
	s_cmp_lg_u32 s43, 0
	s_waitcnt lgkmcnt(0)
	v_mul_hi_u32 v3, s45, v2
	v_add_nc_u32_e32 v3, v2, v3
	s_delay_alu instid0(VALU_DEP_1) | instskip(NEXT) | instid1(VALU_DEP_1)
	v_lshrrev_b32_e32 v6, s40, v3
	v_mul_lo_u32 v3, v6, s44
	s_delay_alu instid0(VALU_DEP_1) | instskip(NEXT) | instid1(VALU_DEP_1)
	v_sub_nc_u32_e32 v2, v2, v3
	v_mad_u64_u32 v[3:4], null, v2, s46, v[0:1]
	v_mad_u64_u32 v[4:5], null, v2, s47, v[1:2]
	v_mov_b32_e32 v2, v6
	s_delay_alu instid0(VALU_DEP_2)
	v_dual_mov_b32 v0, v3 :: v_dual_mov_b32 v1, v4
	s_cbranch_scc1 .LBB321_11
.LBB321_12:
	s_and_not1_b32 vcc_lo, exec_lo, s39
	s_cbranch_vccnz .LBB321_15
; %bb.13:
	v_mul_hi_u32 v0, s17, v9
	s_and_not1_b32 vcc_lo, exec_lo, s35
	s_delay_alu instid0(VALU_DEP_1) | instskip(NEXT) | instid1(VALU_DEP_1)
	v_add_nc_u32_e32 v0, v9, v0
	v_lshrrev_b32_e32 v2, s18, v0
	s_delay_alu instid0(VALU_DEP_1) | instskip(NEXT) | instid1(VALU_DEP_1)
	v_mul_lo_u32 v0, v2, s16
	v_sub_nc_u32_e32 v1, v9, v0
	s_delay_alu instid0(VALU_DEP_1)
	v_mul_lo_u32 v0, v1, s12
	v_mul_lo_u32 v1, v1, s13
	s_cbranch_vccnz .LBB321_15
; %bb.14:
	v_mul_hi_u32 v3, s22, v2
	s_delay_alu instid0(VALU_DEP_1) | instskip(NEXT) | instid1(VALU_DEP_1)
	v_add_nc_u32_e32 v3, v2, v3
	v_lshrrev_b32_e32 v3, s23, v3
	s_delay_alu instid0(VALU_DEP_1) | instskip(NEXT) | instid1(VALU_DEP_1)
	v_mul_lo_u32 v3, v3, s19
	v_sub_nc_u32_e32 v5, v2, v3
	s_delay_alu instid0(VALU_DEP_1) | instskip(NEXT) | instid1(VALU_DEP_1)
	v_mad_u64_u32 v[2:3], null, v5, s14, v[0:1]
	v_mad_u64_u32 v[3:4], null, v5, s15, v[1:2]
	s_delay_alu instid0(VALU_DEP_1)
	v_dual_mov_b32 v0, v2 :: v_dual_mov_b32 v1, v3
.LBB321_15:
	v_cmp_gt_i16_e32 vcc_lo, 11, v8
	s_delay_alu instid0(VALU_DEP_2) | instskip(NEXT) | instid1(VALU_DEP_1)
	v_add_co_u32 v1, s2, s6, v1
	v_add_co_ci_u32_e64 v2, null, s7, 0, s2
	s_mov_b32 s26, 0
	s_cbranch_vccnz .LBB321_22
; %bb.16:
	v_cmp_lt_i16_e32 vcc_lo, 25, v8
	s_cbranch_vccz .LBB321_141
; %bb.17:
	v_cmp_lt_i16_e32 vcc_lo, 28, v8
	s_cbranch_vccz .LBB321_142
	;; [unrolled: 3-line block ×4, first 2 shown]
; %bb.20:
	v_cmp_eq_u16_e32 vcc_lo, 46, v8
	s_mov_b32 s3, 0
	s_cbranch_vccz .LBB321_145
; %bb.21:
	global_load_b32 v3, v[1:2], off
	s_mov_b32 s2, -1
	s_waitcnt vmcnt(0)
	v_lshlrev_b32_e32 v3, 16, v3
	s_delay_alu instid0(VALU_DEP_1)
	v_cvt_f64_f32_e32 v[6:7], v3
	s_branch .LBB321_147
.LBB321_22:
	s_mov_b32 s2, 0
                                        ; implicit-def: $vgpr6_vgpr7
	s_cbranch_execnz .LBB321_213
.LBB321_23:
	s_and_not1_b32 vcc_lo, exec_lo, s2
	s_cbranch_vccnz .LBB321_260
.LBB321_24:
	v_max_f64 v[1:2], s[8:9], s[8:9]
	s_waitcnt vmcnt(0)
	s_delay_alu instid0(VALU_DEP_2) | instskip(SKIP_3) | instid1(VALU_DEP_3)
	v_max_f64 v[3:4], v[6:7], v[6:7]
	v_max_f64 v[10:11], s[10:11], s[10:11]
	v_cmp_u_f64_e32 vcc_lo, v[6:7], v[6:7]
	s_mov_b32 s3, 0
	v_max_f64 v[1:2], v[3:4], v[1:2]
	v_add_co_u32 v4, s27, s4, v0
	s_delay_alu instid0(VALU_DEP_1) | instskip(SKIP_1) | instid1(VALU_DEP_3)
	v_add_co_ci_u32_e64 v5, null, s5, 0, s27
	s_mov_b32 s27, -1
	v_min_f64 v[2:3], v[1:2], v[10:11]
	v_and_b32_e64 v10, 0xff, s34
	s_delay_alu instid0(VALU_DEP_1) | instskip(NEXT) | instid1(VALU_DEP_3)
	v_cmp_gt_i16_e64 s2, 11, v10
	v_dual_cndmask_b32 v1, v3, v7 :: v_dual_cndmask_b32 v0, v2, v6
	s_delay_alu instid0(VALU_DEP_2)
	s_and_b32 vcc_lo, exec_lo, s2
	s_mov_b32 s2, 0
	s_cbranch_vccnz .LBB321_101
; %bb.25:
	v_cmp_lt_i16_e32 vcc_lo, 25, v10
	s_cbranch_vccz .LBB321_58
; %bb.26:
	v_cmp_lt_i16_e32 vcc_lo, 28, v10
	s_cbranch_vccz .LBB321_41
	;; [unrolled: 3-line block ×4, first 2 shown]
; %bb.29:
	v_cmp_eq_u16_e32 vcc_lo, 46, v10
	s_mov_b32 s27, 0
	s_mov_b32 s3, -1
	s_cbranch_vccz .LBB321_31
; %bb.30:
	v_cvt_f32_f64_e32 v2, v[0:1]
	s_mov_b32 s2, -1
	s_mov_b32 s3, 0
	s_delay_alu instid0(VALU_DEP_1) | instskip(SKIP_1) | instid1(VALU_DEP_2)
	v_bfe_u32 v3, v2, 16, 1
	v_cmp_o_f32_e32 vcc_lo, v2, v2
	v_add3_u32 v3, v2, v3, 0x7fff
	s_delay_alu instid0(VALU_DEP_1) | instskip(NEXT) | instid1(VALU_DEP_1)
	v_lshrrev_b32_e32 v3, 16, v3
	v_cndmask_b32_e32 v2, 0x7fc0, v3, vcc_lo
	global_store_b32 v[4:5], v2, off
.LBB321_31:
	s_and_b32 vcc_lo, exec_lo, s27
	s_cbranch_vccz .LBB321_36
; %bb.32:
	v_cmp_eq_u16_e32 vcc_lo, 44, v10
	s_mov_b32 s3, -1
	s_cbranch_vccz .LBB321_36
; %bb.33:
	v_cvt_f32_f64_e32 v2, v[0:1]
	v_mov_b32_e32 v3, 0xff
	s_mov_b32 s3, exec_lo
	s_delay_alu instid0(VALU_DEP_2) | instskip(NEXT) | instid1(VALU_DEP_1)
	v_bfe_u32 v6, v2, 23, 8
	v_cmpx_ne_u32_e32 0xff, v6
; %bb.34:
	v_and_b32_e32 v3, 0x400000, v2
	v_and_or_b32 v6, 0x3fffff, v2, v6
	v_lshrrev_b32_e32 v2, 23, v2
	s_delay_alu instid0(VALU_DEP_3) | instskip(NEXT) | instid1(VALU_DEP_3)
	v_cmp_ne_u32_e32 vcc_lo, 0, v3
	v_cmp_ne_u32_e64 s2, 0, v6
	s_delay_alu instid0(VALU_DEP_1) | instskip(NEXT) | instid1(SALU_CYCLE_1)
	s_and_b32 s2, vcc_lo, s2
	v_cndmask_b32_e64 v3, 0, 1, s2
	s_delay_alu instid0(VALU_DEP_1)
	v_add_nc_u32_e32 v3, v2, v3
; %bb.35:
	s_or_b32 exec_lo, exec_lo, s3
	s_mov_b32 s2, -1
	s_mov_b32 s3, 0
	global_store_b8 v[4:5], v3, off
.LBB321_36:
	s_mov_b32 s27, 0
.LBB321_37:
	s_delay_alu instid0(SALU_CYCLE_1)
	s_and_b32 vcc_lo, exec_lo, s27
	s_cbranch_vccz .LBB321_40
; %bb.38:
	v_cmp_eq_u16_e32 vcc_lo, 29, v10
	s_mov_b32 s3, -1
	s_cbranch_vccz .LBB321_40
; %bb.39:
	v_trunc_f64_e32 v[2:3], v[0:1]
	s_mov_b32 s2, -1
	s_mov_b32 s3, 0
	s_delay_alu instid0(VALU_DEP_1) | instskip(NEXT) | instid1(VALU_DEP_1)
	v_ldexp_f64 v[6:7], v[2:3], 0xffffffe0
	v_floor_f64_e32 v[6:7], v[6:7]
	s_delay_alu instid0(VALU_DEP_1) | instskip(SKIP_1) | instid1(VALU_DEP_2)
	v_fma_f64 v[2:3], 0xc1f00000, v[6:7], v[2:3]
	v_cvt_u32_f64_e32 v7, v[6:7]
	v_cvt_u32_f64_e32 v6, v[2:3]
	global_store_b64 v[4:5], v[6:7], off
.LBB321_40:
	s_mov_b32 s27, 0
.LBB321_41:
	s_delay_alu instid0(SALU_CYCLE_1)
	s_and_b32 vcc_lo, exec_lo, s27
	s_cbranch_vccz .LBB321_57
; %bb.42:
	v_cmp_gt_i16_e32 vcc_lo, 27, v10
	s_mov_b32 s2, -1
	s_cbranch_vccnz .LBB321_48
; %bb.43:
	v_cmp_lt_i16_e32 vcc_lo, 27, v10
	s_cbranch_vccz .LBB321_45
; %bb.44:
	v_cvt_u32_f64_e32 v2, v[0:1]
	s_mov_b32 s2, 0
	global_store_b32 v[4:5], v2, off
.LBB321_45:
	s_and_not1_b32 vcc_lo, exec_lo, s2
	s_cbranch_vccnz .LBB321_47
; %bb.46:
	v_cvt_u32_f64_e32 v2, v[0:1]
	global_store_b16 v[4:5], v2, off
.LBB321_47:
	s_mov_b32 s2, 0
.LBB321_48:
	s_delay_alu instid0(SALU_CYCLE_1)
	s_and_not1_b32 vcc_lo, exec_lo, s2
	s_cbranch_vccnz .LBB321_56
; %bb.49:
	v_cvt_f32_f64_e32 v2, v[0:1]
	v_mov_b32_e32 v6, 0x80
	s_mov_b32 s2, exec_lo
	s_delay_alu instid0(VALU_DEP_2) | instskip(NEXT) | instid1(VALU_DEP_1)
	v_and_b32_e32 v3, 0x7fffffff, v2
	v_cmpx_gt_u32_e32 0x43800000, v3
	s_cbranch_execz .LBB321_55
; %bb.50:
	v_cmp_lt_u32_e32 vcc_lo, 0x3bffffff, v3
	s_mov_b32 s27, 0
                                        ; implicit-def: $vgpr3
	s_and_saveexec_b32 s39, vcc_lo
	s_delay_alu instid0(SALU_CYCLE_1)
	s_xor_b32 s39, exec_lo, s39
	s_cbranch_execz .LBB321_150
; %bb.51:
	v_bfe_u32 v3, v2, 20, 1
	s_mov_b32 s27, exec_lo
	s_delay_alu instid0(VALU_DEP_1) | instskip(NEXT) | instid1(VALU_DEP_1)
	v_add3_u32 v3, v2, v3, 0x487ffff
	v_lshrrev_b32_e32 v3, 20, v3
	s_or_saveexec_b32 s39, s39
                                        ; implicit-def: $sgpr40
	s_delay_alu instid0(SALU_CYCLE_1)
	s_xor_b32 exec_lo, exec_lo, s39
	s_cbranch_execnz .LBB321_151
.LBB321_52:
	s_or_b32 exec_lo, exec_lo, s39
	v_mov_b32_e32 v6, s40
	s_and_saveexec_b32 s39, s27
.LBB321_53:
	v_lshrrev_b32_e32 v2, 24, v2
	s_delay_alu instid0(VALU_DEP_1)
	v_and_or_b32 v6, 0x80, v2, v3
.LBB321_54:
	s_or_b32 exec_lo, exec_lo, s39
.LBB321_55:
	s_delay_alu instid0(SALU_CYCLE_1)
	s_or_b32 exec_lo, exec_lo, s2
	global_store_b8 v[4:5], v6, off
.LBB321_56:
	s_mov_b32 s2, -1
.LBB321_57:
	s_mov_b32 s27, 0
.LBB321_58:
	s_delay_alu instid0(SALU_CYCLE_1)
	s_and_b32 vcc_lo, exec_lo, s27
	s_cbranch_vccz .LBB321_99
; %bb.59:
	v_cmp_lt_i16_e32 vcc_lo, 22, v10
	s_mov_b32 s27, -1
	s_cbranch_vccz .LBB321_91
; %bb.60:
	v_cmp_gt_i16_e32 vcc_lo, 24, v10
	s_mov_b32 s2, -1
	s_cbranch_vccnz .LBB321_80
; %bb.61:
	v_cmp_lt_i16_e32 vcc_lo, 24, v10
	s_cbranch_vccz .LBB321_69
; %bb.62:
	v_cvt_f32_f64_e32 v2, v[0:1]
	v_mov_b32_e32 v6, 0x80
	s_mov_b32 s2, exec_lo
	s_delay_alu instid0(VALU_DEP_2) | instskip(NEXT) | instid1(VALU_DEP_1)
	v_and_b32_e32 v3, 0x7fffffff, v2
	v_cmpx_gt_u32_e32 0x47800000, v3
	s_cbranch_execz .LBB321_68
; %bb.63:
	v_cmp_lt_u32_e32 vcc_lo, 0x37ffffff, v3
	s_mov_b32 s27, 0
                                        ; implicit-def: $vgpr3
	s_and_saveexec_b32 s39, vcc_lo
	s_delay_alu instid0(SALU_CYCLE_1)
	s_xor_b32 s39, exec_lo, s39
	s_cbranch_execz .LBB321_341
; %bb.64:
	v_bfe_u32 v3, v2, 21, 1
	s_mov_b32 s27, exec_lo
	s_delay_alu instid0(VALU_DEP_1) | instskip(NEXT) | instid1(VALU_DEP_1)
	v_add3_u32 v3, v2, v3, 0x88fffff
	v_lshrrev_b32_e32 v3, 21, v3
	s_or_saveexec_b32 s39, s39
                                        ; implicit-def: $sgpr40
	s_delay_alu instid0(SALU_CYCLE_1)
	s_xor_b32 exec_lo, exec_lo, s39
	s_cbranch_execnz .LBB321_342
.LBB321_65:
	s_or_b32 exec_lo, exec_lo, s39
	v_mov_b32_e32 v6, s40
	s_and_saveexec_b32 s39, s27
.LBB321_66:
	v_lshrrev_b32_e32 v2, 24, v2
	s_delay_alu instid0(VALU_DEP_1)
	v_and_or_b32 v6, 0x80, v2, v3
.LBB321_67:
	s_or_b32 exec_lo, exec_lo, s39
.LBB321_68:
	s_delay_alu instid0(SALU_CYCLE_1)
	s_or_b32 exec_lo, exec_lo, s2
	s_mov_b32 s2, 0
	global_store_b8 v[4:5], v6, off
.LBB321_69:
	s_and_b32 vcc_lo, exec_lo, s2
	s_cbranch_vccz .LBB321_79
; %bb.70:
	v_cvt_f32_f64_e32 v2, v[0:1]
	s_mov_b32 s2, exec_lo
                                        ; implicit-def: $vgpr3
	s_delay_alu instid0(VALU_DEP_1) | instskip(NEXT) | instid1(VALU_DEP_1)
	v_and_b32_e32 v6, 0x7fffffff, v2
	v_cmpx_gt_u32_e32 0x43f00000, v6
	s_xor_b32 s2, exec_lo, s2
	s_cbranch_execz .LBB321_76
; %bb.71:
	s_mov_b32 s27, exec_lo
                                        ; implicit-def: $vgpr3
	v_cmpx_lt_u32_e32 0x3c7fffff, v6
	s_xor_b32 s27, exec_lo, s27
; %bb.72:
	v_bfe_u32 v3, v2, 20, 1
	s_delay_alu instid0(VALU_DEP_1) | instskip(NEXT) | instid1(VALU_DEP_1)
	v_add3_u32 v3, v2, v3, 0x407ffff
	v_and_b32_e32 v6, 0xff00000, v3
	v_lshrrev_b32_e32 v3, 20, v3
	s_delay_alu instid0(VALU_DEP_2) | instskip(NEXT) | instid1(VALU_DEP_2)
	v_cmp_ne_u32_e32 vcc_lo, 0x7f00000, v6
	v_cndmask_b32_e32 v3, 0x7e, v3, vcc_lo
; %bb.73:
	s_and_not1_saveexec_b32 s27, s27
; %bb.74:
	v_add_f32_e64 v3, 0x46800000, |v2|
; %bb.75:
	s_or_b32 exec_lo, exec_lo, s27
                                        ; implicit-def: $vgpr6
.LBB321_76:
	s_and_not1_saveexec_b32 s2, s2
; %bb.77:
	v_mov_b32_e32 v3, 0x7f
	v_cmp_lt_u32_e32 vcc_lo, 0x7f800000, v6
	s_delay_alu instid0(VALU_DEP_2)
	v_cndmask_b32_e32 v3, 0x7e, v3, vcc_lo
; %bb.78:
	s_or_b32 exec_lo, exec_lo, s2
	v_lshrrev_b32_e32 v2, 24, v2
	s_delay_alu instid0(VALU_DEP_1)
	v_and_or_b32 v2, 0x80, v2, v3
	global_store_b8 v[4:5], v2, off
.LBB321_79:
	s_mov_b32 s2, 0
.LBB321_80:
	s_delay_alu instid0(SALU_CYCLE_1)
	s_and_not1_b32 vcc_lo, exec_lo, s2
	s_cbranch_vccnz .LBB321_90
; %bb.81:
	v_cvt_f32_f64_e32 v2, v[0:1]
	s_mov_b32 s2, exec_lo
                                        ; implicit-def: $vgpr3
	s_delay_alu instid0(VALU_DEP_1) | instskip(NEXT) | instid1(VALU_DEP_1)
	v_and_b32_e32 v6, 0x7fffffff, v2
	v_cmpx_gt_u32_e32 0x47800000, v6
	s_xor_b32 s2, exec_lo, s2
	s_cbranch_execz .LBB321_87
; %bb.82:
	s_mov_b32 s27, exec_lo
                                        ; implicit-def: $vgpr3
	v_cmpx_lt_u32_e32 0x387fffff, v6
	s_xor_b32 s27, exec_lo, s27
; %bb.83:
	v_bfe_u32 v3, v2, 21, 1
	s_delay_alu instid0(VALU_DEP_1) | instskip(NEXT) | instid1(VALU_DEP_1)
	v_add3_u32 v3, v2, v3, 0x80fffff
	v_lshrrev_b32_e32 v3, 21, v3
; %bb.84:
	s_and_not1_saveexec_b32 s27, s27
; %bb.85:
	v_add_f32_e64 v3, 0x43000000, |v2|
; %bb.86:
	s_or_b32 exec_lo, exec_lo, s27
                                        ; implicit-def: $vgpr6
.LBB321_87:
	s_and_not1_saveexec_b32 s2, s2
; %bb.88:
	v_mov_b32_e32 v3, 0x7f
	v_cmp_lt_u32_e32 vcc_lo, 0x7f800000, v6
	s_delay_alu instid0(VALU_DEP_2)
	v_cndmask_b32_e32 v3, 0x7c, v3, vcc_lo
; %bb.89:
	s_or_b32 exec_lo, exec_lo, s2
	v_lshrrev_b32_e32 v2, 24, v2
	s_delay_alu instid0(VALU_DEP_1)
	v_and_or_b32 v2, 0x80, v2, v3
	global_store_b8 v[4:5], v2, off
.LBB321_90:
	s_mov_b32 s27, 0
	s_mov_b32 s2, -1
.LBB321_91:
	s_and_not1_b32 vcc_lo, exec_lo, s27
	s_cbranch_vccnz .LBB321_99
; %bb.92:
	v_cmp_lt_i16_e32 vcc_lo, 14, v10
	s_mov_b32 s27, -1
	s_cbranch_vccz .LBB321_96
; %bb.93:
	v_cmp_eq_u16_e32 vcc_lo, 15, v10
	s_mov_b32 s3, -1
	s_cbranch_vccz .LBB321_95
; %bb.94:
	v_cvt_f32_f64_e32 v2, v[0:1]
	s_mov_b32 s2, -1
	s_mov_b32 s3, 0
	s_delay_alu instid0(VALU_DEP_1) | instskip(SKIP_1) | instid1(VALU_DEP_2)
	v_bfe_u32 v3, v2, 16, 1
	v_cmp_o_f32_e32 vcc_lo, v2, v2
	v_add3_u32 v3, v2, v3, 0x7fff
	s_delay_alu instid0(VALU_DEP_1) | instskip(NEXT) | instid1(VALU_DEP_1)
	v_lshrrev_b32_e32 v3, 16, v3
	v_cndmask_b32_e32 v2, 0x7fc0, v3, vcc_lo
	global_store_b16 v[4:5], v2, off
.LBB321_95:
	s_mov_b32 s27, 0
.LBB321_96:
	s_delay_alu instid0(SALU_CYCLE_1)
	s_and_b32 vcc_lo, exec_lo, s27
	s_cbranch_vccz .LBB321_99
; %bb.97:
	v_cmp_eq_u16_e32 vcc_lo, 11, v10
	s_mov_b32 s3, -1
	s_cbranch_vccz .LBB321_99
; %bb.98:
	v_cmp_neq_f64_e32 vcc_lo, 0, v[0:1]
	s_mov_b32 s2, -1
	s_mov_b32 s3, 0
	v_cndmask_b32_e64 v2, 0, 1, vcc_lo
	global_store_b8 v[4:5], v2, off
.LBB321_99:
.LBB321_100:
	s_and_not1_b32 vcc_lo, exec_lo, s2
	s_cbranch_vccz .LBB321_140
	s_branch .LBB321_261
.LBB321_101:
	s_and_b32 vcc_lo, exec_lo, s27
	s_cbranch_vccz .LBB321_100
; %bb.102:
	v_cmp_gt_i16_e32 vcc_lo, 5, v10
	s_mov_b32 s2, -1
	s_cbranch_vccnz .LBB321_123
; %bb.103:
	v_cmp_gt_i16_e32 vcc_lo, 8, v10
	s_cbranch_vccnz .LBB321_113
; %bb.104:
	v_cmp_gt_i16_e32 vcc_lo, 9, v10
	s_cbranch_vccnz .LBB321_110
; %bb.105:
	v_cmp_lt_i16_e32 vcc_lo, 9, v10
	s_cbranch_vccz .LBB321_107
; %bb.106:
	v_mov_b32_e32 v2, 0
	s_mov_b32 s2, 0
	s_delay_alu instid0(VALU_DEP_1)
	v_mov_b32_e32 v3, v2
	global_store_b128 v[4:5], v[0:3], off
.LBB321_107:
	s_and_not1_b32 vcc_lo, exec_lo, s2
	s_cbranch_vccnz .LBB321_109
; %bb.108:
	v_cvt_f32_f64_e32 v2, v[0:1]
	v_mov_b32_e32 v3, 0
	global_store_b64 v[4:5], v[2:3], off
.LBB321_109:
	s_mov_b32 s2, 0
.LBB321_110:
	s_delay_alu instid0(SALU_CYCLE_1)
	s_and_not1_b32 vcc_lo, exec_lo, s2
	s_cbranch_vccnz .LBB321_112
; %bb.111:
	v_cvt_f32_f64_e32 v2, v[0:1]
	s_delay_alu instid0(VALU_DEP_1) | instskip(NEXT) | instid1(VALU_DEP_1)
	v_cvt_f16_f32_e32 v2, v2
	v_and_b32_e32 v2, 0xffff, v2
	global_store_b32 v[4:5], v2, off
.LBB321_112:
	s_mov_b32 s2, 0
.LBB321_113:
	s_delay_alu instid0(SALU_CYCLE_1)
	s_and_not1_b32 vcc_lo, exec_lo, s2
	s_cbranch_vccnz .LBB321_122
; %bb.114:
	v_cmp_gt_i16_e32 vcc_lo, 6, v10
	s_mov_b32 s2, -1
	s_cbranch_vccnz .LBB321_120
; %bb.115:
	v_cmp_lt_i16_e32 vcc_lo, 6, v10
	s_cbranch_vccz .LBB321_117
; %bb.116:
	s_mov_b32 s2, 0
	global_store_b64 v[4:5], v[0:1], off
.LBB321_117:
	s_and_not1_b32 vcc_lo, exec_lo, s2
	s_cbranch_vccnz .LBB321_119
; %bb.118:
	v_cvt_f32_f64_e32 v2, v[0:1]
	global_store_b32 v[4:5], v2, off
.LBB321_119:
	s_mov_b32 s2, 0
.LBB321_120:
	s_delay_alu instid0(SALU_CYCLE_1)
	s_and_not1_b32 vcc_lo, exec_lo, s2
	s_cbranch_vccnz .LBB321_122
; %bb.121:
	v_cvt_f32_f64_e32 v2, v[0:1]
	s_delay_alu instid0(VALU_DEP_1)
	v_cvt_f16_f32_e32 v2, v2
	global_store_b16 v[4:5], v2, off
.LBB321_122:
	s_mov_b32 s2, 0
.LBB321_123:
	s_delay_alu instid0(SALU_CYCLE_1)
	s_and_not1_b32 vcc_lo, exec_lo, s2
	s_cbranch_vccnz .LBB321_139
; %bb.124:
	v_cmp_gt_i16_e32 vcc_lo, 2, v10
	s_mov_b32 s2, -1
	s_cbranch_vccnz .LBB321_134
; %bb.125:
	v_cmp_gt_i16_e32 vcc_lo, 3, v10
	s_cbranch_vccnz .LBB321_131
; %bb.126:
	v_cmp_lt_i16_e32 vcc_lo, 3, v10
	s_cbranch_vccz .LBB321_128
; %bb.127:
	v_trunc_f64_e32 v[2:3], v[0:1]
	s_mov_b32 s2, 0
	s_delay_alu instid0(VALU_DEP_1) | instskip(NEXT) | instid1(VALU_DEP_1)
	v_ldexp_f64 v[6:7], v[2:3], 0xffffffe0
	v_floor_f64_e32 v[6:7], v[6:7]
	s_delay_alu instid0(VALU_DEP_1) | instskip(SKIP_1) | instid1(VALU_DEP_2)
	v_fma_f64 v[2:3], 0xc1f00000, v[6:7], v[2:3]
	v_cvt_i32_f64_e32 v7, v[6:7]
	v_cvt_u32_f64_e32 v6, v[2:3]
	global_store_b64 v[4:5], v[6:7], off
.LBB321_128:
	s_and_not1_b32 vcc_lo, exec_lo, s2
	s_cbranch_vccnz .LBB321_130
; %bb.129:
	v_cvt_i32_f64_e32 v2, v[0:1]
	global_store_b32 v[4:5], v2, off
.LBB321_130:
	s_mov_b32 s2, 0
.LBB321_131:
	s_delay_alu instid0(SALU_CYCLE_1)
	s_and_not1_b32 vcc_lo, exec_lo, s2
	s_cbranch_vccnz .LBB321_133
; %bb.132:
	v_cvt_i32_f64_e32 v2, v[0:1]
	global_store_b16 v[4:5], v2, off
.LBB321_133:
	s_mov_b32 s2, 0
.LBB321_134:
	s_delay_alu instid0(SALU_CYCLE_1)
	s_and_not1_b32 vcc_lo, exec_lo, s2
	s_cbranch_vccnz .LBB321_139
; %bb.135:
	v_cmp_lt_i16_e32 vcc_lo, 0, v10
	s_mov_b32 s2, -1
	s_cbranch_vccz .LBB321_137
; %bb.136:
	v_cvt_i32_f64_e32 v2, v[0:1]
	s_mov_b32 s2, 0
	global_store_b8 v[4:5], v2, off
.LBB321_137:
	s_and_not1_b32 vcc_lo, exec_lo, s2
	s_cbranch_vccnz .LBB321_139
; %bb.138:
	v_trunc_f64_e32 v[0:1], v[0:1]
	s_delay_alu instid0(VALU_DEP_1) | instskip(NEXT) | instid1(VALU_DEP_1)
	v_ldexp_f64 v[2:3], v[0:1], 0xffffffe0
	v_floor_f64_e32 v[2:3], v[2:3]
	s_delay_alu instid0(VALU_DEP_1) | instskip(NEXT) | instid1(VALU_DEP_1)
	v_fma_f64 v[0:1], 0xc1f00000, v[2:3], v[0:1]
	v_cvt_u32_f64_e32 v0, v[0:1]
	global_store_b8 v[4:5], v0, off
.LBB321_139:
.LBB321_140:
	v_add_nc_u32_e32 v9, 0x80, v9
	s_mov_b32 s2, -1
	s_branch .LBB321_262
.LBB321_141:
	s_mov_b32 s2, 0
                                        ; implicit-def: $vgpr6_vgpr7
	s_cbranch_execnz .LBB321_180
	s_branch .LBB321_212
.LBB321_142:
	s_mov_b32 s3, -1
	s_mov_b32 s2, 0
                                        ; implicit-def: $vgpr6_vgpr7
	s_branch .LBB321_159
.LBB321_143:
	s_mov_b32 s3, -1
	s_mov_b32 s2, 0
                                        ; implicit-def: $vgpr6_vgpr7
	s_branch .LBB321_154
.LBB321_144:
	s_mov_b32 s3, -1
	s_branch .LBB321_146
.LBB321_145:
	s_mov_b32 s26, -1
.LBB321_146:
	s_mov_b32 s2, 0
                                        ; implicit-def: $vgpr6_vgpr7
.LBB321_147:
	s_and_b32 vcc_lo, exec_lo, s3
	s_cbranch_vccz .LBB321_153
; %bb.148:
	v_cmp_eq_u16_e32 vcc_lo, 44, v8
	s_cbranch_vccz .LBB321_152
; %bb.149:
	global_load_u8 v5, v[1:2], off
	s_mov_b32 s26, 0
	s_mov_b32 s2, -1
	s_waitcnt vmcnt(0)
	v_cmp_ne_u32_e32 vcc_lo, 0xff, v5
	v_lshlrev_b32_e32 v3, 23, v5
	s_delay_alu instid0(VALU_DEP_1) | instskip(NEXT) | instid1(VALU_DEP_1)
	v_cvt_f64_f32_e32 v[3:4], v3
	v_cndmask_b32_e32 v4, 0x7ff80000, v4, vcc_lo
	s_delay_alu instid0(VALU_DEP_2) | instskip(SKIP_1) | instid1(VALU_DEP_3)
	v_cndmask_b32_e32 v3, 0x20000000, v3, vcc_lo
	v_cmp_ne_u32_e32 vcc_lo, 0, v5
	v_cndmask_b32_e32 v7, 0x38000000, v4, vcc_lo
	s_delay_alu instid0(VALU_DEP_3)
	v_cndmask_b32_e32 v6, 0, v3, vcc_lo
	s_branch .LBB321_153
.LBB321_150:
	s_or_saveexec_b32 s39, s39
                                        ; implicit-def: $sgpr40
	s_delay_alu instid0(SALU_CYCLE_1)
	s_xor_b32 exec_lo, exec_lo, s39
	s_cbranch_execz .LBB321_52
.LBB321_151:
	v_add_f32_e64 v3, 0x46000000, |v2|
	s_and_not1_b32 s27, s27, exec_lo
	s_mov_b32 s40, 0
	s_delay_alu instid0(VALU_DEP_1) | instskip(NEXT) | instid1(VALU_DEP_1)
	v_and_b32_e32 v3, 0xff, v3
	v_cmp_ne_u32_e32 vcc_lo, 0, v3
	s_and_b32 s43, vcc_lo, exec_lo
	s_delay_alu instid0(SALU_CYCLE_1)
	s_or_b32 s27, s27, s43
	s_or_b32 exec_lo, exec_lo, s39
	v_mov_b32_e32 v6, s40
	s_and_saveexec_b32 s39, s27
	s_cbranch_execnz .LBB321_53
	s_branch .LBB321_54
.LBB321_152:
	s_mov_b32 s26, -1
                                        ; implicit-def: $vgpr6_vgpr7
.LBB321_153:
	s_mov_b32 s3, 0
.LBB321_154:
	s_delay_alu instid0(SALU_CYCLE_1)
	s_and_b32 vcc_lo, exec_lo, s3
	s_cbranch_vccz .LBB321_158
; %bb.155:
	v_cmp_eq_u16_e32 vcc_lo, 29, v8
	s_cbranch_vccz .LBB321_157
; %bb.156:
	global_load_b64 v[3:4], v[1:2], off
	s_mov_b32 s2, -1
	s_mov_b32 s26, 0
	s_mov_b32 s3, 0
	s_waitcnt vmcnt(0)
	v_cvt_f64_u32_e32 v[4:5], v4
	v_cvt_f64_u32_e32 v[6:7], v3
	s_delay_alu instid0(VALU_DEP_2) | instskip(NEXT) | instid1(VALU_DEP_1)
	v_ldexp_f64 v[4:5], v[4:5], 32
	v_add_f64 v[6:7], v[4:5], v[6:7]
	s_branch .LBB321_159
.LBB321_157:
	s_mov_b32 s26, -1
                                        ; implicit-def: $vgpr6_vgpr7
.LBB321_158:
	s_mov_b32 s3, 0
.LBB321_159:
	s_delay_alu instid0(SALU_CYCLE_1)
	s_and_b32 vcc_lo, exec_lo, s3
	s_cbranch_vccz .LBB321_179
; %bb.160:
	v_cmp_gt_i16_e32 vcc_lo, 27, v8
	s_cbranch_vccnz .LBB321_163
; %bb.161:
	v_cmp_lt_i16_e32 vcc_lo, 27, v8
	s_cbranch_vccz .LBB321_164
; %bb.162:
	global_load_b32 v3, v[1:2], off
	s_mov_b32 s2, 0
	s_waitcnt vmcnt(0)
	v_cvt_f64_u32_e32 v[6:7], v3
	s_branch .LBB321_165
.LBB321_163:
	s_mov_b32 s2, -1
                                        ; implicit-def: $vgpr6_vgpr7
	s_branch .LBB321_168
.LBB321_164:
	s_mov_b32 s2, -1
                                        ; implicit-def: $vgpr6_vgpr7
.LBB321_165:
	s_delay_alu instid0(SALU_CYCLE_1)
	s_and_not1_b32 vcc_lo, exec_lo, s2
	s_cbranch_vccnz .LBB321_167
; %bb.166:
	global_load_u16 v3, v[1:2], off
	s_waitcnt vmcnt(0)
	v_cvt_f64_u32_e32 v[6:7], v3
.LBB321_167:
	s_mov_b32 s2, 0
.LBB321_168:
	s_delay_alu instid0(SALU_CYCLE_1)
	s_and_not1_b32 vcc_lo, exec_lo, s2
	s_cbranch_vccnz .LBB321_178
; %bb.169:
	global_load_u8 v3, v[1:2], off
	s_mov_b32 s27, 0
	s_mov_b32 s39, exec_lo
                                        ; implicit-def: $sgpr2_sgpr3
	s_waitcnt vmcnt(0)
	v_cmpx_lt_i16_e32 0x7f, v3
	s_xor_b32 s39, exec_lo, s39
	s_cbranch_execz .LBB321_173
; %bb.170:
	s_mov_b32 s40, -1
	s_mov_b32 s27, exec_lo
                                        ; implicit-def: $sgpr2_sgpr3
	v_cmpx_eq_u16_e32 0x80, v3
; %bb.171:
	s_mov_b32 s3, 0x7ff80000
	s_brev_b32 s2, 4
	s_xor_b32 s40, exec_lo, -1
; %bb.172:
	s_or_b32 exec_lo, exec_lo, s27
	s_delay_alu instid0(SALU_CYCLE_1)
	s_and_b32 s27, s40, exec_lo
.LBB321_173:
	s_or_saveexec_b32 s39, s39
	v_dual_mov_b32 v7, s3 :: v_dual_mov_b32 v6, s2
	s_xor_b32 exec_lo, exec_lo, s39
; %bb.174:
	v_cmp_ne_u16_e32 vcc_lo, 0, v3
	v_mov_b32_e32 v6, 0
	v_mov_b32_e32 v7, 0
	s_and_not1_b32 s2, s27, exec_lo
	s_and_b32 s3, vcc_lo, exec_lo
	s_delay_alu instid0(SALU_CYCLE_1)
	s_or_b32 s27, s2, s3
; %bb.175:
	s_or_b32 exec_lo, exec_lo, s39
	s_and_saveexec_b32 s2, s27
	s_cbranch_execz .LBB321_177
; %bb.176:
	v_and_b32_e32 v4, 0xffff, v3
	v_lshlrev_b32_e32 v3, 24, v3
	s_delay_alu instid0(VALU_DEP_2) | instskip(NEXT) | instid1(VALU_DEP_2)
	v_and_b32_e32 v5, 7, v4
	v_and_b32_e32 v3, 0x80000000, v3
	s_delay_alu instid0(VALU_DEP_2) | instskip(NEXT) | instid1(VALU_DEP_1)
	v_clz_i32_u32_e32 v6, v5
	v_min_u32_e32 v6, 32, v6
	s_delay_alu instid0(VALU_DEP_1) | instskip(SKIP_1) | instid1(VALU_DEP_2)
	v_subrev_nc_u32_e32 v7, 28, v6
	v_sub_nc_u32_e32 v6, 29, v6
	v_lshlrev_b32_e32 v7, v7, v4
	v_bfe_u32 v4, v4, 3, 4
	s_delay_alu instid0(VALU_DEP_2) | instskip(NEXT) | instid1(VALU_DEP_2)
	v_and_b32_e32 v7, 7, v7
	v_cmp_eq_u32_e32 vcc_lo, 0, v4
	s_delay_alu instid0(VALU_DEP_2) | instskip(NEXT) | instid1(VALU_DEP_1)
	v_dual_cndmask_b32 v4, v4, v6 :: v_dual_cndmask_b32 v5, v5, v7
	v_lshl_add_u32 v4, v4, 23, 0x3b800000
	s_delay_alu instid0(VALU_DEP_2) | instskip(NEXT) | instid1(VALU_DEP_1)
	v_lshlrev_b32_e32 v5, 20, v5
	v_or3_b32 v3, v3, v4, v5
	s_delay_alu instid0(VALU_DEP_1)
	v_cvt_f64_f32_e32 v[6:7], v3
.LBB321_177:
	s_or_b32 exec_lo, exec_lo, s2
.LBB321_178:
	s_mov_b32 s2, -1
.LBB321_179:
	s_branch .LBB321_212
.LBB321_180:
	v_cmp_lt_i16_e32 vcc_lo, 22, v8
	s_cbranch_vccz .LBB321_192
; %bb.181:
	v_cmp_gt_i16_e32 vcc_lo, 24, v8
	s_cbranch_vccnz .LBB321_193
; %bb.182:
	v_cmp_lt_i16_e32 vcc_lo, 24, v8
	s_cbranch_vccz .LBB321_194
; %bb.183:
	global_load_u8 v3, v[1:2], off
	s_mov_b32 s27, 0
	s_mov_b32 s39, exec_lo
                                        ; implicit-def: $sgpr2_sgpr3
	s_waitcnt vmcnt(0)
	v_cmpx_lt_i16_e32 0x7f, v3
	s_xor_b32 s39, exec_lo, s39
	s_cbranch_execz .LBB321_187
; %bb.184:
	s_mov_b32 s40, -1
	s_mov_b32 s27, exec_lo
                                        ; implicit-def: $sgpr2_sgpr3
	v_cmpx_eq_u16_e32 0x80, v3
; %bb.185:
	s_mov_b32 s3, 0x7ff80000
	s_brev_b32 s2, 4
	s_xor_b32 s40, exec_lo, -1
; %bb.186:
	s_or_b32 exec_lo, exec_lo, s27
	s_delay_alu instid0(SALU_CYCLE_1)
	s_and_b32 s27, s40, exec_lo
.LBB321_187:
	s_or_saveexec_b32 s39, s39
	v_dual_mov_b32 v7, s3 :: v_dual_mov_b32 v6, s2
	s_xor_b32 exec_lo, exec_lo, s39
; %bb.188:
	v_cmp_ne_u16_e32 vcc_lo, 0, v3
	v_mov_b32_e32 v6, 0
	v_mov_b32_e32 v7, 0
	s_and_not1_b32 s2, s27, exec_lo
	s_and_b32 s3, vcc_lo, exec_lo
	s_delay_alu instid0(SALU_CYCLE_1)
	s_or_b32 s27, s2, s3
; %bb.189:
	s_or_b32 exec_lo, exec_lo, s39
	s_and_saveexec_b32 s2, s27
	s_cbranch_execz .LBB321_191
; %bb.190:
	v_and_b32_e32 v4, 0xffff, v3
	v_lshlrev_b32_e32 v3, 24, v3
	s_delay_alu instid0(VALU_DEP_2) | instskip(NEXT) | instid1(VALU_DEP_2)
	v_and_b32_e32 v5, 3, v4
	v_and_b32_e32 v3, 0x80000000, v3
	s_delay_alu instid0(VALU_DEP_2) | instskip(NEXT) | instid1(VALU_DEP_1)
	v_clz_i32_u32_e32 v6, v5
	v_min_u32_e32 v6, 32, v6
	s_delay_alu instid0(VALU_DEP_1) | instskip(SKIP_1) | instid1(VALU_DEP_2)
	v_subrev_nc_u32_e32 v7, 29, v6
	v_sub_nc_u32_e32 v6, 30, v6
	v_lshlrev_b32_e32 v7, v7, v4
	v_bfe_u32 v4, v4, 2, 5
	s_delay_alu instid0(VALU_DEP_2) | instskip(NEXT) | instid1(VALU_DEP_2)
	v_and_b32_e32 v7, 3, v7
	v_cmp_eq_u32_e32 vcc_lo, 0, v4
	s_delay_alu instid0(VALU_DEP_2) | instskip(NEXT) | instid1(VALU_DEP_1)
	v_dual_cndmask_b32 v4, v4, v6 :: v_dual_cndmask_b32 v5, v5, v7
	v_lshl_add_u32 v4, v4, 23, 0x37800000
	s_delay_alu instid0(VALU_DEP_2) | instskip(NEXT) | instid1(VALU_DEP_1)
	v_lshlrev_b32_e32 v5, 21, v5
	v_or3_b32 v3, v3, v4, v5
	s_delay_alu instid0(VALU_DEP_1)
	v_cvt_f64_f32_e32 v[6:7], v3
.LBB321_191:
	s_or_b32 exec_lo, exec_lo, s2
	s_mov_b32 s2, 0
	s_branch .LBB321_195
.LBB321_192:
	s_mov_b32 s3, -1
                                        ; implicit-def: $vgpr6_vgpr7
	s_branch .LBB321_201
.LBB321_193:
	s_mov_b32 s2, -1
                                        ; implicit-def: $vgpr6_vgpr7
	s_branch .LBB321_198
.LBB321_194:
	s_mov_b32 s2, -1
                                        ; implicit-def: $vgpr6_vgpr7
.LBB321_195:
	s_delay_alu instid0(SALU_CYCLE_1)
	s_and_b32 vcc_lo, exec_lo, s2
	s_cbranch_vccz .LBB321_197
; %bb.196:
	global_load_u8 v3, v[1:2], off
	s_waitcnt vmcnt(0)
	v_lshlrev_b32_e32 v3, 24, v3
	s_delay_alu instid0(VALU_DEP_1) | instskip(NEXT) | instid1(VALU_DEP_1)
	v_and_b32_e32 v4, 0x7f000000, v3
	v_clz_i32_u32_e32 v5, v4
	v_add_nc_u32_e32 v7, 0x1000000, v4
	v_cmp_ne_u32_e32 vcc_lo, 0, v4
	s_delay_alu instid0(VALU_DEP_3) | instskip(NEXT) | instid1(VALU_DEP_1)
	v_min_u32_e32 v5, 32, v5
	v_sub_nc_u32_e64 v5, v5, 4 clamp
	s_delay_alu instid0(VALU_DEP_1) | instskip(SKIP_1) | instid1(VALU_DEP_2)
	v_lshlrev_b32_e32 v6, v5, v4
	v_lshlrev_b32_e32 v5, 23, v5
	v_lshrrev_b32_e32 v6, 4, v6
	s_delay_alu instid0(VALU_DEP_1) | instskip(SKIP_1) | instid1(VALU_DEP_2)
	v_sub_nc_u32_e32 v5, v6, v5
	v_ashrrev_i32_e32 v6, 8, v7
	v_add_nc_u32_e32 v5, 0x3c000000, v5
	s_delay_alu instid0(VALU_DEP_1) | instskip(NEXT) | instid1(VALU_DEP_1)
	v_and_or_b32 v5, 0x7f800000, v6, v5
	v_cndmask_b32_e32 v4, 0, v5, vcc_lo
	s_delay_alu instid0(VALU_DEP_1) | instskip(NEXT) | instid1(VALU_DEP_1)
	v_and_or_b32 v3, 0x80000000, v3, v4
	v_cvt_f64_f32_e32 v[6:7], v3
.LBB321_197:
	s_mov_b32 s2, 0
.LBB321_198:
	s_delay_alu instid0(SALU_CYCLE_1)
	s_and_not1_b32 vcc_lo, exec_lo, s2
	s_cbranch_vccnz .LBB321_200
; %bb.199:
	global_load_u8 v3, v[1:2], off
	s_waitcnt vmcnt(0)
	v_lshlrev_b32_e32 v4, 25, v3
	v_lshlrev_b16 v3, 8, v3
	s_delay_alu instid0(VALU_DEP_2) | instskip(NEXT) | instid1(VALU_DEP_2)
	v_lshrrev_b32_e32 v5, 4, v4
	v_and_or_b32 v6, 0x7f00, v3, 0.5
	v_bfe_i32 v3, v3, 0, 16
	s_delay_alu instid0(VALU_DEP_3) | instskip(NEXT) | instid1(VALU_DEP_1)
	v_or_b32_e32 v5, 0x70000000, v5
	v_dual_add_f32 v6, -0.5, v6 :: v_dual_mul_f32 v5, 0x7800000, v5
	v_cmp_gt_u32_e32 vcc_lo, 0x8000000, v4
	s_delay_alu instid0(VALU_DEP_2) | instskip(NEXT) | instid1(VALU_DEP_1)
	v_cndmask_b32_e32 v4, v5, v6, vcc_lo
	v_and_or_b32 v3, 0x80000000, v3, v4
	s_delay_alu instid0(VALU_DEP_1)
	v_cvt_f64_f32_e32 v[6:7], v3
.LBB321_200:
	s_mov_b32 s3, 0
	s_mov_b32 s2, -1
.LBB321_201:
	s_and_not1_b32 vcc_lo, exec_lo, s3
	s_cbranch_vccnz .LBB321_212
; %bb.202:
	v_cmp_lt_i16_e32 vcc_lo, 14, v8
	s_cbranch_vccz .LBB321_205
; %bb.203:
	v_cmp_eq_u16_e32 vcc_lo, 15, v8
	s_cbranch_vccz .LBB321_206
; %bb.204:
	global_load_u16 v3, v[1:2], off
	s_mov_b32 s2, -1
	s_mov_b32 s26, 0
	s_waitcnt vmcnt(0)
	v_lshlrev_b32_e32 v3, 16, v3
	s_delay_alu instid0(VALU_DEP_1)
	v_cvt_f64_f32_e32 v[6:7], v3
	s_branch .LBB321_207
.LBB321_205:
	s_mov_b32 s3, -1
                                        ; implicit-def: $vgpr6_vgpr7
	s_branch .LBB321_208
.LBB321_206:
	s_mov_b32 s26, -1
                                        ; implicit-def: $vgpr6_vgpr7
.LBB321_207:
	s_mov_b32 s3, 0
.LBB321_208:
	s_delay_alu instid0(SALU_CYCLE_1)
	s_and_b32 vcc_lo, exec_lo, s3
	s_cbranch_vccz .LBB321_212
; %bb.209:
	v_cmp_eq_u16_e32 vcc_lo, 11, v8
	s_cbranch_vccz .LBB321_211
; %bb.210:
	global_load_u8 v3, v[1:2], off
	v_mov_b32_e32 v6, 0
	s_mov_b32 s26, 0
	s_mov_b32 s2, -1
	s_waitcnt vmcnt(0)
	v_cmp_ne_u16_e32 vcc_lo, 0, v3
	v_cndmask_b32_e64 v7, 0, 0x3ff00000, vcc_lo
	s_branch .LBB321_212
.LBB321_211:
	s_mov_b32 s26, -1
                                        ; implicit-def: $vgpr6_vgpr7
.LBB321_212:
	s_branch .LBB321_23
.LBB321_213:
	v_cmp_gt_i16_e32 vcc_lo, 5, v8
	s_cbranch_vccnz .LBB321_218
; %bb.214:
	v_cmp_gt_i16_e32 vcc_lo, 8, v8
	s_cbranch_vccnz .LBB321_219
; %bb.215:
	;; [unrolled: 3-line block ×3, first 2 shown]
	v_cmp_lt_i16_e32 vcc_lo, 9, v8
	s_cbranch_vccz .LBB321_221
; %bb.217:
	global_load_b64 v[6:7], v[1:2], off
	s_mov_b32 s2, 0
	s_branch .LBB321_222
.LBB321_218:
                                        ; implicit-def: $vgpr6_vgpr7
	s_branch .LBB321_240
.LBB321_219:
	s_mov_b32 s2, -1
                                        ; implicit-def: $vgpr6_vgpr7
	s_branch .LBB321_228
.LBB321_220:
	s_mov_b32 s2, -1
                                        ; implicit-def: $vgpr6_vgpr7
	s_branch .LBB321_225
.LBB321_221:
	s_mov_b32 s2, -1
                                        ; implicit-def: $vgpr6_vgpr7
.LBB321_222:
	s_delay_alu instid0(SALU_CYCLE_1)
	s_and_not1_b32 vcc_lo, exec_lo, s2
	s_cbranch_vccnz .LBB321_224
; %bb.223:
	global_load_b32 v3, v[1:2], off
	s_waitcnt vmcnt(0)
	v_cvt_f64_f32_e32 v[6:7], v3
.LBB321_224:
	s_mov_b32 s2, 0
.LBB321_225:
	s_delay_alu instid0(SALU_CYCLE_1)
	s_and_not1_b32 vcc_lo, exec_lo, s2
	s_cbranch_vccnz .LBB321_227
; %bb.226:
	global_load_b32 v3, v[1:2], off
	s_waitcnt vmcnt(0)
	v_cvt_f32_f16_e32 v3, v3
	s_delay_alu instid0(VALU_DEP_1)
	v_cvt_f64_f32_e32 v[6:7], v3
.LBB321_227:
	s_mov_b32 s2, 0
.LBB321_228:
	s_delay_alu instid0(SALU_CYCLE_1)
	s_and_not1_b32 vcc_lo, exec_lo, s2
	s_cbranch_vccnz .LBB321_239
; %bb.229:
	v_cmp_gt_i16_e32 vcc_lo, 6, v8
	s_cbranch_vccnz .LBB321_232
; %bb.230:
	v_cmp_lt_i16_e32 vcc_lo, 6, v8
	s_cbranch_vccz .LBB321_233
; %bb.231:
	global_load_b64 v[6:7], v[1:2], off
	s_mov_b32 s2, 0
	s_branch .LBB321_234
.LBB321_232:
	s_mov_b32 s2, -1
                                        ; implicit-def: $vgpr6_vgpr7
	s_branch .LBB321_237
.LBB321_233:
	s_mov_b32 s2, -1
                                        ; implicit-def: $vgpr6_vgpr7
.LBB321_234:
	s_delay_alu instid0(SALU_CYCLE_1)
	s_and_not1_b32 vcc_lo, exec_lo, s2
	s_cbranch_vccnz .LBB321_236
; %bb.235:
	global_load_b32 v3, v[1:2], off
	s_waitcnt vmcnt(0)
	v_cvt_f64_f32_e32 v[6:7], v3
.LBB321_236:
	s_mov_b32 s2, 0
.LBB321_237:
	s_delay_alu instid0(SALU_CYCLE_1)
	s_and_not1_b32 vcc_lo, exec_lo, s2
	s_cbranch_vccnz .LBB321_239
; %bb.238:
	global_load_u16 v3, v[1:2], off
	s_waitcnt vmcnt(0)
	v_cvt_f32_f16_e32 v3, v3
	s_delay_alu instid0(VALU_DEP_1)
	v_cvt_f64_f32_e32 v[6:7], v3
.LBB321_239:
	s_cbranch_execnz .LBB321_259
.LBB321_240:
	v_cmp_gt_i16_e32 vcc_lo, 2, v8
	s_cbranch_vccnz .LBB321_244
; %bb.241:
	v_cmp_gt_i16_e32 vcc_lo, 3, v8
	s_cbranch_vccnz .LBB321_245
; %bb.242:
	v_cmp_lt_i16_e32 vcc_lo, 3, v8
	s_cbranch_vccz .LBB321_246
; %bb.243:
	global_load_b64 v[3:4], v[1:2], off
	s_mov_b32 s2, 0
	s_waitcnt vmcnt(0)
	v_cvt_f64_i32_e32 v[4:5], v4
	v_cvt_f64_u32_e32 v[6:7], v3
	s_delay_alu instid0(VALU_DEP_2) | instskip(NEXT) | instid1(VALU_DEP_1)
	v_ldexp_f64 v[4:5], v[4:5], 32
	v_add_f64 v[6:7], v[4:5], v[6:7]
	s_branch .LBB321_247
.LBB321_244:
	s_mov_b32 s2, -1
                                        ; implicit-def: $vgpr6_vgpr7
	s_branch .LBB321_253
.LBB321_245:
	s_mov_b32 s2, -1
                                        ; implicit-def: $vgpr6_vgpr7
	s_branch .LBB321_250
.LBB321_246:
	s_mov_b32 s2, -1
                                        ; implicit-def: $vgpr6_vgpr7
.LBB321_247:
	s_delay_alu instid0(SALU_CYCLE_1)
	s_and_not1_b32 vcc_lo, exec_lo, s2
	s_cbranch_vccnz .LBB321_249
; %bb.248:
	global_load_b32 v3, v[1:2], off
	s_waitcnt vmcnt(0)
	v_cvt_f64_i32_e32 v[6:7], v3
.LBB321_249:
	s_mov_b32 s2, 0
.LBB321_250:
	s_delay_alu instid0(SALU_CYCLE_1)
	s_and_not1_b32 vcc_lo, exec_lo, s2
	s_cbranch_vccnz .LBB321_252
; %bb.251:
	global_load_i16 v3, v[1:2], off
	s_waitcnt vmcnt(0)
	v_cvt_f64_i32_e32 v[6:7], v3
.LBB321_252:
	s_mov_b32 s2, 0
.LBB321_253:
	s_delay_alu instid0(SALU_CYCLE_1)
	s_and_not1_b32 vcc_lo, exec_lo, s2
	s_cbranch_vccnz .LBB321_259
; %bb.254:
	v_cmp_lt_i16_e32 vcc_lo, 0, v8
	s_mov_b32 s2, 0
	s_cbranch_vccz .LBB321_256
; %bb.255:
	global_load_i8 v3, v[1:2], off
	s_waitcnt vmcnt(0)
	v_cvt_f64_i32_e32 v[6:7], v3
	s_branch .LBB321_257
.LBB321_256:
	s_mov_b32 s2, -1
                                        ; implicit-def: $vgpr6_vgpr7
.LBB321_257:
	s_delay_alu instid0(SALU_CYCLE_1)
	s_and_not1_b32 vcc_lo, exec_lo, s2
	s_cbranch_vccnz .LBB321_259
; %bb.258:
	global_load_u8 v1, v[1:2], off
	s_waitcnt vmcnt(0)
	v_cvt_f64_u32_e32 v[6:7], v1
.LBB321_259:
	s_branch .LBB321_24
.LBB321_260:
	s_mov_b32 s3, 0
.LBB321_261:
	s_mov_b32 s2, 0
                                        ; implicit-def: $vgpr9
.LBB321_262:
	s_and_b32 s39, s3, exec_lo
	s_and_b32 s40, s26, exec_lo
	s_or_not1_b32 s3, s2, exec_lo
.LBB321_263:
	s_or_b32 exec_lo, exec_lo, s41
	s_mov_b32 s26, 0
	s_mov_b32 s2, 0
                                        ; implicit-def: $vgpr0_vgpr1
                                        ; implicit-def: $vgpr2
                                        ; implicit-def: $vgpr6_vgpr7
	s_and_saveexec_b32 s41, s3
	s_cbranch_execz .LBB321_906
; %bb.264:
	s_mov_b32 s2, -1
	s_mov_b32 s42, s40
	s_mov_b32 s43, s39
	s_mov_b32 s44, exec_lo
	v_cmpx_gt_i32_e64 s36, v9
	s_cbranch_execz .LBB321_533
; %bb.265:
	s_and_not1_b32 vcc_lo, exec_lo, s31
	s_cbranch_vccnz .LBB321_270
; %bb.266:
	v_dual_mov_b32 v0, 0 :: v_dual_mov_b32 v1, 0
	s_and_not1_b32 vcc_lo, exec_lo, s38
	s_mov_b32 s42, 0
	s_cbranch_vccnz .LBB321_275
; %bb.267:
	v_mov_b32_e32 v0, 0
	s_add_i32 s45, s37, 1
	s_cmp_eq_u32 s29, 2
	s_mov_b32 s43, 0
	s_cbranch_scc1 .LBB321_271
; %bb.268:
	v_dual_mov_b32 v1, 0 :: v_dual_mov_b32 v0, 0
	v_mov_b32_e32 v2, v9
	s_and_b32 s43, s45, 28
	s_mov_b32 s46, 0
	s_mov_b64 s[2:3], s[24:25]
	s_mov_b64 s[26:27], s[20:21]
.LBB321_269:                            ; =>This Inner Loop Header: Depth=1
	s_clause 0x1
	s_load_b256 s[48:55], s[26:27], 0x4
	s_load_b128 s[64:67], s[26:27], 0x24
	s_load_b256 s[56:63], s[2:3], 0x0
	s_add_u32 s26, s26, 48
	s_addc_u32 s27, s27, 0
	s_add_i32 s46, s46, 4
	s_add_u32 s2, s2, 32
	s_addc_u32 s3, s3, 0
	s_cmp_eq_u32 s43, s46
	s_waitcnt lgkmcnt(0)
	v_mul_hi_u32 v3, s49, v2
	s_delay_alu instid0(VALU_DEP_1) | instskip(NEXT) | instid1(VALU_DEP_1)
	v_add_nc_u32_e32 v3, v2, v3
	v_lshrrev_b32_e32 v3, s50, v3
	s_delay_alu instid0(VALU_DEP_1) | instskip(SKIP_2) | instid1(VALU_DEP_2)
	v_mul_hi_u32 v4, s52, v3
	s_waitcnt vmcnt(0)
	v_mul_lo_u32 v6, v3, s48
	v_add_nc_u32_e32 v4, v3, v4
	s_delay_alu instid0(VALU_DEP_2) | instskip(NEXT) | instid1(VALU_DEP_2)
	v_sub_nc_u32_e32 v2, v2, v6
	v_lshrrev_b32_e32 v4, s53, v4
	s_delay_alu instid0(VALU_DEP_2) | instskip(SKIP_1) | instid1(VALU_DEP_3)
	v_mul_lo_u32 v6, v2, s56
	v_mul_lo_u32 v10, v2, s57
	v_mul_hi_u32 v5, s55, v4
	s_delay_alu instid0(VALU_DEP_1) | instskip(NEXT) | instid1(VALU_DEP_1)
	v_add_nc_u32_e32 v5, v4, v5
	v_lshrrev_b32_e32 v5, s64, v5
	s_delay_alu instid0(VALU_DEP_1) | instskip(SKIP_1) | instid1(VALU_DEP_2)
	v_mul_hi_u32 v7, s66, v5
	v_mul_lo_u32 v11, v5, s54
	v_add_nc_u32_e32 v2, v5, v7
	v_mul_lo_u32 v7, v4, s51
	s_delay_alu instid0(VALU_DEP_3) | instskip(NEXT) | instid1(VALU_DEP_3)
	v_sub_nc_u32_e32 v4, v4, v11
	v_lshrrev_b32_e32 v2, s67, v2
	s_delay_alu instid0(VALU_DEP_2) | instskip(SKIP_2) | instid1(VALU_DEP_4)
	v_mul_lo_u32 v11, v4, s60
	v_mul_lo_u32 v4, v4, s61
	v_sub_nc_u32_e32 v3, v3, v7
	v_mul_lo_u32 v12, v2, s65
	s_delay_alu instid0(VALU_DEP_2) | instskip(SKIP_1) | instid1(VALU_DEP_3)
	v_mul_lo_u32 v7, v3, s58
	v_mul_lo_u32 v3, v3, s59
	v_sub_nc_u32_e32 v5, v5, v12
	s_delay_alu instid0(VALU_DEP_3) | instskip(NEXT) | instid1(VALU_DEP_2)
	v_add3_u32 v0, v6, v0, v7
	v_mul_lo_u32 v12, v5, s62
	v_mul_lo_u32 v5, v5, s63
	v_add3_u32 v1, v10, v1, v3
	s_delay_alu instid0(VALU_DEP_3) | instskip(NEXT) | instid1(VALU_DEP_2)
	v_add3_u32 v0, v11, v0, v12
	v_add3_u32 v1, v4, v1, v5
	s_cbranch_scc0 .LBB321_269
	s_branch .LBB321_272
.LBB321_270:
	s_mov_b32 s42, -1
                                        ; implicit-def: $vgpr0
                                        ; implicit-def: $vgpr1
	s_branch .LBB321_275
.LBB321_271:
	v_dual_mov_b32 v2, v9 :: v_dual_mov_b32 v1, 0
.LBB321_272:
	s_and_b32 s45, s45, 3
	s_delay_alu instid0(SALU_CYCLE_1)
	s_cmp_eq_u32 s45, 0
	s_cbranch_scc1 .LBB321_275
; %bb.273:
	s_lshl_b32 s2, s43, 3
	s_mul_i32 s26, s43, 12
	s_add_u32 s2, s2, s20
	s_addc_u32 s3, s21, 0
	s_add_u32 s2, s2, 0xc4
	s_addc_u32 s3, s3, 0
	;; [unrolled: 2-line block ×3, first 2 shown]
	.p2align	6
.LBB321_274:                            ; =>This Inner Loop Header: Depth=1
	s_clause 0x1
	s_load_b64 s[46:47], s[26:27], 0x4
	s_load_b32 s43, s[26:27], 0xc
	s_load_b64 s[48:49], s[2:3], 0x0
	s_add_u32 s26, s26, 12
	s_addc_u32 s27, s27, 0
	s_add_u32 s2, s2, 8
	s_addc_u32 s3, s3, 0
	s_add_i32 s45, s45, -1
	s_delay_alu instid0(SALU_CYCLE_1) | instskip(SKIP_2) | instid1(VALU_DEP_1)
	s_cmp_lg_u32 s45, 0
	s_waitcnt lgkmcnt(0)
	v_mul_hi_u32 v3, s47, v2
	v_add_nc_u32_e32 v3, v2, v3
	s_waitcnt vmcnt(0)
	s_delay_alu instid0(VALU_DEP_1) | instskip(NEXT) | instid1(VALU_DEP_1)
	v_lshrrev_b32_e32 v6, s43, v3
	v_mul_lo_u32 v3, v6, s46
	s_delay_alu instid0(VALU_DEP_1) | instskip(NEXT) | instid1(VALU_DEP_1)
	v_sub_nc_u32_e32 v2, v2, v3
	v_mad_u64_u32 v[3:4], null, v2, s48, v[0:1]
	v_mad_u64_u32 v[4:5], null, v2, s49, v[1:2]
	v_mov_b32_e32 v2, v6
	s_delay_alu instid0(VALU_DEP_2)
	v_dual_mov_b32 v0, v3 :: v_dual_mov_b32 v1, v4
	s_cbranch_scc1 .LBB321_274
.LBB321_275:
	s_and_not1_b32 vcc_lo, exec_lo, s42
	s_cbranch_vccnz .LBB321_278
; %bb.276:
	v_mul_hi_u32 v0, s17, v9
	s_and_not1_b32 vcc_lo, exec_lo, s35
	s_delay_alu instid0(VALU_DEP_1) | instskip(NEXT) | instid1(VALU_DEP_1)
	v_add_nc_u32_e32 v0, v9, v0
	v_lshrrev_b32_e32 v2, s18, v0
	s_delay_alu instid0(VALU_DEP_1) | instskip(NEXT) | instid1(VALU_DEP_1)
	v_mul_lo_u32 v0, v2, s16
	v_sub_nc_u32_e32 v1, v9, v0
	s_delay_alu instid0(VALU_DEP_1)
	v_mul_lo_u32 v0, v1, s12
	v_mul_lo_u32 v1, v1, s13
	s_cbranch_vccnz .LBB321_278
; %bb.277:
	v_mul_hi_u32 v3, s22, v2
	s_delay_alu instid0(VALU_DEP_1) | instskip(NEXT) | instid1(VALU_DEP_1)
	v_add_nc_u32_e32 v3, v2, v3
	v_lshrrev_b32_e32 v3, s23, v3
	s_delay_alu instid0(VALU_DEP_1) | instskip(NEXT) | instid1(VALU_DEP_1)
	v_mul_lo_u32 v3, v3, s19
	v_sub_nc_u32_e32 v5, v2, v3
	s_delay_alu instid0(VALU_DEP_1) | instskip(NEXT) | instid1(VALU_DEP_1)
	v_mad_u64_u32 v[2:3], null, v5, s14, v[0:1]
	v_mad_u64_u32 v[3:4], null, v5, s15, v[1:2]
	s_delay_alu instid0(VALU_DEP_1)
	v_dual_mov_b32 v0, v2 :: v_dual_mov_b32 v1, v3
.LBB321_278:
	v_cmp_gt_i16_e32 vcc_lo, 11, v8
	s_delay_alu instid0(VALU_DEP_2) | instskip(NEXT) | instid1(VALU_DEP_1)
	v_add_co_u32 v1, s2, s6, v1
	v_add_co_ci_u32_e64 v2, null, s7, 0, s2
	s_mov_b32 s2, 0
	s_cbranch_vccnz .LBB321_285
; %bb.279:
	v_cmp_lt_i16_e32 vcc_lo, 25, v8
	s_cbranch_vccz .LBB321_334
; %bb.280:
	v_cmp_lt_i16_e32 vcc_lo, 28, v8
	s_cbranch_vccz .LBB321_335
	;; [unrolled: 3-line block ×4, first 2 shown]
; %bb.283:
	v_cmp_eq_u16_e32 vcc_lo, 46, v8
	s_mov_b32 s3, 0
	s_cbranch_vccz .LBB321_343
; %bb.284:
	global_load_b32 v3, v[1:2], off
	s_mov_b32 s2, -1
	s_mov_b32 s26, 0
	s_waitcnt vmcnt(0)
	v_lshlrev_b32_e32 v3, 16, v3
	s_delay_alu instid0(VALU_DEP_1)
	v_cvt_f64_f32_e32 v[6:7], v3
	s_branch .LBB321_345
.LBB321_285:
	s_mov_b32 s26, s40
                                        ; implicit-def: $vgpr6_vgpr7
	s_cbranch_execnz .LBB321_482
.LBB321_286:
	s_and_not1_b32 vcc_lo, exec_lo, s2
	s_cbranch_vccnz .LBB321_530
.LBB321_287:
	v_max_f64 v[1:2], s[8:9], s[8:9]
	s_waitcnt vmcnt(0)
	s_delay_alu instid0(VALU_DEP_2) | instskip(SKIP_3) | instid1(VALU_DEP_3)
	v_max_f64 v[3:4], v[6:7], v[6:7]
	v_max_f64 v[10:11], s[10:11], s[10:11]
	v_cmp_u_f64_e32 vcc_lo, v[6:7], v[6:7]
	s_mov_b32 s3, 0
	v_max_f64 v[1:2], v[3:4], v[1:2]
	v_add_co_u32 v4, s27, s4, v0
	s_delay_alu instid0(VALU_DEP_1) | instskip(SKIP_1) | instid1(VALU_DEP_3)
	v_add_co_ci_u32_e64 v5, null, s5, 0, s27
	s_mov_b32 s27, -1
	v_min_f64 v[2:3], v[1:2], v[10:11]
	v_and_b32_e64 v10, 0xff, s34
	s_delay_alu instid0(VALU_DEP_1) | instskip(NEXT) | instid1(VALU_DEP_3)
	v_cmp_gt_i16_e64 s2, 11, v10
	v_dual_cndmask_b32 v1, v3, v7 :: v_dual_cndmask_b32 v0, v2, v6
	s_delay_alu instid0(VALU_DEP_2)
	s_and_b32 vcc_lo, exec_lo, s2
	s_mov_b32 s2, s39
	s_cbranch_vccnz .LBB321_294
; %bb.288:
	v_cmp_lt_i16_e32 vcc_lo, 25, v10
	s_cbranch_vccz .LBB321_336
; %bb.289:
	v_cmp_lt_i16_e32 vcc_lo, 28, v10
	s_cbranch_vccz .LBB321_338
	;; [unrolled: 3-line block ×4, first 2 shown]
; %bb.292:
	v_cmp_eq_u16_e32 vcc_lo, 46, v10
	s_mov_b32 s27, 0
	s_mov_b32 s2, -1
	s_cbranch_vccz .LBB321_349
; %bb.293:
	v_cvt_f32_f64_e32 v2, v[0:1]
	s_mov_b32 s3, -1
	s_mov_b32 s2, 0
	s_delay_alu instid0(VALU_DEP_1) | instskip(SKIP_1) | instid1(VALU_DEP_2)
	v_bfe_u32 v3, v2, 16, 1
	v_cmp_o_f32_e32 vcc_lo, v2, v2
	v_add3_u32 v3, v2, v3, 0x7fff
	s_delay_alu instid0(VALU_DEP_1) | instskip(NEXT) | instid1(VALU_DEP_1)
	v_lshrrev_b32_e32 v3, 16, v3
	v_cndmask_b32_e32 v2, 0x7fc0, v3, vcc_lo
	global_store_b32 v[4:5], v2, off
	s_branch .LBB321_349
.LBB321_294:
	s_and_b32 vcc_lo, exec_lo, s27
	s_cbranch_vccz .LBB321_418
; %bb.295:
	v_cmp_gt_i16_e32 vcc_lo, 5, v10
	s_mov_b32 s3, -1
	s_cbranch_vccnz .LBB321_316
; %bb.296:
	v_cmp_gt_i16_e32 vcc_lo, 8, v10
	s_cbranch_vccnz .LBB321_306
; %bb.297:
	v_cmp_gt_i16_e32 vcc_lo, 9, v10
	s_cbranch_vccnz .LBB321_303
; %bb.298:
	v_cmp_lt_i16_e32 vcc_lo, 9, v10
	s_cbranch_vccz .LBB321_300
; %bb.299:
	v_mov_b32_e32 v2, 0
	s_mov_b32 s3, 0
	s_delay_alu instid0(VALU_DEP_1)
	v_mov_b32_e32 v3, v2
	global_store_b128 v[4:5], v[0:3], off
.LBB321_300:
	s_and_not1_b32 vcc_lo, exec_lo, s3
	s_cbranch_vccnz .LBB321_302
; %bb.301:
	v_cvt_f32_f64_e32 v2, v[0:1]
	v_mov_b32_e32 v3, 0
	global_store_b64 v[4:5], v[2:3], off
.LBB321_302:
	s_mov_b32 s3, 0
.LBB321_303:
	s_delay_alu instid0(SALU_CYCLE_1)
	s_and_not1_b32 vcc_lo, exec_lo, s3
	s_cbranch_vccnz .LBB321_305
; %bb.304:
	v_cvt_f32_f64_e32 v2, v[0:1]
	s_delay_alu instid0(VALU_DEP_1) | instskip(NEXT) | instid1(VALU_DEP_1)
	v_cvt_f16_f32_e32 v2, v2
	v_and_b32_e32 v2, 0xffff, v2
	global_store_b32 v[4:5], v2, off
.LBB321_305:
	s_mov_b32 s3, 0
.LBB321_306:
	s_delay_alu instid0(SALU_CYCLE_1)
	s_and_not1_b32 vcc_lo, exec_lo, s3
	s_cbranch_vccnz .LBB321_315
; %bb.307:
	v_cmp_gt_i16_e32 vcc_lo, 6, v10
	s_mov_b32 s3, -1
	s_cbranch_vccnz .LBB321_313
; %bb.308:
	v_cmp_lt_i16_e32 vcc_lo, 6, v10
	s_cbranch_vccz .LBB321_310
; %bb.309:
	s_mov_b32 s3, 0
	global_store_b64 v[4:5], v[0:1], off
.LBB321_310:
	s_and_not1_b32 vcc_lo, exec_lo, s3
	s_cbranch_vccnz .LBB321_312
; %bb.311:
	v_cvt_f32_f64_e32 v2, v[0:1]
	global_store_b32 v[4:5], v2, off
.LBB321_312:
	s_mov_b32 s3, 0
.LBB321_313:
	s_delay_alu instid0(SALU_CYCLE_1)
	s_and_not1_b32 vcc_lo, exec_lo, s3
	s_cbranch_vccnz .LBB321_315
; %bb.314:
	v_cvt_f32_f64_e32 v2, v[0:1]
	s_delay_alu instid0(VALU_DEP_1)
	v_cvt_f16_f32_e32 v2, v2
	global_store_b16 v[4:5], v2, off
.LBB321_315:
	s_mov_b32 s3, 0
.LBB321_316:
	s_delay_alu instid0(SALU_CYCLE_1)
	s_and_not1_b32 vcc_lo, exec_lo, s3
	s_cbranch_vccnz .LBB321_332
; %bb.317:
	v_cmp_gt_i16_e32 vcc_lo, 2, v10
	s_mov_b32 s3, -1
	s_cbranch_vccnz .LBB321_327
; %bb.318:
	v_cmp_gt_i16_e32 vcc_lo, 3, v10
	s_cbranch_vccnz .LBB321_324
; %bb.319:
	v_cmp_lt_i16_e32 vcc_lo, 3, v10
	s_cbranch_vccz .LBB321_321
; %bb.320:
	v_trunc_f64_e32 v[2:3], v[0:1]
	s_mov_b32 s3, 0
	s_delay_alu instid0(VALU_DEP_1) | instskip(NEXT) | instid1(VALU_DEP_1)
	v_ldexp_f64 v[6:7], v[2:3], 0xffffffe0
	v_floor_f64_e32 v[6:7], v[6:7]
	s_delay_alu instid0(VALU_DEP_1) | instskip(SKIP_1) | instid1(VALU_DEP_2)
	v_fma_f64 v[2:3], 0xc1f00000, v[6:7], v[2:3]
	v_cvt_i32_f64_e32 v7, v[6:7]
	v_cvt_u32_f64_e32 v6, v[2:3]
	global_store_b64 v[4:5], v[6:7], off
.LBB321_321:
	s_and_not1_b32 vcc_lo, exec_lo, s3
	s_cbranch_vccnz .LBB321_323
; %bb.322:
	v_cvt_i32_f64_e32 v2, v[0:1]
	global_store_b32 v[4:5], v2, off
.LBB321_323:
	s_mov_b32 s3, 0
.LBB321_324:
	s_delay_alu instid0(SALU_CYCLE_1)
	s_and_not1_b32 vcc_lo, exec_lo, s3
	s_cbranch_vccnz .LBB321_326
; %bb.325:
	v_cvt_i32_f64_e32 v2, v[0:1]
	global_store_b16 v[4:5], v2, off
.LBB321_326:
	s_mov_b32 s3, 0
.LBB321_327:
	s_delay_alu instid0(SALU_CYCLE_1)
	s_and_not1_b32 vcc_lo, exec_lo, s3
	s_cbranch_vccnz .LBB321_332
; %bb.328:
	v_cmp_lt_i16_e32 vcc_lo, 0, v10
	s_mov_b32 s3, -1
	s_cbranch_vccz .LBB321_330
; %bb.329:
	v_cvt_i32_f64_e32 v2, v[0:1]
	s_mov_b32 s3, 0
	global_store_b8 v[4:5], v2, off
.LBB321_330:
	s_and_not1_b32 vcc_lo, exec_lo, s3
	s_cbranch_vccnz .LBB321_332
; %bb.331:
	v_trunc_f64_e32 v[0:1], v[0:1]
	s_delay_alu instid0(VALU_DEP_1) | instskip(NEXT) | instid1(VALU_DEP_1)
	v_ldexp_f64 v[2:3], v[0:1], 0xffffffe0
	v_floor_f64_e32 v[2:3], v[2:3]
	s_delay_alu instid0(VALU_DEP_1) | instskip(NEXT) | instid1(VALU_DEP_1)
	v_fma_f64 v[0:1], 0xc1f00000, v[2:3], v[0:1]
	v_cvt_u32_f64_e32 v0, v[0:1]
	global_store_b8 v[4:5], v0, off
.LBB321_332:
	s_branch .LBB321_419
.LBB321_333:
	s_mov_b32 s3, 0
	s_branch .LBB321_531
.LBB321_334:
	s_mov_b32 s3, -1
	s_mov_b32 s26, s40
                                        ; implicit-def: $vgpr6_vgpr7
	s_branch .LBB321_448
.LBB321_335:
	s_mov_b32 s3, -1
	s_mov_b32 s26, s40
                                        ; implicit-def: $vgpr6_vgpr7
	s_branch .LBB321_427
.LBB321_336:
	s_mov_b32 s2, s39
	s_branch .LBB321_376
.LBB321_337:
	s_mov_b32 s3, -1
	s_mov_b32 s26, s40
                                        ; implicit-def: $vgpr6_vgpr7
	s_branch .LBB321_422
.LBB321_338:
	s_mov_b32 s2, s39
	s_branch .LBB321_359
.LBB321_339:
	s_mov_b32 s3, -1
	s_mov_b32 s26, s40
	s_branch .LBB321_344
.LBB321_340:
	s_mov_b32 s2, s39
	s_branch .LBB321_355
.LBB321_341:
	s_or_saveexec_b32 s39, s39
                                        ; implicit-def: $sgpr40
	s_delay_alu instid0(SALU_CYCLE_1)
	s_xor_b32 exec_lo, exec_lo, s39
	s_cbranch_execz .LBB321_65
.LBB321_342:
	v_add_f32_e64 v3, 0x42800000, |v2|
	s_and_not1_b32 s27, s27, exec_lo
	s_mov_b32 s40, 0
	s_delay_alu instid0(VALU_DEP_1) | instskip(NEXT) | instid1(VALU_DEP_1)
	v_and_b32_e32 v3, 0xff, v3
	v_cmp_ne_u32_e32 vcc_lo, 0, v3
	s_and_b32 s43, vcc_lo, exec_lo
	s_delay_alu instid0(SALU_CYCLE_1)
	s_or_b32 s27, s27, s43
	s_or_b32 exec_lo, exec_lo, s39
	v_mov_b32_e32 v6, s40
	s_and_saveexec_b32 s39, s27
	s_cbranch_execnz .LBB321_66
	s_branch .LBB321_67
.LBB321_343:
	s_mov_b32 s26, -1
.LBB321_344:
                                        ; implicit-def: $vgpr6_vgpr7
.LBB321_345:
	s_and_b32 vcc_lo, exec_lo, s3
	s_cbranch_vccz .LBB321_421
; %bb.346:
	v_cmp_eq_u16_e32 vcc_lo, 44, v8
	s_cbranch_vccz .LBB321_420
; %bb.347:
	global_load_u8 v5, v[1:2], off
	s_mov_b32 s26, 0
	s_mov_b32 s2, -1
	s_waitcnt vmcnt(0)
	v_cmp_ne_u32_e32 vcc_lo, 0xff, v5
	v_lshlrev_b32_e32 v3, 23, v5
	s_delay_alu instid0(VALU_DEP_1) | instskip(NEXT) | instid1(VALU_DEP_1)
	v_cvt_f64_f32_e32 v[3:4], v3
	v_cndmask_b32_e32 v4, 0x7ff80000, v4, vcc_lo
	s_delay_alu instid0(VALU_DEP_2) | instskip(SKIP_1) | instid1(VALU_DEP_3)
	v_cndmask_b32_e32 v3, 0x20000000, v3, vcc_lo
	v_cmp_ne_u32_e32 vcc_lo, 0, v5
	v_cndmask_b32_e32 v7, 0x38000000, v4, vcc_lo
	s_delay_alu instid0(VALU_DEP_3)
	v_cndmask_b32_e32 v6, 0, v3, vcc_lo
	s_branch .LBB321_421
.LBB321_348:
	s_mov_b32 s2, s39
.LBB321_349:
	s_and_b32 vcc_lo, exec_lo, s27
	s_cbranch_vccz .LBB321_354
; %bb.350:
	v_cmp_eq_u16_e32 vcc_lo, 44, v10
	s_mov_b32 s2, -1
	s_cbranch_vccz .LBB321_354
; %bb.351:
	v_cvt_f32_f64_e32 v2, v[0:1]
	v_mov_b32_e32 v3, 0xff
	s_mov_b32 s3, exec_lo
	s_delay_alu instid0(VALU_DEP_2) | instskip(NEXT) | instid1(VALU_DEP_1)
	v_bfe_u32 v6, v2, 23, 8
	v_cmpx_ne_u32_e32 0xff, v6
; %bb.352:
	v_and_b32_e32 v3, 0x400000, v2
	v_and_or_b32 v6, 0x3fffff, v2, v6
	v_lshrrev_b32_e32 v2, 23, v2
	s_delay_alu instid0(VALU_DEP_3) | instskip(NEXT) | instid1(VALU_DEP_3)
	v_cmp_ne_u32_e32 vcc_lo, 0, v3
	v_cmp_ne_u32_e64 s2, 0, v6
	s_delay_alu instid0(VALU_DEP_1) | instskip(NEXT) | instid1(SALU_CYCLE_1)
	s_and_b32 s2, vcc_lo, s2
	v_cndmask_b32_e64 v3, 0, 1, s2
	s_delay_alu instid0(VALU_DEP_1)
	v_add_nc_u32_e32 v3, v2, v3
; %bb.353:
	s_or_b32 exec_lo, exec_lo, s3
	s_mov_b32 s3, -1
	s_mov_b32 s2, 0
	global_store_b8 v[4:5], v3, off
.LBB321_354:
	s_mov_b32 s27, 0
.LBB321_355:
	s_delay_alu instid0(SALU_CYCLE_1)
	s_and_b32 vcc_lo, exec_lo, s27
	s_cbranch_vccz .LBB321_358
; %bb.356:
	v_cmp_eq_u16_e32 vcc_lo, 29, v10
	s_mov_b32 s2, -1
	s_cbranch_vccz .LBB321_358
; %bb.357:
	v_trunc_f64_e32 v[2:3], v[0:1]
	s_mov_b32 s3, -1
	s_mov_b32 s2, 0
	s_mov_b32 s27, 0
	s_delay_alu instid0(VALU_DEP_1) | instskip(NEXT) | instid1(VALU_DEP_1)
	v_ldexp_f64 v[6:7], v[2:3], 0xffffffe0
	v_floor_f64_e32 v[6:7], v[6:7]
	s_delay_alu instid0(VALU_DEP_1) | instskip(SKIP_1) | instid1(VALU_DEP_2)
	v_fma_f64 v[2:3], 0xc1f00000, v[6:7], v[2:3]
	v_cvt_u32_f64_e32 v7, v[6:7]
	v_cvt_u32_f64_e32 v6, v[2:3]
	global_store_b64 v[4:5], v[6:7], off
	s_branch .LBB321_359
.LBB321_358:
	s_mov_b32 s27, 0
.LBB321_359:
	s_delay_alu instid0(SALU_CYCLE_1)
	s_and_b32 vcc_lo, exec_lo, s27
	s_cbranch_vccz .LBB321_375
; %bb.360:
	v_cmp_gt_i16_e32 vcc_lo, 27, v10
	s_mov_b32 s3, -1
	s_cbranch_vccnz .LBB321_366
; %bb.361:
	v_cmp_lt_i16_e32 vcc_lo, 27, v10
	s_cbranch_vccz .LBB321_363
; %bb.362:
	v_cvt_u32_f64_e32 v2, v[0:1]
	s_mov_b32 s3, 0
	global_store_b32 v[4:5], v2, off
.LBB321_363:
	s_and_not1_b32 vcc_lo, exec_lo, s3
	s_cbranch_vccnz .LBB321_365
; %bb.364:
	v_cvt_u32_f64_e32 v2, v[0:1]
	global_store_b16 v[4:5], v2, off
.LBB321_365:
	s_mov_b32 s3, 0
.LBB321_366:
	s_delay_alu instid0(SALU_CYCLE_1)
	s_and_not1_b32 vcc_lo, exec_lo, s3
	s_cbranch_vccnz .LBB321_374
; %bb.367:
	v_cvt_f32_f64_e32 v2, v[0:1]
	v_mov_b32_e32 v6, 0x80
	s_mov_b32 s3, exec_lo
	s_delay_alu instid0(VALU_DEP_2) | instskip(NEXT) | instid1(VALU_DEP_1)
	v_and_b32_e32 v3, 0x7fffffff, v2
	v_cmpx_gt_u32_e32 0x43800000, v3
	s_cbranch_execz .LBB321_373
; %bb.368:
	v_cmp_lt_u32_e32 vcc_lo, 0x3bffffff, v3
	s_mov_b32 s27, 0
                                        ; implicit-def: $vgpr3
	s_and_saveexec_b32 s42, vcc_lo
	s_delay_alu instid0(SALU_CYCLE_1)
	s_xor_b32 s42, exec_lo, s42
	s_cbranch_execz .LBB321_559
; %bb.369:
	v_bfe_u32 v3, v2, 20, 1
	s_mov_b32 s27, exec_lo
	s_delay_alu instid0(VALU_DEP_1) | instskip(NEXT) | instid1(VALU_DEP_1)
	v_add3_u32 v3, v2, v3, 0x487ffff
	v_lshrrev_b32_e32 v3, 20, v3
	s_or_saveexec_b32 s42, s42
                                        ; implicit-def: $sgpr43
	s_delay_alu instid0(SALU_CYCLE_1)
	s_xor_b32 exec_lo, exec_lo, s42
	s_cbranch_execnz .LBB321_560
.LBB321_370:
	s_or_b32 exec_lo, exec_lo, s42
	v_mov_b32_e32 v6, s43
	s_and_saveexec_b32 s42, s27
.LBB321_371:
	v_lshrrev_b32_e32 v2, 24, v2
	s_delay_alu instid0(VALU_DEP_1)
	v_and_or_b32 v6, 0x80, v2, v3
.LBB321_372:
	s_or_b32 exec_lo, exec_lo, s42
.LBB321_373:
	s_delay_alu instid0(SALU_CYCLE_1)
	s_or_b32 exec_lo, exec_lo, s3
	global_store_b8 v[4:5], v6, off
.LBB321_374:
	s_mov_b32 s3, -1
.LBB321_375:
	s_mov_b32 s27, 0
.LBB321_376:
	s_delay_alu instid0(SALU_CYCLE_1)
	s_and_b32 vcc_lo, exec_lo, s27
	s_cbranch_vccz .LBB321_417
; %bb.377:
	v_cmp_lt_i16_e32 vcc_lo, 22, v10
	s_mov_b32 s27, -1
	s_cbranch_vccz .LBB321_409
; %bb.378:
	v_cmp_gt_i16_e32 vcc_lo, 24, v10
	s_mov_b32 s3, -1
	s_cbranch_vccnz .LBB321_398
; %bb.379:
	v_cmp_lt_i16_e32 vcc_lo, 24, v10
	s_cbranch_vccz .LBB321_387
; %bb.380:
	v_cvt_f32_f64_e32 v2, v[0:1]
	v_mov_b32_e32 v6, 0x80
	s_mov_b32 s3, exec_lo
	s_delay_alu instid0(VALU_DEP_2) | instskip(NEXT) | instid1(VALU_DEP_1)
	v_and_b32_e32 v3, 0x7fffffff, v2
	v_cmpx_gt_u32_e32 0x47800000, v3
	s_cbranch_execz .LBB321_386
; %bb.381:
	v_cmp_lt_u32_e32 vcc_lo, 0x37ffffff, v3
	s_mov_b32 s27, 0
                                        ; implicit-def: $vgpr3
	s_and_saveexec_b32 s42, vcc_lo
	s_delay_alu instid0(SALU_CYCLE_1)
	s_xor_b32 s42, exec_lo, s42
	s_cbranch_execz .LBB321_562
; %bb.382:
	v_bfe_u32 v3, v2, 21, 1
	s_mov_b32 s27, exec_lo
	s_delay_alu instid0(VALU_DEP_1) | instskip(NEXT) | instid1(VALU_DEP_1)
	v_add3_u32 v3, v2, v3, 0x88fffff
	v_lshrrev_b32_e32 v3, 21, v3
	s_or_saveexec_b32 s42, s42
                                        ; implicit-def: $sgpr43
	s_delay_alu instid0(SALU_CYCLE_1)
	s_xor_b32 exec_lo, exec_lo, s42
	s_cbranch_execnz .LBB321_563
.LBB321_383:
	s_or_b32 exec_lo, exec_lo, s42
	v_mov_b32_e32 v6, s43
	s_and_saveexec_b32 s42, s27
.LBB321_384:
	v_lshrrev_b32_e32 v2, 24, v2
	s_delay_alu instid0(VALU_DEP_1)
	v_and_or_b32 v6, 0x80, v2, v3
.LBB321_385:
	s_or_b32 exec_lo, exec_lo, s42
.LBB321_386:
	s_delay_alu instid0(SALU_CYCLE_1)
	s_or_b32 exec_lo, exec_lo, s3
	s_mov_b32 s3, 0
	global_store_b8 v[4:5], v6, off
.LBB321_387:
	s_and_b32 vcc_lo, exec_lo, s3
	s_cbranch_vccz .LBB321_397
; %bb.388:
	v_cvt_f32_f64_e32 v2, v[0:1]
	s_mov_b32 s3, exec_lo
                                        ; implicit-def: $vgpr3
	s_delay_alu instid0(VALU_DEP_1) | instskip(NEXT) | instid1(VALU_DEP_1)
	v_and_b32_e32 v6, 0x7fffffff, v2
	v_cmpx_gt_u32_e32 0x43f00000, v6
	s_xor_b32 s3, exec_lo, s3
	s_cbranch_execz .LBB321_394
; %bb.389:
	s_mov_b32 s27, exec_lo
                                        ; implicit-def: $vgpr3
	v_cmpx_lt_u32_e32 0x3c7fffff, v6
	s_xor_b32 s27, exec_lo, s27
; %bb.390:
	v_bfe_u32 v3, v2, 20, 1
	s_delay_alu instid0(VALU_DEP_1) | instskip(NEXT) | instid1(VALU_DEP_1)
	v_add3_u32 v3, v2, v3, 0x407ffff
	v_and_b32_e32 v6, 0xff00000, v3
	v_lshrrev_b32_e32 v3, 20, v3
	s_delay_alu instid0(VALU_DEP_2) | instskip(NEXT) | instid1(VALU_DEP_2)
	v_cmp_ne_u32_e32 vcc_lo, 0x7f00000, v6
	v_cndmask_b32_e32 v3, 0x7e, v3, vcc_lo
; %bb.391:
	s_and_not1_saveexec_b32 s27, s27
; %bb.392:
	v_add_f32_e64 v3, 0x46800000, |v2|
; %bb.393:
	s_or_b32 exec_lo, exec_lo, s27
                                        ; implicit-def: $vgpr6
.LBB321_394:
	s_and_not1_saveexec_b32 s3, s3
; %bb.395:
	v_mov_b32_e32 v3, 0x7f
	v_cmp_lt_u32_e32 vcc_lo, 0x7f800000, v6
	s_delay_alu instid0(VALU_DEP_2)
	v_cndmask_b32_e32 v3, 0x7e, v3, vcc_lo
; %bb.396:
	s_or_b32 exec_lo, exec_lo, s3
	v_lshrrev_b32_e32 v2, 24, v2
	s_delay_alu instid0(VALU_DEP_1)
	v_and_or_b32 v2, 0x80, v2, v3
	global_store_b8 v[4:5], v2, off
.LBB321_397:
	s_mov_b32 s3, 0
.LBB321_398:
	s_delay_alu instid0(SALU_CYCLE_1)
	s_and_not1_b32 vcc_lo, exec_lo, s3
	s_cbranch_vccnz .LBB321_408
; %bb.399:
	v_cvt_f32_f64_e32 v2, v[0:1]
	s_mov_b32 s3, exec_lo
                                        ; implicit-def: $vgpr3
	s_delay_alu instid0(VALU_DEP_1) | instskip(NEXT) | instid1(VALU_DEP_1)
	v_and_b32_e32 v6, 0x7fffffff, v2
	v_cmpx_gt_u32_e32 0x47800000, v6
	s_xor_b32 s3, exec_lo, s3
	s_cbranch_execz .LBB321_405
; %bb.400:
	s_mov_b32 s27, exec_lo
                                        ; implicit-def: $vgpr3
	v_cmpx_lt_u32_e32 0x387fffff, v6
	s_xor_b32 s27, exec_lo, s27
; %bb.401:
	v_bfe_u32 v3, v2, 21, 1
	s_delay_alu instid0(VALU_DEP_1) | instskip(NEXT) | instid1(VALU_DEP_1)
	v_add3_u32 v3, v2, v3, 0x80fffff
	v_lshrrev_b32_e32 v3, 21, v3
; %bb.402:
	s_and_not1_saveexec_b32 s27, s27
; %bb.403:
	v_add_f32_e64 v3, 0x43000000, |v2|
; %bb.404:
	s_or_b32 exec_lo, exec_lo, s27
                                        ; implicit-def: $vgpr6
.LBB321_405:
	s_and_not1_saveexec_b32 s3, s3
; %bb.406:
	v_mov_b32_e32 v3, 0x7f
	v_cmp_lt_u32_e32 vcc_lo, 0x7f800000, v6
	s_delay_alu instid0(VALU_DEP_2)
	v_cndmask_b32_e32 v3, 0x7c, v3, vcc_lo
; %bb.407:
	s_or_b32 exec_lo, exec_lo, s3
	v_lshrrev_b32_e32 v2, 24, v2
	s_delay_alu instid0(VALU_DEP_1)
	v_and_or_b32 v2, 0x80, v2, v3
	global_store_b8 v[4:5], v2, off
.LBB321_408:
	s_mov_b32 s27, 0
	s_mov_b32 s3, -1
.LBB321_409:
	s_and_not1_b32 vcc_lo, exec_lo, s27
	s_cbranch_vccnz .LBB321_417
; %bb.410:
	v_cmp_lt_i16_e32 vcc_lo, 14, v10
	s_mov_b32 s27, -1
	s_cbranch_vccz .LBB321_414
; %bb.411:
	v_cmp_eq_u16_e32 vcc_lo, 15, v10
	s_mov_b32 s2, -1
	s_cbranch_vccz .LBB321_413
; %bb.412:
	v_cvt_f32_f64_e32 v2, v[0:1]
	s_mov_b32 s3, -1
	s_mov_b32 s2, 0
	s_delay_alu instid0(VALU_DEP_1) | instskip(SKIP_1) | instid1(VALU_DEP_2)
	v_bfe_u32 v3, v2, 16, 1
	v_cmp_o_f32_e32 vcc_lo, v2, v2
	v_add3_u32 v3, v2, v3, 0x7fff
	s_delay_alu instid0(VALU_DEP_1) | instskip(NEXT) | instid1(VALU_DEP_1)
	v_lshrrev_b32_e32 v3, 16, v3
	v_cndmask_b32_e32 v2, 0x7fc0, v3, vcc_lo
	global_store_b16 v[4:5], v2, off
.LBB321_413:
	s_mov_b32 s27, 0
.LBB321_414:
	s_delay_alu instid0(SALU_CYCLE_1)
	s_and_b32 vcc_lo, exec_lo, s27
	s_cbranch_vccz .LBB321_417
; %bb.415:
	v_cmp_eq_u16_e32 vcc_lo, 11, v10
	s_mov_b32 s2, -1
	s_cbranch_vccz .LBB321_417
; %bb.416:
	v_cmp_neq_f64_e32 vcc_lo, 0, v[0:1]
	s_mov_b32 s3, -1
	s_mov_b32 s2, 0
	v_cndmask_b32_e64 v2, 0, 1, vcc_lo
	global_store_b8 v[4:5], v2, off
.LBB321_417:
.LBB321_418:
	s_and_not1_b32 vcc_lo, exec_lo, s3
	s_cbranch_vccnz .LBB321_333
.LBB321_419:
	v_add_nc_u32_e32 v9, 0x80, v9
	s_mov_b32 s3, -1
	s_branch .LBB321_532
.LBB321_420:
	s_mov_b32 s26, -1
                                        ; implicit-def: $vgpr6_vgpr7
.LBB321_421:
	s_mov_b32 s3, 0
.LBB321_422:
	s_delay_alu instid0(SALU_CYCLE_1)
	s_and_b32 vcc_lo, exec_lo, s3
	s_cbranch_vccz .LBB321_426
; %bb.423:
	v_cmp_eq_u16_e32 vcc_lo, 29, v8
	s_cbranch_vccz .LBB321_425
; %bb.424:
	global_load_b64 v[3:4], v[1:2], off
	s_mov_b32 s2, -1
	s_mov_b32 s26, 0
	s_mov_b32 s3, 0
	s_waitcnt vmcnt(0)
	v_cvt_f64_u32_e32 v[4:5], v4
	v_cvt_f64_u32_e32 v[6:7], v3
	s_delay_alu instid0(VALU_DEP_2) | instskip(NEXT) | instid1(VALU_DEP_1)
	v_ldexp_f64 v[4:5], v[4:5], 32
	v_add_f64 v[6:7], v[4:5], v[6:7]
	s_branch .LBB321_427
.LBB321_425:
	s_mov_b32 s26, -1
                                        ; implicit-def: $vgpr6_vgpr7
.LBB321_426:
	s_mov_b32 s3, 0
.LBB321_427:
	s_delay_alu instid0(SALU_CYCLE_1)
	s_and_b32 vcc_lo, exec_lo, s3
	s_cbranch_vccz .LBB321_447
; %bb.428:
	v_cmp_gt_i16_e32 vcc_lo, 27, v8
	s_cbranch_vccnz .LBB321_431
; %bb.429:
	v_cmp_lt_i16_e32 vcc_lo, 27, v8
	s_cbranch_vccz .LBB321_432
; %bb.430:
	global_load_b32 v3, v[1:2], off
	s_mov_b32 s2, 0
	s_waitcnt vmcnt(0)
	v_cvt_f64_u32_e32 v[6:7], v3
	s_branch .LBB321_433
.LBB321_431:
	s_mov_b32 s2, -1
                                        ; implicit-def: $vgpr6_vgpr7
	s_branch .LBB321_436
.LBB321_432:
	s_mov_b32 s2, -1
                                        ; implicit-def: $vgpr6_vgpr7
.LBB321_433:
	s_delay_alu instid0(SALU_CYCLE_1)
	s_and_not1_b32 vcc_lo, exec_lo, s2
	s_cbranch_vccnz .LBB321_435
; %bb.434:
	global_load_u16 v3, v[1:2], off
	s_waitcnt vmcnt(0)
	v_cvt_f64_u32_e32 v[6:7], v3
.LBB321_435:
	s_mov_b32 s2, 0
.LBB321_436:
	s_delay_alu instid0(SALU_CYCLE_1)
	s_and_not1_b32 vcc_lo, exec_lo, s2
	s_cbranch_vccnz .LBB321_446
; %bb.437:
	global_load_u8 v3, v[1:2], off
	s_mov_b32 s27, 0
	s_mov_b32 s42, exec_lo
                                        ; implicit-def: $sgpr2_sgpr3
	s_waitcnt vmcnt(0)
	v_cmpx_lt_i16_e32 0x7f, v3
	s_xor_b32 s42, exec_lo, s42
	s_cbranch_execz .LBB321_441
; %bb.438:
	s_mov_b32 s43, -1
	s_mov_b32 s27, exec_lo
                                        ; implicit-def: $sgpr2_sgpr3
	v_cmpx_eq_u16_e32 0x80, v3
; %bb.439:
	s_mov_b32 s3, 0x7ff80000
	s_brev_b32 s2, 4
	s_xor_b32 s43, exec_lo, -1
; %bb.440:
	s_or_b32 exec_lo, exec_lo, s27
	s_delay_alu instid0(SALU_CYCLE_1)
	s_and_b32 s27, s43, exec_lo
.LBB321_441:
	s_or_saveexec_b32 s42, s42
	v_dual_mov_b32 v7, s3 :: v_dual_mov_b32 v6, s2
	s_xor_b32 exec_lo, exec_lo, s42
; %bb.442:
	v_cmp_ne_u16_e32 vcc_lo, 0, v3
	v_mov_b32_e32 v6, 0
	v_mov_b32_e32 v7, 0
	s_and_not1_b32 s2, s27, exec_lo
	s_and_b32 s3, vcc_lo, exec_lo
	s_delay_alu instid0(SALU_CYCLE_1)
	s_or_b32 s27, s2, s3
; %bb.443:
	s_or_b32 exec_lo, exec_lo, s42
	s_and_saveexec_b32 s2, s27
	s_cbranch_execz .LBB321_445
; %bb.444:
	v_and_b32_e32 v4, 0xffff, v3
	v_lshlrev_b32_e32 v3, 24, v3
	s_delay_alu instid0(VALU_DEP_2) | instskip(NEXT) | instid1(VALU_DEP_2)
	v_and_b32_e32 v5, 7, v4
	v_and_b32_e32 v3, 0x80000000, v3
	s_delay_alu instid0(VALU_DEP_2) | instskip(NEXT) | instid1(VALU_DEP_1)
	v_clz_i32_u32_e32 v6, v5
	v_min_u32_e32 v6, 32, v6
	s_delay_alu instid0(VALU_DEP_1) | instskip(SKIP_1) | instid1(VALU_DEP_2)
	v_subrev_nc_u32_e32 v7, 28, v6
	v_sub_nc_u32_e32 v6, 29, v6
	v_lshlrev_b32_e32 v7, v7, v4
	v_bfe_u32 v4, v4, 3, 4
	s_delay_alu instid0(VALU_DEP_2) | instskip(NEXT) | instid1(VALU_DEP_2)
	v_and_b32_e32 v7, 7, v7
	v_cmp_eq_u32_e32 vcc_lo, 0, v4
	s_delay_alu instid0(VALU_DEP_2) | instskip(NEXT) | instid1(VALU_DEP_1)
	v_dual_cndmask_b32 v4, v4, v6 :: v_dual_cndmask_b32 v5, v5, v7
	v_lshl_add_u32 v4, v4, 23, 0x3b800000
	s_delay_alu instid0(VALU_DEP_2) | instskip(NEXT) | instid1(VALU_DEP_1)
	v_lshlrev_b32_e32 v5, 20, v5
	v_or3_b32 v3, v3, v4, v5
	s_delay_alu instid0(VALU_DEP_1)
	v_cvt_f64_f32_e32 v[6:7], v3
.LBB321_445:
	s_or_b32 exec_lo, exec_lo, s2
.LBB321_446:
	s_mov_b32 s2, -1
.LBB321_447:
	s_mov_b32 s3, 0
.LBB321_448:
	s_delay_alu instid0(SALU_CYCLE_1)
	s_and_b32 vcc_lo, exec_lo, s3
	s_cbranch_vccz .LBB321_481
; %bb.449:
	v_cmp_lt_i16_e32 vcc_lo, 22, v8
	s_cbranch_vccz .LBB321_461
; %bb.450:
	v_cmp_gt_i16_e32 vcc_lo, 24, v8
	s_cbranch_vccnz .LBB321_462
; %bb.451:
	v_cmp_lt_i16_e32 vcc_lo, 24, v8
	s_cbranch_vccz .LBB321_463
; %bb.452:
	global_load_u8 v3, v[1:2], off
	s_mov_b32 s27, 0
	s_mov_b32 s42, exec_lo
                                        ; implicit-def: $sgpr2_sgpr3
	s_waitcnt vmcnt(0)
	v_cmpx_lt_i16_e32 0x7f, v3
	s_xor_b32 s42, exec_lo, s42
	s_cbranch_execz .LBB321_456
; %bb.453:
	s_mov_b32 s43, -1
	s_mov_b32 s27, exec_lo
                                        ; implicit-def: $sgpr2_sgpr3
	v_cmpx_eq_u16_e32 0x80, v3
; %bb.454:
	s_mov_b32 s3, 0x7ff80000
	s_brev_b32 s2, 4
	s_xor_b32 s43, exec_lo, -1
; %bb.455:
	s_or_b32 exec_lo, exec_lo, s27
	s_delay_alu instid0(SALU_CYCLE_1)
	s_and_b32 s27, s43, exec_lo
.LBB321_456:
	s_or_saveexec_b32 s42, s42
	v_dual_mov_b32 v7, s3 :: v_dual_mov_b32 v6, s2
	s_xor_b32 exec_lo, exec_lo, s42
; %bb.457:
	v_cmp_ne_u16_e32 vcc_lo, 0, v3
	v_mov_b32_e32 v6, 0
	v_mov_b32_e32 v7, 0
	s_and_not1_b32 s2, s27, exec_lo
	s_and_b32 s3, vcc_lo, exec_lo
	s_delay_alu instid0(SALU_CYCLE_1)
	s_or_b32 s27, s2, s3
; %bb.458:
	s_or_b32 exec_lo, exec_lo, s42
	s_and_saveexec_b32 s2, s27
	s_cbranch_execz .LBB321_460
; %bb.459:
	v_and_b32_e32 v4, 0xffff, v3
	v_lshlrev_b32_e32 v3, 24, v3
	s_delay_alu instid0(VALU_DEP_2) | instskip(NEXT) | instid1(VALU_DEP_2)
	v_and_b32_e32 v5, 3, v4
	v_and_b32_e32 v3, 0x80000000, v3
	s_delay_alu instid0(VALU_DEP_2) | instskip(NEXT) | instid1(VALU_DEP_1)
	v_clz_i32_u32_e32 v6, v5
	v_min_u32_e32 v6, 32, v6
	s_delay_alu instid0(VALU_DEP_1) | instskip(SKIP_1) | instid1(VALU_DEP_2)
	v_subrev_nc_u32_e32 v7, 29, v6
	v_sub_nc_u32_e32 v6, 30, v6
	v_lshlrev_b32_e32 v7, v7, v4
	v_bfe_u32 v4, v4, 2, 5
	s_delay_alu instid0(VALU_DEP_2) | instskip(NEXT) | instid1(VALU_DEP_2)
	v_and_b32_e32 v7, 3, v7
	v_cmp_eq_u32_e32 vcc_lo, 0, v4
	s_delay_alu instid0(VALU_DEP_2) | instskip(NEXT) | instid1(VALU_DEP_1)
	v_dual_cndmask_b32 v4, v4, v6 :: v_dual_cndmask_b32 v5, v5, v7
	v_lshl_add_u32 v4, v4, 23, 0x37800000
	s_delay_alu instid0(VALU_DEP_2) | instskip(NEXT) | instid1(VALU_DEP_1)
	v_lshlrev_b32_e32 v5, 21, v5
	v_or3_b32 v3, v3, v4, v5
	s_delay_alu instid0(VALU_DEP_1)
	v_cvt_f64_f32_e32 v[6:7], v3
.LBB321_460:
	s_or_b32 exec_lo, exec_lo, s2
	s_mov_b32 s2, 0
	s_branch .LBB321_464
.LBB321_461:
	s_mov_b32 s3, -1
                                        ; implicit-def: $vgpr6_vgpr7
	s_branch .LBB321_470
.LBB321_462:
	s_mov_b32 s2, -1
                                        ; implicit-def: $vgpr6_vgpr7
	s_branch .LBB321_467
.LBB321_463:
	s_mov_b32 s2, -1
                                        ; implicit-def: $vgpr6_vgpr7
.LBB321_464:
	s_delay_alu instid0(SALU_CYCLE_1)
	s_and_b32 vcc_lo, exec_lo, s2
	s_cbranch_vccz .LBB321_466
; %bb.465:
	global_load_u8 v3, v[1:2], off
	s_waitcnt vmcnt(0)
	v_lshlrev_b32_e32 v3, 24, v3
	s_delay_alu instid0(VALU_DEP_1) | instskip(NEXT) | instid1(VALU_DEP_1)
	v_and_b32_e32 v4, 0x7f000000, v3
	v_clz_i32_u32_e32 v5, v4
	v_add_nc_u32_e32 v7, 0x1000000, v4
	v_cmp_ne_u32_e32 vcc_lo, 0, v4
	s_delay_alu instid0(VALU_DEP_3) | instskip(NEXT) | instid1(VALU_DEP_1)
	v_min_u32_e32 v5, 32, v5
	v_sub_nc_u32_e64 v5, v5, 4 clamp
	s_delay_alu instid0(VALU_DEP_1) | instskip(SKIP_1) | instid1(VALU_DEP_2)
	v_lshlrev_b32_e32 v6, v5, v4
	v_lshlrev_b32_e32 v5, 23, v5
	v_lshrrev_b32_e32 v6, 4, v6
	s_delay_alu instid0(VALU_DEP_1) | instskip(SKIP_1) | instid1(VALU_DEP_2)
	v_sub_nc_u32_e32 v5, v6, v5
	v_ashrrev_i32_e32 v6, 8, v7
	v_add_nc_u32_e32 v5, 0x3c000000, v5
	s_delay_alu instid0(VALU_DEP_1) | instskip(NEXT) | instid1(VALU_DEP_1)
	v_and_or_b32 v5, 0x7f800000, v6, v5
	v_cndmask_b32_e32 v4, 0, v5, vcc_lo
	s_delay_alu instid0(VALU_DEP_1) | instskip(NEXT) | instid1(VALU_DEP_1)
	v_and_or_b32 v3, 0x80000000, v3, v4
	v_cvt_f64_f32_e32 v[6:7], v3
.LBB321_466:
	s_mov_b32 s2, 0
.LBB321_467:
	s_delay_alu instid0(SALU_CYCLE_1)
	s_and_not1_b32 vcc_lo, exec_lo, s2
	s_cbranch_vccnz .LBB321_469
; %bb.468:
	global_load_u8 v3, v[1:2], off
	s_waitcnt vmcnt(0)
	v_lshlrev_b32_e32 v4, 25, v3
	v_lshlrev_b16 v3, 8, v3
	s_delay_alu instid0(VALU_DEP_2) | instskip(NEXT) | instid1(VALU_DEP_2)
	v_lshrrev_b32_e32 v5, 4, v4
	v_and_or_b32 v6, 0x7f00, v3, 0.5
	v_bfe_i32 v3, v3, 0, 16
	s_delay_alu instid0(VALU_DEP_3) | instskip(NEXT) | instid1(VALU_DEP_1)
	v_or_b32_e32 v5, 0x70000000, v5
	v_dual_add_f32 v6, -0.5, v6 :: v_dual_mul_f32 v5, 0x7800000, v5
	v_cmp_gt_u32_e32 vcc_lo, 0x8000000, v4
	s_delay_alu instid0(VALU_DEP_2) | instskip(NEXT) | instid1(VALU_DEP_1)
	v_cndmask_b32_e32 v4, v5, v6, vcc_lo
	v_and_or_b32 v3, 0x80000000, v3, v4
	s_delay_alu instid0(VALU_DEP_1)
	v_cvt_f64_f32_e32 v[6:7], v3
.LBB321_469:
	s_mov_b32 s3, 0
	s_mov_b32 s2, -1
.LBB321_470:
	s_and_not1_b32 vcc_lo, exec_lo, s3
	s_cbranch_vccnz .LBB321_481
; %bb.471:
	v_cmp_lt_i16_e32 vcc_lo, 14, v8
	s_cbranch_vccz .LBB321_474
; %bb.472:
	v_cmp_eq_u16_e32 vcc_lo, 15, v8
	s_cbranch_vccz .LBB321_475
; %bb.473:
	global_load_u16 v3, v[1:2], off
	s_mov_b32 s2, -1
	s_mov_b32 s26, 0
	s_waitcnt vmcnt(0)
	v_lshlrev_b32_e32 v3, 16, v3
	s_delay_alu instid0(VALU_DEP_1)
	v_cvt_f64_f32_e32 v[6:7], v3
	s_branch .LBB321_476
.LBB321_474:
	s_mov_b32 s3, -1
                                        ; implicit-def: $vgpr6_vgpr7
	s_branch .LBB321_477
.LBB321_475:
	s_mov_b32 s26, -1
                                        ; implicit-def: $vgpr6_vgpr7
.LBB321_476:
	s_mov_b32 s3, 0
.LBB321_477:
	s_delay_alu instid0(SALU_CYCLE_1)
	s_and_b32 vcc_lo, exec_lo, s3
	s_cbranch_vccz .LBB321_481
; %bb.478:
	v_cmp_eq_u16_e32 vcc_lo, 11, v8
	s_cbranch_vccz .LBB321_480
; %bb.479:
	global_load_u8 v3, v[1:2], off
	s_waitcnt vmcnt(1)
	v_mov_b32_e32 v6, 0
	s_mov_b32 s26, 0
	s_mov_b32 s2, -1
	s_waitcnt vmcnt(0)
	v_cmp_ne_u16_e32 vcc_lo, 0, v3
	v_cndmask_b32_e64 v7, 0, 0x3ff00000, vcc_lo
	s_branch .LBB321_481
.LBB321_480:
	s_mov_b32 s26, -1
                                        ; implicit-def: $vgpr6_vgpr7
.LBB321_481:
	s_branch .LBB321_286
.LBB321_482:
	v_cmp_gt_i16_e32 vcc_lo, 5, v8
	s_cbranch_vccnz .LBB321_487
; %bb.483:
	v_cmp_gt_i16_e32 vcc_lo, 8, v8
	s_cbranch_vccnz .LBB321_488
; %bb.484:
	;; [unrolled: 3-line block ×3, first 2 shown]
	v_cmp_lt_i16_e32 vcc_lo, 9, v8
	s_cbranch_vccz .LBB321_490
; %bb.486:
	global_load_b64 v[6:7], v[1:2], off
	s_mov_b32 s2, 0
	s_branch .LBB321_491
.LBB321_487:
	s_mov_b32 s2, -1
                                        ; implicit-def: $vgpr6_vgpr7
	s_branch .LBB321_509
.LBB321_488:
	s_mov_b32 s2, -1
                                        ; implicit-def: $vgpr6_vgpr7
	s_branch .LBB321_497
.LBB321_489:
	s_mov_b32 s2, -1
                                        ; implicit-def: $vgpr6_vgpr7
	s_branch .LBB321_494
.LBB321_490:
	s_mov_b32 s2, -1
                                        ; implicit-def: $vgpr6_vgpr7
.LBB321_491:
	s_delay_alu instid0(SALU_CYCLE_1)
	s_and_not1_b32 vcc_lo, exec_lo, s2
	s_cbranch_vccnz .LBB321_493
; %bb.492:
	global_load_b32 v3, v[1:2], off
	s_waitcnt vmcnt(0)
	v_cvt_f64_f32_e32 v[6:7], v3
.LBB321_493:
	s_mov_b32 s2, 0
.LBB321_494:
	s_delay_alu instid0(SALU_CYCLE_1)
	s_and_not1_b32 vcc_lo, exec_lo, s2
	s_cbranch_vccnz .LBB321_496
; %bb.495:
	global_load_b32 v3, v[1:2], off
	s_waitcnt vmcnt(0)
	v_cvt_f32_f16_e32 v3, v3
	s_delay_alu instid0(VALU_DEP_1)
	v_cvt_f64_f32_e32 v[6:7], v3
.LBB321_496:
	s_mov_b32 s2, 0
.LBB321_497:
	s_delay_alu instid0(SALU_CYCLE_1)
	s_and_not1_b32 vcc_lo, exec_lo, s2
	s_cbranch_vccnz .LBB321_508
; %bb.498:
	v_cmp_gt_i16_e32 vcc_lo, 6, v8
	s_cbranch_vccnz .LBB321_501
; %bb.499:
	v_cmp_lt_i16_e32 vcc_lo, 6, v8
	s_cbranch_vccz .LBB321_502
; %bb.500:
	global_load_b64 v[6:7], v[1:2], off
	s_mov_b32 s2, 0
	s_branch .LBB321_503
.LBB321_501:
	s_mov_b32 s2, -1
                                        ; implicit-def: $vgpr6_vgpr7
	s_branch .LBB321_506
.LBB321_502:
	s_mov_b32 s2, -1
                                        ; implicit-def: $vgpr6_vgpr7
.LBB321_503:
	s_delay_alu instid0(SALU_CYCLE_1)
	s_and_not1_b32 vcc_lo, exec_lo, s2
	s_cbranch_vccnz .LBB321_505
; %bb.504:
	global_load_b32 v3, v[1:2], off
	s_waitcnt vmcnt(0)
	v_cvt_f64_f32_e32 v[6:7], v3
.LBB321_505:
	s_mov_b32 s2, 0
.LBB321_506:
	s_delay_alu instid0(SALU_CYCLE_1)
	s_and_not1_b32 vcc_lo, exec_lo, s2
	s_cbranch_vccnz .LBB321_508
; %bb.507:
	global_load_u16 v3, v[1:2], off
	s_waitcnt vmcnt(0)
	v_cvt_f32_f16_e32 v3, v3
	s_delay_alu instid0(VALU_DEP_1)
	v_cvt_f64_f32_e32 v[6:7], v3
.LBB321_508:
	s_mov_b32 s2, 0
.LBB321_509:
	s_delay_alu instid0(SALU_CYCLE_1)
	s_and_not1_b32 vcc_lo, exec_lo, s2
	s_cbranch_vccnz .LBB321_529
; %bb.510:
	v_cmp_gt_i16_e32 vcc_lo, 2, v8
	s_cbranch_vccnz .LBB321_514
; %bb.511:
	v_cmp_gt_i16_e32 vcc_lo, 3, v8
	s_cbranch_vccnz .LBB321_515
; %bb.512:
	v_cmp_lt_i16_e32 vcc_lo, 3, v8
	s_cbranch_vccz .LBB321_516
; %bb.513:
	global_load_b64 v[3:4], v[1:2], off
	s_mov_b32 s2, 0
	s_waitcnt vmcnt(0)
	v_cvt_f64_i32_e32 v[4:5], v4
	v_cvt_f64_u32_e32 v[6:7], v3
	s_delay_alu instid0(VALU_DEP_2) | instskip(NEXT) | instid1(VALU_DEP_1)
	v_ldexp_f64 v[4:5], v[4:5], 32
	v_add_f64 v[6:7], v[4:5], v[6:7]
	s_branch .LBB321_517
.LBB321_514:
	s_mov_b32 s2, -1
                                        ; implicit-def: $vgpr6_vgpr7
	s_branch .LBB321_523
.LBB321_515:
	s_mov_b32 s2, -1
                                        ; implicit-def: $vgpr6_vgpr7
	s_branch .LBB321_520
.LBB321_516:
	s_mov_b32 s2, -1
                                        ; implicit-def: $vgpr6_vgpr7
.LBB321_517:
	s_delay_alu instid0(SALU_CYCLE_1)
	s_and_not1_b32 vcc_lo, exec_lo, s2
	s_cbranch_vccnz .LBB321_519
; %bb.518:
	global_load_b32 v3, v[1:2], off
	s_waitcnt vmcnt(0)
	v_cvt_f64_i32_e32 v[6:7], v3
.LBB321_519:
	s_mov_b32 s2, 0
.LBB321_520:
	s_delay_alu instid0(SALU_CYCLE_1)
	s_and_not1_b32 vcc_lo, exec_lo, s2
	s_cbranch_vccnz .LBB321_522
; %bb.521:
	global_load_i16 v3, v[1:2], off
	s_waitcnt vmcnt(0)
	v_cvt_f64_i32_e32 v[6:7], v3
.LBB321_522:
	s_mov_b32 s2, 0
.LBB321_523:
	s_delay_alu instid0(SALU_CYCLE_1)
	s_and_not1_b32 vcc_lo, exec_lo, s2
	s_cbranch_vccnz .LBB321_529
; %bb.524:
	v_cmp_lt_i16_e32 vcc_lo, 0, v8
	s_mov_b32 s2, 0
	s_cbranch_vccz .LBB321_526
; %bb.525:
	global_load_i8 v3, v[1:2], off
	s_waitcnt vmcnt(0)
	v_cvt_f64_i32_e32 v[6:7], v3
	s_branch .LBB321_527
.LBB321_526:
	s_mov_b32 s2, -1
                                        ; implicit-def: $vgpr6_vgpr7
.LBB321_527:
	s_delay_alu instid0(SALU_CYCLE_1)
	s_and_not1_b32 vcc_lo, exec_lo, s2
	s_cbranch_vccnz .LBB321_529
; %bb.528:
	global_load_u8 v1, v[1:2], off
	s_waitcnt vmcnt(0)
	v_cvt_f64_u32_e32 v[6:7], v1
.LBB321_529:
	s_branch .LBB321_287
.LBB321_530:
	s_mov_b32 s3, 0
	s_mov_b32 s2, s39
.LBB321_531:
                                        ; implicit-def: $vgpr9
.LBB321_532:
	s_and_not1_b32 s27, s39, exec_lo
	s_and_b32 s2, s2, exec_lo
	s_and_not1_b32 s42, s40, exec_lo
	s_and_b32 s26, s26, exec_lo
	s_or_b32 s43, s27, s2
	s_or_b32 s42, s42, s26
	s_or_not1_b32 s2, s3, exec_lo
.LBB321_533:
	s_or_b32 exec_lo, exec_lo, s44
	s_mov_b32 s3, 0
	s_mov_b32 s27, 0
	s_mov_b32 s45, 0
                                        ; implicit-def: $vgpr0_vgpr1
                                        ; implicit-def: $vgpr2
                                        ; implicit-def: $vgpr6_vgpr7
	s_and_saveexec_b32 s44, s2
	s_cbranch_execz .LBB321_905
; %bb.534:
	s_mov_b32 s47, -1
	s_mov_b32 s26, s42
	s_mov_b32 s27, s43
	s_mov_b32 s45, exec_lo
	v_cmpx_gt_i32_e64 s36, v9
	s_cbranch_execz .LBB321_806
; %bb.535:
	s_and_not1_b32 vcc_lo, exec_lo, s31
	s_cbranch_vccnz .LBB321_540
; %bb.536:
	v_dual_mov_b32 v0, 0 :: v_dual_mov_b32 v1, 0
	s_and_not1_b32 vcc_lo, exec_lo, s38
	s_mov_b32 s46, 0
	s_cbranch_vccnz .LBB321_545
; %bb.537:
	v_mov_b32_e32 v0, 0
	s_add_i32 s48, s37, 1
	s_cmp_eq_u32 s29, 2
	s_mov_b32 s47, 0
	s_cbranch_scc1 .LBB321_541
; %bb.538:
	v_dual_mov_b32 v1, 0 :: v_dual_mov_b32 v0, 0
	v_mov_b32_e32 v2, v9
	s_and_b32 s47, s48, 28
	s_mov_b32 s49, 0
	s_mov_b64 s[2:3], s[24:25]
	s_mov_b64 s[26:27], s[20:21]
.LBB321_539:                            ; =>This Inner Loop Header: Depth=1
	s_clause 0x1
	s_load_b256 s[52:59], s[26:27], 0x4
	s_load_b128 s[68:71], s[26:27], 0x24
	s_load_b256 s[60:67], s[2:3], 0x0
	s_add_u32 s26, s26, 48
	s_addc_u32 s27, s27, 0
	s_add_i32 s49, s49, 4
	s_add_u32 s2, s2, 32
	s_addc_u32 s3, s3, 0
	s_cmp_eq_u32 s47, s49
	s_waitcnt lgkmcnt(0)
	v_mul_hi_u32 v3, s53, v2
	s_delay_alu instid0(VALU_DEP_1) | instskip(NEXT) | instid1(VALU_DEP_1)
	v_add_nc_u32_e32 v3, v2, v3
	v_lshrrev_b32_e32 v3, s54, v3
	s_delay_alu instid0(VALU_DEP_1) | instskip(SKIP_2) | instid1(VALU_DEP_2)
	v_mul_hi_u32 v4, s56, v3
	s_waitcnt vmcnt(0)
	v_mul_lo_u32 v6, v3, s52
	v_add_nc_u32_e32 v4, v3, v4
	s_delay_alu instid0(VALU_DEP_2) | instskip(NEXT) | instid1(VALU_DEP_2)
	v_sub_nc_u32_e32 v2, v2, v6
	v_lshrrev_b32_e32 v4, s57, v4
	s_delay_alu instid0(VALU_DEP_2) | instskip(SKIP_1) | instid1(VALU_DEP_3)
	v_mul_lo_u32 v6, v2, s60
	v_mul_lo_u32 v10, v2, s61
	v_mul_hi_u32 v5, s59, v4
	s_delay_alu instid0(VALU_DEP_1) | instskip(NEXT) | instid1(VALU_DEP_1)
	v_add_nc_u32_e32 v5, v4, v5
	v_lshrrev_b32_e32 v5, s68, v5
	s_delay_alu instid0(VALU_DEP_1) | instskip(SKIP_1) | instid1(VALU_DEP_2)
	v_mul_hi_u32 v7, s70, v5
	v_mul_lo_u32 v11, v5, s58
	v_add_nc_u32_e32 v2, v5, v7
	v_mul_lo_u32 v7, v4, s55
	s_delay_alu instid0(VALU_DEP_3) | instskip(NEXT) | instid1(VALU_DEP_3)
	v_sub_nc_u32_e32 v4, v4, v11
	v_lshrrev_b32_e32 v2, s71, v2
	s_delay_alu instid0(VALU_DEP_2) | instskip(SKIP_2) | instid1(VALU_DEP_4)
	v_mul_lo_u32 v11, v4, s64
	v_mul_lo_u32 v4, v4, s65
	v_sub_nc_u32_e32 v3, v3, v7
	v_mul_lo_u32 v12, v2, s69
	s_delay_alu instid0(VALU_DEP_2) | instskip(SKIP_1) | instid1(VALU_DEP_3)
	v_mul_lo_u32 v7, v3, s62
	v_mul_lo_u32 v3, v3, s63
	v_sub_nc_u32_e32 v5, v5, v12
	s_delay_alu instid0(VALU_DEP_3) | instskip(NEXT) | instid1(VALU_DEP_2)
	v_add3_u32 v0, v6, v0, v7
	v_mul_lo_u32 v12, v5, s66
	v_mul_lo_u32 v5, v5, s67
	v_add3_u32 v1, v10, v1, v3
	s_delay_alu instid0(VALU_DEP_3) | instskip(NEXT) | instid1(VALU_DEP_2)
	v_add3_u32 v0, v11, v0, v12
	v_add3_u32 v1, v4, v1, v5
	s_cbranch_scc0 .LBB321_539
	s_branch .LBB321_542
.LBB321_540:
	s_mov_b32 s46, -1
                                        ; implicit-def: $vgpr0
                                        ; implicit-def: $vgpr1
	s_branch .LBB321_545
.LBB321_541:
	v_dual_mov_b32 v2, v9 :: v_dual_mov_b32 v1, 0
.LBB321_542:
	s_and_b32 s48, s48, 3
	s_delay_alu instid0(SALU_CYCLE_1)
	s_cmp_eq_u32 s48, 0
	s_cbranch_scc1 .LBB321_545
; %bb.543:
	s_lshl_b32 s2, s47, 3
	s_mul_i32 s26, s47, 12
	s_add_u32 s2, s2, s20
	s_addc_u32 s3, s21, 0
	s_add_u32 s2, s2, 0xc4
	s_addc_u32 s3, s3, 0
	;; [unrolled: 2-line block ×3, first 2 shown]
	.p2align	6
.LBB321_544:                            ; =>This Inner Loop Header: Depth=1
	s_clause 0x1
	s_load_b64 s[50:51], s[26:27], 0x4
	s_load_b32 s47, s[26:27], 0xc
	s_load_b64 s[52:53], s[2:3], 0x0
	s_add_u32 s26, s26, 12
	s_addc_u32 s27, s27, 0
	s_add_u32 s2, s2, 8
	s_addc_u32 s3, s3, 0
	s_add_i32 s48, s48, -1
	s_delay_alu instid0(SALU_CYCLE_1) | instskip(SKIP_2) | instid1(VALU_DEP_1)
	s_cmp_lg_u32 s48, 0
	s_waitcnt lgkmcnt(0)
	v_mul_hi_u32 v3, s51, v2
	v_add_nc_u32_e32 v3, v2, v3
	s_waitcnt vmcnt(0)
	s_delay_alu instid0(VALU_DEP_1) | instskip(NEXT) | instid1(VALU_DEP_1)
	v_lshrrev_b32_e32 v6, s47, v3
	v_mul_lo_u32 v3, v6, s50
	s_delay_alu instid0(VALU_DEP_1) | instskip(NEXT) | instid1(VALU_DEP_1)
	v_sub_nc_u32_e32 v2, v2, v3
	v_mad_u64_u32 v[3:4], null, v2, s52, v[0:1]
	v_mad_u64_u32 v[4:5], null, v2, s53, v[1:2]
	v_mov_b32_e32 v2, v6
	s_delay_alu instid0(VALU_DEP_2)
	v_dual_mov_b32 v0, v3 :: v_dual_mov_b32 v1, v4
	s_cbranch_scc1 .LBB321_544
.LBB321_545:
	s_and_not1_b32 vcc_lo, exec_lo, s46
	s_cbranch_vccnz .LBB321_548
; %bb.546:
	v_mul_hi_u32 v0, s17, v9
	s_and_not1_b32 vcc_lo, exec_lo, s35
	s_delay_alu instid0(VALU_DEP_1) | instskip(NEXT) | instid1(VALU_DEP_1)
	v_add_nc_u32_e32 v0, v9, v0
	v_lshrrev_b32_e32 v2, s18, v0
	s_delay_alu instid0(VALU_DEP_1) | instskip(NEXT) | instid1(VALU_DEP_1)
	v_mul_lo_u32 v0, v2, s16
	v_sub_nc_u32_e32 v1, v9, v0
	s_delay_alu instid0(VALU_DEP_1)
	v_mul_lo_u32 v0, v1, s12
	v_mul_lo_u32 v1, v1, s13
	s_cbranch_vccnz .LBB321_548
; %bb.547:
	v_mul_hi_u32 v3, s22, v2
	s_delay_alu instid0(VALU_DEP_1) | instskip(NEXT) | instid1(VALU_DEP_1)
	v_add_nc_u32_e32 v3, v2, v3
	v_lshrrev_b32_e32 v3, s23, v3
	s_delay_alu instid0(VALU_DEP_1) | instskip(NEXT) | instid1(VALU_DEP_1)
	v_mul_lo_u32 v3, v3, s19
	v_sub_nc_u32_e32 v5, v2, v3
	s_delay_alu instid0(VALU_DEP_1) | instskip(NEXT) | instid1(VALU_DEP_1)
	v_mad_u64_u32 v[2:3], null, v5, s14, v[0:1]
	v_mad_u64_u32 v[3:4], null, v5, s15, v[1:2]
	s_delay_alu instid0(VALU_DEP_1)
	v_dual_mov_b32 v0, v2 :: v_dual_mov_b32 v1, v3
.LBB321_548:
	v_cmp_gt_i16_e32 vcc_lo, 11, v8
	s_delay_alu instid0(VALU_DEP_2) | instskip(NEXT) | instid1(VALU_DEP_1)
	v_add_co_u32 v1, s2, s6, v1
	v_add_co_ci_u32_e64 v2, null, s7, 0, s2
	s_mov_b32 s2, 0
	s_cbranch_vccnz .LBB321_555
; %bb.549:
	v_cmp_lt_i16_e32 vcc_lo, 25, v8
	s_cbranch_vccz .LBB321_556
; %bb.550:
	v_cmp_lt_i16_e32 vcc_lo, 28, v8
	s_cbranch_vccz .LBB321_557
	;; [unrolled: 3-line block ×4, first 2 shown]
; %bb.553:
	v_cmp_eq_u16_e32 vcc_lo, 46, v8
	s_mov_b32 s3, 0
	s_cbranch_vccz .LBB321_564
; %bb.554:
	global_load_b32 v3, v[1:2], off
	s_mov_b32 s2, -1
	s_mov_b32 s26, 0
	s_waitcnt vmcnt(0)
	v_lshlrev_b32_e32 v3, 16, v3
	s_delay_alu instid0(VALU_DEP_1)
	v_cvt_f64_f32_e32 v[6:7], v3
	s_branch .LBB321_566
.LBB321_555:
	s_mov_b32 s3, -1
	s_mov_b32 s26, s42
                                        ; implicit-def: $vgpr6_vgpr7
	s_branch .LBB321_631
.LBB321_556:
	s_mov_b32 s3, -1
	s_mov_b32 s26, s42
                                        ; implicit-def: $vgpr6_vgpr7
	s_branch .LBB321_597
.LBB321_557:
	s_mov_b32 s3, -1
	s_mov_b32 s26, s42
                                        ; implicit-def: $vgpr6_vgpr7
	s_branch .LBB321_576
.LBB321_558:
	s_mov_b32 s3, -1
	s_mov_b32 s26, s42
                                        ; implicit-def: $vgpr6_vgpr7
	s_branch .LBB321_571
.LBB321_559:
	s_or_saveexec_b32 s42, s42
                                        ; implicit-def: $sgpr43
	s_delay_alu instid0(SALU_CYCLE_1)
	s_xor_b32 exec_lo, exec_lo, s42
	s_cbranch_execz .LBB321_370
.LBB321_560:
	v_add_f32_e64 v3, 0x46000000, |v2|
	s_and_not1_b32 s27, s27, exec_lo
	s_mov_b32 s43, 0
	s_delay_alu instid0(VALU_DEP_1) | instskip(NEXT) | instid1(VALU_DEP_1)
	v_and_b32_e32 v3, 0xff, v3
	v_cmp_ne_u32_e32 vcc_lo, 0, v3
	s_and_b32 s45, vcc_lo, exec_lo
	s_delay_alu instid0(SALU_CYCLE_1)
	s_or_b32 s27, s27, s45
	s_or_b32 exec_lo, exec_lo, s42
	v_mov_b32_e32 v6, s43
	s_and_saveexec_b32 s42, s27
	s_cbranch_execnz .LBB321_371
	s_branch .LBB321_372
.LBB321_561:
	s_mov_b32 s3, -1
	s_mov_b32 s26, s42
	s_branch .LBB321_565
.LBB321_562:
	s_or_saveexec_b32 s42, s42
                                        ; implicit-def: $sgpr43
	s_delay_alu instid0(SALU_CYCLE_1)
	s_xor_b32 exec_lo, exec_lo, s42
	s_cbranch_execz .LBB321_383
.LBB321_563:
	v_add_f32_e64 v3, 0x42800000, |v2|
	s_and_not1_b32 s27, s27, exec_lo
	s_mov_b32 s43, 0
	s_delay_alu instid0(VALU_DEP_1) | instskip(NEXT) | instid1(VALU_DEP_1)
	v_and_b32_e32 v3, 0xff, v3
	v_cmp_ne_u32_e32 vcc_lo, 0, v3
	s_and_b32 s45, vcc_lo, exec_lo
	s_delay_alu instid0(SALU_CYCLE_1)
	s_or_b32 s27, s27, s45
	s_or_b32 exec_lo, exec_lo, s42
	v_mov_b32_e32 v6, s43
	s_and_saveexec_b32 s42, s27
	s_cbranch_execnz .LBB321_384
	s_branch .LBB321_385
.LBB321_564:
	s_mov_b32 s26, -1
.LBB321_565:
                                        ; implicit-def: $vgpr6_vgpr7
.LBB321_566:
	s_and_b32 vcc_lo, exec_lo, s3
	s_cbranch_vccz .LBB321_570
; %bb.567:
	v_cmp_eq_u16_e32 vcc_lo, 44, v8
	s_cbranch_vccz .LBB321_569
; %bb.568:
	global_load_u8 v5, v[1:2], off
	s_mov_b32 s26, 0
	s_mov_b32 s2, -1
	s_waitcnt vmcnt(0)
	v_cmp_ne_u32_e32 vcc_lo, 0xff, v5
	v_lshlrev_b32_e32 v3, 23, v5
	s_delay_alu instid0(VALU_DEP_1) | instskip(NEXT) | instid1(VALU_DEP_1)
	v_cvt_f64_f32_e32 v[3:4], v3
	v_cndmask_b32_e32 v4, 0x7ff80000, v4, vcc_lo
	s_delay_alu instid0(VALU_DEP_2) | instskip(SKIP_1) | instid1(VALU_DEP_3)
	v_cndmask_b32_e32 v3, 0x20000000, v3, vcc_lo
	v_cmp_ne_u32_e32 vcc_lo, 0, v5
	v_cndmask_b32_e32 v7, 0x38000000, v4, vcc_lo
	s_delay_alu instid0(VALU_DEP_3)
	v_cndmask_b32_e32 v6, 0, v3, vcc_lo
	s_branch .LBB321_570
.LBB321_569:
	s_mov_b32 s26, -1
                                        ; implicit-def: $vgpr6_vgpr7
.LBB321_570:
	s_mov_b32 s3, 0
.LBB321_571:
	s_delay_alu instid0(SALU_CYCLE_1)
	s_and_b32 vcc_lo, exec_lo, s3
	s_cbranch_vccz .LBB321_575
; %bb.572:
	v_cmp_eq_u16_e32 vcc_lo, 29, v8
	s_cbranch_vccz .LBB321_574
; %bb.573:
	global_load_b64 v[3:4], v[1:2], off
	s_mov_b32 s2, -1
	s_mov_b32 s26, 0
	s_mov_b32 s3, 0
	s_waitcnt vmcnt(0)
	v_cvt_f64_u32_e32 v[4:5], v4
	v_cvt_f64_u32_e32 v[6:7], v3
	s_delay_alu instid0(VALU_DEP_2) | instskip(NEXT) | instid1(VALU_DEP_1)
	v_ldexp_f64 v[4:5], v[4:5], 32
	v_add_f64 v[6:7], v[4:5], v[6:7]
	s_branch .LBB321_576
.LBB321_574:
	s_mov_b32 s26, -1
                                        ; implicit-def: $vgpr6_vgpr7
.LBB321_575:
	s_mov_b32 s3, 0
.LBB321_576:
	s_delay_alu instid0(SALU_CYCLE_1)
	s_and_b32 vcc_lo, exec_lo, s3
	s_cbranch_vccz .LBB321_596
; %bb.577:
	v_cmp_gt_i16_e32 vcc_lo, 27, v8
	s_cbranch_vccnz .LBB321_580
; %bb.578:
	v_cmp_lt_i16_e32 vcc_lo, 27, v8
	s_cbranch_vccz .LBB321_581
; %bb.579:
	global_load_b32 v3, v[1:2], off
	s_mov_b32 s2, 0
	s_waitcnt vmcnt(0)
	v_cvt_f64_u32_e32 v[6:7], v3
	s_branch .LBB321_582
.LBB321_580:
	s_mov_b32 s2, -1
                                        ; implicit-def: $vgpr6_vgpr7
	s_branch .LBB321_585
.LBB321_581:
	s_mov_b32 s2, -1
                                        ; implicit-def: $vgpr6_vgpr7
.LBB321_582:
	s_delay_alu instid0(SALU_CYCLE_1)
	s_and_not1_b32 vcc_lo, exec_lo, s2
	s_cbranch_vccnz .LBB321_584
; %bb.583:
	global_load_u16 v3, v[1:2], off
	s_waitcnt vmcnt(0)
	v_cvt_f64_u32_e32 v[6:7], v3
.LBB321_584:
	s_mov_b32 s2, 0
.LBB321_585:
	s_delay_alu instid0(SALU_CYCLE_1)
	s_and_not1_b32 vcc_lo, exec_lo, s2
	s_cbranch_vccnz .LBB321_595
; %bb.586:
	global_load_u8 v3, v[1:2], off
	s_mov_b32 s27, 0
	s_mov_b32 s46, exec_lo
                                        ; implicit-def: $sgpr2_sgpr3
	s_waitcnt vmcnt(0)
	v_cmpx_lt_i16_e32 0x7f, v3
	s_xor_b32 s46, exec_lo, s46
	s_cbranch_execz .LBB321_590
; %bb.587:
	s_mov_b32 s47, -1
	s_mov_b32 s27, exec_lo
                                        ; implicit-def: $sgpr2_sgpr3
	v_cmpx_eq_u16_e32 0x80, v3
; %bb.588:
	s_mov_b32 s3, 0x7ff80000
	s_brev_b32 s2, 4
	s_xor_b32 s47, exec_lo, -1
; %bb.589:
	s_or_b32 exec_lo, exec_lo, s27
	s_delay_alu instid0(SALU_CYCLE_1)
	s_and_b32 s27, s47, exec_lo
.LBB321_590:
	s_or_saveexec_b32 s46, s46
	v_dual_mov_b32 v7, s3 :: v_dual_mov_b32 v6, s2
	s_xor_b32 exec_lo, exec_lo, s46
; %bb.591:
	v_cmp_ne_u16_e32 vcc_lo, 0, v3
	v_mov_b32_e32 v6, 0
	v_mov_b32_e32 v7, 0
	s_and_not1_b32 s2, s27, exec_lo
	s_and_b32 s3, vcc_lo, exec_lo
	s_delay_alu instid0(SALU_CYCLE_1)
	s_or_b32 s27, s2, s3
; %bb.592:
	s_or_b32 exec_lo, exec_lo, s46
	s_and_saveexec_b32 s2, s27
	s_cbranch_execz .LBB321_594
; %bb.593:
	v_and_b32_e32 v4, 0xffff, v3
	v_lshlrev_b32_e32 v3, 24, v3
	s_delay_alu instid0(VALU_DEP_2) | instskip(NEXT) | instid1(VALU_DEP_2)
	v_and_b32_e32 v5, 7, v4
	v_and_b32_e32 v3, 0x80000000, v3
	s_delay_alu instid0(VALU_DEP_2) | instskip(NEXT) | instid1(VALU_DEP_1)
	v_clz_i32_u32_e32 v6, v5
	v_min_u32_e32 v6, 32, v6
	s_delay_alu instid0(VALU_DEP_1) | instskip(SKIP_1) | instid1(VALU_DEP_2)
	v_subrev_nc_u32_e32 v7, 28, v6
	v_sub_nc_u32_e32 v6, 29, v6
	v_lshlrev_b32_e32 v7, v7, v4
	v_bfe_u32 v4, v4, 3, 4
	s_delay_alu instid0(VALU_DEP_2) | instskip(NEXT) | instid1(VALU_DEP_2)
	v_and_b32_e32 v7, 7, v7
	v_cmp_eq_u32_e32 vcc_lo, 0, v4
	s_delay_alu instid0(VALU_DEP_2) | instskip(NEXT) | instid1(VALU_DEP_1)
	v_dual_cndmask_b32 v4, v4, v6 :: v_dual_cndmask_b32 v5, v5, v7
	v_lshl_add_u32 v4, v4, 23, 0x3b800000
	s_delay_alu instid0(VALU_DEP_2) | instskip(NEXT) | instid1(VALU_DEP_1)
	v_lshlrev_b32_e32 v5, 20, v5
	v_or3_b32 v3, v3, v4, v5
	s_delay_alu instid0(VALU_DEP_1)
	v_cvt_f64_f32_e32 v[6:7], v3
.LBB321_594:
	s_or_b32 exec_lo, exec_lo, s2
.LBB321_595:
	s_mov_b32 s2, -1
.LBB321_596:
	s_mov_b32 s3, 0
.LBB321_597:
	s_delay_alu instid0(SALU_CYCLE_1)
	s_and_b32 vcc_lo, exec_lo, s3
	s_cbranch_vccz .LBB321_630
; %bb.598:
	v_cmp_lt_i16_e32 vcc_lo, 22, v8
	s_cbranch_vccz .LBB321_610
; %bb.599:
	v_cmp_gt_i16_e32 vcc_lo, 24, v8
	s_cbranch_vccnz .LBB321_611
; %bb.600:
	v_cmp_lt_i16_e32 vcc_lo, 24, v8
	s_cbranch_vccz .LBB321_612
; %bb.601:
	global_load_u8 v3, v[1:2], off
	s_mov_b32 s27, 0
	s_mov_b32 s46, exec_lo
                                        ; implicit-def: $sgpr2_sgpr3
	s_waitcnt vmcnt(0)
	v_cmpx_lt_i16_e32 0x7f, v3
	s_xor_b32 s46, exec_lo, s46
	s_cbranch_execz .LBB321_605
; %bb.602:
	s_mov_b32 s47, -1
	s_mov_b32 s27, exec_lo
                                        ; implicit-def: $sgpr2_sgpr3
	v_cmpx_eq_u16_e32 0x80, v3
; %bb.603:
	s_mov_b32 s3, 0x7ff80000
	s_brev_b32 s2, 4
	s_xor_b32 s47, exec_lo, -1
; %bb.604:
	s_or_b32 exec_lo, exec_lo, s27
	s_delay_alu instid0(SALU_CYCLE_1)
	s_and_b32 s27, s47, exec_lo
.LBB321_605:
	s_or_saveexec_b32 s46, s46
	v_dual_mov_b32 v7, s3 :: v_dual_mov_b32 v6, s2
	s_xor_b32 exec_lo, exec_lo, s46
; %bb.606:
	v_cmp_ne_u16_e32 vcc_lo, 0, v3
	v_mov_b32_e32 v6, 0
	v_mov_b32_e32 v7, 0
	s_and_not1_b32 s2, s27, exec_lo
	s_and_b32 s3, vcc_lo, exec_lo
	s_delay_alu instid0(SALU_CYCLE_1)
	s_or_b32 s27, s2, s3
; %bb.607:
	s_or_b32 exec_lo, exec_lo, s46
	s_and_saveexec_b32 s2, s27
	s_cbranch_execz .LBB321_609
; %bb.608:
	v_and_b32_e32 v4, 0xffff, v3
	v_lshlrev_b32_e32 v3, 24, v3
	s_delay_alu instid0(VALU_DEP_2) | instskip(NEXT) | instid1(VALU_DEP_2)
	v_and_b32_e32 v5, 3, v4
	v_and_b32_e32 v3, 0x80000000, v3
	s_delay_alu instid0(VALU_DEP_2) | instskip(NEXT) | instid1(VALU_DEP_1)
	v_clz_i32_u32_e32 v6, v5
	v_min_u32_e32 v6, 32, v6
	s_delay_alu instid0(VALU_DEP_1) | instskip(SKIP_1) | instid1(VALU_DEP_2)
	v_subrev_nc_u32_e32 v7, 29, v6
	v_sub_nc_u32_e32 v6, 30, v6
	v_lshlrev_b32_e32 v7, v7, v4
	v_bfe_u32 v4, v4, 2, 5
	s_delay_alu instid0(VALU_DEP_2) | instskip(NEXT) | instid1(VALU_DEP_2)
	v_and_b32_e32 v7, 3, v7
	v_cmp_eq_u32_e32 vcc_lo, 0, v4
	s_delay_alu instid0(VALU_DEP_2) | instskip(NEXT) | instid1(VALU_DEP_1)
	v_dual_cndmask_b32 v4, v4, v6 :: v_dual_cndmask_b32 v5, v5, v7
	v_lshl_add_u32 v4, v4, 23, 0x37800000
	s_delay_alu instid0(VALU_DEP_2) | instskip(NEXT) | instid1(VALU_DEP_1)
	v_lshlrev_b32_e32 v5, 21, v5
	v_or3_b32 v3, v3, v4, v5
	s_delay_alu instid0(VALU_DEP_1)
	v_cvt_f64_f32_e32 v[6:7], v3
.LBB321_609:
	s_or_b32 exec_lo, exec_lo, s2
	s_mov_b32 s2, 0
	s_branch .LBB321_613
.LBB321_610:
	s_mov_b32 s3, -1
                                        ; implicit-def: $vgpr6_vgpr7
	s_branch .LBB321_619
.LBB321_611:
	s_mov_b32 s2, -1
                                        ; implicit-def: $vgpr6_vgpr7
	s_branch .LBB321_616
.LBB321_612:
	s_mov_b32 s2, -1
                                        ; implicit-def: $vgpr6_vgpr7
.LBB321_613:
	s_delay_alu instid0(SALU_CYCLE_1)
	s_and_b32 vcc_lo, exec_lo, s2
	s_cbranch_vccz .LBB321_615
; %bb.614:
	global_load_u8 v3, v[1:2], off
	s_waitcnt vmcnt(0)
	v_lshlrev_b32_e32 v3, 24, v3
	s_delay_alu instid0(VALU_DEP_1) | instskip(NEXT) | instid1(VALU_DEP_1)
	v_and_b32_e32 v4, 0x7f000000, v3
	v_clz_i32_u32_e32 v5, v4
	v_add_nc_u32_e32 v7, 0x1000000, v4
	v_cmp_ne_u32_e32 vcc_lo, 0, v4
	s_delay_alu instid0(VALU_DEP_3) | instskip(NEXT) | instid1(VALU_DEP_1)
	v_min_u32_e32 v5, 32, v5
	v_sub_nc_u32_e64 v5, v5, 4 clamp
	s_delay_alu instid0(VALU_DEP_1) | instskip(SKIP_1) | instid1(VALU_DEP_2)
	v_lshlrev_b32_e32 v6, v5, v4
	v_lshlrev_b32_e32 v5, 23, v5
	v_lshrrev_b32_e32 v6, 4, v6
	s_delay_alu instid0(VALU_DEP_1) | instskip(SKIP_1) | instid1(VALU_DEP_2)
	v_sub_nc_u32_e32 v5, v6, v5
	v_ashrrev_i32_e32 v6, 8, v7
	v_add_nc_u32_e32 v5, 0x3c000000, v5
	s_delay_alu instid0(VALU_DEP_1) | instskip(NEXT) | instid1(VALU_DEP_1)
	v_and_or_b32 v5, 0x7f800000, v6, v5
	v_cndmask_b32_e32 v4, 0, v5, vcc_lo
	s_delay_alu instid0(VALU_DEP_1) | instskip(NEXT) | instid1(VALU_DEP_1)
	v_and_or_b32 v3, 0x80000000, v3, v4
	v_cvt_f64_f32_e32 v[6:7], v3
.LBB321_615:
	s_mov_b32 s2, 0
.LBB321_616:
	s_delay_alu instid0(SALU_CYCLE_1)
	s_and_not1_b32 vcc_lo, exec_lo, s2
	s_cbranch_vccnz .LBB321_618
; %bb.617:
	global_load_u8 v3, v[1:2], off
	s_waitcnt vmcnt(0)
	v_lshlrev_b32_e32 v4, 25, v3
	v_lshlrev_b16 v3, 8, v3
	s_delay_alu instid0(VALU_DEP_2) | instskip(NEXT) | instid1(VALU_DEP_2)
	v_lshrrev_b32_e32 v5, 4, v4
	v_and_or_b32 v6, 0x7f00, v3, 0.5
	v_bfe_i32 v3, v3, 0, 16
	s_delay_alu instid0(VALU_DEP_3) | instskip(NEXT) | instid1(VALU_DEP_1)
	v_or_b32_e32 v5, 0x70000000, v5
	v_dual_add_f32 v6, -0.5, v6 :: v_dual_mul_f32 v5, 0x7800000, v5
	v_cmp_gt_u32_e32 vcc_lo, 0x8000000, v4
	s_delay_alu instid0(VALU_DEP_2) | instskip(NEXT) | instid1(VALU_DEP_1)
	v_cndmask_b32_e32 v4, v5, v6, vcc_lo
	v_and_or_b32 v3, 0x80000000, v3, v4
	s_delay_alu instid0(VALU_DEP_1)
	v_cvt_f64_f32_e32 v[6:7], v3
.LBB321_618:
	s_mov_b32 s3, 0
	s_mov_b32 s2, -1
.LBB321_619:
	s_and_not1_b32 vcc_lo, exec_lo, s3
	s_cbranch_vccnz .LBB321_630
; %bb.620:
	v_cmp_lt_i16_e32 vcc_lo, 14, v8
	s_cbranch_vccz .LBB321_623
; %bb.621:
	v_cmp_eq_u16_e32 vcc_lo, 15, v8
	s_cbranch_vccz .LBB321_624
; %bb.622:
	global_load_u16 v3, v[1:2], off
	s_mov_b32 s2, -1
	s_mov_b32 s26, 0
	s_waitcnt vmcnt(0)
	v_lshlrev_b32_e32 v3, 16, v3
	s_delay_alu instid0(VALU_DEP_1)
	v_cvt_f64_f32_e32 v[6:7], v3
	s_branch .LBB321_625
.LBB321_623:
	s_mov_b32 s3, -1
                                        ; implicit-def: $vgpr6_vgpr7
	s_branch .LBB321_626
.LBB321_624:
	s_mov_b32 s26, -1
                                        ; implicit-def: $vgpr6_vgpr7
.LBB321_625:
	s_mov_b32 s3, 0
.LBB321_626:
	s_delay_alu instid0(SALU_CYCLE_1)
	s_and_b32 vcc_lo, exec_lo, s3
	s_cbranch_vccz .LBB321_630
; %bb.627:
	v_cmp_eq_u16_e32 vcc_lo, 11, v8
	s_cbranch_vccz .LBB321_629
; %bb.628:
	global_load_u8 v3, v[1:2], off
	s_waitcnt vmcnt(1)
	v_mov_b32_e32 v6, 0
	s_mov_b32 s26, 0
	s_mov_b32 s2, -1
	s_waitcnt vmcnt(0)
	v_cmp_ne_u16_e32 vcc_lo, 0, v3
	v_cndmask_b32_e64 v7, 0, 0x3ff00000, vcc_lo
	s_branch .LBB321_630
.LBB321_629:
	s_mov_b32 s26, -1
                                        ; implicit-def: $vgpr6_vgpr7
.LBB321_630:
	s_mov_b32 s3, 0
.LBB321_631:
	s_delay_alu instid0(SALU_CYCLE_1)
	s_and_b32 vcc_lo, exec_lo, s3
	s_cbranch_vccz .LBB321_680
; %bb.632:
	v_cmp_gt_i16_e32 vcc_lo, 5, v8
	s_cbranch_vccnz .LBB321_637
; %bb.633:
	v_cmp_gt_i16_e32 vcc_lo, 8, v8
	s_cbranch_vccnz .LBB321_638
	;; [unrolled: 3-line block ×3, first 2 shown]
; %bb.635:
	v_cmp_lt_i16_e32 vcc_lo, 9, v8
	s_cbranch_vccz .LBB321_640
; %bb.636:
	global_load_b64 v[6:7], v[1:2], off
	s_mov_b32 s2, 0
	s_branch .LBB321_641
.LBB321_637:
	s_mov_b32 s2, -1
                                        ; implicit-def: $vgpr6_vgpr7
	s_branch .LBB321_659
.LBB321_638:
	s_mov_b32 s2, -1
                                        ; implicit-def: $vgpr6_vgpr7
	s_branch .LBB321_647
.LBB321_639:
	s_mov_b32 s2, -1
                                        ; implicit-def: $vgpr6_vgpr7
	s_branch .LBB321_644
.LBB321_640:
	s_mov_b32 s2, -1
                                        ; implicit-def: $vgpr6_vgpr7
.LBB321_641:
	s_delay_alu instid0(SALU_CYCLE_1)
	s_and_not1_b32 vcc_lo, exec_lo, s2
	s_cbranch_vccnz .LBB321_643
; %bb.642:
	global_load_b32 v3, v[1:2], off
	s_waitcnt vmcnt(0)
	v_cvt_f64_f32_e32 v[6:7], v3
.LBB321_643:
	s_mov_b32 s2, 0
.LBB321_644:
	s_delay_alu instid0(SALU_CYCLE_1)
	s_and_not1_b32 vcc_lo, exec_lo, s2
	s_cbranch_vccnz .LBB321_646
; %bb.645:
	global_load_b32 v3, v[1:2], off
	s_waitcnt vmcnt(0)
	v_cvt_f32_f16_e32 v3, v3
	s_delay_alu instid0(VALU_DEP_1)
	v_cvt_f64_f32_e32 v[6:7], v3
.LBB321_646:
	s_mov_b32 s2, 0
.LBB321_647:
	s_delay_alu instid0(SALU_CYCLE_1)
	s_and_not1_b32 vcc_lo, exec_lo, s2
	s_cbranch_vccnz .LBB321_658
; %bb.648:
	v_cmp_gt_i16_e32 vcc_lo, 6, v8
	s_cbranch_vccnz .LBB321_651
; %bb.649:
	v_cmp_lt_i16_e32 vcc_lo, 6, v8
	s_cbranch_vccz .LBB321_652
; %bb.650:
	global_load_b64 v[6:7], v[1:2], off
	s_mov_b32 s2, 0
	s_branch .LBB321_653
.LBB321_651:
	s_mov_b32 s2, -1
                                        ; implicit-def: $vgpr6_vgpr7
	s_branch .LBB321_656
.LBB321_652:
	s_mov_b32 s2, -1
                                        ; implicit-def: $vgpr6_vgpr7
.LBB321_653:
	s_delay_alu instid0(SALU_CYCLE_1)
	s_and_not1_b32 vcc_lo, exec_lo, s2
	s_cbranch_vccnz .LBB321_655
; %bb.654:
	global_load_b32 v3, v[1:2], off
	s_waitcnt vmcnt(0)
	v_cvt_f64_f32_e32 v[6:7], v3
.LBB321_655:
	s_mov_b32 s2, 0
.LBB321_656:
	s_delay_alu instid0(SALU_CYCLE_1)
	s_and_not1_b32 vcc_lo, exec_lo, s2
	s_cbranch_vccnz .LBB321_658
; %bb.657:
	global_load_u16 v3, v[1:2], off
	s_waitcnt vmcnt(0)
	v_cvt_f32_f16_e32 v3, v3
	s_delay_alu instid0(VALU_DEP_1)
	v_cvt_f64_f32_e32 v[6:7], v3
.LBB321_658:
	s_mov_b32 s2, 0
.LBB321_659:
	s_delay_alu instid0(SALU_CYCLE_1)
	s_and_not1_b32 vcc_lo, exec_lo, s2
	s_cbranch_vccnz .LBB321_679
; %bb.660:
	v_cmp_gt_i16_e32 vcc_lo, 2, v8
	s_cbranch_vccnz .LBB321_664
; %bb.661:
	v_cmp_gt_i16_e32 vcc_lo, 3, v8
	s_cbranch_vccnz .LBB321_665
; %bb.662:
	v_cmp_lt_i16_e32 vcc_lo, 3, v8
	s_cbranch_vccz .LBB321_666
; %bb.663:
	global_load_b64 v[3:4], v[1:2], off
	s_mov_b32 s2, 0
	s_waitcnt vmcnt(0)
	v_cvt_f64_i32_e32 v[4:5], v4
	v_cvt_f64_u32_e32 v[6:7], v3
	s_delay_alu instid0(VALU_DEP_2) | instskip(NEXT) | instid1(VALU_DEP_1)
	v_ldexp_f64 v[4:5], v[4:5], 32
	v_add_f64 v[6:7], v[4:5], v[6:7]
	s_branch .LBB321_667
.LBB321_664:
	s_mov_b32 s2, -1
                                        ; implicit-def: $vgpr6_vgpr7
	s_branch .LBB321_673
.LBB321_665:
	s_mov_b32 s2, -1
                                        ; implicit-def: $vgpr6_vgpr7
	s_branch .LBB321_670
.LBB321_666:
	s_mov_b32 s2, -1
                                        ; implicit-def: $vgpr6_vgpr7
.LBB321_667:
	s_delay_alu instid0(SALU_CYCLE_1)
	s_and_not1_b32 vcc_lo, exec_lo, s2
	s_cbranch_vccnz .LBB321_669
; %bb.668:
	global_load_b32 v3, v[1:2], off
	s_waitcnt vmcnt(0)
	v_cvt_f64_i32_e32 v[6:7], v3
.LBB321_669:
	s_mov_b32 s2, 0
.LBB321_670:
	s_delay_alu instid0(SALU_CYCLE_1)
	s_and_not1_b32 vcc_lo, exec_lo, s2
	s_cbranch_vccnz .LBB321_672
; %bb.671:
	global_load_i16 v3, v[1:2], off
	s_waitcnt vmcnt(0)
	v_cvt_f64_i32_e32 v[6:7], v3
.LBB321_672:
	s_mov_b32 s2, 0
.LBB321_673:
	s_delay_alu instid0(SALU_CYCLE_1)
	s_and_not1_b32 vcc_lo, exec_lo, s2
	s_cbranch_vccnz .LBB321_679
; %bb.674:
	v_cmp_lt_i16_e32 vcc_lo, 0, v8
	s_mov_b32 s2, 0
	s_cbranch_vccz .LBB321_676
; %bb.675:
	global_load_i8 v3, v[1:2], off
	s_waitcnt vmcnt(0)
	v_cvt_f64_i32_e32 v[6:7], v3
	s_branch .LBB321_677
.LBB321_676:
	s_mov_b32 s2, -1
                                        ; implicit-def: $vgpr6_vgpr7
.LBB321_677:
	s_delay_alu instid0(SALU_CYCLE_1)
	s_and_not1_b32 vcc_lo, exec_lo, s2
	s_cbranch_vccnz .LBB321_679
; %bb.678:
	global_load_u8 v1, v[1:2], off
	s_waitcnt vmcnt(0)
	v_cvt_f64_u32_e32 v[6:7], v1
.LBB321_679:
	s_mov_b32 s2, -1
.LBB321_680:
	s_delay_alu instid0(SALU_CYCLE_1)
	s_and_not1_b32 vcc_lo, exec_lo, s2
	s_cbranch_vccnz .LBB321_688
; %bb.681:
	v_max_f64 v[1:2], s[8:9], s[8:9]
	s_waitcnt vmcnt(0)
	s_delay_alu instid0(VALU_DEP_2) | instskip(SKIP_3) | instid1(VALU_DEP_3)
	v_max_f64 v[3:4], v[6:7], v[6:7]
	v_max_f64 v[10:11], s[10:11], s[10:11]
	v_cmp_u_f64_e32 vcc_lo, v[6:7], v[6:7]
	s_mov_b32 s3, 0
	v_max_f64 v[1:2], v[3:4], v[1:2]
	v_add_co_u32 v4, s27, s4, v0
	s_delay_alu instid0(VALU_DEP_1) | instskip(SKIP_1) | instid1(VALU_DEP_3)
	v_add_co_ci_u32_e64 v5, null, s5, 0, s27
	s_mov_b32 s27, -1
	v_min_f64 v[2:3], v[1:2], v[10:11]
	v_and_b32_e64 v10, 0xff, s34
	s_delay_alu instid0(VALU_DEP_1) | instskip(NEXT) | instid1(VALU_DEP_3)
	v_cmp_gt_i16_e64 s2, 11, v10
	v_dual_cndmask_b32 v1, v3, v7 :: v_dual_cndmask_b32 v0, v2, v6
	s_delay_alu instid0(VALU_DEP_2)
	s_and_b32 vcc_lo, exec_lo, s2
	s_mov_b32 s2, s43
	s_cbranch_vccnz .LBB321_689
; %bb.682:
	v_cmp_lt_i16_e32 vcc_lo, 25, v10
	s_cbranch_vccz .LBB321_730
; %bb.683:
	v_cmp_lt_i16_e32 vcc_lo, 28, v10
	s_cbranch_vccz .LBB321_731
	;; [unrolled: 3-line block ×4, first 2 shown]
; %bb.686:
	v_cmp_eq_u16_e32 vcc_lo, 46, v10
	s_mov_b32 s27, 0
	s_mov_b32 s2, -1
	s_cbranch_vccz .LBB321_734
; %bb.687:
	v_cvt_f32_f64_e32 v2, v[0:1]
	s_mov_b32 s3, -1
	s_mov_b32 s2, 0
	s_delay_alu instid0(VALU_DEP_1) | instskip(SKIP_1) | instid1(VALU_DEP_2)
	v_bfe_u32 v3, v2, 16, 1
	v_cmp_o_f32_e32 vcc_lo, v2, v2
	v_add3_u32 v3, v2, v3, 0x7fff
	s_delay_alu instid0(VALU_DEP_1) | instskip(NEXT) | instid1(VALU_DEP_1)
	v_lshrrev_b32_e32 v3, 16, v3
	v_cndmask_b32_e32 v2, 0x7fc0, v3, vcc_lo
	global_store_b32 v[4:5], v2, off
	s_branch .LBB321_734
.LBB321_688:
	s_mov_b32 s3, 0
	s_mov_b32 s2, s43
	s_branch .LBB321_729
.LBB321_689:
	s_and_b32 vcc_lo, exec_lo, s27
	s_cbranch_vccz .LBB321_803
; %bb.690:
	v_cmp_gt_i16_e32 vcc_lo, 5, v10
	s_mov_b32 s3, -1
	s_cbranch_vccnz .LBB321_711
; %bb.691:
	v_cmp_gt_i16_e32 vcc_lo, 8, v10
	s_cbranch_vccnz .LBB321_701
; %bb.692:
	v_cmp_gt_i16_e32 vcc_lo, 9, v10
	s_cbranch_vccnz .LBB321_698
; %bb.693:
	v_cmp_lt_i16_e32 vcc_lo, 9, v10
	s_cbranch_vccz .LBB321_695
; %bb.694:
	v_mov_b32_e32 v2, 0
	s_mov_b32 s3, 0
	s_delay_alu instid0(VALU_DEP_1)
	v_mov_b32_e32 v3, v2
	global_store_b128 v[4:5], v[0:3], off
.LBB321_695:
	s_and_not1_b32 vcc_lo, exec_lo, s3
	s_cbranch_vccnz .LBB321_697
; %bb.696:
	v_cvt_f32_f64_e32 v2, v[0:1]
	v_mov_b32_e32 v3, 0
	global_store_b64 v[4:5], v[2:3], off
.LBB321_697:
	s_mov_b32 s3, 0
.LBB321_698:
	s_delay_alu instid0(SALU_CYCLE_1)
	s_and_not1_b32 vcc_lo, exec_lo, s3
	s_cbranch_vccnz .LBB321_700
; %bb.699:
	v_cvt_f32_f64_e32 v2, v[0:1]
	s_delay_alu instid0(VALU_DEP_1) | instskip(NEXT) | instid1(VALU_DEP_1)
	v_cvt_f16_f32_e32 v2, v2
	v_and_b32_e32 v2, 0xffff, v2
	global_store_b32 v[4:5], v2, off
.LBB321_700:
	s_mov_b32 s3, 0
.LBB321_701:
	s_delay_alu instid0(SALU_CYCLE_1)
	s_and_not1_b32 vcc_lo, exec_lo, s3
	s_cbranch_vccnz .LBB321_710
; %bb.702:
	v_cmp_gt_i16_e32 vcc_lo, 6, v10
	s_mov_b32 s3, -1
	s_cbranch_vccnz .LBB321_708
; %bb.703:
	v_cmp_lt_i16_e32 vcc_lo, 6, v10
	s_cbranch_vccz .LBB321_705
; %bb.704:
	s_mov_b32 s3, 0
	global_store_b64 v[4:5], v[0:1], off
.LBB321_705:
	s_and_not1_b32 vcc_lo, exec_lo, s3
	s_cbranch_vccnz .LBB321_707
; %bb.706:
	v_cvt_f32_f64_e32 v2, v[0:1]
	global_store_b32 v[4:5], v2, off
.LBB321_707:
	s_mov_b32 s3, 0
.LBB321_708:
	s_delay_alu instid0(SALU_CYCLE_1)
	s_and_not1_b32 vcc_lo, exec_lo, s3
	s_cbranch_vccnz .LBB321_710
; %bb.709:
	v_cvt_f32_f64_e32 v2, v[0:1]
	s_delay_alu instid0(VALU_DEP_1)
	v_cvt_f16_f32_e32 v2, v2
	global_store_b16 v[4:5], v2, off
.LBB321_710:
	s_mov_b32 s3, 0
.LBB321_711:
	s_delay_alu instid0(SALU_CYCLE_1)
	s_and_not1_b32 vcc_lo, exec_lo, s3
	s_cbranch_vccnz .LBB321_727
; %bb.712:
	v_cmp_gt_i16_e32 vcc_lo, 2, v10
	s_mov_b32 s3, -1
	s_cbranch_vccnz .LBB321_722
; %bb.713:
	v_cmp_gt_i16_e32 vcc_lo, 3, v10
	s_cbranch_vccnz .LBB321_719
; %bb.714:
	v_cmp_lt_i16_e32 vcc_lo, 3, v10
	s_cbranch_vccz .LBB321_716
; %bb.715:
	v_trunc_f64_e32 v[2:3], v[0:1]
	s_mov_b32 s3, 0
	s_delay_alu instid0(VALU_DEP_1) | instskip(NEXT) | instid1(VALU_DEP_1)
	v_ldexp_f64 v[6:7], v[2:3], 0xffffffe0
	v_floor_f64_e32 v[6:7], v[6:7]
	s_delay_alu instid0(VALU_DEP_1) | instskip(SKIP_1) | instid1(VALU_DEP_2)
	v_fma_f64 v[2:3], 0xc1f00000, v[6:7], v[2:3]
	v_cvt_i32_f64_e32 v7, v[6:7]
	v_cvt_u32_f64_e32 v6, v[2:3]
	global_store_b64 v[4:5], v[6:7], off
.LBB321_716:
	s_and_not1_b32 vcc_lo, exec_lo, s3
	s_cbranch_vccnz .LBB321_718
; %bb.717:
	v_cvt_i32_f64_e32 v2, v[0:1]
	global_store_b32 v[4:5], v2, off
.LBB321_718:
	s_mov_b32 s3, 0
.LBB321_719:
	s_delay_alu instid0(SALU_CYCLE_1)
	s_and_not1_b32 vcc_lo, exec_lo, s3
	s_cbranch_vccnz .LBB321_721
; %bb.720:
	v_cvt_i32_f64_e32 v2, v[0:1]
	global_store_b16 v[4:5], v2, off
.LBB321_721:
	s_mov_b32 s3, 0
.LBB321_722:
	s_delay_alu instid0(SALU_CYCLE_1)
	s_and_not1_b32 vcc_lo, exec_lo, s3
	s_cbranch_vccnz .LBB321_727
; %bb.723:
	v_cmp_lt_i16_e32 vcc_lo, 0, v10
	s_mov_b32 s3, -1
	s_cbranch_vccz .LBB321_725
; %bb.724:
	v_cvt_i32_f64_e32 v2, v[0:1]
	s_mov_b32 s3, 0
	global_store_b8 v[4:5], v2, off
.LBB321_725:
	s_and_not1_b32 vcc_lo, exec_lo, s3
	s_cbranch_vccnz .LBB321_727
; %bb.726:
	v_trunc_f64_e32 v[0:1], v[0:1]
	s_delay_alu instid0(VALU_DEP_1) | instskip(NEXT) | instid1(VALU_DEP_1)
	v_ldexp_f64 v[2:3], v[0:1], 0xffffffe0
	v_floor_f64_e32 v[2:3], v[2:3]
	s_delay_alu instid0(VALU_DEP_1) | instskip(NEXT) | instid1(VALU_DEP_1)
	v_fma_f64 v[0:1], 0xc1f00000, v[2:3], v[0:1]
	v_cvt_u32_f64_e32 v0, v[0:1]
	global_store_b8 v[4:5], v0, off
.LBB321_727:
	s_branch .LBB321_804
.LBB321_728:
	s_mov_b32 s3, 0
.LBB321_729:
                                        ; implicit-def: $vgpr9
	s_branch .LBB321_805
.LBB321_730:
	s_mov_b32 s2, s43
	s_branch .LBB321_761
.LBB321_731:
	s_mov_b32 s2, s43
	s_branch .LBB321_744
.LBB321_732:
	s_mov_b32 s2, s43
	s_branch .LBB321_740
.LBB321_733:
	s_mov_b32 s2, s43
.LBB321_734:
	s_and_b32 vcc_lo, exec_lo, s27
	s_cbranch_vccz .LBB321_739
; %bb.735:
	v_cmp_eq_u16_e32 vcc_lo, 44, v10
	s_mov_b32 s2, -1
	s_cbranch_vccz .LBB321_739
; %bb.736:
	v_cvt_f32_f64_e32 v2, v[0:1]
	v_mov_b32_e32 v3, 0xff
	s_mov_b32 s3, exec_lo
	s_delay_alu instid0(VALU_DEP_2) | instskip(NEXT) | instid1(VALU_DEP_1)
	v_bfe_u32 v6, v2, 23, 8
	v_cmpx_ne_u32_e32 0xff, v6
; %bb.737:
	v_and_b32_e32 v3, 0x400000, v2
	v_and_or_b32 v6, 0x3fffff, v2, v6
	v_lshrrev_b32_e32 v2, 23, v2
	s_delay_alu instid0(VALU_DEP_3) | instskip(NEXT) | instid1(VALU_DEP_3)
	v_cmp_ne_u32_e32 vcc_lo, 0, v3
	v_cmp_ne_u32_e64 s2, 0, v6
	s_delay_alu instid0(VALU_DEP_1) | instskip(NEXT) | instid1(SALU_CYCLE_1)
	s_and_b32 s2, vcc_lo, s2
	v_cndmask_b32_e64 v3, 0, 1, s2
	s_delay_alu instid0(VALU_DEP_1)
	v_add_nc_u32_e32 v3, v2, v3
; %bb.738:
	s_or_b32 exec_lo, exec_lo, s3
	s_mov_b32 s3, -1
	s_mov_b32 s2, 0
	global_store_b8 v[4:5], v3, off
.LBB321_739:
	s_mov_b32 s27, 0
.LBB321_740:
	s_delay_alu instid0(SALU_CYCLE_1)
	s_and_b32 vcc_lo, exec_lo, s27
	s_cbranch_vccz .LBB321_743
; %bb.741:
	v_cmp_eq_u16_e32 vcc_lo, 29, v10
	s_mov_b32 s2, -1
	s_cbranch_vccz .LBB321_743
; %bb.742:
	v_trunc_f64_e32 v[2:3], v[0:1]
	s_mov_b32 s3, -1
	s_mov_b32 s2, 0
	s_mov_b32 s27, 0
	s_delay_alu instid0(VALU_DEP_1) | instskip(NEXT) | instid1(VALU_DEP_1)
	v_ldexp_f64 v[6:7], v[2:3], 0xffffffe0
	v_floor_f64_e32 v[6:7], v[6:7]
	s_delay_alu instid0(VALU_DEP_1) | instskip(SKIP_1) | instid1(VALU_DEP_2)
	v_fma_f64 v[2:3], 0xc1f00000, v[6:7], v[2:3]
	v_cvt_u32_f64_e32 v7, v[6:7]
	v_cvt_u32_f64_e32 v6, v[2:3]
	global_store_b64 v[4:5], v[6:7], off
	s_branch .LBB321_744
.LBB321_743:
	s_mov_b32 s27, 0
.LBB321_744:
	s_delay_alu instid0(SALU_CYCLE_1)
	s_and_b32 vcc_lo, exec_lo, s27
	s_cbranch_vccz .LBB321_760
; %bb.745:
	v_cmp_gt_i16_e32 vcc_lo, 27, v10
	s_mov_b32 s3, -1
	s_cbranch_vccnz .LBB321_751
; %bb.746:
	v_cmp_lt_i16_e32 vcc_lo, 27, v10
	s_cbranch_vccz .LBB321_748
; %bb.747:
	v_cvt_u32_f64_e32 v2, v[0:1]
	s_mov_b32 s3, 0
	global_store_b32 v[4:5], v2, off
.LBB321_748:
	s_and_not1_b32 vcc_lo, exec_lo, s3
	s_cbranch_vccnz .LBB321_750
; %bb.749:
	v_cvt_u32_f64_e32 v2, v[0:1]
	global_store_b16 v[4:5], v2, off
.LBB321_750:
	s_mov_b32 s3, 0
.LBB321_751:
	s_delay_alu instid0(SALU_CYCLE_1)
	s_and_not1_b32 vcc_lo, exec_lo, s3
	s_cbranch_vccnz .LBB321_759
; %bb.752:
	v_cvt_f32_f64_e32 v2, v[0:1]
	v_mov_b32_e32 v6, 0x80
	s_mov_b32 s3, exec_lo
	s_delay_alu instid0(VALU_DEP_2) | instskip(NEXT) | instid1(VALU_DEP_1)
	v_and_b32_e32 v3, 0x7fffffff, v2
	v_cmpx_gt_u32_e32 0x43800000, v3
	s_cbranch_execz .LBB321_758
; %bb.753:
	v_cmp_lt_u32_e32 vcc_lo, 0x3bffffff, v3
	s_mov_b32 s27, 0
                                        ; implicit-def: $vgpr3
	s_and_saveexec_b32 s46, vcc_lo
	s_delay_alu instid0(SALU_CYCLE_1)
	s_xor_b32 s46, exec_lo, s46
	s_cbranch_execz .LBB321_832
; %bb.754:
	v_bfe_u32 v3, v2, 20, 1
	s_mov_b32 s27, exec_lo
	s_delay_alu instid0(VALU_DEP_1) | instskip(NEXT) | instid1(VALU_DEP_1)
	v_add3_u32 v3, v2, v3, 0x487ffff
	v_lshrrev_b32_e32 v3, 20, v3
	s_or_saveexec_b32 s46, s46
                                        ; implicit-def: $sgpr47
	s_delay_alu instid0(SALU_CYCLE_1)
	s_xor_b32 exec_lo, exec_lo, s46
	s_cbranch_execnz .LBB321_833
.LBB321_755:
	s_or_b32 exec_lo, exec_lo, s46
	v_mov_b32_e32 v6, s47
	s_and_saveexec_b32 s46, s27
.LBB321_756:
	v_lshrrev_b32_e32 v2, 24, v2
	s_delay_alu instid0(VALU_DEP_1)
	v_and_or_b32 v6, 0x80, v2, v3
.LBB321_757:
	s_or_b32 exec_lo, exec_lo, s46
.LBB321_758:
	s_delay_alu instid0(SALU_CYCLE_1)
	s_or_b32 exec_lo, exec_lo, s3
	global_store_b8 v[4:5], v6, off
.LBB321_759:
	s_mov_b32 s3, -1
.LBB321_760:
	s_mov_b32 s27, 0
.LBB321_761:
	s_delay_alu instid0(SALU_CYCLE_1)
	s_and_b32 vcc_lo, exec_lo, s27
	s_cbranch_vccz .LBB321_802
; %bb.762:
	v_cmp_lt_i16_e32 vcc_lo, 22, v10
	s_mov_b32 s27, -1
	s_cbranch_vccz .LBB321_794
; %bb.763:
	v_cmp_gt_i16_e32 vcc_lo, 24, v10
	s_mov_b32 s3, -1
	s_cbranch_vccnz .LBB321_783
; %bb.764:
	v_cmp_lt_i16_e32 vcc_lo, 24, v10
	s_cbranch_vccz .LBB321_772
; %bb.765:
	v_cvt_f32_f64_e32 v2, v[0:1]
	v_mov_b32_e32 v6, 0x80
	s_mov_b32 s3, exec_lo
	s_delay_alu instid0(VALU_DEP_2) | instskip(NEXT) | instid1(VALU_DEP_1)
	v_and_b32_e32 v3, 0x7fffffff, v2
	v_cmpx_gt_u32_e32 0x47800000, v3
	s_cbranch_execz .LBB321_771
; %bb.766:
	v_cmp_lt_u32_e32 vcc_lo, 0x37ffffff, v3
	s_mov_b32 s27, 0
                                        ; implicit-def: $vgpr3
	s_and_saveexec_b32 s46, vcc_lo
	s_delay_alu instid0(SALU_CYCLE_1)
	s_xor_b32 s46, exec_lo, s46
	s_cbranch_execz .LBB321_835
; %bb.767:
	v_bfe_u32 v3, v2, 21, 1
	s_mov_b32 s27, exec_lo
	s_delay_alu instid0(VALU_DEP_1) | instskip(NEXT) | instid1(VALU_DEP_1)
	v_add3_u32 v3, v2, v3, 0x88fffff
	v_lshrrev_b32_e32 v3, 21, v3
	s_or_saveexec_b32 s46, s46
                                        ; implicit-def: $sgpr47
	s_delay_alu instid0(SALU_CYCLE_1)
	s_xor_b32 exec_lo, exec_lo, s46
	s_cbranch_execnz .LBB321_836
.LBB321_768:
	s_or_b32 exec_lo, exec_lo, s46
	v_mov_b32_e32 v6, s47
	s_and_saveexec_b32 s46, s27
.LBB321_769:
	v_lshrrev_b32_e32 v2, 24, v2
	s_delay_alu instid0(VALU_DEP_1)
	v_and_or_b32 v6, 0x80, v2, v3
.LBB321_770:
	s_or_b32 exec_lo, exec_lo, s46
.LBB321_771:
	s_delay_alu instid0(SALU_CYCLE_1)
	s_or_b32 exec_lo, exec_lo, s3
	s_mov_b32 s3, 0
	global_store_b8 v[4:5], v6, off
.LBB321_772:
	s_and_b32 vcc_lo, exec_lo, s3
	s_cbranch_vccz .LBB321_782
; %bb.773:
	v_cvt_f32_f64_e32 v2, v[0:1]
	s_mov_b32 s3, exec_lo
                                        ; implicit-def: $vgpr3
	s_delay_alu instid0(VALU_DEP_1) | instskip(NEXT) | instid1(VALU_DEP_1)
	v_and_b32_e32 v6, 0x7fffffff, v2
	v_cmpx_gt_u32_e32 0x43f00000, v6
	s_xor_b32 s3, exec_lo, s3
	s_cbranch_execz .LBB321_779
; %bb.774:
	s_mov_b32 s27, exec_lo
                                        ; implicit-def: $vgpr3
	v_cmpx_lt_u32_e32 0x3c7fffff, v6
	s_xor_b32 s27, exec_lo, s27
; %bb.775:
	v_bfe_u32 v3, v2, 20, 1
	s_delay_alu instid0(VALU_DEP_1) | instskip(NEXT) | instid1(VALU_DEP_1)
	v_add3_u32 v3, v2, v3, 0x407ffff
	v_and_b32_e32 v6, 0xff00000, v3
	v_lshrrev_b32_e32 v3, 20, v3
	s_delay_alu instid0(VALU_DEP_2) | instskip(NEXT) | instid1(VALU_DEP_2)
	v_cmp_ne_u32_e32 vcc_lo, 0x7f00000, v6
	v_cndmask_b32_e32 v3, 0x7e, v3, vcc_lo
; %bb.776:
	s_and_not1_saveexec_b32 s27, s27
; %bb.777:
	v_add_f32_e64 v3, 0x46800000, |v2|
; %bb.778:
	s_or_b32 exec_lo, exec_lo, s27
                                        ; implicit-def: $vgpr6
.LBB321_779:
	s_and_not1_saveexec_b32 s3, s3
; %bb.780:
	v_mov_b32_e32 v3, 0x7f
	v_cmp_lt_u32_e32 vcc_lo, 0x7f800000, v6
	s_delay_alu instid0(VALU_DEP_2)
	v_cndmask_b32_e32 v3, 0x7e, v3, vcc_lo
; %bb.781:
	s_or_b32 exec_lo, exec_lo, s3
	v_lshrrev_b32_e32 v2, 24, v2
	s_delay_alu instid0(VALU_DEP_1)
	v_and_or_b32 v2, 0x80, v2, v3
	global_store_b8 v[4:5], v2, off
.LBB321_782:
	s_mov_b32 s3, 0
.LBB321_783:
	s_delay_alu instid0(SALU_CYCLE_1)
	s_and_not1_b32 vcc_lo, exec_lo, s3
	s_cbranch_vccnz .LBB321_793
; %bb.784:
	v_cvt_f32_f64_e32 v2, v[0:1]
	s_mov_b32 s3, exec_lo
                                        ; implicit-def: $vgpr3
	s_delay_alu instid0(VALU_DEP_1) | instskip(NEXT) | instid1(VALU_DEP_1)
	v_and_b32_e32 v6, 0x7fffffff, v2
	v_cmpx_gt_u32_e32 0x47800000, v6
	s_xor_b32 s3, exec_lo, s3
	s_cbranch_execz .LBB321_790
; %bb.785:
	s_mov_b32 s27, exec_lo
                                        ; implicit-def: $vgpr3
	v_cmpx_lt_u32_e32 0x387fffff, v6
	s_xor_b32 s27, exec_lo, s27
; %bb.786:
	v_bfe_u32 v3, v2, 21, 1
	s_delay_alu instid0(VALU_DEP_1) | instskip(NEXT) | instid1(VALU_DEP_1)
	v_add3_u32 v3, v2, v3, 0x80fffff
	v_lshrrev_b32_e32 v3, 21, v3
; %bb.787:
	s_and_not1_saveexec_b32 s27, s27
; %bb.788:
	v_add_f32_e64 v3, 0x43000000, |v2|
; %bb.789:
	s_or_b32 exec_lo, exec_lo, s27
                                        ; implicit-def: $vgpr6
.LBB321_790:
	s_and_not1_saveexec_b32 s3, s3
; %bb.791:
	v_mov_b32_e32 v3, 0x7f
	v_cmp_lt_u32_e32 vcc_lo, 0x7f800000, v6
	s_delay_alu instid0(VALU_DEP_2)
	v_cndmask_b32_e32 v3, 0x7c, v3, vcc_lo
; %bb.792:
	s_or_b32 exec_lo, exec_lo, s3
	v_lshrrev_b32_e32 v2, 24, v2
	s_delay_alu instid0(VALU_DEP_1)
	v_and_or_b32 v2, 0x80, v2, v3
	global_store_b8 v[4:5], v2, off
.LBB321_793:
	s_mov_b32 s27, 0
	s_mov_b32 s3, -1
.LBB321_794:
	s_and_not1_b32 vcc_lo, exec_lo, s27
	s_cbranch_vccnz .LBB321_802
; %bb.795:
	v_cmp_lt_i16_e32 vcc_lo, 14, v10
	s_mov_b32 s27, -1
	s_cbranch_vccz .LBB321_799
; %bb.796:
	v_cmp_eq_u16_e32 vcc_lo, 15, v10
	s_mov_b32 s2, -1
	s_cbranch_vccz .LBB321_798
; %bb.797:
	v_cvt_f32_f64_e32 v2, v[0:1]
	s_mov_b32 s3, -1
	s_mov_b32 s2, 0
	s_delay_alu instid0(VALU_DEP_1) | instskip(SKIP_1) | instid1(VALU_DEP_2)
	v_bfe_u32 v3, v2, 16, 1
	v_cmp_o_f32_e32 vcc_lo, v2, v2
	v_add3_u32 v3, v2, v3, 0x7fff
	s_delay_alu instid0(VALU_DEP_1) | instskip(NEXT) | instid1(VALU_DEP_1)
	v_lshrrev_b32_e32 v3, 16, v3
	v_cndmask_b32_e32 v2, 0x7fc0, v3, vcc_lo
	global_store_b16 v[4:5], v2, off
.LBB321_798:
	s_mov_b32 s27, 0
.LBB321_799:
	s_delay_alu instid0(SALU_CYCLE_1)
	s_and_b32 vcc_lo, exec_lo, s27
	s_cbranch_vccz .LBB321_802
; %bb.800:
	v_cmp_eq_u16_e32 vcc_lo, 11, v10
	s_mov_b32 s2, -1
	s_cbranch_vccz .LBB321_802
; %bb.801:
	v_cmp_neq_f64_e32 vcc_lo, 0, v[0:1]
	s_mov_b32 s3, -1
	s_mov_b32 s2, 0
	v_cndmask_b32_e64 v2, 0, 1, vcc_lo
	global_store_b8 v[4:5], v2, off
.LBB321_802:
.LBB321_803:
	s_and_not1_b32 vcc_lo, exec_lo, s3
	s_cbranch_vccnz .LBB321_728
.LBB321_804:
	v_add_nc_u32_e32 v9, 0x80, v9
	s_mov_b32 s3, -1
.LBB321_805:
	s_and_not1_b32 s27, s43, exec_lo
	s_and_b32 s2, s2, exec_lo
	s_and_not1_b32 s46, s42, exec_lo
	s_and_b32 s26, s26, exec_lo
	s_or_b32 s27, s27, s2
	s_or_b32 s26, s46, s26
	s_or_not1_b32 s47, s3, exec_lo
.LBB321_806:
	s_or_b32 exec_lo, exec_lo, s45
	s_mov_b32 s2, 0
	s_mov_b32 s3, 0
	;; [unrolled: 1-line block ×3, first 2 shown]
                                        ; implicit-def: $vgpr0_vgpr1
                                        ; implicit-def: $vgpr2
                                        ; implicit-def: $vgpr6_vgpr7
	s_and_saveexec_b32 s45, s47
	s_cbranch_execz .LBB321_904
; %bb.807:
	v_cmp_gt_i32_e32 vcc_lo, s36, v9
	s_mov_b32 s47, s26
                                        ; implicit-def: $vgpr0_vgpr1
                                        ; implicit-def: $vgpr2
                                        ; implicit-def: $vgpr6_vgpr7
	s_and_saveexec_b32 s36, vcc_lo
	s_cbranch_execz .LBB321_903
; %bb.808:
	s_and_not1_b32 vcc_lo, exec_lo, s31
	s_cbranch_vccnz .LBB321_813
; %bb.809:
	v_mov_b32_e32 v2, 0
	v_mov_b32_e32 v0, 0
	s_and_not1_b32 vcc_lo, exec_lo, s38
	s_mov_b32 s38, 0
	s_cbranch_vccnz .LBB321_818
; %bb.810:
	v_mov_b32_e32 v2, 0
	s_add_i32 s46, s37, 1
	s_cmp_eq_u32 s29, 2
	s_mov_b32 s37, 0
	s_cbranch_scc1 .LBB321_814
; %bb.811:
	v_dual_mov_b32 v0, 0 :: v_dual_mov_b32 v1, v9
	v_mov_b32_e32 v2, 0
	s_and_b32 s37, s46, 28
	s_mov_b32 s47, 0
	s_mov_b64 s[2:3], s[20:21]
.LBB321_812:                            ; =>This Inner Loop Header: Depth=1
	s_clause 0x1
	s_load_b256 s[48:55], s[2:3], 0x4
	s_load_b128 s[64:67], s[2:3], 0x24
	s_load_b256 s[56:63], s[24:25], 0x0
	s_add_u32 s2, s2, 48
	s_addc_u32 s3, s3, 0
	s_add_i32 s47, s47, 4
	s_add_u32 s24, s24, 32
	s_addc_u32 s25, s25, 0
	s_cmp_eq_u32 s37, s47
	s_waitcnt lgkmcnt(0)
	v_mul_hi_u32 v3, s49, v1
	s_delay_alu instid0(VALU_DEP_1) | instskip(NEXT) | instid1(VALU_DEP_1)
	v_add_nc_u32_e32 v3, v1, v3
	v_lshrrev_b32_e32 v3, s50, v3
	s_delay_alu instid0(VALU_DEP_1) | instskip(SKIP_2) | instid1(VALU_DEP_2)
	v_mul_hi_u32 v4, s52, v3
	s_waitcnt vmcnt(0)
	v_mul_lo_u32 v6, v3, s48
	v_add_nc_u32_e32 v4, v3, v4
	s_delay_alu instid0(VALU_DEP_2) | instskip(NEXT) | instid1(VALU_DEP_2)
	v_sub_nc_u32_e32 v1, v1, v6
	v_lshrrev_b32_e32 v4, s53, v4
	s_delay_alu instid0(VALU_DEP_2) | instskip(SKIP_1) | instid1(VALU_DEP_3)
	v_mul_lo_u32 v6, v1, s56
	v_mul_lo_u32 v10, v1, s57
	v_mul_hi_u32 v5, s55, v4
	s_delay_alu instid0(VALU_DEP_1) | instskip(NEXT) | instid1(VALU_DEP_1)
	v_add_nc_u32_e32 v5, v4, v5
	v_lshrrev_b32_e32 v5, s64, v5
	s_delay_alu instid0(VALU_DEP_1) | instskip(SKIP_1) | instid1(VALU_DEP_2)
	v_mul_hi_u32 v7, s66, v5
	v_mul_lo_u32 v11, v5, s54
	v_add_nc_u32_e32 v1, v5, v7
	v_mul_lo_u32 v7, v4, s51
	s_delay_alu instid0(VALU_DEP_3) | instskip(NEXT) | instid1(VALU_DEP_3)
	v_sub_nc_u32_e32 v4, v4, v11
	v_lshrrev_b32_e32 v1, s67, v1
	s_delay_alu instid0(VALU_DEP_2) | instskip(SKIP_2) | instid1(VALU_DEP_4)
	v_mul_lo_u32 v11, v4, s60
	v_mul_lo_u32 v4, v4, s61
	v_sub_nc_u32_e32 v3, v3, v7
	v_mul_lo_u32 v12, v1, s65
	s_delay_alu instid0(VALU_DEP_2) | instskip(SKIP_1) | instid1(VALU_DEP_3)
	v_mul_lo_u32 v7, v3, s58
	v_mul_lo_u32 v3, v3, s59
	v_sub_nc_u32_e32 v5, v5, v12
	s_delay_alu instid0(VALU_DEP_3) | instskip(NEXT) | instid1(VALU_DEP_2)
	v_add3_u32 v2, v6, v2, v7
	v_mul_lo_u32 v12, v5, s62
	v_mul_lo_u32 v5, v5, s63
	v_add3_u32 v0, v10, v0, v3
	s_delay_alu instid0(VALU_DEP_3) | instskip(NEXT) | instid1(VALU_DEP_2)
	v_add3_u32 v2, v11, v2, v12
	v_add3_u32 v0, v4, v0, v5
	s_cbranch_scc0 .LBB321_812
	s_branch .LBB321_815
.LBB321_813:
	s_mov_b32 s38, -1
                                        ; implicit-def: $vgpr2
                                        ; implicit-def: $vgpr0
	s_branch .LBB321_818
.LBB321_814:
	v_dual_mov_b32 v1, v9 :: v_dual_mov_b32 v0, 0
.LBB321_815:
	s_and_b32 s46, s46, 3
	s_delay_alu instid0(SALU_CYCLE_1)
	s_cmp_eq_u32 s46, 0
	s_cbranch_scc1 .LBB321_818
; %bb.816:
	s_lshl_b32 s2, s37, 3
	s_mul_i32 s24, s37, 12
	s_add_u32 s2, s2, s20
	s_addc_u32 s3, s21, 0
	s_add_u32 s2, s2, 0xc4
	s_addc_u32 s3, s3, 0
	;; [unrolled: 2-line block ×3, first 2 shown]
.LBB321_817:                            ; =>This Inner Loop Header: Depth=1
	s_clause 0x1
	s_load_b64 s[48:49], s[24:25], 0x4
	s_load_b32 s37, s[24:25], 0xc
	s_load_b64 s[50:51], s[2:3], 0x0
	s_add_u32 s24, s24, 12
	s_addc_u32 s25, s25, 0
	s_add_u32 s2, s2, 8
	s_addc_u32 s3, s3, 0
	s_add_i32 s46, s46, -1
	s_delay_alu instid0(SALU_CYCLE_1) | instskip(SKIP_2) | instid1(VALU_DEP_1)
	s_cmp_lg_u32 s46, 0
	s_waitcnt lgkmcnt(0)
	v_mul_hi_u32 v3, s49, v1
	v_add_nc_u32_e32 v3, v1, v3
	s_waitcnt vmcnt(0)
	s_delay_alu instid0(VALU_DEP_1) | instskip(NEXT) | instid1(VALU_DEP_1)
	v_lshrrev_b32_e32 v6, s37, v3
	v_mul_lo_u32 v3, v6, s48
	s_delay_alu instid0(VALU_DEP_1) | instskip(NEXT) | instid1(VALU_DEP_1)
	v_sub_nc_u32_e32 v1, v1, v3
	v_mad_u64_u32 v[3:4], null, v1, s50, v[2:3]
	v_mad_u64_u32 v[4:5], null, v1, s51, v[0:1]
	s_delay_alu instid0(VALU_DEP_2) | instskip(NEXT) | instid1(VALU_DEP_2)
	v_dual_mov_b32 v1, v6 :: v_dual_mov_b32 v2, v3
	v_mov_b32_e32 v0, v4
	s_cbranch_scc1 .LBB321_817
.LBB321_818:
	s_and_not1_b32 vcc_lo, exec_lo, s38
	s_cbranch_vccnz .LBB321_821
; %bb.819:
	v_mul_hi_u32 v0, s17, v9
	s_and_not1_b32 vcc_lo, exec_lo, s35
	s_delay_alu instid0(VALU_DEP_1) | instskip(NEXT) | instid1(VALU_DEP_1)
	v_add_nc_u32_e32 v0, v9, v0
	v_lshrrev_b32_e32 v1, s18, v0
	s_delay_alu instid0(VALU_DEP_1) | instskip(NEXT) | instid1(VALU_DEP_1)
	v_mul_lo_u32 v0, v1, s16
	v_sub_nc_u32_e32 v0, v9, v0
	s_delay_alu instid0(VALU_DEP_1)
	v_mul_lo_u32 v2, v0, s12
	v_mul_lo_u32 v0, v0, s13
	s_cbranch_vccnz .LBB321_821
; %bb.820:
	v_mul_hi_u32 v3, s22, v1
	s_delay_alu instid0(VALU_DEP_1) | instskip(NEXT) | instid1(VALU_DEP_1)
	v_add_nc_u32_e32 v3, v1, v3
	v_lshrrev_b32_e32 v3, s23, v3
	s_delay_alu instid0(VALU_DEP_1) | instskip(NEXT) | instid1(VALU_DEP_1)
	v_mul_lo_u32 v3, v3, s19
	v_sub_nc_u32_e32 v5, v1, v3
	s_delay_alu instid0(VALU_DEP_1) | instskip(SKIP_1) | instid1(VALU_DEP_2)
	v_mad_u64_u32 v[3:4], null, v5, s14, v[2:3]
	v_mad_u64_u32 v[1:2], null, v5, s15, v[0:1]
	v_mov_b32_e32 v2, v3
	s_delay_alu instid0(VALU_DEP_2)
	v_mov_b32_e32 v0, v1
.LBB321_821:
	v_cmp_gt_i16_e32 vcc_lo, 11, v8
	s_delay_alu instid0(VALU_DEP_2) | instskip(NEXT) | instid1(VALU_DEP_1)
	v_add_co_u32 v0, s2, s6, v0
	v_add_co_ci_u32_e64 v1, null, s7, 0, s2
	s_mov_b32 s2, 0
	s_cbranch_vccnz .LBB321_828
; %bb.822:
	v_cmp_lt_i16_e32 vcc_lo, 25, v8
	s_mov_b32 s7, 0
	s_cbranch_vccz .LBB321_829
; %bb.823:
	v_cmp_lt_i16_e32 vcc_lo, 28, v8
	s_cbranch_vccz .LBB321_830
; %bb.824:
	v_cmp_lt_i16_e32 vcc_lo, 43, v8
	;; [unrolled: 3-line block ×3, first 2 shown]
	s_cbranch_vccz .LBB321_834
; %bb.826:
	v_cmp_eq_u16_e32 vcc_lo, 46, v8
	s_mov_b32 s3, 0
	s_cbranch_vccz .LBB321_837
; %bb.827:
	global_load_b32 v3, v[0:1], off
	s_mov_b32 s6, 0
	s_mov_b32 s2, -1
	s_waitcnt vmcnt(0)
	v_lshlrev_b32_e32 v3, 16, v3
	s_delay_alu instid0(VALU_DEP_1)
	v_cvt_f64_f32_e32 v[6:7], v3
	s_branch .LBB321_839
.LBB321_828:
	s_mov_b32 s3, -1
	s_mov_b32 s7, 0
	s_mov_b32 s6, s26
                                        ; implicit-def: $vgpr6_vgpr7
	s_branch .LBB321_902
.LBB321_829:
	s_mov_b32 s3, -1
	s_mov_b32 s6, s26
                                        ; implicit-def: $vgpr6_vgpr7
	s_branch .LBB321_870
.LBB321_830:
	s_mov_b32 s3, -1
	s_mov_b32 s6, s26
                                        ; implicit-def: $vgpr6_vgpr7
	s_branch .LBB321_849
.LBB321_831:
	s_mov_b32 s3, -1
	s_mov_b32 s6, s26
                                        ; implicit-def: $vgpr6_vgpr7
	s_branch .LBB321_844
.LBB321_832:
	s_or_saveexec_b32 s46, s46
                                        ; implicit-def: $sgpr47
	s_delay_alu instid0(SALU_CYCLE_1)
	s_xor_b32 exec_lo, exec_lo, s46
	s_cbranch_execz .LBB321_755
.LBB321_833:
	v_add_f32_e64 v3, 0x46000000, |v2|
	s_and_not1_b32 s27, s27, exec_lo
	s_mov_b32 s47, 0
	s_delay_alu instid0(VALU_DEP_1) | instskip(NEXT) | instid1(VALU_DEP_1)
	v_and_b32_e32 v3, 0xff, v3
	v_cmp_ne_u32_e32 vcc_lo, 0, v3
	s_and_b32 s48, vcc_lo, exec_lo
	s_delay_alu instid0(SALU_CYCLE_1)
	s_or_b32 s27, s27, s48
	s_or_b32 exec_lo, exec_lo, s46
	v_mov_b32_e32 v6, s47
	s_and_saveexec_b32 s46, s27
	s_cbranch_execnz .LBB321_756
	s_branch .LBB321_757
.LBB321_834:
	s_mov_b32 s3, -1
	s_mov_b32 s6, s26
	s_branch .LBB321_838
.LBB321_835:
	s_or_saveexec_b32 s46, s46
                                        ; implicit-def: $sgpr47
	s_delay_alu instid0(SALU_CYCLE_1)
	s_xor_b32 exec_lo, exec_lo, s46
	s_cbranch_execz .LBB321_768
.LBB321_836:
	v_add_f32_e64 v3, 0x42800000, |v2|
	s_and_not1_b32 s27, s27, exec_lo
	s_mov_b32 s47, 0
	s_delay_alu instid0(VALU_DEP_1) | instskip(NEXT) | instid1(VALU_DEP_1)
	v_and_b32_e32 v3, 0xff, v3
	v_cmp_ne_u32_e32 vcc_lo, 0, v3
	s_and_b32 s48, vcc_lo, exec_lo
	s_delay_alu instid0(SALU_CYCLE_1)
	s_or_b32 s27, s27, s48
	s_or_b32 exec_lo, exec_lo, s46
	v_mov_b32_e32 v6, s47
	s_and_saveexec_b32 s46, s27
	s_cbranch_execnz .LBB321_769
	s_branch .LBB321_770
.LBB321_837:
	s_mov_b32 s6, -1
.LBB321_838:
                                        ; implicit-def: $vgpr6_vgpr7
.LBB321_839:
	s_and_b32 vcc_lo, exec_lo, s3
	s_cbranch_vccz .LBB321_843
; %bb.840:
	v_cmp_eq_u16_e32 vcc_lo, 44, v8
	s_cbranch_vccz .LBB321_842
; %bb.841:
	global_load_u8 v5, v[0:1], off
	s_mov_b32 s6, 0
	s_mov_b32 s2, -1
	s_waitcnt vmcnt(0)
	v_cmp_ne_u32_e32 vcc_lo, 0xff, v5
	v_lshlrev_b32_e32 v3, 23, v5
	s_delay_alu instid0(VALU_DEP_1) | instskip(NEXT) | instid1(VALU_DEP_1)
	v_cvt_f64_f32_e32 v[3:4], v3
	v_cndmask_b32_e32 v4, 0x7ff80000, v4, vcc_lo
	s_delay_alu instid0(VALU_DEP_2) | instskip(SKIP_1) | instid1(VALU_DEP_3)
	v_cndmask_b32_e32 v3, 0x20000000, v3, vcc_lo
	v_cmp_ne_u32_e32 vcc_lo, 0, v5
	v_cndmask_b32_e32 v7, 0x38000000, v4, vcc_lo
	s_delay_alu instid0(VALU_DEP_3)
	v_cndmask_b32_e32 v6, 0, v3, vcc_lo
	s_branch .LBB321_843
.LBB321_842:
	s_mov_b32 s6, -1
                                        ; implicit-def: $vgpr6_vgpr7
.LBB321_843:
	s_mov_b32 s3, 0
.LBB321_844:
	s_delay_alu instid0(SALU_CYCLE_1)
	s_and_b32 vcc_lo, exec_lo, s3
	s_cbranch_vccz .LBB321_848
; %bb.845:
	v_cmp_eq_u16_e32 vcc_lo, 29, v8
	s_cbranch_vccz .LBB321_847
; %bb.846:
	global_load_b64 v[3:4], v[0:1], off
	s_mov_b32 s6, 0
	s_mov_b32 s2, -1
	s_mov_b32 s3, 0
	s_waitcnt vmcnt(0)
	v_cvt_f64_u32_e32 v[4:5], v4
	v_cvt_f64_u32_e32 v[6:7], v3
	s_delay_alu instid0(VALU_DEP_2) | instskip(NEXT) | instid1(VALU_DEP_1)
	v_ldexp_f64 v[4:5], v[4:5], 32
	v_add_f64 v[6:7], v[4:5], v[6:7]
	s_branch .LBB321_849
.LBB321_847:
	s_mov_b32 s6, -1
                                        ; implicit-def: $vgpr6_vgpr7
.LBB321_848:
	s_mov_b32 s3, 0
.LBB321_849:
	s_delay_alu instid0(SALU_CYCLE_1)
	s_and_b32 vcc_lo, exec_lo, s3
	s_cbranch_vccz .LBB321_869
; %bb.850:
	v_cmp_gt_i16_e32 vcc_lo, 27, v8
	s_cbranch_vccnz .LBB321_853
; %bb.851:
	v_cmp_lt_i16_e32 vcc_lo, 27, v8
	s_cbranch_vccz .LBB321_854
; %bb.852:
	global_load_b32 v3, v[0:1], off
	s_mov_b32 s2, 0
	s_waitcnt vmcnt(0)
	v_cvt_f64_u32_e32 v[6:7], v3
	s_branch .LBB321_855
.LBB321_853:
	s_mov_b32 s2, -1
                                        ; implicit-def: $vgpr6_vgpr7
	s_branch .LBB321_858
.LBB321_854:
	s_mov_b32 s2, -1
                                        ; implicit-def: $vgpr6_vgpr7
.LBB321_855:
	s_delay_alu instid0(SALU_CYCLE_1)
	s_and_not1_b32 vcc_lo, exec_lo, s2
	s_cbranch_vccnz .LBB321_857
; %bb.856:
	global_load_u16 v3, v[0:1], off
	s_waitcnt vmcnt(0)
	v_cvt_f64_u32_e32 v[6:7], v3
.LBB321_857:
	s_mov_b32 s2, 0
.LBB321_858:
	s_delay_alu instid0(SALU_CYCLE_1)
	s_and_not1_b32 vcc_lo, exec_lo, s2
	s_cbranch_vccnz .LBB321_868
; %bb.859:
	global_load_u8 v3, v[0:1], off
	s_mov_b32 s12, 0
	s_mov_b32 s13, exec_lo
                                        ; implicit-def: $sgpr2_sgpr3
	s_waitcnt vmcnt(0)
	v_cmpx_lt_i16_e32 0x7f, v3
	s_xor_b32 s13, exec_lo, s13
	s_cbranch_execz .LBB321_863
; %bb.860:
	s_mov_b32 s14, -1
	s_mov_b32 s12, exec_lo
                                        ; implicit-def: $sgpr2_sgpr3
	v_cmpx_eq_u16_e32 0x80, v3
; %bb.861:
	s_mov_b32 s3, 0x7ff80000
	s_brev_b32 s2, 4
	s_xor_b32 s14, exec_lo, -1
; %bb.862:
	s_or_b32 exec_lo, exec_lo, s12
	s_delay_alu instid0(SALU_CYCLE_1)
	s_and_b32 s12, s14, exec_lo
.LBB321_863:
	s_or_saveexec_b32 s13, s13
	v_dual_mov_b32 v7, s3 :: v_dual_mov_b32 v6, s2
	s_xor_b32 exec_lo, exec_lo, s13
; %bb.864:
	v_cmp_ne_u16_e32 vcc_lo, 0, v3
	v_mov_b32_e32 v6, 0
	v_mov_b32_e32 v7, 0
	s_and_not1_b32 s2, s12, exec_lo
	s_and_b32 s3, vcc_lo, exec_lo
	s_delay_alu instid0(SALU_CYCLE_1)
	s_or_b32 s12, s2, s3
; %bb.865:
	s_or_b32 exec_lo, exec_lo, s13
	s_and_saveexec_b32 s2, s12
	s_cbranch_execz .LBB321_867
; %bb.866:
	v_and_b32_e32 v4, 0xffff, v3
	v_lshlrev_b32_e32 v3, 24, v3
	s_delay_alu instid0(VALU_DEP_2) | instskip(NEXT) | instid1(VALU_DEP_2)
	v_and_b32_e32 v5, 7, v4
	v_and_b32_e32 v3, 0x80000000, v3
	s_delay_alu instid0(VALU_DEP_2) | instskip(NEXT) | instid1(VALU_DEP_1)
	v_clz_i32_u32_e32 v6, v5
	v_min_u32_e32 v6, 32, v6
	s_delay_alu instid0(VALU_DEP_1) | instskip(SKIP_1) | instid1(VALU_DEP_2)
	v_subrev_nc_u32_e32 v7, 28, v6
	v_sub_nc_u32_e32 v6, 29, v6
	v_lshlrev_b32_e32 v7, v7, v4
	v_bfe_u32 v4, v4, 3, 4
	s_delay_alu instid0(VALU_DEP_2) | instskip(NEXT) | instid1(VALU_DEP_2)
	v_and_b32_e32 v7, 7, v7
	v_cmp_eq_u32_e32 vcc_lo, 0, v4
	s_delay_alu instid0(VALU_DEP_2) | instskip(NEXT) | instid1(VALU_DEP_1)
	v_dual_cndmask_b32 v4, v4, v6 :: v_dual_cndmask_b32 v5, v5, v7
	v_lshl_add_u32 v4, v4, 23, 0x3b800000
	s_delay_alu instid0(VALU_DEP_2) | instskip(NEXT) | instid1(VALU_DEP_1)
	v_lshlrev_b32_e32 v5, 20, v5
	v_or3_b32 v3, v3, v4, v5
	s_delay_alu instid0(VALU_DEP_1)
	v_cvt_f64_f32_e32 v[6:7], v3
.LBB321_867:
	s_or_b32 exec_lo, exec_lo, s2
.LBB321_868:
	s_mov_b32 s2, -1
.LBB321_869:
	s_mov_b32 s3, 0
.LBB321_870:
	s_delay_alu instid0(SALU_CYCLE_1)
	s_and_b32 vcc_lo, exec_lo, s3
	s_cbranch_vccz .LBB321_901
; %bb.871:
	v_cmp_lt_i16_e32 vcc_lo, 22, v8
	s_cbranch_vccz .LBB321_883
; %bb.872:
	v_cmp_gt_i16_e32 vcc_lo, 24, v8
	s_cbranch_vccnz .LBB321_884
; %bb.873:
	v_cmp_lt_i16_e32 vcc_lo, 24, v8
	s_cbranch_vccz .LBB321_885
; %bb.874:
	global_load_u8 v3, v[0:1], off
	s_mov_b32 s12, exec_lo
                                        ; implicit-def: $sgpr2_sgpr3
	s_waitcnt vmcnt(0)
	v_cmpx_lt_i16_e32 0x7f, v3
	s_xor_b32 s12, exec_lo, s12
	s_cbranch_execz .LBB321_878
; %bb.875:
	s_mov_b32 s13, -1
	s_mov_b32 s7, exec_lo
                                        ; implicit-def: $sgpr2_sgpr3
	v_cmpx_eq_u16_e32 0x80, v3
; %bb.876:
	s_mov_b32 s3, 0x7ff80000
	s_brev_b32 s2, 4
	s_xor_b32 s13, exec_lo, -1
; %bb.877:
	s_or_b32 exec_lo, exec_lo, s7
	s_delay_alu instid0(SALU_CYCLE_1)
	s_and_b32 s7, s13, exec_lo
.LBB321_878:
	s_or_saveexec_b32 s12, s12
	v_dual_mov_b32 v7, s3 :: v_dual_mov_b32 v6, s2
	s_xor_b32 exec_lo, exec_lo, s12
; %bb.879:
	v_cmp_ne_u16_e32 vcc_lo, 0, v3
	v_mov_b32_e32 v6, 0
	v_mov_b32_e32 v7, 0
	s_and_not1_b32 s2, s7, exec_lo
	s_and_b32 s3, vcc_lo, exec_lo
	s_delay_alu instid0(SALU_CYCLE_1)
	s_or_b32 s7, s2, s3
; %bb.880:
	s_or_b32 exec_lo, exec_lo, s12
	s_and_saveexec_b32 s2, s7
	s_cbranch_execz .LBB321_882
; %bb.881:
	v_and_b32_e32 v4, 0xffff, v3
	v_lshlrev_b32_e32 v3, 24, v3
	s_delay_alu instid0(VALU_DEP_2) | instskip(NEXT) | instid1(VALU_DEP_2)
	v_and_b32_e32 v5, 3, v4
	v_and_b32_e32 v3, 0x80000000, v3
	s_delay_alu instid0(VALU_DEP_2) | instskip(NEXT) | instid1(VALU_DEP_1)
	v_clz_i32_u32_e32 v6, v5
	v_min_u32_e32 v6, 32, v6
	s_delay_alu instid0(VALU_DEP_1) | instskip(SKIP_1) | instid1(VALU_DEP_2)
	v_subrev_nc_u32_e32 v7, 29, v6
	v_sub_nc_u32_e32 v6, 30, v6
	v_lshlrev_b32_e32 v7, v7, v4
	v_bfe_u32 v4, v4, 2, 5
	s_delay_alu instid0(VALU_DEP_2) | instskip(NEXT) | instid1(VALU_DEP_2)
	v_and_b32_e32 v7, 3, v7
	v_cmp_eq_u32_e32 vcc_lo, 0, v4
	s_delay_alu instid0(VALU_DEP_2) | instskip(NEXT) | instid1(VALU_DEP_1)
	v_dual_cndmask_b32 v4, v4, v6 :: v_dual_cndmask_b32 v5, v5, v7
	v_lshl_add_u32 v4, v4, 23, 0x37800000
	s_delay_alu instid0(VALU_DEP_2) | instskip(NEXT) | instid1(VALU_DEP_1)
	v_lshlrev_b32_e32 v5, 21, v5
	v_or3_b32 v3, v3, v4, v5
	s_delay_alu instid0(VALU_DEP_1)
	v_cvt_f64_f32_e32 v[6:7], v3
.LBB321_882:
	s_or_b32 exec_lo, exec_lo, s2
	s_mov_b32 s2, 0
	s_branch .LBB321_886
.LBB321_883:
	s_mov_b32 s3, -1
                                        ; implicit-def: $vgpr6_vgpr7
	s_branch .LBB321_892
.LBB321_884:
	s_mov_b32 s2, -1
                                        ; implicit-def: $vgpr6_vgpr7
	s_branch .LBB321_889
.LBB321_885:
	s_mov_b32 s2, -1
                                        ; implicit-def: $vgpr6_vgpr7
.LBB321_886:
	s_delay_alu instid0(SALU_CYCLE_1)
	s_and_b32 vcc_lo, exec_lo, s2
	s_cbranch_vccz .LBB321_888
; %bb.887:
	global_load_u8 v3, v[0:1], off
	s_waitcnt vmcnt(0)
	v_lshlrev_b32_e32 v3, 24, v3
	s_delay_alu instid0(VALU_DEP_1) | instskip(NEXT) | instid1(VALU_DEP_1)
	v_and_b32_e32 v4, 0x7f000000, v3
	v_clz_i32_u32_e32 v5, v4
	v_add_nc_u32_e32 v7, 0x1000000, v4
	v_cmp_ne_u32_e32 vcc_lo, 0, v4
	s_delay_alu instid0(VALU_DEP_3) | instskip(NEXT) | instid1(VALU_DEP_1)
	v_min_u32_e32 v5, 32, v5
	v_sub_nc_u32_e64 v5, v5, 4 clamp
	s_delay_alu instid0(VALU_DEP_1) | instskip(SKIP_1) | instid1(VALU_DEP_2)
	v_lshlrev_b32_e32 v6, v5, v4
	v_lshlrev_b32_e32 v5, 23, v5
	v_lshrrev_b32_e32 v6, 4, v6
	s_delay_alu instid0(VALU_DEP_1) | instskip(SKIP_1) | instid1(VALU_DEP_2)
	v_sub_nc_u32_e32 v5, v6, v5
	v_ashrrev_i32_e32 v6, 8, v7
	v_add_nc_u32_e32 v5, 0x3c000000, v5
	s_delay_alu instid0(VALU_DEP_1) | instskip(NEXT) | instid1(VALU_DEP_1)
	v_and_or_b32 v5, 0x7f800000, v6, v5
	v_cndmask_b32_e32 v4, 0, v5, vcc_lo
	s_delay_alu instid0(VALU_DEP_1) | instskip(NEXT) | instid1(VALU_DEP_1)
	v_and_or_b32 v3, 0x80000000, v3, v4
	v_cvt_f64_f32_e32 v[6:7], v3
.LBB321_888:
	s_mov_b32 s2, 0
.LBB321_889:
	s_delay_alu instid0(SALU_CYCLE_1)
	s_and_not1_b32 vcc_lo, exec_lo, s2
	s_cbranch_vccnz .LBB321_891
; %bb.890:
	global_load_u8 v3, v[0:1], off
	s_waitcnt vmcnt(0)
	v_lshlrev_b32_e32 v4, 25, v3
	v_lshlrev_b16 v3, 8, v3
	s_delay_alu instid0(VALU_DEP_2) | instskip(NEXT) | instid1(VALU_DEP_2)
	v_lshrrev_b32_e32 v5, 4, v4
	v_and_or_b32 v6, 0x7f00, v3, 0.5
	v_bfe_i32 v3, v3, 0, 16
	s_delay_alu instid0(VALU_DEP_3) | instskip(NEXT) | instid1(VALU_DEP_1)
	v_or_b32_e32 v5, 0x70000000, v5
	v_dual_add_f32 v6, -0.5, v6 :: v_dual_mul_f32 v5, 0x7800000, v5
	v_cmp_gt_u32_e32 vcc_lo, 0x8000000, v4
	s_delay_alu instid0(VALU_DEP_2) | instskip(NEXT) | instid1(VALU_DEP_1)
	v_cndmask_b32_e32 v4, v5, v6, vcc_lo
	v_and_or_b32 v3, 0x80000000, v3, v4
	s_delay_alu instid0(VALU_DEP_1)
	v_cvt_f64_f32_e32 v[6:7], v3
.LBB321_891:
	s_mov_b32 s3, 0
	s_mov_b32 s2, -1
.LBB321_892:
	s_and_not1_b32 vcc_lo, exec_lo, s3
	s_mov_b32 s7, 0
	s_cbranch_vccnz .LBB321_901
; %bb.893:
	v_cmp_lt_i16_e32 vcc_lo, 14, v8
	s_cbranch_vccz .LBB321_896
; %bb.894:
	v_cmp_eq_u16_e32 vcc_lo, 15, v8
	s_cbranch_vccz .LBB321_897
; %bb.895:
	global_load_u16 v3, v[0:1], off
	s_mov_b32 s6, 0
	s_mov_b32 s2, -1
	s_waitcnt vmcnt(0)
	v_lshlrev_b32_e32 v3, 16, v3
	s_delay_alu instid0(VALU_DEP_1)
	v_cvt_f64_f32_e32 v[6:7], v3
	s_branch .LBB321_898
.LBB321_896:
	s_mov_b32 s3, -1
                                        ; implicit-def: $vgpr6_vgpr7
	s_branch .LBB321_899
.LBB321_897:
	s_mov_b32 s6, -1
                                        ; implicit-def: $vgpr6_vgpr7
.LBB321_898:
	s_mov_b32 s3, 0
.LBB321_899:
	s_delay_alu instid0(SALU_CYCLE_1)
	s_and_b32 vcc_lo, exec_lo, s3
	s_cbranch_vccz .LBB321_901
; %bb.900:
	v_cmp_ne_u16_e32 vcc_lo, 11, v8
	s_and_not1_b32 s3, s6, exec_lo
	s_mov_b32 s7, -1
                                        ; implicit-def: $vgpr6_vgpr7
	s_and_b32 s6, vcc_lo, exec_lo
	s_delay_alu instid0(SALU_CYCLE_1)
	s_or_b32 s6, s3, s6
.LBB321_901:
	s_mov_b32 s3, 0
.LBB321_902:
	s_and_not1_b32 s12, s26, exec_lo
	s_and_b32 s6, s6, exec_lo
	s_and_b32 s46, s2, exec_lo
	;; [unrolled: 1-line block ×4, first 2 shown]
	s_or_b32 s47, s12, s6
.LBB321_903:
	s_or_b32 exec_lo, exec_lo, s36
	s_delay_alu instid0(SALU_CYCLE_1)
	s_and_not1_b32 s6, s26, exec_lo
	s_and_b32 s7, s47, exec_lo
	s_and_b32 s46, s46, exec_lo
	;; [unrolled: 1-line block ×4, first 2 shown]
	s_or_b32 s26, s6, s7
.LBB321_904:
	s_or_b32 exec_lo, exec_lo, s45
	s_delay_alu instid0(SALU_CYCLE_1)
	s_and_not1_b32 s6, s43, exec_lo
	s_and_b32 s7, s27, exec_lo
	s_and_b32 s45, s46, exec_lo
	s_or_b32 s43, s6, s7
	s_and_not1_b32 s6, s42, exec_lo
	s_and_b32 s7, s26, exec_lo
	s_and_b32 s27, s3, exec_lo
	s_and_b32 s3, s2, exec_lo
	s_or_b32 s42, s6, s7
.LBB321_905:
	s_or_b32 exec_lo, exec_lo, s44
	s_delay_alu instid0(SALU_CYCLE_1)
	s_and_not1_b32 s2, s39, exec_lo
	s_and_b32 s6, s43, exec_lo
	s_and_b32 s7, s42, exec_lo
	s_or_b32 s39, s2, s6
	s_and_not1_b32 s6, s40, exec_lo
	s_and_b32 s2, s45, exec_lo
	s_and_b32 s26, s27, exec_lo
	s_and_b32 s42, s3, exec_lo
	s_or_b32 s40, s6, s7
.LBB321_906:
	s_or_b32 exec_lo, exec_lo, s41
	s_mov_b32 s3, 0
	s_and_saveexec_b32 s6, s40
	s_cbranch_execnz .LBB321_918
; %bb.907:
	s_or_b32 exec_lo, exec_lo, s6
	s_and_saveexec_b32 s6, s42
	s_delay_alu instid0(SALU_CYCLE_1)
	s_xor_b32 s6, exec_lo, s6
	s_cbranch_execz .LBB321_909
.LBB321_908:
	global_load_u8 v3, v[0:1], off
	s_waitcnt vmcnt(1)
	v_mov_b32_e32 v6, 0
	s_or_b32 s2, s2, exec_lo
	s_waitcnt vmcnt(0)
	v_cmp_ne_u16_e32 vcc_lo, 0, v3
	v_cndmask_b32_e64 v7, 0, 0x3ff00000, vcc_lo
.LBB321_909:
	s_or_b32 exec_lo, exec_lo, s6
	s_and_saveexec_b32 s6, s26
	s_cbranch_execz .LBB321_957
; %bb.910:
	v_cmp_gt_i16_e32 vcc_lo, 5, v8
	s_cbranch_vccnz .LBB321_915
; %bb.911:
	v_cmp_gt_i16_e32 vcc_lo, 8, v8
	s_cbranch_vccnz .LBB321_916
	;; [unrolled: 3-line block ×3, first 2 shown]
; %bb.913:
	v_cmp_lt_i16_e32 vcc_lo, 9, v8
	s_cbranch_vccz .LBB321_920
; %bb.914:
	global_load_b64 v[6:7], v[0:1], off
	s_mov_b32 s7, 0
	s_branch .LBB321_921
.LBB321_915:
                                        ; implicit-def: $vgpr6_vgpr7
	s_branch .LBB321_938
.LBB321_916:
                                        ; implicit-def: $vgpr6_vgpr7
	s_branch .LBB321_927
.LBB321_917:
	s_mov_b32 s7, -1
                                        ; implicit-def: $vgpr6_vgpr7
	s_branch .LBB321_924
.LBB321_918:
	s_cbranch_execnz .LBB321_1188
; %bb.919:
	s_mov_b32 s3, exec_lo
	s_and_not1_b32 s42, s42, exec_lo
                                        ; implicit-def: $vgpr6_vgpr7
	s_or_b32 exec_lo, exec_lo, s6
	s_and_saveexec_b32 s6, s42
	s_delay_alu instid0(SALU_CYCLE_1)
	s_xor_b32 s6, exec_lo, s6
	s_cbranch_execnz .LBB321_908
	s_branch .LBB321_909
.LBB321_920:
	s_mov_b32 s7, -1
                                        ; implicit-def: $vgpr6_vgpr7
.LBB321_921:
	s_delay_alu instid0(SALU_CYCLE_1)
	s_and_not1_b32 vcc_lo, exec_lo, s7
	s_cbranch_vccnz .LBB321_923
; %bb.922:
	global_load_b32 v3, v[0:1], off
	s_waitcnt vmcnt(0)
	v_cvt_f64_f32_e32 v[6:7], v3
.LBB321_923:
	s_mov_b32 s7, 0
.LBB321_924:
	s_delay_alu instid0(SALU_CYCLE_1)
	s_and_not1_b32 vcc_lo, exec_lo, s7
	s_cbranch_vccnz .LBB321_926
; %bb.925:
	global_load_b32 v3, v[0:1], off
	s_waitcnt vmcnt(0)
	v_cvt_f32_f16_e32 v3, v3
	s_delay_alu instid0(VALU_DEP_1)
	v_cvt_f64_f32_e32 v[6:7], v3
.LBB321_926:
	s_cbranch_execnz .LBB321_937
.LBB321_927:
	v_cmp_gt_i16_e32 vcc_lo, 6, v8
	s_cbranch_vccnz .LBB321_930
; %bb.928:
	v_cmp_lt_i16_e32 vcc_lo, 6, v8
	s_cbranch_vccz .LBB321_931
; %bb.929:
	global_load_b64 v[6:7], v[0:1], off
	s_mov_b32 s7, 0
	s_branch .LBB321_932
.LBB321_930:
	s_mov_b32 s7, -1
                                        ; implicit-def: $vgpr6_vgpr7
	s_branch .LBB321_935
.LBB321_931:
	s_mov_b32 s7, -1
                                        ; implicit-def: $vgpr6_vgpr7
.LBB321_932:
	s_delay_alu instid0(SALU_CYCLE_1)
	s_and_not1_b32 vcc_lo, exec_lo, s7
	s_cbranch_vccnz .LBB321_934
; %bb.933:
	global_load_b32 v3, v[0:1], off
	s_waitcnt vmcnt(0)
	v_cvt_f64_f32_e32 v[6:7], v3
.LBB321_934:
	s_mov_b32 s7, 0
.LBB321_935:
	s_delay_alu instid0(SALU_CYCLE_1)
	s_and_not1_b32 vcc_lo, exec_lo, s7
	s_cbranch_vccnz .LBB321_937
; %bb.936:
	global_load_u16 v3, v[0:1], off
	s_waitcnt vmcnt(0)
	v_cvt_f32_f16_e32 v3, v3
	s_delay_alu instid0(VALU_DEP_1)
	v_cvt_f64_f32_e32 v[6:7], v3
.LBB321_937:
	s_cbranch_execnz .LBB321_956
.LBB321_938:
	v_cmp_gt_i16_e32 vcc_lo, 2, v8
	s_cbranch_vccnz .LBB321_942
; %bb.939:
	v_cmp_gt_i16_e32 vcc_lo, 3, v8
	s_cbranch_vccnz .LBB321_943
; %bb.940:
	v_cmp_lt_i16_e32 vcc_lo, 3, v8
	s_cbranch_vccz .LBB321_944
; %bb.941:
	global_load_b64 v[3:4], v[0:1], off
	s_mov_b32 s7, 0
	s_waitcnt vmcnt(0)
	v_cvt_f64_i32_e32 v[4:5], v4
	v_cvt_f64_u32_e32 v[6:7], v3
	s_delay_alu instid0(VALU_DEP_2) | instskip(NEXT) | instid1(VALU_DEP_1)
	v_ldexp_f64 v[4:5], v[4:5], 32
	v_add_f64 v[6:7], v[4:5], v[6:7]
	s_branch .LBB321_945
.LBB321_942:
                                        ; implicit-def: $vgpr6_vgpr7
	s_branch .LBB321_951
.LBB321_943:
	s_mov_b32 s7, -1
                                        ; implicit-def: $vgpr6_vgpr7
	s_branch .LBB321_948
.LBB321_944:
	s_mov_b32 s7, -1
                                        ; implicit-def: $vgpr6_vgpr7
.LBB321_945:
	s_delay_alu instid0(SALU_CYCLE_1)
	s_and_not1_b32 vcc_lo, exec_lo, s7
	s_cbranch_vccnz .LBB321_947
; %bb.946:
	global_load_b32 v3, v[0:1], off
	s_waitcnt vmcnt(0)
	v_cvt_f64_i32_e32 v[6:7], v3
.LBB321_947:
	s_mov_b32 s7, 0
.LBB321_948:
	s_delay_alu instid0(SALU_CYCLE_1)
	s_and_not1_b32 vcc_lo, exec_lo, s7
	s_cbranch_vccnz .LBB321_950
; %bb.949:
	global_load_i16 v3, v[0:1], off
	s_waitcnt vmcnt(0)
	v_cvt_f64_i32_e32 v[6:7], v3
.LBB321_950:
	s_cbranch_execnz .LBB321_956
.LBB321_951:
	v_cmp_lt_i16_e32 vcc_lo, 0, v8
	s_mov_b32 s7, 0
	s_cbranch_vccz .LBB321_953
; %bb.952:
	global_load_i8 v3, v[0:1], off
	s_waitcnt vmcnt(0)
	v_cvt_f64_i32_e32 v[6:7], v3
	s_branch .LBB321_954
.LBB321_953:
	s_mov_b32 s7, -1
                                        ; implicit-def: $vgpr6_vgpr7
.LBB321_954:
	s_delay_alu instid0(SALU_CYCLE_1)
	s_and_not1_b32 vcc_lo, exec_lo, s7
	s_cbranch_vccnz .LBB321_956
; %bb.955:
	global_load_u8 v0, v[0:1], off
	s_waitcnt vmcnt(0)
	v_cvt_f64_u32_e32 v[6:7], v0
.LBB321_956:
	s_or_b32 s2, s2, exec_lo
.LBB321_957:
	s_or_b32 exec_lo, exec_lo, s6
	s_mov_b32 s12, 0
	s_mov_b32 s7, 0
                                        ; implicit-def: $vgpr8
                                        ; implicit-def: $vgpr4_vgpr5
                                        ; implicit-def: $vgpr0_vgpr1
	s_and_saveexec_b32 s6, s2
	s_cbranch_execz .LBB321_1034
; %bb.958:
	v_max_f64 v[0:1], s[8:9], s[8:9]
	s_waitcnt vmcnt(0)
	s_delay_alu instid0(VALU_DEP_2) | instskip(SKIP_3) | instid1(VALU_DEP_3)
	v_max_f64 v[3:4], v[6:7], v[6:7]
	v_max_f64 v[8:9], s[10:11], s[10:11]
	v_cmp_u_f64_e32 vcc_lo, v[6:7], v[6:7]
	s_mov_b32 s8, 0
	v_max_f64 v[0:1], v[3:4], v[0:1]
	v_add_co_u32 v4, s4, s4, v2
	s_delay_alu instid0(VALU_DEP_1) | instskip(SKIP_1) | instid1(VALU_DEP_3)
	v_add_co_ci_u32_e64 v5, null, s5, 0, s4
	s_mov_b32 s4, -1
	v_min_f64 v[0:1], v[0:1], v[8:9]
	v_and_b32_e64 v8, 0xff, s34
	s_delay_alu instid0(VALU_DEP_1) | instskip(NEXT) | instid1(VALU_DEP_3)
	v_cmp_gt_i16_e64 s2, 11, v8
	v_dual_cndmask_b32 v1, v1, v7 :: v_dual_cndmask_b32 v0, v0, v6
	s_delay_alu instid0(VALU_DEP_2)
	s_and_b32 vcc_lo, exec_lo, s2
	s_mov_b32 s2, s39
	s_cbranch_vccnz .LBB321_1033
; %bb.959:
	v_cmp_lt_i16_e32 vcc_lo, 25, v8
	s_mov_b32 s2, s39
	s_cbranch_vccz .LBB321_992
; %bb.960:
	v_cmp_lt_i16_e32 vcc_lo, 28, v8
	s_mov_b32 s2, s39
	s_cbranch_vccz .LBB321_976
	;; [unrolled: 4-line block ×4, first 2 shown]
; %bb.963:
	v_cmp_eq_u16_e32 vcc_lo, 46, v8
	s_mov_b32 s2, -1
	s_cbranch_vccz .LBB321_965
; %bb.964:
	v_cvt_f32_f64_e32 v2, v[0:1]
	s_mov_b32 s2, 0
	s_delay_alu instid0(VALU_DEP_1) | instskip(SKIP_1) | instid1(VALU_DEP_2)
	v_bfe_u32 v3, v2, 16, 1
	v_cmp_o_f32_e32 vcc_lo, v2, v2
	v_add3_u32 v3, v2, v3, 0x7fff
	s_delay_alu instid0(VALU_DEP_1) | instskip(NEXT) | instid1(VALU_DEP_1)
	v_lshrrev_b32_e32 v3, 16, v3
	v_cndmask_b32_e32 v2, 0x7fc0, v3, vcc_lo
	global_store_b32 v[4:5], v2, off
.LBB321_965:
	s_mov_b32 s4, 0
.LBB321_966:
	s_delay_alu instid0(SALU_CYCLE_1)
	s_and_b32 vcc_lo, exec_lo, s4
	s_cbranch_vccz .LBB321_971
; %bb.967:
	v_cmp_eq_u16_e32 vcc_lo, 44, v8
	s_mov_b32 s2, -1
	s_cbranch_vccz .LBB321_971
; %bb.968:
	v_cvt_f32_f64_e32 v2, v[0:1]
	v_mov_b32_e32 v3, 0xff
	s_mov_b32 s4, exec_lo
	s_delay_alu instid0(VALU_DEP_2) | instskip(NEXT) | instid1(VALU_DEP_1)
	v_bfe_u32 v6, v2, 23, 8
	v_cmpx_ne_u32_e32 0xff, v6
; %bb.969:
	v_and_b32_e32 v3, 0x400000, v2
	v_and_or_b32 v6, 0x3fffff, v2, v6
	v_lshrrev_b32_e32 v2, 23, v2
	s_delay_alu instid0(VALU_DEP_3) | instskip(NEXT) | instid1(VALU_DEP_3)
	v_cmp_ne_u32_e32 vcc_lo, 0, v3
	v_cmp_ne_u32_e64 s2, 0, v6
	s_delay_alu instid0(VALU_DEP_1) | instskip(NEXT) | instid1(SALU_CYCLE_1)
	s_and_b32 s2, vcc_lo, s2
	v_cndmask_b32_e64 v3, 0, 1, s2
	s_delay_alu instid0(VALU_DEP_1)
	v_add_nc_u32_e32 v3, v2, v3
; %bb.970:
	s_or_b32 exec_lo, exec_lo, s4
	s_mov_b32 s2, 0
	global_store_b8 v[4:5], v3, off
.LBB321_971:
	s_mov_b32 s4, 0
.LBB321_972:
	s_delay_alu instid0(SALU_CYCLE_1)
	s_and_b32 vcc_lo, exec_lo, s4
	s_cbranch_vccz .LBB321_975
; %bb.973:
	v_cmp_eq_u16_e32 vcc_lo, 29, v8
	s_mov_b32 s2, -1
	s_cbranch_vccz .LBB321_975
; %bb.974:
	v_trunc_f64_e32 v[2:3], v[0:1]
	s_mov_b32 s2, 0
	s_delay_alu instid0(VALU_DEP_1) | instskip(NEXT) | instid1(VALU_DEP_1)
	v_ldexp_f64 v[6:7], v[2:3], 0xffffffe0
	v_floor_f64_e32 v[6:7], v[6:7]
	s_delay_alu instid0(VALU_DEP_1) | instskip(SKIP_1) | instid1(VALU_DEP_2)
	v_fma_f64 v[2:3], 0xc1f00000, v[6:7], v[2:3]
	v_cvt_u32_f64_e32 v7, v[6:7]
	v_cvt_u32_f64_e32 v6, v[2:3]
	global_store_b64 v[4:5], v[6:7], off
.LBB321_975:
	s_mov_b32 s4, 0
.LBB321_976:
	s_delay_alu instid0(SALU_CYCLE_1)
	s_and_b32 vcc_lo, exec_lo, s4
	s_cbranch_vccz .LBB321_991
; %bb.977:
	v_cmp_gt_i16_e32 vcc_lo, 27, v8
	s_mov_b32 s4, -1
	s_cbranch_vccnz .LBB321_983
; %bb.978:
	v_cvt_u32_f64_e32 v2, v[0:1]
	v_cmp_lt_i16_e32 vcc_lo, 27, v8
	s_cbranch_vccz .LBB321_980
; %bb.979:
	s_mov_b32 s4, 0
	global_store_b32 v[4:5], v2, off
.LBB321_980:
	s_and_not1_b32 vcc_lo, exec_lo, s4
	s_cbranch_vccnz .LBB321_982
; %bb.981:
	global_store_b16 v[4:5], v2, off
.LBB321_982:
	s_mov_b32 s4, 0
.LBB321_983:
	s_delay_alu instid0(SALU_CYCLE_1)
	s_and_not1_b32 vcc_lo, exec_lo, s4
	s_cbranch_vccnz .LBB321_991
; %bb.984:
	v_cvt_f32_f64_e32 v2, v[0:1]
	v_mov_b32_e32 v6, 0x80
	s_mov_b32 s4, exec_lo
	s_delay_alu instid0(VALU_DEP_2) | instskip(NEXT) | instid1(VALU_DEP_1)
	v_and_b32_e32 v3, 0x7fffffff, v2
	v_cmpx_gt_u32_e32 0x43800000, v3
	s_cbranch_execz .LBB321_990
; %bb.985:
	v_cmp_lt_u32_e32 vcc_lo, 0x3bffffff, v3
	s_mov_b32 s5, 0
                                        ; implicit-def: $vgpr3
	s_and_saveexec_b32 s7, vcc_lo
	s_delay_alu instid0(SALU_CYCLE_1)
	s_xor_b32 s7, exec_lo, s7
	s_cbranch_execz .LBB321_1279
; %bb.986:
	v_bfe_u32 v3, v2, 20, 1
	s_mov_b32 s5, exec_lo
	s_delay_alu instid0(VALU_DEP_1) | instskip(NEXT) | instid1(VALU_DEP_1)
	v_add3_u32 v3, v2, v3, 0x487ffff
	v_lshrrev_b32_e32 v3, 20, v3
	s_or_saveexec_b32 s7, s7
                                        ; implicit-def: $sgpr8
	s_delay_alu instid0(SALU_CYCLE_1)
	s_xor_b32 exec_lo, exec_lo, s7
	s_cbranch_execnz .LBB321_1280
.LBB321_987:
	s_or_b32 exec_lo, exec_lo, s7
	v_mov_b32_e32 v6, s8
	s_and_saveexec_b32 s7, s5
.LBB321_988:
	v_lshrrev_b32_e32 v2, 24, v2
	s_delay_alu instid0(VALU_DEP_1)
	v_and_or_b32 v6, 0x80, v2, v3
.LBB321_989:
	s_or_b32 exec_lo, exec_lo, s7
.LBB321_990:
	s_delay_alu instid0(SALU_CYCLE_1)
	s_or_b32 exec_lo, exec_lo, s4
	global_store_b8 v[4:5], v6, off
.LBB321_991:
	s_mov_b32 s4, 0
.LBB321_992:
	s_delay_alu instid0(SALU_CYCLE_1)
	s_and_b32 vcc_lo, exec_lo, s4
	s_mov_b32 s4, 0
	s_cbranch_vccz .LBB321_1032
; %bb.993:
	v_cmp_lt_i16_e32 vcc_lo, 22, v8
	s_mov_b32 s5, -1
	s_cbranch_vccz .LBB321_1025
; %bb.994:
	v_cmp_gt_i16_e32 vcc_lo, 24, v8
	s_cbranch_vccnz .LBB321_1014
; %bb.995:
	v_cmp_lt_i16_e32 vcc_lo, 24, v8
	s_cbranch_vccz .LBB321_1003
; %bb.996:
	v_cvt_f32_f64_e32 v2, v[0:1]
	v_mov_b32_e32 v6, 0x80
	s_mov_b32 s5, exec_lo
	s_delay_alu instid0(VALU_DEP_2) | instskip(NEXT) | instid1(VALU_DEP_1)
	v_and_b32_e32 v3, 0x7fffffff, v2
	v_cmpx_gt_u32_e32 0x47800000, v3
	s_cbranch_execz .LBB321_1002
; %bb.997:
	v_cmp_lt_u32_e32 vcc_lo, 0x37ffffff, v3
	s_mov_b32 s7, 0
                                        ; implicit-def: $vgpr3
	s_and_saveexec_b32 s8, vcc_lo
	s_delay_alu instid0(SALU_CYCLE_1)
	s_xor_b32 s8, exec_lo, s8
	s_cbranch_execz .LBB321_1323
; %bb.998:
	v_bfe_u32 v3, v2, 21, 1
	s_mov_b32 s7, exec_lo
	s_delay_alu instid0(VALU_DEP_1) | instskip(NEXT) | instid1(VALU_DEP_1)
	v_add3_u32 v3, v2, v3, 0x88fffff
	v_lshrrev_b32_e32 v3, 21, v3
	s_or_saveexec_b32 s8, s8
                                        ; implicit-def: $sgpr9
	s_delay_alu instid0(SALU_CYCLE_1)
	s_xor_b32 exec_lo, exec_lo, s8
	s_cbranch_execnz .LBB321_1324
.LBB321_999:
	s_or_b32 exec_lo, exec_lo, s8
	v_mov_b32_e32 v6, s9
	s_and_saveexec_b32 s8, s7
.LBB321_1000:
	v_lshrrev_b32_e32 v2, 24, v2
	s_delay_alu instid0(VALU_DEP_1)
	v_and_or_b32 v6, 0x80, v2, v3
.LBB321_1001:
	s_or_b32 exec_lo, exec_lo, s8
.LBB321_1002:
	s_delay_alu instid0(SALU_CYCLE_1)
	s_or_b32 exec_lo, exec_lo, s5
	s_mov_b32 s5, 0
	global_store_b8 v[4:5], v6, off
.LBB321_1003:
	s_and_b32 vcc_lo, exec_lo, s5
	s_cbranch_vccz .LBB321_1013
; %bb.1004:
	v_cvt_f32_f64_e32 v2, v[0:1]
	s_mov_b32 s5, exec_lo
                                        ; implicit-def: $vgpr3
	s_delay_alu instid0(VALU_DEP_1) | instskip(NEXT) | instid1(VALU_DEP_1)
	v_and_b32_e32 v6, 0x7fffffff, v2
	v_cmpx_gt_u32_e32 0x43f00000, v6
	s_xor_b32 s5, exec_lo, s5
	s_cbranch_execz .LBB321_1010
; %bb.1005:
	s_mov_b32 s7, exec_lo
                                        ; implicit-def: $vgpr3
	v_cmpx_lt_u32_e32 0x3c7fffff, v6
	s_xor_b32 s7, exec_lo, s7
; %bb.1006:
	v_bfe_u32 v3, v2, 20, 1
	s_delay_alu instid0(VALU_DEP_1) | instskip(NEXT) | instid1(VALU_DEP_1)
	v_add3_u32 v3, v2, v3, 0x407ffff
	v_and_b32_e32 v6, 0xff00000, v3
	v_lshrrev_b32_e32 v3, 20, v3
	s_delay_alu instid0(VALU_DEP_2) | instskip(NEXT) | instid1(VALU_DEP_2)
	v_cmp_ne_u32_e32 vcc_lo, 0x7f00000, v6
	v_cndmask_b32_e32 v3, 0x7e, v3, vcc_lo
; %bb.1007:
	s_and_not1_saveexec_b32 s7, s7
; %bb.1008:
	v_add_f32_e64 v3, 0x46800000, |v2|
; %bb.1009:
	s_or_b32 exec_lo, exec_lo, s7
                                        ; implicit-def: $vgpr6
.LBB321_1010:
	s_and_not1_saveexec_b32 s5, s5
; %bb.1011:
	v_mov_b32_e32 v3, 0x7f
	v_cmp_lt_u32_e32 vcc_lo, 0x7f800000, v6
	s_delay_alu instid0(VALU_DEP_2)
	v_cndmask_b32_e32 v3, 0x7e, v3, vcc_lo
; %bb.1012:
	s_or_b32 exec_lo, exec_lo, s5
	v_lshrrev_b32_e32 v2, 24, v2
	s_delay_alu instid0(VALU_DEP_1)
	v_and_or_b32 v2, 0x80, v2, v3
	global_store_b8 v[4:5], v2, off
.LBB321_1013:
	s_mov_b32 s5, 0
.LBB321_1014:
	s_delay_alu instid0(SALU_CYCLE_1)
	s_and_not1_b32 vcc_lo, exec_lo, s5
	s_cbranch_vccnz .LBB321_1024
; %bb.1015:
	v_cvt_f32_f64_e32 v2, v[0:1]
	s_mov_b32 s5, exec_lo
                                        ; implicit-def: $vgpr3
	s_delay_alu instid0(VALU_DEP_1) | instskip(NEXT) | instid1(VALU_DEP_1)
	v_and_b32_e32 v6, 0x7fffffff, v2
	v_cmpx_gt_u32_e32 0x47800000, v6
	s_xor_b32 s5, exec_lo, s5
	s_cbranch_execz .LBB321_1021
; %bb.1016:
	s_mov_b32 s7, exec_lo
                                        ; implicit-def: $vgpr3
	v_cmpx_lt_u32_e32 0x387fffff, v6
	s_xor_b32 s7, exec_lo, s7
; %bb.1017:
	v_bfe_u32 v3, v2, 21, 1
	s_delay_alu instid0(VALU_DEP_1) | instskip(NEXT) | instid1(VALU_DEP_1)
	v_add3_u32 v3, v2, v3, 0x80fffff
	v_lshrrev_b32_e32 v3, 21, v3
; %bb.1018:
	s_and_not1_saveexec_b32 s7, s7
; %bb.1019:
	v_add_f32_e64 v3, 0x43000000, |v2|
; %bb.1020:
	s_or_b32 exec_lo, exec_lo, s7
                                        ; implicit-def: $vgpr6
.LBB321_1021:
	s_and_not1_saveexec_b32 s5, s5
; %bb.1022:
	v_mov_b32_e32 v3, 0x7f
	v_cmp_lt_u32_e32 vcc_lo, 0x7f800000, v6
	s_delay_alu instid0(VALU_DEP_2)
	v_cndmask_b32_e32 v3, 0x7c, v3, vcc_lo
; %bb.1023:
	s_or_b32 exec_lo, exec_lo, s5
	v_lshrrev_b32_e32 v2, 24, v2
	s_delay_alu instid0(VALU_DEP_1)
	v_and_or_b32 v2, 0x80, v2, v3
	global_store_b8 v[4:5], v2, off
.LBB321_1024:
	s_mov_b32 s5, 0
.LBB321_1025:
	s_delay_alu instid0(SALU_CYCLE_1)
	s_and_not1_b32 vcc_lo, exec_lo, s5
	s_mov_b32 s8, 0
	s_cbranch_vccnz .LBB321_1033
; %bb.1026:
	v_cmp_lt_i16_e32 vcc_lo, 14, v8
	s_mov_b32 s5, -1
	s_cbranch_vccz .LBB321_1030
; %bb.1027:
	v_cmp_eq_u16_e32 vcc_lo, 15, v8
	s_mov_b32 s2, -1
	s_cbranch_vccz .LBB321_1029
; %bb.1028:
	v_cvt_f32_f64_e32 v2, v[0:1]
	s_mov_b32 s2, 0
	s_delay_alu instid0(VALU_DEP_1) | instskip(SKIP_1) | instid1(VALU_DEP_2)
	v_bfe_u32 v3, v2, 16, 1
	v_cmp_o_f32_e32 vcc_lo, v2, v2
	v_add3_u32 v3, v2, v3, 0x7fff
	s_delay_alu instid0(VALU_DEP_1) | instskip(NEXT) | instid1(VALU_DEP_1)
	v_lshrrev_b32_e32 v3, 16, v3
	v_cndmask_b32_e32 v2, 0x7fc0, v3, vcc_lo
	global_store_b16 v[4:5], v2, off
.LBB321_1029:
	s_mov_b32 s5, 0
.LBB321_1030:
	s_delay_alu instid0(SALU_CYCLE_1)
	s_and_b32 vcc_lo, exec_lo, s5
	s_cbranch_vccz .LBB321_1033
; %bb.1031:
	v_cmp_ne_u16_e32 vcc_lo, 11, v8
	s_and_not1_b32 s2, s2, exec_lo
	s_mov_b32 s8, -1
	s_and_b32 s5, vcc_lo, exec_lo
	s_delay_alu instid0(SALU_CYCLE_1)
	s_or_b32 s2, s2, s5
	s_branch .LBB321_1033
.LBB321_1032:
	s_mov_b32 s8, 0
.LBB321_1033:
	s_and_b32 s7, s4, exec_lo
	s_and_not1_b32 s4, s39, exec_lo
	s_and_b32 s2, s2, exec_lo
	s_and_b32 s12, s8, exec_lo
	s_or_b32 s39, s4, s2
.LBB321_1034:
	s_or_b32 exec_lo, exec_lo, s6
	s_and_saveexec_b32 s2, s39
	s_cbranch_execnz .LBB321_1148
; %bb.1035:
	s_or_b32 exec_lo, exec_lo, s2
	s_and_saveexec_b32 s2, s12
	s_delay_alu instid0(SALU_CYCLE_1)
	s_xor_b32 s2, exec_lo, s2
	s_cbranch_execz .LBB321_1037
.LBB321_1036:
	v_cmp_neq_f64_e32 vcc_lo, 0, v[0:1]
	v_cndmask_b32_e64 v2, 0, 1, vcc_lo
	global_store_b8 v[4:5], v2, off
.LBB321_1037:
	s_or_b32 exec_lo, exec_lo, s2
	s_and_saveexec_b32 s2, s7
	s_delay_alu instid0(SALU_CYCLE_1)
	s_xor_b32 s2, exec_lo, s2
	s_cbranch_execz .LBB321_1075
; %bb.1038:
	v_cmp_gt_i16_e32 vcc_lo, 5, v8
	s_mov_b32 s4, -1
	s_cbranch_vccnz .LBB321_1059
; %bb.1039:
	v_cmp_gt_i16_e32 vcc_lo, 8, v8
	s_cbranch_vccnz .LBB321_1049
; %bb.1040:
	v_cmp_gt_i16_e32 vcc_lo, 9, v8
	s_cbranch_vccnz .LBB321_1046
; %bb.1041:
	v_cmp_lt_i16_e32 vcc_lo, 9, v8
	s_cbranch_vccz .LBB321_1043
; %bb.1042:
	v_mov_b32_e32 v2, 0
	s_mov_b32 s4, 0
	s_delay_alu instid0(VALU_DEP_1)
	v_mov_b32_e32 v3, v2
	global_store_b128 v[4:5], v[0:3], off
.LBB321_1043:
	s_and_not1_b32 vcc_lo, exec_lo, s4
	s_cbranch_vccnz .LBB321_1045
; %bb.1044:
	v_cvt_f32_f64_e32 v2, v[0:1]
	v_mov_b32_e32 v3, 0
	global_store_b64 v[4:5], v[2:3], off
.LBB321_1045:
	s_mov_b32 s4, 0
.LBB321_1046:
	s_delay_alu instid0(SALU_CYCLE_1)
	s_and_not1_b32 vcc_lo, exec_lo, s4
	s_cbranch_vccnz .LBB321_1048
; %bb.1047:
	v_cvt_f32_f64_e32 v2, v[0:1]
	s_delay_alu instid0(VALU_DEP_1) | instskip(NEXT) | instid1(VALU_DEP_1)
	v_cvt_f16_f32_e32 v2, v2
	v_and_b32_e32 v2, 0xffff, v2
	global_store_b32 v[4:5], v2, off
.LBB321_1048:
	s_mov_b32 s4, 0
.LBB321_1049:
	s_delay_alu instid0(SALU_CYCLE_1)
	s_and_not1_b32 vcc_lo, exec_lo, s4
	s_cbranch_vccnz .LBB321_1058
; %bb.1050:
	v_cmp_gt_i16_e32 vcc_lo, 6, v8
	s_mov_b32 s4, -1
	s_cbranch_vccnz .LBB321_1056
; %bb.1051:
	v_cmp_lt_i16_e32 vcc_lo, 6, v8
	s_cbranch_vccz .LBB321_1053
; %bb.1052:
	s_mov_b32 s4, 0
	global_store_b64 v[4:5], v[0:1], off
.LBB321_1053:
	s_and_not1_b32 vcc_lo, exec_lo, s4
	s_cbranch_vccnz .LBB321_1055
; %bb.1054:
	v_cvt_f32_f64_e32 v2, v[0:1]
	global_store_b32 v[4:5], v2, off
.LBB321_1055:
	s_mov_b32 s4, 0
.LBB321_1056:
	s_delay_alu instid0(SALU_CYCLE_1)
	s_and_not1_b32 vcc_lo, exec_lo, s4
	s_cbranch_vccnz .LBB321_1058
; %bb.1057:
	v_cvt_f32_f64_e32 v2, v[0:1]
	s_delay_alu instid0(VALU_DEP_1)
	v_cvt_f16_f32_e32 v2, v2
	global_store_b16 v[4:5], v2, off
.LBB321_1058:
	s_mov_b32 s4, 0
.LBB321_1059:
	s_delay_alu instid0(SALU_CYCLE_1)
	s_and_not1_b32 vcc_lo, exec_lo, s4
	s_cbranch_vccnz .LBB321_1075
; %bb.1060:
	v_cmp_gt_i16_e32 vcc_lo, 2, v8
	s_mov_b32 s4, -1
	s_cbranch_vccnz .LBB321_1070
; %bb.1061:
	v_cmp_gt_i16_e32 vcc_lo, 3, v8
	s_cbranch_vccnz .LBB321_1067
; %bb.1062:
	v_cmp_lt_i16_e32 vcc_lo, 3, v8
	s_cbranch_vccz .LBB321_1064
; %bb.1063:
	v_trunc_f64_e32 v[2:3], v[0:1]
	s_mov_b32 s4, 0
	s_waitcnt vmcnt(0)
	s_delay_alu instid0(VALU_DEP_1) | instskip(NEXT) | instid1(VALU_DEP_1)
	v_ldexp_f64 v[6:7], v[2:3], 0xffffffe0
	v_floor_f64_e32 v[6:7], v[6:7]
	s_delay_alu instid0(VALU_DEP_1) | instskip(SKIP_1) | instid1(VALU_DEP_2)
	v_fma_f64 v[2:3], 0xc1f00000, v[6:7], v[2:3]
	v_cvt_i32_f64_e32 v7, v[6:7]
	v_cvt_u32_f64_e32 v6, v[2:3]
	global_store_b64 v[4:5], v[6:7], off
.LBB321_1064:
	s_and_not1_b32 vcc_lo, exec_lo, s4
	s_cbranch_vccnz .LBB321_1066
; %bb.1065:
	v_cvt_i32_f64_e32 v2, v[0:1]
	global_store_b32 v[4:5], v2, off
.LBB321_1066:
	s_mov_b32 s4, 0
.LBB321_1067:
	s_delay_alu instid0(SALU_CYCLE_1)
	s_and_not1_b32 vcc_lo, exec_lo, s4
	s_cbranch_vccnz .LBB321_1069
; %bb.1068:
	v_cvt_i32_f64_e32 v2, v[0:1]
	global_store_b16 v[4:5], v2, off
.LBB321_1069:
	s_mov_b32 s4, 0
.LBB321_1070:
	s_delay_alu instid0(SALU_CYCLE_1)
	s_and_not1_b32 vcc_lo, exec_lo, s4
	s_cbranch_vccnz .LBB321_1075
; %bb.1071:
	v_cmp_lt_i16_e32 vcc_lo, 0, v8
	s_mov_b32 s4, -1
	s_cbranch_vccz .LBB321_1073
; %bb.1072:
	v_cvt_i32_f64_e32 v2, v[0:1]
	s_mov_b32 s4, 0
	global_store_b8 v[4:5], v2, off
.LBB321_1073:
	s_and_not1_b32 vcc_lo, exec_lo, s4
	s_cbranch_vccnz .LBB321_1075
; %bb.1074:
	v_trunc_f64_e32 v[0:1], v[0:1]
	s_delay_alu instid0(VALU_DEP_1) | instskip(NEXT) | instid1(VALU_DEP_1)
	v_ldexp_f64 v[2:3], v[0:1], 0xffffffe0
	v_floor_f64_e32 v[2:3], v[2:3]
	s_delay_alu instid0(VALU_DEP_1) | instskip(NEXT) | instid1(VALU_DEP_1)
	v_fma_f64 v[0:1], 0xc1f00000, v[2:3], v[0:1]
	v_cvt_u32_f64_e32 v0, v[0:1]
	global_store_b8 v[4:5], v0, off
.LBB321_1075:
	s_or_b32 exec_lo, exec_lo, s2
	s_delay_alu instid0(SALU_CYCLE_1)
	s_and_b32 s12, s3, exec_lo
                                        ; implicit-def: $vgpr3
                                        ; implicit-def: $vgpr9
.LBB321_1076:
	s_or_saveexec_b32 s13, s33
	s_mov_b32 s4, 0
                                        ; implicit-def: $vgpr4_vgpr5
                                        ; implicit-def: $sgpr3
                                        ; implicit-def: $vgpr0_vgpr1
	s_xor_b32 exec_lo, exec_lo, s13
	s_cbranch_execz .LBB321_2051
; %bb.1077:
	v_cndmask_b32_e64 v1, 0, 1, s31
	s_and_not1_b32 vcc_lo, exec_lo, s31
	s_cbranch_vccnz .LBB321_1083
; %bb.1078:
	v_mov_b32_e32 v0, 0
	v_mov_b32_e32 v2, 0
	s_cmp_lg_u32 s28, 0
	s_mov_b32 s6, 0
	s_cbranch_scc0 .LBB321_1087
; %bb.1079:
	s_min_u32 s7, s29, 15
	v_mov_b32_e32 v0, 0
	s_add_i32 s7, s7, 1
	s_cmp_eq_u32 s29, 2
	s_mov_b32 s8, 0
	s_cbranch_scc1 .LBB321_1084
; %bb.1080:
	v_mov_b32_e32 v2, 0
	v_mov_b32_e32 v0, 0
	;; [unrolled: 1-line block ×3, first 2 shown]
	s_add_u32 s2, s20, 0xc4
	s_addc_u32 s3, s21, 0
	s_and_b32 s8, s7, 28
	s_mov_b32 s9, 0
	s_mov_b64 s[4:5], s[20:21]
.LBB321_1081:                           ; =>This Inner Loop Header: Depth=1
	s_clause 0x1
	s_load_b256 s[36:43], s[4:5], 0x4
	s_load_b128 s[16:19], s[4:5], 0x24
	s_load_b256 s[44:51], s[2:3], 0x0
	s_add_u32 s4, s4, 48
	s_addc_u32 s5, s5, 0
	s_add_i32 s9, s9, 4
	s_add_u32 s2, s2, 32
	s_addc_u32 s3, s3, 0
	s_cmp_lg_u32 s8, s9
	s_waitcnt lgkmcnt(0)
	v_mul_hi_u32 v5, s37, v4
	s_delay_alu instid0(VALU_DEP_1) | instskip(NEXT) | instid1(VALU_DEP_1)
	v_add_nc_u32_e32 v5, v4, v5
	v_lshrrev_b32_e32 v5, s38, v5
	s_waitcnt vmcnt(0)
	s_delay_alu instid0(VALU_DEP_1) | instskip(SKIP_1) | instid1(VALU_DEP_2)
	v_mul_hi_u32 v6, s40, v5
	v_mul_lo_u32 v8, v5, s36
	v_add_nc_u32_e32 v6, v5, v6
	s_delay_alu instid0(VALU_DEP_2) | instskip(NEXT) | instid1(VALU_DEP_2)
	v_sub_nc_u32_e32 v4, v4, v8
	v_lshrrev_b32_e32 v6, s41, v6
	s_delay_alu instid0(VALU_DEP_2) | instskip(SKIP_1) | instid1(VALU_DEP_3)
	v_mul_lo_u32 v8, v4, s44
	v_mul_lo_u32 v11, v4, s45
	v_mul_hi_u32 v7, s43, v6
	s_delay_alu instid0(VALU_DEP_1) | instskip(NEXT) | instid1(VALU_DEP_1)
	v_add_nc_u32_e32 v7, v6, v7
	v_lshrrev_b32_e32 v7, s16, v7
	s_delay_alu instid0(VALU_DEP_1) | instskip(SKIP_1) | instid1(VALU_DEP_2)
	v_mul_hi_u32 v10, s18, v7
	v_mul_lo_u32 v12, v7, s42
	v_add_nc_u32_e32 v4, v7, v10
	v_mul_lo_u32 v10, v6, s39
	s_delay_alu instid0(VALU_DEP_3) | instskip(NEXT) | instid1(VALU_DEP_3)
	v_sub_nc_u32_e32 v6, v6, v12
	v_lshrrev_b32_e32 v4, s19, v4
	s_delay_alu instid0(VALU_DEP_2) | instskip(SKIP_2) | instid1(VALU_DEP_4)
	v_mul_lo_u32 v12, v6, s48
	v_mul_lo_u32 v6, v6, s49
	v_sub_nc_u32_e32 v5, v5, v10
	v_mul_lo_u32 v13, v4, s17
	s_delay_alu instid0(VALU_DEP_2) | instskip(SKIP_1) | instid1(VALU_DEP_3)
	v_mul_lo_u32 v10, v5, s46
	v_mul_lo_u32 v5, v5, s47
	v_sub_nc_u32_e32 v7, v7, v13
	s_delay_alu instid0(VALU_DEP_3) | instskip(NEXT) | instid1(VALU_DEP_2)
	v_add3_u32 v0, v8, v0, v10
	v_mul_lo_u32 v13, v7, s50
	v_mul_lo_u32 v7, v7, s51
	v_add3_u32 v2, v11, v2, v5
	s_delay_alu instid0(VALU_DEP_3) | instskip(NEXT) | instid1(VALU_DEP_2)
	v_add3_u32 v0, v12, v0, v13
	v_add3_u32 v2, v6, v2, v7
	s_cbranch_scc1 .LBB321_1081
; %bb.1082:
	s_and_b32 s7, s7, 3
	s_delay_alu instid0(SALU_CYCLE_1)
	s_cmp_eq_u32 s7, 0
	s_cbranch_scc0 .LBB321_1085
	s_branch .LBB321_1087
.LBB321_1083:
	s_mov_b32 s6, -1
                                        ; implicit-def: $vgpr0
                                        ; implicit-def: $vgpr2
	s_branch .LBB321_1087
.LBB321_1084:
	v_mov_b32_e32 v4, v9
	v_mov_b32_e32 v2, 0
	s_and_b32 s7, s7, 3
	s_delay_alu instid0(SALU_CYCLE_1)
	s_cmp_eq_u32 s7, 0
	s_cbranch_scc1 .LBB321_1087
.LBB321_1085:
	s_lshl_b32 s2, s8, 3
	s_mul_i32 s4, s8, 12
	s_add_u32 s2, s2, s20
	s_addc_u32 s3, 0, s21
	s_add_u32 s2, s2, 0xc4
	s_addc_u32 s3, s3, 0
	;; [unrolled: 2-line block ×3, first 2 shown]
	.p2align	6
.LBB321_1086:                           ; =>This Inner Loop Header: Depth=1
	s_clause 0x1
	s_load_b64 s[8:9], s[4:5], 0x4
	s_load_b32 s14, s[4:5], 0xc
	s_load_b64 s[10:11], s[2:3], 0x0
	s_add_u32 s4, s4, 12
	s_addc_u32 s5, s5, 0
	s_add_u32 s2, s2, 8
	s_addc_u32 s3, s3, 0
	s_add_i32 s7, s7, -1
	s_delay_alu instid0(SALU_CYCLE_1) | instskip(SKIP_2) | instid1(VALU_DEP_1)
	s_cmp_lg_u32 s7, 0
	s_waitcnt lgkmcnt(0)
	v_mul_hi_u32 v5, s9, v4
	v_add_nc_u32_e32 v5, v4, v5
	s_delay_alu instid0(VALU_DEP_1) | instskip(NEXT) | instid1(VALU_DEP_1)
	v_lshrrev_b32_e32 v8, s14, v5
	v_mul_lo_u32 v5, v8, s8
	s_delay_alu instid0(VALU_DEP_1) | instskip(SKIP_1) | instid1(VALU_DEP_1)
	v_sub_nc_u32_e32 v4, v4, v5
	s_waitcnt vmcnt(0)
	v_mad_u64_u32 v[5:6], null, v4, s10, v[0:1]
	v_mad_u64_u32 v[6:7], null, v4, s11, v[2:3]
	v_mov_b32_e32 v4, v8
	s_delay_alu instid0(VALU_DEP_3) | instskip(NEXT) | instid1(VALU_DEP_3)
	v_mov_b32_e32 v0, v5
	v_mov_b32_e32 v2, v6
	s_cbranch_scc1 .LBB321_1086
.LBB321_1087:
	s_and_not1_b32 vcc_lo, exec_lo, s6
	s_cbranch_vccnz .LBB321_1090
; %bb.1088:
	s_clause 0x1
	s_load_b128 s[4:7], s[20:21], 0x4
	s_load_b64 s[2:3], s[20:21], 0xc4
	s_cmp_lt_u32 s28, 2
	s_waitcnt lgkmcnt(0)
	v_mul_hi_u32 v0, s5, v9
	s_delay_alu instid0(VALU_DEP_1) | instskip(NEXT) | instid1(VALU_DEP_1)
	v_add_nc_u32_e32 v0, v9, v0
	v_lshrrev_b32_e32 v4, s6, v0
	s_delay_alu instid0(VALU_DEP_1) | instskip(NEXT) | instid1(VALU_DEP_1)
	v_mul_lo_u32 v0, v4, s4
	v_sub_nc_u32_e32 v2, v9, v0
	s_delay_alu instid0(VALU_DEP_1)
	v_mul_lo_u32 v0, v2, s2
	v_mul_lo_u32 v2, v2, s3
	s_cbranch_scc1 .LBB321_1090
; %bb.1089:
	s_clause 0x1
	s_load_b128 s[4:7], s[20:21], 0x10
	s_load_b64 s[2:3], s[20:21], 0xcc
	s_waitcnt lgkmcnt(0)
	v_mul_hi_u32 v5, s5, v4
	s_delay_alu instid0(VALU_DEP_1) | instskip(NEXT) | instid1(VALU_DEP_1)
	v_add_nc_u32_e32 v5, v4, v5
	v_lshrrev_b32_e32 v5, s6, v5
	s_delay_alu instid0(VALU_DEP_1) | instskip(SKIP_1) | instid1(VALU_DEP_1)
	v_mul_lo_u32 v5, v5, s4
	s_waitcnt vmcnt(0)
	v_sub_nc_u32_e32 v7, v4, v5
	s_delay_alu instid0(VALU_DEP_1) | instskip(SKIP_1) | instid1(VALU_DEP_2)
	v_mad_u64_u32 v[4:5], null, v7, s2, v[0:1]
	v_mad_u64_u32 v[5:6], null, v7, s3, v[2:3]
	v_mov_b32_e32 v0, v4
	s_delay_alu instid0(VALU_DEP_2)
	v_mov_b32_e32 v2, v5
.LBB321_1090:
	v_cmp_ne_u32_e32 vcc_lo, 1, v1
	v_add_nc_u32_e32 v4, 0x80, v9
	s_cbranch_vccnz .LBB321_1096
; %bb.1091:
	s_waitcnt vmcnt(0)
	v_dual_mov_b32 v6, 0 :: v_dual_mov_b32 v7, 0
	s_cmp_lg_u32 s28, 0
	s_mov_b32 s6, 0
	s_cbranch_scc0 .LBB321_1100
; %bb.1092:
	s_min_u32 s7, s29, 15
	v_mov_b32_e32 v6, 0
	s_add_i32 s7, s7, 1
	s_cmp_eq_u32 s29, 2
	s_mov_b32 s8, 0
	s_cbranch_scc1 .LBB321_1097
; %bb.1093:
	v_dual_mov_b32 v7, 0 :: v_dual_mov_b32 v6, 0
	v_mov_b32_e32 v5, v4
	s_add_u32 s2, s20, 0xc4
	s_addc_u32 s3, s21, 0
	s_and_b32 s8, s7, 28
	s_mov_b32 s9, 0
	s_mov_b64 s[4:5], s[20:21]
.LBB321_1094:                           ; =>This Inner Loop Header: Depth=1
	s_clause 0x1
	s_load_b256 s[36:43], s[4:5], 0x4
	s_load_b128 s[16:19], s[4:5], 0x24
	s_load_b256 s[44:51], s[2:3], 0x0
	s_add_u32 s4, s4, 48
	s_addc_u32 s5, s5, 0
	s_add_i32 s9, s9, 4
	s_add_u32 s2, s2, 32
	s_addc_u32 s3, s3, 0
	s_cmp_lg_u32 s8, s9
	s_waitcnt lgkmcnt(0)
	v_mul_hi_u32 v8, s37, v5
	s_delay_alu instid0(VALU_DEP_1) | instskip(NEXT) | instid1(VALU_DEP_1)
	v_add_nc_u32_e32 v8, v5, v8
	v_lshrrev_b32_e32 v8, s38, v8
	s_delay_alu instid0(VALU_DEP_1) | instskip(SKIP_1) | instid1(VALU_DEP_2)
	v_mul_hi_u32 v10, s40, v8
	v_mul_lo_u32 v12, v8, s36
	v_add_nc_u32_e32 v10, v8, v10
	s_delay_alu instid0(VALU_DEP_2) | instskip(NEXT) | instid1(VALU_DEP_2)
	v_sub_nc_u32_e32 v5, v5, v12
	v_lshrrev_b32_e32 v10, s41, v10
	s_delay_alu instid0(VALU_DEP_2) | instskip(SKIP_1) | instid1(VALU_DEP_3)
	v_mul_lo_u32 v12, v5, s44
	v_mul_lo_u32 v14, v5, s45
	v_mul_hi_u32 v11, s43, v10
	s_delay_alu instid0(VALU_DEP_1) | instskip(NEXT) | instid1(VALU_DEP_1)
	v_add_nc_u32_e32 v11, v10, v11
	v_lshrrev_b32_e32 v11, s16, v11
	s_delay_alu instid0(VALU_DEP_1) | instskip(SKIP_1) | instid1(VALU_DEP_2)
	v_mul_hi_u32 v13, s18, v11
	v_mul_lo_u32 v15, v11, s42
	v_add_nc_u32_e32 v5, v11, v13
	v_mul_lo_u32 v13, v10, s39
	s_delay_alu instid0(VALU_DEP_3) | instskip(NEXT) | instid1(VALU_DEP_3)
	v_sub_nc_u32_e32 v10, v10, v15
	v_lshrrev_b32_e32 v5, s19, v5
	s_delay_alu instid0(VALU_DEP_2) | instskip(SKIP_2) | instid1(VALU_DEP_4)
	v_mul_lo_u32 v15, v10, s48
	v_mul_lo_u32 v10, v10, s49
	v_sub_nc_u32_e32 v8, v8, v13
	v_mul_lo_u32 v16, v5, s17
	s_delay_alu instid0(VALU_DEP_2) | instskip(SKIP_1) | instid1(VALU_DEP_3)
	v_mul_lo_u32 v13, v8, s46
	v_mul_lo_u32 v8, v8, s47
	v_sub_nc_u32_e32 v11, v11, v16
	s_delay_alu instid0(VALU_DEP_3) | instskip(NEXT) | instid1(VALU_DEP_2)
	v_add3_u32 v6, v12, v6, v13
	v_mul_lo_u32 v16, v11, s50
	v_mul_lo_u32 v11, v11, s51
	v_add3_u32 v7, v14, v7, v8
	s_delay_alu instid0(VALU_DEP_3) | instskip(NEXT) | instid1(VALU_DEP_2)
	v_add3_u32 v6, v15, v6, v16
	v_add3_u32 v7, v10, v7, v11
	s_cbranch_scc1 .LBB321_1094
; %bb.1095:
	s_and_b32 s7, s7, 3
	s_delay_alu instid0(SALU_CYCLE_1)
	s_cmp_eq_u32 s7, 0
	s_cbranch_scc0 .LBB321_1098
	s_branch .LBB321_1100
.LBB321_1096:
	s_mov_b32 s6, -1
                                        ; implicit-def: $vgpr6
                                        ; implicit-def: $vgpr7
	s_branch .LBB321_1100
.LBB321_1097:
	v_mov_b32_e32 v5, v4
	v_mov_b32_e32 v7, 0
	s_and_b32 s7, s7, 3
	s_delay_alu instid0(SALU_CYCLE_1)
	s_cmp_eq_u32 s7, 0
	s_cbranch_scc1 .LBB321_1100
.LBB321_1098:
	s_lshl_b32 s2, s8, 3
	s_mul_i32 s4, s8, 12
	s_add_u32 s2, s2, s20
	s_addc_u32 s3, 0, s21
	s_add_u32 s2, s2, 0xc4
	s_addc_u32 s3, s3, 0
	;; [unrolled: 2-line block ×3, first 2 shown]
	.p2align	6
.LBB321_1099:                           ; =>This Inner Loop Header: Depth=1
	s_clause 0x1
	s_load_b64 s[8:9], s[4:5], 0x4
	s_load_b32 s14, s[4:5], 0xc
	s_load_b64 s[10:11], s[2:3], 0x0
	s_add_u32 s4, s4, 12
	s_addc_u32 s5, s5, 0
	s_add_u32 s2, s2, 8
	s_addc_u32 s3, s3, 0
	s_add_i32 s7, s7, -1
	s_delay_alu instid0(SALU_CYCLE_1) | instskip(SKIP_2) | instid1(VALU_DEP_1)
	s_cmp_lg_u32 s7, 0
	s_waitcnt lgkmcnt(0)
	v_mul_hi_u32 v8, s9, v5
	v_add_nc_u32_e32 v8, v5, v8
	s_delay_alu instid0(VALU_DEP_1) | instskip(NEXT) | instid1(VALU_DEP_1)
	v_lshrrev_b32_e32 v8, s14, v8
	v_mul_lo_u32 v10, v8, s8
	s_delay_alu instid0(VALU_DEP_1) | instskip(NEXT) | instid1(VALU_DEP_1)
	v_sub_nc_u32_e32 v5, v5, v10
	v_mad_u64_u32 v[10:11], null, v5, s10, v[6:7]
	v_mad_u64_u32 v[11:12], null, v5, s11, v[7:8]
	s_delay_alu instid0(VALU_DEP_2) | instskip(NEXT) | instid1(VALU_DEP_2)
	v_dual_mov_b32 v5, v8 :: v_dual_mov_b32 v6, v10
	v_mov_b32_e32 v7, v11
	s_cbranch_scc1 .LBB321_1099
.LBB321_1100:
	s_and_not1_b32 vcc_lo, exec_lo, s6
	s_cbranch_vccnz .LBB321_1103
; %bb.1101:
	s_clause 0x1
	s_load_b128 s[4:7], s[20:21], 0x4
	s_load_b64 s[2:3], s[20:21], 0xc4
	s_cmp_lt_u32 s28, 2
	s_waitcnt lgkmcnt(0)
	v_mul_hi_u32 v5, s5, v4
	s_delay_alu instid0(VALU_DEP_1) | instskip(NEXT) | instid1(VALU_DEP_1)
	v_add_nc_u32_e32 v5, v4, v5
	v_lshrrev_b32_e32 v5, s6, v5
	s_waitcnt vmcnt(0)
	s_delay_alu instid0(VALU_DEP_1) | instskip(NEXT) | instid1(VALU_DEP_1)
	v_mul_lo_u32 v6, v5, s4
	v_sub_nc_u32_e32 v4, v4, v6
	s_delay_alu instid0(VALU_DEP_1)
	v_mul_lo_u32 v6, v4, s2
	v_mul_lo_u32 v7, v4, s3
	s_cbranch_scc1 .LBB321_1103
; %bb.1102:
	s_clause 0x1
	s_load_b128 s[4:7], s[20:21], 0x10
	s_load_b64 s[2:3], s[20:21], 0xcc
	s_waitcnt lgkmcnt(0)
	v_mul_hi_u32 v4, s5, v5
	s_delay_alu instid0(VALU_DEP_1) | instskip(NEXT) | instid1(VALU_DEP_1)
	v_add_nc_u32_e32 v4, v5, v4
	v_lshrrev_b32_e32 v4, s6, v4
	s_delay_alu instid0(VALU_DEP_1) | instskip(NEXT) | instid1(VALU_DEP_1)
	v_mul_lo_u32 v4, v4, s4
	v_sub_nc_u32_e32 v8, v5, v4
	s_delay_alu instid0(VALU_DEP_1) | instskip(SKIP_1) | instid1(VALU_DEP_1)
	v_mad_u64_u32 v[4:5], null, v8, s2, v[6:7]
	v_mad_u64_u32 v[5:6], null, v8, s3, v[7:8]
	v_dual_mov_b32 v6, v4 :: v_dual_mov_b32 v7, v5
.LBB321_1103:
	v_cmp_ne_u32_e32 vcc_lo, 1, v1
	v_add_nc_u32_e32 v4, 0x100, v9
	s_cbranch_vccnz .LBB321_1109
; %bb.1104:
	v_mov_b32_e32 v5, 0
	v_mov_b32_e32 v9, 0
	s_cmp_lg_u32 s28, 0
	s_mov_b32 s6, 0
	s_cbranch_scc0 .LBB321_1113
; %bb.1105:
	s_min_u32 s7, s29, 15
	v_mov_b32_e32 v5, 0
	s_add_i32 s7, s7, 1
	s_cmp_eq_u32 s29, 2
	s_mov_b32 s8, 0
	s_cbranch_scc1 .LBB321_1110
; %bb.1106:
	v_dual_mov_b32 v9, 0 :: v_dual_mov_b32 v8, v4
	v_mov_b32_e32 v5, 0
	s_add_u32 s2, s20, 0xc4
	s_addc_u32 s3, s21, 0
	s_and_b32 s8, s7, 28
	s_mov_b32 s9, 0
	s_mov_b64 s[4:5], s[20:21]
.LBB321_1107:                           ; =>This Inner Loop Header: Depth=1
	s_clause 0x1
	s_load_b256 s[36:43], s[4:5], 0x4
	s_load_b128 s[16:19], s[4:5], 0x24
	s_load_b256 s[44:51], s[2:3], 0x0
	s_add_u32 s4, s4, 48
	s_addc_u32 s5, s5, 0
	s_add_i32 s9, s9, 4
	s_add_u32 s2, s2, 32
	s_addc_u32 s3, s3, 0
	s_cmp_lg_u32 s8, s9
	s_waitcnt lgkmcnt(0)
	v_mul_hi_u32 v10, s37, v8
	s_delay_alu instid0(VALU_DEP_1) | instskip(NEXT) | instid1(VALU_DEP_1)
	v_add_nc_u32_e32 v10, v8, v10
	v_lshrrev_b32_e32 v10, s38, v10
	s_delay_alu instid0(VALU_DEP_1) | instskip(SKIP_1) | instid1(VALU_DEP_2)
	v_mul_hi_u32 v11, s40, v10
	v_mul_lo_u32 v13, v10, s36
	v_add_nc_u32_e32 v11, v10, v11
	s_delay_alu instid0(VALU_DEP_2) | instskip(NEXT) | instid1(VALU_DEP_2)
	v_sub_nc_u32_e32 v8, v8, v13
	v_lshrrev_b32_e32 v11, s41, v11
	s_delay_alu instid0(VALU_DEP_2) | instskip(SKIP_1) | instid1(VALU_DEP_3)
	v_mul_lo_u32 v13, v8, s44
	v_mul_lo_u32 v15, v8, s45
	v_mul_hi_u32 v12, s43, v11
	s_delay_alu instid0(VALU_DEP_1) | instskip(NEXT) | instid1(VALU_DEP_1)
	v_add_nc_u32_e32 v12, v11, v12
	v_lshrrev_b32_e32 v12, s16, v12
	s_delay_alu instid0(VALU_DEP_1) | instskip(SKIP_1) | instid1(VALU_DEP_2)
	v_mul_hi_u32 v14, s18, v12
	v_mul_lo_u32 v16, v12, s42
	v_add_nc_u32_e32 v8, v12, v14
	v_mul_lo_u32 v14, v11, s39
	s_delay_alu instid0(VALU_DEP_3) | instskip(NEXT) | instid1(VALU_DEP_3)
	v_sub_nc_u32_e32 v11, v11, v16
	v_lshrrev_b32_e32 v8, s19, v8
	s_delay_alu instid0(VALU_DEP_2) | instskip(SKIP_2) | instid1(VALU_DEP_4)
	v_mul_lo_u32 v16, v11, s48
	v_mul_lo_u32 v11, v11, s49
	v_sub_nc_u32_e32 v10, v10, v14
	v_mul_lo_u32 v17, v8, s17
	s_delay_alu instid0(VALU_DEP_2) | instskip(SKIP_1) | instid1(VALU_DEP_3)
	v_mul_lo_u32 v14, v10, s46
	v_mul_lo_u32 v10, v10, s47
	v_sub_nc_u32_e32 v12, v12, v17
	s_delay_alu instid0(VALU_DEP_3) | instskip(NEXT) | instid1(VALU_DEP_2)
	v_add3_u32 v5, v13, v5, v14
	v_mul_lo_u32 v17, v12, s50
	v_mul_lo_u32 v12, v12, s51
	v_add3_u32 v9, v15, v9, v10
	s_delay_alu instid0(VALU_DEP_3) | instskip(NEXT) | instid1(VALU_DEP_2)
	v_add3_u32 v5, v16, v5, v17
	v_add3_u32 v9, v11, v9, v12
	s_cbranch_scc1 .LBB321_1107
; %bb.1108:
	s_and_b32 s7, s7, 3
	s_delay_alu instid0(SALU_CYCLE_1)
	s_cmp_eq_u32 s7, 0
	s_cbranch_scc0 .LBB321_1111
	s_branch .LBB321_1113
.LBB321_1109:
	s_mov_b32 s6, -1
                                        ; implicit-def: $vgpr5
                                        ; implicit-def: $vgpr9
	s_branch .LBB321_1113
.LBB321_1110:
	v_dual_mov_b32 v8, v4 :: v_dual_mov_b32 v9, 0
	s_and_b32 s7, s7, 3
	s_delay_alu instid0(SALU_CYCLE_1)
	s_cmp_eq_u32 s7, 0
	s_cbranch_scc1 .LBB321_1113
.LBB321_1111:
	s_lshl_b32 s2, s8, 3
	s_mul_i32 s4, s8, 12
	s_add_u32 s2, s2, s20
	s_addc_u32 s3, 0, s21
	s_add_u32 s2, s2, 0xc4
	s_addc_u32 s3, s3, 0
	;; [unrolled: 2-line block ×3, first 2 shown]
	.p2align	6
.LBB321_1112:                           ; =>This Inner Loop Header: Depth=1
	s_clause 0x1
	s_load_b64 s[8:9], s[4:5], 0x4
	s_load_b32 s14, s[4:5], 0xc
	s_load_b64 s[10:11], s[2:3], 0x0
	s_add_u32 s4, s4, 12
	s_addc_u32 s5, s5, 0
	s_add_u32 s2, s2, 8
	s_addc_u32 s3, s3, 0
	s_add_i32 s7, s7, -1
	s_delay_alu instid0(SALU_CYCLE_1) | instskip(SKIP_2) | instid1(VALU_DEP_1)
	s_cmp_lg_u32 s7, 0
	s_waitcnt lgkmcnt(0)
	v_mul_hi_u32 v10, s9, v8
	v_add_nc_u32_e32 v10, v8, v10
	s_delay_alu instid0(VALU_DEP_1) | instskip(NEXT) | instid1(VALU_DEP_1)
	v_lshrrev_b32_e32 v13, s14, v10
	v_mul_lo_u32 v10, v13, s8
	s_delay_alu instid0(VALU_DEP_1) | instskip(SKIP_1) | instid1(VALU_DEP_1)
	v_sub_nc_u32_e32 v8, v8, v10
	s_waitcnt vmcnt(0)
	v_mad_u64_u32 v[10:11], null, v8, s10, v[5:6]
	s_delay_alu instid0(VALU_DEP_1) | instskip(SKIP_1) | instid1(VALU_DEP_2)
	v_mad_u64_u32 v[11:12], null, v8, s11, v[9:10]
	v_dual_mov_b32 v8, v13 :: v_dual_mov_b32 v5, v10
	v_mov_b32_e32 v9, v11
	s_cbranch_scc1 .LBB321_1112
.LBB321_1113:
	s_and_not1_b32 vcc_lo, exec_lo, s6
	s_cbranch_vccnz .LBB321_1116
; %bb.1114:
	s_clause 0x1
	s_load_b128 s[4:7], s[20:21], 0x4
	s_load_b64 s[2:3], s[20:21], 0xc4
	s_cmp_lt_u32 s28, 2
	s_waitcnt lgkmcnt(0)
	v_mul_hi_u32 v5, s5, v4
	s_delay_alu instid0(VALU_DEP_1) | instskip(NEXT) | instid1(VALU_DEP_1)
	v_add_nc_u32_e32 v5, v4, v5
	v_lshrrev_b32_e32 v8, s6, v5
	s_delay_alu instid0(VALU_DEP_1) | instskip(NEXT) | instid1(VALU_DEP_1)
	v_mul_lo_u32 v5, v8, s4
	v_sub_nc_u32_e32 v4, v4, v5
	s_delay_alu instid0(VALU_DEP_1)
	v_mul_lo_u32 v5, v4, s2
	v_mul_lo_u32 v9, v4, s3
	s_cbranch_scc1 .LBB321_1116
; %bb.1115:
	s_clause 0x1
	s_load_b128 s[4:7], s[20:21], 0x10
	s_load_b64 s[2:3], s[20:21], 0xcc
	s_waitcnt lgkmcnt(0)
	v_mul_hi_u32 v4, s5, v8
	s_delay_alu instid0(VALU_DEP_1) | instskip(NEXT) | instid1(VALU_DEP_1)
	v_add_nc_u32_e32 v4, v8, v4
	v_lshrrev_b32_e32 v4, s6, v4
	s_delay_alu instid0(VALU_DEP_1) | instskip(NEXT) | instid1(VALU_DEP_1)
	v_mul_lo_u32 v4, v4, s4
	v_sub_nc_u32_e32 v8, v8, v4
	s_waitcnt vmcnt(0)
	s_delay_alu instid0(VALU_DEP_1) | instskip(NEXT) | instid1(VALU_DEP_1)
	v_mad_u64_u32 v[10:11], null, v8, s2, v[5:6]
	v_mad_u64_u32 v[4:5], null, v8, s3, v[9:10]
	v_mov_b32_e32 v5, v10
	s_delay_alu instid0(VALU_DEP_2)
	v_mov_b32_e32 v9, v4
.LBB321_1116:
	v_cmp_ne_u32_e32 vcc_lo, 1, v1
	s_cbranch_vccnz .LBB321_1122
; %bb.1117:
	v_dual_mov_b32 v4, 0 :: v_dual_mov_b32 v1, 0
	s_cmp_lg_u32 s28, 0
	s_mov_b32 s6, 0
	s_cbranch_scc0 .LBB321_1126
; %bb.1118:
	s_min_u32 s7, s29, 15
	v_mov_b32_e32 v4, 0
	s_add_i32 s7, s7, 1
	s_cmp_eq_u32 s29, 2
	s_mov_b32 s8, 0
	s_cbranch_scc1 .LBB321_1123
; %bb.1119:
	v_dual_mov_b32 v1, 0 :: v_dual_mov_b32 v4, 0
	v_mov_b32_e32 v8, v3
	s_add_u32 s2, s20, 0xc4
	s_addc_u32 s3, s21, 0
	s_and_b32 s8, s7, 28
	s_mov_b32 s9, 0
	s_mov_b64 s[4:5], s[20:21]
.LBB321_1120:                           ; =>This Inner Loop Header: Depth=1
	s_clause 0x1
	s_load_b256 s[36:43], s[4:5], 0x4
	s_load_b128 s[16:19], s[4:5], 0x24
	s_load_b256 s[44:51], s[2:3], 0x0
	s_add_u32 s4, s4, 48
	s_addc_u32 s5, s5, 0
	s_add_i32 s9, s9, 4
	s_add_u32 s2, s2, 32
	s_addc_u32 s3, s3, 0
	s_cmp_lg_u32 s8, s9
	s_waitcnt lgkmcnt(0)
	v_mul_hi_u32 v10, s37, v8
	s_delay_alu instid0(VALU_DEP_1) | instskip(NEXT) | instid1(VALU_DEP_1)
	v_add_nc_u32_e32 v10, v8, v10
	v_lshrrev_b32_e32 v10, s38, v10
	s_delay_alu instid0(VALU_DEP_1) | instskip(SKIP_1) | instid1(VALU_DEP_2)
	v_mul_hi_u32 v11, s40, v10
	v_mul_lo_u32 v13, v10, s36
	v_add_nc_u32_e32 v11, v10, v11
	s_delay_alu instid0(VALU_DEP_2) | instskip(NEXT) | instid1(VALU_DEP_2)
	v_sub_nc_u32_e32 v8, v8, v13
	v_lshrrev_b32_e32 v11, s41, v11
	s_delay_alu instid0(VALU_DEP_2) | instskip(SKIP_1) | instid1(VALU_DEP_3)
	v_mul_lo_u32 v13, v8, s44
	v_mul_lo_u32 v15, v8, s45
	v_mul_hi_u32 v12, s43, v11
	s_delay_alu instid0(VALU_DEP_1) | instskip(NEXT) | instid1(VALU_DEP_1)
	v_add_nc_u32_e32 v12, v11, v12
	v_lshrrev_b32_e32 v12, s16, v12
	s_delay_alu instid0(VALU_DEP_1) | instskip(SKIP_1) | instid1(VALU_DEP_2)
	v_mul_hi_u32 v14, s18, v12
	v_mul_lo_u32 v16, v12, s42
	v_add_nc_u32_e32 v8, v12, v14
	v_mul_lo_u32 v14, v11, s39
	s_delay_alu instid0(VALU_DEP_3) | instskip(NEXT) | instid1(VALU_DEP_3)
	v_sub_nc_u32_e32 v11, v11, v16
	v_lshrrev_b32_e32 v8, s19, v8
	s_delay_alu instid0(VALU_DEP_2) | instskip(SKIP_2) | instid1(VALU_DEP_4)
	v_mul_lo_u32 v16, v11, s48
	v_mul_lo_u32 v11, v11, s49
	v_sub_nc_u32_e32 v10, v10, v14
	v_mul_lo_u32 v17, v8, s17
	s_delay_alu instid0(VALU_DEP_2) | instskip(SKIP_1) | instid1(VALU_DEP_3)
	v_mul_lo_u32 v14, v10, s46
	v_mul_lo_u32 v10, v10, s47
	v_sub_nc_u32_e32 v12, v12, v17
	s_delay_alu instid0(VALU_DEP_3) | instskip(NEXT) | instid1(VALU_DEP_2)
	v_add3_u32 v4, v13, v4, v14
	v_mul_lo_u32 v17, v12, s50
	v_mul_lo_u32 v12, v12, s51
	v_add3_u32 v1, v15, v1, v10
	s_delay_alu instid0(VALU_DEP_3) | instskip(NEXT) | instid1(VALU_DEP_2)
	v_add3_u32 v4, v16, v4, v17
	v_add3_u32 v1, v11, v1, v12
	s_cbranch_scc1 .LBB321_1120
; %bb.1121:
	s_and_b32 s7, s7, 3
	s_delay_alu instid0(SALU_CYCLE_1)
	s_cmp_eq_u32 s7, 0
	s_cbranch_scc0 .LBB321_1124
	s_branch .LBB321_1126
.LBB321_1122:
	s_mov_b32 s6, -1
                                        ; implicit-def: $vgpr4
                                        ; implicit-def: $vgpr1
	s_branch .LBB321_1126
.LBB321_1123:
	v_dual_mov_b32 v8, v3 :: v_dual_mov_b32 v1, 0
	s_and_b32 s7, s7, 3
	s_delay_alu instid0(SALU_CYCLE_1)
	s_cmp_eq_u32 s7, 0
	s_cbranch_scc1 .LBB321_1126
.LBB321_1124:
	s_lshl_b32 s2, s8, 3
	s_mul_i32 s4, s8, 12
	s_add_u32 s2, s2, s20
	s_addc_u32 s3, 0, s21
	s_add_u32 s2, s2, 0xc4
	s_addc_u32 s3, s3, 0
	;; [unrolled: 2-line block ×3, first 2 shown]
	.p2align	6
.LBB321_1125:                           ; =>This Inner Loop Header: Depth=1
	s_clause 0x1
	s_load_b64 s[8:9], s[4:5], 0x4
	s_load_b32 s14, s[4:5], 0xc
	s_load_b64 s[10:11], s[2:3], 0x0
	s_add_u32 s4, s4, 12
	s_addc_u32 s5, s5, 0
	s_add_u32 s2, s2, 8
	s_addc_u32 s3, s3, 0
	s_add_i32 s7, s7, -1
	s_delay_alu instid0(SALU_CYCLE_1) | instskip(SKIP_2) | instid1(VALU_DEP_1)
	s_cmp_lg_u32 s7, 0
	s_waitcnt lgkmcnt(0)
	v_mul_hi_u32 v10, s9, v8
	v_add_nc_u32_e32 v10, v8, v10
	s_delay_alu instid0(VALU_DEP_1) | instskip(NEXT) | instid1(VALU_DEP_1)
	v_lshrrev_b32_e32 v13, s14, v10
	v_mul_lo_u32 v10, v13, s8
	s_delay_alu instid0(VALU_DEP_1) | instskip(NEXT) | instid1(VALU_DEP_1)
	v_sub_nc_u32_e32 v8, v8, v10
	v_mad_u64_u32 v[10:11], null, v8, s10, v[4:5]
	v_mad_u64_u32 v[11:12], null, v8, s11, v[1:2]
	v_mov_b32_e32 v8, v13
	s_delay_alu instid0(VALU_DEP_2)
	v_dual_mov_b32 v4, v10 :: v_dual_mov_b32 v1, v11
	s_cbranch_scc1 .LBB321_1125
.LBB321_1126:
	s_and_not1_b32 vcc_lo, exec_lo, s6
	s_cbranch_vccnz .LBB321_1129
; %bb.1127:
	s_clause 0x1
	s_load_b128 s[4:7], s[20:21], 0x4
	s_load_b64 s[2:3], s[20:21], 0xc4
	s_cmp_lt_u32 s28, 2
	s_waitcnt lgkmcnt(0)
	v_mul_hi_u32 v1, s5, v3
	s_delay_alu instid0(VALU_DEP_1) | instskip(NEXT) | instid1(VALU_DEP_1)
	v_add_nc_u32_e32 v1, v3, v1
	v_lshrrev_b32_e32 v8, s6, v1
	s_delay_alu instid0(VALU_DEP_1) | instskip(NEXT) | instid1(VALU_DEP_1)
	v_mul_lo_u32 v1, v8, s4
	v_sub_nc_u32_e32 v1, v3, v1
	s_delay_alu instid0(VALU_DEP_1)
	v_mul_lo_u32 v4, v1, s2
	v_mul_lo_u32 v1, v1, s3
	s_cbranch_scc1 .LBB321_1129
; %bb.1128:
	s_clause 0x1
	s_load_b128 s[4:7], s[20:21], 0x10
	s_load_b64 s[2:3], s[20:21], 0xcc
	s_waitcnt lgkmcnt(0)
	v_mul_hi_u32 v3, s5, v8
	s_delay_alu instid0(VALU_DEP_1) | instskip(NEXT) | instid1(VALU_DEP_1)
	v_add_nc_u32_e32 v3, v8, v3
	v_lshrrev_b32_e32 v3, s6, v3
	s_delay_alu instid0(VALU_DEP_1) | instskip(NEXT) | instid1(VALU_DEP_1)
	v_mul_lo_u32 v3, v3, s4
	v_sub_nc_u32_e32 v8, v8, v3
	s_delay_alu instid0(VALU_DEP_1) | instskip(SKIP_1) | instid1(VALU_DEP_1)
	v_mad_u64_u32 v[10:11], null, v8, s2, v[4:5]
	v_mad_u64_u32 v[3:4], null, v8, s3, v[1:2]
	v_dual_mov_b32 v4, v10 :: v_dual_mov_b32 v1, v3
.LBB321_1129:
	s_clause 0x1
	s_load_b32 s0, s[0:1], 0x170
	s_load_b256 s[4:11], s[20:21], 0x148
	s_waitcnt lgkmcnt(0)
	s_lshr_b32 s0, s0, 8
	s_delay_alu instid0(SALU_CYCLE_1) | instskip(SKIP_1) | instid1(VALU_DEP_1)
	v_and_b32_e64 v15, 0xff, s0
	v_add_co_u32 v10, s0, s6, v2
	v_add_co_ci_u32_e64 v11, null, s7, 0, s0
	s_delay_alu instid0(VALU_DEP_3)
	v_cmp_gt_i16_e32 vcc_lo, 11, v15
	s_mov_b32 s0, 0
	s_cbranch_vccnz .LBB321_1136
; %bb.1130:
	v_cmp_lt_i16_e32 vcc_lo, 25, v15
	s_mov_b32 s3, 0
	s_cbranch_vccz .LBB321_1142
; %bb.1131:
	v_cmp_lt_i16_e32 vcc_lo, 28, v15
	s_cbranch_vccz .LBB321_1144
; %bb.1132:
	v_cmp_lt_i16_e32 vcc_lo, 43, v15
	;; [unrolled: 3-line block ×3, first 2 shown]
	s_cbranch_vccz .LBB321_1150
; %bb.1134:
	v_cmp_eq_u16_e32 vcc_lo, 46, v15
	s_mov_b32 s1, 0
	s_cbranch_vccz .LBB321_1192
; %bb.1135:
	global_load_b32 v2, v[10:11], off
	s_mov_b32 s2, 0
	s_mov_b32 s0, -1
	s_waitcnt vmcnt(0)
	v_lshlrev_b32_e32 v2, 16, v2
	s_delay_alu instid0(VALU_DEP_1)
	v_cvt_f64_f32_e32 v[2:3], v2
	s_branch .LBB321_1194
.LBB321_1136:
	s_mov_b32 s2, s12
                                        ; implicit-def: $vgpr2_vgpr3
	s_cbranch_execz .LBB321_1257
; %bb.1137:
	v_cmp_gt_i16_e32 vcc_lo, 5, v15
	s_cbranch_vccnz .LBB321_1143
; %bb.1138:
	v_cmp_gt_i16_e32 vcc_lo, 8, v15
	s_cbranch_vccnz .LBB321_1145
	;; [unrolled: 3-line block ×3, first 2 shown]
; %bb.1140:
	v_cmp_lt_i16_e32 vcc_lo, 9, v15
	s_cbranch_vccz .LBB321_1151
; %bb.1141:
	global_load_b64 v[2:3], v[10:11], off
	s_mov_b32 s0, 0
	s_branch .LBB321_1152
.LBB321_1142:
	s_mov_b32 s2, 0
                                        ; implicit-def: $vgpr2_vgpr3
	s_cbranch_execnz .LBB321_1224
	s_branch .LBB321_1253
.LBB321_1143:
                                        ; implicit-def: $vgpr2_vgpr3
	s_branch .LBB321_1169
.LBB321_1144:
	s_mov_b32 s1, -1
	s_mov_b32 s2, 0
                                        ; implicit-def: $vgpr2_vgpr3
	s_branch .LBB321_1203
.LBB321_1145:
                                        ; implicit-def: $vgpr2_vgpr3
	s_branch .LBB321_1158
.LBB321_1146:
	s_mov_b32 s2, 0
                                        ; implicit-def: $vgpr2_vgpr3
	s_cbranch_execnz .LBB321_1199
	s_branch .LBB321_1202
.LBB321_1147:
	s_mov_b32 s0, -1
                                        ; implicit-def: $vgpr2_vgpr3
	s_branch .LBB321_1155
.LBB321_1148:
	s_cbranch_execnz .LBB321_1190
; %bb.1149:
	s_or_b32 s3, s3, exec_lo
	s_and_not1_b32 s12, s12, exec_lo
	s_or_b32 exec_lo, exec_lo, s2
	s_and_saveexec_b32 s2, s12
	s_delay_alu instid0(SALU_CYCLE_1)
	s_xor_b32 s2, exec_lo, s2
	s_cbranch_execnz .LBB321_1036
	s_branch .LBB321_1037
.LBB321_1150:
	s_mov_b32 s1, -1
	s_mov_b32 s2, 0
	s_branch .LBB321_1193
.LBB321_1151:
	s_mov_b32 s0, -1
                                        ; implicit-def: $vgpr2_vgpr3
.LBB321_1152:
	s_delay_alu instid0(SALU_CYCLE_1)
	s_and_not1_b32 vcc_lo, exec_lo, s0
	s_cbranch_vccnz .LBB321_1154
; %bb.1153:
	global_load_b32 v2, v[10:11], off
	s_waitcnt vmcnt(0)
	v_cvt_f64_f32_e32 v[2:3], v2
.LBB321_1154:
	s_mov_b32 s0, 0
.LBB321_1155:
	s_delay_alu instid0(SALU_CYCLE_1)
	s_and_not1_b32 vcc_lo, exec_lo, s0
	s_cbranch_vccnz .LBB321_1157
; %bb.1156:
	global_load_b32 v2, v[10:11], off
	s_waitcnt vmcnt(0)
	v_cvt_f32_f16_e32 v2, v2
	s_delay_alu instid0(VALU_DEP_1)
	v_cvt_f64_f32_e32 v[2:3], v2
.LBB321_1157:
	s_cbranch_execnz .LBB321_1168
.LBB321_1158:
	v_cmp_gt_i16_e32 vcc_lo, 6, v15
	s_cbranch_vccnz .LBB321_1161
; %bb.1159:
	v_cmp_lt_i16_e32 vcc_lo, 6, v15
	s_cbranch_vccz .LBB321_1162
; %bb.1160:
	global_load_b64 v[2:3], v[10:11], off
	s_mov_b32 s0, 0
	s_branch .LBB321_1163
.LBB321_1161:
	s_mov_b32 s0, -1
                                        ; implicit-def: $vgpr2_vgpr3
	s_branch .LBB321_1166
.LBB321_1162:
	s_mov_b32 s0, -1
                                        ; implicit-def: $vgpr2_vgpr3
.LBB321_1163:
	s_delay_alu instid0(SALU_CYCLE_1)
	s_and_not1_b32 vcc_lo, exec_lo, s0
	s_cbranch_vccnz .LBB321_1165
; %bb.1164:
	global_load_b32 v2, v[10:11], off
	s_waitcnt vmcnt(0)
	v_cvt_f64_f32_e32 v[2:3], v2
.LBB321_1165:
	s_mov_b32 s0, 0
.LBB321_1166:
	s_delay_alu instid0(SALU_CYCLE_1)
	s_and_not1_b32 vcc_lo, exec_lo, s0
	s_cbranch_vccnz .LBB321_1168
; %bb.1167:
	global_load_u16 v2, v[10:11], off
	s_waitcnt vmcnt(0)
	v_cvt_f32_f16_e32 v2, v2
	s_delay_alu instid0(VALU_DEP_1)
	v_cvt_f64_f32_e32 v[2:3], v2
.LBB321_1168:
	s_cbranch_execnz .LBB321_1187
.LBB321_1169:
	v_cmp_gt_i16_e32 vcc_lo, 2, v15
	s_cbranch_vccnz .LBB321_1173
; %bb.1170:
	v_cmp_gt_i16_e32 vcc_lo, 3, v15
	s_cbranch_vccnz .LBB321_1174
; %bb.1171:
	v_cmp_lt_i16_e32 vcc_lo, 3, v15
	s_cbranch_vccz .LBB321_1175
; %bb.1172:
	global_load_b64 v[2:3], v[10:11], off
	s_mov_b32 s0, 0
	s_waitcnt vmcnt(0)
	v_cvt_f64_i32_e32 v[12:13], v3
	v_cvt_f64_u32_e32 v[2:3], v2
	s_delay_alu instid0(VALU_DEP_2) | instskip(NEXT) | instid1(VALU_DEP_1)
	v_ldexp_f64 v[12:13], v[12:13], 32
	v_add_f64 v[2:3], v[12:13], v[2:3]
	s_branch .LBB321_1176
.LBB321_1173:
                                        ; implicit-def: $vgpr2_vgpr3
	s_branch .LBB321_1182
.LBB321_1174:
	s_mov_b32 s0, -1
                                        ; implicit-def: $vgpr2_vgpr3
	s_branch .LBB321_1179
.LBB321_1175:
	s_mov_b32 s0, -1
                                        ; implicit-def: $vgpr2_vgpr3
.LBB321_1176:
	s_delay_alu instid0(SALU_CYCLE_1)
	s_and_not1_b32 vcc_lo, exec_lo, s0
	s_cbranch_vccnz .LBB321_1178
; %bb.1177:
	global_load_b32 v2, v[10:11], off
	s_waitcnt vmcnt(0)
	v_cvt_f64_i32_e32 v[2:3], v2
.LBB321_1178:
	s_mov_b32 s0, 0
.LBB321_1179:
	s_delay_alu instid0(SALU_CYCLE_1)
	s_and_not1_b32 vcc_lo, exec_lo, s0
	s_cbranch_vccnz .LBB321_1181
; %bb.1180:
	global_load_i16 v2, v[10:11], off
	s_waitcnt vmcnt(0)
	v_cvt_f64_i32_e32 v[2:3], v2
.LBB321_1181:
	s_cbranch_execnz .LBB321_1187
.LBB321_1182:
	v_cmp_lt_i16_e32 vcc_lo, 0, v15
	s_mov_b32 s0, 0
	s_cbranch_vccz .LBB321_1184
; %bb.1183:
	global_load_i8 v2, v[10:11], off
	s_waitcnt vmcnt(0)
	v_cvt_f64_i32_e32 v[2:3], v2
	s_branch .LBB321_1185
.LBB321_1184:
	s_mov_b32 s0, -1
                                        ; implicit-def: $vgpr2_vgpr3
.LBB321_1185:
	s_delay_alu instid0(SALU_CYCLE_1)
	s_and_not1_b32 vcc_lo, exec_lo, s0
	s_cbranch_vccnz .LBB321_1187
; %bb.1186:
	global_load_u8 v2, v[10:11], off
	s_waitcnt vmcnt(0)
	v_cvt_f64_u32_e32 v[2:3], v2
.LBB321_1187:
	s_branch .LBB321_1258
.LBB321_1188:
	s_trap 2
	s_sendmsg_rtn_b32 s0, sendmsg(MSG_RTN_GET_DOORBELL)
	s_mov_b32 ttmp2, m0
	s_waitcnt lgkmcnt(0)
	s_and_b32 s0, s0, 0x3ff
	s_delay_alu instid0(SALU_CYCLE_1) | instskip(NEXT) | instid1(SALU_CYCLE_1)
	s_bitset1_b32 s0, 10
	s_mov_b32 m0, s0
	s_sendmsg sendmsg(MSG_INTERRUPT)
	s_mov_b32 m0, ttmp2
.LBB321_1189:                           ; =>This Inner Loop Header: Depth=1
	s_sethalt 5
	s_branch .LBB321_1189
.LBB321_1190:
	s_trap 2
	s_sendmsg_rtn_b32 s0, sendmsg(MSG_RTN_GET_DOORBELL)
	s_mov_b32 ttmp2, m0
	s_waitcnt lgkmcnt(0)
	s_and_b32 s0, s0, 0x3ff
	s_delay_alu instid0(SALU_CYCLE_1) | instskip(NEXT) | instid1(SALU_CYCLE_1)
	s_bitset1_b32 s0, 10
	s_mov_b32 m0, s0
	s_sendmsg sendmsg(MSG_INTERRUPT)
	s_mov_b32 m0, ttmp2
.LBB321_1191:                           ; =>This Inner Loop Header: Depth=1
	s_sethalt 5
	s_branch .LBB321_1191
.LBB321_1192:
	s_mov_b32 s2, -1
.LBB321_1193:
                                        ; implicit-def: $vgpr2_vgpr3
.LBB321_1194:
	s_and_b32 vcc_lo, exec_lo, s1
	s_cbranch_vccz .LBB321_1197
; %bb.1195:
	v_cmp_eq_u16_e32 vcc_lo, 44, v15
	s_cbranch_vccz .LBB321_1198
; %bb.1196:
	global_load_u8 v8, v[10:11], off
	s_mov_b32 s2, 0
	s_mov_b32 s0, -1
	s_waitcnt vmcnt(0)
	v_cmp_ne_u32_e32 vcc_lo, 0xff, v8
	v_lshlrev_b32_e32 v2, 23, v8
	s_delay_alu instid0(VALU_DEP_1) | instskip(NEXT) | instid1(VALU_DEP_1)
	v_cvt_f64_f32_e32 v[2:3], v2
	v_cndmask_b32_e32 v3, 0x7ff80000, v3, vcc_lo
	s_delay_alu instid0(VALU_DEP_2) | instskip(SKIP_1) | instid1(VALU_DEP_3)
	v_cndmask_b32_e32 v2, 0x20000000, v2, vcc_lo
	v_cmp_ne_u32_e32 vcc_lo, 0, v8
	v_cndmask_b32_e32 v3, 0x38000000, v3, vcc_lo
	s_delay_alu instid0(VALU_DEP_3)
	v_cndmask_b32_e32 v2, 0, v2, vcc_lo
.LBB321_1197:
	s_branch .LBB321_1202
.LBB321_1198:
	s_mov_b32 s2, -1
                                        ; implicit-def: $vgpr2_vgpr3
	s_branch .LBB321_1202
.LBB321_1199:
	v_cmp_eq_u16_e32 vcc_lo, 29, v15
	s_cbranch_vccz .LBB321_1201
; %bb.1200:
	global_load_b64 v[2:3], v[10:11], off
	s_mov_b32 s2, 0
	s_mov_b32 s0, -1
	s_mov_b32 s1, 0
	s_waitcnt vmcnt(0)
	v_cvt_f64_u32_e32 v[12:13], v3
	v_cvt_f64_u32_e32 v[2:3], v2
	s_delay_alu instid0(VALU_DEP_2) | instskip(NEXT) | instid1(VALU_DEP_1)
	v_ldexp_f64 v[12:13], v[12:13], 32
	v_add_f64 v[2:3], v[12:13], v[2:3]
	s_branch .LBB321_1203
.LBB321_1201:
	s_mov_b32 s2, -1
                                        ; implicit-def: $vgpr2_vgpr3
.LBB321_1202:
	s_mov_b32 s1, 0
.LBB321_1203:
	s_delay_alu instid0(SALU_CYCLE_1)
	s_and_b32 vcc_lo, exec_lo, s1
	s_cbranch_vccz .LBB321_1223
; %bb.1204:
	v_cmp_gt_i16_e32 vcc_lo, 27, v15
	s_cbranch_vccnz .LBB321_1207
; %bb.1205:
	v_cmp_lt_i16_e32 vcc_lo, 27, v15
	s_cbranch_vccz .LBB321_1208
; %bb.1206:
	global_load_b32 v2, v[10:11], off
	s_mov_b32 s0, 0
	s_waitcnt vmcnt(0)
	v_cvt_f64_u32_e32 v[2:3], v2
	s_branch .LBB321_1209
.LBB321_1207:
	s_mov_b32 s0, -1
                                        ; implicit-def: $vgpr2_vgpr3
	s_branch .LBB321_1212
.LBB321_1208:
	s_mov_b32 s0, -1
                                        ; implicit-def: $vgpr2_vgpr3
.LBB321_1209:
	s_delay_alu instid0(SALU_CYCLE_1)
	s_and_not1_b32 vcc_lo, exec_lo, s0
	s_cbranch_vccnz .LBB321_1211
; %bb.1210:
	global_load_u16 v2, v[10:11], off
	s_waitcnt vmcnt(0)
	v_cvt_f64_u32_e32 v[2:3], v2
.LBB321_1211:
	s_mov_b32 s0, 0
.LBB321_1212:
	s_delay_alu instid0(SALU_CYCLE_1)
	s_and_not1_b32 vcc_lo, exec_lo, s0
	s_cbranch_vccnz .LBB321_1222
; %bb.1213:
	global_load_u8 v8, v[10:11], off
	s_mov_b32 s14, 0
	s_mov_b32 s15, exec_lo
                                        ; implicit-def: $sgpr0_sgpr1
	s_waitcnt vmcnt(0)
	v_cmpx_lt_i16_e32 0x7f, v8
	s_xor_b32 s15, exec_lo, s15
	s_cbranch_execz .LBB321_1217
; %bb.1214:
	s_mov_b32 s16, -1
	s_mov_b32 s14, exec_lo
                                        ; implicit-def: $sgpr0_sgpr1
	v_cmpx_eq_u16_e32 0x80, v8
; %bb.1215:
	s_mov_b32 s1, 0x7ff80000
	s_brev_b32 s0, 4
	s_xor_b32 s16, exec_lo, -1
; %bb.1216:
	s_or_b32 exec_lo, exec_lo, s14
	s_delay_alu instid0(SALU_CYCLE_1)
	s_and_b32 s14, s16, exec_lo
.LBB321_1217:
	s_or_saveexec_b32 s15, s15
	v_dual_mov_b32 v3, s1 :: v_dual_mov_b32 v2, s0
	s_xor_b32 exec_lo, exec_lo, s15
; %bb.1218:
	v_cmp_ne_u16_e32 vcc_lo, 0, v8
	v_mov_b32_e32 v2, 0
	v_mov_b32_e32 v3, 0
	s_and_not1_b32 s0, s14, exec_lo
	s_and_b32 s1, vcc_lo, exec_lo
	s_delay_alu instid0(SALU_CYCLE_1)
	s_or_b32 s14, s0, s1
; %bb.1219:
	s_or_b32 exec_lo, exec_lo, s15
	s_and_saveexec_b32 s0, s14
	s_cbranch_execz .LBB321_1221
; %bb.1220:
	v_and_b32_e32 v2, 0xffff, v8
	v_lshlrev_b32_e32 v8, 24, v8
	s_delay_alu instid0(VALU_DEP_2) | instskip(NEXT) | instid1(VALU_DEP_2)
	v_and_b32_e32 v3, 7, v2
	v_and_b32_e32 v8, 0x80000000, v8
	s_delay_alu instid0(VALU_DEP_2) | instskip(NEXT) | instid1(VALU_DEP_1)
	v_clz_i32_u32_e32 v12, v3
	v_min_u32_e32 v12, 32, v12
	s_delay_alu instid0(VALU_DEP_1) | instskip(SKIP_1) | instid1(VALU_DEP_2)
	v_subrev_nc_u32_e32 v13, 28, v12
	v_sub_nc_u32_e32 v12, 29, v12
	v_lshlrev_b32_e32 v13, v13, v2
	v_bfe_u32 v2, v2, 3, 4
	s_delay_alu instid0(VALU_DEP_2) | instskip(NEXT) | instid1(VALU_DEP_2)
	v_and_b32_e32 v13, 7, v13
	v_cmp_eq_u32_e32 vcc_lo, 0, v2
	s_delay_alu instid0(VALU_DEP_2) | instskip(NEXT) | instid1(VALU_DEP_1)
	v_dual_cndmask_b32 v2, v2, v12 :: v_dual_cndmask_b32 v3, v3, v13
	v_lshl_add_u32 v2, v2, 23, 0x3b800000
	s_delay_alu instid0(VALU_DEP_2) | instskip(NEXT) | instid1(VALU_DEP_1)
	v_lshlrev_b32_e32 v3, 20, v3
	v_or3_b32 v2, v8, v2, v3
	s_delay_alu instid0(VALU_DEP_1)
	v_cvt_f64_f32_e32 v[2:3], v2
.LBB321_1221:
	s_or_b32 exec_lo, exec_lo, s0
.LBB321_1222:
	s_mov_b32 s0, -1
.LBB321_1223:
	s_branch .LBB321_1253
.LBB321_1224:
	v_cmp_lt_i16_e32 vcc_lo, 22, v15
	s_cbranch_vccz .LBB321_1236
; %bb.1225:
	v_cmp_gt_i16_e32 vcc_lo, 24, v15
	s_cbranch_vccnz .LBB321_1237
; %bb.1226:
	v_cmp_lt_i16_e32 vcc_lo, 24, v15
	s_cbranch_vccz .LBB321_1238
; %bb.1227:
	global_load_u8 v8, v[10:11], off
	s_mov_b32 s14, exec_lo
                                        ; implicit-def: $sgpr0_sgpr1
	s_waitcnt vmcnt(0)
	v_cmpx_lt_i16_e32 0x7f, v8
	s_xor_b32 s14, exec_lo, s14
	s_cbranch_execz .LBB321_1231
; %bb.1228:
	s_mov_b32 s15, -1
	s_mov_b32 s3, exec_lo
                                        ; implicit-def: $sgpr0_sgpr1
	v_cmpx_eq_u16_e32 0x80, v8
; %bb.1229:
	s_mov_b32 s1, 0x7ff80000
	s_brev_b32 s0, 4
	s_xor_b32 s15, exec_lo, -1
; %bb.1230:
	s_or_b32 exec_lo, exec_lo, s3
	s_delay_alu instid0(SALU_CYCLE_1)
	s_and_b32 s3, s15, exec_lo
.LBB321_1231:
	s_or_saveexec_b32 s14, s14
	v_dual_mov_b32 v3, s1 :: v_dual_mov_b32 v2, s0
	s_xor_b32 exec_lo, exec_lo, s14
; %bb.1232:
	v_cmp_ne_u16_e32 vcc_lo, 0, v8
	v_mov_b32_e32 v2, 0
	v_mov_b32_e32 v3, 0
	s_and_not1_b32 s0, s3, exec_lo
	s_and_b32 s1, vcc_lo, exec_lo
	s_delay_alu instid0(SALU_CYCLE_1)
	s_or_b32 s3, s0, s1
; %bb.1233:
	s_or_b32 exec_lo, exec_lo, s14
	s_and_saveexec_b32 s0, s3
	s_cbranch_execz .LBB321_1235
; %bb.1234:
	v_and_b32_e32 v2, 0xffff, v8
	v_lshlrev_b32_e32 v8, 24, v8
	s_delay_alu instid0(VALU_DEP_2) | instskip(NEXT) | instid1(VALU_DEP_2)
	v_and_b32_e32 v3, 3, v2
	v_and_b32_e32 v8, 0x80000000, v8
	s_delay_alu instid0(VALU_DEP_2) | instskip(NEXT) | instid1(VALU_DEP_1)
	v_clz_i32_u32_e32 v12, v3
	v_min_u32_e32 v12, 32, v12
	s_delay_alu instid0(VALU_DEP_1) | instskip(SKIP_1) | instid1(VALU_DEP_2)
	v_subrev_nc_u32_e32 v13, 29, v12
	v_sub_nc_u32_e32 v12, 30, v12
	v_lshlrev_b32_e32 v13, v13, v2
	v_bfe_u32 v2, v2, 2, 5
	s_delay_alu instid0(VALU_DEP_2) | instskip(NEXT) | instid1(VALU_DEP_2)
	v_and_b32_e32 v13, 3, v13
	v_cmp_eq_u32_e32 vcc_lo, 0, v2
	s_delay_alu instid0(VALU_DEP_2) | instskip(NEXT) | instid1(VALU_DEP_1)
	v_dual_cndmask_b32 v2, v2, v12 :: v_dual_cndmask_b32 v3, v3, v13
	v_lshl_add_u32 v2, v2, 23, 0x37800000
	s_delay_alu instid0(VALU_DEP_2) | instskip(NEXT) | instid1(VALU_DEP_1)
	v_lshlrev_b32_e32 v3, 21, v3
	v_or3_b32 v2, v8, v2, v3
	s_delay_alu instid0(VALU_DEP_1)
	v_cvt_f64_f32_e32 v[2:3], v2
.LBB321_1235:
	s_or_b32 exec_lo, exec_lo, s0
	s_mov_b32 s0, 0
	s_branch .LBB321_1239
.LBB321_1236:
                                        ; implicit-def: $vgpr2_vgpr3
	s_mov_b32 s3, 0
	s_branch .LBB321_1245
.LBB321_1237:
	s_mov_b32 s0, -1
                                        ; implicit-def: $vgpr2_vgpr3
	s_branch .LBB321_1242
.LBB321_1238:
	s_mov_b32 s0, -1
                                        ; implicit-def: $vgpr2_vgpr3
.LBB321_1239:
	s_delay_alu instid0(SALU_CYCLE_1)
	s_and_b32 vcc_lo, exec_lo, s0
	s_cbranch_vccz .LBB321_1241
; %bb.1240:
	global_load_u8 v2, v[10:11], off
	s_waitcnt vmcnt(0)
	v_lshlrev_b32_e32 v2, 24, v2
	s_delay_alu instid0(VALU_DEP_1) | instskip(NEXT) | instid1(VALU_DEP_1)
	v_and_b32_e32 v3, 0x7f000000, v2
	v_clz_i32_u32_e32 v8, v3
	v_add_nc_u32_e32 v13, 0x1000000, v3
	v_cmp_ne_u32_e32 vcc_lo, 0, v3
	s_delay_alu instid0(VALU_DEP_3) | instskip(NEXT) | instid1(VALU_DEP_1)
	v_min_u32_e32 v8, 32, v8
	v_sub_nc_u32_e64 v8, v8, 4 clamp
	s_delay_alu instid0(VALU_DEP_1) | instskip(SKIP_1) | instid1(VALU_DEP_2)
	v_lshlrev_b32_e32 v12, v8, v3
	v_lshlrev_b32_e32 v8, 23, v8
	v_lshrrev_b32_e32 v12, 4, v12
	s_delay_alu instid0(VALU_DEP_1) | instskip(SKIP_1) | instid1(VALU_DEP_2)
	v_sub_nc_u32_e32 v8, v12, v8
	v_ashrrev_i32_e32 v12, 8, v13
	v_add_nc_u32_e32 v8, 0x3c000000, v8
	s_delay_alu instid0(VALU_DEP_1) | instskip(NEXT) | instid1(VALU_DEP_1)
	v_and_or_b32 v8, 0x7f800000, v12, v8
	v_cndmask_b32_e32 v3, 0, v8, vcc_lo
	s_delay_alu instid0(VALU_DEP_1) | instskip(NEXT) | instid1(VALU_DEP_1)
	v_and_or_b32 v2, 0x80000000, v2, v3
	v_cvt_f64_f32_e32 v[2:3], v2
.LBB321_1241:
	s_mov_b32 s0, 0
.LBB321_1242:
	s_delay_alu instid0(SALU_CYCLE_1)
	s_and_not1_b32 vcc_lo, exec_lo, s0
	s_cbranch_vccnz .LBB321_1244
; %bb.1243:
	global_load_u8 v2, v[10:11], off
	s_waitcnt vmcnt(0)
	v_lshlrev_b32_e32 v3, 25, v2
	v_lshlrev_b16 v2, 8, v2
	s_delay_alu instid0(VALU_DEP_1) | instskip(SKIP_1) | instid1(VALU_DEP_2)
	v_and_or_b32 v12, 0x7f00, v2, 0.5
	v_bfe_i32 v2, v2, 0, 16
	v_add_f32_e32 v12, -0.5, v12
	v_lshrrev_b32_e32 v8, 4, v3
	v_cmp_gt_u32_e32 vcc_lo, 0x8000000, v3
	s_delay_alu instid0(VALU_DEP_2) | instskip(NEXT) | instid1(VALU_DEP_1)
	v_or_b32_e32 v8, 0x70000000, v8
	v_mul_f32_e32 v8, 0x7800000, v8
	s_delay_alu instid0(VALU_DEP_1) | instskip(NEXT) | instid1(VALU_DEP_1)
	v_cndmask_b32_e32 v3, v8, v12, vcc_lo
	v_and_or_b32 v2, 0x80000000, v2, v3
	s_delay_alu instid0(VALU_DEP_1)
	v_cvt_f64_f32_e32 v[2:3], v2
.LBB321_1244:
	s_mov_b32 s0, -1
	s_mov_b32 s3, 0
	s_cbranch_execnz .LBB321_1253
.LBB321_1245:
	v_cmp_lt_i16_e32 vcc_lo, 14, v15
	s_cbranch_vccz .LBB321_1248
; %bb.1246:
	v_cmp_eq_u16_e32 vcc_lo, 15, v15
	s_cbranch_vccz .LBB321_1249
; %bb.1247:
	global_load_u16 v2, v[10:11], off
	s_mov_b32 s2, 0
	s_mov_b32 s0, -1
	s_waitcnt vmcnt(0)
	v_lshlrev_b32_e32 v2, 16, v2
	s_delay_alu instid0(VALU_DEP_1)
	v_cvt_f64_f32_e32 v[2:3], v2
	s_branch .LBB321_1250
.LBB321_1248:
	s_mov_b32 s1, -1
                                        ; implicit-def: $vgpr2_vgpr3
	s_branch .LBB321_1251
.LBB321_1249:
	s_mov_b32 s2, -1
                                        ; implicit-def: $vgpr2_vgpr3
.LBB321_1250:
	s_mov_b32 s1, 0
.LBB321_1251:
	s_delay_alu instid0(SALU_CYCLE_1)
	s_and_b32 vcc_lo, exec_lo, s1
	s_cbranch_vccz .LBB321_1253
; %bb.1252:
	v_cmp_ne_u16_e64 s2, 11, v15
	s_mov_b32 s3, -1
                                        ; implicit-def: $vgpr2_vgpr3
.LBB321_1253:
	s_delay_alu instid0(VALU_DEP_1)
	s_and_b32 vcc_lo, exec_lo, s2
	s_mov_b32 s2, s12
	s_cbranch_vccnz .LBB321_1277
; %bb.1254:
	s_and_not1_b32 vcc_lo, exec_lo, s3
	s_cbranch_vccnz .LBB321_1256
.LBB321_1255:
	global_load_u8 v2, v[10:11], off
	s_mov_b32 s0, -1
	s_waitcnt vmcnt(0)
	v_cmp_ne_u16_e32 vcc_lo, 0, v2
	v_mov_b32_e32 v2, 0
	v_cndmask_b32_e64 v3, 0, 0x3ff00000, vcc_lo
.LBB321_1256:
.LBB321_1257:
	s_and_not1_b32 vcc_lo, exec_lo, s0
	s_cbranch_vccnz .LBB321_2049
.LBB321_1258:
	v_cmp_gt_i16_e32 vcc_lo, 11, v15
	s_waitcnt vmcnt(0)
	v_add_co_u32 v10, s0, s6, v7
	s_delay_alu instid0(VALU_DEP_1)
	v_add_co_ci_u32_e64 v11, null, s7, 0, s0
	s_mov_b32 s0, 0
	s_cbranch_vccnz .LBB321_1265
; %bb.1259:
	v_cmp_lt_i16_e32 vcc_lo, 25, v15
	s_mov_b32 s14, 0
	s_cbranch_vccz .LBB321_1271
; %bb.1260:
	v_cmp_lt_i16_e32 vcc_lo, 28, v15
	s_cbranch_vccz .LBB321_1273
; %bb.1261:
	v_cmp_lt_i16_e32 vcc_lo, 43, v15
	s_cbranch_vccz .LBB321_1275
; %bb.1262:
	v_cmp_lt_i16_e32 vcc_lo, 45, v15
	s_cbranch_vccz .LBB321_1281
; %bb.1263:
	v_cmp_eq_u16_e32 vcc_lo, 46, v15
	s_mov_b32 s1, 0
	s_cbranch_vccz .LBB321_1325
; %bb.1264:
	global_load_b32 v7, v[10:11], off
	s_mov_b32 s3, 0
	s_mov_b32 s0, -1
	s_waitcnt vmcnt(0)
	v_lshlrev_b32_e32 v7, 16, v7
	s_delay_alu instid0(VALU_DEP_1)
	v_cvt_f64_f32_e32 v[7:8], v7
	s_branch .LBB321_1327
.LBB321_1265:
                                        ; implicit-def: $vgpr7_vgpr8
	s_cbranch_execz .LBB321_1392
; %bb.1266:
	v_cmp_gt_i16_e32 vcc_lo, 5, v15
	s_cbranch_vccnz .LBB321_1272
; %bb.1267:
	v_cmp_gt_i16_e32 vcc_lo, 8, v15
	s_cbranch_vccnz .LBB321_1274
	;; [unrolled: 3-line block ×3, first 2 shown]
; %bb.1269:
	v_cmp_lt_i16_e32 vcc_lo, 9, v15
	s_cbranch_vccz .LBB321_1282
; %bb.1270:
	global_load_b64 v[7:8], v[10:11], off
	s_mov_b32 s0, 0
	s_branch .LBB321_1283
.LBB321_1271:
	s_mov_b32 s3, 0
                                        ; implicit-def: $vgpr7_vgpr8
	s_cbranch_execnz .LBB321_1358
	s_branch .LBB321_1388
.LBB321_1272:
                                        ; implicit-def: $vgpr7_vgpr8
	s_branch .LBB321_1301
.LBB321_1273:
	s_mov_b32 s1, -1
	s_mov_b32 s3, 0
                                        ; implicit-def: $vgpr7_vgpr8
	s_branch .LBB321_1337
.LBB321_1274:
	s_mov_b32 s0, -1
                                        ; implicit-def: $vgpr7_vgpr8
	s_branch .LBB321_1289
.LBB321_1275:
	s_mov_b32 s1, -1
	s_mov_b32 s3, 0
                                        ; implicit-def: $vgpr7_vgpr8
	s_branch .LBB321_1332
.LBB321_1276:
	s_mov_b32 s0, -1
                                        ; implicit-def: $vgpr7_vgpr8
	s_branch .LBB321_1286
.LBB321_1277:
	s_cbranch_execnz .LBB321_1321
; %bb.1278:
	s_or_b32 s2, s12, exec_lo
                                        ; implicit-def: $vgpr2_vgpr3
	s_cbranch_execz .LBB321_1255
	s_branch .LBB321_1256
.LBB321_1279:
	s_or_saveexec_b32 s7, s7
                                        ; implicit-def: $sgpr8
	s_delay_alu instid0(SALU_CYCLE_1)
	s_xor_b32 exec_lo, exec_lo, s7
	s_cbranch_execz .LBB321_987
.LBB321_1280:
	v_add_f32_e64 v3, 0x46000000, |v2|
	s_and_not1_b32 s5, s5, exec_lo
	s_mov_b32 s8, 0
	s_delay_alu instid0(VALU_DEP_1) | instskip(NEXT) | instid1(VALU_DEP_1)
	v_and_b32_e32 v3, 0xff, v3
	v_cmp_ne_u32_e32 vcc_lo, 0, v3
	s_and_b32 s9, vcc_lo, exec_lo
	s_delay_alu instid0(SALU_CYCLE_1)
	s_or_b32 s5, s5, s9
	s_or_b32 exec_lo, exec_lo, s7
	v_mov_b32_e32 v6, s8
	s_and_saveexec_b32 s7, s5
	s_cbranch_execnz .LBB321_988
	s_branch .LBB321_989
.LBB321_1281:
	s_mov_b32 s1, -1
	s_mov_b32 s3, 0
	s_branch .LBB321_1326
.LBB321_1282:
	s_mov_b32 s0, -1
                                        ; implicit-def: $vgpr7_vgpr8
.LBB321_1283:
	s_delay_alu instid0(SALU_CYCLE_1)
	s_and_not1_b32 vcc_lo, exec_lo, s0
	s_cbranch_vccnz .LBB321_1285
; %bb.1284:
	global_load_b32 v7, v[10:11], off
	s_waitcnt vmcnt(0)
	v_cvt_f64_f32_e32 v[7:8], v7
.LBB321_1285:
	s_mov_b32 s0, 0
.LBB321_1286:
	s_delay_alu instid0(SALU_CYCLE_1)
	s_and_not1_b32 vcc_lo, exec_lo, s0
	s_cbranch_vccnz .LBB321_1288
; %bb.1287:
	global_load_b32 v7, v[10:11], off
	s_waitcnt vmcnt(0)
	v_cvt_f32_f16_e32 v7, v7
	s_delay_alu instid0(VALU_DEP_1)
	v_cvt_f64_f32_e32 v[7:8], v7
.LBB321_1288:
	s_mov_b32 s0, 0
.LBB321_1289:
	s_delay_alu instid0(SALU_CYCLE_1)
	s_and_not1_b32 vcc_lo, exec_lo, s0
	s_cbranch_vccnz .LBB321_1300
; %bb.1290:
	v_cmp_gt_i16_e32 vcc_lo, 6, v15
	s_cbranch_vccnz .LBB321_1293
; %bb.1291:
	v_cmp_lt_i16_e32 vcc_lo, 6, v15
	s_cbranch_vccz .LBB321_1294
; %bb.1292:
	global_load_b64 v[7:8], v[10:11], off
	s_mov_b32 s0, 0
	s_branch .LBB321_1295
.LBB321_1293:
	s_mov_b32 s0, -1
                                        ; implicit-def: $vgpr7_vgpr8
	s_branch .LBB321_1298
.LBB321_1294:
	s_mov_b32 s0, -1
                                        ; implicit-def: $vgpr7_vgpr8
.LBB321_1295:
	s_delay_alu instid0(SALU_CYCLE_1)
	s_and_not1_b32 vcc_lo, exec_lo, s0
	s_cbranch_vccnz .LBB321_1297
; %bb.1296:
	global_load_b32 v7, v[10:11], off
	s_waitcnt vmcnt(0)
	v_cvt_f64_f32_e32 v[7:8], v7
.LBB321_1297:
	s_mov_b32 s0, 0
.LBB321_1298:
	s_delay_alu instid0(SALU_CYCLE_1)
	s_and_not1_b32 vcc_lo, exec_lo, s0
	s_cbranch_vccnz .LBB321_1300
; %bb.1299:
	global_load_u16 v7, v[10:11], off
	s_waitcnt vmcnt(0)
	v_cvt_f32_f16_e32 v7, v7
	s_delay_alu instid0(VALU_DEP_1)
	v_cvt_f64_f32_e32 v[7:8], v7
.LBB321_1300:
	s_cbranch_execnz .LBB321_1320
.LBB321_1301:
	v_cmp_gt_i16_e32 vcc_lo, 2, v15
	s_cbranch_vccnz .LBB321_1305
; %bb.1302:
	v_cmp_gt_i16_e32 vcc_lo, 3, v15
	s_cbranch_vccnz .LBB321_1306
; %bb.1303:
	v_cmp_lt_i16_e32 vcc_lo, 3, v15
	s_cbranch_vccz .LBB321_1307
; %bb.1304:
	global_load_b64 v[7:8], v[10:11], off
	s_mov_b32 s0, 0
	s_waitcnt vmcnt(0)
	v_cvt_f64_i32_e32 v[12:13], v8
	v_cvt_f64_u32_e32 v[7:8], v7
	s_delay_alu instid0(VALU_DEP_2) | instskip(NEXT) | instid1(VALU_DEP_1)
	v_ldexp_f64 v[12:13], v[12:13], 32
	v_add_f64 v[7:8], v[12:13], v[7:8]
	s_branch .LBB321_1308
.LBB321_1305:
	s_mov_b32 s0, -1
                                        ; implicit-def: $vgpr7_vgpr8
	s_branch .LBB321_1314
.LBB321_1306:
	s_mov_b32 s0, -1
                                        ; implicit-def: $vgpr7_vgpr8
	s_branch .LBB321_1311
.LBB321_1307:
	s_mov_b32 s0, -1
                                        ; implicit-def: $vgpr7_vgpr8
.LBB321_1308:
	s_delay_alu instid0(SALU_CYCLE_1)
	s_and_not1_b32 vcc_lo, exec_lo, s0
	s_cbranch_vccnz .LBB321_1310
; %bb.1309:
	global_load_b32 v7, v[10:11], off
	s_waitcnt vmcnt(0)
	v_cvt_f64_i32_e32 v[7:8], v7
.LBB321_1310:
	s_mov_b32 s0, 0
.LBB321_1311:
	s_delay_alu instid0(SALU_CYCLE_1)
	s_and_not1_b32 vcc_lo, exec_lo, s0
	s_cbranch_vccnz .LBB321_1313
; %bb.1312:
	global_load_i16 v7, v[10:11], off
	s_waitcnt vmcnt(0)
	v_cvt_f64_i32_e32 v[7:8], v7
.LBB321_1313:
	s_mov_b32 s0, 0
.LBB321_1314:
	s_delay_alu instid0(SALU_CYCLE_1)
	s_and_not1_b32 vcc_lo, exec_lo, s0
	s_cbranch_vccnz .LBB321_1320
; %bb.1315:
	v_cmp_lt_i16_e32 vcc_lo, 0, v15
	s_mov_b32 s0, 0
	s_cbranch_vccz .LBB321_1317
; %bb.1316:
	global_load_i8 v7, v[10:11], off
	s_waitcnt vmcnt(0)
	v_cvt_f64_i32_e32 v[7:8], v7
	s_branch .LBB321_1318
.LBB321_1317:
	s_mov_b32 s0, -1
                                        ; implicit-def: $vgpr7_vgpr8
.LBB321_1318:
	s_delay_alu instid0(SALU_CYCLE_1)
	s_and_not1_b32 vcc_lo, exec_lo, s0
	s_cbranch_vccnz .LBB321_1320
; %bb.1319:
	global_load_u8 v7, v[10:11], off
	s_waitcnt vmcnt(0)
	v_cvt_f64_u32_e32 v[7:8], v7
.LBB321_1320:
	s_branch .LBB321_1393
.LBB321_1321:
	s_trap 2
	s_sendmsg_rtn_b32 s0, sendmsg(MSG_RTN_GET_DOORBELL)
	s_mov_b32 ttmp2, m0
	s_waitcnt lgkmcnt(0)
	s_and_b32 s0, s0, 0x3ff
	s_delay_alu instid0(SALU_CYCLE_1) | instskip(NEXT) | instid1(SALU_CYCLE_1)
	s_bitset1_b32 s0, 10
	s_mov_b32 m0, s0
	s_sendmsg sendmsg(MSG_INTERRUPT)
	s_mov_b32 m0, ttmp2
.LBB321_1322:                           ; =>This Inner Loop Header: Depth=1
	s_sethalt 5
	s_branch .LBB321_1322
.LBB321_1323:
	s_or_saveexec_b32 s8, s8
                                        ; implicit-def: $sgpr9
	s_delay_alu instid0(SALU_CYCLE_1)
	s_xor_b32 exec_lo, exec_lo, s8
	s_cbranch_execz .LBB321_999
.LBB321_1324:
	v_add_f32_e64 v3, 0x42800000, |v2|
	s_and_not1_b32 s7, s7, exec_lo
	s_mov_b32 s9, 0
	s_delay_alu instid0(VALU_DEP_1) | instskip(NEXT) | instid1(VALU_DEP_1)
	v_and_b32_e32 v3, 0xff, v3
	v_cmp_ne_u32_e32 vcc_lo, 0, v3
	s_and_b32 s10, vcc_lo, exec_lo
	s_delay_alu instid0(SALU_CYCLE_1)
	s_or_b32 s7, s7, s10
	s_or_b32 exec_lo, exec_lo, s8
	v_mov_b32_e32 v6, s9
	s_and_saveexec_b32 s8, s7
	s_cbranch_execnz .LBB321_1000
	s_branch .LBB321_1001
.LBB321_1325:
	s_mov_b32 s3, -1
.LBB321_1326:
                                        ; implicit-def: $vgpr7_vgpr8
.LBB321_1327:
	s_and_b32 vcc_lo, exec_lo, s1
	s_cbranch_vccz .LBB321_1331
; %bb.1328:
	v_cmp_eq_u16_e32 vcc_lo, 44, v15
	s_cbranch_vccz .LBB321_1330
; %bb.1329:
	global_load_u8 v12, v[10:11], off
	s_mov_b32 s3, 0
	s_mov_b32 s0, -1
	s_waitcnt vmcnt(0)
	v_lshlrev_b32_e32 v7, 23, v12
	v_cmp_ne_u32_e32 vcc_lo, 0xff, v12
	s_delay_alu instid0(VALU_DEP_2) | instskip(NEXT) | instid1(VALU_DEP_1)
	v_cvt_f64_f32_e32 v[7:8], v7
	v_cndmask_b32_e32 v7, 0x20000000, v7, vcc_lo
	s_delay_alu instid0(VALU_DEP_2) | instskip(SKIP_1) | instid1(VALU_DEP_2)
	v_cndmask_b32_e32 v8, 0x7ff80000, v8, vcc_lo
	v_cmp_ne_u32_e32 vcc_lo, 0, v12
	v_cndmask_b32_e32 v8, 0x38000000, v8, vcc_lo
	s_delay_alu instid0(VALU_DEP_4)
	v_cndmask_b32_e32 v7, 0, v7, vcc_lo
	s_branch .LBB321_1331
.LBB321_1330:
	s_mov_b32 s3, -1
                                        ; implicit-def: $vgpr7_vgpr8
.LBB321_1331:
	s_mov_b32 s1, 0
.LBB321_1332:
	s_delay_alu instid0(SALU_CYCLE_1)
	s_and_b32 vcc_lo, exec_lo, s1
	s_cbranch_vccz .LBB321_1336
; %bb.1333:
	v_cmp_eq_u16_e32 vcc_lo, 29, v15
	s_cbranch_vccz .LBB321_1335
; %bb.1334:
	global_load_b64 v[7:8], v[10:11], off
	s_mov_b32 s3, 0
	s_mov_b32 s0, -1
	s_mov_b32 s1, 0
	s_waitcnt vmcnt(0)
	v_cvt_f64_u32_e32 v[12:13], v8
	v_cvt_f64_u32_e32 v[7:8], v7
	s_delay_alu instid0(VALU_DEP_2) | instskip(NEXT) | instid1(VALU_DEP_1)
	v_ldexp_f64 v[12:13], v[12:13], 32
	v_add_f64 v[7:8], v[12:13], v[7:8]
	s_branch .LBB321_1337
.LBB321_1335:
	s_mov_b32 s3, -1
                                        ; implicit-def: $vgpr7_vgpr8
.LBB321_1336:
	s_mov_b32 s1, 0
.LBB321_1337:
	s_delay_alu instid0(SALU_CYCLE_1)
	s_and_b32 vcc_lo, exec_lo, s1
	s_cbranch_vccz .LBB321_1357
; %bb.1338:
	v_cmp_gt_i16_e32 vcc_lo, 27, v15
	s_cbranch_vccnz .LBB321_1341
; %bb.1339:
	v_cmp_lt_i16_e32 vcc_lo, 27, v15
	s_cbranch_vccz .LBB321_1342
; %bb.1340:
	global_load_b32 v7, v[10:11], off
	s_mov_b32 s0, 0
	s_waitcnt vmcnt(0)
	v_cvt_f64_u32_e32 v[7:8], v7
	s_branch .LBB321_1343
.LBB321_1341:
	s_mov_b32 s0, -1
                                        ; implicit-def: $vgpr7_vgpr8
	s_branch .LBB321_1346
.LBB321_1342:
	s_mov_b32 s0, -1
                                        ; implicit-def: $vgpr7_vgpr8
.LBB321_1343:
	s_delay_alu instid0(SALU_CYCLE_1)
	s_and_not1_b32 vcc_lo, exec_lo, s0
	s_cbranch_vccnz .LBB321_1345
; %bb.1344:
	global_load_u16 v7, v[10:11], off
	s_waitcnt vmcnt(0)
	v_cvt_f64_u32_e32 v[7:8], v7
.LBB321_1345:
	s_mov_b32 s0, 0
.LBB321_1346:
	s_delay_alu instid0(SALU_CYCLE_1)
	s_and_not1_b32 vcc_lo, exec_lo, s0
	s_cbranch_vccnz .LBB321_1356
; %bb.1347:
	global_load_u8 v12, v[10:11], off
	s_mov_b32 s15, 0
	s_mov_b32 s16, exec_lo
                                        ; implicit-def: $sgpr0_sgpr1
	s_waitcnt vmcnt(0)
	v_cmpx_lt_i16_e32 0x7f, v12
	s_xor_b32 s16, exec_lo, s16
	s_cbranch_execz .LBB321_1351
; %bb.1348:
	s_mov_b32 s17, -1
	s_mov_b32 s15, exec_lo
                                        ; implicit-def: $sgpr0_sgpr1
	v_cmpx_eq_u16_e32 0x80, v12
; %bb.1349:
	s_mov_b32 s1, 0x7ff80000
	s_brev_b32 s0, 4
	s_xor_b32 s17, exec_lo, -1
; %bb.1350:
	s_or_b32 exec_lo, exec_lo, s15
	s_delay_alu instid0(SALU_CYCLE_1)
	s_and_b32 s15, s17, exec_lo
.LBB321_1351:
	s_or_saveexec_b32 s16, s16
	v_dual_mov_b32 v8, s1 :: v_dual_mov_b32 v7, s0
	s_xor_b32 exec_lo, exec_lo, s16
; %bb.1352:
	v_cmp_ne_u16_e32 vcc_lo, 0, v12
	v_mov_b32_e32 v7, 0
	v_mov_b32_e32 v8, 0
	s_and_not1_b32 s0, s15, exec_lo
	s_and_b32 s1, vcc_lo, exec_lo
	s_delay_alu instid0(SALU_CYCLE_1)
	s_or_b32 s15, s0, s1
; %bb.1353:
	s_or_b32 exec_lo, exec_lo, s16
	s_and_saveexec_b32 s0, s15
	s_cbranch_execz .LBB321_1355
; %bb.1354:
	v_and_b32_e32 v7, 0xffff, v12
	v_lshlrev_b32_e32 v12, 24, v12
	s_delay_alu instid0(VALU_DEP_2) | instskip(NEXT) | instid1(VALU_DEP_2)
	v_and_b32_e32 v8, 7, v7
	v_and_b32_e32 v12, 0x80000000, v12
	s_delay_alu instid0(VALU_DEP_2) | instskip(NEXT) | instid1(VALU_DEP_1)
	v_clz_i32_u32_e32 v13, v8
	v_min_u32_e32 v13, 32, v13
	s_delay_alu instid0(VALU_DEP_1) | instskip(SKIP_1) | instid1(VALU_DEP_2)
	v_subrev_nc_u32_e32 v14, 28, v13
	v_sub_nc_u32_e32 v13, 29, v13
	v_lshlrev_b32_e32 v14, v14, v7
	v_bfe_u32 v7, v7, 3, 4
	s_delay_alu instid0(VALU_DEP_2) | instskip(NEXT) | instid1(VALU_DEP_2)
	v_and_b32_e32 v14, 7, v14
	v_cmp_eq_u32_e32 vcc_lo, 0, v7
	s_delay_alu instid0(VALU_DEP_2) | instskip(NEXT) | instid1(VALU_DEP_1)
	v_dual_cndmask_b32 v7, v7, v13 :: v_dual_cndmask_b32 v8, v8, v14
	v_lshl_add_u32 v7, v7, 23, 0x3b800000
	s_delay_alu instid0(VALU_DEP_2) | instskip(NEXT) | instid1(VALU_DEP_1)
	v_lshlrev_b32_e32 v8, 20, v8
	v_or3_b32 v7, v12, v7, v8
	s_delay_alu instid0(VALU_DEP_1)
	v_cvt_f64_f32_e32 v[7:8], v7
.LBB321_1355:
	s_or_b32 exec_lo, exec_lo, s0
.LBB321_1356:
	s_mov_b32 s0, -1
.LBB321_1357:
	s_branch .LBB321_1388
.LBB321_1358:
	v_cmp_lt_i16_e32 vcc_lo, 22, v15
	s_cbranch_vccz .LBB321_1370
; %bb.1359:
	v_cmp_gt_i16_e32 vcc_lo, 24, v15
	s_cbranch_vccnz .LBB321_1371
; %bb.1360:
	v_cmp_lt_i16_e32 vcc_lo, 24, v15
	s_cbranch_vccz .LBB321_1372
; %bb.1361:
	global_load_u8 v12, v[10:11], off
	s_mov_b32 s15, exec_lo
                                        ; implicit-def: $sgpr0_sgpr1
	s_waitcnt vmcnt(0)
	v_cmpx_lt_i16_e32 0x7f, v12
	s_xor_b32 s15, exec_lo, s15
	s_cbranch_execz .LBB321_1365
; %bb.1362:
	s_mov_b32 s16, -1
	s_mov_b32 s14, exec_lo
                                        ; implicit-def: $sgpr0_sgpr1
	v_cmpx_eq_u16_e32 0x80, v12
; %bb.1363:
	s_mov_b32 s1, 0x7ff80000
	s_brev_b32 s0, 4
	s_xor_b32 s16, exec_lo, -1
; %bb.1364:
	s_or_b32 exec_lo, exec_lo, s14
	s_delay_alu instid0(SALU_CYCLE_1)
	s_and_b32 s14, s16, exec_lo
.LBB321_1365:
	s_or_saveexec_b32 s15, s15
	v_dual_mov_b32 v8, s1 :: v_dual_mov_b32 v7, s0
	s_xor_b32 exec_lo, exec_lo, s15
; %bb.1366:
	v_cmp_ne_u16_e32 vcc_lo, 0, v12
	v_mov_b32_e32 v7, 0
	v_mov_b32_e32 v8, 0
	s_and_not1_b32 s0, s14, exec_lo
	s_and_b32 s1, vcc_lo, exec_lo
	s_delay_alu instid0(SALU_CYCLE_1)
	s_or_b32 s14, s0, s1
; %bb.1367:
	s_or_b32 exec_lo, exec_lo, s15
	s_and_saveexec_b32 s0, s14
	s_cbranch_execz .LBB321_1369
; %bb.1368:
	v_and_b32_e32 v7, 0xffff, v12
	v_lshlrev_b32_e32 v12, 24, v12
	s_delay_alu instid0(VALU_DEP_2) | instskip(NEXT) | instid1(VALU_DEP_2)
	v_and_b32_e32 v8, 3, v7
	v_and_b32_e32 v12, 0x80000000, v12
	s_delay_alu instid0(VALU_DEP_2) | instskip(NEXT) | instid1(VALU_DEP_1)
	v_clz_i32_u32_e32 v13, v8
	v_min_u32_e32 v13, 32, v13
	s_delay_alu instid0(VALU_DEP_1) | instskip(SKIP_1) | instid1(VALU_DEP_2)
	v_subrev_nc_u32_e32 v14, 29, v13
	v_sub_nc_u32_e32 v13, 30, v13
	v_lshlrev_b32_e32 v14, v14, v7
	v_bfe_u32 v7, v7, 2, 5
	s_delay_alu instid0(VALU_DEP_2) | instskip(NEXT) | instid1(VALU_DEP_2)
	v_and_b32_e32 v14, 3, v14
	v_cmp_eq_u32_e32 vcc_lo, 0, v7
	s_delay_alu instid0(VALU_DEP_2) | instskip(NEXT) | instid1(VALU_DEP_1)
	v_dual_cndmask_b32 v7, v7, v13 :: v_dual_cndmask_b32 v8, v8, v14
	v_lshl_add_u32 v7, v7, 23, 0x37800000
	s_delay_alu instid0(VALU_DEP_2) | instskip(NEXT) | instid1(VALU_DEP_1)
	v_lshlrev_b32_e32 v8, 21, v8
	v_or3_b32 v7, v12, v7, v8
	s_delay_alu instid0(VALU_DEP_1)
	v_cvt_f64_f32_e32 v[7:8], v7
.LBB321_1369:
	s_or_b32 exec_lo, exec_lo, s0
	s_mov_b32 s0, 0
	s_branch .LBB321_1373
.LBB321_1370:
	s_mov_b32 s1, -1
                                        ; implicit-def: $vgpr7_vgpr8
	s_branch .LBB321_1379
.LBB321_1371:
	s_mov_b32 s0, -1
                                        ; implicit-def: $vgpr7_vgpr8
	s_branch .LBB321_1376
.LBB321_1372:
	s_mov_b32 s0, -1
                                        ; implicit-def: $vgpr7_vgpr8
.LBB321_1373:
	s_delay_alu instid0(SALU_CYCLE_1)
	s_and_b32 vcc_lo, exec_lo, s0
	s_cbranch_vccz .LBB321_1375
; %bb.1374:
	global_load_u8 v7, v[10:11], off
	s_waitcnt vmcnt(0)
	v_lshlrev_b32_e32 v7, 24, v7
	s_delay_alu instid0(VALU_DEP_1) | instskip(NEXT) | instid1(VALU_DEP_1)
	v_and_b32_e32 v8, 0x7f000000, v7
	v_clz_i32_u32_e32 v12, v8
	v_add_nc_u32_e32 v14, 0x1000000, v8
	v_cmp_ne_u32_e32 vcc_lo, 0, v8
	s_delay_alu instid0(VALU_DEP_3) | instskip(NEXT) | instid1(VALU_DEP_1)
	v_min_u32_e32 v12, 32, v12
	v_sub_nc_u32_e64 v12, v12, 4 clamp
	s_delay_alu instid0(VALU_DEP_1) | instskip(SKIP_1) | instid1(VALU_DEP_2)
	v_lshlrev_b32_e32 v13, v12, v8
	v_lshlrev_b32_e32 v12, 23, v12
	v_lshrrev_b32_e32 v13, 4, v13
	s_delay_alu instid0(VALU_DEP_1) | instskip(SKIP_1) | instid1(VALU_DEP_2)
	v_sub_nc_u32_e32 v12, v13, v12
	v_ashrrev_i32_e32 v13, 8, v14
	v_add_nc_u32_e32 v12, 0x3c000000, v12
	s_delay_alu instid0(VALU_DEP_1) | instskip(NEXT) | instid1(VALU_DEP_1)
	v_and_or_b32 v12, 0x7f800000, v13, v12
	v_cndmask_b32_e32 v8, 0, v12, vcc_lo
	s_delay_alu instid0(VALU_DEP_1) | instskip(NEXT) | instid1(VALU_DEP_1)
	v_and_or_b32 v7, 0x80000000, v7, v8
	v_cvt_f64_f32_e32 v[7:8], v7
.LBB321_1375:
	s_mov_b32 s0, 0
.LBB321_1376:
	s_delay_alu instid0(SALU_CYCLE_1)
	s_and_not1_b32 vcc_lo, exec_lo, s0
	s_cbranch_vccnz .LBB321_1378
; %bb.1377:
	global_load_u8 v7, v[10:11], off
	s_waitcnt vmcnt(0)
	v_lshlrev_b32_e32 v8, 25, v7
	v_lshlrev_b16 v7, 8, v7
	s_delay_alu instid0(VALU_DEP_1) | instskip(SKIP_1) | instid1(VALU_DEP_2)
	v_and_or_b32 v13, 0x7f00, v7, 0.5
	v_bfe_i32 v7, v7, 0, 16
	v_add_f32_e32 v13, -0.5, v13
	v_lshrrev_b32_e32 v12, 4, v8
	v_cmp_gt_u32_e32 vcc_lo, 0x8000000, v8
	s_delay_alu instid0(VALU_DEP_2) | instskip(NEXT) | instid1(VALU_DEP_1)
	v_or_b32_e32 v12, 0x70000000, v12
	v_mul_f32_e32 v12, 0x7800000, v12
	s_delay_alu instid0(VALU_DEP_1) | instskip(NEXT) | instid1(VALU_DEP_1)
	v_cndmask_b32_e32 v8, v12, v13, vcc_lo
	v_and_or_b32 v7, 0x80000000, v7, v8
	s_delay_alu instid0(VALU_DEP_1)
	v_cvt_f64_f32_e32 v[7:8], v7
.LBB321_1378:
	s_mov_b32 s1, 0
	s_mov_b32 s0, -1
.LBB321_1379:
	s_and_not1_b32 vcc_lo, exec_lo, s1
	s_mov_b32 s14, 0
	s_cbranch_vccnz .LBB321_1388
; %bb.1380:
	v_cmp_lt_i16_e32 vcc_lo, 14, v15
	s_cbranch_vccz .LBB321_1383
; %bb.1381:
	v_cmp_eq_u16_e32 vcc_lo, 15, v15
	s_cbranch_vccz .LBB321_1384
; %bb.1382:
	global_load_u16 v7, v[10:11], off
	s_mov_b32 s3, 0
	s_mov_b32 s0, -1
	s_waitcnt vmcnt(0)
	v_lshlrev_b32_e32 v7, 16, v7
	s_delay_alu instid0(VALU_DEP_1)
	v_cvt_f64_f32_e32 v[7:8], v7
	s_branch .LBB321_1385
.LBB321_1383:
	s_mov_b32 s1, -1
                                        ; implicit-def: $vgpr7_vgpr8
	s_branch .LBB321_1386
.LBB321_1384:
	s_mov_b32 s3, -1
                                        ; implicit-def: $vgpr7_vgpr8
.LBB321_1385:
	s_mov_b32 s1, 0
.LBB321_1386:
	s_delay_alu instid0(SALU_CYCLE_1)
	s_and_b32 vcc_lo, exec_lo, s1
	s_cbranch_vccz .LBB321_1388
; %bb.1387:
	v_cmp_ne_u16_e64 s3, 11, v15
	s_mov_b32 s14, -1
                                        ; implicit-def: $vgpr7_vgpr8
.LBB321_1388:
	s_delay_alu instid0(VALU_DEP_1)
	s_and_b32 vcc_lo, exec_lo, s3
	s_cbranch_vccnz .LBB321_1412
; %bb.1389:
	s_and_not1_b32 vcc_lo, exec_lo, s14
	s_cbranch_vccnz .LBB321_1391
.LBB321_1390:
	global_load_u8 v7, v[10:11], off
	s_mov_b32 s0, -1
	s_waitcnt vmcnt(0)
	v_cmp_ne_u16_e32 vcc_lo, 0, v7
	v_mov_b32_e32 v7, 0
	v_cndmask_b32_e64 v8, 0, 0x3ff00000, vcc_lo
.LBB321_1391:
.LBB321_1392:
	s_and_not1_b32 vcc_lo, exec_lo, s0
	s_cbranch_vccnz .LBB321_2049
.LBB321_1393:
	v_cmp_gt_i16_e32 vcc_lo, 11, v15
	v_add_co_u32 v11, s0, s6, v9
	s_delay_alu instid0(VALU_DEP_1)
	v_add_co_ci_u32_e64 v12, null, s7, 0, s0
	s_mov_b32 s0, 0
	s_cbranch_vccnz .LBB321_1400
; %bb.1394:
	v_cmp_lt_i16_e32 vcc_lo, 25, v15
	s_mov_b32 s14, 0
	s_cbranch_vccz .LBB321_1406
; %bb.1395:
	v_cmp_lt_i16_e32 vcc_lo, 28, v15
	s_cbranch_vccz .LBB321_1408
; %bb.1396:
	v_cmp_lt_i16_e32 vcc_lo, 43, v15
	;; [unrolled: 3-line block ×3, first 2 shown]
	s_cbranch_vccz .LBB321_1414
; %bb.1398:
	v_cmp_eq_u16_e32 vcc_lo, 46, v15
	s_mov_b32 s1, 0
	s_cbranch_vccz .LBB321_1457
; %bb.1399:
	global_load_b32 v9, v[11:12], off
	s_mov_b32 s3, 0
	s_mov_b32 s0, -1
	s_waitcnt vmcnt(0)
	v_lshlrev_b32_e32 v9, 16, v9
	s_delay_alu instid0(VALU_DEP_1)
	v_cvt_f64_f32_e32 v[9:10], v9
	s_branch .LBB321_1459
.LBB321_1400:
                                        ; implicit-def: $vgpr9_vgpr10
	s_cbranch_execz .LBB321_1525
; %bb.1401:
	v_cmp_gt_i16_e32 vcc_lo, 5, v15
	s_cbranch_vccnz .LBB321_1407
; %bb.1402:
	v_cmp_gt_i16_e32 vcc_lo, 8, v15
	s_cbranch_vccnz .LBB321_1409
	;; [unrolled: 3-line block ×3, first 2 shown]
; %bb.1404:
	v_cmp_lt_i16_e32 vcc_lo, 9, v15
	s_cbranch_vccz .LBB321_1415
; %bb.1405:
	global_load_b64 v[9:10], v[11:12], off
	s_mov_b32 s0, 0
	s_branch .LBB321_1416
.LBB321_1406:
	s_mov_b32 s1, -1
	s_mov_b32 s3, 0
                                        ; implicit-def: $vgpr9_vgpr10
	s_branch .LBB321_1490
.LBB321_1407:
	s_mov_b32 s0, -1
                                        ; implicit-def: $vgpr9_vgpr10
	s_branch .LBB321_1434
.LBB321_1408:
	s_mov_b32 s1, -1
	s_mov_b32 s3, 0
                                        ; implicit-def: $vgpr9_vgpr10
	s_branch .LBB321_1469
.LBB321_1409:
	s_mov_b32 s0, -1
                                        ; implicit-def: $vgpr9_vgpr10
	s_branch .LBB321_1422
.LBB321_1410:
	s_mov_b32 s1, -1
	s_mov_b32 s3, 0
                                        ; implicit-def: $vgpr9_vgpr10
	s_branch .LBB321_1464
.LBB321_1411:
	s_mov_b32 s0, -1
                                        ; implicit-def: $vgpr9_vgpr10
	s_branch .LBB321_1419
.LBB321_1412:
	s_cbranch_execnz .LBB321_1455
; %bb.1413:
	s_or_b32 s2, s2, exec_lo
                                        ; implicit-def: $vgpr7_vgpr8
	s_cbranch_execz .LBB321_1390
	s_branch .LBB321_1391
.LBB321_1414:
	s_mov_b32 s1, -1
	s_mov_b32 s3, 0
	s_branch .LBB321_1458
.LBB321_1415:
	s_mov_b32 s0, -1
                                        ; implicit-def: $vgpr9_vgpr10
.LBB321_1416:
	s_delay_alu instid0(SALU_CYCLE_1)
	s_and_not1_b32 vcc_lo, exec_lo, s0
	s_cbranch_vccnz .LBB321_1418
; %bb.1417:
	global_load_b32 v9, v[11:12], off
	s_waitcnt vmcnt(0)
	v_cvt_f64_f32_e32 v[9:10], v9
.LBB321_1418:
	s_mov_b32 s0, 0
.LBB321_1419:
	s_delay_alu instid0(SALU_CYCLE_1)
	s_and_not1_b32 vcc_lo, exec_lo, s0
	s_cbranch_vccnz .LBB321_1421
; %bb.1420:
	global_load_b32 v9, v[11:12], off
	s_waitcnt vmcnt(0)
	v_cvt_f32_f16_e32 v9, v9
	s_delay_alu instid0(VALU_DEP_1)
	v_cvt_f64_f32_e32 v[9:10], v9
.LBB321_1421:
	s_mov_b32 s0, 0
.LBB321_1422:
	s_delay_alu instid0(SALU_CYCLE_1)
	s_and_not1_b32 vcc_lo, exec_lo, s0
	s_cbranch_vccnz .LBB321_1433
; %bb.1423:
	v_cmp_gt_i16_e32 vcc_lo, 6, v15
	s_cbranch_vccnz .LBB321_1426
; %bb.1424:
	v_cmp_lt_i16_e32 vcc_lo, 6, v15
	s_cbranch_vccz .LBB321_1427
; %bb.1425:
	global_load_b64 v[9:10], v[11:12], off
	s_mov_b32 s0, 0
	s_branch .LBB321_1428
.LBB321_1426:
	s_mov_b32 s0, -1
                                        ; implicit-def: $vgpr9_vgpr10
	s_branch .LBB321_1431
.LBB321_1427:
	s_mov_b32 s0, -1
                                        ; implicit-def: $vgpr9_vgpr10
.LBB321_1428:
	s_delay_alu instid0(SALU_CYCLE_1)
	s_and_not1_b32 vcc_lo, exec_lo, s0
	s_cbranch_vccnz .LBB321_1430
; %bb.1429:
	global_load_b32 v9, v[11:12], off
	s_waitcnt vmcnt(0)
	v_cvt_f64_f32_e32 v[9:10], v9
.LBB321_1430:
	s_mov_b32 s0, 0
.LBB321_1431:
	s_delay_alu instid0(SALU_CYCLE_1)
	s_and_not1_b32 vcc_lo, exec_lo, s0
	s_cbranch_vccnz .LBB321_1433
; %bb.1432:
	global_load_u16 v9, v[11:12], off
	s_waitcnt vmcnt(0)
	v_cvt_f32_f16_e32 v9, v9
	s_delay_alu instid0(VALU_DEP_1)
	v_cvt_f64_f32_e32 v[9:10], v9
.LBB321_1433:
	s_mov_b32 s0, 0
.LBB321_1434:
	s_delay_alu instid0(SALU_CYCLE_1)
	s_and_not1_b32 vcc_lo, exec_lo, s0
	s_cbranch_vccnz .LBB321_1454
; %bb.1435:
	v_cmp_gt_i16_e32 vcc_lo, 2, v15
	s_cbranch_vccnz .LBB321_1439
; %bb.1436:
	v_cmp_gt_i16_e32 vcc_lo, 3, v15
	s_cbranch_vccnz .LBB321_1440
; %bb.1437:
	v_cmp_lt_i16_e32 vcc_lo, 3, v15
	s_cbranch_vccz .LBB321_1441
; %bb.1438:
	global_load_b64 v[9:10], v[11:12], off
	s_mov_b32 s0, 0
	s_waitcnt vmcnt(0)
	v_cvt_f64_i32_e32 v[13:14], v10
	v_cvt_f64_u32_e32 v[9:10], v9
	s_delay_alu instid0(VALU_DEP_2) | instskip(NEXT) | instid1(VALU_DEP_1)
	v_ldexp_f64 v[13:14], v[13:14], 32
	v_add_f64 v[9:10], v[13:14], v[9:10]
	s_branch .LBB321_1442
.LBB321_1439:
	s_mov_b32 s0, -1
                                        ; implicit-def: $vgpr9_vgpr10
	s_branch .LBB321_1448
.LBB321_1440:
	s_mov_b32 s0, -1
                                        ; implicit-def: $vgpr9_vgpr10
	s_branch .LBB321_1445
.LBB321_1441:
	s_mov_b32 s0, -1
                                        ; implicit-def: $vgpr9_vgpr10
.LBB321_1442:
	s_delay_alu instid0(SALU_CYCLE_1)
	s_and_not1_b32 vcc_lo, exec_lo, s0
	s_cbranch_vccnz .LBB321_1444
; %bb.1443:
	global_load_b32 v9, v[11:12], off
	s_waitcnt vmcnt(0)
	v_cvt_f64_i32_e32 v[9:10], v9
.LBB321_1444:
	s_mov_b32 s0, 0
.LBB321_1445:
	s_delay_alu instid0(SALU_CYCLE_1)
	s_and_not1_b32 vcc_lo, exec_lo, s0
	s_cbranch_vccnz .LBB321_1447
; %bb.1446:
	global_load_i16 v9, v[11:12], off
	s_waitcnt vmcnt(0)
	v_cvt_f64_i32_e32 v[9:10], v9
.LBB321_1447:
	s_mov_b32 s0, 0
.LBB321_1448:
	s_delay_alu instid0(SALU_CYCLE_1)
	s_and_not1_b32 vcc_lo, exec_lo, s0
	s_cbranch_vccnz .LBB321_1454
; %bb.1449:
	v_cmp_lt_i16_e32 vcc_lo, 0, v15
	s_mov_b32 s0, 0
	s_cbranch_vccz .LBB321_1451
; %bb.1450:
	global_load_i8 v9, v[11:12], off
	s_waitcnt vmcnt(0)
	v_cvt_f64_i32_e32 v[9:10], v9
	s_branch .LBB321_1452
.LBB321_1451:
	s_mov_b32 s0, -1
                                        ; implicit-def: $vgpr9_vgpr10
.LBB321_1452:
	s_delay_alu instid0(SALU_CYCLE_1)
	s_and_not1_b32 vcc_lo, exec_lo, s0
	s_cbranch_vccnz .LBB321_1454
; %bb.1453:
	global_load_u8 v9, v[11:12], off
	s_waitcnt vmcnt(0)
	v_cvt_f64_u32_e32 v[9:10], v9
.LBB321_1454:
	s_branch .LBB321_1526
.LBB321_1455:
	s_trap 2
	s_sendmsg_rtn_b32 s0, sendmsg(MSG_RTN_GET_DOORBELL)
	s_mov_b32 ttmp2, m0
	s_waitcnt lgkmcnt(0)
	s_and_b32 s0, s0, 0x3ff
	s_delay_alu instid0(SALU_CYCLE_1) | instskip(NEXT) | instid1(SALU_CYCLE_1)
	s_bitset1_b32 s0, 10
	s_mov_b32 m0, s0
	s_sendmsg sendmsg(MSG_INTERRUPT)
	s_mov_b32 m0, ttmp2
.LBB321_1456:                           ; =>This Inner Loop Header: Depth=1
	s_sethalt 5
	s_branch .LBB321_1456
.LBB321_1457:
	s_mov_b32 s3, -1
.LBB321_1458:
                                        ; implicit-def: $vgpr9_vgpr10
.LBB321_1459:
	s_and_b32 vcc_lo, exec_lo, s1
	s_cbranch_vccz .LBB321_1463
; %bb.1460:
	v_cmp_eq_u16_e32 vcc_lo, 44, v15
	s_cbranch_vccz .LBB321_1462
; %bb.1461:
	global_load_u8 v13, v[11:12], off
	s_mov_b32 s3, 0
	s_mov_b32 s0, -1
	s_waitcnt vmcnt(0)
	v_cmp_ne_u32_e32 vcc_lo, 0xff, v13
	v_lshlrev_b32_e32 v9, 23, v13
	s_delay_alu instid0(VALU_DEP_1) | instskip(NEXT) | instid1(VALU_DEP_1)
	v_cvt_f64_f32_e32 v[9:10], v9
	v_cndmask_b32_e32 v10, 0x7ff80000, v10, vcc_lo
	s_delay_alu instid0(VALU_DEP_2) | instskip(SKIP_1) | instid1(VALU_DEP_3)
	v_cndmask_b32_e32 v9, 0x20000000, v9, vcc_lo
	v_cmp_ne_u32_e32 vcc_lo, 0, v13
	v_cndmask_b32_e32 v10, 0x38000000, v10, vcc_lo
	s_delay_alu instid0(VALU_DEP_3)
	v_cndmask_b32_e32 v9, 0, v9, vcc_lo
	s_branch .LBB321_1463
.LBB321_1462:
	s_mov_b32 s3, -1
                                        ; implicit-def: $vgpr9_vgpr10
.LBB321_1463:
	s_mov_b32 s1, 0
.LBB321_1464:
	s_delay_alu instid0(SALU_CYCLE_1)
	s_and_b32 vcc_lo, exec_lo, s1
	s_cbranch_vccz .LBB321_1468
; %bb.1465:
	v_cmp_eq_u16_e32 vcc_lo, 29, v15
	s_cbranch_vccz .LBB321_1467
; %bb.1466:
	global_load_b64 v[9:10], v[11:12], off
	s_mov_b32 s3, 0
	s_mov_b32 s0, -1
	s_mov_b32 s1, 0
	s_waitcnt vmcnt(0)
	v_cvt_f64_u32_e32 v[13:14], v10
	v_cvt_f64_u32_e32 v[9:10], v9
	s_delay_alu instid0(VALU_DEP_2) | instskip(NEXT) | instid1(VALU_DEP_1)
	v_ldexp_f64 v[13:14], v[13:14], 32
	v_add_f64 v[9:10], v[13:14], v[9:10]
	s_branch .LBB321_1469
.LBB321_1467:
	s_mov_b32 s3, -1
                                        ; implicit-def: $vgpr9_vgpr10
.LBB321_1468:
	s_mov_b32 s1, 0
.LBB321_1469:
	s_delay_alu instid0(SALU_CYCLE_1)
	s_and_b32 vcc_lo, exec_lo, s1
	s_cbranch_vccz .LBB321_1489
; %bb.1470:
	v_cmp_gt_i16_e32 vcc_lo, 27, v15
	s_cbranch_vccnz .LBB321_1473
; %bb.1471:
	v_cmp_lt_i16_e32 vcc_lo, 27, v15
	s_cbranch_vccz .LBB321_1474
; %bb.1472:
	global_load_b32 v9, v[11:12], off
	s_mov_b32 s0, 0
	s_waitcnt vmcnt(0)
	v_cvt_f64_u32_e32 v[9:10], v9
	s_branch .LBB321_1475
.LBB321_1473:
	s_mov_b32 s0, -1
                                        ; implicit-def: $vgpr9_vgpr10
	s_branch .LBB321_1478
.LBB321_1474:
	s_mov_b32 s0, -1
                                        ; implicit-def: $vgpr9_vgpr10
.LBB321_1475:
	s_delay_alu instid0(SALU_CYCLE_1)
	s_and_not1_b32 vcc_lo, exec_lo, s0
	s_cbranch_vccnz .LBB321_1477
; %bb.1476:
	global_load_u16 v9, v[11:12], off
	s_waitcnt vmcnt(0)
	v_cvt_f64_u32_e32 v[9:10], v9
.LBB321_1477:
	s_mov_b32 s0, 0
.LBB321_1478:
	s_delay_alu instid0(SALU_CYCLE_1)
	s_and_not1_b32 vcc_lo, exec_lo, s0
	s_cbranch_vccnz .LBB321_1488
; %bb.1479:
	global_load_u8 v13, v[11:12], off
	s_mov_b32 s15, 0
	s_mov_b32 s16, exec_lo
                                        ; implicit-def: $sgpr0_sgpr1
	s_waitcnt vmcnt(0)
	v_cmpx_lt_i16_e32 0x7f, v13
	s_xor_b32 s16, exec_lo, s16
	s_cbranch_execz .LBB321_1483
; %bb.1480:
	s_mov_b32 s17, -1
	s_mov_b32 s15, exec_lo
                                        ; implicit-def: $sgpr0_sgpr1
	v_cmpx_eq_u16_e32 0x80, v13
; %bb.1481:
	s_mov_b32 s1, 0x7ff80000
	s_brev_b32 s0, 4
	s_xor_b32 s17, exec_lo, -1
; %bb.1482:
	s_or_b32 exec_lo, exec_lo, s15
	s_delay_alu instid0(SALU_CYCLE_1)
	s_and_b32 s15, s17, exec_lo
.LBB321_1483:
	s_or_saveexec_b32 s16, s16
	v_dual_mov_b32 v10, s1 :: v_dual_mov_b32 v9, s0
	s_xor_b32 exec_lo, exec_lo, s16
; %bb.1484:
	v_cmp_ne_u16_e32 vcc_lo, 0, v13
	v_mov_b32_e32 v9, 0
	v_mov_b32_e32 v10, 0
	s_and_not1_b32 s0, s15, exec_lo
	s_and_b32 s1, vcc_lo, exec_lo
	s_delay_alu instid0(SALU_CYCLE_1)
	s_or_b32 s15, s0, s1
; %bb.1485:
	s_or_b32 exec_lo, exec_lo, s16
	s_and_saveexec_b32 s0, s15
	s_cbranch_execz .LBB321_1487
; %bb.1486:
	v_and_b32_e32 v9, 0xffff, v13
	v_lshlrev_b32_e32 v13, 24, v13
	s_delay_alu instid0(VALU_DEP_2) | instskip(NEXT) | instid1(VALU_DEP_2)
	v_and_b32_e32 v10, 7, v9
	v_and_b32_e32 v13, 0x80000000, v13
	s_delay_alu instid0(VALU_DEP_2) | instskip(NEXT) | instid1(VALU_DEP_1)
	v_clz_i32_u32_e32 v14, v10
	v_min_u32_e32 v14, 32, v14
	s_delay_alu instid0(VALU_DEP_1) | instskip(SKIP_1) | instid1(VALU_DEP_2)
	v_subrev_nc_u32_e32 v16, 28, v14
	v_sub_nc_u32_e32 v14, 29, v14
	v_lshlrev_b32_e32 v16, v16, v9
	v_bfe_u32 v9, v9, 3, 4
	s_delay_alu instid0(VALU_DEP_2) | instskip(NEXT) | instid1(VALU_DEP_2)
	v_and_b32_e32 v16, 7, v16
	v_cmp_eq_u32_e32 vcc_lo, 0, v9
	s_delay_alu instid0(VALU_DEP_2) | instskip(NEXT) | instid1(VALU_DEP_1)
	v_dual_cndmask_b32 v9, v9, v14 :: v_dual_cndmask_b32 v10, v10, v16
	v_lshl_add_u32 v9, v9, 23, 0x3b800000
	s_delay_alu instid0(VALU_DEP_2) | instskip(NEXT) | instid1(VALU_DEP_1)
	v_lshlrev_b32_e32 v10, 20, v10
	v_or3_b32 v9, v13, v9, v10
	s_delay_alu instid0(VALU_DEP_1)
	v_cvt_f64_f32_e32 v[9:10], v9
.LBB321_1487:
	s_or_b32 exec_lo, exec_lo, s0
.LBB321_1488:
	s_mov_b32 s0, -1
.LBB321_1489:
	s_mov_b32 s1, 0
.LBB321_1490:
	s_delay_alu instid0(SALU_CYCLE_1)
	s_and_b32 vcc_lo, exec_lo, s1
	s_cbranch_vccz .LBB321_1521
; %bb.1491:
	v_cmp_lt_i16_e32 vcc_lo, 22, v15
	s_cbranch_vccz .LBB321_1503
; %bb.1492:
	v_cmp_gt_i16_e32 vcc_lo, 24, v15
	s_cbranch_vccnz .LBB321_1504
; %bb.1493:
	v_cmp_lt_i16_e32 vcc_lo, 24, v15
	s_cbranch_vccz .LBB321_1505
; %bb.1494:
	global_load_u8 v13, v[11:12], off
	s_mov_b32 s15, exec_lo
                                        ; implicit-def: $sgpr0_sgpr1
	s_waitcnt vmcnt(0)
	v_cmpx_lt_i16_e32 0x7f, v13
	s_xor_b32 s15, exec_lo, s15
	s_cbranch_execz .LBB321_1498
; %bb.1495:
	s_mov_b32 s16, -1
	s_mov_b32 s14, exec_lo
                                        ; implicit-def: $sgpr0_sgpr1
	v_cmpx_eq_u16_e32 0x80, v13
; %bb.1496:
	s_mov_b32 s1, 0x7ff80000
	s_brev_b32 s0, 4
	s_xor_b32 s16, exec_lo, -1
; %bb.1497:
	s_or_b32 exec_lo, exec_lo, s14
	s_delay_alu instid0(SALU_CYCLE_1)
	s_and_b32 s14, s16, exec_lo
.LBB321_1498:
	s_or_saveexec_b32 s15, s15
	v_dual_mov_b32 v10, s1 :: v_dual_mov_b32 v9, s0
	s_xor_b32 exec_lo, exec_lo, s15
; %bb.1499:
	v_cmp_ne_u16_e32 vcc_lo, 0, v13
	v_mov_b32_e32 v9, 0
	v_mov_b32_e32 v10, 0
	s_and_not1_b32 s0, s14, exec_lo
	s_and_b32 s1, vcc_lo, exec_lo
	s_delay_alu instid0(SALU_CYCLE_1)
	s_or_b32 s14, s0, s1
; %bb.1500:
	s_or_b32 exec_lo, exec_lo, s15
	s_and_saveexec_b32 s0, s14
	s_cbranch_execz .LBB321_1502
; %bb.1501:
	v_and_b32_e32 v9, 0xffff, v13
	v_lshlrev_b32_e32 v13, 24, v13
	s_delay_alu instid0(VALU_DEP_2) | instskip(NEXT) | instid1(VALU_DEP_2)
	v_and_b32_e32 v10, 3, v9
	v_and_b32_e32 v13, 0x80000000, v13
	s_delay_alu instid0(VALU_DEP_2) | instskip(NEXT) | instid1(VALU_DEP_1)
	v_clz_i32_u32_e32 v14, v10
	v_min_u32_e32 v14, 32, v14
	s_delay_alu instid0(VALU_DEP_1) | instskip(SKIP_1) | instid1(VALU_DEP_2)
	v_subrev_nc_u32_e32 v16, 29, v14
	v_sub_nc_u32_e32 v14, 30, v14
	v_lshlrev_b32_e32 v16, v16, v9
	v_bfe_u32 v9, v9, 2, 5
	s_delay_alu instid0(VALU_DEP_2) | instskip(NEXT) | instid1(VALU_DEP_2)
	v_and_b32_e32 v16, 3, v16
	v_cmp_eq_u32_e32 vcc_lo, 0, v9
	s_delay_alu instid0(VALU_DEP_2) | instskip(NEXT) | instid1(VALU_DEP_1)
	v_dual_cndmask_b32 v9, v9, v14 :: v_dual_cndmask_b32 v10, v10, v16
	v_lshl_add_u32 v9, v9, 23, 0x37800000
	s_delay_alu instid0(VALU_DEP_2) | instskip(NEXT) | instid1(VALU_DEP_1)
	v_lshlrev_b32_e32 v10, 21, v10
	v_or3_b32 v9, v13, v9, v10
	s_delay_alu instid0(VALU_DEP_1)
	v_cvt_f64_f32_e32 v[9:10], v9
.LBB321_1502:
	s_or_b32 exec_lo, exec_lo, s0
	s_mov_b32 s0, 0
	s_branch .LBB321_1506
.LBB321_1503:
	s_mov_b32 s1, -1
                                        ; implicit-def: $vgpr9_vgpr10
	s_branch .LBB321_1512
.LBB321_1504:
	s_mov_b32 s0, -1
                                        ; implicit-def: $vgpr9_vgpr10
	s_branch .LBB321_1509
.LBB321_1505:
	s_mov_b32 s0, -1
                                        ; implicit-def: $vgpr9_vgpr10
.LBB321_1506:
	s_delay_alu instid0(SALU_CYCLE_1)
	s_and_b32 vcc_lo, exec_lo, s0
	s_cbranch_vccz .LBB321_1508
; %bb.1507:
	global_load_u8 v9, v[11:12], off
	s_waitcnt vmcnt(0)
	v_lshlrev_b32_e32 v9, 24, v9
	s_delay_alu instid0(VALU_DEP_1) | instskip(NEXT) | instid1(VALU_DEP_1)
	v_and_b32_e32 v10, 0x7f000000, v9
	v_clz_i32_u32_e32 v13, v10
	v_add_nc_u32_e32 v16, 0x1000000, v10
	v_cmp_ne_u32_e32 vcc_lo, 0, v10
	s_delay_alu instid0(VALU_DEP_3) | instskip(NEXT) | instid1(VALU_DEP_1)
	v_min_u32_e32 v13, 32, v13
	v_sub_nc_u32_e64 v13, v13, 4 clamp
	s_delay_alu instid0(VALU_DEP_1) | instskip(SKIP_1) | instid1(VALU_DEP_2)
	v_lshlrev_b32_e32 v14, v13, v10
	v_lshlrev_b32_e32 v13, 23, v13
	v_lshrrev_b32_e32 v14, 4, v14
	s_delay_alu instid0(VALU_DEP_1) | instskip(SKIP_1) | instid1(VALU_DEP_2)
	v_sub_nc_u32_e32 v13, v14, v13
	v_ashrrev_i32_e32 v14, 8, v16
	v_add_nc_u32_e32 v13, 0x3c000000, v13
	s_delay_alu instid0(VALU_DEP_1) | instskip(NEXT) | instid1(VALU_DEP_1)
	v_and_or_b32 v13, 0x7f800000, v14, v13
	v_cndmask_b32_e32 v10, 0, v13, vcc_lo
	s_delay_alu instid0(VALU_DEP_1) | instskip(NEXT) | instid1(VALU_DEP_1)
	v_and_or_b32 v9, 0x80000000, v9, v10
	v_cvt_f64_f32_e32 v[9:10], v9
.LBB321_1508:
	s_mov_b32 s0, 0
.LBB321_1509:
	s_delay_alu instid0(SALU_CYCLE_1)
	s_and_not1_b32 vcc_lo, exec_lo, s0
	s_cbranch_vccnz .LBB321_1511
; %bb.1510:
	global_load_u8 v9, v[11:12], off
	s_waitcnt vmcnt(0)
	v_lshlrev_b32_e32 v10, 25, v9
	v_lshlrev_b16 v9, 8, v9
	s_delay_alu instid0(VALU_DEP_2) | instskip(NEXT) | instid1(VALU_DEP_2)
	v_lshrrev_b32_e32 v13, 4, v10
	v_and_or_b32 v14, 0x7f00, v9, 0.5
	v_cmp_gt_u32_e32 vcc_lo, 0x8000000, v10
	v_bfe_i32 v9, v9, 0, 16
	s_delay_alu instid0(VALU_DEP_4) | instskip(NEXT) | instid1(VALU_DEP_1)
	v_or_b32_e32 v13, 0x70000000, v13
	v_dual_add_f32 v14, -0.5, v14 :: v_dual_mul_f32 v13, 0x7800000, v13
	s_delay_alu instid0(VALU_DEP_1) | instskip(NEXT) | instid1(VALU_DEP_1)
	v_cndmask_b32_e32 v10, v13, v14, vcc_lo
	v_and_or_b32 v9, 0x80000000, v9, v10
	s_delay_alu instid0(VALU_DEP_1)
	v_cvt_f64_f32_e32 v[9:10], v9
.LBB321_1511:
	s_mov_b32 s1, 0
	s_mov_b32 s0, -1
.LBB321_1512:
	s_and_not1_b32 vcc_lo, exec_lo, s1
	s_mov_b32 s14, 0
	s_cbranch_vccnz .LBB321_1521
; %bb.1513:
	v_cmp_lt_i16_e32 vcc_lo, 14, v15
	s_cbranch_vccz .LBB321_1516
; %bb.1514:
	v_cmp_eq_u16_e32 vcc_lo, 15, v15
	s_cbranch_vccz .LBB321_1517
; %bb.1515:
	global_load_u16 v9, v[11:12], off
	s_mov_b32 s3, 0
	s_mov_b32 s0, -1
	s_waitcnt vmcnt(0)
	v_lshlrev_b32_e32 v9, 16, v9
	s_delay_alu instid0(VALU_DEP_1)
	v_cvt_f64_f32_e32 v[9:10], v9
	s_branch .LBB321_1518
.LBB321_1516:
	s_mov_b32 s1, -1
                                        ; implicit-def: $vgpr9_vgpr10
	s_branch .LBB321_1519
.LBB321_1517:
	s_mov_b32 s3, -1
                                        ; implicit-def: $vgpr9_vgpr10
.LBB321_1518:
	s_mov_b32 s1, 0
.LBB321_1519:
	s_delay_alu instid0(SALU_CYCLE_1)
	s_and_b32 vcc_lo, exec_lo, s1
	s_cbranch_vccz .LBB321_1521
; %bb.1520:
	v_cmp_ne_u16_e64 s3, 11, v15
	s_mov_b32 s14, -1
                                        ; implicit-def: $vgpr9_vgpr10
.LBB321_1521:
	s_delay_alu instid0(VALU_DEP_1)
	s_and_b32 vcc_lo, exec_lo, s3
	s_cbranch_vccnz .LBB321_1537
; %bb.1522:
	s_and_not1_b32 vcc_lo, exec_lo, s14
	s_cbranch_vccnz .LBB321_1524
.LBB321_1523:
	global_load_u8 v9, v[11:12], off
	s_mov_b32 s0, -1
	s_waitcnt vmcnt(0)
	v_cmp_ne_u16_e32 vcc_lo, 0, v9
	v_mov_b32_e32 v9, 0
	v_cndmask_b32_e64 v10, 0, 0x3ff00000, vcc_lo
.LBB321_1524:
.LBB321_1525:
	s_and_not1_b32 vcc_lo, exec_lo, s0
	s_cbranch_vccnz .LBB321_2049
.LBB321_1526:
	v_cmp_gt_i16_e32 vcc_lo, 11, v15
	v_add_co_u32 v13, s0, s6, v1
	s_delay_alu instid0(VALU_DEP_1)
	v_add_co_ci_u32_e64 v14, null, s7, 0, s0
	s_mov_b32 s0, 0
	s_cbranch_vccnz .LBB321_1533
; %bb.1527:
	v_cmp_lt_i16_e32 vcc_lo, 25, v15
	s_mov_b32 s6, 0
	s_cbranch_vccz .LBB321_1534
; %bb.1528:
	v_cmp_lt_i16_e32 vcc_lo, 28, v15
	s_cbranch_vccz .LBB321_1535
; %bb.1529:
	v_cmp_lt_i16_e32 vcc_lo, 43, v15
	;; [unrolled: 3-line block ×3, first 2 shown]
	s_cbranch_vccz .LBB321_1539
; %bb.1531:
	v_cmp_eq_u16_e32 vcc_lo, 46, v15
	s_mov_b32 s1, 0
	s_cbranch_vccz .LBB321_1542
; %bb.1532:
	global_load_b32 v1, v[13:14], off
	s_mov_b32 s3, 0
	s_mov_b32 s0, -1
	s_waitcnt vmcnt(0)
	v_lshlrev_b32_e32 v1, 16, v1
	s_delay_alu instid0(VALU_DEP_1)
	v_cvt_f64_f32_e32 v[11:12], v1
	s_branch .LBB321_1544
.LBB321_1533:
	s_mov_b32 s1, -1
                                        ; implicit-def: $vgpr11_vgpr12
	s_branch .LBB321_1610
.LBB321_1534:
	s_mov_b32 s1, -1
	s_mov_b32 s3, 0
                                        ; implicit-def: $vgpr11_vgpr12
	s_branch .LBB321_1575
.LBB321_1535:
	s_mov_b32 s1, -1
	s_mov_b32 s3, 0
                                        ; implicit-def: $vgpr11_vgpr12
	s_branch .LBB321_1554
.LBB321_1536:
	s_mov_b32 s1, -1
	s_mov_b32 s3, 0
                                        ; implicit-def: $vgpr11_vgpr12
	s_branch .LBB321_1549
.LBB321_1537:
	s_cbranch_execnz .LBB321_1540
; %bb.1538:
	s_or_b32 s2, s2, exec_lo
                                        ; implicit-def: $vgpr9_vgpr10
	s_cbranch_execz .LBB321_1523
	s_branch .LBB321_1524
.LBB321_1539:
	s_mov_b32 s1, -1
	s_mov_b32 s3, 0
	s_branch .LBB321_1543
.LBB321_1540:
	s_trap 2
	s_sendmsg_rtn_b32 s0, sendmsg(MSG_RTN_GET_DOORBELL)
	s_mov_b32 ttmp2, m0
	s_waitcnt lgkmcnt(0)
	s_and_b32 s0, s0, 0x3ff
	s_delay_alu instid0(SALU_CYCLE_1) | instskip(NEXT) | instid1(SALU_CYCLE_1)
	s_bitset1_b32 s0, 10
	s_mov_b32 m0, s0
	s_sendmsg sendmsg(MSG_INTERRUPT)
	s_mov_b32 m0, ttmp2
.LBB321_1541:                           ; =>This Inner Loop Header: Depth=1
	s_sethalt 5
	s_branch .LBB321_1541
.LBB321_1542:
	s_mov_b32 s3, -1
.LBB321_1543:
                                        ; implicit-def: $vgpr11_vgpr12
.LBB321_1544:
	s_and_b32 vcc_lo, exec_lo, s1
	s_cbranch_vccz .LBB321_1548
; %bb.1545:
	v_cmp_eq_u16_e32 vcc_lo, 44, v15
	s_cbranch_vccz .LBB321_1547
; %bb.1546:
	global_load_u8 v1, v[13:14], off
	s_mov_b32 s3, 0
	s_mov_b32 s0, -1
	s_waitcnt vmcnt(0)
	v_cmp_ne_u32_e32 vcc_lo, 0xff, v1
	v_lshlrev_b32_e32 v11, 23, v1
	s_delay_alu instid0(VALU_DEP_1) | instskip(NEXT) | instid1(VALU_DEP_1)
	v_cvt_f64_f32_e32 v[11:12], v11
	v_cndmask_b32_e32 v12, 0x7ff80000, v12, vcc_lo
	s_delay_alu instid0(VALU_DEP_2) | instskip(SKIP_1) | instid1(VALU_DEP_3)
	v_cndmask_b32_e32 v11, 0x20000000, v11, vcc_lo
	v_cmp_ne_u32_e32 vcc_lo, 0, v1
	v_cndmask_b32_e32 v12, 0x38000000, v12, vcc_lo
	s_delay_alu instid0(VALU_DEP_3)
	v_cndmask_b32_e32 v11, 0, v11, vcc_lo
	s_branch .LBB321_1548
.LBB321_1547:
	s_mov_b32 s3, -1
                                        ; implicit-def: $vgpr11_vgpr12
.LBB321_1548:
	s_mov_b32 s1, 0
.LBB321_1549:
	s_delay_alu instid0(SALU_CYCLE_1)
	s_and_b32 vcc_lo, exec_lo, s1
	s_cbranch_vccz .LBB321_1553
; %bb.1550:
	v_cmp_eq_u16_e32 vcc_lo, 29, v15
	s_cbranch_vccz .LBB321_1552
; %bb.1551:
	global_load_b64 v[11:12], v[13:14], off
	s_mov_b32 s3, 0
	s_mov_b32 s0, -1
	s_mov_b32 s1, 0
	s_waitcnt vmcnt(0)
	v_cvt_f64_u32_e32 v[16:17], v12
	v_cvt_f64_u32_e32 v[11:12], v11
	s_delay_alu instid0(VALU_DEP_2) | instskip(NEXT) | instid1(VALU_DEP_1)
	v_ldexp_f64 v[16:17], v[16:17], 32
	v_add_f64 v[11:12], v[16:17], v[11:12]
	s_branch .LBB321_1554
.LBB321_1552:
	s_mov_b32 s3, -1
                                        ; implicit-def: $vgpr11_vgpr12
.LBB321_1553:
	s_mov_b32 s1, 0
.LBB321_1554:
	s_delay_alu instid0(SALU_CYCLE_1)
	s_and_b32 vcc_lo, exec_lo, s1
	s_cbranch_vccz .LBB321_1574
; %bb.1555:
	v_cmp_gt_i16_e32 vcc_lo, 27, v15
	s_cbranch_vccnz .LBB321_1558
; %bb.1556:
	v_cmp_lt_i16_e32 vcc_lo, 27, v15
	s_cbranch_vccz .LBB321_1559
; %bb.1557:
	global_load_b32 v1, v[13:14], off
	s_mov_b32 s0, 0
	s_waitcnt vmcnt(0)
	v_cvt_f64_u32_e32 v[11:12], v1
	s_branch .LBB321_1560
.LBB321_1558:
	s_mov_b32 s0, -1
                                        ; implicit-def: $vgpr11_vgpr12
	s_branch .LBB321_1563
.LBB321_1559:
	s_mov_b32 s0, -1
                                        ; implicit-def: $vgpr11_vgpr12
.LBB321_1560:
	s_delay_alu instid0(SALU_CYCLE_1)
	s_and_not1_b32 vcc_lo, exec_lo, s0
	s_cbranch_vccnz .LBB321_1562
; %bb.1561:
	global_load_u16 v1, v[13:14], off
	s_waitcnt vmcnt(0)
	v_cvt_f64_u32_e32 v[11:12], v1
.LBB321_1562:
	s_mov_b32 s0, 0
.LBB321_1563:
	s_delay_alu instid0(SALU_CYCLE_1)
	s_and_not1_b32 vcc_lo, exec_lo, s0
	s_cbranch_vccnz .LBB321_1573
; %bb.1564:
	global_load_u8 v1, v[13:14], off
	s_mov_b32 s7, 0
	s_mov_b32 s14, exec_lo
                                        ; implicit-def: $sgpr0_sgpr1
	s_waitcnt vmcnt(0)
	v_cmpx_lt_i16_e32 0x7f, v1
	s_xor_b32 s14, exec_lo, s14
	s_cbranch_execz .LBB321_1568
; %bb.1565:
	s_mov_b32 s15, -1
	s_mov_b32 s7, exec_lo
                                        ; implicit-def: $sgpr0_sgpr1
	v_cmpx_eq_u16_e32 0x80, v1
; %bb.1566:
	s_mov_b32 s1, 0x7ff80000
	s_brev_b32 s0, 4
	s_xor_b32 s15, exec_lo, -1
; %bb.1567:
	s_or_b32 exec_lo, exec_lo, s7
	s_delay_alu instid0(SALU_CYCLE_1)
	s_and_b32 s7, s15, exec_lo
.LBB321_1568:
	s_or_saveexec_b32 s14, s14
	v_dual_mov_b32 v12, s1 :: v_dual_mov_b32 v11, s0
	s_xor_b32 exec_lo, exec_lo, s14
; %bb.1569:
	v_cmp_ne_u16_e32 vcc_lo, 0, v1
	v_mov_b32_e32 v11, 0
	v_mov_b32_e32 v12, 0
	s_and_not1_b32 s0, s7, exec_lo
	s_and_b32 s1, vcc_lo, exec_lo
	s_delay_alu instid0(SALU_CYCLE_1)
	s_or_b32 s7, s0, s1
; %bb.1570:
	s_or_b32 exec_lo, exec_lo, s14
	s_and_saveexec_b32 s0, s7
	s_cbranch_execz .LBB321_1572
; %bb.1571:
	v_and_b32_e32 v11, 0xffff, v1
	v_lshlrev_b32_e32 v1, 24, v1
	s_delay_alu instid0(VALU_DEP_2) | instskip(NEXT) | instid1(VALU_DEP_2)
	v_and_b32_e32 v12, 7, v11
	v_and_b32_e32 v1, 0x80000000, v1
	s_delay_alu instid0(VALU_DEP_2) | instskip(NEXT) | instid1(VALU_DEP_1)
	v_clz_i32_u32_e32 v16, v12
	v_min_u32_e32 v16, 32, v16
	s_delay_alu instid0(VALU_DEP_1) | instskip(SKIP_1) | instid1(VALU_DEP_2)
	v_subrev_nc_u32_e32 v17, 28, v16
	v_sub_nc_u32_e32 v16, 29, v16
	v_lshlrev_b32_e32 v17, v17, v11
	v_bfe_u32 v11, v11, 3, 4
	s_delay_alu instid0(VALU_DEP_2) | instskip(NEXT) | instid1(VALU_DEP_2)
	v_and_b32_e32 v17, 7, v17
	v_cmp_eq_u32_e32 vcc_lo, 0, v11
	s_delay_alu instid0(VALU_DEP_2) | instskip(NEXT) | instid1(VALU_DEP_1)
	v_dual_cndmask_b32 v11, v11, v16 :: v_dual_cndmask_b32 v12, v12, v17
	v_lshl_add_u32 v11, v11, 23, 0x3b800000
	s_delay_alu instid0(VALU_DEP_2) | instskip(NEXT) | instid1(VALU_DEP_1)
	v_lshlrev_b32_e32 v12, 20, v12
	v_or3_b32 v1, v1, v11, v12
	s_delay_alu instid0(VALU_DEP_1)
	v_cvt_f64_f32_e32 v[11:12], v1
.LBB321_1572:
	s_or_b32 exec_lo, exec_lo, s0
.LBB321_1573:
	s_mov_b32 s0, -1
.LBB321_1574:
	s_mov_b32 s1, 0
.LBB321_1575:
	s_delay_alu instid0(SALU_CYCLE_1)
	s_and_b32 vcc_lo, exec_lo, s1
	s_cbranch_vccz .LBB321_1606
; %bb.1576:
	v_cmp_lt_i16_e32 vcc_lo, 22, v15
	s_cbranch_vccz .LBB321_1588
; %bb.1577:
	v_cmp_gt_i16_e32 vcc_lo, 24, v15
	s_cbranch_vccnz .LBB321_1589
; %bb.1578:
	v_cmp_lt_i16_e32 vcc_lo, 24, v15
	s_cbranch_vccz .LBB321_1590
; %bb.1579:
	global_load_u8 v1, v[13:14], off
	s_mov_b32 s7, exec_lo
                                        ; implicit-def: $sgpr0_sgpr1
	s_waitcnt vmcnt(0)
	v_cmpx_lt_i16_e32 0x7f, v1
	s_xor_b32 s7, exec_lo, s7
	s_cbranch_execz .LBB321_1583
; %bb.1580:
	s_mov_b32 s14, -1
	s_mov_b32 s6, exec_lo
                                        ; implicit-def: $sgpr0_sgpr1
	v_cmpx_eq_u16_e32 0x80, v1
; %bb.1581:
	s_mov_b32 s1, 0x7ff80000
	s_brev_b32 s0, 4
	s_xor_b32 s14, exec_lo, -1
; %bb.1582:
	s_or_b32 exec_lo, exec_lo, s6
	s_delay_alu instid0(SALU_CYCLE_1)
	s_and_b32 s6, s14, exec_lo
.LBB321_1583:
	s_or_saveexec_b32 s7, s7
	v_dual_mov_b32 v12, s1 :: v_dual_mov_b32 v11, s0
	s_xor_b32 exec_lo, exec_lo, s7
; %bb.1584:
	v_cmp_ne_u16_e32 vcc_lo, 0, v1
	v_mov_b32_e32 v11, 0
	v_mov_b32_e32 v12, 0
	s_and_not1_b32 s0, s6, exec_lo
	s_and_b32 s1, vcc_lo, exec_lo
	s_delay_alu instid0(SALU_CYCLE_1)
	s_or_b32 s6, s0, s1
; %bb.1585:
	s_or_b32 exec_lo, exec_lo, s7
	s_and_saveexec_b32 s0, s6
	s_cbranch_execz .LBB321_1587
; %bb.1586:
	v_and_b32_e32 v11, 0xffff, v1
	v_lshlrev_b32_e32 v1, 24, v1
	s_delay_alu instid0(VALU_DEP_2) | instskip(NEXT) | instid1(VALU_DEP_2)
	v_and_b32_e32 v12, 3, v11
	v_and_b32_e32 v1, 0x80000000, v1
	s_delay_alu instid0(VALU_DEP_2) | instskip(NEXT) | instid1(VALU_DEP_1)
	v_clz_i32_u32_e32 v16, v12
	v_min_u32_e32 v16, 32, v16
	s_delay_alu instid0(VALU_DEP_1) | instskip(SKIP_1) | instid1(VALU_DEP_2)
	v_subrev_nc_u32_e32 v17, 29, v16
	v_sub_nc_u32_e32 v16, 30, v16
	v_lshlrev_b32_e32 v17, v17, v11
	v_bfe_u32 v11, v11, 2, 5
	s_delay_alu instid0(VALU_DEP_2) | instskip(NEXT) | instid1(VALU_DEP_2)
	v_and_b32_e32 v17, 3, v17
	v_cmp_eq_u32_e32 vcc_lo, 0, v11
	s_delay_alu instid0(VALU_DEP_2) | instskip(NEXT) | instid1(VALU_DEP_1)
	v_dual_cndmask_b32 v11, v11, v16 :: v_dual_cndmask_b32 v12, v12, v17
	v_lshl_add_u32 v11, v11, 23, 0x37800000
	s_delay_alu instid0(VALU_DEP_2) | instskip(NEXT) | instid1(VALU_DEP_1)
	v_lshlrev_b32_e32 v12, 21, v12
	v_or3_b32 v1, v1, v11, v12
	s_delay_alu instid0(VALU_DEP_1)
	v_cvt_f64_f32_e32 v[11:12], v1
.LBB321_1587:
	s_or_b32 exec_lo, exec_lo, s0
	s_mov_b32 s0, 0
	s_branch .LBB321_1591
.LBB321_1588:
	s_mov_b32 s1, -1
                                        ; implicit-def: $vgpr11_vgpr12
	s_branch .LBB321_1597
.LBB321_1589:
	s_mov_b32 s0, -1
                                        ; implicit-def: $vgpr11_vgpr12
	s_branch .LBB321_1594
.LBB321_1590:
	s_mov_b32 s0, -1
                                        ; implicit-def: $vgpr11_vgpr12
.LBB321_1591:
	s_delay_alu instid0(SALU_CYCLE_1)
	s_and_b32 vcc_lo, exec_lo, s0
	s_cbranch_vccz .LBB321_1593
; %bb.1592:
	global_load_u8 v1, v[13:14], off
	s_waitcnt vmcnt(0)
	v_lshlrev_b32_e32 v1, 24, v1
	s_delay_alu instid0(VALU_DEP_1) | instskip(NEXT) | instid1(VALU_DEP_1)
	v_and_b32_e32 v11, 0x7f000000, v1
	v_clz_i32_u32_e32 v12, v11
	v_cmp_ne_u32_e32 vcc_lo, 0, v11
	v_add_nc_u32_e32 v17, 0x1000000, v11
	s_delay_alu instid0(VALU_DEP_3) | instskip(NEXT) | instid1(VALU_DEP_1)
	v_min_u32_e32 v12, 32, v12
	v_sub_nc_u32_e64 v12, v12, 4 clamp
	s_delay_alu instid0(VALU_DEP_1) | instskip(SKIP_1) | instid1(VALU_DEP_2)
	v_lshlrev_b32_e32 v16, v12, v11
	v_lshlrev_b32_e32 v12, 23, v12
	v_lshrrev_b32_e32 v16, 4, v16
	s_delay_alu instid0(VALU_DEP_1) | instskip(SKIP_1) | instid1(VALU_DEP_2)
	v_sub_nc_u32_e32 v12, v16, v12
	v_ashrrev_i32_e32 v16, 8, v17
	v_add_nc_u32_e32 v12, 0x3c000000, v12
	s_delay_alu instid0(VALU_DEP_1) | instskip(NEXT) | instid1(VALU_DEP_1)
	v_and_or_b32 v12, 0x7f800000, v16, v12
	v_cndmask_b32_e32 v11, 0, v12, vcc_lo
	s_delay_alu instid0(VALU_DEP_1) | instskip(NEXT) | instid1(VALU_DEP_1)
	v_and_or_b32 v1, 0x80000000, v1, v11
	v_cvt_f64_f32_e32 v[11:12], v1
.LBB321_1593:
	s_mov_b32 s0, 0
.LBB321_1594:
	s_delay_alu instid0(SALU_CYCLE_1)
	s_and_not1_b32 vcc_lo, exec_lo, s0
	s_cbranch_vccnz .LBB321_1596
; %bb.1595:
	global_load_u8 v1, v[13:14], off
	s_waitcnt vmcnt(0)
	v_lshlrev_b32_e32 v11, 25, v1
	v_lshlrev_b16 v1, 8, v1
	s_delay_alu instid0(VALU_DEP_1) | instskip(SKIP_1) | instid1(VALU_DEP_2)
	v_and_or_b32 v16, 0x7f00, v1, 0.5
	v_bfe_i32 v1, v1, 0, 16
	v_add_f32_e32 v16, -0.5, v16
	v_lshrrev_b32_e32 v12, 4, v11
	v_cmp_gt_u32_e32 vcc_lo, 0x8000000, v11
	s_delay_alu instid0(VALU_DEP_2) | instskip(NEXT) | instid1(VALU_DEP_1)
	v_or_b32_e32 v12, 0x70000000, v12
	v_mul_f32_e32 v12, 0x7800000, v12
	s_delay_alu instid0(VALU_DEP_1) | instskip(NEXT) | instid1(VALU_DEP_1)
	v_cndmask_b32_e32 v11, v12, v16, vcc_lo
	v_and_or_b32 v1, 0x80000000, v1, v11
	s_delay_alu instid0(VALU_DEP_1)
	v_cvt_f64_f32_e32 v[11:12], v1
.LBB321_1596:
	s_mov_b32 s1, 0
	s_mov_b32 s0, -1
.LBB321_1597:
	s_and_not1_b32 vcc_lo, exec_lo, s1
	s_mov_b32 s6, 0
	s_cbranch_vccnz .LBB321_1606
; %bb.1598:
	v_cmp_lt_i16_e32 vcc_lo, 14, v15
	s_cbranch_vccz .LBB321_1601
; %bb.1599:
	v_cmp_eq_u16_e32 vcc_lo, 15, v15
	s_cbranch_vccz .LBB321_1602
; %bb.1600:
	global_load_u16 v1, v[13:14], off
	s_mov_b32 s3, 0
	s_mov_b32 s0, -1
	s_waitcnt vmcnt(0)
	v_lshlrev_b32_e32 v1, 16, v1
	s_delay_alu instid0(VALU_DEP_1)
	v_cvt_f64_f32_e32 v[11:12], v1
	s_branch .LBB321_1603
.LBB321_1601:
	s_mov_b32 s1, -1
                                        ; implicit-def: $vgpr11_vgpr12
	s_branch .LBB321_1604
.LBB321_1602:
	s_mov_b32 s3, -1
                                        ; implicit-def: $vgpr11_vgpr12
.LBB321_1603:
	s_mov_b32 s1, 0
.LBB321_1604:
	s_delay_alu instid0(SALU_CYCLE_1)
	s_and_b32 vcc_lo, exec_lo, s1
	s_cbranch_vccz .LBB321_1606
; %bb.1605:
	v_cmp_ne_u16_e64 s3, 11, v15
	s_mov_b32 s6, -1
                                        ; implicit-def: $vgpr11_vgpr12
.LBB321_1606:
	s_delay_alu instid0(VALU_DEP_1)
	s_and_b32 vcc_lo, exec_lo, s3
	s_cbranch_vccnz .LBB321_1669
; %bb.1607:
	s_and_not1_b32 vcc_lo, exec_lo, s6
	s_cbranch_vccnz .LBB321_1609
.LBB321_1608:
	global_load_u8 v1, v[13:14], off
	v_mov_b32_e32 v11, 0
	s_mov_b32 s0, -1
	s_waitcnt vmcnt(0)
	v_cmp_ne_u16_e32 vcc_lo, 0, v1
	v_cndmask_b32_e64 v12, 0, 0x3ff00000, vcc_lo
.LBB321_1609:
	s_mov_b32 s1, 0
.LBB321_1610:
	s_delay_alu instid0(SALU_CYCLE_1)
	s_and_b32 vcc_lo, exec_lo, s1
	s_cbranch_vccz .LBB321_1659
; %bb.1611:
	v_cmp_gt_i16_e32 vcc_lo, 5, v15
	s_cbranch_vccnz .LBB321_1616
; %bb.1612:
	v_cmp_gt_i16_e32 vcc_lo, 8, v15
	s_cbranch_vccnz .LBB321_1617
	;; [unrolled: 3-line block ×3, first 2 shown]
; %bb.1614:
	v_cmp_lt_i16_e32 vcc_lo, 9, v15
	s_cbranch_vccz .LBB321_1619
; %bb.1615:
	global_load_b64 v[11:12], v[13:14], off
	s_mov_b32 s0, 0
	s_branch .LBB321_1620
.LBB321_1616:
	s_mov_b32 s0, -1
                                        ; implicit-def: $vgpr11_vgpr12
	s_branch .LBB321_1638
.LBB321_1617:
	s_mov_b32 s0, -1
                                        ; implicit-def: $vgpr11_vgpr12
	s_branch .LBB321_1626
.LBB321_1618:
	s_mov_b32 s0, -1
                                        ; implicit-def: $vgpr11_vgpr12
	s_branch .LBB321_1623
.LBB321_1619:
	s_mov_b32 s0, -1
                                        ; implicit-def: $vgpr11_vgpr12
.LBB321_1620:
	s_delay_alu instid0(SALU_CYCLE_1)
	s_and_not1_b32 vcc_lo, exec_lo, s0
	s_cbranch_vccnz .LBB321_1622
; %bb.1621:
	global_load_b32 v1, v[13:14], off
	s_waitcnt vmcnt(0)
	v_cvt_f64_f32_e32 v[11:12], v1
.LBB321_1622:
	s_mov_b32 s0, 0
.LBB321_1623:
	s_delay_alu instid0(SALU_CYCLE_1)
	s_and_not1_b32 vcc_lo, exec_lo, s0
	s_cbranch_vccnz .LBB321_1625
; %bb.1624:
	global_load_b32 v1, v[13:14], off
	s_waitcnt vmcnt(0)
	v_cvt_f32_f16_e32 v1, v1
	s_delay_alu instid0(VALU_DEP_1)
	v_cvt_f64_f32_e32 v[11:12], v1
.LBB321_1625:
	s_mov_b32 s0, 0
.LBB321_1626:
	s_delay_alu instid0(SALU_CYCLE_1)
	s_and_not1_b32 vcc_lo, exec_lo, s0
	s_cbranch_vccnz .LBB321_1637
; %bb.1627:
	v_cmp_gt_i16_e32 vcc_lo, 6, v15
	s_cbranch_vccnz .LBB321_1630
; %bb.1628:
	v_cmp_lt_i16_e32 vcc_lo, 6, v15
	s_cbranch_vccz .LBB321_1631
; %bb.1629:
	global_load_b64 v[11:12], v[13:14], off
	s_mov_b32 s0, 0
	s_branch .LBB321_1632
.LBB321_1630:
	s_mov_b32 s0, -1
                                        ; implicit-def: $vgpr11_vgpr12
	s_branch .LBB321_1635
.LBB321_1631:
	s_mov_b32 s0, -1
                                        ; implicit-def: $vgpr11_vgpr12
.LBB321_1632:
	s_delay_alu instid0(SALU_CYCLE_1)
	s_and_not1_b32 vcc_lo, exec_lo, s0
	s_cbranch_vccnz .LBB321_1634
; %bb.1633:
	global_load_b32 v1, v[13:14], off
	s_waitcnt vmcnt(0)
	v_cvt_f64_f32_e32 v[11:12], v1
.LBB321_1634:
	s_mov_b32 s0, 0
.LBB321_1635:
	s_delay_alu instid0(SALU_CYCLE_1)
	s_and_not1_b32 vcc_lo, exec_lo, s0
	s_cbranch_vccnz .LBB321_1637
; %bb.1636:
	global_load_u16 v1, v[13:14], off
	s_waitcnt vmcnt(0)
	v_cvt_f32_f16_e32 v1, v1
	s_delay_alu instid0(VALU_DEP_1)
	v_cvt_f64_f32_e32 v[11:12], v1
.LBB321_1637:
	s_mov_b32 s0, 0
.LBB321_1638:
	s_delay_alu instid0(SALU_CYCLE_1)
	s_and_not1_b32 vcc_lo, exec_lo, s0
	s_cbranch_vccnz .LBB321_1658
; %bb.1639:
	v_cmp_gt_i16_e32 vcc_lo, 2, v15
	s_cbranch_vccnz .LBB321_1643
; %bb.1640:
	v_cmp_gt_i16_e32 vcc_lo, 3, v15
	s_cbranch_vccnz .LBB321_1644
; %bb.1641:
	v_cmp_lt_i16_e32 vcc_lo, 3, v15
	s_cbranch_vccz .LBB321_1645
; %bb.1642:
	global_load_b64 v[11:12], v[13:14], off
	s_mov_b32 s0, 0
	s_waitcnt vmcnt(0)
	v_cvt_f64_i32_e32 v[16:17], v12
	v_cvt_f64_u32_e32 v[11:12], v11
	s_delay_alu instid0(VALU_DEP_2) | instskip(NEXT) | instid1(VALU_DEP_1)
	v_ldexp_f64 v[16:17], v[16:17], 32
	v_add_f64 v[11:12], v[16:17], v[11:12]
	s_branch .LBB321_1646
.LBB321_1643:
	s_mov_b32 s0, -1
                                        ; implicit-def: $vgpr11_vgpr12
	s_branch .LBB321_1652
.LBB321_1644:
	s_mov_b32 s0, -1
                                        ; implicit-def: $vgpr11_vgpr12
	s_branch .LBB321_1649
.LBB321_1645:
	s_mov_b32 s0, -1
                                        ; implicit-def: $vgpr11_vgpr12
.LBB321_1646:
	s_delay_alu instid0(SALU_CYCLE_1)
	s_and_not1_b32 vcc_lo, exec_lo, s0
	s_cbranch_vccnz .LBB321_1648
; %bb.1647:
	global_load_b32 v1, v[13:14], off
	s_waitcnt vmcnt(0)
	v_cvt_f64_i32_e32 v[11:12], v1
.LBB321_1648:
	s_mov_b32 s0, 0
.LBB321_1649:
	s_delay_alu instid0(SALU_CYCLE_1)
	s_and_not1_b32 vcc_lo, exec_lo, s0
	s_cbranch_vccnz .LBB321_1651
; %bb.1650:
	global_load_i16 v1, v[13:14], off
	s_waitcnt vmcnt(0)
	v_cvt_f64_i32_e32 v[11:12], v1
.LBB321_1651:
	s_mov_b32 s0, 0
.LBB321_1652:
	s_delay_alu instid0(SALU_CYCLE_1)
	s_and_not1_b32 vcc_lo, exec_lo, s0
	s_cbranch_vccnz .LBB321_1658
; %bb.1653:
	v_cmp_lt_i16_e32 vcc_lo, 0, v15
	s_mov_b32 s0, 0
	s_cbranch_vccz .LBB321_1655
; %bb.1654:
	global_load_i8 v1, v[13:14], off
	s_waitcnt vmcnt(0)
	v_cvt_f64_i32_e32 v[11:12], v1
	s_branch .LBB321_1656
.LBB321_1655:
	s_mov_b32 s0, -1
                                        ; implicit-def: $vgpr11_vgpr12
.LBB321_1656:
	s_delay_alu instid0(SALU_CYCLE_1)
	s_and_not1_b32 vcc_lo, exec_lo, s0
	s_cbranch_vccnz .LBB321_1658
; %bb.1657:
	global_load_u8 v1, v[13:14], off
	s_waitcnt vmcnt(0)
	v_cvt_f64_u32_e32 v[11:12], v1
.LBB321_1658:
	s_mov_b32 s0, -1
.LBB321_1659:
	s_delay_alu instid0(SALU_CYCLE_1)
	s_and_not1_b32 vcc_lo, exec_lo, s0
	s_cbranch_vccnz .LBB321_2049
; %bb.1660:
	v_max_f64 v[13:14], s[8:9], s[8:9]
	v_max_f64 v[17:18], v[2:3], v[2:3]
	;; [unrolled: 1-line block ×3, first 2 shown]
	v_cmp_u_f64_e32 vcc_lo, v[2:3], v[2:3]
	s_load_b32 s0, s[20:21], 0x168
	s_mov_b32 s6, 0
	s_waitcnt lgkmcnt(0)
	s_and_b32 s3, s0, 0xff
	s_delay_alu instid0(SALU_CYCLE_1) | instskip(NEXT) | instid1(VALU_DEP_4)
	v_cmp_lt_i16_e64 s0, s3, 11
	v_max_f64 v[17:18], v[17:18], v[13:14]
	s_delay_alu instid0(VALU_DEP_1) | instskip(SKIP_1) | instid1(VALU_DEP_1)
	v_min_f64 v[19:20], v[17:18], v[15:16]
	v_add_co_u32 v17, s1, s4, v0
	v_add_co_ci_u32_e64 v18, null, s5, 0, s1
	s_delay_alu instid0(VALU_DEP_3)
	v_dual_cndmask_b32 v1, v20, v3 :: v_dual_cndmask_b32 v0, v19, v2
	s_and_b32 vcc_lo, exec_lo, s0
	s_mov_b32 s0, -1
	s_cbranch_vccnz .LBB321_1743
; %bb.1661:
	v_cmp_gt_i16_e64 s0, s3, 25
	s_mov_b32 s7, -1
	s_mov_b32 s1, 0
	s_delay_alu instid0(VALU_DEP_1)
	s_and_b32 vcc_lo, exec_lo, s0
	s_mov_b32 s0, 0
	s_cbranch_vccz .LBB321_1699
; %bb.1662:
	v_cmp_gt_i16_e64 s0, s3, 28
	s_delay_alu instid0(VALU_DEP_1)
	s_and_b32 vcc_lo, exec_lo, s0
	s_cbranch_vccz .LBB321_1667
; %bb.1663:
	v_cmp_gt_i16_e64 s0, s3, 43
	s_delay_alu instid0(VALU_DEP_1)
	s_and_b32 vcc_lo, exec_lo, s0
	;; [unrolled: 5-line block ×3, first 2 shown]
	s_cbranch_vccz .LBB321_1671
; %bb.1665:
	v_cmp_eq_u16_e64 s6, s3, 46
	s_mov_b32 s0, -1
	s_mov_b32 s7, 0
	s_delay_alu instid0(VALU_DEP_1)
	s_and_b32 vcc_lo, exec_lo, s6
	s_mov_b32 s6, 0
	s_cbranch_vccz .LBB321_1672
; %bb.1666:
	v_cvt_f32_f64_e32 v2, v[0:1]
	s_mov_b32 s0, 0
	s_mov_b32 s6, -1
	s_delay_alu instid0(VALU_DEP_1) | instskip(SKIP_1) | instid1(VALU_DEP_2)
	v_bfe_u32 v3, v2, 16, 1
	v_cmp_o_f32_e32 vcc_lo, v2, v2
	v_add3_u32 v3, v2, v3, 0x7fff
	s_delay_alu instid0(VALU_DEP_1) | instskip(NEXT) | instid1(VALU_DEP_1)
	v_lshrrev_b32_e32 v3, 16, v3
	v_cndmask_b32_e32 v2, 0x7fc0, v3, vcc_lo
	global_store_b32 v[17:18], v2, off
	s_branch .LBB321_1672
.LBB321_1667:
	s_mov_b32 s0, 0
	s_branch .LBB321_1682
.LBB321_1668:
	s_mov_b32 s0, 0
	s_branch .LBB321_1678
.LBB321_1669:
	s_cbranch_execnz .LBB321_1794
; %bb.1670:
	s_or_b32 s2, s2, exec_lo
                                        ; implicit-def: $vgpr11_vgpr12
	s_cbranch_execz .LBB321_1608
	s_branch .LBB321_1609
.LBB321_1671:
	s_mov_b32 s0, 0
.LBB321_1672:
	s_and_b32 vcc_lo, exec_lo, s7
	s_cbranch_vccz .LBB321_1677
; %bb.1673:
	v_cmp_eq_u16_e64 s0, s3, 44
	s_delay_alu instid0(VALU_DEP_1)
	s_and_b32 vcc_lo, exec_lo, s0
	s_mov_b32 s0, -1
	s_cbranch_vccz .LBB321_1677
; %bb.1674:
	v_cvt_f32_f64_e32 v2, v[0:1]
	v_mov_b32_e32 v3, 0xff
	s_mov_b32 s6, exec_lo
	s_delay_alu instid0(VALU_DEP_2) | instskip(NEXT) | instid1(VALU_DEP_1)
	v_bfe_u32 v19, v2, 23, 8
	v_cmpx_ne_u32_e32 0xff, v19
; %bb.1675:
	v_and_b32_e32 v3, 0x400000, v2
	v_and_or_b32 v19, 0x3fffff, v2, v19
	v_lshrrev_b32_e32 v2, 23, v2
	s_delay_alu instid0(VALU_DEP_3) | instskip(NEXT) | instid1(VALU_DEP_3)
	v_cmp_ne_u32_e32 vcc_lo, 0, v3
	v_cmp_ne_u32_e64 s0, 0, v19
	s_delay_alu instid0(VALU_DEP_1) | instskip(NEXT) | instid1(SALU_CYCLE_1)
	s_and_b32 s0, vcc_lo, s0
	v_cndmask_b32_e64 v3, 0, 1, s0
	s_delay_alu instid0(VALU_DEP_1)
	v_add_nc_u32_e32 v3, v2, v3
; %bb.1676:
	s_or_b32 exec_lo, exec_lo, s6
	s_mov_b32 s0, 0
	s_mov_b32 s6, -1
	global_store_b8 v[17:18], v3, off
.LBB321_1677:
	s_mov_b32 s7, 0
.LBB321_1678:
	s_delay_alu instid0(SALU_CYCLE_1)
	s_and_b32 vcc_lo, exec_lo, s7
	s_cbranch_vccz .LBB321_1681
; %bb.1679:
	v_cmp_eq_u16_e64 s0, s3, 29
	s_delay_alu instid0(VALU_DEP_1)
	s_and_b32 vcc_lo, exec_lo, s0
	s_mov_b32 s0, -1
	s_cbranch_vccz .LBB321_1681
; %bb.1680:
	v_trunc_f64_e32 v[2:3], v[0:1]
	s_mov_b32 s0, 0
	s_mov_b32 s6, -1
	s_mov_b32 s7, 0
	s_delay_alu instid0(VALU_DEP_1) | instskip(NEXT) | instid1(VALU_DEP_1)
	v_ldexp_f64 v[19:20], v[2:3], 0xffffffe0
	v_floor_f64_e32 v[19:20], v[19:20]
	s_delay_alu instid0(VALU_DEP_1) | instskip(SKIP_1) | instid1(VALU_DEP_2)
	v_fma_f64 v[2:3], 0xc1f00000, v[19:20], v[2:3]
	v_cvt_u32_f64_e32 v20, v[19:20]
	v_cvt_u32_f64_e32 v19, v[2:3]
	global_store_b64 v[17:18], v[19:20], off
	s_branch .LBB321_1682
.LBB321_1681:
	s_mov_b32 s7, 0
.LBB321_1682:
	s_delay_alu instid0(SALU_CYCLE_1)
	s_and_b32 vcc_lo, exec_lo, s7
	s_cbranch_vccz .LBB321_1698
; %bb.1683:
	v_cmp_lt_i16_e64 s6, s3, 27
	s_delay_alu instid0(VALU_DEP_1)
	s_and_b32 vcc_lo, exec_lo, s6
	s_mov_b32 s6, -1
	s_cbranch_vccnz .LBB321_1689
; %bb.1684:
	v_cvt_u32_f64_e32 v2, v[0:1]
	v_cmp_gt_i16_e64 s6, s3, 27
	s_delay_alu instid0(VALU_DEP_1)
	s_and_b32 vcc_lo, exec_lo, s6
	s_mov_b32 s6, -1
	s_cbranch_vccz .LBB321_1686
; %bb.1685:
	s_mov_b32 s6, 0
	global_store_b32 v[17:18], v2, off
.LBB321_1686:
	s_and_not1_b32 vcc_lo, exec_lo, s6
	s_cbranch_vccnz .LBB321_1688
; %bb.1687:
	global_store_b16 v[17:18], v2, off
.LBB321_1688:
	s_mov_b32 s6, 0
.LBB321_1689:
	s_delay_alu instid0(SALU_CYCLE_1)
	s_and_not1_b32 vcc_lo, exec_lo, s6
	s_cbranch_vccnz .LBB321_1697
; %bb.1690:
	v_cvt_f32_f64_e32 v2, v[0:1]
	v_mov_b32_e32 v19, 0x80
	s_mov_b32 s6, exec_lo
	s_delay_alu instid0(VALU_DEP_2) | instskip(NEXT) | instid1(VALU_DEP_1)
	v_and_b32_e32 v3, 0x7fffffff, v2
	v_cmpx_gt_u32_e32 0x43800000, v3
	s_cbranch_execz .LBB321_1696
; %bb.1691:
	v_cmp_lt_u32_e32 vcc_lo, 0x3bffffff, v3
	s_mov_b32 s7, 0
                                        ; implicit-def: $vgpr3
	s_and_saveexec_b32 s8, vcc_lo
	s_delay_alu instid0(SALU_CYCLE_1)
	s_xor_b32 s8, exec_lo, s8
	s_cbranch_execz .LBB321_1791
; %bb.1692:
	v_bfe_u32 v3, v2, 20, 1
	s_mov_b32 s7, exec_lo
	s_delay_alu instid0(VALU_DEP_1) | instskip(NEXT) | instid1(VALU_DEP_1)
	v_add3_u32 v3, v2, v3, 0x487ffff
	v_lshrrev_b32_e32 v3, 20, v3
	s_or_saveexec_b32 s8, s8
                                        ; implicit-def: $sgpr9
	s_delay_alu instid0(SALU_CYCLE_1)
	s_xor_b32 exec_lo, exec_lo, s8
	s_cbranch_execnz .LBB321_1792
.LBB321_1693:
	s_or_b32 exec_lo, exec_lo, s8
	v_mov_b32_e32 v19, s9
	s_and_saveexec_b32 s8, s7
.LBB321_1694:
	v_lshrrev_b32_e32 v2, 24, v2
	s_delay_alu instid0(VALU_DEP_1)
	v_and_or_b32 v19, 0x80, v2, v3
.LBB321_1695:
	s_or_b32 exec_lo, exec_lo, s8
.LBB321_1696:
	s_delay_alu instid0(SALU_CYCLE_1)
	s_or_b32 exec_lo, exec_lo, s6
	global_store_b8 v[17:18], v19, off
.LBB321_1697:
	s_mov_b32 s6, -1
.LBB321_1698:
	s_mov_b32 s7, 0
.LBB321_1699:
	s_delay_alu instid0(SALU_CYCLE_1)
	s_and_b32 vcc_lo, exec_lo, s7
	s_cbranch_vccz .LBB321_1739
; %bb.1700:
	v_cmp_gt_i16_e64 s1, s3, 22
	s_delay_alu instid0(VALU_DEP_1)
	s_and_b32 vcc_lo, exec_lo, s1
	s_mov_b32 s1, -1
	s_cbranch_vccz .LBB321_1732
; %bb.1701:
	v_cmp_lt_i16_e64 s1, s3, 24
	s_delay_alu instid0(VALU_DEP_1)
	s_and_b32 vcc_lo, exec_lo, s1
	s_mov_b32 s1, -1
	s_cbranch_vccnz .LBB321_1721
; %bb.1702:
	v_cmp_gt_i16_e64 s1, s3, 24
	s_delay_alu instid0(VALU_DEP_1)
	s_and_b32 vcc_lo, exec_lo, s1
	s_mov_b32 s1, -1
	s_cbranch_vccz .LBB321_1710
; %bb.1703:
	v_cvt_f32_f64_e32 v2, v[0:1]
	v_mov_b32_e32 v19, 0x80
	s_mov_b32 s1, exec_lo
	s_delay_alu instid0(VALU_DEP_2) | instskip(NEXT) | instid1(VALU_DEP_1)
	v_and_b32_e32 v3, 0x7fffffff, v2
	v_cmpx_gt_u32_e32 0x47800000, v3
	s_cbranch_execz .LBB321_1709
; %bb.1704:
	v_cmp_lt_u32_e32 vcc_lo, 0x37ffffff, v3
	s_mov_b32 s6, 0
                                        ; implicit-def: $vgpr3
	s_and_saveexec_b32 s7, vcc_lo
	s_delay_alu instid0(SALU_CYCLE_1)
	s_xor_b32 s7, exec_lo, s7
	s_cbranch_execz .LBB321_1798
; %bb.1705:
	v_bfe_u32 v3, v2, 21, 1
	s_mov_b32 s6, exec_lo
	s_delay_alu instid0(VALU_DEP_1) | instskip(NEXT) | instid1(VALU_DEP_1)
	v_add3_u32 v3, v2, v3, 0x88fffff
	v_lshrrev_b32_e32 v3, 21, v3
	s_or_saveexec_b32 s7, s7
                                        ; implicit-def: $sgpr8
	s_delay_alu instid0(SALU_CYCLE_1)
	s_xor_b32 exec_lo, exec_lo, s7
	s_cbranch_execnz .LBB321_1799
.LBB321_1706:
	s_or_b32 exec_lo, exec_lo, s7
	v_mov_b32_e32 v19, s8
	s_and_saveexec_b32 s7, s6
.LBB321_1707:
	v_lshrrev_b32_e32 v2, 24, v2
	s_delay_alu instid0(VALU_DEP_1)
	v_and_or_b32 v19, 0x80, v2, v3
.LBB321_1708:
	s_or_b32 exec_lo, exec_lo, s7
.LBB321_1709:
	s_delay_alu instid0(SALU_CYCLE_1)
	s_or_b32 exec_lo, exec_lo, s1
	s_mov_b32 s1, 0
	global_store_b8 v[17:18], v19, off
.LBB321_1710:
	s_and_b32 vcc_lo, exec_lo, s1
	s_cbranch_vccz .LBB321_1720
; %bb.1711:
	v_cvt_f32_f64_e32 v2, v[0:1]
	s_mov_b32 s1, exec_lo
                                        ; implicit-def: $vgpr3
	s_delay_alu instid0(VALU_DEP_1) | instskip(NEXT) | instid1(VALU_DEP_1)
	v_and_b32_e32 v19, 0x7fffffff, v2
	v_cmpx_gt_u32_e32 0x43f00000, v19
	s_xor_b32 s1, exec_lo, s1
	s_cbranch_execz .LBB321_1717
; %bb.1712:
	s_mov_b32 s6, exec_lo
                                        ; implicit-def: $vgpr3
	v_cmpx_lt_u32_e32 0x3c7fffff, v19
	s_xor_b32 s6, exec_lo, s6
; %bb.1713:
	v_bfe_u32 v3, v2, 20, 1
	s_delay_alu instid0(VALU_DEP_1) | instskip(NEXT) | instid1(VALU_DEP_1)
	v_add3_u32 v3, v2, v3, 0x407ffff
	v_and_b32_e32 v19, 0xff00000, v3
	v_lshrrev_b32_e32 v3, 20, v3
	s_delay_alu instid0(VALU_DEP_2) | instskip(NEXT) | instid1(VALU_DEP_2)
	v_cmp_ne_u32_e32 vcc_lo, 0x7f00000, v19
	v_cndmask_b32_e32 v3, 0x7e, v3, vcc_lo
; %bb.1714:
	s_and_not1_saveexec_b32 s6, s6
; %bb.1715:
	v_add_f32_e64 v3, 0x46800000, |v2|
; %bb.1716:
	s_or_b32 exec_lo, exec_lo, s6
                                        ; implicit-def: $vgpr19
.LBB321_1717:
	s_and_not1_saveexec_b32 s1, s1
; %bb.1718:
	v_mov_b32_e32 v3, 0x7f
	v_cmp_lt_u32_e32 vcc_lo, 0x7f800000, v19
	s_delay_alu instid0(VALU_DEP_2)
	v_cndmask_b32_e32 v3, 0x7e, v3, vcc_lo
; %bb.1719:
	s_or_b32 exec_lo, exec_lo, s1
	v_lshrrev_b32_e32 v2, 24, v2
	s_delay_alu instid0(VALU_DEP_1)
	v_and_or_b32 v2, 0x80, v2, v3
	global_store_b8 v[17:18], v2, off
.LBB321_1720:
	s_mov_b32 s1, 0
.LBB321_1721:
	s_delay_alu instid0(SALU_CYCLE_1)
	s_and_not1_b32 vcc_lo, exec_lo, s1
	s_cbranch_vccnz .LBB321_1731
; %bb.1722:
	v_cvt_f32_f64_e32 v2, v[0:1]
	s_mov_b32 s1, exec_lo
                                        ; implicit-def: $vgpr3
	s_delay_alu instid0(VALU_DEP_1) | instskip(NEXT) | instid1(VALU_DEP_1)
	v_and_b32_e32 v19, 0x7fffffff, v2
	v_cmpx_gt_u32_e32 0x47800000, v19
	s_xor_b32 s1, exec_lo, s1
	s_cbranch_execz .LBB321_1728
; %bb.1723:
	s_mov_b32 s6, exec_lo
                                        ; implicit-def: $vgpr3
	v_cmpx_lt_u32_e32 0x387fffff, v19
	s_xor_b32 s6, exec_lo, s6
; %bb.1724:
	v_bfe_u32 v3, v2, 21, 1
	s_delay_alu instid0(VALU_DEP_1) | instskip(NEXT) | instid1(VALU_DEP_1)
	v_add3_u32 v3, v2, v3, 0x80fffff
	v_lshrrev_b32_e32 v3, 21, v3
; %bb.1725:
	s_and_not1_saveexec_b32 s6, s6
; %bb.1726:
	v_add_f32_e64 v3, 0x43000000, |v2|
; %bb.1727:
	s_or_b32 exec_lo, exec_lo, s6
                                        ; implicit-def: $vgpr19
.LBB321_1728:
	s_and_not1_saveexec_b32 s1, s1
; %bb.1729:
	v_mov_b32_e32 v3, 0x7f
	v_cmp_lt_u32_e32 vcc_lo, 0x7f800000, v19
	s_delay_alu instid0(VALU_DEP_2)
	v_cndmask_b32_e32 v3, 0x7c, v3, vcc_lo
; %bb.1730:
	s_or_b32 exec_lo, exec_lo, s1
	v_lshrrev_b32_e32 v2, 24, v2
	s_delay_alu instid0(VALU_DEP_1)
	v_and_or_b32 v2, 0x80, v2, v3
	global_store_b8 v[17:18], v2, off
.LBB321_1731:
	s_mov_b32 s1, 0
	s_mov_b32 s6, -1
.LBB321_1732:
	s_and_not1_b32 vcc_lo, exec_lo, s1
	s_mov_b32 s1, 0
	s_cbranch_vccnz .LBB321_1739
; %bb.1733:
	v_cmp_gt_i16_e64 s1, s3, 14
	s_delay_alu instid0(VALU_DEP_1)
	s_and_b32 vcc_lo, exec_lo, s1
	s_mov_b32 s1, -1
	s_cbranch_vccz .LBB321_1737
; %bb.1734:
	v_cmp_eq_u16_e64 s0, s3, 15
	s_delay_alu instid0(VALU_DEP_1)
	s_and_b32 vcc_lo, exec_lo, s0
	s_mov_b32 s0, -1
	s_cbranch_vccz .LBB321_1736
; %bb.1735:
	v_cvt_f32_f64_e32 v2, v[0:1]
	s_mov_b32 s0, 0
	s_mov_b32 s6, -1
	s_delay_alu instid0(VALU_DEP_1) | instskip(SKIP_1) | instid1(VALU_DEP_2)
	v_bfe_u32 v3, v2, 16, 1
	v_cmp_o_f32_e32 vcc_lo, v2, v2
	v_add3_u32 v3, v2, v3, 0x7fff
	s_delay_alu instid0(VALU_DEP_1) | instskip(NEXT) | instid1(VALU_DEP_1)
	v_lshrrev_b32_e32 v3, 16, v3
	v_cndmask_b32_e32 v2, 0x7fc0, v3, vcc_lo
	global_store_b16 v[17:18], v2, off
.LBB321_1736:
	s_mov_b32 s1, 0
.LBB321_1737:
	s_delay_alu instid0(SALU_CYCLE_1)
	s_and_b32 vcc_lo, exec_lo, s1
	s_mov_b32 s1, 0
	s_cbranch_vccz .LBB321_1739
; %bb.1738:
	v_cmp_ne_u16_e64 s0, s3, 11
	s_mov_b32 s1, -1
.LBB321_1739:
	s_delay_alu instid0(VALU_DEP_1)
	s_and_b32 vcc_lo, exec_lo, s0
	s_cbranch_vccnz .LBB321_1796
; %bb.1740:
	s_and_not1_b32 vcc_lo, exec_lo, s1
	s_cbranch_vccnz .LBB321_1742
.LBB321_1741:
	v_cmp_neq_f64_e32 vcc_lo, 0, v[0:1]
	s_mov_b32 s6, -1
	v_cndmask_b32_e64 v2, 0, 1, vcc_lo
	global_store_b8 v[17:18], v2, off
.LBB321_1742:
	s_mov_b32 s0, 0
.LBB321_1743:
	s_delay_alu instid0(SALU_CYCLE_1)
	s_and_b32 vcc_lo, exec_lo, s0
	s_cbranch_vccz .LBB321_1782
; %bb.1744:
	v_cmp_lt_i16_e64 s0, s3, 5
	s_delay_alu instid0(VALU_DEP_1)
	s_and_b32 vcc_lo, exec_lo, s0
	s_mov_b32 s0, -1
	s_cbranch_vccnz .LBB321_1765
; %bb.1745:
	v_cmp_lt_i16_e64 s0, s3, 8
	s_delay_alu instid0(VALU_DEP_1)
	s_and_b32 vcc_lo, exec_lo, s0
	s_mov_b32 s0, -1
	s_cbranch_vccnz .LBB321_1755
; %bb.1746:
	v_cmp_lt_i16_e64 s0, s3, 9
	s_delay_alu instid0(VALU_DEP_1)
	s_and_b32 vcc_lo, exec_lo, s0
	s_mov_b32 s0, -1
	s_cbranch_vccnz .LBB321_1752
; %bb.1747:
	v_cmp_gt_i16_e64 s0, s3, 9
	s_delay_alu instid0(VALU_DEP_1)
	s_and_b32 vcc_lo, exec_lo, s0
	s_mov_b32 s0, -1
	s_cbranch_vccz .LBB321_1749
; %bb.1748:
	v_mov_b32_e32 v2, 0
	s_mov_b32 s0, 0
	s_delay_alu instid0(VALU_DEP_1)
	v_mov_b32_e32 v3, v2
	global_store_b128 v[17:18], v[0:3], off
.LBB321_1749:
	s_and_not1_b32 vcc_lo, exec_lo, s0
	s_cbranch_vccnz .LBB321_1751
; %bb.1750:
	v_cvt_f32_f64_e32 v2, v[0:1]
	v_mov_b32_e32 v3, 0
	global_store_b64 v[17:18], v[2:3], off
.LBB321_1751:
	s_mov_b32 s0, 0
.LBB321_1752:
	s_delay_alu instid0(SALU_CYCLE_1)
	s_and_not1_b32 vcc_lo, exec_lo, s0
	s_cbranch_vccnz .LBB321_1754
; %bb.1753:
	v_cvt_f32_f64_e32 v2, v[0:1]
	s_delay_alu instid0(VALU_DEP_1) | instskip(NEXT) | instid1(VALU_DEP_1)
	v_cvt_f16_f32_e32 v2, v2
	v_and_b32_e32 v2, 0xffff, v2
	global_store_b32 v[17:18], v2, off
.LBB321_1754:
	s_mov_b32 s0, 0
.LBB321_1755:
	s_delay_alu instid0(SALU_CYCLE_1)
	s_and_not1_b32 vcc_lo, exec_lo, s0
	s_cbranch_vccnz .LBB321_1764
; %bb.1756:
	v_cmp_lt_i16_e64 s0, s3, 6
	s_delay_alu instid0(VALU_DEP_1)
	s_and_b32 vcc_lo, exec_lo, s0
	s_mov_b32 s0, -1
	s_cbranch_vccnz .LBB321_1762
; %bb.1757:
	v_cmp_gt_i16_e64 s0, s3, 6
	s_delay_alu instid0(VALU_DEP_1)
	s_and_b32 vcc_lo, exec_lo, s0
	s_mov_b32 s0, -1
	s_cbranch_vccz .LBB321_1759
; %bb.1758:
	s_mov_b32 s0, 0
	global_store_b64 v[17:18], v[0:1], off
.LBB321_1759:
	s_and_not1_b32 vcc_lo, exec_lo, s0
	s_cbranch_vccnz .LBB321_1761
; %bb.1760:
	v_cvt_f32_f64_e32 v2, v[0:1]
	global_store_b32 v[17:18], v2, off
.LBB321_1761:
	s_mov_b32 s0, 0
.LBB321_1762:
	s_delay_alu instid0(SALU_CYCLE_1)
	s_and_not1_b32 vcc_lo, exec_lo, s0
	s_cbranch_vccnz .LBB321_1764
; %bb.1763:
	v_cvt_f32_f64_e32 v2, v[0:1]
	s_delay_alu instid0(VALU_DEP_1)
	v_cvt_f16_f32_e32 v2, v2
	global_store_b16 v[17:18], v2, off
.LBB321_1764:
	s_mov_b32 s0, 0
.LBB321_1765:
	s_delay_alu instid0(SALU_CYCLE_1)
	s_and_not1_b32 vcc_lo, exec_lo, s0
	s_cbranch_vccnz .LBB321_1781
; %bb.1766:
	v_cmp_lt_i16_e64 s0, s3, 2
	s_delay_alu instid0(VALU_DEP_1)
	s_and_b32 vcc_lo, exec_lo, s0
	s_mov_b32 s0, -1
	s_cbranch_vccnz .LBB321_1776
; %bb.1767:
	v_cmp_lt_i16_e64 s0, s3, 3
	s_delay_alu instid0(VALU_DEP_1)
	s_and_b32 vcc_lo, exec_lo, s0
	s_mov_b32 s0, -1
	s_cbranch_vccnz .LBB321_1773
; %bb.1768:
	v_cmp_gt_i16_e64 s0, s3, 3
	s_delay_alu instid0(VALU_DEP_1)
	s_and_b32 vcc_lo, exec_lo, s0
	s_mov_b32 s0, -1
	s_cbranch_vccz .LBB321_1770
; %bb.1769:
	v_trunc_f64_e32 v[2:3], v[0:1]
	s_mov_b32 s0, 0
	s_delay_alu instid0(VALU_DEP_1) | instskip(NEXT) | instid1(VALU_DEP_1)
	v_ldexp_f64 v[19:20], v[2:3], 0xffffffe0
	v_floor_f64_e32 v[19:20], v[19:20]
	s_delay_alu instid0(VALU_DEP_1) | instskip(SKIP_1) | instid1(VALU_DEP_2)
	v_fma_f64 v[2:3], 0xc1f00000, v[19:20], v[2:3]
	v_cvt_i32_f64_e32 v20, v[19:20]
	v_cvt_u32_f64_e32 v19, v[2:3]
	global_store_b64 v[17:18], v[19:20], off
.LBB321_1770:
	s_and_not1_b32 vcc_lo, exec_lo, s0
	s_cbranch_vccnz .LBB321_1772
; %bb.1771:
	v_cvt_i32_f64_e32 v2, v[0:1]
	global_store_b32 v[17:18], v2, off
.LBB321_1772:
	s_mov_b32 s0, 0
.LBB321_1773:
	s_delay_alu instid0(SALU_CYCLE_1)
	s_and_not1_b32 vcc_lo, exec_lo, s0
	s_cbranch_vccnz .LBB321_1775
; %bb.1774:
	v_cvt_i32_f64_e32 v2, v[0:1]
	global_store_b16 v[17:18], v2, off
.LBB321_1775:
	s_mov_b32 s0, 0
.LBB321_1776:
	s_delay_alu instid0(SALU_CYCLE_1)
	s_and_not1_b32 vcc_lo, exec_lo, s0
	s_cbranch_vccnz .LBB321_1781
; %bb.1777:
	v_cmp_gt_i16_e64 s0, s3, 0
	s_delay_alu instid0(VALU_DEP_1)
	s_and_b32 vcc_lo, exec_lo, s0
	s_mov_b32 s0, -1
	s_cbranch_vccz .LBB321_1779
; %bb.1778:
	v_cvt_i32_f64_e32 v2, v[0:1]
	s_mov_b32 s0, 0
	global_store_b8 v[17:18], v2, off
.LBB321_1779:
	s_and_not1_b32 vcc_lo, exec_lo, s0
	s_cbranch_vccnz .LBB321_1781
; %bb.1780:
	v_trunc_f64_e32 v[0:1], v[0:1]
	s_delay_alu instid0(VALU_DEP_1) | instskip(NEXT) | instid1(VALU_DEP_1)
	v_ldexp_f64 v[2:3], v[0:1], 0xffffffe0
	v_floor_f64_e32 v[2:3], v[2:3]
	s_delay_alu instid0(VALU_DEP_1) | instskip(NEXT) | instid1(VALU_DEP_1)
	v_fma_f64 v[0:1], 0xc1f00000, v[2:3], v[0:1]
	v_cvt_u32_f64_e32 v0, v[0:1]
	global_store_b8 v[17:18], v0, off
.LBB321_1781:
	s_mov_b32 s6, -1
.LBB321_1782:
	s_delay_alu instid0(SALU_CYCLE_1)
	s_and_not1_b32 vcc_lo, exec_lo, s6
	s_cbranch_vccnz .LBB321_2049
; %bb.1783:
	s_waitcnt vmcnt(0)
	v_max_f64 v[0:1], v[7:8], v[7:8]
	v_cmp_u_f64_e32 vcc_lo, v[7:8], v[7:8]
	v_cmp_lt_i16_e64 s0, s3, 11
	v_add_co_u32 v17, s1, s4, v6
	s_delay_alu instid0(VALU_DEP_1) | instskip(SKIP_2) | instid1(VALU_DEP_1)
	v_add_co_ci_u32_e64 v18, null, s5, 0, s1
	s_mov_b32 s6, 0
	v_max_f64 v[0:1], v[0:1], v[13:14]
	v_min_f64 v[0:1], v[0:1], v[15:16]
	s_delay_alu instid0(VALU_DEP_1)
	v_dual_cndmask_b32 v1, v1, v8 :: v_dual_cndmask_b32 v0, v0, v7
	s_and_b32 vcc_lo, exec_lo, s0
	s_mov_b32 s0, -1
	s_cbranch_vccnz .LBB321_1872
; %bb.1784:
	v_cmp_gt_i16_e64 s0, s3, 25
	s_mov_b32 s7, -1
	s_mov_b32 s1, 0
	s_delay_alu instid0(VALU_DEP_1)
	s_and_b32 vcc_lo, exec_lo, s0
	s_mov_b32 s0, 0
	s_cbranch_vccz .LBB321_1828
; %bb.1785:
	v_cmp_gt_i16_e64 s0, s3, 28
	s_delay_alu instid0(VALU_DEP_1)
	s_and_b32 vcc_lo, exec_lo, s0
	s_cbranch_vccz .LBB321_1790
; %bb.1786:
	v_cmp_gt_i16_e64 s0, s3, 43
	s_delay_alu instid0(VALU_DEP_1)
	s_and_b32 vcc_lo, exec_lo, s0
	;; [unrolled: 5-line block ×3, first 2 shown]
	s_cbranch_vccz .LBB321_1800
; %bb.1788:
	v_cmp_eq_u16_e64 s6, s3, 46
	s_mov_b32 s0, -1
	s_mov_b32 s7, 0
	s_delay_alu instid0(VALU_DEP_1)
	s_and_b32 vcc_lo, exec_lo, s6
	s_mov_b32 s6, 0
	s_cbranch_vccz .LBB321_1801
; %bb.1789:
	v_cvt_f32_f64_e32 v2, v[0:1]
	s_mov_b32 s0, 0
	s_mov_b32 s6, -1
	s_delay_alu instid0(VALU_DEP_1) | instskip(SKIP_1) | instid1(VALU_DEP_2)
	v_bfe_u32 v3, v2, 16, 1
	v_cmp_o_f32_e32 vcc_lo, v2, v2
	v_add3_u32 v3, v2, v3, 0x7fff
	s_delay_alu instid0(VALU_DEP_1) | instskip(NEXT) | instid1(VALU_DEP_1)
	v_lshrrev_b32_e32 v3, 16, v3
	v_cndmask_b32_e32 v2, 0x7fc0, v3, vcc_lo
	global_store_b32 v[17:18], v2, off
	s_branch .LBB321_1801
.LBB321_1790:
	s_mov_b32 s0, 0
	s_branch .LBB321_1811
.LBB321_1791:
	s_or_saveexec_b32 s8, s8
                                        ; implicit-def: $sgpr9
	s_delay_alu instid0(SALU_CYCLE_1)
	s_xor_b32 exec_lo, exec_lo, s8
	s_cbranch_execz .LBB321_1693
.LBB321_1792:
	v_add_f32_e64 v3, 0x46000000, |v2|
	s_and_not1_b32 s7, s7, exec_lo
	s_mov_b32 s9, 0
	s_delay_alu instid0(VALU_DEP_1) | instskip(NEXT) | instid1(VALU_DEP_1)
	v_and_b32_e32 v3, 0xff, v3
	v_cmp_ne_u32_e32 vcc_lo, 0, v3
	s_and_b32 s10, vcc_lo, exec_lo
	s_delay_alu instid0(SALU_CYCLE_1)
	s_or_b32 s7, s7, s10
	s_or_b32 exec_lo, exec_lo, s8
	v_mov_b32_e32 v19, s9
	s_and_saveexec_b32 s8, s7
	s_cbranch_execnz .LBB321_1694
	s_branch .LBB321_1695
.LBB321_1793:
	s_mov_b32 s0, 0
	s_branch .LBB321_1807
.LBB321_1794:
	s_trap 2
	s_sendmsg_rtn_b32 s0, sendmsg(MSG_RTN_GET_DOORBELL)
	s_mov_b32 ttmp2, m0
	s_waitcnt lgkmcnt(0)
	s_and_b32 s0, s0, 0x3ff
	s_delay_alu instid0(SALU_CYCLE_1) | instskip(NEXT) | instid1(SALU_CYCLE_1)
	s_bitset1_b32 s0, 10
	s_mov_b32 m0, s0
	s_sendmsg sendmsg(MSG_INTERRUPT)
	s_mov_b32 m0, ttmp2
.LBB321_1795:                           ; =>This Inner Loop Header: Depth=1
	s_sethalt 5
	s_branch .LBB321_1795
.LBB321_1796:
	s_cbranch_execnz .LBB321_1923
; %bb.1797:
	s_or_b32 s2, s2, exec_lo
	s_cbranch_execz .LBB321_1741
	s_branch .LBB321_1742
.LBB321_1798:
	s_or_saveexec_b32 s7, s7
                                        ; implicit-def: $sgpr8
	s_delay_alu instid0(SALU_CYCLE_1)
	s_xor_b32 exec_lo, exec_lo, s7
	s_cbranch_execz .LBB321_1706
.LBB321_1799:
	v_add_f32_e64 v3, 0x42800000, |v2|
	s_and_not1_b32 s6, s6, exec_lo
	s_mov_b32 s8, 0
	s_delay_alu instid0(VALU_DEP_1) | instskip(NEXT) | instid1(VALU_DEP_1)
	v_and_b32_e32 v3, 0xff, v3
	v_cmp_ne_u32_e32 vcc_lo, 0, v3
	s_and_b32 s9, vcc_lo, exec_lo
	s_delay_alu instid0(SALU_CYCLE_1)
	s_or_b32 s6, s6, s9
	s_or_b32 exec_lo, exec_lo, s7
	v_mov_b32_e32 v19, s8
	s_and_saveexec_b32 s7, s6
	s_cbranch_execnz .LBB321_1707
	s_branch .LBB321_1708
.LBB321_1800:
	s_mov_b32 s0, 0
.LBB321_1801:
	s_and_b32 vcc_lo, exec_lo, s7
	s_cbranch_vccz .LBB321_1806
; %bb.1802:
	v_cmp_eq_u16_e64 s0, s3, 44
	s_delay_alu instid0(VALU_DEP_1)
	s_and_b32 vcc_lo, exec_lo, s0
	s_mov_b32 s0, -1
	s_cbranch_vccz .LBB321_1806
; %bb.1803:
	v_cvt_f32_f64_e32 v2, v[0:1]
	v_mov_b32_e32 v3, 0xff
	s_mov_b32 s6, exec_lo
	s_delay_alu instid0(VALU_DEP_2) | instskip(NEXT) | instid1(VALU_DEP_1)
	v_bfe_u32 v6, v2, 23, 8
	v_cmpx_ne_u32_e32 0xff, v6
; %bb.1804:
	v_and_b32_e32 v3, 0x400000, v2
	v_and_or_b32 v6, 0x3fffff, v2, v6
	v_lshrrev_b32_e32 v2, 23, v2
	s_delay_alu instid0(VALU_DEP_3) | instskip(NEXT) | instid1(VALU_DEP_3)
	v_cmp_ne_u32_e32 vcc_lo, 0, v3
	v_cmp_ne_u32_e64 s0, 0, v6
	s_delay_alu instid0(VALU_DEP_1) | instskip(NEXT) | instid1(SALU_CYCLE_1)
	s_and_b32 s0, vcc_lo, s0
	v_cndmask_b32_e64 v3, 0, 1, s0
	s_delay_alu instid0(VALU_DEP_1)
	v_add_nc_u32_e32 v3, v2, v3
; %bb.1805:
	s_or_b32 exec_lo, exec_lo, s6
	s_mov_b32 s0, 0
	s_mov_b32 s6, -1
	global_store_b8 v[17:18], v3, off
.LBB321_1806:
	s_mov_b32 s7, 0
.LBB321_1807:
	s_delay_alu instid0(SALU_CYCLE_1)
	s_and_b32 vcc_lo, exec_lo, s7
	s_cbranch_vccz .LBB321_1810
; %bb.1808:
	v_cmp_eq_u16_e64 s0, s3, 29
	s_delay_alu instid0(VALU_DEP_1)
	s_and_b32 vcc_lo, exec_lo, s0
	s_mov_b32 s0, -1
	s_cbranch_vccz .LBB321_1810
; %bb.1809:
	v_trunc_f64_e32 v[2:3], v[0:1]
	s_mov_b32 s0, 0
	s_mov_b32 s6, -1
	s_mov_b32 s7, 0
	s_delay_alu instid0(VALU_DEP_1) | instskip(NEXT) | instid1(VALU_DEP_1)
	v_ldexp_f64 v[6:7], v[2:3], 0xffffffe0
	v_floor_f64_e32 v[6:7], v[6:7]
	s_delay_alu instid0(VALU_DEP_1) | instskip(SKIP_1) | instid1(VALU_DEP_2)
	v_fma_f64 v[2:3], 0xc1f00000, v[6:7], v[2:3]
	v_cvt_u32_f64_e32 v7, v[6:7]
	v_cvt_u32_f64_e32 v6, v[2:3]
	global_store_b64 v[17:18], v[6:7], off
	s_branch .LBB321_1811
.LBB321_1810:
	s_mov_b32 s7, 0
.LBB321_1811:
	s_delay_alu instid0(SALU_CYCLE_1)
	s_and_b32 vcc_lo, exec_lo, s7
	s_cbranch_vccz .LBB321_1827
; %bb.1812:
	v_cmp_lt_i16_e64 s6, s3, 27
	s_delay_alu instid0(VALU_DEP_1)
	s_and_b32 vcc_lo, exec_lo, s6
	s_mov_b32 s6, -1
	s_cbranch_vccnz .LBB321_1818
; %bb.1813:
	v_cvt_u32_f64_e32 v2, v[0:1]
	v_cmp_gt_i16_e64 s6, s3, 27
	s_delay_alu instid0(VALU_DEP_1)
	s_and_b32 vcc_lo, exec_lo, s6
	s_mov_b32 s6, -1
	s_cbranch_vccz .LBB321_1815
; %bb.1814:
	s_mov_b32 s6, 0
	global_store_b32 v[17:18], v2, off
.LBB321_1815:
	s_and_not1_b32 vcc_lo, exec_lo, s6
	s_cbranch_vccnz .LBB321_1817
; %bb.1816:
	global_store_b16 v[17:18], v2, off
.LBB321_1817:
	s_mov_b32 s6, 0
.LBB321_1818:
	s_delay_alu instid0(SALU_CYCLE_1)
	s_and_not1_b32 vcc_lo, exec_lo, s6
	s_cbranch_vccnz .LBB321_1826
; %bb.1819:
	v_cvt_f32_f64_e32 v2, v[0:1]
	v_mov_b32_e32 v6, 0x80
	s_mov_b32 s6, exec_lo
	s_delay_alu instid0(VALU_DEP_2) | instskip(NEXT) | instid1(VALU_DEP_1)
	v_and_b32_e32 v3, 0x7fffffff, v2
	v_cmpx_gt_u32_e32 0x43800000, v3
	s_cbranch_execz .LBB321_1825
; %bb.1820:
	v_cmp_lt_u32_e32 vcc_lo, 0x3bffffff, v3
	s_mov_b32 s7, 0
                                        ; implicit-def: $vgpr3
	s_and_saveexec_b32 s8, vcc_lo
	s_delay_alu instid0(SALU_CYCLE_1)
	s_xor_b32 s8, exec_lo, s8
	s_cbranch_execz .LBB321_1920
; %bb.1821:
	v_bfe_u32 v3, v2, 20, 1
	s_mov_b32 s7, exec_lo
	s_delay_alu instid0(VALU_DEP_1) | instskip(NEXT) | instid1(VALU_DEP_1)
	v_add3_u32 v3, v2, v3, 0x487ffff
	v_lshrrev_b32_e32 v3, 20, v3
	s_or_saveexec_b32 s8, s8
                                        ; implicit-def: $sgpr9
	s_delay_alu instid0(SALU_CYCLE_1)
	s_xor_b32 exec_lo, exec_lo, s8
	s_cbranch_execnz .LBB321_1921
.LBB321_1822:
	s_or_b32 exec_lo, exec_lo, s8
	v_mov_b32_e32 v6, s9
	s_and_saveexec_b32 s8, s7
.LBB321_1823:
	v_lshrrev_b32_e32 v2, 24, v2
	s_delay_alu instid0(VALU_DEP_1)
	v_and_or_b32 v6, 0x80, v2, v3
.LBB321_1824:
	s_or_b32 exec_lo, exec_lo, s8
.LBB321_1825:
	s_delay_alu instid0(SALU_CYCLE_1)
	s_or_b32 exec_lo, exec_lo, s6
	global_store_b8 v[17:18], v6, off
.LBB321_1826:
	s_mov_b32 s6, -1
.LBB321_1827:
	s_mov_b32 s7, 0
.LBB321_1828:
	s_delay_alu instid0(SALU_CYCLE_1)
	s_and_b32 vcc_lo, exec_lo, s7
	s_cbranch_vccz .LBB321_1868
; %bb.1829:
	v_cmp_gt_i16_e64 s1, s3, 22
	s_delay_alu instid0(VALU_DEP_1)
	s_and_b32 vcc_lo, exec_lo, s1
	s_mov_b32 s1, -1
	s_cbranch_vccz .LBB321_1861
; %bb.1830:
	v_cmp_lt_i16_e64 s1, s3, 24
	s_delay_alu instid0(VALU_DEP_1)
	s_and_b32 vcc_lo, exec_lo, s1
	s_mov_b32 s1, -1
	s_cbranch_vccnz .LBB321_1850
; %bb.1831:
	v_cmp_gt_i16_e64 s1, s3, 24
	s_delay_alu instid0(VALU_DEP_1)
	s_and_b32 vcc_lo, exec_lo, s1
	s_mov_b32 s1, -1
	s_cbranch_vccz .LBB321_1839
; %bb.1832:
	v_cvt_f32_f64_e32 v2, v[0:1]
	v_mov_b32_e32 v6, 0x80
	s_mov_b32 s1, exec_lo
	s_delay_alu instid0(VALU_DEP_2) | instskip(NEXT) | instid1(VALU_DEP_1)
	v_and_b32_e32 v3, 0x7fffffff, v2
	v_cmpx_gt_u32_e32 0x47800000, v3
	s_cbranch_execz .LBB321_1838
; %bb.1833:
	v_cmp_lt_u32_e32 vcc_lo, 0x37ffffff, v3
	s_mov_b32 s6, 0
                                        ; implicit-def: $vgpr3
	s_and_saveexec_b32 s7, vcc_lo
	s_delay_alu instid0(SALU_CYCLE_1)
	s_xor_b32 s7, exec_lo, s7
	s_cbranch_execz .LBB321_1927
; %bb.1834:
	v_bfe_u32 v3, v2, 21, 1
	s_mov_b32 s6, exec_lo
	s_delay_alu instid0(VALU_DEP_1) | instskip(NEXT) | instid1(VALU_DEP_1)
	v_add3_u32 v3, v2, v3, 0x88fffff
	v_lshrrev_b32_e32 v3, 21, v3
	s_or_saveexec_b32 s7, s7
                                        ; implicit-def: $sgpr8
	s_delay_alu instid0(SALU_CYCLE_1)
	s_xor_b32 exec_lo, exec_lo, s7
	s_cbranch_execnz .LBB321_1928
.LBB321_1835:
	s_or_b32 exec_lo, exec_lo, s7
	v_mov_b32_e32 v6, s8
	s_and_saveexec_b32 s7, s6
.LBB321_1836:
	v_lshrrev_b32_e32 v2, 24, v2
	s_delay_alu instid0(VALU_DEP_1)
	v_and_or_b32 v6, 0x80, v2, v3
.LBB321_1837:
	s_or_b32 exec_lo, exec_lo, s7
.LBB321_1838:
	s_delay_alu instid0(SALU_CYCLE_1)
	s_or_b32 exec_lo, exec_lo, s1
	s_mov_b32 s1, 0
	global_store_b8 v[17:18], v6, off
.LBB321_1839:
	s_and_b32 vcc_lo, exec_lo, s1
	s_cbranch_vccz .LBB321_1849
; %bb.1840:
	v_cvt_f32_f64_e32 v2, v[0:1]
	s_mov_b32 s1, exec_lo
                                        ; implicit-def: $vgpr3
	s_delay_alu instid0(VALU_DEP_1) | instskip(NEXT) | instid1(VALU_DEP_1)
	v_and_b32_e32 v6, 0x7fffffff, v2
	v_cmpx_gt_u32_e32 0x43f00000, v6
	s_xor_b32 s1, exec_lo, s1
	s_cbranch_execz .LBB321_1846
; %bb.1841:
	s_mov_b32 s6, exec_lo
                                        ; implicit-def: $vgpr3
	v_cmpx_lt_u32_e32 0x3c7fffff, v6
	s_xor_b32 s6, exec_lo, s6
; %bb.1842:
	v_bfe_u32 v3, v2, 20, 1
	s_delay_alu instid0(VALU_DEP_1) | instskip(NEXT) | instid1(VALU_DEP_1)
	v_add3_u32 v3, v2, v3, 0x407ffff
	v_and_b32_e32 v6, 0xff00000, v3
	v_lshrrev_b32_e32 v3, 20, v3
	s_delay_alu instid0(VALU_DEP_2) | instskip(NEXT) | instid1(VALU_DEP_2)
	v_cmp_ne_u32_e32 vcc_lo, 0x7f00000, v6
	v_cndmask_b32_e32 v3, 0x7e, v3, vcc_lo
; %bb.1843:
	s_and_not1_saveexec_b32 s6, s6
; %bb.1844:
	v_add_f32_e64 v3, 0x46800000, |v2|
; %bb.1845:
	s_or_b32 exec_lo, exec_lo, s6
                                        ; implicit-def: $vgpr6
.LBB321_1846:
	s_and_not1_saveexec_b32 s1, s1
; %bb.1847:
	v_mov_b32_e32 v3, 0x7f
	v_cmp_lt_u32_e32 vcc_lo, 0x7f800000, v6
	s_delay_alu instid0(VALU_DEP_2)
	v_cndmask_b32_e32 v3, 0x7e, v3, vcc_lo
; %bb.1848:
	s_or_b32 exec_lo, exec_lo, s1
	v_lshrrev_b32_e32 v2, 24, v2
	s_delay_alu instid0(VALU_DEP_1)
	v_and_or_b32 v2, 0x80, v2, v3
	global_store_b8 v[17:18], v2, off
.LBB321_1849:
	s_mov_b32 s1, 0
.LBB321_1850:
	s_delay_alu instid0(SALU_CYCLE_1)
	s_and_not1_b32 vcc_lo, exec_lo, s1
	s_cbranch_vccnz .LBB321_1860
; %bb.1851:
	v_cvt_f32_f64_e32 v2, v[0:1]
	s_mov_b32 s1, exec_lo
                                        ; implicit-def: $vgpr3
	s_delay_alu instid0(VALU_DEP_1) | instskip(NEXT) | instid1(VALU_DEP_1)
	v_and_b32_e32 v6, 0x7fffffff, v2
	v_cmpx_gt_u32_e32 0x47800000, v6
	s_xor_b32 s1, exec_lo, s1
	s_cbranch_execz .LBB321_1857
; %bb.1852:
	s_mov_b32 s6, exec_lo
                                        ; implicit-def: $vgpr3
	v_cmpx_lt_u32_e32 0x387fffff, v6
	s_xor_b32 s6, exec_lo, s6
; %bb.1853:
	v_bfe_u32 v3, v2, 21, 1
	s_delay_alu instid0(VALU_DEP_1) | instskip(NEXT) | instid1(VALU_DEP_1)
	v_add3_u32 v3, v2, v3, 0x80fffff
	v_lshrrev_b32_e32 v3, 21, v3
; %bb.1854:
	s_and_not1_saveexec_b32 s6, s6
; %bb.1855:
	v_add_f32_e64 v3, 0x43000000, |v2|
; %bb.1856:
	s_or_b32 exec_lo, exec_lo, s6
                                        ; implicit-def: $vgpr6
.LBB321_1857:
	s_and_not1_saveexec_b32 s1, s1
; %bb.1858:
	v_mov_b32_e32 v3, 0x7f
	v_cmp_lt_u32_e32 vcc_lo, 0x7f800000, v6
	s_delay_alu instid0(VALU_DEP_2)
	v_cndmask_b32_e32 v3, 0x7c, v3, vcc_lo
; %bb.1859:
	s_or_b32 exec_lo, exec_lo, s1
	v_lshrrev_b32_e32 v2, 24, v2
	s_delay_alu instid0(VALU_DEP_1)
	v_and_or_b32 v2, 0x80, v2, v3
	global_store_b8 v[17:18], v2, off
.LBB321_1860:
	s_mov_b32 s1, 0
	s_mov_b32 s6, -1
.LBB321_1861:
	s_and_not1_b32 vcc_lo, exec_lo, s1
	s_mov_b32 s1, 0
	s_cbranch_vccnz .LBB321_1868
; %bb.1862:
	v_cmp_gt_i16_e64 s1, s3, 14
	s_delay_alu instid0(VALU_DEP_1)
	s_and_b32 vcc_lo, exec_lo, s1
	s_mov_b32 s1, -1
	s_cbranch_vccz .LBB321_1866
; %bb.1863:
	v_cmp_eq_u16_e64 s0, s3, 15
	s_delay_alu instid0(VALU_DEP_1)
	s_and_b32 vcc_lo, exec_lo, s0
	s_mov_b32 s0, -1
	s_cbranch_vccz .LBB321_1865
; %bb.1864:
	v_cvt_f32_f64_e32 v2, v[0:1]
	s_mov_b32 s0, 0
	s_mov_b32 s6, -1
	s_delay_alu instid0(VALU_DEP_1) | instskip(SKIP_1) | instid1(VALU_DEP_2)
	v_bfe_u32 v3, v2, 16, 1
	v_cmp_o_f32_e32 vcc_lo, v2, v2
	v_add3_u32 v3, v2, v3, 0x7fff
	s_delay_alu instid0(VALU_DEP_1) | instskip(NEXT) | instid1(VALU_DEP_1)
	v_lshrrev_b32_e32 v3, 16, v3
	v_cndmask_b32_e32 v2, 0x7fc0, v3, vcc_lo
	global_store_b16 v[17:18], v2, off
.LBB321_1865:
	s_mov_b32 s1, 0
.LBB321_1866:
	s_delay_alu instid0(SALU_CYCLE_1)
	s_and_b32 vcc_lo, exec_lo, s1
	s_mov_b32 s1, 0
	s_cbranch_vccz .LBB321_1868
; %bb.1867:
	v_cmp_ne_u16_e64 s0, s3, 11
	s_mov_b32 s1, -1
.LBB321_1868:
	s_delay_alu instid0(VALU_DEP_1)
	s_and_b32 vcc_lo, exec_lo, s0
	s_cbranch_vccnz .LBB321_1925
; %bb.1869:
	s_and_not1_b32 vcc_lo, exec_lo, s1
	s_cbranch_vccnz .LBB321_1871
.LBB321_1870:
	v_cmp_neq_f64_e32 vcc_lo, 0, v[0:1]
	s_mov_b32 s6, -1
	v_cndmask_b32_e64 v2, 0, 1, vcc_lo
	global_store_b8 v[17:18], v2, off
.LBB321_1871:
	s_mov_b32 s0, 0
.LBB321_1872:
	s_delay_alu instid0(SALU_CYCLE_1)
	s_and_b32 vcc_lo, exec_lo, s0
	s_cbranch_vccz .LBB321_1911
; %bb.1873:
	v_cmp_lt_i16_e64 s0, s3, 5
	s_delay_alu instid0(VALU_DEP_1)
	s_and_b32 vcc_lo, exec_lo, s0
	s_mov_b32 s0, -1
	s_cbranch_vccnz .LBB321_1894
; %bb.1874:
	v_cmp_lt_i16_e64 s0, s3, 8
	s_delay_alu instid0(VALU_DEP_1)
	s_and_b32 vcc_lo, exec_lo, s0
	s_mov_b32 s0, -1
	s_cbranch_vccnz .LBB321_1884
	;; [unrolled: 6-line block ×3, first 2 shown]
; %bb.1876:
	v_cmp_gt_i16_e64 s0, s3, 9
	s_delay_alu instid0(VALU_DEP_1)
	s_and_b32 vcc_lo, exec_lo, s0
	s_mov_b32 s0, -1
	s_cbranch_vccz .LBB321_1878
; %bb.1877:
	v_mov_b32_e32 v2, 0
	s_mov_b32 s0, 0
	s_delay_alu instid0(VALU_DEP_1)
	v_mov_b32_e32 v3, v2
	global_store_b128 v[17:18], v[0:3], off
.LBB321_1878:
	s_and_not1_b32 vcc_lo, exec_lo, s0
	s_cbranch_vccnz .LBB321_1880
; %bb.1879:
	v_cvt_f32_f64_e32 v2, v[0:1]
	v_mov_b32_e32 v3, 0
	global_store_b64 v[17:18], v[2:3], off
.LBB321_1880:
	s_mov_b32 s0, 0
.LBB321_1881:
	s_delay_alu instid0(SALU_CYCLE_1)
	s_and_not1_b32 vcc_lo, exec_lo, s0
	s_cbranch_vccnz .LBB321_1883
; %bb.1882:
	v_cvt_f32_f64_e32 v2, v[0:1]
	s_delay_alu instid0(VALU_DEP_1) | instskip(NEXT) | instid1(VALU_DEP_1)
	v_cvt_f16_f32_e32 v2, v2
	v_and_b32_e32 v2, 0xffff, v2
	global_store_b32 v[17:18], v2, off
.LBB321_1883:
	s_mov_b32 s0, 0
.LBB321_1884:
	s_delay_alu instid0(SALU_CYCLE_1)
	s_and_not1_b32 vcc_lo, exec_lo, s0
	s_cbranch_vccnz .LBB321_1893
; %bb.1885:
	v_cmp_lt_i16_e64 s0, s3, 6
	s_delay_alu instid0(VALU_DEP_1)
	s_and_b32 vcc_lo, exec_lo, s0
	s_mov_b32 s0, -1
	s_cbranch_vccnz .LBB321_1891
; %bb.1886:
	v_cmp_gt_i16_e64 s0, s3, 6
	s_delay_alu instid0(VALU_DEP_1)
	s_and_b32 vcc_lo, exec_lo, s0
	s_mov_b32 s0, -1
	s_cbranch_vccz .LBB321_1888
; %bb.1887:
	s_mov_b32 s0, 0
	global_store_b64 v[17:18], v[0:1], off
.LBB321_1888:
	s_and_not1_b32 vcc_lo, exec_lo, s0
	s_cbranch_vccnz .LBB321_1890
; %bb.1889:
	v_cvt_f32_f64_e32 v2, v[0:1]
	global_store_b32 v[17:18], v2, off
.LBB321_1890:
	s_mov_b32 s0, 0
.LBB321_1891:
	s_delay_alu instid0(SALU_CYCLE_1)
	s_and_not1_b32 vcc_lo, exec_lo, s0
	s_cbranch_vccnz .LBB321_1893
; %bb.1892:
	v_cvt_f32_f64_e32 v2, v[0:1]
	s_delay_alu instid0(VALU_DEP_1)
	v_cvt_f16_f32_e32 v2, v2
	global_store_b16 v[17:18], v2, off
.LBB321_1893:
	s_mov_b32 s0, 0
.LBB321_1894:
	s_delay_alu instid0(SALU_CYCLE_1)
	s_and_not1_b32 vcc_lo, exec_lo, s0
	s_cbranch_vccnz .LBB321_1910
; %bb.1895:
	v_cmp_lt_i16_e64 s0, s3, 2
	s_delay_alu instid0(VALU_DEP_1)
	s_and_b32 vcc_lo, exec_lo, s0
	s_mov_b32 s0, -1
	s_cbranch_vccnz .LBB321_1905
; %bb.1896:
	v_cmp_lt_i16_e64 s0, s3, 3
	s_delay_alu instid0(VALU_DEP_1)
	s_and_b32 vcc_lo, exec_lo, s0
	s_mov_b32 s0, -1
	s_cbranch_vccnz .LBB321_1902
; %bb.1897:
	v_cmp_gt_i16_e64 s0, s3, 3
	s_delay_alu instid0(VALU_DEP_1)
	s_and_b32 vcc_lo, exec_lo, s0
	s_mov_b32 s0, -1
	s_cbranch_vccz .LBB321_1899
; %bb.1898:
	v_trunc_f64_e32 v[2:3], v[0:1]
	s_mov_b32 s0, 0
	s_delay_alu instid0(VALU_DEP_1) | instskip(NEXT) | instid1(VALU_DEP_1)
	v_ldexp_f64 v[6:7], v[2:3], 0xffffffe0
	v_floor_f64_e32 v[6:7], v[6:7]
	s_delay_alu instid0(VALU_DEP_1) | instskip(SKIP_1) | instid1(VALU_DEP_2)
	v_fma_f64 v[2:3], 0xc1f00000, v[6:7], v[2:3]
	v_cvt_i32_f64_e32 v7, v[6:7]
	v_cvt_u32_f64_e32 v6, v[2:3]
	global_store_b64 v[17:18], v[6:7], off
.LBB321_1899:
	s_and_not1_b32 vcc_lo, exec_lo, s0
	s_cbranch_vccnz .LBB321_1901
; %bb.1900:
	v_cvt_i32_f64_e32 v2, v[0:1]
	global_store_b32 v[17:18], v2, off
.LBB321_1901:
	s_mov_b32 s0, 0
.LBB321_1902:
	s_delay_alu instid0(SALU_CYCLE_1)
	s_and_not1_b32 vcc_lo, exec_lo, s0
	s_cbranch_vccnz .LBB321_1904
; %bb.1903:
	v_cvt_i32_f64_e32 v2, v[0:1]
	global_store_b16 v[17:18], v2, off
.LBB321_1904:
	s_mov_b32 s0, 0
.LBB321_1905:
	s_delay_alu instid0(SALU_CYCLE_1)
	s_and_not1_b32 vcc_lo, exec_lo, s0
	s_cbranch_vccnz .LBB321_1910
; %bb.1906:
	v_cmp_gt_i16_e64 s0, s3, 0
	s_delay_alu instid0(VALU_DEP_1)
	s_and_b32 vcc_lo, exec_lo, s0
	s_mov_b32 s0, -1
	s_cbranch_vccz .LBB321_1908
; %bb.1907:
	v_cvt_i32_f64_e32 v2, v[0:1]
	s_mov_b32 s0, 0
	global_store_b8 v[17:18], v2, off
.LBB321_1908:
	s_and_not1_b32 vcc_lo, exec_lo, s0
	s_cbranch_vccnz .LBB321_1910
; %bb.1909:
	v_trunc_f64_e32 v[0:1], v[0:1]
	s_delay_alu instid0(VALU_DEP_1) | instskip(NEXT) | instid1(VALU_DEP_1)
	v_ldexp_f64 v[2:3], v[0:1], 0xffffffe0
	v_floor_f64_e32 v[2:3], v[2:3]
	s_delay_alu instid0(VALU_DEP_1) | instskip(NEXT) | instid1(VALU_DEP_1)
	v_fma_f64 v[0:1], 0xc1f00000, v[2:3], v[0:1]
	v_cvt_u32_f64_e32 v0, v[0:1]
	global_store_b8 v[17:18], v0, off
.LBB321_1910:
	s_mov_b32 s6, -1
.LBB321_1911:
	s_delay_alu instid0(SALU_CYCLE_1)
	s_and_not1_b32 vcc_lo, exec_lo, s6
	s_cbranch_vccnz .LBB321_2049
; %bb.1912:
	v_max_f64 v[0:1], v[9:10], v[9:10]
	v_cmp_u_f64_e32 vcc_lo, v[9:10], v[9:10]
	v_cmp_lt_i16_e64 s0, s3, 11
	v_add_co_u32 v5, s1, s4, v5
	s_delay_alu instid0(VALU_DEP_1) | instskip(SKIP_2) | instid1(VALU_DEP_1)
	v_add_co_ci_u32_e64 v6, null, s5, 0, s1
	s_mov_b32 s6, 0
	v_max_f64 v[0:1], v[0:1], v[13:14]
	v_min_f64 v[0:1], v[0:1], v[15:16]
	s_delay_alu instid0(VALU_DEP_1)
	v_dual_cndmask_b32 v1, v1, v10 :: v_dual_cndmask_b32 v0, v0, v9
	s_and_b32 vcc_lo, exec_lo, s0
	s_mov_b32 s0, -1
	s_cbranch_vccnz .LBB321_2001
; %bb.1913:
	v_cmp_gt_i16_e64 s0, s3, 25
	s_mov_b32 s7, -1
	s_mov_b32 s1, 0
	s_delay_alu instid0(VALU_DEP_1)
	s_and_b32 vcc_lo, exec_lo, s0
	s_mov_b32 s0, 0
	s_cbranch_vccz .LBB321_1957
; %bb.1914:
	v_cmp_gt_i16_e64 s0, s3, 28
	s_delay_alu instid0(VALU_DEP_1)
	s_and_b32 vcc_lo, exec_lo, s0
	s_cbranch_vccz .LBB321_1919
; %bb.1915:
	v_cmp_gt_i16_e64 s0, s3, 43
	s_delay_alu instid0(VALU_DEP_1)
	s_and_b32 vcc_lo, exec_lo, s0
	s_cbranch_vccz .LBB321_1922
; %bb.1916:
	v_cmp_gt_i16_e64 s0, s3, 45
	s_delay_alu instid0(VALU_DEP_1)
	s_and_b32 vcc_lo, exec_lo, s0
	s_cbranch_vccz .LBB321_1929
; %bb.1917:
	v_cmp_eq_u16_e64 s6, s3, 46
	s_mov_b32 s0, -1
	s_mov_b32 s7, 0
	s_delay_alu instid0(VALU_DEP_1)
	s_and_b32 vcc_lo, exec_lo, s6
	s_mov_b32 s6, 0
	s_cbranch_vccz .LBB321_1930
; %bb.1918:
	v_cvt_f32_f64_e32 v2, v[0:1]
	s_mov_b32 s0, 0
	s_mov_b32 s6, -1
	s_delay_alu instid0(VALU_DEP_1) | instskip(SKIP_1) | instid1(VALU_DEP_2)
	v_bfe_u32 v3, v2, 16, 1
	v_cmp_o_f32_e32 vcc_lo, v2, v2
	v_add3_u32 v3, v2, v3, 0x7fff
	s_delay_alu instid0(VALU_DEP_1) | instskip(NEXT) | instid1(VALU_DEP_1)
	v_lshrrev_b32_e32 v3, 16, v3
	v_cndmask_b32_e32 v2, 0x7fc0, v3, vcc_lo
	global_store_b32 v[5:6], v2, off
	s_branch .LBB321_1930
.LBB321_1919:
	s_mov_b32 s0, 0
	s_branch .LBB321_1940
.LBB321_1920:
	s_or_saveexec_b32 s8, s8
                                        ; implicit-def: $sgpr9
	s_delay_alu instid0(SALU_CYCLE_1)
	s_xor_b32 exec_lo, exec_lo, s8
	s_cbranch_execz .LBB321_1822
.LBB321_1921:
	v_add_f32_e64 v3, 0x46000000, |v2|
	s_and_not1_b32 s7, s7, exec_lo
	s_mov_b32 s9, 0
	s_delay_alu instid0(VALU_DEP_1) | instskip(NEXT) | instid1(VALU_DEP_1)
	v_and_b32_e32 v3, 0xff, v3
	v_cmp_ne_u32_e32 vcc_lo, 0, v3
	s_and_b32 s10, vcc_lo, exec_lo
	s_delay_alu instid0(SALU_CYCLE_1)
	s_or_b32 s7, s7, s10
	s_or_b32 exec_lo, exec_lo, s8
	v_mov_b32_e32 v6, s9
	s_and_saveexec_b32 s8, s7
	s_cbranch_execnz .LBB321_1823
	s_branch .LBB321_1824
.LBB321_1922:
	s_mov_b32 s0, 0
	s_branch .LBB321_1936
.LBB321_1923:
	s_trap 2
	s_sendmsg_rtn_b32 s0, sendmsg(MSG_RTN_GET_DOORBELL)
	s_mov_b32 ttmp2, m0
	s_waitcnt lgkmcnt(0)
	s_and_b32 s0, s0, 0x3ff
	s_delay_alu instid0(SALU_CYCLE_1) | instskip(NEXT) | instid1(SALU_CYCLE_1)
	s_bitset1_b32 s0, 10
	s_mov_b32 m0, s0
	s_sendmsg sendmsg(MSG_INTERRUPT)
	s_mov_b32 m0, ttmp2
.LBB321_1924:                           ; =>This Inner Loop Header: Depth=1
	s_sethalt 5
	s_branch .LBB321_1924
.LBB321_1925:
	s_cbranch_execnz .LBB321_2098
; %bb.1926:
	s_or_b32 s2, s2, exec_lo
	s_cbranch_execz .LBB321_1870
	s_branch .LBB321_1871
.LBB321_1927:
	s_or_saveexec_b32 s7, s7
                                        ; implicit-def: $sgpr8
	s_delay_alu instid0(SALU_CYCLE_1)
	s_xor_b32 exec_lo, exec_lo, s7
	s_cbranch_execz .LBB321_1835
.LBB321_1928:
	v_add_f32_e64 v3, 0x42800000, |v2|
	s_and_not1_b32 s6, s6, exec_lo
	s_mov_b32 s8, 0
	s_delay_alu instid0(VALU_DEP_1) | instskip(NEXT) | instid1(VALU_DEP_1)
	v_and_b32_e32 v3, 0xff, v3
	v_cmp_ne_u32_e32 vcc_lo, 0, v3
	s_and_b32 s9, vcc_lo, exec_lo
	s_delay_alu instid0(SALU_CYCLE_1)
	s_or_b32 s6, s6, s9
	s_or_b32 exec_lo, exec_lo, s7
	v_mov_b32_e32 v6, s8
	s_and_saveexec_b32 s7, s6
	s_cbranch_execnz .LBB321_1836
	s_branch .LBB321_1837
.LBB321_1929:
	s_mov_b32 s0, 0
.LBB321_1930:
	s_and_b32 vcc_lo, exec_lo, s7
	s_cbranch_vccz .LBB321_1935
; %bb.1931:
	v_cmp_eq_u16_e64 s0, s3, 44
	s_delay_alu instid0(VALU_DEP_1)
	s_and_b32 vcc_lo, exec_lo, s0
	s_mov_b32 s0, -1
	s_cbranch_vccz .LBB321_1935
; %bb.1932:
	v_cvt_f32_f64_e32 v2, v[0:1]
	v_mov_b32_e32 v3, 0xff
	s_mov_b32 s6, exec_lo
	s_delay_alu instid0(VALU_DEP_2) | instskip(NEXT) | instid1(VALU_DEP_1)
	v_bfe_u32 v7, v2, 23, 8
	v_cmpx_ne_u32_e32 0xff, v7
; %bb.1933:
	v_and_b32_e32 v3, 0x400000, v2
	v_and_or_b32 v7, 0x3fffff, v2, v7
	v_lshrrev_b32_e32 v2, 23, v2
	s_delay_alu instid0(VALU_DEP_3) | instskip(NEXT) | instid1(VALU_DEP_3)
	v_cmp_ne_u32_e32 vcc_lo, 0, v3
	v_cmp_ne_u32_e64 s0, 0, v7
	s_delay_alu instid0(VALU_DEP_1) | instskip(NEXT) | instid1(SALU_CYCLE_1)
	s_and_b32 s0, vcc_lo, s0
	v_cndmask_b32_e64 v3, 0, 1, s0
	s_delay_alu instid0(VALU_DEP_1)
	v_add_nc_u32_e32 v3, v2, v3
; %bb.1934:
	s_or_b32 exec_lo, exec_lo, s6
	s_mov_b32 s0, 0
	s_mov_b32 s6, -1
	global_store_b8 v[5:6], v3, off
.LBB321_1935:
	s_mov_b32 s7, 0
.LBB321_1936:
	s_delay_alu instid0(SALU_CYCLE_1)
	s_and_b32 vcc_lo, exec_lo, s7
	s_cbranch_vccz .LBB321_1939
; %bb.1937:
	v_cmp_eq_u16_e64 s0, s3, 29
	s_delay_alu instid0(VALU_DEP_1)
	s_and_b32 vcc_lo, exec_lo, s0
	s_mov_b32 s0, -1
	s_cbranch_vccz .LBB321_1939
; %bb.1938:
	v_trunc_f64_e32 v[2:3], v[0:1]
	s_mov_b32 s0, 0
	s_mov_b32 s6, -1
	s_mov_b32 s7, 0
	s_delay_alu instid0(VALU_DEP_1) | instskip(NEXT) | instid1(VALU_DEP_1)
	v_ldexp_f64 v[7:8], v[2:3], 0xffffffe0
	v_floor_f64_e32 v[7:8], v[7:8]
	s_delay_alu instid0(VALU_DEP_1) | instskip(SKIP_1) | instid1(VALU_DEP_2)
	v_fma_f64 v[2:3], 0xc1f00000, v[7:8], v[2:3]
	v_cvt_u32_f64_e32 v8, v[7:8]
	v_cvt_u32_f64_e32 v7, v[2:3]
	global_store_b64 v[5:6], v[7:8], off
	s_branch .LBB321_1940
.LBB321_1939:
	s_mov_b32 s7, 0
.LBB321_1940:
	s_delay_alu instid0(SALU_CYCLE_1)
	s_and_b32 vcc_lo, exec_lo, s7
	s_cbranch_vccz .LBB321_1956
; %bb.1941:
	v_cmp_lt_i16_e64 s6, s3, 27
	s_delay_alu instid0(VALU_DEP_1)
	s_and_b32 vcc_lo, exec_lo, s6
	s_mov_b32 s6, -1
	s_cbranch_vccnz .LBB321_1947
; %bb.1942:
	v_cvt_u32_f64_e32 v2, v[0:1]
	v_cmp_gt_i16_e64 s6, s3, 27
	s_delay_alu instid0(VALU_DEP_1)
	s_and_b32 vcc_lo, exec_lo, s6
	s_mov_b32 s6, -1
	s_cbranch_vccz .LBB321_1944
; %bb.1943:
	s_mov_b32 s6, 0
	global_store_b32 v[5:6], v2, off
.LBB321_1944:
	s_and_not1_b32 vcc_lo, exec_lo, s6
	s_cbranch_vccnz .LBB321_1946
; %bb.1945:
	global_store_b16 v[5:6], v2, off
.LBB321_1946:
	s_mov_b32 s6, 0
.LBB321_1947:
	s_delay_alu instid0(SALU_CYCLE_1)
	s_and_not1_b32 vcc_lo, exec_lo, s6
	s_cbranch_vccnz .LBB321_1955
; %bb.1948:
	v_cvt_f32_f64_e32 v2, v[0:1]
	v_mov_b32_e32 v7, 0x80
	s_mov_b32 s6, exec_lo
	s_delay_alu instid0(VALU_DEP_2) | instskip(NEXT) | instid1(VALU_DEP_1)
	v_and_b32_e32 v3, 0x7fffffff, v2
	v_cmpx_gt_u32_e32 0x43800000, v3
	s_cbranch_execz .LBB321_1954
; %bb.1949:
	v_cmp_lt_u32_e32 vcc_lo, 0x3bffffff, v3
	s_mov_b32 s7, 0
                                        ; implicit-def: $vgpr3
	s_and_saveexec_b32 s8, vcc_lo
	s_delay_alu instid0(SALU_CYCLE_1)
	s_xor_b32 s8, exec_lo, s8
	s_cbranch_execz .LBB321_2095
; %bb.1950:
	v_bfe_u32 v3, v2, 20, 1
	s_mov_b32 s7, exec_lo
	s_delay_alu instid0(VALU_DEP_1) | instskip(NEXT) | instid1(VALU_DEP_1)
	v_add3_u32 v3, v2, v3, 0x487ffff
	v_lshrrev_b32_e32 v3, 20, v3
	s_or_saveexec_b32 s8, s8
                                        ; implicit-def: $sgpr9
	s_delay_alu instid0(SALU_CYCLE_1)
	s_xor_b32 exec_lo, exec_lo, s8
	s_cbranch_execnz .LBB321_2096
.LBB321_1951:
	s_or_b32 exec_lo, exec_lo, s8
	v_mov_b32_e32 v7, s9
	s_and_saveexec_b32 s8, s7
.LBB321_1952:
	v_lshrrev_b32_e32 v2, 24, v2
	s_delay_alu instid0(VALU_DEP_1)
	v_and_or_b32 v7, 0x80, v2, v3
.LBB321_1953:
	s_or_b32 exec_lo, exec_lo, s8
.LBB321_1954:
	s_delay_alu instid0(SALU_CYCLE_1)
	s_or_b32 exec_lo, exec_lo, s6
	global_store_b8 v[5:6], v7, off
.LBB321_1955:
	s_mov_b32 s6, -1
.LBB321_1956:
	s_mov_b32 s7, 0
.LBB321_1957:
	s_delay_alu instid0(SALU_CYCLE_1)
	s_and_b32 vcc_lo, exec_lo, s7
	s_cbranch_vccz .LBB321_1997
; %bb.1958:
	v_cmp_gt_i16_e64 s1, s3, 22
	s_delay_alu instid0(VALU_DEP_1)
	s_and_b32 vcc_lo, exec_lo, s1
	s_mov_b32 s1, -1
	s_cbranch_vccz .LBB321_1990
; %bb.1959:
	v_cmp_lt_i16_e64 s1, s3, 24
	s_delay_alu instid0(VALU_DEP_1)
	s_and_b32 vcc_lo, exec_lo, s1
	s_mov_b32 s1, -1
	s_cbranch_vccnz .LBB321_1979
; %bb.1960:
	v_cmp_gt_i16_e64 s1, s3, 24
	s_delay_alu instid0(VALU_DEP_1)
	s_and_b32 vcc_lo, exec_lo, s1
	s_mov_b32 s1, -1
	s_cbranch_vccz .LBB321_1968
; %bb.1961:
	v_cvt_f32_f64_e32 v2, v[0:1]
	v_mov_b32_e32 v7, 0x80
	s_mov_b32 s1, exec_lo
	s_delay_alu instid0(VALU_DEP_2) | instskip(NEXT) | instid1(VALU_DEP_1)
	v_and_b32_e32 v3, 0x7fffffff, v2
	v_cmpx_gt_u32_e32 0x47800000, v3
	s_cbranch_execz .LBB321_1967
; %bb.1962:
	v_cmp_lt_u32_e32 vcc_lo, 0x37ffffff, v3
	s_mov_b32 s6, 0
                                        ; implicit-def: $vgpr3
	s_and_saveexec_b32 s7, vcc_lo
	s_delay_alu instid0(SALU_CYCLE_1)
	s_xor_b32 s7, exec_lo, s7
	s_cbranch_execz .LBB321_2102
; %bb.1963:
	v_bfe_u32 v3, v2, 21, 1
	s_mov_b32 s6, exec_lo
	s_delay_alu instid0(VALU_DEP_1) | instskip(NEXT) | instid1(VALU_DEP_1)
	v_add3_u32 v3, v2, v3, 0x88fffff
	v_lshrrev_b32_e32 v3, 21, v3
	s_or_saveexec_b32 s7, s7
                                        ; implicit-def: $sgpr8
	s_delay_alu instid0(SALU_CYCLE_1)
	s_xor_b32 exec_lo, exec_lo, s7
	s_cbranch_execnz .LBB321_2103
.LBB321_1964:
	s_or_b32 exec_lo, exec_lo, s7
	v_mov_b32_e32 v7, s8
	s_and_saveexec_b32 s7, s6
.LBB321_1965:
	v_lshrrev_b32_e32 v2, 24, v2
	s_delay_alu instid0(VALU_DEP_1)
	v_and_or_b32 v7, 0x80, v2, v3
.LBB321_1966:
	s_or_b32 exec_lo, exec_lo, s7
.LBB321_1967:
	s_delay_alu instid0(SALU_CYCLE_1)
	s_or_b32 exec_lo, exec_lo, s1
	s_mov_b32 s1, 0
	global_store_b8 v[5:6], v7, off
.LBB321_1968:
	s_and_b32 vcc_lo, exec_lo, s1
	s_cbranch_vccz .LBB321_1978
; %bb.1969:
	v_cvt_f32_f64_e32 v2, v[0:1]
	s_mov_b32 s1, exec_lo
                                        ; implicit-def: $vgpr3
	s_delay_alu instid0(VALU_DEP_1) | instskip(NEXT) | instid1(VALU_DEP_1)
	v_and_b32_e32 v7, 0x7fffffff, v2
	v_cmpx_gt_u32_e32 0x43f00000, v7
	s_xor_b32 s1, exec_lo, s1
	s_cbranch_execz .LBB321_1975
; %bb.1970:
	s_mov_b32 s6, exec_lo
                                        ; implicit-def: $vgpr3
	v_cmpx_lt_u32_e32 0x3c7fffff, v7
	s_xor_b32 s6, exec_lo, s6
; %bb.1971:
	v_bfe_u32 v3, v2, 20, 1
	s_delay_alu instid0(VALU_DEP_1) | instskip(NEXT) | instid1(VALU_DEP_1)
	v_add3_u32 v3, v2, v3, 0x407ffff
	v_and_b32_e32 v7, 0xff00000, v3
	v_lshrrev_b32_e32 v3, 20, v3
	s_delay_alu instid0(VALU_DEP_2) | instskip(NEXT) | instid1(VALU_DEP_2)
	v_cmp_ne_u32_e32 vcc_lo, 0x7f00000, v7
	v_cndmask_b32_e32 v3, 0x7e, v3, vcc_lo
; %bb.1972:
	s_and_not1_saveexec_b32 s6, s6
; %bb.1973:
	v_add_f32_e64 v3, 0x46800000, |v2|
; %bb.1974:
	s_or_b32 exec_lo, exec_lo, s6
                                        ; implicit-def: $vgpr7
.LBB321_1975:
	s_and_not1_saveexec_b32 s1, s1
; %bb.1976:
	v_mov_b32_e32 v3, 0x7f
	v_cmp_lt_u32_e32 vcc_lo, 0x7f800000, v7
	s_delay_alu instid0(VALU_DEP_2)
	v_cndmask_b32_e32 v3, 0x7e, v3, vcc_lo
; %bb.1977:
	s_or_b32 exec_lo, exec_lo, s1
	v_lshrrev_b32_e32 v2, 24, v2
	s_delay_alu instid0(VALU_DEP_1)
	v_and_or_b32 v2, 0x80, v2, v3
	global_store_b8 v[5:6], v2, off
.LBB321_1978:
	s_mov_b32 s1, 0
.LBB321_1979:
	s_delay_alu instid0(SALU_CYCLE_1)
	s_and_not1_b32 vcc_lo, exec_lo, s1
	s_cbranch_vccnz .LBB321_1989
; %bb.1980:
	v_cvt_f32_f64_e32 v2, v[0:1]
	s_mov_b32 s1, exec_lo
                                        ; implicit-def: $vgpr3
	s_delay_alu instid0(VALU_DEP_1) | instskip(NEXT) | instid1(VALU_DEP_1)
	v_and_b32_e32 v7, 0x7fffffff, v2
	v_cmpx_gt_u32_e32 0x47800000, v7
	s_xor_b32 s1, exec_lo, s1
	s_cbranch_execz .LBB321_1986
; %bb.1981:
	s_mov_b32 s6, exec_lo
                                        ; implicit-def: $vgpr3
	v_cmpx_lt_u32_e32 0x387fffff, v7
	s_xor_b32 s6, exec_lo, s6
; %bb.1982:
	v_bfe_u32 v3, v2, 21, 1
	s_delay_alu instid0(VALU_DEP_1) | instskip(NEXT) | instid1(VALU_DEP_1)
	v_add3_u32 v3, v2, v3, 0x80fffff
	v_lshrrev_b32_e32 v3, 21, v3
; %bb.1983:
	s_and_not1_saveexec_b32 s6, s6
; %bb.1984:
	v_add_f32_e64 v3, 0x43000000, |v2|
; %bb.1985:
	s_or_b32 exec_lo, exec_lo, s6
                                        ; implicit-def: $vgpr7
.LBB321_1986:
	s_and_not1_saveexec_b32 s1, s1
; %bb.1987:
	v_mov_b32_e32 v3, 0x7f
	v_cmp_lt_u32_e32 vcc_lo, 0x7f800000, v7
	s_delay_alu instid0(VALU_DEP_2)
	v_cndmask_b32_e32 v3, 0x7c, v3, vcc_lo
; %bb.1988:
	s_or_b32 exec_lo, exec_lo, s1
	v_lshrrev_b32_e32 v2, 24, v2
	s_delay_alu instid0(VALU_DEP_1)
	v_and_or_b32 v2, 0x80, v2, v3
	global_store_b8 v[5:6], v2, off
.LBB321_1989:
	s_mov_b32 s1, 0
	s_mov_b32 s6, -1
.LBB321_1990:
	s_and_not1_b32 vcc_lo, exec_lo, s1
	s_mov_b32 s1, 0
	s_cbranch_vccnz .LBB321_1997
; %bb.1991:
	v_cmp_gt_i16_e64 s1, s3, 14
	s_delay_alu instid0(VALU_DEP_1)
	s_and_b32 vcc_lo, exec_lo, s1
	s_mov_b32 s1, -1
	s_cbranch_vccz .LBB321_1995
; %bb.1992:
	v_cmp_eq_u16_e64 s0, s3, 15
	s_delay_alu instid0(VALU_DEP_1)
	s_and_b32 vcc_lo, exec_lo, s0
	s_mov_b32 s0, -1
	s_cbranch_vccz .LBB321_1994
; %bb.1993:
	v_cvt_f32_f64_e32 v2, v[0:1]
	s_mov_b32 s0, 0
	s_mov_b32 s6, -1
	s_delay_alu instid0(VALU_DEP_1) | instskip(SKIP_1) | instid1(VALU_DEP_2)
	v_bfe_u32 v3, v2, 16, 1
	v_cmp_o_f32_e32 vcc_lo, v2, v2
	v_add3_u32 v3, v2, v3, 0x7fff
	s_delay_alu instid0(VALU_DEP_1) | instskip(NEXT) | instid1(VALU_DEP_1)
	v_lshrrev_b32_e32 v3, 16, v3
	v_cndmask_b32_e32 v2, 0x7fc0, v3, vcc_lo
	global_store_b16 v[5:6], v2, off
.LBB321_1994:
	s_mov_b32 s1, 0
.LBB321_1995:
	s_delay_alu instid0(SALU_CYCLE_1)
	s_and_b32 vcc_lo, exec_lo, s1
	s_mov_b32 s1, 0
	s_cbranch_vccz .LBB321_1997
; %bb.1996:
	v_cmp_ne_u16_e64 s0, s3, 11
	s_mov_b32 s1, -1
.LBB321_1997:
	s_delay_alu instid0(VALU_DEP_1)
	s_and_b32 vcc_lo, exec_lo, s0
	s_cbranch_vccnz .LBB321_2100
; %bb.1998:
	s_and_not1_b32 vcc_lo, exec_lo, s1
	s_cbranch_vccnz .LBB321_2000
.LBB321_1999:
	v_cmp_neq_f64_e32 vcc_lo, 0, v[0:1]
	s_mov_b32 s6, -1
	v_cndmask_b32_e64 v2, 0, 1, vcc_lo
	global_store_b8 v[5:6], v2, off
.LBB321_2000:
	s_mov_b32 s0, 0
.LBB321_2001:
	s_delay_alu instid0(SALU_CYCLE_1)
	s_and_b32 vcc_lo, exec_lo, s0
	s_cbranch_vccz .LBB321_2040
; %bb.2002:
	v_cmp_lt_i16_e64 s0, s3, 5
	s_delay_alu instid0(VALU_DEP_1)
	s_and_b32 vcc_lo, exec_lo, s0
	s_mov_b32 s0, -1
	s_cbranch_vccnz .LBB321_2023
; %bb.2003:
	v_cmp_lt_i16_e64 s0, s3, 8
	s_delay_alu instid0(VALU_DEP_1)
	s_and_b32 vcc_lo, exec_lo, s0
	s_mov_b32 s0, -1
	s_cbranch_vccnz .LBB321_2013
	;; [unrolled: 6-line block ×3, first 2 shown]
; %bb.2005:
	v_cmp_gt_i16_e64 s0, s3, 9
	s_delay_alu instid0(VALU_DEP_1)
	s_and_b32 vcc_lo, exec_lo, s0
	s_mov_b32 s0, -1
	s_cbranch_vccz .LBB321_2007
; %bb.2006:
	v_mov_b32_e32 v2, 0
	s_mov_b32 s0, 0
	s_delay_alu instid0(VALU_DEP_1)
	v_mov_b32_e32 v3, v2
	global_store_b128 v[5:6], v[0:3], off
.LBB321_2007:
	s_and_not1_b32 vcc_lo, exec_lo, s0
	s_cbranch_vccnz .LBB321_2009
; %bb.2008:
	v_cvt_f32_f64_e32 v2, v[0:1]
	v_mov_b32_e32 v3, 0
	global_store_b64 v[5:6], v[2:3], off
.LBB321_2009:
	s_mov_b32 s0, 0
.LBB321_2010:
	s_delay_alu instid0(SALU_CYCLE_1)
	s_and_not1_b32 vcc_lo, exec_lo, s0
	s_cbranch_vccnz .LBB321_2012
; %bb.2011:
	v_cvt_f32_f64_e32 v2, v[0:1]
	s_delay_alu instid0(VALU_DEP_1) | instskip(NEXT) | instid1(VALU_DEP_1)
	v_cvt_f16_f32_e32 v2, v2
	v_and_b32_e32 v2, 0xffff, v2
	global_store_b32 v[5:6], v2, off
.LBB321_2012:
	s_mov_b32 s0, 0
.LBB321_2013:
	s_delay_alu instid0(SALU_CYCLE_1)
	s_and_not1_b32 vcc_lo, exec_lo, s0
	s_cbranch_vccnz .LBB321_2022
; %bb.2014:
	v_cmp_lt_i16_e64 s0, s3, 6
	s_delay_alu instid0(VALU_DEP_1)
	s_and_b32 vcc_lo, exec_lo, s0
	s_mov_b32 s0, -1
	s_cbranch_vccnz .LBB321_2020
; %bb.2015:
	v_cmp_gt_i16_e64 s0, s3, 6
	s_delay_alu instid0(VALU_DEP_1)
	s_and_b32 vcc_lo, exec_lo, s0
	s_mov_b32 s0, -1
	s_cbranch_vccz .LBB321_2017
; %bb.2016:
	s_mov_b32 s0, 0
	global_store_b64 v[5:6], v[0:1], off
.LBB321_2017:
	s_and_not1_b32 vcc_lo, exec_lo, s0
	s_cbranch_vccnz .LBB321_2019
; %bb.2018:
	v_cvt_f32_f64_e32 v2, v[0:1]
	global_store_b32 v[5:6], v2, off
.LBB321_2019:
	s_mov_b32 s0, 0
.LBB321_2020:
	s_delay_alu instid0(SALU_CYCLE_1)
	s_and_not1_b32 vcc_lo, exec_lo, s0
	s_cbranch_vccnz .LBB321_2022
; %bb.2021:
	v_cvt_f32_f64_e32 v2, v[0:1]
	s_delay_alu instid0(VALU_DEP_1)
	v_cvt_f16_f32_e32 v2, v2
	global_store_b16 v[5:6], v2, off
.LBB321_2022:
	s_mov_b32 s0, 0
.LBB321_2023:
	s_delay_alu instid0(SALU_CYCLE_1)
	s_and_not1_b32 vcc_lo, exec_lo, s0
	s_cbranch_vccnz .LBB321_2039
; %bb.2024:
	v_cmp_lt_i16_e64 s0, s3, 2
	s_delay_alu instid0(VALU_DEP_1)
	s_and_b32 vcc_lo, exec_lo, s0
	s_mov_b32 s0, -1
	s_cbranch_vccnz .LBB321_2034
; %bb.2025:
	v_cmp_lt_i16_e64 s0, s3, 3
	s_delay_alu instid0(VALU_DEP_1)
	s_and_b32 vcc_lo, exec_lo, s0
	s_mov_b32 s0, -1
	s_cbranch_vccnz .LBB321_2031
; %bb.2026:
	v_cmp_gt_i16_e64 s0, s3, 3
	s_delay_alu instid0(VALU_DEP_1)
	s_and_b32 vcc_lo, exec_lo, s0
	s_mov_b32 s0, -1
	s_cbranch_vccz .LBB321_2028
; %bb.2027:
	v_trunc_f64_e32 v[2:3], v[0:1]
	s_mov_b32 s0, 0
	s_delay_alu instid0(VALU_DEP_1) | instskip(NEXT) | instid1(VALU_DEP_1)
	v_ldexp_f64 v[7:8], v[2:3], 0xffffffe0
	v_floor_f64_e32 v[7:8], v[7:8]
	s_delay_alu instid0(VALU_DEP_1) | instskip(SKIP_1) | instid1(VALU_DEP_2)
	v_fma_f64 v[2:3], 0xc1f00000, v[7:8], v[2:3]
	v_cvt_i32_f64_e32 v8, v[7:8]
	v_cvt_u32_f64_e32 v7, v[2:3]
	global_store_b64 v[5:6], v[7:8], off
.LBB321_2028:
	s_and_not1_b32 vcc_lo, exec_lo, s0
	s_cbranch_vccnz .LBB321_2030
; %bb.2029:
	v_cvt_i32_f64_e32 v2, v[0:1]
	global_store_b32 v[5:6], v2, off
.LBB321_2030:
	s_mov_b32 s0, 0
.LBB321_2031:
	s_delay_alu instid0(SALU_CYCLE_1)
	s_and_not1_b32 vcc_lo, exec_lo, s0
	s_cbranch_vccnz .LBB321_2033
; %bb.2032:
	v_cvt_i32_f64_e32 v2, v[0:1]
	global_store_b16 v[5:6], v2, off
.LBB321_2033:
	s_mov_b32 s0, 0
.LBB321_2034:
	s_delay_alu instid0(SALU_CYCLE_1)
	s_and_not1_b32 vcc_lo, exec_lo, s0
	s_cbranch_vccnz .LBB321_2039
; %bb.2035:
	v_cmp_gt_i16_e64 s0, s3, 0
	s_delay_alu instid0(VALU_DEP_1)
	s_and_b32 vcc_lo, exec_lo, s0
	s_mov_b32 s0, -1
	s_cbranch_vccz .LBB321_2037
; %bb.2036:
	v_cvt_i32_f64_e32 v2, v[0:1]
	s_mov_b32 s0, 0
	global_store_b8 v[5:6], v2, off
.LBB321_2037:
	s_and_not1_b32 vcc_lo, exec_lo, s0
	s_cbranch_vccnz .LBB321_2039
; %bb.2038:
	v_trunc_f64_e32 v[0:1], v[0:1]
	s_delay_alu instid0(VALU_DEP_1) | instskip(NEXT) | instid1(VALU_DEP_1)
	v_ldexp_f64 v[2:3], v[0:1], 0xffffffe0
	v_floor_f64_e32 v[2:3], v[2:3]
	s_delay_alu instid0(VALU_DEP_1) | instskip(NEXT) | instid1(VALU_DEP_1)
	v_fma_f64 v[0:1], 0xc1f00000, v[2:3], v[0:1]
	v_cvt_u32_f64_e32 v0, v[0:1]
	global_store_b8 v[5:6], v0, off
.LBB321_2039:
	s_mov_b32 s6, -1
.LBB321_2040:
	s_delay_alu instid0(SALU_CYCLE_1)
	s_and_not1_b32 vcc_lo, exec_lo, s6
	s_cbranch_vccnz .LBB321_2049
; %bb.2041:
	v_max_f64 v[0:1], v[11:12], v[11:12]
	v_cmp_u_f64_e32 vcc_lo, v[11:12], v[11:12]
	v_cmp_lt_i16_e64 s0, s3, 11
	v_add_co_u32 v4, s4, s4, v4
	s_delay_alu instid0(VALU_DEP_1) | instskip(SKIP_2) | instid1(VALU_DEP_1)
	v_add_co_ci_u32_e64 v5, null, s5, 0, s4
	s_mov_b32 s1, 0
	v_max_f64 v[0:1], v[0:1], v[13:14]
	v_min_f64 v[0:1], v[0:1], v[15:16]
	s_delay_alu instid0(VALU_DEP_1)
	v_dual_cndmask_b32 v1, v1, v12 :: v_dual_cndmask_b32 v0, v0, v11
	s_and_b32 vcc_lo, exec_lo, s0
	s_mov_b32 s0, -1
	s_cbranch_vccnz .LBB321_2050
; %bb.2042:
	v_cmp_gt_i16_e64 s0, s3, 25
	s_mov_b32 s4, -1
	s_delay_alu instid0(VALU_DEP_1)
	s_and_b32 vcc_lo, exec_lo, s0
	s_mov_b32 s0, 0
	s_cbranch_vccz .LBB321_2131
; %bb.2043:
	v_cmp_gt_i16_e64 s0, s3, 28
	s_delay_alu instid0(VALU_DEP_1)
	s_and_b32 vcc_lo, exec_lo, s0
	s_cbranch_vccz .LBB321_2094
; %bb.2044:
	v_cmp_gt_i16_e64 s0, s3, 43
	s_delay_alu instid0(VALU_DEP_1)
	s_and_b32 vcc_lo, exec_lo, s0
	;; [unrolled: 5-line block ×3, first 2 shown]
	s_cbranch_vccz .LBB321_2104
; %bb.2046:
	v_cmp_eq_u16_e64 s0, s3, 46
	s_delay_alu instid0(VALU_DEP_1)
	s_and_b32 vcc_lo, exec_lo, s0
	s_mov_b32 s0, -1
	s_cbranch_vccz .LBB321_2048
; %bb.2047:
	v_cvt_f32_f64_e32 v2, v[0:1]
	s_mov_b32 s0, 0
	s_delay_alu instid0(VALU_DEP_1) | instskip(SKIP_1) | instid1(VALU_DEP_2)
	v_bfe_u32 v3, v2, 16, 1
	v_cmp_o_f32_e32 vcc_lo, v2, v2
	v_add3_u32 v3, v2, v3, 0x7fff
	s_delay_alu instid0(VALU_DEP_1) | instskip(NEXT) | instid1(VALU_DEP_1)
	v_lshrrev_b32_e32 v3, 16, v3
	v_cndmask_b32_e32 v2, 0x7fc0, v3, vcc_lo
	global_store_b32 v[4:5], v2, off
.LBB321_2048:
	s_mov_b32 s4, 0
	s_branch .LBB321_2105
.LBB321_2049:
	s_mov_b32 s0, 0
	s_mov_b32 s1, 0
                                        ; implicit-def: $vgpr4_vgpr5
                                        ; implicit-def: $sgpr3
                                        ; implicit-def: $vgpr0_vgpr1
.LBB321_2050:
	s_and_b32 s4, s0, exec_lo
	s_and_not1_b32 s0, s12, exec_lo
	s_and_b32 s2, s2, exec_lo
	s_and_b32 s30, s1, exec_lo
	s_or_b32 s12, s0, s2
.LBB321_2051:
	s_or_b32 exec_lo, exec_lo, s13
	s_and_saveexec_b32 s0, s12
	s_cbranch_execz .LBB321_2054
; %bb.2052:
	; divergent unreachable
	s_or_b32 exec_lo, exec_lo, s0
	s_and_saveexec_b32 s0, s30
	s_delay_alu instid0(SALU_CYCLE_1)
	s_xor_b32 s0, exec_lo, s0
	s_cbranch_execnz .LBB321_2055
.LBB321_2053:
	s_or_b32 exec_lo, exec_lo, s0
	s_and_saveexec_b32 s0, s4
	s_cbranch_execnz .LBB321_2056
	s_branch .LBB321_2093
.LBB321_2054:
	s_or_b32 exec_lo, exec_lo, s0
	s_and_saveexec_b32 s0, s30
	s_delay_alu instid0(SALU_CYCLE_1)
	s_xor_b32 s0, exec_lo, s0
	s_cbranch_execz .LBB321_2053
.LBB321_2055:
	v_cmp_neq_f64_e32 vcc_lo, 0, v[0:1]
	s_waitcnt vmcnt(0)
	v_cndmask_b32_e64 v2, 0, 1, vcc_lo
	global_store_b8 v[4:5], v2, off
	s_or_b32 exec_lo, exec_lo, s0
	s_and_saveexec_b32 s0, s4
	s_cbranch_execz .LBB321_2093
.LBB321_2056:
	v_cmp_lt_i16_e64 s0, s3, 5
	s_delay_alu instid0(VALU_DEP_1)
	s_and_b32 vcc_lo, exec_lo, s0
	s_mov_b32 s0, -1
	s_cbranch_vccnz .LBB321_2077
; %bb.2057:
	v_cmp_lt_i16_e64 s0, s3, 8
	s_delay_alu instid0(VALU_DEP_1)
	s_and_b32 vcc_lo, exec_lo, s0
	s_mov_b32 s0, -1
	s_cbranch_vccnz .LBB321_2067
; %bb.2058:
	;; [unrolled: 6-line block ×3, first 2 shown]
	v_cmp_gt_i16_e64 s0, s3, 9
	s_delay_alu instid0(VALU_DEP_1)
	s_and_b32 vcc_lo, exec_lo, s0
	s_mov_b32 s0, -1
	s_cbranch_vccz .LBB321_2061
; %bb.2060:
	s_waitcnt vmcnt(0)
	v_mov_b32_e32 v2, 0
	s_mov_b32 s0, 0
	s_delay_alu instid0(VALU_DEP_1)
	v_mov_b32_e32 v3, v2
	global_store_b128 v[4:5], v[0:3], off
.LBB321_2061:
	s_and_not1_b32 vcc_lo, exec_lo, s0
	s_cbranch_vccnz .LBB321_2063
; %bb.2062:
	s_waitcnt vmcnt(0)
	v_cvt_f32_f64_e32 v2, v[0:1]
	v_mov_b32_e32 v3, 0
	global_store_b64 v[4:5], v[2:3], off
.LBB321_2063:
	s_mov_b32 s0, 0
.LBB321_2064:
	s_delay_alu instid0(SALU_CYCLE_1)
	s_and_not1_b32 vcc_lo, exec_lo, s0
	s_cbranch_vccnz .LBB321_2066
; %bb.2065:
	s_waitcnt vmcnt(0)
	v_cvt_f32_f64_e32 v2, v[0:1]
	s_delay_alu instid0(VALU_DEP_1) | instskip(NEXT) | instid1(VALU_DEP_1)
	v_cvt_f16_f32_e32 v2, v2
	v_and_b32_e32 v2, 0xffff, v2
	global_store_b32 v[4:5], v2, off
.LBB321_2066:
	s_mov_b32 s0, 0
.LBB321_2067:
	s_delay_alu instid0(SALU_CYCLE_1)
	s_and_not1_b32 vcc_lo, exec_lo, s0
	s_cbranch_vccnz .LBB321_2076
; %bb.2068:
	v_cmp_lt_i16_e64 s0, s3, 6
	s_delay_alu instid0(VALU_DEP_1)
	s_and_b32 vcc_lo, exec_lo, s0
	s_mov_b32 s0, -1
	s_cbranch_vccnz .LBB321_2074
; %bb.2069:
	v_cmp_gt_i16_e64 s0, s3, 6
	s_delay_alu instid0(VALU_DEP_1)
	s_and_b32 vcc_lo, exec_lo, s0
	s_mov_b32 s0, -1
	s_cbranch_vccz .LBB321_2071
; %bb.2070:
	s_mov_b32 s0, 0
	global_store_b64 v[4:5], v[0:1], off
.LBB321_2071:
	s_and_not1_b32 vcc_lo, exec_lo, s0
	s_cbranch_vccnz .LBB321_2073
; %bb.2072:
	s_waitcnt vmcnt(0)
	v_cvt_f32_f64_e32 v2, v[0:1]
	global_store_b32 v[4:5], v2, off
.LBB321_2073:
	s_mov_b32 s0, 0
.LBB321_2074:
	s_delay_alu instid0(SALU_CYCLE_1)
	s_and_not1_b32 vcc_lo, exec_lo, s0
	s_cbranch_vccnz .LBB321_2076
; %bb.2075:
	s_waitcnt vmcnt(0)
	v_cvt_f32_f64_e32 v2, v[0:1]
	s_delay_alu instid0(VALU_DEP_1)
	v_cvt_f16_f32_e32 v2, v2
	global_store_b16 v[4:5], v2, off
.LBB321_2076:
	s_mov_b32 s0, 0
.LBB321_2077:
	s_delay_alu instid0(SALU_CYCLE_1)
	s_and_not1_b32 vcc_lo, exec_lo, s0
	s_cbranch_vccnz .LBB321_2093
; %bb.2078:
	v_cmp_lt_i16_e64 s0, s3, 2
	s_delay_alu instid0(VALU_DEP_1)
	s_and_b32 vcc_lo, exec_lo, s0
	s_mov_b32 s0, -1
	s_cbranch_vccnz .LBB321_2088
; %bb.2079:
	v_cmp_lt_i16_e64 s0, s3, 3
	s_delay_alu instid0(VALU_DEP_1)
	s_and_b32 vcc_lo, exec_lo, s0
	s_mov_b32 s0, -1
	s_cbranch_vccnz .LBB321_2085
; %bb.2080:
	v_cmp_gt_i16_e64 s0, s3, 3
	s_delay_alu instid0(VALU_DEP_1)
	s_and_b32 vcc_lo, exec_lo, s0
	s_mov_b32 s0, -1
	s_cbranch_vccz .LBB321_2082
; %bb.2081:
	s_waitcnt vmcnt(0)
	v_trunc_f64_e32 v[2:3], v[0:1]
	s_mov_b32 s0, 0
	s_delay_alu instid0(VALU_DEP_1) | instskip(NEXT) | instid1(VALU_DEP_1)
	v_ldexp_f64 v[6:7], v[2:3], 0xffffffe0
	v_floor_f64_e32 v[6:7], v[6:7]
	s_delay_alu instid0(VALU_DEP_1) | instskip(SKIP_1) | instid1(VALU_DEP_2)
	v_fma_f64 v[2:3], 0xc1f00000, v[6:7], v[2:3]
	v_cvt_i32_f64_e32 v7, v[6:7]
	v_cvt_u32_f64_e32 v6, v[2:3]
	global_store_b64 v[4:5], v[6:7], off
.LBB321_2082:
	s_and_not1_b32 vcc_lo, exec_lo, s0
	s_cbranch_vccnz .LBB321_2084
; %bb.2083:
	s_waitcnt vmcnt(0)
	v_cvt_i32_f64_e32 v2, v[0:1]
	global_store_b32 v[4:5], v2, off
.LBB321_2084:
	s_mov_b32 s0, 0
.LBB321_2085:
	s_delay_alu instid0(SALU_CYCLE_1)
	s_and_not1_b32 vcc_lo, exec_lo, s0
	s_cbranch_vccnz .LBB321_2087
; %bb.2086:
	s_waitcnt vmcnt(0)
	v_cvt_i32_f64_e32 v2, v[0:1]
	global_store_b16 v[4:5], v2, off
.LBB321_2087:
	s_mov_b32 s0, 0
.LBB321_2088:
	s_delay_alu instid0(SALU_CYCLE_1)
	s_and_not1_b32 vcc_lo, exec_lo, s0
	s_cbranch_vccnz .LBB321_2093
; %bb.2089:
	v_cmp_gt_i16_e64 s0, s3, 0
	s_delay_alu instid0(VALU_DEP_1)
	s_and_b32 vcc_lo, exec_lo, s0
	s_mov_b32 s0, -1
	s_cbranch_vccz .LBB321_2091
; %bb.2090:
	s_waitcnt vmcnt(0)
	v_cvt_i32_f64_e32 v2, v[0:1]
	s_mov_b32 s0, 0
	global_store_b8 v[4:5], v2, off
.LBB321_2091:
	s_and_not1_b32 vcc_lo, exec_lo, s0
	s_cbranch_vccnz .LBB321_2093
; %bb.2092:
	v_trunc_f64_e32 v[0:1], v[0:1]
	s_waitcnt vmcnt(0)
	s_delay_alu instid0(VALU_DEP_1) | instskip(NEXT) | instid1(VALU_DEP_1)
	v_ldexp_f64 v[2:3], v[0:1], 0xffffffe0
	v_floor_f64_e32 v[2:3], v[2:3]
	s_delay_alu instid0(VALU_DEP_1) | instskip(NEXT) | instid1(VALU_DEP_1)
	v_fma_f64 v[0:1], 0xc1f00000, v[2:3], v[0:1]
	v_cvt_u32_f64_e32 v0, v[0:1]
	global_store_b8 v[4:5], v0, off
	s_nop 0
	s_sendmsg sendmsg(MSG_DEALLOC_VGPRS)
	s_endpgm
.LBB321_2093:
	s_nop 0
	s_sendmsg sendmsg(MSG_DEALLOC_VGPRS)
	s_endpgm
.LBB321_2094:
	s_mov_b32 s0, 0
	s_branch .LBB321_2115
.LBB321_2095:
	s_or_saveexec_b32 s8, s8
                                        ; implicit-def: $sgpr9
	s_delay_alu instid0(SALU_CYCLE_1)
	s_xor_b32 exec_lo, exec_lo, s8
	s_cbranch_execz .LBB321_1951
.LBB321_2096:
	v_add_f32_e64 v3, 0x46000000, |v2|
	s_and_not1_b32 s7, s7, exec_lo
	s_mov_b32 s9, 0
	s_delay_alu instid0(VALU_DEP_1) | instskip(NEXT) | instid1(VALU_DEP_1)
	v_and_b32_e32 v3, 0xff, v3
	v_cmp_ne_u32_e32 vcc_lo, 0, v3
	s_and_b32 s10, vcc_lo, exec_lo
	s_delay_alu instid0(SALU_CYCLE_1)
	s_or_b32 s7, s7, s10
	s_or_b32 exec_lo, exec_lo, s8
	v_mov_b32_e32 v7, s9
	s_and_saveexec_b32 s8, s7
	s_cbranch_execnz .LBB321_1952
	s_branch .LBB321_1953
.LBB321_2097:
	s_mov_b32 s0, 0
	s_branch .LBB321_2111
.LBB321_2098:
	s_trap 2
	s_sendmsg_rtn_b32 s0, sendmsg(MSG_RTN_GET_DOORBELL)
	s_mov_b32 ttmp2, m0
	s_waitcnt lgkmcnt(0)
	s_and_b32 s0, s0, 0x3ff
	s_delay_alu instid0(SALU_CYCLE_1) | instskip(NEXT) | instid1(SALU_CYCLE_1)
	s_bitset1_b32 s0, 10
	s_mov_b32 m0, s0
	s_sendmsg sendmsg(MSG_INTERRUPT)
	s_mov_b32 m0, ttmp2
.LBB321_2099:                           ; =>This Inner Loop Header: Depth=1
	s_sethalt 5
	s_branch .LBB321_2099
.LBB321_2100:
	s_cbranch_execnz .LBB321_2175
; %bb.2101:
	s_or_b32 s2, s2, exec_lo
	s_cbranch_execz .LBB321_1999
	s_branch .LBB321_2000
.LBB321_2102:
	s_or_saveexec_b32 s7, s7
                                        ; implicit-def: $sgpr8
	s_delay_alu instid0(SALU_CYCLE_1)
	s_xor_b32 exec_lo, exec_lo, s7
	s_cbranch_execz .LBB321_1964
.LBB321_2103:
	v_add_f32_e64 v3, 0x42800000, |v2|
	s_and_not1_b32 s6, s6, exec_lo
	s_mov_b32 s8, 0
	s_delay_alu instid0(VALU_DEP_1) | instskip(NEXT) | instid1(VALU_DEP_1)
	v_and_b32_e32 v3, 0xff, v3
	v_cmp_ne_u32_e32 vcc_lo, 0, v3
	s_and_b32 s9, vcc_lo, exec_lo
	s_delay_alu instid0(SALU_CYCLE_1)
	s_or_b32 s6, s6, s9
	s_or_b32 exec_lo, exec_lo, s7
	v_mov_b32_e32 v7, s8
	s_and_saveexec_b32 s7, s6
	s_cbranch_execnz .LBB321_1965
	s_branch .LBB321_1966
.LBB321_2104:
	s_mov_b32 s0, 0
.LBB321_2105:
	s_and_b32 vcc_lo, exec_lo, s4
	s_cbranch_vccz .LBB321_2110
; %bb.2106:
	v_cmp_eq_u16_e64 s0, s3, 44
	s_delay_alu instid0(VALU_DEP_1)
	s_and_b32 vcc_lo, exec_lo, s0
	s_mov_b32 s0, -1
	s_cbranch_vccz .LBB321_2110
; %bb.2107:
	v_cvt_f32_f64_e32 v2, v[0:1]
	v_mov_b32_e32 v3, 0xff
	s_mov_b32 s4, exec_lo
	s_delay_alu instid0(VALU_DEP_2) | instskip(NEXT) | instid1(VALU_DEP_1)
	v_bfe_u32 v6, v2, 23, 8
	v_cmpx_ne_u32_e32 0xff, v6
; %bb.2108:
	v_and_b32_e32 v3, 0x400000, v2
	v_and_or_b32 v6, 0x3fffff, v2, v6
	v_lshrrev_b32_e32 v2, 23, v2
	s_delay_alu instid0(VALU_DEP_3) | instskip(NEXT) | instid1(VALU_DEP_3)
	v_cmp_ne_u32_e32 vcc_lo, 0, v3
	v_cmp_ne_u32_e64 s0, 0, v6
	s_delay_alu instid0(VALU_DEP_1) | instskip(NEXT) | instid1(SALU_CYCLE_1)
	s_and_b32 s0, vcc_lo, s0
	v_cndmask_b32_e64 v3, 0, 1, s0
	s_delay_alu instid0(VALU_DEP_1)
	v_add_nc_u32_e32 v3, v2, v3
; %bb.2109:
	s_or_b32 exec_lo, exec_lo, s4
	s_mov_b32 s0, 0
	global_store_b8 v[4:5], v3, off
.LBB321_2110:
	s_mov_b32 s4, 0
.LBB321_2111:
	s_delay_alu instid0(SALU_CYCLE_1)
	s_and_b32 vcc_lo, exec_lo, s4
	s_cbranch_vccz .LBB321_2114
; %bb.2112:
	v_cmp_eq_u16_e64 s0, s3, 29
	s_delay_alu instid0(VALU_DEP_1)
	s_and_b32 vcc_lo, exec_lo, s0
	s_mov_b32 s0, -1
	s_cbranch_vccz .LBB321_2114
; %bb.2113:
	v_trunc_f64_e32 v[2:3], v[0:1]
	s_mov_b32 s0, 0
	s_delay_alu instid0(VALU_DEP_1) | instskip(NEXT) | instid1(VALU_DEP_1)
	v_ldexp_f64 v[6:7], v[2:3], 0xffffffe0
	v_floor_f64_e32 v[6:7], v[6:7]
	s_delay_alu instid0(VALU_DEP_1) | instskip(SKIP_1) | instid1(VALU_DEP_2)
	v_fma_f64 v[2:3], 0xc1f00000, v[6:7], v[2:3]
	v_cvt_u32_f64_e32 v7, v[6:7]
	v_cvt_u32_f64_e32 v6, v[2:3]
	global_store_b64 v[4:5], v[6:7], off
.LBB321_2114:
	s_mov_b32 s4, 0
.LBB321_2115:
	s_delay_alu instid0(SALU_CYCLE_1)
	s_and_b32 vcc_lo, exec_lo, s4
	s_cbranch_vccz .LBB321_2130
; %bb.2116:
	v_cmp_lt_i16_e64 s4, s3, 27
	s_delay_alu instid0(VALU_DEP_1)
	s_and_b32 vcc_lo, exec_lo, s4
	s_mov_b32 s4, -1
	s_cbranch_vccnz .LBB321_2122
; %bb.2117:
	v_cvt_u32_f64_e32 v2, v[0:1]
	v_cmp_gt_i16_e64 s4, s3, 27
	s_delay_alu instid0(VALU_DEP_1)
	s_and_b32 vcc_lo, exec_lo, s4
	s_mov_b32 s4, -1
	s_cbranch_vccz .LBB321_2119
; %bb.2118:
	s_mov_b32 s4, 0
	global_store_b32 v[4:5], v2, off
.LBB321_2119:
	s_and_not1_b32 vcc_lo, exec_lo, s4
	s_cbranch_vccnz .LBB321_2121
; %bb.2120:
	global_store_b16 v[4:5], v2, off
.LBB321_2121:
	s_mov_b32 s4, 0
.LBB321_2122:
	s_delay_alu instid0(SALU_CYCLE_1)
	s_and_not1_b32 vcc_lo, exec_lo, s4
	s_cbranch_vccnz .LBB321_2130
; %bb.2123:
	v_cvt_f32_f64_e32 v2, v[0:1]
	v_mov_b32_e32 v6, 0x80
	s_mov_b32 s4, exec_lo
	s_delay_alu instid0(VALU_DEP_2) | instskip(NEXT) | instid1(VALU_DEP_1)
	v_and_b32_e32 v3, 0x7fffffff, v2
	v_cmpx_gt_u32_e32 0x43800000, v3
	s_cbranch_execz .LBB321_2129
; %bb.2124:
	v_cmp_lt_u32_e32 vcc_lo, 0x3bffffff, v3
	s_mov_b32 s5, 0
                                        ; implicit-def: $vgpr3
	s_and_saveexec_b32 s6, vcc_lo
	s_delay_alu instid0(SALU_CYCLE_1)
	s_xor_b32 s6, exec_lo, s6
	s_cbranch_execz .LBB321_2173
; %bb.2125:
	v_bfe_u32 v3, v2, 20, 1
	s_mov_b32 s5, exec_lo
	s_delay_alu instid0(VALU_DEP_1) | instskip(NEXT) | instid1(VALU_DEP_1)
	v_add3_u32 v3, v2, v3, 0x487ffff
	v_lshrrev_b32_e32 v3, 20, v3
	s_or_saveexec_b32 s6, s6
                                        ; implicit-def: $sgpr7
	s_delay_alu instid0(SALU_CYCLE_1)
	s_xor_b32 exec_lo, exec_lo, s6
	s_cbranch_execnz .LBB321_2174
.LBB321_2126:
	s_or_b32 exec_lo, exec_lo, s6
	v_mov_b32_e32 v6, s7
	s_and_saveexec_b32 s6, s5
.LBB321_2127:
	v_lshrrev_b32_e32 v2, 24, v2
	s_delay_alu instid0(VALU_DEP_1)
	v_and_or_b32 v6, 0x80, v2, v3
.LBB321_2128:
	s_or_b32 exec_lo, exec_lo, s6
.LBB321_2129:
	s_delay_alu instid0(SALU_CYCLE_1)
	s_or_b32 exec_lo, exec_lo, s4
	global_store_b8 v[4:5], v6, off
.LBB321_2130:
	s_mov_b32 s4, 0
.LBB321_2131:
	s_delay_alu instid0(SALU_CYCLE_1)
	s_and_b32 vcc_lo, exec_lo, s4
	s_cbranch_vccz .LBB321_2171
; %bb.2132:
	v_cmp_gt_i16_e64 s1, s3, 22
	s_delay_alu instid0(VALU_DEP_1)
	s_and_b32 vcc_lo, exec_lo, s1
	s_mov_b32 s1, -1
	s_cbranch_vccz .LBB321_2164
; %bb.2133:
	v_cmp_lt_i16_e64 s1, s3, 24
	s_delay_alu instid0(VALU_DEP_1)
	s_and_b32 vcc_lo, exec_lo, s1
	s_mov_b32 s1, -1
	s_cbranch_vccnz .LBB321_2153
; %bb.2134:
	v_cmp_gt_i16_e64 s1, s3, 24
	s_delay_alu instid0(VALU_DEP_1)
	s_and_b32 vcc_lo, exec_lo, s1
	s_mov_b32 s1, -1
	s_cbranch_vccz .LBB321_2142
; %bb.2135:
	v_cvt_f32_f64_e32 v2, v[0:1]
	v_mov_b32_e32 v6, 0x80
	s_mov_b32 s1, exec_lo
	s_delay_alu instid0(VALU_DEP_2) | instskip(NEXT) | instid1(VALU_DEP_1)
	v_and_b32_e32 v3, 0x7fffffff, v2
	v_cmpx_gt_u32_e32 0x47800000, v3
	s_cbranch_execz .LBB321_2141
; %bb.2136:
	v_cmp_lt_u32_e32 vcc_lo, 0x37ffffff, v3
	s_mov_b32 s4, 0
                                        ; implicit-def: $vgpr3
	s_and_saveexec_b32 s5, vcc_lo
	s_delay_alu instid0(SALU_CYCLE_1)
	s_xor_b32 s5, exec_lo, s5
	s_cbranch_execz .LBB321_2179
; %bb.2137:
	v_bfe_u32 v3, v2, 21, 1
	s_mov_b32 s4, exec_lo
	s_delay_alu instid0(VALU_DEP_1) | instskip(NEXT) | instid1(VALU_DEP_1)
	v_add3_u32 v3, v2, v3, 0x88fffff
	v_lshrrev_b32_e32 v3, 21, v3
	s_or_saveexec_b32 s5, s5
                                        ; implicit-def: $sgpr6
	s_delay_alu instid0(SALU_CYCLE_1)
	s_xor_b32 exec_lo, exec_lo, s5
	s_cbranch_execnz .LBB321_2180
.LBB321_2138:
	s_or_b32 exec_lo, exec_lo, s5
	v_mov_b32_e32 v6, s6
	s_and_saveexec_b32 s5, s4
.LBB321_2139:
	v_lshrrev_b32_e32 v2, 24, v2
	s_delay_alu instid0(VALU_DEP_1)
	v_and_or_b32 v6, 0x80, v2, v3
.LBB321_2140:
	s_or_b32 exec_lo, exec_lo, s5
.LBB321_2141:
	s_delay_alu instid0(SALU_CYCLE_1)
	s_or_b32 exec_lo, exec_lo, s1
	s_mov_b32 s1, 0
	global_store_b8 v[4:5], v6, off
.LBB321_2142:
	s_and_b32 vcc_lo, exec_lo, s1
	s_cbranch_vccz .LBB321_2152
; %bb.2143:
	v_cvt_f32_f64_e32 v2, v[0:1]
	s_mov_b32 s1, exec_lo
                                        ; implicit-def: $vgpr3
	s_delay_alu instid0(VALU_DEP_1) | instskip(NEXT) | instid1(VALU_DEP_1)
	v_and_b32_e32 v6, 0x7fffffff, v2
	v_cmpx_gt_u32_e32 0x43f00000, v6
	s_xor_b32 s1, exec_lo, s1
	s_cbranch_execz .LBB321_2149
; %bb.2144:
	s_mov_b32 s4, exec_lo
                                        ; implicit-def: $vgpr3
	v_cmpx_lt_u32_e32 0x3c7fffff, v6
	s_xor_b32 s4, exec_lo, s4
; %bb.2145:
	v_bfe_u32 v3, v2, 20, 1
	s_delay_alu instid0(VALU_DEP_1) | instskip(NEXT) | instid1(VALU_DEP_1)
	v_add3_u32 v3, v2, v3, 0x407ffff
	v_and_b32_e32 v6, 0xff00000, v3
	v_lshrrev_b32_e32 v3, 20, v3
	s_delay_alu instid0(VALU_DEP_2) | instskip(NEXT) | instid1(VALU_DEP_2)
	v_cmp_ne_u32_e32 vcc_lo, 0x7f00000, v6
	v_cndmask_b32_e32 v3, 0x7e, v3, vcc_lo
; %bb.2146:
	s_and_not1_saveexec_b32 s4, s4
; %bb.2147:
	v_add_f32_e64 v3, 0x46800000, |v2|
; %bb.2148:
	s_or_b32 exec_lo, exec_lo, s4
                                        ; implicit-def: $vgpr6
.LBB321_2149:
	s_and_not1_saveexec_b32 s1, s1
; %bb.2150:
	v_mov_b32_e32 v3, 0x7f
	v_cmp_lt_u32_e32 vcc_lo, 0x7f800000, v6
	s_delay_alu instid0(VALU_DEP_2)
	v_cndmask_b32_e32 v3, 0x7e, v3, vcc_lo
; %bb.2151:
	s_or_b32 exec_lo, exec_lo, s1
	v_lshrrev_b32_e32 v2, 24, v2
	s_delay_alu instid0(VALU_DEP_1)
	v_and_or_b32 v2, 0x80, v2, v3
	global_store_b8 v[4:5], v2, off
.LBB321_2152:
	s_mov_b32 s1, 0
.LBB321_2153:
	s_delay_alu instid0(SALU_CYCLE_1)
	s_and_not1_b32 vcc_lo, exec_lo, s1
	s_cbranch_vccnz .LBB321_2163
; %bb.2154:
	v_cvt_f32_f64_e32 v2, v[0:1]
	s_mov_b32 s1, exec_lo
                                        ; implicit-def: $vgpr3
	s_delay_alu instid0(VALU_DEP_1) | instskip(NEXT) | instid1(VALU_DEP_1)
	v_and_b32_e32 v6, 0x7fffffff, v2
	v_cmpx_gt_u32_e32 0x47800000, v6
	s_xor_b32 s1, exec_lo, s1
	s_cbranch_execz .LBB321_2160
; %bb.2155:
	s_mov_b32 s4, exec_lo
                                        ; implicit-def: $vgpr3
	v_cmpx_lt_u32_e32 0x387fffff, v6
	s_xor_b32 s4, exec_lo, s4
; %bb.2156:
	v_bfe_u32 v3, v2, 21, 1
	s_delay_alu instid0(VALU_DEP_1) | instskip(NEXT) | instid1(VALU_DEP_1)
	v_add3_u32 v3, v2, v3, 0x80fffff
	v_lshrrev_b32_e32 v3, 21, v3
; %bb.2157:
	s_and_not1_saveexec_b32 s4, s4
; %bb.2158:
	v_add_f32_e64 v3, 0x43000000, |v2|
; %bb.2159:
	s_or_b32 exec_lo, exec_lo, s4
                                        ; implicit-def: $vgpr6
.LBB321_2160:
	s_and_not1_saveexec_b32 s1, s1
; %bb.2161:
	v_mov_b32_e32 v3, 0x7f
	v_cmp_lt_u32_e32 vcc_lo, 0x7f800000, v6
	s_delay_alu instid0(VALU_DEP_2)
	v_cndmask_b32_e32 v3, 0x7c, v3, vcc_lo
; %bb.2162:
	s_or_b32 exec_lo, exec_lo, s1
	v_lshrrev_b32_e32 v2, 24, v2
	s_delay_alu instid0(VALU_DEP_1)
	v_and_or_b32 v2, 0x80, v2, v3
	global_store_b8 v[4:5], v2, off
.LBB321_2163:
	s_mov_b32 s1, 0
.LBB321_2164:
	s_delay_alu instid0(SALU_CYCLE_1)
	s_and_not1_b32 vcc_lo, exec_lo, s1
	s_mov_b32 s1, 0
	s_cbranch_vccnz .LBB321_2171
; %bb.2165:
	v_cmp_gt_i16_e64 s1, s3, 14
	s_delay_alu instid0(VALU_DEP_1)
	s_and_b32 vcc_lo, exec_lo, s1
	s_mov_b32 s1, -1
	s_cbranch_vccz .LBB321_2169
; %bb.2166:
	v_cmp_eq_u16_e64 s0, s3, 15
	s_delay_alu instid0(VALU_DEP_1)
	s_and_b32 vcc_lo, exec_lo, s0
	s_mov_b32 s0, -1
	s_cbranch_vccz .LBB321_2168
; %bb.2167:
	v_cvt_f32_f64_e32 v2, v[0:1]
	s_mov_b32 s0, 0
	s_delay_alu instid0(VALU_DEP_1) | instskip(SKIP_1) | instid1(VALU_DEP_2)
	v_bfe_u32 v3, v2, 16, 1
	v_cmp_o_f32_e32 vcc_lo, v2, v2
	v_add3_u32 v3, v2, v3, 0x7fff
	s_delay_alu instid0(VALU_DEP_1) | instskip(NEXT) | instid1(VALU_DEP_1)
	v_lshrrev_b32_e32 v3, 16, v3
	v_cndmask_b32_e32 v2, 0x7fc0, v3, vcc_lo
	global_store_b16 v[4:5], v2, off
.LBB321_2168:
	s_mov_b32 s1, 0
.LBB321_2169:
	s_delay_alu instid0(SALU_CYCLE_1)
	s_and_b32 vcc_lo, exec_lo, s1
	s_mov_b32 s1, 0
	s_cbranch_vccz .LBB321_2171
; %bb.2170:
	v_cmp_ne_u16_e64 s0, s3, 11
	s_mov_b32 s1, -1
.LBB321_2171:
	s_delay_alu instid0(VALU_DEP_1)
	s_and_b32 vcc_lo, exec_lo, s0
	s_cbranch_vccnz .LBB321_2177
.LBB321_2172:
	s_mov_b32 s0, 0
	s_branch .LBB321_2050
.LBB321_2173:
	s_or_saveexec_b32 s6, s6
                                        ; implicit-def: $sgpr7
	s_delay_alu instid0(SALU_CYCLE_1)
	s_xor_b32 exec_lo, exec_lo, s6
	s_cbranch_execz .LBB321_2126
.LBB321_2174:
	v_add_f32_e64 v3, 0x46000000, |v2|
	s_and_not1_b32 s5, s5, exec_lo
	s_mov_b32 s7, 0
	s_delay_alu instid0(VALU_DEP_1) | instskip(NEXT) | instid1(VALU_DEP_1)
	v_and_b32_e32 v3, 0xff, v3
	v_cmp_ne_u32_e32 vcc_lo, 0, v3
	s_and_b32 s8, vcc_lo, exec_lo
	s_delay_alu instid0(SALU_CYCLE_1)
	s_or_b32 s5, s5, s8
	s_or_b32 exec_lo, exec_lo, s6
	v_mov_b32_e32 v6, s7
	s_and_saveexec_b32 s6, s5
	s_cbranch_execnz .LBB321_2127
	s_branch .LBB321_2128
.LBB321_2175:
	s_trap 2
	s_sendmsg_rtn_b32 s0, sendmsg(MSG_RTN_GET_DOORBELL)
	s_mov_b32 ttmp2, m0
	s_waitcnt lgkmcnt(0)
	s_and_b32 s0, s0, 0x3ff
	s_delay_alu instid0(SALU_CYCLE_1) | instskip(NEXT) | instid1(SALU_CYCLE_1)
	s_bitset1_b32 s0, 10
	s_mov_b32 m0, s0
	s_sendmsg sendmsg(MSG_INTERRUPT)
	s_mov_b32 m0, ttmp2
.LBB321_2176:                           ; =>This Inner Loop Header: Depth=1
	s_sethalt 5
	s_branch .LBB321_2176
.LBB321_2177:
	s_cbranch_execnz .LBB321_2181
; %bb.2178:
	s_mov_b32 s1, 0
	s_or_b32 s2, s2, exec_lo
	s_branch .LBB321_2172
.LBB321_2179:
	s_or_saveexec_b32 s5, s5
                                        ; implicit-def: $sgpr6
	s_delay_alu instid0(SALU_CYCLE_1)
	s_xor_b32 exec_lo, exec_lo, s5
	s_cbranch_execz .LBB321_2138
.LBB321_2180:
	v_add_f32_e64 v3, 0x42800000, |v2|
	s_and_not1_b32 s4, s4, exec_lo
	s_mov_b32 s6, 0
	s_delay_alu instid0(VALU_DEP_1) | instskip(NEXT) | instid1(VALU_DEP_1)
	v_and_b32_e32 v3, 0xff, v3
	v_cmp_ne_u32_e32 vcc_lo, 0, v3
	s_and_b32 s7, vcc_lo, exec_lo
	s_delay_alu instid0(SALU_CYCLE_1)
	s_or_b32 s4, s4, s7
	s_or_b32 exec_lo, exec_lo, s5
	v_mov_b32_e32 v6, s6
	s_and_saveexec_b32 s5, s4
	s_cbranch_execnz .LBB321_2139
	s_branch .LBB321_2140
.LBB321_2181:
	s_trap 2
	s_sendmsg_rtn_b32 s0, sendmsg(MSG_RTN_GET_DOORBELL)
	s_mov_b32 ttmp2, m0
	s_waitcnt lgkmcnt(0)
	s_and_b32 s0, s0, 0x3ff
	s_delay_alu instid0(SALU_CYCLE_1) | instskip(NEXT) | instid1(SALU_CYCLE_1)
	s_bitset1_b32 s0, 10
	s_mov_b32 m0, s0
	s_sendmsg sendmsg(MSG_INTERRUPT)
	s_mov_b32 m0, ttmp2
.LBB321_2182:                           ; =>This Inner Loop Header: Depth=1
	s_sethalt 5
	s_branch .LBB321_2182
	.section	.rodata,"a",@progbits
	.p2align	6, 0x0
	.amdhsa_kernel _ZN2at6native32elementwise_kernel_manual_unrollILi128ELi4EZNS0_15gpu_kernel_implIZZZNS0_17clamp_kernel_cudaERNS_18TensorIteratorBaseERKN3c106ScalarES8_ENKUlvE_clEvENKUlvE4_clEvEUldE_EEvS4_RKT_EUlibE0_EEviT1_
		.amdhsa_group_segment_fixed_size 0
		.amdhsa_private_segment_fixed_size 0
		.amdhsa_kernarg_size 376
		.amdhsa_user_sgpr_count 15
		.amdhsa_user_sgpr_dispatch_ptr 0
		.amdhsa_user_sgpr_queue_ptr 0
		.amdhsa_user_sgpr_kernarg_segment_ptr 1
		.amdhsa_user_sgpr_dispatch_id 0
		.amdhsa_user_sgpr_private_segment_size 0
		.amdhsa_wavefront_size32 1
		.amdhsa_uses_dynamic_stack 0
		.amdhsa_enable_private_segment 0
		.amdhsa_system_sgpr_workgroup_id_x 1
		.amdhsa_system_sgpr_workgroup_id_y 0
		.amdhsa_system_sgpr_workgroup_id_z 0
		.amdhsa_system_sgpr_workgroup_info 0
		.amdhsa_system_vgpr_workitem_id 0
		.amdhsa_next_free_vgpr 21
		.amdhsa_next_free_sgpr 72
		.amdhsa_reserve_vcc 1
		.amdhsa_float_round_mode_32 0
		.amdhsa_float_round_mode_16_64 0
		.amdhsa_float_denorm_mode_32 3
		.amdhsa_float_denorm_mode_16_64 3
		.amdhsa_dx10_clamp 1
		.amdhsa_ieee_mode 1
		.amdhsa_fp16_overflow 0
		.amdhsa_workgroup_processor_mode 1
		.amdhsa_memory_ordered 1
		.amdhsa_forward_progress 0
		.amdhsa_shared_vgpr_count 0
		.amdhsa_exception_fp_ieee_invalid_op 0
		.amdhsa_exception_fp_denorm_src 0
		.amdhsa_exception_fp_ieee_div_zero 0
		.amdhsa_exception_fp_ieee_overflow 0
		.amdhsa_exception_fp_ieee_underflow 0
		.amdhsa_exception_fp_ieee_inexact 0
		.amdhsa_exception_int_div_zero 0
	.end_amdhsa_kernel
	.section	.text._ZN2at6native32elementwise_kernel_manual_unrollILi128ELi4EZNS0_15gpu_kernel_implIZZZNS0_17clamp_kernel_cudaERNS_18TensorIteratorBaseERKN3c106ScalarES8_ENKUlvE_clEvENKUlvE4_clEvEUldE_EEvS4_RKT_EUlibE0_EEviT1_,"axG",@progbits,_ZN2at6native32elementwise_kernel_manual_unrollILi128ELi4EZNS0_15gpu_kernel_implIZZZNS0_17clamp_kernel_cudaERNS_18TensorIteratorBaseERKN3c106ScalarES8_ENKUlvE_clEvENKUlvE4_clEvEUldE_EEvS4_RKT_EUlibE0_EEviT1_,comdat
.Lfunc_end321:
	.size	_ZN2at6native32elementwise_kernel_manual_unrollILi128ELi4EZNS0_15gpu_kernel_implIZZZNS0_17clamp_kernel_cudaERNS_18TensorIteratorBaseERKN3c106ScalarES8_ENKUlvE_clEvENKUlvE4_clEvEUldE_EEvS4_RKT_EUlibE0_EEviT1_, .Lfunc_end321-_ZN2at6native32elementwise_kernel_manual_unrollILi128ELi4EZNS0_15gpu_kernel_implIZZZNS0_17clamp_kernel_cudaERNS_18TensorIteratorBaseERKN3c106ScalarES8_ENKUlvE_clEvENKUlvE4_clEvEUldE_EEvS4_RKT_EUlibE0_EEviT1_
                                        ; -- End function
	.section	.AMDGPU.csdata,"",@progbits
; Kernel info:
; codeLenInByte = 43000
; NumSgprs: 74
; NumVgprs: 21
; ScratchSize: 0
; MemoryBound: 1
; FloatMode: 240
; IeeeMode: 1
; LDSByteSize: 0 bytes/workgroup (compile time only)
; SGPRBlocks: 9
; VGPRBlocks: 2
; NumSGPRsForWavesPerEU: 74
; NumVGPRsForWavesPerEU: 21
; Occupancy: 16
; WaveLimiterHint : 1
; COMPUTE_PGM_RSRC2:SCRATCH_EN: 0
; COMPUTE_PGM_RSRC2:USER_SGPR: 15
; COMPUTE_PGM_RSRC2:TRAP_HANDLER: 0
; COMPUTE_PGM_RSRC2:TGID_X_EN: 1
; COMPUTE_PGM_RSRC2:TGID_Y_EN: 0
; COMPUTE_PGM_RSRC2:TGID_Z_EN: 0
; COMPUTE_PGM_RSRC2:TIDIG_COMP_CNT: 0
	.section	.text._ZN2at6native29vectorized_elementwise_kernelILi16EZZZNS0_17clamp_kernel_cudaERNS_18TensorIteratorBaseERKN3c106ScalarES7_ENKUlvE_clEvENKUlvE5_clEvEUlfE_St5arrayIPcLm2EEEEviT0_T1_,"axG",@progbits,_ZN2at6native29vectorized_elementwise_kernelILi16EZZZNS0_17clamp_kernel_cudaERNS_18TensorIteratorBaseERKN3c106ScalarES7_ENKUlvE_clEvENKUlvE5_clEvEUlfE_St5arrayIPcLm2EEEEviT0_T1_,comdat
	.globl	_ZN2at6native29vectorized_elementwise_kernelILi16EZZZNS0_17clamp_kernel_cudaERNS_18TensorIteratorBaseERKN3c106ScalarES7_ENKUlvE_clEvENKUlvE5_clEvEUlfE_St5arrayIPcLm2EEEEviT0_T1_ ; -- Begin function _ZN2at6native29vectorized_elementwise_kernelILi16EZZZNS0_17clamp_kernel_cudaERNS_18TensorIteratorBaseERKN3c106ScalarES7_ENKUlvE_clEvENKUlvE5_clEvEUlfE_St5arrayIPcLm2EEEEviT0_T1_
	.p2align	8
	.type	_ZN2at6native29vectorized_elementwise_kernelILi16EZZZNS0_17clamp_kernel_cudaERNS_18TensorIteratorBaseERKN3c106ScalarES7_ENKUlvE_clEvENKUlvE5_clEvEUlfE_St5arrayIPcLm2EEEEviT0_T1_,@function
_ZN2at6native29vectorized_elementwise_kernelILi16EZZZNS0_17clamp_kernel_cudaERNS_18TensorIteratorBaseERKN3c106ScalarES7_ENKUlvE_clEvENKUlvE5_clEvEUlfE_St5arrayIPcLm2EEEEviT0_T1_: ; @_ZN2at6native29vectorized_elementwise_kernelILi16EZZZNS0_17clamp_kernel_cudaERNS_18TensorIteratorBaseERKN3c106ScalarES7_ENKUlvE_clEvENKUlvE5_clEvEUlfE_St5arrayIPcLm2EEEEviT0_T1_
; %bb.0:
	s_load_b256 s[0:7], s[0:1], 0x0
	s_lshl_b32 s8, s15, 10
	s_waitcnt lgkmcnt(0)
	v_max_f32_e64 v3, s1, s1
	v_max_f32_e64 v4, s2, s2
	s_sub_i32 s3, s0, s8
	s_mov_b32 s0, -1
	s_cmpk_gt_i32 s3, 0x3ff
	s_cbranch_scc0 .LBB322_2
; %bb.1:
	s_ashr_i32 s9, s8, 31
	v_lshlrev_b32_e32 v1, 4, v0
	s_lshl_b64 s[0:1], s[8:9], 2
	s_delay_alu instid0(SALU_CYCLE_1)
	s_add_u32 s10, s6, s0
	s_addc_u32 s11, s7, s1
	global_load_b128 v[5:8], v1, s[10:11]
	s_add_u32 s10, s4, s0
	s_addc_u32 s11, s5, s1
	s_mov_b32 s0, 0
	s_waitcnt vmcnt(0)
	v_dual_max_f32 v2, v5, v5 :: v_dual_max_f32 v9, v6, v6
	v_max_f32_e32 v10, v7, v7
	v_cmp_u_f32_e32 vcc_lo, v5, v5
	s_delay_alu instid0(VALU_DEP_3) | instskip(NEXT) | instid1(VALU_DEP_4)
	v_maxmin_f32 v2, v2, v3, v4
	v_maxmin_f32 v9, v9, v3, v4
	s_delay_alu instid0(VALU_DEP_4) | instskip(NEXT) | instid1(VALU_DEP_3)
	v_maxmin_f32 v10, v10, v3, v4
	v_cndmask_b32_e32 v5, v2, v5, vcc_lo
	v_cmp_u_f32_e32 vcc_lo, v6, v6
	s_delay_alu instid0(VALU_DEP_4) | instskip(SKIP_1) | instid1(VALU_DEP_2)
	v_dual_max_f32 v11, v8, v8 :: v_dual_cndmask_b32 v6, v9, v6
	v_cmp_u_f32_e32 vcc_lo, v7, v7
	v_maxmin_f32 v11, v11, v3, v4
	v_cndmask_b32_e32 v7, v10, v7, vcc_lo
	v_cmp_u_f32_e32 vcc_lo, v8, v8
	s_delay_alu instid0(VALU_DEP_3)
	v_cndmask_b32_e32 v8, v11, v8, vcc_lo
	global_store_b128 v1, v[5:8], s[10:11]
.LBB322_2:
	s_and_not1_b32 vcc_lo, exec_lo, s0
	s_cbranch_vccnz .LBB322_16
; %bb.3:
	v_cmp_gt_i32_e32 vcc_lo, s3, v0
	v_dual_mov_b32 v6, 0 :: v_dual_mov_b32 v7, v0
	v_or_b32_e32 v1, s8, v0
	v_or_b32_e32 v5, 0x100, v0
	v_mov_b32_e32 v2, 0
	s_and_saveexec_b32 s1, vcc_lo
	s_cbranch_execz .LBB322_5
; %bb.4:
	v_mov_b32_e32 v2, 0
	s_delay_alu instid0(VALU_DEP_1) | instskip(NEXT) | instid1(VALU_DEP_1)
	v_lshlrev_b64 v[7:8], 2, v[1:2]
	v_add_co_u32 v7, s0, s6, v7
	s_delay_alu instid0(VALU_DEP_1)
	v_add_co_ci_u32_e64 v8, s0, s7, v8, s0
	global_load_b32 v2, v[7:8], off
	v_or_b32_e32 v7, 0x100, v0
.LBB322_5:
	s_or_b32 exec_lo, exec_lo, s1
	s_delay_alu instid0(SALU_CYCLE_1) | instskip(NEXT) | instid1(VALU_DEP_1)
	s_mov_b32 s1, exec_lo
	v_cmpx_gt_i32_e64 s3, v7
	s_cbranch_execz .LBB322_7
; %bb.6:
	v_dual_mov_b32 v9, 0 :: v_dual_add_nc_u32 v8, s8, v7
	v_add_nc_u32_e32 v7, 0x100, v7
	s_delay_alu instid0(VALU_DEP_2) | instskip(NEXT) | instid1(VALU_DEP_1)
	v_lshlrev_b64 v[8:9], 2, v[8:9]
	v_add_co_u32 v8, s0, s6, v8
	s_delay_alu instid0(VALU_DEP_1)
	v_add_co_ci_u32_e64 v9, s0, s7, v9, s0
	global_load_b32 v6, v[8:9], off
.LBB322_7:
	s_or_b32 exec_lo, exec_lo, s1
	v_dual_mov_b32 v8, 0 :: v_dual_mov_b32 v9, 0
	s_mov_b32 s1, exec_lo
	v_cmpx_gt_i32_e64 s3, v7
	s_cbranch_execz .LBB322_9
; %bb.8:
	v_dual_mov_b32 v10, 0 :: v_dual_add_nc_u32 v9, s8, v7
	v_add_nc_u32_e32 v7, 0x100, v7
	s_delay_alu instid0(VALU_DEP_2) | instskip(NEXT) | instid1(VALU_DEP_1)
	v_lshlrev_b64 v[9:10], 2, v[9:10]
	v_add_co_u32 v9, s0, s6, v9
	s_delay_alu instid0(VALU_DEP_1)
	v_add_co_ci_u32_e64 v10, s0, s7, v10, s0
	global_load_b32 v9, v[9:10], off
.LBB322_9:
	s_or_b32 exec_lo, exec_lo, s1
	s_delay_alu instid0(SALU_CYCLE_1)
	s_mov_b32 s1, exec_lo
	v_cmpx_gt_i32_e64 s3, v7
	s_cbranch_execz .LBB322_11
; %bb.10:
	v_dual_mov_b32 v8, 0 :: v_dual_add_nc_u32 v7, s8, v7
	s_delay_alu instid0(VALU_DEP_1) | instskip(NEXT) | instid1(VALU_DEP_1)
	v_lshlrev_b64 v[7:8], 2, v[7:8]
	v_add_co_u32 v7, s0, s6, v7
	s_delay_alu instid0(VALU_DEP_1)
	v_add_co_ci_u32_e64 v8, s0, s7, v8, s0
	global_load_b32 v8, v[7:8], off
.LBB322_11:
	s_or_b32 exec_lo, exec_lo, s1
	s_waitcnt vmcnt(0)
	v_dual_max_f32 v7, v2, v2 :: v_dual_max_f32 v12, v8, v8
	v_dual_max_f32 v10, v6, v6 :: v_dual_max_f32 v11, v9, v9
	v_cmp_u_f32_e64 s0, v2, v2
	s_delay_alu instid0(VALU_DEP_3) | instskip(NEXT) | instid1(VALU_DEP_3)
	v_maxmin_f32 v7, v7, v3, v4
	v_maxmin_f32 v10, v10, v3, v4
	s_delay_alu instid0(VALU_DEP_4) | instskip(SKIP_1) | instid1(VALU_DEP_4)
	v_maxmin_f32 v11, v11, v3, v4
	v_maxmin_f32 v3, v12, v3, v4
	v_cndmask_b32_e64 v7, v7, v2, s0
	v_cmp_u_f32_e64 s0, v6, v6
	s_delay_alu instid0(VALU_DEP_1) | instskip(SKIP_1) | instid1(VALU_DEP_1)
	v_cndmask_b32_e64 v6, v10, v6, s0
	v_cmp_u_f32_e64 s0, v9, v9
	v_cndmask_b32_e64 v4, v11, v9, s0
	v_cmp_u_f32_e64 s0, v8, v8
	s_delay_alu instid0(VALU_DEP_1)
	v_cndmask_b32_e64 v3, v3, v8, s0
	s_and_saveexec_b32 s0, vcc_lo
	s_cbranch_execnz .LBB322_17
; %bb.12:
	s_or_b32 exec_lo, exec_lo, s0
	s_delay_alu instid0(SALU_CYCLE_1)
	s_mov_b32 s0, exec_lo
	v_cmpx_gt_i32_e64 s3, v0
	s_cbranch_execnz .LBB322_18
.LBB322_13:
	s_or_b32 exec_lo, exec_lo, s0
	s_delay_alu instid0(SALU_CYCLE_1)
	s_mov_b32 s0, exec_lo
	v_cmpx_gt_i32_e64 s3, v0
	s_cbranch_execnz .LBB322_19
.LBB322_14:
	s_or_b32 exec_lo, exec_lo, s0
	s_delay_alu instid0(SALU_CYCLE_1)
	s_mov_b32 s0, exec_lo
	v_cmpx_gt_i32_e64 s3, v0
	s_cbranch_execz .LBB322_16
.LBB322_15:
	v_dual_mov_b32 v1, 0 :: v_dual_add_nc_u32 v0, s8, v0
	s_delay_alu instid0(VALU_DEP_1) | instskip(NEXT) | instid1(VALU_DEP_1)
	v_lshlrev_b64 v[0:1], 2, v[0:1]
	v_add_co_u32 v0, vcc_lo, s4, v0
	s_delay_alu instid0(VALU_DEP_2)
	v_add_co_ci_u32_e32 v1, vcc_lo, s5, v1, vcc_lo
	global_store_b32 v[0:1], v3, off
.LBB322_16:
	s_nop 0
	s_sendmsg sendmsg(MSG_DEALLOC_VGPRS)
	s_endpgm
.LBB322_17:
	v_mov_b32_e32 v2, 0
	s_delay_alu instid0(VALU_DEP_1) | instskip(NEXT) | instid1(VALU_DEP_1)
	v_lshlrev_b64 v[0:1], 2, v[1:2]
	v_add_co_u32 v8, vcc_lo, s4, v0
	s_delay_alu instid0(VALU_DEP_2) | instskip(SKIP_3) | instid1(SALU_CYCLE_1)
	v_add_co_ci_u32_e32 v9, vcc_lo, s5, v1, vcc_lo
	v_mov_b32_e32 v0, v5
	global_store_b32 v[8:9], v7, off
	s_or_b32 exec_lo, exec_lo, s0
	s_mov_b32 s0, exec_lo
	v_cmpx_gt_i32_e64 s3, v0
	s_cbranch_execz .LBB322_13
.LBB322_18:
	v_dual_mov_b32 v2, 0 :: v_dual_add_nc_u32 v1, s8, v0
	v_add_nc_u32_e32 v0, 0x100, v0
	s_delay_alu instid0(VALU_DEP_2) | instskip(NEXT) | instid1(VALU_DEP_1)
	v_lshlrev_b64 v[1:2], 2, v[1:2]
	v_add_co_u32 v1, vcc_lo, s4, v1
	s_delay_alu instid0(VALU_DEP_2) | instskip(SKIP_2) | instid1(SALU_CYCLE_1)
	v_add_co_ci_u32_e32 v2, vcc_lo, s5, v2, vcc_lo
	global_store_b32 v[1:2], v6, off
	s_or_b32 exec_lo, exec_lo, s0
	s_mov_b32 s0, exec_lo
	v_cmpx_gt_i32_e64 s3, v0
	s_cbranch_execz .LBB322_14
.LBB322_19:
	v_dual_mov_b32 v2, 0 :: v_dual_add_nc_u32 v1, s8, v0
	v_add_nc_u32_e32 v0, 0x100, v0
	s_delay_alu instid0(VALU_DEP_2) | instskip(NEXT) | instid1(VALU_DEP_1)
	v_lshlrev_b64 v[1:2], 2, v[1:2]
	v_add_co_u32 v1, vcc_lo, s4, v1
	s_delay_alu instid0(VALU_DEP_2) | instskip(SKIP_2) | instid1(SALU_CYCLE_1)
	v_add_co_ci_u32_e32 v2, vcc_lo, s5, v2, vcc_lo
	global_store_b32 v[1:2], v4, off
	s_or_b32 exec_lo, exec_lo, s0
	s_mov_b32 s0, exec_lo
	v_cmpx_gt_i32_e64 s3, v0
	s_cbranch_execnz .LBB322_15
	s_branch .LBB322_16
	.section	.rodata,"a",@progbits
	.p2align	6, 0x0
	.amdhsa_kernel _ZN2at6native29vectorized_elementwise_kernelILi16EZZZNS0_17clamp_kernel_cudaERNS_18TensorIteratorBaseERKN3c106ScalarES7_ENKUlvE_clEvENKUlvE5_clEvEUlfE_St5arrayIPcLm2EEEEviT0_T1_
		.amdhsa_group_segment_fixed_size 0
		.amdhsa_private_segment_fixed_size 0
		.amdhsa_kernarg_size 32
		.amdhsa_user_sgpr_count 15
		.amdhsa_user_sgpr_dispatch_ptr 0
		.amdhsa_user_sgpr_queue_ptr 0
		.amdhsa_user_sgpr_kernarg_segment_ptr 1
		.amdhsa_user_sgpr_dispatch_id 0
		.amdhsa_user_sgpr_private_segment_size 0
		.amdhsa_wavefront_size32 1
		.amdhsa_uses_dynamic_stack 0
		.amdhsa_enable_private_segment 0
		.amdhsa_system_sgpr_workgroup_id_x 1
		.amdhsa_system_sgpr_workgroup_id_y 0
		.amdhsa_system_sgpr_workgroup_id_z 0
		.amdhsa_system_sgpr_workgroup_info 0
		.amdhsa_system_vgpr_workitem_id 0
		.amdhsa_next_free_vgpr 13
		.amdhsa_next_free_sgpr 16
		.amdhsa_reserve_vcc 1
		.amdhsa_float_round_mode_32 0
		.amdhsa_float_round_mode_16_64 0
		.amdhsa_float_denorm_mode_32 3
		.amdhsa_float_denorm_mode_16_64 3
		.amdhsa_dx10_clamp 1
		.amdhsa_ieee_mode 1
		.amdhsa_fp16_overflow 0
		.amdhsa_workgroup_processor_mode 1
		.amdhsa_memory_ordered 1
		.amdhsa_forward_progress 0
		.amdhsa_shared_vgpr_count 0
		.amdhsa_exception_fp_ieee_invalid_op 0
		.amdhsa_exception_fp_denorm_src 0
		.amdhsa_exception_fp_ieee_div_zero 0
		.amdhsa_exception_fp_ieee_overflow 0
		.amdhsa_exception_fp_ieee_underflow 0
		.amdhsa_exception_fp_ieee_inexact 0
		.amdhsa_exception_int_div_zero 0
	.end_amdhsa_kernel
	.section	.text._ZN2at6native29vectorized_elementwise_kernelILi16EZZZNS0_17clamp_kernel_cudaERNS_18TensorIteratorBaseERKN3c106ScalarES7_ENKUlvE_clEvENKUlvE5_clEvEUlfE_St5arrayIPcLm2EEEEviT0_T1_,"axG",@progbits,_ZN2at6native29vectorized_elementwise_kernelILi16EZZZNS0_17clamp_kernel_cudaERNS_18TensorIteratorBaseERKN3c106ScalarES7_ENKUlvE_clEvENKUlvE5_clEvEUlfE_St5arrayIPcLm2EEEEviT0_T1_,comdat
.Lfunc_end322:
	.size	_ZN2at6native29vectorized_elementwise_kernelILi16EZZZNS0_17clamp_kernel_cudaERNS_18TensorIteratorBaseERKN3c106ScalarES7_ENKUlvE_clEvENKUlvE5_clEvEUlfE_St5arrayIPcLm2EEEEviT0_T1_, .Lfunc_end322-_ZN2at6native29vectorized_elementwise_kernelILi16EZZZNS0_17clamp_kernel_cudaERNS_18TensorIteratorBaseERKN3c106ScalarES7_ENKUlvE_clEvENKUlvE5_clEvEUlfE_St5arrayIPcLm2EEEEviT0_T1_
                                        ; -- End function
	.section	.AMDGPU.csdata,"",@progbits
; Kernel info:
; codeLenInByte = 1016
; NumSgprs: 18
; NumVgprs: 13
; ScratchSize: 0
; MemoryBound: 0
; FloatMode: 240
; IeeeMode: 1
; LDSByteSize: 0 bytes/workgroup (compile time only)
; SGPRBlocks: 2
; VGPRBlocks: 1
; NumSGPRsForWavesPerEU: 18
; NumVGPRsForWavesPerEU: 13
; Occupancy: 16
; WaveLimiterHint : 0
; COMPUTE_PGM_RSRC2:SCRATCH_EN: 0
; COMPUTE_PGM_RSRC2:USER_SGPR: 15
; COMPUTE_PGM_RSRC2:TRAP_HANDLER: 0
; COMPUTE_PGM_RSRC2:TGID_X_EN: 1
; COMPUTE_PGM_RSRC2:TGID_Y_EN: 0
; COMPUTE_PGM_RSRC2:TGID_Z_EN: 0
; COMPUTE_PGM_RSRC2:TIDIG_COMP_CNT: 0
	.section	.text._ZN2at6native29vectorized_elementwise_kernelILi8EZZZNS0_17clamp_kernel_cudaERNS_18TensorIteratorBaseERKN3c106ScalarES7_ENKUlvE_clEvENKUlvE5_clEvEUlfE_St5arrayIPcLm2EEEEviT0_T1_,"axG",@progbits,_ZN2at6native29vectorized_elementwise_kernelILi8EZZZNS0_17clamp_kernel_cudaERNS_18TensorIteratorBaseERKN3c106ScalarES7_ENKUlvE_clEvENKUlvE5_clEvEUlfE_St5arrayIPcLm2EEEEviT0_T1_,comdat
	.globl	_ZN2at6native29vectorized_elementwise_kernelILi8EZZZNS0_17clamp_kernel_cudaERNS_18TensorIteratorBaseERKN3c106ScalarES7_ENKUlvE_clEvENKUlvE5_clEvEUlfE_St5arrayIPcLm2EEEEviT0_T1_ ; -- Begin function _ZN2at6native29vectorized_elementwise_kernelILi8EZZZNS0_17clamp_kernel_cudaERNS_18TensorIteratorBaseERKN3c106ScalarES7_ENKUlvE_clEvENKUlvE5_clEvEUlfE_St5arrayIPcLm2EEEEviT0_T1_
	.p2align	8
	.type	_ZN2at6native29vectorized_elementwise_kernelILi8EZZZNS0_17clamp_kernel_cudaERNS_18TensorIteratorBaseERKN3c106ScalarES7_ENKUlvE_clEvENKUlvE5_clEvEUlfE_St5arrayIPcLm2EEEEviT0_T1_,@function
_ZN2at6native29vectorized_elementwise_kernelILi8EZZZNS0_17clamp_kernel_cudaERNS_18TensorIteratorBaseERKN3c106ScalarES7_ENKUlvE_clEvENKUlvE5_clEvEUlfE_St5arrayIPcLm2EEEEviT0_T1_: ; @_ZN2at6native29vectorized_elementwise_kernelILi8EZZZNS0_17clamp_kernel_cudaERNS_18TensorIteratorBaseERKN3c106ScalarES7_ENKUlvE_clEvENKUlvE5_clEvEUlfE_St5arrayIPcLm2EEEEviT0_T1_
; %bb.0:
	s_load_b256 s[0:7], s[0:1], 0x0
	s_lshl_b32 s8, s15, 10
	s_waitcnt lgkmcnt(0)
	v_max_f32_e64 v3, s1, s1
	v_max_f32_e64 v4, s2, s2
	s_sub_i32 s3, s0, s8
	s_mov_b32 s0, -1
	s_cmpk_gt_i32 s3, 0x3ff
	s_cbranch_scc0 .LBB323_2
; %bb.1:
	s_ashr_i32 s9, s8, 31
	v_lshlrev_b32_e32 v1, 4, v0
	s_lshl_b64 s[0:1], s[8:9], 2
	s_delay_alu instid0(SALU_CYCLE_1)
	s_add_u32 s10, s6, s0
	s_addc_u32 s11, s7, s1
	global_load_b128 v[5:8], v1, s[10:11]
	s_add_u32 s10, s4, s0
	s_addc_u32 s11, s5, s1
	s_mov_b32 s0, 0
	s_waitcnt vmcnt(0)
	v_dual_max_f32 v2, v5, v5 :: v_dual_max_f32 v9, v6, v6
	v_max_f32_e32 v10, v7, v7
	v_cmp_u_f32_e32 vcc_lo, v5, v5
	s_delay_alu instid0(VALU_DEP_3) | instskip(NEXT) | instid1(VALU_DEP_4)
	v_maxmin_f32 v2, v2, v3, v4
	v_maxmin_f32 v9, v9, v3, v4
	s_delay_alu instid0(VALU_DEP_4) | instskip(NEXT) | instid1(VALU_DEP_3)
	v_maxmin_f32 v10, v10, v3, v4
	v_cndmask_b32_e32 v5, v2, v5, vcc_lo
	v_cmp_u_f32_e32 vcc_lo, v6, v6
	s_delay_alu instid0(VALU_DEP_4) | instskip(SKIP_1) | instid1(VALU_DEP_2)
	v_dual_max_f32 v11, v8, v8 :: v_dual_cndmask_b32 v6, v9, v6
	v_cmp_u_f32_e32 vcc_lo, v7, v7
	v_maxmin_f32 v11, v11, v3, v4
	v_cndmask_b32_e32 v7, v10, v7, vcc_lo
	v_cmp_u_f32_e32 vcc_lo, v8, v8
	s_delay_alu instid0(VALU_DEP_3)
	v_cndmask_b32_e32 v8, v11, v8, vcc_lo
	global_store_b128 v1, v[5:8], s[10:11]
.LBB323_2:
	s_and_not1_b32 vcc_lo, exec_lo, s0
	s_cbranch_vccnz .LBB323_16
; %bb.3:
	v_cmp_gt_i32_e32 vcc_lo, s3, v0
	v_dual_mov_b32 v6, 0 :: v_dual_mov_b32 v7, v0
	v_or_b32_e32 v1, s8, v0
	v_or_b32_e32 v5, 0x100, v0
	v_mov_b32_e32 v2, 0
	s_and_saveexec_b32 s1, vcc_lo
	s_cbranch_execz .LBB323_5
; %bb.4:
	v_mov_b32_e32 v2, 0
	s_delay_alu instid0(VALU_DEP_1) | instskip(NEXT) | instid1(VALU_DEP_1)
	v_lshlrev_b64 v[7:8], 2, v[1:2]
	v_add_co_u32 v7, s0, s6, v7
	s_delay_alu instid0(VALU_DEP_1)
	v_add_co_ci_u32_e64 v8, s0, s7, v8, s0
	global_load_b32 v2, v[7:8], off
	v_or_b32_e32 v7, 0x100, v0
.LBB323_5:
	s_or_b32 exec_lo, exec_lo, s1
	s_delay_alu instid0(SALU_CYCLE_1) | instskip(NEXT) | instid1(VALU_DEP_1)
	s_mov_b32 s1, exec_lo
	v_cmpx_gt_i32_e64 s3, v7
	s_cbranch_execz .LBB323_7
; %bb.6:
	v_dual_mov_b32 v9, 0 :: v_dual_add_nc_u32 v8, s8, v7
	v_add_nc_u32_e32 v7, 0x100, v7
	s_delay_alu instid0(VALU_DEP_2) | instskip(NEXT) | instid1(VALU_DEP_1)
	v_lshlrev_b64 v[8:9], 2, v[8:9]
	v_add_co_u32 v8, s0, s6, v8
	s_delay_alu instid0(VALU_DEP_1)
	v_add_co_ci_u32_e64 v9, s0, s7, v9, s0
	global_load_b32 v6, v[8:9], off
.LBB323_7:
	s_or_b32 exec_lo, exec_lo, s1
	v_dual_mov_b32 v8, 0 :: v_dual_mov_b32 v9, 0
	s_mov_b32 s1, exec_lo
	v_cmpx_gt_i32_e64 s3, v7
	s_cbranch_execz .LBB323_9
; %bb.8:
	v_dual_mov_b32 v10, 0 :: v_dual_add_nc_u32 v9, s8, v7
	v_add_nc_u32_e32 v7, 0x100, v7
	s_delay_alu instid0(VALU_DEP_2) | instskip(NEXT) | instid1(VALU_DEP_1)
	v_lshlrev_b64 v[9:10], 2, v[9:10]
	v_add_co_u32 v9, s0, s6, v9
	s_delay_alu instid0(VALU_DEP_1)
	v_add_co_ci_u32_e64 v10, s0, s7, v10, s0
	global_load_b32 v9, v[9:10], off
.LBB323_9:
	s_or_b32 exec_lo, exec_lo, s1
	s_delay_alu instid0(SALU_CYCLE_1)
	s_mov_b32 s1, exec_lo
	v_cmpx_gt_i32_e64 s3, v7
	s_cbranch_execz .LBB323_11
; %bb.10:
	v_dual_mov_b32 v8, 0 :: v_dual_add_nc_u32 v7, s8, v7
	s_delay_alu instid0(VALU_DEP_1) | instskip(NEXT) | instid1(VALU_DEP_1)
	v_lshlrev_b64 v[7:8], 2, v[7:8]
	v_add_co_u32 v7, s0, s6, v7
	s_delay_alu instid0(VALU_DEP_1)
	v_add_co_ci_u32_e64 v8, s0, s7, v8, s0
	global_load_b32 v8, v[7:8], off
.LBB323_11:
	s_or_b32 exec_lo, exec_lo, s1
	s_waitcnt vmcnt(0)
	v_dual_max_f32 v7, v2, v2 :: v_dual_max_f32 v12, v8, v8
	v_dual_max_f32 v10, v6, v6 :: v_dual_max_f32 v11, v9, v9
	v_cmp_u_f32_e64 s0, v2, v2
	s_delay_alu instid0(VALU_DEP_3) | instskip(NEXT) | instid1(VALU_DEP_3)
	v_maxmin_f32 v7, v7, v3, v4
	v_maxmin_f32 v10, v10, v3, v4
	s_delay_alu instid0(VALU_DEP_4) | instskip(SKIP_1) | instid1(VALU_DEP_4)
	v_maxmin_f32 v11, v11, v3, v4
	v_maxmin_f32 v3, v12, v3, v4
	v_cndmask_b32_e64 v7, v7, v2, s0
	v_cmp_u_f32_e64 s0, v6, v6
	s_delay_alu instid0(VALU_DEP_1) | instskip(SKIP_1) | instid1(VALU_DEP_1)
	v_cndmask_b32_e64 v6, v10, v6, s0
	v_cmp_u_f32_e64 s0, v9, v9
	v_cndmask_b32_e64 v4, v11, v9, s0
	v_cmp_u_f32_e64 s0, v8, v8
	s_delay_alu instid0(VALU_DEP_1)
	v_cndmask_b32_e64 v3, v3, v8, s0
	s_and_saveexec_b32 s0, vcc_lo
	s_cbranch_execnz .LBB323_17
; %bb.12:
	s_or_b32 exec_lo, exec_lo, s0
	s_delay_alu instid0(SALU_CYCLE_1)
	s_mov_b32 s0, exec_lo
	v_cmpx_gt_i32_e64 s3, v0
	s_cbranch_execnz .LBB323_18
.LBB323_13:
	s_or_b32 exec_lo, exec_lo, s0
	s_delay_alu instid0(SALU_CYCLE_1)
	s_mov_b32 s0, exec_lo
	v_cmpx_gt_i32_e64 s3, v0
	s_cbranch_execnz .LBB323_19
.LBB323_14:
	s_or_b32 exec_lo, exec_lo, s0
	s_delay_alu instid0(SALU_CYCLE_1)
	s_mov_b32 s0, exec_lo
	v_cmpx_gt_i32_e64 s3, v0
	s_cbranch_execz .LBB323_16
.LBB323_15:
	v_dual_mov_b32 v1, 0 :: v_dual_add_nc_u32 v0, s8, v0
	s_delay_alu instid0(VALU_DEP_1) | instskip(NEXT) | instid1(VALU_DEP_1)
	v_lshlrev_b64 v[0:1], 2, v[0:1]
	v_add_co_u32 v0, vcc_lo, s4, v0
	s_delay_alu instid0(VALU_DEP_2)
	v_add_co_ci_u32_e32 v1, vcc_lo, s5, v1, vcc_lo
	global_store_b32 v[0:1], v3, off
.LBB323_16:
	s_nop 0
	s_sendmsg sendmsg(MSG_DEALLOC_VGPRS)
	s_endpgm
.LBB323_17:
	v_mov_b32_e32 v2, 0
	s_delay_alu instid0(VALU_DEP_1) | instskip(NEXT) | instid1(VALU_DEP_1)
	v_lshlrev_b64 v[0:1], 2, v[1:2]
	v_add_co_u32 v8, vcc_lo, s4, v0
	s_delay_alu instid0(VALU_DEP_2) | instskip(SKIP_3) | instid1(SALU_CYCLE_1)
	v_add_co_ci_u32_e32 v9, vcc_lo, s5, v1, vcc_lo
	v_mov_b32_e32 v0, v5
	global_store_b32 v[8:9], v7, off
	s_or_b32 exec_lo, exec_lo, s0
	s_mov_b32 s0, exec_lo
	v_cmpx_gt_i32_e64 s3, v0
	s_cbranch_execz .LBB323_13
.LBB323_18:
	v_dual_mov_b32 v2, 0 :: v_dual_add_nc_u32 v1, s8, v0
	v_add_nc_u32_e32 v0, 0x100, v0
	s_delay_alu instid0(VALU_DEP_2) | instskip(NEXT) | instid1(VALU_DEP_1)
	v_lshlrev_b64 v[1:2], 2, v[1:2]
	v_add_co_u32 v1, vcc_lo, s4, v1
	s_delay_alu instid0(VALU_DEP_2) | instskip(SKIP_2) | instid1(SALU_CYCLE_1)
	v_add_co_ci_u32_e32 v2, vcc_lo, s5, v2, vcc_lo
	global_store_b32 v[1:2], v6, off
	s_or_b32 exec_lo, exec_lo, s0
	s_mov_b32 s0, exec_lo
	v_cmpx_gt_i32_e64 s3, v0
	s_cbranch_execz .LBB323_14
.LBB323_19:
	v_dual_mov_b32 v2, 0 :: v_dual_add_nc_u32 v1, s8, v0
	v_add_nc_u32_e32 v0, 0x100, v0
	s_delay_alu instid0(VALU_DEP_2) | instskip(NEXT) | instid1(VALU_DEP_1)
	v_lshlrev_b64 v[1:2], 2, v[1:2]
	v_add_co_u32 v1, vcc_lo, s4, v1
	s_delay_alu instid0(VALU_DEP_2) | instskip(SKIP_2) | instid1(SALU_CYCLE_1)
	v_add_co_ci_u32_e32 v2, vcc_lo, s5, v2, vcc_lo
	global_store_b32 v[1:2], v4, off
	s_or_b32 exec_lo, exec_lo, s0
	s_mov_b32 s0, exec_lo
	v_cmpx_gt_i32_e64 s3, v0
	s_cbranch_execnz .LBB323_15
	s_branch .LBB323_16
	.section	.rodata,"a",@progbits
	.p2align	6, 0x0
	.amdhsa_kernel _ZN2at6native29vectorized_elementwise_kernelILi8EZZZNS0_17clamp_kernel_cudaERNS_18TensorIteratorBaseERKN3c106ScalarES7_ENKUlvE_clEvENKUlvE5_clEvEUlfE_St5arrayIPcLm2EEEEviT0_T1_
		.amdhsa_group_segment_fixed_size 0
		.amdhsa_private_segment_fixed_size 0
		.amdhsa_kernarg_size 32
		.amdhsa_user_sgpr_count 15
		.amdhsa_user_sgpr_dispatch_ptr 0
		.amdhsa_user_sgpr_queue_ptr 0
		.amdhsa_user_sgpr_kernarg_segment_ptr 1
		.amdhsa_user_sgpr_dispatch_id 0
		.amdhsa_user_sgpr_private_segment_size 0
		.amdhsa_wavefront_size32 1
		.amdhsa_uses_dynamic_stack 0
		.amdhsa_enable_private_segment 0
		.amdhsa_system_sgpr_workgroup_id_x 1
		.amdhsa_system_sgpr_workgroup_id_y 0
		.amdhsa_system_sgpr_workgroup_id_z 0
		.amdhsa_system_sgpr_workgroup_info 0
		.amdhsa_system_vgpr_workitem_id 0
		.amdhsa_next_free_vgpr 13
		.amdhsa_next_free_sgpr 16
		.amdhsa_reserve_vcc 1
		.amdhsa_float_round_mode_32 0
		.amdhsa_float_round_mode_16_64 0
		.amdhsa_float_denorm_mode_32 3
		.amdhsa_float_denorm_mode_16_64 3
		.amdhsa_dx10_clamp 1
		.amdhsa_ieee_mode 1
		.amdhsa_fp16_overflow 0
		.amdhsa_workgroup_processor_mode 1
		.amdhsa_memory_ordered 1
		.amdhsa_forward_progress 0
		.amdhsa_shared_vgpr_count 0
		.amdhsa_exception_fp_ieee_invalid_op 0
		.amdhsa_exception_fp_denorm_src 0
		.amdhsa_exception_fp_ieee_div_zero 0
		.amdhsa_exception_fp_ieee_overflow 0
		.amdhsa_exception_fp_ieee_underflow 0
		.amdhsa_exception_fp_ieee_inexact 0
		.amdhsa_exception_int_div_zero 0
	.end_amdhsa_kernel
	.section	.text._ZN2at6native29vectorized_elementwise_kernelILi8EZZZNS0_17clamp_kernel_cudaERNS_18TensorIteratorBaseERKN3c106ScalarES7_ENKUlvE_clEvENKUlvE5_clEvEUlfE_St5arrayIPcLm2EEEEviT0_T1_,"axG",@progbits,_ZN2at6native29vectorized_elementwise_kernelILi8EZZZNS0_17clamp_kernel_cudaERNS_18TensorIteratorBaseERKN3c106ScalarES7_ENKUlvE_clEvENKUlvE5_clEvEUlfE_St5arrayIPcLm2EEEEviT0_T1_,comdat
.Lfunc_end323:
	.size	_ZN2at6native29vectorized_elementwise_kernelILi8EZZZNS0_17clamp_kernel_cudaERNS_18TensorIteratorBaseERKN3c106ScalarES7_ENKUlvE_clEvENKUlvE5_clEvEUlfE_St5arrayIPcLm2EEEEviT0_T1_, .Lfunc_end323-_ZN2at6native29vectorized_elementwise_kernelILi8EZZZNS0_17clamp_kernel_cudaERNS_18TensorIteratorBaseERKN3c106ScalarES7_ENKUlvE_clEvENKUlvE5_clEvEUlfE_St5arrayIPcLm2EEEEviT0_T1_
                                        ; -- End function
	.section	.AMDGPU.csdata,"",@progbits
; Kernel info:
; codeLenInByte = 1016
; NumSgprs: 18
; NumVgprs: 13
; ScratchSize: 0
; MemoryBound: 0
; FloatMode: 240
; IeeeMode: 1
; LDSByteSize: 0 bytes/workgroup (compile time only)
; SGPRBlocks: 2
; VGPRBlocks: 1
; NumSGPRsForWavesPerEU: 18
; NumVGPRsForWavesPerEU: 13
; Occupancy: 16
; WaveLimiterHint : 0
; COMPUTE_PGM_RSRC2:SCRATCH_EN: 0
; COMPUTE_PGM_RSRC2:USER_SGPR: 15
; COMPUTE_PGM_RSRC2:TRAP_HANDLER: 0
; COMPUTE_PGM_RSRC2:TGID_X_EN: 1
; COMPUTE_PGM_RSRC2:TGID_Y_EN: 0
; COMPUTE_PGM_RSRC2:TGID_Z_EN: 0
; COMPUTE_PGM_RSRC2:TIDIG_COMP_CNT: 0
	.section	.text._ZN2at6native29vectorized_elementwise_kernelILi4EZZZNS0_17clamp_kernel_cudaERNS_18TensorIteratorBaseERKN3c106ScalarES7_ENKUlvE_clEvENKUlvE5_clEvEUlfE_St5arrayIPcLm2EEEEviT0_T1_,"axG",@progbits,_ZN2at6native29vectorized_elementwise_kernelILi4EZZZNS0_17clamp_kernel_cudaERNS_18TensorIteratorBaseERKN3c106ScalarES7_ENKUlvE_clEvENKUlvE5_clEvEUlfE_St5arrayIPcLm2EEEEviT0_T1_,comdat
	.globl	_ZN2at6native29vectorized_elementwise_kernelILi4EZZZNS0_17clamp_kernel_cudaERNS_18TensorIteratorBaseERKN3c106ScalarES7_ENKUlvE_clEvENKUlvE5_clEvEUlfE_St5arrayIPcLm2EEEEviT0_T1_ ; -- Begin function _ZN2at6native29vectorized_elementwise_kernelILi4EZZZNS0_17clamp_kernel_cudaERNS_18TensorIteratorBaseERKN3c106ScalarES7_ENKUlvE_clEvENKUlvE5_clEvEUlfE_St5arrayIPcLm2EEEEviT0_T1_
	.p2align	8
	.type	_ZN2at6native29vectorized_elementwise_kernelILi4EZZZNS0_17clamp_kernel_cudaERNS_18TensorIteratorBaseERKN3c106ScalarES7_ENKUlvE_clEvENKUlvE5_clEvEUlfE_St5arrayIPcLm2EEEEviT0_T1_,@function
_ZN2at6native29vectorized_elementwise_kernelILi4EZZZNS0_17clamp_kernel_cudaERNS_18TensorIteratorBaseERKN3c106ScalarES7_ENKUlvE_clEvENKUlvE5_clEvEUlfE_St5arrayIPcLm2EEEEviT0_T1_: ; @_ZN2at6native29vectorized_elementwise_kernelILi4EZZZNS0_17clamp_kernel_cudaERNS_18TensorIteratorBaseERKN3c106ScalarES7_ENKUlvE_clEvENKUlvE5_clEvEUlfE_St5arrayIPcLm2EEEEviT0_T1_
; %bb.0:
	s_load_b256 s[0:7], s[0:1], 0x0
	s_lshl_b32 s8, s15, 10
	s_waitcnt lgkmcnt(0)
	v_max_f32_e64 v3, s1, s1
	v_max_f32_e64 v4, s2, s2
	s_sub_i32 s3, s0, s8
	s_mov_b32 s0, -1
	s_cmpk_gt_i32 s3, 0x3ff
	s_cbranch_scc0 .LBB324_2
; %bb.1:
	s_ashr_i32 s9, s8, 31
	v_lshlrev_b32_e32 v1, 4, v0
	s_lshl_b64 s[0:1], s[8:9], 2
	s_delay_alu instid0(SALU_CYCLE_1)
	s_add_u32 s10, s6, s0
	s_addc_u32 s11, s7, s1
	global_load_b128 v[5:8], v1, s[10:11]
	s_add_u32 s10, s4, s0
	s_addc_u32 s11, s5, s1
	s_mov_b32 s0, 0
	s_waitcnt vmcnt(0)
	v_dual_max_f32 v2, v5, v5 :: v_dual_max_f32 v9, v6, v6
	v_max_f32_e32 v10, v7, v7
	v_cmp_u_f32_e32 vcc_lo, v5, v5
	s_delay_alu instid0(VALU_DEP_3) | instskip(NEXT) | instid1(VALU_DEP_4)
	v_maxmin_f32 v2, v2, v3, v4
	v_maxmin_f32 v9, v9, v3, v4
	s_delay_alu instid0(VALU_DEP_4) | instskip(NEXT) | instid1(VALU_DEP_3)
	v_maxmin_f32 v10, v10, v3, v4
	v_cndmask_b32_e32 v5, v2, v5, vcc_lo
	v_cmp_u_f32_e32 vcc_lo, v6, v6
	s_delay_alu instid0(VALU_DEP_4) | instskip(SKIP_1) | instid1(VALU_DEP_2)
	v_dual_max_f32 v11, v8, v8 :: v_dual_cndmask_b32 v6, v9, v6
	v_cmp_u_f32_e32 vcc_lo, v7, v7
	v_maxmin_f32 v11, v11, v3, v4
	v_cndmask_b32_e32 v7, v10, v7, vcc_lo
	v_cmp_u_f32_e32 vcc_lo, v8, v8
	s_delay_alu instid0(VALU_DEP_3)
	v_cndmask_b32_e32 v8, v11, v8, vcc_lo
	global_store_b128 v1, v[5:8], s[10:11]
.LBB324_2:
	s_and_not1_b32 vcc_lo, exec_lo, s0
	s_cbranch_vccnz .LBB324_16
; %bb.3:
	v_cmp_gt_i32_e32 vcc_lo, s3, v0
	v_dual_mov_b32 v6, 0 :: v_dual_mov_b32 v7, v0
	v_or_b32_e32 v1, s8, v0
	v_or_b32_e32 v5, 0x100, v0
	v_mov_b32_e32 v2, 0
	s_and_saveexec_b32 s1, vcc_lo
	s_cbranch_execz .LBB324_5
; %bb.4:
	v_mov_b32_e32 v2, 0
	s_delay_alu instid0(VALU_DEP_1) | instskip(NEXT) | instid1(VALU_DEP_1)
	v_lshlrev_b64 v[7:8], 2, v[1:2]
	v_add_co_u32 v7, s0, s6, v7
	s_delay_alu instid0(VALU_DEP_1)
	v_add_co_ci_u32_e64 v8, s0, s7, v8, s0
	global_load_b32 v2, v[7:8], off
	v_or_b32_e32 v7, 0x100, v0
.LBB324_5:
	s_or_b32 exec_lo, exec_lo, s1
	s_delay_alu instid0(SALU_CYCLE_1) | instskip(NEXT) | instid1(VALU_DEP_1)
	s_mov_b32 s1, exec_lo
	v_cmpx_gt_i32_e64 s3, v7
	s_cbranch_execz .LBB324_7
; %bb.6:
	v_dual_mov_b32 v9, 0 :: v_dual_add_nc_u32 v8, s8, v7
	v_add_nc_u32_e32 v7, 0x100, v7
	s_delay_alu instid0(VALU_DEP_2) | instskip(NEXT) | instid1(VALU_DEP_1)
	v_lshlrev_b64 v[8:9], 2, v[8:9]
	v_add_co_u32 v8, s0, s6, v8
	s_delay_alu instid0(VALU_DEP_1)
	v_add_co_ci_u32_e64 v9, s0, s7, v9, s0
	global_load_b32 v6, v[8:9], off
.LBB324_7:
	s_or_b32 exec_lo, exec_lo, s1
	v_dual_mov_b32 v8, 0 :: v_dual_mov_b32 v9, 0
	s_mov_b32 s1, exec_lo
	v_cmpx_gt_i32_e64 s3, v7
	s_cbranch_execz .LBB324_9
; %bb.8:
	v_dual_mov_b32 v10, 0 :: v_dual_add_nc_u32 v9, s8, v7
	v_add_nc_u32_e32 v7, 0x100, v7
	s_delay_alu instid0(VALU_DEP_2) | instskip(NEXT) | instid1(VALU_DEP_1)
	v_lshlrev_b64 v[9:10], 2, v[9:10]
	v_add_co_u32 v9, s0, s6, v9
	s_delay_alu instid0(VALU_DEP_1)
	v_add_co_ci_u32_e64 v10, s0, s7, v10, s0
	global_load_b32 v9, v[9:10], off
.LBB324_9:
	s_or_b32 exec_lo, exec_lo, s1
	s_delay_alu instid0(SALU_CYCLE_1)
	s_mov_b32 s1, exec_lo
	v_cmpx_gt_i32_e64 s3, v7
	s_cbranch_execz .LBB324_11
; %bb.10:
	v_dual_mov_b32 v8, 0 :: v_dual_add_nc_u32 v7, s8, v7
	s_delay_alu instid0(VALU_DEP_1) | instskip(NEXT) | instid1(VALU_DEP_1)
	v_lshlrev_b64 v[7:8], 2, v[7:8]
	v_add_co_u32 v7, s0, s6, v7
	s_delay_alu instid0(VALU_DEP_1)
	v_add_co_ci_u32_e64 v8, s0, s7, v8, s0
	global_load_b32 v8, v[7:8], off
.LBB324_11:
	s_or_b32 exec_lo, exec_lo, s1
	s_waitcnt vmcnt(0)
	v_dual_max_f32 v7, v2, v2 :: v_dual_max_f32 v12, v8, v8
	v_dual_max_f32 v10, v6, v6 :: v_dual_max_f32 v11, v9, v9
	v_cmp_u_f32_e64 s0, v2, v2
	s_delay_alu instid0(VALU_DEP_3) | instskip(NEXT) | instid1(VALU_DEP_3)
	v_maxmin_f32 v7, v7, v3, v4
	v_maxmin_f32 v10, v10, v3, v4
	s_delay_alu instid0(VALU_DEP_4) | instskip(SKIP_1) | instid1(VALU_DEP_4)
	v_maxmin_f32 v11, v11, v3, v4
	v_maxmin_f32 v3, v12, v3, v4
	v_cndmask_b32_e64 v7, v7, v2, s0
	v_cmp_u_f32_e64 s0, v6, v6
	s_delay_alu instid0(VALU_DEP_1) | instskip(SKIP_1) | instid1(VALU_DEP_1)
	v_cndmask_b32_e64 v6, v10, v6, s0
	v_cmp_u_f32_e64 s0, v9, v9
	v_cndmask_b32_e64 v4, v11, v9, s0
	v_cmp_u_f32_e64 s0, v8, v8
	s_delay_alu instid0(VALU_DEP_1)
	v_cndmask_b32_e64 v3, v3, v8, s0
	s_and_saveexec_b32 s0, vcc_lo
	s_cbranch_execnz .LBB324_17
; %bb.12:
	s_or_b32 exec_lo, exec_lo, s0
	s_delay_alu instid0(SALU_CYCLE_1)
	s_mov_b32 s0, exec_lo
	v_cmpx_gt_i32_e64 s3, v0
	s_cbranch_execnz .LBB324_18
.LBB324_13:
	s_or_b32 exec_lo, exec_lo, s0
	s_delay_alu instid0(SALU_CYCLE_1)
	s_mov_b32 s0, exec_lo
	v_cmpx_gt_i32_e64 s3, v0
	s_cbranch_execnz .LBB324_19
.LBB324_14:
	s_or_b32 exec_lo, exec_lo, s0
	s_delay_alu instid0(SALU_CYCLE_1)
	s_mov_b32 s0, exec_lo
	v_cmpx_gt_i32_e64 s3, v0
	s_cbranch_execz .LBB324_16
.LBB324_15:
	v_dual_mov_b32 v1, 0 :: v_dual_add_nc_u32 v0, s8, v0
	s_delay_alu instid0(VALU_DEP_1) | instskip(NEXT) | instid1(VALU_DEP_1)
	v_lshlrev_b64 v[0:1], 2, v[0:1]
	v_add_co_u32 v0, vcc_lo, s4, v0
	s_delay_alu instid0(VALU_DEP_2)
	v_add_co_ci_u32_e32 v1, vcc_lo, s5, v1, vcc_lo
	global_store_b32 v[0:1], v3, off
.LBB324_16:
	s_nop 0
	s_sendmsg sendmsg(MSG_DEALLOC_VGPRS)
	s_endpgm
.LBB324_17:
	v_mov_b32_e32 v2, 0
	s_delay_alu instid0(VALU_DEP_1) | instskip(NEXT) | instid1(VALU_DEP_1)
	v_lshlrev_b64 v[0:1], 2, v[1:2]
	v_add_co_u32 v8, vcc_lo, s4, v0
	s_delay_alu instid0(VALU_DEP_2) | instskip(SKIP_3) | instid1(SALU_CYCLE_1)
	v_add_co_ci_u32_e32 v9, vcc_lo, s5, v1, vcc_lo
	v_mov_b32_e32 v0, v5
	global_store_b32 v[8:9], v7, off
	s_or_b32 exec_lo, exec_lo, s0
	s_mov_b32 s0, exec_lo
	v_cmpx_gt_i32_e64 s3, v0
	s_cbranch_execz .LBB324_13
.LBB324_18:
	v_dual_mov_b32 v2, 0 :: v_dual_add_nc_u32 v1, s8, v0
	v_add_nc_u32_e32 v0, 0x100, v0
	s_delay_alu instid0(VALU_DEP_2) | instskip(NEXT) | instid1(VALU_DEP_1)
	v_lshlrev_b64 v[1:2], 2, v[1:2]
	v_add_co_u32 v1, vcc_lo, s4, v1
	s_delay_alu instid0(VALU_DEP_2) | instskip(SKIP_2) | instid1(SALU_CYCLE_1)
	v_add_co_ci_u32_e32 v2, vcc_lo, s5, v2, vcc_lo
	global_store_b32 v[1:2], v6, off
	s_or_b32 exec_lo, exec_lo, s0
	s_mov_b32 s0, exec_lo
	v_cmpx_gt_i32_e64 s3, v0
	s_cbranch_execz .LBB324_14
.LBB324_19:
	v_dual_mov_b32 v2, 0 :: v_dual_add_nc_u32 v1, s8, v0
	v_add_nc_u32_e32 v0, 0x100, v0
	s_delay_alu instid0(VALU_DEP_2) | instskip(NEXT) | instid1(VALU_DEP_1)
	v_lshlrev_b64 v[1:2], 2, v[1:2]
	v_add_co_u32 v1, vcc_lo, s4, v1
	s_delay_alu instid0(VALU_DEP_2) | instskip(SKIP_2) | instid1(SALU_CYCLE_1)
	v_add_co_ci_u32_e32 v2, vcc_lo, s5, v2, vcc_lo
	global_store_b32 v[1:2], v4, off
	s_or_b32 exec_lo, exec_lo, s0
	s_mov_b32 s0, exec_lo
	v_cmpx_gt_i32_e64 s3, v0
	s_cbranch_execnz .LBB324_15
	s_branch .LBB324_16
	.section	.rodata,"a",@progbits
	.p2align	6, 0x0
	.amdhsa_kernel _ZN2at6native29vectorized_elementwise_kernelILi4EZZZNS0_17clamp_kernel_cudaERNS_18TensorIteratorBaseERKN3c106ScalarES7_ENKUlvE_clEvENKUlvE5_clEvEUlfE_St5arrayIPcLm2EEEEviT0_T1_
		.amdhsa_group_segment_fixed_size 0
		.amdhsa_private_segment_fixed_size 0
		.amdhsa_kernarg_size 32
		.amdhsa_user_sgpr_count 15
		.amdhsa_user_sgpr_dispatch_ptr 0
		.amdhsa_user_sgpr_queue_ptr 0
		.amdhsa_user_sgpr_kernarg_segment_ptr 1
		.amdhsa_user_sgpr_dispatch_id 0
		.amdhsa_user_sgpr_private_segment_size 0
		.amdhsa_wavefront_size32 1
		.amdhsa_uses_dynamic_stack 0
		.amdhsa_enable_private_segment 0
		.amdhsa_system_sgpr_workgroup_id_x 1
		.amdhsa_system_sgpr_workgroup_id_y 0
		.amdhsa_system_sgpr_workgroup_id_z 0
		.amdhsa_system_sgpr_workgroup_info 0
		.amdhsa_system_vgpr_workitem_id 0
		.amdhsa_next_free_vgpr 13
		.amdhsa_next_free_sgpr 16
		.amdhsa_reserve_vcc 1
		.amdhsa_float_round_mode_32 0
		.amdhsa_float_round_mode_16_64 0
		.amdhsa_float_denorm_mode_32 3
		.amdhsa_float_denorm_mode_16_64 3
		.amdhsa_dx10_clamp 1
		.amdhsa_ieee_mode 1
		.amdhsa_fp16_overflow 0
		.amdhsa_workgroup_processor_mode 1
		.amdhsa_memory_ordered 1
		.amdhsa_forward_progress 0
		.amdhsa_shared_vgpr_count 0
		.amdhsa_exception_fp_ieee_invalid_op 0
		.amdhsa_exception_fp_denorm_src 0
		.amdhsa_exception_fp_ieee_div_zero 0
		.amdhsa_exception_fp_ieee_overflow 0
		.amdhsa_exception_fp_ieee_underflow 0
		.amdhsa_exception_fp_ieee_inexact 0
		.amdhsa_exception_int_div_zero 0
	.end_amdhsa_kernel
	.section	.text._ZN2at6native29vectorized_elementwise_kernelILi4EZZZNS0_17clamp_kernel_cudaERNS_18TensorIteratorBaseERKN3c106ScalarES7_ENKUlvE_clEvENKUlvE5_clEvEUlfE_St5arrayIPcLm2EEEEviT0_T1_,"axG",@progbits,_ZN2at6native29vectorized_elementwise_kernelILi4EZZZNS0_17clamp_kernel_cudaERNS_18TensorIteratorBaseERKN3c106ScalarES7_ENKUlvE_clEvENKUlvE5_clEvEUlfE_St5arrayIPcLm2EEEEviT0_T1_,comdat
.Lfunc_end324:
	.size	_ZN2at6native29vectorized_elementwise_kernelILi4EZZZNS0_17clamp_kernel_cudaERNS_18TensorIteratorBaseERKN3c106ScalarES7_ENKUlvE_clEvENKUlvE5_clEvEUlfE_St5arrayIPcLm2EEEEviT0_T1_, .Lfunc_end324-_ZN2at6native29vectorized_elementwise_kernelILi4EZZZNS0_17clamp_kernel_cudaERNS_18TensorIteratorBaseERKN3c106ScalarES7_ENKUlvE_clEvENKUlvE5_clEvEUlfE_St5arrayIPcLm2EEEEviT0_T1_
                                        ; -- End function
	.section	.AMDGPU.csdata,"",@progbits
; Kernel info:
; codeLenInByte = 1016
; NumSgprs: 18
; NumVgprs: 13
; ScratchSize: 0
; MemoryBound: 0
; FloatMode: 240
; IeeeMode: 1
; LDSByteSize: 0 bytes/workgroup (compile time only)
; SGPRBlocks: 2
; VGPRBlocks: 1
; NumSGPRsForWavesPerEU: 18
; NumVGPRsForWavesPerEU: 13
; Occupancy: 16
; WaveLimiterHint : 0
; COMPUTE_PGM_RSRC2:SCRATCH_EN: 0
; COMPUTE_PGM_RSRC2:USER_SGPR: 15
; COMPUTE_PGM_RSRC2:TRAP_HANDLER: 0
; COMPUTE_PGM_RSRC2:TGID_X_EN: 1
; COMPUTE_PGM_RSRC2:TGID_Y_EN: 0
; COMPUTE_PGM_RSRC2:TGID_Z_EN: 0
; COMPUTE_PGM_RSRC2:TIDIG_COMP_CNT: 0
	.section	.text._ZN2at6native29vectorized_elementwise_kernelILi2EZZZNS0_17clamp_kernel_cudaERNS_18TensorIteratorBaseERKN3c106ScalarES7_ENKUlvE_clEvENKUlvE5_clEvEUlfE_St5arrayIPcLm2EEEEviT0_T1_,"axG",@progbits,_ZN2at6native29vectorized_elementwise_kernelILi2EZZZNS0_17clamp_kernel_cudaERNS_18TensorIteratorBaseERKN3c106ScalarES7_ENKUlvE_clEvENKUlvE5_clEvEUlfE_St5arrayIPcLm2EEEEviT0_T1_,comdat
	.globl	_ZN2at6native29vectorized_elementwise_kernelILi2EZZZNS0_17clamp_kernel_cudaERNS_18TensorIteratorBaseERKN3c106ScalarES7_ENKUlvE_clEvENKUlvE5_clEvEUlfE_St5arrayIPcLm2EEEEviT0_T1_ ; -- Begin function _ZN2at6native29vectorized_elementwise_kernelILi2EZZZNS0_17clamp_kernel_cudaERNS_18TensorIteratorBaseERKN3c106ScalarES7_ENKUlvE_clEvENKUlvE5_clEvEUlfE_St5arrayIPcLm2EEEEviT0_T1_
	.p2align	8
	.type	_ZN2at6native29vectorized_elementwise_kernelILi2EZZZNS0_17clamp_kernel_cudaERNS_18TensorIteratorBaseERKN3c106ScalarES7_ENKUlvE_clEvENKUlvE5_clEvEUlfE_St5arrayIPcLm2EEEEviT0_T1_,@function
_ZN2at6native29vectorized_elementwise_kernelILi2EZZZNS0_17clamp_kernel_cudaERNS_18TensorIteratorBaseERKN3c106ScalarES7_ENKUlvE_clEvENKUlvE5_clEvEUlfE_St5arrayIPcLm2EEEEviT0_T1_: ; @_ZN2at6native29vectorized_elementwise_kernelILi2EZZZNS0_17clamp_kernel_cudaERNS_18TensorIteratorBaseERKN3c106ScalarES7_ENKUlvE_clEvENKUlvE5_clEvEUlfE_St5arrayIPcLm2EEEEviT0_T1_
; %bb.0:
	s_load_b256 s[0:7], s[0:1], 0x0
	s_lshl_b32 s8, s15, 10
	s_waitcnt lgkmcnt(0)
	v_max_f32_e64 v3, s1, s1
	v_max_f32_e64 v4, s2, s2
	s_sub_i32 s3, s0, s8
	s_mov_b32 s0, -1
	s_cmpk_gt_i32 s3, 0x3ff
	s_cbranch_scc0 .LBB325_2
; %bb.1:
	s_ashr_i32 s9, s8, 31
	v_lshlrev_b32_e32 v7, 3, v0
	s_lshl_b64 s[0:1], s[8:9], 2
	s_delay_alu instid0(SALU_CYCLE_1)
	s_add_u32 s10, s6, s0
	s_addc_u32 s11, s7, s1
	s_clause 0x1
	global_load_b64 v[1:2], v7, s[10:11]
	global_load_b64 v[5:6], v7, s[10:11] offset:2048
	s_add_u32 s10, s4, s0
	s_addc_u32 s11, s5, s1
	s_mov_b32 s0, 0
	s_waitcnt vmcnt(1)
	v_dual_max_f32 v8, v1, v1 :: v_dual_max_f32 v9, v2, v2
	s_waitcnt vmcnt(0)
	v_max_f32_e32 v10, v5, v5
	v_cmp_u_f32_e32 vcc_lo, v1, v1
	v_max_f32_e32 v11, v6, v6
	v_maxmin_f32 v8, v8, v3, v4
	v_maxmin_f32 v9, v9, v3, v4
	;; [unrolled: 1-line block ×3, first 2 shown]
	s_delay_alu instid0(VALU_DEP_4) | instskip(NEXT) | instid1(VALU_DEP_4)
	v_maxmin_f32 v11, v11, v3, v4
	v_cndmask_b32_e32 v1, v8, v1, vcc_lo
	v_cmp_u_f32_e32 vcc_lo, v2, v2
	v_cndmask_b32_e32 v2, v9, v2, vcc_lo
	v_cmp_u_f32_e32 vcc_lo, v5, v5
	;; [unrolled: 2-line block ×3, first 2 shown]
	v_cndmask_b32_e32 v6, v11, v6, vcc_lo
	s_clause 0x1
	global_store_b64 v7, v[1:2], s[10:11]
	global_store_b64 v7, v[5:6], s[10:11] offset:2048
.LBB325_2:
	s_and_not1_b32 vcc_lo, exec_lo, s0
	s_cbranch_vccnz .LBB325_16
; %bb.3:
	v_cmp_gt_i32_e32 vcc_lo, s3, v0
	v_dual_mov_b32 v6, 0 :: v_dual_mov_b32 v7, v0
	v_or_b32_e32 v1, s8, v0
	v_or_b32_e32 v5, 0x100, v0
	v_mov_b32_e32 v2, 0
	s_and_saveexec_b32 s1, vcc_lo
	s_cbranch_execz .LBB325_5
; %bb.4:
	v_mov_b32_e32 v2, 0
	s_delay_alu instid0(VALU_DEP_1) | instskip(NEXT) | instid1(VALU_DEP_1)
	v_lshlrev_b64 v[7:8], 2, v[1:2]
	v_add_co_u32 v7, s0, s6, v7
	s_delay_alu instid0(VALU_DEP_1)
	v_add_co_ci_u32_e64 v8, s0, s7, v8, s0
	global_load_b32 v2, v[7:8], off
	v_or_b32_e32 v7, 0x100, v0
.LBB325_5:
	s_or_b32 exec_lo, exec_lo, s1
	s_delay_alu instid0(SALU_CYCLE_1) | instskip(NEXT) | instid1(VALU_DEP_1)
	s_mov_b32 s1, exec_lo
	v_cmpx_gt_i32_e64 s3, v7
	s_cbranch_execz .LBB325_7
; %bb.6:
	v_dual_mov_b32 v9, 0 :: v_dual_add_nc_u32 v8, s8, v7
	v_add_nc_u32_e32 v7, 0x100, v7
	s_delay_alu instid0(VALU_DEP_2) | instskip(NEXT) | instid1(VALU_DEP_1)
	v_lshlrev_b64 v[8:9], 2, v[8:9]
	v_add_co_u32 v8, s0, s6, v8
	s_delay_alu instid0(VALU_DEP_1)
	v_add_co_ci_u32_e64 v9, s0, s7, v9, s0
	global_load_b32 v6, v[8:9], off
.LBB325_7:
	s_or_b32 exec_lo, exec_lo, s1
	v_dual_mov_b32 v8, 0 :: v_dual_mov_b32 v9, 0
	s_mov_b32 s1, exec_lo
	v_cmpx_gt_i32_e64 s3, v7
	s_cbranch_execz .LBB325_9
; %bb.8:
	v_dual_mov_b32 v10, 0 :: v_dual_add_nc_u32 v9, s8, v7
	v_add_nc_u32_e32 v7, 0x100, v7
	s_delay_alu instid0(VALU_DEP_2) | instskip(NEXT) | instid1(VALU_DEP_1)
	v_lshlrev_b64 v[9:10], 2, v[9:10]
	v_add_co_u32 v9, s0, s6, v9
	s_delay_alu instid0(VALU_DEP_1)
	v_add_co_ci_u32_e64 v10, s0, s7, v10, s0
	global_load_b32 v9, v[9:10], off
.LBB325_9:
	s_or_b32 exec_lo, exec_lo, s1
	s_delay_alu instid0(SALU_CYCLE_1)
	s_mov_b32 s1, exec_lo
	v_cmpx_gt_i32_e64 s3, v7
	s_cbranch_execz .LBB325_11
; %bb.10:
	v_dual_mov_b32 v8, 0 :: v_dual_add_nc_u32 v7, s8, v7
	s_delay_alu instid0(VALU_DEP_1) | instskip(NEXT) | instid1(VALU_DEP_1)
	v_lshlrev_b64 v[7:8], 2, v[7:8]
	v_add_co_u32 v7, s0, s6, v7
	s_delay_alu instid0(VALU_DEP_1)
	v_add_co_ci_u32_e64 v8, s0, s7, v8, s0
	global_load_b32 v8, v[7:8], off
.LBB325_11:
	s_or_b32 exec_lo, exec_lo, s1
	s_waitcnt vmcnt(0)
	v_dual_max_f32 v7, v2, v2 :: v_dual_max_f32 v12, v8, v8
	v_dual_max_f32 v10, v6, v6 :: v_dual_max_f32 v11, v9, v9
	v_cmp_u_f32_e64 s0, v2, v2
	s_delay_alu instid0(VALU_DEP_3) | instskip(NEXT) | instid1(VALU_DEP_3)
	v_maxmin_f32 v7, v7, v3, v4
	v_maxmin_f32 v10, v10, v3, v4
	s_delay_alu instid0(VALU_DEP_4) | instskip(SKIP_1) | instid1(VALU_DEP_4)
	v_maxmin_f32 v11, v11, v3, v4
	v_maxmin_f32 v3, v12, v3, v4
	v_cndmask_b32_e64 v7, v7, v2, s0
	v_cmp_u_f32_e64 s0, v6, v6
	s_delay_alu instid0(VALU_DEP_1) | instskip(SKIP_1) | instid1(VALU_DEP_1)
	v_cndmask_b32_e64 v6, v10, v6, s0
	v_cmp_u_f32_e64 s0, v9, v9
	v_cndmask_b32_e64 v4, v11, v9, s0
	v_cmp_u_f32_e64 s0, v8, v8
	s_delay_alu instid0(VALU_DEP_1)
	v_cndmask_b32_e64 v3, v3, v8, s0
	s_and_saveexec_b32 s0, vcc_lo
	s_cbranch_execnz .LBB325_17
; %bb.12:
	s_or_b32 exec_lo, exec_lo, s0
	s_delay_alu instid0(SALU_CYCLE_1)
	s_mov_b32 s0, exec_lo
	v_cmpx_gt_i32_e64 s3, v0
	s_cbranch_execnz .LBB325_18
.LBB325_13:
	s_or_b32 exec_lo, exec_lo, s0
	s_delay_alu instid0(SALU_CYCLE_1)
	s_mov_b32 s0, exec_lo
	v_cmpx_gt_i32_e64 s3, v0
	s_cbranch_execnz .LBB325_19
.LBB325_14:
	s_or_b32 exec_lo, exec_lo, s0
	s_delay_alu instid0(SALU_CYCLE_1)
	s_mov_b32 s0, exec_lo
	v_cmpx_gt_i32_e64 s3, v0
	s_cbranch_execz .LBB325_16
.LBB325_15:
	v_dual_mov_b32 v1, 0 :: v_dual_add_nc_u32 v0, s8, v0
	s_delay_alu instid0(VALU_DEP_1) | instskip(NEXT) | instid1(VALU_DEP_1)
	v_lshlrev_b64 v[0:1], 2, v[0:1]
	v_add_co_u32 v0, vcc_lo, s4, v0
	s_delay_alu instid0(VALU_DEP_2)
	v_add_co_ci_u32_e32 v1, vcc_lo, s5, v1, vcc_lo
	global_store_b32 v[0:1], v3, off
.LBB325_16:
	s_nop 0
	s_sendmsg sendmsg(MSG_DEALLOC_VGPRS)
	s_endpgm
.LBB325_17:
	v_mov_b32_e32 v2, 0
	s_delay_alu instid0(VALU_DEP_1) | instskip(NEXT) | instid1(VALU_DEP_1)
	v_lshlrev_b64 v[0:1], 2, v[1:2]
	v_add_co_u32 v8, vcc_lo, s4, v0
	s_delay_alu instid0(VALU_DEP_2) | instskip(SKIP_3) | instid1(SALU_CYCLE_1)
	v_add_co_ci_u32_e32 v9, vcc_lo, s5, v1, vcc_lo
	v_mov_b32_e32 v0, v5
	global_store_b32 v[8:9], v7, off
	s_or_b32 exec_lo, exec_lo, s0
	s_mov_b32 s0, exec_lo
	v_cmpx_gt_i32_e64 s3, v0
	s_cbranch_execz .LBB325_13
.LBB325_18:
	v_dual_mov_b32 v2, 0 :: v_dual_add_nc_u32 v1, s8, v0
	v_add_nc_u32_e32 v0, 0x100, v0
	s_delay_alu instid0(VALU_DEP_2) | instskip(NEXT) | instid1(VALU_DEP_1)
	v_lshlrev_b64 v[1:2], 2, v[1:2]
	v_add_co_u32 v1, vcc_lo, s4, v1
	s_delay_alu instid0(VALU_DEP_2) | instskip(SKIP_2) | instid1(SALU_CYCLE_1)
	v_add_co_ci_u32_e32 v2, vcc_lo, s5, v2, vcc_lo
	global_store_b32 v[1:2], v6, off
	s_or_b32 exec_lo, exec_lo, s0
	s_mov_b32 s0, exec_lo
	v_cmpx_gt_i32_e64 s3, v0
	s_cbranch_execz .LBB325_14
.LBB325_19:
	v_dual_mov_b32 v2, 0 :: v_dual_add_nc_u32 v1, s8, v0
	v_add_nc_u32_e32 v0, 0x100, v0
	s_delay_alu instid0(VALU_DEP_2) | instskip(NEXT) | instid1(VALU_DEP_1)
	v_lshlrev_b64 v[1:2], 2, v[1:2]
	v_add_co_u32 v1, vcc_lo, s4, v1
	s_delay_alu instid0(VALU_DEP_2) | instskip(SKIP_2) | instid1(SALU_CYCLE_1)
	v_add_co_ci_u32_e32 v2, vcc_lo, s5, v2, vcc_lo
	global_store_b32 v[1:2], v4, off
	s_or_b32 exec_lo, exec_lo, s0
	s_mov_b32 s0, exec_lo
	v_cmpx_gt_i32_e64 s3, v0
	s_cbranch_execnz .LBB325_15
	s_branch .LBB325_16
	.section	.rodata,"a",@progbits
	.p2align	6, 0x0
	.amdhsa_kernel _ZN2at6native29vectorized_elementwise_kernelILi2EZZZNS0_17clamp_kernel_cudaERNS_18TensorIteratorBaseERKN3c106ScalarES7_ENKUlvE_clEvENKUlvE5_clEvEUlfE_St5arrayIPcLm2EEEEviT0_T1_
		.amdhsa_group_segment_fixed_size 0
		.amdhsa_private_segment_fixed_size 0
		.amdhsa_kernarg_size 32
		.amdhsa_user_sgpr_count 15
		.amdhsa_user_sgpr_dispatch_ptr 0
		.amdhsa_user_sgpr_queue_ptr 0
		.amdhsa_user_sgpr_kernarg_segment_ptr 1
		.amdhsa_user_sgpr_dispatch_id 0
		.amdhsa_user_sgpr_private_segment_size 0
		.amdhsa_wavefront_size32 1
		.amdhsa_uses_dynamic_stack 0
		.amdhsa_enable_private_segment 0
		.amdhsa_system_sgpr_workgroup_id_x 1
		.amdhsa_system_sgpr_workgroup_id_y 0
		.amdhsa_system_sgpr_workgroup_id_z 0
		.amdhsa_system_sgpr_workgroup_info 0
		.amdhsa_system_vgpr_workitem_id 0
		.amdhsa_next_free_vgpr 13
		.amdhsa_next_free_sgpr 16
		.amdhsa_reserve_vcc 1
		.amdhsa_float_round_mode_32 0
		.amdhsa_float_round_mode_16_64 0
		.amdhsa_float_denorm_mode_32 3
		.amdhsa_float_denorm_mode_16_64 3
		.amdhsa_dx10_clamp 1
		.amdhsa_ieee_mode 1
		.amdhsa_fp16_overflow 0
		.amdhsa_workgroup_processor_mode 1
		.amdhsa_memory_ordered 1
		.amdhsa_forward_progress 0
		.amdhsa_shared_vgpr_count 0
		.amdhsa_exception_fp_ieee_invalid_op 0
		.amdhsa_exception_fp_denorm_src 0
		.amdhsa_exception_fp_ieee_div_zero 0
		.amdhsa_exception_fp_ieee_overflow 0
		.amdhsa_exception_fp_ieee_underflow 0
		.amdhsa_exception_fp_ieee_inexact 0
		.amdhsa_exception_int_div_zero 0
	.end_amdhsa_kernel
	.section	.text._ZN2at6native29vectorized_elementwise_kernelILi2EZZZNS0_17clamp_kernel_cudaERNS_18TensorIteratorBaseERKN3c106ScalarES7_ENKUlvE_clEvENKUlvE5_clEvEUlfE_St5arrayIPcLm2EEEEviT0_T1_,"axG",@progbits,_ZN2at6native29vectorized_elementwise_kernelILi2EZZZNS0_17clamp_kernel_cudaERNS_18TensorIteratorBaseERKN3c106ScalarES7_ENKUlvE_clEvENKUlvE5_clEvEUlfE_St5arrayIPcLm2EEEEviT0_T1_,comdat
.Lfunc_end325:
	.size	_ZN2at6native29vectorized_elementwise_kernelILi2EZZZNS0_17clamp_kernel_cudaERNS_18TensorIteratorBaseERKN3c106ScalarES7_ENKUlvE_clEvENKUlvE5_clEvEUlfE_St5arrayIPcLm2EEEEviT0_T1_, .Lfunc_end325-_ZN2at6native29vectorized_elementwise_kernelILi2EZZZNS0_17clamp_kernel_cudaERNS_18TensorIteratorBaseERKN3c106ScalarES7_ENKUlvE_clEvENKUlvE5_clEvEUlfE_St5arrayIPcLm2EEEEviT0_T1_
                                        ; -- End function
	.section	.AMDGPU.csdata,"",@progbits
; Kernel info:
; codeLenInByte = 1032
; NumSgprs: 18
; NumVgprs: 13
; ScratchSize: 0
; MemoryBound: 0
; FloatMode: 240
; IeeeMode: 1
; LDSByteSize: 0 bytes/workgroup (compile time only)
; SGPRBlocks: 2
; VGPRBlocks: 1
; NumSGPRsForWavesPerEU: 18
; NumVGPRsForWavesPerEU: 13
; Occupancy: 16
; WaveLimiterHint : 1
; COMPUTE_PGM_RSRC2:SCRATCH_EN: 0
; COMPUTE_PGM_RSRC2:USER_SGPR: 15
; COMPUTE_PGM_RSRC2:TRAP_HANDLER: 0
; COMPUTE_PGM_RSRC2:TGID_X_EN: 1
; COMPUTE_PGM_RSRC2:TGID_Y_EN: 0
; COMPUTE_PGM_RSRC2:TGID_Z_EN: 0
; COMPUTE_PGM_RSRC2:TIDIG_COMP_CNT: 0
	.section	.text._ZN2at6native27unrolled_elementwise_kernelIZZZNS0_17clamp_kernel_cudaERNS_18TensorIteratorBaseERKN3c106ScalarES7_ENKUlvE_clEvENKUlvE5_clEvEUlfE_St5arrayIPcLm2EELi4E23TrivialOffsetCalculatorILi1EjESF_NS0_6memory15LoadWithoutCastENSG_16StoreWithoutCastEEEviT_T0_T2_T3_T4_T5_,"axG",@progbits,_ZN2at6native27unrolled_elementwise_kernelIZZZNS0_17clamp_kernel_cudaERNS_18TensorIteratorBaseERKN3c106ScalarES7_ENKUlvE_clEvENKUlvE5_clEvEUlfE_St5arrayIPcLm2EELi4E23TrivialOffsetCalculatorILi1EjESF_NS0_6memory15LoadWithoutCastENSG_16StoreWithoutCastEEEviT_T0_T2_T3_T4_T5_,comdat
	.globl	_ZN2at6native27unrolled_elementwise_kernelIZZZNS0_17clamp_kernel_cudaERNS_18TensorIteratorBaseERKN3c106ScalarES7_ENKUlvE_clEvENKUlvE5_clEvEUlfE_St5arrayIPcLm2EELi4E23TrivialOffsetCalculatorILi1EjESF_NS0_6memory15LoadWithoutCastENSG_16StoreWithoutCastEEEviT_T0_T2_T3_T4_T5_ ; -- Begin function _ZN2at6native27unrolled_elementwise_kernelIZZZNS0_17clamp_kernel_cudaERNS_18TensorIteratorBaseERKN3c106ScalarES7_ENKUlvE_clEvENKUlvE5_clEvEUlfE_St5arrayIPcLm2EELi4E23TrivialOffsetCalculatorILi1EjESF_NS0_6memory15LoadWithoutCastENSG_16StoreWithoutCastEEEviT_T0_T2_T3_T4_T5_
	.p2align	8
	.type	_ZN2at6native27unrolled_elementwise_kernelIZZZNS0_17clamp_kernel_cudaERNS_18TensorIteratorBaseERKN3c106ScalarES7_ENKUlvE_clEvENKUlvE5_clEvEUlfE_St5arrayIPcLm2EELi4E23TrivialOffsetCalculatorILi1EjESF_NS0_6memory15LoadWithoutCastENSG_16StoreWithoutCastEEEviT_T0_T2_T3_T4_T5_,@function
_ZN2at6native27unrolled_elementwise_kernelIZZZNS0_17clamp_kernel_cudaERNS_18TensorIteratorBaseERKN3c106ScalarES7_ENKUlvE_clEvENKUlvE5_clEvEUlfE_St5arrayIPcLm2EELi4E23TrivialOffsetCalculatorILi1EjESF_NS0_6memory15LoadWithoutCastENSG_16StoreWithoutCastEEEviT_T0_T2_T3_T4_T5_: ; @_ZN2at6native27unrolled_elementwise_kernelIZZZNS0_17clamp_kernel_cudaERNS_18TensorIteratorBaseERKN3c106ScalarES7_ENKUlvE_clEvENKUlvE5_clEvEUlfE_St5arrayIPcLm2EELi4E23TrivialOffsetCalculatorILi1EjESF_NS0_6memory15LoadWithoutCastENSG_16StoreWithoutCastEEEviT_T0_T2_T3_T4_T5_
; %bb.0:
	s_load_b256 s[0:7], s[0:1], 0x0
	s_waitcnt lgkmcnt(0)
	s_lshl_b32 s3, s15, 10
	v_dual_mov_b32 v4, 0 :: v_dual_mov_b32 v5, v0
	v_mov_b32_e32 v2, 0
	v_or_b32_e32 v1, s3, v0
	v_or_b32_e32 v3, 0x100, v0
	s_sub_i32 s8, s0, s3
	s_delay_alu instid0(SALU_CYCLE_1)
	v_cmp_gt_i32_e32 vcc_lo, s8, v0
	s_and_saveexec_b32 s9, vcc_lo
	s_cbranch_execz .LBB326_2
; %bb.1:
	v_mov_b32_e32 v2, 0
	s_delay_alu instid0(VALU_DEP_1) | instskip(NEXT) | instid1(VALU_DEP_1)
	v_lshlrev_b64 v[5:6], 2, v[1:2]
	v_add_co_u32 v5, s0, s6, v5
	s_delay_alu instid0(VALU_DEP_1)
	v_add_co_ci_u32_e64 v6, s0, s7, v6, s0
	global_load_b32 v2, v[5:6], off
	v_or_b32_e32 v5, 0x100, v0
.LBB326_2:
	s_or_b32 exec_lo, exec_lo, s9
	s_delay_alu instid0(SALU_CYCLE_1) | instskip(NEXT) | instid1(VALU_DEP_1)
	s_mov_b32 s9, exec_lo
	v_cmpx_gt_i32_e64 s8, v5
	s_cbranch_execz .LBB326_4
; %bb.3:
	v_dual_mov_b32 v7, 0 :: v_dual_add_nc_u32 v6, s3, v5
	v_add_nc_u32_e32 v5, 0x100, v5
	s_delay_alu instid0(VALU_DEP_2) | instskip(NEXT) | instid1(VALU_DEP_1)
	v_lshlrev_b64 v[6:7], 2, v[6:7]
	v_add_co_u32 v6, s0, s6, v6
	s_delay_alu instid0(VALU_DEP_1)
	v_add_co_ci_u32_e64 v7, s0, s7, v7, s0
	global_load_b32 v4, v[6:7], off
.LBB326_4:
	s_or_b32 exec_lo, exec_lo, s9
	v_dual_mov_b32 v6, 0 :: v_dual_mov_b32 v7, 0
	s_mov_b32 s9, exec_lo
	v_cmpx_gt_i32_e64 s8, v5
	s_cbranch_execz .LBB326_6
; %bb.5:
	v_dual_mov_b32 v8, 0 :: v_dual_add_nc_u32 v7, s3, v5
	v_add_nc_u32_e32 v5, 0x100, v5
	s_delay_alu instid0(VALU_DEP_2) | instskip(NEXT) | instid1(VALU_DEP_1)
	v_lshlrev_b64 v[7:8], 2, v[7:8]
	v_add_co_u32 v7, s0, s6, v7
	s_delay_alu instid0(VALU_DEP_1)
	v_add_co_ci_u32_e64 v8, s0, s7, v8, s0
	global_load_b32 v7, v[7:8], off
.LBB326_6:
	s_or_b32 exec_lo, exec_lo, s9
	s_delay_alu instid0(SALU_CYCLE_1)
	s_mov_b32 s9, exec_lo
	v_cmpx_gt_i32_e64 s8, v5
	s_cbranch_execz .LBB326_8
; %bb.7:
	v_dual_mov_b32 v6, 0 :: v_dual_add_nc_u32 v5, s3, v5
	s_delay_alu instid0(VALU_DEP_1) | instskip(NEXT) | instid1(VALU_DEP_1)
	v_lshlrev_b64 v[5:6], 2, v[5:6]
	v_add_co_u32 v5, s0, s6, v5
	s_delay_alu instid0(VALU_DEP_1)
	v_add_co_ci_u32_e64 v6, s0, s7, v6, s0
	global_load_b32 v6, v[5:6], off
.LBB326_8:
	s_or_b32 exec_lo, exec_lo, s9
	s_waitcnt vmcnt(0)
	v_max_f32_e32 v5, v2, v2
	v_max_f32_e64 v8, s1, s1
	v_max_f32_e64 v10, s2, s2
	v_dual_max_f32 v9, v4, v4 :: v_dual_max_f32 v12, v6, v6
	v_cmp_u_f32_e64 s0, v2, v2
	v_max_f32_e32 v11, v7, v7
	s_delay_alu instid0(VALU_DEP_4) | instskip(NEXT) | instid1(VALU_DEP_4)
	v_maxmin_f32 v5, v5, v8, v10
	v_maxmin_f32 v13, v9, v8, v10
	s_delay_alu instid0(VALU_DEP_3) | instskip(NEXT) | instid1(VALU_DEP_3)
	v_maxmin_f32 v11, v11, v8, v10
	v_cndmask_b32_e64 v9, v5, v2, s0
	v_cmp_u_f32_e64 s0, v4, v4
	v_maxmin_f32 v2, v12, v8, v10
	s_delay_alu instid0(VALU_DEP_2) | instskip(SKIP_1) | instid1(VALU_DEP_1)
	v_cndmask_b32_e64 v8, v13, v4, s0
	v_cmp_u_f32_e64 s0, v7, v7
	v_cndmask_b32_e64 v5, v11, v7, s0
	v_cmp_u_f32_e64 s0, v6, v6
	s_delay_alu instid0(VALU_DEP_1)
	v_cndmask_b32_e64 v4, v2, v6, s0
	s_and_saveexec_b32 s0, vcc_lo
	s_cbranch_execnz .LBB326_13
; %bb.9:
	s_or_b32 exec_lo, exec_lo, s0
	s_delay_alu instid0(SALU_CYCLE_1)
	s_mov_b32 s0, exec_lo
	v_cmpx_gt_i32_e64 s8, v0
	s_cbranch_execnz .LBB326_14
.LBB326_10:
	s_or_b32 exec_lo, exec_lo, s0
	s_delay_alu instid0(SALU_CYCLE_1)
	s_mov_b32 s0, exec_lo
	v_cmpx_gt_i32_e64 s8, v0
	s_cbranch_execnz .LBB326_15
.LBB326_11:
	s_or_b32 exec_lo, exec_lo, s0
	s_delay_alu instid0(SALU_CYCLE_1)
	s_mov_b32 s0, exec_lo
	v_cmpx_gt_i32_e64 s8, v0
	s_cbranch_execnz .LBB326_16
.LBB326_12:
	s_nop 0
	s_sendmsg sendmsg(MSG_DEALLOC_VGPRS)
	s_endpgm
.LBB326_13:
	v_mov_b32_e32 v2, 0
	s_delay_alu instid0(VALU_DEP_1) | instskip(NEXT) | instid1(VALU_DEP_1)
	v_lshlrev_b64 v[0:1], 2, v[1:2]
	v_add_co_u32 v6, vcc_lo, s4, v0
	s_delay_alu instid0(VALU_DEP_2) | instskip(SKIP_3) | instid1(SALU_CYCLE_1)
	v_add_co_ci_u32_e32 v7, vcc_lo, s5, v1, vcc_lo
	v_mov_b32_e32 v0, v3
	global_store_b32 v[6:7], v9, off
	s_or_b32 exec_lo, exec_lo, s0
	s_mov_b32 s0, exec_lo
	v_cmpx_gt_i32_e64 s8, v0
	s_cbranch_execz .LBB326_10
.LBB326_14:
	v_dual_mov_b32 v2, 0 :: v_dual_add_nc_u32 v1, s3, v0
	v_add_nc_u32_e32 v0, 0x100, v0
	s_delay_alu instid0(VALU_DEP_2) | instskip(NEXT) | instid1(VALU_DEP_1)
	v_lshlrev_b64 v[1:2], 2, v[1:2]
	v_add_co_u32 v1, vcc_lo, s4, v1
	s_delay_alu instid0(VALU_DEP_2) | instskip(SKIP_2) | instid1(SALU_CYCLE_1)
	v_add_co_ci_u32_e32 v2, vcc_lo, s5, v2, vcc_lo
	global_store_b32 v[1:2], v8, off
	s_or_b32 exec_lo, exec_lo, s0
	s_mov_b32 s0, exec_lo
	v_cmpx_gt_i32_e64 s8, v0
	s_cbranch_execz .LBB326_11
.LBB326_15:
	v_dual_mov_b32 v2, 0 :: v_dual_add_nc_u32 v1, s3, v0
	v_add_nc_u32_e32 v0, 0x100, v0
	s_delay_alu instid0(VALU_DEP_2) | instskip(NEXT) | instid1(VALU_DEP_1)
	v_lshlrev_b64 v[1:2], 2, v[1:2]
	v_add_co_u32 v1, vcc_lo, s4, v1
	s_delay_alu instid0(VALU_DEP_2) | instskip(SKIP_2) | instid1(SALU_CYCLE_1)
	v_add_co_ci_u32_e32 v2, vcc_lo, s5, v2, vcc_lo
	global_store_b32 v[1:2], v5, off
	s_or_b32 exec_lo, exec_lo, s0
	s_mov_b32 s0, exec_lo
	v_cmpx_gt_i32_e64 s8, v0
	s_cbranch_execz .LBB326_12
.LBB326_16:
	v_dual_mov_b32 v1, 0 :: v_dual_add_nc_u32 v0, s3, v0
	s_delay_alu instid0(VALU_DEP_1) | instskip(NEXT) | instid1(VALU_DEP_1)
	v_lshlrev_b64 v[0:1], 2, v[0:1]
	v_add_co_u32 v0, vcc_lo, s4, v0
	s_delay_alu instid0(VALU_DEP_2)
	v_add_co_ci_u32_e32 v1, vcc_lo, s5, v1, vcc_lo
	global_store_b32 v[0:1], v4, off
	s_nop 0
	s_sendmsg sendmsg(MSG_DEALLOC_VGPRS)
	s_endpgm
	.section	.rodata,"a",@progbits
	.p2align	6, 0x0
	.amdhsa_kernel _ZN2at6native27unrolled_elementwise_kernelIZZZNS0_17clamp_kernel_cudaERNS_18TensorIteratorBaseERKN3c106ScalarES7_ENKUlvE_clEvENKUlvE5_clEvEUlfE_St5arrayIPcLm2EELi4E23TrivialOffsetCalculatorILi1EjESF_NS0_6memory15LoadWithoutCastENSG_16StoreWithoutCastEEEviT_T0_T2_T3_T4_T5_
		.amdhsa_group_segment_fixed_size 0
		.amdhsa_private_segment_fixed_size 0
		.amdhsa_kernarg_size 36
		.amdhsa_user_sgpr_count 15
		.amdhsa_user_sgpr_dispatch_ptr 0
		.amdhsa_user_sgpr_queue_ptr 0
		.amdhsa_user_sgpr_kernarg_segment_ptr 1
		.amdhsa_user_sgpr_dispatch_id 0
		.amdhsa_user_sgpr_private_segment_size 0
		.amdhsa_wavefront_size32 1
		.amdhsa_uses_dynamic_stack 0
		.amdhsa_enable_private_segment 0
		.amdhsa_system_sgpr_workgroup_id_x 1
		.amdhsa_system_sgpr_workgroup_id_y 0
		.amdhsa_system_sgpr_workgroup_id_z 0
		.amdhsa_system_sgpr_workgroup_info 0
		.amdhsa_system_vgpr_workitem_id 0
		.amdhsa_next_free_vgpr 14
		.amdhsa_next_free_sgpr 16
		.amdhsa_reserve_vcc 1
		.amdhsa_float_round_mode_32 0
		.amdhsa_float_round_mode_16_64 0
		.amdhsa_float_denorm_mode_32 3
		.amdhsa_float_denorm_mode_16_64 3
		.amdhsa_dx10_clamp 1
		.amdhsa_ieee_mode 1
		.amdhsa_fp16_overflow 0
		.amdhsa_workgroup_processor_mode 1
		.amdhsa_memory_ordered 1
		.amdhsa_forward_progress 0
		.amdhsa_shared_vgpr_count 0
		.amdhsa_exception_fp_ieee_invalid_op 0
		.amdhsa_exception_fp_denorm_src 0
		.amdhsa_exception_fp_ieee_div_zero 0
		.amdhsa_exception_fp_ieee_overflow 0
		.amdhsa_exception_fp_ieee_underflow 0
		.amdhsa_exception_fp_ieee_inexact 0
		.amdhsa_exception_int_div_zero 0
	.end_amdhsa_kernel
	.section	.text._ZN2at6native27unrolled_elementwise_kernelIZZZNS0_17clamp_kernel_cudaERNS_18TensorIteratorBaseERKN3c106ScalarES7_ENKUlvE_clEvENKUlvE5_clEvEUlfE_St5arrayIPcLm2EELi4E23TrivialOffsetCalculatorILi1EjESF_NS0_6memory15LoadWithoutCastENSG_16StoreWithoutCastEEEviT_T0_T2_T3_T4_T5_,"axG",@progbits,_ZN2at6native27unrolled_elementwise_kernelIZZZNS0_17clamp_kernel_cudaERNS_18TensorIteratorBaseERKN3c106ScalarES7_ENKUlvE_clEvENKUlvE5_clEvEUlfE_St5arrayIPcLm2EELi4E23TrivialOffsetCalculatorILi1EjESF_NS0_6memory15LoadWithoutCastENSG_16StoreWithoutCastEEEviT_T0_T2_T3_T4_T5_,comdat
.Lfunc_end326:
	.size	_ZN2at6native27unrolled_elementwise_kernelIZZZNS0_17clamp_kernel_cudaERNS_18TensorIteratorBaseERKN3c106ScalarES7_ENKUlvE_clEvENKUlvE5_clEvEUlfE_St5arrayIPcLm2EELi4E23TrivialOffsetCalculatorILi1EjESF_NS0_6memory15LoadWithoutCastENSG_16StoreWithoutCastEEEviT_T0_T2_T3_T4_T5_, .Lfunc_end326-_ZN2at6native27unrolled_elementwise_kernelIZZZNS0_17clamp_kernel_cudaERNS_18TensorIteratorBaseERKN3c106ScalarES7_ENKUlvE_clEvENKUlvE5_clEvEUlfE_St5arrayIPcLm2EELi4E23TrivialOffsetCalculatorILi1EjESF_NS0_6memory15LoadWithoutCastENSG_16StoreWithoutCastEEEviT_T0_T2_T3_T4_T5_
                                        ; -- End function
	.section	.AMDGPU.csdata,"",@progbits
; Kernel info:
; codeLenInByte = 856
; NumSgprs: 18
; NumVgprs: 14
; ScratchSize: 0
; MemoryBound: 0
; FloatMode: 240
; IeeeMode: 1
; LDSByteSize: 0 bytes/workgroup (compile time only)
; SGPRBlocks: 2
; VGPRBlocks: 1
; NumSGPRsForWavesPerEU: 18
; NumVGPRsForWavesPerEU: 14
; Occupancy: 16
; WaveLimiterHint : 0
; COMPUTE_PGM_RSRC2:SCRATCH_EN: 0
; COMPUTE_PGM_RSRC2:USER_SGPR: 15
; COMPUTE_PGM_RSRC2:TRAP_HANDLER: 0
; COMPUTE_PGM_RSRC2:TGID_X_EN: 1
; COMPUTE_PGM_RSRC2:TGID_Y_EN: 0
; COMPUTE_PGM_RSRC2:TGID_Z_EN: 0
; COMPUTE_PGM_RSRC2:TIDIG_COMP_CNT: 0
	.section	.text._ZN2at6native32elementwise_kernel_manual_unrollILi128ELi4EZNS0_22gpu_kernel_impl_nocastIZZZNS0_17clamp_kernel_cudaERNS_18TensorIteratorBaseERKN3c106ScalarES8_ENKUlvE_clEvENKUlvE5_clEvEUlfE_EEvS4_RKT_EUlibE_EEviT1_,"axG",@progbits,_ZN2at6native32elementwise_kernel_manual_unrollILi128ELi4EZNS0_22gpu_kernel_impl_nocastIZZZNS0_17clamp_kernel_cudaERNS_18TensorIteratorBaseERKN3c106ScalarES8_ENKUlvE_clEvENKUlvE5_clEvEUlfE_EEvS4_RKT_EUlibE_EEviT1_,comdat
	.globl	_ZN2at6native32elementwise_kernel_manual_unrollILi128ELi4EZNS0_22gpu_kernel_impl_nocastIZZZNS0_17clamp_kernel_cudaERNS_18TensorIteratorBaseERKN3c106ScalarES8_ENKUlvE_clEvENKUlvE5_clEvEUlfE_EEvS4_RKT_EUlibE_EEviT1_ ; -- Begin function _ZN2at6native32elementwise_kernel_manual_unrollILi128ELi4EZNS0_22gpu_kernel_impl_nocastIZZZNS0_17clamp_kernel_cudaERNS_18TensorIteratorBaseERKN3c106ScalarES8_ENKUlvE_clEvENKUlvE5_clEvEUlfE_EEvS4_RKT_EUlibE_EEviT1_
	.p2align	8
	.type	_ZN2at6native32elementwise_kernel_manual_unrollILi128ELi4EZNS0_22gpu_kernel_impl_nocastIZZZNS0_17clamp_kernel_cudaERNS_18TensorIteratorBaseERKN3c106ScalarES8_ENKUlvE_clEvENKUlvE5_clEvEUlfE_EEvS4_RKT_EUlibE_EEviT1_,@function
_ZN2at6native32elementwise_kernel_manual_unrollILi128ELi4EZNS0_22gpu_kernel_impl_nocastIZZZNS0_17clamp_kernel_cudaERNS_18TensorIteratorBaseERKN3c106ScalarES8_ENKUlvE_clEvENKUlvE5_clEvEUlfE_EEvS4_RKT_EUlibE_EEviT1_: ; @_ZN2at6native32elementwise_kernel_manual_unrollILi128ELi4EZNS0_22gpu_kernel_impl_nocastIZZZNS0_17clamp_kernel_cudaERNS_18TensorIteratorBaseERKN3c106ScalarES8_ENKUlvE_clEvENKUlvE5_clEvEUlfE_EEvS4_RKT_EUlibE_EEviT1_
; %bb.0:
	s_clause 0x1
	s_load_b32 s24, s[0:1], 0x8
	s_load_b32 s29, s[0:1], 0x0
	v_lshl_or_b32 v4, s15, 9, v0
	s_or_b32 s0, s0, 8
	s_mov_b32 s2, exec_lo
	s_delay_alu instid0(VALU_DEP_1) | instskip(SKIP_2) | instid1(SALU_CYCLE_1)
	v_or_b32_e32 v8, 0x180, v4
	s_waitcnt lgkmcnt(0)
	s_add_i32 s25, s24, -1
	s_cmp_gt_u32 s25, 1
	s_cselect_b32 s26, -1, 0
	v_cmpx_le_i32_e64 s29, v8
	s_xor_b32 s27, exec_lo, s2
	s_cbranch_execz .LBB327_7
; %bb.1:
	s_clause 0x4
	s_load_b128 s[12:15], s[0:1], 0x4
	s_load_b64 s[16:17], s[0:1], 0x14
	s_load_b128 s[8:11], s[0:1], 0xc4
	s_load_b128 s[4:7], s[0:1], 0x148
	s_load_b64 s[2:3], s[0:1], 0x158
	s_cmp_lg_u32 s24, 0
	s_mov_b32 s33, exec_lo
	s_cselect_b32 s31, -1, 0
	s_add_u32 s18, s0, 0xc4
	s_addc_u32 s19, s1, 0
	s_min_u32 s30, s25, 15
	s_cmp_gt_u32 s24, 1
	s_cselect_b32 s28, -1, 0
	v_cmpx_gt_i32_e64 s29, v4
	s_cbranch_execz .LBB327_14
; %bb.2:
	s_and_not1_b32 vcc_lo, exec_lo, s26
	s_cbranch_vccnz .LBB327_21
; %bb.3:
	v_dual_mov_b32 v0, 0 :: v_dual_mov_b32 v1, 0
	s_and_not1_b32 vcc_lo, exec_lo, s31
	s_mov_b32 s34, 0
	s_cbranch_vccnz .LBB327_73
; %bb.4:
	v_mov_b32_e32 v0, 0
	s_add_i32 s36, s30, 1
	s_cmp_eq_u32 s25, 2
	s_mov_b32 s35, 0
	s_cbranch_scc1 .LBB327_69
; %bb.5:
	v_dual_mov_b32 v1, 0 :: v_dual_mov_b32 v0, 0
	v_mov_b32_e32 v2, v4
	s_and_b32 s35, s36, 28
	s_mov_b32 s37, 0
	s_mov_b64 s[20:21], s[18:19]
	s_mov_b64 s[22:23], s[0:1]
.LBB327_6:                              ; =>This Inner Loop Header: Depth=1
	s_clause 0x1
	s_load_b256 s[40:47], s[22:23], 0x4
	s_load_b128 s[56:59], s[22:23], 0x24
	s_load_b256 s[48:55], s[20:21], 0x0
	s_add_u32 s22, s22, 48
	s_addc_u32 s23, s23, 0
	s_add_i32 s37, s37, 4
	s_add_u32 s20, s20, 32
	s_addc_u32 s21, s21, 0
	s_cmp_lg_u32 s35, s37
	s_waitcnt lgkmcnt(0)
	v_mul_hi_u32 v3, s41, v2
	s_delay_alu instid0(VALU_DEP_1) | instskip(NEXT) | instid1(VALU_DEP_1)
	v_add_nc_u32_e32 v3, v2, v3
	v_lshrrev_b32_e32 v3, s42, v3
	s_delay_alu instid0(VALU_DEP_1) | instskip(SKIP_1) | instid1(VALU_DEP_2)
	v_mul_hi_u32 v5, s44, v3
	v_mul_lo_u32 v7, v3, s40
	v_add_nc_u32_e32 v5, v3, v5
	s_delay_alu instid0(VALU_DEP_2) | instskip(NEXT) | instid1(VALU_DEP_2)
	v_sub_nc_u32_e32 v2, v2, v7
	v_lshrrev_b32_e32 v5, s45, v5
	s_delay_alu instid0(VALU_DEP_2) | instskip(SKIP_1) | instid1(VALU_DEP_3)
	v_mul_lo_u32 v7, v2, s48
	v_mul_lo_u32 v9, v2, s49
	v_mul_hi_u32 v6, s47, v5
	s_delay_alu instid0(VALU_DEP_1) | instskip(NEXT) | instid1(VALU_DEP_1)
	v_add_nc_u32_e32 v6, v5, v6
	v_lshrrev_b32_e32 v6, s56, v6
	s_delay_alu instid0(VALU_DEP_1) | instskip(SKIP_1) | instid1(VALU_DEP_2)
	v_mul_hi_u32 v8, s58, v6
	v_mul_lo_u32 v10, v6, s46
	v_add_nc_u32_e32 v2, v6, v8
	v_mul_lo_u32 v8, v5, s43
	s_delay_alu instid0(VALU_DEP_3) | instskip(NEXT) | instid1(VALU_DEP_3)
	v_sub_nc_u32_e32 v5, v5, v10
	v_lshrrev_b32_e32 v2, s59, v2
	s_delay_alu instid0(VALU_DEP_2) | instskip(SKIP_2) | instid1(VALU_DEP_4)
	v_mul_lo_u32 v10, v5, s52
	v_mul_lo_u32 v5, v5, s53
	v_sub_nc_u32_e32 v3, v3, v8
	v_mul_lo_u32 v11, v2, s57
	s_delay_alu instid0(VALU_DEP_2) | instskip(SKIP_1) | instid1(VALU_DEP_3)
	v_mul_lo_u32 v8, v3, s50
	v_mul_lo_u32 v3, v3, s51
	v_sub_nc_u32_e32 v6, v6, v11
	s_delay_alu instid0(VALU_DEP_3) | instskip(NEXT) | instid1(VALU_DEP_2)
	v_add3_u32 v0, v7, v0, v8
	v_mul_lo_u32 v11, v6, s54
	v_mul_lo_u32 v6, v6, s55
	v_add3_u32 v1, v9, v1, v3
	s_delay_alu instid0(VALU_DEP_3) | instskip(NEXT) | instid1(VALU_DEP_2)
	v_add3_u32 v0, v10, v0, v11
	v_add3_u32 v1, v5, v1, v6
	s_cbranch_scc1 .LBB327_6
	s_branch .LBB327_70
.LBB327_7:
	s_and_not1_saveexec_b32 s2, s27
	s_cbranch_execz .LBB327_94
.LBB327_8:
	v_cndmask_b32_e64 v6, 0, 1, s26
	s_and_not1_b32 vcc_lo, exec_lo, s26
	s_cbranch_vccnz .LBB327_20
; %bb.9:
	v_dual_mov_b32 v0, 0 :: v_dual_mov_b32 v1, 0
	s_cmp_lg_u32 s24, 0
	s_mov_b32 s6, 0
	s_cbranch_scc0 .LBB327_26
; %bb.10:
	s_min_u32 s7, s25, 15
	v_mov_b32_e32 v0, 0
	s_add_i32 s7, s7, 1
	s_cmp_eq_u32 s25, 2
	s_mov_b32 s8, 0
	s_cbranch_scc1 .LBB327_23
; %bb.11:
	v_dual_mov_b32 v1, 0 :: v_dual_mov_b32 v0, 0
	v_mov_b32_e32 v2, v4
	s_add_u32 s2, s0, 0xc4
	s_addc_u32 s3, s1, 0
	s_and_b32 s8, s7, 28
	s_mov_b32 s9, 0
	s_mov_b64 s[4:5], s[0:1]
.LBB327_12:                             ; =>This Inner Loop Header: Depth=1
	s_clause 0x1
	s_load_b256 s[12:19], s[4:5], 0x4
	s_load_b128 s[20:23], s[4:5], 0x24
	s_load_b256 s[36:43], s[2:3], 0x0
	s_add_u32 s4, s4, 48
	s_addc_u32 s5, s5, 0
	s_add_i32 s9, s9, 4
	s_add_u32 s2, s2, 32
	s_addc_u32 s3, s3, 0
	s_cmp_lg_u32 s8, s9
	s_waitcnt lgkmcnt(0)
	v_mul_hi_u32 v3, s13, v2
	s_delay_alu instid0(VALU_DEP_1) | instskip(NEXT) | instid1(VALU_DEP_1)
	v_add_nc_u32_e32 v3, v2, v3
	v_lshrrev_b32_e32 v3, s14, v3
	s_delay_alu instid0(VALU_DEP_1) | instskip(SKIP_1) | instid1(VALU_DEP_2)
	v_mul_hi_u32 v5, s16, v3
	v_mul_lo_u32 v9, v3, s12
	v_add_nc_u32_e32 v5, v3, v5
	s_delay_alu instid0(VALU_DEP_2) | instskip(NEXT) | instid1(VALU_DEP_2)
	v_sub_nc_u32_e32 v2, v2, v9
	v_lshrrev_b32_e32 v5, s17, v5
	s_delay_alu instid0(VALU_DEP_2) | instskip(SKIP_1) | instid1(VALU_DEP_3)
	v_mul_lo_u32 v9, v2, s36
	v_mul_lo_u32 v11, v2, s37
	v_mul_hi_u32 v7, s19, v5
	s_delay_alu instid0(VALU_DEP_1) | instskip(NEXT) | instid1(VALU_DEP_1)
	v_add_nc_u32_e32 v7, v5, v7
	v_lshrrev_b32_e32 v7, s20, v7
	s_delay_alu instid0(VALU_DEP_1) | instskip(SKIP_1) | instid1(VALU_DEP_2)
	v_mul_hi_u32 v10, s22, v7
	v_mul_lo_u32 v12, v7, s18
	v_add_nc_u32_e32 v2, v7, v10
	v_mul_lo_u32 v10, v5, s15
	s_delay_alu instid0(VALU_DEP_3) | instskip(NEXT) | instid1(VALU_DEP_3)
	v_sub_nc_u32_e32 v5, v5, v12
	v_lshrrev_b32_e32 v2, s23, v2
	s_delay_alu instid0(VALU_DEP_2) | instskip(SKIP_2) | instid1(VALU_DEP_4)
	v_mul_lo_u32 v12, v5, s40
	v_mul_lo_u32 v5, v5, s41
	v_sub_nc_u32_e32 v3, v3, v10
	v_mul_lo_u32 v13, v2, s21
	s_delay_alu instid0(VALU_DEP_2) | instskip(SKIP_1) | instid1(VALU_DEP_3)
	v_mul_lo_u32 v10, v3, s38
	v_mul_lo_u32 v3, v3, s39
	v_sub_nc_u32_e32 v7, v7, v13
	s_delay_alu instid0(VALU_DEP_3) | instskip(NEXT) | instid1(VALU_DEP_2)
	v_add3_u32 v0, v9, v0, v10
	v_mul_lo_u32 v13, v7, s42
	v_mul_lo_u32 v7, v7, s43
	v_add3_u32 v1, v11, v1, v3
	s_delay_alu instid0(VALU_DEP_3) | instskip(NEXT) | instid1(VALU_DEP_2)
	v_add3_u32 v0, v12, v0, v13
	v_add3_u32 v1, v5, v1, v7
	s_cbranch_scc1 .LBB327_12
; %bb.13:
	s_and_b32 s7, s7, 3
	s_delay_alu instid0(SALU_CYCLE_1)
	s_cmp_eq_u32 s7, 0
	s_cbranch_scc0 .LBB327_24
	s_branch .LBB327_26
.LBB327_14:
	s_or_b32 exec_lo, exec_lo, s33
	s_delay_alu instid0(SALU_CYCLE_1)
	s_mov_b32 s33, exec_lo
	v_cmpx_gt_i32_e64 s29, v4
	s_cbranch_execz .LBB327_77
.LBB327_15:
	s_and_not1_b32 vcc_lo, exec_lo, s26
	s_cbranch_vccnz .LBB327_22
; %bb.16:
	v_dual_mov_b32 v0, 0 :: v_dual_mov_b32 v1, 0
	s_and_not1_b32 vcc_lo, exec_lo, s31
	s_mov_b32 s34, 0
	s_cbranch_vccnz .LBB327_88
; %bb.17:
	v_mov_b32_e32 v0, 0
	s_add_i32 s36, s30, 1
	s_cmp_eq_u32 s25, 2
	s_mov_b32 s35, 0
	s_cbranch_scc1 .LBB327_84
; %bb.18:
	v_dual_mov_b32 v1, 0 :: v_dual_mov_b32 v0, 0
	v_mov_b32_e32 v2, v4
	s_and_b32 s35, s36, 28
	s_mov_b32 s37, 0
	s_mov_b64 s[20:21], s[18:19]
	s_mov_b64 s[22:23], s[0:1]
.LBB327_19:                             ; =>This Inner Loop Header: Depth=1
	s_clause 0x1
	s_load_b256 s[40:47], s[22:23], 0x4
	s_load_b128 s[56:59], s[22:23], 0x24
	s_load_b256 s[48:55], s[20:21], 0x0
	s_add_u32 s22, s22, 48
	s_addc_u32 s23, s23, 0
	s_add_i32 s37, s37, 4
	s_add_u32 s20, s20, 32
	s_addc_u32 s21, s21, 0
	s_cmp_eq_u32 s35, s37
	s_waitcnt lgkmcnt(0)
	v_mul_hi_u32 v3, s41, v2
	s_delay_alu instid0(VALU_DEP_1) | instskip(NEXT) | instid1(VALU_DEP_1)
	v_add_nc_u32_e32 v3, v2, v3
	v_lshrrev_b32_e32 v3, s42, v3
	s_delay_alu instid0(VALU_DEP_1) | instskip(SKIP_1) | instid1(VALU_DEP_2)
	v_mul_hi_u32 v5, s44, v3
	v_mul_lo_u32 v7, v3, s40
	v_add_nc_u32_e32 v5, v3, v5
	s_delay_alu instid0(VALU_DEP_2) | instskip(NEXT) | instid1(VALU_DEP_2)
	v_sub_nc_u32_e32 v2, v2, v7
	v_lshrrev_b32_e32 v5, s45, v5
	s_delay_alu instid0(VALU_DEP_2) | instskip(SKIP_1) | instid1(VALU_DEP_3)
	v_mul_lo_u32 v7, v2, s48
	v_mul_lo_u32 v9, v2, s49
	v_mul_hi_u32 v6, s47, v5
	s_delay_alu instid0(VALU_DEP_1) | instskip(NEXT) | instid1(VALU_DEP_1)
	v_add_nc_u32_e32 v6, v5, v6
	v_lshrrev_b32_e32 v6, s56, v6
	s_delay_alu instid0(VALU_DEP_1) | instskip(SKIP_1) | instid1(VALU_DEP_2)
	v_mul_hi_u32 v8, s58, v6
	v_mul_lo_u32 v10, v6, s46
	v_add_nc_u32_e32 v2, v6, v8
	v_mul_lo_u32 v8, v5, s43
	s_delay_alu instid0(VALU_DEP_3) | instskip(NEXT) | instid1(VALU_DEP_3)
	v_sub_nc_u32_e32 v5, v5, v10
	v_lshrrev_b32_e32 v2, s59, v2
	s_delay_alu instid0(VALU_DEP_2) | instskip(SKIP_2) | instid1(VALU_DEP_4)
	v_mul_lo_u32 v10, v5, s52
	v_mul_lo_u32 v5, v5, s53
	v_sub_nc_u32_e32 v3, v3, v8
	v_mul_lo_u32 v11, v2, s57
	s_delay_alu instid0(VALU_DEP_2) | instskip(SKIP_1) | instid1(VALU_DEP_3)
	v_mul_lo_u32 v8, v3, s50
	v_mul_lo_u32 v3, v3, s51
	v_sub_nc_u32_e32 v6, v6, v11
	s_delay_alu instid0(VALU_DEP_3) | instskip(NEXT) | instid1(VALU_DEP_2)
	v_add3_u32 v0, v7, v0, v8
	v_mul_lo_u32 v11, v6, s54
	v_mul_lo_u32 v6, v6, s55
	v_add3_u32 v1, v9, v1, v3
	s_delay_alu instid0(VALU_DEP_3) | instskip(NEXT) | instid1(VALU_DEP_2)
	v_add3_u32 v0, v10, v0, v11
	v_add3_u32 v1, v5, v1, v6
	s_cbranch_scc0 .LBB327_19
	s_branch .LBB327_85
.LBB327_20:
	s_mov_b32 s6, -1
                                        ; implicit-def: $vgpr0
                                        ; implicit-def: $vgpr1
	s_branch .LBB327_26
.LBB327_21:
	s_mov_b32 s34, -1
                                        ; implicit-def: $vgpr0
                                        ; implicit-def: $vgpr1
	s_branch .LBB327_73
.LBB327_22:
	s_mov_b32 s34, -1
                                        ; implicit-def: $vgpr0
                                        ; implicit-def: $vgpr1
	s_branch .LBB327_88
.LBB327_23:
	v_dual_mov_b32 v2, v4 :: v_dual_mov_b32 v1, 0
	s_and_b32 s7, s7, 3
	s_delay_alu instid0(SALU_CYCLE_1)
	s_cmp_eq_u32 s7, 0
	s_cbranch_scc1 .LBB327_26
.LBB327_24:
	s_lshl_b32 s2, s8, 3
	s_mul_i32 s4, s8, 12
	s_add_u32 s2, s2, s0
	s_addc_u32 s3, 0, s1
	s_add_u32 s2, s2, 0xc4
	s_addc_u32 s3, s3, 0
	;; [unrolled: 2-line block ×3, first 2 shown]
	.p2align	6
.LBB327_25:                             ; =>This Inner Loop Header: Depth=1
	s_clause 0x1
	s_load_b64 s[8:9], s[4:5], 0x4
	s_load_b32 s12, s[4:5], 0xc
	s_load_b64 s[10:11], s[2:3], 0x0
	s_add_u32 s4, s4, 12
	s_addc_u32 s5, s5, 0
	s_add_u32 s2, s2, 8
	s_addc_u32 s3, s3, 0
	s_add_i32 s7, s7, -1
	s_delay_alu instid0(SALU_CYCLE_1) | instskip(SKIP_2) | instid1(VALU_DEP_1)
	s_cmp_lg_u32 s7, 0
	s_waitcnt lgkmcnt(0)
	v_mul_hi_u32 v3, s9, v2
	v_add_nc_u32_e32 v3, v2, v3
	s_delay_alu instid0(VALU_DEP_1) | instskip(NEXT) | instid1(VALU_DEP_1)
	v_lshrrev_b32_e32 v3, s12, v3
	v_mul_lo_u32 v5, v3, s8
	s_delay_alu instid0(VALU_DEP_1) | instskip(NEXT) | instid1(VALU_DEP_1)
	v_sub_nc_u32_e32 v2, v2, v5
	v_mad_u64_u32 v[9:10], null, v2, s10, v[0:1]
	v_mad_u64_u32 v[10:11], null, v2, s11, v[1:2]
	v_mov_b32_e32 v2, v3
	s_delay_alu instid0(VALU_DEP_2)
	v_dual_mov_b32 v0, v9 :: v_dual_mov_b32 v1, v10
	s_cbranch_scc1 .LBB327_25
.LBB327_26:
	s_and_not1_b32 vcc_lo, exec_lo, s6
	s_cbranch_vccnz .LBB327_29
; %bb.27:
	s_clause 0x1
	s_load_b128 s[4:7], s[0:1], 0x4
	s_load_b64 s[2:3], s[0:1], 0xc4
	s_cmp_lt_u32 s24, 2
	s_waitcnt lgkmcnt(0)
	v_mul_hi_u32 v0, s5, v4
	s_delay_alu instid0(VALU_DEP_1) | instskip(NEXT) | instid1(VALU_DEP_1)
	v_add_nc_u32_e32 v0, v4, v0
	v_lshrrev_b32_e32 v2, s6, v0
	s_delay_alu instid0(VALU_DEP_1) | instskip(NEXT) | instid1(VALU_DEP_1)
	v_mul_lo_u32 v0, v2, s4
	v_sub_nc_u32_e32 v1, v4, v0
	s_delay_alu instid0(VALU_DEP_1)
	v_mul_lo_u32 v0, v1, s2
	v_mul_lo_u32 v1, v1, s3
	s_cbranch_scc1 .LBB327_29
; %bb.28:
	s_clause 0x1
	s_load_b128 s[4:7], s[0:1], 0x10
	s_load_b64 s[2:3], s[0:1], 0xcc
	s_waitcnt lgkmcnt(0)
	v_mul_hi_u32 v3, s5, v2
	s_delay_alu instid0(VALU_DEP_1) | instskip(NEXT) | instid1(VALU_DEP_1)
	v_add_nc_u32_e32 v3, v2, v3
	v_lshrrev_b32_e32 v3, s6, v3
	s_delay_alu instid0(VALU_DEP_1) | instskip(NEXT) | instid1(VALU_DEP_1)
	v_mul_lo_u32 v3, v3, s4
	v_sub_nc_u32_e32 v5, v2, v3
	s_delay_alu instid0(VALU_DEP_1) | instskip(NEXT) | instid1(VALU_DEP_1)
	v_mad_u64_u32 v[2:3], null, v5, s2, v[0:1]
	v_mad_u64_u32 v[9:10], null, v5, s3, v[1:2]
	s_delay_alu instid0(VALU_DEP_1)
	v_dual_mov_b32 v0, v2 :: v_dual_mov_b32 v1, v9
.LBB327_29:
	v_cmp_ne_u32_e32 vcc_lo, 1, v6
	v_add_nc_u32_e32 v5, 0x80, v4
	s_cbranch_vccnz .LBB327_35
; %bb.30:
	v_dual_mov_b32 v2, 0 :: v_dual_mov_b32 v3, 0
	s_cmp_lg_u32 s24, 0
	s_mov_b32 s6, 0
	s_cbranch_scc0 .LBB327_39
; %bb.31:
	s_min_u32 s7, s25, 15
	v_mov_b32_e32 v2, 0
	s_add_i32 s7, s7, 1
	s_cmp_eq_u32 s25, 2
	s_mov_b32 s8, 0
	s_cbranch_scc1 .LBB327_36
; %bb.32:
	v_dual_mov_b32 v3, 0 :: v_dual_mov_b32 v2, 0
	v_mov_b32_e32 v7, v5
	s_add_u32 s2, s0, 0xc4
	s_addc_u32 s3, s1, 0
	s_and_b32 s8, s7, 28
	s_mov_b32 s9, 0
	s_mov_b64 s[4:5], s[0:1]
.LBB327_33:                             ; =>This Inner Loop Header: Depth=1
	s_clause 0x1
	s_load_b256 s[12:19], s[4:5], 0x4
	s_load_b128 s[20:23], s[4:5], 0x24
	s_load_b256 s[36:43], s[2:3], 0x0
	s_add_u32 s4, s4, 48
	s_addc_u32 s5, s5, 0
	s_add_i32 s9, s9, 4
	s_add_u32 s2, s2, 32
	s_addc_u32 s3, s3, 0
	s_cmp_lg_u32 s8, s9
	s_waitcnt lgkmcnt(0)
	v_mul_hi_u32 v9, s13, v7
	s_delay_alu instid0(VALU_DEP_1) | instskip(NEXT) | instid1(VALU_DEP_1)
	v_add_nc_u32_e32 v9, v7, v9
	v_lshrrev_b32_e32 v9, s14, v9
	s_delay_alu instid0(VALU_DEP_1) | instskip(SKIP_1) | instid1(VALU_DEP_2)
	v_mul_hi_u32 v10, s16, v9
	v_mul_lo_u32 v12, v9, s12
	v_add_nc_u32_e32 v10, v9, v10
	s_delay_alu instid0(VALU_DEP_2) | instskip(NEXT) | instid1(VALU_DEP_2)
	v_sub_nc_u32_e32 v7, v7, v12
	v_lshrrev_b32_e32 v10, s17, v10
	s_delay_alu instid0(VALU_DEP_2) | instskip(SKIP_1) | instid1(VALU_DEP_3)
	v_mul_lo_u32 v12, v7, s36
	v_mul_lo_u32 v14, v7, s37
	v_mul_hi_u32 v11, s19, v10
	s_delay_alu instid0(VALU_DEP_1) | instskip(NEXT) | instid1(VALU_DEP_1)
	v_add_nc_u32_e32 v11, v10, v11
	v_lshrrev_b32_e32 v11, s20, v11
	s_delay_alu instid0(VALU_DEP_1) | instskip(SKIP_1) | instid1(VALU_DEP_2)
	v_mul_hi_u32 v13, s22, v11
	v_mul_lo_u32 v15, v11, s18
	v_add_nc_u32_e32 v7, v11, v13
	v_mul_lo_u32 v13, v10, s15
	s_delay_alu instid0(VALU_DEP_3) | instskip(NEXT) | instid1(VALU_DEP_3)
	v_sub_nc_u32_e32 v10, v10, v15
	v_lshrrev_b32_e32 v7, s23, v7
	s_delay_alu instid0(VALU_DEP_2) | instskip(SKIP_2) | instid1(VALU_DEP_4)
	v_mul_lo_u32 v15, v10, s40
	v_mul_lo_u32 v10, v10, s41
	v_sub_nc_u32_e32 v9, v9, v13
	v_mul_lo_u32 v16, v7, s21
	s_delay_alu instid0(VALU_DEP_2) | instskip(SKIP_1) | instid1(VALU_DEP_3)
	v_mul_lo_u32 v13, v9, s38
	v_mul_lo_u32 v9, v9, s39
	v_sub_nc_u32_e32 v11, v11, v16
	s_delay_alu instid0(VALU_DEP_3) | instskip(NEXT) | instid1(VALU_DEP_2)
	v_add3_u32 v2, v12, v2, v13
	v_mul_lo_u32 v16, v11, s42
	v_mul_lo_u32 v11, v11, s43
	v_add3_u32 v3, v14, v3, v9
	s_delay_alu instid0(VALU_DEP_3) | instskip(NEXT) | instid1(VALU_DEP_2)
	v_add3_u32 v2, v15, v2, v16
	v_add3_u32 v3, v10, v3, v11
	s_cbranch_scc1 .LBB327_33
; %bb.34:
	s_and_b32 s7, s7, 3
	s_delay_alu instid0(SALU_CYCLE_1)
	s_cmp_eq_u32 s7, 0
	s_cbranch_scc0 .LBB327_37
	s_branch .LBB327_39
.LBB327_35:
	s_mov_b32 s6, -1
                                        ; implicit-def: $vgpr2
                                        ; implicit-def: $vgpr3
	s_branch .LBB327_39
.LBB327_36:
	v_mov_b32_e32 v7, v5
	v_mov_b32_e32 v3, 0
	s_and_b32 s7, s7, 3
	s_delay_alu instid0(SALU_CYCLE_1)
	s_cmp_eq_u32 s7, 0
	s_cbranch_scc1 .LBB327_39
.LBB327_37:
	s_lshl_b32 s2, s8, 3
	s_mul_i32 s4, s8, 12
	s_add_u32 s2, s2, s0
	s_addc_u32 s3, 0, s1
	s_add_u32 s2, s2, 0xc4
	s_addc_u32 s3, s3, 0
	;; [unrolled: 2-line block ×3, first 2 shown]
	.p2align	6
.LBB327_38:                             ; =>This Inner Loop Header: Depth=1
	s_clause 0x1
	s_load_b64 s[8:9], s[4:5], 0x4
	s_load_b32 s12, s[4:5], 0xc
	s_load_b64 s[10:11], s[2:3], 0x0
	s_add_u32 s4, s4, 12
	s_addc_u32 s5, s5, 0
	s_add_u32 s2, s2, 8
	s_addc_u32 s3, s3, 0
	s_add_i32 s7, s7, -1
	s_delay_alu instid0(SALU_CYCLE_1) | instskip(SKIP_2) | instid1(VALU_DEP_1)
	s_cmp_lg_u32 s7, 0
	s_waitcnt lgkmcnt(0)
	v_mul_hi_u32 v9, s9, v7
	v_add_nc_u32_e32 v9, v7, v9
	s_delay_alu instid0(VALU_DEP_1) | instskip(NEXT) | instid1(VALU_DEP_1)
	v_lshrrev_b32_e32 v12, s12, v9
	v_mul_lo_u32 v9, v12, s8
	s_delay_alu instid0(VALU_DEP_1) | instskip(NEXT) | instid1(VALU_DEP_1)
	v_sub_nc_u32_e32 v7, v7, v9
	v_mad_u64_u32 v[9:10], null, v7, s10, v[2:3]
	v_mad_u64_u32 v[10:11], null, v7, s11, v[3:4]
	s_delay_alu instid0(VALU_DEP_2) | instskip(NEXT) | instid1(VALU_DEP_2)
	v_dual_mov_b32 v7, v12 :: v_dual_mov_b32 v2, v9
	v_mov_b32_e32 v3, v10
	s_cbranch_scc1 .LBB327_38
.LBB327_39:
	s_and_not1_b32 vcc_lo, exec_lo, s6
	s_cbranch_vccnz .LBB327_42
; %bb.40:
	s_clause 0x1
	s_load_b128 s[4:7], s[0:1], 0x4
	s_load_b64 s[2:3], s[0:1], 0xc4
	s_cmp_lt_u32 s24, 2
	s_waitcnt lgkmcnt(0)
	v_mul_hi_u32 v2, s5, v5
	s_delay_alu instid0(VALU_DEP_1) | instskip(NEXT) | instid1(VALU_DEP_1)
	v_add_nc_u32_e32 v2, v5, v2
	v_lshrrev_b32_e32 v7, s6, v2
	s_delay_alu instid0(VALU_DEP_1) | instskip(NEXT) | instid1(VALU_DEP_1)
	v_mul_lo_u32 v2, v7, s4
	v_sub_nc_u32_e32 v3, v5, v2
	s_delay_alu instid0(VALU_DEP_1)
	v_mul_lo_u32 v2, v3, s2
	v_mul_lo_u32 v3, v3, s3
	s_cbranch_scc1 .LBB327_42
; %bb.41:
	s_clause 0x1
	s_load_b128 s[4:7], s[0:1], 0x10
	s_load_b64 s[2:3], s[0:1], 0xcc
	s_waitcnt lgkmcnt(0)
	v_mul_hi_u32 v5, s5, v7
	s_delay_alu instid0(VALU_DEP_1) | instskip(NEXT) | instid1(VALU_DEP_1)
	v_add_nc_u32_e32 v5, v7, v5
	v_lshrrev_b32_e32 v5, s6, v5
	s_delay_alu instid0(VALU_DEP_1) | instskip(NEXT) | instid1(VALU_DEP_1)
	v_mul_lo_u32 v5, v5, s4
	v_sub_nc_u32_e32 v5, v7, v5
	s_delay_alu instid0(VALU_DEP_1) | instskip(SKIP_1) | instid1(VALU_DEP_1)
	v_mad_u64_u32 v[9:10], null, v5, s2, v[2:3]
	v_mad_u64_u32 v[10:11], null, v5, s3, v[3:4]
	v_dual_mov_b32 v2, v9 :: v_dual_mov_b32 v3, v10
.LBB327_42:
	v_cmp_ne_u32_e32 vcc_lo, 1, v6
	v_add_nc_u32_e32 v7, 0x100, v4
	s_cbranch_vccnz .LBB327_48
; %bb.43:
	v_dual_mov_b32 v4, 0 :: v_dual_mov_b32 v5, 0
	s_cmp_lg_u32 s24, 0
	s_mov_b32 s6, 0
	s_cbranch_scc0 .LBB327_52
; %bb.44:
	s_min_u32 s7, s25, 15
	v_mov_b32_e32 v4, 0
	s_add_i32 s7, s7, 1
	s_cmp_eq_u32 s25, 2
	s_mov_b32 s8, 0
	s_cbranch_scc1 .LBB327_49
; %bb.45:
	v_dual_mov_b32 v5, 0 :: v_dual_mov_b32 v4, 0
	v_mov_b32_e32 v9, v7
	s_add_u32 s2, s0, 0xc4
	s_addc_u32 s3, s1, 0
	s_and_b32 s8, s7, 28
	s_mov_b32 s9, 0
	s_mov_b64 s[4:5], s[0:1]
.LBB327_46:                             ; =>This Inner Loop Header: Depth=1
	s_clause 0x1
	s_load_b256 s[12:19], s[4:5], 0x4
	s_load_b128 s[20:23], s[4:5], 0x24
	s_load_b256 s[36:43], s[2:3], 0x0
	s_add_u32 s4, s4, 48
	s_addc_u32 s5, s5, 0
	s_add_i32 s9, s9, 4
	s_add_u32 s2, s2, 32
	s_addc_u32 s3, s3, 0
	s_cmp_lg_u32 s8, s9
	s_waitcnt lgkmcnt(0)
	v_mul_hi_u32 v10, s13, v9
	s_delay_alu instid0(VALU_DEP_1) | instskip(NEXT) | instid1(VALU_DEP_1)
	v_add_nc_u32_e32 v10, v9, v10
	v_lshrrev_b32_e32 v10, s14, v10
	s_delay_alu instid0(VALU_DEP_1) | instskip(SKIP_1) | instid1(VALU_DEP_2)
	v_mul_hi_u32 v11, s16, v10
	v_mul_lo_u32 v13, v10, s12
	v_add_nc_u32_e32 v11, v10, v11
	s_delay_alu instid0(VALU_DEP_2) | instskip(NEXT) | instid1(VALU_DEP_2)
	v_sub_nc_u32_e32 v9, v9, v13
	v_lshrrev_b32_e32 v11, s17, v11
	s_delay_alu instid0(VALU_DEP_2) | instskip(SKIP_1) | instid1(VALU_DEP_3)
	v_mul_lo_u32 v13, v9, s36
	v_mul_lo_u32 v15, v9, s37
	v_mul_hi_u32 v12, s19, v11
	s_delay_alu instid0(VALU_DEP_1) | instskip(NEXT) | instid1(VALU_DEP_1)
	v_add_nc_u32_e32 v12, v11, v12
	v_lshrrev_b32_e32 v12, s20, v12
	s_delay_alu instid0(VALU_DEP_1) | instskip(SKIP_1) | instid1(VALU_DEP_2)
	v_mul_hi_u32 v14, s22, v12
	v_mul_lo_u32 v16, v12, s18
	v_add_nc_u32_e32 v9, v12, v14
	v_mul_lo_u32 v14, v11, s15
	s_delay_alu instid0(VALU_DEP_3) | instskip(NEXT) | instid1(VALU_DEP_3)
	v_sub_nc_u32_e32 v11, v11, v16
	v_lshrrev_b32_e32 v9, s23, v9
	s_delay_alu instid0(VALU_DEP_2) | instskip(SKIP_2) | instid1(VALU_DEP_4)
	v_mul_lo_u32 v16, v11, s40
	v_mul_lo_u32 v11, v11, s41
	v_sub_nc_u32_e32 v10, v10, v14
	v_mul_lo_u32 v17, v9, s21
	s_delay_alu instid0(VALU_DEP_2) | instskip(SKIP_1) | instid1(VALU_DEP_3)
	v_mul_lo_u32 v14, v10, s38
	v_mul_lo_u32 v10, v10, s39
	v_sub_nc_u32_e32 v12, v12, v17
	s_delay_alu instid0(VALU_DEP_3) | instskip(NEXT) | instid1(VALU_DEP_2)
	v_add3_u32 v4, v13, v4, v14
	v_mul_lo_u32 v17, v12, s42
	v_mul_lo_u32 v12, v12, s43
	v_add3_u32 v5, v15, v5, v10
	s_delay_alu instid0(VALU_DEP_3) | instskip(NEXT) | instid1(VALU_DEP_2)
	v_add3_u32 v4, v16, v4, v17
	v_add3_u32 v5, v11, v5, v12
	s_cbranch_scc1 .LBB327_46
; %bb.47:
	s_and_b32 s7, s7, 3
	s_delay_alu instid0(SALU_CYCLE_1)
	s_cmp_eq_u32 s7, 0
	s_cbranch_scc0 .LBB327_50
	s_branch .LBB327_52
.LBB327_48:
	s_mov_b32 s6, -1
                                        ; implicit-def: $vgpr4
                                        ; implicit-def: $vgpr5
	s_branch .LBB327_52
.LBB327_49:
	v_mov_b32_e32 v9, v7
	v_mov_b32_e32 v5, 0
	s_and_b32 s7, s7, 3
	s_delay_alu instid0(SALU_CYCLE_1)
	s_cmp_eq_u32 s7, 0
	s_cbranch_scc1 .LBB327_52
.LBB327_50:
	s_lshl_b32 s2, s8, 3
	s_mul_i32 s4, s8, 12
	s_add_u32 s2, s2, s0
	s_addc_u32 s3, 0, s1
	s_add_u32 s2, s2, 0xc4
	s_addc_u32 s3, s3, 0
	;; [unrolled: 2-line block ×3, first 2 shown]
	.p2align	6
.LBB327_51:                             ; =>This Inner Loop Header: Depth=1
	s_clause 0x1
	s_load_b64 s[8:9], s[4:5], 0x4
	s_load_b32 s12, s[4:5], 0xc
	s_load_b64 s[10:11], s[2:3], 0x0
	s_add_u32 s4, s4, 12
	s_addc_u32 s5, s5, 0
	s_add_u32 s2, s2, 8
	s_addc_u32 s3, s3, 0
	s_add_i32 s7, s7, -1
	s_delay_alu instid0(SALU_CYCLE_1) | instskip(SKIP_2) | instid1(VALU_DEP_1)
	s_cmp_lg_u32 s7, 0
	s_waitcnt lgkmcnt(0)
	v_mul_hi_u32 v10, s9, v9
	v_add_nc_u32_e32 v10, v9, v10
	s_delay_alu instid0(VALU_DEP_1) | instskip(NEXT) | instid1(VALU_DEP_1)
	v_lshrrev_b32_e32 v13, s12, v10
	v_mul_lo_u32 v10, v13, s8
	s_delay_alu instid0(VALU_DEP_1) | instskip(NEXT) | instid1(VALU_DEP_1)
	v_sub_nc_u32_e32 v9, v9, v10
	v_mad_u64_u32 v[10:11], null, v9, s10, v[4:5]
	v_mad_u64_u32 v[11:12], null, v9, s11, v[5:6]
	s_delay_alu instid0(VALU_DEP_2) | instskip(NEXT) | instid1(VALU_DEP_2)
	v_dual_mov_b32 v9, v13 :: v_dual_mov_b32 v4, v10
	v_mov_b32_e32 v5, v11
	s_cbranch_scc1 .LBB327_51
.LBB327_52:
	s_and_not1_b32 vcc_lo, exec_lo, s6
	s_cbranch_vccnz .LBB327_55
; %bb.53:
	s_clause 0x1
	s_load_b128 s[4:7], s[0:1], 0x4
	s_load_b64 s[2:3], s[0:1], 0xc4
	s_cmp_lt_u32 s24, 2
	s_waitcnt lgkmcnt(0)
	v_mul_hi_u32 v4, s5, v7
	s_delay_alu instid0(VALU_DEP_1) | instskip(NEXT) | instid1(VALU_DEP_1)
	v_add_nc_u32_e32 v4, v7, v4
	v_lshrrev_b32_e32 v9, s6, v4
	s_delay_alu instid0(VALU_DEP_1) | instskip(NEXT) | instid1(VALU_DEP_1)
	v_mul_lo_u32 v4, v9, s4
	v_sub_nc_u32_e32 v5, v7, v4
	s_delay_alu instid0(VALU_DEP_1)
	v_mul_lo_u32 v4, v5, s2
	v_mul_lo_u32 v5, v5, s3
	s_cbranch_scc1 .LBB327_55
; %bb.54:
	s_clause 0x1
	s_load_b128 s[4:7], s[0:1], 0x10
	s_load_b64 s[2:3], s[0:1], 0xcc
	s_waitcnt lgkmcnt(0)
	v_mul_hi_u32 v7, s5, v9
	s_delay_alu instid0(VALU_DEP_1) | instskip(NEXT) | instid1(VALU_DEP_1)
	v_add_nc_u32_e32 v7, v9, v7
	v_lshrrev_b32_e32 v7, s6, v7
	s_delay_alu instid0(VALU_DEP_1) | instskip(NEXT) | instid1(VALU_DEP_1)
	v_mul_lo_u32 v7, v7, s4
	v_sub_nc_u32_e32 v7, v9, v7
	s_delay_alu instid0(VALU_DEP_1) | instskip(SKIP_1) | instid1(VALU_DEP_1)
	v_mad_u64_u32 v[9:10], null, v7, s2, v[4:5]
	v_mad_u64_u32 v[10:11], null, v7, s3, v[5:6]
	v_dual_mov_b32 v4, v9 :: v_dual_mov_b32 v5, v10
.LBB327_55:
	v_cmp_ne_u32_e32 vcc_lo, 1, v6
	s_cbranch_vccnz .LBB327_61
; %bb.56:
	v_dual_mov_b32 v6, 0 :: v_dual_mov_b32 v7, 0
	s_cmp_lg_u32 s24, 0
	s_mov_b32 s6, 0
	s_cbranch_scc0 .LBB327_65
; %bb.57:
	s_min_u32 s7, s25, 15
	v_mov_b32_e32 v6, 0
	s_add_i32 s7, s7, 1
	s_cmp_eq_u32 s25, 2
	s_mov_b32 s8, 0
	s_cbranch_scc1 .LBB327_62
; %bb.58:
	v_dual_mov_b32 v7, 0 :: v_dual_mov_b32 v6, 0
	v_mov_b32_e32 v9, v8
	s_add_u32 s2, s0, 0xc4
	s_addc_u32 s3, s1, 0
	s_and_b32 s8, s7, 28
	s_mov_b32 s9, 0
	s_mov_b64 s[4:5], s[0:1]
.LBB327_59:                             ; =>This Inner Loop Header: Depth=1
	s_clause 0x1
	s_load_b256 s[12:19], s[4:5], 0x4
	s_load_b128 s[20:23], s[4:5], 0x24
	s_load_b256 s[36:43], s[2:3], 0x0
	s_add_u32 s4, s4, 48
	s_addc_u32 s5, s5, 0
	s_add_i32 s9, s9, 4
	s_add_u32 s2, s2, 32
	s_addc_u32 s3, s3, 0
	s_cmp_lg_u32 s8, s9
	s_waitcnt lgkmcnt(0)
	v_mul_hi_u32 v10, s13, v9
	s_delay_alu instid0(VALU_DEP_1) | instskip(NEXT) | instid1(VALU_DEP_1)
	v_add_nc_u32_e32 v10, v9, v10
	v_lshrrev_b32_e32 v10, s14, v10
	s_delay_alu instid0(VALU_DEP_1) | instskip(SKIP_1) | instid1(VALU_DEP_2)
	v_mul_hi_u32 v11, s16, v10
	v_mul_lo_u32 v13, v10, s12
	v_add_nc_u32_e32 v11, v10, v11
	s_delay_alu instid0(VALU_DEP_2) | instskip(NEXT) | instid1(VALU_DEP_2)
	v_sub_nc_u32_e32 v9, v9, v13
	v_lshrrev_b32_e32 v11, s17, v11
	s_delay_alu instid0(VALU_DEP_2) | instskip(SKIP_1) | instid1(VALU_DEP_3)
	v_mul_lo_u32 v13, v9, s36
	v_mul_lo_u32 v15, v9, s37
	v_mul_hi_u32 v12, s19, v11
	s_delay_alu instid0(VALU_DEP_1) | instskip(NEXT) | instid1(VALU_DEP_1)
	v_add_nc_u32_e32 v12, v11, v12
	v_lshrrev_b32_e32 v12, s20, v12
	s_delay_alu instid0(VALU_DEP_1) | instskip(SKIP_1) | instid1(VALU_DEP_2)
	v_mul_hi_u32 v14, s22, v12
	v_mul_lo_u32 v16, v12, s18
	v_add_nc_u32_e32 v9, v12, v14
	v_mul_lo_u32 v14, v11, s15
	s_delay_alu instid0(VALU_DEP_3) | instskip(NEXT) | instid1(VALU_DEP_3)
	v_sub_nc_u32_e32 v11, v11, v16
	v_lshrrev_b32_e32 v9, s23, v9
	s_delay_alu instid0(VALU_DEP_2) | instskip(SKIP_2) | instid1(VALU_DEP_4)
	v_mul_lo_u32 v16, v11, s40
	v_mul_lo_u32 v11, v11, s41
	v_sub_nc_u32_e32 v10, v10, v14
	v_mul_lo_u32 v17, v9, s21
	s_delay_alu instid0(VALU_DEP_2) | instskip(SKIP_1) | instid1(VALU_DEP_3)
	v_mul_lo_u32 v14, v10, s38
	v_mul_lo_u32 v10, v10, s39
	v_sub_nc_u32_e32 v12, v12, v17
	s_delay_alu instid0(VALU_DEP_3) | instskip(NEXT) | instid1(VALU_DEP_2)
	v_add3_u32 v6, v13, v6, v14
	v_mul_lo_u32 v17, v12, s42
	v_mul_lo_u32 v12, v12, s43
	v_add3_u32 v7, v15, v7, v10
	s_delay_alu instid0(VALU_DEP_3) | instskip(NEXT) | instid1(VALU_DEP_2)
	v_add3_u32 v6, v16, v6, v17
	v_add3_u32 v7, v11, v7, v12
	s_cbranch_scc1 .LBB327_59
; %bb.60:
	s_and_b32 s7, s7, 3
	s_delay_alu instid0(SALU_CYCLE_1)
	s_cmp_eq_u32 s7, 0
	s_cbranch_scc0 .LBB327_63
	s_branch .LBB327_65
.LBB327_61:
	s_mov_b32 s6, -1
                                        ; implicit-def: $vgpr6
                                        ; implicit-def: $vgpr7
	s_branch .LBB327_65
.LBB327_62:
	v_mov_b32_e32 v9, v8
	v_mov_b32_e32 v7, 0
	s_and_b32 s7, s7, 3
	s_delay_alu instid0(SALU_CYCLE_1)
	s_cmp_eq_u32 s7, 0
	s_cbranch_scc1 .LBB327_65
.LBB327_63:
	s_lshl_b32 s2, s8, 3
	s_mul_i32 s4, s8, 12
	s_add_u32 s2, s2, s0
	s_addc_u32 s3, 0, s1
	s_add_u32 s2, s2, 0xc4
	s_addc_u32 s3, s3, 0
	;; [unrolled: 2-line block ×3, first 2 shown]
	.p2align	6
.LBB327_64:                             ; =>This Inner Loop Header: Depth=1
	s_clause 0x1
	s_load_b64 s[8:9], s[4:5], 0x4
	s_load_b32 s12, s[4:5], 0xc
	s_load_b64 s[10:11], s[2:3], 0x0
	s_add_u32 s4, s4, 12
	s_addc_u32 s5, s5, 0
	s_add_u32 s2, s2, 8
	s_addc_u32 s3, s3, 0
	s_add_i32 s7, s7, -1
	s_delay_alu instid0(SALU_CYCLE_1) | instskip(SKIP_2) | instid1(VALU_DEP_1)
	s_cmp_lg_u32 s7, 0
	s_waitcnt lgkmcnt(0)
	v_mul_hi_u32 v10, s9, v9
	v_add_nc_u32_e32 v10, v9, v10
	s_delay_alu instid0(VALU_DEP_1) | instskip(NEXT) | instid1(VALU_DEP_1)
	v_lshrrev_b32_e32 v13, s12, v10
	v_mul_lo_u32 v10, v13, s8
	s_delay_alu instid0(VALU_DEP_1) | instskip(NEXT) | instid1(VALU_DEP_1)
	v_sub_nc_u32_e32 v9, v9, v10
	v_mad_u64_u32 v[10:11], null, v9, s10, v[6:7]
	v_mad_u64_u32 v[11:12], null, v9, s11, v[7:8]
	s_delay_alu instid0(VALU_DEP_2) | instskip(NEXT) | instid1(VALU_DEP_2)
	v_dual_mov_b32 v9, v13 :: v_dual_mov_b32 v6, v10
	v_mov_b32_e32 v7, v11
	s_cbranch_scc1 .LBB327_64
.LBB327_65:
	s_and_not1_b32 vcc_lo, exec_lo, s6
	s_cbranch_vccnz .LBB327_68
; %bb.66:
	s_clause 0x1
	s_load_b128 s[4:7], s[0:1], 0x4
	s_load_b64 s[2:3], s[0:1], 0xc4
	s_cmp_lt_u32 s24, 2
	s_waitcnt lgkmcnt(0)
	v_mul_hi_u32 v6, s5, v8
	s_delay_alu instid0(VALU_DEP_1) | instskip(NEXT) | instid1(VALU_DEP_1)
	v_add_nc_u32_e32 v6, v8, v6
	v_lshrrev_b32_e32 v9, s6, v6
	s_delay_alu instid0(VALU_DEP_1) | instskip(NEXT) | instid1(VALU_DEP_1)
	v_mul_lo_u32 v6, v9, s4
	v_sub_nc_u32_e32 v7, v8, v6
	s_delay_alu instid0(VALU_DEP_1)
	v_mul_lo_u32 v6, v7, s2
	v_mul_lo_u32 v7, v7, s3
	s_cbranch_scc1 .LBB327_68
; %bb.67:
	s_clause 0x1
	s_load_b128 s[4:7], s[0:1], 0x10
	s_load_b64 s[2:3], s[0:1], 0xcc
	s_waitcnt lgkmcnt(0)
	v_mul_hi_u32 v8, s5, v9
	s_delay_alu instid0(VALU_DEP_1) | instskip(NEXT) | instid1(VALU_DEP_1)
	v_add_nc_u32_e32 v8, v9, v8
	v_lshrrev_b32_e32 v8, s6, v8
	s_delay_alu instid0(VALU_DEP_1) | instskip(NEXT) | instid1(VALU_DEP_1)
	v_mul_lo_u32 v8, v8, s4
	v_sub_nc_u32_e32 v11, v9, v8
	s_delay_alu instid0(VALU_DEP_1) | instskip(NEXT) | instid1(VALU_DEP_1)
	v_mad_u64_u32 v[8:9], null, v11, s2, v[6:7]
	v_mad_u64_u32 v[9:10], null, v11, s3, v[7:8]
	s_delay_alu instid0(VALU_DEP_1)
	v_dual_mov_b32 v6, v8 :: v_dual_mov_b32 v7, v9
.LBB327_68:
	s_clause 0x1
	s_load_b128 s[4:7], s[0:1], 0x148
	s_load_b64 s[0:1], s[0:1], 0x158
	s_waitcnt lgkmcnt(0)
	s_clause 0x3
	global_load_b32 v1, v1, s[6:7]
	global_load_b32 v3, v3, s[6:7]
	;; [unrolled: 1-line block ×4, first 2 shown]
	v_max_f32_e64 v8, s0, s0
	v_max_f32_e64 v9, s1, s1
	s_waitcnt vmcnt(2)
	v_dual_max_f32 v10, v1, v1 :: v_dual_max_f32 v11, v3, v3
	v_cmp_u_f32_e32 vcc_lo, v1, v1
	s_waitcnt vmcnt(0)
	v_dual_max_f32 v12, v5, v5 :: v_dual_max_f32 v13, v7, v7
	s_delay_alu instid0(VALU_DEP_3) | instskip(SKIP_1) | instid1(VALU_DEP_3)
	v_maxmin_f32 v10, v10, v8, v9
	v_maxmin_f32 v11, v11, v8, v9
	;; [unrolled: 1-line block ×3, first 2 shown]
	s_delay_alu instid0(VALU_DEP_4) | instskip(NEXT) | instid1(VALU_DEP_4)
	v_maxmin_f32 v8, v13, v8, v9
	v_cndmask_b32_e32 v1, v10, v1, vcc_lo
	v_cmp_u_f32_e32 vcc_lo, v3, v3
	v_cndmask_b32_e32 v3, v11, v3, vcc_lo
	v_cmp_u_f32_e32 vcc_lo, v5, v5
	;; [unrolled: 2-line block ×3, first 2 shown]
	v_cndmask_b32_e32 v7, v8, v7, vcc_lo
	s_clause 0x3
	global_store_b32 v0, v1, s[4:5]
	global_store_b32 v2, v3, s[4:5]
	;; [unrolled: 1-line block ×4, first 2 shown]
	s_nop 0
	s_sendmsg sendmsg(MSG_DEALLOC_VGPRS)
	s_endpgm
.LBB327_69:
	v_dual_mov_b32 v2, v4 :: v_dual_mov_b32 v1, 0
.LBB327_70:
	s_and_b32 s36, s36, 3
	s_delay_alu instid0(SALU_CYCLE_1)
	s_cmp_eq_u32 s36, 0
	s_cbranch_scc1 .LBB327_73
; %bb.71:
	s_lshl_b32 s20, s35, 3
	s_mul_i32 s22, s35, 12
	s_add_u32 s20, s20, s0
	s_addc_u32 s21, s1, 0
	s_add_u32 s20, s20, 0xc4
	s_addc_u32 s21, s21, 0
	;; [unrolled: 2-line block ×3, first 2 shown]
	.p2align	6
.LBB327_72:                             ; =>This Inner Loop Header: Depth=1
	s_clause 0x1
	s_load_b64 s[38:39], s[22:23], 0x4
	s_load_b32 s35, s[22:23], 0xc
	s_load_b64 s[40:41], s[20:21], 0x0
	s_add_u32 s22, s22, 12
	s_addc_u32 s23, s23, 0
	s_add_u32 s20, s20, 8
	s_addc_u32 s21, s21, 0
	s_add_i32 s36, s36, -1
	s_delay_alu instid0(SALU_CYCLE_1) | instskip(SKIP_2) | instid1(VALU_DEP_1)
	s_cmp_lg_u32 s36, 0
	s_waitcnt lgkmcnt(0)
	v_mul_hi_u32 v3, s39, v2
	v_add_nc_u32_e32 v3, v2, v3
	s_delay_alu instid0(VALU_DEP_1) | instskip(NEXT) | instid1(VALU_DEP_1)
	v_lshrrev_b32_e32 v3, s35, v3
	v_mul_lo_u32 v5, v3, s38
	s_delay_alu instid0(VALU_DEP_1) | instskip(NEXT) | instid1(VALU_DEP_1)
	v_sub_nc_u32_e32 v2, v2, v5
	v_mad_u64_u32 v[5:6], null, v2, s40, v[0:1]
	v_mad_u64_u32 v[6:7], null, v2, s41, v[1:2]
	v_mov_b32_e32 v2, v3
	s_delay_alu instid0(VALU_DEP_2)
	v_dual_mov_b32 v0, v5 :: v_dual_mov_b32 v1, v6
	s_cbranch_scc1 .LBB327_72
.LBB327_73:
	s_and_not1_b32 vcc_lo, exec_lo, s34
	s_cbranch_vccnz .LBB327_76
; %bb.74:
	s_waitcnt lgkmcnt(0)
	v_mul_hi_u32 v0, s13, v4
	s_and_not1_b32 vcc_lo, exec_lo, s28
	s_delay_alu instid0(VALU_DEP_1) | instskip(NEXT) | instid1(VALU_DEP_1)
	v_add_nc_u32_e32 v0, v4, v0
	v_lshrrev_b32_e32 v2, s14, v0
	s_delay_alu instid0(VALU_DEP_1) | instskip(NEXT) | instid1(VALU_DEP_1)
	v_mul_lo_u32 v0, v2, s12
	v_sub_nc_u32_e32 v1, v4, v0
	s_delay_alu instid0(VALU_DEP_1)
	v_mul_lo_u32 v0, v1, s8
	v_mul_lo_u32 v1, v1, s9
	s_cbranch_vccnz .LBB327_76
; %bb.75:
	v_mul_hi_u32 v3, s16, v2
	s_delay_alu instid0(VALU_DEP_1) | instskip(NEXT) | instid1(VALU_DEP_1)
	v_add_nc_u32_e32 v3, v2, v3
	v_lshrrev_b32_e32 v3, s17, v3
	s_delay_alu instid0(VALU_DEP_1) | instskip(NEXT) | instid1(VALU_DEP_1)
	v_mul_lo_u32 v3, v3, s15
	v_sub_nc_u32_e32 v7, v2, v3
	s_delay_alu instid0(VALU_DEP_1) | instskip(NEXT) | instid1(VALU_DEP_1)
	v_mad_u64_u32 v[2:3], null, v7, s10, v[0:1]
	v_mad_u64_u32 v[5:6], null, v7, s11, v[1:2]
	s_delay_alu instid0(VALU_DEP_1)
	v_dual_mov_b32 v0, v2 :: v_dual_mov_b32 v1, v5
.LBB327_76:
	s_waitcnt lgkmcnt(0)
	global_load_b32 v1, v1, s[6:7]
	v_max_f32_e64 v2, s2, s2
	v_max_f32_e64 v5, s3, s3
	s_waitcnt vmcnt(0)
	v_dual_max_f32 v3, v1, v1 :: v_dual_add_nc_u32 v4, 0x80, v4
	v_cmp_u_f32_e32 vcc_lo, v1, v1
	s_delay_alu instid0(VALU_DEP_2) | instskip(NEXT) | instid1(VALU_DEP_1)
	v_maxmin_f32 v2, v3, v2, v5
	v_cndmask_b32_e32 v1, v2, v1, vcc_lo
	global_store_b32 v0, v1, s[4:5]
	s_or_b32 exec_lo, exec_lo, s33
	s_delay_alu instid0(SALU_CYCLE_1)
	s_mov_b32 s33, exec_lo
	v_cmpx_gt_i32_e64 s29, v4
	s_cbranch_execnz .LBB327_15
.LBB327_77:
	s_or_b32 exec_lo, exec_lo, s33
	s_delay_alu instid0(SALU_CYCLE_1)
	s_mov_b32 s33, exec_lo
	v_cmpx_gt_i32_e64 s29, v4
	s_cbranch_execz .LBB327_92
.LBB327_78:
	s_and_not1_b32 vcc_lo, exec_lo, s26
	s_cbranch_vccnz .LBB327_83
; %bb.79:
	v_dual_mov_b32 v0, 0 :: v_dual_mov_b32 v1, 0
	s_and_not1_b32 vcc_lo, exec_lo, s31
	s_mov_b32 s34, 0
	s_cbranch_vccnz .LBB327_99
; %bb.80:
	v_mov_b32_e32 v0, 0
	s_add_i32 s36, s30, 1
	s_cmp_eq_u32 s25, 2
	s_mov_b32 s35, 0
	s_cbranch_scc1 .LBB327_95
; %bb.81:
	v_dual_mov_b32 v1, 0 :: v_dual_mov_b32 v0, 0
	v_mov_b32_e32 v2, v4
	s_and_b32 s35, s36, 28
	s_mov_b32 s37, 0
	s_mov_b64 s[20:21], s[18:19]
	s_mov_b64 s[22:23], s[0:1]
.LBB327_82:                             ; =>This Inner Loop Header: Depth=1
	s_clause 0x1
	s_load_b256 s[40:47], s[22:23], 0x4
	s_load_b128 s[56:59], s[22:23], 0x24
	s_load_b256 s[48:55], s[20:21], 0x0
	s_add_u32 s22, s22, 48
	s_addc_u32 s23, s23, 0
	s_add_i32 s37, s37, 4
	s_add_u32 s20, s20, 32
	s_addc_u32 s21, s21, 0
	s_cmp_eq_u32 s35, s37
	s_waitcnt lgkmcnt(0)
	v_mul_hi_u32 v3, s41, v2
	s_delay_alu instid0(VALU_DEP_1) | instskip(NEXT) | instid1(VALU_DEP_1)
	v_add_nc_u32_e32 v3, v2, v3
	v_lshrrev_b32_e32 v3, s42, v3
	s_delay_alu instid0(VALU_DEP_1) | instskip(SKIP_1) | instid1(VALU_DEP_2)
	v_mul_hi_u32 v5, s44, v3
	v_mul_lo_u32 v7, v3, s40
	v_add_nc_u32_e32 v5, v3, v5
	s_delay_alu instid0(VALU_DEP_2) | instskip(NEXT) | instid1(VALU_DEP_2)
	v_sub_nc_u32_e32 v2, v2, v7
	v_lshrrev_b32_e32 v5, s45, v5
	s_delay_alu instid0(VALU_DEP_2) | instskip(SKIP_1) | instid1(VALU_DEP_3)
	v_mul_lo_u32 v7, v2, s48
	v_mul_lo_u32 v9, v2, s49
	v_mul_hi_u32 v6, s47, v5
	s_delay_alu instid0(VALU_DEP_1) | instskip(NEXT) | instid1(VALU_DEP_1)
	v_add_nc_u32_e32 v6, v5, v6
	v_lshrrev_b32_e32 v6, s56, v6
	s_delay_alu instid0(VALU_DEP_1) | instskip(SKIP_1) | instid1(VALU_DEP_2)
	v_mul_hi_u32 v8, s58, v6
	v_mul_lo_u32 v10, v6, s46
	v_add_nc_u32_e32 v2, v6, v8
	v_mul_lo_u32 v8, v5, s43
	s_delay_alu instid0(VALU_DEP_3) | instskip(NEXT) | instid1(VALU_DEP_3)
	v_sub_nc_u32_e32 v5, v5, v10
	v_lshrrev_b32_e32 v2, s59, v2
	s_delay_alu instid0(VALU_DEP_2) | instskip(SKIP_2) | instid1(VALU_DEP_4)
	v_mul_lo_u32 v10, v5, s52
	v_mul_lo_u32 v5, v5, s53
	v_sub_nc_u32_e32 v3, v3, v8
	v_mul_lo_u32 v11, v2, s57
	s_delay_alu instid0(VALU_DEP_2) | instskip(SKIP_1) | instid1(VALU_DEP_3)
	v_mul_lo_u32 v8, v3, s50
	v_mul_lo_u32 v3, v3, s51
	v_sub_nc_u32_e32 v6, v6, v11
	s_delay_alu instid0(VALU_DEP_3) | instskip(NEXT) | instid1(VALU_DEP_2)
	v_add3_u32 v0, v7, v0, v8
	v_mul_lo_u32 v11, v6, s54
	v_mul_lo_u32 v6, v6, s55
	v_add3_u32 v1, v9, v1, v3
	s_delay_alu instid0(VALU_DEP_3) | instskip(NEXT) | instid1(VALU_DEP_2)
	v_add3_u32 v0, v10, v0, v11
	v_add3_u32 v1, v5, v1, v6
	s_cbranch_scc0 .LBB327_82
	s_branch .LBB327_96
.LBB327_83:
	s_mov_b32 s34, -1
                                        ; implicit-def: $vgpr0
                                        ; implicit-def: $vgpr1
	s_branch .LBB327_99
.LBB327_84:
	v_dual_mov_b32 v2, v4 :: v_dual_mov_b32 v1, 0
.LBB327_85:
	s_and_b32 s36, s36, 3
	s_delay_alu instid0(SALU_CYCLE_1)
	s_cmp_eq_u32 s36, 0
	s_cbranch_scc1 .LBB327_88
; %bb.86:
	s_lshl_b32 s20, s35, 3
	s_mul_i32 s22, s35, 12
	s_add_u32 s20, s20, s0
	s_addc_u32 s21, s1, 0
	s_add_u32 s20, s20, 0xc4
	s_addc_u32 s21, s21, 0
	;; [unrolled: 2-line block ×3, first 2 shown]
	.p2align	6
.LBB327_87:                             ; =>This Inner Loop Header: Depth=1
	s_clause 0x1
	s_load_b64 s[38:39], s[22:23], 0x4
	s_load_b32 s35, s[22:23], 0xc
	s_load_b64 s[40:41], s[20:21], 0x0
	s_add_u32 s22, s22, 12
	s_addc_u32 s23, s23, 0
	s_add_u32 s20, s20, 8
	s_addc_u32 s21, s21, 0
	s_add_i32 s36, s36, -1
	s_delay_alu instid0(SALU_CYCLE_1) | instskip(SKIP_2) | instid1(VALU_DEP_1)
	s_cmp_lg_u32 s36, 0
	s_waitcnt lgkmcnt(0)
	v_mul_hi_u32 v3, s39, v2
	v_add_nc_u32_e32 v3, v2, v3
	s_delay_alu instid0(VALU_DEP_1) | instskip(NEXT) | instid1(VALU_DEP_1)
	v_lshrrev_b32_e32 v3, s35, v3
	v_mul_lo_u32 v5, v3, s38
	s_delay_alu instid0(VALU_DEP_1) | instskip(NEXT) | instid1(VALU_DEP_1)
	v_sub_nc_u32_e32 v2, v2, v5
	v_mad_u64_u32 v[5:6], null, v2, s40, v[0:1]
	v_mad_u64_u32 v[6:7], null, v2, s41, v[1:2]
	v_mov_b32_e32 v2, v3
	s_delay_alu instid0(VALU_DEP_2)
	v_dual_mov_b32 v0, v5 :: v_dual_mov_b32 v1, v6
	s_cbranch_scc1 .LBB327_87
.LBB327_88:
	s_and_not1_b32 vcc_lo, exec_lo, s34
	s_cbranch_vccnz .LBB327_91
; %bb.89:
	s_waitcnt lgkmcnt(0)
	v_mul_hi_u32 v0, s13, v4
	s_and_not1_b32 vcc_lo, exec_lo, s28
	s_delay_alu instid0(VALU_DEP_1) | instskip(NEXT) | instid1(VALU_DEP_1)
	v_add_nc_u32_e32 v0, v4, v0
	v_lshrrev_b32_e32 v2, s14, v0
	s_delay_alu instid0(VALU_DEP_1) | instskip(NEXT) | instid1(VALU_DEP_1)
	v_mul_lo_u32 v0, v2, s12
	v_sub_nc_u32_e32 v1, v4, v0
	s_delay_alu instid0(VALU_DEP_1)
	v_mul_lo_u32 v0, v1, s8
	v_mul_lo_u32 v1, v1, s9
	s_cbranch_vccnz .LBB327_91
; %bb.90:
	v_mul_hi_u32 v3, s16, v2
	s_delay_alu instid0(VALU_DEP_1) | instskip(NEXT) | instid1(VALU_DEP_1)
	v_add_nc_u32_e32 v3, v2, v3
	v_lshrrev_b32_e32 v3, s17, v3
	s_delay_alu instid0(VALU_DEP_1) | instskip(NEXT) | instid1(VALU_DEP_1)
	v_mul_lo_u32 v3, v3, s15
	v_sub_nc_u32_e32 v7, v2, v3
	s_delay_alu instid0(VALU_DEP_1) | instskip(NEXT) | instid1(VALU_DEP_1)
	v_mad_u64_u32 v[2:3], null, v7, s10, v[0:1]
	v_mad_u64_u32 v[5:6], null, v7, s11, v[1:2]
	s_delay_alu instid0(VALU_DEP_1)
	v_dual_mov_b32 v0, v2 :: v_dual_mov_b32 v1, v5
.LBB327_91:
	s_waitcnt lgkmcnt(0)
	global_load_b32 v1, v1, s[6:7]
	v_max_f32_e64 v2, s2, s2
	v_max_f32_e64 v5, s3, s3
	s_waitcnt vmcnt(0)
	v_dual_max_f32 v3, v1, v1 :: v_dual_add_nc_u32 v4, 0x80, v4
	v_cmp_u_f32_e32 vcc_lo, v1, v1
	s_delay_alu instid0(VALU_DEP_2) | instskip(NEXT) | instid1(VALU_DEP_1)
	v_maxmin_f32 v2, v3, v2, v5
	v_cndmask_b32_e32 v1, v2, v1, vcc_lo
	global_store_b32 v0, v1, s[4:5]
	s_or_b32 exec_lo, exec_lo, s33
	s_delay_alu instid0(SALU_CYCLE_1)
	s_mov_b32 s33, exec_lo
	v_cmpx_gt_i32_e64 s29, v4
	s_cbranch_execnz .LBB327_78
.LBB327_92:
	s_or_b32 exec_lo, exec_lo, s33
	s_delay_alu instid0(SALU_CYCLE_1)
	s_mov_b32 s22, exec_lo
	v_cmpx_gt_i32_e64 s29, v4
	s_cbranch_execnz .LBB327_103
.LBB327_93:
	s_or_b32 exec_lo, exec_lo, s22
                                        ; implicit-def: $vgpr8
                                        ; implicit-def: $vgpr4
	s_waitcnt lgkmcnt(0)
	s_and_not1_saveexec_b32 s2, s27
	s_cbranch_execnz .LBB327_8
.LBB327_94:
	s_nop 0
	s_sendmsg sendmsg(MSG_DEALLOC_VGPRS)
	s_endpgm
.LBB327_95:
	v_dual_mov_b32 v2, v4 :: v_dual_mov_b32 v1, 0
.LBB327_96:
	s_and_b32 s36, s36, 3
	s_delay_alu instid0(SALU_CYCLE_1)
	s_cmp_eq_u32 s36, 0
	s_cbranch_scc1 .LBB327_99
; %bb.97:
	s_lshl_b32 s20, s35, 3
	s_mul_i32 s22, s35, 12
	s_add_u32 s20, s20, s0
	s_addc_u32 s21, s1, 0
	s_add_u32 s20, s20, 0xc4
	s_addc_u32 s21, s21, 0
	;; [unrolled: 2-line block ×3, first 2 shown]
	.p2align	6
.LBB327_98:                             ; =>This Inner Loop Header: Depth=1
	s_clause 0x1
	s_load_b64 s[38:39], s[22:23], 0x4
	s_load_b32 s35, s[22:23], 0xc
	s_load_b64 s[40:41], s[20:21], 0x0
	s_add_u32 s22, s22, 12
	s_addc_u32 s23, s23, 0
	s_add_u32 s20, s20, 8
	s_addc_u32 s21, s21, 0
	s_add_i32 s36, s36, -1
	s_delay_alu instid0(SALU_CYCLE_1) | instskip(SKIP_2) | instid1(VALU_DEP_1)
	s_cmp_lg_u32 s36, 0
	s_waitcnt lgkmcnt(0)
	v_mul_hi_u32 v3, s39, v2
	v_add_nc_u32_e32 v3, v2, v3
	s_delay_alu instid0(VALU_DEP_1) | instskip(NEXT) | instid1(VALU_DEP_1)
	v_lshrrev_b32_e32 v3, s35, v3
	v_mul_lo_u32 v5, v3, s38
	s_delay_alu instid0(VALU_DEP_1) | instskip(NEXT) | instid1(VALU_DEP_1)
	v_sub_nc_u32_e32 v2, v2, v5
	v_mad_u64_u32 v[5:6], null, v2, s40, v[0:1]
	v_mad_u64_u32 v[6:7], null, v2, s41, v[1:2]
	v_mov_b32_e32 v2, v3
	s_delay_alu instid0(VALU_DEP_2)
	v_dual_mov_b32 v0, v5 :: v_dual_mov_b32 v1, v6
	s_cbranch_scc1 .LBB327_98
.LBB327_99:
	s_and_not1_b32 vcc_lo, exec_lo, s34
	s_cbranch_vccnz .LBB327_102
; %bb.100:
	s_waitcnt lgkmcnt(0)
	v_mul_hi_u32 v0, s13, v4
	s_and_not1_b32 vcc_lo, exec_lo, s28
	s_delay_alu instid0(VALU_DEP_1) | instskip(NEXT) | instid1(VALU_DEP_1)
	v_add_nc_u32_e32 v0, v4, v0
	v_lshrrev_b32_e32 v2, s14, v0
	s_delay_alu instid0(VALU_DEP_1) | instskip(NEXT) | instid1(VALU_DEP_1)
	v_mul_lo_u32 v0, v2, s12
	v_sub_nc_u32_e32 v1, v4, v0
	s_delay_alu instid0(VALU_DEP_1)
	v_mul_lo_u32 v0, v1, s8
	v_mul_lo_u32 v1, v1, s9
	s_cbranch_vccnz .LBB327_102
; %bb.101:
	v_mul_hi_u32 v3, s16, v2
	s_delay_alu instid0(VALU_DEP_1) | instskip(NEXT) | instid1(VALU_DEP_1)
	v_add_nc_u32_e32 v3, v2, v3
	v_lshrrev_b32_e32 v3, s17, v3
	s_delay_alu instid0(VALU_DEP_1) | instskip(NEXT) | instid1(VALU_DEP_1)
	v_mul_lo_u32 v3, v3, s15
	v_sub_nc_u32_e32 v7, v2, v3
	s_delay_alu instid0(VALU_DEP_1) | instskip(NEXT) | instid1(VALU_DEP_1)
	v_mad_u64_u32 v[2:3], null, v7, s10, v[0:1]
	v_mad_u64_u32 v[5:6], null, v7, s11, v[1:2]
	s_delay_alu instid0(VALU_DEP_1)
	v_dual_mov_b32 v0, v2 :: v_dual_mov_b32 v1, v5
.LBB327_102:
	s_waitcnt lgkmcnt(0)
	global_load_b32 v1, v1, s[6:7]
	v_max_f32_e64 v2, s2, s2
	v_max_f32_e64 v5, s3, s3
	s_waitcnt vmcnt(0)
	v_dual_max_f32 v3, v1, v1 :: v_dual_add_nc_u32 v4, 0x80, v4
	v_cmp_u_f32_e32 vcc_lo, v1, v1
	s_delay_alu instid0(VALU_DEP_2) | instskip(NEXT) | instid1(VALU_DEP_1)
	v_maxmin_f32 v2, v3, v2, v5
	v_cndmask_b32_e32 v1, v2, v1, vcc_lo
	global_store_b32 v0, v1, s[4:5]
	s_or_b32 exec_lo, exec_lo, s33
	s_delay_alu instid0(SALU_CYCLE_1)
	s_mov_b32 s22, exec_lo
	v_cmpx_gt_i32_e64 s29, v4
	s_cbranch_execz .LBB327_93
.LBB327_103:
	s_and_not1_b32 vcc_lo, exec_lo, s26
	s_cbranch_vccnz .LBB327_108
; %bb.104:
	v_dual_mov_b32 v0, 0 :: v_dual_mov_b32 v1, 0
	s_and_not1_b32 vcc_lo, exec_lo, s31
	s_mov_b32 s23, 0
	s_cbranch_vccnz .LBB327_113
; %bb.105:
	v_mov_b32_e32 v0, 0
	s_add_i32 s30, s30, 1
	s_cmp_eq_u32 s25, 2
	s_mov_b32 s29, 0
	s_cbranch_scc1 .LBB327_109
; %bb.106:
	v_dual_mov_b32 v1, 0 :: v_dual_mov_b32 v0, 0
	v_mov_b32_e32 v2, v4
	s_and_b32 s29, s30, 28
	s_mov_b32 s31, 0
	s_mov_b64 s[20:21], s[0:1]
.LBB327_107:                            ; =>This Inner Loop Header: Depth=1
	s_clause 0x1
	s_load_b256 s[36:43], s[20:21], 0x4
	s_load_b128 s[52:55], s[20:21], 0x24
	s_load_b256 s[44:51], s[18:19], 0x0
	s_add_u32 s20, s20, 48
	s_addc_u32 s21, s21, 0
	s_add_i32 s31, s31, 4
	s_add_u32 s18, s18, 32
	s_addc_u32 s19, s19, 0
	s_cmp_eq_u32 s29, s31
	s_waitcnt lgkmcnt(0)
	v_mul_hi_u32 v3, s37, v2
	s_delay_alu instid0(VALU_DEP_1) | instskip(NEXT) | instid1(VALU_DEP_1)
	v_add_nc_u32_e32 v3, v2, v3
	v_lshrrev_b32_e32 v3, s38, v3
	s_delay_alu instid0(VALU_DEP_1) | instskip(SKIP_1) | instid1(VALU_DEP_2)
	v_mul_hi_u32 v5, s40, v3
	v_mul_lo_u32 v7, v3, s36
	v_add_nc_u32_e32 v5, v3, v5
	s_delay_alu instid0(VALU_DEP_2) | instskip(NEXT) | instid1(VALU_DEP_2)
	v_sub_nc_u32_e32 v2, v2, v7
	v_lshrrev_b32_e32 v5, s41, v5
	s_delay_alu instid0(VALU_DEP_2) | instskip(SKIP_1) | instid1(VALU_DEP_3)
	v_mul_lo_u32 v7, v2, s44
	v_mul_lo_u32 v9, v2, s45
	v_mul_hi_u32 v6, s43, v5
	s_delay_alu instid0(VALU_DEP_1) | instskip(NEXT) | instid1(VALU_DEP_1)
	v_add_nc_u32_e32 v6, v5, v6
	v_lshrrev_b32_e32 v6, s52, v6
	s_delay_alu instid0(VALU_DEP_1) | instskip(SKIP_1) | instid1(VALU_DEP_2)
	v_mul_hi_u32 v8, s54, v6
	v_mul_lo_u32 v10, v6, s42
	v_add_nc_u32_e32 v2, v6, v8
	v_mul_lo_u32 v8, v5, s39
	s_delay_alu instid0(VALU_DEP_3) | instskip(NEXT) | instid1(VALU_DEP_3)
	v_sub_nc_u32_e32 v5, v5, v10
	v_lshrrev_b32_e32 v2, s55, v2
	s_delay_alu instid0(VALU_DEP_2) | instskip(SKIP_2) | instid1(VALU_DEP_4)
	v_mul_lo_u32 v10, v5, s48
	v_mul_lo_u32 v5, v5, s49
	v_sub_nc_u32_e32 v3, v3, v8
	v_mul_lo_u32 v11, v2, s53
	s_delay_alu instid0(VALU_DEP_2) | instskip(SKIP_1) | instid1(VALU_DEP_3)
	v_mul_lo_u32 v8, v3, s46
	v_mul_lo_u32 v3, v3, s47
	v_sub_nc_u32_e32 v6, v6, v11
	s_delay_alu instid0(VALU_DEP_3) | instskip(NEXT) | instid1(VALU_DEP_2)
	v_add3_u32 v0, v7, v0, v8
	v_mul_lo_u32 v11, v6, s50
	v_mul_lo_u32 v6, v6, s51
	v_add3_u32 v1, v9, v1, v3
	s_delay_alu instid0(VALU_DEP_3) | instskip(NEXT) | instid1(VALU_DEP_2)
	v_add3_u32 v0, v10, v0, v11
	v_add3_u32 v1, v5, v1, v6
	s_cbranch_scc0 .LBB327_107
	s_branch .LBB327_110
.LBB327_108:
	s_mov_b32 s23, -1
                                        ; implicit-def: $vgpr0
                                        ; implicit-def: $vgpr1
	s_branch .LBB327_113
.LBB327_109:
	v_dual_mov_b32 v2, v4 :: v_dual_mov_b32 v1, 0
.LBB327_110:
	s_and_b32 s30, s30, 3
	s_delay_alu instid0(SALU_CYCLE_1)
	s_cmp_eq_u32 s30, 0
	s_cbranch_scc1 .LBB327_113
; %bb.111:
	s_lshl_b32 s18, s29, 3
	s_mul_i32 s20, s29, 12
	s_add_u32 s18, s18, s0
	s_addc_u32 s19, s1, 0
	s_add_u32 s18, s18, 0xc4
	s_addc_u32 s19, s19, 0
	;; [unrolled: 2-line block ×3, first 2 shown]
	.p2align	6
.LBB327_112:                            ; =>This Inner Loop Header: Depth=1
	s_clause 0x1
	s_load_b64 s[34:35], s[20:21], 0x4
	s_load_b32 s29, s[20:21], 0xc
	s_load_b64 s[36:37], s[18:19], 0x0
	s_add_u32 s20, s20, 12
	s_addc_u32 s21, s21, 0
	s_add_u32 s18, s18, 8
	s_addc_u32 s19, s19, 0
	s_add_i32 s30, s30, -1
	s_delay_alu instid0(SALU_CYCLE_1) | instskip(SKIP_2) | instid1(VALU_DEP_1)
	s_cmp_lg_u32 s30, 0
	s_waitcnt lgkmcnt(0)
	v_mul_hi_u32 v3, s35, v2
	v_add_nc_u32_e32 v3, v2, v3
	s_delay_alu instid0(VALU_DEP_1) | instskip(NEXT) | instid1(VALU_DEP_1)
	v_lshrrev_b32_e32 v3, s29, v3
	v_mul_lo_u32 v5, v3, s34
	s_delay_alu instid0(VALU_DEP_1) | instskip(NEXT) | instid1(VALU_DEP_1)
	v_sub_nc_u32_e32 v2, v2, v5
	v_mad_u64_u32 v[5:6], null, v2, s36, v[0:1]
	v_mad_u64_u32 v[6:7], null, v2, s37, v[1:2]
	v_mov_b32_e32 v2, v3
	s_delay_alu instid0(VALU_DEP_2)
	v_dual_mov_b32 v0, v5 :: v_dual_mov_b32 v1, v6
	s_cbranch_scc1 .LBB327_112
.LBB327_113:
	s_and_not1_b32 vcc_lo, exec_lo, s23
	s_cbranch_vccnz .LBB327_116
; %bb.114:
	s_waitcnt lgkmcnt(0)
	v_mul_hi_u32 v0, s13, v4
	s_and_not1_b32 vcc_lo, exec_lo, s28
	s_delay_alu instid0(VALU_DEP_1) | instskip(NEXT) | instid1(VALU_DEP_1)
	v_add_nc_u32_e32 v0, v4, v0
	v_lshrrev_b32_e32 v2, s14, v0
	s_delay_alu instid0(VALU_DEP_1) | instskip(NEXT) | instid1(VALU_DEP_1)
	v_mul_lo_u32 v0, v2, s12
	v_sub_nc_u32_e32 v1, v4, v0
	s_delay_alu instid0(VALU_DEP_1)
	v_mul_lo_u32 v0, v1, s8
	v_mul_lo_u32 v1, v1, s9
	s_cbranch_vccnz .LBB327_116
; %bb.115:
	v_mul_hi_u32 v3, s16, v2
	s_delay_alu instid0(VALU_DEP_1) | instskip(NEXT) | instid1(VALU_DEP_1)
	v_add_nc_u32_e32 v3, v2, v3
	v_lshrrev_b32_e32 v3, s17, v3
	s_delay_alu instid0(VALU_DEP_1) | instskip(NEXT) | instid1(VALU_DEP_1)
	v_mul_lo_u32 v3, v3, s15
	v_sub_nc_u32_e32 v5, v2, v3
	s_delay_alu instid0(VALU_DEP_1) | instskip(NEXT) | instid1(VALU_DEP_1)
	v_mad_u64_u32 v[2:3], null, v5, s10, v[0:1]
	v_mad_u64_u32 v[3:4], null, v5, s11, v[1:2]
	s_delay_alu instid0(VALU_DEP_1)
	v_dual_mov_b32 v0, v2 :: v_dual_mov_b32 v1, v3
.LBB327_116:
	s_waitcnt lgkmcnt(0)
	global_load_b32 v1, v1, s[6:7]
	v_max_f32_e64 v2, s2, s2
	v_max_f32_e64 v4, s3, s3
	s_waitcnt vmcnt(0)
	v_max_f32_e32 v3, v1, v1
	v_cmp_u_f32_e32 vcc_lo, v1, v1
	s_delay_alu instid0(VALU_DEP_2) | instskip(NEXT) | instid1(VALU_DEP_1)
	v_maxmin_f32 v2, v3, v2, v4
	v_cndmask_b32_e32 v1, v2, v1, vcc_lo
	global_store_b32 v0, v1, s[4:5]
	s_or_b32 exec_lo, exec_lo, s22
                                        ; implicit-def: $vgpr8
                                        ; implicit-def: $vgpr4
	s_and_not1_saveexec_b32 s2, s27
	s_cbranch_execz .LBB327_94
	s_branch .LBB327_8
	.section	.rodata,"a",@progbits
	.p2align	6, 0x0
	.amdhsa_kernel _ZN2at6native32elementwise_kernel_manual_unrollILi128ELi4EZNS0_22gpu_kernel_impl_nocastIZZZNS0_17clamp_kernel_cudaERNS_18TensorIteratorBaseERKN3c106ScalarES8_ENKUlvE_clEvENKUlvE5_clEvEUlfE_EEvS4_RKT_EUlibE_EEviT1_
		.amdhsa_group_segment_fixed_size 0
		.amdhsa_private_segment_fixed_size 0
		.amdhsa_kernarg_size 360
		.amdhsa_user_sgpr_count 15
		.amdhsa_user_sgpr_dispatch_ptr 0
		.amdhsa_user_sgpr_queue_ptr 0
		.amdhsa_user_sgpr_kernarg_segment_ptr 1
		.amdhsa_user_sgpr_dispatch_id 0
		.amdhsa_user_sgpr_private_segment_size 0
		.amdhsa_wavefront_size32 1
		.amdhsa_uses_dynamic_stack 0
		.amdhsa_enable_private_segment 0
		.amdhsa_system_sgpr_workgroup_id_x 1
		.amdhsa_system_sgpr_workgroup_id_y 0
		.amdhsa_system_sgpr_workgroup_id_z 0
		.amdhsa_system_sgpr_workgroup_info 0
		.amdhsa_system_vgpr_workitem_id 0
		.amdhsa_next_free_vgpr 18
		.amdhsa_next_free_sgpr 60
		.amdhsa_reserve_vcc 1
		.amdhsa_float_round_mode_32 0
		.amdhsa_float_round_mode_16_64 0
		.amdhsa_float_denorm_mode_32 3
		.amdhsa_float_denorm_mode_16_64 3
		.amdhsa_dx10_clamp 1
		.amdhsa_ieee_mode 1
		.amdhsa_fp16_overflow 0
		.amdhsa_workgroup_processor_mode 1
		.amdhsa_memory_ordered 1
		.amdhsa_forward_progress 0
		.amdhsa_shared_vgpr_count 0
		.amdhsa_exception_fp_ieee_invalid_op 0
		.amdhsa_exception_fp_denorm_src 0
		.amdhsa_exception_fp_ieee_div_zero 0
		.amdhsa_exception_fp_ieee_overflow 0
		.amdhsa_exception_fp_ieee_underflow 0
		.amdhsa_exception_fp_ieee_inexact 0
		.amdhsa_exception_int_div_zero 0
	.end_amdhsa_kernel
	.section	.text._ZN2at6native32elementwise_kernel_manual_unrollILi128ELi4EZNS0_22gpu_kernel_impl_nocastIZZZNS0_17clamp_kernel_cudaERNS_18TensorIteratorBaseERKN3c106ScalarES8_ENKUlvE_clEvENKUlvE5_clEvEUlfE_EEvS4_RKT_EUlibE_EEviT1_,"axG",@progbits,_ZN2at6native32elementwise_kernel_manual_unrollILi128ELi4EZNS0_22gpu_kernel_impl_nocastIZZZNS0_17clamp_kernel_cudaERNS_18TensorIteratorBaseERKN3c106ScalarES8_ENKUlvE_clEvENKUlvE5_clEvEUlfE_EEvS4_RKT_EUlibE_EEviT1_,comdat
.Lfunc_end327:
	.size	_ZN2at6native32elementwise_kernel_manual_unrollILi128ELi4EZNS0_22gpu_kernel_impl_nocastIZZZNS0_17clamp_kernel_cudaERNS_18TensorIteratorBaseERKN3c106ScalarES8_ENKUlvE_clEvENKUlvE5_clEvEUlfE_EEvS4_RKT_EUlibE_EEviT1_, .Lfunc_end327-_ZN2at6native32elementwise_kernel_manual_unrollILi128ELi4EZNS0_22gpu_kernel_impl_nocastIZZZNS0_17clamp_kernel_cudaERNS_18TensorIteratorBaseERKN3c106ScalarES8_ENKUlvE_clEvENKUlvE5_clEvEUlfE_EEvS4_RKT_EUlibE_EEviT1_
                                        ; -- End function
	.section	.AMDGPU.csdata,"",@progbits
; Kernel info:
; codeLenInByte = 7056
; NumSgprs: 62
; NumVgprs: 18
; ScratchSize: 0
; MemoryBound: 0
; FloatMode: 240
; IeeeMode: 1
; LDSByteSize: 0 bytes/workgroup (compile time only)
; SGPRBlocks: 7
; VGPRBlocks: 2
; NumSGPRsForWavesPerEU: 62
; NumVGPRsForWavesPerEU: 18
; Occupancy: 16
; WaveLimiterHint : 1
; COMPUTE_PGM_RSRC2:SCRATCH_EN: 0
; COMPUTE_PGM_RSRC2:USER_SGPR: 15
; COMPUTE_PGM_RSRC2:TRAP_HANDLER: 0
; COMPUTE_PGM_RSRC2:TGID_X_EN: 1
; COMPUTE_PGM_RSRC2:TGID_Y_EN: 0
; COMPUTE_PGM_RSRC2:TGID_Z_EN: 0
; COMPUTE_PGM_RSRC2:TIDIG_COMP_CNT: 0
	.section	.text._ZN2at6native32elementwise_kernel_manual_unrollILi128ELi4EZNS0_15gpu_kernel_implIZZZNS0_17clamp_kernel_cudaERNS_18TensorIteratorBaseERKN3c106ScalarES8_ENKUlvE_clEvENKUlvE5_clEvEUlfE_EEvS4_RKT_EUlibE_EEviT1_,"axG",@progbits,_ZN2at6native32elementwise_kernel_manual_unrollILi128ELi4EZNS0_15gpu_kernel_implIZZZNS0_17clamp_kernel_cudaERNS_18TensorIteratorBaseERKN3c106ScalarES8_ENKUlvE_clEvENKUlvE5_clEvEUlfE_EEvS4_RKT_EUlibE_EEviT1_,comdat
	.globl	_ZN2at6native32elementwise_kernel_manual_unrollILi128ELi4EZNS0_15gpu_kernel_implIZZZNS0_17clamp_kernel_cudaERNS_18TensorIteratorBaseERKN3c106ScalarES8_ENKUlvE_clEvENKUlvE5_clEvEUlfE_EEvS4_RKT_EUlibE_EEviT1_ ; -- Begin function _ZN2at6native32elementwise_kernel_manual_unrollILi128ELi4EZNS0_15gpu_kernel_implIZZZNS0_17clamp_kernel_cudaERNS_18TensorIteratorBaseERKN3c106ScalarES8_ENKUlvE_clEvENKUlvE5_clEvEUlfE_EEvS4_RKT_EUlibE_EEviT1_
	.p2align	8
	.type	_ZN2at6native32elementwise_kernel_manual_unrollILi128ELi4EZNS0_15gpu_kernel_implIZZZNS0_17clamp_kernel_cudaERNS_18TensorIteratorBaseERKN3c106ScalarES8_ENKUlvE_clEvENKUlvE5_clEvEUlfE_EEvS4_RKT_EUlibE_EEviT1_,@function
_ZN2at6native32elementwise_kernel_manual_unrollILi128ELi4EZNS0_15gpu_kernel_implIZZZNS0_17clamp_kernel_cudaERNS_18TensorIteratorBaseERKN3c106ScalarES8_ENKUlvE_clEvENKUlvE5_clEvEUlfE_EEvS4_RKT_EUlibE_EEviT1_: ; @_ZN2at6native32elementwise_kernel_manual_unrollILi128ELi4EZNS0_15gpu_kernel_implIZZZNS0_17clamp_kernel_cudaERNS_18TensorIteratorBaseERKN3c106ScalarES8_ENKUlvE_clEvENKUlvE5_clEvEUlfE_EEvS4_RKT_EUlibE_EEviT1_
; %bb.0:
	s_clause 0x2
	s_load_b32 s2, s[0:1], 0x28
	s_load_b32 s13, s[0:1], 0x0
	s_load_b256 s[4:11], s[0:1], 0x8
	v_lshl_or_b32 v4, s15, 9, v0
	s_mov_b32 s1, 0
	s_mov_b32 s12, 0
	s_mov_b32 s0, exec_lo
	s_delay_alu instid0(VALU_DEP_1) | instskip(SKIP_2) | instid1(VALU_DEP_2)
	v_or_b32_e32 v0, 0x180, v4
	s_waitcnt lgkmcnt(0)
	v_lshrrev_b16 v5, 8, s2
	v_cmpx_le_i32_e64 s13, v0
	s_xor_b32 s3, exec_lo, s0
	s_cbranch_execz .LBB328_1033
; %bb.1:
	s_mov_b32 s18, -1
	s_mov_b32 s16, 0
	s_mov_b32 s14, 0
	s_mov_b32 s15, exec_lo
	v_cmpx_gt_i32_e64 s13, v4
	s_cbranch_execz .LBB328_252
; %bb.2:
	v_mul_lo_u32 v0, v4, s9
	v_cmp_gt_i16_e32 vcc_lo, 11, v5
	s_delay_alu instid0(VALU_DEP_2) | instskip(SKIP_1) | instid1(VALU_DEP_1)
	v_ashrrev_i32_e32 v1, 31, v0
	v_add_co_u32 v0, s0, s6, v0
	v_add_co_ci_u32_e64 v1, s0, s7, v1, s0
	s_cbranch_vccnz .LBB328_9
; %bb.3:
	v_cmp_lt_i16_e32 vcc_lo, 25, v5
	s_cbranch_vccz .LBB328_18
; %bb.4:
	v_cmp_lt_i16_e32 vcc_lo, 28, v5
	s_cbranch_vccz .LBB328_21
	;; [unrolled: 3-line block ×4, first 2 shown]
; %bb.7:
	v_cmp_eq_u16_e32 vcc_lo, 46, v5
	s_cbranch_vccz .LBB328_27
; %bb.8:
	global_load_b32 v2, v[0:1], off
	s_mov_b32 s0, -1
	s_waitcnt vmcnt(0)
	v_lshlrev_b32_e32 v2, 16, v2
	s_branch .LBB328_29
.LBB328_9:
	s_mov_b32 s0, 0
                                        ; implicit-def: $vgpr2
	s_cbranch_execnz .LBB328_202
.LBB328_10:
	s_and_not1_b32 vcc_lo, exec_lo, s0
	s_cbranch_vccnz .LBB328_249
.LBB328_11:
	v_mul_lo_u32 v7, v4, s8
	v_max_f32_e64 v0, s10, s10
	s_waitcnt vmcnt(0)
	s_delay_alu instid0(VALU_DEP_3) | instskip(SKIP_3) | instid1(VALU_DEP_3)
	v_max_f32_e32 v1, v2, v2
	v_max_f32_e64 v3, s11, s11
	v_and_b32_e64 v6, 0xff, s2
	v_cmp_u_f32_e64 s0, v2, v2
	v_maxmin_f32 v0, v1, v0, v3
	v_ashrrev_i32_e32 v1, 31, v7
	s_delay_alu instid0(VALU_DEP_4) | instskip(NEXT) | instid1(VALU_DEP_3)
	v_cmp_gt_i16_e32 vcc_lo, 11, v6
	v_cndmask_b32_e64 v2, v0, v2, s0
	v_add_co_u32 v0, s0, s4, v7
	s_delay_alu instid0(VALU_DEP_1)
	v_add_co_ci_u32_e64 v1, s0, s5, v1, s0
	s_cbranch_vccnz .LBB328_19
; %bb.12:
	v_cmp_lt_i16_e32 vcc_lo, 25, v6
	s_cbranch_vccz .LBB328_22
; %bb.13:
	v_cmp_lt_i16_e32 vcc_lo, 28, v6
	s_cbranch_vccz .LBB328_24
	;; [unrolled: 3-line block ×4, first 2 shown]
; %bb.16:
	v_cmp_eq_u16_e32 vcc_lo, 46, v6
	s_mov_b32 s17, 0
	s_mov_b32 s0, -1
	s_mov_b32 s12, 0
	s_cbranch_vccz .LBB328_33
; %bb.17:
	v_bfe_u32 v3, v2, 16, 1
	v_cmp_o_f32_e32 vcc_lo, v2, v2
	s_mov_b32 s12, -1
	s_mov_b32 s0, 0
	s_delay_alu instid0(VALU_DEP_2) | instskip(NEXT) | instid1(VALU_DEP_1)
	v_add3_u32 v3, v2, v3, 0x7fff
	v_lshrrev_b32_e32 v3, 16, v3
	s_delay_alu instid0(VALU_DEP_1)
	v_cndmask_b32_e32 v3, 0x7fc0, v3, vcc_lo
	global_store_b32 v[0:1], v3, off
	s_branch .LBB328_33
.LBB328_18:
	s_mov_b32 s0, 0
                                        ; implicit-def: $vgpr2
	s_cbranch_execnz .LBB328_167
	s_branch .LBB328_201
.LBB328_19:
	s_mov_b32 s0, 0
	s_mov_b32 s12, 0
	s_cbranch_execnz .LBB328_102
.LBB328_20:
	s_and_not1_b32 vcc_lo, exec_lo, s12
	s_cbranch_vccnz .LBB328_250
	s_branch .LBB328_140
.LBB328_21:
	s_mov_b32 s12, -1
	s_mov_b32 s0, 0
                                        ; implicit-def: $vgpr2
	s_branch .LBB328_148
.LBB328_22:
	s_mov_b32 s17, -1
	s_mov_b32 s0, 0
	s_mov_b32 s12, 0
	s_branch .LBB328_60
.LBB328_23:
	s_mov_b32 s12, -1
	s_mov_b32 s0, 0
                                        ; implicit-def: $vgpr2
	s_branch .LBB328_143
.LBB328_24:
	s_mov_b32 s17, -1
	s_mov_b32 s0, 0
	s_mov_b32 s12, 0
	s_branch .LBB328_43
.LBB328_25:
	s_mov_b32 s12, -1
	s_branch .LBB328_28
.LBB328_26:
	s_mov_b32 s17, -1
	s_mov_b32 s0, 0
	s_mov_b32 s12, 0
	s_branch .LBB328_39
.LBB328_27:
	s_mov_b32 s14, -1
.LBB328_28:
	s_mov_b32 s0, 0
                                        ; implicit-def: $vgpr2
.LBB328_29:
	s_and_b32 vcc_lo, exec_lo, s12
	s_cbranch_vccz .LBB328_142
; %bb.30:
	v_cmp_eq_u16_e32 vcc_lo, 44, v5
	s_cbranch_vccz .LBB328_141
; %bb.31:
	global_load_u8 v2, v[0:1], off
	s_mov_b32 s14, 0
	s_mov_b32 s0, -1
	s_waitcnt vmcnt(0)
	v_lshlrev_b32_e32 v3, 23, v2
	v_cmp_ne_u32_e32 vcc_lo, 0xff, v2
	s_delay_alu instid0(VALU_DEP_2) | instskip(SKIP_1) | instid1(VALU_DEP_2)
	v_cndmask_b32_e32 v3, 0x7f800001, v3, vcc_lo
	v_cmp_ne_u32_e32 vcc_lo, 0, v2
	v_cndmask_b32_e32 v2, 0x400000, v3, vcc_lo
	s_branch .LBB328_142
.LBB328_32:
	s_mov_b32 s17, -1
	s_mov_b32 s0, 0
	s_mov_b32 s12, 0
.LBB328_33:
	s_and_b32 vcc_lo, exec_lo, s17
	s_cbranch_vccz .LBB328_38
; %bb.34:
	v_cmp_eq_u16_e32 vcc_lo, 44, v6
	s_mov_b32 s0, -1
	s_cbranch_vccz .LBB328_38
; %bb.35:
	v_bfe_u32 v7, v2, 23, 8
	v_mov_b32_e32 v3, 0xff
	s_mov_b32 s12, exec_lo
	s_delay_alu instid0(VALU_DEP_2)
	v_cmpx_ne_u32_e32 0xff, v7
; %bb.36:
	v_and_b32_e32 v3, 0x400000, v2
	v_and_or_b32 v7, 0x3fffff, v2, v7
	s_delay_alu instid0(VALU_DEP_2) | instskip(NEXT) | instid1(VALU_DEP_2)
	v_cmp_ne_u32_e32 vcc_lo, 0, v3
	v_cmp_ne_u32_e64 s0, 0, v7
	v_lshrrev_b32_e32 v3, 23, v2
	s_delay_alu instid0(VALU_DEP_2) | instskip(NEXT) | instid1(SALU_CYCLE_1)
	s_and_b32 s0, vcc_lo, s0
	v_cndmask_b32_e64 v7, 0, 1, s0
	s_delay_alu instid0(VALU_DEP_1)
	v_add_nc_u32_e32 v3, v3, v7
; %bb.37:
	s_or_b32 exec_lo, exec_lo, s12
	s_mov_b32 s12, -1
	s_mov_b32 s0, 0
	global_store_b8 v[0:1], v3, off
.LBB328_38:
	s_mov_b32 s17, 0
.LBB328_39:
	s_delay_alu instid0(SALU_CYCLE_1)
	s_and_b32 vcc_lo, exec_lo, s17
	s_cbranch_vccz .LBB328_42
; %bb.40:
	v_cmp_eq_u16_e32 vcc_lo, 29, v6
	s_mov_b32 s0, -1
	s_cbranch_vccz .LBB328_42
; %bb.41:
	v_trunc_f32_e32 v3, v2
	s_mov_b32 s12, -1
	s_mov_b32 s0, 0
	s_mov_b32 s17, 0
	s_delay_alu instid0(VALU_DEP_1) | instskip(NEXT) | instid1(VALU_DEP_1)
	v_mul_f32_e32 v7, 0x2f800000, v3
	v_floor_f32_e32 v7, v7
	s_delay_alu instid0(VALU_DEP_1) | instskip(SKIP_1) | instid1(VALU_DEP_2)
	v_fmamk_f32 v3, v7, 0xcf800000, v3
	v_cvt_u32_f32_e32 v8, v7
	v_cvt_u32_f32_e32 v7, v3
	global_store_b64 v[0:1], v[7:8], off
	s_branch .LBB328_43
.LBB328_42:
	s_mov_b32 s17, 0
.LBB328_43:
	s_delay_alu instid0(SALU_CYCLE_1)
	s_and_b32 vcc_lo, exec_lo, s17
	s_cbranch_vccz .LBB328_59
; %bb.44:
	v_cmp_gt_i16_e32 vcc_lo, 27, v6
	s_mov_b32 s12, -1
	s_cbranch_vccnz .LBB328_50
; %bb.45:
	v_cmp_lt_i16_e32 vcc_lo, 27, v6
	s_cbranch_vccz .LBB328_47
; %bb.46:
	v_cvt_u32_f32_e32 v3, v2
	s_mov_b32 s12, 0
	global_store_b32 v[0:1], v3, off
.LBB328_47:
	s_and_not1_b32 vcc_lo, exec_lo, s12
	s_cbranch_vccnz .LBB328_49
; %bb.48:
	v_cvt_u32_f32_e32 v3, v2
	global_store_b16 v[0:1], v3, off
.LBB328_49:
	s_mov_b32 s12, 0
.LBB328_50:
	s_delay_alu instid0(SALU_CYCLE_1)
	s_and_not1_b32 vcc_lo, exec_lo, s12
	s_cbranch_vccnz .LBB328_58
; %bb.51:
	v_and_b32_e32 v3, 0x7fffffff, v2
	v_mov_b32_e32 v7, 0x80
	s_mov_b32 s12, exec_lo
	s_delay_alu instid0(VALU_DEP_2)
	v_cmpx_gt_u32_e32 0x43800000, v3
	s_cbranch_execz .LBB328_57
; %bb.52:
	v_cmp_lt_u32_e32 vcc_lo, 0x3bffffff, v3
	s_mov_b32 s17, 0
                                        ; implicit-def: $vgpr3
	s_and_saveexec_b32 s18, vcc_lo
	s_delay_alu instid0(SALU_CYCLE_1)
	s_xor_b32 s18, exec_lo, s18
	s_cbranch_execz .LBB328_276
; %bb.53:
	v_bfe_u32 v3, v2, 20, 1
	s_mov_b32 s17, exec_lo
	s_delay_alu instid0(VALU_DEP_1) | instskip(NEXT) | instid1(VALU_DEP_1)
	v_add3_u32 v3, v2, v3, 0x487ffff
	v_lshrrev_b32_e32 v3, 20, v3
	s_or_saveexec_b32 s18, s18
                                        ; implicit-def: $sgpr19
	s_delay_alu instid0(SALU_CYCLE_1)
	s_xor_b32 exec_lo, exec_lo, s18
	s_cbranch_execnz .LBB328_277
.LBB328_54:
	s_or_b32 exec_lo, exec_lo, s18
	v_mov_b32_e32 v7, s19
	s_and_saveexec_b32 s18, s17
.LBB328_55:
	v_lshrrev_b32_e32 v7, 24, v2
	s_delay_alu instid0(VALU_DEP_1)
	v_and_or_b32 v7, 0x80, v7, v3
.LBB328_56:
	s_or_b32 exec_lo, exec_lo, s18
.LBB328_57:
	s_delay_alu instid0(SALU_CYCLE_1)
	s_or_b32 exec_lo, exec_lo, s12
	global_store_b8 v[0:1], v7, off
.LBB328_58:
	s_mov_b32 s12, -1
.LBB328_59:
	s_mov_b32 s17, 0
.LBB328_60:
	s_delay_alu instid0(SALU_CYCLE_1)
	s_and_b32 vcc_lo, exec_lo, s17
	s_cbranch_vccz .LBB328_101
; %bb.61:
	v_cmp_lt_i16_e32 vcc_lo, 22, v6
	s_mov_b32 s17, -1
	s_cbranch_vccz .LBB328_93
; %bb.62:
	v_cmp_gt_i16_e32 vcc_lo, 24, v6
	s_mov_b32 s12, -1
	s_cbranch_vccnz .LBB328_82
; %bb.63:
	v_cmp_lt_i16_e32 vcc_lo, 24, v6
	s_cbranch_vccz .LBB328_71
; %bb.64:
	v_and_b32_e32 v3, 0x7fffffff, v2
	v_mov_b32_e32 v7, 0x80
	s_mov_b32 s12, exec_lo
	s_delay_alu instid0(VALU_DEP_2)
	v_cmpx_gt_u32_e32 0x47800000, v3
	s_cbranch_execz .LBB328_70
; %bb.65:
	v_cmp_lt_u32_e32 vcc_lo, 0x37ffffff, v3
	s_mov_b32 s17, 0
                                        ; implicit-def: $vgpr3
	s_and_saveexec_b32 s18, vcc_lo
	s_delay_alu instid0(SALU_CYCLE_1)
	s_xor_b32 s18, exec_lo, s18
	s_cbranch_execz .LBB328_280
; %bb.66:
	v_bfe_u32 v3, v2, 21, 1
	s_mov_b32 s17, exec_lo
	s_delay_alu instid0(VALU_DEP_1) | instskip(NEXT) | instid1(VALU_DEP_1)
	v_add3_u32 v3, v2, v3, 0x88fffff
	v_lshrrev_b32_e32 v3, 21, v3
	s_or_saveexec_b32 s18, s18
                                        ; implicit-def: $sgpr19
	s_delay_alu instid0(SALU_CYCLE_1)
	s_xor_b32 exec_lo, exec_lo, s18
	s_cbranch_execnz .LBB328_281
.LBB328_67:
	s_or_b32 exec_lo, exec_lo, s18
	v_mov_b32_e32 v7, s19
	s_and_saveexec_b32 s18, s17
.LBB328_68:
	v_lshrrev_b32_e32 v7, 24, v2
	s_delay_alu instid0(VALU_DEP_1)
	v_and_or_b32 v7, 0x80, v7, v3
.LBB328_69:
	s_or_b32 exec_lo, exec_lo, s18
.LBB328_70:
	s_delay_alu instid0(SALU_CYCLE_1)
	s_or_b32 exec_lo, exec_lo, s12
	s_mov_b32 s12, 0
	global_store_b8 v[0:1], v7, off
.LBB328_71:
	s_and_b32 vcc_lo, exec_lo, s12
	s_cbranch_vccz .LBB328_81
; %bb.72:
	v_and_b32_e32 v7, 0x7fffffff, v2
	s_mov_b32 s12, exec_lo
                                        ; implicit-def: $vgpr3
	s_delay_alu instid0(VALU_DEP_1)
	v_cmpx_gt_u32_e32 0x43f00000, v7
	s_xor_b32 s12, exec_lo, s12
	s_cbranch_execz .LBB328_78
; %bb.73:
	s_mov_b32 s17, exec_lo
                                        ; implicit-def: $vgpr3
	v_cmpx_lt_u32_e32 0x3c7fffff, v7
	s_xor_b32 s17, exec_lo, s17
; %bb.74:
	v_bfe_u32 v3, v2, 20, 1
	s_delay_alu instid0(VALU_DEP_1) | instskip(NEXT) | instid1(VALU_DEP_1)
	v_add3_u32 v3, v2, v3, 0x407ffff
	v_and_b32_e32 v7, 0xff00000, v3
	v_lshrrev_b32_e32 v3, 20, v3
	s_delay_alu instid0(VALU_DEP_2) | instskip(NEXT) | instid1(VALU_DEP_2)
	v_cmp_ne_u32_e32 vcc_lo, 0x7f00000, v7
	v_cndmask_b32_e32 v3, 0x7e, v3, vcc_lo
; %bb.75:
	s_and_not1_saveexec_b32 s17, s17
; %bb.76:
	v_add_f32_e64 v3, 0x46800000, |v2|
; %bb.77:
	s_or_b32 exec_lo, exec_lo, s17
                                        ; implicit-def: $vgpr7
.LBB328_78:
	s_and_not1_saveexec_b32 s12, s12
; %bb.79:
	v_mov_b32_e32 v3, 0x7f
	v_cmp_lt_u32_e32 vcc_lo, 0x7f800000, v7
	s_delay_alu instid0(VALU_DEP_2)
	v_cndmask_b32_e32 v3, 0x7e, v3, vcc_lo
; %bb.80:
	s_or_b32 exec_lo, exec_lo, s12
	v_lshrrev_b32_e32 v7, 24, v2
	s_delay_alu instid0(VALU_DEP_1)
	v_and_or_b32 v3, 0x80, v7, v3
	global_store_b8 v[0:1], v3, off
.LBB328_81:
	s_mov_b32 s12, 0
.LBB328_82:
	s_delay_alu instid0(SALU_CYCLE_1)
	s_and_not1_b32 vcc_lo, exec_lo, s12
	s_cbranch_vccnz .LBB328_92
; %bb.83:
	v_and_b32_e32 v7, 0x7fffffff, v2
	s_mov_b32 s12, exec_lo
                                        ; implicit-def: $vgpr3
	s_delay_alu instid0(VALU_DEP_1)
	v_cmpx_gt_u32_e32 0x47800000, v7
	s_xor_b32 s12, exec_lo, s12
	s_cbranch_execz .LBB328_89
; %bb.84:
	s_mov_b32 s17, exec_lo
                                        ; implicit-def: $vgpr3
	v_cmpx_lt_u32_e32 0x387fffff, v7
	s_xor_b32 s17, exec_lo, s17
; %bb.85:
	v_bfe_u32 v3, v2, 21, 1
	s_delay_alu instid0(VALU_DEP_1) | instskip(NEXT) | instid1(VALU_DEP_1)
	v_add3_u32 v3, v2, v3, 0x80fffff
	v_lshrrev_b32_e32 v3, 21, v3
; %bb.86:
	s_and_not1_saveexec_b32 s17, s17
; %bb.87:
	v_add_f32_e64 v3, 0x43000000, |v2|
; %bb.88:
	s_or_b32 exec_lo, exec_lo, s17
                                        ; implicit-def: $vgpr7
.LBB328_89:
	s_and_not1_saveexec_b32 s12, s12
; %bb.90:
	v_mov_b32_e32 v3, 0x7f
	v_cmp_lt_u32_e32 vcc_lo, 0x7f800000, v7
	s_delay_alu instid0(VALU_DEP_2)
	v_cndmask_b32_e32 v3, 0x7c, v3, vcc_lo
; %bb.91:
	s_or_b32 exec_lo, exec_lo, s12
	v_lshrrev_b32_e32 v7, 24, v2
	s_delay_alu instid0(VALU_DEP_1)
	v_and_or_b32 v3, 0x80, v7, v3
	global_store_b8 v[0:1], v3, off
.LBB328_92:
	s_mov_b32 s17, 0
	s_mov_b32 s12, -1
.LBB328_93:
	s_and_not1_b32 vcc_lo, exec_lo, s17
	s_cbranch_vccnz .LBB328_101
; %bb.94:
	v_cmp_lt_i16_e32 vcc_lo, 14, v6
	s_mov_b32 s17, -1
	s_cbranch_vccz .LBB328_98
; %bb.95:
	v_cmp_eq_u16_e32 vcc_lo, 15, v6
	s_mov_b32 s0, -1
	s_cbranch_vccz .LBB328_97
; %bb.96:
	v_bfe_u32 v3, v2, 16, 1
	v_cmp_o_f32_e32 vcc_lo, v2, v2
	s_mov_b32 s12, -1
	s_mov_b32 s0, 0
	s_delay_alu instid0(VALU_DEP_2) | instskip(NEXT) | instid1(VALU_DEP_1)
	v_add3_u32 v3, v2, v3, 0x7fff
	v_lshrrev_b32_e32 v3, 16, v3
	s_delay_alu instid0(VALU_DEP_1)
	v_cndmask_b32_e32 v3, 0x7fc0, v3, vcc_lo
	global_store_b16 v[0:1], v3, off
.LBB328_97:
	s_mov_b32 s17, 0
.LBB328_98:
	s_delay_alu instid0(SALU_CYCLE_1)
	s_and_b32 vcc_lo, exec_lo, s17
	s_cbranch_vccz .LBB328_101
; %bb.99:
	v_cmp_eq_u16_e32 vcc_lo, 11, v6
	s_mov_b32 s0, -1
	s_cbranch_vccz .LBB328_101
; %bb.100:
	v_cmp_neq_f32_e32 vcc_lo, 0, v2
	s_mov_b32 s0, 0
	s_mov_b32 s12, -1
	v_cndmask_b32_e64 v3, 0, 1, vcc_lo
	global_store_b8 v[0:1], v3, off
.LBB328_101:
	s_branch .LBB328_20
.LBB328_102:
	v_cmp_gt_i16_e32 vcc_lo, 5, v6
	s_mov_b32 s12, -1
	s_cbranch_vccnz .LBB328_123
; %bb.103:
	v_cmp_gt_i16_e32 vcc_lo, 8, v6
	s_cbranch_vccnz .LBB328_113
; %bb.104:
	v_cmp_gt_i16_e32 vcc_lo, 9, v6
	s_cbranch_vccnz .LBB328_110
; %bb.105:
	v_cmp_lt_i16_e32 vcc_lo, 9, v6
	s_cbranch_vccz .LBB328_107
; %bb.106:
	v_cvt_f64_f32_e32 v[7:8], v2
	v_mov_b32_e32 v9, 0
	s_mov_b32 s12, 0
	s_delay_alu instid0(VALU_DEP_1)
	v_mov_b32_e32 v10, v9
	global_store_b128 v[0:1], v[7:10], off
.LBB328_107:
	s_and_not1_b32 vcc_lo, exec_lo, s12
	s_cbranch_vccnz .LBB328_109
; %bb.108:
	v_mov_b32_e32 v3, 0
	global_store_b64 v[0:1], v[2:3], off
.LBB328_109:
	s_mov_b32 s12, 0
.LBB328_110:
	s_delay_alu instid0(SALU_CYCLE_1)
	s_and_not1_b32 vcc_lo, exec_lo, s12
	s_cbranch_vccnz .LBB328_112
; %bb.111:
	v_cvt_f16_f32_e32 v3, v2
	s_delay_alu instid0(VALU_DEP_1)
	v_and_b32_e32 v3, 0xffff, v3
	global_store_b32 v[0:1], v3, off
.LBB328_112:
	s_mov_b32 s12, 0
.LBB328_113:
	s_delay_alu instid0(SALU_CYCLE_1)
	s_and_not1_b32 vcc_lo, exec_lo, s12
	s_cbranch_vccnz .LBB328_122
; %bb.114:
	v_cmp_gt_i16_e32 vcc_lo, 6, v6
	s_mov_b32 s12, -1
	s_cbranch_vccnz .LBB328_120
; %bb.115:
	v_cmp_lt_i16_e32 vcc_lo, 6, v6
	s_cbranch_vccz .LBB328_117
; %bb.116:
	v_cvt_f64_f32_e32 v[7:8], v2
	s_mov_b32 s12, 0
	global_store_b64 v[0:1], v[7:8], off
.LBB328_117:
	s_and_not1_b32 vcc_lo, exec_lo, s12
	s_cbranch_vccnz .LBB328_119
; %bb.118:
	global_store_b32 v[0:1], v2, off
.LBB328_119:
	s_mov_b32 s12, 0
.LBB328_120:
	s_delay_alu instid0(SALU_CYCLE_1)
	s_and_not1_b32 vcc_lo, exec_lo, s12
	s_cbranch_vccnz .LBB328_122
; %bb.121:
	v_cvt_f16_f32_e32 v3, v2
	global_store_b16 v[0:1], v3, off
.LBB328_122:
	s_mov_b32 s12, 0
.LBB328_123:
	s_delay_alu instid0(SALU_CYCLE_1)
	s_and_not1_b32 vcc_lo, exec_lo, s12
	s_cbranch_vccnz .LBB328_139
; %bb.124:
	v_cmp_gt_i16_e32 vcc_lo, 2, v6
	s_mov_b32 s12, -1
	s_cbranch_vccnz .LBB328_134
; %bb.125:
	v_cmp_gt_i16_e32 vcc_lo, 3, v6
	s_cbranch_vccnz .LBB328_131
; %bb.126:
	v_cmp_lt_i16_e32 vcc_lo, 3, v6
	s_cbranch_vccz .LBB328_128
; %bb.127:
	v_trunc_f32_e32 v3, v2
	s_mov_b32 s12, 0
	s_delay_alu instid0(VALU_DEP_1) | instskip(NEXT) | instid1(VALU_DEP_1)
	v_mul_f32_e64 v7, 0x2f800000, |v3|
	v_floor_f32_e32 v7, v7
	s_delay_alu instid0(VALU_DEP_1) | instskip(SKIP_2) | instid1(VALU_DEP_3)
	v_fma_f32 v8, 0xcf800000, v7, |v3|
	v_ashrrev_i32_e32 v3, 31, v3
	v_cvt_u32_f32_e32 v7, v7
	v_cvt_u32_f32_e32 v8, v8
	s_delay_alu instid0(VALU_DEP_2) | instskip(NEXT) | instid1(VALU_DEP_2)
	v_xor_b32_e32 v9, v7, v3
	v_xor_b32_e32 v8, v8, v3
	s_delay_alu instid0(VALU_DEP_1) | instskip(NEXT) | instid1(VALU_DEP_3)
	v_sub_co_u32 v7, vcc_lo, v8, v3
	v_sub_co_ci_u32_e32 v8, vcc_lo, v9, v3, vcc_lo
	global_store_b64 v[0:1], v[7:8], off
.LBB328_128:
	s_and_not1_b32 vcc_lo, exec_lo, s12
	s_cbranch_vccnz .LBB328_130
; %bb.129:
	v_cvt_i32_f32_e32 v3, v2
	global_store_b32 v[0:1], v3, off
.LBB328_130:
	s_mov_b32 s12, 0
.LBB328_131:
	s_delay_alu instid0(SALU_CYCLE_1)
	s_and_not1_b32 vcc_lo, exec_lo, s12
	s_cbranch_vccnz .LBB328_133
; %bb.132:
	v_cvt_i32_f32_e32 v3, v2
	global_store_b16 v[0:1], v3, off
.LBB328_133:
	s_mov_b32 s12, 0
.LBB328_134:
	s_delay_alu instid0(SALU_CYCLE_1)
	s_and_not1_b32 vcc_lo, exec_lo, s12
	s_cbranch_vccnz .LBB328_139
; %bb.135:
	v_cmp_lt_i16_e32 vcc_lo, 0, v6
	s_mov_b32 s12, -1
	s_cbranch_vccz .LBB328_137
; %bb.136:
	v_cvt_i32_f32_e32 v3, v2
	s_mov_b32 s12, 0
	global_store_b8 v[0:1], v3, off
.LBB328_137:
	s_and_not1_b32 vcc_lo, exec_lo, s12
	s_cbranch_vccnz .LBB328_139
; %bb.138:
	v_trunc_f32_e32 v2, v2
	s_delay_alu instid0(VALU_DEP_1) | instskip(NEXT) | instid1(VALU_DEP_1)
	v_mul_f32_e64 v3, 0x2f800000, |v2|
	v_floor_f32_e32 v3, v3
	s_delay_alu instid0(VALU_DEP_1) | instskip(SKIP_1) | instid1(VALU_DEP_2)
	v_fma_f32 v3, 0xcf800000, v3, |v2|
	v_ashrrev_i32_e32 v2, 31, v2
	v_cvt_u32_f32_e32 v3, v3
	s_delay_alu instid0(VALU_DEP_1) | instskip(NEXT) | instid1(VALU_DEP_1)
	v_xor_b32_e32 v3, v3, v2
	v_sub_nc_u32_e32 v2, v3, v2
	global_store_b8 v[0:1], v2, off
.LBB328_139:
.LBB328_140:
	v_add_nc_u32_e32 v4, 0x80, v4
	s_mov_b32 s17, -1
	s_branch .LBB328_251
.LBB328_141:
	s_mov_b32 s14, -1
                                        ; implicit-def: $vgpr2
.LBB328_142:
	s_mov_b32 s12, 0
.LBB328_143:
	s_delay_alu instid0(SALU_CYCLE_1)
	s_and_b32 vcc_lo, exec_lo, s12
	s_cbranch_vccz .LBB328_147
; %bb.144:
	v_cmp_eq_u16_e32 vcc_lo, 29, v5
	s_cbranch_vccz .LBB328_146
; %bb.145:
	global_load_b64 v[2:3], v[0:1], off
	s_mov_b32 s0, -1
	s_mov_b32 s14, 0
	s_mov_b32 s12, 0
	s_waitcnt vmcnt(0)
	v_clz_i32_u32_e32 v6, v3
	s_delay_alu instid0(VALU_DEP_1) | instskip(NEXT) | instid1(VALU_DEP_1)
	v_min_u32_e32 v6, 32, v6
	v_lshlrev_b64 v[2:3], v6, v[2:3]
	s_delay_alu instid0(VALU_DEP_1) | instskip(NEXT) | instid1(VALU_DEP_1)
	v_min_u32_e32 v2, 1, v2
	v_or_b32_e32 v2, v3, v2
	v_sub_nc_u32_e32 v3, 32, v6
	s_delay_alu instid0(VALU_DEP_2) | instskip(NEXT) | instid1(VALU_DEP_1)
	v_cvt_f32_u32_e32 v2, v2
	v_ldexp_f32 v2, v2, v3
	s_branch .LBB328_148
.LBB328_146:
	s_mov_b32 s14, -1
                                        ; implicit-def: $vgpr2
.LBB328_147:
	s_mov_b32 s12, 0
.LBB328_148:
	s_delay_alu instid0(SALU_CYCLE_1)
	s_and_b32 vcc_lo, exec_lo, s12
	s_cbranch_vccz .LBB328_166
; %bb.149:
	v_cmp_gt_i16_e32 vcc_lo, 27, v5
	s_cbranch_vccnz .LBB328_152
; %bb.150:
	v_cmp_lt_i16_e32 vcc_lo, 27, v5
	s_cbranch_vccz .LBB328_153
; %bb.151:
	global_load_b32 v2, v[0:1], off
	s_mov_b32 s0, 0
	s_waitcnt vmcnt(0)
	v_cvt_f32_u32_e32 v2, v2
	s_branch .LBB328_154
.LBB328_152:
	s_mov_b32 s0, -1
                                        ; implicit-def: $vgpr2
	s_branch .LBB328_157
.LBB328_153:
	s_mov_b32 s0, -1
                                        ; implicit-def: $vgpr2
.LBB328_154:
	s_delay_alu instid0(SALU_CYCLE_1)
	s_and_not1_b32 vcc_lo, exec_lo, s0
	s_cbranch_vccnz .LBB328_156
; %bb.155:
	global_load_u16 v2, v[0:1], off
	s_waitcnt vmcnt(0)
	v_cvt_f32_u32_e32 v2, v2
.LBB328_156:
	s_mov_b32 s0, 0
.LBB328_157:
	s_delay_alu instid0(SALU_CYCLE_1)
	s_and_not1_b32 vcc_lo, exec_lo, s0
	s_cbranch_vccnz .LBB328_165
; %bb.158:
	global_load_u8 v3, v[0:1], off
	s_mov_b32 s0, 0
	s_mov_b32 s17, exec_lo
                                        ; implicit-def: $sgpr12
	s_waitcnt vmcnt(0)
	v_cmpx_lt_i16_e32 0x7f, v3
	s_xor_b32 s17, exec_lo, s17
	s_cbranch_execz .LBB328_178
; %bb.159:
	s_mov_b32 s0, -1
	s_mov_b32 s18, exec_lo
                                        ; implicit-def: $sgpr12
	v_cmpx_eq_u16_e32 0x80, v3
; %bb.160:
	s_mov_b32 s12, 0x7f800001
	s_xor_b32 s0, exec_lo, -1
; %bb.161:
	s_or_b32 exec_lo, exec_lo, s18
	s_delay_alu instid0(SALU_CYCLE_1)
	s_and_b32 s0, s0, exec_lo
	s_or_saveexec_b32 s17, s17
	v_mov_b32_e32 v2, s12
	s_xor_b32 exec_lo, exec_lo, s17
	s_cbranch_execnz .LBB328_179
.LBB328_162:
	s_or_b32 exec_lo, exec_lo, s17
	s_and_saveexec_b32 s12, s0
	s_cbranch_execz .LBB328_164
.LBB328_163:
	v_and_b32_e32 v2, 0xffff, v3
	s_delay_alu instid0(VALU_DEP_1) | instskip(NEXT) | instid1(VALU_DEP_1)
	v_and_b32_e32 v6, 7, v2
	v_clz_i32_u32_e32 v7, v6
	s_delay_alu instid0(VALU_DEP_1) | instskip(NEXT) | instid1(VALU_DEP_1)
	v_min_u32_e32 v7, 32, v7
	v_subrev_nc_u32_e32 v8, 28, v7
	v_sub_nc_u32_e32 v7, 29, v7
	s_delay_alu instid0(VALU_DEP_2) | instskip(SKIP_1) | instid1(VALU_DEP_2)
	v_lshlrev_b32_e32 v8, v8, v2
	v_bfe_u32 v2, v2, 3, 4
	v_and_b32_e32 v8, 7, v8
	s_delay_alu instid0(VALU_DEP_2) | instskip(NEXT) | instid1(VALU_DEP_2)
	v_cmp_eq_u32_e32 vcc_lo, 0, v2
	v_dual_cndmask_b32 v6, v6, v8 :: v_dual_lshlrev_b32 v3, 24, v3
	v_cndmask_b32_e32 v2, v2, v7, vcc_lo
	s_delay_alu instid0(VALU_DEP_2) | instskip(NEXT) | instid1(VALU_DEP_3)
	v_and_b32_e32 v3, 0x80000000, v3
	v_lshlrev_b32_e32 v6, 20, v6
	s_delay_alu instid0(VALU_DEP_3) | instskip(NEXT) | instid1(VALU_DEP_1)
	v_lshl_add_u32 v2, v2, 23, 0x3b800000
	v_or3_b32 v2, v3, v2, v6
.LBB328_164:
	s_or_b32 exec_lo, exec_lo, s12
.LBB328_165:
	s_mov_b32 s0, -1
.LBB328_166:
	s_branch .LBB328_201
.LBB328_167:
	v_cmp_lt_i16_e32 vcc_lo, 22, v5
	s_cbranch_vccz .LBB328_177
; %bb.168:
	v_cmp_gt_i16_e32 vcc_lo, 24, v5
	s_cbranch_vccnz .LBB328_180
; %bb.169:
	v_cmp_lt_i16_e32 vcc_lo, 24, v5
	s_cbranch_vccz .LBB328_181
; %bb.170:
	global_load_u8 v3, v[0:1], off
	s_mov_b32 s0, 0
	s_mov_b32 s17, exec_lo
                                        ; implicit-def: $sgpr12
	s_waitcnt vmcnt(0)
	v_cmpx_lt_i16_e32 0x7f, v3
	s_xor_b32 s17, exec_lo, s17
	s_cbranch_execz .LBB328_193
; %bb.171:
	s_mov_b32 s0, -1
	s_mov_b32 s18, exec_lo
                                        ; implicit-def: $sgpr12
	v_cmpx_eq_u16_e32 0x80, v3
; %bb.172:
	s_mov_b32 s12, 0x7f800001
	s_xor_b32 s0, exec_lo, -1
; %bb.173:
	s_or_b32 exec_lo, exec_lo, s18
	s_delay_alu instid0(SALU_CYCLE_1)
	s_and_b32 s0, s0, exec_lo
	s_or_saveexec_b32 s17, s17
	v_mov_b32_e32 v2, s12
	s_xor_b32 exec_lo, exec_lo, s17
	s_cbranch_execnz .LBB328_194
.LBB328_174:
	s_or_b32 exec_lo, exec_lo, s17
	s_and_saveexec_b32 s12, s0
	s_cbranch_execz .LBB328_176
.LBB328_175:
	v_and_b32_e32 v2, 0xffff, v3
	s_delay_alu instid0(VALU_DEP_1) | instskip(NEXT) | instid1(VALU_DEP_1)
	v_and_b32_e32 v6, 3, v2
	v_clz_i32_u32_e32 v7, v6
	s_delay_alu instid0(VALU_DEP_1) | instskip(NEXT) | instid1(VALU_DEP_1)
	v_min_u32_e32 v7, 32, v7
	v_subrev_nc_u32_e32 v8, 29, v7
	v_sub_nc_u32_e32 v7, 30, v7
	s_delay_alu instid0(VALU_DEP_2) | instskip(SKIP_1) | instid1(VALU_DEP_2)
	v_lshlrev_b32_e32 v8, v8, v2
	v_bfe_u32 v2, v2, 2, 5
	v_and_b32_e32 v8, 3, v8
	s_delay_alu instid0(VALU_DEP_2) | instskip(NEXT) | instid1(VALU_DEP_2)
	v_cmp_eq_u32_e32 vcc_lo, 0, v2
	v_dual_cndmask_b32 v6, v6, v8 :: v_dual_lshlrev_b32 v3, 24, v3
	v_cndmask_b32_e32 v2, v2, v7, vcc_lo
	s_delay_alu instid0(VALU_DEP_2) | instskip(NEXT) | instid1(VALU_DEP_3)
	v_and_b32_e32 v3, 0x80000000, v3
	v_lshlrev_b32_e32 v6, 21, v6
	s_delay_alu instid0(VALU_DEP_3) | instskip(NEXT) | instid1(VALU_DEP_1)
	v_lshl_add_u32 v2, v2, 23, 0x37800000
	v_or3_b32 v2, v3, v2, v6
.LBB328_176:
	s_or_b32 exec_lo, exec_lo, s12
	s_mov_b32 s0, 0
	s_branch .LBB328_182
.LBB328_177:
	s_mov_b32 s12, -1
                                        ; implicit-def: $vgpr2
	s_branch .LBB328_188
.LBB328_178:
	s_or_saveexec_b32 s17, s17
	v_mov_b32_e32 v2, s12
	s_xor_b32 exec_lo, exec_lo, s17
	s_cbranch_execz .LBB328_162
.LBB328_179:
	v_cmp_ne_u16_e32 vcc_lo, 0, v3
	v_mov_b32_e32 v2, 0
	s_and_not1_b32 s0, s0, exec_lo
	s_and_b32 s12, vcc_lo, exec_lo
	s_delay_alu instid0(SALU_CYCLE_1)
	s_or_b32 s0, s0, s12
	s_or_b32 exec_lo, exec_lo, s17
	s_and_saveexec_b32 s12, s0
	s_cbranch_execnz .LBB328_163
	s_branch .LBB328_164
.LBB328_180:
	s_mov_b32 s0, -1
                                        ; implicit-def: $vgpr2
	s_branch .LBB328_185
.LBB328_181:
	s_mov_b32 s0, -1
                                        ; implicit-def: $vgpr2
.LBB328_182:
	s_delay_alu instid0(SALU_CYCLE_1)
	s_and_b32 vcc_lo, exec_lo, s0
	s_cbranch_vccz .LBB328_184
; %bb.183:
	global_load_u8 v2, v[0:1], off
	s_waitcnt vmcnt(0)
	v_lshlrev_b32_e32 v2, 24, v2
	s_delay_alu instid0(VALU_DEP_1) | instskip(NEXT) | instid1(VALU_DEP_1)
	v_and_b32_e32 v3, 0x7f000000, v2
	v_clz_i32_u32_e32 v6, v3
	v_cmp_ne_u32_e32 vcc_lo, 0, v3
	v_add_nc_u32_e32 v8, 0x1000000, v3
	s_delay_alu instid0(VALU_DEP_3) | instskip(NEXT) | instid1(VALU_DEP_1)
	v_min_u32_e32 v6, 32, v6
	v_sub_nc_u32_e64 v6, v6, 4 clamp
	s_delay_alu instid0(VALU_DEP_1) | instskip(SKIP_1) | instid1(VALU_DEP_2)
	v_lshlrev_b32_e32 v7, v6, v3
	v_lshlrev_b32_e32 v6, 23, v6
	v_lshrrev_b32_e32 v7, 4, v7
	s_delay_alu instid0(VALU_DEP_1) | instskip(SKIP_1) | instid1(VALU_DEP_2)
	v_sub_nc_u32_e32 v6, v7, v6
	v_ashrrev_i32_e32 v7, 8, v8
	v_add_nc_u32_e32 v6, 0x3c000000, v6
	s_delay_alu instid0(VALU_DEP_1) | instskip(NEXT) | instid1(VALU_DEP_1)
	v_and_or_b32 v6, 0x7f800000, v7, v6
	v_cndmask_b32_e32 v3, 0, v6, vcc_lo
	s_delay_alu instid0(VALU_DEP_1)
	v_and_or_b32 v2, 0x80000000, v2, v3
.LBB328_184:
	s_mov_b32 s0, 0
.LBB328_185:
	s_delay_alu instid0(SALU_CYCLE_1)
	s_and_not1_b32 vcc_lo, exec_lo, s0
	s_cbranch_vccnz .LBB328_187
; %bb.186:
	global_load_u8 v2, v[0:1], off
	s_waitcnt vmcnt(0)
	v_lshlrev_b32_e32 v3, 25, v2
	v_lshlrev_b16 v2, 8, v2
	s_delay_alu instid0(VALU_DEP_2) | instskip(NEXT) | instid1(VALU_DEP_2)
	v_lshrrev_b32_e32 v6, 4, v3
	v_and_or_b32 v7, 0x7f00, v2, 0.5
	v_cmp_gt_u32_e32 vcc_lo, 0x8000000, v3
	v_bfe_i32 v2, v2, 0, 16
	s_delay_alu instid0(VALU_DEP_4) | instskip(NEXT) | instid1(VALU_DEP_1)
	v_or_b32_e32 v6, 0x70000000, v6
	v_dual_add_f32 v7, -0.5, v7 :: v_dual_mul_f32 v6, 0x7800000, v6
	s_delay_alu instid0(VALU_DEP_1) | instskip(NEXT) | instid1(VALU_DEP_1)
	v_cndmask_b32_e32 v3, v6, v7, vcc_lo
	v_and_or_b32 v2, 0x80000000, v2, v3
.LBB328_187:
	s_mov_b32 s12, 0
	s_mov_b32 s0, -1
.LBB328_188:
	s_and_not1_b32 vcc_lo, exec_lo, s12
	s_cbranch_vccnz .LBB328_201
; %bb.189:
	v_cmp_lt_i16_e32 vcc_lo, 14, v5
	s_cbranch_vccz .LBB328_192
; %bb.190:
	v_cmp_eq_u16_e32 vcc_lo, 15, v5
	s_cbranch_vccz .LBB328_195
; %bb.191:
	global_load_u16 v2, v[0:1], off
	s_mov_b32 s0, -1
	s_mov_b32 s14, 0
	s_waitcnt vmcnt(0)
	v_lshlrev_b32_e32 v2, 16, v2
	s_branch .LBB328_196
.LBB328_192:
	s_mov_b32 s12, -1
                                        ; implicit-def: $vgpr2
	s_branch .LBB328_197
.LBB328_193:
	s_or_saveexec_b32 s17, s17
	v_mov_b32_e32 v2, s12
	s_xor_b32 exec_lo, exec_lo, s17
	s_cbranch_execz .LBB328_174
.LBB328_194:
	v_cmp_ne_u16_e32 vcc_lo, 0, v3
	v_mov_b32_e32 v2, 0
	s_and_not1_b32 s0, s0, exec_lo
	s_and_b32 s12, vcc_lo, exec_lo
	s_delay_alu instid0(SALU_CYCLE_1)
	s_or_b32 s0, s0, s12
	s_or_b32 exec_lo, exec_lo, s17
	s_and_saveexec_b32 s12, s0
	s_cbranch_execnz .LBB328_175
	s_branch .LBB328_176
.LBB328_195:
	s_mov_b32 s14, -1
                                        ; implicit-def: $vgpr2
.LBB328_196:
	s_mov_b32 s12, 0
.LBB328_197:
	s_delay_alu instid0(SALU_CYCLE_1)
	s_and_b32 vcc_lo, exec_lo, s12
	s_cbranch_vccz .LBB328_201
; %bb.198:
	v_cmp_eq_u16_e32 vcc_lo, 11, v5
	s_cbranch_vccz .LBB328_200
; %bb.199:
	global_load_u8 v2, v[0:1], off
	s_mov_b32 s14, 0
	s_mov_b32 s0, -1
	s_waitcnt vmcnt(0)
	v_cmp_ne_u16_e32 vcc_lo, 0, v2
	v_cndmask_b32_e64 v2, 0, 1.0, vcc_lo
	s_branch .LBB328_201
.LBB328_200:
	s_mov_b32 s14, -1
                                        ; implicit-def: $vgpr2
.LBB328_201:
	s_branch .LBB328_10
.LBB328_202:
	v_cmp_gt_i16_e32 vcc_lo, 5, v5
	s_cbranch_vccnz .LBB328_207
; %bb.203:
	v_cmp_gt_i16_e32 vcc_lo, 8, v5
	s_cbranch_vccnz .LBB328_208
; %bb.204:
	;; [unrolled: 3-line block ×3, first 2 shown]
	v_cmp_lt_i16_e32 vcc_lo, 9, v5
	s_cbranch_vccz .LBB328_210
; %bb.206:
	global_load_b64 v[2:3], v[0:1], off
	s_mov_b32 s0, 0
	s_waitcnt vmcnt(0)
	v_cvt_f32_f64_e32 v2, v[2:3]
	s_branch .LBB328_211
.LBB328_207:
                                        ; implicit-def: $vgpr2
	s_branch .LBB328_229
.LBB328_208:
	s_mov_b32 s0, -1
                                        ; implicit-def: $vgpr2
	s_branch .LBB328_217
.LBB328_209:
	s_mov_b32 s0, -1
                                        ; implicit-def: $vgpr2
	s_branch .LBB328_214
.LBB328_210:
	s_mov_b32 s0, -1
                                        ; implicit-def: $vgpr2
.LBB328_211:
	s_delay_alu instid0(SALU_CYCLE_1)
	s_and_not1_b32 vcc_lo, exec_lo, s0
	s_cbranch_vccnz .LBB328_213
; %bb.212:
	global_load_b32 v2, v[0:1], off
.LBB328_213:
	s_mov_b32 s0, 0
.LBB328_214:
	s_delay_alu instid0(SALU_CYCLE_1)
	s_and_not1_b32 vcc_lo, exec_lo, s0
	s_cbranch_vccnz .LBB328_216
; %bb.215:
	global_load_b32 v2, v[0:1], off
	s_waitcnt vmcnt(0)
	v_cvt_f32_f16_e32 v2, v2
.LBB328_216:
	s_mov_b32 s0, 0
.LBB328_217:
	s_delay_alu instid0(SALU_CYCLE_1)
	s_and_not1_b32 vcc_lo, exec_lo, s0
	s_cbranch_vccnz .LBB328_228
; %bb.218:
	v_cmp_gt_i16_e32 vcc_lo, 6, v5
	s_cbranch_vccnz .LBB328_221
; %bb.219:
	v_cmp_lt_i16_e32 vcc_lo, 6, v5
	s_cbranch_vccz .LBB328_222
; %bb.220:
	global_load_b64 v[2:3], v[0:1], off
	s_mov_b32 s0, 0
	s_waitcnt vmcnt(0)
	v_cvt_f32_f64_e32 v2, v[2:3]
	s_branch .LBB328_223
.LBB328_221:
	s_mov_b32 s0, -1
                                        ; implicit-def: $vgpr2
	s_branch .LBB328_226
.LBB328_222:
	s_mov_b32 s0, -1
                                        ; implicit-def: $vgpr2
.LBB328_223:
	s_delay_alu instid0(SALU_CYCLE_1)
	s_and_not1_b32 vcc_lo, exec_lo, s0
	s_cbranch_vccnz .LBB328_225
; %bb.224:
	global_load_b32 v2, v[0:1], off
.LBB328_225:
	s_mov_b32 s0, 0
.LBB328_226:
	s_delay_alu instid0(SALU_CYCLE_1)
	s_and_not1_b32 vcc_lo, exec_lo, s0
	s_cbranch_vccnz .LBB328_228
; %bb.227:
	global_load_u16 v2, v[0:1], off
	s_waitcnt vmcnt(0)
	v_cvt_f32_f16_e32 v2, v2
.LBB328_228:
	s_cbranch_execnz .LBB328_248
.LBB328_229:
	v_cmp_gt_i16_e32 vcc_lo, 2, v5
	s_cbranch_vccnz .LBB328_233
; %bb.230:
	v_cmp_gt_i16_e32 vcc_lo, 3, v5
	s_cbranch_vccnz .LBB328_234
; %bb.231:
	v_cmp_lt_i16_e32 vcc_lo, 3, v5
	s_cbranch_vccz .LBB328_235
; %bb.232:
	global_load_b64 v[2:3], v[0:1], off
	s_mov_b32 s0, 0
	s_waitcnt vmcnt(0)
	v_xor_b32_e32 v6, v2, v3
	v_cls_i32_e32 v7, v3
	s_delay_alu instid0(VALU_DEP_2) | instskip(NEXT) | instid1(VALU_DEP_2)
	v_ashrrev_i32_e32 v6, 31, v6
	v_add_nc_u32_e32 v7, -1, v7
	s_delay_alu instid0(VALU_DEP_2) | instskip(NEXT) | instid1(VALU_DEP_1)
	v_add_nc_u32_e32 v6, 32, v6
	v_min_u32_e32 v6, v7, v6
	s_delay_alu instid0(VALU_DEP_1) | instskip(NEXT) | instid1(VALU_DEP_1)
	v_lshlrev_b64 v[2:3], v6, v[2:3]
	v_min_u32_e32 v2, 1, v2
	s_delay_alu instid0(VALU_DEP_1) | instskip(SKIP_1) | instid1(VALU_DEP_2)
	v_or_b32_e32 v2, v3, v2
	v_sub_nc_u32_e32 v3, 32, v6
	v_cvt_f32_i32_e32 v2, v2
	s_delay_alu instid0(VALU_DEP_1)
	v_ldexp_f32 v2, v2, v3
	s_branch .LBB328_236
.LBB328_233:
	s_mov_b32 s0, -1
                                        ; implicit-def: $vgpr2
	s_branch .LBB328_242
.LBB328_234:
	s_mov_b32 s0, -1
                                        ; implicit-def: $vgpr2
	s_branch .LBB328_239
.LBB328_235:
	s_mov_b32 s0, -1
                                        ; implicit-def: $vgpr2
.LBB328_236:
	s_delay_alu instid0(SALU_CYCLE_1)
	s_and_not1_b32 vcc_lo, exec_lo, s0
	s_cbranch_vccnz .LBB328_238
; %bb.237:
	global_load_b32 v2, v[0:1], off
	s_waitcnt vmcnt(0)
	v_cvt_f32_i32_e32 v2, v2
.LBB328_238:
	s_mov_b32 s0, 0
.LBB328_239:
	s_delay_alu instid0(SALU_CYCLE_1)
	s_and_not1_b32 vcc_lo, exec_lo, s0
	s_cbranch_vccnz .LBB328_241
; %bb.240:
	global_load_i16 v2, v[0:1], off
	s_waitcnt vmcnt(0)
	v_cvt_f32_i32_e32 v2, v2
.LBB328_241:
	s_mov_b32 s0, 0
.LBB328_242:
	s_delay_alu instid0(SALU_CYCLE_1)
	s_and_not1_b32 vcc_lo, exec_lo, s0
	s_cbranch_vccnz .LBB328_248
; %bb.243:
	v_cmp_lt_i16_e32 vcc_lo, 0, v5
	s_mov_b32 s0, 0
	s_cbranch_vccz .LBB328_245
; %bb.244:
	global_load_i8 v2, v[0:1], off
	s_waitcnt vmcnt(0)
	v_cvt_f32_i32_e32 v2, v2
	s_branch .LBB328_246
.LBB328_245:
	s_mov_b32 s0, -1
                                        ; implicit-def: $vgpr2
.LBB328_246:
	s_delay_alu instid0(SALU_CYCLE_1)
	s_and_not1_b32 vcc_lo, exec_lo, s0
	s_cbranch_vccnz .LBB328_248
; %bb.247:
	global_load_u8 v0, v[0:1], off
	s_waitcnt vmcnt(0)
	v_cvt_f32_ubyte0_e32 v2, v0
.LBB328_248:
	s_branch .LBB328_11
.LBB328_249:
	s_mov_b32 s0, 0
.LBB328_250:
	s_mov_b32 s17, 0
                                        ; implicit-def: $vgpr4
.LBB328_251:
	s_and_b32 s12, s0, exec_lo
	s_and_b32 s14, s14, exec_lo
	s_or_not1_b32 s18, s17, exec_lo
.LBB328_252:
	s_or_b32 exec_lo, exec_lo, s15
	s_mov_b32 s17, 0
	s_mov_b32 s0, 0
                                        ; implicit-def: $vgpr0_vgpr1
                                        ; implicit-def: $vgpr3
	s_and_saveexec_b32 s15, s18
	s_cbranch_execz .LBB328_860
; %bb.253:
	s_mov_b32 s20, -1
	s_mov_b32 s16, s14
	s_mov_b32 s17, s12
	s_mov_b32 s18, exec_lo
	v_cmpx_gt_i32_e64 s13, v4
	s_cbranch_execz .LBB328_512
; %bb.254:
	v_mul_lo_u32 v0, v4, s9
	v_cmp_gt_i16_e32 vcc_lo, 11, v5
	s_delay_alu instid0(VALU_DEP_2) | instskip(SKIP_1) | instid1(VALU_DEP_1)
	v_ashrrev_i32_e32 v1, 31, v0
	v_add_co_u32 v0, s0, s6, v0
	v_add_co_ci_u32_e64 v1, s0, s7, v1, s0
	s_cbranch_vccnz .LBB328_261
; %bb.255:
	v_cmp_lt_i16_e32 vcc_lo, 25, v5
	s_cbranch_vccz .LBB328_270
; %bb.256:
	v_cmp_lt_i16_e32 vcc_lo, 28, v5
	s_cbranch_vccz .LBB328_272
	;; [unrolled: 3-line block ×4, first 2 shown]
; %bb.259:
	v_cmp_eq_u16_e32 vcc_lo, 46, v5
	s_mov_b32 s17, 0
	s_cbranch_vccz .LBB328_282
; %bb.260:
	global_load_b32 v2, v[0:1], off
	s_mov_b32 s0, -1
	s_mov_b32 s16, 0
	s_waitcnt vmcnt(0)
	v_lshlrev_b32_e32 v2, 16, v2
	s_branch .LBB328_284
.LBB328_261:
	s_mov_b32 s0, 0
	s_mov_b32 s16, s14
                                        ; implicit-def: $vgpr2
	s_cbranch_execnz .LBB328_461
.LBB328_262:
	s_and_not1_b32 vcc_lo, exec_lo, s0
	s_cbranch_vccnz .LBB328_509
.LBB328_263:
	v_mul_lo_u32 v7, v4, s8
	v_max_f32_e64 v0, s10, s10
	s_waitcnt vmcnt(0)
	s_delay_alu instid0(VALU_DEP_3) | instskip(SKIP_3) | instid1(VALU_DEP_3)
	v_max_f32_e32 v1, v2, v2
	v_max_f32_e64 v3, s11, s11
	v_and_b32_e64 v6, 0xff, s2
	v_cmp_u_f32_e64 s0, v2, v2
	v_maxmin_f32 v0, v1, v0, v3
	v_ashrrev_i32_e32 v1, 31, v7
	s_delay_alu instid0(VALU_DEP_4) | instskip(NEXT) | instid1(VALU_DEP_3)
	v_cmp_gt_i16_e32 vcc_lo, 11, v6
	v_cndmask_b32_e64 v2, v0, v2, s0
	v_add_co_u32 v0, s0, s4, v7
	s_delay_alu instid0(VALU_DEP_1)
	v_add_co_ci_u32_e64 v1, s0, s5, v1, s0
	s_cbranch_vccnz .LBB328_271
; %bb.264:
	v_cmp_lt_i16_e32 vcc_lo, 25, v6
	s_cbranch_vccz .LBB328_273
; %bb.265:
	v_cmp_lt_i16_e32 vcc_lo, 28, v6
	s_cbranch_vccz .LBB328_275
	;; [unrolled: 3-line block ×4, first 2 shown]
; %bb.268:
	v_cmp_eq_u16_e32 vcc_lo, 46, v6
	s_mov_b32 s19, 0
	s_mov_b32 s0, -1
	s_mov_b32 s17, 0
	s_cbranch_vccz .LBB328_288
; %bb.269:
	v_bfe_u32 v3, v2, 16, 1
	v_cmp_o_f32_e32 vcc_lo, v2, v2
	s_mov_b32 s17, -1
	s_mov_b32 s0, 0
	s_delay_alu instid0(VALU_DEP_2) | instskip(NEXT) | instid1(VALU_DEP_1)
	v_add3_u32 v3, v2, v3, 0x7fff
	v_lshrrev_b32_e32 v3, 16, v3
	s_delay_alu instid0(VALU_DEP_1)
	v_cndmask_b32_e32 v3, 0x7fc0, v3, vcc_lo
	global_store_b32 v[0:1], v3, off
	s_branch .LBB328_288
.LBB328_270:
	s_mov_b32 s17, -1
	s_mov_b32 s0, 0
	s_mov_b32 s16, s14
                                        ; implicit-def: $vgpr2
	s_branch .LBB328_425
.LBB328_271:
	s_mov_b32 s19, -1
	s_mov_b32 s17, 0
	s_mov_b32 s0, s12
	s_branch .LBB328_357
.LBB328_272:
	s_mov_b32 s17, -1
	s_mov_b32 s0, 0
	s_mov_b32 s16, s14
                                        ; implicit-def: $vgpr2
	s_branch .LBB328_406
.LBB328_273:
	s_mov_b32 s19, -1
	s_mov_b32 s17, 0
	s_mov_b32 s0, s12
	s_branch .LBB328_315
.LBB328_274:
	s_mov_b32 s17, -1
	s_mov_b32 s0, 0
	s_mov_b32 s16, s14
                                        ; implicit-def: $vgpr2
	s_branch .LBB328_401
.LBB328_275:
	s_mov_b32 s19, -1
	s_mov_b32 s17, 0
	s_mov_b32 s0, s12
	s_branch .LBB328_298
.LBB328_276:
	s_or_saveexec_b32 s18, s18
                                        ; implicit-def: $sgpr19
	s_delay_alu instid0(SALU_CYCLE_1)
	s_xor_b32 exec_lo, exec_lo, s18
	s_cbranch_execz .LBB328_54
.LBB328_277:
	v_add_f32_e64 v3, 0x46000000, |v2|
	s_and_not1_b32 s17, s17, exec_lo
	s_mov_b32 s19, 0
	s_delay_alu instid0(VALU_DEP_1) | instskip(NEXT) | instid1(VALU_DEP_1)
	v_and_b32_e32 v3, 0xff, v3
	v_cmp_ne_u32_e32 vcc_lo, 0, v3
	s_and_b32 s20, vcc_lo, exec_lo
	s_delay_alu instid0(SALU_CYCLE_1)
	s_or_b32 s17, s17, s20
	s_or_b32 exec_lo, exec_lo, s18
	v_mov_b32_e32 v7, s19
	s_and_saveexec_b32 s18, s17
	s_cbranch_execnz .LBB328_55
	s_branch .LBB328_56
.LBB328_278:
	s_mov_b32 s17, -1
	s_mov_b32 s0, 0
	s_mov_b32 s16, s14
	s_branch .LBB328_283
.LBB328_279:
	s_mov_b32 s19, -1
	s_mov_b32 s17, 0
	s_mov_b32 s0, s12
	s_branch .LBB328_294
.LBB328_280:
	s_or_saveexec_b32 s18, s18
                                        ; implicit-def: $sgpr19
	s_delay_alu instid0(SALU_CYCLE_1)
	s_xor_b32 exec_lo, exec_lo, s18
	s_cbranch_execz .LBB328_67
.LBB328_281:
	v_add_f32_e64 v3, 0x42800000, |v2|
	s_and_not1_b32 s17, s17, exec_lo
	s_mov_b32 s19, 0
	s_delay_alu instid0(VALU_DEP_1) | instskip(NEXT) | instid1(VALU_DEP_1)
	v_and_b32_e32 v3, 0xff, v3
	v_cmp_ne_u32_e32 vcc_lo, 0, v3
	s_and_b32 s20, vcc_lo, exec_lo
	s_delay_alu instid0(SALU_CYCLE_1)
	s_or_b32 s17, s17, s20
	s_or_b32 exec_lo, exec_lo, s18
	v_mov_b32_e32 v7, s19
	s_and_saveexec_b32 s18, s17
	s_cbranch_execnz .LBB328_68
	s_branch .LBB328_69
.LBB328_282:
	s_mov_b32 s16, -1
	s_mov_b32 s0, 0
.LBB328_283:
                                        ; implicit-def: $vgpr2
.LBB328_284:
	s_and_b32 vcc_lo, exec_lo, s17
	s_cbranch_vccz .LBB328_400
; %bb.285:
	v_cmp_eq_u16_e32 vcc_lo, 44, v5
	s_cbranch_vccz .LBB328_399
; %bb.286:
	global_load_u8 v2, v[0:1], off
	s_mov_b32 s16, 0
	s_mov_b32 s0, -1
	s_waitcnt vmcnt(0)
	v_lshlrev_b32_e32 v3, 23, v2
	v_cmp_ne_u32_e32 vcc_lo, 0xff, v2
	s_delay_alu instid0(VALU_DEP_2) | instskip(SKIP_1) | instid1(VALU_DEP_2)
	v_cndmask_b32_e32 v3, 0x7f800001, v3, vcc_lo
	v_cmp_ne_u32_e32 vcc_lo, 0, v2
	v_cndmask_b32_e32 v2, 0x400000, v3, vcc_lo
	s_branch .LBB328_400
.LBB328_287:
	s_mov_b32 s19, -1
	s_mov_b32 s17, 0
	s_mov_b32 s0, s12
.LBB328_288:
	s_and_b32 vcc_lo, exec_lo, s19
	s_cbranch_vccz .LBB328_293
; %bb.289:
	v_cmp_eq_u16_e32 vcc_lo, 44, v6
	s_mov_b32 s0, -1
	s_cbranch_vccz .LBB328_293
; %bb.290:
	v_bfe_u32 v7, v2, 23, 8
	v_mov_b32_e32 v3, 0xff
	s_mov_b32 s17, exec_lo
	s_delay_alu instid0(VALU_DEP_2)
	v_cmpx_ne_u32_e32 0xff, v7
; %bb.291:
	v_and_b32_e32 v3, 0x400000, v2
	v_and_or_b32 v7, 0x3fffff, v2, v7
	s_delay_alu instid0(VALU_DEP_2) | instskip(NEXT) | instid1(VALU_DEP_2)
	v_cmp_ne_u32_e32 vcc_lo, 0, v3
	v_cmp_ne_u32_e64 s0, 0, v7
	v_lshrrev_b32_e32 v3, 23, v2
	s_delay_alu instid0(VALU_DEP_2) | instskip(NEXT) | instid1(SALU_CYCLE_1)
	s_and_b32 s0, vcc_lo, s0
	v_cndmask_b32_e64 v7, 0, 1, s0
	s_delay_alu instid0(VALU_DEP_1)
	v_add_nc_u32_e32 v3, v3, v7
; %bb.292:
	s_or_b32 exec_lo, exec_lo, s17
	s_mov_b32 s17, -1
	s_mov_b32 s0, 0
	global_store_b8 v[0:1], v3, off
.LBB328_293:
	s_mov_b32 s19, 0
.LBB328_294:
	s_delay_alu instid0(SALU_CYCLE_1)
	s_and_b32 vcc_lo, exec_lo, s19
	s_cbranch_vccz .LBB328_297
; %bb.295:
	v_cmp_eq_u16_e32 vcc_lo, 29, v6
	s_mov_b32 s0, -1
	s_cbranch_vccz .LBB328_297
; %bb.296:
	v_trunc_f32_e32 v3, v2
	s_mov_b32 s17, -1
	s_mov_b32 s0, 0
	s_mov_b32 s19, 0
	s_delay_alu instid0(VALU_DEP_1) | instskip(NEXT) | instid1(VALU_DEP_1)
	v_mul_f32_e32 v7, 0x2f800000, v3
	v_floor_f32_e32 v7, v7
	s_delay_alu instid0(VALU_DEP_1) | instskip(SKIP_1) | instid1(VALU_DEP_2)
	v_fmamk_f32 v3, v7, 0xcf800000, v3
	v_cvt_u32_f32_e32 v8, v7
	v_cvt_u32_f32_e32 v7, v3
	global_store_b64 v[0:1], v[7:8], off
	s_branch .LBB328_298
.LBB328_297:
	s_mov_b32 s19, 0
.LBB328_298:
	s_delay_alu instid0(SALU_CYCLE_1)
	s_and_b32 vcc_lo, exec_lo, s19
	s_cbranch_vccz .LBB328_314
; %bb.299:
	v_cmp_gt_i16_e32 vcc_lo, 27, v6
	s_mov_b32 s17, -1
	s_cbranch_vccnz .LBB328_305
; %bb.300:
	v_cmp_lt_i16_e32 vcc_lo, 27, v6
	s_cbranch_vccz .LBB328_302
; %bb.301:
	v_cvt_u32_f32_e32 v3, v2
	s_mov_b32 s17, 0
	global_store_b32 v[0:1], v3, off
.LBB328_302:
	s_and_not1_b32 vcc_lo, exec_lo, s17
	s_cbranch_vccnz .LBB328_304
; %bb.303:
	v_cvt_u32_f32_e32 v3, v2
	global_store_b16 v[0:1], v3, off
.LBB328_304:
	s_mov_b32 s17, 0
.LBB328_305:
	s_delay_alu instid0(SALU_CYCLE_1)
	s_and_not1_b32 vcc_lo, exec_lo, s17
	s_cbranch_vccnz .LBB328_313
; %bb.306:
	v_and_b32_e32 v3, 0x7fffffff, v2
	v_mov_b32_e32 v7, 0x80
	s_mov_b32 s17, exec_lo
	s_delay_alu instid0(VALU_DEP_2)
	v_cmpx_gt_u32_e32 0x43800000, v3
	s_cbranch_execz .LBB328_312
; %bb.307:
	v_cmp_lt_u32_e32 vcc_lo, 0x3bffffff, v3
	s_mov_b32 s19, 0
                                        ; implicit-def: $vgpr3
	s_and_saveexec_b32 s20, vcc_lo
	s_delay_alu instid0(SALU_CYCLE_1)
	s_xor_b32 s20, exec_lo, s20
	s_cbranch_execz .LBB328_525
; %bb.308:
	v_bfe_u32 v3, v2, 20, 1
	s_mov_b32 s19, exec_lo
	s_delay_alu instid0(VALU_DEP_1) | instskip(NEXT) | instid1(VALU_DEP_1)
	v_add3_u32 v3, v2, v3, 0x487ffff
	v_lshrrev_b32_e32 v3, 20, v3
	s_or_saveexec_b32 s20, s20
                                        ; implicit-def: $sgpr21
	s_delay_alu instid0(SALU_CYCLE_1)
	s_xor_b32 exec_lo, exec_lo, s20
	s_cbranch_execnz .LBB328_526
.LBB328_309:
	s_or_b32 exec_lo, exec_lo, s20
	v_mov_b32_e32 v7, s21
	s_and_saveexec_b32 s20, s19
.LBB328_310:
	v_lshrrev_b32_e32 v7, 24, v2
	s_delay_alu instid0(VALU_DEP_1)
	v_and_or_b32 v7, 0x80, v7, v3
.LBB328_311:
	s_or_b32 exec_lo, exec_lo, s20
.LBB328_312:
	s_delay_alu instid0(SALU_CYCLE_1)
	s_or_b32 exec_lo, exec_lo, s17
	global_store_b8 v[0:1], v7, off
.LBB328_313:
	s_mov_b32 s17, -1
.LBB328_314:
	s_mov_b32 s19, 0
.LBB328_315:
	s_delay_alu instid0(SALU_CYCLE_1)
	s_and_b32 vcc_lo, exec_lo, s19
	s_cbranch_vccz .LBB328_356
; %bb.316:
	v_cmp_lt_i16_e32 vcc_lo, 22, v6
	s_mov_b32 s19, -1
	s_cbranch_vccz .LBB328_348
; %bb.317:
	v_cmp_gt_i16_e32 vcc_lo, 24, v6
	s_mov_b32 s17, -1
	s_cbranch_vccnz .LBB328_337
; %bb.318:
	v_cmp_lt_i16_e32 vcc_lo, 24, v6
	s_cbranch_vccz .LBB328_326
; %bb.319:
	v_and_b32_e32 v3, 0x7fffffff, v2
	v_mov_b32_e32 v7, 0x80
	s_mov_b32 s17, exec_lo
	s_delay_alu instid0(VALU_DEP_2)
	v_cmpx_gt_u32_e32 0x47800000, v3
	s_cbranch_execz .LBB328_325
; %bb.320:
	v_cmp_lt_u32_e32 vcc_lo, 0x37ffffff, v3
	s_mov_b32 s19, 0
                                        ; implicit-def: $vgpr3
	s_and_saveexec_b32 s20, vcc_lo
	s_delay_alu instid0(SALU_CYCLE_1)
	s_xor_b32 s20, exec_lo, s20
	s_cbranch_execz .LBB328_528
; %bb.321:
	v_bfe_u32 v3, v2, 21, 1
	s_mov_b32 s19, exec_lo
	s_delay_alu instid0(VALU_DEP_1) | instskip(NEXT) | instid1(VALU_DEP_1)
	v_add3_u32 v3, v2, v3, 0x88fffff
	v_lshrrev_b32_e32 v3, 21, v3
	s_or_saveexec_b32 s20, s20
                                        ; implicit-def: $sgpr21
	s_delay_alu instid0(SALU_CYCLE_1)
	s_xor_b32 exec_lo, exec_lo, s20
	s_cbranch_execnz .LBB328_529
.LBB328_322:
	s_or_b32 exec_lo, exec_lo, s20
	v_mov_b32_e32 v7, s21
	s_and_saveexec_b32 s20, s19
.LBB328_323:
	v_lshrrev_b32_e32 v7, 24, v2
	s_delay_alu instid0(VALU_DEP_1)
	v_and_or_b32 v7, 0x80, v7, v3
.LBB328_324:
	s_or_b32 exec_lo, exec_lo, s20
.LBB328_325:
	s_delay_alu instid0(SALU_CYCLE_1)
	s_or_b32 exec_lo, exec_lo, s17
	s_mov_b32 s17, 0
	global_store_b8 v[0:1], v7, off
.LBB328_326:
	s_and_b32 vcc_lo, exec_lo, s17
	s_cbranch_vccz .LBB328_336
; %bb.327:
	v_and_b32_e32 v7, 0x7fffffff, v2
	s_mov_b32 s17, exec_lo
                                        ; implicit-def: $vgpr3
	s_delay_alu instid0(VALU_DEP_1)
	v_cmpx_gt_u32_e32 0x43f00000, v7
	s_xor_b32 s17, exec_lo, s17
	s_cbranch_execz .LBB328_333
; %bb.328:
	s_mov_b32 s19, exec_lo
                                        ; implicit-def: $vgpr3
	v_cmpx_lt_u32_e32 0x3c7fffff, v7
	s_xor_b32 s19, exec_lo, s19
; %bb.329:
	v_bfe_u32 v3, v2, 20, 1
	s_delay_alu instid0(VALU_DEP_1) | instskip(NEXT) | instid1(VALU_DEP_1)
	v_add3_u32 v3, v2, v3, 0x407ffff
	v_and_b32_e32 v7, 0xff00000, v3
	v_lshrrev_b32_e32 v3, 20, v3
	s_delay_alu instid0(VALU_DEP_2) | instskip(NEXT) | instid1(VALU_DEP_2)
	v_cmp_ne_u32_e32 vcc_lo, 0x7f00000, v7
	v_cndmask_b32_e32 v3, 0x7e, v3, vcc_lo
; %bb.330:
	s_and_not1_saveexec_b32 s19, s19
; %bb.331:
	v_add_f32_e64 v3, 0x46800000, |v2|
; %bb.332:
	s_or_b32 exec_lo, exec_lo, s19
                                        ; implicit-def: $vgpr7
.LBB328_333:
	s_and_not1_saveexec_b32 s17, s17
; %bb.334:
	v_mov_b32_e32 v3, 0x7f
	v_cmp_lt_u32_e32 vcc_lo, 0x7f800000, v7
	s_delay_alu instid0(VALU_DEP_2)
	v_cndmask_b32_e32 v3, 0x7e, v3, vcc_lo
; %bb.335:
	s_or_b32 exec_lo, exec_lo, s17
	v_lshrrev_b32_e32 v7, 24, v2
	s_delay_alu instid0(VALU_DEP_1)
	v_and_or_b32 v3, 0x80, v7, v3
	global_store_b8 v[0:1], v3, off
.LBB328_336:
	s_mov_b32 s17, 0
.LBB328_337:
	s_delay_alu instid0(SALU_CYCLE_1)
	s_and_not1_b32 vcc_lo, exec_lo, s17
	s_cbranch_vccnz .LBB328_347
; %bb.338:
	v_and_b32_e32 v7, 0x7fffffff, v2
	s_mov_b32 s17, exec_lo
                                        ; implicit-def: $vgpr3
	s_delay_alu instid0(VALU_DEP_1)
	v_cmpx_gt_u32_e32 0x47800000, v7
	s_xor_b32 s17, exec_lo, s17
	s_cbranch_execz .LBB328_344
; %bb.339:
	s_mov_b32 s19, exec_lo
                                        ; implicit-def: $vgpr3
	v_cmpx_lt_u32_e32 0x387fffff, v7
	s_xor_b32 s19, exec_lo, s19
; %bb.340:
	v_bfe_u32 v3, v2, 21, 1
	s_delay_alu instid0(VALU_DEP_1) | instskip(NEXT) | instid1(VALU_DEP_1)
	v_add3_u32 v3, v2, v3, 0x80fffff
	v_lshrrev_b32_e32 v3, 21, v3
; %bb.341:
	s_and_not1_saveexec_b32 s19, s19
; %bb.342:
	v_add_f32_e64 v3, 0x43000000, |v2|
; %bb.343:
	s_or_b32 exec_lo, exec_lo, s19
                                        ; implicit-def: $vgpr7
.LBB328_344:
	s_and_not1_saveexec_b32 s17, s17
; %bb.345:
	v_mov_b32_e32 v3, 0x7f
	v_cmp_lt_u32_e32 vcc_lo, 0x7f800000, v7
	s_delay_alu instid0(VALU_DEP_2)
	v_cndmask_b32_e32 v3, 0x7c, v3, vcc_lo
; %bb.346:
	s_or_b32 exec_lo, exec_lo, s17
	v_lshrrev_b32_e32 v7, 24, v2
	s_delay_alu instid0(VALU_DEP_1)
	v_and_or_b32 v3, 0x80, v7, v3
	global_store_b8 v[0:1], v3, off
.LBB328_347:
	s_mov_b32 s19, 0
	s_mov_b32 s17, -1
.LBB328_348:
	s_and_not1_b32 vcc_lo, exec_lo, s19
	s_cbranch_vccnz .LBB328_356
; %bb.349:
	v_cmp_lt_i16_e32 vcc_lo, 14, v6
	s_mov_b32 s19, -1
	s_cbranch_vccz .LBB328_353
; %bb.350:
	v_cmp_eq_u16_e32 vcc_lo, 15, v6
	s_mov_b32 s0, -1
	s_cbranch_vccz .LBB328_352
; %bb.351:
	v_bfe_u32 v3, v2, 16, 1
	v_cmp_o_f32_e32 vcc_lo, v2, v2
	s_mov_b32 s17, -1
	s_mov_b32 s0, 0
	s_delay_alu instid0(VALU_DEP_2) | instskip(NEXT) | instid1(VALU_DEP_1)
	v_add3_u32 v3, v2, v3, 0x7fff
	v_lshrrev_b32_e32 v3, 16, v3
	s_delay_alu instid0(VALU_DEP_1)
	v_cndmask_b32_e32 v3, 0x7fc0, v3, vcc_lo
	global_store_b16 v[0:1], v3, off
.LBB328_352:
	s_mov_b32 s19, 0
.LBB328_353:
	s_delay_alu instid0(SALU_CYCLE_1)
	s_and_b32 vcc_lo, exec_lo, s19
	s_cbranch_vccz .LBB328_356
; %bb.354:
	v_cmp_eq_u16_e32 vcc_lo, 11, v6
	s_mov_b32 s0, -1
	s_cbranch_vccz .LBB328_356
; %bb.355:
	v_cmp_neq_f32_e32 vcc_lo, 0, v2
	s_mov_b32 s0, 0
	s_mov_b32 s17, -1
	v_cndmask_b32_e64 v3, 0, 1, vcc_lo
	global_store_b8 v[0:1], v3, off
.LBB328_356:
	s_mov_b32 s19, 0
.LBB328_357:
	s_delay_alu instid0(SALU_CYCLE_1)
	s_and_b32 vcc_lo, exec_lo, s19
	s_cbranch_vccz .LBB328_396
; %bb.358:
	v_cmp_gt_i16_e32 vcc_lo, 5, v6
	s_mov_b32 s17, -1
	s_cbranch_vccnz .LBB328_379
; %bb.359:
	v_cmp_gt_i16_e32 vcc_lo, 8, v6
	s_cbranch_vccnz .LBB328_369
; %bb.360:
	v_cmp_gt_i16_e32 vcc_lo, 9, v6
	s_cbranch_vccnz .LBB328_366
; %bb.361:
	v_cmp_lt_i16_e32 vcc_lo, 9, v6
	s_cbranch_vccz .LBB328_363
; %bb.362:
	v_cvt_f64_f32_e32 v[7:8], v2
	v_mov_b32_e32 v9, 0
	s_mov_b32 s17, 0
	s_delay_alu instid0(VALU_DEP_1)
	v_mov_b32_e32 v10, v9
	global_store_b128 v[0:1], v[7:10], off
.LBB328_363:
	s_and_not1_b32 vcc_lo, exec_lo, s17
	s_cbranch_vccnz .LBB328_365
; %bb.364:
	v_mov_b32_e32 v3, 0
	global_store_b64 v[0:1], v[2:3], off
.LBB328_365:
	s_mov_b32 s17, 0
.LBB328_366:
	s_delay_alu instid0(SALU_CYCLE_1)
	s_and_not1_b32 vcc_lo, exec_lo, s17
	s_cbranch_vccnz .LBB328_368
; %bb.367:
	v_cvt_f16_f32_e32 v3, v2
	s_delay_alu instid0(VALU_DEP_1)
	v_and_b32_e32 v3, 0xffff, v3
	global_store_b32 v[0:1], v3, off
.LBB328_368:
	s_mov_b32 s17, 0
.LBB328_369:
	s_delay_alu instid0(SALU_CYCLE_1)
	s_and_not1_b32 vcc_lo, exec_lo, s17
	s_cbranch_vccnz .LBB328_378
; %bb.370:
	v_cmp_gt_i16_e32 vcc_lo, 6, v6
	s_mov_b32 s17, -1
	s_cbranch_vccnz .LBB328_376
; %bb.371:
	v_cmp_lt_i16_e32 vcc_lo, 6, v6
	s_cbranch_vccz .LBB328_373
; %bb.372:
	v_cvt_f64_f32_e32 v[7:8], v2
	s_mov_b32 s17, 0
	global_store_b64 v[0:1], v[7:8], off
.LBB328_373:
	s_and_not1_b32 vcc_lo, exec_lo, s17
	s_cbranch_vccnz .LBB328_375
; %bb.374:
	global_store_b32 v[0:1], v2, off
.LBB328_375:
	s_mov_b32 s17, 0
.LBB328_376:
	s_delay_alu instid0(SALU_CYCLE_1)
	s_and_not1_b32 vcc_lo, exec_lo, s17
	s_cbranch_vccnz .LBB328_378
; %bb.377:
	v_cvt_f16_f32_e32 v3, v2
	global_store_b16 v[0:1], v3, off
.LBB328_378:
	s_mov_b32 s17, 0
.LBB328_379:
	s_delay_alu instid0(SALU_CYCLE_1)
	s_and_not1_b32 vcc_lo, exec_lo, s17
	s_cbranch_vccnz .LBB328_395
; %bb.380:
	v_cmp_gt_i16_e32 vcc_lo, 2, v6
	s_mov_b32 s17, -1
	s_cbranch_vccnz .LBB328_390
; %bb.381:
	v_cmp_gt_i16_e32 vcc_lo, 3, v6
	s_cbranch_vccnz .LBB328_387
; %bb.382:
	v_cmp_lt_i16_e32 vcc_lo, 3, v6
	s_cbranch_vccz .LBB328_384
; %bb.383:
	v_trunc_f32_e32 v3, v2
	s_mov_b32 s17, 0
	s_delay_alu instid0(VALU_DEP_1) | instskip(NEXT) | instid1(VALU_DEP_1)
	v_mul_f32_e64 v7, 0x2f800000, |v3|
	v_floor_f32_e32 v7, v7
	s_delay_alu instid0(VALU_DEP_1) | instskip(SKIP_2) | instid1(VALU_DEP_3)
	v_fma_f32 v8, 0xcf800000, v7, |v3|
	v_ashrrev_i32_e32 v3, 31, v3
	v_cvt_u32_f32_e32 v7, v7
	v_cvt_u32_f32_e32 v8, v8
	s_delay_alu instid0(VALU_DEP_2) | instskip(NEXT) | instid1(VALU_DEP_2)
	v_xor_b32_e32 v9, v7, v3
	v_xor_b32_e32 v8, v8, v3
	s_delay_alu instid0(VALU_DEP_1) | instskip(NEXT) | instid1(VALU_DEP_3)
	v_sub_co_u32 v7, vcc_lo, v8, v3
	v_sub_co_ci_u32_e32 v8, vcc_lo, v9, v3, vcc_lo
	global_store_b64 v[0:1], v[7:8], off
.LBB328_384:
	s_and_not1_b32 vcc_lo, exec_lo, s17
	s_cbranch_vccnz .LBB328_386
; %bb.385:
	v_cvt_i32_f32_e32 v3, v2
	global_store_b32 v[0:1], v3, off
.LBB328_386:
	s_mov_b32 s17, 0
.LBB328_387:
	s_delay_alu instid0(SALU_CYCLE_1)
	s_and_not1_b32 vcc_lo, exec_lo, s17
	s_cbranch_vccnz .LBB328_389
; %bb.388:
	v_cvt_i32_f32_e32 v3, v2
	global_store_b16 v[0:1], v3, off
.LBB328_389:
	s_mov_b32 s17, 0
.LBB328_390:
	s_delay_alu instid0(SALU_CYCLE_1)
	s_and_not1_b32 vcc_lo, exec_lo, s17
	s_cbranch_vccnz .LBB328_395
; %bb.391:
	v_cmp_lt_i16_e32 vcc_lo, 0, v6
	s_mov_b32 s17, -1
	s_cbranch_vccz .LBB328_393
; %bb.392:
	v_cvt_i32_f32_e32 v3, v2
	s_mov_b32 s17, 0
	global_store_b8 v[0:1], v3, off
.LBB328_393:
	s_and_not1_b32 vcc_lo, exec_lo, s17
	s_cbranch_vccnz .LBB328_395
; %bb.394:
	v_trunc_f32_e32 v2, v2
	s_delay_alu instid0(VALU_DEP_1) | instskip(NEXT) | instid1(VALU_DEP_1)
	v_mul_f32_e64 v3, 0x2f800000, |v2|
	v_floor_f32_e32 v3, v3
	s_delay_alu instid0(VALU_DEP_1) | instskip(SKIP_1) | instid1(VALU_DEP_2)
	v_fma_f32 v3, 0xcf800000, v3, |v2|
	v_ashrrev_i32_e32 v2, 31, v2
	v_cvt_u32_f32_e32 v3, v3
	s_delay_alu instid0(VALU_DEP_1) | instskip(NEXT) | instid1(VALU_DEP_1)
	v_xor_b32_e32 v3, v3, v2
	v_sub_nc_u32_e32 v2, v3, v2
	global_store_b8 v[0:1], v2, off
.LBB328_395:
	s_mov_b32 s17, -1
.LBB328_396:
	s_delay_alu instid0(SALU_CYCLE_1)
	s_and_not1_b32 vcc_lo, exec_lo, s17
	s_cbranch_vccnz .LBB328_398
; %bb.397:
	v_add_nc_u32_e32 v4, 0x80, v4
	s_mov_b32 s19, -1
	s_branch .LBB328_511
.LBB328_398:
	s_mov_b32 s19, 0
	s_branch .LBB328_510
.LBB328_399:
	s_mov_b32 s16, -1
                                        ; implicit-def: $vgpr2
.LBB328_400:
	s_mov_b32 s17, 0
.LBB328_401:
	s_delay_alu instid0(SALU_CYCLE_1)
	s_and_b32 vcc_lo, exec_lo, s17
	s_cbranch_vccz .LBB328_405
; %bb.402:
	v_cmp_eq_u16_e32 vcc_lo, 29, v5
	s_cbranch_vccz .LBB328_404
; %bb.403:
	global_load_b64 v[2:3], v[0:1], off
	s_mov_b32 s0, -1
	s_mov_b32 s16, 0
	s_mov_b32 s17, 0
	s_waitcnt vmcnt(0)
	v_clz_i32_u32_e32 v6, v3
	s_delay_alu instid0(VALU_DEP_1) | instskip(NEXT) | instid1(VALU_DEP_1)
	v_min_u32_e32 v6, 32, v6
	v_lshlrev_b64 v[2:3], v6, v[2:3]
	s_delay_alu instid0(VALU_DEP_1) | instskip(NEXT) | instid1(VALU_DEP_1)
	v_min_u32_e32 v2, 1, v2
	v_or_b32_e32 v2, v3, v2
	v_sub_nc_u32_e32 v3, 32, v6
	s_delay_alu instid0(VALU_DEP_2) | instskip(NEXT) | instid1(VALU_DEP_1)
	v_cvt_f32_u32_e32 v2, v2
	v_ldexp_f32 v2, v2, v3
	s_branch .LBB328_406
.LBB328_404:
	s_mov_b32 s16, -1
                                        ; implicit-def: $vgpr2
.LBB328_405:
	s_mov_b32 s17, 0
.LBB328_406:
	s_delay_alu instid0(SALU_CYCLE_1)
	s_and_b32 vcc_lo, exec_lo, s17
	s_cbranch_vccz .LBB328_424
; %bb.407:
	v_cmp_gt_i16_e32 vcc_lo, 27, v5
	s_cbranch_vccnz .LBB328_410
; %bb.408:
	v_cmp_lt_i16_e32 vcc_lo, 27, v5
	s_cbranch_vccz .LBB328_411
; %bb.409:
	global_load_b32 v2, v[0:1], off
	s_mov_b32 s0, 0
	s_waitcnt vmcnt(0)
	v_cvt_f32_u32_e32 v2, v2
	s_branch .LBB328_412
.LBB328_410:
	s_mov_b32 s0, -1
                                        ; implicit-def: $vgpr2
	s_branch .LBB328_415
.LBB328_411:
	s_mov_b32 s0, -1
                                        ; implicit-def: $vgpr2
.LBB328_412:
	s_delay_alu instid0(SALU_CYCLE_1)
	s_and_not1_b32 vcc_lo, exec_lo, s0
	s_cbranch_vccnz .LBB328_414
; %bb.413:
	global_load_u16 v2, v[0:1], off
	s_waitcnt vmcnt(0)
	v_cvt_f32_u32_e32 v2, v2
.LBB328_414:
	s_mov_b32 s0, 0
.LBB328_415:
	s_delay_alu instid0(SALU_CYCLE_1)
	s_and_not1_b32 vcc_lo, exec_lo, s0
	s_cbranch_vccnz .LBB328_423
; %bb.416:
	global_load_u8 v3, v[0:1], off
	s_mov_b32 s0, 0
	s_mov_b32 s19, exec_lo
                                        ; implicit-def: $sgpr17
	s_waitcnt vmcnt(0)
	v_cmpx_lt_i16_e32 0x7f, v3
	s_xor_b32 s19, exec_lo, s19
	s_cbranch_execz .LBB328_437
; %bb.417:
	s_mov_b32 s0, -1
	s_mov_b32 s20, exec_lo
                                        ; implicit-def: $sgpr17
	v_cmpx_eq_u16_e32 0x80, v3
; %bb.418:
	s_mov_b32 s17, 0x7f800001
	s_xor_b32 s0, exec_lo, -1
; %bb.419:
	s_or_b32 exec_lo, exec_lo, s20
	s_delay_alu instid0(SALU_CYCLE_1)
	s_and_b32 s0, s0, exec_lo
	s_or_saveexec_b32 s19, s19
	v_mov_b32_e32 v2, s17
	s_xor_b32 exec_lo, exec_lo, s19
	s_cbranch_execnz .LBB328_438
.LBB328_420:
	s_or_b32 exec_lo, exec_lo, s19
	s_and_saveexec_b32 s17, s0
	s_cbranch_execz .LBB328_422
.LBB328_421:
	v_and_b32_e32 v2, 0xffff, v3
	s_delay_alu instid0(VALU_DEP_1) | instskip(NEXT) | instid1(VALU_DEP_1)
	v_and_b32_e32 v6, 7, v2
	v_clz_i32_u32_e32 v7, v6
	s_delay_alu instid0(VALU_DEP_1) | instskip(NEXT) | instid1(VALU_DEP_1)
	v_min_u32_e32 v7, 32, v7
	v_subrev_nc_u32_e32 v8, 28, v7
	v_sub_nc_u32_e32 v7, 29, v7
	s_delay_alu instid0(VALU_DEP_2) | instskip(SKIP_1) | instid1(VALU_DEP_2)
	v_lshlrev_b32_e32 v8, v8, v2
	v_bfe_u32 v2, v2, 3, 4
	v_and_b32_e32 v8, 7, v8
	s_delay_alu instid0(VALU_DEP_2) | instskip(NEXT) | instid1(VALU_DEP_2)
	v_cmp_eq_u32_e32 vcc_lo, 0, v2
	v_dual_cndmask_b32 v6, v6, v8 :: v_dual_lshlrev_b32 v3, 24, v3
	v_cndmask_b32_e32 v2, v2, v7, vcc_lo
	s_delay_alu instid0(VALU_DEP_2) | instskip(NEXT) | instid1(VALU_DEP_3)
	v_and_b32_e32 v3, 0x80000000, v3
	v_lshlrev_b32_e32 v6, 20, v6
	s_delay_alu instid0(VALU_DEP_3) | instskip(NEXT) | instid1(VALU_DEP_1)
	v_lshl_add_u32 v2, v2, 23, 0x3b800000
	v_or3_b32 v2, v3, v2, v6
.LBB328_422:
	s_or_b32 exec_lo, exec_lo, s17
.LBB328_423:
	s_mov_b32 s0, -1
.LBB328_424:
	s_mov_b32 s17, 0
.LBB328_425:
	s_delay_alu instid0(SALU_CYCLE_1)
	s_and_b32 vcc_lo, exec_lo, s17
	s_cbranch_vccz .LBB328_460
; %bb.426:
	v_cmp_lt_i16_e32 vcc_lo, 22, v5
	s_cbranch_vccz .LBB328_436
; %bb.427:
	v_cmp_gt_i16_e32 vcc_lo, 24, v5
	s_cbranch_vccnz .LBB328_439
; %bb.428:
	v_cmp_lt_i16_e32 vcc_lo, 24, v5
	s_cbranch_vccz .LBB328_440
; %bb.429:
	global_load_u8 v3, v[0:1], off
	s_mov_b32 s0, 0
	s_mov_b32 s19, exec_lo
                                        ; implicit-def: $sgpr17
	s_waitcnt vmcnt(0)
	v_cmpx_lt_i16_e32 0x7f, v3
	s_xor_b32 s19, exec_lo, s19
	s_cbranch_execz .LBB328_452
; %bb.430:
	s_mov_b32 s0, -1
	s_mov_b32 s20, exec_lo
                                        ; implicit-def: $sgpr17
	v_cmpx_eq_u16_e32 0x80, v3
; %bb.431:
	s_mov_b32 s17, 0x7f800001
	s_xor_b32 s0, exec_lo, -1
; %bb.432:
	s_or_b32 exec_lo, exec_lo, s20
	s_delay_alu instid0(SALU_CYCLE_1)
	s_and_b32 s0, s0, exec_lo
	s_or_saveexec_b32 s19, s19
	v_mov_b32_e32 v2, s17
	s_xor_b32 exec_lo, exec_lo, s19
	s_cbranch_execnz .LBB328_453
.LBB328_433:
	s_or_b32 exec_lo, exec_lo, s19
	s_and_saveexec_b32 s17, s0
	s_cbranch_execz .LBB328_435
.LBB328_434:
	v_and_b32_e32 v2, 0xffff, v3
	s_delay_alu instid0(VALU_DEP_1) | instskip(NEXT) | instid1(VALU_DEP_1)
	v_and_b32_e32 v6, 3, v2
	v_clz_i32_u32_e32 v7, v6
	s_delay_alu instid0(VALU_DEP_1) | instskip(NEXT) | instid1(VALU_DEP_1)
	v_min_u32_e32 v7, 32, v7
	v_subrev_nc_u32_e32 v8, 29, v7
	v_sub_nc_u32_e32 v7, 30, v7
	s_delay_alu instid0(VALU_DEP_2) | instskip(SKIP_1) | instid1(VALU_DEP_2)
	v_lshlrev_b32_e32 v8, v8, v2
	v_bfe_u32 v2, v2, 2, 5
	v_and_b32_e32 v8, 3, v8
	s_delay_alu instid0(VALU_DEP_2) | instskip(NEXT) | instid1(VALU_DEP_2)
	v_cmp_eq_u32_e32 vcc_lo, 0, v2
	v_dual_cndmask_b32 v6, v6, v8 :: v_dual_lshlrev_b32 v3, 24, v3
	v_cndmask_b32_e32 v2, v2, v7, vcc_lo
	s_delay_alu instid0(VALU_DEP_2) | instskip(NEXT) | instid1(VALU_DEP_3)
	v_and_b32_e32 v3, 0x80000000, v3
	v_lshlrev_b32_e32 v6, 21, v6
	s_delay_alu instid0(VALU_DEP_3) | instskip(NEXT) | instid1(VALU_DEP_1)
	v_lshl_add_u32 v2, v2, 23, 0x37800000
	v_or3_b32 v2, v3, v2, v6
.LBB328_435:
	s_or_b32 exec_lo, exec_lo, s17
	s_mov_b32 s0, 0
	s_branch .LBB328_441
.LBB328_436:
	s_mov_b32 s17, -1
                                        ; implicit-def: $vgpr2
	s_branch .LBB328_447
.LBB328_437:
	s_or_saveexec_b32 s19, s19
	v_mov_b32_e32 v2, s17
	s_xor_b32 exec_lo, exec_lo, s19
	s_cbranch_execz .LBB328_420
.LBB328_438:
	v_cmp_ne_u16_e32 vcc_lo, 0, v3
	v_mov_b32_e32 v2, 0
	s_and_not1_b32 s0, s0, exec_lo
	s_and_b32 s17, vcc_lo, exec_lo
	s_delay_alu instid0(SALU_CYCLE_1)
	s_or_b32 s0, s0, s17
	s_or_b32 exec_lo, exec_lo, s19
	s_and_saveexec_b32 s17, s0
	s_cbranch_execnz .LBB328_421
	s_branch .LBB328_422
.LBB328_439:
	s_mov_b32 s0, -1
                                        ; implicit-def: $vgpr2
	s_branch .LBB328_444
.LBB328_440:
	s_mov_b32 s0, -1
                                        ; implicit-def: $vgpr2
.LBB328_441:
	s_delay_alu instid0(SALU_CYCLE_1)
	s_and_b32 vcc_lo, exec_lo, s0
	s_cbranch_vccz .LBB328_443
; %bb.442:
	global_load_u8 v2, v[0:1], off
	s_waitcnt vmcnt(0)
	v_lshlrev_b32_e32 v2, 24, v2
	s_delay_alu instid0(VALU_DEP_1) | instskip(NEXT) | instid1(VALU_DEP_1)
	v_and_b32_e32 v3, 0x7f000000, v2
	v_clz_i32_u32_e32 v6, v3
	v_cmp_ne_u32_e32 vcc_lo, 0, v3
	v_add_nc_u32_e32 v8, 0x1000000, v3
	s_delay_alu instid0(VALU_DEP_3) | instskip(NEXT) | instid1(VALU_DEP_1)
	v_min_u32_e32 v6, 32, v6
	v_sub_nc_u32_e64 v6, v6, 4 clamp
	s_delay_alu instid0(VALU_DEP_1) | instskip(SKIP_1) | instid1(VALU_DEP_2)
	v_lshlrev_b32_e32 v7, v6, v3
	v_lshlrev_b32_e32 v6, 23, v6
	v_lshrrev_b32_e32 v7, 4, v7
	s_delay_alu instid0(VALU_DEP_1) | instskip(SKIP_1) | instid1(VALU_DEP_2)
	v_sub_nc_u32_e32 v6, v7, v6
	v_ashrrev_i32_e32 v7, 8, v8
	v_add_nc_u32_e32 v6, 0x3c000000, v6
	s_delay_alu instid0(VALU_DEP_1) | instskip(NEXT) | instid1(VALU_DEP_1)
	v_and_or_b32 v6, 0x7f800000, v7, v6
	v_cndmask_b32_e32 v3, 0, v6, vcc_lo
	s_delay_alu instid0(VALU_DEP_1)
	v_and_or_b32 v2, 0x80000000, v2, v3
.LBB328_443:
	s_mov_b32 s0, 0
.LBB328_444:
	s_delay_alu instid0(SALU_CYCLE_1)
	s_and_not1_b32 vcc_lo, exec_lo, s0
	s_cbranch_vccnz .LBB328_446
; %bb.445:
	global_load_u8 v2, v[0:1], off
	s_waitcnt vmcnt(0)
	v_lshlrev_b32_e32 v3, 25, v2
	v_lshlrev_b16 v2, 8, v2
	s_delay_alu instid0(VALU_DEP_2) | instskip(NEXT) | instid1(VALU_DEP_2)
	v_lshrrev_b32_e32 v6, 4, v3
	v_and_or_b32 v7, 0x7f00, v2, 0.5
	v_cmp_gt_u32_e32 vcc_lo, 0x8000000, v3
	v_bfe_i32 v2, v2, 0, 16
	s_delay_alu instid0(VALU_DEP_4) | instskip(NEXT) | instid1(VALU_DEP_1)
	v_or_b32_e32 v6, 0x70000000, v6
	v_dual_add_f32 v7, -0.5, v7 :: v_dual_mul_f32 v6, 0x7800000, v6
	s_delay_alu instid0(VALU_DEP_1) | instskip(NEXT) | instid1(VALU_DEP_1)
	v_cndmask_b32_e32 v3, v6, v7, vcc_lo
	v_and_or_b32 v2, 0x80000000, v2, v3
.LBB328_446:
	s_mov_b32 s17, 0
	s_mov_b32 s0, -1
.LBB328_447:
	s_and_not1_b32 vcc_lo, exec_lo, s17
	s_cbranch_vccnz .LBB328_460
; %bb.448:
	v_cmp_lt_i16_e32 vcc_lo, 14, v5
	s_cbranch_vccz .LBB328_451
; %bb.449:
	v_cmp_eq_u16_e32 vcc_lo, 15, v5
	s_cbranch_vccz .LBB328_454
; %bb.450:
	global_load_u16 v2, v[0:1], off
	s_mov_b32 s0, -1
	s_mov_b32 s16, 0
	s_waitcnt vmcnt(0)
	v_lshlrev_b32_e32 v2, 16, v2
	s_branch .LBB328_455
.LBB328_451:
	s_mov_b32 s17, -1
                                        ; implicit-def: $vgpr2
	s_branch .LBB328_456
.LBB328_452:
	s_or_saveexec_b32 s19, s19
	v_mov_b32_e32 v2, s17
	s_xor_b32 exec_lo, exec_lo, s19
	s_cbranch_execz .LBB328_433
.LBB328_453:
	v_cmp_ne_u16_e32 vcc_lo, 0, v3
	v_mov_b32_e32 v2, 0
	s_and_not1_b32 s0, s0, exec_lo
	s_and_b32 s17, vcc_lo, exec_lo
	s_delay_alu instid0(SALU_CYCLE_1)
	s_or_b32 s0, s0, s17
	s_or_b32 exec_lo, exec_lo, s19
	s_and_saveexec_b32 s17, s0
	s_cbranch_execnz .LBB328_434
	s_branch .LBB328_435
.LBB328_454:
	s_mov_b32 s16, -1
                                        ; implicit-def: $vgpr2
.LBB328_455:
	s_mov_b32 s17, 0
.LBB328_456:
	s_delay_alu instid0(SALU_CYCLE_1)
	s_and_b32 vcc_lo, exec_lo, s17
	s_cbranch_vccz .LBB328_460
; %bb.457:
	v_cmp_eq_u16_e32 vcc_lo, 11, v5
	s_cbranch_vccz .LBB328_459
; %bb.458:
	global_load_u8 v2, v[0:1], off
	s_mov_b32 s16, 0
	s_mov_b32 s0, -1
	s_waitcnt vmcnt(0)
	v_cmp_ne_u16_e32 vcc_lo, 0, v2
	v_cndmask_b32_e64 v2, 0, 1.0, vcc_lo
	s_branch .LBB328_460
.LBB328_459:
	s_mov_b32 s16, -1
                                        ; implicit-def: $vgpr2
.LBB328_460:
	s_branch .LBB328_262
.LBB328_461:
	v_cmp_gt_i16_e32 vcc_lo, 5, v5
	s_cbranch_vccnz .LBB328_466
; %bb.462:
	v_cmp_gt_i16_e32 vcc_lo, 8, v5
	s_cbranch_vccnz .LBB328_467
; %bb.463:
	;; [unrolled: 3-line block ×3, first 2 shown]
	v_cmp_lt_i16_e32 vcc_lo, 9, v5
	s_cbranch_vccz .LBB328_469
; %bb.465:
	global_load_b64 v[2:3], v[0:1], off
	s_mov_b32 s0, 0
	s_waitcnt vmcnt(0)
	v_cvt_f32_f64_e32 v2, v[2:3]
	s_branch .LBB328_470
.LBB328_466:
	s_mov_b32 s0, -1
                                        ; implicit-def: $vgpr2
	s_branch .LBB328_488
.LBB328_467:
	s_mov_b32 s0, -1
                                        ; implicit-def: $vgpr2
	s_branch .LBB328_476
.LBB328_468:
	s_mov_b32 s0, -1
                                        ; implicit-def: $vgpr2
	s_branch .LBB328_473
.LBB328_469:
	s_mov_b32 s0, -1
                                        ; implicit-def: $vgpr2
.LBB328_470:
	s_delay_alu instid0(SALU_CYCLE_1)
	s_and_not1_b32 vcc_lo, exec_lo, s0
	s_cbranch_vccnz .LBB328_472
; %bb.471:
	global_load_b32 v2, v[0:1], off
.LBB328_472:
	s_mov_b32 s0, 0
.LBB328_473:
	s_delay_alu instid0(SALU_CYCLE_1)
	s_and_not1_b32 vcc_lo, exec_lo, s0
	s_cbranch_vccnz .LBB328_475
; %bb.474:
	global_load_b32 v2, v[0:1], off
	s_waitcnt vmcnt(0)
	v_cvt_f32_f16_e32 v2, v2
.LBB328_475:
	s_mov_b32 s0, 0
.LBB328_476:
	s_delay_alu instid0(SALU_CYCLE_1)
	s_and_not1_b32 vcc_lo, exec_lo, s0
	s_cbranch_vccnz .LBB328_487
; %bb.477:
	v_cmp_gt_i16_e32 vcc_lo, 6, v5
	s_cbranch_vccnz .LBB328_480
; %bb.478:
	v_cmp_lt_i16_e32 vcc_lo, 6, v5
	s_cbranch_vccz .LBB328_481
; %bb.479:
	global_load_b64 v[2:3], v[0:1], off
	s_mov_b32 s0, 0
	s_waitcnt vmcnt(0)
	v_cvt_f32_f64_e32 v2, v[2:3]
	s_branch .LBB328_482
.LBB328_480:
	s_mov_b32 s0, -1
                                        ; implicit-def: $vgpr2
	s_branch .LBB328_485
.LBB328_481:
	s_mov_b32 s0, -1
                                        ; implicit-def: $vgpr2
.LBB328_482:
	s_delay_alu instid0(SALU_CYCLE_1)
	s_and_not1_b32 vcc_lo, exec_lo, s0
	s_cbranch_vccnz .LBB328_484
; %bb.483:
	global_load_b32 v2, v[0:1], off
.LBB328_484:
	s_mov_b32 s0, 0
.LBB328_485:
	s_delay_alu instid0(SALU_CYCLE_1)
	s_and_not1_b32 vcc_lo, exec_lo, s0
	s_cbranch_vccnz .LBB328_487
; %bb.486:
	global_load_u16 v2, v[0:1], off
	s_waitcnt vmcnt(0)
	v_cvt_f32_f16_e32 v2, v2
.LBB328_487:
	s_mov_b32 s0, 0
.LBB328_488:
	s_delay_alu instid0(SALU_CYCLE_1)
	s_and_not1_b32 vcc_lo, exec_lo, s0
	s_cbranch_vccnz .LBB328_508
; %bb.489:
	v_cmp_gt_i16_e32 vcc_lo, 2, v5
	s_cbranch_vccnz .LBB328_493
; %bb.490:
	v_cmp_gt_i16_e32 vcc_lo, 3, v5
	s_cbranch_vccnz .LBB328_494
; %bb.491:
	v_cmp_lt_i16_e32 vcc_lo, 3, v5
	s_cbranch_vccz .LBB328_495
; %bb.492:
	global_load_b64 v[2:3], v[0:1], off
	s_mov_b32 s0, 0
	s_waitcnt vmcnt(0)
	v_xor_b32_e32 v6, v2, v3
	v_cls_i32_e32 v7, v3
	s_delay_alu instid0(VALU_DEP_2) | instskip(NEXT) | instid1(VALU_DEP_2)
	v_ashrrev_i32_e32 v6, 31, v6
	v_add_nc_u32_e32 v7, -1, v7
	s_delay_alu instid0(VALU_DEP_2) | instskip(NEXT) | instid1(VALU_DEP_1)
	v_add_nc_u32_e32 v6, 32, v6
	v_min_u32_e32 v6, v7, v6
	s_delay_alu instid0(VALU_DEP_1) | instskip(NEXT) | instid1(VALU_DEP_1)
	v_lshlrev_b64 v[2:3], v6, v[2:3]
	v_min_u32_e32 v2, 1, v2
	s_delay_alu instid0(VALU_DEP_1) | instskip(SKIP_1) | instid1(VALU_DEP_2)
	v_or_b32_e32 v2, v3, v2
	v_sub_nc_u32_e32 v3, 32, v6
	v_cvt_f32_i32_e32 v2, v2
	s_delay_alu instid0(VALU_DEP_1)
	v_ldexp_f32 v2, v2, v3
	s_branch .LBB328_496
.LBB328_493:
	s_mov_b32 s0, -1
                                        ; implicit-def: $vgpr2
	s_branch .LBB328_502
.LBB328_494:
	s_mov_b32 s0, -1
                                        ; implicit-def: $vgpr2
	s_branch .LBB328_499
.LBB328_495:
	s_mov_b32 s0, -1
                                        ; implicit-def: $vgpr2
.LBB328_496:
	s_delay_alu instid0(SALU_CYCLE_1)
	s_and_not1_b32 vcc_lo, exec_lo, s0
	s_cbranch_vccnz .LBB328_498
; %bb.497:
	global_load_b32 v2, v[0:1], off
	s_waitcnt vmcnt(0)
	v_cvt_f32_i32_e32 v2, v2
.LBB328_498:
	s_mov_b32 s0, 0
.LBB328_499:
	s_delay_alu instid0(SALU_CYCLE_1)
	s_and_not1_b32 vcc_lo, exec_lo, s0
	s_cbranch_vccnz .LBB328_501
; %bb.500:
	global_load_i16 v2, v[0:1], off
	s_waitcnt vmcnt(0)
	v_cvt_f32_i32_e32 v2, v2
.LBB328_501:
	s_mov_b32 s0, 0
.LBB328_502:
	s_delay_alu instid0(SALU_CYCLE_1)
	s_and_not1_b32 vcc_lo, exec_lo, s0
	s_cbranch_vccnz .LBB328_508
; %bb.503:
	v_cmp_lt_i16_e32 vcc_lo, 0, v5
	s_mov_b32 s0, 0
	s_cbranch_vccz .LBB328_505
; %bb.504:
	global_load_i8 v2, v[0:1], off
	s_waitcnt vmcnt(0)
	v_cvt_f32_i32_e32 v2, v2
	s_branch .LBB328_506
.LBB328_505:
	s_mov_b32 s0, -1
                                        ; implicit-def: $vgpr2
.LBB328_506:
	s_delay_alu instid0(SALU_CYCLE_1)
	s_and_not1_b32 vcc_lo, exec_lo, s0
	s_cbranch_vccnz .LBB328_508
; %bb.507:
	global_load_u8 v0, v[0:1], off
	s_waitcnt vmcnt(0)
	v_cvt_f32_ubyte0_e32 v2, v0
.LBB328_508:
	s_branch .LBB328_263
.LBB328_509:
	s_mov_b32 s19, 0
	s_mov_b32 s0, s12
.LBB328_510:
                                        ; implicit-def: $vgpr4
.LBB328_511:
	s_and_not1_b32 s17, s12, exec_lo
	s_and_b32 s0, s0, exec_lo
	s_and_not1_b32 s20, s14, exec_lo
	s_and_b32 s16, s16, exec_lo
	s_or_b32 s17, s17, s0
	s_or_b32 s16, s20, s16
	s_or_not1_b32 s20, s19, exec_lo
.LBB328_512:
	s_or_b32 exec_lo, exec_lo, s18
	s_mov_b32 s19, 0
	s_mov_b32 s21, 0
	;; [unrolled: 1-line block ×3, first 2 shown]
                                        ; implicit-def: $vgpr0_vgpr1
                                        ; implicit-def: $vgpr3
	s_and_saveexec_b32 s18, s20
	s_cbranch_execz .LBB328_859
; %bb.513:
	s_mov_b32 s0, -1
	s_mov_b32 s20, s16
	s_mov_b32 s21, s17
	s_mov_b32 s19, exec_lo
	v_cmpx_gt_i32_e64 s13, v4
	s_cbranch_execz .LBB328_773
; %bb.514:
	v_mul_lo_u32 v0, v4, s9
	v_cmp_gt_i16_e32 vcc_lo, 11, v5
	s_delay_alu instid0(VALU_DEP_2) | instskip(SKIP_1) | instid1(VALU_DEP_1)
	v_ashrrev_i32_e32 v1, 31, v0
	v_add_co_u32 v0, s0, s6, v0
	v_add_co_ci_u32_e64 v1, s0, s7, v1, s0
	s_cbranch_vccnz .LBB328_521
; %bb.515:
	v_cmp_lt_i16_e32 vcc_lo, 25, v5
	s_cbranch_vccz .LBB328_522
; %bb.516:
	v_cmp_lt_i16_e32 vcc_lo, 28, v5
	s_cbranch_vccz .LBB328_523
	;; [unrolled: 3-line block ×4, first 2 shown]
; %bb.519:
	v_cmp_eq_u16_e32 vcc_lo, 46, v5
	s_mov_b32 s21, 0
	s_cbranch_vccz .LBB328_530
; %bb.520:
	global_load_b32 v2, v[0:1], off
	s_mov_b32 s0, -1
	s_mov_b32 s20, 0
	s_waitcnt vmcnt(0)
	v_lshlrev_b32_e32 v2, 16, v2
	s_branch .LBB328_532
.LBB328_521:
	s_mov_b32 s21, -1
	s_mov_b32 s0, 0
	s_mov_b32 s20, s16
                                        ; implicit-def: $vgpr2
	s_branch .LBB328_597
.LBB328_522:
	s_mov_b32 s21, -1
	s_mov_b32 s0, 0
	s_mov_b32 s20, s16
                                        ; implicit-def: $vgpr2
	s_branch .LBB328_561
.LBB328_523:
	s_mov_b32 s21, -1
	s_mov_b32 s0, 0
	s_mov_b32 s20, s16
                                        ; implicit-def: $vgpr2
	s_branch .LBB328_542
.LBB328_524:
	s_mov_b32 s21, -1
	s_mov_b32 s0, 0
	s_mov_b32 s20, s16
                                        ; implicit-def: $vgpr2
	s_branch .LBB328_537
.LBB328_525:
	s_or_saveexec_b32 s20, s20
                                        ; implicit-def: $sgpr21
	s_delay_alu instid0(SALU_CYCLE_1)
	s_xor_b32 exec_lo, exec_lo, s20
	s_cbranch_execz .LBB328_309
.LBB328_526:
	v_add_f32_e64 v3, 0x46000000, |v2|
	s_and_not1_b32 s19, s19, exec_lo
	s_mov_b32 s21, 0
	s_delay_alu instid0(VALU_DEP_1) | instskip(NEXT) | instid1(VALU_DEP_1)
	v_and_b32_e32 v3, 0xff, v3
	v_cmp_ne_u32_e32 vcc_lo, 0, v3
	s_and_b32 s22, vcc_lo, exec_lo
	s_delay_alu instid0(SALU_CYCLE_1)
	s_or_b32 s19, s19, s22
	s_or_b32 exec_lo, exec_lo, s20
	v_mov_b32_e32 v7, s21
	s_and_saveexec_b32 s20, s19
	s_cbranch_execnz .LBB328_310
	s_branch .LBB328_311
.LBB328_527:
	s_mov_b32 s21, -1
	s_mov_b32 s0, 0
	s_mov_b32 s20, s16
	s_branch .LBB328_531
.LBB328_528:
	s_or_saveexec_b32 s20, s20
                                        ; implicit-def: $sgpr21
	s_delay_alu instid0(SALU_CYCLE_1)
	s_xor_b32 exec_lo, exec_lo, s20
	s_cbranch_execz .LBB328_322
.LBB328_529:
	v_add_f32_e64 v3, 0x42800000, |v2|
	s_and_not1_b32 s19, s19, exec_lo
	s_mov_b32 s21, 0
	s_delay_alu instid0(VALU_DEP_1) | instskip(NEXT) | instid1(VALU_DEP_1)
	v_and_b32_e32 v3, 0xff, v3
	v_cmp_ne_u32_e32 vcc_lo, 0, v3
	s_and_b32 s22, vcc_lo, exec_lo
	s_delay_alu instid0(SALU_CYCLE_1)
	s_or_b32 s19, s19, s22
	s_or_b32 exec_lo, exec_lo, s20
	v_mov_b32_e32 v7, s21
	s_and_saveexec_b32 s20, s19
	s_cbranch_execnz .LBB328_323
	s_branch .LBB328_324
.LBB328_530:
	s_mov_b32 s20, -1
	s_mov_b32 s0, 0
.LBB328_531:
                                        ; implicit-def: $vgpr2
.LBB328_532:
	s_and_b32 vcc_lo, exec_lo, s21
	s_cbranch_vccz .LBB328_536
; %bb.533:
	v_cmp_eq_u16_e32 vcc_lo, 44, v5
	s_cbranch_vccz .LBB328_535
; %bb.534:
	global_load_u8 v2, v[0:1], off
	s_mov_b32 s20, 0
	s_mov_b32 s0, -1
	s_waitcnt vmcnt(0)
	v_lshlrev_b32_e32 v3, 23, v2
	v_cmp_ne_u32_e32 vcc_lo, 0xff, v2
	s_delay_alu instid0(VALU_DEP_2) | instskip(SKIP_1) | instid1(VALU_DEP_2)
	v_cndmask_b32_e32 v3, 0x7f800001, v3, vcc_lo
	v_cmp_ne_u32_e32 vcc_lo, 0, v2
	v_cndmask_b32_e32 v2, 0x400000, v3, vcc_lo
	s_branch .LBB328_536
.LBB328_535:
	s_mov_b32 s20, -1
                                        ; implicit-def: $vgpr2
.LBB328_536:
	s_mov_b32 s21, 0
.LBB328_537:
	s_delay_alu instid0(SALU_CYCLE_1)
	s_and_b32 vcc_lo, exec_lo, s21
	s_cbranch_vccz .LBB328_541
; %bb.538:
	v_cmp_eq_u16_e32 vcc_lo, 29, v5
	s_cbranch_vccz .LBB328_540
; %bb.539:
	global_load_b64 v[2:3], v[0:1], off
	s_mov_b32 s0, -1
	s_mov_b32 s20, 0
	s_mov_b32 s21, 0
	s_waitcnt vmcnt(0)
	v_clz_i32_u32_e32 v6, v3
	s_delay_alu instid0(VALU_DEP_1) | instskip(NEXT) | instid1(VALU_DEP_1)
	v_min_u32_e32 v6, 32, v6
	v_lshlrev_b64 v[2:3], v6, v[2:3]
	s_delay_alu instid0(VALU_DEP_1) | instskip(NEXT) | instid1(VALU_DEP_1)
	v_min_u32_e32 v2, 1, v2
	v_or_b32_e32 v2, v3, v2
	v_sub_nc_u32_e32 v3, 32, v6
	s_delay_alu instid0(VALU_DEP_2) | instskip(NEXT) | instid1(VALU_DEP_1)
	v_cvt_f32_u32_e32 v2, v2
	v_ldexp_f32 v2, v2, v3
	s_branch .LBB328_542
.LBB328_540:
	s_mov_b32 s20, -1
                                        ; implicit-def: $vgpr2
.LBB328_541:
	s_mov_b32 s21, 0
.LBB328_542:
	s_delay_alu instid0(SALU_CYCLE_1)
	s_and_b32 vcc_lo, exec_lo, s21
	s_cbranch_vccz .LBB328_560
; %bb.543:
	v_cmp_gt_i16_e32 vcc_lo, 27, v5
	s_cbranch_vccnz .LBB328_546
; %bb.544:
	v_cmp_lt_i16_e32 vcc_lo, 27, v5
	s_cbranch_vccz .LBB328_547
; %bb.545:
	global_load_b32 v2, v[0:1], off
	s_mov_b32 s0, 0
	s_waitcnt vmcnt(0)
	v_cvt_f32_u32_e32 v2, v2
	s_branch .LBB328_548
.LBB328_546:
	s_mov_b32 s0, -1
                                        ; implicit-def: $vgpr2
	s_branch .LBB328_551
.LBB328_547:
	s_mov_b32 s0, -1
                                        ; implicit-def: $vgpr2
.LBB328_548:
	s_delay_alu instid0(SALU_CYCLE_1)
	s_and_not1_b32 vcc_lo, exec_lo, s0
	s_cbranch_vccnz .LBB328_550
; %bb.549:
	global_load_u16 v2, v[0:1], off
	s_waitcnt vmcnt(0)
	v_cvt_f32_u32_e32 v2, v2
.LBB328_550:
	s_mov_b32 s0, 0
.LBB328_551:
	s_delay_alu instid0(SALU_CYCLE_1)
	s_and_not1_b32 vcc_lo, exec_lo, s0
	s_cbranch_vccnz .LBB328_559
; %bb.552:
	global_load_u8 v3, v[0:1], off
	s_mov_b32 s0, 0
	s_mov_b32 s22, exec_lo
                                        ; implicit-def: $sgpr21
	s_waitcnt vmcnt(0)
	v_cmpx_lt_i16_e32 0x7f, v3
	s_xor_b32 s22, exec_lo, s22
	s_cbranch_execz .LBB328_573
; %bb.553:
	s_mov_b32 s0, -1
	s_mov_b32 s23, exec_lo
                                        ; implicit-def: $sgpr21
	v_cmpx_eq_u16_e32 0x80, v3
; %bb.554:
	s_mov_b32 s21, 0x7f800001
	s_xor_b32 s0, exec_lo, -1
; %bb.555:
	s_or_b32 exec_lo, exec_lo, s23
	s_delay_alu instid0(SALU_CYCLE_1)
	s_and_b32 s0, s0, exec_lo
	s_or_saveexec_b32 s22, s22
	v_mov_b32_e32 v2, s21
	s_xor_b32 exec_lo, exec_lo, s22
	s_cbranch_execnz .LBB328_574
.LBB328_556:
	s_or_b32 exec_lo, exec_lo, s22
	s_and_saveexec_b32 s21, s0
	s_cbranch_execz .LBB328_558
.LBB328_557:
	v_and_b32_e32 v2, 0xffff, v3
	s_delay_alu instid0(VALU_DEP_1) | instskip(NEXT) | instid1(VALU_DEP_1)
	v_and_b32_e32 v6, 7, v2
	v_clz_i32_u32_e32 v7, v6
	s_delay_alu instid0(VALU_DEP_1) | instskip(NEXT) | instid1(VALU_DEP_1)
	v_min_u32_e32 v7, 32, v7
	v_subrev_nc_u32_e32 v8, 28, v7
	v_sub_nc_u32_e32 v7, 29, v7
	s_delay_alu instid0(VALU_DEP_2) | instskip(SKIP_1) | instid1(VALU_DEP_2)
	v_lshlrev_b32_e32 v8, v8, v2
	v_bfe_u32 v2, v2, 3, 4
	v_and_b32_e32 v8, 7, v8
	s_delay_alu instid0(VALU_DEP_2) | instskip(NEXT) | instid1(VALU_DEP_2)
	v_cmp_eq_u32_e32 vcc_lo, 0, v2
	v_dual_cndmask_b32 v6, v6, v8 :: v_dual_lshlrev_b32 v3, 24, v3
	v_cndmask_b32_e32 v2, v2, v7, vcc_lo
	s_delay_alu instid0(VALU_DEP_2) | instskip(NEXT) | instid1(VALU_DEP_3)
	v_and_b32_e32 v3, 0x80000000, v3
	v_lshlrev_b32_e32 v6, 20, v6
	s_delay_alu instid0(VALU_DEP_3) | instskip(NEXT) | instid1(VALU_DEP_1)
	v_lshl_add_u32 v2, v2, 23, 0x3b800000
	v_or3_b32 v2, v3, v2, v6
.LBB328_558:
	s_or_b32 exec_lo, exec_lo, s21
.LBB328_559:
	s_mov_b32 s0, -1
.LBB328_560:
	s_mov_b32 s21, 0
.LBB328_561:
	s_delay_alu instid0(SALU_CYCLE_1)
	s_and_b32 vcc_lo, exec_lo, s21
	s_cbranch_vccz .LBB328_596
; %bb.562:
	v_cmp_lt_i16_e32 vcc_lo, 22, v5
	s_cbranch_vccz .LBB328_572
; %bb.563:
	v_cmp_gt_i16_e32 vcc_lo, 24, v5
	s_cbranch_vccnz .LBB328_575
; %bb.564:
	v_cmp_lt_i16_e32 vcc_lo, 24, v5
	s_cbranch_vccz .LBB328_576
; %bb.565:
	global_load_u8 v3, v[0:1], off
	s_mov_b32 s0, 0
	s_mov_b32 s22, exec_lo
                                        ; implicit-def: $sgpr21
	s_waitcnt vmcnt(0)
	v_cmpx_lt_i16_e32 0x7f, v3
	s_xor_b32 s22, exec_lo, s22
	s_cbranch_execz .LBB328_588
; %bb.566:
	s_mov_b32 s0, -1
	s_mov_b32 s23, exec_lo
                                        ; implicit-def: $sgpr21
	v_cmpx_eq_u16_e32 0x80, v3
; %bb.567:
	s_mov_b32 s21, 0x7f800001
	s_xor_b32 s0, exec_lo, -1
; %bb.568:
	s_or_b32 exec_lo, exec_lo, s23
	s_delay_alu instid0(SALU_CYCLE_1)
	s_and_b32 s0, s0, exec_lo
	s_or_saveexec_b32 s22, s22
	v_mov_b32_e32 v2, s21
	s_xor_b32 exec_lo, exec_lo, s22
	s_cbranch_execnz .LBB328_589
.LBB328_569:
	s_or_b32 exec_lo, exec_lo, s22
	s_and_saveexec_b32 s21, s0
	s_cbranch_execz .LBB328_571
.LBB328_570:
	v_and_b32_e32 v2, 0xffff, v3
	s_delay_alu instid0(VALU_DEP_1) | instskip(NEXT) | instid1(VALU_DEP_1)
	v_and_b32_e32 v6, 3, v2
	v_clz_i32_u32_e32 v7, v6
	s_delay_alu instid0(VALU_DEP_1) | instskip(NEXT) | instid1(VALU_DEP_1)
	v_min_u32_e32 v7, 32, v7
	v_subrev_nc_u32_e32 v8, 29, v7
	v_sub_nc_u32_e32 v7, 30, v7
	s_delay_alu instid0(VALU_DEP_2) | instskip(SKIP_1) | instid1(VALU_DEP_2)
	v_lshlrev_b32_e32 v8, v8, v2
	v_bfe_u32 v2, v2, 2, 5
	v_and_b32_e32 v8, 3, v8
	s_delay_alu instid0(VALU_DEP_2) | instskip(NEXT) | instid1(VALU_DEP_2)
	v_cmp_eq_u32_e32 vcc_lo, 0, v2
	v_dual_cndmask_b32 v6, v6, v8 :: v_dual_lshlrev_b32 v3, 24, v3
	v_cndmask_b32_e32 v2, v2, v7, vcc_lo
	s_delay_alu instid0(VALU_DEP_2) | instskip(NEXT) | instid1(VALU_DEP_3)
	v_and_b32_e32 v3, 0x80000000, v3
	v_lshlrev_b32_e32 v6, 21, v6
	s_delay_alu instid0(VALU_DEP_3) | instskip(NEXT) | instid1(VALU_DEP_1)
	v_lshl_add_u32 v2, v2, 23, 0x37800000
	v_or3_b32 v2, v3, v2, v6
.LBB328_571:
	s_or_b32 exec_lo, exec_lo, s21
	s_mov_b32 s0, 0
	s_branch .LBB328_577
.LBB328_572:
	s_mov_b32 s21, -1
                                        ; implicit-def: $vgpr2
	s_branch .LBB328_583
.LBB328_573:
	s_or_saveexec_b32 s22, s22
	v_mov_b32_e32 v2, s21
	s_xor_b32 exec_lo, exec_lo, s22
	s_cbranch_execz .LBB328_556
.LBB328_574:
	v_cmp_ne_u16_e32 vcc_lo, 0, v3
	v_mov_b32_e32 v2, 0
	s_and_not1_b32 s0, s0, exec_lo
	s_and_b32 s21, vcc_lo, exec_lo
	s_delay_alu instid0(SALU_CYCLE_1)
	s_or_b32 s0, s0, s21
	s_or_b32 exec_lo, exec_lo, s22
	s_and_saveexec_b32 s21, s0
	s_cbranch_execnz .LBB328_557
	s_branch .LBB328_558
.LBB328_575:
	s_mov_b32 s0, -1
                                        ; implicit-def: $vgpr2
	s_branch .LBB328_580
.LBB328_576:
	s_mov_b32 s0, -1
                                        ; implicit-def: $vgpr2
.LBB328_577:
	s_delay_alu instid0(SALU_CYCLE_1)
	s_and_b32 vcc_lo, exec_lo, s0
	s_cbranch_vccz .LBB328_579
; %bb.578:
	global_load_u8 v2, v[0:1], off
	s_waitcnt vmcnt(0)
	v_lshlrev_b32_e32 v2, 24, v2
	s_delay_alu instid0(VALU_DEP_1) | instskip(NEXT) | instid1(VALU_DEP_1)
	v_and_b32_e32 v3, 0x7f000000, v2
	v_clz_i32_u32_e32 v6, v3
	v_cmp_ne_u32_e32 vcc_lo, 0, v3
	v_add_nc_u32_e32 v8, 0x1000000, v3
	s_delay_alu instid0(VALU_DEP_3) | instskip(NEXT) | instid1(VALU_DEP_1)
	v_min_u32_e32 v6, 32, v6
	v_sub_nc_u32_e64 v6, v6, 4 clamp
	s_delay_alu instid0(VALU_DEP_1) | instskip(SKIP_1) | instid1(VALU_DEP_2)
	v_lshlrev_b32_e32 v7, v6, v3
	v_lshlrev_b32_e32 v6, 23, v6
	v_lshrrev_b32_e32 v7, 4, v7
	s_delay_alu instid0(VALU_DEP_1) | instskip(SKIP_1) | instid1(VALU_DEP_2)
	v_sub_nc_u32_e32 v6, v7, v6
	v_ashrrev_i32_e32 v7, 8, v8
	v_add_nc_u32_e32 v6, 0x3c000000, v6
	s_delay_alu instid0(VALU_DEP_1) | instskip(NEXT) | instid1(VALU_DEP_1)
	v_and_or_b32 v6, 0x7f800000, v7, v6
	v_cndmask_b32_e32 v3, 0, v6, vcc_lo
	s_delay_alu instid0(VALU_DEP_1)
	v_and_or_b32 v2, 0x80000000, v2, v3
.LBB328_579:
	s_mov_b32 s0, 0
.LBB328_580:
	s_delay_alu instid0(SALU_CYCLE_1)
	s_and_not1_b32 vcc_lo, exec_lo, s0
	s_cbranch_vccnz .LBB328_582
; %bb.581:
	global_load_u8 v2, v[0:1], off
	s_waitcnt vmcnt(0)
	v_lshlrev_b32_e32 v3, 25, v2
	v_lshlrev_b16 v2, 8, v2
	s_delay_alu instid0(VALU_DEP_2) | instskip(NEXT) | instid1(VALU_DEP_2)
	v_lshrrev_b32_e32 v6, 4, v3
	v_and_or_b32 v7, 0x7f00, v2, 0.5
	v_cmp_gt_u32_e32 vcc_lo, 0x8000000, v3
	v_bfe_i32 v2, v2, 0, 16
	s_delay_alu instid0(VALU_DEP_4) | instskip(NEXT) | instid1(VALU_DEP_1)
	v_or_b32_e32 v6, 0x70000000, v6
	v_dual_add_f32 v7, -0.5, v7 :: v_dual_mul_f32 v6, 0x7800000, v6
	s_delay_alu instid0(VALU_DEP_1) | instskip(NEXT) | instid1(VALU_DEP_1)
	v_cndmask_b32_e32 v3, v6, v7, vcc_lo
	v_and_or_b32 v2, 0x80000000, v2, v3
.LBB328_582:
	s_mov_b32 s21, 0
	s_mov_b32 s0, -1
.LBB328_583:
	s_and_not1_b32 vcc_lo, exec_lo, s21
	s_cbranch_vccnz .LBB328_596
; %bb.584:
	v_cmp_lt_i16_e32 vcc_lo, 14, v5
	s_cbranch_vccz .LBB328_587
; %bb.585:
	v_cmp_eq_u16_e32 vcc_lo, 15, v5
	s_cbranch_vccz .LBB328_590
; %bb.586:
	global_load_u16 v2, v[0:1], off
	s_mov_b32 s0, -1
	s_mov_b32 s20, 0
	s_waitcnt vmcnt(0)
	v_lshlrev_b32_e32 v2, 16, v2
	s_branch .LBB328_591
.LBB328_587:
	s_mov_b32 s21, -1
                                        ; implicit-def: $vgpr2
	s_branch .LBB328_592
.LBB328_588:
	s_or_saveexec_b32 s22, s22
	v_mov_b32_e32 v2, s21
	s_xor_b32 exec_lo, exec_lo, s22
	s_cbranch_execz .LBB328_569
.LBB328_589:
	v_cmp_ne_u16_e32 vcc_lo, 0, v3
	v_mov_b32_e32 v2, 0
	s_and_not1_b32 s0, s0, exec_lo
	s_and_b32 s21, vcc_lo, exec_lo
	s_delay_alu instid0(SALU_CYCLE_1)
	s_or_b32 s0, s0, s21
	s_or_b32 exec_lo, exec_lo, s22
	s_and_saveexec_b32 s21, s0
	s_cbranch_execnz .LBB328_570
	s_branch .LBB328_571
.LBB328_590:
	s_mov_b32 s20, -1
                                        ; implicit-def: $vgpr2
.LBB328_591:
	s_mov_b32 s21, 0
.LBB328_592:
	s_delay_alu instid0(SALU_CYCLE_1)
	s_and_b32 vcc_lo, exec_lo, s21
	s_cbranch_vccz .LBB328_596
; %bb.593:
	v_cmp_eq_u16_e32 vcc_lo, 11, v5
	s_cbranch_vccz .LBB328_595
; %bb.594:
	global_load_u8 v2, v[0:1], off
	s_mov_b32 s20, 0
	s_mov_b32 s0, -1
	s_waitcnt vmcnt(0)
	v_cmp_ne_u16_e32 vcc_lo, 0, v2
	v_cndmask_b32_e64 v2, 0, 1.0, vcc_lo
	s_branch .LBB328_596
.LBB328_595:
	s_mov_b32 s20, -1
                                        ; implicit-def: $vgpr2
.LBB328_596:
	s_mov_b32 s21, 0
.LBB328_597:
	s_delay_alu instid0(SALU_CYCLE_1)
	s_and_b32 vcc_lo, exec_lo, s21
	s_cbranch_vccz .LBB328_646
; %bb.598:
	v_cmp_gt_i16_e32 vcc_lo, 5, v5
	s_cbranch_vccnz .LBB328_603
; %bb.599:
	v_cmp_gt_i16_e32 vcc_lo, 8, v5
	s_cbranch_vccnz .LBB328_604
	;; [unrolled: 3-line block ×3, first 2 shown]
; %bb.601:
	v_cmp_lt_i16_e32 vcc_lo, 9, v5
	s_cbranch_vccz .LBB328_606
; %bb.602:
	global_load_b64 v[2:3], v[0:1], off
	s_mov_b32 s0, 0
	s_waitcnt vmcnt(0)
	v_cvt_f32_f64_e32 v2, v[2:3]
	s_branch .LBB328_607
.LBB328_603:
	s_mov_b32 s0, -1
                                        ; implicit-def: $vgpr2
	s_branch .LBB328_625
.LBB328_604:
	s_mov_b32 s0, -1
                                        ; implicit-def: $vgpr2
	s_branch .LBB328_613
.LBB328_605:
	s_mov_b32 s0, -1
                                        ; implicit-def: $vgpr2
	s_branch .LBB328_610
.LBB328_606:
	s_mov_b32 s0, -1
                                        ; implicit-def: $vgpr2
.LBB328_607:
	s_delay_alu instid0(SALU_CYCLE_1)
	s_and_not1_b32 vcc_lo, exec_lo, s0
	s_cbranch_vccnz .LBB328_609
; %bb.608:
	global_load_b32 v2, v[0:1], off
.LBB328_609:
	s_mov_b32 s0, 0
.LBB328_610:
	s_delay_alu instid0(SALU_CYCLE_1)
	s_and_not1_b32 vcc_lo, exec_lo, s0
	s_cbranch_vccnz .LBB328_612
; %bb.611:
	global_load_b32 v2, v[0:1], off
	s_waitcnt vmcnt(0)
	v_cvt_f32_f16_e32 v2, v2
.LBB328_612:
	s_mov_b32 s0, 0
.LBB328_613:
	s_delay_alu instid0(SALU_CYCLE_1)
	s_and_not1_b32 vcc_lo, exec_lo, s0
	s_cbranch_vccnz .LBB328_624
; %bb.614:
	v_cmp_gt_i16_e32 vcc_lo, 6, v5
	s_cbranch_vccnz .LBB328_617
; %bb.615:
	v_cmp_lt_i16_e32 vcc_lo, 6, v5
	s_cbranch_vccz .LBB328_618
; %bb.616:
	global_load_b64 v[2:3], v[0:1], off
	s_mov_b32 s0, 0
	s_waitcnt vmcnt(0)
	v_cvt_f32_f64_e32 v2, v[2:3]
	s_branch .LBB328_619
.LBB328_617:
	s_mov_b32 s0, -1
                                        ; implicit-def: $vgpr2
	s_branch .LBB328_622
.LBB328_618:
	s_mov_b32 s0, -1
                                        ; implicit-def: $vgpr2
.LBB328_619:
	s_delay_alu instid0(SALU_CYCLE_1)
	s_and_not1_b32 vcc_lo, exec_lo, s0
	s_cbranch_vccnz .LBB328_621
; %bb.620:
	global_load_b32 v2, v[0:1], off
.LBB328_621:
	s_mov_b32 s0, 0
.LBB328_622:
	s_delay_alu instid0(SALU_CYCLE_1)
	s_and_not1_b32 vcc_lo, exec_lo, s0
	s_cbranch_vccnz .LBB328_624
; %bb.623:
	global_load_u16 v2, v[0:1], off
	s_waitcnt vmcnt(0)
	v_cvt_f32_f16_e32 v2, v2
.LBB328_624:
	s_mov_b32 s0, 0
.LBB328_625:
	s_delay_alu instid0(SALU_CYCLE_1)
	s_and_not1_b32 vcc_lo, exec_lo, s0
	s_cbranch_vccnz .LBB328_645
; %bb.626:
	v_cmp_gt_i16_e32 vcc_lo, 2, v5
	s_cbranch_vccnz .LBB328_630
; %bb.627:
	v_cmp_gt_i16_e32 vcc_lo, 3, v5
	s_cbranch_vccnz .LBB328_631
; %bb.628:
	v_cmp_lt_i16_e32 vcc_lo, 3, v5
	s_cbranch_vccz .LBB328_632
; %bb.629:
	global_load_b64 v[2:3], v[0:1], off
	s_mov_b32 s0, 0
	s_waitcnt vmcnt(0)
	v_xor_b32_e32 v6, v2, v3
	v_cls_i32_e32 v7, v3
	s_delay_alu instid0(VALU_DEP_2) | instskip(NEXT) | instid1(VALU_DEP_2)
	v_ashrrev_i32_e32 v6, 31, v6
	v_add_nc_u32_e32 v7, -1, v7
	s_delay_alu instid0(VALU_DEP_2) | instskip(NEXT) | instid1(VALU_DEP_1)
	v_add_nc_u32_e32 v6, 32, v6
	v_min_u32_e32 v6, v7, v6
	s_delay_alu instid0(VALU_DEP_1) | instskip(NEXT) | instid1(VALU_DEP_1)
	v_lshlrev_b64 v[2:3], v6, v[2:3]
	v_min_u32_e32 v2, 1, v2
	s_delay_alu instid0(VALU_DEP_1) | instskip(SKIP_1) | instid1(VALU_DEP_2)
	v_or_b32_e32 v2, v3, v2
	v_sub_nc_u32_e32 v3, 32, v6
	v_cvt_f32_i32_e32 v2, v2
	s_delay_alu instid0(VALU_DEP_1)
	v_ldexp_f32 v2, v2, v3
	s_branch .LBB328_633
.LBB328_630:
	s_mov_b32 s0, -1
                                        ; implicit-def: $vgpr2
	s_branch .LBB328_639
.LBB328_631:
	s_mov_b32 s0, -1
                                        ; implicit-def: $vgpr2
	s_branch .LBB328_636
.LBB328_632:
	s_mov_b32 s0, -1
                                        ; implicit-def: $vgpr2
.LBB328_633:
	s_delay_alu instid0(SALU_CYCLE_1)
	s_and_not1_b32 vcc_lo, exec_lo, s0
	s_cbranch_vccnz .LBB328_635
; %bb.634:
	global_load_b32 v2, v[0:1], off
	s_waitcnt vmcnt(0)
	v_cvt_f32_i32_e32 v2, v2
.LBB328_635:
	s_mov_b32 s0, 0
.LBB328_636:
	s_delay_alu instid0(SALU_CYCLE_1)
	s_and_not1_b32 vcc_lo, exec_lo, s0
	s_cbranch_vccnz .LBB328_638
; %bb.637:
	global_load_i16 v2, v[0:1], off
	s_waitcnt vmcnt(0)
	v_cvt_f32_i32_e32 v2, v2
.LBB328_638:
	s_mov_b32 s0, 0
.LBB328_639:
	s_delay_alu instid0(SALU_CYCLE_1)
	s_and_not1_b32 vcc_lo, exec_lo, s0
	s_cbranch_vccnz .LBB328_645
; %bb.640:
	v_cmp_lt_i16_e32 vcc_lo, 0, v5
	s_mov_b32 s0, 0
	s_cbranch_vccz .LBB328_642
; %bb.641:
	global_load_i8 v2, v[0:1], off
	s_waitcnt vmcnt(0)
	v_cvt_f32_i32_e32 v2, v2
	s_branch .LBB328_643
.LBB328_642:
	s_mov_b32 s0, -1
                                        ; implicit-def: $vgpr2
.LBB328_643:
	s_delay_alu instid0(SALU_CYCLE_1)
	s_and_not1_b32 vcc_lo, exec_lo, s0
	s_cbranch_vccnz .LBB328_645
; %bb.644:
	global_load_u8 v0, v[0:1], off
	s_waitcnt vmcnt(0)
	v_cvt_f32_ubyte0_e32 v2, v0
.LBB328_645:
	s_mov_b32 s0, -1
.LBB328_646:
	s_delay_alu instid0(SALU_CYCLE_1)
	s_and_not1_b32 vcc_lo, exec_lo, s0
	s_cbranch_vccnz .LBB328_654
; %bb.647:
	v_mul_lo_u32 v7, v4, s8
	v_max_f32_e64 v0, s10, s10
	s_waitcnt vmcnt(0)
	s_delay_alu instid0(VALU_DEP_3) | instskip(SKIP_3) | instid1(VALU_DEP_3)
	v_max_f32_e32 v1, v2, v2
	v_max_f32_e64 v3, s11, s11
	v_and_b32_e64 v6, 0xff, s2
	v_cmp_u_f32_e64 s0, v2, v2
	v_maxmin_f32 v0, v1, v0, v3
	v_ashrrev_i32_e32 v1, 31, v7
	s_delay_alu instid0(VALU_DEP_4) | instskip(NEXT) | instid1(VALU_DEP_3)
	v_cmp_gt_i16_e32 vcc_lo, 11, v6
	v_cndmask_b32_e64 v2, v0, v2, s0
	v_add_co_u32 v0, s0, s4, v7
	s_delay_alu instid0(VALU_DEP_1)
	v_add_co_ci_u32_e64 v1, s0, s5, v1, s0
	s_cbranch_vccnz .LBB328_655
; %bb.648:
	v_cmp_lt_i16_e32 vcc_lo, 25, v6
	s_cbranch_vccz .LBB328_656
; %bb.649:
	v_cmp_lt_i16_e32 vcc_lo, 28, v6
	s_cbranch_vccz .LBB328_657
	;; [unrolled: 3-line block ×4, first 2 shown]
; %bb.652:
	v_cmp_eq_u16_e32 vcc_lo, 46, v6
	s_mov_b32 s22, 0
	s_mov_b32 s0, -1
	s_mov_b32 s21, 0
	s_cbranch_vccz .LBB328_660
; %bb.653:
	v_bfe_u32 v3, v2, 16, 1
	v_cmp_o_f32_e32 vcc_lo, v2, v2
	s_mov_b32 s21, -1
	s_mov_b32 s0, 0
	s_delay_alu instid0(VALU_DEP_2) | instskip(NEXT) | instid1(VALU_DEP_1)
	v_add3_u32 v3, v2, v3, 0x7fff
	v_lshrrev_b32_e32 v3, 16, v3
	s_delay_alu instid0(VALU_DEP_1)
	v_cndmask_b32_e32 v3, 0x7fc0, v3, vcc_lo
	global_store_b32 v[0:1], v3, off
	s_branch .LBB328_660
.LBB328_654:
	s_mov_b32 s22, 0
	s_mov_b32 s0, s17
	s_branch .LBB328_771
.LBB328_655:
	s_mov_b32 s22, -1
	s_mov_b32 s21, 0
	s_mov_b32 s0, s17
	s_branch .LBB328_729
.LBB328_656:
	s_mov_b32 s22, -1
	s_mov_b32 s21, 0
	s_mov_b32 s0, s17
	s_branch .LBB328_687
.LBB328_657:
	s_mov_b32 s22, -1
	s_mov_b32 s21, 0
	s_mov_b32 s0, s17
	s_branch .LBB328_670
.LBB328_658:
	s_mov_b32 s22, -1
	s_mov_b32 s21, 0
	s_mov_b32 s0, s17
	s_branch .LBB328_666
.LBB328_659:
	s_mov_b32 s22, -1
	s_mov_b32 s21, 0
	s_mov_b32 s0, s17
.LBB328_660:
	s_and_b32 vcc_lo, exec_lo, s22
	s_cbranch_vccz .LBB328_665
; %bb.661:
	v_cmp_eq_u16_e32 vcc_lo, 44, v6
	s_mov_b32 s0, -1
	s_cbranch_vccz .LBB328_665
; %bb.662:
	v_bfe_u32 v7, v2, 23, 8
	v_mov_b32_e32 v3, 0xff
	s_mov_b32 s21, exec_lo
	s_delay_alu instid0(VALU_DEP_2)
	v_cmpx_ne_u32_e32 0xff, v7
; %bb.663:
	v_and_b32_e32 v3, 0x400000, v2
	v_and_or_b32 v7, 0x3fffff, v2, v7
	s_delay_alu instid0(VALU_DEP_2) | instskip(NEXT) | instid1(VALU_DEP_2)
	v_cmp_ne_u32_e32 vcc_lo, 0, v3
	v_cmp_ne_u32_e64 s0, 0, v7
	v_lshrrev_b32_e32 v3, 23, v2
	s_delay_alu instid0(VALU_DEP_2) | instskip(NEXT) | instid1(SALU_CYCLE_1)
	s_and_b32 s0, vcc_lo, s0
	v_cndmask_b32_e64 v7, 0, 1, s0
	s_delay_alu instid0(VALU_DEP_1)
	v_add_nc_u32_e32 v3, v3, v7
; %bb.664:
	s_or_b32 exec_lo, exec_lo, s21
	s_mov_b32 s21, -1
	s_mov_b32 s0, 0
	global_store_b8 v[0:1], v3, off
.LBB328_665:
	s_mov_b32 s22, 0
.LBB328_666:
	s_delay_alu instid0(SALU_CYCLE_1)
	s_and_b32 vcc_lo, exec_lo, s22
	s_cbranch_vccz .LBB328_669
; %bb.667:
	v_cmp_eq_u16_e32 vcc_lo, 29, v6
	s_mov_b32 s0, -1
	s_cbranch_vccz .LBB328_669
; %bb.668:
	v_trunc_f32_e32 v3, v2
	s_mov_b32 s21, -1
	s_mov_b32 s0, 0
	s_mov_b32 s22, 0
	s_delay_alu instid0(VALU_DEP_1) | instskip(NEXT) | instid1(VALU_DEP_1)
	v_mul_f32_e32 v7, 0x2f800000, v3
	v_floor_f32_e32 v7, v7
	s_delay_alu instid0(VALU_DEP_1) | instskip(SKIP_1) | instid1(VALU_DEP_2)
	v_fmamk_f32 v3, v7, 0xcf800000, v3
	v_cvt_u32_f32_e32 v8, v7
	v_cvt_u32_f32_e32 v7, v3
	global_store_b64 v[0:1], v[7:8], off
	s_branch .LBB328_670
.LBB328_669:
	s_mov_b32 s22, 0
.LBB328_670:
	s_delay_alu instid0(SALU_CYCLE_1)
	s_and_b32 vcc_lo, exec_lo, s22
	s_cbranch_vccz .LBB328_686
; %bb.671:
	v_cmp_gt_i16_e32 vcc_lo, 27, v6
	s_mov_b32 s21, -1
	s_cbranch_vccnz .LBB328_677
; %bb.672:
	v_cmp_lt_i16_e32 vcc_lo, 27, v6
	s_cbranch_vccz .LBB328_674
; %bb.673:
	v_cvt_u32_f32_e32 v3, v2
	s_mov_b32 s21, 0
	global_store_b32 v[0:1], v3, off
.LBB328_674:
	s_and_not1_b32 vcc_lo, exec_lo, s21
	s_cbranch_vccnz .LBB328_676
; %bb.675:
	v_cvt_u32_f32_e32 v3, v2
	global_store_b16 v[0:1], v3, off
.LBB328_676:
	s_mov_b32 s21, 0
.LBB328_677:
	s_delay_alu instid0(SALU_CYCLE_1)
	s_and_not1_b32 vcc_lo, exec_lo, s21
	s_cbranch_vccnz .LBB328_685
; %bb.678:
	v_and_b32_e32 v3, 0x7fffffff, v2
	v_mov_b32_e32 v7, 0x80
	s_mov_b32 s21, exec_lo
	s_delay_alu instid0(VALU_DEP_2)
	v_cmpx_gt_u32_e32 0x43800000, v3
	s_cbranch_execz .LBB328_684
; %bb.679:
	v_cmp_lt_u32_e32 vcc_lo, 0x3bffffff, v3
	s_mov_b32 s22, 0
                                        ; implicit-def: $vgpr3
	s_and_saveexec_b32 s23, vcc_lo
	s_delay_alu instid0(SALU_CYCLE_1)
	s_xor_b32 s23, exec_lo, s23
	s_cbranch_execz .LBB328_786
; %bb.680:
	v_bfe_u32 v3, v2, 20, 1
	s_mov_b32 s22, exec_lo
	s_delay_alu instid0(VALU_DEP_1) | instskip(NEXT) | instid1(VALU_DEP_1)
	v_add3_u32 v3, v2, v3, 0x487ffff
	v_lshrrev_b32_e32 v3, 20, v3
	s_or_saveexec_b32 s23, s23
                                        ; implicit-def: $sgpr24
	s_delay_alu instid0(SALU_CYCLE_1)
	s_xor_b32 exec_lo, exec_lo, s23
	s_cbranch_execnz .LBB328_787
.LBB328_681:
	s_or_b32 exec_lo, exec_lo, s23
	v_mov_b32_e32 v7, s24
	s_and_saveexec_b32 s23, s22
.LBB328_682:
	v_lshrrev_b32_e32 v7, 24, v2
	s_delay_alu instid0(VALU_DEP_1)
	v_and_or_b32 v7, 0x80, v7, v3
.LBB328_683:
	s_or_b32 exec_lo, exec_lo, s23
.LBB328_684:
	s_delay_alu instid0(SALU_CYCLE_1)
	s_or_b32 exec_lo, exec_lo, s21
	global_store_b8 v[0:1], v7, off
.LBB328_685:
	s_mov_b32 s21, -1
.LBB328_686:
	s_mov_b32 s22, 0
.LBB328_687:
	s_delay_alu instid0(SALU_CYCLE_1)
	s_and_b32 vcc_lo, exec_lo, s22
	s_cbranch_vccz .LBB328_728
; %bb.688:
	v_cmp_lt_i16_e32 vcc_lo, 22, v6
	s_mov_b32 s22, -1
	s_cbranch_vccz .LBB328_720
; %bb.689:
	v_cmp_gt_i16_e32 vcc_lo, 24, v6
	s_mov_b32 s21, -1
	s_cbranch_vccnz .LBB328_709
; %bb.690:
	v_cmp_lt_i16_e32 vcc_lo, 24, v6
	s_cbranch_vccz .LBB328_698
; %bb.691:
	v_and_b32_e32 v3, 0x7fffffff, v2
	v_mov_b32_e32 v7, 0x80
	s_mov_b32 s21, exec_lo
	s_delay_alu instid0(VALU_DEP_2)
	v_cmpx_gt_u32_e32 0x47800000, v3
	s_cbranch_execz .LBB328_697
; %bb.692:
	v_cmp_lt_u32_e32 vcc_lo, 0x37ffffff, v3
	s_mov_b32 s22, 0
                                        ; implicit-def: $vgpr3
	s_and_saveexec_b32 s23, vcc_lo
	s_delay_alu instid0(SALU_CYCLE_1)
	s_xor_b32 s23, exec_lo, s23
	s_cbranch_execz .LBB328_789
; %bb.693:
	v_bfe_u32 v3, v2, 21, 1
	s_mov_b32 s22, exec_lo
	s_delay_alu instid0(VALU_DEP_1) | instskip(NEXT) | instid1(VALU_DEP_1)
	v_add3_u32 v3, v2, v3, 0x88fffff
	v_lshrrev_b32_e32 v3, 21, v3
	s_or_saveexec_b32 s23, s23
                                        ; implicit-def: $sgpr24
	s_delay_alu instid0(SALU_CYCLE_1)
	s_xor_b32 exec_lo, exec_lo, s23
	s_cbranch_execnz .LBB328_790
.LBB328_694:
	s_or_b32 exec_lo, exec_lo, s23
	v_mov_b32_e32 v7, s24
	s_and_saveexec_b32 s23, s22
.LBB328_695:
	v_lshrrev_b32_e32 v7, 24, v2
	s_delay_alu instid0(VALU_DEP_1)
	v_and_or_b32 v7, 0x80, v7, v3
.LBB328_696:
	s_or_b32 exec_lo, exec_lo, s23
.LBB328_697:
	s_delay_alu instid0(SALU_CYCLE_1)
	s_or_b32 exec_lo, exec_lo, s21
	s_mov_b32 s21, 0
	global_store_b8 v[0:1], v7, off
.LBB328_698:
	s_and_b32 vcc_lo, exec_lo, s21
	s_cbranch_vccz .LBB328_708
; %bb.699:
	v_and_b32_e32 v7, 0x7fffffff, v2
	s_mov_b32 s21, exec_lo
                                        ; implicit-def: $vgpr3
	s_delay_alu instid0(VALU_DEP_1)
	v_cmpx_gt_u32_e32 0x43f00000, v7
	s_xor_b32 s21, exec_lo, s21
	s_cbranch_execz .LBB328_705
; %bb.700:
	s_mov_b32 s22, exec_lo
                                        ; implicit-def: $vgpr3
	v_cmpx_lt_u32_e32 0x3c7fffff, v7
	s_xor_b32 s22, exec_lo, s22
; %bb.701:
	v_bfe_u32 v3, v2, 20, 1
	s_delay_alu instid0(VALU_DEP_1) | instskip(NEXT) | instid1(VALU_DEP_1)
	v_add3_u32 v3, v2, v3, 0x407ffff
	v_and_b32_e32 v7, 0xff00000, v3
	v_lshrrev_b32_e32 v3, 20, v3
	s_delay_alu instid0(VALU_DEP_2) | instskip(NEXT) | instid1(VALU_DEP_2)
	v_cmp_ne_u32_e32 vcc_lo, 0x7f00000, v7
	v_cndmask_b32_e32 v3, 0x7e, v3, vcc_lo
; %bb.702:
	s_and_not1_saveexec_b32 s22, s22
; %bb.703:
	v_add_f32_e64 v3, 0x46800000, |v2|
; %bb.704:
	s_or_b32 exec_lo, exec_lo, s22
                                        ; implicit-def: $vgpr7
.LBB328_705:
	s_and_not1_saveexec_b32 s21, s21
; %bb.706:
	v_mov_b32_e32 v3, 0x7f
	v_cmp_lt_u32_e32 vcc_lo, 0x7f800000, v7
	s_delay_alu instid0(VALU_DEP_2)
	v_cndmask_b32_e32 v3, 0x7e, v3, vcc_lo
; %bb.707:
	s_or_b32 exec_lo, exec_lo, s21
	v_lshrrev_b32_e32 v7, 24, v2
	s_delay_alu instid0(VALU_DEP_1)
	v_and_or_b32 v3, 0x80, v7, v3
	global_store_b8 v[0:1], v3, off
.LBB328_708:
	s_mov_b32 s21, 0
.LBB328_709:
	s_delay_alu instid0(SALU_CYCLE_1)
	s_and_not1_b32 vcc_lo, exec_lo, s21
	s_cbranch_vccnz .LBB328_719
; %bb.710:
	v_and_b32_e32 v7, 0x7fffffff, v2
	s_mov_b32 s21, exec_lo
                                        ; implicit-def: $vgpr3
	s_delay_alu instid0(VALU_DEP_1)
	v_cmpx_gt_u32_e32 0x47800000, v7
	s_xor_b32 s21, exec_lo, s21
	s_cbranch_execz .LBB328_716
; %bb.711:
	s_mov_b32 s22, exec_lo
                                        ; implicit-def: $vgpr3
	v_cmpx_lt_u32_e32 0x387fffff, v7
	s_xor_b32 s22, exec_lo, s22
; %bb.712:
	v_bfe_u32 v3, v2, 21, 1
	s_delay_alu instid0(VALU_DEP_1) | instskip(NEXT) | instid1(VALU_DEP_1)
	v_add3_u32 v3, v2, v3, 0x80fffff
	v_lshrrev_b32_e32 v3, 21, v3
; %bb.713:
	s_and_not1_saveexec_b32 s22, s22
; %bb.714:
	v_add_f32_e64 v3, 0x43000000, |v2|
; %bb.715:
	s_or_b32 exec_lo, exec_lo, s22
                                        ; implicit-def: $vgpr7
.LBB328_716:
	s_and_not1_saveexec_b32 s21, s21
; %bb.717:
	v_mov_b32_e32 v3, 0x7f
	v_cmp_lt_u32_e32 vcc_lo, 0x7f800000, v7
	s_delay_alu instid0(VALU_DEP_2)
	v_cndmask_b32_e32 v3, 0x7c, v3, vcc_lo
; %bb.718:
	s_or_b32 exec_lo, exec_lo, s21
	v_lshrrev_b32_e32 v7, 24, v2
	s_delay_alu instid0(VALU_DEP_1)
	v_and_or_b32 v3, 0x80, v7, v3
	global_store_b8 v[0:1], v3, off
.LBB328_719:
	s_mov_b32 s22, 0
	s_mov_b32 s21, -1
.LBB328_720:
	s_and_not1_b32 vcc_lo, exec_lo, s22
	s_cbranch_vccnz .LBB328_728
; %bb.721:
	v_cmp_lt_i16_e32 vcc_lo, 14, v6
	s_mov_b32 s22, -1
	s_cbranch_vccz .LBB328_725
; %bb.722:
	v_cmp_eq_u16_e32 vcc_lo, 15, v6
	s_mov_b32 s0, -1
	s_cbranch_vccz .LBB328_724
; %bb.723:
	v_bfe_u32 v3, v2, 16, 1
	v_cmp_o_f32_e32 vcc_lo, v2, v2
	s_mov_b32 s21, -1
	s_mov_b32 s0, 0
	s_delay_alu instid0(VALU_DEP_2) | instskip(NEXT) | instid1(VALU_DEP_1)
	v_add3_u32 v3, v2, v3, 0x7fff
	v_lshrrev_b32_e32 v3, 16, v3
	s_delay_alu instid0(VALU_DEP_1)
	v_cndmask_b32_e32 v3, 0x7fc0, v3, vcc_lo
	global_store_b16 v[0:1], v3, off
.LBB328_724:
	s_mov_b32 s22, 0
.LBB328_725:
	s_delay_alu instid0(SALU_CYCLE_1)
	s_and_b32 vcc_lo, exec_lo, s22
	s_cbranch_vccz .LBB328_728
; %bb.726:
	v_cmp_eq_u16_e32 vcc_lo, 11, v6
	s_mov_b32 s0, -1
	s_cbranch_vccz .LBB328_728
; %bb.727:
	v_cmp_neq_f32_e32 vcc_lo, 0, v2
	s_mov_b32 s0, 0
	s_mov_b32 s21, -1
	v_cndmask_b32_e64 v3, 0, 1, vcc_lo
	global_store_b8 v[0:1], v3, off
.LBB328_728:
	s_mov_b32 s22, 0
.LBB328_729:
	s_delay_alu instid0(SALU_CYCLE_1)
	s_and_b32 vcc_lo, exec_lo, s22
	s_cbranch_vccz .LBB328_768
; %bb.730:
	v_cmp_gt_i16_e32 vcc_lo, 5, v6
	s_mov_b32 s21, -1
	s_cbranch_vccnz .LBB328_751
; %bb.731:
	v_cmp_gt_i16_e32 vcc_lo, 8, v6
	s_cbranch_vccnz .LBB328_741
; %bb.732:
	v_cmp_gt_i16_e32 vcc_lo, 9, v6
	s_cbranch_vccnz .LBB328_738
; %bb.733:
	v_cmp_lt_i16_e32 vcc_lo, 9, v6
	s_cbranch_vccz .LBB328_735
; %bb.734:
	v_cvt_f64_f32_e32 v[7:8], v2
	v_mov_b32_e32 v9, 0
	s_mov_b32 s21, 0
	s_delay_alu instid0(VALU_DEP_1)
	v_mov_b32_e32 v10, v9
	global_store_b128 v[0:1], v[7:10], off
.LBB328_735:
	s_and_not1_b32 vcc_lo, exec_lo, s21
	s_cbranch_vccnz .LBB328_737
; %bb.736:
	v_mov_b32_e32 v3, 0
	global_store_b64 v[0:1], v[2:3], off
.LBB328_737:
	s_mov_b32 s21, 0
.LBB328_738:
	s_delay_alu instid0(SALU_CYCLE_1)
	s_and_not1_b32 vcc_lo, exec_lo, s21
	s_cbranch_vccnz .LBB328_740
; %bb.739:
	v_cvt_f16_f32_e32 v3, v2
	s_delay_alu instid0(VALU_DEP_1)
	v_and_b32_e32 v3, 0xffff, v3
	global_store_b32 v[0:1], v3, off
.LBB328_740:
	s_mov_b32 s21, 0
.LBB328_741:
	s_delay_alu instid0(SALU_CYCLE_1)
	s_and_not1_b32 vcc_lo, exec_lo, s21
	s_cbranch_vccnz .LBB328_750
; %bb.742:
	v_cmp_gt_i16_e32 vcc_lo, 6, v6
	s_mov_b32 s21, -1
	s_cbranch_vccnz .LBB328_748
; %bb.743:
	v_cmp_lt_i16_e32 vcc_lo, 6, v6
	s_cbranch_vccz .LBB328_745
; %bb.744:
	v_cvt_f64_f32_e32 v[7:8], v2
	s_mov_b32 s21, 0
	global_store_b64 v[0:1], v[7:8], off
.LBB328_745:
	s_and_not1_b32 vcc_lo, exec_lo, s21
	s_cbranch_vccnz .LBB328_747
; %bb.746:
	global_store_b32 v[0:1], v2, off
.LBB328_747:
	s_mov_b32 s21, 0
.LBB328_748:
	s_delay_alu instid0(SALU_CYCLE_1)
	s_and_not1_b32 vcc_lo, exec_lo, s21
	s_cbranch_vccnz .LBB328_750
; %bb.749:
	v_cvt_f16_f32_e32 v3, v2
	global_store_b16 v[0:1], v3, off
.LBB328_750:
	s_mov_b32 s21, 0
.LBB328_751:
	s_delay_alu instid0(SALU_CYCLE_1)
	s_and_not1_b32 vcc_lo, exec_lo, s21
	s_cbranch_vccnz .LBB328_767
; %bb.752:
	v_cmp_gt_i16_e32 vcc_lo, 2, v6
	s_mov_b32 s21, -1
	s_cbranch_vccnz .LBB328_762
; %bb.753:
	v_cmp_gt_i16_e32 vcc_lo, 3, v6
	s_cbranch_vccnz .LBB328_759
; %bb.754:
	v_cmp_lt_i16_e32 vcc_lo, 3, v6
	s_cbranch_vccz .LBB328_756
; %bb.755:
	v_trunc_f32_e32 v3, v2
	s_mov_b32 s21, 0
	s_delay_alu instid0(VALU_DEP_1) | instskip(NEXT) | instid1(VALU_DEP_1)
	v_mul_f32_e64 v7, 0x2f800000, |v3|
	v_floor_f32_e32 v7, v7
	s_delay_alu instid0(VALU_DEP_1) | instskip(SKIP_2) | instid1(VALU_DEP_3)
	v_fma_f32 v8, 0xcf800000, v7, |v3|
	v_ashrrev_i32_e32 v3, 31, v3
	v_cvt_u32_f32_e32 v7, v7
	v_cvt_u32_f32_e32 v8, v8
	s_delay_alu instid0(VALU_DEP_2) | instskip(NEXT) | instid1(VALU_DEP_2)
	v_xor_b32_e32 v9, v7, v3
	v_xor_b32_e32 v8, v8, v3
	s_delay_alu instid0(VALU_DEP_1) | instskip(NEXT) | instid1(VALU_DEP_3)
	v_sub_co_u32 v7, vcc_lo, v8, v3
	v_sub_co_ci_u32_e32 v8, vcc_lo, v9, v3, vcc_lo
	global_store_b64 v[0:1], v[7:8], off
.LBB328_756:
	s_and_not1_b32 vcc_lo, exec_lo, s21
	s_cbranch_vccnz .LBB328_758
; %bb.757:
	v_cvt_i32_f32_e32 v3, v2
	global_store_b32 v[0:1], v3, off
.LBB328_758:
	s_mov_b32 s21, 0
.LBB328_759:
	s_delay_alu instid0(SALU_CYCLE_1)
	s_and_not1_b32 vcc_lo, exec_lo, s21
	s_cbranch_vccnz .LBB328_761
; %bb.760:
	v_cvt_i32_f32_e32 v3, v2
	global_store_b16 v[0:1], v3, off
.LBB328_761:
	s_mov_b32 s21, 0
.LBB328_762:
	s_delay_alu instid0(SALU_CYCLE_1)
	s_and_not1_b32 vcc_lo, exec_lo, s21
	s_cbranch_vccnz .LBB328_767
; %bb.763:
	v_cmp_lt_i16_e32 vcc_lo, 0, v6
	s_mov_b32 s21, -1
	s_cbranch_vccz .LBB328_765
; %bb.764:
	v_cvt_i32_f32_e32 v3, v2
	s_mov_b32 s21, 0
	global_store_b8 v[0:1], v3, off
.LBB328_765:
	s_and_not1_b32 vcc_lo, exec_lo, s21
	s_cbranch_vccnz .LBB328_767
; %bb.766:
	v_trunc_f32_e32 v2, v2
	s_delay_alu instid0(VALU_DEP_1) | instskip(NEXT) | instid1(VALU_DEP_1)
	v_mul_f32_e64 v3, 0x2f800000, |v2|
	v_floor_f32_e32 v3, v3
	s_delay_alu instid0(VALU_DEP_1) | instskip(SKIP_1) | instid1(VALU_DEP_2)
	v_fma_f32 v3, 0xcf800000, v3, |v2|
	v_ashrrev_i32_e32 v2, 31, v2
	v_cvt_u32_f32_e32 v3, v3
	s_delay_alu instid0(VALU_DEP_1) | instskip(NEXT) | instid1(VALU_DEP_1)
	v_xor_b32_e32 v3, v3, v2
	v_sub_nc_u32_e32 v2, v3, v2
	global_store_b8 v[0:1], v2, off
.LBB328_767:
	s_mov_b32 s21, -1
.LBB328_768:
	s_delay_alu instid0(SALU_CYCLE_1)
	s_and_not1_b32 vcc_lo, exec_lo, s21
	s_cbranch_vccnz .LBB328_770
; %bb.769:
	v_add_nc_u32_e32 v4, 0x80, v4
	s_mov_b32 s22, -1
	s_branch .LBB328_772
.LBB328_770:
	s_mov_b32 s22, 0
.LBB328_771:
                                        ; implicit-def: $vgpr4
.LBB328_772:
	s_and_not1_b32 s21, s17, exec_lo
	s_and_b32 s0, s0, exec_lo
	s_and_not1_b32 s23, s16, exec_lo
	s_and_b32 s20, s20, exec_lo
	s_or_b32 s21, s21, s0
	s_or_b32 s20, s23, s20
	s_or_not1_b32 s0, s22, exec_lo
.LBB328_773:
	s_or_b32 exec_lo, exec_lo, s19
	s_mov_b32 s22, 0
	s_mov_b32 s23, 0
	;; [unrolled: 1-line block ×3, first 2 shown]
                                        ; implicit-def: $vgpr0_vgpr1
                                        ; implicit-def: $vgpr3
	s_and_saveexec_b32 s19, s0
	s_cbranch_execz .LBB328_858
; %bb.774:
	v_cmp_gt_i32_e32 vcc_lo, s13, v4
	s_mov_b32 s0, 0
	s_mov_b32 s22, s20
                                        ; implicit-def: $vgpr0_vgpr1
                                        ; implicit-def: $vgpr3
	s_and_saveexec_b32 s13, vcc_lo
	s_cbranch_execz .LBB328_857
; %bb.775:
	v_mul_lo_u32 v0, v4, s9
	v_cmp_gt_i16_e32 vcc_lo, 11, v5
	s_delay_alu instid0(VALU_DEP_2) | instskip(SKIP_1) | instid1(VALU_DEP_1)
	v_ashrrev_i32_e32 v1, 31, v0
	v_add_co_u32 v0, s0, s6, v0
	v_add_co_ci_u32_e64 v1, s0, s7, v1, s0
	s_cbranch_vccnz .LBB328_782
; %bb.776:
	v_cmp_lt_i16_e32 vcc_lo, 25, v5
	s_mov_b32 s22, 0
	s_cbranch_vccz .LBB328_783
; %bb.777:
	v_cmp_lt_i16_e32 vcc_lo, 28, v5
	s_cbranch_vccz .LBB328_784
; %bb.778:
	v_cmp_lt_i16_e32 vcc_lo, 43, v5
	;; [unrolled: 3-line block ×3, first 2 shown]
	s_cbranch_vccz .LBB328_788
; %bb.780:
	v_cmp_eq_u16_e32 vcc_lo, 46, v5
	s_cbranch_vccz .LBB328_791
; %bb.781:
	global_load_b32 v2, v[0:1], off
	s_mov_b32 s0, 0
	s_mov_b32 s23, -1
	s_waitcnt vmcnt(0)
	v_lshlrev_b32_e32 v3, 16, v2
	s_branch .LBB328_793
.LBB328_782:
	s_mov_b32 s25, -1
	s_mov_b32 s22, 0
	s_mov_b32 s0, s20
                                        ; implicit-def: $vgpr3
	s_branch .LBB328_856
.LBB328_783:
	s_mov_b32 s24, -1
	s_mov_b32 s0, s20
                                        ; implicit-def: $vgpr3
	s_branch .LBB328_822
.LBB328_784:
	s_mov_b32 s24, -1
	s_mov_b32 s0, s20
                                        ; implicit-def: $vgpr3
	s_branch .LBB328_803
.LBB328_785:
	s_mov_b32 s24, -1
	s_mov_b32 s0, s20
                                        ; implicit-def: $vgpr3
	s_branch .LBB328_798
.LBB328_786:
	s_or_saveexec_b32 s23, s23
                                        ; implicit-def: $sgpr24
	s_delay_alu instid0(SALU_CYCLE_1)
	s_xor_b32 exec_lo, exec_lo, s23
	s_cbranch_execz .LBB328_681
.LBB328_787:
	v_add_f32_e64 v3, 0x46000000, |v2|
	s_and_not1_b32 s22, s22, exec_lo
	s_mov_b32 s24, 0
	s_delay_alu instid0(VALU_DEP_1) | instskip(NEXT) | instid1(VALU_DEP_1)
	v_and_b32_e32 v3, 0xff, v3
	v_cmp_ne_u32_e32 vcc_lo, 0, v3
	s_and_b32 s25, vcc_lo, exec_lo
	s_delay_alu instid0(SALU_CYCLE_1)
	s_or_b32 s22, s22, s25
	s_or_b32 exec_lo, exec_lo, s23
	v_mov_b32_e32 v7, s24
	s_and_saveexec_b32 s23, s22
	s_cbranch_execnz .LBB328_682
	s_branch .LBB328_683
.LBB328_788:
	s_mov_b32 s24, -1
	s_mov_b32 s0, s20
	s_branch .LBB328_792
.LBB328_789:
	s_or_saveexec_b32 s23, s23
                                        ; implicit-def: $sgpr24
	s_delay_alu instid0(SALU_CYCLE_1)
	s_xor_b32 exec_lo, exec_lo, s23
	s_cbranch_execz .LBB328_694
.LBB328_790:
	v_add_f32_e64 v3, 0x42800000, |v2|
	s_and_not1_b32 s22, s22, exec_lo
	s_mov_b32 s24, 0
	s_delay_alu instid0(VALU_DEP_1) | instskip(NEXT) | instid1(VALU_DEP_1)
	v_and_b32_e32 v3, 0xff, v3
	v_cmp_ne_u32_e32 vcc_lo, 0, v3
	s_and_b32 s25, vcc_lo, exec_lo
	s_delay_alu instid0(SALU_CYCLE_1)
	s_or_b32 s22, s22, s25
	s_or_b32 exec_lo, exec_lo, s23
	v_mov_b32_e32 v7, s24
	s_and_saveexec_b32 s23, s22
	s_cbranch_execnz .LBB328_695
	s_branch .LBB328_696
.LBB328_791:
	s_mov_b32 s0, -1
.LBB328_792:
                                        ; implicit-def: $vgpr3
.LBB328_793:
	s_and_b32 vcc_lo, exec_lo, s24
	s_cbranch_vccz .LBB328_797
; %bb.794:
	v_cmp_eq_u16_e32 vcc_lo, 44, v5
	s_cbranch_vccz .LBB328_796
; %bb.795:
	global_load_u8 v2, v[0:1], off
	s_mov_b32 s0, 0
	s_mov_b32 s23, -1
	s_waitcnt vmcnt(0)
	v_lshlrev_b32_e32 v3, 23, v2
	v_cmp_ne_u32_e32 vcc_lo, 0xff, v2
	s_delay_alu instid0(VALU_DEP_2) | instskip(SKIP_1) | instid1(VALU_DEP_2)
	v_cndmask_b32_e32 v3, 0x7f800001, v3, vcc_lo
	v_cmp_ne_u32_e32 vcc_lo, 0, v2
	v_cndmask_b32_e32 v3, 0x400000, v3, vcc_lo
	s_branch .LBB328_797
.LBB328_796:
	s_mov_b32 s0, -1
                                        ; implicit-def: $vgpr3
.LBB328_797:
	s_mov_b32 s24, 0
.LBB328_798:
	s_delay_alu instid0(SALU_CYCLE_1)
	s_and_b32 vcc_lo, exec_lo, s24
	s_cbranch_vccz .LBB328_802
; %bb.799:
	v_cmp_eq_u16_e32 vcc_lo, 29, v5
	s_cbranch_vccz .LBB328_801
; %bb.800:
	global_load_b64 v[2:3], v[0:1], off
	s_mov_b32 s0, 0
	s_mov_b32 s23, -1
	s_mov_b32 s24, 0
	s_waitcnt vmcnt(0)
	v_clz_i32_u32_e32 v6, v3
	s_delay_alu instid0(VALU_DEP_1) | instskip(NEXT) | instid1(VALU_DEP_1)
	v_min_u32_e32 v6, 32, v6
	v_lshlrev_b64 v[2:3], v6, v[2:3]
	s_delay_alu instid0(VALU_DEP_1) | instskip(NEXT) | instid1(VALU_DEP_1)
	v_min_u32_e32 v2, 1, v2
	v_or_b32_e32 v2, v3, v2
	v_sub_nc_u32_e32 v3, 32, v6
	s_delay_alu instid0(VALU_DEP_2) | instskip(NEXT) | instid1(VALU_DEP_1)
	v_cvt_f32_u32_e32 v2, v2
	v_ldexp_f32 v3, v2, v3
	s_branch .LBB328_803
.LBB328_801:
	s_mov_b32 s0, -1
                                        ; implicit-def: $vgpr3
.LBB328_802:
	s_mov_b32 s24, 0
.LBB328_803:
	s_delay_alu instid0(SALU_CYCLE_1)
	s_and_b32 vcc_lo, exec_lo, s24
	s_cbranch_vccz .LBB328_821
; %bb.804:
	v_cmp_gt_i16_e32 vcc_lo, 27, v5
	s_cbranch_vccnz .LBB328_807
; %bb.805:
	v_cmp_lt_i16_e32 vcc_lo, 27, v5
	s_cbranch_vccz .LBB328_808
; %bb.806:
	global_load_b32 v2, v[0:1], off
	s_mov_b32 s23, 0
	s_waitcnt vmcnt(0)
	v_cvt_f32_u32_e32 v3, v2
	s_branch .LBB328_809
.LBB328_807:
	s_mov_b32 s23, -1
                                        ; implicit-def: $vgpr3
	s_branch .LBB328_812
.LBB328_808:
	s_mov_b32 s23, -1
                                        ; implicit-def: $vgpr3
.LBB328_809:
	s_delay_alu instid0(SALU_CYCLE_1)
	s_and_not1_b32 vcc_lo, exec_lo, s23
	s_cbranch_vccnz .LBB328_811
; %bb.810:
	global_load_u16 v2, v[0:1], off
	s_waitcnt vmcnt(0)
	v_cvt_f32_u32_e32 v3, v2
.LBB328_811:
	s_mov_b32 s23, 0
.LBB328_812:
	s_delay_alu instid0(SALU_CYCLE_1)
	s_and_not1_b32 vcc_lo, exec_lo, s23
	s_cbranch_vccnz .LBB328_820
; %bb.813:
	global_load_u8 v2, v[0:1], off
	s_mov_b32 s23, 0
	s_mov_b32 s25, exec_lo
                                        ; implicit-def: $sgpr24
	s_waitcnt vmcnt(0)
	v_cmpx_lt_i16_e32 0x7f, v2
	s_xor_b32 s25, exec_lo, s25
	s_cbranch_execz .LBB328_834
; %bb.814:
	s_mov_b32 s23, -1
	s_mov_b32 s26, exec_lo
                                        ; implicit-def: $sgpr24
	v_cmpx_eq_u16_e32 0x80, v2
; %bb.815:
	s_mov_b32 s24, 0x7f800001
	s_xor_b32 s23, exec_lo, -1
; %bb.816:
	s_or_b32 exec_lo, exec_lo, s26
	s_delay_alu instid0(SALU_CYCLE_1)
	s_and_b32 s23, s23, exec_lo
	s_or_saveexec_b32 s25, s25
	v_mov_b32_e32 v3, s24
	s_xor_b32 exec_lo, exec_lo, s25
	s_cbranch_execnz .LBB328_835
.LBB328_817:
	s_or_b32 exec_lo, exec_lo, s25
	s_and_saveexec_b32 s24, s23
	s_cbranch_execz .LBB328_819
.LBB328_818:
	v_and_b32_e32 v3, 0xffff, v2
	v_lshlrev_b32_e32 v2, 24, v2
	s_delay_alu instid0(VALU_DEP_2) | instskip(NEXT) | instid1(VALU_DEP_2)
	v_and_b32_e32 v6, 7, v3
	v_and_b32_e32 v2, 0x80000000, v2
	s_delay_alu instid0(VALU_DEP_2) | instskip(NEXT) | instid1(VALU_DEP_1)
	v_clz_i32_u32_e32 v7, v6
	v_min_u32_e32 v7, 32, v7
	s_delay_alu instid0(VALU_DEP_1) | instskip(SKIP_1) | instid1(VALU_DEP_2)
	v_subrev_nc_u32_e32 v8, 28, v7
	v_sub_nc_u32_e32 v7, 29, v7
	v_lshlrev_b32_e32 v8, v8, v3
	v_bfe_u32 v3, v3, 3, 4
	s_delay_alu instid0(VALU_DEP_1) | instskip(NEXT) | instid1(VALU_DEP_3)
	v_cmp_eq_u32_e32 vcc_lo, 0, v3
	v_dual_cndmask_b32 v3, v3, v7 :: v_dual_and_b32 v8, 7, v8
	s_delay_alu instid0(VALU_DEP_1) | instskip(NEXT) | instid1(VALU_DEP_2)
	v_cndmask_b32_e32 v6, v6, v8, vcc_lo
	v_lshl_add_u32 v3, v3, 23, 0x3b800000
	s_delay_alu instid0(VALU_DEP_2) | instskip(NEXT) | instid1(VALU_DEP_1)
	v_lshlrev_b32_e32 v6, 20, v6
	v_or3_b32 v3, v2, v3, v6
.LBB328_819:
	s_or_b32 exec_lo, exec_lo, s24
.LBB328_820:
	s_mov_b32 s23, -1
.LBB328_821:
	s_mov_b32 s24, 0
.LBB328_822:
	s_delay_alu instid0(SALU_CYCLE_1)
	s_and_b32 vcc_lo, exec_lo, s24
	s_cbranch_vccz .LBB328_855
; %bb.823:
	v_cmp_lt_i16_e32 vcc_lo, 22, v5
	s_cbranch_vccz .LBB328_833
; %bb.824:
	v_cmp_gt_i16_e32 vcc_lo, 24, v5
	s_cbranch_vccnz .LBB328_836
; %bb.825:
	v_cmp_lt_i16_e32 vcc_lo, 24, v5
	s_cbranch_vccz .LBB328_837
; %bb.826:
	global_load_u8 v2, v[0:1], off
	s_mov_b32 s24, exec_lo
                                        ; implicit-def: $sgpr23
	s_waitcnt vmcnt(0)
	v_cmpx_lt_i16_e32 0x7f, v2
	s_xor_b32 s24, exec_lo, s24
	s_cbranch_execz .LBB328_849
; %bb.827:
	s_mov_b32 s22, -1
	s_mov_b32 s25, exec_lo
                                        ; implicit-def: $sgpr23
	v_cmpx_eq_u16_e32 0x80, v2
; %bb.828:
	s_mov_b32 s23, 0x7f800001
	s_xor_b32 s22, exec_lo, -1
; %bb.829:
	s_or_b32 exec_lo, exec_lo, s25
	s_delay_alu instid0(SALU_CYCLE_1)
	s_and_b32 s22, s22, exec_lo
	s_or_saveexec_b32 s24, s24
	v_mov_b32_e32 v3, s23
	s_xor_b32 exec_lo, exec_lo, s24
	s_cbranch_execnz .LBB328_850
.LBB328_830:
	s_or_b32 exec_lo, exec_lo, s24
	s_and_saveexec_b32 s23, s22
	s_cbranch_execz .LBB328_832
.LBB328_831:
	v_and_b32_e32 v3, 0xffff, v2
	v_lshlrev_b32_e32 v2, 24, v2
	s_delay_alu instid0(VALU_DEP_2) | instskip(NEXT) | instid1(VALU_DEP_2)
	v_and_b32_e32 v6, 3, v3
	v_and_b32_e32 v2, 0x80000000, v2
	s_delay_alu instid0(VALU_DEP_2) | instskip(NEXT) | instid1(VALU_DEP_1)
	v_clz_i32_u32_e32 v7, v6
	v_min_u32_e32 v7, 32, v7
	s_delay_alu instid0(VALU_DEP_1) | instskip(SKIP_1) | instid1(VALU_DEP_2)
	v_subrev_nc_u32_e32 v8, 29, v7
	v_sub_nc_u32_e32 v7, 30, v7
	v_lshlrev_b32_e32 v8, v8, v3
	v_bfe_u32 v3, v3, 2, 5
	s_delay_alu instid0(VALU_DEP_1) | instskip(NEXT) | instid1(VALU_DEP_3)
	v_cmp_eq_u32_e32 vcc_lo, 0, v3
	v_dual_cndmask_b32 v3, v3, v7 :: v_dual_and_b32 v8, 3, v8
	s_delay_alu instid0(VALU_DEP_1) | instskip(NEXT) | instid1(VALU_DEP_2)
	v_cndmask_b32_e32 v6, v6, v8, vcc_lo
	v_lshl_add_u32 v3, v3, 23, 0x37800000
	s_delay_alu instid0(VALU_DEP_2) | instskip(NEXT) | instid1(VALU_DEP_1)
	v_lshlrev_b32_e32 v6, 21, v6
	v_or3_b32 v3, v2, v3, v6
.LBB328_832:
	s_or_b32 exec_lo, exec_lo, s23
	s_mov_b32 s22, 0
	s_branch .LBB328_838
.LBB328_833:
	s_mov_b32 s22, -1
                                        ; implicit-def: $vgpr3
	s_branch .LBB328_844
.LBB328_834:
	s_or_saveexec_b32 s25, s25
	v_mov_b32_e32 v3, s24
	s_xor_b32 exec_lo, exec_lo, s25
	s_cbranch_execz .LBB328_817
.LBB328_835:
	v_cmp_ne_u16_e32 vcc_lo, 0, v2
	v_mov_b32_e32 v3, 0
	s_and_not1_b32 s23, s23, exec_lo
	s_and_b32 s24, vcc_lo, exec_lo
	s_delay_alu instid0(SALU_CYCLE_1)
	s_or_b32 s23, s23, s24
	s_or_b32 exec_lo, exec_lo, s25
	s_and_saveexec_b32 s24, s23
	s_cbranch_execnz .LBB328_818
	s_branch .LBB328_819
.LBB328_836:
	s_mov_b32 s22, -1
                                        ; implicit-def: $vgpr3
	s_branch .LBB328_841
.LBB328_837:
	s_mov_b32 s22, -1
                                        ; implicit-def: $vgpr3
.LBB328_838:
	s_delay_alu instid0(SALU_CYCLE_1)
	s_and_b32 vcc_lo, exec_lo, s22
	s_cbranch_vccz .LBB328_840
; %bb.839:
	global_load_u8 v2, v[0:1], off
	s_waitcnt vmcnt(0)
	v_lshlrev_b32_e32 v2, 24, v2
	s_delay_alu instid0(VALU_DEP_1) | instskip(NEXT) | instid1(VALU_DEP_1)
	v_and_b32_e32 v3, 0x7f000000, v2
	v_clz_i32_u32_e32 v6, v3
	v_cmp_ne_u32_e32 vcc_lo, 0, v3
	v_add_nc_u32_e32 v8, 0x1000000, v3
	s_delay_alu instid0(VALU_DEP_3) | instskip(NEXT) | instid1(VALU_DEP_1)
	v_min_u32_e32 v6, 32, v6
	v_sub_nc_u32_e64 v6, v6, 4 clamp
	s_delay_alu instid0(VALU_DEP_1) | instskip(SKIP_1) | instid1(VALU_DEP_2)
	v_lshlrev_b32_e32 v7, v6, v3
	v_lshlrev_b32_e32 v6, 23, v6
	v_lshrrev_b32_e32 v7, 4, v7
	s_delay_alu instid0(VALU_DEP_1) | instskip(SKIP_1) | instid1(VALU_DEP_2)
	v_sub_nc_u32_e32 v6, v7, v6
	v_ashrrev_i32_e32 v7, 8, v8
	v_add_nc_u32_e32 v6, 0x3c000000, v6
	s_delay_alu instid0(VALU_DEP_1) | instskip(NEXT) | instid1(VALU_DEP_1)
	v_and_or_b32 v6, 0x7f800000, v7, v6
	v_cndmask_b32_e32 v3, 0, v6, vcc_lo
	s_delay_alu instid0(VALU_DEP_1)
	v_and_or_b32 v3, 0x80000000, v2, v3
.LBB328_840:
	s_mov_b32 s22, 0
.LBB328_841:
	s_delay_alu instid0(SALU_CYCLE_1)
	s_and_not1_b32 vcc_lo, exec_lo, s22
	s_cbranch_vccnz .LBB328_843
; %bb.842:
	global_load_u8 v2, v[0:1], off
	s_waitcnt vmcnt(0)
	v_lshlrev_b32_e32 v3, 25, v2
	v_lshlrev_b16 v2, 8, v2
	s_delay_alu instid0(VALU_DEP_2) | instskip(NEXT) | instid1(VALU_DEP_2)
	v_lshrrev_b32_e32 v6, 4, v3
	v_and_or_b32 v7, 0x7f00, v2, 0.5
	v_cmp_gt_u32_e32 vcc_lo, 0x8000000, v3
	v_bfe_i32 v2, v2, 0, 16
	s_delay_alu instid0(VALU_DEP_4) | instskip(NEXT) | instid1(VALU_DEP_1)
	v_or_b32_e32 v6, 0x70000000, v6
	v_dual_add_f32 v7, -0.5, v7 :: v_dual_mul_f32 v6, 0x7800000, v6
	s_delay_alu instid0(VALU_DEP_1) | instskip(NEXT) | instid1(VALU_DEP_1)
	v_cndmask_b32_e32 v3, v6, v7, vcc_lo
	v_and_or_b32 v3, 0x80000000, v2, v3
.LBB328_843:
	s_mov_b32 s22, 0
	s_mov_b32 s23, -1
.LBB328_844:
	s_and_not1_b32 vcc_lo, exec_lo, s22
	s_mov_b32 s22, 0
	s_cbranch_vccnz .LBB328_855
; %bb.845:
	v_cmp_lt_i16_e32 vcc_lo, 14, v5
	s_cbranch_vccz .LBB328_848
; %bb.846:
	v_cmp_eq_u16_e32 vcc_lo, 15, v5
	s_cbranch_vccz .LBB328_851
; %bb.847:
	global_load_u16 v2, v[0:1], off
	s_mov_b32 s0, 0
	s_mov_b32 s23, -1
	s_waitcnt vmcnt(0)
	v_lshlrev_b32_e32 v3, 16, v2
	s_branch .LBB328_853
.LBB328_848:
	s_mov_b32 s22, -1
	s_branch .LBB328_852
.LBB328_849:
	s_or_saveexec_b32 s24, s24
	v_mov_b32_e32 v3, s23
	s_xor_b32 exec_lo, exec_lo, s24
	s_cbranch_execz .LBB328_830
.LBB328_850:
	v_cmp_ne_u16_e32 vcc_lo, 0, v2
	v_mov_b32_e32 v3, 0
	s_and_not1_b32 s22, s22, exec_lo
	s_and_b32 s23, vcc_lo, exec_lo
	s_delay_alu instid0(SALU_CYCLE_1)
	s_or_b32 s22, s22, s23
	s_or_b32 exec_lo, exec_lo, s24
	s_and_saveexec_b32 s23, s22
	s_cbranch_execnz .LBB328_831
	s_branch .LBB328_832
.LBB328_851:
	s_mov_b32 s0, -1
.LBB328_852:
                                        ; implicit-def: $vgpr3
.LBB328_853:
	s_and_b32 vcc_lo, exec_lo, s22
	s_mov_b32 s22, 0
	s_cbranch_vccz .LBB328_855
; %bb.854:
	v_cmp_ne_u16_e32 vcc_lo, 11, v5
	s_and_not1_b32 s0, s0, exec_lo
	s_mov_b32 s22, -1
                                        ; implicit-def: $vgpr3
	s_and_b32 s24, vcc_lo, exec_lo
	s_delay_alu instid0(SALU_CYCLE_1)
	s_or_b32 s0, s0, s24
.LBB328_855:
	s_mov_b32 s25, 0
.LBB328_856:
	s_and_b32 s24, s23, exec_lo
	s_and_b32 s23, s25, exec_lo
	s_and_not1_b32 s25, s20, exec_lo
	s_and_b32 s26, s0, exec_lo
	s_and_b32 s0, s22, exec_lo
	s_or_b32 s22, s25, s26
.LBB328_857:
	s_or_b32 exec_lo, exec_lo, s13
	s_delay_alu instid0(SALU_CYCLE_1)
	s_and_not1_b32 s13, s20, exec_lo
	s_and_b32 s20, s22, exec_lo
	s_and_b32 s24, s24, exec_lo
	;; [unrolled: 1-line block ×4, first 2 shown]
	s_or_b32 s20, s13, s20
.LBB328_858:
	s_or_b32 exec_lo, exec_lo, s19
	s_delay_alu instid0(SALU_CYCLE_1)
	s_and_not1_b32 s0, s17, exec_lo
	s_and_b32 s13, s21, exec_lo
	s_and_b32 s21, s23, exec_lo
	s_or_b32 s17, s0, s13
	s_and_not1_b32 s13, s16, exec_lo
	s_and_b32 s16, s20, exec_lo
	s_and_b32 s0, s24, exec_lo
	s_and_b32 s19, s22, exec_lo
	s_or_b32 s16, s13, s16
.LBB328_859:
	s_or_b32 exec_lo, exec_lo, s18
	s_delay_alu instid0(SALU_CYCLE_1)
	s_and_not1_b32 s12, s12, exec_lo
	s_and_b32 s13, s17, exec_lo
	s_and_b32 s0, s0, exec_lo
	s_or_b32 s12, s12, s13
	s_and_not1_b32 s13, s14, exec_lo
	s_and_b32 s14, s16, exec_lo
	s_and_b32 s17, s21, exec_lo
	;; [unrolled: 1-line block ×3, first 2 shown]
	s_or_b32 s14, s13, s14
.LBB328_860:
	s_or_b32 exec_lo, exec_lo, s15
	s_mov_b32 s13, 0
	s_and_saveexec_b32 s15, s14
	s_cbranch_execnz .LBB328_872
; %bb.861:
	s_or_b32 exec_lo, exec_lo, s15
	s_and_saveexec_b32 s14, s16
	s_delay_alu instid0(SALU_CYCLE_1)
	s_xor_b32 s14, exec_lo, s14
	s_cbranch_execz .LBB328_863
.LBB328_862:
	global_load_u8 v2, v[0:1], off
	s_or_b32 s0, s0, exec_lo
	s_waitcnt vmcnt(0)
	v_cmp_ne_u16_e32 vcc_lo, 0, v2
	v_cndmask_b32_e64 v3, 0, 1.0, vcc_lo
.LBB328_863:
	s_or_b32 exec_lo, exec_lo, s14
	s_and_saveexec_b32 s14, s17
	s_cbranch_execz .LBB328_911
; %bb.864:
	v_cmp_gt_i16_e32 vcc_lo, 5, v5
	s_cbranch_vccnz .LBB328_869
; %bb.865:
	v_cmp_gt_i16_e32 vcc_lo, 8, v5
	s_cbranch_vccnz .LBB328_870
	;; [unrolled: 3-line block ×3, first 2 shown]
; %bb.867:
	v_cmp_lt_i16_e32 vcc_lo, 9, v5
	s_cbranch_vccz .LBB328_874
; %bb.868:
	global_load_b64 v[2:3], v[0:1], off
	s_mov_b32 s15, 0
	s_waitcnt vmcnt(0)
	v_cvt_f32_f64_e32 v3, v[2:3]
	s_branch .LBB328_875
.LBB328_869:
                                        ; implicit-def: $vgpr3
	s_branch .LBB328_892
.LBB328_870:
                                        ; implicit-def: $vgpr3
	s_branch .LBB328_881
.LBB328_871:
	s_mov_b32 s15, -1
                                        ; implicit-def: $vgpr3
	s_branch .LBB328_878
.LBB328_872:
	s_cbranch_execnz .LBB328_920
; %bb.873:
	s_mov_b32 s13, exec_lo
	s_and_not1_b32 s16, s16, exec_lo
                                        ; implicit-def: $vgpr3
	s_or_b32 exec_lo, exec_lo, s15
	s_and_saveexec_b32 s14, s16
	s_delay_alu instid0(SALU_CYCLE_1)
	s_xor_b32 s14, exec_lo, s14
	s_cbranch_execnz .LBB328_862
	s_branch .LBB328_863
.LBB328_874:
	s_mov_b32 s15, -1
                                        ; implicit-def: $vgpr3
.LBB328_875:
	s_delay_alu instid0(SALU_CYCLE_1)
	s_and_not1_b32 vcc_lo, exec_lo, s15
	s_cbranch_vccnz .LBB328_877
; %bb.876:
	global_load_b32 v3, v[0:1], off
.LBB328_877:
	s_mov_b32 s15, 0
.LBB328_878:
	s_delay_alu instid0(SALU_CYCLE_1)
	s_and_not1_b32 vcc_lo, exec_lo, s15
	s_cbranch_vccnz .LBB328_880
; %bb.879:
	global_load_b32 v2, v[0:1], off
	s_waitcnt vmcnt(0)
	v_cvt_f32_f16_e32 v3, v2
.LBB328_880:
	s_cbranch_execnz .LBB328_891
.LBB328_881:
	v_cmp_gt_i16_e32 vcc_lo, 6, v5
	s_cbranch_vccnz .LBB328_884
; %bb.882:
	v_cmp_lt_i16_e32 vcc_lo, 6, v5
	s_cbranch_vccz .LBB328_885
; %bb.883:
	global_load_b64 v[2:3], v[0:1], off
	s_mov_b32 s15, 0
	s_waitcnt vmcnt(0)
	v_cvt_f32_f64_e32 v3, v[2:3]
	s_branch .LBB328_886
.LBB328_884:
	s_mov_b32 s15, -1
                                        ; implicit-def: $vgpr3
	s_branch .LBB328_889
.LBB328_885:
	s_mov_b32 s15, -1
                                        ; implicit-def: $vgpr3
.LBB328_886:
	s_delay_alu instid0(SALU_CYCLE_1)
	s_and_not1_b32 vcc_lo, exec_lo, s15
	s_cbranch_vccnz .LBB328_888
; %bb.887:
	global_load_b32 v3, v[0:1], off
.LBB328_888:
	s_mov_b32 s15, 0
.LBB328_889:
	s_delay_alu instid0(SALU_CYCLE_1)
	s_and_not1_b32 vcc_lo, exec_lo, s15
	s_cbranch_vccnz .LBB328_891
; %bb.890:
	global_load_u16 v2, v[0:1], off
	s_waitcnt vmcnt(0)
	v_cvt_f32_f16_e32 v3, v2
.LBB328_891:
	s_cbranch_execnz .LBB328_910
.LBB328_892:
	v_cmp_gt_i16_e32 vcc_lo, 2, v5
	s_cbranch_vccnz .LBB328_896
; %bb.893:
	v_cmp_gt_i16_e32 vcc_lo, 3, v5
	s_cbranch_vccnz .LBB328_897
; %bb.894:
	v_cmp_lt_i16_e32 vcc_lo, 3, v5
	s_cbranch_vccz .LBB328_898
; %bb.895:
	global_load_b64 v[2:3], v[0:1], off
	s_mov_b32 s15, 0
	s_waitcnt vmcnt(0)
	v_xor_b32_e32 v6, v2, v3
	v_cls_i32_e32 v7, v3
	s_delay_alu instid0(VALU_DEP_2) | instskip(NEXT) | instid1(VALU_DEP_2)
	v_ashrrev_i32_e32 v6, 31, v6
	v_add_nc_u32_e32 v7, -1, v7
	s_delay_alu instid0(VALU_DEP_2) | instskip(NEXT) | instid1(VALU_DEP_1)
	v_add_nc_u32_e32 v6, 32, v6
	v_min_u32_e32 v6, v7, v6
	s_delay_alu instid0(VALU_DEP_1) | instskip(NEXT) | instid1(VALU_DEP_1)
	v_lshlrev_b64 v[2:3], v6, v[2:3]
	v_min_u32_e32 v2, 1, v2
	s_delay_alu instid0(VALU_DEP_1) | instskip(SKIP_1) | instid1(VALU_DEP_2)
	v_or_b32_e32 v2, v3, v2
	v_sub_nc_u32_e32 v3, 32, v6
	v_cvt_f32_i32_e32 v2, v2
	s_delay_alu instid0(VALU_DEP_1)
	v_ldexp_f32 v3, v2, v3
	s_branch .LBB328_899
.LBB328_896:
                                        ; implicit-def: $vgpr3
	s_branch .LBB328_905
.LBB328_897:
	s_mov_b32 s15, -1
                                        ; implicit-def: $vgpr3
	s_branch .LBB328_902
.LBB328_898:
	s_mov_b32 s15, -1
                                        ; implicit-def: $vgpr3
.LBB328_899:
	s_delay_alu instid0(SALU_CYCLE_1)
	s_and_not1_b32 vcc_lo, exec_lo, s15
	s_cbranch_vccnz .LBB328_901
; %bb.900:
	global_load_b32 v2, v[0:1], off
	s_waitcnt vmcnt(0)
	v_cvt_f32_i32_e32 v3, v2
.LBB328_901:
	s_mov_b32 s15, 0
.LBB328_902:
	s_delay_alu instid0(SALU_CYCLE_1)
	s_and_not1_b32 vcc_lo, exec_lo, s15
	s_cbranch_vccnz .LBB328_904
; %bb.903:
	global_load_i16 v2, v[0:1], off
	s_waitcnt vmcnt(0)
	v_cvt_f32_i32_e32 v3, v2
.LBB328_904:
	s_cbranch_execnz .LBB328_910
.LBB328_905:
	v_cmp_lt_i16_e32 vcc_lo, 0, v5
	s_mov_b32 s15, 0
	s_cbranch_vccz .LBB328_907
; %bb.906:
	global_load_i8 v2, v[0:1], off
	s_waitcnt vmcnt(0)
	v_cvt_f32_i32_e32 v3, v2
	s_branch .LBB328_908
.LBB328_907:
	s_mov_b32 s15, -1
                                        ; implicit-def: $vgpr3
.LBB328_908:
	s_delay_alu instid0(SALU_CYCLE_1)
	s_and_not1_b32 vcc_lo, exec_lo, s15
	s_cbranch_vccnz .LBB328_910
; %bb.909:
	global_load_u8 v0, v[0:1], off
	s_waitcnt vmcnt(0)
	v_cvt_f32_ubyte0_e32 v3, v0
.LBB328_910:
	s_or_b32 s0, s0, exec_lo
.LBB328_911:
	s_or_b32 exec_lo, exec_lo, s14
	s_mov_b32 s16, 0
	s_mov_b32 s15, 0
                                        ; implicit-def: $vgpr5
                                        ; implicit-def: $vgpr0_vgpr1
                                        ; implicit-def: $vgpr2
	s_and_saveexec_b32 s14, s0
	s_cbranch_execz .LBB328_991
; %bb.912:
	v_mul_lo_u32 v4, v4, s8
	v_max_f32_e64 v0, s10, s10
	s_waitcnt vmcnt(0)
	s_delay_alu instid0(VALU_DEP_3) | instskip(SKIP_3) | instid1(VALU_DEP_3)
	v_max_f32_e32 v1, v3, v3
	v_max_f32_e64 v2, s11, s11
	v_and_b32_e64 v5, 0xff, s2
	v_cmp_u_f32_e64 s0, v3, v3
	v_maxmin_f32 v0, v1, v0, v2
	v_ashrrev_i32_e32 v1, 31, v4
	s_delay_alu instid0(VALU_DEP_4) | instskip(NEXT) | instid1(VALU_DEP_3)
	v_cmp_gt_i16_e32 vcc_lo, 11, v5
	v_cndmask_b32_e64 v2, v0, v3, s0
	v_add_co_u32 v0, s0, s4, v4
	s_delay_alu instid0(VALU_DEP_1)
	v_add_co_ci_u32_e64 v1, s0, s5, v1, s0
	s_cbranch_vccnz .LBB328_919
; %bb.913:
	v_cmp_lt_i16_e32 vcc_lo, 25, v5
	s_mov_b32 s15, -1
	s_mov_b32 s0, s12
	s_cbranch_vccz .LBB328_949
; %bb.914:
	v_cmp_lt_i16_e32 vcc_lo, 28, v5
	s_mov_b32 s0, s12
	s_cbranch_vccz .LBB328_933
; %bb.915:
	v_cmp_lt_i16_e32 vcc_lo, 43, v5
	;; [unrolled: 4-line block ×3, first 2 shown]
	s_mov_b32 s0, s12
	s_cbranch_vccz .LBB328_923
; %bb.917:
	v_cmp_eq_u16_e32 vcc_lo, 46, v5
	s_mov_b32 s0, -1
	s_cbranch_vccz .LBB328_922
; %bb.918:
	v_bfe_u32 v3, v2, 16, 1
	v_cmp_o_f32_e32 vcc_lo, v2, v2
	s_mov_b32 s0, 0
	s_mov_b32 s15, 0
	s_delay_alu instid0(VALU_DEP_2) | instskip(NEXT) | instid1(VALU_DEP_1)
	v_add3_u32 v3, v2, v3, 0x7fff
	v_lshrrev_b32_e32 v3, 16, v3
	s_delay_alu instid0(VALU_DEP_1)
	v_cndmask_b32_e32 v3, 0x7fc0, v3, vcc_lo
	global_store_b32 v[0:1], v3, off
	s_branch .LBB328_923
.LBB328_919:
	s_mov_b32 s15, -1
	s_mov_b32 s0, s12
	s_branch .LBB328_990
.LBB328_920:
	s_trap 2
	s_sendmsg_rtn_b32 s0, sendmsg(MSG_RTN_GET_DOORBELL)
	s_mov_b32 ttmp2, m0
	s_waitcnt lgkmcnt(0)
	s_and_b32 s0, s0, 0x3ff
	s_delay_alu instid0(SALU_CYCLE_1) | instskip(NEXT) | instid1(SALU_CYCLE_1)
	s_bitset1_b32 s0, 10
	s_mov_b32 m0, s0
	s_sendmsg sendmsg(MSG_INTERRUPT)
	s_mov_b32 m0, ttmp2
.LBB328_921:                            ; =>This Inner Loop Header: Depth=1
	s_sethalt 5
	s_branch .LBB328_921
.LBB328_922:
	s_mov_b32 s15, 0
.LBB328_923:
	s_delay_alu instid0(SALU_CYCLE_1)
	s_and_b32 vcc_lo, exec_lo, s15
	s_cbranch_vccz .LBB328_928
; %bb.924:
	v_cmp_eq_u16_e32 vcc_lo, 44, v5
	s_mov_b32 s0, -1
	s_cbranch_vccz .LBB328_928
; %bb.925:
	v_bfe_u32 v4, v2, 23, 8
	v_mov_b32_e32 v3, 0xff
	s_mov_b32 s15, exec_lo
	s_delay_alu instid0(VALU_DEP_2)
	v_cmpx_ne_u32_e32 0xff, v4
; %bb.926:
	v_and_b32_e32 v3, 0x400000, v2
	v_and_or_b32 v4, 0x3fffff, v2, v4
	s_delay_alu instid0(VALU_DEP_2) | instskip(NEXT) | instid1(VALU_DEP_2)
	v_cmp_ne_u32_e32 vcc_lo, 0, v3
	v_cmp_ne_u32_e64 s0, 0, v4
	v_lshrrev_b32_e32 v3, 23, v2
	s_delay_alu instid0(VALU_DEP_2) | instskip(NEXT) | instid1(SALU_CYCLE_1)
	s_and_b32 s0, vcc_lo, s0
	v_cndmask_b32_e64 v4, 0, 1, s0
	s_delay_alu instid0(VALU_DEP_1)
	v_add_nc_u32_e32 v3, v3, v4
; %bb.927:
	s_or_b32 exec_lo, exec_lo, s15
	s_mov_b32 s0, 0
	global_store_b8 v[0:1], v3, off
.LBB328_928:
	s_mov_b32 s15, 0
.LBB328_929:
	s_delay_alu instid0(SALU_CYCLE_1)
	s_and_b32 vcc_lo, exec_lo, s15
	s_cbranch_vccz .LBB328_932
; %bb.930:
	v_cmp_eq_u16_e32 vcc_lo, 29, v5
	s_mov_b32 s0, -1
	s_cbranch_vccz .LBB328_932
; %bb.931:
	v_trunc_f32_e32 v3, v2
	s_mov_b32 s0, 0
	s_mov_b32 s15, 0
	s_delay_alu instid0(VALU_DEP_1) | instskip(NEXT) | instid1(VALU_DEP_1)
	v_mul_f32_e32 v4, 0x2f800000, v3
	v_floor_f32_e32 v4, v4
	s_delay_alu instid0(VALU_DEP_1) | instskip(SKIP_1) | instid1(VALU_DEP_2)
	v_fmamk_f32 v3, v4, 0xcf800000, v3
	v_cvt_u32_f32_e32 v4, v4
	v_cvt_u32_f32_e32 v3, v3
	global_store_b64 v[0:1], v[3:4], off
	s_branch .LBB328_933
.LBB328_932:
	s_mov_b32 s15, 0
.LBB328_933:
	s_delay_alu instid0(SALU_CYCLE_1)
	s_and_b32 vcc_lo, exec_lo, s15
	s_cbranch_vccz .LBB328_948
; %bb.934:
	v_cmp_gt_i16_e32 vcc_lo, 27, v5
	s_mov_b32 s15, -1
	s_cbranch_vccnz .LBB328_940
; %bb.935:
	v_cmp_lt_i16_e32 vcc_lo, 27, v5
	v_cvt_u32_f32_e32 v3, v2
	s_cbranch_vccz .LBB328_937
; %bb.936:
	s_mov_b32 s15, 0
	global_store_b32 v[0:1], v3, off
.LBB328_937:
	s_and_not1_b32 vcc_lo, exec_lo, s15
	s_cbranch_vccnz .LBB328_939
; %bb.938:
	global_store_b16 v[0:1], v3, off
.LBB328_939:
	s_mov_b32 s15, 0
.LBB328_940:
	s_delay_alu instid0(SALU_CYCLE_1)
	s_and_not1_b32 vcc_lo, exec_lo, s15
	s_cbranch_vccnz .LBB328_948
; %bb.941:
	v_and_b32_e32 v3, 0x7fffffff, v2
	v_mov_b32_e32 v4, 0x80
	s_mov_b32 s15, exec_lo
	s_delay_alu instid0(VALU_DEP_2)
	v_cmpx_gt_u32_e32 0x43800000, v3
	s_cbranch_execz .LBB328_947
; %bb.942:
	v_cmp_lt_u32_e32 vcc_lo, 0x3bffffff, v3
                                        ; implicit-def: $vgpr3
	s_and_saveexec_b32 s17, vcc_lo
	s_delay_alu instid0(SALU_CYCLE_1)
	s_xor_b32 s17, exec_lo, s17
	s_cbranch_execz .LBB328_1182
; %bb.943:
	v_bfe_u32 v3, v2, 20, 1
	s_mov_b32 s16, exec_lo
	s_delay_alu instid0(VALU_DEP_1) | instskip(NEXT) | instid1(VALU_DEP_1)
	v_add3_u32 v3, v2, v3, 0x487ffff
	v_lshrrev_b32_e32 v3, 20, v3
	s_or_saveexec_b32 s17, s17
                                        ; implicit-def: $sgpr18
	s_delay_alu instid0(SALU_CYCLE_1)
	s_xor_b32 exec_lo, exec_lo, s17
	s_cbranch_execnz .LBB328_1183
.LBB328_944:
	s_or_b32 exec_lo, exec_lo, s17
	v_mov_b32_e32 v4, s18
	s_and_saveexec_b32 s17, s16
.LBB328_945:
	v_lshrrev_b32_e32 v4, 24, v2
	s_delay_alu instid0(VALU_DEP_1)
	v_and_or_b32 v4, 0x80, v4, v3
.LBB328_946:
	s_or_b32 exec_lo, exec_lo, s17
.LBB328_947:
	s_delay_alu instid0(SALU_CYCLE_1)
	s_or_b32 exec_lo, exec_lo, s15
	global_store_b8 v[0:1], v4, off
.LBB328_948:
	s_mov_b32 s15, 0
.LBB328_949:
	s_delay_alu instid0(SALU_CYCLE_1)
	s_and_b32 vcc_lo, exec_lo, s15
	s_mov_b32 s15, 0
	s_cbranch_vccz .LBB328_989
; %bb.950:
	v_cmp_lt_i16_e32 vcc_lo, 22, v5
	s_mov_b32 s16, -1
	s_cbranch_vccz .LBB328_982
; %bb.951:
	v_cmp_gt_i16_e32 vcc_lo, 24, v5
	s_cbranch_vccnz .LBB328_971
; %bb.952:
	v_cmp_lt_i16_e32 vcc_lo, 24, v5
	s_cbranch_vccz .LBB328_960
; %bb.953:
	v_and_b32_e32 v3, 0x7fffffff, v2
	v_mov_b32_e32 v4, 0x80
	s_mov_b32 s16, exec_lo
	s_delay_alu instid0(VALU_DEP_2)
	v_cmpx_gt_u32_e32 0x47800000, v3
	s_cbranch_execz .LBB328_959
; %bb.954:
	v_cmp_lt_u32_e32 vcc_lo, 0x37ffffff, v3
	s_mov_b32 s17, 0
                                        ; implicit-def: $vgpr3
	s_and_saveexec_b32 s18, vcc_lo
	s_delay_alu instid0(SALU_CYCLE_1)
	s_xor_b32 s18, exec_lo, s18
	s_cbranch_execz .LBB328_1226
; %bb.955:
	v_bfe_u32 v3, v2, 21, 1
	s_mov_b32 s17, exec_lo
	s_delay_alu instid0(VALU_DEP_1) | instskip(NEXT) | instid1(VALU_DEP_1)
	v_add3_u32 v3, v2, v3, 0x88fffff
	v_lshrrev_b32_e32 v3, 21, v3
	s_or_saveexec_b32 s18, s18
                                        ; implicit-def: $sgpr19
	s_delay_alu instid0(SALU_CYCLE_1)
	s_xor_b32 exec_lo, exec_lo, s18
	s_cbranch_execnz .LBB328_1227
.LBB328_956:
	s_or_b32 exec_lo, exec_lo, s18
	v_mov_b32_e32 v4, s19
	s_and_saveexec_b32 s18, s17
.LBB328_957:
	v_lshrrev_b32_e32 v4, 24, v2
	s_delay_alu instid0(VALU_DEP_1)
	v_and_or_b32 v4, 0x80, v4, v3
.LBB328_958:
	s_or_b32 exec_lo, exec_lo, s18
.LBB328_959:
	s_delay_alu instid0(SALU_CYCLE_1)
	s_or_b32 exec_lo, exec_lo, s16
	s_mov_b32 s16, 0
	global_store_b8 v[0:1], v4, off
.LBB328_960:
	s_and_b32 vcc_lo, exec_lo, s16
	s_cbranch_vccz .LBB328_970
; %bb.961:
	v_and_b32_e32 v4, 0x7fffffff, v2
	s_mov_b32 s16, exec_lo
                                        ; implicit-def: $vgpr3
	s_delay_alu instid0(VALU_DEP_1)
	v_cmpx_gt_u32_e32 0x43f00000, v4
	s_xor_b32 s16, exec_lo, s16
	s_cbranch_execz .LBB328_967
; %bb.962:
	s_mov_b32 s17, exec_lo
                                        ; implicit-def: $vgpr3
	v_cmpx_lt_u32_e32 0x3c7fffff, v4
	s_xor_b32 s17, exec_lo, s17
; %bb.963:
	v_bfe_u32 v3, v2, 20, 1
	s_delay_alu instid0(VALU_DEP_1) | instskip(NEXT) | instid1(VALU_DEP_1)
	v_add3_u32 v3, v2, v3, 0x407ffff
	v_and_b32_e32 v4, 0xff00000, v3
	v_lshrrev_b32_e32 v3, 20, v3
	s_delay_alu instid0(VALU_DEP_2) | instskip(NEXT) | instid1(VALU_DEP_2)
	v_cmp_ne_u32_e32 vcc_lo, 0x7f00000, v4
	v_cndmask_b32_e32 v3, 0x7e, v3, vcc_lo
; %bb.964:
	s_and_not1_saveexec_b32 s17, s17
; %bb.965:
	v_add_f32_e64 v3, 0x46800000, |v2|
; %bb.966:
	s_or_b32 exec_lo, exec_lo, s17
                                        ; implicit-def: $vgpr4
.LBB328_967:
	s_and_not1_saveexec_b32 s16, s16
; %bb.968:
	v_mov_b32_e32 v3, 0x7f
	v_cmp_lt_u32_e32 vcc_lo, 0x7f800000, v4
	s_delay_alu instid0(VALU_DEP_2)
	v_cndmask_b32_e32 v3, 0x7e, v3, vcc_lo
; %bb.969:
	s_or_b32 exec_lo, exec_lo, s16
	v_lshrrev_b32_e32 v4, 24, v2
	s_delay_alu instid0(VALU_DEP_1)
	v_and_or_b32 v3, 0x80, v4, v3
	global_store_b8 v[0:1], v3, off
.LBB328_970:
	s_mov_b32 s16, 0
.LBB328_971:
	s_delay_alu instid0(SALU_CYCLE_1)
	s_and_not1_b32 vcc_lo, exec_lo, s16
	s_cbranch_vccnz .LBB328_981
; %bb.972:
	v_and_b32_e32 v4, 0x7fffffff, v2
	s_mov_b32 s16, exec_lo
                                        ; implicit-def: $vgpr3
	s_delay_alu instid0(VALU_DEP_1)
	v_cmpx_gt_u32_e32 0x47800000, v4
	s_xor_b32 s16, exec_lo, s16
	s_cbranch_execz .LBB328_978
; %bb.973:
	s_mov_b32 s17, exec_lo
                                        ; implicit-def: $vgpr3
	v_cmpx_lt_u32_e32 0x387fffff, v4
	s_xor_b32 s17, exec_lo, s17
; %bb.974:
	v_bfe_u32 v3, v2, 21, 1
	s_delay_alu instid0(VALU_DEP_1) | instskip(NEXT) | instid1(VALU_DEP_1)
	v_add3_u32 v3, v2, v3, 0x80fffff
	v_lshrrev_b32_e32 v3, 21, v3
; %bb.975:
	s_and_not1_saveexec_b32 s17, s17
; %bb.976:
	v_add_f32_e64 v3, 0x43000000, |v2|
; %bb.977:
	s_or_b32 exec_lo, exec_lo, s17
                                        ; implicit-def: $vgpr4
.LBB328_978:
	s_and_not1_saveexec_b32 s16, s16
; %bb.979:
	v_mov_b32_e32 v3, 0x7f
	v_cmp_lt_u32_e32 vcc_lo, 0x7f800000, v4
	s_delay_alu instid0(VALU_DEP_2)
	v_cndmask_b32_e32 v3, 0x7c, v3, vcc_lo
; %bb.980:
	s_or_b32 exec_lo, exec_lo, s16
	v_lshrrev_b32_e32 v4, 24, v2
	s_delay_alu instid0(VALU_DEP_1)
	v_and_or_b32 v3, 0x80, v4, v3
	global_store_b8 v[0:1], v3, off
.LBB328_981:
	s_mov_b32 s16, 0
.LBB328_982:
	s_delay_alu instid0(SALU_CYCLE_1)
	s_and_not1_b32 vcc_lo, exec_lo, s16
	s_mov_b32 s16, 0
	s_cbranch_vccnz .LBB328_990
; %bb.983:
	v_cmp_lt_i16_e32 vcc_lo, 14, v5
	s_mov_b32 s16, -1
	s_cbranch_vccz .LBB328_987
; %bb.984:
	v_cmp_eq_u16_e32 vcc_lo, 15, v5
	s_mov_b32 s0, -1
	s_cbranch_vccz .LBB328_986
; %bb.985:
	v_bfe_u32 v3, v2, 16, 1
	v_cmp_o_f32_e32 vcc_lo, v2, v2
	s_mov_b32 s0, 0
	s_delay_alu instid0(VALU_DEP_2) | instskip(NEXT) | instid1(VALU_DEP_1)
	v_add3_u32 v3, v2, v3, 0x7fff
	v_lshrrev_b32_e32 v3, 16, v3
	s_delay_alu instid0(VALU_DEP_1)
	v_cndmask_b32_e32 v3, 0x7fc0, v3, vcc_lo
	global_store_b16 v[0:1], v3, off
.LBB328_986:
	s_mov_b32 s16, 0
.LBB328_987:
	s_delay_alu instid0(SALU_CYCLE_1)
	s_and_b32 vcc_lo, exec_lo, s16
	s_mov_b32 s16, 0
	s_cbranch_vccz .LBB328_990
; %bb.988:
	v_cmp_ne_u16_e32 vcc_lo, 11, v5
	s_and_not1_b32 s0, s0, exec_lo
	s_mov_b32 s16, -1
	s_and_b32 s17, vcc_lo, exec_lo
	s_delay_alu instid0(SALU_CYCLE_1)
	s_or_b32 s0, s0, s17
	s_branch .LBB328_990
.LBB328_989:
	s_mov_b32 s16, 0
.LBB328_990:
	s_and_not1_b32 s12, s12, exec_lo
	s_and_b32 s0, s0, exec_lo
	s_and_b32 s15, s15, exec_lo
	;; [unrolled: 1-line block ×3, first 2 shown]
	s_or_b32 s12, s12, s0
.LBB328_991:
	s_or_b32 exec_lo, exec_lo, s14
	s_and_saveexec_b32 s0, s12
	s_cbranch_execnz .LBB328_1053
; %bb.992:
	s_or_b32 exec_lo, exec_lo, s0
	s_and_saveexec_b32 s0, s16
	s_delay_alu instid0(SALU_CYCLE_1)
	s_xor_b32 s0, exec_lo, s0
	s_cbranch_execz .LBB328_994
.LBB328_993:
	s_waitcnt vmcnt(0)
	v_cmp_neq_f32_e32 vcc_lo, 0, v2
	v_cndmask_b32_e64 v3, 0, 1, vcc_lo
	global_store_b8 v[0:1], v3, off
.LBB328_994:
	s_or_b32 exec_lo, exec_lo, s0
	s_and_saveexec_b32 s0, s15
	s_delay_alu instid0(SALU_CYCLE_1)
	s_xor_b32 s0, exec_lo, s0
	s_cbranch_execz .LBB328_1032
; %bb.995:
	v_cmp_gt_i16_e32 vcc_lo, 5, v5
	s_mov_b32 s12, -1
	s_cbranch_vccnz .LBB328_1016
; %bb.996:
	v_cmp_gt_i16_e32 vcc_lo, 8, v5
	s_cbranch_vccnz .LBB328_1006
; %bb.997:
	v_cmp_gt_i16_e32 vcc_lo, 9, v5
	s_cbranch_vccnz .LBB328_1003
; %bb.998:
	v_cmp_lt_i16_e32 vcc_lo, 9, v5
	s_cbranch_vccz .LBB328_1000
; %bb.999:
	s_waitcnt vmcnt(0)
	v_cvt_f64_f32_e32 v[6:7], v2
	v_mov_b32_e32 v8, 0
	s_mov_b32 s12, 0
	s_delay_alu instid0(VALU_DEP_1)
	v_mov_b32_e32 v9, v8
	global_store_b128 v[0:1], v[6:9], off
.LBB328_1000:
	s_and_not1_b32 vcc_lo, exec_lo, s12
	s_cbranch_vccnz .LBB328_1002
; %bb.1001:
	s_waitcnt vmcnt(0)
	v_mov_b32_e32 v3, 0
	global_store_b64 v[0:1], v[2:3], off
.LBB328_1002:
	s_mov_b32 s12, 0
.LBB328_1003:
	s_delay_alu instid0(SALU_CYCLE_1)
	s_and_not1_b32 vcc_lo, exec_lo, s12
	s_cbranch_vccnz .LBB328_1005
; %bb.1004:
	s_waitcnt vmcnt(0)
	v_cvt_f16_f32_e32 v3, v2
	s_delay_alu instid0(VALU_DEP_1)
	v_and_b32_e32 v3, 0xffff, v3
	global_store_b32 v[0:1], v3, off
.LBB328_1005:
	s_mov_b32 s12, 0
.LBB328_1006:
	s_delay_alu instid0(SALU_CYCLE_1)
	s_and_not1_b32 vcc_lo, exec_lo, s12
	s_cbranch_vccnz .LBB328_1015
; %bb.1007:
	v_cmp_gt_i16_e32 vcc_lo, 6, v5
	s_mov_b32 s12, -1
	s_cbranch_vccnz .LBB328_1013
; %bb.1008:
	v_cmp_lt_i16_e32 vcc_lo, 6, v5
	s_cbranch_vccz .LBB328_1010
; %bb.1009:
	s_waitcnt vmcnt(0)
	v_cvt_f64_f32_e32 v[3:4], v2
	s_mov_b32 s12, 0
	global_store_b64 v[0:1], v[3:4], off
.LBB328_1010:
	s_and_not1_b32 vcc_lo, exec_lo, s12
	s_cbranch_vccnz .LBB328_1012
; %bb.1011:
	s_waitcnt vmcnt(0)
	global_store_b32 v[0:1], v2, off
.LBB328_1012:
	s_mov_b32 s12, 0
.LBB328_1013:
	s_delay_alu instid0(SALU_CYCLE_1)
	s_and_not1_b32 vcc_lo, exec_lo, s12
	s_cbranch_vccnz .LBB328_1015
; %bb.1014:
	s_waitcnt vmcnt(0)
	v_cvt_f16_f32_e32 v3, v2
	global_store_b16 v[0:1], v3, off
.LBB328_1015:
	s_mov_b32 s12, 0
.LBB328_1016:
	s_delay_alu instid0(SALU_CYCLE_1)
	s_and_not1_b32 vcc_lo, exec_lo, s12
	s_cbranch_vccnz .LBB328_1032
; %bb.1017:
	v_cmp_gt_i16_e32 vcc_lo, 2, v5
	s_mov_b32 s12, -1
	s_cbranch_vccnz .LBB328_1027
; %bb.1018:
	v_cmp_gt_i16_e32 vcc_lo, 3, v5
	s_cbranch_vccnz .LBB328_1024
; %bb.1019:
	v_cmp_lt_i16_e32 vcc_lo, 3, v5
	s_cbranch_vccz .LBB328_1021
; %bb.1020:
	s_waitcnt vmcnt(0)
	v_trunc_f32_e32 v3, v2
	s_mov_b32 s12, 0
	s_delay_alu instid0(VALU_DEP_1) | instskip(SKIP_1) | instid1(VALU_DEP_2)
	v_mul_f32_e64 v4, 0x2f800000, |v3|
	v_ashrrev_i32_e32 v7, 31, v3
	v_floor_f32_e32 v4, v4
	s_delay_alu instid0(VALU_DEP_1) | instskip(SKIP_1) | instid1(VALU_DEP_2)
	v_fma_f32 v6, 0xcf800000, v4, |v3|
	v_cvt_u32_f32_e32 v4, v4
	v_cvt_u32_f32_e32 v3, v6
	s_delay_alu instid0(VALU_DEP_2) | instskip(NEXT) | instid1(VALU_DEP_2)
	v_xor_b32_e32 v4, v4, v7
	v_xor_b32_e32 v3, v3, v7
	s_delay_alu instid0(VALU_DEP_1) | instskip(NEXT) | instid1(VALU_DEP_3)
	v_sub_co_u32 v3, vcc_lo, v3, v7
	v_sub_co_ci_u32_e32 v4, vcc_lo, v4, v7, vcc_lo
	global_store_b64 v[0:1], v[3:4], off
.LBB328_1021:
	s_and_not1_b32 vcc_lo, exec_lo, s12
	s_cbranch_vccnz .LBB328_1023
; %bb.1022:
	s_waitcnt vmcnt(0)
	v_cvt_i32_f32_e32 v3, v2
	global_store_b32 v[0:1], v3, off
.LBB328_1023:
	s_mov_b32 s12, 0
.LBB328_1024:
	s_delay_alu instid0(SALU_CYCLE_1)
	s_and_not1_b32 vcc_lo, exec_lo, s12
	s_cbranch_vccnz .LBB328_1026
; %bb.1025:
	s_waitcnt vmcnt(0)
	v_cvt_i32_f32_e32 v3, v2
	global_store_b16 v[0:1], v3, off
.LBB328_1026:
	s_mov_b32 s12, 0
.LBB328_1027:
	s_delay_alu instid0(SALU_CYCLE_1)
	s_and_not1_b32 vcc_lo, exec_lo, s12
	s_cbranch_vccnz .LBB328_1032
; %bb.1028:
	v_cmp_lt_i16_e32 vcc_lo, 0, v5
	s_mov_b32 s12, -1
	s_cbranch_vccz .LBB328_1030
; %bb.1029:
	s_waitcnt vmcnt(0)
	v_cvt_i32_f32_e32 v3, v2
	s_mov_b32 s12, 0
	global_store_b8 v[0:1], v3, off
.LBB328_1030:
	s_and_not1_b32 vcc_lo, exec_lo, s12
	s_cbranch_vccnz .LBB328_1032
; %bb.1031:
	s_waitcnt vmcnt(0)
	v_trunc_f32_e32 v2, v2
	s_delay_alu instid0(VALU_DEP_1) | instskip(NEXT) | instid1(VALU_DEP_1)
	v_mul_f32_e64 v3, 0x2f800000, |v2|
	v_floor_f32_e32 v3, v3
	s_delay_alu instid0(VALU_DEP_1) | instskip(SKIP_1) | instid1(VALU_DEP_2)
	v_fma_f32 v3, 0xcf800000, v3, |v2|
	v_ashrrev_i32_e32 v2, 31, v2
	v_cvt_u32_f32_e32 v3, v3
	s_delay_alu instid0(VALU_DEP_1) | instskip(NEXT) | instid1(VALU_DEP_1)
	v_xor_b32_e32 v3, v3, v2
	v_sub_nc_u32_e32 v2, v3, v2
	global_store_b8 v[0:1], v2, off
.LBB328_1032:
	s_or_b32 exec_lo, exec_lo, s0
	s_delay_alu instid0(SALU_CYCLE_1)
	s_and_b32 s12, s13, exec_lo
                                        ; implicit-def: $vgpr4
                                        ; implicit-def: $vgpr5
.LBB328_1033:
	s_or_saveexec_b32 s3, s3
	s_mov_b32 s0, 0
                                        ; implicit-def: $vgpr6
                                        ; implicit-def: $vgpr0_vgpr1
                                        ; implicit-def: $vgpr2
	s_xor_b32 exec_lo, exec_lo, s3
	s_cbranch_execz .LBB328_1998
; %bb.1034:
	s_waitcnt vmcnt(0)
	v_mul_lo_u32 v3, s9, v4
	v_cmp_gt_i16_e32 vcc_lo, 11, v5
	s_delay_alu instid0(VALU_DEP_2) | instskip(SKIP_1) | instid1(VALU_DEP_1)
	v_ashrrev_i32_e32 v1, 31, v3
	v_add_co_u32 v0, s0, s6, v3
	v_add_co_ci_u32_e64 v1, s0, s7, v1, s0
	s_cbranch_vccnz .LBB328_1041
; %bb.1035:
	v_cmp_lt_i16_e32 vcc_lo, 25, v5
	s_mov_b32 s13, 0
	s_cbranch_vccz .LBB328_1047
; %bb.1036:
	v_cmp_lt_i16_e32 vcc_lo, 28, v5
	s_cbranch_vccz .LBB328_1049
; %bb.1037:
	v_cmp_lt_i16_e32 vcc_lo, 43, v5
	;; [unrolled: 3-line block ×3, first 2 shown]
	s_cbranch_vccz .LBB328_1055
; %bb.1039:
	v_cmp_eq_u16_e32 vcc_lo, 46, v5
	s_cbranch_vccz .LBB328_1095
; %bb.1040:
	global_load_b32 v2, v[0:1], off
	s_mov_b32 s0, 0
	s_mov_b32 s14, -1
	s_waitcnt vmcnt(0)
	v_lshlrev_b32_e32 v2, 16, v2
	s_branch .LBB328_1097
.LBB328_1041:
	s_mov_b32 s14, 0
	s_mov_b32 s1, s12
                                        ; implicit-def: $vgpr2
	s_cbranch_execz .LBB328_1160
; %bb.1042:
	v_cmp_gt_i16_e32 vcc_lo, 5, v5
	s_cbranch_vccnz .LBB328_1048
; %bb.1043:
	v_cmp_gt_i16_e32 vcc_lo, 8, v5
	s_cbranch_vccnz .LBB328_1050
	;; [unrolled: 3-line block ×3, first 2 shown]
; %bb.1045:
	v_cmp_lt_i16_e32 vcc_lo, 9, v5
	s_cbranch_vccz .LBB328_1056
; %bb.1046:
	global_load_b64 v[6:7], v[0:1], off
	s_mov_b32 s0, 0
	s_waitcnt vmcnt(0)
	v_cvt_f32_f64_e32 v2, v[6:7]
	s_branch .LBB328_1057
.LBB328_1047:
	s_mov_b32 s14, 0
	s_mov_b32 s0, 0
                                        ; implicit-def: $vgpr2
	s_cbranch_execnz .LBB328_1125
	s_branch .LBB328_1156
.LBB328_1048:
                                        ; implicit-def: $vgpr2
	s_branch .LBB328_1074
.LBB328_1049:
	s_mov_b32 s1, -1
	s_mov_b32 s14, 0
	s_mov_b32 s0, 0
                                        ; implicit-def: $vgpr2
	s_branch .LBB328_1106
.LBB328_1050:
                                        ; implicit-def: $vgpr2
	s_branch .LBB328_1063
.LBB328_1051:
	s_mov_b32 s14, 0
	s_mov_b32 s0, 0
                                        ; implicit-def: $vgpr2
	s_cbranch_execnz .LBB328_1102
	s_branch .LBB328_1105
.LBB328_1052:
	s_mov_b32 s0, -1
                                        ; implicit-def: $vgpr2
	s_branch .LBB328_1060
.LBB328_1053:
	s_cbranch_execnz .LBB328_1093
; %bb.1054:
	s_or_b32 s13, s13, exec_lo
	s_and_not1_b32 s16, s16, exec_lo
	s_or_b32 exec_lo, exec_lo, s0
	s_and_saveexec_b32 s0, s16
	s_delay_alu instid0(SALU_CYCLE_1)
	s_xor_b32 s0, exec_lo, s0
	s_cbranch_execnz .LBB328_993
	s_branch .LBB328_994
.LBB328_1055:
	s_mov_b32 s1, -1
	s_mov_b32 s14, 0
	s_mov_b32 s0, 0
	s_branch .LBB328_1096
.LBB328_1056:
	s_mov_b32 s0, -1
                                        ; implicit-def: $vgpr2
.LBB328_1057:
	s_delay_alu instid0(SALU_CYCLE_1)
	s_and_not1_b32 vcc_lo, exec_lo, s0
	s_cbranch_vccnz .LBB328_1059
; %bb.1058:
	global_load_b32 v2, v[0:1], off
.LBB328_1059:
	s_mov_b32 s0, 0
.LBB328_1060:
	s_delay_alu instid0(SALU_CYCLE_1)
	s_and_not1_b32 vcc_lo, exec_lo, s0
	s_cbranch_vccnz .LBB328_1062
; %bb.1061:
	global_load_b32 v2, v[0:1], off
	s_waitcnt vmcnt(0)
	v_cvt_f32_f16_e32 v2, v2
.LBB328_1062:
	s_cbranch_execnz .LBB328_1073
.LBB328_1063:
	v_cmp_gt_i16_e32 vcc_lo, 6, v5
	s_cbranch_vccnz .LBB328_1066
; %bb.1064:
	v_cmp_lt_i16_e32 vcc_lo, 6, v5
	s_cbranch_vccz .LBB328_1067
; %bb.1065:
	global_load_b64 v[6:7], v[0:1], off
	s_mov_b32 s0, 0
	s_waitcnt vmcnt(0)
	v_cvt_f32_f64_e32 v2, v[6:7]
	s_branch .LBB328_1068
.LBB328_1066:
	s_mov_b32 s0, -1
                                        ; implicit-def: $vgpr2
	s_branch .LBB328_1071
.LBB328_1067:
	s_mov_b32 s0, -1
                                        ; implicit-def: $vgpr2
.LBB328_1068:
	s_delay_alu instid0(SALU_CYCLE_1)
	s_and_not1_b32 vcc_lo, exec_lo, s0
	s_cbranch_vccnz .LBB328_1070
; %bb.1069:
	global_load_b32 v2, v[0:1], off
.LBB328_1070:
	s_mov_b32 s0, 0
.LBB328_1071:
	s_delay_alu instid0(SALU_CYCLE_1)
	s_and_not1_b32 vcc_lo, exec_lo, s0
	s_cbranch_vccnz .LBB328_1073
; %bb.1072:
	global_load_u16 v2, v[0:1], off
	s_waitcnt vmcnt(0)
	v_cvt_f32_f16_e32 v2, v2
.LBB328_1073:
	s_cbranch_execnz .LBB328_1092
.LBB328_1074:
	v_cmp_gt_i16_e32 vcc_lo, 2, v5
	s_cbranch_vccnz .LBB328_1078
; %bb.1075:
	v_cmp_gt_i16_e32 vcc_lo, 3, v5
	s_cbranch_vccnz .LBB328_1079
; %bb.1076:
	v_cmp_lt_i16_e32 vcc_lo, 3, v5
	s_cbranch_vccz .LBB328_1080
; %bb.1077:
	global_load_b64 v[6:7], v[0:1], off
	s_mov_b32 s0, 0
	s_waitcnt vmcnt(0)
	v_xor_b32_e32 v2, v6, v7
	v_cls_i32_e32 v8, v7
	s_delay_alu instid0(VALU_DEP_2) | instskip(NEXT) | instid1(VALU_DEP_2)
	v_ashrrev_i32_e32 v2, 31, v2
	v_add_nc_u32_e32 v8, -1, v8
	s_delay_alu instid0(VALU_DEP_2) | instskip(NEXT) | instid1(VALU_DEP_1)
	v_add_nc_u32_e32 v2, 32, v2
	v_min_u32_e32 v2, v8, v2
	s_delay_alu instid0(VALU_DEP_1) | instskip(SKIP_1) | instid1(VALU_DEP_2)
	v_lshlrev_b64 v[6:7], v2, v[6:7]
	v_sub_nc_u32_e32 v2, 32, v2
	v_min_u32_e32 v6, 1, v6
	s_delay_alu instid0(VALU_DEP_1) | instskip(NEXT) | instid1(VALU_DEP_1)
	v_or_b32_e32 v6, v7, v6
	v_cvt_f32_i32_e32 v6, v6
	s_delay_alu instid0(VALU_DEP_1)
	v_ldexp_f32 v2, v6, v2
	s_branch .LBB328_1081
.LBB328_1078:
                                        ; implicit-def: $vgpr2
	s_branch .LBB328_1087
.LBB328_1079:
	s_mov_b32 s0, -1
                                        ; implicit-def: $vgpr2
	s_branch .LBB328_1084
.LBB328_1080:
	s_mov_b32 s0, -1
                                        ; implicit-def: $vgpr2
.LBB328_1081:
	s_delay_alu instid0(SALU_CYCLE_1)
	s_and_not1_b32 vcc_lo, exec_lo, s0
	s_cbranch_vccnz .LBB328_1083
; %bb.1082:
	global_load_b32 v2, v[0:1], off
	s_waitcnt vmcnt(0)
	v_cvt_f32_i32_e32 v2, v2
.LBB328_1083:
	s_mov_b32 s0, 0
.LBB328_1084:
	s_delay_alu instid0(SALU_CYCLE_1)
	s_and_not1_b32 vcc_lo, exec_lo, s0
	s_cbranch_vccnz .LBB328_1086
; %bb.1085:
	global_load_i16 v2, v[0:1], off
	s_waitcnt vmcnt(0)
	v_cvt_f32_i32_e32 v2, v2
.LBB328_1086:
	s_cbranch_execnz .LBB328_1092
.LBB328_1087:
	v_cmp_lt_i16_e32 vcc_lo, 0, v5
	s_mov_b32 s0, 0
	s_cbranch_vccz .LBB328_1089
; %bb.1088:
	global_load_i8 v2, v[0:1], off
	s_waitcnt vmcnt(0)
	v_cvt_f32_i32_e32 v2, v2
	s_branch .LBB328_1090
.LBB328_1089:
	s_mov_b32 s0, -1
                                        ; implicit-def: $vgpr2
.LBB328_1090:
	s_delay_alu instid0(SALU_CYCLE_1)
	s_and_not1_b32 vcc_lo, exec_lo, s0
	s_cbranch_vccnz .LBB328_1092
; %bb.1091:
	global_load_u8 v0, v[0:1], off
	s_waitcnt vmcnt(0)
	v_cvt_f32_ubyte0_e32 v2, v0
.LBB328_1092:
	s_branch .LBB328_1161
.LBB328_1093:
	s_trap 2
	s_sendmsg_rtn_b32 s0, sendmsg(MSG_RTN_GET_DOORBELL)
	s_mov_b32 ttmp2, m0
	s_waitcnt lgkmcnt(0)
	s_and_b32 s0, s0, 0x3ff
	s_delay_alu instid0(SALU_CYCLE_1) | instskip(NEXT) | instid1(SALU_CYCLE_1)
	s_bitset1_b32 s0, 10
	s_mov_b32 m0, s0
	s_sendmsg sendmsg(MSG_INTERRUPT)
	s_mov_b32 m0, ttmp2
.LBB328_1094:                           ; =>This Inner Loop Header: Depth=1
	s_sethalt 5
	s_branch .LBB328_1094
.LBB328_1095:
	s_mov_b32 s0, -1
	s_mov_b32 s14, 0
.LBB328_1096:
                                        ; implicit-def: $vgpr2
.LBB328_1097:
	s_and_b32 vcc_lo, exec_lo, s1
	s_cbranch_vccz .LBB328_1100
; %bb.1098:
	v_cmp_eq_u16_e32 vcc_lo, 44, v5
	s_cbranch_vccz .LBB328_1101
; %bb.1099:
	global_load_u8 v2, v[0:1], off
	s_mov_b32 s0, 0
	s_mov_b32 s14, -1
	s_waitcnt vmcnt(0)
	v_lshlrev_b32_e32 v6, 23, v2
	v_cmp_ne_u32_e32 vcc_lo, 0xff, v2
	s_delay_alu instid0(VALU_DEP_2) | instskip(SKIP_1) | instid1(VALU_DEP_2)
	v_cndmask_b32_e32 v6, 0x7f800001, v6, vcc_lo
	v_cmp_ne_u32_e32 vcc_lo, 0, v2
	v_cndmask_b32_e32 v2, 0x400000, v6, vcc_lo
.LBB328_1100:
	s_branch .LBB328_1105
.LBB328_1101:
	s_mov_b32 s0, -1
                                        ; implicit-def: $vgpr2
	s_branch .LBB328_1105
.LBB328_1102:
	v_cmp_eq_u16_e32 vcc_lo, 29, v5
	s_cbranch_vccz .LBB328_1104
; %bb.1103:
	global_load_b64 v[6:7], v[0:1], off
	s_mov_b32 s0, 0
	s_mov_b32 s14, -1
	s_mov_b32 s1, 0
	s_waitcnt vmcnt(0)
	v_clz_i32_u32_e32 v2, v7
	s_delay_alu instid0(VALU_DEP_1) | instskip(NEXT) | instid1(VALU_DEP_1)
	v_min_u32_e32 v2, 32, v2
	v_lshlrev_b64 v[6:7], v2, v[6:7]
	v_sub_nc_u32_e32 v2, 32, v2
	s_delay_alu instid0(VALU_DEP_2) | instskip(NEXT) | instid1(VALU_DEP_1)
	v_min_u32_e32 v6, 1, v6
	v_or_b32_e32 v6, v7, v6
	s_delay_alu instid0(VALU_DEP_1) | instskip(NEXT) | instid1(VALU_DEP_1)
	v_cvt_f32_u32_e32 v6, v6
	v_ldexp_f32 v2, v6, v2
	s_branch .LBB328_1106
.LBB328_1104:
	s_mov_b32 s0, -1
                                        ; implicit-def: $vgpr2
.LBB328_1105:
	s_mov_b32 s1, 0
.LBB328_1106:
	s_delay_alu instid0(SALU_CYCLE_1)
	s_and_b32 vcc_lo, exec_lo, s1
	s_cbranch_vccz .LBB328_1124
; %bb.1107:
	v_cmp_gt_i16_e32 vcc_lo, 27, v5
	s_cbranch_vccnz .LBB328_1110
; %bb.1108:
	v_cmp_lt_i16_e32 vcc_lo, 27, v5
	s_cbranch_vccz .LBB328_1111
; %bb.1109:
	global_load_b32 v2, v[0:1], off
	s_mov_b32 s1, 0
	s_waitcnt vmcnt(0)
	v_cvt_f32_u32_e32 v2, v2
	s_branch .LBB328_1112
.LBB328_1110:
	s_mov_b32 s1, -1
                                        ; implicit-def: $vgpr2
	s_branch .LBB328_1115
.LBB328_1111:
	s_mov_b32 s1, -1
                                        ; implicit-def: $vgpr2
.LBB328_1112:
	s_delay_alu instid0(SALU_CYCLE_1)
	s_and_not1_b32 vcc_lo, exec_lo, s1
	s_cbranch_vccnz .LBB328_1114
; %bb.1113:
	global_load_u16 v2, v[0:1], off
	s_waitcnt vmcnt(0)
	v_cvt_f32_u32_e32 v2, v2
.LBB328_1114:
	s_mov_b32 s1, 0
.LBB328_1115:
	s_delay_alu instid0(SALU_CYCLE_1)
	s_and_not1_b32 vcc_lo, exec_lo, s1
	s_cbranch_vccnz .LBB328_1123
; %bb.1116:
	global_load_u8 v6, v[0:1], off
	s_mov_b32 s1, 0
	s_mov_b32 s15, exec_lo
                                        ; implicit-def: $sgpr14
	s_waitcnt vmcnt(0)
	v_cmpx_lt_i16_e32 0x7f, v6
	s_xor_b32 s15, exec_lo, s15
	s_cbranch_execz .LBB328_1136
; %bb.1117:
	s_mov_b32 s1, -1
	s_mov_b32 s16, exec_lo
                                        ; implicit-def: $sgpr14
	v_cmpx_eq_u16_e32 0x80, v6
; %bb.1118:
	s_mov_b32 s14, 0x7f800001
	s_xor_b32 s1, exec_lo, -1
; %bb.1119:
	s_or_b32 exec_lo, exec_lo, s16
	s_delay_alu instid0(SALU_CYCLE_1)
	s_and_b32 s1, s1, exec_lo
	s_or_saveexec_b32 s15, s15
	v_mov_b32_e32 v2, s14
	s_xor_b32 exec_lo, exec_lo, s15
	s_cbranch_execnz .LBB328_1137
.LBB328_1120:
	s_or_b32 exec_lo, exec_lo, s15
	s_and_saveexec_b32 s14, s1
	s_cbranch_execz .LBB328_1122
.LBB328_1121:
	v_and_b32_e32 v2, 0xffff, v6
	v_lshlrev_b32_e32 v6, 24, v6
	s_delay_alu instid0(VALU_DEP_2) | instskip(NEXT) | instid1(VALU_DEP_2)
	v_and_b32_e32 v7, 7, v2
	v_and_b32_e32 v6, 0x80000000, v6
	s_delay_alu instid0(VALU_DEP_2) | instskip(NEXT) | instid1(VALU_DEP_1)
	v_clz_i32_u32_e32 v8, v7
	v_min_u32_e32 v8, 32, v8
	s_delay_alu instid0(VALU_DEP_1) | instskip(SKIP_1) | instid1(VALU_DEP_2)
	v_subrev_nc_u32_e32 v9, 28, v8
	v_sub_nc_u32_e32 v8, 29, v8
	v_lshlrev_b32_e32 v9, v9, v2
	v_bfe_u32 v2, v2, 3, 4
	s_delay_alu instid0(VALU_DEP_2) | instskip(NEXT) | instid1(VALU_DEP_2)
	v_and_b32_e32 v9, 7, v9
	v_cmp_eq_u32_e32 vcc_lo, 0, v2
	s_delay_alu instid0(VALU_DEP_2) | instskip(NEXT) | instid1(VALU_DEP_1)
	v_dual_cndmask_b32 v2, v2, v8 :: v_dual_cndmask_b32 v7, v7, v9
	v_lshl_add_u32 v2, v2, 23, 0x3b800000
	s_delay_alu instid0(VALU_DEP_2) | instskip(NEXT) | instid1(VALU_DEP_1)
	v_lshlrev_b32_e32 v7, 20, v7
	v_or3_b32 v2, v6, v2, v7
.LBB328_1122:
	s_or_b32 exec_lo, exec_lo, s14
.LBB328_1123:
	s_mov_b32 s14, -1
.LBB328_1124:
	s_branch .LBB328_1156
.LBB328_1125:
	v_cmp_lt_i16_e32 vcc_lo, 22, v5
	s_cbranch_vccz .LBB328_1135
; %bb.1126:
	v_cmp_gt_i16_e32 vcc_lo, 24, v5
	s_cbranch_vccnz .LBB328_1138
; %bb.1127:
	v_cmp_lt_i16_e32 vcc_lo, 24, v5
	s_cbranch_vccz .LBB328_1139
; %bb.1128:
	global_load_u8 v6, v[0:1], off
	s_mov_b32 s1, 0
	s_mov_b32 s14, exec_lo
                                        ; implicit-def: $sgpr13
	s_waitcnt vmcnt(0)
	v_cmpx_lt_i16_e32 0x7f, v6
	s_xor_b32 s14, exec_lo, s14
	s_cbranch_execz .LBB328_1150
; %bb.1129:
	s_mov_b32 s1, -1
	s_mov_b32 s15, exec_lo
                                        ; implicit-def: $sgpr13
	v_cmpx_eq_u16_e32 0x80, v6
; %bb.1130:
	s_mov_b32 s13, 0x7f800001
	s_xor_b32 s1, exec_lo, -1
; %bb.1131:
	s_or_b32 exec_lo, exec_lo, s15
	s_delay_alu instid0(SALU_CYCLE_1)
	s_and_b32 s1, s1, exec_lo
	s_or_saveexec_b32 s14, s14
	v_mov_b32_e32 v2, s13
	s_xor_b32 exec_lo, exec_lo, s14
	s_cbranch_execnz .LBB328_1151
.LBB328_1132:
	s_or_b32 exec_lo, exec_lo, s14
	s_and_saveexec_b32 s13, s1
	s_cbranch_execz .LBB328_1134
.LBB328_1133:
	v_and_b32_e32 v2, 0xffff, v6
	v_lshlrev_b32_e32 v6, 24, v6
	s_delay_alu instid0(VALU_DEP_2) | instskip(NEXT) | instid1(VALU_DEP_2)
	v_and_b32_e32 v7, 3, v2
	v_and_b32_e32 v6, 0x80000000, v6
	s_delay_alu instid0(VALU_DEP_2) | instskip(NEXT) | instid1(VALU_DEP_1)
	v_clz_i32_u32_e32 v8, v7
	v_min_u32_e32 v8, 32, v8
	s_delay_alu instid0(VALU_DEP_1) | instskip(SKIP_1) | instid1(VALU_DEP_2)
	v_subrev_nc_u32_e32 v9, 29, v8
	v_sub_nc_u32_e32 v8, 30, v8
	v_lshlrev_b32_e32 v9, v9, v2
	v_bfe_u32 v2, v2, 2, 5
	s_delay_alu instid0(VALU_DEP_2) | instskip(NEXT) | instid1(VALU_DEP_2)
	v_and_b32_e32 v9, 3, v9
	v_cmp_eq_u32_e32 vcc_lo, 0, v2
	s_delay_alu instid0(VALU_DEP_2) | instskip(NEXT) | instid1(VALU_DEP_1)
	v_dual_cndmask_b32 v2, v2, v8 :: v_dual_cndmask_b32 v7, v7, v9
	v_lshl_add_u32 v2, v2, 23, 0x37800000
	s_delay_alu instid0(VALU_DEP_2) | instskip(NEXT) | instid1(VALU_DEP_1)
	v_lshlrev_b32_e32 v7, 21, v7
	v_or3_b32 v2, v6, v2, v7
.LBB328_1134:
	s_or_b32 exec_lo, exec_lo, s13
	s_mov_b32 s1, 0
	s_branch .LBB328_1140
.LBB328_1135:
                                        ; implicit-def: $vgpr2
	s_mov_b32 s13, 0
	s_branch .LBB328_1146
.LBB328_1136:
	s_or_saveexec_b32 s15, s15
	v_mov_b32_e32 v2, s14
	s_xor_b32 exec_lo, exec_lo, s15
	s_cbranch_execz .LBB328_1120
.LBB328_1137:
	v_cmp_ne_u16_e32 vcc_lo, 0, v6
	v_mov_b32_e32 v2, 0
	s_and_not1_b32 s1, s1, exec_lo
	s_and_b32 s14, vcc_lo, exec_lo
	s_delay_alu instid0(SALU_CYCLE_1)
	s_or_b32 s1, s1, s14
	s_or_b32 exec_lo, exec_lo, s15
	s_and_saveexec_b32 s14, s1
	s_cbranch_execnz .LBB328_1121
	s_branch .LBB328_1122
.LBB328_1138:
	s_mov_b32 s1, -1
                                        ; implicit-def: $vgpr2
	s_branch .LBB328_1143
.LBB328_1139:
	s_mov_b32 s1, -1
                                        ; implicit-def: $vgpr2
.LBB328_1140:
	s_delay_alu instid0(SALU_CYCLE_1)
	s_and_b32 vcc_lo, exec_lo, s1
	s_cbranch_vccz .LBB328_1142
; %bb.1141:
	global_load_u8 v2, v[0:1], off
	s_waitcnt vmcnt(0)
	v_lshlrev_b32_e32 v2, 24, v2
	s_delay_alu instid0(VALU_DEP_1) | instskip(NEXT) | instid1(VALU_DEP_1)
	v_and_b32_e32 v6, 0x7f000000, v2
	v_clz_i32_u32_e32 v7, v6
	v_cmp_ne_u32_e32 vcc_lo, 0, v6
	v_add_nc_u32_e32 v9, 0x1000000, v6
	s_delay_alu instid0(VALU_DEP_3) | instskip(NEXT) | instid1(VALU_DEP_1)
	v_min_u32_e32 v7, 32, v7
	v_sub_nc_u32_e64 v7, v7, 4 clamp
	s_delay_alu instid0(VALU_DEP_1) | instskip(SKIP_1) | instid1(VALU_DEP_2)
	v_lshlrev_b32_e32 v8, v7, v6
	v_lshlrev_b32_e32 v7, 23, v7
	v_lshrrev_b32_e32 v8, 4, v8
	s_delay_alu instid0(VALU_DEP_1) | instskip(SKIP_1) | instid1(VALU_DEP_2)
	v_sub_nc_u32_e32 v7, v8, v7
	v_ashrrev_i32_e32 v8, 8, v9
	v_add_nc_u32_e32 v7, 0x3c000000, v7
	s_delay_alu instid0(VALU_DEP_1) | instskip(NEXT) | instid1(VALU_DEP_1)
	v_and_or_b32 v7, 0x7f800000, v8, v7
	v_cndmask_b32_e32 v6, 0, v7, vcc_lo
	s_delay_alu instid0(VALU_DEP_1)
	v_and_or_b32 v2, 0x80000000, v2, v6
.LBB328_1142:
	s_mov_b32 s1, 0
.LBB328_1143:
	s_delay_alu instid0(SALU_CYCLE_1)
	s_and_not1_b32 vcc_lo, exec_lo, s1
	s_cbranch_vccnz .LBB328_1145
; %bb.1144:
	global_load_u8 v2, v[0:1], off
	s_waitcnt vmcnt(0)
	v_lshlrev_b32_e32 v6, 25, v2
	v_lshlrev_b16 v2, 8, v2
	s_delay_alu instid0(VALU_DEP_2) | instskip(NEXT) | instid1(VALU_DEP_2)
	v_lshrrev_b32_e32 v7, 4, v6
	v_and_or_b32 v8, 0x7f00, v2, 0.5
	v_bfe_i32 v2, v2, 0, 16
	s_delay_alu instid0(VALU_DEP_3) | instskip(NEXT) | instid1(VALU_DEP_1)
	v_or_b32_e32 v7, 0x70000000, v7
	v_dual_add_f32 v8, -0.5, v8 :: v_dual_mul_f32 v7, 0x7800000, v7
	v_cmp_gt_u32_e32 vcc_lo, 0x8000000, v6
	s_delay_alu instid0(VALU_DEP_2) | instskip(NEXT) | instid1(VALU_DEP_1)
	v_cndmask_b32_e32 v6, v7, v8, vcc_lo
	v_and_or_b32 v2, 0x80000000, v2, v6
.LBB328_1145:
	s_mov_b32 s14, -1
	s_mov_b32 s13, 0
	s_cbranch_execnz .LBB328_1156
.LBB328_1146:
	v_cmp_lt_i16_e32 vcc_lo, 14, v5
	s_cbranch_vccz .LBB328_1149
; %bb.1147:
	v_cmp_eq_u16_e32 vcc_lo, 15, v5
	s_cbranch_vccz .LBB328_1152
; %bb.1148:
	global_load_u16 v2, v[0:1], off
	s_mov_b32 s0, 0
	s_mov_b32 s14, -1
	s_waitcnt vmcnt(0)
	v_lshlrev_b32_e32 v2, 16, v2
	s_branch .LBB328_1153
.LBB328_1149:
	s_mov_b32 s1, -1
                                        ; implicit-def: $vgpr2
	s_branch .LBB328_1154
.LBB328_1150:
	s_or_saveexec_b32 s14, s14
	v_mov_b32_e32 v2, s13
	s_xor_b32 exec_lo, exec_lo, s14
	s_cbranch_execz .LBB328_1132
.LBB328_1151:
	v_cmp_ne_u16_e32 vcc_lo, 0, v6
	v_mov_b32_e32 v2, 0
	s_and_not1_b32 s1, s1, exec_lo
	s_and_b32 s13, vcc_lo, exec_lo
	s_delay_alu instid0(SALU_CYCLE_1)
	s_or_b32 s1, s1, s13
	s_or_b32 exec_lo, exec_lo, s14
	s_and_saveexec_b32 s13, s1
	s_cbranch_execnz .LBB328_1133
	s_branch .LBB328_1134
.LBB328_1152:
	s_mov_b32 s0, -1
                                        ; implicit-def: $vgpr2
.LBB328_1153:
	s_mov_b32 s1, 0
.LBB328_1154:
	s_delay_alu instid0(SALU_CYCLE_1)
	s_and_b32 vcc_lo, exec_lo, s1
	s_cbranch_vccz .LBB328_1156
; %bb.1155:
	v_cmp_ne_u16_e64 s0, 11, v5
	s_mov_b32 s13, -1
                                        ; implicit-def: $vgpr2
.LBB328_1156:
	s_delay_alu instid0(VALU_DEP_1)
	s_and_b32 vcc_lo, exec_lo, s0
	s_mov_b32 s1, s12
	s_cbranch_vccnz .LBB328_1180
; %bb.1157:
	s_and_not1_b32 vcc_lo, exec_lo, s13
	s_cbranch_vccnz .LBB328_1159
.LBB328_1158:
	global_load_u8 v2, v[0:1], off
	s_mov_b32 s14, -1
	s_waitcnt vmcnt(0)
	v_cmp_ne_u16_e32 vcc_lo, 0, v2
	v_cndmask_b32_e64 v2, 0, 1.0, vcc_lo
.LBB328_1159:
.LBB328_1160:
	s_and_not1_b32 vcc_lo, exec_lo, s14
	s_cbranch_vccnz .LBB328_1996
.LBB328_1161:
	s_lshl_b32 s9, s9, 7
	v_cmp_gt_i16_e32 vcc_lo, 11, v5
	v_add_nc_u32_e32 v3, s9, v3
	s_delay_alu instid0(VALU_DEP_1) | instskip(SKIP_1) | instid1(VALU_DEP_1)
	v_ashrrev_i32_e32 v1, 31, v3
	v_add_co_u32 v0, s0, s6, v3
	v_add_co_ci_u32_e64 v1, s0, s7, v1, s0
	s_cbranch_vccnz .LBB328_1168
; %bb.1162:
	v_cmp_lt_i16_e32 vcc_lo, 25, v5
	s_mov_b32 s13, 0
	s_cbranch_vccz .LBB328_1174
; %bb.1163:
	v_cmp_lt_i16_e32 vcc_lo, 28, v5
	s_cbranch_vccz .LBB328_1176
; %bb.1164:
	v_cmp_lt_i16_e32 vcc_lo, 43, v5
	;; [unrolled: 3-line block ×3, first 2 shown]
	s_cbranch_vccz .LBB328_1184
; %bb.1166:
	v_cmp_eq_u16_e32 vcc_lo, 46, v5
	s_mov_b32 s15, 0
	s_cbranch_vccz .LBB328_1228
; %bb.1167:
	global_load_b32 v6, v[0:1], off
	s_mov_b32 s0, 0
	s_mov_b32 s14, -1
	s_waitcnt vmcnt(0)
	v_lshlrev_b32_e32 v7, 16, v6
	s_branch .LBB328_1230
.LBB328_1168:
	s_mov_b32 s14, 0
                                        ; implicit-def: $vgpr7
	s_cbranch_execz .LBB328_1295
; %bb.1169:
	v_cmp_gt_i16_e32 vcc_lo, 5, v5
	s_cbranch_vccnz .LBB328_1175
; %bb.1170:
	v_cmp_gt_i16_e32 vcc_lo, 8, v5
	s_cbranch_vccnz .LBB328_1177
	;; [unrolled: 3-line block ×3, first 2 shown]
; %bb.1172:
	v_cmp_lt_i16_e32 vcc_lo, 9, v5
	s_cbranch_vccz .LBB328_1185
; %bb.1173:
	global_load_b64 v[6:7], v[0:1], off
	s_mov_b32 s0, 0
	s_waitcnt vmcnt(0)
	v_cvt_f32_f64_e32 v7, v[6:7]
	s_branch .LBB328_1186
.LBB328_1174:
	s_mov_b32 s14, 0
	s_mov_b32 s0, 0
                                        ; implicit-def: $vgpr7
	s_cbranch_execnz .LBB328_1259
	s_branch .LBB328_1291
.LBB328_1175:
                                        ; implicit-def: $vgpr7
	s_branch .LBB328_1204
.LBB328_1176:
	s_mov_b32 s15, -1
	s_mov_b32 s14, 0
	s_mov_b32 s0, 0
                                        ; implicit-def: $vgpr7
	s_branch .LBB328_1240
.LBB328_1177:
	s_mov_b32 s0, -1
                                        ; implicit-def: $vgpr7
	s_branch .LBB328_1192
.LBB328_1178:
	s_mov_b32 s15, -1
	s_mov_b32 s14, 0
	s_mov_b32 s0, 0
                                        ; implicit-def: $vgpr7
	s_branch .LBB328_1235
.LBB328_1179:
	s_mov_b32 s0, -1
                                        ; implicit-def: $vgpr7
	s_branch .LBB328_1189
.LBB328_1180:
	s_cbranch_execnz .LBB328_1224
; %bb.1181:
	s_or_b32 s1, s12, exec_lo
                                        ; implicit-def: $vgpr2
	s_cbranch_execz .LBB328_1158
	s_branch .LBB328_1159
.LBB328_1182:
	s_or_saveexec_b32 s17, s17
                                        ; implicit-def: $sgpr18
	s_delay_alu instid0(SALU_CYCLE_1)
	s_xor_b32 exec_lo, exec_lo, s17
	s_cbranch_execz .LBB328_944
.LBB328_1183:
	v_add_f32_e64 v3, 0x46000000, |v2|
	s_and_not1_b32 s16, s16, exec_lo
	s_mov_b32 s18, 0
	s_delay_alu instid0(VALU_DEP_1) | instskip(NEXT) | instid1(VALU_DEP_1)
	v_and_b32_e32 v3, 0xff, v3
	v_cmp_ne_u32_e32 vcc_lo, 0, v3
	s_and_b32 s19, vcc_lo, exec_lo
	s_delay_alu instid0(SALU_CYCLE_1)
	s_or_b32 s16, s16, s19
	s_or_b32 exec_lo, exec_lo, s17
	v_mov_b32_e32 v4, s18
	s_and_saveexec_b32 s17, s16
	s_cbranch_execnz .LBB328_945
	s_branch .LBB328_946
.LBB328_1184:
	s_mov_b32 s15, -1
	s_mov_b32 s14, 0
	s_mov_b32 s0, 0
	s_branch .LBB328_1229
.LBB328_1185:
	s_mov_b32 s0, -1
                                        ; implicit-def: $vgpr7
.LBB328_1186:
	s_delay_alu instid0(SALU_CYCLE_1)
	s_and_not1_b32 vcc_lo, exec_lo, s0
	s_cbranch_vccnz .LBB328_1188
; %bb.1187:
	global_load_b32 v7, v[0:1], off
.LBB328_1188:
	s_mov_b32 s0, 0
.LBB328_1189:
	s_delay_alu instid0(SALU_CYCLE_1)
	s_and_not1_b32 vcc_lo, exec_lo, s0
	s_cbranch_vccnz .LBB328_1191
; %bb.1190:
	global_load_b32 v6, v[0:1], off
	s_waitcnt vmcnt(0)
	v_cvt_f32_f16_e32 v7, v6
.LBB328_1191:
	s_mov_b32 s0, 0
.LBB328_1192:
	s_delay_alu instid0(SALU_CYCLE_1)
	s_and_not1_b32 vcc_lo, exec_lo, s0
	s_cbranch_vccnz .LBB328_1203
; %bb.1193:
	v_cmp_gt_i16_e32 vcc_lo, 6, v5
	s_cbranch_vccnz .LBB328_1196
; %bb.1194:
	v_cmp_lt_i16_e32 vcc_lo, 6, v5
	s_cbranch_vccz .LBB328_1197
; %bb.1195:
	global_load_b64 v[6:7], v[0:1], off
	s_mov_b32 s0, 0
	s_waitcnt vmcnt(0)
	v_cvt_f32_f64_e32 v7, v[6:7]
	s_branch .LBB328_1198
.LBB328_1196:
	s_mov_b32 s0, -1
                                        ; implicit-def: $vgpr7
	s_branch .LBB328_1201
.LBB328_1197:
	s_mov_b32 s0, -1
                                        ; implicit-def: $vgpr7
.LBB328_1198:
	s_delay_alu instid0(SALU_CYCLE_1)
	s_and_not1_b32 vcc_lo, exec_lo, s0
	s_cbranch_vccnz .LBB328_1200
; %bb.1199:
	global_load_b32 v7, v[0:1], off
.LBB328_1200:
	s_mov_b32 s0, 0
.LBB328_1201:
	s_delay_alu instid0(SALU_CYCLE_1)
	s_and_not1_b32 vcc_lo, exec_lo, s0
	s_cbranch_vccnz .LBB328_1203
; %bb.1202:
	global_load_u16 v6, v[0:1], off
	s_waitcnt vmcnt(0)
	v_cvt_f32_f16_e32 v7, v6
.LBB328_1203:
	s_cbranch_execnz .LBB328_1223
.LBB328_1204:
	v_cmp_gt_i16_e32 vcc_lo, 2, v5
	s_cbranch_vccnz .LBB328_1208
; %bb.1205:
	v_cmp_gt_i16_e32 vcc_lo, 3, v5
	s_cbranch_vccnz .LBB328_1209
; %bb.1206:
	v_cmp_lt_i16_e32 vcc_lo, 3, v5
	s_cbranch_vccz .LBB328_1210
; %bb.1207:
	global_load_b64 v[6:7], v[0:1], off
	s_mov_b32 s0, 0
	s_waitcnt vmcnt(0)
	v_xor_b32_e32 v8, v6, v7
	v_cls_i32_e32 v9, v7
	s_delay_alu instid0(VALU_DEP_2) | instskip(NEXT) | instid1(VALU_DEP_2)
	v_ashrrev_i32_e32 v8, 31, v8
	v_add_nc_u32_e32 v9, -1, v9
	s_delay_alu instid0(VALU_DEP_2) | instskip(NEXT) | instid1(VALU_DEP_1)
	v_add_nc_u32_e32 v8, 32, v8
	v_min_u32_e32 v8, v9, v8
	s_delay_alu instid0(VALU_DEP_1) | instskip(NEXT) | instid1(VALU_DEP_1)
	v_lshlrev_b64 v[6:7], v8, v[6:7]
	v_min_u32_e32 v6, 1, v6
	s_delay_alu instid0(VALU_DEP_1) | instskip(SKIP_1) | instid1(VALU_DEP_2)
	v_or_b32_e32 v6, v7, v6
	v_sub_nc_u32_e32 v7, 32, v8
	v_cvt_f32_i32_e32 v6, v6
	s_delay_alu instid0(VALU_DEP_1)
	v_ldexp_f32 v7, v6, v7
	s_branch .LBB328_1211
.LBB328_1208:
	s_mov_b32 s0, -1
                                        ; implicit-def: $vgpr7
	s_branch .LBB328_1217
.LBB328_1209:
	s_mov_b32 s0, -1
                                        ; implicit-def: $vgpr7
	s_branch .LBB328_1214
.LBB328_1210:
	s_mov_b32 s0, -1
                                        ; implicit-def: $vgpr7
.LBB328_1211:
	s_delay_alu instid0(SALU_CYCLE_1)
	s_and_not1_b32 vcc_lo, exec_lo, s0
	s_cbranch_vccnz .LBB328_1213
; %bb.1212:
	global_load_b32 v6, v[0:1], off
	s_waitcnt vmcnt(0)
	v_cvt_f32_i32_e32 v7, v6
.LBB328_1213:
	s_mov_b32 s0, 0
.LBB328_1214:
	s_delay_alu instid0(SALU_CYCLE_1)
	s_and_not1_b32 vcc_lo, exec_lo, s0
	s_cbranch_vccnz .LBB328_1216
; %bb.1215:
	global_load_i16 v6, v[0:1], off
	s_waitcnt vmcnt(0)
	v_cvt_f32_i32_e32 v7, v6
.LBB328_1216:
	s_mov_b32 s0, 0
.LBB328_1217:
	s_delay_alu instid0(SALU_CYCLE_1)
	s_and_not1_b32 vcc_lo, exec_lo, s0
	s_cbranch_vccnz .LBB328_1223
; %bb.1218:
	v_cmp_lt_i16_e32 vcc_lo, 0, v5
	s_mov_b32 s0, 0
	s_cbranch_vccz .LBB328_1220
; %bb.1219:
	global_load_i8 v6, v[0:1], off
	s_waitcnt vmcnt(0)
	v_cvt_f32_i32_e32 v7, v6
	s_branch .LBB328_1221
.LBB328_1220:
	s_mov_b32 s0, -1
                                        ; implicit-def: $vgpr7
.LBB328_1221:
	s_delay_alu instid0(SALU_CYCLE_1)
	s_and_not1_b32 vcc_lo, exec_lo, s0
	s_cbranch_vccnz .LBB328_1223
; %bb.1222:
	global_load_u8 v0, v[0:1], off
	s_waitcnt vmcnt(0)
	v_cvt_f32_ubyte0_e32 v7, v0
.LBB328_1223:
	s_branch .LBB328_1296
.LBB328_1224:
	s_trap 2
	s_sendmsg_rtn_b32 s0, sendmsg(MSG_RTN_GET_DOORBELL)
	s_mov_b32 ttmp2, m0
	s_waitcnt lgkmcnt(0)
	s_and_b32 s0, s0, 0x3ff
	s_delay_alu instid0(SALU_CYCLE_1) | instskip(NEXT) | instid1(SALU_CYCLE_1)
	s_bitset1_b32 s0, 10
	s_mov_b32 m0, s0
	s_sendmsg sendmsg(MSG_INTERRUPT)
	s_mov_b32 m0, ttmp2
.LBB328_1225:                           ; =>This Inner Loop Header: Depth=1
	s_sethalt 5
	s_branch .LBB328_1225
.LBB328_1226:
	s_or_saveexec_b32 s18, s18
                                        ; implicit-def: $sgpr19
	s_delay_alu instid0(SALU_CYCLE_1)
	s_xor_b32 exec_lo, exec_lo, s18
	s_cbranch_execz .LBB328_956
.LBB328_1227:
	v_add_f32_e64 v3, 0x42800000, |v2|
	s_and_not1_b32 s17, s17, exec_lo
	s_mov_b32 s19, 0
	s_delay_alu instid0(VALU_DEP_1) | instskip(NEXT) | instid1(VALU_DEP_1)
	v_and_b32_e32 v3, 0xff, v3
	v_cmp_ne_u32_e32 vcc_lo, 0, v3
	s_and_b32 s20, vcc_lo, exec_lo
	s_delay_alu instid0(SALU_CYCLE_1)
	s_or_b32 s17, s17, s20
	s_or_b32 exec_lo, exec_lo, s18
	v_mov_b32_e32 v4, s19
	s_and_saveexec_b32 s18, s17
	s_cbranch_execnz .LBB328_957
	s_branch .LBB328_958
.LBB328_1228:
	s_mov_b32 s0, -1
	s_mov_b32 s14, 0
.LBB328_1229:
                                        ; implicit-def: $vgpr7
.LBB328_1230:
	s_and_b32 vcc_lo, exec_lo, s15
	s_cbranch_vccz .LBB328_1234
; %bb.1231:
	v_cmp_eq_u16_e32 vcc_lo, 44, v5
	s_cbranch_vccz .LBB328_1233
; %bb.1232:
	global_load_u8 v6, v[0:1], off
	s_mov_b32 s0, 0
	s_mov_b32 s14, -1
	s_waitcnt vmcnt(0)
	v_lshlrev_b32_e32 v7, 23, v6
	v_cmp_ne_u32_e32 vcc_lo, 0xff, v6
	s_delay_alu instid0(VALU_DEP_2) | instskip(SKIP_1) | instid1(VALU_DEP_2)
	v_cndmask_b32_e32 v7, 0x7f800001, v7, vcc_lo
	v_cmp_ne_u32_e32 vcc_lo, 0, v6
	v_cndmask_b32_e32 v7, 0x400000, v7, vcc_lo
	s_branch .LBB328_1234
.LBB328_1233:
	s_mov_b32 s0, -1
                                        ; implicit-def: $vgpr7
.LBB328_1234:
	s_mov_b32 s15, 0
.LBB328_1235:
	s_delay_alu instid0(SALU_CYCLE_1)
	s_and_b32 vcc_lo, exec_lo, s15
	s_cbranch_vccz .LBB328_1239
; %bb.1236:
	v_cmp_eq_u16_e32 vcc_lo, 29, v5
	s_cbranch_vccz .LBB328_1238
; %bb.1237:
	global_load_b64 v[6:7], v[0:1], off
	s_mov_b32 s0, 0
	s_mov_b32 s14, -1
	s_mov_b32 s15, 0
	s_waitcnt vmcnt(0)
	v_clz_i32_u32_e32 v8, v7
	s_delay_alu instid0(VALU_DEP_1) | instskip(NEXT) | instid1(VALU_DEP_1)
	v_min_u32_e32 v8, 32, v8
	v_lshlrev_b64 v[6:7], v8, v[6:7]
	s_delay_alu instid0(VALU_DEP_1) | instskip(NEXT) | instid1(VALU_DEP_1)
	v_min_u32_e32 v6, 1, v6
	v_or_b32_e32 v6, v7, v6
	v_sub_nc_u32_e32 v7, 32, v8
	s_delay_alu instid0(VALU_DEP_2) | instskip(NEXT) | instid1(VALU_DEP_1)
	v_cvt_f32_u32_e32 v6, v6
	v_ldexp_f32 v7, v6, v7
	s_branch .LBB328_1240
.LBB328_1238:
	s_mov_b32 s0, -1
                                        ; implicit-def: $vgpr7
.LBB328_1239:
	s_mov_b32 s15, 0
.LBB328_1240:
	s_delay_alu instid0(SALU_CYCLE_1)
	s_and_b32 vcc_lo, exec_lo, s15
	s_cbranch_vccz .LBB328_1258
; %bb.1241:
	v_cmp_gt_i16_e32 vcc_lo, 27, v5
	s_cbranch_vccnz .LBB328_1244
; %bb.1242:
	v_cmp_lt_i16_e32 vcc_lo, 27, v5
	s_cbranch_vccz .LBB328_1245
; %bb.1243:
	global_load_b32 v6, v[0:1], off
	s_mov_b32 s14, 0
	s_waitcnt vmcnt(0)
	v_cvt_f32_u32_e32 v7, v6
	s_branch .LBB328_1246
.LBB328_1244:
	s_mov_b32 s14, -1
                                        ; implicit-def: $vgpr7
	s_branch .LBB328_1249
.LBB328_1245:
	s_mov_b32 s14, -1
                                        ; implicit-def: $vgpr7
.LBB328_1246:
	s_delay_alu instid0(SALU_CYCLE_1)
	s_and_not1_b32 vcc_lo, exec_lo, s14
	s_cbranch_vccnz .LBB328_1248
; %bb.1247:
	global_load_u16 v6, v[0:1], off
	s_waitcnt vmcnt(0)
	v_cvt_f32_u32_e32 v7, v6
.LBB328_1248:
	s_mov_b32 s14, 0
.LBB328_1249:
	s_delay_alu instid0(SALU_CYCLE_1)
	s_and_not1_b32 vcc_lo, exec_lo, s14
	s_cbranch_vccnz .LBB328_1257
; %bb.1250:
	global_load_u8 v6, v[0:1], off
	s_mov_b32 s14, 0
	s_mov_b32 s16, exec_lo
                                        ; implicit-def: $sgpr15
	s_waitcnt vmcnt(0)
	v_cmpx_lt_i16_e32 0x7f, v6
	s_xor_b32 s16, exec_lo, s16
	s_cbranch_execz .LBB328_1270
; %bb.1251:
	s_mov_b32 s14, -1
	s_mov_b32 s17, exec_lo
                                        ; implicit-def: $sgpr15
	v_cmpx_eq_u16_e32 0x80, v6
; %bb.1252:
	s_mov_b32 s15, 0x7f800001
	s_xor_b32 s14, exec_lo, -1
; %bb.1253:
	s_or_b32 exec_lo, exec_lo, s17
	s_delay_alu instid0(SALU_CYCLE_1)
	s_and_b32 s14, s14, exec_lo
	s_or_saveexec_b32 s16, s16
	v_mov_b32_e32 v7, s15
	s_xor_b32 exec_lo, exec_lo, s16
	s_cbranch_execnz .LBB328_1271
.LBB328_1254:
	s_or_b32 exec_lo, exec_lo, s16
	s_and_saveexec_b32 s15, s14
	s_cbranch_execz .LBB328_1256
.LBB328_1255:
	v_and_b32_e32 v7, 0xffff, v6
	v_lshlrev_b32_e32 v6, 24, v6
	s_delay_alu instid0(VALU_DEP_2) | instskip(NEXT) | instid1(VALU_DEP_2)
	v_and_b32_e32 v8, 7, v7
	v_and_b32_e32 v6, 0x80000000, v6
	s_delay_alu instid0(VALU_DEP_2) | instskip(NEXT) | instid1(VALU_DEP_1)
	v_clz_i32_u32_e32 v9, v8
	v_min_u32_e32 v9, 32, v9
	s_delay_alu instid0(VALU_DEP_1) | instskip(SKIP_1) | instid1(VALU_DEP_2)
	v_subrev_nc_u32_e32 v10, 28, v9
	v_sub_nc_u32_e32 v9, 29, v9
	v_lshlrev_b32_e32 v10, v10, v7
	v_bfe_u32 v7, v7, 3, 4
	s_delay_alu instid0(VALU_DEP_2) | instskip(NEXT) | instid1(VALU_DEP_2)
	v_and_b32_e32 v10, 7, v10
	v_cmp_eq_u32_e32 vcc_lo, 0, v7
	s_delay_alu instid0(VALU_DEP_2) | instskip(NEXT) | instid1(VALU_DEP_1)
	v_dual_cndmask_b32 v7, v7, v9 :: v_dual_cndmask_b32 v8, v8, v10
	v_lshl_add_u32 v7, v7, 23, 0x3b800000
	s_delay_alu instid0(VALU_DEP_2) | instskip(NEXT) | instid1(VALU_DEP_1)
	v_lshlrev_b32_e32 v8, 20, v8
	v_or3_b32 v7, v6, v7, v8
.LBB328_1256:
	s_or_b32 exec_lo, exec_lo, s15
.LBB328_1257:
	s_mov_b32 s14, -1
.LBB328_1258:
	s_branch .LBB328_1291
.LBB328_1259:
	v_cmp_lt_i16_e32 vcc_lo, 22, v5
	s_cbranch_vccz .LBB328_1269
; %bb.1260:
	v_cmp_gt_i16_e32 vcc_lo, 24, v5
	s_cbranch_vccnz .LBB328_1272
; %bb.1261:
	v_cmp_lt_i16_e32 vcc_lo, 24, v5
	s_cbranch_vccz .LBB328_1273
; %bb.1262:
	global_load_u8 v6, v[0:1], off
	s_mov_b32 s15, exec_lo
                                        ; implicit-def: $sgpr14
	s_waitcnt vmcnt(0)
	v_cmpx_lt_i16_e32 0x7f, v6
	s_xor_b32 s15, exec_lo, s15
	s_cbranch_execz .LBB328_1285
; %bb.1263:
	s_mov_b32 s13, -1
	s_mov_b32 s16, exec_lo
                                        ; implicit-def: $sgpr14
	v_cmpx_eq_u16_e32 0x80, v6
; %bb.1264:
	s_mov_b32 s14, 0x7f800001
	s_xor_b32 s13, exec_lo, -1
; %bb.1265:
	s_or_b32 exec_lo, exec_lo, s16
	s_delay_alu instid0(SALU_CYCLE_1)
	s_and_b32 s13, s13, exec_lo
	s_or_saveexec_b32 s15, s15
	v_mov_b32_e32 v7, s14
	s_xor_b32 exec_lo, exec_lo, s15
	s_cbranch_execnz .LBB328_1286
.LBB328_1266:
	s_or_b32 exec_lo, exec_lo, s15
	s_and_saveexec_b32 s14, s13
	s_cbranch_execz .LBB328_1268
.LBB328_1267:
	v_and_b32_e32 v7, 0xffff, v6
	v_lshlrev_b32_e32 v6, 24, v6
	s_delay_alu instid0(VALU_DEP_2) | instskip(NEXT) | instid1(VALU_DEP_2)
	v_and_b32_e32 v8, 3, v7
	v_and_b32_e32 v6, 0x80000000, v6
	s_delay_alu instid0(VALU_DEP_2) | instskip(NEXT) | instid1(VALU_DEP_1)
	v_clz_i32_u32_e32 v9, v8
	v_min_u32_e32 v9, 32, v9
	s_delay_alu instid0(VALU_DEP_1) | instskip(SKIP_1) | instid1(VALU_DEP_2)
	v_subrev_nc_u32_e32 v10, 29, v9
	v_sub_nc_u32_e32 v9, 30, v9
	v_lshlrev_b32_e32 v10, v10, v7
	v_bfe_u32 v7, v7, 2, 5
	s_delay_alu instid0(VALU_DEP_2) | instskip(NEXT) | instid1(VALU_DEP_2)
	v_and_b32_e32 v10, 3, v10
	v_cmp_eq_u32_e32 vcc_lo, 0, v7
	s_delay_alu instid0(VALU_DEP_2) | instskip(NEXT) | instid1(VALU_DEP_1)
	v_dual_cndmask_b32 v7, v7, v9 :: v_dual_cndmask_b32 v8, v8, v10
	v_lshl_add_u32 v7, v7, 23, 0x37800000
	s_delay_alu instid0(VALU_DEP_2) | instskip(NEXT) | instid1(VALU_DEP_1)
	v_lshlrev_b32_e32 v8, 21, v8
	v_or3_b32 v7, v6, v7, v8
.LBB328_1268:
	s_or_b32 exec_lo, exec_lo, s14
	s_mov_b32 s13, 0
	s_branch .LBB328_1274
.LBB328_1269:
	s_mov_b32 s13, -1
                                        ; implicit-def: $vgpr7
	s_branch .LBB328_1280
.LBB328_1270:
	s_or_saveexec_b32 s16, s16
	v_mov_b32_e32 v7, s15
	s_xor_b32 exec_lo, exec_lo, s16
	s_cbranch_execz .LBB328_1254
.LBB328_1271:
	v_cmp_ne_u16_e32 vcc_lo, 0, v6
	v_mov_b32_e32 v7, 0
	s_and_not1_b32 s14, s14, exec_lo
	s_and_b32 s15, vcc_lo, exec_lo
	s_delay_alu instid0(SALU_CYCLE_1)
	s_or_b32 s14, s14, s15
	s_or_b32 exec_lo, exec_lo, s16
	s_and_saveexec_b32 s15, s14
	s_cbranch_execnz .LBB328_1255
	s_branch .LBB328_1256
.LBB328_1272:
	s_mov_b32 s13, -1
                                        ; implicit-def: $vgpr7
	s_branch .LBB328_1277
.LBB328_1273:
	s_mov_b32 s13, -1
                                        ; implicit-def: $vgpr7
.LBB328_1274:
	s_delay_alu instid0(SALU_CYCLE_1)
	s_and_b32 vcc_lo, exec_lo, s13
	s_cbranch_vccz .LBB328_1276
; %bb.1275:
	global_load_u8 v6, v[0:1], off
	s_waitcnt vmcnt(0)
	v_lshlrev_b32_e32 v6, 24, v6
	s_delay_alu instid0(VALU_DEP_1) | instskip(NEXT) | instid1(VALU_DEP_1)
	v_and_b32_e32 v7, 0x7f000000, v6
	v_clz_i32_u32_e32 v8, v7
	v_add_nc_u32_e32 v10, 0x1000000, v7
	v_cmp_ne_u32_e32 vcc_lo, 0, v7
	s_delay_alu instid0(VALU_DEP_3) | instskip(NEXT) | instid1(VALU_DEP_1)
	v_min_u32_e32 v8, 32, v8
	v_sub_nc_u32_e64 v8, v8, 4 clamp
	s_delay_alu instid0(VALU_DEP_1) | instskip(SKIP_1) | instid1(VALU_DEP_2)
	v_lshlrev_b32_e32 v9, v8, v7
	v_lshlrev_b32_e32 v8, 23, v8
	v_lshrrev_b32_e32 v9, 4, v9
	s_delay_alu instid0(VALU_DEP_1) | instskip(SKIP_1) | instid1(VALU_DEP_2)
	v_sub_nc_u32_e32 v8, v9, v8
	v_ashrrev_i32_e32 v9, 8, v10
	v_add_nc_u32_e32 v8, 0x3c000000, v8
	s_delay_alu instid0(VALU_DEP_1) | instskip(NEXT) | instid1(VALU_DEP_1)
	v_and_or_b32 v8, 0x7f800000, v9, v8
	v_cndmask_b32_e32 v7, 0, v8, vcc_lo
	s_delay_alu instid0(VALU_DEP_1)
	v_and_or_b32 v7, 0x80000000, v6, v7
.LBB328_1276:
	s_mov_b32 s13, 0
.LBB328_1277:
	s_delay_alu instid0(SALU_CYCLE_1)
	s_and_not1_b32 vcc_lo, exec_lo, s13
	s_cbranch_vccnz .LBB328_1279
; %bb.1278:
	global_load_u8 v6, v[0:1], off
	s_waitcnt vmcnt(0)
	v_lshlrev_b32_e32 v7, 25, v6
	v_lshlrev_b16 v6, 8, v6
	s_delay_alu instid0(VALU_DEP_2) | instskip(NEXT) | instid1(VALU_DEP_2)
	v_lshrrev_b32_e32 v8, 4, v7
	v_and_or_b32 v9, 0x7f00, v6, 0.5
	v_bfe_i32 v6, v6, 0, 16
	s_delay_alu instid0(VALU_DEP_3) | instskip(NEXT) | instid1(VALU_DEP_1)
	v_or_b32_e32 v8, 0x70000000, v8
	v_dual_add_f32 v9, -0.5, v9 :: v_dual_mul_f32 v8, 0x7800000, v8
	v_cmp_gt_u32_e32 vcc_lo, 0x8000000, v7
	s_delay_alu instid0(VALU_DEP_2) | instskip(NEXT) | instid1(VALU_DEP_1)
	v_cndmask_b32_e32 v7, v8, v9, vcc_lo
	v_and_or_b32 v7, 0x80000000, v6, v7
.LBB328_1279:
	s_mov_b32 s13, 0
	s_mov_b32 s14, -1
.LBB328_1280:
	s_and_not1_b32 vcc_lo, exec_lo, s13
	s_mov_b32 s13, 0
	s_cbranch_vccnz .LBB328_1291
; %bb.1281:
	v_cmp_lt_i16_e32 vcc_lo, 14, v5
	s_cbranch_vccz .LBB328_1284
; %bb.1282:
	v_cmp_eq_u16_e32 vcc_lo, 15, v5
	s_cbranch_vccz .LBB328_1287
; %bb.1283:
	global_load_u16 v6, v[0:1], off
	s_mov_b32 s0, 0
	s_mov_b32 s14, -1
	s_waitcnt vmcnt(0)
	v_lshlrev_b32_e32 v7, 16, v6
	s_branch .LBB328_1289
.LBB328_1284:
	s_mov_b32 s13, -1
	s_branch .LBB328_1288
.LBB328_1285:
	s_or_saveexec_b32 s15, s15
	v_mov_b32_e32 v7, s14
	s_xor_b32 exec_lo, exec_lo, s15
	s_cbranch_execz .LBB328_1266
.LBB328_1286:
	v_cmp_ne_u16_e32 vcc_lo, 0, v6
	v_mov_b32_e32 v7, 0
	s_and_not1_b32 s13, s13, exec_lo
	s_and_b32 s14, vcc_lo, exec_lo
	s_delay_alu instid0(SALU_CYCLE_1)
	s_or_b32 s13, s13, s14
	s_or_b32 exec_lo, exec_lo, s15
	s_and_saveexec_b32 s14, s13
	s_cbranch_execnz .LBB328_1267
	s_branch .LBB328_1268
.LBB328_1287:
	s_mov_b32 s0, -1
.LBB328_1288:
                                        ; implicit-def: $vgpr7
.LBB328_1289:
	s_and_b32 vcc_lo, exec_lo, s13
	s_mov_b32 s13, 0
	s_cbranch_vccz .LBB328_1291
; %bb.1290:
	v_cmp_ne_u16_e64 s0, 11, v5
	s_mov_b32 s13, -1
                                        ; implicit-def: $vgpr7
.LBB328_1291:
	s_delay_alu instid0(VALU_DEP_1)
	s_and_b32 vcc_lo, exec_lo, s0
	s_cbranch_vccnz .LBB328_1315
; %bb.1292:
	s_and_not1_b32 vcc_lo, exec_lo, s13
	s_cbranch_vccnz .LBB328_1294
.LBB328_1293:
	global_load_u8 v6, v[0:1], off
	s_mov_b32 s14, -1
	s_waitcnt vmcnt(0)
	v_cmp_ne_u16_e32 vcc_lo, 0, v6
	v_cndmask_b32_e64 v7, 0, 1.0, vcc_lo
.LBB328_1294:
.LBB328_1295:
	s_and_not1_b32 vcc_lo, exec_lo, s14
	s_cbranch_vccnz .LBB328_1996
.LBB328_1296:
	v_add_nc_u32_e32 v3, s9, v3
	v_cmp_gt_i16_e32 vcc_lo, 11, v5
	s_delay_alu instid0(VALU_DEP_2) | instskip(SKIP_1) | instid1(VALU_DEP_1)
	v_ashrrev_i32_e32 v1, 31, v3
	v_add_co_u32 v0, s0, s6, v3
	v_add_co_ci_u32_e64 v1, s0, s7, v1, s0
	s_cbranch_vccnz .LBB328_1303
; %bb.1297:
	v_cmp_lt_i16_e32 vcc_lo, 25, v5
	s_mov_b32 s13, 0
	s_cbranch_vccz .LBB328_1309
; %bb.1298:
	v_cmp_lt_i16_e32 vcc_lo, 28, v5
	s_cbranch_vccz .LBB328_1311
; %bb.1299:
	v_cmp_lt_i16_e32 vcc_lo, 43, v5
	s_cbranch_vccz .LBB328_1313
; %bb.1300:
	v_cmp_lt_i16_e32 vcc_lo, 45, v5
	s_cbranch_vccz .LBB328_1317
; %bb.1301:
	v_cmp_eq_u16_e32 vcc_lo, 46, v5
	s_mov_b32 s15, 0
	s_cbranch_vccz .LBB328_1360
; %bb.1302:
	global_load_b32 v6, v[0:1], off
	s_mov_b32 s0, 0
	s_mov_b32 s14, -1
	s_waitcnt vmcnt(0)
	v_lshlrev_b32_e32 v8, 16, v6
	s_branch .LBB328_1362
.LBB328_1303:
	s_mov_b32 s14, 0
                                        ; implicit-def: $vgpr8
	s_cbranch_execz .LBB328_1428
; %bb.1304:
	v_cmp_gt_i16_e32 vcc_lo, 5, v5
	s_cbranch_vccnz .LBB328_1310
; %bb.1305:
	v_cmp_gt_i16_e32 vcc_lo, 8, v5
	s_cbranch_vccnz .LBB328_1312
; %bb.1306:
	v_cmp_gt_i16_e32 vcc_lo, 9, v5
	s_cbranch_vccnz .LBB328_1314
; %bb.1307:
	v_cmp_lt_i16_e32 vcc_lo, 9, v5
	s_cbranch_vccz .LBB328_1318
; %bb.1308:
	global_load_b64 v[8:9], v[0:1], off
	s_mov_b32 s0, 0
	s_waitcnt vmcnt(0)
	v_cvt_f32_f64_e32 v8, v[8:9]
	s_branch .LBB328_1319
.LBB328_1309:
	s_mov_b32 s15, -1
	s_mov_b32 s14, 0
	s_mov_b32 s0, 0
                                        ; implicit-def: $vgpr8
	s_branch .LBB328_1391
.LBB328_1310:
	s_mov_b32 s0, -1
                                        ; implicit-def: $vgpr8
	s_branch .LBB328_1337
.LBB328_1311:
	s_mov_b32 s15, -1
	s_mov_b32 s14, 0
	s_mov_b32 s0, 0
                                        ; implicit-def: $vgpr8
	s_branch .LBB328_1372
.LBB328_1312:
	s_mov_b32 s0, -1
                                        ; implicit-def: $vgpr8
	s_branch .LBB328_1325
.LBB328_1313:
	s_mov_b32 s15, -1
	s_mov_b32 s14, 0
	s_mov_b32 s0, 0
                                        ; implicit-def: $vgpr8
	s_branch .LBB328_1367
.LBB328_1314:
	s_mov_b32 s0, -1
                                        ; implicit-def: $vgpr8
	s_branch .LBB328_1322
.LBB328_1315:
	s_cbranch_execnz .LBB328_1358
; %bb.1316:
	s_or_b32 s1, s1, exec_lo
                                        ; implicit-def: $vgpr7
	s_cbranch_execz .LBB328_1293
	s_branch .LBB328_1294
.LBB328_1317:
	s_mov_b32 s15, -1
	s_mov_b32 s14, 0
	s_mov_b32 s0, 0
	s_branch .LBB328_1361
.LBB328_1318:
	s_mov_b32 s0, -1
                                        ; implicit-def: $vgpr8
.LBB328_1319:
	s_delay_alu instid0(SALU_CYCLE_1)
	s_and_not1_b32 vcc_lo, exec_lo, s0
	s_cbranch_vccnz .LBB328_1321
; %bb.1320:
	global_load_b32 v8, v[0:1], off
.LBB328_1321:
	s_mov_b32 s0, 0
.LBB328_1322:
	s_delay_alu instid0(SALU_CYCLE_1)
	s_and_not1_b32 vcc_lo, exec_lo, s0
	s_cbranch_vccnz .LBB328_1324
; %bb.1323:
	global_load_b32 v6, v[0:1], off
	s_waitcnt vmcnt(0)
	v_cvt_f32_f16_e32 v8, v6
.LBB328_1324:
	s_mov_b32 s0, 0
.LBB328_1325:
	s_delay_alu instid0(SALU_CYCLE_1)
	s_and_not1_b32 vcc_lo, exec_lo, s0
	s_cbranch_vccnz .LBB328_1336
; %bb.1326:
	v_cmp_gt_i16_e32 vcc_lo, 6, v5
	s_cbranch_vccnz .LBB328_1329
; %bb.1327:
	v_cmp_lt_i16_e32 vcc_lo, 6, v5
	s_cbranch_vccz .LBB328_1330
; %bb.1328:
	global_load_b64 v[8:9], v[0:1], off
	s_mov_b32 s0, 0
	s_waitcnt vmcnt(0)
	v_cvt_f32_f64_e32 v8, v[8:9]
	s_branch .LBB328_1331
.LBB328_1329:
	s_mov_b32 s0, -1
                                        ; implicit-def: $vgpr8
	s_branch .LBB328_1334
.LBB328_1330:
	s_mov_b32 s0, -1
                                        ; implicit-def: $vgpr8
.LBB328_1331:
	s_delay_alu instid0(SALU_CYCLE_1)
	s_and_not1_b32 vcc_lo, exec_lo, s0
	s_cbranch_vccnz .LBB328_1333
; %bb.1332:
	global_load_b32 v8, v[0:1], off
.LBB328_1333:
	s_mov_b32 s0, 0
.LBB328_1334:
	s_delay_alu instid0(SALU_CYCLE_1)
	s_and_not1_b32 vcc_lo, exec_lo, s0
	s_cbranch_vccnz .LBB328_1336
; %bb.1335:
	global_load_u16 v6, v[0:1], off
	s_waitcnt vmcnt(0)
	v_cvt_f32_f16_e32 v8, v6
.LBB328_1336:
	s_mov_b32 s0, 0
.LBB328_1337:
	s_delay_alu instid0(SALU_CYCLE_1)
	s_and_not1_b32 vcc_lo, exec_lo, s0
	s_cbranch_vccnz .LBB328_1357
; %bb.1338:
	v_cmp_gt_i16_e32 vcc_lo, 2, v5
	s_cbranch_vccnz .LBB328_1342
; %bb.1339:
	v_cmp_gt_i16_e32 vcc_lo, 3, v5
	s_cbranch_vccnz .LBB328_1343
; %bb.1340:
	v_cmp_lt_i16_e32 vcc_lo, 3, v5
	s_cbranch_vccz .LBB328_1344
; %bb.1341:
	global_load_b64 v[8:9], v[0:1], off
	s_mov_b32 s0, 0
	s_waitcnt vmcnt(0)
	v_xor_b32_e32 v6, v8, v9
	v_cls_i32_e32 v10, v9
	s_delay_alu instid0(VALU_DEP_2) | instskip(NEXT) | instid1(VALU_DEP_2)
	v_ashrrev_i32_e32 v6, 31, v6
	v_add_nc_u32_e32 v10, -1, v10
	s_delay_alu instid0(VALU_DEP_2) | instskip(NEXT) | instid1(VALU_DEP_1)
	v_add_nc_u32_e32 v6, 32, v6
	v_min_u32_e32 v6, v10, v6
	s_delay_alu instid0(VALU_DEP_1) | instskip(SKIP_1) | instid1(VALU_DEP_2)
	v_lshlrev_b64 v[8:9], v6, v[8:9]
	v_sub_nc_u32_e32 v6, 32, v6
	v_min_u32_e32 v8, 1, v8
	s_delay_alu instid0(VALU_DEP_1) | instskip(NEXT) | instid1(VALU_DEP_1)
	v_or_b32_e32 v8, v9, v8
	v_cvt_f32_i32_e32 v8, v8
	s_delay_alu instid0(VALU_DEP_1)
	v_ldexp_f32 v8, v8, v6
	s_branch .LBB328_1345
.LBB328_1342:
	s_mov_b32 s0, -1
                                        ; implicit-def: $vgpr8
	s_branch .LBB328_1351
.LBB328_1343:
	s_mov_b32 s0, -1
                                        ; implicit-def: $vgpr8
	s_branch .LBB328_1348
.LBB328_1344:
	s_mov_b32 s0, -1
                                        ; implicit-def: $vgpr8
.LBB328_1345:
	s_delay_alu instid0(SALU_CYCLE_1)
	s_and_not1_b32 vcc_lo, exec_lo, s0
	s_cbranch_vccnz .LBB328_1347
; %bb.1346:
	global_load_b32 v6, v[0:1], off
	s_waitcnt vmcnt(0)
	v_cvt_f32_i32_e32 v8, v6
.LBB328_1347:
	s_mov_b32 s0, 0
.LBB328_1348:
	s_delay_alu instid0(SALU_CYCLE_1)
	s_and_not1_b32 vcc_lo, exec_lo, s0
	s_cbranch_vccnz .LBB328_1350
; %bb.1349:
	global_load_i16 v6, v[0:1], off
	s_waitcnt vmcnt(0)
	v_cvt_f32_i32_e32 v8, v6
.LBB328_1350:
	s_mov_b32 s0, 0
.LBB328_1351:
	s_delay_alu instid0(SALU_CYCLE_1)
	s_and_not1_b32 vcc_lo, exec_lo, s0
	s_cbranch_vccnz .LBB328_1357
; %bb.1352:
	v_cmp_lt_i16_e32 vcc_lo, 0, v5
	s_mov_b32 s0, 0
	s_cbranch_vccz .LBB328_1354
; %bb.1353:
	global_load_i8 v6, v[0:1], off
	s_waitcnt vmcnt(0)
	v_cvt_f32_i32_e32 v8, v6
	s_branch .LBB328_1355
.LBB328_1354:
	s_mov_b32 s0, -1
                                        ; implicit-def: $vgpr8
.LBB328_1355:
	s_delay_alu instid0(SALU_CYCLE_1)
	s_and_not1_b32 vcc_lo, exec_lo, s0
	s_cbranch_vccnz .LBB328_1357
; %bb.1356:
	global_load_u8 v0, v[0:1], off
	s_waitcnt vmcnt(0)
	v_cvt_f32_ubyte0_e32 v8, v0
.LBB328_1357:
	s_branch .LBB328_1429
.LBB328_1358:
	s_trap 2
	s_sendmsg_rtn_b32 s0, sendmsg(MSG_RTN_GET_DOORBELL)
	s_mov_b32 ttmp2, m0
	s_waitcnt lgkmcnt(0)
	s_and_b32 s0, s0, 0x3ff
	s_delay_alu instid0(SALU_CYCLE_1) | instskip(NEXT) | instid1(SALU_CYCLE_1)
	s_bitset1_b32 s0, 10
	s_mov_b32 m0, s0
	s_sendmsg sendmsg(MSG_INTERRUPT)
	s_mov_b32 m0, ttmp2
.LBB328_1359:                           ; =>This Inner Loop Header: Depth=1
	s_sethalt 5
	s_branch .LBB328_1359
.LBB328_1360:
	s_mov_b32 s0, -1
	s_mov_b32 s14, 0
.LBB328_1361:
                                        ; implicit-def: $vgpr8
.LBB328_1362:
	s_and_b32 vcc_lo, exec_lo, s15
	s_cbranch_vccz .LBB328_1366
; %bb.1363:
	v_cmp_eq_u16_e32 vcc_lo, 44, v5
	s_cbranch_vccz .LBB328_1365
; %bb.1364:
	global_load_u8 v6, v[0:1], off
	s_mov_b32 s0, 0
	s_mov_b32 s14, -1
	s_waitcnt vmcnt(0)
	v_lshlrev_b32_e32 v8, 23, v6
	v_cmp_ne_u32_e32 vcc_lo, 0xff, v6
	s_delay_alu instid0(VALU_DEP_2) | instskip(SKIP_1) | instid1(VALU_DEP_2)
	v_cndmask_b32_e32 v8, 0x7f800001, v8, vcc_lo
	v_cmp_ne_u32_e32 vcc_lo, 0, v6
	v_cndmask_b32_e32 v8, 0x400000, v8, vcc_lo
	s_branch .LBB328_1366
.LBB328_1365:
	s_mov_b32 s0, -1
                                        ; implicit-def: $vgpr8
.LBB328_1366:
	s_mov_b32 s15, 0
.LBB328_1367:
	s_delay_alu instid0(SALU_CYCLE_1)
	s_and_b32 vcc_lo, exec_lo, s15
	s_cbranch_vccz .LBB328_1371
; %bb.1368:
	v_cmp_eq_u16_e32 vcc_lo, 29, v5
	s_cbranch_vccz .LBB328_1370
; %bb.1369:
	global_load_b64 v[8:9], v[0:1], off
	s_mov_b32 s0, 0
	s_mov_b32 s14, -1
	s_mov_b32 s15, 0
	s_waitcnt vmcnt(0)
	v_clz_i32_u32_e32 v6, v9
	s_delay_alu instid0(VALU_DEP_1) | instskip(NEXT) | instid1(VALU_DEP_1)
	v_min_u32_e32 v6, 32, v6
	v_lshlrev_b64 v[8:9], v6, v[8:9]
	v_sub_nc_u32_e32 v6, 32, v6
	s_delay_alu instid0(VALU_DEP_2) | instskip(NEXT) | instid1(VALU_DEP_1)
	v_min_u32_e32 v8, 1, v8
	v_or_b32_e32 v8, v9, v8
	s_delay_alu instid0(VALU_DEP_1) | instskip(NEXT) | instid1(VALU_DEP_1)
	v_cvt_f32_u32_e32 v8, v8
	v_ldexp_f32 v8, v8, v6
	s_branch .LBB328_1372
.LBB328_1370:
	s_mov_b32 s0, -1
                                        ; implicit-def: $vgpr8
.LBB328_1371:
	s_mov_b32 s15, 0
.LBB328_1372:
	s_delay_alu instid0(SALU_CYCLE_1)
	s_and_b32 vcc_lo, exec_lo, s15
	s_cbranch_vccz .LBB328_1390
; %bb.1373:
	v_cmp_gt_i16_e32 vcc_lo, 27, v5
	s_cbranch_vccnz .LBB328_1376
; %bb.1374:
	v_cmp_lt_i16_e32 vcc_lo, 27, v5
	s_cbranch_vccz .LBB328_1377
; %bb.1375:
	global_load_b32 v6, v[0:1], off
	s_mov_b32 s14, 0
	s_waitcnt vmcnt(0)
	v_cvt_f32_u32_e32 v8, v6
	s_branch .LBB328_1378
.LBB328_1376:
	s_mov_b32 s14, -1
                                        ; implicit-def: $vgpr8
	s_branch .LBB328_1381
.LBB328_1377:
	s_mov_b32 s14, -1
                                        ; implicit-def: $vgpr8
.LBB328_1378:
	s_delay_alu instid0(SALU_CYCLE_1)
	s_and_not1_b32 vcc_lo, exec_lo, s14
	s_cbranch_vccnz .LBB328_1380
; %bb.1379:
	global_load_u16 v6, v[0:1], off
	s_waitcnt vmcnt(0)
	v_cvt_f32_u32_e32 v8, v6
.LBB328_1380:
	s_mov_b32 s14, 0
.LBB328_1381:
	s_delay_alu instid0(SALU_CYCLE_1)
	s_and_not1_b32 vcc_lo, exec_lo, s14
	s_cbranch_vccnz .LBB328_1389
; %bb.1382:
	global_load_u8 v6, v[0:1], off
	s_mov_b32 s14, 0
	s_mov_b32 s16, exec_lo
                                        ; implicit-def: $sgpr15
	s_waitcnt vmcnt(0)
	v_cmpx_lt_i16_e32 0x7f, v6
	s_xor_b32 s16, exec_lo, s16
	s_cbranch_execz .LBB328_1403
; %bb.1383:
	s_mov_b32 s14, -1
	s_mov_b32 s17, exec_lo
                                        ; implicit-def: $sgpr15
	v_cmpx_eq_u16_e32 0x80, v6
; %bb.1384:
	s_mov_b32 s15, 0x7f800001
	s_xor_b32 s14, exec_lo, -1
; %bb.1385:
	s_or_b32 exec_lo, exec_lo, s17
	s_delay_alu instid0(SALU_CYCLE_1)
	s_and_b32 s14, s14, exec_lo
	s_or_saveexec_b32 s16, s16
	v_mov_b32_e32 v8, s15
	s_xor_b32 exec_lo, exec_lo, s16
	s_cbranch_execnz .LBB328_1404
.LBB328_1386:
	s_or_b32 exec_lo, exec_lo, s16
	s_and_saveexec_b32 s15, s14
	s_cbranch_execz .LBB328_1388
.LBB328_1387:
	v_and_b32_e32 v8, 0xffff, v6
	v_lshlrev_b32_e32 v6, 24, v6
	s_delay_alu instid0(VALU_DEP_2) | instskip(NEXT) | instid1(VALU_DEP_2)
	v_and_b32_e32 v9, 7, v8
	v_and_b32_e32 v6, 0x80000000, v6
	s_delay_alu instid0(VALU_DEP_2) | instskip(NEXT) | instid1(VALU_DEP_1)
	v_clz_i32_u32_e32 v10, v9
	v_min_u32_e32 v10, 32, v10
	s_delay_alu instid0(VALU_DEP_1) | instskip(SKIP_1) | instid1(VALU_DEP_2)
	v_subrev_nc_u32_e32 v11, 28, v10
	v_sub_nc_u32_e32 v10, 29, v10
	v_lshlrev_b32_e32 v11, v11, v8
	v_bfe_u32 v8, v8, 3, 4
	s_delay_alu instid0(VALU_DEP_2) | instskip(NEXT) | instid1(VALU_DEP_2)
	v_and_b32_e32 v11, 7, v11
	v_cmp_eq_u32_e32 vcc_lo, 0, v8
	s_delay_alu instid0(VALU_DEP_2) | instskip(NEXT) | instid1(VALU_DEP_1)
	v_dual_cndmask_b32 v8, v8, v10 :: v_dual_cndmask_b32 v9, v9, v11
	v_lshl_add_u32 v8, v8, 23, 0x3b800000
	s_delay_alu instid0(VALU_DEP_2) | instskip(NEXT) | instid1(VALU_DEP_1)
	v_lshlrev_b32_e32 v9, 20, v9
	v_or3_b32 v8, v6, v8, v9
.LBB328_1388:
	s_or_b32 exec_lo, exec_lo, s15
.LBB328_1389:
	s_mov_b32 s14, -1
.LBB328_1390:
	s_mov_b32 s15, 0
.LBB328_1391:
	s_delay_alu instid0(SALU_CYCLE_1)
	s_and_b32 vcc_lo, exec_lo, s15
	s_cbranch_vccz .LBB328_1424
; %bb.1392:
	v_cmp_lt_i16_e32 vcc_lo, 22, v5
	s_cbranch_vccz .LBB328_1402
; %bb.1393:
	v_cmp_gt_i16_e32 vcc_lo, 24, v5
	s_cbranch_vccnz .LBB328_1405
; %bb.1394:
	v_cmp_lt_i16_e32 vcc_lo, 24, v5
	s_cbranch_vccz .LBB328_1406
; %bb.1395:
	global_load_u8 v6, v[0:1], off
	s_mov_b32 s15, exec_lo
                                        ; implicit-def: $sgpr14
	s_waitcnt vmcnt(0)
	v_cmpx_lt_i16_e32 0x7f, v6
	s_xor_b32 s15, exec_lo, s15
	s_cbranch_execz .LBB328_1418
; %bb.1396:
	s_mov_b32 s13, -1
	s_mov_b32 s16, exec_lo
                                        ; implicit-def: $sgpr14
	v_cmpx_eq_u16_e32 0x80, v6
; %bb.1397:
	s_mov_b32 s14, 0x7f800001
	s_xor_b32 s13, exec_lo, -1
; %bb.1398:
	s_or_b32 exec_lo, exec_lo, s16
	s_delay_alu instid0(SALU_CYCLE_1)
	s_and_b32 s13, s13, exec_lo
	s_or_saveexec_b32 s15, s15
	v_mov_b32_e32 v8, s14
	s_xor_b32 exec_lo, exec_lo, s15
	s_cbranch_execnz .LBB328_1419
.LBB328_1399:
	s_or_b32 exec_lo, exec_lo, s15
	s_and_saveexec_b32 s14, s13
	s_cbranch_execz .LBB328_1401
.LBB328_1400:
	v_and_b32_e32 v8, 0xffff, v6
	v_lshlrev_b32_e32 v6, 24, v6
	s_delay_alu instid0(VALU_DEP_2) | instskip(NEXT) | instid1(VALU_DEP_2)
	v_and_b32_e32 v9, 3, v8
	v_and_b32_e32 v6, 0x80000000, v6
	s_delay_alu instid0(VALU_DEP_2) | instskip(NEXT) | instid1(VALU_DEP_1)
	v_clz_i32_u32_e32 v10, v9
	v_min_u32_e32 v10, 32, v10
	s_delay_alu instid0(VALU_DEP_1) | instskip(SKIP_1) | instid1(VALU_DEP_2)
	v_subrev_nc_u32_e32 v11, 29, v10
	v_sub_nc_u32_e32 v10, 30, v10
	v_lshlrev_b32_e32 v11, v11, v8
	v_bfe_u32 v8, v8, 2, 5
	s_delay_alu instid0(VALU_DEP_2) | instskip(NEXT) | instid1(VALU_DEP_2)
	v_and_b32_e32 v11, 3, v11
	v_cmp_eq_u32_e32 vcc_lo, 0, v8
	s_delay_alu instid0(VALU_DEP_2) | instskip(NEXT) | instid1(VALU_DEP_1)
	v_dual_cndmask_b32 v8, v8, v10 :: v_dual_cndmask_b32 v9, v9, v11
	v_lshl_add_u32 v8, v8, 23, 0x37800000
	s_delay_alu instid0(VALU_DEP_2) | instskip(NEXT) | instid1(VALU_DEP_1)
	v_lshlrev_b32_e32 v9, 21, v9
	v_or3_b32 v8, v6, v8, v9
.LBB328_1401:
	s_or_b32 exec_lo, exec_lo, s14
	s_mov_b32 s13, 0
	s_branch .LBB328_1407
.LBB328_1402:
	s_mov_b32 s13, -1
                                        ; implicit-def: $vgpr8
	s_branch .LBB328_1413
.LBB328_1403:
	s_or_saveexec_b32 s16, s16
	v_mov_b32_e32 v8, s15
	s_xor_b32 exec_lo, exec_lo, s16
	s_cbranch_execz .LBB328_1386
.LBB328_1404:
	v_cmp_ne_u16_e32 vcc_lo, 0, v6
	v_mov_b32_e32 v8, 0
	s_and_not1_b32 s14, s14, exec_lo
	s_and_b32 s15, vcc_lo, exec_lo
	s_delay_alu instid0(SALU_CYCLE_1)
	s_or_b32 s14, s14, s15
	s_or_b32 exec_lo, exec_lo, s16
	s_and_saveexec_b32 s15, s14
	s_cbranch_execnz .LBB328_1387
	s_branch .LBB328_1388
.LBB328_1405:
	s_mov_b32 s13, -1
                                        ; implicit-def: $vgpr8
	s_branch .LBB328_1410
.LBB328_1406:
	s_mov_b32 s13, -1
                                        ; implicit-def: $vgpr8
.LBB328_1407:
	s_delay_alu instid0(SALU_CYCLE_1)
	s_and_b32 vcc_lo, exec_lo, s13
	s_cbranch_vccz .LBB328_1409
; %bb.1408:
	global_load_u8 v6, v[0:1], off
	s_waitcnt vmcnt(0)
	v_lshlrev_b32_e32 v6, 24, v6
	s_delay_alu instid0(VALU_DEP_1) | instskip(NEXT) | instid1(VALU_DEP_1)
	v_and_b32_e32 v8, 0x7f000000, v6
	v_clz_i32_u32_e32 v9, v8
	v_cmp_ne_u32_e32 vcc_lo, 0, v8
	v_add_nc_u32_e32 v11, 0x1000000, v8
	s_delay_alu instid0(VALU_DEP_3) | instskip(NEXT) | instid1(VALU_DEP_1)
	v_min_u32_e32 v9, 32, v9
	v_sub_nc_u32_e64 v9, v9, 4 clamp
	s_delay_alu instid0(VALU_DEP_1) | instskip(SKIP_1) | instid1(VALU_DEP_2)
	v_lshlrev_b32_e32 v10, v9, v8
	v_lshlrev_b32_e32 v9, 23, v9
	v_lshrrev_b32_e32 v10, 4, v10
	s_delay_alu instid0(VALU_DEP_1) | instskip(SKIP_1) | instid1(VALU_DEP_2)
	v_sub_nc_u32_e32 v9, v10, v9
	v_ashrrev_i32_e32 v10, 8, v11
	v_add_nc_u32_e32 v9, 0x3c000000, v9
	s_delay_alu instid0(VALU_DEP_1) | instskip(NEXT) | instid1(VALU_DEP_1)
	v_and_or_b32 v9, 0x7f800000, v10, v9
	v_cndmask_b32_e32 v8, 0, v9, vcc_lo
	s_delay_alu instid0(VALU_DEP_1)
	v_and_or_b32 v8, 0x80000000, v6, v8
.LBB328_1409:
	s_mov_b32 s13, 0
.LBB328_1410:
	s_delay_alu instid0(SALU_CYCLE_1)
	s_and_not1_b32 vcc_lo, exec_lo, s13
	s_cbranch_vccnz .LBB328_1412
; %bb.1411:
	global_load_u8 v6, v[0:1], off
	s_waitcnt vmcnt(0)
	v_lshlrev_b32_e32 v8, 25, v6
	v_lshlrev_b16 v6, 8, v6
	s_delay_alu instid0(VALU_DEP_2) | instskip(NEXT) | instid1(VALU_DEP_2)
	v_lshrrev_b32_e32 v9, 4, v8
	v_and_or_b32 v10, 0x7f00, v6, 0.5
	v_bfe_i32 v6, v6, 0, 16
	s_delay_alu instid0(VALU_DEP_3) | instskip(NEXT) | instid1(VALU_DEP_1)
	v_or_b32_e32 v9, 0x70000000, v9
	v_dual_add_f32 v10, -0.5, v10 :: v_dual_mul_f32 v9, 0x7800000, v9
	v_cmp_gt_u32_e32 vcc_lo, 0x8000000, v8
	s_delay_alu instid0(VALU_DEP_2) | instskip(NEXT) | instid1(VALU_DEP_1)
	v_cndmask_b32_e32 v8, v9, v10, vcc_lo
	v_and_or_b32 v8, 0x80000000, v6, v8
.LBB328_1412:
	s_mov_b32 s13, 0
	s_mov_b32 s14, -1
.LBB328_1413:
	s_and_not1_b32 vcc_lo, exec_lo, s13
	s_mov_b32 s13, 0
	s_cbranch_vccnz .LBB328_1424
; %bb.1414:
	v_cmp_lt_i16_e32 vcc_lo, 14, v5
	s_cbranch_vccz .LBB328_1417
; %bb.1415:
	v_cmp_eq_u16_e32 vcc_lo, 15, v5
	s_cbranch_vccz .LBB328_1420
; %bb.1416:
	global_load_u16 v6, v[0:1], off
	s_mov_b32 s0, 0
	s_mov_b32 s14, -1
	s_waitcnt vmcnt(0)
	v_lshlrev_b32_e32 v8, 16, v6
	s_branch .LBB328_1422
.LBB328_1417:
	s_mov_b32 s13, -1
	s_branch .LBB328_1421
.LBB328_1418:
	s_or_saveexec_b32 s15, s15
	v_mov_b32_e32 v8, s14
	s_xor_b32 exec_lo, exec_lo, s15
	s_cbranch_execz .LBB328_1399
.LBB328_1419:
	v_cmp_ne_u16_e32 vcc_lo, 0, v6
	v_mov_b32_e32 v8, 0
	s_and_not1_b32 s13, s13, exec_lo
	s_and_b32 s14, vcc_lo, exec_lo
	s_delay_alu instid0(SALU_CYCLE_1)
	s_or_b32 s13, s13, s14
	s_or_b32 exec_lo, exec_lo, s15
	s_and_saveexec_b32 s14, s13
	s_cbranch_execnz .LBB328_1400
	s_branch .LBB328_1401
.LBB328_1420:
	s_mov_b32 s0, -1
.LBB328_1421:
                                        ; implicit-def: $vgpr8
.LBB328_1422:
	s_and_b32 vcc_lo, exec_lo, s13
	s_mov_b32 s13, 0
	s_cbranch_vccz .LBB328_1424
; %bb.1423:
	v_cmp_ne_u16_e64 s0, 11, v5
	s_mov_b32 s13, -1
                                        ; implicit-def: $vgpr8
.LBB328_1424:
	s_delay_alu instid0(VALU_DEP_1)
	s_and_b32 vcc_lo, exec_lo, s0
	s_cbranch_vccnz .LBB328_1440
; %bb.1425:
	s_and_not1_b32 vcc_lo, exec_lo, s13
	s_cbranch_vccnz .LBB328_1427
.LBB328_1426:
	global_load_u8 v6, v[0:1], off
	s_mov_b32 s14, -1
	s_waitcnt vmcnt(0)
	v_cmp_ne_u16_e32 vcc_lo, 0, v6
	v_cndmask_b32_e64 v8, 0, 1.0, vcc_lo
.LBB328_1427:
.LBB328_1428:
	s_and_not1_b32 vcc_lo, exec_lo, s14
	s_cbranch_vccnz .LBB328_1996
.LBB328_1429:
	v_add_nc_u32_e32 v0, s9, v3
	v_cmp_gt_i16_e32 vcc_lo, 11, v5
	s_delay_alu instid0(VALU_DEP_2) | instskip(SKIP_1) | instid1(VALU_DEP_1)
	v_ashrrev_i32_e32 v1, 31, v0
	v_add_co_u32 v0, s0, s6, v0
	v_add_co_ci_u32_e64 v1, s0, s7, v1, s0
	s_cbranch_vccnz .LBB328_1436
; %bb.1430:
	v_cmp_lt_i16_e32 vcc_lo, 25, v5
	s_mov_b32 s6, 0
	s_cbranch_vccz .LBB328_1437
; %bb.1431:
	v_cmp_lt_i16_e32 vcc_lo, 28, v5
	s_cbranch_vccz .LBB328_1438
; %bb.1432:
	v_cmp_lt_i16_e32 vcc_lo, 43, v5
	;; [unrolled: 3-line block ×3, first 2 shown]
	s_cbranch_vccz .LBB328_1442
; %bb.1434:
	v_cmp_eq_u16_e32 vcc_lo, 46, v5
	s_mov_b32 s9, 0
	s_cbranch_vccz .LBB328_1445
; %bb.1435:
	global_load_b32 v3, v[0:1], off
	s_mov_b32 s0, 0
	s_mov_b32 s7, -1
	s_waitcnt vmcnt(0)
	v_lshlrev_b32_e32 v9, 16, v3
	s_branch .LBB328_1447
.LBB328_1436:
	s_mov_b32 s0, -1
	s_mov_b32 s7, 0
                                        ; implicit-def: $vgpr9
	s_branch .LBB328_1513
.LBB328_1437:
	s_mov_b32 s9, -1
	s_mov_b32 s7, 0
	s_mov_b32 s0, 0
                                        ; implicit-def: $vgpr9
	s_branch .LBB328_1476
.LBB328_1438:
	s_mov_b32 s9, -1
	s_mov_b32 s7, 0
	s_mov_b32 s0, 0
                                        ; implicit-def: $vgpr9
	s_branch .LBB328_1457
.LBB328_1439:
	s_mov_b32 s9, -1
	s_mov_b32 s7, 0
	s_mov_b32 s0, 0
                                        ; implicit-def: $vgpr9
	s_branch .LBB328_1452
.LBB328_1440:
	s_cbranch_execnz .LBB328_1443
; %bb.1441:
	s_or_b32 s1, s1, exec_lo
                                        ; implicit-def: $vgpr8
	s_cbranch_execz .LBB328_1426
	s_branch .LBB328_1427
.LBB328_1442:
	s_mov_b32 s9, -1
	s_mov_b32 s7, 0
	s_mov_b32 s0, 0
	s_branch .LBB328_1446
.LBB328_1443:
	s_trap 2
	s_sendmsg_rtn_b32 s0, sendmsg(MSG_RTN_GET_DOORBELL)
	s_mov_b32 ttmp2, m0
	s_waitcnt lgkmcnt(0)
	s_and_b32 s0, s0, 0x3ff
	s_delay_alu instid0(SALU_CYCLE_1) | instskip(NEXT) | instid1(SALU_CYCLE_1)
	s_bitset1_b32 s0, 10
	s_mov_b32 m0, s0
	s_sendmsg sendmsg(MSG_INTERRUPT)
	s_mov_b32 m0, ttmp2
.LBB328_1444:                           ; =>This Inner Loop Header: Depth=1
	s_sethalt 5
	s_branch .LBB328_1444
.LBB328_1445:
	s_mov_b32 s0, -1
	s_mov_b32 s7, 0
.LBB328_1446:
                                        ; implicit-def: $vgpr9
.LBB328_1447:
	s_and_b32 vcc_lo, exec_lo, s9
	s_cbranch_vccz .LBB328_1451
; %bb.1448:
	v_cmp_eq_u16_e32 vcc_lo, 44, v5
	s_cbranch_vccz .LBB328_1450
; %bb.1449:
	global_load_u8 v3, v[0:1], off
	s_mov_b32 s0, 0
	s_mov_b32 s7, -1
	s_waitcnt vmcnt(0)
	v_lshlrev_b32_e32 v6, 23, v3
	v_cmp_ne_u32_e32 vcc_lo, 0xff, v3
	s_delay_alu instid0(VALU_DEP_2) | instskip(SKIP_1) | instid1(VALU_DEP_2)
	v_cndmask_b32_e32 v6, 0x7f800001, v6, vcc_lo
	v_cmp_ne_u32_e32 vcc_lo, 0, v3
	v_cndmask_b32_e32 v9, 0x400000, v6, vcc_lo
	s_branch .LBB328_1451
.LBB328_1450:
	s_mov_b32 s0, -1
                                        ; implicit-def: $vgpr9
.LBB328_1451:
	s_mov_b32 s9, 0
.LBB328_1452:
	s_delay_alu instid0(SALU_CYCLE_1)
	s_and_b32 vcc_lo, exec_lo, s9
	s_cbranch_vccz .LBB328_1456
; %bb.1453:
	v_cmp_eq_u16_e32 vcc_lo, 29, v5
	s_cbranch_vccz .LBB328_1455
; %bb.1454:
	global_load_b64 v[9:10], v[0:1], off
	s_mov_b32 s0, 0
	s_mov_b32 s7, -1
	s_mov_b32 s9, 0
	s_waitcnt vmcnt(0)
	v_clz_i32_u32_e32 v3, v10
	s_delay_alu instid0(VALU_DEP_1) | instskip(NEXT) | instid1(VALU_DEP_1)
	v_min_u32_e32 v3, 32, v3
	v_lshlrev_b64 v[9:10], v3, v[9:10]
	v_sub_nc_u32_e32 v3, 32, v3
	s_delay_alu instid0(VALU_DEP_2) | instskip(NEXT) | instid1(VALU_DEP_1)
	v_min_u32_e32 v6, 1, v9
	v_or_b32_e32 v6, v10, v6
	s_delay_alu instid0(VALU_DEP_1) | instskip(NEXT) | instid1(VALU_DEP_1)
	v_cvt_f32_u32_e32 v6, v6
	v_ldexp_f32 v9, v6, v3
	s_branch .LBB328_1457
.LBB328_1455:
	s_mov_b32 s0, -1
                                        ; implicit-def: $vgpr9
.LBB328_1456:
	s_mov_b32 s9, 0
.LBB328_1457:
	s_delay_alu instid0(SALU_CYCLE_1)
	s_and_b32 vcc_lo, exec_lo, s9
	s_cbranch_vccz .LBB328_1475
; %bb.1458:
	v_cmp_gt_i16_e32 vcc_lo, 27, v5
	s_cbranch_vccnz .LBB328_1461
; %bb.1459:
	v_cmp_lt_i16_e32 vcc_lo, 27, v5
	s_cbranch_vccz .LBB328_1462
; %bb.1460:
	global_load_b32 v3, v[0:1], off
	s_mov_b32 s7, 0
	s_waitcnt vmcnt(0)
	v_cvt_f32_u32_e32 v9, v3
	s_branch .LBB328_1463
.LBB328_1461:
	s_mov_b32 s7, -1
                                        ; implicit-def: $vgpr9
	s_branch .LBB328_1466
.LBB328_1462:
	s_mov_b32 s7, -1
                                        ; implicit-def: $vgpr9
.LBB328_1463:
	s_delay_alu instid0(SALU_CYCLE_1)
	s_and_not1_b32 vcc_lo, exec_lo, s7
	s_cbranch_vccnz .LBB328_1465
; %bb.1464:
	global_load_u16 v3, v[0:1], off
	s_waitcnt vmcnt(0)
	v_cvt_f32_u32_e32 v9, v3
.LBB328_1465:
	s_mov_b32 s7, 0
.LBB328_1466:
	s_delay_alu instid0(SALU_CYCLE_1)
	s_and_not1_b32 vcc_lo, exec_lo, s7
	s_cbranch_vccnz .LBB328_1474
; %bb.1467:
	global_load_u8 v3, v[0:1], off
	s_mov_b32 s7, 0
	s_mov_b32 s13, exec_lo
                                        ; implicit-def: $sgpr9
	s_waitcnt vmcnt(0)
	v_cmpx_lt_i16_e32 0x7f, v3
	s_xor_b32 s13, exec_lo, s13
	s_cbranch_execz .LBB328_1488
; %bb.1468:
	s_mov_b32 s7, -1
	s_mov_b32 s14, exec_lo
                                        ; implicit-def: $sgpr9
	v_cmpx_eq_u16_e32 0x80, v3
; %bb.1469:
	s_mov_b32 s9, 0x7f800001
	s_xor_b32 s7, exec_lo, -1
; %bb.1470:
	s_or_b32 exec_lo, exec_lo, s14
	s_delay_alu instid0(SALU_CYCLE_1)
	s_and_b32 s7, s7, exec_lo
	s_or_saveexec_b32 s13, s13
	v_mov_b32_e32 v9, s9
	s_xor_b32 exec_lo, exec_lo, s13
	s_cbranch_execnz .LBB328_1489
.LBB328_1471:
	s_or_b32 exec_lo, exec_lo, s13
	s_and_saveexec_b32 s9, s7
	s_cbranch_execz .LBB328_1473
.LBB328_1472:
	v_and_b32_e32 v6, 0xffff, v3
	v_lshlrev_b32_e32 v3, 24, v3
	s_delay_alu instid0(VALU_DEP_2) | instskip(NEXT) | instid1(VALU_DEP_2)
	v_and_b32_e32 v9, 7, v6
	v_and_b32_e32 v3, 0x80000000, v3
	s_delay_alu instid0(VALU_DEP_2) | instskip(NEXT) | instid1(VALU_DEP_1)
	v_clz_i32_u32_e32 v10, v9
	v_min_u32_e32 v10, 32, v10
	s_delay_alu instid0(VALU_DEP_1) | instskip(SKIP_1) | instid1(VALU_DEP_2)
	v_subrev_nc_u32_e32 v11, 28, v10
	v_sub_nc_u32_e32 v10, 29, v10
	v_lshlrev_b32_e32 v11, v11, v6
	v_bfe_u32 v6, v6, 3, 4
	s_delay_alu instid0(VALU_DEP_1) | instskip(NEXT) | instid1(VALU_DEP_3)
	v_cmp_eq_u32_e32 vcc_lo, 0, v6
	v_dual_cndmask_b32 v6, v6, v10 :: v_dual_and_b32 v11, 7, v11
	s_delay_alu instid0(VALU_DEP_1) | instskip(NEXT) | instid1(VALU_DEP_2)
	v_cndmask_b32_e32 v9, v9, v11, vcc_lo
	v_lshl_add_u32 v6, v6, 23, 0x3b800000
	s_delay_alu instid0(VALU_DEP_2) | instskip(NEXT) | instid1(VALU_DEP_1)
	v_lshlrev_b32_e32 v9, 20, v9
	v_or3_b32 v9, v3, v6, v9
.LBB328_1473:
	s_or_b32 exec_lo, exec_lo, s9
.LBB328_1474:
	s_mov_b32 s7, -1
.LBB328_1475:
	s_mov_b32 s9, 0
.LBB328_1476:
	s_delay_alu instid0(SALU_CYCLE_1)
	s_and_b32 vcc_lo, exec_lo, s9
	s_cbranch_vccz .LBB328_1509
; %bb.1477:
	v_cmp_lt_i16_e32 vcc_lo, 22, v5
	s_cbranch_vccz .LBB328_1487
; %bb.1478:
	v_cmp_gt_i16_e32 vcc_lo, 24, v5
	s_cbranch_vccnz .LBB328_1490
; %bb.1479:
	v_cmp_lt_i16_e32 vcc_lo, 24, v5
	s_cbranch_vccz .LBB328_1491
; %bb.1480:
	global_load_u8 v3, v[0:1], off
	s_mov_b32 s9, exec_lo
                                        ; implicit-def: $sgpr7
	s_waitcnt vmcnt(0)
	v_cmpx_lt_i16_e32 0x7f, v3
	s_xor_b32 s9, exec_lo, s9
	s_cbranch_execz .LBB328_1503
; %bb.1481:
	s_mov_b32 s6, -1
	s_mov_b32 s13, exec_lo
                                        ; implicit-def: $sgpr7
	v_cmpx_eq_u16_e32 0x80, v3
; %bb.1482:
	s_mov_b32 s7, 0x7f800001
	s_xor_b32 s6, exec_lo, -1
; %bb.1483:
	s_or_b32 exec_lo, exec_lo, s13
	s_delay_alu instid0(SALU_CYCLE_1)
	s_and_b32 s6, s6, exec_lo
	s_or_saveexec_b32 s9, s9
	v_mov_b32_e32 v9, s7
	s_xor_b32 exec_lo, exec_lo, s9
	s_cbranch_execnz .LBB328_1504
.LBB328_1484:
	s_or_b32 exec_lo, exec_lo, s9
	s_and_saveexec_b32 s7, s6
	s_cbranch_execz .LBB328_1486
.LBB328_1485:
	v_and_b32_e32 v6, 0xffff, v3
	v_lshlrev_b32_e32 v3, 24, v3
	s_delay_alu instid0(VALU_DEP_2) | instskip(NEXT) | instid1(VALU_DEP_2)
	v_and_b32_e32 v9, 3, v6
	v_and_b32_e32 v3, 0x80000000, v3
	s_delay_alu instid0(VALU_DEP_2) | instskip(NEXT) | instid1(VALU_DEP_1)
	v_clz_i32_u32_e32 v10, v9
	v_min_u32_e32 v10, 32, v10
	s_delay_alu instid0(VALU_DEP_1) | instskip(SKIP_1) | instid1(VALU_DEP_2)
	v_subrev_nc_u32_e32 v11, 29, v10
	v_sub_nc_u32_e32 v10, 30, v10
	v_lshlrev_b32_e32 v11, v11, v6
	v_bfe_u32 v6, v6, 2, 5
	s_delay_alu instid0(VALU_DEP_1) | instskip(NEXT) | instid1(VALU_DEP_3)
	v_cmp_eq_u32_e32 vcc_lo, 0, v6
	v_dual_cndmask_b32 v6, v6, v10 :: v_dual_and_b32 v11, 3, v11
	s_delay_alu instid0(VALU_DEP_1) | instskip(NEXT) | instid1(VALU_DEP_2)
	v_cndmask_b32_e32 v9, v9, v11, vcc_lo
	v_lshl_add_u32 v6, v6, 23, 0x37800000
	s_delay_alu instid0(VALU_DEP_2) | instskip(NEXT) | instid1(VALU_DEP_1)
	v_lshlrev_b32_e32 v9, 21, v9
	v_or3_b32 v9, v3, v6, v9
.LBB328_1486:
	s_or_b32 exec_lo, exec_lo, s7
	s_mov_b32 s6, 0
	s_branch .LBB328_1492
.LBB328_1487:
	s_mov_b32 s6, -1
                                        ; implicit-def: $vgpr9
	s_branch .LBB328_1498
.LBB328_1488:
	s_or_saveexec_b32 s13, s13
	v_mov_b32_e32 v9, s9
	s_xor_b32 exec_lo, exec_lo, s13
	s_cbranch_execz .LBB328_1471
.LBB328_1489:
	v_cmp_ne_u16_e32 vcc_lo, 0, v3
	v_mov_b32_e32 v9, 0
	s_and_not1_b32 s7, s7, exec_lo
	s_and_b32 s9, vcc_lo, exec_lo
	s_delay_alu instid0(SALU_CYCLE_1)
	s_or_b32 s7, s7, s9
	s_or_b32 exec_lo, exec_lo, s13
	s_and_saveexec_b32 s9, s7
	s_cbranch_execnz .LBB328_1472
	s_branch .LBB328_1473
.LBB328_1490:
	s_mov_b32 s6, -1
                                        ; implicit-def: $vgpr9
	s_branch .LBB328_1495
.LBB328_1491:
	s_mov_b32 s6, -1
                                        ; implicit-def: $vgpr9
.LBB328_1492:
	s_delay_alu instid0(SALU_CYCLE_1)
	s_and_b32 vcc_lo, exec_lo, s6
	s_cbranch_vccz .LBB328_1494
; %bb.1493:
	global_load_u8 v3, v[0:1], off
	s_waitcnt vmcnt(0)
	v_lshlrev_b32_e32 v3, 24, v3
	s_delay_alu instid0(VALU_DEP_1) | instskip(NEXT) | instid1(VALU_DEP_1)
	v_and_b32_e32 v6, 0x7f000000, v3
	v_clz_i32_u32_e32 v9, v6
	v_add_nc_u32_e32 v11, 0x1000000, v6
	v_cmp_ne_u32_e32 vcc_lo, 0, v6
	s_delay_alu instid0(VALU_DEP_3) | instskip(NEXT) | instid1(VALU_DEP_1)
	v_min_u32_e32 v9, 32, v9
	v_sub_nc_u32_e64 v9, v9, 4 clamp
	s_delay_alu instid0(VALU_DEP_1) | instskip(SKIP_1) | instid1(VALU_DEP_2)
	v_lshlrev_b32_e32 v10, v9, v6
	v_lshlrev_b32_e32 v9, 23, v9
	v_lshrrev_b32_e32 v10, 4, v10
	s_delay_alu instid0(VALU_DEP_1) | instskip(SKIP_1) | instid1(VALU_DEP_2)
	v_sub_nc_u32_e32 v9, v10, v9
	v_ashrrev_i32_e32 v10, 8, v11
	v_add_nc_u32_e32 v9, 0x3c000000, v9
	s_delay_alu instid0(VALU_DEP_1) | instskip(NEXT) | instid1(VALU_DEP_1)
	v_and_or_b32 v9, 0x7f800000, v10, v9
	v_cndmask_b32_e32 v6, 0, v9, vcc_lo
	s_delay_alu instid0(VALU_DEP_1)
	v_and_or_b32 v9, 0x80000000, v3, v6
.LBB328_1494:
	s_mov_b32 s6, 0
.LBB328_1495:
	s_delay_alu instid0(SALU_CYCLE_1)
	s_and_not1_b32 vcc_lo, exec_lo, s6
	s_cbranch_vccnz .LBB328_1497
; %bb.1496:
	global_load_u8 v3, v[0:1], off
	s_waitcnt vmcnt(0)
	v_lshlrev_b32_e32 v6, 25, v3
	v_lshlrev_b16 v3, 8, v3
	s_delay_alu instid0(VALU_DEP_2) | instskip(NEXT) | instid1(VALU_DEP_2)
	v_lshrrev_b32_e32 v9, 4, v6
	v_and_or_b32 v10, 0x7f00, v3, 0.5
	v_bfe_i32 v3, v3, 0, 16
	s_delay_alu instid0(VALU_DEP_3) | instskip(NEXT) | instid1(VALU_DEP_1)
	v_or_b32_e32 v9, 0x70000000, v9
	v_dual_add_f32 v10, -0.5, v10 :: v_dual_mul_f32 v9, 0x7800000, v9
	v_cmp_gt_u32_e32 vcc_lo, 0x8000000, v6
	s_delay_alu instid0(VALU_DEP_2) | instskip(NEXT) | instid1(VALU_DEP_1)
	v_cndmask_b32_e32 v6, v9, v10, vcc_lo
	v_and_or_b32 v9, 0x80000000, v3, v6
.LBB328_1497:
	s_mov_b32 s6, 0
	s_mov_b32 s7, -1
.LBB328_1498:
	s_and_not1_b32 vcc_lo, exec_lo, s6
	s_mov_b32 s6, 0
	s_cbranch_vccnz .LBB328_1509
; %bb.1499:
	v_cmp_lt_i16_e32 vcc_lo, 14, v5
	s_cbranch_vccz .LBB328_1502
; %bb.1500:
	v_cmp_eq_u16_e32 vcc_lo, 15, v5
	s_cbranch_vccz .LBB328_1505
; %bb.1501:
	global_load_u16 v3, v[0:1], off
	s_mov_b32 s0, 0
	s_mov_b32 s7, -1
	s_waitcnt vmcnt(0)
	v_lshlrev_b32_e32 v9, 16, v3
	s_branch .LBB328_1507
.LBB328_1502:
	s_mov_b32 s6, -1
	s_branch .LBB328_1506
.LBB328_1503:
	s_or_saveexec_b32 s9, s9
	v_mov_b32_e32 v9, s7
	s_xor_b32 exec_lo, exec_lo, s9
	s_cbranch_execz .LBB328_1484
.LBB328_1504:
	v_cmp_ne_u16_e32 vcc_lo, 0, v3
	v_mov_b32_e32 v9, 0
	s_and_not1_b32 s6, s6, exec_lo
	s_and_b32 s7, vcc_lo, exec_lo
	s_delay_alu instid0(SALU_CYCLE_1)
	s_or_b32 s6, s6, s7
	s_or_b32 exec_lo, exec_lo, s9
	s_and_saveexec_b32 s7, s6
	s_cbranch_execnz .LBB328_1485
	s_branch .LBB328_1486
.LBB328_1505:
	s_mov_b32 s0, -1
.LBB328_1506:
                                        ; implicit-def: $vgpr9
.LBB328_1507:
	s_and_b32 vcc_lo, exec_lo, s6
	s_mov_b32 s6, 0
	s_cbranch_vccz .LBB328_1509
; %bb.1508:
	v_cmp_ne_u16_e64 s0, 11, v5
	s_mov_b32 s6, -1
                                        ; implicit-def: $vgpr9
.LBB328_1509:
	s_delay_alu instid0(VALU_DEP_1)
	s_and_b32 vcc_lo, exec_lo, s0
	s_cbranch_vccnz .LBB328_2042
; %bb.1510:
	s_and_not1_b32 vcc_lo, exec_lo, s6
	s_cbranch_vccnz .LBB328_1512
.LBB328_1511:
	global_load_u8 v3, v[0:1], off
	s_mov_b32 s7, -1
	s_waitcnt vmcnt(0)
	v_cmp_ne_u16_e32 vcc_lo, 0, v3
	v_cndmask_b32_e64 v9, 0, 1.0, vcc_lo
.LBB328_1512:
	s_mov_b32 s0, 0
.LBB328_1513:
	s_delay_alu instid0(SALU_CYCLE_1)
	s_and_b32 vcc_lo, exec_lo, s0
	s_cbranch_vccz .LBB328_1562
; %bb.1514:
	v_cmp_gt_i16_e32 vcc_lo, 5, v5
	s_cbranch_vccnz .LBB328_1519
; %bb.1515:
	v_cmp_gt_i16_e32 vcc_lo, 8, v5
	s_cbranch_vccnz .LBB328_1520
; %bb.1516:
	v_cmp_gt_i16_e32 vcc_lo, 9, v5
	s_cbranch_vccnz .LBB328_1521
; %bb.1517:
	v_cmp_lt_i16_e32 vcc_lo, 9, v5
	s_cbranch_vccz .LBB328_1522
; %bb.1518:
	global_load_b64 v[9:10], v[0:1], off
	s_mov_b32 s0, 0
	s_waitcnt vmcnt(0)
	v_cvt_f32_f64_e32 v9, v[9:10]
	s_branch .LBB328_1523
.LBB328_1519:
	s_mov_b32 s0, -1
                                        ; implicit-def: $vgpr9
	s_branch .LBB328_1541
.LBB328_1520:
	s_mov_b32 s0, -1
                                        ; implicit-def: $vgpr9
	s_branch .LBB328_1529
.LBB328_1521:
	s_mov_b32 s0, -1
                                        ; implicit-def: $vgpr9
	s_branch .LBB328_1526
.LBB328_1522:
	s_mov_b32 s0, -1
                                        ; implicit-def: $vgpr9
.LBB328_1523:
	s_delay_alu instid0(SALU_CYCLE_1)
	s_and_not1_b32 vcc_lo, exec_lo, s0
	s_cbranch_vccnz .LBB328_1525
; %bb.1524:
	global_load_b32 v9, v[0:1], off
.LBB328_1525:
	s_mov_b32 s0, 0
.LBB328_1526:
	s_delay_alu instid0(SALU_CYCLE_1)
	s_and_not1_b32 vcc_lo, exec_lo, s0
	s_cbranch_vccnz .LBB328_1528
; %bb.1527:
	global_load_b32 v3, v[0:1], off
	s_waitcnt vmcnt(0)
	v_cvt_f32_f16_e32 v9, v3
.LBB328_1528:
	s_mov_b32 s0, 0
.LBB328_1529:
	s_delay_alu instid0(SALU_CYCLE_1)
	s_and_not1_b32 vcc_lo, exec_lo, s0
	s_cbranch_vccnz .LBB328_1540
; %bb.1530:
	v_cmp_gt_i16_e32 vcc_lo, 6, v5
	s_cbranch_vccnz .LBB328_1533
; %bb.1531:
	v_cmp_lt_i16_e32 vcc_lo, 6, v5
	s_cbranch_vccz .LBB328_1534
; %bb.1532:
	global_load_b64 v[9:10], v[0:1], off
	s_mov_b32 s0, 0
	s_waitcnt vmcnt(0)
	v_cvt_f32_f64_e32 v9, v[9:10]
	s_branch .LBB328_1535
.LBB328_1533:
	s_mov_b32 s0, -1
                                        ; implicit-def: $vgpr9
	s_branch .LBB328_1538
.LBB328_1534:
	s_mov_b32 s0, -1
                                        ; implicit-def: $vgpr9
.LBB328_1535:
	s_delay_alu instid0(SALU_CYCLE_1)
	s_and_not1_b32 vcc_lo, exec_lo, s0
	s_cbranch_vccnz .LBB328_1537
; %bb.1536:
	global_load_b32 v9, v[0:1], off
.LBB328_1537:
	s_mov_b32 s0, 0
.LBB328_1538:
	s_delay_alu instid0(SALU_CYCLE_1)
	s_and_not1_b32 vcc_lo, exec_lo, s0
	s_cbranch_vccnz .LBB328_1540
; %bb.1539:
	global_load_u16 v3, v[0:1], off
	s_waitcnt vmcnt(0)
	v_cvt_f32_f16_e32 v9, v3
.LBB328_1540:
	s_mov_b32 s0, 0
.LBB328_1541:
	s_delay_alu instid0(SALU_CYCLE_1)
	s_and_not1_b32 vcc_lo, exec_lo, s0
	s_cbranch_vccnz .LBB328_1561
; %bb.1542:
	v_cmp_gt_i16_e32 vcc_lo, 2, v5
	s_cbranch_vccnz .LBB328_1546
; %bb.1543:
	v_cmp_gt_i16_e32 vcc_lo, 3, v5
	s_cbranch_vccnz .LBB328_1547
; %bb.1544:
	v_cmp_lt_i16_e32 vcc_lo, 3, v5
	s_cbranch_vccz .LBB328_1548
; %bb.1545:
	global_load_b64 v[9:10], v[0:1], off
	s_mov_b32 s0, 0
	s_waitcnt vmcnt(0)
	v_xor_b32_e32 v3, v9, v10
	v_cls_i32_e32 v6, v10
	s_delay_alu instid0(VALU_DEP_2) | instskip(NEXT) | instid1(VALU_DEP_2)
	v_ashrrev_i32_e32 v3, 31, v3
	v_add_nc_u32_e32 v6, -1, v6
	s_delay_alu instid0(VALU_DEP_2) | instskip(NEXT) | instid1(VALU_DEP_1)
	v_add_nc_u32_e32 v3, 32, v3
	v_min_u32_e32 v3, v6, v3
	s_delay_alu instid0(VALU_DEP_1) | instskip(SKIP_1) | instid1(VALU_DEP_2)
	v_lshlrev_b64 v[9:10], v3, v[9:10]
	v_sub_nc_u32_e32 v3, 32, v3
	v_min_u32_e32 v6, 1, v9
	s_delay_alu instid0(VALU_DEP_1) | instskip(NEXT) | instid1(VALU_DEP_1)
	v_or_b32_e32 v6, v10, v6
	v_cvt_f32_i32_e32 v6, v6
	s_delay_alu instid0(VALU_DEP_1)
	v_ldexp_f32 v9, v6, v3
	s_branch .LBB328_1549
.LBB328_1546:
	s_mov_b32 s0, -1
                                        ; implicit-def: $vgpr9
	s_branch .LBB328_1555
.LBB328_1547:
	s_mov_b32 s0, -1
                                        ; implicit-def: $vgpr9
	s_branch .LBB328_1552
.LBB328_1548:
	s_mov_b32 s0, -1
                                        ; implicit-def: $vgpr9
.LBB328_1549:
	s_delay_alu instid0(SALU_CYCLE_1)
	s_and_not1_b32 vcc_lo, exec_lo, s0
	s_cbranch_vccnz .LBB328_1551
; %bb.1550:
	global_load_b32 v3, v[0:1], off
	s_waitcnt vmcnt(0)
	v_cvt_f32_i32_e32 v9, v3
.LBB328_1551:
	s_mov_b32 s0, 0
.LBB328_1552:
	s_delay_alu instid0(SALU_CYCLE_1)
	s_and_not1_b32 vcc_lo, exec_lo, s0
	s_cbranch_vccnz .LBB328_1554
; %bb.1553:
	global_load_i16 v3, v[0:1], off
	s_waitcnt vmcnt(0)
	v_cvt_f32_i32_e32 v9, v3
.LBB328_1554:
	s_mov_b32 s0, 0
.LBB328_1555:
	s_delay_alu instid0(SALU_CYCLE_1)
	s_and_not1_b32 vcc_lo, exec_lo, s0
	s_cbranch_vccnz .LBB328_1561
; %bb.1556:
	v_cmp_lt_i16_e32 vcc_lo, 0, v5
	s_mov_b32 s0, 0
	s_cbranch_vccz .LBB328_1558
; %bb.1557:
	global_load_i8 v3, v[0:1], off
	s_waitcnt vmcnt(0)
	v_cvt_f32_i32_e32 v9, v3
	s_branch .LBB328_1559
.LBB328_1558:
	s_mov_b32 s0, -1
                                        ; implicit-def: $vgpr9
.LBB328_1559:
	s_delay_alu instid0(SALU_CYCLE_1)
	s_and_not1_b32 vcc_lo, exec_lo, s0
	s_cbranch_vccnz .LBB328_1561
; %bb.1560:
	global_load_u8 v0, v[0:1], off
	s_waitcnt vmcnt(0)
	v_cvt_f32_ubyte0_e32 v9, v0
.LBB328_1561:
	s_mov_b32 s7, -1
.LBB328_1562:
	s_delay_alu instid0(SALU_CYCLE_1)
	s_and_not1_b32 vcc_lo, exec_lo, s7
	s_cbranch_vccnz .LBB328_1996
; %bb.1563:
	v_mul_lo_u32 v4, s8, v4
	v_max_f32_e64 v5, s10, s10
	s_waitcnt vmcnt(0)
	v_max_f32_e32 v0, v2, v2
	v_max_f32_e64 v10, s11, s11
	v_and_b32_e64 v6, 0xff, s2
	v_cmp_u_f32_e64 s0, v2, v2
	s_delay_alu instid0(VALU_DEP_3) | instskip(SKIP_1) | instid1(VALU_DEP_4)
	v_maxmin_f32 v0, v0, v5, v10
	v_ashrrev_i32_e32 v1, 31, v4
	v_cmp_gt_i16_e32 vcc_lo, 11, v6
	s_delay_alu instid0(VALU_DEP_3) | instskip(SKIP_1) | instid1(VALU_DEP_1)
	v_cndmask_b32_e64 v2, v0, v2, s0
	v_add_co_u32 v0, s0, s4, v4
	v_add_co_ci_u32_e64 v1, s0, s5, v1, s0
	s_cbranch_vccnz .LBB328_1641
; %bb.1564:
	v_cmp_lt_i16_e32 vcc_lo, 25, v6
	s_mov_b32 s7, -1
	s_mov_b32 s2, 0
	s_mov_b32 s6, 0
	;; [unrolled: 1-line block ×3, first 2 shown]
	s_cbranch_vccz .LBB328_1597
; %bb.1565:
	v_cmp_lt_i16_e32 vcc_lo, 28, v6
	s_cbranch_vccz .LBB328_1580
; %bb.1566:
	v_cmp_lt_i16_e32 vcc_lo, 43, v6
	;; [unrolled: 3-line block ×3, first 2 shown]
	s_cbranch_vccz .LBB328_1570
; %bb.1568:
	v_cmp_eq_u16_e32 vcc_lo, 46, v6
	s_mov_b32 s0, -1
	s_mov_b32 s7, 0
	s_cbranch_vccz .LBB328_1570
; %bb.1569:
	v_bfe_u32 v3, v2, 16, 1
	v_cmp_o_f32_e32 vcc_lo, v2, v2
	s_mov_b32 s0, 0
	s_mov_b32 s6, -1
	s_delay_alu instid0(VALU_DEP_2) | instskip(NEXT) | instid1(VALU_DEP_1)
	v_add3_u32 v3, v2, v3, 0x7fff
	v_lshrrev_b32_e32 v3, 16, v3
	s_delay_alu instid0(VALU_DEP_1)
	v_cndmask_b32_e32 v3, 0x7fc0, v3, vcc_lo
	global_store_b32 v[0:1], v3, off
.LBB328_1570:
	s_and_b32 vcc_lo, exec_lo, s7
	s_cbranch_vccz .LBB328_1575
; %bb.1571:
	v_cmp_eq_u16_e32 vcc_lo, 44, v6
	s_mov_b32 s0, -1
	s_cbranch_vccz .LBB328_1575
; %bb.1572:
	v_bfe_u32 v11, v2, 23, 8
	v_mov_b32_e32 v3, 0xff
	s_mov_b32 s6, exec_lo
	s_delay_alu instid0(VALU_DEP_2)
	v_cmpx_ne_u32_e32 0xff, v11
; %bb.1573:
	v_and_b32_e32 v3, 0x400000, v2
	v_and_or_b32 v11, 0x3fffff, v2, v11
	s_delay_alu instid0(VALU_DEP_2) | instskip(NEXT) | instid1(VALU_DEP_2)
	v_cmp_ne_u32_e32 vcc_lo, 0, v3
	v_cmp_ne_u32_e64 s0, 0, v11
	v_lshrrev_b32_e32 v3, 23, v2
	s_delay_alu instid0(VALU_DEP_2) | instskip(NEXT) | instid1(SALU_CYCLE_1)
	s_and_b32 s0, vcc_lo, s0
	v_cndmask_b32_e64 v11, 0, 1, s0
	s_delay_alu instid0(VALU_DEP_1)
	v_add_nc_u32_e32 v3, v3, v11
; %bb.1574:
	s_or_b32 exec_lo, exec_lo, s6
	s_mov_b32 s0, 0
	s_mov_b32 s6, -1
	global_store_b8 v[0:1], v3, off
.LBB328_1575:
	s_mov_b32 s7, 0
.LBB328_1576:
	s_delay_alu instid0(SALU_CYCLE_1)
	s_and_b32 vcc_lo, exec_lo, s7
	s_cbranch_vccz .LBB328_1579
; %bb.1577:
	v_cmp_eq_u16_e32 vcc_lo, 29, v6
	s_mov_b32 s0, -1
	s_cbranch_vccz .LBB328_1579
; %bb.1578:
	v_trunc_f32_e32 v3, v2
	s_mov_b32 s0, 0
	s_mov_b32 s6, -1
	s_delay_alu instid0(VALU_DEP_1) | instskip(NEXT) | instid1(VALU_DEP_1)
	v_mul_f32_e32 v11, 0x2f800000, v3
	v_floor_f32_e32 v11, v11
	s_delay_alu instid0(VALU_DEP_1) | instskip(SKIP_1) | instid1(VALU_DEP_2)
	v_fmamk_f32 v3, v11, 0xcf800000, v3
	v_cvt_u32_f32_e32 v12, v11
	v_cvt_u32_f32_e32 v11, v3
	global_store_b64 v[0:1], v[11:12], off
.LBB328_1579:
	s_mov_b32 s7, 0
.LBB328_1580:
	s_delay_alu instid0(SALU_CYCLE_1)
	s_and_b32 vcc_lo, exec_lo, s7
	s_cbranch_vccz .LBB328_1596
; %bb.1581:
	v_cmp_gt_i16_e32 vcc_lo, 27, v6
	s_mov_b32 s6, -1
	s_cbranch_vccnz .LBB328_1587
; %bb.1582:
	v_cmp_lt_i16_e32 vcc_lo, 27, v6
	v_cvt_u32_f32_e32 v3, v2
	s_cbranch_vccz .LBB328_1584
; %bb.1583:
	s_mov_b32 s6, 0
	global_store_b32 v[0:1], v3, off
.LBB328_1584:
	s_and_not1_b32 vcc_lo, exec_lo, s6
	s_cbranch_vccnz .LBB328_1586
; %bb.1585:
	global_store_b16 v[0:1], v3, off
.LBB328_1586:
	s_mov_b32 s6, 0
.LBB328_1587:
	s_delay_alu instid0(SALU_CYCLE_1)
	s_and_not1_b32 vcc_lo, exec_lo, s6
	s_cbranch_vccnz .LBB328_1595
; %bb.1588:
	v_and_b32_e32 v3, 0x7fffffff, v2
	v_mov_b32_e32 v11, 0x80
	s_mov_b32 s6, exec_lo
	s_delay_alu instid0(VALU_DEP_2)
	v_cmpx_gt_u32_e32 0x43800000, v3
	s_cbranch_execz .LBB328_1594
; %bb.1589:
	v_cmp_lt_u32_e32 vcc_lo, 0x3bffffff, v3
	s_mov_b32 s7, 0
                                        ; implicit-def: $vgpr3
	s_and_saveexec_b32 s9, vcc_lo
	s_delay_alu instid0(SALU_CYCLE_1)
	s_xor_b32 s9, exec_lo, s9
	s_cbranch_execz .LBB328_2044
; %bb.1590:
	v_bfe_u32 v3, v2, 20, 1
	s_mov_b32 s7, exec_lo
	s_delay_alu instid0(VALU_DEP_1) | instskip(NEXT) | instid1(VALU_DEP_1)
	v_add3_u32 v3, v2, v3, 0x487ffff
	v_lshrrev_b32_e32 v3, 20, v3
	s_or_saveexec_b32 s9, s9
                                        ; implicit-def: $sgpr10
	s_delay_alu instid0(SALU_CYCLE_1)
	s_xor_b32 exec_lo, exec_lo, s9
	s_cbranch_execnz .LBB328_2045
.LBB328_1591:
	s_or_b32 exec_lo, exec_lo, s9
	v_mov_b32_e32 v11, s10
	s_and_saveexec_b32 s9, s7
.LBB328_1592:
	v_lshrrev_b32_e32 v11, 24, v2
	s_delay_alu instid0(VALU_DEP_1)
	v_and_or_b32 v11, 0x80, v11, v3
.LBB328_1593:
	s_or_b32 exec_lo, exec_lo, s9
.LBB328_1594:
	s_delay_alu instid0(SALU_CYCLE_1)
	s_or_b32 exec_lo, exec_lo, s6
	global_store_b8 v[0:1], v11, off
.LBB328_1595:
	s_mov_b32 s6, -1
.LBB328_1596:
	s_mov_b32 s7, 0
.LBB328_1597:
	s_delay_alu instid0(SALU_CYCLE_1)
	s_and_b32 vcc_lo, exec_lo, s7
	s_cbranch_vccz .LBB328_1637
; %bb.1598:
	v_cmp_lt_i16_e32 vcc_lo, 22, v6
	s_mov_b32 s2, -1
	s_cbranch_vccz .LBB328_1630
; %bb.1599:
	v_cmp_gt_i16_e32 vcc_lo, 24, v6
	s_cbranch_vccnz .LBB328_1619
; %bb.1600:
	v_cmp_lt_i16_e32 vcc_lo, 24, v6
	s_cbranch_vccz .LBB328_1608
; %bb.1601:
	v_and_b32_e32 v3, 0x7fffffff, v2
	v_mov_b32_e32 v11, 0x80
	s_mov_b32 s2, exec_lo
	s_delay_alu instid0(VALU_DEP_2)
	v_cmpx_gt_u32_e32 0x47800000, v3
	s_cbranch_execz .LBB328_1607
; %bb.1602:
	v_cmp_lt_u32_e32 vcc_lo, 0x37ffffff, v3
	s_mov_b32 s6, 0
                                        ; implicit-def: $vgpr3
	s_and_saveexec_b32 s7, vcc_lo
	s_delay_alu instid0(SALU_CYCLE_1)
	s_xor_b32 s7, exec_lo, s7
	s_cbranch_execz .LBB328_2050
; %bb.1603:
	v_bfe_u32 v3, v2, 21, 1
	s_mov_b32 s6, exec_lo
	s_delay_alu instid0(VALU_DEP_1) | instskip(NEXT) | instid1(VALU_DEP_1)
	v_add3_u32 v3, v2, v3, 0x88fffff
	v_lshrrev_b32_e32 v3, 21, v3
	s_or_saveexec_b32 s7, s7
                                        ; implicit-def: $sgpr9
	s_delay_alu instid0(SALU_CYCLE_1)
	s_xor_b32 exec_lo, exec_lo, s7
	s_cbranch_execnz .LBB328_2051
.LBB328_1604:
	s_or_b32 exec_lo, exec_lo, s7
	v_mov_b32_e32 v11, s9
	s_and_saveexec_b32 s7, s6
.LBB328_1605:
	v_lshrrev_b32_e32 v11, 24, v2
	s_delay_alu instid0(VALU_DEP_1)
	v_and_or_b32 v11, 0x80, v11, v3
.LBB328_1606:
	s_or_b32 exec_lo, exec_lo, s7
.LBB328_1607:
	s_delay_alu instid0(SALU_CYCLE_1)
	s_or_b32 exec_lo, exec_lo, s2
	s_mov_b32 s2, 0
	global_store_b8 v[0:1], v11, off
.LBB328_1608:
	s_and_b32 vcc_lo, exec_lo, s2
	s_cbranch_vccz .LBB328_1618
; %bb.1609:
	v_and_b32_e32 v11, 0x7fffffff, v2
	s_mov_b32 s2, exec_lo
                                        ; implicit-def: $vgpr3
	s_delay_alu instid0(VALU_DEP_1)
	v_cmpx_gt_u32_e32 0x43f00000, v11
	s_xor_b32 s2, exec_lo, s2
	s_cbranch_execz .LBB328_1615
; %bb.1610:
	s_mov_b32 s6, exec_lo
                                        ; implicit-def: $vgpr3
	v_cmpx_lt_u32_e32 0x3c7fffff, v11
	s_xor_b32 s6, exec_lo, s6
; %bb.1611:
	v_bfe_u32 v3, v2, 20, 1
	s_delay_alu instid0(VALU_DEP_1) | instskip(NEXT) | instid1(VALU_DEP_1)
	v_add3_u32 v3, v2, v3, 0x407ffff
	v_and_b32_e32 v11, 0xff00000, v3
	v_lshrrev_b32_e32 v3, 20, v3
	s_delay_alu instid0(VALU_DEP_2) | instskip(NEXT) | instid1(VALU_DEP_2)
	v_cmp_ne_u32_e32 vcc_lo, 0x7f00000, v11
	v_cndmask_b32_e32 v3, 0x7e, v3, vcc_lo
; %bb.1612:
	s_and_not1_saveexec_b32 s6, s6
; %bb.1613:
	v_add_f32_e64 v3, 0x46800000, |v2|
; %bb.1614:
	s_or_b32 exec_lo, exec_lo, s6
                                        ; implicit-def: $vgpr11
.LBB328_1615:
	s_and_not1_saveexec_b32 s2, s2
; %bb.1616:
	v_mov_b32_e32 v3, 0x7f
	v_cmp_lt_u32_e32 vcc_lo, 0x7f800000, v11
	s_delay_alu instid0(VALU_DEP_2)
	v_cndmask_b32_e32 v3, 0x7e, v3, vcc_lo
; %bb.1617:
	s_or_b32 exec_lo, exec_lo, s2
	v_lshrrev_b32_e32 v11, 24, v2
	s_delay_alu instid0(VALU_DEP_1)
	v_and_or_b32 v3, 0x80, v11, v3
	global_store_b8 v[0:1], v3, off
.LBB328_1618:
	s_mov_b32 s2, 0
.LBB328_1619:
	s_delay_alu instid0(SALU_CYCLE_1)
	s_and_not1_b32 vcc_lo, exec_lo, s2
	s_cbranch_vccnz .LBB328_1629
; %bb.1620:
	v_and_b32_e32 v11, 0x7fffffff, v2
	s_mov_b32 s2, exec_lo
                                        ; implicit-def: $vgpr3
	s_delay_alu instid0(VALU_DEP_1)
	v_cmpx_gt_u32_e32 0x47800000, v11
	s_xor_b32 s2, exec_lo, s2
	s_cbranch_execz .LBB328_1626
; %bb.1621:
	s_mov_b32 s6, exec_lo
                                        ; implicit-def: $vgpr3
	v_cmpx_lt_u32_e32 0x387fffff, v11
	s_xor_b32 s6, exec_lo, s6
; %bb.1622:
	v_bfe_u32 v3, v2, 21, 1
	s_delay_alu instid0(VALU_DEP_1) | instskip(NEXT) | instid1(VALU_DEP_1)
	v_add3_u32 v3, v2, v3, 0x80fffff
	v_lshrrev_b32_e32 v3, 21, v3
; %bb.1623:
	s_and_not1_saveexec_b32 s6, s6
; %bb.1624:
	v_add_f32_e64 v3, 0x43000000, |v2|
; %bb.1625:
	s_or_b32 exec_lo, exec_lo, s6
                                        ; implicit-def: $vgpr11
.LBB328_1626:
	s_and_not1_saveexec_b32 s2, s2
; %bb.1627:
	v_mov_b32_e32 v3, 0x7f
	v_cmp_lt_u32_e32 vcc_lo, 0x7f800000, v11
	s_delay_alu instid0(VALU_DEP_2)
	v_cndmask_b32_e32 v3, 0x7c, v3, vcc_lo
; %bb.1628:
	s_or_b32 exec_lo, exec_lo, s2
	v_lshrrev_b32_e32 v11, 24, v2
	s_delay_alu instid0(VALU_DEP_1)
	v_and_or_b32 v3, 0x80, v11, v3
	global_store_b8 v[0:1], v3, off
.LBB328_1629:
	s_mov_b32 s2, 0
	s_mov_b32 s6, -1
.LBB328_1630:
	s_and_not1_b32 vcc_lo, exec_lo, s2
	s_mov_b32 s2, 0
	s_cbranch_vccnz .LBB328_1637
; %bb.1631:
	v_cmp_lt_i16_e32 vcc_lo, 14, v6
	s_mov_b32 s2, -1
	s_cbranch_vccz .LBB328_1635
; %bb.1632:
	v_cmp_eq_u16_e32 vcc_lo, 15, v6
	s_mov_b32 s0, -1
	s_cbranch_vccz .LBB328_1634
; %bb.1633:
	v_bfe_u32 v3, v2, 16, 1
	v_cmp_o_f32_e32 vcc_lo, v2, v2
	s_mov_b32 s0, 0
	s_mov_b32 s6, -1
	s_delay_alu instid0(VALU_DEP_2) | instskip(NEXT) | instid1(VALU_DEP_1)
	v_add3_u32 v3, v2, v3, 0x7fff
	v_lshrrev_b32_e32 v3, 16, v3
	s_delay_alu instid0(VALU_DEP_1)
	v_cndmask_b32_e32 v3, 0x7fc0, v3, vcc_lo
	global_store_b16 v[0:1], v3, off
.LBB328_1634:
	s_mov_b32 s2, 0
.LBB328_1635:
	s_delay_alu instid0(SALU_CYCLE_1)
	s_and_b32 vcc_lo, exec_lo, s2
	s_mov_b32 s2, 0
	s_cbranch_vccz .LBB328_1637
; %bb.1636:
	v_cmp_ne_u16_e64 s0, 11, v6
	s_mov_b32 s2, -1
.LBB328_1637:
	s_delay_alu instid0(VALU_DEP_1)
	s_and_b32 vcc_lo, exec_lo, s0
	s_cbranch_vccnz .LBB328_2048
; %bb.1638:
	s_and_not1_b32 vcc_lo, exec_lo, s2
	s_cbranch_vccnz .LBB328_1640
.LBB328_1639:
	v_cmp_neq_f32_e32 vcc_lo, 0, v2
	s_mov_b32 s6, -1
	v_cndmask_b32_e64 v3, 0, 1, vcc_lo
	global_store_b8 v[0:1], v3, off
.LBB328_1640:
	s_mov_b32 s0, 0
	s_branch .LBB328_1642
.LBB328_1641:
	s_mov_b32 s0, -1
	s_mov_b32 s6, 0
.LBB328_1642:
	s_and_b32 vcc_lo, exec_lo, s0
	s_cbranch_vccz .LBB328_1681
; %bb.1643:
	v_cmp_gt_i16_e32 vcc_lo, 5, v6
	s_mov_b32 s0, -1
	s_cbranch_vccnz .LBB328_1664
; %bb.1644:
	v_cmp_gt_i16_e32 vcc_lo, 8, v6
	s_cbranch_vccnz .LBB328_1654
; %bb.1645:
	v_cmp_gt_i16_e32 vcc_lo, 9, v6
	s_cbranch_vccnz .LBB328_1651
; %bb.1646:
	v_cmp_lt_i16_e32 vcc_lo, 9, v6
	s_cbranch_vccz .LBB328_1648
; %bb.1647:
	v_cvt_f64_f32_e32 v[11:12], v2
	v_mov_b32_e32 v13, 0
	s_mov_b32 s0, 0
	s_delay_alu instid0(VALU_DEP_1)
	v_mov_b32_e32 v14, v13
	global_store_b128 v[0:1], v[11:14], off
.LBB328_1648:
	s_and_not1_b32 vcc_lo, exec_lo, s0
	s_cbranch_vccnz .LBB328_1650
; %bb.1649:
	v_mov_b32_e32 v3, 0
	global_store_b64 v[0:1], v[2:3], off
.LBB328_1650:
	s_mov_b32 s0, 0
.LBB328_1651:
	s_delay_alu instid0(SALU_CYCLE_1)
	s_and_not1_b32 vcc_lo, exec_lo, s0
	s_cbranch_vccnz .LBB328_1653
; %bb.1652:
	v_cvt_f16_f32_e32 v3, v2
	s_delay_alu instid0(VALU_DEP_1)
	v_and_b32_e32 v3, 0xffff, v3
	global_store_b32 v[0:1], v3, off
.LBB328_1653:
	s_mov_b32 s0, 0
.LBB328_1654:
	s_delay_alu instid0(SALU_CYCLE_1)
	s_and_not1_b32 vcc_lo, exec_lo, s0
	s_cbranch_vccnz .LBB328_1663
; %bb.1655:
	v_cmp_gt_i16_e32 vcc_lo, 6, v6
	s_mov_b32 s0, -1
	s_cbranch_vccnz .LBB328_1661
; %bb.1656:
	v_cmp_lt_i16_e32 vcc_lo, 6, v6
	s_cbranch_vccz .LBB328_1658
; %bb.1657:
	v_cvt_f64_f32_e32 v[11:12], v2
	s_mov_b32 s0, 0
	global_store_b64 v[0:1], v[11:12], off
.LBB328_1658:
	s_and_not1_b32 vcc_lo, exec_lo, s0
	s_cbranch_vccnz .LBB328_1660
; %bb.1659:
	global_store_b32 v[0:1], v2, off
.LBB328_1660:
	s_mov_b32 s0, 0
.LBB328_1661:
	s_delay_alu instid0(SALU_CYCLE_1)
	s_and_not1_b32 vcc_lo, exec_lo, s0
	s_cbranch_vccnz .LBB328_1663
; %bb.1662:
	v_cvt_f16_f32_e32 v3, v2
	global_store_b16 v[0:1], v3, off
.LBB328_1663:
	s_mov_b32 s0, 0
.LBB328_1664:
	s_delay_alu instid0(SALU_CYCLE_1)
	s_and_not1_b32 vcc_lo, exec_lo, s0
	s_cbranch_vccnz .LBB328_1680
; %bb.1665:
	v_cmp_gt_i16_e32 vcc_lo, 2, v6
	s_mov_b32 s0, -1
	s_cbranch_vccnz .LBB328_1675
; %bb.1666:
	v_cmp_gt_i16_e32 vcc_lo, 3, v6
	s_cbranch_vccnz .LBB328_1672
; %bb.1667:
	v_cmp_lt_i16_e32 vcc_lo, 3, v6
	s_cbranch_vccz .LBB328_1669
; %bb.1668:
	v_trunc_f32_e32 v3, v2
	s_mov_b32 s0, 0
	s_delay_alu instid0(VALU_DEP_1) | instskip(NEXT) | instid1(VALU_DEP_1)
	v_mul_f32_e64 v11, 0x2f800000, |v3|
	v_floor_f32_e32 v11, v11
	s_delay_alu instid0(VALU_DEP_1) | instskip(SKIP_2) | instid1(VALU_DEP_3)
	v_fma_f32 v12, 0xcf800000, v11, |v3|
	v_ashrrev_i32_e32 v3, 31, v3
	v_cvt_u32_f32_e32 v11, v11
	v_cvt_u32_f32_e32 v12, v12
	s_delay_alu instid0(VALU_DEP_2) | instskip(NEXT) | instid1(VALU_DEP_2)
	v_xor_b32_e32 v13, v11, v3
	v_xor_b32_e32 v12, v12, v3
	s_delay_alu instid0(VALU_DEP_1) | instskip(NEXT) | instid1(VALU_DEP_3)
	v_sub_co_u32 v11, vcc_lo, v12, v3
	v_sub_co_ci_u32_e32 v12, vcc_lo, v13, v3, vcc_lo
	global_store_b64 v[0:1], v[11:12], off
.LBB328_1669:
	s_and_not1_b32 vcc_lo, exec_lo, s0
	s_cbranch_vccnz .LBB328_1671
; %bb.1670:
	v_cvt_i32_f32_e32 v3, v2
	global_store_b32 v[0:1], v3, off
.LBB328_1671:
	s_mov_b32 s0, 0
.LBB328_1672:
	s_delay_alu instid0(SALU_CYCLE_1)
	s_and_not1_b32 vcc_lo, exec_lo, s0
	s_cbranch_vccnz .LBB328_1674
; %bb.1673:
	v_cvt_i32_f32_e32 v3, v2
	global_store_b16 v[0:1], v3, off
.LBB328_1674:
	s_mov_b32 s0, 0
.LBB328_1675:
	s_delay_alu instid0(SALU_CYCLE_1)
	s_and_not1_b32 vcc_lo, exec_lo, s0
	s_cbranch_vccnz .LBB328_1680
; %bb.1676:
	v_cmp_lt_i16_e32 vcc_lo, 0, v6
	s_mov_b32 s0, -1
	s_cbranch_vccz .LBB328_1678
; %bb.1677:
	v_cvt_i32_f32_e32 v3, v2
	s_mov_b32 s0, 0
	global_store_b8 v[0:1], v3, off
.LBB328_1678:
	s_and_not1_b32 vcc_lo, exec_lo, s0
	s_cbranch_vccnz .LBB328_1680
; %bb.1679:
	v_trunc_f32_e32 v2, v2
	s_delay_alu instid0(VALU_DEP_1) | instskip(NEXT) | instid1(VALU_DEP_1)
	v_mul_f32_e64 v3, 0x2f800000, |v2|
	v_floor_f32_e32 v3, v3
	s_delay_alu instid0(VALU_DEP_1) | instskip(SKIP_1) | instid1(VALU_DEP_2)
	v_fma_f32 v3, 0xcf800000, v3, |v2|
	v_ashrrev_i32_e32 v2, 31, v2
	v_cvt_u32_f32_e32 v3, v3
	s_delay_alu instid0(VALU_DEP_1) | instskip(NEXT) | instid1(VALU_DEP_1)
	v_xor_b32_e32 v3, v3, v2
	v_sub_nc_u32_e32 v2, v3, v2
	global_store_b8 v[0:1], v2, off
.LBB328_1680:
	s_mov_b32 s6, -1
.LBB328_1681:
	s_delay_alu instid0(SALU_CYCLE_1)
	s_and_not1_b32 vcc_lo, exec_lo, s6
	s_cbranch_vccnz .LBB328_1996
; %bb.1682:
	v_max_f32_e32 v0, v7, v7
	s_lshl_b32 s2, s8, 7
	v_cmp_u_f32_e64 s0, v7, v7
	v_add_nc_u32_e32 v4, s2, v4
	v_cmp_gt_i16_e32 vcc_lo, 11, v6
	v_maxmin_f32 v0, v0, v5, v10
	s_delay_alu instid0(VALU_DEP_3) | instskip(NEXT) | instid1(VALU_DEP_2)
	v_ashrrev_i32_e32 v1, 31, v4
	v_cndmask_b32_e64 v2, v0, v7, s0
	v_add_co_u32 v0, s0, s4, v4
	s_delay_alu instid0(VALU_DEP_1)
	v_add_co_ci_u32_e64 v1, s0, s5, v1, s0
	s_cbranch_vccnz .LBB328_1760
; %bb.1683:
	v_cmp_lt_i16_e32 vcc_lo, 25, v6
	s_mov_b32 s8, -1
	s_mov_b32 s6, 0
	s_mov_b32 s7, 0
	;; [unrolled: 1-line block ×3, first 2 shown]
	s_cbranch_vccz .LBB328_1716
; %bb.1684:
	v_cmp_lt_i16_e32 vcc_lo, 28, v6
	s_cbranch_vccz .LBB328_1699
; %bb.1685:
	v_cmp_lt_i16_e32 vcc_lo, 43, v6
	;; [unrolled: 3-line block ×3, first 2 shown]
	s_cbranch_vccz .LBB328_1689
; %bb.1687:
	v_cmp_eq_u16_e32 vcc_lo, 46, v6
	s_mov_b32 s0, -1
	s_mov_b32 s8, 0
	s_cbranch_vccz .LBB328_1689
; %bb.1688:
	v_bfe_u32 v3, v2, 16, 1
	v_cmp_o_f32_e32 vcc_lo, v2, v2
	s_mov_b32 s0, 0
	s_mov_b32 s7, -1
	s_delay_alu instid0(VALU_DEP_2) | instskip(NEXT) | instid1(VALU_DEP_1)
	v_add3_u32 v3, v2, v3, 0x7fff
	v_lshrrev_b32_e32 v3, 16, v3
	s_delay_alu instid0(VALU_DEP_1)
	v_cndmask_b32_e32 v3, 0x7fc0, v3, vcc_lo
	global_store_b32 v[0:1], v3, off
.LBB328_1689:
	s_and_b32 vcc_lo, exec_lo, s8
	s_cbranch_vccz .LBB328_1694
; %bb.1690:
	v_cmp_eq_u16_e32 vcc_lo, 44, v6
	s_mov_b32 s0, -1
	s_cbranch_vccz .LBB328_1694
; %bb.1691:
	v_bfe_u32 v7, v2, 23, 8
	v_mov_b32_e32 v3, 0xff
	s_mov_b32 s7, exec_lo
	s_delay_alu instid0(VALU_DEP_2)
	v_cmpx_ne_u32_e32 0xff, v7
; %bb.1692:
	v_and_b32_e32 v3, 0x400000, v2
	v_and_or_b32 v7, 0x3fffff, v2, v7
	s_delay_alu instid0(VALU_DEP_2) | instskip(NEXT) | instid1(VALU_DEP_2)
	v_cmp_ne_u32_e32 vcc_lo, 0, v3
	v_cmp_ne_u32_e64 s0, 0, v7
	v_lshrrev_b32_e32 v3, 23, v2
	s_delay_alu instid0(VALU_DEP_2) | instskip(NEXT) | instid1(SALU_CYCLE_1)
	s_and_b32 s0, vcc_lo, s0
	v_cndmask_b32_e64 v7, 0, 1, s0
	s_delay_alu instid0(VALU_DEP_1)
	v_add_nc_u32_e32 v3, v3, v7
; %bb.1693:
	s_or_b32 exec_lo, exec_lo, s7
	s_mov_b32 s0, 0
	s_mov_b32 s7, -1
	global_store_b8 v[0:1], v3, off
.LBB328_1694:
	s_mov_b32 s8, 0
.LBB328_1695:
	s_delay_alu instid0(SALU_CYCLE_1)
	s_and_b32 vcc_lo, exec_lo, s8
	s_cbranch_vccz .LBB328_1698
; %bb.1696:
	v_cmp_eq_u16_e32 vcc_lo, 29, v6
	s_mov_b32 s0, -1
	s_cbranch_vccz .LBB328_1698
; %bb.1697:
	v_trunc_f32_e32 v3, v2
	s_mov_b32 s0, 0
	s_mov_b32 s7, -1
	s_delay_alu instid0(VALU_DEP_1) | instskip(NEXT) | instid1(VALU_DEP_1)
	v_mul_f32_e32 v7, 0x2f800000, v3
	v_floor_f32_e32 v7, v7
	s_delay_alu instid0(VALU_DEP_1) | instskip(SKIP_1) | instid1(VALU_DEP_2)
	v_fmamk_f32 v3, v7, 0xcf800000, v3
	v_cvt_u32_f32_e32 v12, v7
	v_cvt_u32_f32_e32 v11, v3
	global_store_b64 v[0:1], v[11:12], off
.LBB328_1698:
	s_mov_b32 s8, 0
.LBB328_1699:
	s_delay_alu instid0(SALU_CYCLE_1)
	s_and_b32 vcc_lo, exec_lo, s8
	s_cbranch_vccz .LBB328_1715
; %bb.1700:
	v_cmp_gt_i16_e32 vcc_lo, 27, v6
	s_mov_b32 s7, -1
	s_cbranch_vccnz .LBB328_1706
; %bb.1701:
	v_cmp_lt_i16_e32 vcc_lo, 27, v6
	v_cvt_u32_f32_e32 v3, v2
	s_cbranch_vccz .LBB328_1703
; %bb.1702:
	s_mov_b32 s7, 0
	global_store_b32 v[0:1], v3, off
.LBB328_1703:
	s_and_not1_b32 vcc_lo, exec_lo, s7
	s_cbranch_vccnz .LBB328_1705
; %bb.1704:
	global_store_b16 v[0:1], v3, off
.LBB328_1705:
	s_mov_b32 s7, 0
.LBB328_1706:
	s_delay_alu instid0(SALU_CYCLE_1)
	s_and_not1_b32 vcc_lo, exec_lo, s7
	s_cbranch_vccnz .LBB328_1714
; %bb.1707:
	v_and_b32_e32 v3, 0x7fffffff, v2
	v_mov_b32_e32 v7, 0x80
	s_mov_b32 s7, exec_lo
	s_delay_alu instid0(VALU_DEP_2)
	v_cmpx_gt_u32_e32 0x43800000, v3
	s_cbranch_execz .LBB328_1713
; %bb.1708:
	v_cmp_lt_u32_e32 vcc_lo, 0x3bffffff, v3
	s_mov_b32 s8, 0
                                        ; implicit-def: $vgpr3
	s_and_saveexec_b32 s9, vcc_lo
	s_delay_alu instid0(SALU_CYCLE_1)
	s_xor_b32 s9, exec_lo, s9
	s_cbranch_execz .LBB328_2052
; %bb.1709:
	v_bfe_u32 v3, v2, 20, 1
	s_mov_b32 s8, exec_lo
	s_delay_alu instid0(VALU_DEP_1) | instskip(NEXT) | instid1(VALU_DEP_1)
	v_add3_u32 v3, v2, v3, 0x487ffff
	v_lshrrev_b32_e32 v3, 20, v3
	s_or_saveexec_b32 s9, s9
                                        ; implicit-def: $sgpr10
	s_delay_alu instid0(SALU_CYCLE_1)
	s_xor_b32 exec_lo, exec_lo, s9
	s_cbranch_execnz .LBB328_2053
.LBB328_1710:
	s_or_b32 exec_lo, exec_lo, s9
	v_mov_b32_e32 v7, s10
	s_and_saveexec_b32 s9, s8
.LBB328_1711:
	v_lshrrev_b32_e32 v7, 24, v2
	s_delay_alu instid0(VALU_DEP_1)
	v_and_or_b32 v7, 0x80, v7, v3
.LBB328_1712:
	s_or_b32 exec_lo, exec_lo, s9
.LBB328_1713:
	s_delay_alu instid0(SALU_CYCLE_1)
	s_or_b32 exec_lo, exec_lo, s7
	global_store_b8 v[0:1], v7, off
.LBB328_1714:
	s_mov_b32 s7, -1
.LBB328_1715:
	s_mov_b32 s8, 0
.LBB328_1716:
	s_delay_alu instid0(SALU_CYCLE_1)
	s_and_b32 vcc_lo, exec_lo, s8
	s_cbranch_vccz .LBB328_1756
; %bb.1717:
	v_cmp_lt_i16_e32 vcc_lo, 22, v6
	s_mov_b32 s6, -1
	s_cbranch_vccz .LBB328_1749
; %bb.1718:
	v_cmp_gt_i16_e32 vcc_lo, 24, v6
	s_cbranch_vccnz .LBB328_1738
; %bb.1719:
	v_cmp_lt_i16_e32 vcc_lo, 24, v6
	s_cbranch_vccz .LBB328_1727
; %bb.1720:
	v_and_b32_e32 v3, 0x7fffffff, v2
	v_mov_b32_e32 v7, 0x80
	s_mov_b32 s6, exec_lo
	s_delay_alu instid0(VALU_DEP_2)
	v_cmpx_gt_u32_e32 0x47800000, v3
	s_cbranch_execz .LBB328_1726
; %bb.1721:
	v_cmp_lt_u32_e32 vcc_lo, 0x37ffffff, v3
	s_mov_b32 s7, 0
                                        ; implicit-def: $vgpr3
	s_and_saveexec_b32 s8, vcc_lo
	s_delay_alu instid0(SALU_CYCLE_1)
	s_xor_b32 s8, exec_lo, s8
	s_cbranch_execz .LBB328_2058
; %bb.1722:
	v_bfe_u32 v3, v2, 21, 1
	s_mov_b32 s7, exec_lo
	s_delay_alu instid0(VALU_DEP_1) | instskip(NEXT) | instid1(VALU_DEP_1)
	v_add3_u32 v3, v2, v3, 0x88fffff
	v_lshrrev_b32_e32 v3, 21, v3
	s_or_saveexec_b32 s8, s8
                                        ; implicit-def: $sgpr9
	s_delay_alu instid0(SALU_CYCLE_1)
	s_xor_b32 exec_lo, exec_lo, s8
	s_cbranch_execnz .LBB328_2059
.LBB328_1723:
	s_or_b32 exec_lo, exec_lo, s8
	v_mov_b32_e32 v7, s9
	s_and_saveexec_b32 s8, s7
.LBB328_1724:
	v_lshrrev_b32_e32 v7, 24, v2
	s_delay_alu instid0(VALU_DEP_1)
	v_and_or_b32 v7, 0x80, v7, v3
.LBB328_1725:
	s_or_b32 exec_lo, exec_lo, s8
.LBB328_1726:
	s_delay_alu instid0(SALU_CYCLE_1)
	s_or_b32 exec_lo, exec_lo, s6
	s_mov_b32 s6, 0
	global_store_b8 v[0:1], v7, off
.LBB328_1727:
	s_and_b32 vcc_lo, exec_lo, s6
	s_cbranch_vccz .LBB328_1737
; %bb.1728:
	v_and_b32_e32 v7, 0x7fffffff, v2
	s_mov_b32 s6, exec_lo
                                        ; implicit-def: $vgpr3
	s_delay_alu instid0(VALU_DEP_1)
	v_cmpx_gt_u32_e32 0x43f00000, v7
	s_xor_b32 s6, exec_lo, s6
	s_cbranch_execz .LBB328_1734
; %bb.1729:
	s_mov_b32 s7, exec_lo
                                        ; implicit-def: $vgpr3
	v_cmpx_lt_u32_e32 0x3c7fffff, v7
	s_xor_b32 s7, exec_lo, s7
; %bb.1730:
	v_bfe_u32 v3, v2, 20, 1
	s_delay_alu instid0(VALU_DEP_1) | instskip(NEXT) | instid1(VALU_DEP_1)
	v_add3_u32 v3, v2, v3, 0x407ffff
	v_and_b32_e32 v7, 0xff00000, v3
	v_lshrrev_b32_e32 v3, 20, v3
	s_delay_alu instid0(VALU_DEP_2) | instskip(NEXT) | instid1(VALU_DEP_2)
	v_cmp_ne_u32_e32 vcc_lo, 0x7f00000, v7
	v_cndmask_b32_e32 v3, 0x7e, v3, vcc_lo
; %bb.1731:
	s_and_not1_saveexec_b32 s7, s7
; %bb.1732:
	v_add_f32_e64 v3, 0x46800000, |v2|
; %bb.1733:
	s_or_b32 exec_lo, exec_lo, s7
                                        ; implicit-def: $vgpr7
.LBB328_1734:
	s_and_not1_saveexec_b32 s6, s6
; %bb.1735:
	v_mov_b32_e32 v3, 0x7f
	v_cmp_lt_u32_e32 vcc_lo, 0x7f800000, v7
	s_delay_alu instid0(VALU_DEP_2)
	v_cndmask_b32_e32 v3, 0x7e, v3, vcc_lo
; %bb.1736:
	s_or_b32 exec_lo, exec_lo, s6
	v_lshrrev_b32_e32 v7, 24, v2
	s_delay_alu instid0(VALU_DEP_1)
	v_and_or_b32 v3, 0x80, v7, v3
	global_store_b8 v[0:1], v3, off
.LBB328_1737:
	s_mov_b32 s6, 0
.LBB328_1738:
	s_delay_alu instid0(SALU_CYCLE_1)
	s_and_not1_b32 vcc_lo, exec_lo, s6
	s_cbranch_vccnz .LBB328_1748
; %bb.1739:
	v_and_b32_e32 v7, 0x7fffffff, v2
	s_mov_b32 s6, exec_lo
                                        ; implicit-def: $vgpr3
	s_delay_alu instid0(VALU_DEP_1)
	v_cmpx_gt_u32_e32 0x47800000, v7
	s_xor_b32 s6, exec_lo, s6
	s_cbranch_execz .LBB328_1745
; %bb.1740:
	s_mov_b32 s7, exec_lo
                                        ; implicit-def: $vgpr3
	v_cmpx_lt_u32_e32 0x387fffff, v7
	s_xor_b32 s7, exec_lo, s7
; %bb.1741:
	v_bfe_u32 v3, v2, 21, 1
	s_delay_alu instid0(VALU_DEP_1) | instskip(NEXT) | instid1(VALU_DEP_1)
	v_add3_u32 v3, v2, v3, 0x80fffff
	v_lshrrev_b32_e32 v3, 21, v3
; %bb.1742:
	s_and_not1_saveexec_b32 s7, s7
; %bb.1743:
	v_add_f32_e64 v3, 0x43000000, |v2|
; %bb.1744:
	s_or_b32 exec_lo, exec_lo, s7
                                        ; implicit-def: $vgpr7
.LBB328_1745:
	s_and_not1_saveexec_b32 s6, s6
; %bb.1746:
	v_mov_b32_e32 v3, 0x7f
	v_cmp_lt_u32_e32 vcc_lo, 0x7f800000, v7
	s_delay_alu instid0(VALU_DEP_2)
	v_cndmask_b32_e32 v3, 0x7c, v3, vcc_lo
; %bb.1747:
	s_or_b32 exec_lo, exec_lo, s6
	v_lshrrev_b32_e32 v7, 24, v2
	s_delay_alu instid0(VALU_DEP_1)
	v_and_or_b32 v3, 0x80, v7, v3
	global_store_b8 v[0:1], v3, off
.LBB328_1748:
	s_mov_b32 s6, 0
	s_mov_b32 s7, -1
.LBB328_1749:
	s_and_not1_b32 vcc_lo, exec_lo, s6
	s_mov_b32 s6, 0
	s_cbranch_vccnz .LBB328_1756
; %bb.1750:
	v_cmp_lt_i16_e32 vcc_lo, 14, v6
	s_mov_b32 s6, -1
	s_cbranch_vccz .LBB328_1754
; %bb.1751:
	v_cmp_eq_u16_e32 vcc_lo, 15, v6
	s_mov_b32 s0, -1
	s_cbranch_vccz .LBB328_1753
; %bb.1752:
	v_bfe_u32 v3, v2, 16, 1
	v_cmp_o_f32_e32 vcc_lo, v2, v2
	s_mov_b32 s0, 0
	s_mov_b32 s7, -1
	s_delay_alu instid0(VALU_DEP_2) | instskip(NEXT) | instid1(VALU_DEP_1)
	v_add3_u32 v3, v2, v3, 0x7fff
	v_lshrrev_b32_e32 v3, 16, v3
	s_delay_alu instid0(VALU_DEP_1)
	v_cndmask_b32_e32 v3, 0x7fc0, v3, vcc_lo
	global_store_b16 v[0:1], v3, off
.LBB328_1753:
	s_mov_b32 s6, 0
.LBB328_1754:
	s_delay_alu instid0(SALU_CYCLE_1)
	s_and_b32 vcc_lo, exec_lo, s6
	s_mov_b32 s6, 0
	s_cbranch_vccz .LBB328_1756
; %bb.1755:
	v_cmp_ne_u16_e64 s0, 11, v6
	s_mov_b32 s6, -1
.LBB328_1756:
	s_delay_alu instid0(VALU_DEP_1)
	s_and_b32 vcc_lo, exec_lo, s0
	s_cbranch_vccnz .LBB328_2056
; %bb.1757:
	s_and_not1_b32 vcc_lo, exec_lo, s6
	s_cbranch_vccnz .LBB328_1759
.LBB328_1758:
	v_cmp_neq_f32_e32 vcc_lo, 0, v2
	s_mov_b32 s7, -1
	v_cndmask_b32_e64 v3, 0, 1, vcc_lo
	global_store_b8 v[0:1], v3, off
.LBB328_1759:
	s_mov_b32 s0, 0
	s_branch .LBB328_1761
.LBB328_1760:
	s_mov_b32 s0, -1
	s_mov_b32 s7, 0
.LBB328_1761:
	s_and_b32 vcc_lo, exec_lo, s0
	s_cbranch_vccz .LBB328_1800
; %bb.1762:
	v_cmp_gt_i16_e32 vcc_lo, 5, v6
	s_mov_b32 s0, -1
	s_cbranch_vccnz .LBB328_1783
; %bb.1763:
	v_cmp_gt_i16_e32 vcc_lo, 8, v6
	s_cbranch_vccnz .LBB328_1773
; %bb.1764:
	v_cmp_gt_i16_e32 vcc_lo, 9, v6
	s_cbranch_vccnz .LBB328_1770
; %bb.1765:
	v_cmp_lt_i16_e32 vcc_lo, 9, v6
	s_cbranch_vccz .LBB328_1767
; %bb.1766:
	v_cvt_f64_f32_e32 v[11:12], v2
	v_mov_b32_e32 v13, 0
	s_mov_b32 s0, 0
	s_delay_alu instid0(VALU_DEP_1)
	v_mov_b32_e32 v14, v13
	global_store_b128 v[0:1], v[11:14], off
.LBB328_1767:
	s_and_not1_b32 vcc_lo, exec_lo, s0
	s_cbranch_vccnz .LBB328_1769
; %bb.1768:
	v_mov_b32_e32 v3, 0
	global_store_b64 v[0:1], v[2:3], off
.LBB328_1769:
	s_mov_b32 s0, 0
.LBB328_1770:
	s_delay_alu instid0(SALU_CYCLE_1)
	s_and_not1_b32 vcc_lo, exec_lo, s0
	s_cbranch_vccnz .LBB328_1772
; %bb.1771:
	v_cvt_f16_f32_e32 v3, v2
	s_delay_alu instid0(VALU_DEP_1)
	v_and_b32_e32 v3, 0xffff, v3
	global_store_b32 v[0:1], v3, off
.LBB328_1772:
	s_mov_b32 s0, 0
.LBB328_1773:
	s_delay_alu instid0(SALU_CYCLE_1)
	s_and_not1_b32 vcc_lo, exec_lo, s0
	s_cbranch_vccnz .LBB328_1782
; %bb.1774:
	v_cmp_gt_i16_e32 vcc_lo, 6, v6
	s_mov_b32 s0, -1
	s_cbranch_vccnz .LBB328_1780
; %bb.1775:
	v_cmp_lt_i16_e32 vcc_lo, 6, v6
	s_cbranch_vccz .LBB328_1777
; %bb.1776:
	v_cvt_f64_f32_e32 v[11:12], v2
	s_mov_b32 s0, 0
	global_store_b64 v[0:1], v[11:12], off
.LBB328_1777:
	s_and_not1_b32 vcc_lo, exec_lo, s0
	s_cbranch_vccnz .LBB328_1779
; %bb.1778:
	global_store_b32 v[0:1], v2, off
.LBB328_1779:
	s_mov_b32 s0, 0
.LBB328_1780:
	s_delay_alu instid0(SALU_CYCLE_1)
	s_and_not1_b32 vcc_lo, exec_lo, s0
	s_cbranch_vccnz .LBB328_1782
; %bb.1781:
	v_cvt_f16_f32_e32 v3, v2
	global_store_b16 v[0:1], v3, off
.LBB328_1782:
	s_mov_b32 s0, 0
.LBB328_1783:
	s_delay_alu instid0(SALU_CYCLE_1)
	s_and_not1_b32 vcc_lo, exec_lo, s0
	s_cbranch_vccnz .LBB328_1799
; %bb.1784:
	v_cmp_gt_i16_e32 vcc_lo, 2, v6
	s_mov_b32 s0, -1
	s_cbranch_vccnz .LBB328_1794
; %bb.1785:
	v_cmp_gt_i16_e32 vcc_lo, 3, v6
	s_cbranch_vccnz .LBB328_1791
; %bb.1786:
	v_cmp_lt_i16_e32 vcc_lo, 3, v6
	s_cbranch_vccz .LBB328_1788
; %bb.1787:
	v_trunc_f32_e32 v3, v2
	s_mov_b32 s0, 0
	s_delay_alu instid0(VALU_DEP_1) | instskip(NEXT) | instid1(VALU_DEP_1)
	v_mul_f32_e64 v7, 0x2f800000, |v3|
	v_floor_f32_e32 v7, v7
	s_delay_alu instid0(VALU_DEP_1) | instskip(SKIP_2) | instid1(VALU_DEP_3)
	v_fma_f32 v11, 0xcf800000, v7, |v3|
	v_ashrrev_i32_e32 v3, 31, v3
	v_cvt_u32_f32_e32 v7, v7
	v_cvt_u32_f32_e32 v11, v11
	s_delay_alu instid0(VALU_DEP_2) | instskip(NEXT) | instid1(VALU_DEP_2)
	v_xor_b32_e32 v7, v7, v3
	v_xor_b32_e32 v11, v11, v3
	s_delay_alu instid0(VALU_DEP_1) | instskip(NEXT) | instid1(VALU_DEP_3)
	v_sub_co_u32 v11, vcc_lo, v11, v3
	v_sub_co_ci_u32_e32 v12, vcc_lo, v7, v3, vcc_lo
	global_store_b64 v[0:1], v[11:12], off
.LBB328_1788:
	s_and_not1_b32 vcc_lo, exec_lo, s0
	s_cbranch_vccnz .LBB328_1790
; %bb.1789:
	v_cvt_i32_f32_e32 v3, v2
	global_store_b32 v[0:1], v3, off
.LBB328_1790:
	s_mov_b32 s0, 0
.LBB328_1791:
	s_delay_alu instid0(SALU_CYCLE_1)
	s_and_not1_b32 vcc_lo, exec_lo, s0
	s_cbranch_vccnz .LBB328_1793
; %bb.1792:
	v_cvt_i32_f32_e32 v3, v2
	global_store_b16 v[0:1], v3, off
.LBB328_1793:
	s_mov_b32 s0, 0
.LBB328_1794:
	s_delay_alu instid0(SALU_CYCLE_1)
	s_and_not1_b32 vcc_lo, exec_lo, s0
	s_cbranch_vccnz .LBB328_1799
; %bb.1795:
	v_cmp_lt_i16_e32 vcc_lo, 0, v6
	s_mov_b32 s0, -1
	s_cbranch_vccz .LBB328_1797
; %bb.1796:
	v_cvt_i32_f32_e32 v3, v2
	s_mov_b32 s0, 0
	global_store_b8 v[0:1], v3, off
.LBB328_1797:
	s_and_not1_b32 vcc_lo, exec_lo, s0
	s_cbranch_vccnz .LBB328_1799
; %bb.1798:
	v_trunc_f32_e32 v2, v2
	s_delay_alu instid0(VALU_DEP_1) | instskip(NEXT) | instid1(VALU_DEP_1)
	v_mul_f32_e64 v3, 0x2f800000, |v2|
	v_floor_f32_e32 v3, v3
	s_delay_alu instid0(VALU_DEP_1) | instskip(SKIP_1) | instid1(VALU_DEP_2)
	v_fma_f32 v3, 0xcf800000, v3, |v2|
	v_ashrrev_i32_e32 v2, 31, v2
	v_cvt_u32_f32_e32 v3, v3
	s_delay_alu instid0(VALU_DEP_1) | instskip(NEXT) | instid1(VALU_DEP_1)
	v_xor_b32_e32 v3, v3, v2
	v_sub_nc_u32_e32 v2, v3, v2
	global_store_b8 v[0:1], v2, off
.LBB328_1799:
	s_mov_b32 s7, -1
.LBB328_1800:
	s_delay_alu instid0(SALU_CYCLE_1)
	s_and_not1_b32 vcc_lo, exec_lo, s7
	s_cbranch_vccnz .LBB328_1996
; %bb.1801:
	v_max_f32_e32 v0, v8, v8
	v_add_nc_u32_e32 v4, s2, v4
	v_cmp_u_f32_e64 s0, v8, v8
	v_cmp_gt_i16_e32 vcc_lo, 11, v6
	s_delay_alu instid0(VALU_DEP_4) | instskip(NEXT) | instid1(VALU_DEP_4)
	v_maxmin_f32 v0, v0, v5, v10
	v_ashrrev_i32_e32 v1, 31, v4
	s_delay_alu instid0(VALU_DEP_2) | instskip(SKIP_1) | instid1(VALU_DEP_1)
	v_cndmask_b32_e64 v2, v0, v8, s0
	v_add_co_u32 v0, s0, s4, v4
	v_add_co_ci_u32_e64 v1, s0, s5, v1, s0
	s_cbranch_vccnz .LBB328_1879
; %bb.1802:
	v_cmp_lt_i16_e32 vcc_lo, 25, v6
	s_mov_b32 s8, -1
	s_mov_b32 s6, 0
	s_mov_b32 s7, 0
	;; [unrolled: 1-line block ×3, first 2 shown]
	s_cbranch_vccz .LBB328_1835
; %bb.1803:
	v_cmp_lt_i16_e32 vcc_lo, 28, v6
	s_cbranch_vccz .LBB328_1818
; %bb.1804:
	v_cmp_lt_i16_e32 vcc_lo, 43, v6
	;; [unrolled: 3-line block ×3, first 2 shown]
	s_cbranch_vccz .LBB328_1808
; %bb.1806:
	v_cmp_eq_u16_e32 vcc_lo, 46, v6
	s_mov_b32 s0, -1
	s_mov_b32 s8, 0
	s_cbranch_vccz .LBB328_1808
; %bb.1807:
	v_bfe_u32 v3, v2, 16, 1
	v_cmp_o_f32_e32 vcc_lo, v2, v2
	s_mov_b32 s0, 0
	s_mov_b32 s7, -1
	s_delay_alu instid0(VALU_DEP_2) | instskip(NEXT) | instid1(VALU_DEP_1)
	v_add3_u32 v3, v2, v3, 0x7fff
	v_lshrrev_b32_e32 v3, 16, v3
	s_delay_alu instid0(VALU_DEP_1)
	v_cndmask_b32_e32 v3, 0x7fc0, v3, vcc_lo
	global_store_b32 v[0:1], v3, off
.LBB328_1808:
	s_and_b32 vcc_lo, exec_lo, s8
	s_cbranch_vccz .LBB328_1813
; %bb.1809:
	v_cmp_eq_u16_e32 vcc_lo, 44, v6
	s_mov_b32 s0, -1
	s_cbranch_vccz .LBB328_1813
; %bb.1810:
	v_bfe_u32 v7, v2, 23, 8
	v_mov_b32_e32 v3, 0xff
	s_mov_b32 s7, exec_lo
	s_delay_alu instid0(VALU_DEP_2)
	v_cmpx_ne_u32_e32 0xff, v7
; %bb.1811:
	v_and_b32_e32 v3, 0x400000, v2
	v_and_or_b32 v7, 0x3fffff, v2, v7
	s_delay_alu instid0(VALU_DEP_2) | instskip(NEXT) | instid1(VALU_DEP_2)
	v_cmp_ne_u32_e32 vcc_lo, 0, v3
	v_cmp_ne_u32_e64 s0, 0, v7
	v_lshrrev_b32_e32 v3, 23, v2
	s_delay_alu instid0(VALU_DEP_2) | instskip(NEXT) | instid1(SALU_CYCLE_1)
	s_and_b32 s0, vcc_lo, s0
	v_cndmask_b32_e64 v7, 0, 1, s0
	s_delay_alu instid0(VALU_DEP_1)
	v_add_nc_u32_e32 v3, v3, v7
; %bb.1812:
	s_or_b32 exec_lo, exec_lo, s7
	s_mov_b32 s0, 0
	s_mov_b32 s7, -1
	global_store_b8 v[0:1], v3, off
.LBB328_1813:
	s_mov_b32 s8, 0
.LBB328_1814:
	s_delay_alu instid0(SALU_CYCLE_1)
	s_and_b32 vcc_lo, exec_lo, s8
	s_cbranch_vccz .LBB328_1817
; %bb.1815:
	v_cmp_eq_u16_e32 vcc_lo, 29, v6
	s_mov_b32 s0, -1
	s_cbranch_vccz .LBB328_1817
; %bb.1816:
	v_trunc_f32_e32 v3, v2
	s_mov_b32 s0, 0
	s_mov_b32 s7, -1
	s_delay_alu instid0(VALU_DEP_1) | instskip(NEXT) | instid1(VALU_DEP_1)
	v_mul_f32_e32 v7, 0x2f800000, v3
	v_floor_f32_e32 v7, v7
	s_delay_alu instid0(VALU_DEP_1) | instskip(SKIP_1) | instid1(VALU_DEP_2)
	v_fmamk_f32 v3, v7, 0xcf800000, v3
	v_cvt_u32_f32_e32 v8, v7
	v_cvt_u32_f32_e32 v7, v3
	global_store_b64 v[0:1], v[7:8], off
.LBB328_1817:
	s_mov_b32 s8, 0
.LBB328_1818:
	s_delay_alu instid0(SALU_CYCLE_1)
	s_and_b32 vcc_lo, exec_lo, s8
	s_cbranch_vccz .LBB328_1834
; %bb.1819:
	v_cmp_gt_i16_e32 vcc_lo, 27, v6
	s_mov_b32 s7, -1
	s_cbranch_vccnz .LBB328_1825
; %bb.1820:
	v_cmp_lt_i16_e32 vcc_lo, 27, v6
	v_cvt_u32_f32_e32 v3, v2
	s_cbranch_vccz .LBB328_1822
; %bb.1821:
	s_mov_b32 s7, 0
	global_store_b32 v[0:1], v3, off
.LBB328_1822:
	s_and_not1_b32 vcc_lo, exec_lo, s7
	s_cbranch_vccnz .LBB328_1824
; %bb.1823:
	global_store_b16 v[0:1], v3, off
.LBB328_1824:
	s_mov_b32 s7, 0
.LBB328_1825:
	s_delay_alu instid0(SALU_CYCLE_1)
	s_and_not1_b32 vcc_lo, exec_lo, s7
	s_cbranch_vccnz .LBB328_1833
; %bb.1826:
	v_and_b32_e32 v3, 0x7fffffff, v2
	v_mov_b32_e32 v7, 0x80
	s_mov_b32 s7, exec_lo
	s_delay_alu instid0(VALU_DEP_2)
	v_cmpx_gt_u32_e32 0x43800000, v3
	s_cbranch_execz .LBB328_1832
; %bb.1827:
	v_cmp_lt_u32_e32 vcc_lo, 0x3bffffff, v3
	s_mov_b32 s8, 0
                                        ; implicit-def: $vgpr3
	s_and_saveexec_b32 s9, vcc_lo
	s_delay_alu instid0(SALU_CYCLE_1)
	s_xor_b32 s9, exec_lo, s9
	s_cbranch_execz .LBB328_2060
; %bb.1828:
	v_bfe_u32 v3, v2, 20, 1
	s_mov_b32 s8, exec_lo
	s_delay_alu instid0(VALU_DEP_1) | instskip(NEXT) | instid1(VALU_DEP_1)
	v_add3_u32 v3, v2, v3, 0x487ffff
	v_lshrrev_b32_e32 v3, 20, v3
	s_or_saveexec_b32 s9, s9
                                        ; implicit-def: $sgpr10
	s_delay_alu instid0(SALU_CYCLE_1)
	s_xor_b32 exec_lo, exec_lo, s9
	s_cbranch_execnz .LBB328_2061
.LBB328_1829:
	s_or_b32 exec_lo, exec_lo, s9
	v_mov_b32_e32 v7, s10
	s_and_saveexec_b32 s9, s8
.LBB328_1830:
	v_lshrrev_b32_e32 v7, 24, v2
	s_delay_alu instid0(VALU_DEP_1)
	v_and_or_b32 v7, 0x80, v7, v3
.LBB328_1831:
	s_or_b32 exec_lo, exec_lo, s9
.LBB328_1832:
	s_delay_alu instid0(SALU_CYCLE_1)
	s_or_b32 exec_lo, exec_lo, s7
	global_store_b8 v[0:1], v7, off
.LBB328_1833:
	s_mov_b32 s7, -1
.LBB328_1834:
	s_mov_b32 s8, 0
.LBB328_1835:
	s_delay_alu instid0(SALU_CYCLE_1)
	s_and_b32 vcc_lo, exec_lo, s8
	s_cbranch_vccz .LBB328_1875
; %bb.1836:
	v_cmp_lt_i16_e32 vcc_lo, 22, v6
	s_mov_b32 s6, -1
	s_cbranch_vccz .LBB328_1868
; %bb.1837:
	v_cmp_gt_i16_e32 vcc_lo, 24, v6
	s_cbranch_vccnz .LBB328_1857
; %bb.1838:
	v_cmp_lt_i16_e32 vcc_lo, 24, v6
	s_cbranch_vccz .LBB328_1846
; %bb.1839:
	v_and_b32_e32 v3, 0x7fffffff, v2
	v_mov_b32_e32 v7, 0x80
	s_mov_b32 s6, exec_lo
	s_delay_alu instid0(VALU_DEP_2)
	v_cmpx_gt_u32_e32 0x47800000, v3
	s_cbranch_execz .LBB328_1845
; %bb.1840:
	v_cmp_lt_u32_e32 vcc_lo, 0x37ffffff, v3
	s_mov_b32 s7, 0
                                        ; implicit-def: $vgpr3
	s_and_saveexec_b32 s8, vcc_lo
	s_delay_alu instid0(SALU_CYCLE_1)
	s_xor_b32 s8, exec_lo, s8
	s_cbranch_execz .LBB328_2066
; %bb.1841:
	v_bfe_u32 v3, v2, 21, 1
	s_mov_b32 s7, exec_lo
	s_delay_alu instid0(VALU_DEP_1) | instskip(NEXT) | instid1(VALU_DEP_1)
	v_add3_u32 v3, v2, v3, 0x88fffff
	v_lshrrev_b32_e32 v3, 21, v3
	s_or_saveexec_b32 s8, s8
                                        ; implicit-def: $sgpr9
	s_delay_alu instid0(SALU_CYCLE_1)
	s_xor_b32 exec_lo, exec_lo, s8
	s_cbranch_execnz .LBB328_2067
.LBB328_1842:
	s_or_b32 exec_lo, exec_lo, s8
	v_mov_b32_e32 v7, s9
	s_and_saveexec_b32 s8, s7
.LBB328_1843:
	v_lshrrev_b32_e32 v7, 24, v2
	s_delay_alu instid0(VALU_DEP_1)
	v_and_or_b32 v7, 0x80, v7, v3
.LBB328_1844:
	s_or_b32 exec_lo, exec_lo, s8
.LBB328_1845:
	s_delay_alu instid0(SALU_CYCLE_1)
	s_or_b32 exec_lo, exec_lo, s6
	s_mov_b32 s6, 0
	global_store_b8 v[0:1], v7, off
.LBB328_1846:
	s_and_b32 vcc_lo, exec_lo, s6
	s_cbranch_vccz .LBB328_1856
; %bb.1847:
	v_and_b32_e32 v7, 0x7fffffff, v2
	s_mov_b32 s6, exec_lo
                                        ; implicit-def: $vgpr3
	s_delay_alu instid0(VALU_DEP_1)
	v_cmpx_gt_u32_e32 0x43f00000, v7
	s_xor_b32 s6, exec_lo, s6
	s_cbranch_execz .LBB328_1853
; %bb.1848:
	s_mov_b32 s7, exec_lo
                                        ; implicit-def: $vgpr3
	v_cmpx_lt_u32_e32 0x3c7fffff, v7
	s_xor_b32 s7, exec_lo, s7
; %bb.1849:
	v_bfe_u32 v3, v2, 20, 1
	s_delay_alu instid0(VALU_DEP_1) | instskip(NEXT) | instid1(VALU_DEP_1)
	v_add3_u32 v3, v2, v3, 0x407ffff
	v_and_b32_e32 v7, 0xff00000, v3
	v_lshrrev_b32_e32 v3, 20, v3
	s_delay_alu instid0(VALU_DEP_2) | instskip(NEXT) | instid1(VALU_DEP_2)
	v_cmp_ne_u32_e32 vcc_lo, 0x7f00000, v7
	v_cndmask_b32_e32 v3, 0x7e, v3, vcc_lo
; %bb.1850:
	s_and_not1_saveexec_b32 s7, s7
; %bb.1851:
	v_add_f32_e64 v3, 0x46800000, |v2|
; %bb.1852:
	s_or_b32 exec_lo, exec_lo, s7
                                        ; implicit-def: $vgpr7
.LBB328_1853:
	s_and_not1_saveexec_b32 s6, s6
; %bb.1854:
	v_mov_b32_e32 v3, 0x7f
	v_cmp_lt_u32_e32 vcc_lo, 0x7f800000, v7
	s_delay_alu instid0(VALU_DEP_2)
	v_cndmask_b32_e32 v3, 0x7e, v3, vcc_lo
; %bb.1855:
	s_or_b32 exec_lo, exec_lo, s6
	v_lshrrev_b32_e32 v7, 24, v2
	s_delay_alu instid0(VALU_DEP_1)
	v_and_or_b32 v3, 0x80, v7, v3
	global_store_b8 v[0:1], v3, off
.LBB328_1856:
	s_mov_b32 s6, 0
.LBB328_1857:
	s_delay_alu instid0(SALU_CYCLE_1)
	s_and_not1_b32 vcc_lo, exec_lo, s6
	s_cbranch_vccnz .LBB328_1867
; %bb.1858:
	v_and_b32_e32 v7, 0x7fffffff, v2
	s_mov_b32 s6, exec_lo
                                        ; implicit-def: $vgpr3
	s_delay_alu instid0(VALU_DEP_1)
	v_cmpx_gt_u32_e32 0x47800000, v7
	s_xor_b32 s6, exec_lo, s6
	s_cbranch_execz .LBB328_1864
; %bb.1859:
	s_mov_b32 s7, exec_lo
                                        ; implicit-def: $vgpr3
	v_cmpx_lt_u32_e32 0x387fffff, v7
	s_xor_b32 s7, exec_lo, s7
; %bb.1860:
	v_bfe_u32 v3, v2, 21, 1
	s_delay_alu instid0(VALU_DEP_1) | instskip(NEXT) | instid1(VALU_DEP_1)
	v_add3_u32 v3, v2, v3, 0x80fffff
	v_lshrrev_b32_e32 v3, 21, v3
; %bb.1861:
	s_and_not1_saveexec_b32 s7, s7
; %bb.1862:
	v_add_f32_e64 v3, 0x43000000, |v2|
; %bb.1863:
	s_or_b32 exec_lo, exec_lo, s7
                                        ; implicit-def: $vgpr7
.LBB328_1864:
	s_and_not1_saveexec_b32 s6, s6
; %bb.1865:
	v_mov_b32_e32 v3, 0x7f
	v_cmp_lt_u32_e32 vcc_lo, 0x7f800000, v7
	s_delay_alu instid0(VALU_DEP_2)
	v_cndmask_b32_e32 v3, 0x7c, v3, vcc_lo
; %bb.1866:
	s_or_b32 exec_lo, exec_lo, s6
	v_lshrrev_b32_e32 v7, 24, v2
	s_delay_alu instid0(VALU_DEP_1)
	v_and_or_b32 v3, 0x80, v7, v3
	global_store_b8 v[0:1], v3, off
.LBB328_1867:
	s_mov_b32 s6, 0
	s_mov_b32 s7, -1
.LBB328_1868:
	s_and_not1_b32 vcc_lo, exec_lo, s6
	s_mov_b32 s6, 0
	s_cbranch_vccnz .LBB328_1875
; %bb.1869:
	v_cmp_lt_i16_e32 vcc_lo, 14, v6
	s_mov_b32 s6, -1
	s_cbranch_vccz .LBB328_1873
; %bb.1870:
	v_cmp_eq_u16_e32 vcc_lo, 15, v6
	s_mov_b32 s0, -1
	s_cbranch_vccz .LBB328_1872
; %bb.1871:
	v_bfe_u32 v3, v2, 16, 1
	v_cmp_o_f32_e32 vcc_lo, v2, v2
	s_mov_b32 s0, 0
	s_mov_b32 s7, -1
	s_delay_alu instid0(VALU_DEP_2) | instskip(NEXT) | instid1(VALU_DEP_1)
	v_add3_u32 v3, v2, v3, 0x7fff
	v_lshrrev_b32_e32 v3, 16, v3
	s_delay_alu instid0(VALU_DEP_1)
	v_cndmask_b32_e32 v3, 0x7fc0, v3, vcc_lo
	global_store_b16 v[0:1], v3, off
.LBB328_1872:
	s_mov_b32 s6, 0
.LBB328_1873:
	s_delay_alu instid0(SALU_CYCLE_1)
	s_and_b32 vcc_lo, exec_lo, s6
	s_mov_b32 s6, 0
	s_cbranch_vccz .LBB328_1875
; %bb.1874:
	v_cmp_ne_u16_e64 s0, 11, v6
	s_mov_b32 s6, -1
.LBB328_1875:
	s_delay_alu instid0(VALU_DEP_1)
	s_and_b32 vcc_lo, exec_lo, s0
	s_cbranch_vccnz .LBB328_2064
; %bb.1876:
	s_and_not1_b32 vcc_lo, exec_lo, s6
	s_cbranch_vccnz .LBB328_1878
.LBB328_1877:
	v_cmp_neq_f32_e32 vcc_lo, 0, v2
	s_mov_b32 s7, -1
	v_cndmask_b32_e64 v3, 0, 1, vcc_lo
	global_store_b8 v[0:1], v3, off
.LBB328_1878:
	s_mov_b32 s0, 0
	s_branch .LBB328_1880
.LBB328_1879:
	s_mov_b32 s0, -1
	s_mov_b32 s7, 0
.LBB328_1880:
	s_and_b32 vcc_lo, exec_lo, s0
	s_cbranch_vccz .LBB328_1919
; %bb.1881:
	v_cmp_gt_i16_e32 vcc_lo, 5, v6
	s_mov_b32 s0, -1
	s_cbranch_vccnz .LBB328_1902
; %bb.1882:
	v_cmp_gt_i16_e32 vcc_lo, 8, v6
	s_cbranch_vccnz .LBB328_1892
; %bb.1883:
	v_cmp_gt_i16_e32 vcc_lo, 9, v6
	s_cbranch_vccnz .LBB328_1889
; %bb.1884:
	v_cmp_lt_i16_e32 vcc_lo, 9, v6
	s_cbranch_vccz .LBB328_1886
; %bb.1885:
	v_cvt_f64_f32_e32 v[11:12], v2
	v_mov_b32_e32 v13, 0
	s_mov_b32 s0, 0
	s_delay_alu instid0(VALU_DEP_1)
	v_mov_b32_e32 v14, v13
	global_store_b128 v[0:1], v[11:14], off
.LBB328_1886:
	s_and_not1_b32 vcc_lo, exec_lo, s0
	s_cbranch_vccnz .LBB328_1888
; %bb.1887:
	v_mov_b32_e32 v3, 0
	global_store_b64 v[0:1], v[2:3], off
.LBB328_1888:
	s_mov_b32 s0, 0
.LBB328_1889:
	s_delay_alu instid0(SALU_CYCLE_1)
	s_and_not1_b32 vcc_lo, exec_lo, s0
	s_cbranch_vccnz .LBB328_1891
; %bb.1890:
	v_cvt_f16_f32_e32 v3, v2
	s_delay_alu instid0(VALU_DEP_1)
	v_and_b32_e32 v3, 0xffff, v3
	global_store_b32 v[0:1], v3, off
.LBB328_1891:
	s_mov_b32 s0, 0
.LBB328_1892:
	s_delay_alu instid0(SALU_CYCLE_1)
	s_and_not1_b32 vcc_lo, exec_lo, s0
	s_cbranch_vccnz .LBB328_1901
; %bb.1893:
	v_cmp_gt_i16_e32 vcc_lo, 6, v6
	s_mov_b32 s0, -1
	s_cbranch_vccnz .LBB328_1899
; %bb.1894:
	v_cmp_lt_i16_e32 vcc_lo, 6, v6
	s_cbranch_vccz .LBB328_1896
; %bb.1895:
	v_cvt_f64_f32_e32 v[7:8], v2
	s_mov_b32 s0, 0
	global_store_b64 v[0:1], v[7:8], off
.LBB328_1896:
	s_and_not1_b32 vcc_lo, exec_lo, s0
	s_cbranch_vccnz .LBB328_1898
; %bb.1897:
	global_store_b32 v[0:1], v2, off
.LBB328_1898:
	s_mov_b32 s0, 0
.LBB328_1899:
	s_delay_alu instid0(SALU_CYCLE_1)
	s_and_not1_b32 vcc_lo, exec_lo, s0
	s_cbranch_vccnz .LBB328_1901
; %bb.1900:
	v_cvt_f16_f32_e32 v3, v2
	global_store_b16 v[0:1], v3, off
.LBB328_1901:
	s_mov_b32 s0, 0
.LBB328_1902:
	s_delay_alu instid0(SALU_CYCLE_1)
	s_and_not1_b32 vcc_lo, exec_lo, s0
	s_cbranch_vccnz .LBB328_1918
; %bb.1903:
	v_cmp_gt_i16_e32 vcc_lo, 2, v6
	s_mov_b32 s0, -1
	s_cbranch_vccnz .LBB328_1913
; %bb.1904:
	v_cmp_gt_i16_e32 vcc_lo, 3, v6
	s_cbranch_vccnz .LBB328_1910
; %bb.1905:
	v_cmp_lt_i16_e32 vcc_lo, 3, v6
	s_cbranch_vccz .LBB328_1907
; %bb.1906:
	v_trunc_f32_e32 v3, v2
	s_mov_b32 s0, 0
	s_delay_alu instid0(VALU_DEP_1) | instskip(NEXT) | instid1(VALU_DEP_1)
	v_mul_f32_e64 v7, 0x2f800000, |v3|
	v_floor_f32_e32 v7, v7
	s_delay_alu instid0(VALU_DEP_1) | instskip(SKIP_2) | instid1(VALU_DEP_3)
	v_fma_f32 v8, 0xcf800000, v7, |v3|
	v_ashrrev_i32_e32 v3, 31, v3
	v_cvt_u32_f32_e32 v7, v7
	v_cvt_u32_f32_e32 v8, v8
	s_delay_alu instid0(VALU_DEP_2) | instskip(NEXT) | instid1(VALU_DEP_2)
	v_xor_b32_e32 v11, v7, v3
	v_xor_b32_e32 v8, v8, v3
	s_delay_alu instid0(VALU_DEP_1) | instskip(NEXT) | instid1(VALU_DEP_3)
	v_sub_co_u32 v7, vcc_lo, v8, v3
	v_sub_co_ci_u32_e32 v8, vcc_lo, v11, v3, vcc_lo
	global_store_b64 v[0:1], v[7:8], off
.LBB328_1907:
	s_and_not1_b32 vcc_lo, exec_lo, s0
	s_cbranch_vccnz .LBB328_1909
; %bb.1908:
	v_cvt_i32_f32_e32 v3, v2
	global_store_b32 v[0:1], v3, off
.LBB328_1909:
	s_mov_b32 s0, 0
.LBB328_1910:
	s_delay_alu instid0(SALU_CYCLE_1)
	s_and_not1_b32 vcc_lo, exec_lo, s0
	s_cbranch_vccnz .LBB328_1912
; %bb.1911:
	v_cvt_i32_f32_e32 v3, v2
	global_store_b16 v[0:1], v3, off
.LBB328_1912:
	s_mov_b32 s0, 0
.LBB328_1913:
	s_delay_alu instid0(SALU_CYCLE_1)
	s_and_not1_b32 vcc_lo, exec_lo, s0
	s_cbranch_vccnz .LBB328_1918
; %bb.1914:
	v_cmp_lt_i16_e32 vcc_lo, 0, v6
	s_mov_b32 s0, -1
	s_cbranch_vccz .LBB328_1916
; %bb.1915:
	v_cvt_i32_f32_e32 v3, v2
	s_mov_b32 s0, 0
	global_store_b8 v[0:1], v3, off
.LBB328_1916:
	s_and_not1_b32 vcc_lo, exec_lo, s0
	s_cbranch_vccnz .LBB328_1918
; %bb.1917:
	v_trunc_f32_e32 v2, v2
	s_delay_alu instid0(VALU_DEP_1) | instskip(NEXT) | instid1(VALU_DEP_1)
	v_mul_f32_e64 v3, 0x2f800000, |v2|
	v_floor_f32_e32 v3, v3
	s_delay_alu instid0(VALU_DEP_1) | instskip(SKIP_1) | instid1(VALU_DEP_2)
	v_fma_f32 v3, 0xcf800000, v3, |v2|
	v_ashrrev_i32_e32 v2, 31, v2
	v_cvt_u32_f32_e32 v3, v3
	s_delay_alu instid0(VALU_DEP_1) | instskip(NEXT) | instid1(VALU_DEP_1)
	v_xor_b32_e32 v3, v3, v2
	v_sub_nc_u32_e32 v2, v3, v2
	global_store_b8 v[0:1], v2, off
.LBB328_1918:
	s_mov_b32 s7, -1
.LBB328_1919:
	s_delay_alu instid0(SALU_CYCLE_1)
	s_and_not1_b32 vcc_lo, exec_lo, s7
	s_cbranch_vccnz .LBB328_1996
; %bb.1920:
	v_dual_max_f32 v0, v9, v9 :: v_dual_add_nc_u32 v1, s2, v4
	v_cmp_u_f32_e64 s0, v9, v9
	v_cmp_gt_i16_e32 vcc_lo, 11, v6
	s_delay_alu instid0(VALU_DEP_3) | instskip(NEXT) | instid1(VALU_DEP_4)
	v_maxmin_f32 v0, v0, v5, v10
	v_ashrrev_i32_e32 v3, 31, v1
	s_delay_alu instid0(VALU_DEP_2) | instskip(SKIP_1) | instid1(VALU_DEP_1)
	v_cndmask_b32_e64 v2, v0, v9, s0
	v_add_co_u32 v0, s0, s4, v1
	v_add_co_ci_u32_e64 v1, s0, s5, v3, s0
	s_cbranch_vccnz .LBB328_2041
; %bb.1921:
	v_cmp_lt_i16_e32 vcc_lo, 25, v6
	s_mov_b32 s4, -1
	s_mov_b32 s2, 0
	s_mov_b32 s0, 0
	s_cbranch_vccz .LBB328_1954
; %bb.1922:
	v_cmp_lt_i16_e32 vcc_lo, 28, v6
	s_cbranch_vccz .LBB328_1938
; %bb.1923:
	v_cmp_lt_i16_e32 vcc_lo, 43, v6
	;; [unrolled: 3-line block ×3, first 2 shown]
	s_cbranch_vccz .LBB328_1928
; %bb.1925:
	v_cmp_eq_u16_e32 vcc_lo, 46, v6
	s_mov_b32 s0, -1
	s_cbranch_vccz .LBB328_1927
; %bb.1926:
	v_bfe_u32 v3, v2, 16, 1
	v_cmp_o_f32_e32 vcc_lo, v2, v2
	s_mov_b32 s0, 0
	s_delay_alu instid0(VALU_DEP_2) | instskip(NEXT) | instid1(VALU_DEP_1)
	v_add3_u32 v3, v2, v3, 0x7fff
	v_lshrrev_b32_e32 v3, 16, v3
	s_delay_alu instid0(VALU_DEP_1)
	v_cndmask_b32_e32 v3, 0x7fc0, v3, vcc_lo
	global_store_b32 v[0:1], v3, off
.LBB328_1927:
	s_mov_b32 s4, 0
.LBB328_1928:
	s_delay_alu instid0(SALU_CYCLE_1)
	s_and_b32 vcc_lo, exec_lo, s4
	s_cbranch_vccz .LBB328_1933
; %bb.1929:
	v_cmp_eq_u16_e32 vcc_lo, 44, v6
	s_mov_b32 s0, -1
	s_cbranch_vccz .LBB328_1933
; %bb.1930:
	v_bfe_u32 v4, v2, 23, 8
	v_mov_b32_e32 v3, 0xff
	s_mov_b32 s4, exec_lo
	s_delay_alu instid0(VALU_DEP_2)
	v_cmpx_ne_u32_e32 0xff, v4
; %bb.1931:
	v_and_b32_e32 v3, 0x400000, v2
	v_and_or_b32 v4, 0x3fffff, v2, v4
	s_delay_alu instid0(VALU_DEP_2) | instskip(NEXT) | instid1(VALU_DEP_2)
	v_cmp_ne_u32_e32 vcc_lo, 0, v3
	v_cmp_ne_u32_e64 s0, 0, v4
	v_lshrrev_b32_e32 v3, 23, v2
	s_delay_alu instid0(VALU_DEP_2) | instskip(NEXT) | instid1(SALU_CYCLE_1)
	s_and_b32 s0, vcc_lo, s0
	v_cndmask_b32_e64 v4, 0, 1, s0
	s_delay_alu instid0(VALU_DEP_1)
	v_add_nc_u32_e32 v3, v3, v4
; %bb.1932:
	s_or_b32 exec_lo, exec_lo, s4
	s_mov_b32 s0, 0
	global_store_b8 v[0:1], v3, off
.LBB328_1933:
	s_mov_b32 s4, 0
.LBB328_1934:
	s_delay_alu instid0(SALU_CYCLE_1)
	s_and_b32 vcc_lo, exec_lo, s4
	s_cbranch_vccz .LBB328_1937
; %bb.1935:
	v_cmp_eq_u16_e32 vcc_lo, 29, v6
	s_mov_b32 s0, -1
	s_cbranch_vccz .LBB328_1937
; %bb.1936:
	v_trunc_f32_e32 v3, v2
	s_mov_b32 s0, 0
	s_delay_alu instid0(VALU_DEP_1) | instskip(NEXT) | instid1(VALU_DEP_1)
	v_mul_f32_e32 v4, 0x2f800000, v3
	v_floor_f32_e32 v4, v4
	s_delay_alu instid0(VALU_DEP_1) | instskip(SKIP_1) | instid1(VALU_DEP_2)
	v_fmamk_f32 v3, v4, 0xcf800000, v3
	v_cvt_u32_f32_e32 v4, v4
	v_cvt_u32_f32_e32 v3, v3
	global_store_b64 v[0:1], v[3:4], off
.LBB328_1937:
	s_mov_b32 s4, 0
.LBB328_1938:
	s_delay_alu instid0(SALU_CYCLE_1)
	s_and_b32 vcc_lo, exec_lo, s4
	s_cbranch_vccz .LBB328_1953
; %bb.1939:
	v_cmp_gt_i16_e32 vcc_lo, 27, v6
	s_mov_b32 s4, -1
	s_cbranch_vccnz .LBB328_1945
; %bb.1940:
	v_cmp_lt_i16_e32 vcc_lo, 27, v6
	v_cvt_u32_f32_e32 v3, v2
	s_cbranch_vccz .LBB328_1942
; %bb.1941:
	s_mov_b32 s4, 0
	global_store_b32 v[0:1], v3, off
.LBB328_1942:
	s_and_not1_b32 vcc_lo, exec_lo, s4
	s_cbranch_vccnz .LBB328_1944
; %bb.1943:
	global_store_b16 v[0:1], v3, off
.LBB328_1944:
	s_mov_b32 s4, 0
.LBB328_1945:
	s_delay_alu instid0(SALU_CYCLE_1)
	s_and_not1_b32 vcc_lo, exec_lo, s4
	s_cbranch_vccnz .LBB328_1953
; %bb.1946:
	v_and_b32_e32 v3, 0x7fffffff, v2
	v_mov_b32_e32 v4, 0x80
	s_mov_b32 s4, exec_lo
	s_delay_alu instid0(VALU_DEP_2)
	v_cmpx_gt_u32_e32 0x43800000, v3
	s_cbranch_execz .LBB328_1952
; %bb.1947:
	v_cmp_lt_u32_e32 vcc_lo, 0x3bffffff, v3
	s_mov_b32 s5, 0
                                        ; implicit-def: $vgpr3
	s_and_saveexec_b32 s6, vcc_lo
	s_delay_alu instid0(SALU_CYCLE_1)
	s_xor_b32 s6, exec_lo, s6
	s_cbranch_execz .LBB328_2068
; %bb.1948:
	v_bfe_u32 v3, v2, 20, 1
	s_mov_b32 s5, exec_lo
	s_delay_alu instid0(VALU_DEP_1) | instskip(NEXT) | instid1(VALU_DEP_1)
	v_add3_u32 v3, v2, v3, 0x487ffff
	v_lshrrev_b32_e32 v3, 20, v3
	s_or_saveexec_b32 s6, s6
                                        ; implicit-def: $sgpr7
	s_delay_alu instid0(SALU_CYCLE_1)
	s_xor_b32 exec_lo, exec_lo, s6
	s_cbranch_execnz .LBB328_2069
.LBB328_1949:
	s_or_b32 exec_lo, exec_lo, s6
	v_mov_b32_e32 v4, s7
	s_and_saveexec_b32 s6, s5
.LBB328_1950:
	v_lshrrev_b32_e32 v4, 24, v2
	s_delay_alu instid0(VALU_DEP_1)
	v_and_or_b32 v4, 0x80, v4, v3
.LBB328_1951:
	s_or_b32 exec_lo, exec_lo, s6
.LBB328_1952:
	s_delay_alu instid0(SALU_CYCLE_1)
	s_or_b32 exec_lo, exec_lo, s4
	global_store_b8 v[0:1], v4, off
.LBB328_1953:
	s_mov_b32 s4, 0
.LBB328_1954:
	s_delay_alu instid0(SALU_CYCLE_1)
	s_and_b32 vcc_lo, exec_lo, s4
	s_cbranch_vccz .LBB328_1994
; %bb.1955:
	v_cmp_lt_i16_e32 vcc_lo, 22, v6
	s_mov_b32 s2, -1
	s_cbranch_vccz .LBB328_1987
; %bb.1956:
	v_cmp_gt_i16_e32 vcc_lo, 24, v6
	s_cbranch_vccnz .LBB328_1976
; %bb.1957:
	v_cmp_lt_i16_e32 vcc_lo, 24, v6
	s_cbranch_vccz .LBB328_1965
; %bb.1958:
	v_and_b32_e32 v3, 0x7fffffff, v2
	v_mov_b32_e32 v4, 0x80
	s_mov_b32 s2, exec_lo
	s_delay_alu instid0(VALU_DEP_2)
	v_cmpx_gt_u32_e32 0x47800000, v3
	s_cbranch_execz .LBB328_1964
; %bb.1959:
	v_cmp_lt_u32_e32 vcc_lo, 0x37ffffff, v3
	s_mov_b32 s4, 0
                                        ; implicit-def: $vgpr3
	s_and_saveexec_b32 s5, vcc_lo
	s_delay_alu instid0(SALU_CYCLE_1)
	s_xor_b32 s5, exec_lo, s5
	s_cbranch_execz .LBB328_2074
; %bb.1960:
	v_bfe_u32 v3, v2, 21, 1
	s_mov_b32 s4, exec_lo
	s_delay_alu instid0(VALU_DEP_1) | instskip(NEXT) | instid1(VALU_DEP_1)
	v_add3_u32 v3, v2, v3, 0x88fffff
	v_lshrrev_b32_e32 v3, 21, v3
	s_or_saveexec_b32 s5, s5
                                        ; implicit-def: $sgpr6
	s_delay_alu instid0(SALU_CYCLE_1)
	s_xor_b32 exec_lo, exec_lo, s5
	s_cbranch_execnz .LBB328_2075
.LBB328_1961:
	s_or_b32 exec_lo, exec_lo, s5
	v_mov_b32_e32 v4, s6
	s_and_saveexec_b32 s5, s4
.LBB328_1962:
	v_lshrrev_b32_e32 v4, 24, v2
	s_delay_alu instid0(VALU_DEP_1)
	v_and_or_b32 v4, 0x80, v4, v3
.LBB328_1963:
	s_or_b32 exec_lo, exec_lo, s5
.LBB328_1964:
	s_delay_alu instid0(SALU_CYCLE_1)
	s_or_b32 exec_lo, exec_lo, s2
	s_mov_b32 s2, 0
	global_store_b8 v[0:1], v4, off
.LBB328_1965:
	s_and_b32 vcc_lo, exec_lo, s2
	s_cbranch_vccz .LBB328_1975
; %bb.1966:
	v_and_b32_e32 v4, 0x7fffffff, v2
	s_mov_b32 s2, exec_lo
                                        ; implicit-def: $vgpr3
	s_delay_alu instid0(VALU_DEP_1)
	v_cmpx_gt_u32_e32 0x43f00000, v4
	s_xor_b32 s2, exec_lo, s2
	s_cbranch_execz .LBB328_1972
; %bb.1967:
	s_mov_b32 s4, exec_lo
                                        ; implicit-def: $vgpr3
	v_cmpx_lt_u32_e32 0x3c7fffff, v4
	s_xor_b32 s4, exec_lo, s4
; %bb.1968:
	v_bfe_u32 v3, v2, 20, 1
	s_delay_alu instid0(VALU_DEP_1) | instskip(NEXT) | instid1(VALU_DEP_1)
	v_add3_u32 v3, v2, v3, 0x407ffff
	v_and_b32_e32 v4, 0xff00000, v3
	v_lshrrev_b32_e32 v3, 20, v3
	s_delay_alu instid0(VALU_DEP_2) | instskip(NEXT) | instid1(VALU_DEP_2)
	v_cmp_ne_u32_e32 vcc_lo, 0x7f00000, v4
	v_cndmask_b32_e32 v3, 0x7e, v3, vcc_lo
; %bb.1969:
	s_and_not1_saveexec_b32 s4, s4
; %bb.1970:
	v_add_f32_e64 v3, 0x46800000, |v2|
; %bb.1971:
	s_or_b32 exec_lo, exec_lo, s4
                                        ; implicit-def: $vgpr4
.LBB328_1972:
	s_and_not1_saveexec_b32 s2, s2
; %bb.1973:
	v_mov_b32_e32 v3, 0x7f
	v_cmp_lt_u32_e32 vcc_lo, 0x7f800000, v4
	s_delay_alu instid0(VALU_DEP_2)
	v_cndmask_b32_e32 v3, 0x7e, v3, vcc_lo
; %bb.1974:
	s_or_b32 exec_lo, exec_lo, s2
	v_lshrrev_b32_e32 v4, 24, v2
	s_delay_alu instid0(VALU_DEP_1)
	v_and_or_b32 v3, 0x80, v4, v3
	global_store_b8 v[0:1], v3, off
.LBB328_1975:
	s_mov_b32 s2, 0
.LBB328_1976:
	s_delay_alu instid0(SALU_CYCLE_1)
	s_and_not1_b32 vcc_lo, exec_lo, s2
	s_cbranch_vccnz .LBB328_1986
; %bb.1977:
	v_and_b32_e32 v4, 0x7fffffff, v2
	s_mov_b32 s2, exec_lo
                                        ; implicit-def: $vgpr3
	s_delay_alu instid0(VALU_DEP_1)
	v_cmpx_gt_u32_e32 0x47800000, v4
	s_xor_b32 s2, exec_lo, s2
	s_cbranch_execz .LBB328_1983
; %bb.1978:
	s_mov_b32 s4, exec_lo
                                        ; implicit-def: $vgpr3
	v_cmpx_lt_u32_e32 0x387fffff, v4
	s_xor_b32 s4, exec_lo, s4
; %bb.1979:
	v_bfe_u32 v3, v2, 21, 1
	s_delay_alu instid0(VALU_DEP_1) | instskip(NEXT) | instid1(VALU_DEP_1)
	v_add3_u32 v3, v2, v3, 0x80fffff
	v_lshrrev_b32_e32 v3, 21, v3
; %bb.1980:
	s_and_not1_saveexec_b32 s4, s4
; %bb.1981:
	v_add_f32_e64 v3, 0x43000000, |v2|
; %bb.1982:
	s_or_b32 exec_lo, exec_lo, s4
                                        ; implicit-def: $vgpr4
.LBB328_1983:
	s_and_not1_saveexec_b32 s2, s2
; %bb.1984:
	v_mov_b32_e32 v3, 0x7f
	v_cmp_lt_u32_e32 vcc_lo, 0x7f800000, v4
	s_delay_alu instid0(VALU_DEP_2)
	v_cndmask_b32_e32 v3, 0x7c, v3, vcc_lo
; %bb.1985:
	s_or_b32 exec_lo, exec_lo, s2
	v_lshrrev_b32_e32 v4, 24, v2
	s_delay_alu instid0(VALU_DEP_1)
	v_and_or_b32 v3, 0x80, v4, v3
	global_store_b8 v[0:1], v3, off
.LBB328_1986:
	s_mov_b32 s2, 0
.LBB328_1987:
	s_delay_alu instid0(SALU_CYCLE_1)
	s_and_not1_b32 vcc_lo, exec_lo, s2
	s_mov_b32 s2, 0
	s_cbranch_vccnz .LBB328_1994
; %bb.1988:
	v_cmp_lt_i16_e32 vcc_lo, 14, v6
	s_mov_b32 s2, -1
	s_cbranch_vccz .LBB328_1992
; %bb.1989:
	v_cmp_eq_u16_e32 vcc_lo, 15, v6
	s_mov_b32 s0, -1
	s_cbranch_vccz .LBB328_1991
; %bb.1990:
	v_bfe_u32 v3, v2, 16, 1
	v_cmp_o_f32_e32 vcc_lo, v2, v2
	s_mov_b32 s0, 0
	s_delay_alu instid0(VALU_DEP_2) | instskip(NEXT) | instid1(VALU_DEP_1)
	v_add3_u32 v3, v2, v3, 0x7fff
	v_lshrrev_b32_e32 v3, 16, v3
	s_delay_alu instid0(VALU_DEP_1)
	v_cndmask_b32_e32 v3, 0x7fc0, v3, vcc_lo
	global_store_b16 v[0:1], v3, off
.LBB328_1991:
	s_mov_b32 s2, 0
.LBB328_1992:
	s_delay_alu instid0(SALU_CYCLE_1)
	s_and_b32 vcc_lo, exec_lo, s2
	s_mov_b32 s2, 0
	s_cbranch_vccz .LBB328_1994
; %bb.1993:
	v_cmp_ne_u16_e64 s0, 11, v6
	s_mov_b32 s2, -1
.LBB328_1994:
	s_delay_alu instid0(VALU_DEP_1)
	s_and_b32 vcc_lo, exec_lo, s0
	s_cbranch_vccnz .LBB328_2072
.LBB328_1995:
	s_mov_b32 s0, 0
	s_branch .LBB328_1997
.LBB328_1996:
	s_mov_b32 s0, 0
	s_mov_b32 s2, 0
                                        ; implicit-def: $vgpr6
                                        ; implicit-def: $vgpr0_vgpr1
                                        ; implicit-def: $vgpr2
.LBB328_1997:
	s_and_not1_b32 s4, s12, exec_lo
	s_and_b32 s5, s1, exec_lo
	s_and_b32 s0, s0, exec_lo
	;; [unrolled: 1-line block ×3, first 2 shown]
	s_or_b32 s12, s4, s5
.LBB328_1998:
	s_or_b32 exec_lo, exec_lo, s3
	s_and_saveexec_b32 s2, s12
	s_cbranch_execz .LBB328_2001
; %bb.1999:
	; divergent unreachable
	s_or_b32 exec_lo, exec_lo, s2
	s_and_saveexec_b32 s2, s1
	s_delay_alu instid0(SALU_CYCLE_1)
	s_xor_b32 s1, exec_lo, s2
	s_cbranch_execnz .LBB328_2002
.LBB328_2000:
	s_or_b32 exec_lo, exec_lo, s1
	s_and_saveexec_b32 s1, s0
	s_cbranch_execnz .LBB328_2003
	s_branch .LBB328_2040
.LBB328_2001:
	s_or_b32 exec_lo, exec_lo, s2
	s_and_saveexec_b32 s2, s1
	s_delay_alu instid0(SALU_CYCLE_1)
	s_xor_b32 s1, exec_lo, s2
	s_cbranch_execz .LBB328_2000
.LBB328_2002:
	s_waitcnt vmcnt(0)
	v_cmp_neq_f32_e32 vcc_lo, 0, v2
	v_cndmask_b32_e64 v3, 0, 1, vcc_lo
	global_store_b8 v[0:1], v3, off
	s_or_b32 exec_lo, exec_lo, s1
	s_and_saveexec_b32 s1, s0
	s_cbranch_execz .LBB328_2040
.LBB328_2003:
	v_cmp_gt_i16_e32 vcc_lo, 5, v6
	s_mov_b32 s0, -1
	s_cbranch_vccnz .LBB328_2024
; %bb.2004:
	v_cmp_gt_i16_e32 vcc_lo, 8, v6
	s_cbranch_vccnz .LBB328_2014
; %bb.2005:
	v_cmp_gt_i16_e32 vcc_lo, 9, v6
	s_cbranch_vccnz .LBB328_2011
; %bb.2006:
	v_cmp_lt_i16_e32 vcc_lo, 9, v6
	s_cbranch_vccz .LBB328_2008
; %bb.2007:
	s_waitcnt vmcnt(0)
	v_cvt_f64_f32_e32 v[7:8], v2
	v_mov_b32_e32 v9, 0
	s_mov_b32 s0, 0
	s_delay_alu instid0(VALU_DEP_1)
	v_mov_b32_e32 v10, v9
	global_store_b128 v[0:1], v[7:10], off
.LBB328_2008:
	s_and_not1_b32 vcc_lo, exec_lo, s0
	s_cbranch_vccnz .LBB328_2010
; %bb.2009:
	s_waitcnt vmcnt(0)
	v_mov_b32_e32 v3, 0
	global_store_b64 v[0:1], v[2:3], off
.LBB328_2010:
	s_mov_b32 s0, 0
.LBB328_2011:
	s_delay_alu instid0(SALU_CYCLE_1)
	s_and_not1_b32 vcc_lo, exec_lo, s0
	s_cbranch_vccnz .LBB328_2013
; %bb.2012:
	s_waitcnt vmcnt(0)
	v_cvt_f16_f32_e32 v3, v2
	s_delay_alu instid0(VALU_DEP_1)
	v_and_b32_e32 v3, 0xffff, v3
	global_store_b32 v[0:1], v3, off
.LBB328_2013:
	s_mov_b32 s0, 0
.LBB328_2014:
	s_delay_alu instid0(SALU_CYCLE_1)
	s_and_not1_b32 vcc_lo, exec_lo, s0
	s_cbranch_vccnz .LBB328_2023
; %bb.2015:
	v_cmp_gt_i16_e32 vcc_lo, 6, v6
	s_mov_b32 s0, -1
	s_cbranch_vccnz .LBB328_2021
; %bb.2016:
	v_cmp_lt_i16_e32 vcc_lo, 6, v6
	s_cbranch_vccz .LBB328_2018
; %bb.2017:
	s_waitcnt vmcnt(0)
	v_cvt_f64_f32_e32 v[3:4], v2
	s_mov_b32 s0, 0
	global_store_b64 v[0:1], v[3:4], off
.LBB328_2018:
	s_and_not1_b32 vcc_lo, exec_lo, s0
	s_cbranch_vccnz .LBB328_2020
; %bb.2019:
	s_waitcnt vmcnt(0)
	global_store_b32 v[0:1], v2, off
.LBB328_2020:
	s_mov_b32 s0, 0
.LBB328_2021:
	s_delay_alu instid0(SALU_CYCLE_1)
	s_and_not1_b32 vcc_lo, exec_lo, s0
	s_cbranch_vccnz .LBB328_2023
; %bb.2022:
	s_waitcnt vmcnt(0)
	v_cvt_f16_f32_e32 v3, v2
	global_store_b16 v[0:1], v3, off
.LBB328_2023:
	s_mov_b32 s0, 0
.LBB328_2024:
	s_delay_alu instid0(SALU_CYCLE_1)
	s_and_not1_b32 vcc_lo, exec_lo, s0
	s_cbranch_vccnz .LBB328_2040
; %bb.2025:
	v_cmp_gt_i16_e32 vcc_lo, 2, v6
	s_mov_b32 s0, -1
	s_cbranch_vccnz .LBB328_2035
; %bb.2026:
	v_cmp_gt_i16_e32 vcc_lo, 3, v6
	s_cbranch_vccnz .LBB328_2032
; %bb.2027:
	v_cmp_lt_i16_e32 vcc_lo, 3, v6
	s_cbranch_vccz .LBB328_2029
; %bb.2028:
	s_waitcnt vmcnt(0)
	v_trunc_f32_e32 v3, v2
	s_mov_b32 s0, 0
	s_delay_alu instid0(VALU_DEP_1) | instskip(SKIP_1) | instid1(VALU_DEP_2)
	v_mul_f32_e64 v4, 0x2f800000, |v3|
	v_ashrrev_i32_e32 v7, 31, v3
	v_floor_f32_e32 v4, v4
	s_delay_alu instid0(VALU_DEP_1) | instskip(SKIP_1) | instid1(VALU_DEP_2)
	v_fma_f32 v5, 0xcf800000, v4, |v3|
	v_cvt_u32_f32_e32 v4, v4
	v_cvt_u32_f32_e32 v3, v5
	s_delay_alu instid0(VALU_DEP_2) | instskip(NEXT) | instid1(VALU_DEP_2)
	v_xor_b32_e32 v4, v4, v7
	v_xor_b32_e32 v3, v3, v7
	s_delay_alu instid0(VALU_DEP_1) | instskip(NEXT) | instid1(VALU_DEP_3)
	v_sub_co_u32 v3, vcc_lo, v3, v7
	v_sub_co_ci_u32_e32 v4, vcc_lo, v4, v7, vcc_lo
	global_store_b64 v[0:1], v[3:4], off
.LBB328_2029:
	s_and_not1_b32 vcc_lo, exec_lo, s0
	s_cbranch_vccnz .LBB328_2031
; %bb.2030:
	s_waitcnt vmcnt(0)
	v_cvt_i32_f32_e32 v3, v2
	global_store_b32 v[0:1], v3, off
.LBB328_2031:
	s_mov_b32 s0, 0
.LBB328_2032:
	s_delay_alu instid0(SALU_CYCLE_1)
	s_and_not1_b32 vcc_lo, exec_lo, s0
	s_cbranch_vccnz .LBB328_2034
; %bb.2033:
	s_waitcnt vmcnt(0)
	v_cvt_i32_f32_e32 v3, v2
	global_store_b16 v[0:1], v3, off
.LBB328_2034:
	s_mov_b32 s0, 0
.LBB328_2035:
	s_delay_alu instid0(SALU_CYCLE_1)
	s_and_not1_b32 vcc_lo, exec_lo, s0
	s_cbranch_vccnz .LBB328_2040
; %bb.2036:
	v_cmp_lt_i16_e32 vcc_lo, 0, v6
	s_mov_b32 s0, -1
	s_cbranch_vccz .LBB328_2038
; %bb.2037:
	s_waitcnt vmcnt(0)
	v_cvt_i32_f32_e32 v3, v2
	s_mov_b32 s0, 0
	global_store_b8 v[0:1], v3, off
.LBB328_2038:
	s_and_not1_b32 vcc_lo, exec_lo, s0
	s_cbranch_vccnz .LBB328_2040
; %bb.2039:
	s_waitcnt vmcnt(0)
	v_trunc_f32_e32 v2, v2
	s_delay_alu instid0(VALU_DEP_1) | instskip(NEXT) | instid1(VALU_DEP_1)
	v_mul_f32_e64 v3, 0x2f800000, |v2|
	v_floor_f32_e32 v3, v3
	s_delay_alu instid0(VALU_DEP_1) | instskip(SKIP_1) | instid1(VALU_DEP_2)
	v_fma_f32 v3, 0xcf800000, v3, |v2|
	v_ashrrev_i32_e32 v2, 31, v2
	v_cvt_u32_f32_e32 v3, v3
	s_delay_alu instid0(VALU_DEP_1) | instskip(NEXT) | instid1(VALU_DEP_1)
	v_xor_b32_e32 v3, v3, v2
	v_sub_nc_u32_e32 v2, v3, v2
	global_store_b8 v[0:1], v2, off
	s_nop 0
	s_sendmsg sendmsg(MSG_DEALLOC_VGPRS)
	s_endpgm
.LBB328_2040:
	s_nop 0
	s_sendmsg sendmsg(MSG_DEALLOC_VGPRS)
	s_endpgm
.LBB328_2041:
	s_mov_b32 s2, 0
	s_mov_b32 s0, -1
	s_branch .LBB328_1997
.LBB328_2042:
	s_cbranch_execnz .LBB328_2046
; %bb.2043:
	s_or_b32 s1, s1, exec_lo
                                        ; implicit-def: $vgpr9
	s_cbranch_execz .LBB328_1511
	s_branch .LBB328_1512
.LBB328_2044:
	s_or_saveexec_b32 s9, s9
                                        ; implicit-def: $sgpr10
	s_delay_alu instid0(SALU_CYCLE_1)
	s_xor_b32 exec_lo, exec_lo, s9
	s_cbranch_execz .LBB328_1591
.LBB328_2045:
	v_add_f32_e64 v3, 0x46000000, |v2|
	s_and_not1_b32 s7, s7, exec_lo
	s_mov_b32 s10, 0
	s_delay_alu instid0(VALU_DEP_1) | instskip(NEXT) | instid1(VALU_DEP_1)
	v_and_b32_e32 v3, 0xff, v3
	v_cmp_ne_u32_e32 vcc_lo, 0, v3
	s_and_b32 s11, vcc_lo, exec_lo
	s_delay_alu instid0(SALU_CYCLE_1)
	s_or_b32 s7, s7, s11
	s_or_b32 exec_lo, exec_lo, s9
	v_mov_b32_e32 v11, s10
	s_and_saveexec_b32 s9, s7
	s_cbranch_execnz .LBB328_1592
	s_branch .LBB328_1593
.LBB328_2046:
	s_trap 2
	s_sendmsg_rtn_b32 s0, sendmsg(MSG_RTN_GET_DOORBELL)
	s_mov_b32 ttmp2, m0
	s_waitcnt lgkmcnt(0)
	s_and_b32 s0, s0, 0x3ff
	s_delay_alu instid0(SALU_CYCLE_1) | instskip(NEXT) | instid1(SALU_CYCLE_1)
	s_bitset1_b32 s0, 10
	s_mov_b32 m0, s0
	s_sendmsg sendmsg(MSG_INTERRUPT)
	s_mov_b32 m0, ttmp2
.LBB328_2047:                           ; =>This Inner Loop Header: Depth=1
	s_sethalt 5
	s_branch .LBB328_2047
.LBB328_2048:
	s_cbranch_execnz .LBB328_2054
; %bb.2049:
	s_or_b32 s1, s1, exec_lo
	s_cbranch_execz .LBB328_1639
	s_branch .LBB328_1640
.LBB328_2050:
	s_or_saveexec_b32 s7, s7
                                        ; implicit-def: $sgpr9
	s_delay_alu instid0(SALU_CYCLE_1)
	s_xor_b32 exec_lo, exec_lo, s7
	s_cbranch_execz .LBB328_1604
.LBB328_2051:
	v_add_f32_e64 v3, 0x42800000, |v2|
	s_and_not1_b32 s6, s6, exec_lo
	s_mov_b32 s9, 0
	s_delay_alu instid0(VALU_DEP_1) | instskip(NEXT) | instid1(VALU_DEP_1)
	v_and_b32_e32 v3, 0xff, v3
	v_cmp_ne_u32_e32 vcc_lo, 0, v3
	s_and_b32 s10, vcc_lo, exec_lo
	s_delay_alu instid0(SALU_CYCLE_1)
	s_or_b32 s6, s6, s10
	s_or_b32 exec_lo, exec_lo, s7
	v_mov_b32_e32 v11, s9
	s_and_saveexec_b32 s7, s6
	s_cbranch_execnz .LBB328_1605
	s_branch .LBB328_1606
.LBB328_2052:
	s_or_saveexec_b32 s9, s9
                                        ; implicit-def: $sgpr10
	s_delay_alu instid0(SALU_CYCLE_1)
	s_xor_b32 exec_lo, exec_lo, s9
	s_cbranch_execz .LBB328_1710
.LBB328_2053:
	v_add_f32_e64 v3, 0x46000000, |v2|
	s_and_not1_b32 s8, s8, exec_lo
	s_mov_b32 s10, 0
	s_delay_alu instid0(VALU_DEP_1) | instskip(NEXT) | instid1(VALU_DEP_1)
	v_and_b32_e32 v3, 0xff, v3
	v_cmp_ne_u32_e32 vcc_lo, 0, v3
	s_and_b32 s11, vcc_lo, exec_lo
	s_delay_alu instid0(SALU_CYCLE_1)
	s_or_b32 s8, s8, s11
	s_or_b32 exec_lo, exec_lo, s9
	v_mov_b32_e32 v7, s10
	s_and_saveexec_b32 s9, s8
	s_cbranch_execnz .LBB328_1711
	s_branch .LBB328_1712
.LBB328_2054:
	s_trap 2
	s_sendmsg_rtn_b32 s0, sendmsg(MSG_RTN_GET_DOORBELL)
	s_mov_b32 ttmp2, m0
	s_waitcnt lgkmcnt(0)
	s_and_b32 s0, s0, 0x3ff
	s_delay_alu instid0(SALU_CYCLE_1) | instskip(NEXT) | instid1(SALU_CYCLE_1)
	s_bitset1_b32 s0, 10
	s_mov_b32 m0, s0
	s_sendmsg sendmsg(MSG_INTERRUPT)
	s_mov_b32 m0, ttmp2
.LBB328_2055:                           ; =>This Inner Loop Header: Depth=1
	s_sethalt 5
	s_branch .LBB328_2055
.LBB328_2056:
	s_cbranch_execnz .LBB328_2062
; %bb.2057:
	s_or_b32 s1, s1, exec_lo
	s_cbranch_execz .LBB328_1758
	s_branch .LBB328_1759
.LBB328_2058:
	s_or_saveexec_b32 s8, s8
                                        ; implicit-def: $sgpr9
	s_delay_alu instid0(SALU_CYCLE_1)
	s_xor_b32 exec_lo, exec_lo, s8
	s_cbranch_execz .LBB328_1723
.LBB328_2059:
	v_add_f32_e64 v3, 0x42800000, |v2|
	s_and_not1_b32 s7, s7, exec_lo
	s_mov_b32 s9, 0
	s_delay_alu instid0(VALU_DEP_1) | instskip(NEXT) | instid1(VALU_DEP_1)
	v_and_b32_e32 v3, 0xff, v3
	v_cmp_ne_u32_e32 vcc_lo, 0, v3
	s_and_b32 s10, vcc_lo, exec_lo
	s_delay_alu instid0(SALU_CYCLE_1)
	s_or_b32 s7, s7, s10
	s_or_b32 exec_lo, exec_lo, s8
	v_mov_b32_e32 v7, s9
	s_and_saveexec_b32 s8, s7
	s_cbranch_execnz .LBB328_1724
	s_branch .LBB328_1725
.LBB328_2060:
	s_or_saveexec_b32 s9, s9
                                        ; implicit-def: $sgpr10
	s_delay_alu instid0(SALU_CYCLE_1)
	s_xor_b32 exec_lo, exec_lo, s9
	s_cbranch_execz .LBB328_1829
.LBB328_2061:
	v_add_f32_e64 v3, 0x46000000, |v2|
	s_and_not1_b32 s8, s8, exec_lo
	s_mov_b32 s10, 0
	s_delay_alu instid0(VALU_DEP_1) | instskip(NEXT) | instid1(VALU_DEP_1)
	v_and_b32_e32 v3, 0xff, v3
	v_cmp_ne_u32_e32 vcc_lo, 0, v3
	s_and_b32 s11, vcc_lo, exec_lo
	s_delay_alu instid0(SALU_CYCLE_1)
	s_or_b32 s8, s8, s11
	s_or_b32 exec_lo, exec_lo, s9
	v_mov_b32_e32 v7, s10
	s_and_saveexec_b32 s9, s8
	s_cbranch_execnz .LBB328_1830
	s_branch .LBB328_1831
.LBB328_2062:
	s_trap 2
	s_sendmsg_rtn_b32 s0, sendmsg(MSG_RTN_GET_DOORBELL)
	s_mov_b32 ttmp2, m0
	s_waitcnt lgkmcnt(0)
	s_and_b32 s0, s0, 0x3ff
	s_delay_alu instid0(SALU_CYCLE_1) | instskip(NEXT) | instid1(SALU_CYCLE_1)
	s_bitset1_b32 s0, 10
	s_mov_b32 m0, s0
	s_sendmsg sendmsg(MSG_INTERRUPT)
	s_mov_b32 m0, ttmp2
.LBB328_2063:                           ; =>This Inner Loop Header: Depth=1
	s_sethalt 5
	s_branch .LBB328_2063
.LBB328_2064:
	s_cbranch_execnz .LBB328_2070
; %bb.2065:
	s_or_b32 s1, s1, exec_lo
	s_cbranch_execz .LBB328_1877
	s_branch .LBB328_1878
.LBB328_2066:
	s_or_saveexec_b32 s8, s8
                                        ; implicit-def: $sgpr9
	s_delay_alu instid0(SALU_CYCLE_1)
	s_xor_b32 exec_lo, exec_lo, s8
	s_cbranch_execz .LBB328_1842
.LBB328_2067:
	v_add_f32_e64 v3, 0x42800000, |v2|
	s_and_not1_b32 s7, s7, exec_lo
	s_mov_b32 s9, 0
	s_delay_alu instid0(VALU_DEP_1) | instskip(NEXT) | instid1(VALU_DEP_1)
	v_and_b32_e32 v3, 0xff, v3
	v_cmp_ne_u32_e32 vcc_lo, 0, v3
	s_and_b32 s10, vcc_lo, exec_lo
	s_delay_alu instid0(SALU_CYCLE_1)
	s_or_b32 s7, s7, s10
	s_or_b32 exec_lo, exec_lo, s8
	v_mov_b32_e32 v7, s9
	s_and_saveexec_b32 s8, s7
	s_cbranch_execnz .LBB328_1843
	s_branch .LBB328_1844
.LBB328_2068:
	s_or_saveexec_b32 s6, s6
                                        ; implicit-def: $sgpr7
	s_delay_alu instid0(SALU_CYCLE_1)
	s_xor_b32 exec_lo, exec_lo, s6
	s_cbranch_execz .LBB328_1949
.LBB328_2069:
	v_add_f32_e64 v3, 0x46000000, |v2|
	s_and_not1_b32 s5, s5, exec_lo
	s_mov_b32 s7, 0
	s_delay_alu instid0(VALU_DEP_1) | instskip(NEXT) | instid1(VALU_DEP_1)
	v_and_b32_e32 v3, 0xff, v3
	v_cmp_ne_u32_e32 vcc_lo, 0, v3
	s_and_b32 s8, vcc_lo, exec_lo
	s_delay_alu instid0(SALU_CYCLE_1)
	s_or_b32 s5, s5, s8
	s_or_b32 exec_lo, exec_lo, s6
	v_mov_b32_e32 v4, s7
	s_and_saveexec_b32 s6, s5
	s_cbranch_execnz .LBB328_1950
	s_branch .LBB328_1951
.LBB328_2070:
	s_trap 2
	s_sendmsg_rtn_b32 s0, sendmsg(MSG_RTN_GET_DOORBELL)
	s_mov_b32 ttmp2, m0
	s_waitcnt lgkmcnt(0)
	s_and_b32 s0, s0, 0x3ff
	s_delay_alu instid0(SALU_CYCLE_1) | instskip(NEXT) | instid1(SALU_CYCLE_1)
	s_bitset1_b32 s0, 10
	s_mov_b32 m0, s0
	s_sendmsg sendmsg(MSG_INTERRUPT)
	s_mov_b32 m0, ttmp2
.LBB328_2071:                           ; =>This Inner Loop Header: Depth=1
	s_sethalt 5
	s_branch .LBB328_2071
.LBB328_2072:
	s_cbranch_execnz .LBB328_2076
; %bb.2073:
	s_mov_b32 s2, 0
	s_or_b32 s1, s1, exec_lo
	s_branch .LBB328_1995
.LBB328_2074:
	s_or_saveexec_b32 s5, s5
                                        ; implicit-def: $sgpr6
	s_delay_alu instid0(SALU_CYCLE_1)
	s_xor_b32 exec_lo, exec_lo, s5
	s_cbranch_execz .LBB328_1961
.LBB328_2075:
	v_add_f32_e64 v3, 0x42800000, |v2|
	s_and_not1_b32 s4, s4, exec_lo
	s_mov_b32 s6, 0
	s_delay_alu instid0(VALU_DEP_1) | instskip(NEXT) | instid1(VALU_DEP_1)
	v_and_b32_e32 v3, 0xff, v3
	v_cmp_ne_u32_e32 vcc_lo, 0, v3
	s_and_b32 s7, vcc_lo, exec_lo
	s_delay_alu instid0(SALU_CYCLE_1)
	s_or_b32 s4, s4, s7
	s_or_b32 exec_lo, exec_lo, s5
	v_mov_b32_e32 v4, s6
	s_and_saveexec_b32 s5, s4
	s_cbranch_execnz .LBB328_1962
	s_branch .LBB328_1963
.LBB328_2076:
	s_trap 2
	s_sendmsg_rtn_b32 s0, sendmsg(MSG_RTN_GET_DOORBELL)
	s_mov_b32 ttmp2, m0
	s_waitcnt lgkmcnt(0)
	s_and_b32 s0, s0, 0x3ff
	s_delay_alu instid0(SALU_CYCLE_1) | instskip(NEXT) | instid1(SALU_CYCLE_1)
	s_bitset1_b32 s0, 10
	s_mov_b32 m0, s0
	s_sendmsg sendmsg(MSG_INTERRUPT)
	s_mov_b32 m0, ttmp2
.LBB328_2077:                           ; =>This Inner Loop Header: Depth=1
	s_sethalt 5
	s_branch .LBB328_2077
	.section	.rodata,"a",@progbits
	.p2align	6, 0x0
	.amdhsa_kernel _ZN2at6native32elementwise_kernel_manual_unrollILi128ELi4EZNS0_15gpu_kernel_implIZZZNS0_17clamp_kernel_cudaERNS_18TensorIteratorBaseERKN3c106ScalarES8_ENKUlvE_clEvENKUlvE5_clEvEUlfE_EEvS4_RKT_EUlibE_EEviT1_
		.amdhsa_group_segment_fixed_size 0
		.amdhsa_private_segment_fixed_size 0
		.amdhsa_kernarg_size 48
		.amdhsa_user_sgpr_count 15
		.amdhsa_user_sgpr_dispatch_ptr 0
		.amdhsa_user_sgpr_queue_ptr 0
		.amdhsa_user_sgpr_kernarg_segment_ptr 1
		.amdhsa_user_sgpr_dispatch_id 0
		.amdhsa_user_sgpr_private_segment_size 0
		.amdhsa_wavefront_size32 1
		.amdhsa_uses_dynamic_stack 0
		.amdhsa_enable_private_segment 0
		.amdhsa_system_sgpr_workgroup_id_x 1
		.amdhsa_system_sgpr_workgroup_id_y 0
		.amdhsa_system_sgpr_workgroup_id_z 0
		.amdhsa_system_sgpr_workgroup_info 0
		.amdhsa_system_vgpr_workitem_id 0
		.amdhsa_next_free_vgpr 15
		.amdhsa_next_free_sgpr 27
		.amdhsa_reserve_vcc 1
		.amdhsa_float_round_mode_32 0
		.amdhsa_float_round_mode_16_64 0
		.amdhsa_float_denorm_mode_32 3
		.amdhsa_float_denorm_mode_16_64 3
		.amdhsa_dx10_clamp 1
		.amdhsa_ieee_mode 1
		.amdhsa_fp16_overflow 0
		.amdhsa_workgroup_processor_mode 1
		.amdhsa_memory_ordered 1
		.amdhsa_forward_progress 0
		.amdhsa_shared_vgpr_count 0
		.amdhsa_exception_fp_ieee_invalid_op 0
		.amdhsa_exception_fp_denorm_src 0
		.amdhsa_exception_fp_ieee_div_zero 0
		.amdhsa_exception_fp_ieee_overflow 0
		.amdhsa_exception_fp_ieee_underflow 0
		.amdhsa_exception_fp_ieee_inexact 0
		.amdhsa_exception_int_div_zero 0
	.end_amdhsa_kernel
	.section	.text._ZN2at6native32elementwise_kernel_manual_unrollILi128ELi4EZNS0_15gpu_kernel_implIZZZNS0_17clamp_kernel_cudaERNS_18TensorIteratorBaseERKN3c106ScalarES8_ENKUlvE_clEvENKUlvE5_clEvEUlfE_EEvS4_RKT_EUlibE_EEviT1_,"axG",@progbits,_ZN2at6native32elementwise_kernel_manual_unrollILi128ELi4EZNS0_15gpu_kernel_implIZZZNS0_17clamp_kernel_cudaERNS_18TensorIteratorBaseERKN3c106ScalarES8_ENKUlvE_clEvENKUlvE5_clEvEUlfE_EEvS4_RKT_EUlibE_EEviT1_,comdat
.Lfunc_end328:
	.size	_ZN2at6native32elementwise_kernel_manual_unrollILi128ELi4EZNS0_15gpu_kernel_implIZZZNS0_17clamp_kernel_cudaERNS_18TensorIteratorBaseERKN3c106ScalarES8_ENKUlvE_clEvENKUlvE5_clEvEUlfE_EEvS4_RKT_EUlibE_EEviT1_, .Lfunc_end328-_ZN2at6native32elementwise_kernel_manual_unrollILi128ELi4EZNS0_15gpu_kernel_implIZZZNS0_17clamp_kernel_cudaERNS_18TensorIteratorBaseERKN3c106ScalarES8_ENKUlvE_clEvENKUlvE5_clEvEUlfE_EEvS4_RKT_EUlibE_EEviT1_
                                        ; -- End function
	.section	.AMDGPU.csdata,"",@progbits
; Kernel info:
; codeLenInByte = 35808
; NumSgprs: 29
; NumVgprs: 15
; ScratchSize: 0
; MemoryBound: 1
; FloatMode: 240
; IeeeMode: 1
; LDSByteSize: 0 bytes/workgroup (compile time only)
; SGPRBlocks: 3
; VGPRBlocks: 1
; NumSGPRsForWavesPerEU: 29
; NumVGPRsForWavesPerEU: 15
; Occupancy: 16
; WaveLimiterHint : 0
; COMPUTE_PGM_RSRC2:SCRATCH_EN: 0
; COMPUTE_PGM_RSRC2:USER_SGPR: 15
; COMPUTE_PGM_RSRC2:TRAP_HANDLER: 0
; COMPUTE_PGM_RSRC2:TGID_X_EN: 1
; COMPUTE_PGM_RSRC2:TGID_Y_EN: 0
; COMPUTE_PGM_RSRC2:TGID_Z_EN: 0
; COMPUTE_PGM_RSRC2:TIDIG_COMP_CNT: 0
	.section	.text._ZN2at6native32elementwise_kernel_manual_unrollILi128ELi4EZNS0_15gpu_kernel_implIZZZNS0_17clamp_kernel_cudaERNS_18TensorIteratorBaseERKN3c106ScalarES8_ENKUlvE_clEvENKUlvE5_clEvEUlfE_EEvS4_RKT_EUlibE0_EEviT1_,"axG",@progbits,_ZN2at6native32elementwise_kernel_manual_unrollILi128ELi4EZNS0_15gpu_kernel_implIZZZNS0_17clamp_kernel_cudaERNS_18TensorIteratorBaseERKN3c106ScalarES8_ENKUlvE_clEvENKUlvE5_clEvEUlfE_EEvS4_RKT_EUlibE0_EEviT1_,comdat
	.globl	_ZN2at6native32elementwise_kernel_manual_unrollILi128ELi4EZNS0_15gpu_kernel_implIZZZNS0_17clamp_kernel_cudaERNS_18TensorIteratorBaseERKN3c106ScalarES8_ENKUlvE_clEvENKUlvE5_clEvEUlfE_EEvS4_RKT_EUlibE0_EEviT1_ ; -- Begin function _ZN2at6native32elementwise_kernel_manual_unrollILi128ELi4EZNS0_15gpu_kernel_implIZZZNS0_17clamp_kernel_cudaERNS_18TensorIteratorBaseERKN3c106ScalarES8_ENKUlvE_clEvENKUlvE5_clEvEUlfE_EEvS4_RKT_EUlibE0_EEviT1_
	.p2align	8
	.type	_ZN2at6native32elementwise_kernel_manual_unrollILi128ELi4EZNS0_15gpu_kernel_implIZZZNS0_17clamp_kernel_cudaERNS_18TensorIteratorBaseERKN3c106ScalarES8_ENKUlvE_clEvENKUlvE5_clEvEUlfE_EEvS4_RKT_EUlibE0_EEviT1_,@function
_ZN2at6native32elementwise_kernel_manual_unrollILi128ELi4EZNS0_15gpu_kernel_implIZZZNS0_17clamp_kernel_cudaERNS_18TensorIteratorBaseERKN3c106ScalarES8_ENKUlvE_clEvENKUlvE5_clEvEUlfE_EEvS4_RKT_EUlibE0_EEviT1_: ; @_ZN2at6native32elementwise_kernel_manual_unrollILi128ELi4EZNS0_15gpu_kernel_implIZZZNS0_17clamp_kernel_cudaERNS_18TensorIteratorBaseERKN3c106ScalarES8_ENKUlvE_clEvENKUlvE5_clEvEUlfE_EEvS4_RKT_EUlibE0_EEviT1_
; %bb.0:
	s_clause 0x1
	s_load_b32 s26, s[0:1], 0x8
	s_load_b32 s34, s[0:1], 0x0
	v_lshl_or_b32 v5, s15, 9, v0
	s_or_b32 s16, s0, 8
	s_mov_b32 s3, -1
	s_mov_b32 s28, 0
	s_mov_b32 s17, s1
	v_or_b32_e32 v8, 0x180, v5
	s_mov_b32 s8, 0
	s_mov_b32 s2, exec_lo
	s_waitcnt lgkmcnt(0)
	s_add_i32 s27, s26, -1
	s_delay_alu instid0(SALU_CYCLE_1)
	s_cmp_gt_u32 s27, 1
	s_cselect_b32 s29, -1, 0
	v_cmpx_le_i32_e64 s34, v8
	s_xor_b32 s30, exec_lo, s2
	s_cbranch_execz .LBB329_1076
; %bb.1:
	s_clause 0x5
	s_load_b32 s31, s[16:17], 0x160
	s_load_b64 s[18:19], s[16:17], 0x158
	s_load_b128 s[12:15], s[16:17], 0x4
	s_load_b64 s[20:21], s[16:17], 0x14
	s_load_b128 s[8:11], s[16:17], 0xc4
	s_load_b128 s[4:7], s[16:17], 0x148
	s_cmp_lg_u32 s26, 0
	s_mov_b32 s40, 0
	s_cselect_b32 s36, -1, 0
	s_add_u32 s22, s16, 0xc4
	s_addc_u32 s23, s17, 0
	s_min_u32 s35, s27, 15
	s_cmp_gt_u32 s26, 1
	s_mov_b32 s38, 0
	s_cselect_b32 s33, -1, 0
	s_mov_b32 s37, 0
	s_mov_b32 s39, exec_lo
	s_waitcnt lgkmcnt(0)
	v_lshrrev_b16 v4, 8, s31
	v_cmpx_gt_i32_e64 s34, v5
	s_cbranch_execz .LBB329_263
; %bb.2:
	s_and_not1_b32 vcc_lo, exec_lo, s29
	s_cbranch_vccnz .LBB329_7
; %bb.3:
	v_dual_mov_b32 v0, 0 :: v_dual_mov_b32 v1, 0
	s_and_not1_b32 vcc_lo, exec_lo, s36
	s_cbranch_vccnz .LBB329_12
; %bb.4:
	v_mov_b32_e32 v0, 0
	s_add_i32 s41, s35, 1
	s_cmp_eq_u32 s27, 2
	s_cbranch_scc1 .LBB329_8
; %bb.5:
	v_dual_mov_b32 v1, 0 :: v_dual_mov_b32 v0, 0
	v_mov_b32_e32 v2, v5
	s_and_b32 s38, s41, 28
	s_mov_b32 s42, 0
	s_mov_b64 s[2:3], s[22:23]
	s_mov_b64 s[24:25], s[16:17]
.LBB329_6:                              ; =>This Inner Loop Header: Depth=1
	s_clause 0x1
	s_load_b256 s[44:51], s[24:25], 0x4
	s_load_b128 s[60:63], s[24:25], 0x24
	s_load_b256 s[52:59], s[2:3], 0x0
	s_add_u32 s24, s24, 48
	s_addc_u32 s25, s25, 0
	s_add_i32 s42, s42, 4
	s_add_u32 s2, s2, 32
	s_addc_u32 s3, s3, 0
	s_cmp_lg_u32 s38, s42
	s_waitcnt lgkmcnt(0)
	v_mul_hi_u32 v3, s45, v2
	s_delay_alu instid0(VALU_DEP_1) | instskip(NEXT) | instid1(VALU_DEP_1)
	v_add_nc_u32_e32 v3, v2, v3
	v_lshrrev_b32_e32 v3, s46, v3
	s_delay_alu instid0(VALU_DEP_1) | instskip(SKIP_1) | instid1(VALU_DEP_2)
	v_mul_hi_u32 v6, s48, v3
	v_mul_lo_u32 v8, v3, s44
	v_add_nc_u32_e32 v6, v3, v6
	s_delay_alu instid0(VALU_DEP_2) | instskip(NEXT) | instid1(VALU_DEP_2)
	v_sub_nc_u32_e32 v2, v2, v8
	v_lshrrev_b32_e32 v6, s49, v6
	s_delay_alu instid0(VALU_DEP_2) | instskip(SKIP_1) | instid1(VALU_DEP_3)
	v_mul_lo_u32 v8, v2, s52
	v_mul_lo_u32 v10, v2, s53
	v_mul_hi_u32 v7, s51, v6
	s_delay_alu instid0(VALU_DEP_1) | instskip(NEXT) | instid1(VALU_DEP_1)
	v_add_nc_u32_e32 v7, v6, v7
	v_lshrrev_b32_e32 v7, s60, v7
	s_delay_alu instid0(VALU_DEP_1) | instskip(SKIP_1) | instid1(VALU_DEP_2)
	v_mul_hi_u32 v9, s62, v7
	v_mul_lo_u32 v11, v7, s50
	v_add_nc_u32_e32 v2, v7, v9
	v_mul_lo_u32 v9, v6, s47
	s_delay_alu instid0(VALU_DEP_3) | instskip(NEXT) | instid1(VALU_DEP_3)
	v_sub_nc_u32_e32 v6, v6, v11
	v_lshrrev_b32_e32 v2, s63, v2
	s_delay_alu instid0(VALU_DEP_2) | instskip(SKIP_2) | instid1(VALU_DEP_4)
	v_mul_lo_u32 v11, v6, s56
	v_mul_lo_u32 v6, v6, s57
	v_sub_nc_u32_e32 v3, v3, v9
	v_mul_lo_u32 v12, v2, s61
	s_delay_alu instid0(VALU_DEP_2) | instskip(SKIP_1) | instid1(VALU_DEP_3)
	v_mul_lo_u32 v9, v3, s54
	v_mul_lo_u32 v3, v3, s55
	v_sub_nc_u32_e32 v7, v7, v12
	s_delay_alu instid0(VALU_DEP_3) | instskip(NEXT) | instid1(VALU_DEP_2)
	v_add3_u32 v0, v8, v0, v9
	v_mul_lo_u32 v12, v7, s58
	v_mul_lo_u32 v7, v7, s59
	v_add3_u32 v1, v10, v1, v3
	s_delay_alu instid0(VALU_DEP_3) | instskip(NEXT) | instid1(VALU_DEP_2)
	v_add3_u32 v0, v11, v0, v12
	v_add3_u32 v1, v6, v1, v7
	s_cbranch_scc1 .LBB329_6
	s_branch .LBB329_9
.LBB329_7:
	s_mov_b32 s37, -1
                                        ; implicit-def: $vgpr0
                                        ; implicit-def: $vgpr1
	s_branch .LBB329_12
.LBB329_8:
	v_dual_mov_b32 v2, v5 :: v_dual_mov_b32 v1, 0
.LBB329_9:
	s_and_b32 s41, s41, 3
	s_delay_alu instid0(SALU_CYCLE_1)
	s_cmp_eq_u32 s41, 0
	s_cbranch_scc1 .LBB329_12
; %bb.10:
	s_lshl_b32 s2, s38, 3
	s_mul_i32 s24, s38, 12
	s_add_u32 s2, s2, s16
	s_addc_u32 s3, s17, 0
	s_add_u32 s2, s2, 0xc4
	s_addc_u32 s3, s3, 0
	;; [unrolled: 2-line block ×3, first 2 shown]
	.p2align	6
.LBB329_11:                             ; =>This Inner Loop Header: Depth=1
	s_clause 0x1
	s_load_b64 s[42:43], s[24:25], 0x4
	s_load_b32 s38, s[24:25], 0xc
	s_load_b64 s[44:45], s[2:3], 0x0
	s_add_u32 s24, s24, 12
	s_addc_u32 s25, s25, 0
	s_add_u32 s2, s2, 8
	s_addc_u32 s3, s3, 0
	s_add_i32 s41, s41, -1
	s_delay_alu instid0(SALU_CYCLE_1) | instskip(SKIP_2) | instid1(VALU_DEP_1)
	s_cmp_lg_u32 s41, 0
	s_waitcnt lgkmcnt(0)
	v_mul_hi_u32 v3, s43, v2
	v_add_nc_u32_e32 v3, v2, v3
	s_delay_alu instid0(VALU_DEP_1) | instskip(NEXT) | instid1(VALU_DEP_1)
	v_lshrrev_b32_e32 v3, s38, v3
	v_mul_lo_u32 v6, v3, s42
	s_delay_alu instid0(VALU_DEP_1) | instskip(NEXT) | instid1(VALU_DEP_1)
	v_sub_nc_u32_e32 v2, v2, v6
	v_mad_u64_u32 v[6:7], null, v2, s44, v[0:1]
	v_mad_u64_u32 v[7:8], null, v2, s45, v[1:2]
	v_mov_b32_e32 v2, v3
	s_delay_alu instid0(VALU_DEP_2)
	v_dual_mov_b32 v0, v6 :: v_dual_mov_b32 v1, v7
	s_cbranch_scc1 .LBB329_11
.LBB329_12:
	s_and_not1_b32 vcc_lo, exec_lo, s37
	s_cbranch_vccnz .LBB329_15
; %bb.13:
	v_mul_hi_u32 v0, s13, v5
	s_and_not1_b32 vcc_lo, exec_lo, s33
	s_delay_alu instid0(VALU_DEP_1) | instskip(NEXT) | instid1(VALU_DEP_1)
	v_add_nc_u32_e32 v0, v5, v0
	v_lshrrev_b32_e32 v2, s14, v0
	s_delay_alu instid0(VALU_DEP_1) | instskip(NEXT) | instid1(VALU_DEP_1)
	v_mul_lo_u32 v0, v2, s12
	v_sub_nc_u32_e32 v1, v5, v0
	s_delay_alu instid0(VALU_DEP_1)
	v_mul_lo_u32 v0, v1, s8
	v_mul_lo_u32 v1, v1, s9
	s_cbranch_vccnz .LBB329_15
; %bb.14:
	v_mul_hi_u32 v3, s20, v2
	s_delay_alu instid0(VALU_DEP_1) | instskip(NEXT) | instid1(VALU_DEP_1)
	v_add_nc_u32_e32 v3, v2, v3
	v_lshrrev_b32_e32 v3, s21, v3
	s_delay_alu instid0(VALU_DEP_1) | instskip(NEXT) | instid1(VALU_DEP_1)
	v_mul_lo_u32 v3, v3, s15
	v_sub_nc_u32_e32 v8, v2, v3
	s_delay_alu instid0(VALU_DEP_1) | instskip(NEXT) | instid1(VALU_DEP_1)
	v_mad_u64_u32 v[2:3], null, v8, s10, v[0:1]
	v_mad_u64_u32 v[6:7], null, v8, s11, v[1:2]
	v_mov_b32_e32 v0, v2
	s_delay_alu instid0(VALU_DEP_2)
	v_mov_b32_e32 v1, v6
.LBB329_15:
	v_cmp_gt_i16_e32 vcc_lo, 11, v4
	s_delay_alu instid0(VALU_DEP_2) | instskip(NEXT) | instid1(VALU_DEP_1)
	v_add_co_u32 v1, s2, s6, v1
	v_add_co_ci_u32_e64 v2, null, s7, 0, s2
	s_mov_b32 s3, 0
	s_cbranch_vccnz .LBB329_22
; %bb.16:
	v_cmp_lt_i16_e32 vcc_lo, 25, v4
	s_cbranch_vccz .LBB329_141
; %bb.17:
	v_cmp_lt_i16_e32 vcc_lo, 28, v4
	s_cbranch_vccz .LBB329_142
; %bb.18:
	v_cmp_lt_i16_e32 vcc_lo, 43, v4
	s_cbranch_vccz .LBB329_143
; %bb.19:
	v_cmp_lt_i16_e32 vcc_lo, 45, v4
	s_cbranch_vccz .LBB329_144
; %bb.20:
	v_cmp_eq_u16_e32 vcc_lo, 46, v4
	s_mov_b32 s24, 0
	s_cbranch_vccz .LBB329_145
; %bb.21:
	global_load_b32 v3, v[1:2], off
	s_mov_b32 s2, -1
	s_waitcnt vmcnt(0)
	v_lshlrev_b32_e32 v3, 16, v3
	s_branch .LBB329_147
.LBB329_22:
	s_mov_b32 s2, 0
                                        ; implicit-def: $vgpr3
	s_cbranch_execnz .LBB329_213
.LBB329_23:
	s_and_not1_b32 vcc_lo, exec_lo, s2
	s_cbranch_vccnz .LBB329_260
.LBB329_24:
	v_max_f32_e64 v1, s18, s18
	s_waitcnt vmcnt(0)
	s_delay_alu instid0(VALU_DEP_2)
	v_max_f32_e32 v2, v3, v3
	v_max_f32_e64 v7, s19, s19
	v_and_b32_e64 v6, 0xff, s31
	v_cmp_u_f32_e64 s2, v3, v3
	s_mov_b32 s24, 0
	s_mov_b32 s25, -1
	v_maxmin_f32 v1, v2, v1, v7
	v_cmp_gt_i16_e32 vcc_lo, 11, v6
	s_delay_alu instid0(VALU_DEP_2) | instskip(SKIP_1) | instid1(VALU_DEP_1)
	v_cndmask_b32_e64 v2, v1, v3, s2
	v_add_co_u32 v0, s2, s4, v0
	v_add_co_ci_u32_e64 v1, null, s5, 0, s2
	s_mov_b32 s2, 0
	s_cbranch_vccnz .LBB329_101
; %bb.25:
	v_cmp_lt_i16_e32 vcc_lo, 25, v6
	s_cbranch_vccz .LBB329_58
; %bb.26:
	v_cmp_lt_i16_e32 vcc_lo, 28, v6
	s_cbranch_vccz .LBB329_41
	;; [unrolled: 3-line block ×4, first 2 shown]
; %bb.29:
	v_cmp_eq_u16_e32 vcc_lo, 46, v6
	s_mov_b32 s25, 0
	s_mov_b32 s24, -1
	s_cbranch_vccz .LBB329_31
; %bb.30:
	v_bfe_u32 v3, v2, 16, 1
	v_cmp_o_f32_e32 vcc_lo, v2, v2
	s_mov_b32 s2, -1
	s_mov_b32 s24, 0
	s_delay_alu instid0(VALU_DEP_2) | instskip(NEXT) | instid1(VALU_DEP_1)
	v_add3_u32 v3, v2, v3, 0x7fff
	v_lshrrev_b32_e32 v3, 16, v3
	s_delay_alu instid0(VALU_DEP_1)
	v_cndmask_b32_e32 v3, 0x7fc0, v3, vcc_lo
	global_store_b32 v[0:1], v3, off
.LBB329_31:
	s_and_b32 vcc_lo, exec_lo, s25
	s_cbranch_vccz .LBB329_36
; %bb.32:
	v_cmp_eq_u16_e32 vcc_lo, 44, v6
	s_mov_b32 s24, -1
	s_cbranch_vccz .LBB329_36
; %bb.33:
	v_bfe_u32 v7, v2, 23, 8
	v_mov_b32_e32 v3, 0xff
	s_mov_b32 s24, exec_lo
	s_delay_alu instid0(VALU_DEP_2)
	v_cmpx_ne_u32_e32 0xff, v7
; %bb.34:
	v_and_b32_e32 v3, 0x400000, v2
	v_and_or_b32 v7, 0x3fffff, v2, v7
	s_delay_alu instid0(VALU_DEP_2) | instskip(NEXT) | instid1(VALU_DEP_2)
	v_cmp_ne_u32_e32 vcc_lo, 0, v3
	v_cmp_ne_u32_e64 s2, 0, v7
	v_lshrrev_b32_e32 v3, 23, v2
	s_delay_alu instid0(VALU_DEP_2) | instskip(NEXT) | instid1(SALU_CYCLE_1)
	s_and_b32 s2, vcc_lo, s2
	v_cndmask_b32_e64 v7, 0, 1, s2
	s_delay_alu instid0(VALU_DEP_1)
	v_add_nc_u32_e32 v3, v3, v7
; %bb.35:
	s_or_b32 exec_lo, exec_lo, s24
	s_mov_b32 s2, -1
	s_mov_b32 s24, 0
	global_store_b8 v[0:1], v3, off
.LBB329_36:
	s_mov_b32 s25, 0
.LBB329_37:
	s_delay_alu instid0(SALU_CYCLE_1)
	s_and_b32 vcc_lo, exec_lo, s25
	s_cbranch_vccz .LBB329_40
; %bb.38:
	v_cmp_eq_u16_e32 vcc_lo, 29, v6
	s_mov_b32 s24, -1
	s_cbranch_vccz .LBB329_40
; %bb.39:
	v_trunc_f32_e32 v3, v2
	s_mov_b32 s2, -1
	s_mov_b32 s24, 0
	s_delay_alu instid0(VALU_DEP_1) | instskip(NEXT) | instid1(VALU_DEP_1)
	v_mul_f32_e32 v7, 0x2f800000, v3
	v_floor_f32_e32 v7, v7
	s_delay_alu instid0(VALU_DEP_1) | instskip(SKIP_1) | instid1(VALU_DEP_2)
	v_fmamk_f32 v3, v7, 0xcf800000, v3
	v_cvt_u32_f32_e32 v8, v7
	v_cvt_u32_f32_e32 v7, v3
	global_store_b64 v[0:1], v[7:8], off
.LBB329_40:
	s_mov_b32 s25, 0
.LBB329_41:
	s_delay_alu instid0(SALU_CYCLE_1)
	s_and_b32 vcc_lo, exec_lo, s25
	s_cbranch_vccz .LBB329_57
; %bb.42:
	v_cmp_gt_i16_e32 vcc_lo, 27, v6
	s_mov_b32 s2, -1
	s_cbranch_vccnz .LBB329_48
; %bb.43:
	v_cmp_lt_i16_e32 vcc_lo, 27, v6
	s_cbranch_vccz .LBB329_45
; %bb.44:
	v_cvt_u32_f32_e32 v3, v2
	s_mov_b32 s2, 0
	global_store_b32 v[0:1], v3, off
.LBB329_45:
	s_and_not1_b32 vcc_lo, exec_lo, s2
	s_cbranch_vccnz .LBB329_47
; %bb.46:
	v_cvt_u32_f32_e32 v3, v2
	global_store_b16 v[0:1], v3, off
.LBB329_47:
	s_mov_b32 s2, 0
.LBB329_48:
	s_delay_alu instid0(SALU_CYCLE_1)
	s_and_not1_b32 vcc_lo, exec_lo, s2
	s_cbranch_vccnz .LBB329_56
; %bb.49:
	v_and_b32_e32 v3, 0x7fffffff, v2
	v_mov_b32_e32 v7, 0x80
	s_mov_b32 s2, exec_lo
	s_delay_alu instid0(VALU_DEP_2)
	v_cmpx_gt_u32_e32 0x43800000, v3
	s_cbranch_execz .LBB329_55
; %bb.50:
	v_cmp_lt_u32_e32 vcc_lo, 0x3bffffff, v3
	s_mov_b32 s25, 0
                                        ; implicit-def: $vgpr3
	s_and_saveexec_b32 s37, vcc_lo
	s_delay_alu instid0(SALU_CYCLE_1)
	s_xor_b32 s37, exec_lo, s37
	s_cbranch_execz .LBB329_150
; %bb.51:
	v_bfe_u32 v3, v2, 20, 1
	s_mov_b32 s25, exec_lo
	s_delay_alu instid0(VALU_DEP_1) | instskip(NEXT) | instid1(VALU_DEP_1)
	v_add3_u32 v3, v2, v3, 0x487ffff
	v_lshrrev_b32_e32 v3, 20, v3
	s_or_saveexec_b32 s37, s37
                                        ; implicit-def: $sgpr38
	s_delay_alu instid0(SALU_CYCLE_1)
	s_xor_b32 exec_lo, exec_lo, s37
	s_cbranch_execnz .LBB329_151
.LBB329_52:
	s_or_b32 exec_lo, exec_lo, s37
	v_mov_b32_e32 v7, s38
	s_and_saveexec_b32 s37, s25
.LBB329_53:
	v_lshrrev_b32_e32 v7, 24, v2
	s_delay_alu instid0(VALU_DEP_1)
	v_and_or_b32 v7, 0x80, v7, v3
.LBB329_54:
	s_or_b32 exec_lo, exec_lo, s37
.LBB329_55:
	s_delay_alu instid0(SALU_CYCLE_1)
	s_or_b32 exec_lo, exec_lo, s2
	global_store_b8 v[0:1], v7, off
.LBB329_56:
	s_mov_b32 s2, -1
.LBB329_57:
	s_mov_b32 s25, 0
.LBB329_58:
	s_delay_alu instid0(SALU_CYCLE_1)
	s_and_b32 vcc_lo, exec_lo, s25
	s_cbranch_vccz .LBB329_99
; %bb.59:
	v_cmp_lt_i16_e32 vcc_lo, 22, v6
	s_mov_b32 s25, -1
	s_cbranch_vccz .LBB329_91
; %bb.60:
	v_cmp_gt_i16_e32 vcc_lo, 24, v6
	s_mov_b32 s2, -1
	s_cbranch_vccnz .LBB329_80
; %bb.61:
	v_cmp_lt_i16_e32 vcc_lo, 24, v6
	s_cbranch_vccz .LBB329_69
; %bb.62:
	v_and_b32_e32 v3, 0x7fffffff, v2
	v_mov_b32_e32 v7, 0x80
	s_mov_b32 s2, exec_lo
	s_delay_alu instid0(VALU_DEP_2)
	v_cmpx_gt_u32_e32 0x47800000, v3
	s_cbranch_execz .LBB329_68
; %bb.63:
	v_cmp_lt_u32_e32 vcc_lo, 0x37ffffff, v3
	s_mov_b32 s25, 0
                                        ; implicit-def: $vgpr3
	s_and_saveexec_b32 s37, vcc_lo
	s_delay_alu instid0(SALU_CYCLE_1)
	s_xor_b32 s37, exec_lo, s37
	s_cbranch_execz .LBB329_341
; %bb.64:
	v_bfe_u32 v3, v2, 21, 1
	s_mov_b32 s25, exec_lo
	s_delay_alu instid0(VALU_DEP_1) | instskip(NEXT) | instid1(VALU_DEP_1)
	v_add3_u32 v3, v2, v3, 0x88fffff
	v_lshrrev_b32_e32 v3, 21, v3
	s_or_saveexec_b32 s37, s37
                                        ; implicit-def: $sgpr38
	s_delay_alu instid0(SALU_CYCLE_1)
	s_xor_b32 exec_lo, exec_lo, s37
	s_cbranch_execnz .LBB329_342
.LBB329_65:
	s_or_b32 exec_lo, exec_lo, s37
	v_mov_b32_e32 v7, s38
	s_and_saveexec_b32 s37, s25
.LBB329_66:
	v_lshrrev_b32_e32 v7, 24, v2
	s_delay_alu instid0(VALU_DEP_1)
	v_and_or_b32 v7, 0x80, v7, v3
.LBB329_67:
	s_or_b32 exec_lo, exec_lo, s37
.LBB329_68:
	s_delay_alu instid0(SALU_CYCLE_1)
	s_or_b32 exec_lo, exec_lo, s2
	s_mov_b32 s2, 0
	global_store_b8 v[0:1], v7, off
.LBB329_69:
	s_and_b32 vcc_lo, exec_lo, s2
	s_cbranch_vccz .LBB329_79
; %bb.70:
	v_and_b32_e32 v7, 0x7fffffff, v2
	s_mov_b32 s2, exec_lo
                                        ; implicit-def: $vgpr3
	s_delay_alu instid0(VALU_DEP_1)
	v_cmpx_gt_u32_e32 0x43f00000, v7
	s_xor_b32 s2, exec_lo, s2
	s_cbranch_execz .LBB329_76
; %bb.71:
	s_mov_b32 s25, exec_lo
                                        ; implicit-def: $vgpr3
	v_cmpx_lt_u32_e32 0x3c7fffff, v7
	s_xor_b32 s25, exec_lo, s25
; %bb.72:
	v_bfe_u32 v3, v2, 20, 1
	s_delay_alu instid0(VALU_DEP_1) | instskip(NEXT) | instid1(VALU_DEP_1)
	v_add3_u32 v3, v2, v3, 0x407ffff
	v_and_b32_e32 v7, 0xff00000, v3
	v_lshrrev_b32_e32 v3, 20, v3
	s_delay_alu instid0(VALU_DEP_2) | instskip(NEXT) | instid1(VALU_DEP_2)
	v_cmp_ne_u32_e32 vcc_lo, 0x7f00000, v7
	v_cndmask_b32_e32 v3, 0x7e, v3, vcc_lo
; %bb.73:
	s_and_not1_saveexec_b32 s25, s25
; %bb.74:
	v_add_f32_e64 v3, 0x46800000, |v2|
; %bb.75:
	s_or_b32 exec_lo, exec_lo, s25
                                        ; implicit-def: $vgpr7
.LBB329_76:
	s_and_not1_saveexec_b32 s2, s2
; %bb.77:
	v_mov_b32_e32 v3, 0x7f
	v_cmp_lt_u32_e32 vcc_lo, 0x7f800000, v7
	s_delay_alu instid0(VALU_DEP_2)
	v_cndmask_b32_e32 v3, 0x7e, v3, vcc_lo
; %bb.78:
	s_or_b32 exec_lo, exec_lo, s2
	v_lshrrev_b32_e32 v7, 24, v2
	s_delay_alu instid0(VALU_DEP_1)
	v_and_or_b32 v3, 0x80, v7, v3
	global_store_b8 v[0:1], v3, off
.LBB329_79:
	s_mov_b32 s2, 0
.LBB329_80:
	s_delay_alu instid0(SALU_CYCLE_1)
	s_and_not1_b32 vcc_lo, exec_lo, s2
	s_cbranch_vccnz .LBB329_90
; %bb.81:
	v_and_b32_e32 v7, 0x7fffffff, v2
	s_mov_b32 s2, exec_lo
                                        ; implicit-def: $vgpr3
	s_delay_alu instid0(VALU_DEP_1)
	v_cmpx_gt_u32_e32 0x47800000, v7
	s_xor_b32 s2, exec_lo, s2
	s_cbranch_execz .LBB329_87
; %bb.82:
	s_mov_b32 s25, exec_lo
                                        ; implicit-def: $vgpr3
	v_cmpx_lt_u32_e32 0x387fffff, v7
	s_xor_b32 s25, exec_lo, s25
; %bb.83:
	v_bfe_u32 v3, v2, 21, 1
	s_delay_alu instid0(VALU_DEP_1) | instskip(NEXT) | instid1(VALU_DEP_1)
	v_add3_u32 v3, v2, v3, 0x80fffff
	v_lshrrev_b32_e32 v3, 21, v3
; %bb.84:
	s_and_not1_saveexec_b32 s25, s25
; %bb.85:
	v_add_f32_e64 v3, 0x43000000, |v2|
; %bb.86:
	s_or_b32 exec_lo, exec_lo, s25
                                        ; implicit-def: $vgpr7
.LBB329_87:
	s_and_not1_saveexec_b32 s2, s2
; %bb.88:
	v_mov_b32_e32 v3, 0x7f
	v_cmp_lt_u32_e32 vcc_lo, 0x7f800000, v7
	s_delay_alu instid0(VALU_DEP_2)
	v_cndmask_b32_e32 v3, 0x7c, v3, vcc_lo
; %bb.89:
	s_or_b32 exec_lo, exec_lo, s2
	v_lshrrev_b32_e32 v7, 24, v2
	s_delay_alu instid0(VALU_DEP_1)
	v_and_or_b32 v3, 0x80, v7, v3
	global_store_b8 v[0:1], v3, off
.LBB329_90:
	s_mov_b32 s25, 0
	s_mov_b32 s2, -1
.LBB329_91:
	s_and_not1_b32 vcc_lo, exec_lo, s25
	s_cbranch_vccnz .LBB329_99
; %bb.92:
	v_cmp_lt_i16_e32 vcc_lo, 14, v6
	s_mov_b32 s25, -1
	s_cbranch_vccz .LBB329_96
; %bb.93:
	v_cmp_eq_u16_e32 vcc_lo, 15, v6
	s_mov_b32 s24, -1
	s_cbranch_vccz .LBB329_95
; %bb.94:
	v_bfe_u32 v3, v2, 16, 1
	v_cmp_o_f32_e32 vcc_lo, v2, v2
	s_mov_b32 s2, -1
	s_mov_b32 s24, 0
	s_delay_alu instid0(VALU_DEP_2) | instskip(NEXT) | instid1(VALU_DEP_1)
	v_add3_u32 v3, v2, v3, 0x7fff
	v_lshrrev_b32_e32 v3, 16, v3
	s_delay_alu instid0(VALU_DEP_1)
	v_cndmask_b32_e32 v3, 0x7fc0, v3, vcc_lo
	global_store_b16 v[0:1], v3, off
.LBB329_95:
	s_mov_b32 s25, 0
.LBB329_96:
	s_delay_alu instid0(SALU_CYCLE_1)
	s_and_b32 vcc_lo, exec_lo, s25
	s_cbranch_vccz .LBB329_99
; %bb.97:
	v_cmp_eq_u16_e32 vcc_lo, 11, v6
	s_mov_b32 s24, -1
	s_cbranch_vccz .LBB329_99
; %bb.98:
	v_cmp_neq_f32_e32 vcc_lo, 0, v2
	s_mov_b32 s24, 0
	s_mov_b32 s2, -1
	v_cndmask_b32_e64 v3, 0, 1, vcc_lo
	global_store_b8 v[0:1], v3, off
.LBB329_99:
.LBB329_100:
	s_and_not1_b32 vcc_lo, exec_lo, s2
	s_cbranch_vccz .LBB329_140
	s_branch .LBB329_261
.LBB329_101:
	s_and_b32 vcc_lo, exec_lo, s25
	s_cbranch_vccz .LBB329_100
; %bb.102:
	v_cmp_gt_i16_e32 vcc_lo, 5, v6
	s_mov_b32 s2, -1
	s_cbranch_vccnz .LBB329_123
; %bb.103:
	v_cmp_gt_i16_e32 vcc_lo, 8, v6
	s_cbranch_vccnz .LBB329_113
; %bb.104:
	v_cmp_gt_i16_e32 vcc_lo, 9, v6
	s_cbranch_vccnz .LBB329_110
; %bb.105:
	v_cmp_lt_i16_e32 vcc_lo, 9, v6
	s_cbranch_vccz .LBB329_107
; %bb.106:
	v_cvt_f64_f32_e32 v[7:8], v2
	v_mov_b32_e32 v9, 0
	s_mov_b32 s2, 0
	s_delay_alu instid0(VALU_DEP_1)
	v_mov_b32_e32 v10, v9
	global_store_b128 v[0:1], v[7:10], off
.LBB329_107:
	s_and_not1_b32 vcc_lo, exec_lo, s2
	s_cbranch_vccnz .LBB329_109
; %bb.108:
	v_mov_b32_e32 v3, 0
	global_store_b64 v[0:1], v[2:3], off
.LBB329_109:
	s_mov_b32 s2, 0
.LBB329_110:
	s_delay_alu instid0(SALU_CYCLE_1)
	s_and_not1_b32 vcc_lo, exec_lo, s2
	s_cbranch_vccnz .LBB329_112
; %bb.111:
	v_cvt_f16_f32_e32 v3, v2
	s_delay_alu instid0(VALU_DEP_1)
	v_and_b32_e32 v3, 0xffff, v3
	global_store_b32 v[0:1], v3, off
.LBB329_112:
	s_mov_b32 s2, 0
.LBB329_113:
	s_delay_alu instid0(SALU_CYCLE_1)
	s_and_not1_b32 vcc_lo, exec_lo, s2
	s_cbranch_vccnz .LBB329_122
; %bb.114:
	v_cmp_gt_i16_e32 vcc_lo, 6, v6
	s_mov_b32 s2, -1
	s_cbranch_vccnz .LBB329_120
; %bb.115:
	v_cmp_lt_i16_e32 vcc_lo, 6, v6
	s_cbranch_vccz .LBB329_117
; %bb.116:
	v_cvt_f64_f32_e32 v[7:8], v2
	s_mov_b32 s2, 0
	global_store_b64 v[0:1], v[7:8], off
.LBB329_117:
	s_and_not1_b32 vcc_lo, exec_lo, s2
	s_cbranch_vccnz .LBB329_119
; %bb.118:
	global_store_b32 v[0:1], v2, off
.LBB329_119:
	s_mov_b32 s2, 0
.LBB329_120:
	s_delay_alu instid0(SALU_CYCLE_1)
	s_and_not1_b32 vcc_lo, exec_lo, s2
	s_cbranch_vccnz .LBB329_122
; %bb.121:
	v_cvt_f16_f32_e32 v3, v2
	global_store_b16 v[0:1], v3, off
.LBB329_122:
	s_mov_b32 s2, 0
.LBB329_123:
	s_delay_alu instid0(SALU_CYCLE_1)
	s_and_not1_b32 vcc_lo, exec_lo, s2
	s_cbranch_vccnz .LBB329_139
; %bb.124:
	v_cmp_gt_i16_e32 vcc_lo, 2, v6
	s_mov_b32 s2, -1
	s_cbranch_vccnz .LBB329_134
; %bb.125:
	v_cmp_gt_i16_e32 vcc_lo, 3, v6
	s_cbranch_vccnz .LBB329_131
; %bb.126:
	v_cmp_lt_i16_e32 vcc_lo, 3, v6
	s_cbranch_vccz .LBB329_128
; %bb.127:
	v_trunc_f32_e32 v3, v2
	s_mov_b32 s2, 0
	s_delay_alu instid0(VALU_DEP_1) | instskip(NEXT) | instid1(VALU_DEP_1)
	v_mul_f32_e64 v7, 0x2f800000, |v3|
	v_floor_f32_e32 v7, v7
	s_delay_alu instid0(VALU_DEP_1) | instskip(SKIP_2) | instid1(VALU_DEP_3)
	v_fma_f32 v8, 0xcf800000, v7, |v3|
	v_ashrrev_i32_e32 v3, 31, v3
	v_cvt_u32_f32_e32 v7, v7
	v_cvt_u32_f32_e32 v8, v8
	s_delay_alu instid0(VALU_DEP_2) | instskip(NEXT) | instid1(VALU_DEP_2)
	v_xor_b32_e32 v9, v7, v3
	v_xor_b32_e32 v8, v8, v3
	s_delay_alu instid0(VALU_DEP_1) | instskip(NEXT) | instid1(VALU_DEP_3)
	v_sub_co_u32 v7, vcc_lo, v8, v3
	v_sub_co_ci_u32_e32 v8, vcc_lo, v9, v3, vcc_lo
	global_store_b64 v[0:1], v[7:8], off
.LBB329_128:
	s_and_not1_b32 vcc_lo, exec_lo, s2
	s_cbranch_vccnz .LBB329_130
; %bb.129:
	v_cvt_i32_f32_e32 v3, v2
	global_store_b32 v[0:1], v3, off
.LBB329_130:
	s_mov_b32 s2, 0
.LBB329_131:
	s_delay_alu instid0(SALU_CYCLE_1)
	s_and_not1_b32 vcc_lo, exec_lo, s2
	s_cbranch_vccnz .LBB329_133
; %bb.132:
	v_cvt_i32_f32_e32 v3, v2
	global_store_b16 v[0:1], v3, off
.LBB329_133:
	s_mov_b32 s2, 0
.LBB329_134:
	s_delay_alu instid0(SALU_CYCLE_1)
	s_and_not1_b32 vcc_lo, exec_lo, s2
	s_cbranch_vccnz .LBB329_139
; %bb.135:
	v_cmp_lt_i16_e32 vcc_lo, 0, v6
	s_mov_b32 s2, -1
	s_cbranch_vccz .LBB329_137
; %bb.136:
	v_cvt_i32_f32_e32 v3, v2
	s_mov_b32 s2, 0
	global_store_b8 v[0:1], v3, off
.LBB329_137:
	s_and_not1_b32 vcc_lo, exec_lo, s2
	s_cbranch_vccnz .LBB329_139
; %bb.138:
	v_trunc_f32_e32 v2, v2
	s_delay_alu instid0(VALU_DEP_1) | instskip(NEXT) | instid1(VALU_DEP_1)
	v_mul_f32_e64 v3, 0x2f800000, |v2|
	v_floor_f32_e32 v3, v3
	s_delay_alu instid0(VALU_DEP_1) | instskip(SKIP_1) | instid1(VALU_DEP_2)
	v_fma_f32 v3, 0xcf800000, v3, |v2|
	v_ashrrev_i32_e32 v2, 31, v2
	v_cvt_u32_f32_e32 v3, v3
	s_delay_alu instid0(VALU_DEP_1) | instskip(NEXT) | instid1(VALU_DEP_1)
	v_xor_b32_e32 v3, v3, v2
	v_sub_nc_u32_e32 v2, v3, v2
	global_store_b8 v[0:1], v2, off
.LBB329_139:
.LBB329_140:
	v_add_nc_u32_e32 v5, 0x80, v5
	s_mov_b32 s2, -1
	s_branch .LBB329_262
.LBB329_141:
	s_mov_b32 s2, 0
                                        ; implicit-def: $vgpr3
	s_cbranch_execnz .LBB329_178
	s_branch .LBB329_212
.LBB329_142:
	s_mov_b32 s24, -1
	s_mov_b32 s2, 0
                                        ; implicit-def: $vgpr3
	s_branch .LBB329_159
.LBB329_143:
	s_mov_b32 s24, -1
	s_mov_b32 s2, 0
                                        ; implicit-def: $vgpr3
	s_branch .LBB329_154
.LBB329_144:
	s_mov_b32 s24, -1
	s_branch .LBB329_146
.LBB329_145:
	s_mov_b32 s3, -1
.LBB329_146:
	s_mov_b32 s2, 0
                                        ; implicit-def: $vgpr3
.LBB329_147:
	s_and_b32 vcc_lo, exec_lo, s24
	s_cbranch_vccz .LBB329_153
; %bb.148:
	v_cmp_eq_u16_e32 vcc_lo, 44, v4
	s_cbranch_vccz .LBB329_152
; %bb.149:
	global_load_u8 v3, v[1:2], off
	s_mov_b32 s3, 0
	s_mov_b32 s2, -1
	s_waitcnt vmcnt(0)
	v_lshlrev_b32_e32 v6, 23, v3
	v_cmp_ne_u32_e32 vcc_lo, 0xff, v3
	s_delay_alu instid0(VALU_DEP_2) | instskip(SKIP_1) | instid1(VALU_DEP_2)
	v_cndmask_b32_e32 v6, 0x7f800001, v6, vcc_lo
	v_cmp_ne_u32_e32 vcc_lo, 0, v3
	v_cndmask_b32_e32 v3, 0x400000, v6, vcc_lo
	s_branch .LBB329_153
.LBB329_150:
	s_or_saveexec_b32 s37, s37
                                        ; implicit-def: $sgpr38
	s_delay_alu instid0(SALU_CYCLE_1)
	s_xor_b32 exec_lo, exec_lo, s37
	s_cbranch_execz .LBB329_52
.LBB329_151:
	v_add_f32_e64 v3, 0x46000000, |v2|
	s_and_not1_b32 s25, s25, exec_lo
	s_mov_b32 s38, 0
	s_delay_alu instid0(VALU_DEP_1) | instskip(NEXT) | instid1(VALU_DEP_1)
	v_and_b32_e32 v3, 0xff, v3
	v_cmp_ne_u32_e32 vcc_lo, 0, v3
	s_and_b32 s41, vcc_lo, exec_lo
	s_delay_alu instid0(SALU_CYCLE_1)
	s_or_b32 s25, s25, s41
	s_or_b32 exec_lo, exec_lo, s37
	v_mov_b32_e32 v7, s38
	s_and_saveexec_b32 s37, s25
	s_cbranch_execnz .LBB329_53
	s_branch .LBB329_54
.LBB329_152:
	s_mov_b32 s3, -1
                                        ; implicit-def: $vgpr3
.LBB329_153:
	s_mov_b32 s24, 0
.LBB329_154:
	s_delay_alu instid0(SALU_CYCLE_1)
	s_and_b32 vcc_lo, exec_lo, s24
	s_cbranch_vccz .LBB329_158
; %bb.155:
	v_cmp_eq_u16_e32 vcc_lo, 29, v4
	s_cbranch_vccz .LBB329_157
; %bb.156:
	global_load_b64 v[6:7], v[1:2], off
	s_mov_b32 s2, -1
	s_mov_b32 s3, 0
	s_mov_b32 s24, 0
	s_waitcnt vmcnt(0)
	v_clz_i32_u32_e32 v3, v7
	s_delay_alu instid0(VALU_DEP_1) | instskip(NEXT) | instid1(VALU_DEP_1)
	v_min_u32_e32 v3, 32, v3
	v_lshlrev_b64 v[6:7], v3, v[6:7]
	v_sub_nc_u32_e32 v3, 32, v3
	s_delay_alu instid0(VALU_DEP_2) | instskip(NEXT) | instid1(VALU_DEP_1)
	v_min_u32_e32 v6, 1, v6
	v_or_b32_e32 v6, v7, v6
	s_delay_alu instid0(VALU_DEP_1) | instskip(NEXT) | instid1(VALU_DEP_1)
	v_cvt_f32_u32_e32 v6, v6
	v_ldexp_f32 v3, v6, v3
	s_branch .LBB329_159
.LBB329_157:
	s_mov_b32 s3, -1
                                        ; implicit-def: $vgpr3
.LBB329_158:
	s_mov_b32 s24, 0
.LBB329_159:
	s_delay_alu instid0(SALU_CYCLE_1)
	s_and_b32 vcc_lo, exec_lo, s24
	s_cbranch_vccz .LBB329_177
; %bb.160:
	v_cmp_gt_i16_e32 vcc_lo, 27, v4
	s_cbranch_vccnz .LBB329_163
; %bb.161:
	v_cmp_lt_i16_e32 vcc_lo, 27, v4
	s_cbranch_vccz .LBB329_164
; %bb.162:
	global_load_b32 v3, v[1:2], off
	s_mov_b32 s2, 0
	s_waitcnt vmcnt(0)
	v_cvt_f32_u32_e32 v3, v3
	s_branch .LBB329_165
.LBB329_163:
	s_mov_b32 s2, -1
                                        ; implicit-def: $vgpr3
	s_branch .LBB329_168
.LBB329_164:
	s_mov_b32 s2, -1
                                        ; implicit-def: $vgpr3
.LBB329_165:
	s_delay_alu instid0(SALU_CYCLE_1)
	s_and_not1_b32 vcc_lo, exec_lo, s2
	s_cbranch_vccnz .LBB329_167
; %bb.166:
	global_load_u16 v3, v[1:2], off
	s_waitcnt vmcnt(0)
	v_cvt_f32_u32_e32 v3, v3
.LBB329_167:
	s_mov_b32 s2, 0
.LBB329_168:
	s_delay_alu instid0(SALU_CYCLE_1)
	s_and_not1_b32 vcc_lo, exec_lo, s2
	s_cbranch_vccnz .LBB329_176
; %bb.169:
	global_load_u8 v6, v[1:2], off
	s_mov_b32 s2, 0
	s_mov_b32 s25, exec_lo
                                        ; implicit-def: $sgpr24
	s_waitcnt vmcnt(0)
	v_cmpx_lt_i16_e32 0x7f, v6
	s_xor_b32 s25, exec_lo, s25
	s_cbranch_execz .LBB329_189
; %bb.170:
	s_mov_b32 s2, -1
	s_mov_b32 s37, exec_lo
                                        ; implicit-def: $sgpr24
	v_cmpx_eq_u16_e32 0x80, v6
; %bb.171:
	s_mov_b32 s24, 0x7f800001
	s_xor_b32 s2, exec_lo, -1
; %bb.172:
	s_or_b32 exec_lo, exec_lo, s37
	s_delay_alu instid0(SALU_CYCLE_1)
	s_and_b32 s2, s2, exec_lo
	s_or_saveexec_b32 s25, s25
	v_mov_b32_e32 v3, s24
	s_xor_b32 exec_lo, exec_lo, s25
	s_cbranch_execnz .LBB329_190
.LBB329_173:
	s_or_b32 exec_lo, exec_lo, s25
	s_and_saveexec_b32 s24, s2
	s_cbranch_execz .LBB329_175
.LBB329_174:
	v_and_b32_e32 v3, 0xffff, v6
	s_delay_alu instid0(VALU_DEP_1) | instskip(NEXT) | instid1(VALU_DEP_1)
	v_and_b32_e32 v7, 7, v3
	v_clz_i32_u32_e32 v8, v7
	s_delay_alu instid0(VALU_DEP_1) | instskip(NEXT) | instid1(VALU_DEP_1)
	v_min_u32_e32 v8, 32, v8
	v_subrev_nc_u32_e32 v9, 28, v8
	v_sub_nc_u32_e32 v8, 29, v8
	s_delay_alu instid0(VALU_DEP_2) | instskip(SKIP_1) | instid1(VALU_DEP_2)
	v_lshlrev_b32_e32 v9, v9, v3
	v_bfe_u32 v3, v3, 3, 4
	v_and_b32_e32 v9, 7, v9
	s_delay_alu instid0(VALU_DEP_2) | instskip(SKIP_1) | instid1(VALU_DEP_1)
	v_cmp_eq_u32_e32 vcc_lo, 0, v3
	v_dual_cndmask_b32 v3, v3, v8 :: v_dual_lshlrev_b32 v6, 24, v6
	v_dual_cndmask_b32 v7, v7, v9 :: v_dual_and_b32 v6, 0x80000000, v6
	s_delay_alu instid0(VALU_DEP_2) | instskip(NEXT) | instid1(VALU_DEP_2)
	v_lshl_add_u32 v3, v3, 23, 0x3b800000
	v_lshlrev_b32_e32 v7, 20, v7
	s_delay_alu instid0(VALU_DEP_1)
	v_or3_b32 v3, v6, v3, v7
.LBB329_175:
	s_or_b32 exec_lo, exec_lo, s24
.LBB329_176:
	s_mov_b32 s2, -1
.LBB329_177:
	s_branch .LBB329_212
.LBB329_178:
	v_cmp_lt_i16_e32 vcc_lo, 22, v4
	s_cbranch_vccz .LBB329_188
; %bb.179:
	v_cmp_gt_i16_e32 vcc_lo, 24, v4
	s_cbranch_vccnz .LBB329_191
; %bb.180:
	v_cmp_lt_i16_e32 vcc_lo, 24, v4
	s_cbranch_vccz .LBB329_192
; %bb.181:
	global_load_u8 v6, v[1:2], off
	s_mov_b32 s2, 0
	s_mov_b32 s25, exec_lo
                                        ; implicit-def: $sgpr24
	s_waitcnt vmcnt(0)
	v_cmpx_lt_i16_e32 0x7f, v6
	s_xor_b32 s25, exec_lo, s25
	s_cbranch_execz .LBB329_204
; %bb.182:
	s_mov_b32 s2, -1
	s_mov_b32 s37, exec_lo
                                        ; implicit-def: $sgpr24
	v_cmpx_eq_u16_e32 0x80, v6
; %bb.183:
	s_mov_b32 s24, 0x7f800001
	s_xor_b32 s2, exec_lo, -1
; %bb.184:
	s_or_b32 exec_lo, exec_lo, s37
	s_delay_alu instid0(SALU_CYCLE_1)
	s_and_b32 s2, s2, exec_lo
	s_or_saveexec_b32 s25, s25
	v_mov_b32_e32 v3, s24
	s_xor_b32 exec_lo, exec_lo, s25
	s_cbranch_execnz .LBB329_205
.LBB329_185:
	s_or_b32 exec_lo, exec_lo, s25
	s_and_saveexec_b32 s24, s2
	s_cbranch_execz .LBB329_187
.LBB329_186:
	v_and_b32_e32 v3, 0xffff, v6
	s_delay_alu instid0(VALU_DEP_1) | instskip(NEXT) | instid1(VALU_DEP_1)
	v_and_b32_e32 v7, 3, v3
	v_clz_i32_u32_e32 v8, v7
	s_delay_alu instid0(VALU_DEP_1) | instskip(NEXT) | instid1(VALU_DEP_1)
	v_min_u32_e32 v8, 32, v8
	v_subrev_nc_u32_e32 v9, 29, v8
	v_sub_nc_u32_e32 v8, 30, v8
	s_delay_alu instid0(VALU_DEP_2) | instskip(SKIP_1) | instid1(VALU_DEP_2)
	v_lshlrev_b32_e32 v9, v9, v3
	v_bfe_u32 v3, v3, 2, 5
	v_and_b32_e32 v9, 3, v9
	s_delay_alu instid0(VALU_DEP_2) | instskip(SKIP_1) | instid1(VALU_DEP_1)
	v_cmp_eq_u32_e32 vcc_lo, 0, v3
	v_dual_cndmask_b32 v3, v3, v8 :: v_dual_lshlrev_b32 v6, 24, v6
	v_dual_cndmask_b32 v7, v7, v9 :: v_dual_and_b32 v6, 0x80000000, v6
	s_delay_alu instid0(VALU_DEP_2) | instskip(NEXT) | instid1(VALU_DEP_2)
	v_lshl_add_u32 v3, v3, 23, 0x37800000
	v_lshlrev_b32_e32 v7, 21, v7
	s_delay_alu instid0(VALU_DEP_1)
	v_or3_b32 v3, v6, v3, v7
.LBB329_187:
	s_or_b32 exec_lo, exec_lo, s24
	s_mov_b32 s2, 0
	s_branch .LBB329_193
.LBB329_188:
	s_mov_b32 s24, -1
                                        ; implicit-def: $vgpr3
	s_branch .LBB329_199
.LBB329_189:
	s_or_saveexec_b32 s25, s25
	v_mov_b32_e32 v3, s24
	s_xor_b32 exec_lo, exec_lo, s25
	s_cbranch_execz .LBB329_173
.LBB329_190:
	v_cmp_ne_u16_e32 vcc_lo, 0, v6
	v_mov_b32_e32 v3, 0
	s_and_not1_b32 s2, s2, exec_lo
	s_and_b32 s24, vcc_lo, exec_lo
	s_delay_alu instid0(SALU_CYCLE_1)
	s_or_b32 s2, s2, s24
	s_or_b32 exec_lo, exec_lo, s25
	s_and_saveexec_b32 s24, s2
	s_cbranch_execnz .LBB329_174
	s_branch .LBB329_175
.LBB329_191:
	s_mov_b32 s2, -1
                                        ; implicit-def: $vgpr3
	s_branch .LBB329_196
.LBB329_192:
	s_mov_b32 s2, -1
                                        ; implicit-def: $vgpr3
.LBB329_193:
	s_delay_alu instid0(SALU_CYCLE_1)
	s_and_b32 vcc_lo, exec_lo, s2
	s_cbranch_vccz .LBB329_195
; %bb.194:
	global_load_u8 v3, v[1:2], off
	s_waitcnt vmcnt(0)
	v_lshlrev_b32_e32 v3, 24, v3
	s_delay_alu instid0(VALU_DEP_1) | instskip(NEXT) | instid1(VALU_DEP_1)
	v_and_b32_e32 v6, 0x7f000000, v3
	v_clz_i32_u32_e32 v7, v6
	v_cmp_ne_u32_e32 vcc_lo, 0, v6
	v_add_nc_u32_e32 v9, 0x1000000, v6
	s_delay_alu instid0(VALU_DEP_3) | instskip(NEXT) | instid1(VALU_DEP_1)
	v_min_u32_e32 v7, 32, v7
	v_sub_nc_u32_e64 v7, v7, 4 clamp
	s_delay_alu instid0(VALU_DEP_1) | instskip(SKIP_1) | instid1(VALU_DEP_2)
	v_lshlrev_b32_e32 v8, v7, v6
	v_lshlrev_b32_e32 v7, 23, v7
	v_lshrrev_b32_e32 v8, 4, v8
	s_delay_alu instid0(VALU_DEP_1) | instskip(SKIP_1) | instid1(VALU_DEP_2)
	v_sub_nc_u32_e32 v7, v8, v7
	v_ashrrev_i32_e32 v8, 8, v9
	v_add_nc_u32_e32 v7, 0x3c000000, v7
	s_delay_alu instid0(VALU_DEP_1) | instskip(NEXT) | instid1(VALU_DEP_1)
	v_and_or_b32 v7, 0x7f800000, v8, v7
	v_cndmask_b32_e32 v6, 0, v7, vcc_lo
	s_delay_alu instid0(VALU_DEP_1)
	v_and_or_b32 v3, 0x80000000, v3, v6
.LBB329_195:
	s_mov_b32 s2, 0
.LBB329_196:
	s_delay_alu instid0(SALU_CYCLE_1)
	s_and_not1_b32 vcc_lo, exec_lo, s2
	s_cbranch_vccnz .LBB329_198
; %bb.197:
	global_load_u8 v3, v[1:2], off
	s_waitcnt vmcnt(0)
	v_lshlrev_b32_e32 v6, 25, v3
	v_lshlrev_b16 v3, 8, v3
	s_delay_alu instid0(VALU_DEP_2) | instskip(NEXT) | instid1(VALU_DEP_2)
	v_lshrrev_b32_e32 v7, 4, v6
	v_and_or_b32 v8, 0x7f00, v3, 0.5
	v_cmp_gt_u32_e32 vcc_lo, 0x8000000, v6
	v_bfe_i32 v3, v3, 0, 16
	s_delay_alu instid0(VALU_DEP_4) | instskip(NEXT) | instid1(VALU_DEP_1)
	v_or_b32_e32 v7, 0x70000000, v7
	v_dual_add_f32 v8, -0.5, v8 :: v_dual_mul_f32 v7, 0x7800000, v7
	s_delay_alu instid0(VALU_DEP_1) | instskip(NEXT) | instid1(VALU_DEP_1)
	v_cndmask_b32_e32 v6, v7, v8, vcc_lo
	v_and_or_b32 v3, 0x80000000, v3, v6
.LBB329_198:
	s_mov_b32 s24, 0
	s_mov_b32 s2, -1
.LBB329_199:
	s_and_not1_b32 vcc_lo, exec_lo, s24
	s_cbranch_vccnz .LBB329_212
; %bb.200:
	v_cmp_lt_i16_e32 vcc_lo, 14, v4
	s_cbranch_vccz .LBB329_203
; %bb.201:
	v_cmp_eq_u16_e32 vcc_lo, 15, v4
	s_cbranch_vccz .LBB329_206
; %bb.202:
	global_load_u16 v3, v[1:2], off
	s_mov_b32 s2, -1
	s_mov_b32 s3, 0
	s_waitcnt vmcnt(0)
	v_lshlrev_b32_e32 v3, 16, v3
	s_branch .LBB329_207
.LBB329_203:
	s_mov_b32 s24, -1
                                        ; implicit-def: $vgpr3
	s_branch .LBB329_208
.LBB329_204:
	s_or_saveexec_b32 s25, s25
	v_mov_b32_e32 v3, s24
	s_xor_b32 exec_lo, exec_lo, s25
	s_cbranch_execz .LBB329_185
.LBB329_205:
	v_cmp_ne_u16_e32 vcc_lo, 0, v6
	v_mov_b32_e32 v3, 0
	s_and_not1_b32 s2, s2, exec_lo
	s_and_b32 s24, vcc_lo, exec_lo
	s_delay_alu instid0(SALU_CYCLE_1)
	s_or_b32 s2, s2, s24
	s_or_b32 exec_lo, exec_lo, s25
	s_and_saveexec_b32 s24, s2
	s_cbranch_execnz .LBB329_186
	s_branch .LBB329_187
.LBB329_206:
	s_mov_b32 s3, -1
                                        ; implicit-def: $vgpr3
.LBB329_207:
	s_mov_b32 s24, 0
.LBB329_208:
	s_delay_alu instid0(SALU_CYCLE_1)
	s_and_b32 vcc_lo, exec_lo, s24
	s_cbranch_vccz .LBB329_212
; %bb.209:
	v_cmp_eq_u16_e32 vcc_lo, 11, v4
	s_cbranch_vccz .LBB329_211
; %bb.210:
	global_load_u8 v3, v[1:2], off
	s_mov_b32 s3, 0
	s_mov_b32 s2, -1
	s_waitcnt vmcnt(0)
	v_cmp_ne_u16_e32 vcc_lo, 0, v3
	v_cndmask_b32_e64 v3, 0, 1.0, vcc_lo
	s_branch .LBB329_212
.LBB329_211:
	s_mov_b32 s3, -1
                                        ; implicit-def: $vgpr3
.LBB329_212:
	s_branch .LBB329_23
.LBB329_213:
	v_cmp_gt_i16_e32 vcc_lo, 5, v4
	s_cbranch_vccnz .LBB329_218
; %bb.214:
	v_cmp_gt_i16_e32 vcc_lo, 8, v4
	s_cbranch_vccnz .LBB329_219
; %bb.215:
	;; [unrolled: 3-line block ×3, first 2 shown]
	v_cmp_lt_i16_e32 vcc_lo, 9, v4
	s_cbranch_vccz .LBB329_221
; %bb.217:
	global_load_b64 v[6:7], v[1:2], off
	s_mov_b32 s2, 0
	s_waitcnt vmcnt(0)
	v_cvt_f32_f64_e32 v3, v[6:7]
	s_branch .LBB329_222
.LBB329_218:
                                        ; implicit-def: $vgpr3
	s_branch .LBB329_240
.LBB329_219:
	s_mov_b32 s2, -1
                                        ; implicit-def: $vgpr3
	s_branch .LBB329_228
.LBB329_220:
	s_mov_b32 s2, -1
                                        ; implicit-def: $vgpr3
	s_branch .LBB329_225
.LBB329_221:
	s_mov_b32 s2, -1
                                        ; implicit-def: $vgpr3
.LBB329_222:
	s_delay_alu instid0(SALU_CYCLE_1)
	s_and_not1_b32 vcc_lo, exec_lo, s2
	s_cbranch_vccnz .LBB329_224
; %bb.223:
	global_load_b32 v3, v[1:2], off
.LBB329_224:
	s_mov_b32 s2, 0
.LBB329_225:
	s_delay_alu instid0(SALU_CYCLE_1)
	s_and_not1_b32 vcc_lo, exec_lo, s2
	s_cbranch_vccnz .LBB329_227
; %bb.226:
	global_load_b32 v3, v[1:2], off
	s_waitcnt vmcnt(0)
	v_cvt_f32_f16_e32 v3, v3
.LBB329_227:
	s_mov_b32 s2, 0
.LBB329_228:
	s_delay_alu instid0(SALU_CYCLE_1)
	s_and_not1_b32 vcc_lo, exec_lo, s2
	s_cbranch_vccnz .LBB329_239
; %bb.229:
	v_cmp_gt_i16_e32 vcc_lo, 6, v4
	s_cbranch_vccnz .LBB329_232
; %bb.230:
	v_cmp_lt_i16_e32 vcc_lo, 6, v4
	s_cbranch_vccz .LBB329_233
; %bb.231:
	global_load_b64 v[6:7], v[1:2], off
	s_mov_b32 s2, 0
	s_waitcnt vmcnt(0)
	v_cvt_f32_f64_e32 v3, v[6:7]
	s_branch .LBB329_234
.LBB329_232:
	s_mov_b32 s2, -1
                                        ; implicit-def: $vgpr3
	s_branch .LBB329_237
.LBB329_233:
	s_mov_b32 s2, -1
                                        ; implicit-def: $vgpr3
.LBB329_234:
	s_delay_alu instid0(SALU_CYCLE_1)
	s_and_not1_b32 vcc_lo, exec_lo, s2
	s_cbranch_vccnz .LBB329_236
; %bb.235:
	global_load_b32 v3, v[1:2], off
.LBB329_236:
	s_mov_b32 s2, 0
.LBB329_237:
	s_delay_alu instid0(SALU_CYCLE_1)
	s_and_not1_b32 vcc_lo, exec_lo, s2
	s_cbranch_vccnz .LBB329_239
; %bb.238:
	global_load_u16 v3, v[1:2], off
	s_waitcnt vmcnt(0)
	v_cvt_f32_f16_e32 v3, v3
.LBB329_239:
	s_cbranch_execnz .LBB329_259
.LBB329_240:
	v_cmp_gt_i16_e32 vcc_lo, 2, v4
	s_cbranch_vccnz .LBB329_244
; %bb.241:
	v_cmp_gt_i16_e32 vcc_lo, 3, v4
	s_cbranch_vccnz .LBB329_245
; %bb.242:
	v_cmp_lt_i16_e32 vcc_lo, 3, v4
	s_cbranch_vccz .LBB329_246
; %bb.243:
	global_load_b64 v[6:7], v[1:2], off
	s_mov_b32 s2, 0
	s_waitcnt vmcnt(0)
	v_xor_b32_e32 v3, v6, v7
	v_cls_i32_e32 v8, v7
	s_delay_alu instid0(VALU_DEP_2) | instskip(NEXT) | instid1(VALU_DEP_2)
	v_ashrrev_i32_e32 v3, 31, v3
	v_add_nc_u32_e32 v8, -1, v8
	s_delay_alu instid0(VALU_DEP_2) | instskip(NEXT) | instid1(VALU_DEP_1)
	v_add_nc_u32_e32 v3, 32, v3
	v_min_u32_e32 v3, v8, v3
	s_delay_alu instid0(VALU_DEP_1) | instskip(SKIP_1) | instid1(VALU_DEP_2)
	v_lshlrev_b64 v[6:7], v3, v[6:7]
	v_sub_nc_u32_e32 v3, 32, v3
	v_min_u32_e32 v6, 1, v6
	s_delay_alu instid0(VALU_DEP_1) | instskip(NEXT) | instid1(VALU_DEP_1)
	v_or_b32_e32 v6, v7, v6
	v_cvt_f32_i32_e32 v6, v6
	s_delay_alu instid0(VALU_DEP_1)
	v_ldexp_f32 v3, v6, v3
	s_branch .LBB329_247
.LBB329_244:
	s_mov_b32 s2, -1
                                        ; implicit-def: $vgpr3
	s_branch .LBB329_253
.LBB329_245:
	s_mov_b32 s2, -1
                                        ; implicit-def: $vgpr3
	s_branch .LBB329_250
.LBB329_246:
	s_mov_b32 s2, -1
                                        ; implicit-def: $vgpr3
.LBB329_247:
	s_delay_alu instid0(SALU_CYCLE_1)
	s_and_not1_b32 vcc_lo, exec_lo, s2
	s_cbranch_vccnz .LBB329_249
; %bb.248:
	global_load_b32 v3, v[1:2], off
	s_waitcnt vmcnt(0)
	v_cvt_f32_i32_e32 v3, v3
.LBB329_249:
	s_mov_b32 s2, 0
.LBB329_250:
	s_delay_alu instid0(SALU_CYCLE_1)
	s_and_not1_b32 vcc_lo, exec_lo, s2
	s_cbranch_vccnz .LBB329_252
; %bb.251:
	global_load_i16 v3, v[1:2], off
	s_waitcnt vmcnt(0)
	v_cvt_f32_i32_e32 v3, v3
.LBB329_252:
	s_mov_b32 s2, 0
.LBB329_253:
	s_delay_alu instid0(SALU_CYCLE_1)
	s_and_not1_b32 vcc_lo, exec_lo, s2
	s_cbranch_vccnz .LBB329_259
; %bb.254:
	v_cmp_lt_i16_e32 vcc_lo, 0, v4
	s_mov_b32 s2, 0
	s_cbranch_vccz .LBB329_256
; %bb.255:
	global_load_i8 v3, v[1:2], off
	s_waitcnt vmcnt(0)
	v_cvt_f32_i32_e32 v3, v3
	s_branch .LBB329_257
.LBB329_256:
	s_mov_b32 s2, -1
                                        ; implicit-def: $vgpr3
.LBB329_257:
	s_delay_alu instid0(SALU_CYCLE_1)
	s_and_not1_b32 vcc_lo, exec_lo, s2
	s_cbranch_vccnz .LBB329_259
; %bb.258:
	global_load_u8 v1, v[1:2], off
	s_waitcnt vmcnt(0)
	v_cvt_f32_ubyte0_e32 v3, v1
.LBB329_259:
	s_branch .LBB329_24
.LBB329_260:
	s_mov_b32 s24, 0
.LBB329_261:
	s_mov_b32 s2, 0
                                        ; implicit-def: $vgpr5
.LBB329_262:
	s_and_b32 s37, s24, exec_lo
	s_and_b32 s38, s3, exec_lo
	s_or_not1_b32 s3, s2, exec_lo
.LBB329_263:
	s_or_b32 exec_lo, exec_lo, s39
	s_mov_b32 s24, 0
	s_mov_b32 s2, 0
                                        ; implicit-def: $vgpr1_vgpr2
                                        ; implicit-def: $vgpr0
                                        ; implicit-def: $vgpr6
	s_and_saveexec_b32 s39, s3
	s_cbranch_execz .LBB329_906
; %bb.264:
	s_mov_b32 s2, -1
	s_mov_b32 s40, s38
	s_mov_b32 s41, s37
	s_mov_b32 s42, exec_lo
	v_cmpx_gt_i32_e64 s34, v5
	s_cbranch_execz .LBB329_533
; %bb.265:
	s_and_not1_b32 vcc_lo, exec_lo, s29
	s_cbranch_vccnz .LBB329_270
; %bb.266:
	v_dual_mov_b32 v0, 0 :: v_dual_mov_b32 v1, 0
	s_and_not1_b32 vcc_lo, exec_lo, s36
	s_mov_b32 s40, 0
	s_cbranch_vccnz .LBB329_275
; %bb.267:
	v_mov_b32_e32 v0, 0
	s_add_i32 s43, s35, 1
	s_cmp_eq_u32 s27, 2
	s_mov_b32 s41, 0
	s_cbranch_scc1 .LBB329_271
; %bb.268:
	v_dual_mov_b32 v1, 0 :: v_dual_mov_b32 v0, 0
	v_mov_b32_e32 v2, v5
	s_and_b32 s41, s43, 28
	s_mov_b32 s44, 0
	s_mov_b64 s[2:3], s[22:23]
	s_mov_b64 s[24:25], s[16:17]
.LBB329_269:                            ; =>This Inner Loop Header: Depth=1
	s_clause 0x1
	s_load_b256 s[48:55], s[24:25], 0x4
	s_load_b128 s[64:67], s[24:25], 0x24
	s_load_b256 s[56:63], s[2:3], 0x0
	s_add_u32 s24, s24, 48
	s_addc_u32 s25, s25, 0
	s_add_i32 s44, s44, 4
	s_add_u32 s2, s2, 32
	s_addc_u32 s3, s3, 0
	s_cmp_eq_u32 s41, s44
	s_waitcnt vmcnt(0) lgkmcnt(0)
	v_mul_hi_u32 v3, s49, v2
	s_delay_alu instid0(VALU_DEP_1) | instskip(NEXT) | instid1(VALU_DEP_1)
	v_add_nc_u32_e32 v3, v2, v3
	v_lshrrev_b32_e32 v3, s50, v3
	s_delay_alu instid0(VALU_DEP_1) | instskip(SKIP_1) | instid1(VALU_DEP_2)
	v_mul_hi_u32 v6, s52, v3
	v_mul_lo_u32 v8, v3, s48
	v_add_nc_u32_e32 v6, v3, v6
	s_delay_alu instid0(VALU_DEP_2) | instskip(NEXT) | instid1(VALU_DEP_2)
	v_sub_nc_u32_e32 v2, v2, v8
	v_lshrrev_b32_e32 v6, s53, v6
	s_delay_alu instid0(VALU_DEP_2) | instskip(SKIP_1) | instid1(VALU_DEP_3)
	v_mul_lo_u32 v8, v2, s56
	v_mul_lo_u32 v10, v2, s57
	v_mul_hi_u32 v7, s55, v6
	s_delay_alu instid0(VALU_DEP_1) | instskip(NEXT) | instid1(VALU_DEP_1)
	v_add_nc_u32_e32 v7, v6, v7
	v_lshrrev_b32_e32 v7, s64, v7
	s_delay_alu instid0(VALU_DEP_1) | instskip(SKIP_1) | instid1(VALU_DEP_2)
	v_mul_hi_u32 v9, s66, v7
	v_mul_lo_u32 v11, v7, s54
	v_add_nc_u32_e32 v2, v7, v9
	v_mul_lo_u32 v9, v6, s51
	s_delay_alu instid0(VALU_DEP_3) | instskip(NEXT) | instid1(VALU_DEP_3)
	v_sub_nc_u32_e32 v6, v6, v11
	v_lshrrev_b32_e32 v2, s67, v2
	s_delay_alu instid0(VALU_DEP_2) | instskip(SKIP_2) | instid1(VALU_DEP_4)
	v_mul_lo_u32 v11, v6, s60
	v_mul_lo_u32 v6, v6, s61
	v_sub_nc_u32_e32 v3, v3, v9
	v_mul_lo_u32 v12, v2, s65
	s_delay_alu instid0(VALU_DEP_2) | instskip(SKIP_1) | instid1(VALU_DEP_3)
	v_mul_lo_u32 v9, v3, s58
	v_mul_lo_u32 v3, v3, s59
	v_sub_nc_u32_e32 v7, v7, v12
	s_delay_alu instid0(VALU_DEP_3) | instskip(NEXT) | instid1(VALU_DEP_2)
	v_add3_u32 v0, v8, v0, v9
	v_mul_lo_u32 v12, v7, s62
	v_mul_lo_u32 v7, v7, s63
	v_add3_u32 v1, v10, v1, v3
	s_delay_alu instid0(VALU_DEP_3) | instskip(NEXT) | instid1(VALU_DEP_2)
	v_add3_u32 v0, v11, v0, v12
	v_add3_u32 v1, v6, v1, v7
	s_cbranch_scc0 .LBB329_269
	s_branch .LBB329_272
.LBB329_270:
	s_mov_b32 s40, -1
                                        ; implicit-def: $vgpr0
                                        ; implicit-def: $vgpr1
	s_branch .LBB329_275
.LBB329_271:
	v_dual_mov_b32 v2, v5 :: v_dual_mov_b32 v1, 0
.LBB329_272:
	s_and_b32 s43, s43, 3
	s_delay_alu instid0(SALU_CYCLE_1)
	s_cmp_eq_u32 s43, 0
	s_cbranch_scc1 .LBB329_275
; %bb.273:
	s_lshl_b32 s2, s41, 3
	s_mul_i32 s24, s41, 12
	s_add_u32 s2, s2, s16
	s_addc_u32 s3, s17, 0
	s_add_u32 s2, s2, 0xc4
	s_addc_u32 s3, s3, 0
	;; [unrolled: 2-line block ×3, first 2 shown]
	.p2align	6
.LBB329_274:                            ; =>This Inner Loop Header: Depth=1
	s_clause 0x1
	s_load_b64 s[44:45], s[24:25], 0x4
	s_load_b32 s41, s[24:25], 0xc
	s_load_b64 s[46:47], s[2:3], 0x0
	s_add_u32 s24, s24, 12
	s_addc_u32 s25, s25, 0
	s_add_u32 s2, s2, 8
	s_addc_u32 s3, s3, 0
	s_add_i32 s43, s43, -1
	s_delay_alu instid0(SALU_CYCLE_1) | instskip(SKIP_2) | instid1(VALU_DEP_1)
	s_cmp_lg_u32 s43, 0
	s_waitcnt vmcnt(0) lgkmcnt(0)
	v_mul_hi_u32 v3, s45, v2
	v_add_nc_u32_e32 v3, v2, v3
	s_delay_alu instid0(VALU_DEP_1) | instskip(NEXT) | instid1(VALU_DEP_1)
	v_lshrrev_b32_e32 v3, s41, v3
	v_mul_lo_u32 v6, v3, s44
	s_delay_alu instid0(VALU_DEP_1) | instskip(NEXT) | instid1(VALU_DEP_1)
	v_sub_nc_u32_e32 v2, v2, v6
	v_mad_u64_u32 v[6:7], null, v2, s46, v[0:1]
	v_mad_u64_u32 v[7:8], null, v2, s47, v[1:2]
	v_mov_b32_e32 v2, v3
	s_delay_alu instid0(VALU_DEP_2)
	v_dual_mov_b32 v0, v6 :: v_dual_mov_b32 v1, v7
	s_cbranch_scc1 .LBB329_274
.LBB329_275:
	s_and_not1_b32 vcc_lo, exec_lo, s40
	s_cbranch_vccnz .LBB329_278
; %bb.276:
	v_mul_hi_u32 v0, s13, v5
	s_and_not1_b32 vcc_lo, exec_lo, s33
	s_delay_alu instid0(VALU_DEP_1) | instskip(NEXT) | instid1(VALU_DEP_1)
	v_add_nc_u32_e32 v0, v5, v0
	v_lshrrev_b32_e32 v2, s14, v0
	s_delay_alu instid0(VALU_DEP_1) | instskip(NEXT) | instid1(VALU_DEP_1)
	v_mul_lo_u32 v0, v2, s12
	v_sub_nc_u32_e32 v1, v5, v0
	s_delay_alu instid0(VALU_DEP_1)
	v_mul_lo_u32 v0, v1, s8
	v_mul_lo_u32 v1, v1, s9
	s_cbranch_vccnz .LBB329_278
; %bb.277:
	s_waitcnt vmcnt(0)
	v_mul_hi_u32 v3, s20, v2
	s_delay_alu instid0(VALU_DEP_1) | instskip(NEXT) | instid1(VALU_DEP_1)
	v_add_nc_u32_e32 v3, v2, v3
	v_lshrrev_b32_e32 v3, s21, v3
	s_delay_alu instid0(VALU_DEP_1) | instskip(NEXT) | instid1(VALU_DEP_1)
	v_mul_lo_u32 v3, v3, s15
	v_sub_nc_u32_e32 v8, v2, v3
	s_delay_alu instid0(VALU_DEP_1) | instskip(NEXT) | instid1(VALU_DEP_1)
	v_mad_u64_u32 v[2:3], null, v8, s10, v[0:1]
	v_mad_u64_u32 v[6:7], null, v8, s11, v[1:2]
	v_mov_b32_e32 v0, v2
	s_delay_alu instid0(VALU_DEP_2)
	v_mov_b32_e32 v1, v6
.LBB329_278:
	v_cmp_gt_i16_e32 vcc_lo, 11, v4
	s_delay_alu instid0(VALU_DEP_2) | instskip(NEXT) | instid1(VALU_DEP_1)
	v_add_co_u32 v1, s2, s6, v1
	v_add_co_ci_u32_e64 v2, null, s7, 0, s2
	s_mov_b32 s2, 0
	s_cbranch_vccnz .LBB329_285
; %bb.279:
	v_cmp_lt_i16_e32 vcc_lo, 25, v4
	s_cbranch_vccz .LBB329_334
; %bb.280:
	v_cmp_lt_i16_e32 vcc_lo, 28, v4
	s_cbranch_vccz .LBB329_335
	;; [unrolled: 3-line block ×4, first 2 shown]
; %bb.283:
	v_cmp_eq_u16_e32 vcc_lo, 46, v4
	s_mov_b32 s24, 0
	s_cbranch_vccz .LBB329_343
; %bb.284:
	global_load_b32 v3, v[1:2], off
	s_mov_b32 s2, -1
	s_mov_b32 s3, 0
	s_waitcnt vmcnt(0)
	v_lshlrev_b32_e32 v3, 16, v3
	s_branch .LBB329_345
.LBB329_285:
	s_mov_b32 s3, s38
                                        ; implicit-def: $vgpr3
	s_cbranch_execnz .LBB329_482
.LBB329_286:
	s_and_not1_b32 vcc_lo, exec_lo, s2
	s_cbranch_vccnz .LBB329_530
.LBB329_287:
	v_max_f32_e64 v1, s18, s18
	s_waitcnt vmcnt(0)
	s_delay_alu instid0(VALU_DEP_2)
	v_max_f32_e32 v2, v3, v3
	v_max_f32_e64 v7, s19, s19
	v_and_b32_e64 v6, 0xff, s31
	v_cmp_u_f32_e64 s2, v3, v3
	s_mov_b32 s24, 0
	s_mov_b32 s25, -1
	v_maxmin_f32 v1, v2, v1, v7
	v_cmp_gt_i16_e32 vcc_lo, 11, v6
	s_delay_alu instid0(VALU_DEP_2) | instskip(SKIP_1) | instid1(VALU_DEP_1)
	v_cndmask_b32_e64 v2, v1, v3, s2
	v_add_co_u32 v0, s2, s4, v0
	v_add_co_ci_u32_e64 v1, null, s5, 0, s2
	s_mov_b32 s2, s37
	s_cbranch_vccnz .LBB329_294
; %bb.288:
	v_cmp_lt_i16_e32 vcc_lo, 25, v6
	s_cbranch_vccz .LBB329_336
; %bb.289:
	v_cmp_lt_i16_e32 vcc_lo, 28, v6
	s_cbranch_vccz .LBB329_338
; %bb.290:
	v_cmp_lt_i16_e32 vcc_lo, 43, v6
	s_cbranch_vccz .LBB329_340
; %bb.291:
	v_cmp_lt_i16_e32 vcc_lo, 45, v6
	s_cbranch_vccz .LBB329_348
; %bb.292:
	v_cmp_eq_u16_e32 vcc_lo, 46, v6
	s_mov_b32 s25, 0
	s_mov_b32 s2, -1
	s_cbranch_vccz .LBB329_349
; %bb.293:
	v_bfe_u32 v3, v2, 16, 1
	v_cmp_o_f32_e32 vcc_lo, v2, v2
	s_mov_b32 s24, -1
	s_mov_b32 s2, 0
	s_delay_alu instid0(VALU_DEP_2) | instskip(NEXT) | instid1(VALU_DEP_1)
	v_add3_u32 v3, v2, v3, 0x7fff
	v_lshrrev_b32_e32 v3, 16, v3
	s_delay_alu instid0(VALU_DEP_1)
	v_cndmask_b32_e32 v3, 0x7fc0, v3, vcc_lo
	global_store_b32 v[0:1], v3, off
	s_branch .LBB329_349
.LBB329_294:
	s_and_b32 vcc_lo, exec_lo, s25
	s_cbranch_vccz .LBB329_418
; %bb.295:
	v_cmp_gt_i16_e32 vcc_lo, 5, v6
	s_mov_b32 s24, -1
	s_cbranch_vccnz .LBB329_316
; %bb.296:
	v_cmp_gt_i16_e32 vcc_lo, 8, v6
	s_cbranch_vccnz .LBB329_306
; %bb.297:
	v_cmp_gt_i16_e32 vcc_lo, 9, v6
	s_cbranch_vccnz .LBB329_303
; %bb.298:
	v_cmp_lt_i16_e32 vcc_lo, 9, v6
	s_cbranch_vccz .LBB329_300
; %bb.299:
	v_cvt_f64_f32_e32 v[7:8], v2
	v_mov_b32_e32 v9, 0
	s_mov_b32 s24, 0
	s_delay_alu instid0(VALU_DEP_1)
	v_mov_b32_e32 v10, v9
	global_store_b128 v[0:1], v[7:10], off
.LBB329_300:
	s_and_not1_b32 vcc_lo, exec_lo, s24
	s_cbranch_vccnz .LBB329_302
; %bb.301:
	v_mov_b32_e32 v3, 0
	global_store_b64 v[0:1], v[2:3], off
.LBB329_302:
	s_mov_b32 s24, 0
.LBB329_303:
	s_delay_alu instid0(SALU_CYCLE_1)
	s_and_not1_b32 vcc_lo, exec_lo, s24
	s_cbranch_vccnz .LBB329_305
; %bb.304:
	v_cvt_f16_f32_e32 v3, v2
	s_delay_alu instid0(VALU_DEP_1)
	v_and_b32_e32 v3, 0xffff, v3
	global_store_b32 v[0:1], v3, off
.LBB329_305:
	s_mov_b32 s24, 0
.LBB329_306:
	s_delay_alu instid0(SALU_CYCLE_1)
	s_and_not1_b32 vcc_lo, exec_lo, s24
	s_cbranch_vccnz .LBB329_315
; %bb.307:
	v_cmp_gt_i16_e32 vcc_lo, 6, v6
	s_mov_b32 s24, -1
	s_cbranch_vccnz .LBB329_313
; %bb.308:
	v_cmp_lt_i16_e32 vcc_lo, 6, v6
	s_cbranch_vccz .LBB329_310
; %bb.309:
	v_cvt_f64_f32_e32 v[7:8], v2
	s_mov_b32 s24, 0
	global_store_b64 v[0:1], v[7:8], off
.LBB329_310:
	s_and_not1_b32 vcc_lo, exec_lo, s24
	s_cbranch_vccnz .LBB329_312
; %bb.311:
	global_store_b32 v[0:1], v2, off
.LBB329_312:
	s_mov_b32 s24, 0
.LBB329_313:
	s_delay_alu instid0(SALU_CYCLE_1)
	s_and_not1_b32 vcc_lo, exec_lo, s24
	s_cbranch_vccnz .LBB329_315
; %bb.314:
	v_cvt_f16_f32_e32 v3, v2
	global_store_b16 v[0:1], v3, off
.LBB329_315:
	s_mov_b32 s24, 0
.LBB329_316:
	s_delay_alu instid0(SALU_CYCLE_1)
	s_and_not1_b32 vcc_lo, exec_lo, s24
	s_cbranch_vccnz .LBB329_332
; %bb.317:
	v_cmp_gt_i16_e32 vcc_lo, 2, v6
	s_mov_b32 s24, -1
	s_cbranch_vccnz .LBB329_327
; %bb.318:
	v_cmp_gt_i16_e32 vcc_lo, 3, v6
	s_cbranch_vccnz .LBB329_324
; %bb.319:
	v_cmp_lt_i16_e32 vcc_lo, 3, v6
	s_cbranch_vccz .LBB329_321
; %bb.320:
	v_trunc_f32_e32 v3, v2
	s_mov_b32 s24, 0
	s_delay_alu instid0(VALU_DEP_1) | instskip(NEXT) | instid1(VALU_DEP_1)
	v_mul_f32_e64 v7, 0x2f800000, |v3|
	v_floor_f32_e32 v7, v7
	s_delay_alu instid0(VALU_DEP_1) | instskip(SKIP_2) | instid1(VALU_DEP_3)
	v_fma_f32 v8, 0xcf800000, v7, |v3|
	v_ashrrev_i32_e32 v3, 31, v3
	v_cvt_u32_f32_e32 v7, v7
	v_cvt_u32_f32_e32 v8, v8
	s_delay_alu instid0(VALU_DEP_2) | instskip(NEXT) | instid1(VALU_DEP_2)
	v_xor_b32_e32 v9, v7, v3
	v_xor_b32_e32 v8, v8, v3
	s_delay_alu instid0(VALU_DEP_1) | instskip(NEXT) | instid1(VALU_DEP_3)
	v_sub_co_u32 v7, vcc_lo, v8, v3
	v_sub_co_ci_u32_e32 v8, vcc_lo, v9, v3, vcc_lo
	global_store_b64 v[0:1], v[7:8], off
.LBB329_321:
	s_and_not1_b32 vcc_lo, exec_lo, s24
	s_cbranch_vccnz .LBB329_323
; %bb.322:
	v_cvt_i32_f32_e32 v3, v2
	global_store_b32 v[0:1], v3, off
.LBB329_323:
	s_mov_b32 s24, 0
.LBB329_324:
	s_delay_alu instid0(SALU_CYCLE_1)
	s_and_not1_b32 vcc_lo, exec_lo, s24
	s_cbranch_vccnz .LBB329_326
; %bb.325:
	v_cvt_i32_f32_e32 v3, v2
	global_store_b16 v[0:1], v3, off
.LBB329_326:
	s_mov_b32 s24, 0
.LBB329_327:
	s_delay_alu instid0(SALU_CYCLE_1)
	s_and_not1_b32 vcc_lo, exec_lo, s24
	s_cbranch_vccnz .LBB329_332
; %bb.328:
	v_cmp_lt_i16_e32 vcc_lo, 0, v6
	s_mov_b32 s24, -1
	s_cbranch_vccz .LBB329_330
; %bb.329:
	v_cvt_i32_f32_e32 v3, v2
	s_mov_b32 s24, 0
	global_store_b8 v[0:1], v3, off
.LBB329_330:
	s_and_not1_b32 vcc_lo, exec_lo, s24
	s_cbranch_vccnz .LBB329_332
; %bb.331:
	v_trunc_f32_e32 v2, v2
	s_delay_alu instid0(VALU_DEP_1) | instskip(NEXT) | instid1(VALU_DEP_1)
	v_mul_f32_e64 v3, 0x2f800000, |v2|
	v_floor_f32_e32 v3, v3
	s_delay_alu instid0(VALU_DEP_1) | instskip(SKIP_1) | instid1(VALU_DEP_2)
	v_fma_f32 v3, 0xcf800000, v3, |v2|
	v_ashrrev_i32_e32 v2, 31, v2
	v_cvt_u32_f32_e32 v3, v3
	s_delay_alu instid0(VALU_DEP_1) | instskip(NEXT) | instid1(VALU_DEP_1)
	v_xor_b32_e32 v3, v3, v2
	v_sub_nc_u32_e32 v2, v3, v2
	global_store_b8 v[0:1], v2, off
.LBB329_332:
	s_branch .LBB329_419
.LBB329_333:
	s_mov_b32 s24, 0
	s_branch .LBB329_531
.LBB329_334:
	s_mov_b32 s24, -1
	s_mov_b32 s3, s38
                                        ; implicit-def: $vgpr3
	s_branch .LBB329_446
.LBB329_335:
	s_mov_b32 s24, -1
	s_mov_b32 s3, s38
                                        ; implicit-def: $vgpr3
	s_branch .LBB329_427
.LBB329_336:
	s_mov_b32 s2, s37
	s_branch .LBB329_376
.LBB329_337:
	s_mov_b32 s24, -1
	s_mov_b32 s3, s38
                                        ; implicit-def: $vgpr3
	s_branch .LBB329_422
.LBB329_338:
	s_mov_b32 s2, s37
	s_branch .LBB329_359
.LBB329_339:
	s_mov_b32 s24, -1
	s_mov_b32 s3, s38
	s_branch .LBB329_344
.LBB329_340:
	s_mov_b32 s2, s37
	s_branch .LBB329_355
.LBB329_341:
	s_or_saveexec_b32 s37, s37
                                        ; implicit-def: $sgpr38
	s_delay_alu instid0(SALU_CYCLE_1)
	s_xor_b32 exec_lo, exec_lo, s37
	s_cbranch_execz .LBB329_65
.LBB329_342:
	v_add_f32_e64 v3, 0x42800000, |v2|
	s_and_not1_b32 s25, s25, exec_lo
	s_mov_b32 s38, 0
	s_delay_alu instid0(VALU_DEP_1) | instskip(NEXT) | instid1(VALU_DEP_1)
	v_and_b32_e32 v3, 0xff, v3
	v_cmp_ne_u32_e32 vcc_lo, 0, v3
	s_and_b32 s41, vcc_lo, exec_lo
	s_delay_alu instid0(SALU_CYCLE_1)
	s_or_b32 s25, s25, s41
	s_or_b32 exec_lo, exec_lo, s37
	v_mov_b32_e32 v7, s38
	s_and_saveexec_b32 s37, s25
	s_cbranch_execnz .LBB329_66
	s_branch .LBB329_67
.LBB329_343:
	s_mov_b32 s3, -1
.LBB329_344:
                                        ; implicit-def: $vgpr3
.LBB329_345:
	s_and_b32 vcc_lo, exec_lo, s24
	s_cbranch_vccz .LBB329_421
; %bb.346:
	v_cmp_eq_u16_e32 vcc_lo, 44, v4
	s_cbranch_vccz .LBB329_420
; %bb.347:
	global_load_u8 v3, v[1:2], off
	s_mov_b32 s3, 0
	s_mov_b32 s2, -1
	s_waitcnt vmcnt(0)
	v_lshlrev_b32_e32 v6, 23, v3
	v_cmp_ne_u32_e32 vcc_lo, 0xff, v3
	s_delay_alu instid0(VALU_DEP_2) | instskip(SKIP_1) | instid1(VALU_DEP_2)
	v_cndmask_b32_e32 v6, 0x7f800001, v6, vcc_lo
	v_cmp_ne_u32_e32 vcc_lo, 0, v3
	v_cndmask_b32_e32 v3, 0x400000, v6, vcc_lo
	s_branch .LBB329_421
.LBB329_348:
	s_mov_b32 s2, s37
.LBB329_349:
	s_and_b32 vcc_lo, exec_lo, s25
	s_cbranch_vccz .LBB329_354
; %bb.350:
	v_cmp_eq_u16_e32 vcc_lo, 44, v6
	s_mov_b32 s2, -1
	s_cbranch_vccz .LBB329_354
; %bb.351:
	v_bfe_u32 v7, v2, 23, 8
	v_mov_b32_e32 v3, 0xff
	s_mov_b32 s24, exec_lo
	s_delay_alu instid0(VALU_DEP_2)
	v_cmpx_ne_u32_e32 0xff, v7
; %bb.352:
	v_and_b32_e32 v3, 0x400000, v2
	v_and_or_b32 v7, 0x3fffff, v2, v7
	s_delay_alu instid0(VALU_DEP_2) | instskip(NEXT) | instid1(VALU_DEP_2)
	v_cmp_ne_u32_e32 vcc_lo, 0, v3
	v_cmp_ne_u32_e64 s2, 0, v7
	v_lshrrev_b32_e32 v3, 23, v2
	s_delay_alu instid0(VALU_DEP_2) | instskip(NEXT) | instid1(SALU_CYCLE_1)
	s_and_b32 s2, vcc_lo, s2
	v_cndmask_b32_e64 v7, 0, 1, s2
	s_delay_alu instid0(VALU_DEP_1)
	v_add_nc_u32_e32 v3, v3, v7
; %bb.353:
	s_or_b32 exec_lo, exec_lo, s24
	s_mov_b32 s24, -1
	s_mov_b32 s2, 0
	global_store_b8 v[0:1], v3, off
.LBB329_354:
	s_mov_b32 s25, 0
.LBB329_355:
	s_delay_alu instid0(SALU_CYCLE_1)
	s_and_b32 vcc_lo, exec_lo, s25
	s_cbranch_vccz .LBB329_358
; %bb.356:
	v_cmp_eq_u16_e32 vcc_lo, 29, v6
	s_mov_b32 s2, -1
	s_cbranch_vccz .LBB329_358
; %bb.357:
	v_trunc_f32_e32 v3, v2
	s_mov_b32 s24, -1
	s_mov_b32 s2, 0
	s_mov_b32 s25, 0
	s_delay_alu instid0(VALU_DEP_1) | instskip(NEXT) | instid1(VALU_DEP_1)
	v_mul_f32_e32 v7, 0x2f800000, v3
	v_floor_f32_e32 v7, v7
	s_delay_alu instid0(VALU_DEP_1) | instskip(SKIP_1) | instid1(VALU_DEP_2)
	v_fmamk_f32 v3, v7, 0xcf800000, v3
	v_cvt_u32_f32_e32 v8, v7
	v_cvt_u32_f32_e32 v7, v3
	global_store_b64 v[0:1], v[7:8], off
	s_branch .LBB329_359
.LBB329_358:
	s_mov_b32 s25, 0
.LBB329_359:
	s_delay_alu instid0(SALU_CYCLE_1)
	s_and_b32 vcc_lo, exec_lo, s25
	s_cbranch_vccz .LBB329_375
; %bb.360:
	v_cmp_gt_i16_e32 vcc_lo, 27, v6
	s_mov_b32 s24, -1
	s_cbranch_vccnz .LBB329_366
; %bb.361:
	v_cmp_lt_i16_e32 vcc_lo, 27, v6
	s_cbranch_vccz .LBB329_363
; %bb.362:
	v_cvt_u32_f32_e32 v3, v2
	s_mov_b32 s24, 0
	global_store_b32 v[0:1], v3, off
.LBB329_363:
	s_and_not1_b32 vcc_lo, exec_lo, s24
	s_cbranch_vccnz .LBB329_365
; %bb.364:
	v_cvt_u32_f32_e32 v3, v2
	global_store_b16 v[0:1], v3, off
.LBB329_365:
	s_mov_b32 s24, 0
.LBB329_366:
	s_delay_alu instid0(SALU_CYCLE_1)
	s_and_not1_b32 vcc_lo, exec_lo, s24
	s_cbranch_vccnz .LBB329_374
; %bb.367:
	v_and_b32_e32 v3, 0x7fffffff, v2
	v_mov_b32_e32 v7, 0x80
	s_mov_b32 s24, exec_lo
	s_delay_alu instid0(VALU_DEP_2)
	v_cmpx_gt_u32_e32 0x43800000, v3
	s_cbranch_execz .LBB329_373
; %bb.368:
	v_cmp_lt_u32_e32 vcc_lo, 0x3bffffff, v3
	s_mov_b32 s25, 0
                                        ; implicit-def: $vgpr3
	s_and_saveexec_b32 s40, vcc_lo
	s_delay_alu instid0(SALU_CYCLE_1)
	s_xor_b32 s40, exec_lo, s40
	s_cbranch_execz .LBB329_559
; %bb.369:
	v_bfe_u32 v3, v2, 20, 1
	s_mov_b32 s25, exec_lo
	s_delay_alu instid0(VALU_DEP_1) | instskip(NEXT) | instid1(VALU_DEP_1)
	v_add3_u32 v3, v2, v3, 0x487ffff
	v_lshrrev_b32_e32 v3, 20, v3
	s_or_saveexec_b32 s40, s40
                                        ; implicit-def: $sgpr41
	s_delay_alu instid0(SALU_CYCLE_1)
	s_xor_b32 exec_lo, exec_lo, s40
	s_cbranch_execnz .LBB329_560
.LBB329_370:
	s_or_b32 exec_lo, exec_lo, s40
	v_mov_b32_e32 v7, s41
	s_and_saveexec_b32 s40, s25
.LBB329_371:
	v_lshrrev_b32_e32 v7, 24, v2
	s_delay_alu instid0(VALU_DEP_1)
	v_and_or_b32 v7, 0x80, v7, v3
.LBB329_372:
	s_or_b32 exec_lo, exec_lo, s40
.LBB329_373:
	s_delay_alu instid0(SALU_CYCLE_1)
	s_or_b32 exec_lo, exec_lo, s24
	global_store_b8 v[0:1], v7, off
.LBB329_374:
	s_mov_b32 s24, -1
.LBB329_375:
	s_mov_b32 s25, 0
.LBB329_376:
	s_delay_alu instid0(SALU_CYCLE_1)
	s_and_b32 vcc_lo, exec_lo, s25
	s_cbranch_vccz .LBB329_417
; %bb.377:
	v_cmp_lt_i16_e32 vcc_lo, 22, v6
	s_mov_b32 s25, -1
	s_cbranch_vccz .LBB329_409
; %bb.378:
	v_cmp_gt_i16_e32 vcc_lo, 24, v6
	s_mov_b32 s24, -1
	s_cbranch_vccnz .LBB329_398
; %bb.379:
	v_cmp_lt_i16_e32 vcc_lo, 24, v6
	s_cbranch_vccz .LBB329_387
; %bb.380:
	v_and_b32_e32 v3, 0x7fffffff, v2
	v_mov_b32_e32 v7, 0x80
	s_mov_b32 s24, exec_lo
	s_delay_alu instid0(VALU_DEP_2)
	v_cmpx_gt_u32_e32 0x47800000, v3
	s_cbranch_execz .LBB329_386
; %bb.381:
	v_cmp_lt_u32_e32 vcc_lo, 0x37ffffff, v3
	s_mov_b32 s25, 0
                                        ; implicit-def: $vgpr3
	s_and_saveexec_b32 s40, vcc_lo
	s_delay_alu instid0(SALU_CYCLE_1)
	s_xor_b32 s40, exec_lo, s40
	s_cbranch_execz .LBB329_562
; %bb.382:
	v_bfe_u32 v3, v2, 21, 1
	s_mov_b32 s25, exec_lo
	s_delay_alu instid0(VALU_DEP_1) | instskip(NEXT) | instid1(VALU_DEP_1)
	v_add3_u32 v3, v2, v3, 0x88fffff
	v_lshrrev_b32_e32 v3, 21, v3
	s_or_saveexec_b32 s40, s40
                                        ; implicit-def: $sgpr41
	s_delay_alu instid0(SALU_CYCLE_1)
	s_xor_b32 exec_lo, exec_lo, s40
	s_cbranch_execnz .LBB329_563
.LBB329_383:
	s_or_b32 exec_lo, exec_lo, s40
	v_mov_b32_e32 v7, s41
	s_and_saveexec_b32 s40, s25
.LBB329_384:
	v_lshrrev_b32_e32 v7, 24, v2
	s_delay_alu instid0(VALU_DEP_1)
	v_and_or_b32 v7, 0x80, v7, v3
.LBB329_385:
	s_or_b32 exec_lo, exec_lo, s40
.LBB329_386:
	s_delay_alu instid0(SALU_CYCLE_1)
	s_or_b32 exec_lo, exec_lo, s24
	s_mov_b32 s24, 0
	global_store_b8 v[0:1], v7, off
.LBB329_387:
	s_and_b32 vcc_lo, exec_lo, s24
	s_cbranch_vccz .LBB329_397
; %bb.388:
	v_and_b32_e32 v7, 0x7fffffff, v2
	s_mov_b32 s24, exec_lo
                                        ; implicit-def: $vgpr3
	s_delay_alu instid0(VALU_DEP_1)
	v_cmpx_gt_u32_e32 0x43f00000, v7
	s_xor_b32 s24, exec_lo, s24
	s_cbranch_execz .LBB329_394
; %bb.389:
	s_mov_b32 s25, exec_lo
                                        ; implicit-def: $vgpr3
	v_cmpx_lt_u32_e32 0x3c7fffff, v7
	s_xor_b32 s25, exec_lo, s25
; %bb.390:
	v_bfe_u32 v3, v2, 20, 1
	s_delay_alu instid0(VALU_DEP_1) | instskip(NEXT) | instid1(VALU_DEP_1)
	v_add3_u32 v3, v2, v3, 0x407ffff
	v_and_b32_e32 v7, 0xff00000, v3
	v_lshrrev_b32_e32 v3, 20, v3
	s_delay_alu instid0(VALU_DEP_2) | instskip(NEXT) | instid1(VALU_DEP_2)
	v_cmp_ne_u32_e32 vcc_lo, 0x7f00000, v7
	v_cndmask_b32_e32 v3, 0x7e, v3, vcc_lo
; %bb.391:
	s_and_not1_saveexec_b32 s25, s25
; %bb.392:
	v_add_f32_e64 v3, 0x46800000, |v2|
; %bb.393:
	s_or_b32 exec_lo, exec_lo, s25
                                        ; implicit-def: $vgpr7
.LBB329_394:
	s_and_not1_saveexec_b32 s24, s24
; %bb.395:
	v_mov_b32_e32 v3, 0x7f
	v_cmp_lt_u32_e32 vcc_lo, 0x7f800000, v7
	s_delay_alu instid0(VALU_DEP_2)
	v_cndmask_b32_e32 v3, 0x7e, v3, vcc_lo
; %bb.396:
	s_or_b32 exec_lo, exec_lo, s24
	v_lshrrev_b32_e32 v7, 24, v2
	s_delay_alu instid0(VALU_DEP_1)
	v_and_or_b32 v3, 0x80, v7, v3
	global_store_b8 v[0:1], v3, off
.LBB329_397:
	s_mov_b32 s24, 0
.LBB329_398:
	s_delay_alu instid0(SALU_CYCLE_1)
	s_and_not1_b32 vcc_lo, exec_lo, s24
	s_cbranch_vccnz .LBB329_408
; %bb.399:
	v_and_b32_e32 v7, 0x7fffffff, v2
	s_mov_b32 s24, exec_lo
                                        ; implicit-def: $vgpr3
	s_delay_alu instid0(VALU_DEP_1)
	v_cmpx_gt_u32_e32 0x47800000, v7
	s_xor_b32 s24, exec_lo, s24
	s_cbranch_execz .LBB329_405
; %bb.400:
	s_mov_b32 s25, exec_lo
                                        ; implicit-def: $vgpr3
	v_cmpx_lt_u32_e32 0x387fffff, v7
	s_xor_b32 s25, exec_lo, s25
; %bb.401:
	v_bfe_u32 v3, v2, 21, 1
	s_delay_alu instid0(VALU_DEP_1) | instskip(NEXT) | instid1(VALU_DEP_1)
	v_add3_u32 v3, v2, v3, 0x80fffff
	v_lshrrev_b32_e32 v3, 21, v3
; %bb.402:
	s_and_not1_saveexec_b32 s25, s25
; %bb.403:
	v_add_f32_e64 v3, 0x43000000, |v2|
; %bb.404:
	s_or_b32 exec_lo, exec_lo, s25
                                        ; implicit-def: $vgpr7
.LBB329_405:
	s_and_not1_saveexec_b32 s24, s24
; %bb.406:
	v_mov_b32_e32 v3, 0x7f
	v_cmp_lt_u32_e32 vcc_lo, 0x7f800000, v7
	s_delay_alu instid0(VALU_DEP_2)
	v_cndmask_b32_e32 v3, 0x7c, v3, vcc_lo
; %bb.407:
	s_or_b32 exec_lo, exec_lo, s24
	v_lshrrev_b32_e32 v7, 24, v2
	s_delay_alu instid0(VALU_DEP_1)
	v_and_or_b32 v3, 0x80, v7, v3
	global_store_b8 v[0:1], v3, off
.LBB329_408:
	s_mov_b32 s25, 0
	s_mov_b32 s24, -1
.LBB329_409:
	s_and_not1_b32 vcc_lo, exec_lo, s25
	s_cbranch_vccnz .LBB329_417
; %bb.410:
	v_cmp_lt_i16_e32 vcc_lo, 14, v6
	s_mov_b32 s25, -1
	s_cbranch_vccz .LBB329_414
; %bb.411:
	v_cmp_eq_u16_e32 vcc_lo, 15, v6
	s_mov_b32 s2, -1
	s_cbranch_vccz .LBB329_413
; %bb.412:
	v_bfe_u32 v3, v2, 16, 1
	v_cmp_o_f32_e32 vcc_lo, v2, v2
	s_mov_b32 s24, -1
	s_mov_b32 s2, 0
	s_delay_alu instid0(VALU_DEP_2) | instskip(NEXT) | instid1(VALU_DEP_1)
	v_add3_u32 v3, v2, v3, 0x7fff
	v_lshrrev_b32_e32 v3, 16, v3
	s_delay_alu instid0(VALU_DEP_1)
	v_cndmask_b32_e32 v3, 0x7fc0, v3, vcc_lo
	global_store_b16 v[0:1], v3, off
.LBB329_413:
	s_mov_b32 s25, 0
.LBB329_414:
	s_delay_alu instid0(SALU_CYCLE_1)
	s_and_b32 vcc_lo, exec_lo, s25
	s_cbranch_vccz .LBB329_417
; %bb.415:
	v_cmp_eq_u16_e32 vcc_lo, 11, v6
	s_mov_b32 s2, -1
	s_cbranch_vccz .LBB329_417
; %bb.416:
	v_cmp_neq_f32_e32 vcc_lo, 0, v2
	s_mov_b32 s2, 0
	s_mov_b32 s24, -1
	v_cndmask_b32_e64 v3, 0, 1, vcc_lo
	global_store_b8 v[0:1], v3, off
.LBB329_417:
.LBB329_418:
	s_and_not1_b32 vcc_lo, exec_lo, s24
	s_cbranch_vccnz .LBB329_333
.LBB329_419:
	v_add_nc_u32_e32 v5, 0x80, v5
	s_mov_b32 s24, -1
	s_branch .LBB329_532
.LBB329_420:
	s_mov_b32 s3, -1
                                        ; implicit-def: $vgpr3
.LBB329_421:
	s_mov_b32 s24, 0
.LBB329_422:
	s_delay_alu instid0(SALU_CYCLE_1)
	s_and_b32 vcc_lo, exec_lo, s24
	s_cbranch_vccz .LBB329_426
; %bb.423:
	v_cmp_eq_u16_e32 vcc_lo, 29, v4
	s_cbranch_vccz .LBB329_425
; %bb.424:
	global_load_b64 v[6:7], v[1:2], off
	s_mov_b32 s2, -1
	s_mov_b32 s3, 0
	s_mov_b32 s24, 0
	s_waitcnt vmcnt(0)
	v_clz_i32_u32_e32 v3, v7
	s_delay_alu instid0(VALU_DEP_1) | instskip(NEXT) | instid1(VALU_DEP_1)
	v_min_u32_e32 v3, 32, v3
	v_lshlrev_b64 v[6:7], v3, v[6:7]
	v_sub_nc_u32_e32 v3, 32, v3
	s_delay_alu instid0(VALU_DEP_2) | instskip(NEXT) | instid1(VALU_DEP_1)
	v_min_u32_e32 v6, 1, v6
	v_or_b32_e32 v6, v7, v6
	s_delay_alu instid0(VALU_DEP_1) | instskip(NEXT) | instid1(VALU_DEP_1)
	v_cvt_f32_u32_e32 v6, v6
	v_ldexp_f32 v3, v6, v3
	s_branch .LBB329_427
.LBB329_425:
	s_mov_b32 s3, -1
                                        ; implicit-def: $vgpr3
.LBB329_426:
	s_mov_b32 s24, 0
.LBB329_427:
	s_delay_alu instid0(SALU_CYCLE_1)
	s_and_b32 vcc_lo, exec_lo, s24
	s_cbranch_vccz .LBB329_445
; %bb.428:
	v_cmp_gt_i16_e32 vcc_lo, 27, v4
	s_cbranch_vccnz .LBB329_431
; %bb.429:
	v_cmp_lt_i16_e32 vcc_lo, 27, v4
	s_cbranch_vccz .LBB329_432
; %bb.430:
	global_load_b32 v3, v[1:2], off
	s_mov_b32 s2, 0
	s_waitcnt vmcnt(0)
	v_cvt_f32_u32_e32 v3, v3
	s_branch .LBB329_433
.LBB329_431:
	s_mov_b32 s2, -1
                                        ; implicit-def: $vgpr3
	s_branch .LBB329_436
.LBB329_432:
	s_mov_b32 s2, -1
                                        ; implicit-def: $vgpr3
.LBB329_433:
	s_delay_alu instid0(SALU_CYCLE_1)
	s_and_not1_b32 vcc_lo, exec_lo, s2
	s_cbranch_vccnz .LBB329_435
; %bb.434:
	global_load_u16 v3, v[1:2], off
	s_waitcnt vmcnt(0)
	v_cvt_f32_u32_e32 v3, v3
.LBB329_435:
	s_mov_b32 s2, 0
.LBB329_436:
	s_delay_alu instid0(SALU_CYCLE_1)
	s_and_not1_b32 vcc_lo, exec_lo, s2
	s_cbranch_vccnz .LBB329_444
; %bb.437:
	global_load_u8 v6, v[1:2], off
	s_mov_b32 s2, 0
	s_mov_b32 s25, exec_lo
                                        ; implicit-def: $sgpr24
	s_waitcnt vmcnt(0)
	v_cmpx_lt_i16_e32 0x7f, v6
	s_xor_b32 s25, exec_lo, s25
	s_cbranch_execz .LBB329_458
; %bb.438:
	s_mov_b32 s2, -1
	s_mov_b32 s40, exec_lo
                                        ; implicit-def: $sgpr24
	v_cmpx_eq_u16_e32 0x80, v6
; %bb.439:
	s_mov_b32 s24, 0x7f800001
	s_xor_b32 s2, exec_lo, -1
; %bb.440:
	s_or_b32 exec_lo, exec_lo, s40
	s_delay_alu instid0(SALU_CYCLE_1)
	s_and_b32 s2, s2, exec_lo
	s_or_saveexec_b32 s25, s25
	v_mov_b32_e32 v3, s24
	s_xor_b32 exec_lo, exec_lo, s25
	s_cbranch_execnz .LBB329_459
.LBB329_441:
	s_or_b32 exec_lo, exec_lo, s25
	s_and_saveexec_b32 s24, s2
	s_cbranch_execz .LBB329_443
.LBB329_442:
	v_and_b32_e32 v3, 0xffff, v6
	s_delay_alu instid0(VALU_DEP_1) | instskip(NEXT) | instid1(VALU_DEP_1)
	v_and_b32_e32 v7, 7, v3
	v_clz_i32_u32_e32 v8, v7
	s_delay_alu instid0(VALU_DEP_1) | instskip(NEXT) | instid1(VALU_DEP_1)
	v_min_u32_e32 v8, 32, v8
	v_subrev_nc_u32_e32 v9, 28, v8
	v_sub_nc_u32_e32 v8, 29, v8
	s_delay_alu instid0(VALU_DEP_2) | instskip(SKIP_1) | instid1(VALU_DEP_2)
	v_lshlrev_b32_e32 v9, v9, v3
	v_bfe_u32 v3, v3, 3, 4
	v_and_b32_e32 v9, 7, v9
	s_delay_alu instid0(VALU_DEP_2) | instskip(SKIP_1) | instid1(VALU_DEP_1)
	v_cmp_eq_u32_e32 vcc_lo, 0, v3
	v_dual_cndmask_b32 v3, v3, v8 :: v_dual_lshlrev_b32 v6, 24, v6
	v_dual_cndmask_b32 v7, v7, v9 :: v_dual_and_b32 v6, 0x80000000, v6
	s_delay_alu instid0(VALU_DEP_2) | instskip(NEXT) | instid1(VALU_DEP_2)
	v_lshl_add_u32 v3, v3, 23, 0x3b800000
	v_lshlrev_b32_e32 v7, 20, v7
	s_delay_alu instid0(VALU_DEP_1)
	v_or3_b32 v3, v6, v3, v7
.LBB329_443:
	s_or_b32 exec_lo, exec_lo, s24
.LBB329_444:
	s_mov_b32 s2, -1
.LBB329_445:
	s_mov_b32 s24, 0
.LBB329_446:
	s_delay_alu instid0(SALU_CYCLE_1)
	s_and_b32 vcc_lo, exec_lo, s24
	s_cbranch_vccz .LBB329_481
; %bb.447:
	v_cmp_lt_i16_e32 vcc_lo, 22, v4
	s_cbranch_vccz .LBB329_457
; %bb.448:
	v_cmp_gt_i16_e32 vcc_lo, 24, v4
	s_cbranch_vccnz .LBB329_460
; %bb.449:
	v_cmp_lt_i16_e32 vcc_lo, 24, v4
	s_cbranch_vccz .LBB329_461
; %bb.450:
	global_load_u8 v6, v[1:2], off
	s_mov_b32 s2, 0
	s_mov_b32 s25, exec_lo
                                        ; implicit-def: $sgpr24
	s_waitcnt vmcnt(0)
	v_cmpx_lt_i16_e32 0x7f, v6
	s_xor_b32 s25, exec_lo, s25
	s_cbranch_execz .LBB329_473
; %bb.451:
	s_mov_b32 s2, -1
	s_mov_b32 s40, exec_lo
                                        ; implicit-def: $sgpr24
	v_cmpx_eq_u16_e32 0x80, v6
; %bb.452:
	s_mov_b32 s24, 0x7f800001
	s_xor_b32 s2, exec_lo, -1
; %bb.453:
	s_or_b32 exec_lo, exec_lo, s40
	s_delay_alu instid0(SALU_CYCLE_1)
	s_and_b32 s2, s2, exec_lo
	s_or_saveexec_b32 s25, s25
	v_mov_b32_e32 v3, s24
	s_xor_b32 exec_lo, exec_lo, s25
	s_cbranch_execnz .LBB329_474
.LBB329_454:
	s_or_b32 exec_lo, exec_lo, s25
	s_and_saveexec_b32 s24, s2
	s_cbranch_execz .LBB329_456
.LBB329_455:
	v_and_b32_e32 v3, 0xffff, v6
	s_delay_alu instid0(VALU_DEP_1) | instskip(NEXT) | instid1(VALU_DEP_1)
	v_and_b32_e32 v7, 3, v3
	v_clz_i32_u32_e32 v8, v7
	s_delay_alu instid0(VALU_DEP_1) | instskip(NEXT) | instid1(VALU_DEP_1)
	v_min_u32_e32 v8, 32, v8
	v_subrev_nc_u32_e32 v9, 29, v8
	v_sub_nc_u32_e32 v8, 30, v8
	s_delay_alu instid0(VALU_DEP_2) | instskip(SKIP_1) | instid1(VALU_DEP_2)
	v_lshlrev_b32_e32 v9, v9, v3
	v_bfe_u32 v3, v3, 2, 5
	v_and_b32_e32 v9, 3, v9
	s_delay_alu instid0(VALU_DEP_2) | instskip(SKIP_1) | instid1(VALU_DEP_1)
	v_cmp_eq_u32_e32 vcc_lo, 0, v3
	v_dual_cndmask_b32 v3, v3, v8 :: v_dual_lshlrev_b32 v6, 24, v6
	v_dual_cndmask_b32 v7, v7, v9 :: v_dual_and_b32 v6, 0x80000000, v6
	s_delay_alu instid0(VALU_DEP_2) | instskip(NEXT) | instid1(VALU_DEP_2)
	v_lshl_add_u32 v3, v3, 23, 0x37800000
	v_lshlrev_b32_e32 v7, 21, v7
	s_delay_alu instid0(VALU_DEP_1)
	v_or3_b32 v3, v6, v3, v7
.LBB329_456:
	s_or_b32 exec_lo, exec_lo, s24
	s_mov_b32 s2, 0
	s_branch .LBB329_462
.LBB329_457:
	s_mov_b32 s24, -1
                                        ; implicit-def: $vgpr3
	s_branch .LBB329_468
.LBB329_458:
	s_or_saveexec_b32 s25, s25
	v_mov_b32_e32 v3, s24
	s_xor_b32 exec_lo, exec_lo, s25
	s_cbranch_execz .LBB329_441
.LBB329_459:
	v_cmp_ne_u16_e32 vcc_lo, 0, v6
	v_mov_b32_e32 v3, 0
	s_and_not1_b32 s2, s2, exec_lo
	s_and_b32 s24, vcc_lo, exec_lo
	s_delay_alu instid0(SALU_CYCLE_1)
	s_or_b32 s2, s2, s24
	s_or_b32 exec_lo, exec_lo, s25
	s_and_saveexec_b32 s24, s2
	s_cbranch_execnz .LBB329_442
	s_branch .LBB329_443
.LBB329_460:
	s_mov_b32 s2, -1
                                        ; implicit-def: $vgpr3
	s_branch .LBB329_465
.LBB329_461:
	s_mov_b32 s2, -1
                                        ; implicit-def: $vgpr3
.LBB329_462:
	s_delay_alu instid0(SALU_CYCLE_1)
	s_and_b32 vcc_lo, exec_lo, s2
	s_cbranch_vccz .LBB329_464
; %bb.463:
	global_load_u8 v3, v[1:2], off
	s_waitcnt vmcnt(0)
	v_lshlrev_b32_e32 v3, 24, v3
	s_delay_alu instid0(VALU_DEP_1) | instskip(NEXT) | instid1(VALU_DEP_1)
	v_and_b32_e32 v6, 0x7f000000, v3
	v_clz_i32_u32_e32 v7, v6
	v_cmp_ne_u32_e32 vcc_lo, 0, v6
	v_add_nc_u32_e32 v9, 0x1000000, v6
	s_delay_alu instid0(VALU_DEP_3) | instskip(NEXT) | instid1(VALU_DEP_1)
	v_min_u32_e32 v7, 32, v7
	v_sub_nc_u32_e64 v7, v7, 4 clamp
	s_delay_alu instid0(VALU_DEP_1) | instskip(SKIP_1) | instid1(VALU_DEP_2)
	v_lshlrev_b32_e32 v8, v7, v6
	v_lshlrev_b32_e32 v7, 23, v7
	v_lshrrev_b32_e32 v8, 4, v8
	s_delay_alu instid0(VALU_DEP_1) | instskip(SKIP_1) | instid1(VALU_DEP_2)
	v_sub_nc_u32_e32 v7, v8, v7
	v_ashrrev_i32_e32 v8, 8, v9
	v_add_nc_u32_e32 v7, 0x3c000000, v7
	s_delay_alu instid0(VALU_DEP_1) | instskip(NEXT) | instid1(VALU_DEP_1)
	v_and_or_b32 v7, 0x7f800000, v8, v7
	v_cndmask_b32_e32 v6, 0, v7, vcc_lo
	s_delay_alu instid0(VALU_DEP_1)
	v_and_or_b32 v3, 0x80000000, v3, v6
.LBB329_464:
	s_mov_b32 s2, 0
.LBB329_465:
	s_delay_alu instid0(SALU_CYCLE_1)
	s_and_not1_b32 vcc_lo, exec_lo, s2
	s_cbranch_vccnz .LBB329_467
; %bb.466:
	global_load_u8 v3, v[1:2], off
	s_waitcnt vmcnt(0)
	v_lshlrev_b32_e32 v6, 25, v3
	v_lshlrev_b16 v3, 8, v3
	s_delay_alu instid0(VALU_DEP_2) | instskip(NEXT) | instid1(VALU_DEP_2)
	v_lshrrev_b32_e32 v7, 4, v6
	v_and_or_b32 v8, 0x7f00, v3, 0.5
	v_cmp_gt_u32_e32 vcc_lo, 0x8000000, v6
	v_bfe_i32 v3, v3, 0, 16
	s_delay_alu instid0(VALU_DEP_4) | instskip(NEXT) | instid1(VALU_DEP_1)
	v_or_b32_e32 v7, 0x70000000, v7
	v_dual_add_f32 v8, -0.5, v8 :: v_dual_mul_f32 v7, 0x7800000, v7
	s_delay_alu instid0(VALU_DEP_1) | instskip(NEXT) | instid1(VALU_DEP_1)
	v_cndmask_b32_e32 v6, v7, v8, vcc_lo
	v_and_or_b32 v3, 0x80000000, v3, v6
.LBB329_467:
	s_mov_b32 s24, 0
	s_mov_b32 s2, -1
.LBB329_468:
	s_and_not1_b32 vcc_lo, exec_lo, s24
	s_cbranch_vccnz .LBB329_481
; %bb.469:
	v_cmp_lt_i16_e32 vcc_lo, 14, v4
	s_cbranch_vccz .LBB329_472
; %bb.470:
	v_cmp_eq_u16_e32 vcc_lo, 15, v4
	s_cbranch_vccz .LBB329_475
; %bb.471:
	global_load_u16 v3, v[1:2], off
	s_mov_b32 s2, -1
	s_mov_b32 s3, 0
	s_waitcnt vmcnt(0)
	v_lshlrev_b32_e32 v3, 16, v3
	s_branch .LBB329_476
.LBB329_472:
	s_mov_b32 s24, -1
                                        ; implicit-def: $vgpr3
	s_branch .LBB329_477
.LBB329_473:
	s_or_saveexec_b32 s25, s25
	v_mov_b32_e32 v3, s24
	s_xor_b32 exec_lo, exec_lo, s25
	s_cbranch_execz .LBB329_454
.LBB329_474:
	v_cmp_ne_u16_e32 vcc_lo, 0, v6
	v_mov_b32_e32 v3, 0
	s_and_not1_b32 s2, s2, exec_lo
	s_and_b32 s24, vcc_lo, exec_lo
	s_delay_alu instid0(SALU_CYCLE_1)
	s_or_b32 s2, s2, s24
	s_or_b32 exec_lo, exec_lo, s25
	s_and_saveexec_b32 s24, s2
	s_cbranch_execnz .LBB329_455
	s_branch .LBB329_456
.LBB329_475:
	s_mov_b32 s3, -1
                                        ; implicit-def: $vgpr3
.LBB329_476:
	s_mov_b32 s24, 0
.LBB329_477:
	s_delay_alu instid0(SALU_CYCLE_1)
	s_and_b32 vcc_lo, exec_lo, s24
	s_cbranch_vccz .LBB329_481
; %bb.478:
	v_cmp_eq_u16_e32 vcc_lo, 11, v4
	s_cbranch_vccz .LBB329_480
; %bb.479:
	global_load_u8 v3, v[1:2], off
	s_mov_b32 s3, 0
	s_mov_b32 s2, -1
	s_waitcnt vmcnt(0)
	v_cmp_ne_u16_e32 vcc_lo, 0, v3
	v_cndmask_b32_e64 v3, 0, 1.0, vcc_lo
	s_branch .LBB329_481
.LBB329_480:
	s_mov_b32 s3, -1
                                        ; implicit-def: $vgpr3
.LBB329_481:
	s_branch .LBB329_286
.LBB329_482:
	v_cmp_gt_i16_e32 vcc_lo, 5, v4
	s_cbranch_vccnz .LBB329_487
; %bb.483:
	v_cmp_gt_i16_e32 vcc_lo, 8, v4
	s_cbranch_vccnz .LBB329_488
; %bb.484:
	;; [unrolled: 3-line block ×3, first 2 shown]
	v_cmp_lt_i16_e32 vcc_lo, 9, v4
	s_cbranch_vccz .LBB329_490
; %bb.486:
	global_load_b64 v[6:7], v[1:2], off
	s_mov_b32 s2, 0
	s_waitcnt vmcnt(0)
	v_cvt_f32_f64_e32 v3, v[6:7]
	s_branch .LBB329_491
.LBB329_487:
	s_mov_b32 s2, -1
                                        ; implicit-def: $vgpr3
	s_branch .LBB329_509
.LBB329_488:
	s_mov_b32 s2, -1
                                        ; implicit-def: $vgpr3
	s_branch .LBB329_497
.LBB329_489:
	s_mov_b32 s2, -1
                                        ; implicit-def: $vgpr3
	s_branch .LBB329_494
.LBB329_490:
	s_mov_b32 s2, -1
                                        ; implicit-def: $vgpr3
.LBB329_491:
	s_delay_alu instid0(SALU_CYCLE_1)
	s_and_not1_b32 vcc_lo, exec_lo, s2
	s_cbranch_vccnz .LBB329_493
; %bb.492:
	global_load_b32 v3, v[1:2], off
.LBB329_493:
	s_mov_b32 s2, 0
.LBB329_494:
	s_delay_alu instid0(SALU_CYCLE_1)
	s_and_not1_b32 vcc_lo, exec_lo, s2
	s_cbranch_vccnz .LBB329_496
; %bb.495:
	global_load_b32 v3, v[1:2], off
	s_waitcnt vmcnt(0)
	v_cvt_f32_f16_e32 v3, v3
.LBB329_496:
	s_mov_b32 s2, 0
.LBB329_497:
	s_delay_alu instid0(SALU_CYCLE_1)
	s_and_not1_b32 vcc_lo, exec_lo, s2
	s_cbranch_vccnz .LBB329_508
; %bb.498:
	v_cmp_gt_i16_e32 vcc_lo, 6, v4
	s_cbranch_vccnz .LBB329_501
; %bb.499:
	v_cmp_lt_i16_e32 vcc_lo, 6, v4
	s_cbranch_vccz .LBB329_502
; %bb.500:
	global_load_b64 v[6:7], v[1:2], off
	s_mov_b32 s2, 0
	s_waitcnt vmcnt(0)
	v_cvt_f32_f64_e32 v3, v[6:7]
	s_branch .LBB329_503
.LBB329_501:
	s_mov_b32 s2, -1
                                        ; implicit-def: $vgpr3
	s_branch .LBB329_506
.LBB329_502:
	s_mov_b32 s2, -1
                                        ; implicit-def: $vgpr3
.LBB329_503:
	s_delay_alu instid0(SALU_CYCLE_1)
	s_and_not1_b32 vcc_lo, exec_lo, s2
	s_cbranch_vccnz .LBB329_505
; %bb.504:
	global_load_b32 v3, v[1:2], off
.LBB329_505:
	s_mov_b32 s2, 0
.LBB329_506:
	s_delay_alu instid0(SALU_CYCLE_1)
	s_and_not1_b32 vcc_lo, exec_lo, s2
	s_cbranch_vccnz .LBB329_508
; %bb.507:
	global_load_u16 v3, v[1:2], off
	s_waitcnt vmcnt(0)
	v_cvt_f32_f16_e32 v3, v3
.LBB329_508:
	s_mov_b32 s2, 0
.LBB329_509:
	s_delay_alu instid0(SALU_CYCLE_1)
	s_and_not1_b32 vcc_lo, exec_lo, s2
	s_cbranch_vccnz .LBB329_529
; %bb.510:
	v_cmp_gt_i16_e32 vcc_lo, 2, v4
	s_cbranch_vccnz .LBB329_514
; %bb.511:
	v_cmp_gt_i16_e32 vcc_lo, 3, v4
	s_cbranch_vccnz .LBB329_515
; %bb.512:
	v_cmp_lt_i16_e32 vcc_lo, 3, v4
	s_cbranch_vccz .LBB329_516
; %bb.513:
	global_load_b64 v[6:7], v[1:2], off
	s_mov_b32 s2, 0
	s_waitcnt vmcnt(0)
	v_xor_b32_e32 v3, v6, v7
	v_cls_i32_e32 v8, v7
	s_delay_alu instid0(VALU_DEP_2) | instskip(NEXT) | instid1(VALU_DEP_2)
	v_ashrrev_i32_e32 v3, 31, v3
	v_add_nc_u32_e32 v8, -1, v8
	s_delay_alu instid0(VALU_DEP_2) | instskip(NEXT) | instid1(VALU_DEP_1)
	v_add_nc_u32_e32 v3, 32, v3
	v_min_u32_e32 v3, v8, v3
	s_delay_alu instid0(VALU_DEP_1) | instskip(SKIP_1) | instid1(VALU_DEP_2)
	v_lshlrev_b64 v[6:7], v3, v[6:7]
	v_sub_nc_u32_e32 v3, 32, v3
	v_min_u32_e32 v6, 1, v6
	s_delay_alu instid0(VALU_DEP_1) | instskip(NEXT) | instid1(VALU_DEP_1)
	v_or_b32_e32 v6, v7, v6
	v_cvt_f32_i32_e32 v6, v6
	s_delay_alu instid0(VALU_DEP_1)
	v_ldexp_f32 v3, v6, v3
	s_branch .LBB329_517
.LBB329_514:
	s_mov_b32 s2, -1
                                        ; implicit-def: $vgpr3
	s_branch .LBB329_523
.LBB329_515:
	s_mov_b32 s2, -1
                                        ; implicit-def: $vgpr3
	s_branch .LBB329_520
.LBB329_516:
	s_mov_b32 s2, -1
                                        ; implicit-def: $vgpr3
.LBB329_517:
	s_delay_alu instid0(SALU_CYCLE_1)
	s_and_not1_b32 vcc_lo, exec_lo, s2
	s_cbranch_vccnz .LBB329_519
; %bb.518:
	global_load_b32 v3, v[1:2], off
	s_waitcnt vmcnt(0)
	v_cvt_f32_i32_e32 v3, v3
.LBB329_519:
	s_mov_b32 s2, 0
.LBB329_520:
	s_delay_alu instid0(SALU_CYCLE_1)
	s_and_not1_b32 vcc_lo, exec_lo, s2
	s_cbranch_vccnz .LBB329_522
; %bb.521:
	global_load_i16 v3, v[1:2], off
	s_waitcnt vmcnt(0)
	v_cvt_f32_i32_e32 v3, v3
.LBB329_522:
	s_mov_b32 s2, 0
.LBB329_523:
	s_delay_alu instid0(SALU_CYCLE_1)
	s_and_not1_b32 vcc_lo, exec_lo, s2
	s_cbranch_vccnz .LBB329_529
; %bb.524:
	v_cmp_lt_i16_e32 vcc_lo, 0, v4
	s_mov_b32 s2, 0
	s_cbranch_vccz .LBB329_526
; %bb.525:
	global_load_i8 v3, v[1:2], off
	s_waitcnt vmcnt(0)
	v_cvt_f32_i32_e32 v3, v3
	s_branch .LBB329_527
.LBB329_526:
	s_mov_b32 s2, -1
                                        ; implicit-def: $vgpr3
.LBB329_527:
	s_delay_alu instid0(SALU_CYCLE_1)
	s_and_not1_b32 vcc_lo, exec_lo, s2
	s_cbranch_vccnz .LBB329_529
; %bb.528:
	global_load_u8 v1, v[1:2], off
	s_waitcnt vmcnt(0)
	v_cvt_f32_ubyte0_e32 v3, v1
.LBB329_529:
	s_branch .LBB329_287
.LBB329_530:
	s_mov_b32 s24, 0
	s_mov_b32 s2, s37
.LBB329_531:
                                        ; implicit-def: $vgpr5
.LBB329_532:
	s_and_not1_b32 s25, s37, exec_lo
	s_and_b32 s2, s2, exec_lo
	s_and_not1_b32 s40, s38, exec_lo
	s_and_b32 s3, s3, exec_lo
	s_or_b32 s41, s25, s2
	s_or_b32 s40, s40, s3
	s_or_not1_b32 s2, s24, exec_lo
.LBB329_533:
	s_or_b32 exec_lo, exec_lo, s42
	s_mov_b32 s3, 0
	s_mov_b32 s25, 0
	;; [unrolled: 1-line block ×3, first 2 shown]
                                        ; implicit-def: $vgpr1_vgpr2
                                        ; implicit-def: $vgpr0
                                        ; implicit-def: $vgpr6
	s_and_saveexec_b32 s42, s2
	s_cbranch_execz .LBB329_905
; %bb.534:
	s_mov_b32 s45, -1
	s_mov_b32 s24, s40
	s_mov_b32 s25, s41
	s_mov_b32 s43, exec_lo
	v_cmpx_gt_i32_e64 s34, v5
	s_cbranch_execz .LBB329_806
; %bb.535:
	s_and_not1_b32 vcc_lo, exec_lo, s29
	s_cbranch_vccnz .LBB329_540
; %bb.536:
	v_dual_mov_b32 v0, 0 :: v_dual_mov_b32 v1, 0
	s_and_not1_b32 vcc_lo, exec_lo, s36
	s_mov_b32 s44, 0
	s_cbranch_vccnz .LBB329_545
; %bb.537:
	v_mov_b32_e32 v0, 0
	s_add_i32 s46, s35, 1
	s_cmp_eq_u32 s27, 2
	s_mov_b32 s45, 0
	s_cbranch_scc1 .LBB329_541
; %bb.538:
	v_dual_mov_b32 v1, 0 :: v_dual_mov_b32 v0, 0
	v_mov_b32_e32 v2, v5
	s_and_b32 s45, s46, 28
	s_mov_b32 s47, 0
	s_mov_b64 s[2:3], s[22:23]
	s_mov_b64 s[24:25], s[16:17]
.LBB329_539:                            ; =>This Inner Loop Header: Depth=1
	s_clause 0x1
	s_load_b256 s[48:55], s[24:25], 0x4
	s_load_b128 s[64:67], s[24:25], 0x24
	s_load_b256 s[56:63], s[2:3], 0x0
	s_add_u32 s24, s24, 48
	s_addc_u32 s25, s25, 0
	s_add_i32 s47, s47, 4
	s_add_u32 s2, s2, 32
	s_addc_u32 s3, s3, 0
	s_cmp_eq_u32 s45, s47
	s_waitcnt vmcnt(0) lgkmcnt(0)
	v_mul_hi_u32 v3, s49, v2
	s_delay_alu instid0(VALU_DEP_1) | instskip(NEXT) | instid1(VALU_DEP_1)
	v_add_nc_u32_e32 v3, v2, v3
	v_lshrrev_b32_e32 v3, s50, v3
	s_delay_alu instid0(VALU_DEP_1) | instskip(SKIP_1) | instid1(VALU_DEP_2)
	v_mul_hi_u32 v6, s52, v3
	v_mul_lo_u32 v8, v3, s48
	v_add_nc_u32_e32 v6, v3, v6
	s_delay_alu instid0(VALU_DEP_2) | instskip(NEXT) | instid1(VALU_DEP_2)
	v_sub_nc_u32_e32 v2, v2, v8
	v_lshrrev_b32_e32 v6, s53, v6
	s_delay_alu instid0(VALU_DEP_2) | instskip(SKIP_1) | instid1(VALU_DEP_3)
	v_mul_lo_u32 v8, v2, s56
	v_mul_lo_u32 v10, v2, s57
	v_mul_hi_u32 v7, s55, v6
	s_delay_alu instid0(VALU_DEP_1) | instskip(NEXT) | instid1(VALU_DEP_1)
	v_add_nc_u32_e32 v7, v6, v7
	v_lshrrev_b32_e32 v7, s64, v7
	s_delay_alu instid0(VALU_DEP_1) | instskip(SKIP_1) | instid1(VALU_DEP_2)
	v_mul_hi_u32 v9, s66, v7
	v_mul_lo_u32 v11, v7, s54
	v_add_nc_u32_e32 v2, v7, v9
	v_mul_lo_u32 v9, v6, s51
	s_delay_alu instid0(VALU_DEP_3) | instskip(NEXT) | instid1(VALU_DEP_3)
	v_sub_nc_u32_e32 v6, v6, v11
	v_lshrrev_b32_e32 v2, s67, v2
	s_delay_alu instid0(VALU_DEP_2) | instskip(SKIP_2) | instid1(VALU_DEP_4)
	v_mul_lo_u32 v11, v6, s60
	v_mul_lo_u32 v6, v6, s61
	v_sub_nc_u32_e32 v3, v3, v9
	v_mul_lo_u32 v12, v2, s65
	s_delay_alu instid0(VALU_DEP_2) | instskip(SKIP_1) | instid1(VALU_DEP_3)
	v_mul_lo_u32 v9, v3, s58
	v_mul_lo_u32 v3, v3, s59
	v_sub_nc_u32_e32 v7, v7, v12
	s_delay_alu instid0(VALU_DEP_3) | instskip(NEXT) | instid1(VALU_DEP_2)
	v_add3_u32 v0, v8, v0, v9
	v_mul_lo_u32 v12, v7, s62
	v_mul_lo_u32 v7, v7, s63
	v_add3_u32 v1, v10, v1, v3
	s_delay_alu instid0(VALU_DEP_3) | instskip(NEXT) | instid1(VALU_DEP_2)
	v_add3_u32 v0, v11, v0, v12
	v_add3_u32 v1, v6, v1, v7
	s_cbranch_scc0 .LBB329_539
	s_branch .LBB329_542
.LBB329_540:
	s_mov_b32 s44, -1
                                        ; implicit-def: $vgpr0
                                        ; implicit-def: $vgpr1
	s_branch .LBB329_545
.LBB329_541:
	v_dual_mov_b32 v2, v5 :: v_dual_mov_b32 v1, 0
.LBB329_542:
	s_and_b32 s46, s46, 3
	s_delay_alu instid0(SALU_CYCLE_1)
	s_cmp_eq_u32 s46, 0
	s_cbranch_scc1 .LBB329_545
; %bb.543:
	s_lshl_b32 s2, s45, 3
	s_mul_i32 s24, s45, 12
	s_add_u32 s2, s2, s16
	s_addc_u32 s3, s17, 0
	s_add_u32 s2, s2, 0xc4
	s_addc_u32 s3, s3, 0
	;; [unrolled: 2-line block ×3, first 2 shown]
	.p2align	6
.LBB329_544:                            ; =>This Inner Loop Header: Depth=1
	s_clause 0x1
	s_load_b64 s[48:49], s[24:25], 0x4
	s_load_b32 s45, s[24:25], 0xc
	s_load_b64 s[50:51], s[2:3], 0x0
	s_add_u32 s24, s24, 12
	s_addc_u32 s25, s25, 0
	s_add_u32 s2, s2, 8
	s_addc_u32 s3, s3, 0
	s_add_i32 s46, s46, -1
	s_delay_alu instid0(SALU_CYCLE_1) | instskip(SKIP_2) | instid1(VALU_DEP_1)
	s_cmp_lg_u32 s46, 0
	s_waitcnt vmcnt(0) lgkmcnt(0)
	v_mul_hi_u32 v3, s49, v2
	v_add_nc_u32_e32 v3, v2, v3
	s_delay_alu instid0(VALU_DEP_1) | instskip(NEXT) | instid1(VALU_DEP_1)
	v_lshrrev_b32_e32 v3, s45, v3
	v_mul_lo_u32 v6, v3, s48
	s_delay_alu instid0(VALU_DEP_1) | instskip(NEXT) | instid1(VALU_DEP_1)
	v_sub_nc_u32_e32 v2, v2, v6
	v_mad_u64_u32 v[6:7], null, v2, s50, v[0:1]
	v_mad_u64_u32 v[7:8], null, v2, s51, v[1:2]
	v_mov_b32_e32 v2, v3
	s_delay_alu instid0(VALU_DEP_2)
	v_dual_mov_b32 v0, v6 :: v_dual_mov_b32 v1, v7
	s_cbranch_scc1 .LBB329_544
.LBB329_545:
	s_and_not1_b32 vcc_lo, exec_lo, s44
	s_cbranch_vccnz .LBB329_548
; %bb.546:
	v_mul_hi_u32 v0, s13, v5
	s_and_not1_b32 vcc_lo, exec_lo, s33
	s_delay_alu instid0(VALU_DEP_1) | instskip(NEXT) | instid1(VALU_DEP_1)
	v_add_nc_u32_e32 v0, v5, v0
	v_lshrrev_b32_e32 v2, s14, v0
	s_delay_alu instid0(VALU_DEP_1) | instskip(NEXT) | instid1(VALU_DEP_1)
	v_mul_lo_u32 v0, v2, s12
	v_sub_nc_u32_e32 v1, v5, v0
	s_delay_alu instid0(VALU_DEP_1)
	v_mul_lo_u32 v0, v1, s8
	v_mul_lo_u32 v1, v1, s9
	s_cbranch_vccnz .LBB329_548
; %bb.547:
	s_waitcnt vmcnt(0)
	v_mul_hi_u32 v3, s20, v2
	s_delay_alu instid0(VALU_DEP_1) | instskip(NEXT) | instid1(VALU_DEP_1)
	v_add_nc_u32_e32 v3, v2, v3
	v_lshrrev_b32_e32 v3, s21, v3
	s_delay_alu instid0(VALU_DEP_1) | instskip(NEXT) | instid1(VALU_DEP_1)
	v_mul_lo_u32 v3, v3, s15
	v_sub_nc_u32_e32 v8, v2, v3
	s_delay_alu instid0(VALU_DEP_1) | instskip(NEXT) | instid1(VALU_DEP_1)
	v_mad_u64_u32 v[2:3], null, v8, s10, v[0:1]
	v_mad_u64_u32 v[6:7], null, v8, s11, v[1:2]
	v_mov_b32_e32 v0, v2
	s_delay_alu instid0(VALU_DEP_2)
	v_mov_b32_e32 v1, v6
.LBB329_548:
	v_cmp_gt_i16_e32 vcc_lo, 11, v4
	s_delay_alu instid0(VALU_DEP_2) | instskip(NEXT) | instid1(VALU_DEP_1)
	v_add_co_u32 v1, s2, s6, v1
	v_add_co_ci_u32_e64 v2, null, s7, 0, s2
	s_mov_b32 s2, 0
	s_cbranch_vccnz .LBB329_555
; %bb.549:
	v_cmp_lt_i16_e32 vcc_lo, 25, v4
	s_cbranch_vccz .LBB329_556
; %bb.550:
	v_cmp_lt_i16_e32 vcc_lo, 28, v4
	s_cbranch_vccz .LBB329_557
	;; [unrolled: 3-line block ×4, first 2 shown]
; %bb.553:
	v_cmp_eq_u16_e32 vcc_lo, 46, v4
	s_mov_b32 s24, 0
	s_cbranch_vccz .LBB329_564
; %bb.554:
	global_load_b32 v3, v[1:2], off
	s_mov_b32 s2, -1
	s_mov_b32 s3, 0
	s_waitcnt vmcnt(0)
	v_lshlrev_b32_e32 v3, 16, v3
	s_branch .LBB329_566
.LBB329_555:
	s_mov_b32 s24, -1
	s_mov_b32 s3, s40
                                        ; implicit-def: $vgpr3
	s_branch .LBB329_631
.LBB329_556:
	s_mov_b32 s24, -1
	s_mov_b32 s3, s40
                                        ; implicit-def: $vgpr3
	s_branch .LBB329_595
.LBB329_557:
	s_mov_b32 s24, -1
	s_mov_b32 s3, s40
                                        ; implicit-def: $vgpr3
	s_branch .LBB329_576
.LBB329_558:
	s_mov_b32 s24, -1
	s_mov_b32 s3, s40
                                        ; implicit-def: $vgpr3
	s_branch .LBB329_571
.LBB329_559:
	s_or_saveexec_b32 s40, s40
                                        ; implicit-def: $sgpr41
	s_delay_alu instid0(SALU_CYCLE_1)
	s_xor_b32 exec_lo, exec_lo, s40
	s_cbranch_execz .LBB329_370
.LBB329_560:
	v_add_f32_e64 v3, 0x46000000, |v2|
	s_and_not1_b32 s25, s25, exec_lo
	s_mov_b32 s41, 0
	s_delay_alu instid0(VALU_DEP_1) | instskip(NEXT) | instid1(VALU_DEP_1)
	v_and_b32_e32 v3, 0xff, v3
	v_cmp_ne_u32_e32 vcc_lo, 0, v3
	s_and_b32 s43, vcc_lo, exec_lo
	s_delay_alu instid0(SALU_CYCLE_1)
	s_or_b32 s25, s25, s43
	s_or_b32 exec_lo, exec_lo, s40
	v_mov_b32_e32 v7, s41
	s_and_saveexec_b32 s40, s25
	s_cbranch_execnz .LBB329_371
	s_branch .LBB329_372
.LBB329_561:
	s_mov_b32 s24, -1
	s_mov_b32 s3, s40
	s_branch .LBB329_565
.LBB329_562:
	s_or_saveexec_b32 s40, s40
                                        ; implicit-def: $sgpr41
	s_delay_alu instid0(SALU_CYCLE_1)
	s_xor_b32 exec_lo, exec_lo, s40
	s_cbranch_execz .LBB329_383
.LBB329_563:
	v_add_f32_e64 v3, 0x42800000, |v2|
	s_and_not1_b32 s25, s25, exec_lo
	s_mov_b32 s41, 0
	s_delay_alu instid0(VALU_DEP_1) | instskip(NEXT) | instid1(VALU_DEP_1)
	v_and_b32_e32 v3, 0xff, v3
	v_cmp_ne_u32_e32 vcc_lo, 0, v3
	s_and_b32 s43, vcc_lo, exec_lo
	s_delay_alu instid0(SALU_CYCLE_1)
	s_or_b32 s25, s25, s43
	s_or_b32 exec_lo, exec_lo, s40
	v_mov_b32_e32 v7, s41
	s_and_saveexec_b32 s40, s25
	s_cbranch_execnz .LBB329_384
	s_branch .LBB329_385
.LBB329_564:
	s_mov_b32 s3, -1
.LBB329_565:
                                        ; implicit-def: $vgpr3
.LBB329_566:
	s_and_b32 vcc_lo, exec_lo, s24
	s_cbranch_vccz .LBB329_570
; %bb.567:
	v_cmp_eq_u16_e32 vcc_lo, 44, v4
	s_cbranch_vccz .LBB329_569
; %bb.568:
	global_load_u8 v3, v[1:2], off
	s_mov_b32 s3, 0
	s_mov_b32 s2, -1
	s_waitcnt vmcnt(0)
	v_lshlrev_b32_e32 v6, 23, v3
	v_cmp_ne_u32_e32 vcc_lo, 0xff, v3
	s_delay_alu instid0(VALU_DEP_2) | instskip(SKIP_1) | instid1(VALU_DEP_2)
	v_cndmask_b32_e32 v6, 0x7f800001, v6, vcc_lo
	v_cmp_ne_u32_e32 vcc_lo, 0, v3
	v_cndmask_b32_e32 v3, 0x400000, v6, vcc_lo
	s_branch .LBB329_570
.LBB329_569:
	s_mov_b32 s3, -1
                                        ; implicit-def: $vgpr3
.LBB329_570:
	s_mov_b32 s24, 0
.LBB329_571:
	s_delay_alu instid0(SALU_CYCLE_1)
	s_and_b32 vcc_lo, exec_lo, s24
	s_cbranch_vccz .LBB329_575
; %bb.572:
	v_cmp_eq_u16_e32 vcc_lo, 29, v4
	s_cbranch_vccz .LBB329_574
; %bb.573:
	global_load_b64 v[6:7], v[1:2], off
	s_mov_b32 s2, -1
	s_mov_b32 s3, 0
	s_mov_b32 s24, 0
	s_waitcnt vmcnt(0)
	v_clz_i32_u32_e32 v3, v7
	s_delay_alu instid0(VALU_DEP_1) | instskip(NEXT) | instid1(VALU_DEP_1)
	v_min_u32_e32 v3, 32, v3
	v_lshlrev_b64 v[6:7], v3, v[6:7]
	v_sub_nc_u32_e32 v3, 32, v3
	s_delay_alu instid0(VALU_DEP_2) | instskip(NEXT) | instid1(VALU_DEP_1)
	v_min_u32_e32 v6, 1, v6
	v_or_b32_e32 v6, v7, v6
	s_delay_alu instid0(VALU_DEP_1) | instskip(NEXT) | instid1(VALU_DEP_1)
	v_cvt_f32_u32_e32 v6, v6
	v_ldexp_f32 v3, v6, v3
	s_branch .LBB329_576
.LBB329_574:
	s_mov_b32 s3, -1
                                        ; implicit-def: $vgpr3
.LBB329_575:
	s_mov_b32 s24, 0
.LBB329_576:
	s_delay_alu instid0(SALU_CYCLE_1)
	s_and_b32 vcc_lo, exec_lo, s24
	s_cbranch_vccz .LBB329_594
; %bb.577:
	v_cmp_gt_i16_e32 vcc_lo, 27, v4
	s_cbranch_vccnz .LBB329_580
; %bb.578:
	v_cmp_lt_i16_e32 vcc_lo, 27, v4
	s_cbranch_vccz .LBB329_581
; %bb.579:
	global_load_b32 v3, v[1:2], off
	s_mov_b32 s2, 0
	s_waitcnt vmcnt(0)
	v_cvt_f32_u32_e32 v3, v3
	s_branch .LBB329_582
.LBB329_580:
	s_mov_b32 s2, -1
                                        ; implicit-def: $vgpr3
	s_branch .LBB329_585
.LBB329_581:
	s_mov_b32 s2, -1
                                        ; implicit-def: $vgpr3
.LBB329_582:
	s_delay_alu instid0(SALU_CYCLE_1)
	s_and_not1_b32 vcc_lo, exec_lo, s2
	s_cbranch_vccnz .LBB329_584
; %bb.583:
	global_load_u16 v3, v[1:2], off
	s_waitcnt vmcnt(0)
	v_cvt_f32_u32_e32 v3, v3
.LBB329_584:
	s_mov_b32 s2, 0
.LBB329_585:
	s_delay_alu instid0(SALU_CYCLE_1)
	s_and_not1_b32 vcc_lo, exec_lo, s2
	s_cbranch_vccnz .LBB329_593
; %bb.586:
	global_load_u8 v6, v[1:2], off
	s_mov_b32 s2, 0
	s_mov_b32 s25, exec_lo
                                        ; implicit-def: $sgpr24
	s_waitcnt vmcnt(0)
	v_cmpx_lt_i16_e32 0x7f, v6
	s_xor_b32 s25, exec_lo, s25
	s_cbranch_execz .LBB329_607
; %bb.587:
	s_mov_b32 s2, -1
	s_mov_b32 s44, exec_lo
                                        ; implicit-def: $sgpr24
	v_cmpx_eq_u16_e32 0x80, v6
; %bb.588:
	s_mov_b32 s24, 0x7f800001
	s_xor_b32 s2, exec_lo, -1
; %bb.589:
	s_or_b32 exec_lo, exec_lo, s44
	s_delay_alu instid0(SALU_CYCLE_1)
	s_and_b32 s2, s2, exec_lo
	s_or_saveexec_b32 s25, s25
	v_mov_b32_e32 v3, s24
	s_xor_b32 exec_lo, exec_lo, s25
	s_cbranch_execnz .LBB329_608
.LBB329_590:
	s_or_b32 exec_lo, exec_lo, s25
	s_and_saveexec_b32 s24, s2
	s_cbranch_execz .LBB329_592
.LBB329_591:
	v_and_b32_e32 v3, 0xffff, v6
	s_delay_alu instid0(VALU_DEP_1) | instskip(NEXT) | instid1(VALU_DEP_1)
	v_and_b32_e32 v7, 7, v3
	v_clz_i32_u32_e32 v8, v7
	s_delay_alu instid0(VALU_DEP_1) | instskip(NEXT) | instid1(VALU_DEP_1)
	v_min_u32_e32 v8, 32, v8
	v_subrev_nc_u32_e32 v9, 28, v8
	v_sub_nc_u32_e32 v8, 29, v8
	s_delay_alu instid0(VALU_DEP_2) | instskip(SKIP_1) | instid1(VALU_DEP_2)
	v_lshlrev_b32_e32 v9, v9, v3
	v_bfe_u32 v3, v3, 3, 4
	v_and_b32_e32 v9, 7, v9
	s_delay_alu instid0(VALU_DEP_2) | instskip(SKIP_1) | instid1(VALU_DEP_1)
	v_cmp_eq_u32_e32 vcc_lo, 0, v3
	v_dual_cndmask_b32 v3, v3, v8 :: v_dual_lshlrev_b32 v6, 24, v6
	v_dual_cndmask_b32 v7, v7, v9 :: v_dual_and_b32 v6, 0x80000000, v6
	s_delay_alu instid0(VALU_DEP_2) | instskip(NEXT) | instid1(VALU_DEP_2)
	v_lshl_add_u32 v3, v3, 23, 0x3b800000
	v_lshlrev_b32_e32 v7, 20, v7
	s_delay_alu instid0(VALU_DEP_1)
	v_or3_b32 v3, v6, v3, v7
.LBB329_592:
	s_or_b32 exec_lo, exec_lo, s24
.LBB329_593:
	s_mov_b32 s2, -1
.LBB329_594:
	s_mov_b32 s24, 0
.LBB329_595:
	s_delay_alu instid0(SALU_CYCLE_1)
	s_and_b32 vcc_lo, exec_lo, s24
	s_cbranch_vccz .LBB329_630
; %bb.596:
	v_cmp_lt_i16_e32 vcc_lo, 22, v4
	s_cbranch_vccz .LBB329_606
; %bb.597:
	v_cmp_gt_i16_e32 vcc_lo, 24, v4
	s_cbranch_vccnz .LBB329_609
; %bb.598:
	v_cmp_lt_i16_e32 vcc_lo, 24, v4
	s_cbranch_vccz .LBB329_610
; %bb.599:
	global_load_u8 v6, v[1:2], off
	s_mov_b32 s2, 0
	s_mov_b32 s25, exec_lo
                                        ; implicit-def: $sgpr24
	s_waitcnt vmcnt(0)
	v_cmpx_lt_i16_e32 0x7f, v6
	s_xor_b32 s25, exec_lo, s25
	s_cbranch_execz .LBB329_622
; %bb.600:
	s_mov_b32 s2, -1
	s_mov_b32 s44, exec_lo
                                        ; implicit-def: $sgpr24
	v_cmpx_eq_u16_e32 0x80, v6
; %bb.601:
	s_mov_b32 s24, 0x7f800001
	s_xor_b32 s2, exec_lo, -1
; %bb.602:
	s_or_b32 exec_lo, exec_lo, s44
	s_delay_alu instid0(SALU_CYCLE_1)
	s_and_b32 s2, s2, exec_lo
	s_or_saveexec_b32 s25, s25
	v_mov_b32_e32 v3, s24
	s_xor_b32 exec_lo, exec_lo, s25
	s_cbranch_execnz .LBB329_623
.LBB329_603:
	s_or_b32 exec_lo, exec_lo, s25
	s_and_saveexec_b32 s24, s2
	s_cbranch_execz .LBB329_605
.LBB329_604:
	v_and_b32_e32 v3, 0xffff, v6
	s_delay_alu instid0(VALU_DEP_1) | instskip(NEXT) | instid1(VALU_DEP_1)
	v_and_b32_e32 v7, 3, v3
	v_clz_i32_u32_e32 v8, v7
	s_delay_alu instid0(VALU_DEP_1) | instskip(NEXT) | instid1(VALU_DEP_1)
	v_min_u32_e32 v8, 32, v8
	v_subrev_nc_u32_e32 v9, 29, v8
	v_sub_nc_u32_e32 v8, 30, v8
	s_delay_alu instid0(VALU_DEP_2) | instskip(SKIP_1) | instid1(VALU_DEP_2)
	v_lshlrev_b32_e32 v9, v9, v3
	v_bfe_u32 v3, v3, 2, 5
	v_and_b32_e32 v9, 3, v9
	s_delay_alu instid0(VALU_DEP_2) | instskip(SKIP_1) | instid1(VALU_DEP_1)
	v_cmp_eq_u32_e32 vcc_lo, 0, v3
	v_dual_cndmask_b32 v3, v3, v8 :: v_dual_lshlrev_b32 v6, 24, v6
	v_dual_cndmask_b32 v7, v7, v9 :: v_dual_and_b32 v6, 0x80000000, v6
	s_delay_alu instid0(VALU_DEP_2) | instskip(NEXT) | instid1(VALU_DEP_2)
	v_lshl_add_u32 v3, v3, 23, 0x37800000
	v_lshlrev_b32_e32 v7, 21, v7
	s_delay_alu instid0(VALU_DEP_1)
	v_or3_b32 v3, v6, v3, v7
.LBB329_605:
	s_or_b32 exec_lo, exec_lo, s24
	s_mov_b32 s2, 0
	s_branch .LBB329_611
.LBB329_606:
	s_mov_b32 s24, -1
                                        ; implicit-def: $vgpr3
	s_branch .LBB329_617
.LBB329_607:
	s_or_saveexec_b32 s25, s25
	v_mov_b32_e32 v3, s24
	s_xor_b32 exec_lo, exec_lo, s25
	s_cbranch_execz .LBB329_590
.LBB329_608:
	v_cmp_ne_u16_e32 vcc_lo, 0, v6
	v_mov_b32_e32 v3, 0
	s_and_not1_b32 s2, s2, exec_lo
	s_and_b32 s24, vcc_lo, exec_lo
	s_delay_alu instid0(SALU_CYCLE_1)
	s_or_b32 s2, s2, s24
	s_or_b32 exec_lo, exec_lo, s25
	s_and_saveexec_b32 s24, s2
	s_cbranch_execnz .LBB329_591
	s_branch .LBB329_592
.LBB329_609:
	s_mov_b32 s2, -1
                                        ; implicit-def: $vgpr3
	s_branch .LBB329_614
.LBB329_610:
	s_mov_b32 s2, -1
                                        ; implicit-def: $vgpr3
.LBB329_611:
	s_delay_alu instid0(SALU_CYCLE_1)
	s_and_b32 vcc_lo, exec_lo, s2
	s_cbranch_vccz .LBB329_613
; %bb.612:
	global_load_u8 v3, v[1:2], off
	s_waitcnt vmcnt(0)
	v_lshlrev_b32_e32 v3, 24, v3
	s_delay_alu instid0(VALU_DEP_1) | instskip(NEXT) | instid1(VALU_DEP_1)
	v_and_b32_e32 v6, 0x7f000000, v3
	v_clz_i32_u32_e32 v7, v6
	v_cmp_ne_u32_e32 vcc_lo, 0, v6
	v_add_nc_u32_e32 v9, 0x1000000, v6
	s_delay_alu instid0(VALU_DEP_3) | instskip(NEXT) | instid1(VALU_DEP_1)
	v_min_u32_e32 v7, 32, v7
	v_sub_nc_u32_e64 v7, v7, 4 clamp
	s_delay_alu instid0(VALU_DEP_1) | instskip(SKIP_1) | instid1(VALU_DEP_2)
	v_lshlrev_b32_e32 v8, v7, v6
	v_lshlrev_b32_e32 v7, 23, v7
	v_lshrrev_b32_e32 v8, 4, v8
	s_delay_alu instid0(VALU_DEP_1) | instskip(SKIP_1) | instid1(VALU_DEP_2)
	v_sub_nc_u32_e32 v7, v8, v7
	v_ashrrev_i32_e32 v8, 8, v9
	v_add_nc_u32_e32 v7, 0x3c000000, v7
	s_delay_alu instid0(VALU_DEP_1) | instskip(NEXT) | instid1(VALU_DEP_1)
	v_and_or_b32 v7, 0x7f800000, v8, v7
	v_cndmask_b32_e32 v6, 0, v7, vcc_lo
	s_delay_alu instid0(VALU_DEP_1)
	v_and_or_b32 v3, 0x80000000, v3, v6
.LBB329_613:
	s_mov_b32 s2, 0
.LBB329_614:
	s_delay_alu instid0(SALU_CYCLE_1)
	s_and_not1_b32 vcc_lo, exec_lo, s2
	s_cbranch_vccnz .LBB329_616
; %bb.615:
	global_load_u8 v3, v[1:2], off
	s_waitcnt vmcnt(0)
	v_lshlrev_b32_e32 v6, 25, v3
	v_lshlrev_b16 v3, 8, v3
	s_delay_alu instid0(VALU_DEP_2) | instskip(NEXT) | instid1(VALU_DEP_2)
	v_lshrrev_b32_e32 v7, 4, v6
	v_and_or_b32 v8, 0x7f00, v3, 0.5
	v_cmp_gt_u32_e32 vcc_lo, 0x8000000, v6
	v_bfe_i32 v3, v3, 0, 16
	s_delay_alu instid0(VALU_DEP_4) | instskip(NEXT) | instid1(VALU_DEP_1)
	v_or_b32_e32 v7, 0x70000000, v7
	v_dual_add_f32 v8, -0.5, v8 :: v_dual_mul_f32 v7, 0x7800000, v7
	s_delay_alu instid0(VALU_DEP_1) | instskip(NEXT) | instid1(VALU_DEP_1)
	v_cndmask_b32_e32 v6, v7, v8, vcc_lo
	v_and_or_b32 v3, 0x80000000, v3, v6
.LBB329_616:
	s_mov_b32 s24, 0
	s_mov_b32 s2, -1
.LBB329_617:
	s_and_not1_b32 vcc_lo, exec_lo, s24
	s_cbranch_vccnz .LBB329_630
; %bb.618:
	v_cmp_lt_i16_e32 vcc_lo, 14, v4
	s_cbranch_vccz .LBB329_621
; %bb.619:
	v_cmp_eq_u16_e32 vcc_lo, 15, v4
	s_cbranch_vccz .LBB329_624
; %bb.620:
	global_load_u16 v3, v[1:2], off
	s_mov_b32 s2, -1
	s_mov_b32 s3, 0
	s_waitcnt vmcnt(0)
	v_lshlrev_b32_e32 v3, 16, v3
	s_branch .LBB329_625
.LBB329_621:
	s_mov_b32 s24, -1
                                        ; implicit-def: $vgpr3
	s_branch .LBB329_626
.LBB329_622:
	s_or_saveexec_b32 s25, s25
	v_mov_b32_e32 v3, s24
	s_xor_b32 exec_lo, exec_lo, s25
	s_cbranch_execz .LBB329_603
.LBB329_623:
	v_cmp_ne_u16_e32 vcc_lo, 0, v6
	v_mov_b32_e32 v3, 0
	s_and_not1_b32 s2, s2, exec_lo
	s_and_b32 s24, vcc_lo, exec_lo
	s_delay_alu instid0(SALU_CYCLE_1)
	s_or_b32 s2, s2, s24
	s_or_b32 exec_lo, exec_lo, s25
	s_and_saveexec_b32 s24, s2
	s_cbranch_execnz .LBB329_604
	s_branch .LBB329_605
.LBB329_624:
	s_mov_b32 s3, -1
                                        ; implicit-def: $vgpr3
.LBB329_625:
	s_mov_b32 s24, 0
.LBB329_626:
	s_delay_alu instid0(SALU_CYCLE_1)
	s_and_b32 vcc_lo, exec_lo, s24
	s_cbranch_vccz .LBB329_630
; %bb.627:
	v_cmp_eq_u16_e32 vcc_lo, 11, v4
	s_cbranch_vccz .LBB329_629
; %bb.628:
	global_load_u8 v3, v[1:2], off
	s_mov_b32 s3, 0
	s_mov_b32 s2, -1
	s_waitcnt vmcnt(0)
	v_cmp_ne_u16_e32 vcc_lo, 0, v3
	v_cndmask_b32_e64 v3, 0, 1.0, vcc_lo
	s_branch .LBB329_630
.LBB329_629:
	s_mov_b32 s3, -1
                                        ; implicit-def: $vgpr3
.LBB329_630:
	s_mov_b32 s24, 0
.LBB329_631:
	s_delay_alu instid0(SALU_CYCLE_1)
	s_and_b32 vcc_lo, exec_lo, s24
	s_cbranch_vccz .LBB329_680
; %bb.632:
	v_cmp_gt_i16_e32 vcc_lo, 5, v4
	s_cbranch_vccnz .LBB329_637
; %bb.633:
	v_cmp_gt_i16_e32 vcc_lo, 8, v4
	s_cbranch_vccnz .LBB329_638
	;; [unrolled: 3-line block ×3, first 2 shown]
; %bb.635:
	v_cmp_lt_i16_e32 vcc_lo, 9, v4
	s_cbranch_vccz .LBB329_640
; %bb.636:
	global_load_b64 v[6:7], v[1:2], off
	s_mov_b32 s2, 0
	s_waitcnt vmcnt(0)
	v_cvt_f32_f64_e32 v3, v[6:7]
	s_branch .LBB329_641
.LBB329_637:
	s_mov_b32 s2, -1
                                        ; implicit-def: $vgpr3
	s_branch .LBB329_659
.LBB329_638:
	s_mov_b32 s2, -1
                                        ; implicit-def: $vgpr3
	s_branch .LBB329_647
.LBB329_639:
	s_mov_b32 s2, -1
                                        ; implicit-def: $vgpr3
	s_branch .LBB329_644
.LBB329_640:
	s_mov_b32 s2, -1
                                        ; implicit-def: $vgpr3
.LBB329_641:
	s_delay_alu instid0(SALU_CYCLE_1)
	s_and_not1_b32 vcc_lo, exec_lo, s2
	s_cbranch_vccnz .LBB329_643
; %bb.642:
	global_load_b32 v3, v[1:2], off
.LBB329_643:
	s_mov_b32 s2, 0
.LBB329_644:
	s_delay_alu instid0(SALU_CYCLE_1)
	s_and_not1_b32 vcc_lo, exec_lo, s2
	s_cbranch_vccnz .LBB329_646
; %bb.645:
	global_load_b32 v3, v[1:2], off
	s_waitcnt vmcnt(0)
	v_cvt_f32_f16_e32 v3, v3
.LBB329_646:
	s_mov_b32 s2, 0
.LBB329_647:
	s_delay_alu instid0(SALU_CYCLE_1)
	s_and_not1_b32 vcc_lo, exec_lo, s2
	s_cbranch_vccnz .LBB329_658
; %bb.648:
	v_cmp_gt_i16_e32 vcc_lo, 6, v4
	s_cbranch_vccnz .LBB329_651
; %bb.649:
	v_cmp_lt_i16_e32 vcc_lo, 6, v4
	s_cbranch_vccz .LBB329_652
; %bb.650:
	global_load_b64 v[6:7], v[1:2], off
	s_mov_b32 s2, 0
	s_waitcnt vmcnt(0)
	v_cvt_f32_f64_e32 v3, v[6:7]
	s_branch .LBB329_653
.LBB329_651:
	s_mov_b32 s2, -1
                                        ; implicit-def: $vgpr3
	s_branch .LBB329_656
.LBB329_652:
	s_mov_b32 s2, -1
                                        ; implicit-def: $vgpr3
.LBB329_653:
	s_delay_alu instid0(SALU_CYCLE_1)
	s_and_not1_b32 vcc_lo, exec_lo, s2
	s_cbranch_vccnz .LBB329_655
; %bb.654:
	global_load_b32 v3, v[1:2], off
.LBB329_655:
	s_mov_b32 s2, 0
.LBB329_656:
	s_delay_alu instid0(SALU_CYCLE_1)
	s_and_not1_b32 vcc_lo, exec_lo, s2
	s_cbranch_vccnz .LBB329_658
; %bb.657:
	global_load_u16 v3, v[1:2], off
	s_waitcnt vmcnt(0)
	v_cvt_f32_f16_e32 v3, v3
.LBB329_658:
	s_mov_b32 s2, 0
.LBB329_659:
	s_delay_alu instid0(SALU_CYCLE_1)
	s_and_not1_b32 vcc_lo, exec_lo, s2
	s_cbranch_vccnz .LBB329_679
; %bb.660:
	v_cmp_gt_i16_e32 vcc_lo, 2, v4
	s_cbranch_vccnz .LBB329_664
; %bb.661:
	v_cmp_gt_i16_e32 vcc_lo, 3, v4
	s_cbranch_vccnz .LBB329_665
; %bb.662:
	v_cmp_lt_i16_e32 vcc_lo, 3, v4
	s_cbranch_vccz .LBB329_666
; %bb.663:
	global_load_b64 v[6:7], v[1:2], off
	s_mov_b32 s2, 0
	s_waitcnt vmcnt(0)
	v_xor_b32_e32 v3, v6, v7
	v_cls_i32_e32 v8, v7
	s_delay_alu instid0(VALU_DEP_2) | instskip(NEXT) | instid1(VALU_DEP_2)
	v_ashrrev_i32_e32 v3, 31, v3
	v_add_nc_u32_e32 v8, -1, v8
	s_delay_alu instid0(VALU_DEP_2) | instskip(NEXT) | instid1(VALU_DEP_1)
	v_add_nc_u32_e32 v3, 32, v3
	v_min_u32_e32 v3, v8, v3
	s_delay_alu instid0(VALU_DEP_1) | instskip(SKIP_1) | instid1(VALU_DEP_2)
	v_lshlrev_b64 v[6:7], v3, v[6:7]
	v_sub_nc_u32_e32 v3, 32, v3
	v_min_u32_e32 v6, 1, v6
	s_delay_alu instid0(VALU_DEP_1) | instskip(NEXT) | instid1(VALU_DEP_1)
	v_or_b32_e32 v6, v7, v6
	v_cvt_f32_i32_e32 v6, v6
	s_delay_alu instid0(VALU_DEP_1)
	v_ldexp_f32 v3, v6, v3
	s_branch .LBB329_667
.LBB329_664:
	s_mov_b32 s2, -1
                                        ; implicit-def: $vgpr3
	s_branch .LBB329_673
.LBB329_665:
	s_mov_b32 s2, -1
                                        ; implicit-def: $vgpr3
	s_branch .LBB329_670
.LBB329_666:
	s_mov_b32 s2, -1
                                        ; implicit-def: $vgpr3
.LBB329_667:
	s_delay_alu instid0(SALU_CYCLE_1)
	s_and_not1_b32 vcc_lo, exec_lo, s2
	s_cbranch_vccnz .LBB329_669
; %bb.668:
	global_load_b32 v3, v[1:2], off
	s_waitcnt vmcnt(0)
	v_cvt_f32_i32_e32 v3, v3
.LBB329_669:
	s_mov_b32 s2, 0
.LBB329_670:
	s_delay_alu instid0(SALU_CYCLE_1)
	s_and_not1_b32 vcc_lo, exec_lo, s2
	s_cbranch_vccnz .LBB329_672
; %bb.671:
	global_load_i16 v3, v[1:2], off
	s_waitcnt vmcnt(0)
	v_cvt_f32_i32_e32 v3, v3
.LBB329_672:
	s_mov_b32 s2, 0
.LBB329_673:
	s_delay_alu instid0(SALU_CYCLE_1)
	s_and_not1_b32 vcc_lo, exec_lo, s2
	s_cbranch_vccnz .LBB329_679
; %bb.674:
	v_cmp_lt_i16_e32 vcc_lo, 0, v4
	s_mov_b32 s2, 0
	s_cbranch_vccz .LBB329_676
; %bb.675:
	global_load_i8 v3, v[1:2], off
	s_waitcnt vmcnt(0)
	v_cvt_f32_i32_e32 v3, v3
	s_branch .LBB329_677
.LBB329_676:
	s_mov_b32 s2, -1
                                        ; implicit-def: $vgpr3
.LBB329_677:
	s_delay_alu instid0(SALU_CYCLE_1)
	s_and_not1_b32 vcc_lo, exec_lo, s2
	s_cbranch_vccnz .LBB329_679
; %bb.678:
	global_load_u8 v1, v[1:2], off
	s_waitcnt vmcnt(0)
	v_cvt_f32_ubyte0_e32 v3, v1
.LBB329_679:
	s_mov_b32 s2, -1
.LBB329_680:
	s_delay_alu instid0(SALU_CYCLE_1)
	s_and_not1_b32 vcc_lo, exec_lo, s2
	s_cbranch_vccnz .LBB329_688
; %bb.681:
	v_max_f32_e64 v1, s18, s18
	s_waitcnt vmcnt(0)
	s_delay_alu instid0(VALU_DEP_2)
	v_max_f32_e32 v2, v3, v3
	v_max_f32_e64 v7, s19, s19
	v_and_b32_e64 v6, 0xff, s31
	v_cmp_u_f32_e64 s2, v3, v3
	s_mov_b32 s24, 0
	s_mov_b32 s25, -1
	v_maxmin_f32 v1, v2, v1, v7
	v_cmp_gt_i16_e32 vcc_lo, 11, v6
	s_delay_alu instid0(VALU_DEP_2) | instskip(SKIP_1) | instid1(VALU_DEP_1)
	v_cndmask_b32_e64 v2, v1, v3, s2
	v_add_co_u32 v0, s2, s4, v0
	v_add_co_ci_u32_e64 v1, null, s5, 0, s2
	s_mov_b32 s2, s41
	s_cbranch_vccnz .LBB329_689
; %bb.682:
	v_cmp_lt_i16_e32 vcc_lo, 25, v6
	s_cbranch_vccz .LBB329_730
; %bb.683:
	v_cmp_lt_i16_e32 vcc_lo, 28, v6
	s_cbranch_vccz .LBB329_731
; %bb.684:
	v_cmp_lt_i16_e32 vcc_lo, 43, v6
	s_cbranch_vccz .LBB329_732
; %bb.685:
	v_cmp_lt_i16_e32 vcc_lo, 45, v6
	s_cbranch_vccz .LBB329_733
; %bb.686:
	v_cmp_eq_u16_e32 vcc_lo, 46, v6
	s_mov_b32 s25, 0
	s_mov_b32 s2, -1
	s_cbranch_vccz .LBB329_734
; %bb.687:
	v_bfe_u32 v3, v2, 16, 1
	v_cmp_o_f32_e32 vcc_lo, v2, v2
	s_mov_b32 s24, -1
	s_mov_b32 s2, 0
	s_delay_alu instid0(VALU_DEP_2) | instskip(NEXT) | instid1(VALU_DEP_1)
	v_add3_u32 v3, v2, v3, 0x7fff
	v_lshrrev_b32_e32 v3, 16, v3
	s_delay_alu instid0(VALU_DEP_1)
	v_cndmask_b32_e32 v3, 0x7fc0, v3, vcc_lo
	global_store_b32 v[0:1], v3, off
	s_branch .LBB329_734
.LBB329_688:
	s_mov_b32 s44, 0
	s_mov_b32 s2, s41
	s_branch .LBB329_729
.LBB329_689:
	s_and_b32 vcc_lo, exec_lo, s25
	s_cbranch_vccz .LBB329_803
; %bb.690:
	v_cmp_gt_i16_e32 vcc_lo, 5, v6
	s_mov_b32 s24, -1
	s_cbranch_vccnz .LBB329_711
; %bb.691:
	v_cmp_gt_i16_e32 vcc_lo, 8, v6
	s_cbranch_vccnz .LBB329_701
; %bb.692:
	v_cmp_gt_i16_e32 vcc_lo, 9, v6
	s_cbranch_vccnz .LBB329_698
; %bb.693:
	v_cmp_lt_i16_e32 vcc_lo, 9, v6
	s_cbranch_vccz .LBB329_695
; %bb.694:
	v_cvt_f64_f32_e32 v[7:8], v2
	v_mov_b32_e32 v9, 0
	s_mov_b32 s24, 0
	s_delay_alu instid0(VALU_DEP_1)
	v_mov_b32_e32 v10, v9
	global_store_b128 v[0:1], v[7:10], off
.LBB329_695:
	s_and_not1_b32 vcc_lo, exec_lo, s24
	s_cbranch_vccnz .LBB329_697
; %bb.696:
	v_mov_b32_e32 v3, 0
	global_store_b64 v[0:1], v[2:3], off
.LBB329_697:
	s_mov_b32 s24, 0
.LBB329_698:
	s_delay_alu instid0(SALU_CYCLE_1)
	s_and_not1_b32 vcc_lo, exec_lo, s24
	s_cbranch_vccnz .LBB329_700
; %bb.699:
	v_cvt_f16_f32_e32 v3, v2
	s_delay_alu instid0(VALU_DEP_1)
	v_and_b32_e32 v3, 0xffff, v3
	global_store_b32 v[0:1], v3, off
.LBB329_700:
	s_mov_b32 s24, 0
.LBB329_701:
	s_delay_alu instid0(SALU_CYCLE_1)
	s_and_not1_b32 vcc_lo, exec_lo, s24
	s_cbranch_vccnz .LBB329_710
; %bb.702:
	v_cmp_gt_i16_e32 vcc_lo, 6, v6
	s_mov_b32 s24, -1
	s_cbranch_vccnz .LBB329_708
; %bb.703:
	v_cmp_lt_i16_e32 vcc_lo, 6, v6
	s_cbranch_vccz .LBB329_705
; %bb.704:
	v_cvt_f64_f32_e32 v[7:8], v2
	s_mov_b32 s24, 0
	global_store_b64 v[0:1], v[7:8], off
.LBB329_705:
	s_and_not1_b32 vcc_lo, exec_lo, s24
	s_cbranch_vccnz .LBB329_707
; %bb.706:
	global_store_b32 v[0:1], v2, off
.LBB329_707:
	s_mov_b32 s24, 0
.LBB329_708:
	s_delay_alu instid0(SALU_CYCLE_1)
	s_and_not1_b32 vcc_lo, exec_lo, s24
	s_cbranch_vccnz .LBB329_710
; %bb.709:
	v_cvt_f16_f32_e32 v3, v2
	global_store_b16 v[0:1], v3, off
.LBB329_710:
	s_mov_b32 s24, 0
.LBB329_711:
	s_delay_alu instid0(SALU_CYCLE_1)
	s_and_not1_b32 vcc_lo, exec_lo, s24
	s_cbranch_vccnz .LBB329_727
; %bb.712:
	v_cmp_gt_i16_e32 vcc_lo, 2, v6
	s_mov_b32 s24, -1
	s_cbranch_vccnz .LBB329_722
; %bb.713:
	v_cmp_gt_i16_e32 vcc_lo, 3, v6
	s_cbranch_vccnz .LBB329_719
; %bb.714:
	v_cmp_lt_i16_e32 vcc_lo, 3, v6
	s_cbranch_vccz .LBB329_716
; %bb.715:
	v_trunc_f32_e32 v3, v2
	s_mov_b32 s24, 0
	s_delay_alu instid0(VALU_DEP_1) | instskip(NEXT) | instid1(VALU_DEP_1)
	v_mul_f32_e64 v7, 0x2f800000, |v3|
	v_floor_f32_e32 v7, v7
	s_delay_alu instid0(VALU_DEP_1) | instskip(SKIP_2) | instid1(VALU_DEP_3)
	v_fma_f32 v8, 0xcf800000, v7, |v3|
	v_ashrrev_i32_e32 v3, 31, v3
	v_cvt_u32_f32_e32 v7, v7
	v_cvt_u32_f32_e32 v8, v8
	s_delay_alu instid0(VALU_DEP_2) | instskip(NEXT) | instid1(VALU_DEP_2)
	v_xor_b32_e32 v9, v7, v3
	v_xor_b32_e32 v8, v8, v3
	s_delay_alu instid0(VALU_DEP_1) | instskip(NEXT) | instid1(VALU_DEP_3)
	v_sub_co_u32 v7, vcc_lo, v8, v3
	v_sub_co_ci_u32_e32 v8, vcc_lo, v9, v3, vcc_lo
	global_store_b64 v[0:1], v[7:8], off
.LBB329_716:
	s_and_not1_b32 vcc_lo, exec_lo, s24
	s_cbranch_vccnz .LBB329_718
; %bb.717:
	v_cvt_i32_f32_e32 v3, v2
	global_store_b32 v[0:1], v3, off
.LBB329_718:
	s_mov_b32 s24, 0
.LBB329_719:
	s_delay_alu instid0(SALU_CYCLE_1)
	s_and_not1_b32 vcc_lo, exec_lo, s24
	s_cbranch_vccnz .LBB329_721
; %bb.720:
	v_cvt_i32_f32_e32 v3, v2
	global_store_b16 v[0:1], v3, off
.LBB329_721:
	s_mov_b32 s24, 0
.LBB329_722:
	s_delay_alu instid0(SALU_CYCLE_1)
	s_and_not1_b32 vcc_lo, exec_lo, s24
	s_cbranch_vccnz .LBB329_727
; %bb.723:
	v_cmp_lt_i16_e32 vcc_lo, 0, v6
	s_mov_b32 s24, -1
	s_cbranch_vccz .LBB329_725
; %bb.724:
	v_cvt_i32_f32_e32 v3, v2
	s_mov_b32 s24, 0
	global_store_b8 v[0:1], v3, off
.LBB329_725:
	s_and_not1_b32 vcc_lo, exec_lo, s24
	s_cbranch_vccnz .LBB329_727
; %bb.726:
	v_trunc_f32_e32 v2, v2
	s_delay_alu instid0(VALU_DEP_1) | instskip(NEXT) | instid1(VALU_DEP_1)
	v_mul_f32_e64 v3, 0x2f800000, |v2|
	v_floor_f32_e32 v3, v3
	s_delay_alu instid0(VALU_DEP_1) | instskip(SKIP_1) | instid1(VALU_DEP_2)
	v_fma_f32 v3, 0xcf800000, v3, |v2|
	v_ashrrev_i32_e32 v2, 31, v2
	v_cvt_u32_f32_e32 v3, v3
	s_delay_alu instid0(VALU_DEP_1) | instskip(NEXT) | instid1(VALU_DEP_1)
	v_xor_b32_e32 v3, v3, v2
	v_sub_nc_u32_e32 v2, v3, v2
	global_store_b8 v[0:1], v2, off
.LBB329_727:
	s_branch .LBB329_804
.LBB329_728:
	s_mov_b32 s44, 0
.LBB329_729:
                                        ; implicit-def: $vgpr5
	s_branch .LBB329_805
.LBB329_730:
	s_mov_b32 s2, s41
	s_branch .LBB329_761
.LBB329_731:
	s_mov_b32 s2, s41
	s_branch .LBB329_744
.LBB329_732:
	s_mov_b32 s2, s41
	s_branch .LBB329_740
.LBB329_733:
	s_mov_b32 s2, s41
.LBB329_734:
	s_and_b32 vcc_lo, exec_lo, s25
	s_cbranch_vccz .LBB329_739
; %bb.735:
	v_cmp_eq_u16_e32 vcc_lo, 44, v6
	s_mov_b32 s2, -1
	s_cbranch_vccz .LBB329_739
; %bb.736:
	v_bfe_u32 v7, v2, 23, 8
	v_mov_b32_e32 v3, 0xff
	s_mov_b32 s24, exec_lo
	s_delay_alu instid0(VALU_DEP_2)
	v_cmpx_ne_u32_e32 0xff, v7
; %bb.737:
	v_and_b32_e32 v3, 0x400000, v2
	v_and_or_b32 v7, 0x3fffff, v2, v7
	s_delay_alu instid0(VALU_DEP_2) | instskip(NEXT) | instid1(VALU_DEP_2)
	v_cmp_ne_u32_e32 vcc_lo, 0, v3
	v_cmp_ne_u32_e64 s2, 0, v7
	v_lshrrev_b32_e32 v3, 23, v2
	s_delay_alu instid0(VALU_DEP_2) | instskip(NEXT) | instid1(SALU_CYCLE_1)
	s_and_b32 s2, vcc_lo, s2
	v_cndmask_b32_e64 v7, 0, 1, s2
	s_delay_alu instid0(VALU_DEP_1)
	v_add_nc_u32_e32 v3, v3, v7
; %bb.738:
	s_or_b32 exec_lo, exec_lo, s24
	s_mov_b32 s24, -1
	s_mov_b32 s2, 0
	global_store_b8 v[0:1], v3, off
.LBB329_739:
	s_mov_b32 s25, 0
.LBB329_740:
	s_delay_alu instid0(SALU_CYCLE_1)
	s_and_b32 vcc_lo, exec_lo, s25
	s_cbranch_vccz .LBB329_743
; %bb.741:
	v_cmp_eq_u16_e32 vcc_lo, 29, v6
	s_mov_b32 s2, -1
	s_cbranch_vccz .LBB329_743
; %bb.742:
	v_trunc_f32_e32 v3, v2
	s_mov_b32 s24, -1
	s_mov_b32 s2, 0
	s_mov_b32 s25, 0
	s_delay_alu instid0(VALU_DEP_1) | instskip(NEXT) | instid1(VALU_DEP_1)
	v_mul_f32_e32 v7, 0x2f800000, v3
	v_floor_f32_e32 v7, v7
	s_delay_alu instid0(VALU_DEP_1) | instskip(SKIP_1) | instid1(VALU_DEP_2)
	v_fmamk_f32 v3, v7, 0xcf800000, v3
	v_cvt_u32_f32_e32 v8, v7
	v_cvt_u32_f32_e32 v7, v3
	global_store_b64 v[0:1], v[7:8], off
	s_branch .LBB329_744
.LBB329_743:
	s_mov_b32 s25, 0
.LBB329_744:
	s_delay_alu instid0(SALU_CYCLE_1)
	s_and_b32 vcc_lo, exec_lo, s25
	s_cbranch_vccz .LBB329_760
; %bb.745:
	v_cmp_gt_i16_e32 vcc_lo, 27, v6
	s_mov_b32 s24, -1
	s_cbranch_vccnz .LBB329_751
; %bb.746:
	v_cmp_lt_i16_e32 vcc_lo, 27, v6
	s_cbranch_vccz .LBB329_748
; %bb.747:
	v_cvt_u32_f32_e32 v3, v2
	s_mov_b32 s24, 0
	global_store_b32 v[0:1], v3, off
.LBB329_748:
	s_and_not1_b32 vcc_lo, exec_lo, s24
	s_cbranch_vccnz .LBB329_750
; %bb.749:
	v_cvt_u32_f32_e32 v3, v2
	global_store_b16 v[0:1], v3, off
.LBB329_750:
	s_mov_b32 s24, 0
.LBB329_751:
	s_delay_alu instid0(SALU_CYCLE_1)
	s_and_not1_b32 vcc_lo, exec_lo, s24
	s_cbranch_vccnz .LBB329_759
; %bb.752:
	v_and_b32_e32 v3, 0x7fffffff, v2
	v_mov_b32_e32 v7, 0x80
	s_mov_b32 s24, exec_lo
	s_delay_alu instid0(VALU_DEP_2)
	v_cmpx_gt_u32_e32 0x43800000, v3
	s_cbranch_execz .LBB329_758
; %bb.753:
	v_cmp_lt_u32_e32 vcc_lo, 0x3bffffff, v3
	s_mov_b32 s25, 0
                                        ; implicit-def: $vgpr3
	s_and_saveexec_b32 s44, vcc_lo
	s_delay_alu instid0(SALU_CYCLE_1)
	s_xor_b32 s44, exec_lo, s44
	s_cbranch_execz .LBB329_832
; %bb.754:
	v_bfe_u32 v3, v2, 20, 1
	s_mov_b32 s25, exec_lo
	s_delay_alu instid0(VALU_DEP_1) | instskip(NEXT) | instid1(VALU_DEP_1)
	v_add3_u32 v3, v2, v3, 0x487ffff
	v_lshrrev_b32_e32 v3, 20, v3
	s_or_saveexec_b32 s44, s44
                                        ; implicit-def: $sgpr45
	s_delay_alu instid0(SALU_CYCLE_1)
	s_xor_b32 exec_lo, exec_lo, s44
	s_cbranch_execnz .LBB329_833
.LBB329_755:
	s_or_b32 exec_lo, exec_lo, s44
	v_mov_b32_e32 v7, s45
	s_and_saveexec_b32 s44, s25
.LBB329_756:
	v_lshrrev_b32_e32 v7, 24, v2
	s_delay_alu instid0(VALU_DEP_1)
	v_and_or_b32 v7, 0x80, v7, v3
.LBB329_757:
	s_or_b32 exec_lo, exec_lo, s44
.LBB329_758:
	s_delay_alu instid0(SALU_CYCLE_1)
	s_or_b32 exec_lo, exec_lo, s24
	global_store_b8 v[0:1], v7, off
.LBB329_759:
	s_mov_b32 s24, -1
.LBB329_760:
	s_mov_b32 s25, 0
.LBB329_761:
	s_delay_alu instid0(SALU_CYCLE_1)
	s_and_b32 vcc_lo, exec_lo, s25
	s_cbranch_vccz .LBB329_802
; %bb.762:
	v_cmp_lt_i16_e32 vcc_lo, 22, v6
	s_mov_b32 s25, -1
	s_cbranch_vccz .LBB329_794
; %bb.763:
	v_cmp_gt_i16_e32 vcc_lo, 24, v6
	s_mov_b32 s24, -1
	s_cbranch_vccnz .LBB329_783
; %bb.764:
	v_cmp_lt_i16_e32 vcc_lo, 24, v6
	s_cbranch_vccz .LBB329_772
; %bb.765:
	v_and_b32_e32 v3, 0x7fffffff, v2
	v_mov_b32_e32 v7, 0x80
	s_mov_b32 s24, exec_lo
	s_delay_alu instid0(VALU_DEP_2)
	v_cmpx_gt_u32_e32 0x47800000, v3
	s_cbranch_execz .LBB329_771
; %bb.766:
	v_cmp_lt_u32_e32 vcc_lo, 0x37ffffff, v3
	s_mov_b32 s25, 0
                                        ; implicit-def: $vgpr3
	s_and_saveexec_b32 s44, vcc_lo
	s_delay_alu instid0(SALU_CYCLE_1)
	s_xor_b32 s44, exec_lo, s44
	s_cbranch_execz .LBB329_835
; %bb.767:
	v_bfe_u32 v3, v2, 21, 1
	s_mov_b32 s25, exec_lo
	s_delay_alu instid0(VALU_DEP_1) | instskip(NEXT) | instid1(VALU_DEP_1)
	v_add3_u32 v3, v2, v3, 0x88fffff
	v_lshrrev_b32_e32 v3, 21, v3
	s_or_saveexec_b32 s44, s44
                                        ; implicit-def: $sgpr45
	s_delay_alu instid0(SALU_CYCLE_1)
	s_xor_b32 exec_lo, exec_lo, s44
	s_cbranch_execnz .LBB329_836
.LBB329_768:
	s_or_b32 exec_lo, exec_lo, s44
	v_mov_b32_e32 v7, s45
	s_and_saveexec_b32 s44, s25
.LBB329_769:
	v_lshrrev_b32_e32 v7, 24, v2
	s_delay_alu instid0(VALU_DEP_1)
	v_and_or_b32 v7, 0x80, v7, v3
.LBB329_770:
	s_or_b32 exec_lo, exec_lo, s44
.LBB329_771:
	s_delay_alu instid0(SALU_CYCLE_1)
	s_or_b32 exec_lo, exec_lo, s24
	s_mov_b32 s24, 0
	global_store_b8 v[0:1], v7, off
.LBB329_772:
	s_and_b32 vcc_lo, exec_lo, s24
	s_cbranch_vccz .LBB329_782
; %bb.773:
	v_and_b32_e32 v7, 0x7fffffff, v2
	s_mov_b32 s24, exec_lo
                                        ; implicit-def: $vgpr3
	s_delay_alu instid0(VALU_DEP_1)
	v_cmpx_gt_u32_e32 0x43f00000, v7
	s_xor_b32 s24, exec_lo, s24
	s_cbranch_execz .LBB329_779
; %bb.774:
	s_mov_b32 s25, exec_lo
                                        ; implicit-def: $vgpr3
	v_cmpx_lt_u32_e32 0x3c7fffff, v7
	s_xor_b32 s25, exec_lo, s25
; %bb.775:
	v_bfe_u32 v3, v2, 20, 1
	s_delay_alu instid0(VALU_DEP_1) | instskip(NEXT) | instid1(VALU_DEP_1)
	v_add3_u32 v3, v2, v3, 0x407ffff
	v_and_b32_e32 v7, 0xff00000, v3
	v_lshrrev_b32_e32 v3, 20, v3
	s_delay_alu instid0(VALU_DEP_2) | instskip(NEXT) | instid1(VALU_DEP_2)
	v_cmp_ne_u32_e32 vcc_lo, 0x7f00000, v7
	v_cndmask_b32_e32 v3, 0x7e, v3, vcc_lo
; %bb.776:
	s_and_not1_saveexec_b32 s25, s25
; %bb.777:
	v_add_f32_e64 v3, 0x46800000, |v2|
; %bb.778:
	s_or_b32 exec_lo, exec_lo, s25
                                        ; implicit-def: $vgpr7
.LBB329_779:
	s_and_not1_saveexec_b32 s24, s24
; %bb.780:
	v_mov_b32_e32 v3, 0x7f
	v_cmp_lt_u32_e32 vcc_lo, 0x7f800000, v7
	s_delay_alu instid0(VALU_DEP_2)
	v_cndmask_b32_e32 v3, 0x7e, v3, vcc_lo
; %bb.781:
	s_or_b32 exec_lo, exec_lo, s24
	v_lshrrev_b32_e32 v7, 24, v2
	s_delay_alu instid0(VALU_DEP_1)
	v_and_or_b32 v3, 0x80, v7, v3
	global_store_b8 v[0:1], v3, off
.LBB329_782:
	s_mov_b32 s24, 0
.LBB329_783:
	s_delay_alu instid0(SALU_CYCLE_1)
	s_and_not1_b32 vcc_lo, exec_lo, s24
	s_cbranch_vccnz .LBB329_793
; %bb.784:
	v_and_b32_e32 v7, 0x7fffffff, v2
	s_mov_b32 s24, exec_lo
                                        ; implicit-def: $vgpr3
	s_delay_alu instid0(VALU_DEP_1)
	v_cmpx_gt_u32_e32 0x47800000, v7
	s_xor_b32 s24, exec_lo, s24
	s_cbranch_execz .LBB329_790
; %bb.785:
	s_mov_b32 s25, exec_lo
                                        ; implicit-def: $vgpr3
	v_cmpx_lt_u32_e32 0x387fffff, v7
	s_xor_b32 s25, exec_lo, s25
; %bb.786:
	v_bfe_u32 v3, v2, 21, 1
	s_delay_alu instid0(VALU_DEP_1) | instskip(NEXT) | instid1(VALU_DEP_1)
	v_add3_u32 v3, v2, v3, 0x80fffff
	v_lshrrev_b32_e32 v3, 21, v3
; %bb.787:
	s_and_not1_saveexec_b32 s25, s25
; %bb.788:
	v_add_f32_e64 v3, 0x43000000, |v2|
; %bb.789:
	s_or_b32 exec_lo, exec_lo, s25
                                        ; implicit-def: $vgpr7
.LBB329_790:
	s_and_not1_saveexec_b32 s24, s24
; %bb.791:
	v_mov_b32_e32 v3, 0x7f
	v_cmp_lt_u32_e32 vcc_lo, 0x7f800000, v7
	s_delay_alu instid0(VALU_DEP_2)
	v_cndmask_b32_e32 v3, 0x7c, v3, vcc_lo
; %bb.792:
	s_or_b32 exec_lo, exec_lo, s24
	v_lshrrev_b32_e32 v7, 24, v2
	s_delay_alu instid0(VALU_DEP_1)
	v_and_or_b32 v3, 0x80, v7, v3
	global_store_b8 v[0:1], v3, off
.LBB329_793:
	s_mov_b32 s25, 0
	s_mov_b32 s24, -1
.LBB329_794:
	s_and_not1_b32 vcc_lo, exec_lo, s25
	s_cbranch_vccnz .LBB329_802
; %bb.795:
	v_cmp_lt_i16_e32 vcc_lo, 14, v6
	s_mov_b32 s25, -1
	s_cbranch_vccz .LBB329_799
; %bb.796:
	v_cmp_eq_u16_e32 vcc_lo, 15, v6
	s_mov_b32 s2, -1
	s_cbranch_vccz .LBB329_798
; %bb.797:
	v_bfe_u32 v3, v2, 16, 1
	v_cmp_o_f32_e32 vcc_lo, v2, v2
	s_mov_b32 s24, -1
	s_mov_b32 s2, 0
	s_delay_alu instid0(VALU_DEP_2) | instskip(NEXT) | instid1(VALU_DEP_1)
	v_add3_u32 v3, v2, v3, 0x7fff
	v_lshrrev_b32_e32 v3, 16, v3
	s_delay_alu instid0(VALU_DEP_1)
	v_cndmask_b32_e32 v3, 0x7fc0, v3, vcc_lo
	global_store_b16 v[0:1], v3, off
.LBB329_798:
	s_mov_b32 s25, 0
.LBB329_799:
	s_delay_alu instid0(SALU_CYCLE_1)
	s_and_b32 vcc_lo, exec_lo, s25
	s_cbranch_vccz .LBB329_802
; %bb.800:
	v_cmp_eq_u16_e32 vcc_lo, 11, v6
	s_mov_b32 s2, -1
	s_cbranch_vccz .LBB329_802
; %bb.801:
	v_cmp_neq_f32_e32 vcc_lo, 0, v2
	s_mov_b32 s2, 0
	s_mov_b32 s24, -1
	v_cndmask_b32_e64 v3, 0, 1, vcc_lo
	global_store_b8 v[0:1], v3, off
.LBB329_802:
.LBB329_803:
	s_and_not1_b32 vcc_lo, exec_lo, s24
	s_cbranch_vccnz .LBB329_728
.LBB329_804:
	v_add_nc_u32_e32 v5, 0x80, v5
	s_mov_b32 s44, -1
.LBB329_805:
	s_and_not1_b32 s24, s41, exec_lo
	s_and_b32 s2, s2, exec_lo
	s_and_not1_b32 s45, s40, exec_lo
	s_and_b32 s3, s3, exec_lo
	s_or_b32 s25, s24, s2
	s_or_b32 s24, s45, s3
	s_or_not1_b32 s45, s44, exec_lo
.LBB329_806:
	s_or_b32 exec_lo, exec_lo, s43
	s_mov_b32 s2, 0
	s_mov_b32 s3, 0
	;; [unrolled: 1-line block ×3, first 2 shown]
                                        ; implicit-def: $vgpr1_vgpr2
                                        ; implicit-def: $vgpr0
                                        ; implicit-def: $vgpr6
	s_and_saveexec_b32 s43, s45
	s_cbranch_execz .LBB329_904
; %bb.807:
	v_cmp_gt_i32_e32 vcc_lo, s34, v5
	s_mov_b32 s46, s24
	s_mov_b32 s45, 0
                                        ; implicit-def: $vgpr1_vgpr2
                                        ; implicit-def: $vgpr0
                                        ; implicit-def: $vgpr6
	s_and_saveexec_b32 s34, vcc_lo
	s_cbranch_execz .LBB329_903
; %bb.808:
	s_and_not1_b32 vcc_lo, exec_lo, s29
	s_cbranch_vccnz .LBB329_813
; %bb.809:
	v_dual_mov_b32 v0, 0 :: v_dual_mov_b32 v1, 0
	s_and_not1_b32 vcc_lo, exec_lo, s36
	s_mov_b32 s36, 0
	s_cbranch_vccnz .LBB329_818
; %bb.810:
	v_mov_b32_e32 v0, 0
	s_add_i32 s44, s35, 1
	s_cmp_eq_u32 s27, 2
	s_mov_b32 s35, 0
	s_cbranch_scc1 .LBB329_814
; %bb.811:
	v_dual_mov_b32 v1, 0 :: v_dual_mov_b32 v0, 0
	v_mov_b32_e32 v2, v5
	s_and_b32 s35, s44, 28
	s_mov_b64 s[2:3], s[16:17]
.LBB329_812:                            ; =>This Inner Loop Header: Depth=1
	s_clause 0x1
	s_load_b256 s[48:55], s[2:3], 0x4
	s_load_b128 s[64:67], s[2:3], 0x24
	s_load_b256 s[56:63], s[22:23], 0x0
	s_add_u32 s2, s2, 48
	s_addc_u32 s3, s3, 0
	s_add_i32 s45, s45, 4
	s_add_u32 s22, s22, 32
	s_addc_u32 s23, s23, 0
	s_cmp_eq_u32 s35, s45
	s_waitcnt vmcnt(0) lgkmcnt(0)
	v_mul_hi_u32 v3, s49, v2
	s_delay_alu instid0(VALU_DEP_1) | instskip(NEXT) | instid1(VALU_DEP_1)
	v_add_nc_u32_e32 v3, v2, v3
	v_lshrrev_b32_e32 v3, s50, v3
	s_delay_alu instid0(VALU_DEP_1) | instskip(SKIP_1) | instid1(VALU_DEP_2)
	v_mul_hi_u32 v6, s52, v3
	v_mul_lo_u32 v8, v3, s48
	v_add_nc_u32_e32 v6, v3, v6
	s_delay_alu instid0(VALU_DEP_2) | instskip(NEXT) | instid1(VALU_DEP_2)
	v_sub_nc_u32_e32 v2, v2, v8
	v_lshrrev_b32_e32 v6, s53, v6
	s_delay_alu instid0(VALU_DEP_2) | instskip(SKIP_1) | instid1(VALU_DEP_3)
	v_mul_lo_u32 v8, v2, s56
	v_mul_lo_u32 v10, v2, s57
	v_mul_hi_u32 v7, s55, v6
	s_delay_alu instid0(VALU_DEP_1) | instskip(NEXT) | instid1(VALU_DEP_1)
	v_add_nc_u32_e32 v7, v6, v7
	v_lshrrev_b32_e32 v7, s64, v7
	s_delay_alu instid0(VALU_DEP_1) | instskip(SKIP_1) | instid1(VALU_DEP_2)
	v_mul_hi_u32 v9, s66, v7
	v_mul_lo_u32 v11, v7, s54
	v_add_nc_u32_e32 v2, v7, v9
	v_mul_lo_u32 v9, v6, s51
	s_delay_alu instid0(VALU_DEP_3) | instskip(NEXT) | instid1(VALU_DEP_3)
	v_sub_nc_u32_e32 v6, v6, v11
	v_lshrrev_b32_e32 v2, s67, v2
	s_delay_alu instid0(VALU_DEP_2) | instskip(SKIP_2) | instid1(VALU_DEP_4)
	v_mul_lo_u32 v11, v6, s60
	v_mul_lo_u32 v6, v6, s61
	v_sub_nc_u32_e32 v3, v3, v9
	v_mul_lo_u32 v12, v2, s65
	s_delay_alu instid0(VALU_DEP_2) | instskip(SKIP_1) | instid1(VALU_DEP_3)
	v_mul_lo_u32 v9, v3, s58
	v_mul_lo_u32 v3, v3, s59
	v_sub_nc_u32_e32 v7, v7, v12
	s_delay_alu instid0(VALU_DEP_3) | instskip(NEXT) | instid1(VALU_DEP_2)
	v_add3_u32 v0, v8, v0, v9
	v_mul_lo_u32 v12, v7, s62
	v_mul_lo_u32 v7, v7, s63
	v_add3_u32 v1, v10, v1, v3
	s_delay_alu instid0(VALU_DEP_3) | instskip(NEXT) | instid1(VALU_DEP_2)
	v_add3_u32 v0, v11, v0, v12
	v_add3_u32 v1, v6, v1, v7
	s_cbranch_scc0 .LBB329_812
	s_branch .LBB329_815
.LBB329_813:
	s_mov_b32 s36, -1
                                        ; implicit-def: $vgpr0
                                        ; implicit-def: $vgpr1
	s_branch .LBB329_818
.LBB329_814:
	v_dual_mov_b32 v2, v5 :: v_dual_mov_b32 v1, 0
.LBB329_815:
	s_and_b32 s44, s44, 3
	s_delay_alu instid0(SALU_CYCLE_1)
	s_cmp_eq_u32 s44, 0
	s_cbranch_scc1 .LBB329_818
; %bb.816:
	s_lshl_b32 s2, s35, 3
	s_mul_i32 s22, s35, 12
	s_add_u32 s2, s2, s16
	s_addc_u32 s3, s17, 0
	s_add_u32 s2, s2, 0xc4
	s_addc_u32 s3, s3, 0
	;; [unrolled: 2-line block ×3, first 2 shown]
.LBB329_817:                            ; =>This Inner Loop Header: Depth=1
	s_clause 0x1
	s_load_b64 s[46:47], s[22:23], 0x4
	s_load_b32 s35, s[22:23], 0xc
	s_load_b64 s[48:49], s[2:3], 0x0
	s_add_u32 s22, s22, 12
	s_addc_u32 s23, s23, 0
	s_add_u32 s2, s2, 8
	s_addc_u32 s3, s3, 0
	s_add_i32 s44, s44, -1
	s_delay_alu instid0(SALU_CYCLE_1) | instskip(SKIP_2) | instid1(VALU_DEP_1)
	s_cmp_lg_u32 s44, 0
	s_waitcnt vmcnt(0) lgkmcnt(0)
	v_mul_hi_u32 v3, s47, v2
	v_add_nc_u32_e32 v3, v2, v3
	s_delay_alu instid0(VALU_DEP_1) | instskip(NEXT) | instid1(VALU_DEP_1)
	v_lshrrev_b32_e32 v3, s35, v3
	v_mul_lo_u32 v6, v3, s46
	s_delay_alu instid0(VALU_DEP_1) | instskip(NEXT) | instid1(VALU_DEP_1)
	v_sub_nc_u32_e32 v2, v2, v6
	v_mad_u64_u32 v[6:7], null, v2, s48, v[0:1]
	v_mad_u64_u32 v[7:8], null, v2, s49, v[1:2]
	v_mov_b32_e32 v2, v3
	s_delay_alu instid0(VALU_DEP_2)
	v_dual_mov_b32 v0, v6 :: v_dual_mov_b32 v1, v7
	s_cbranch_scc1 .LBB329_817
.LBB329_818:
	s_and_not1_b32 vcc_lo, exec_lo, s36
	s_cbranch_vccnz .LBB329_821
; %bb.819:
	v_mul_hi_u32 v0, s13, v5
	s_and_not1_b32 vcc_lo, exec_lo, s33
	s_delay_alu instid0(VALU_DEP_1) | instskip(NEXT) | instid1(VALU_DEP_1)
	v_add_nc_u32_e32 v0, v5, v0
	v_lshrrev_b32_e32 v2, s14, v0
	s_delay_alu instid0(VALU_DEP_1) | instskip(NEXT) | instid1(VALU_DEP_1)
	v_mul_lo_u32 v0, v2, s12
	v_sub_nc_u32_e32 v1, v5, v0
	s_delay_alu instid0(VALU_DEP_1)
	v_mul_lo_u32 v0, v1, s8
	v_mul_lo_u32 v1, v1, s9
	s_cbranch_vccnz .LBB329_821
; %bb.820:
	s_waitcnt vmcnt(0)
	v_mul_hi_u32 v3, s20, v2
	s_delay_alu instid0(VALU_DEP_1) | instskip(NEXT) | instid1(VALU_DEP_1)
	v_add_nc_u32_e32 v3, v2, v3
	v_lshrrev_b32_e32 v3, s21, v3
	s_delay_alu instid0(VALU_DEP_1) | instskip(NEXT) | instid1(VALU_DEP_1)
	v_mul_lo_u32 v3, v3, s15
	v_sub_nc_u32_e32 v7, v2, v3
	s_delay_alu instid0(VALU_DEP_1) | instskip(NEXT) | instid1(VALU_DEP_1)
	v_mad_u64_u32 v[2:3], null, v7, s10, v[0:1]
	v_mad_u64_u32 v[5:6], null, v7, s11, v[1:2]
	s_delay_alu instid0(VALU_DEP_1)
	v_dual_mov_b32 v0, v2 :: v_dual_mov_b32 v1, v5
.LBB329_821:
	v_cmp_gt_i16_e32 vcc_lo, 11, v4
	s_delay_alu instid0(VALU_DEP_2) | instskip(NEXT) | instid1(VALU_DEP_1)
	v_add_co_u32 v1, s2, s6, v1
	v_add_co_ci_u32_e64 v2, null, s7, 0, s2
	s_mov_b32 s6, 0
	s_cbranch_vccnz .LBB329_828
; %bb.822:
	v_cmp_lt_i16_e32 vcc_lo, 25, v4
	s_mov_b32 s3, 0
	s_cbranch_vccz .LBB329_829
; %bb.823:
	v_cmp_lt_i16_e32 vcc_lo, 28, v4
	s_cbranch_vccz .LBB329_830
; %bb.824:
	v_cmp_lt_i16_e32 vcc_lo, 43, v4
	;; [unrolled: 3-line block ×3, first 2 shown]
	s_cbranch_vccz .LBB329_834
; %bb.826:
	v_cmp_eq_u16_e32 vcc_lo, 46, v4
	s_mov_b32 s7, 0
	s_cbranch_vccz .LBB329_837
; %bb.827:
	global_load_b32 v3, v[1:2], off
	s_mov_b32 s2, 0
	s_mov_b32 s6, -1
	s_waitcnt vmcnt(0)
	v_lshlrev_b32_e32 v6, 16, v3
	s_branch .LBB329_839
.LBB329_828:
	s_mov_b32 s7, -1
	s_mov_b32 s3, 0
	s_mov_b32 s2, s24
                                        ; implicit-def: $vgpr6
	s_branch .LBB329_902
.LBB329_829:
	s_mov_b32 s7, -1
	s_mov_b32 s2, s24
                                        ; implicit-def: $vgpr6
	s_branch .LBB329_868
.LBB329_830:
	s_mov_b32 s7, -1
	s_mov_b32 s2, s24
                                        ; implicit-def: $vgpr6
	s_branch .LBB329_849
.LBB329_831:
	s_mov_b32 s7, -1
	s_mov_b32 s2, s24
                                        ; implicit-def: $vgpr6
	s_branch .LBB329_844
.LBB329_832:
	s_or_saveexec_b32 s44, s44
                                        ; implicit-def: $sgpr45
	s_delay_alu instid0(SALU_CYCLE_1)
	s_xor_b32 exec_lo, exec_lo, s44
	s_cbranch_execz .LBB329_755
.LBB329_833:
	v_add_f32_e64 v3, 0x46000000, |v2|
	s_and_not1_b32 s25, s25, exec_lo
	s_mov_b32 s45, 0
	s_delay_alu instid0(VALU_DEP_1) | instskip(NEXT) | instid1(VALU_DEP_1)
	v_and_b32_e32 v3, 0xff, v3
	v_cmp_ne_u32_e32 vcc_lo, 0, v3
	s_and_b32 s46, vcc_lo, exec_lo
	s_delay_alu instid0(SALU_CYCLE_1)
	s_or_b32 s25, s25, s46
	s_or_b32 exec_lo, exec_lo, s44
	v_mov_b32_e32 v7, s45
	s_and_saveexec_b32 s44, s25
	s_cbranch_execnz .LBB329_756
	s_branch .LBB329_757
.LBB329_834:
	s_mov_b32 s7, -1
	s_mov_b32 s2, s24
	s_branch .LBB329_838
.LBB329_835:
	s_or_saveexec_b32 s44, s44
                                        ; implicit-def: $sgpr45
	s_delay_alu instid0(SALU_CYCLE_1)
	s_xor_b32 exec_lo, exec_lo, s44
	s_cbranch_execz .LBB329_768
.LBB329_836:
	v_add_f32_e64 v3, 0x42800000, |v2|
	s_and_not1_b32 s25, s25, exec_lo
	s_mov_b32 s45, 0
	s_delay_alu instid0(VALU_DEP_1) | instskip(NEXT) | instid1(VALU_DEP_1)
	v_and_b32_e32 v3, 0xff, v3
	v_cmp_ne_u32_e32 vcc_lo, 0, v3
	s_and_b32 s46, vcc_lo, exec_lo
	s_delay_alu instid0(SALU_CYCLE_1)
	s_or_b32 s25, s25, s46
	s_or_b32 exec_lo, exec_lo, s44
	v_mov_b32_e32 v7, s45
	s_and_saveexec_b32 s44, s25
	s_cbranch_execnz .LBB329_769
	s_branch .LBB329_770
.LBB329_837:
	s_mov_b32 s2, -1
.LBB329_838:
                                        ; implicit-def: $vgpr6
.LBB329_839:
	s_and_b32 vcc_lo, exec_lo, s7
	s_cbranch_vccz .LBB329_843
; %bb.840:
	v_cmp_eq_u16_e32 vcc_lo, 44, v4
	s_cbranch_vccz .LBB329_842
; %bb.841:
	global_load_u8 v3, v[1:2], off
	s_mov_b32 s2, 0
	s_mov_b32 s6, -1
	s_waitcnt vmcnt(0)
	v_lshlrev_b32_e32 v5, 23, v3
	v_cmp_ne_u32_e32 vcc_lo, 0xff, v3
	s_delay_alu instid0(VALU_DEP_2) | instskip(SKIP_1) | instid1(VALU_DEP_2)
	v_cndmask_b32_e32 v5, 0x7f800001, v5, vcc_lo
	v_cmp_ne_u32_e32 vcc_lo, 0, v3
	v_cndmask_b32_e32 v6, 0x400000, v5, vcc_lo
	s_branch .LBB329_843
.LBB329_842:
	s_mov_b32 s2, -1
                                        ; implicit-def: $vgpr6
.LBB329_843:
	s_mov_b32 s7, 0
.LBB329_844:
	s_delay_alu instid0(SALU_CYCLE_1)
	s_and_b32 vcc_lo, exec_lo, s7
	s_cbranch_vccz .LBB329_848
; %bb.845:
	v_cmp_eq_u16_e32 vcc_lo, 29, v4
	s_cbranch_vccz .LBB329_847
; %bb.846:
	global_load_b64 v[5:6], v[1:2], off
	s_mov_b32 s2, 0
	s_mov_b32 s6, -1
	s_mov_b32 s7, 0
	s_waitcnt vmcnt(0)
	v_clz_i32_u32_e32 v3, v6
	s_delay_alu instid0(VALU_DEP_1) | instskip(NEXT) | instid1(VALU_DEP_1)
	v_min_u32_e32 v3, 32, v3
	v_lshlrev_b64 v[5:6], v3, v[5:6]
	v_sub_nc_u32_e32 v3, 32, v3
	s_delay_alu instid0(VALU_DEP_2) | instskip(NEXT) | instid1(VALU_DEP_1)
	v_min_u32_e32 v5, 1, v5
	v_or_b32_e32 v5, v6, v5
	s_delay_alu instid0(VALU_DEP_1) | instskip(NEXT) | instid1(VALU_DEP_1)
	v_cvt_f32_u32_e32 v5, v5
	v_ldexp_f32 v6, v5, v3
	s_branch .LBB329_849
.LBB329_847:
	s_mov_b32 s2, -1
                                        ; implicit-def: $vgpr6
.LBB329_848:
	s_mov_b32 s7, 0
.LBB329_849:
	s_delay_alu instid0(SALU_CYCLE_1)
	s_and_b32 vcc_lo, exec_lo, s7
	s_cbranch_vccz .LBB329_867
; %bb.850:
	v_cmp_gt_i16_e32 vcc_lo, 27, v4
	s_cbranch_vccnz .LBB329_853
; %bb.851:
	v_cmp_lt_i16_e32 vcc_lo, 27, v4
	s_cbranch_vccz .LBB329_854
; %bb.852:
	global_load_b32 v3, v[1:2], off
	s_mov_b32 s6, 0
	s_waitcnt vmcnt(0)
	v_cvt_f32_u32_e32 v6, v3
	s_branch .LBB329_855
.LBB329_853:
	s_mov_b32 s6, -1
                                        ; implicit-def: $vgpr6
	s_branch .LBB329_858
.LBB329_854:
	s_mov_b32 s6, -1
                                        ; implicit-def: $vgpr6
.LBB329_855:
	s_delay_alu instid0(SALU_CYCLE_1)
	s_and_not1_b32 vcc_lo, exec_lo, s6
	s_cbranch_vccnz .LBB329_857
; %bb.856:
	global_load_u16 v3, v[1:2], off
	s_waitcnt vmcnt(0)
	v_cvt_f32_u32_e32 v6, v3
.LBB329_857:
	s_mov_b32 s6, 0
.LBB329_858:
	s_delay_alu instid0(SALU_CYCLE_1)
	s_and_not1_b32 vcc_lo, exec_lo, s6
	s_cbranch_vccnz .LBB329_866
; %bb.859:
	global_load_u8 v3, v[1:2], off
	s_mov_b32 s6, 0
	s_mov_b32 s8, exec_lo
                                        ; implicit-def: $sgpr7
	s_waitcnt vmcnt(0)
	v_cmpx_lt_i16_e32 0x7f, v3
	s_xor_b32 s8, exec_lo, s8
	s_cbranch_execz .LBB329_880
; %bb.860:
	s_mov_b32 s6, -1
	s_mov_b32 s9, exec_lo
                                        ; implicit-def: $sgpr7
	v_cmpx_eq_u16_e32 0x80, v3
; %bb.861:
	s_mov_b32 s7, 0x7f800001
	s_xor_b32 s6, exec_lo, -1
; %bb.862:
	s_or_b32 exec_lo, exec_lo, s9
	s_delay_alu instid0(SALU_CYCLE_1)
	s_and_b32 s6, s6, exec_lo
	s_or_saveexec_b32 s8, s8
	v_mov_b32_e32 v6, s7
	s_xor_b32 exec_lo, exec_lo, s8
	s_cbranch_execnz .LBB329_881
.LBB329_863:
	s_or_b32 exec_lo, exec_lo, s8
	s_and_saveexec_b32 s7, s6
	s_cbranch_execz .LBB329_865
.LBB329_864:
	v_and_b32_e32 v5, 0xffff, v3
	v_lshlrev_b32_e32 v3, 24, v3
	s_delay_alu instid0(VALU_DEP_2) | instskip(NEXT) | instid1(VALU_DEP_2)
	v_and_b32_e32 v6, 7, v5
	v_and_b32_e32 v3, 0x80000000, v3
	s_delay_alu instid0(VALU_DEP_2) | instskip(NEXT) | instid1(VALU_DEP_1)
	v_clz_i32_u32_e32 v7, v6
	v_min_u32_e32 v7, 32, v7
	s_delay_alu instid0(VALU_DEP_1) | instskip(SKIP_1) | instid1(VALU_DEP_2)
	v_subrev_nc_u32_e32 v8, 28, v7
	v_sub_nc_u32_e32 v7, 29, v7
	v_lshlrev_b32_e32 v8, v8, v5
	v_bfe_u32 v5, v5, 3, 4
	s_delay_alu instid0(VALU_DEP_2) | instskip(NEXT) | instid1(VALU_DEP_2)
	v_and_b32_e32 v8, 7, v8
	v_cmp_eq_u32_e32 vcc_lo, 0, v5
	s_delay_alu instid0(VALU_DEP_2) | instskip(NEXT) | instid1(VALU_DEP_1)
	v_dual_cndmask_b32 v5, v5, v7 :: v_dual_cndmask_b32 v6, v6, v8
	v_lshl_add_u32 v5, v5, 23, 0x3b800000
	s_delay_alu instid0(VALU_DEP_2) | instskip(NEXT) | instid1(VALU_DEP_1)
	v_lshlrev_b32_e32 v6, 20, v6
	v_or3_b32 v6, v3, v5, v6
.LBB329_865:
	s_or_b32 exec_lo, exec_lo, s7
.LBB329_866:
	s_mov_b32 s6, -1
.LBB329_867:
	s_mov_b32 s7, 0
.LBB329_868:
	s_delay_alu instid0(SALU_CYCLE_1)
	s_and_b32 vcc_lo, exec_lo, s7
	s_cbranch_vccz .LBB329_901
; %bb.869:
	v_cmp_lt_i16_e32 vcc_lo, 22, v4
	s_cbranch_vccz .LBB329_879
; %bb.870:
	v_cmp_gt_i16_e32 vcc_lo, 24, v4
	s_cbranch_vccnz .LBB329_882
; %bb.871:
	v_cmp_lt_i16_e32 vcc_lo, 24, v4
	s_cbranch_vccz .LBB329_883
; %bb.872:
	global_load_u8 v3, v[1:2], off
	s_mov_b32 s7, exec_lo
                                        ; implicit-def: $sgpr6
	s_waitcnt vmcnt(0)
	v_cmpx_lt_i16_e32 0x7f, v3
	s_xor_b32 s7, exec_lo, s7
	s_cbranch_execz .LBB329_895
; %bb.873:
	s_mov_b32 s3, -1
	s_mov_b32 s8, exec_lo
                                        ; implicit-def: $sgpr6
	v_cmpx_eq_u16_e32 0x80, v3
; %bb.874:
	s_mov_b32 s6, 0x7f800001
	s_xor_b32 s3, exec_lo, -1
; %bb.875:
	s_or_b32 exec_lo, exec_lo, s8
	s_delay_alu instid0(SALU_CYCLE_1)
	s_and_b32 s3, s3, exec_lo
	s_or_saveexec_b32 s7, s7
	v_mov_b32_e32 v6, s6
	s_xor_b32 exec_lo, exec_lo, s7
	s_cbranch_execnz .LBB329_896
.LBB329_876:
	s_or_b32 exec_lo, exec_lo, s7
	s_and_saveexec_b32 s6, s3
	s_cbranch_execz .LBB329_878
.LBB329_877:
	v_and_b32_e32 v5, 0xffff, v3
	v_lshlrev_b32_e32 v3, 24, v3
	s_delay_alu instid0(VALU_DEP_2) | instskip(NEXT) | instid1(VALU_DEP_2)
	v_and_b32_e32 v6, 3, v5
	v_and_b32_e32 v3, 0x80000000, v3
	s_delay_alu instid0(VALU_DEP_2) | instskip(NEXT) | instid1(VALU_DEP_1)
	v_clz_i32_u32_e32 v7, v6
	v_min_u32_e32 v7, 32, v7
	s_delay_alu instid0(VALU_DEP_1) | instskip(SKIP_1) | instid1(VALU_DEP_2)
	v_subrev_nc_u32_e32 v8, 29, v7
	v_sub_nc_u32_e32 v7, 30, v7
	v_lshlrev_b32_e32 v8, v8, v5
	v_bfe_u32 v5, v5, 2, 5
	s_delay_alu instid0(VALU_DEP_2) | instskip(NEXT) | instid1(VALU_DEP_2)
	v_and_b32_e32 v8, 3, v8
	v_cmp_eq_u32_e32 vcc_lo, 0, v5
	s_delay_alu instid0(VALU_DEP_2) | instskip(NEXT) | instid1(VALU_DEP_1)
	v_dual_cndmask_b32 v5, v5, v7 :: v_dual_cndmask_b32 v6, v6, v8
	v_lshl_add_u32 v5, v5, 23, 0x37800000
	s_delay_alu instid0(VALU_DEP_2) | instskip(NEXT) | instid1(VALU_DEP_1)
	v_lshlrev_b32_e32 v6, 21, v6
	v_or3_b32 v6, v3, v5, v6
.LBB329_878:
	s_or_b32 exec_lo, exec_lo, s6
	s_mov_b32 s3, 0
	s_branch .LBB329_884
.LBB329_879:
	s_mov_b32 s3, -1
                                        ; implicit-def: $vgpr6
	s_branch .LBB329_890
.LBB329_880:
	s_or_saveexec_b32 s8, s8
	v_mov_b32_e32 v6, s7
	s_xor_b32 exec_lo, exec_lo, s8
	s_cbranch_execz .LBB329_863
.LBB329_881:
	v_cmp_ne_u16_e32 vcc_lo, 0, v3
	v_mov_b32_e32 v6, 0
	s_and_not1_b32 s6, s6, exec_lo
	s_and_b32 s7, vcc_lo, exec_lo
	s_delay_alu instid0(SALU_CYCLE_1)
	s_or_b32 s6, s6, s7
	s_or_b32 exec_lo, exec_lo, s8
	s_and_saveexec_b32 s7, s6
	s_cbranch_execnz .LBB329_864
	s_branch .LBB329_865
.LBB329_882:
	s_mov_b32 s3, -1
                                        ; implicit-def: $vgpr6
	s_branch .LBB329_887
.LBB329_883:
	s_mov_b32 s3, -1
                                        ; implicit-def: $vgpr6
.LBB329_884:
	s_delay_alu instid0(SALU_CYCLE_1)
	s_and_b32 vcc_lo, exec_lo, s3
	s_cbranch_vccz .LBB329_886
; %bb.885:
	global_load_u8 v3, v[1:2], off
	s_waitcnt vmcnt(0)
	v_lshlrev_b32_e32 v3, 24, v3
	s_delay_alu instid0(VALU_DEP_1) | instskip(NEXT) | instid1(VALU_DEP_1)
	v_and_b32_e32 v5, 0x7f000000, v3
	v_clz_i32_u32_e32 v6, v5
	v_cmp_ne_u32_e32 vcc_lo, 0, v5
	v_add_nc_u32_e32 v8, 0x1000000, v5
	s_delay_alu instid0(VALU_DEP_3) | instskip(NEXT) | instid1(VALU_DEP_1)
	v_min_u32_e32 v6, 32, v6
	v_sub_nc_u32_e64 v6, v6, 4 clamp
	s_delay_alu instid0(VALU_DEP_1) | instskip(SKIP_1) | instid1(VALU_DEP_2)
	v_lshlrev_b32_e32 v7, v6, v5
	v_lshlrev_b32_e32 v6, 23, v6
	v_lshrrev_b32_e32 v7, 4, v7
	s_delay_alu instid0(VALU_DEP_1) | instskip(SKIP_1) | instid1(VALU_DEP_2)
	v_sub_nc_u32_e32 v6, v7, v6
	v_ashrrev_i32_e32 v7, 8, v8
	v_add_nc_u32_e32 v6, 0x3c000000, v6
	s_delay_alu instid0(VALU_DEP_1) | instskip(NEXT) | instid1(VALU_DEP_1)
	v_and_or_b32 v6, 0x7f800000, v7, v6
	v_cndmask_b32_e32 v5, 0, v6, vcc_lo
	s_delay_alu instid0(VALU_DEP_1)
	v_and_or_b32 v6, 0x80000000, v3, v5
.LBB329_886:
	s_mov_b32 s3, 0
.LBB329_887:
	s_delay_alu instid0(SALU_CYCLE_1)
	s_and_not1_b32 vcc_lo, exec_lo, s3
	s_cbranch_vccnz .LBB329_889
; %bb.888:
	global_load_u8 v3, v[1:2], off
	s_waitcnt vmcnt(0)
	v_lshlrev_b32_e32 v5, 25, v3
	v_lshlrev_b16 v3, 8, v3
	s_delay_alu instid0(VALU_DEP_2) | instskip(NEXT) | instid1(VALU_DEP_2)
	v_lshrrev_b32_e32 v6, 4, v5
	v_and_or_b32 v7, 0x7f00, v3, 0.5
	v_bfe_i32 v3, v3, 0, 16
	s_delay_alu instid0(VALU_DEP_3) | instskip(NEXT) | instid1(VALU_DEP_1)
	v_or_b32_e32 v6, 0x70000000, v6
	v_dual_add_f32 v7, -0.5, v7 :: v_dual_mul_f32 v6, 0x7800000, v6
	v_cmp_gt_u32_e32 vcc_lo, 0x8000000, v5
	s_delay_alu instid0(VALU_DEP_2) | instskip(NEXT) | instid1(VALU_DEP_1)
	v_cndmask_b32_e32 v5, v6, v7, vcc_lo
	v_and_or_b32 v6, 0x80000000, v3, v5
.LBB329_889:
	s_mov_b32 s3, 0
	s_mov_b32 s6, -1
.LBB329_890:
	s_and_not1_b32 vcc_lo, exec_lo, s3
	s_mov_b32 s3, 0
	s_cbranch_vccnz .LBB329_901
; %bb.891:
	v_cmp_lt_i16_e32 vcc_lo, 14, v4
	s_cbranch_vccz .LBB329_894
; %bb.892:
	v_cmp_eq_u16_e32 vcc_lo, 15, v4
	s_cbranch_vccz .LBB329_897
; %bb.893:
	global_load_u16 v3, v[1:2], off
	s_mov_b32 s2, 0
	s_mov_b32 s6, -1
	s_waitcnt vmcnt(0)
	v_lshlrev_b32_e32 v6, 16, v3
	s_branch .LBB329_899
.LBB329_894:
	s_mov_b32 s3, -1
	s_branch .LBB329_898
.LBB329_895:
	s_or_saveexec_b32 s7, s7
	v_mov_b32_e32 v6, s6
	s_xor_b32 exec_lo, exec_lo, s7
	s_cbranch_execz .LBB329_876
.LBB329_896:
	v_cmp_ne_u16_e32 vcc_lo, 0, v3
	v_mov_b32_e32 v6, 0
	s_and_not1_b32 s3, s3, exec_lo
	s_and_b32 s6, vcc_lo, exec_lo
	s_delay_alu instid0(SALU_CYCLE_1)
	s_or_b32 s3, s3, s6
	s_or_b32 exec_lo, exec_lo, s7
	s_and_saveexec_b32 s6, s3
	s_cbranch_execnz .LBB329_877
	s_branch .LBB329_878
.LBB329_897:
	s_mov_b32 s2, -1
.LBB329_898:
                                        ; implicit-def: $vgpr6
.LBB329_899:
	s_and_b32 vcc_lo, exec_lo, s3
	s_mov_b32 s3, 0
	s_cbranch_vccz .LBB329_901
; %bb.900:
	v_cmp_ne_u16_e32 vcc_lo, 11, v4
	s_and_not1_b32 s2, s2, exec_lo
	s_mov_b32 s3, -1
                                        ; implicit-def: $vgpr6
	s_and_b32 s7, vcc_lo, exec_lo
	s_delay_alu instid0(SALU_CYCLE_1)
	s_or_b32 s2, s2, s7
.LBB329_901:
	s_mov_b32 s7, 0
.LBB329_902:
	s_and_b32 s44, s6, exec_lo
	s_and_b32 s45, s7, exec_lo
	s_and_not1_b32 s6, s24, exec_lo
	s_and_b32 s7, s2, exec_lo
	s_and_b32 s2, s3, exec_lo
	s_or_b32 s46, s6, s7
.LBB329_903:
	s_or_b32 exec_lo, exec_lo, s34
	s_delay_alu instid0(SALU_CYCLE_1)
	s_and_not1_b32 s6, s24, exec_lo
	s_and_b32 s7, s46, exec_lo
	s_and_b32 s44, s44, exec_lo
	;; [unrolled: 1-line block ×4, first 2 shown]
	s_or_b32 s24, s6, s7
.LBB329_904:
	s_or_b32 exec_lo, exec_lo, s43
	s_delay_alu instid0(SALU_CYCLE_1)
	s_and_not1_b32 s6, s41, exec_lo
	s_and_b32 s7, s25, exec_lo
	s_and_b32 s43, s44, exec_lo
	s_or_b32 s41, s6, s7
	s_and_not1_b32 s6, s40, exec_lo
	s_and_b32 s7, s24, exec_lo
	s_and_b32 s25, s3, exec_lo
	;; [unrolled: 1-line block ×3, first 2 shown]
	s_or_b32 s40, s6, s7
.LBB329_905:
	s_or_b32 exec_lo, exec_lo, s42
	s_delay_alu instid0(SALU_CYCLE_1)
	s_and_not1_b32 s2, s37, exec_lo
	s_and_b32 s6, s41, exec_lo
	s_and_b32 s7, s40, exec_lo
	s_or_b32 s37, s2, s6
	s_and_not1_b32 s6, s38, exec_lo
	s_and_b32 s2, s43, exec_lo
	s_and_b32 s24, s25, exec_lo
	;; [unrolled: 1-line block ×3, first 2 shown]
	s_or_b32 s38, s6, s7
.LBB329_906:
	s_or_b32 exec_lo, exec_lo, s39
	s_mov_b32 s3, 0
	s_and_saveexec_b32 s6, s38
	s_cbranch_execnz .LBB329_918
; %bb.907:
	s_or_b32 exec_lo, exec_lo, s6
	s_and_saveexec_b32 s6, s40
	s_delay_alu instid0(SALU_CYCLE_1)
	s_xor_b32 s6, exec_lo, s6
	s_cbranch_execz .LBB329_909
.LBB329_908:
	global_load_u8 v3, v[1:2], off
	s_or_b32 s2, s2, exec_lo
	s_waitcnt vmcnt(0)
	v_cmp_ne_u16_e32 vcc_lo, 0, v3
	v_cndmask_b32_e64 v6, 0, 1.0, vcc_lo
.LBB329_909:
	s_or_b32 exec_lo, exec_lo, s6
	s_and_saveexec_b32 s6, s24
	s_cbranch_execz .LBB329_957
; %bb.910:
	v_cmp_gt_i16_e32 vcc_lo, 5, v4
	s_cbranch_vccnz .LBB329_915
; %bb.911:
	v_cmp_gt_i16_e32 vcc_lo, 8, v4
	s_cbranch_vccnz .LBB329_916
	;; [unrolled: 3-line block ×3, first 2 shown]
; %bb.913:
	v_cmp_lt_i16_e32 vcc_lo, 9, v4
	s_cbranch_vccz .LBB329_920
; %bb.914:
	global_load_b64 v[5:6], v[1:2], off
	s_mov_b32 s7, 0
	s_waitcnt vmcnt(0)
	v_cvt_f32_f64_e32 v6, v[5:6]
	s_branch .LBB329_921
.LBB329_915:
                                        ; implicit-def: $vgpr6
	s_branch .LBB329_938
.LBB329_916:
                                        ; implicit-def: $vgpr6
	s_branch .LBB329_927
.LBB329_917:
	s_mov_b32 s7, -1
                                        ; implicit-def: $vgpr6
	s_branch .LBB329_924
.LBB329_918:
	s_cbranch_execnz .LBB329_1188
; %bb.919:
	s_mov_b32 s3, exec_lo
	s_and_not1_b32 s40, s40, exec_lo
                                        ; implicit-def: $vgpr6
	s_or_b32 exec_lo, exec_lo, s6
	s_and_saveexec_b32 s6, s40
	s_delay_alu instid0(SALU_CYCLE_1)
	s_xor_b32 s6, exec_lo, s6
	s_cbranch_execnz .LBB329_908
	s_branch .LBB329_909
.LBB329_920:
	s_mov_b32 s7, -1
                                        ; implicit-def: $vgpr6
.LBB329_921:
	s_delay_alu instid0(SALU_CYCLE_1)
	s_and_not1_b32 vcc_lo, exec_lo, s7
	s_cbranch_vccnz .LBB329_923
; %bb.922:
	global_load_b32 v6, v[1:2], off
.LBB329_923:
	s_mov_b32 s7, 0
.LBB329_924:
	s_delay_alu instid0(SALU_CYCLE_1)
	s_and_not1_b32 vcc_lo, exec_lo, s7
	s_cbranch_vccnz .LBB329_926
; %bb.925:
	global_load_b32 v3, v[1:2], off
	s_waitcnt vmcnt(0)
	v_cvt_f32_f16_e32 v6, v3
.LBB329_926:
	s_cbranch_execnz .LBB329_937
.LBB329_927:
	v_cmp_gt_i16_e32 vcc_lo, 6, v4
	s_cbranch_vccnz .LBB329_930
; %bb.928:
	v_cmp_lt_i16_e32 vcc_lo, 6, v4
	s_cbranch_vccz .LBB329_931
; %bb.929:
	global_load_b64 v[5:6], v[1:2], off
	s_mov_b32 s7, 0
	s_waitcnt vmcnt(0)
	v_cvt_f32_f64_e32 v6, v[5:6]
	s_branch .LBB329_932
.LBB329_930:
	s_mov_b32 s7, -1
                                        ; implicit-def: $vgpr6
	s_branch .LBB329_935
.LBB329_931:
	s_mov_b32 s7, -1
                                        ; implicit-def: $vgpr6
.LBB329_932:
	s_delay_alu instid0(SALU_CYCLE_1)
	s_and_not1_b32 vcc_lo, exec_lo, s7
	s_cbranch_vccnz .LBB329_934
; %bb.933:
	global_load_b32 v6, v[1:2], off
.LBB329_934:
	s_mov_b32 s7, 0
.LBB329_935:
	s_delay_alu instid0(SALU_CYCLE_1)
	s_and_not1_b32 vcc_lo, exec_lo, s7
	s_cbranch_vccnz .LBB329_937
; %bb.936:
	global_load_u16 v3, v[1:2], off
	s_waitcnt vmcnt(0)
	v_cvt_f32_f16_e32 v6, v3
.LBB329_937:
	s_cbranch_execnz .LBB329_956
.LBB329_938:
	v_cmp_gt_i16_e32 vcc_lo, 2, v4
	s_cbranch_vccnz .LBB329_942
; %bb.939:
	v_cmp_gt_i16_e32 vcc_lo, 3, v4
	s_cbranch_vccnz .LBB329_943
; %bb.940:
	v_cmp_lt_i16_e32 vcc_lo, 3, v4
	s_cbranch_vccz .LBB329_944
; %bb.941:
	global_load_b64 v[5:6], v[1:2], off
	s_mov_b32 s7, 0
	s_waitcnt vmcnt(0)
	v_xor_b32_e32 v3, v5, v6
	v_cls_i32_e32 v7, v6
	s_delay_alu instid0(VALU_DEP_2) | instskip(NEXT) | instid1(VALU_DEP_2)
	v_ashrrev_i32_e32 v3, 31, v3
	v_add_nc_u32_e32 v7, -1, v7
	s_delay_alu instid0(VALU_DEP_2) | instskip(NEXT) | instid1(VALU_DEP_1)
	v_add_nc_u32_e32 v3, 32, v3
	v_min_u32_e32 v3, v7, v3
	s_delay_alu instid0(VALU_DEP_1) | instskip(SKIP_1) | instid1(VALU_DEP_2)
	v_lshlrev_b64 v[5:6], v3, v[5:6]
	v_sub_nc_u32_e32 v3, 32, v3
	v_min_u32_e32 v5, 1, v5
	s_delay_alu instid0(VALU_DEP_1) | instskip(NEXT) | instid1(VALU_DEP_1)
	v_or_b32_e32 v5, v6, v5
	v_cvt_f32_i32_e32 v5, v5
	s_delay_alu instid0(VALU_DEP_1)
	v_ldexp_f32 v6, v5, v3
	s_branch .LBB329_945
.LBB329_942:
                                        ; implicit-def: $vgpr6
	s_branch .LBB329_951
.LBB329_943:
	s_mov_b32 s7, -1
                                        ; implicit-def: $vgpr6
	s_branch .LBB329_948
.LBB329_944:
	s_mov_b32 s7, -1
                                        ; implicit-def: $vgpr6
.LBB329_945:
	s_delay_alu instid0(SALU_CYCLE_1)
	s_and_not1_b32 vcc_lo, exec_lo, s7
	s_cbranch_vccnz .LBB329_947
; %bb.946:
	global_load_b32 v3, v[1:2], off
	s_waitcnt vmcnt(0)
	v_cvt_f32_i32_e32 v6, v3
.LBB329_947:
	s_mov_b32 s7, 0
.LBB329_948:
	s_delay_alu instid0(SALU_CYCLE_1)
	s_and_not1_b32 vcc_lo, exec_lo, s7
	s_cbranch_vccnz .LBB329_950
; %bb.949:
	global_load_i16 v3, v[1:2], off
	s_waitcnt vmcnt(0)
	v_cvt_f32_i32_e32 v6, v3
.LBB329_950:
	s_cbranch_execnz .LBB329_956
.LBB329_951:
	v_cmp_lt_i16_e32 vcc_lo, 0, v4
	s_mov_b32 s7, 0
	s_cbranch_vccz .LBB329_953
; %bb.952:
	global_load_i8 v3, v[1:2], off
	s_waitcnt vmcnt(0)
	v_cvt_f32_i32_e32 v6, v3
	s_branch .LBB329_954
.LBB329_953:
	s_mov_b32 s7, -1
                                        ; implicit-def: $vgpr6
.LBB329_954:
	s_delay_alu instid0(SALU_CYCLE_1)
	s_and_not1_b32 vcc_lo, exec_lo, s7
	s_cbranch_vccnz .LBB329_956
; %bb.955:
	global_load_u8 v1, v[1:2], off
	s_waitcnt vmcnt(0)
	v_cvt_f32_ubyte0_e32 v6, v1
.LBB329_956:
	s_or_b32 s2, s2, exec_lo
.LBB329_957:
	s_or_b32 exec_lo, exec_lo, s6
	s_mov_b32 s8, 0
	s_mov_b32 s7, 0
                                        ; implicit-def: $vgpr5
                                        ; implicit-def: $vgpr1_vgpr2
                                        ; implicit-def: $vgpr3
	s_and_saveexec_b32 s6, s2
	s_cbranch_execz .LBB329_1034
; %bb.958:
	v_max_f32_e64 v1, s18, s18
	s_waitcnt vmcnt(0)
	s_delay_alu instid0(VALU_DEP_2) | instskip(SKIP_3) | instid1(VALU_DEP_3)
	v_max_f32_e32 v2, v6, v6
	v_max_f32_e64 v3, s19, s19
	v_and_b32_e64 v5, 0xff, s31
	v_cmp_u_f32_e64 s2, v6, v6
	v_maxmin_f32 v1, v2, v1, v3
	s_delay_alu instid0(VALU_DEP_3) | instskip(NEXT) | instid1(VALU_DEP_2)
	v_cmp_gt_i16_e32 vcc_lo, 11, v5
	v_cndmask_b32_e64 v3, v1, v6, s2
	v_add_co_u32 v1, s2, s4, v0
	s_delay_alu instid0(VALU_DEP_1)
	v_add_co_ci_u32_e64 v2, null, s5, 0, s2
	s_mov_b32 s4, -1
	s_mov_b32 s2, s37
	s_cbranch_vccnz .LBB329_1033
; %bb.959:
	v_cmp_lt_i16_e32 vcc_lo, 25, v5
	s_mov_b32 s2, s37
	s_cbranch_vccz .LBB329_992
; %bb.960:
	v_cmp_lt_i16_e32 vcc_lo, 28, v5
	s_mov_b32 s2, s37
	s_cbranch_vccz .LBB329_976
	;; [unrolled: 4-line block ×4, first 2 shown]
; %bb.963:
	v_cmp_eq_u16_e32 vcc_lo, 46, v5
	s_mov_b32 s2, -1
	s_cbranch_vccz .LBB329_965
; %bb.964:
	v_bfe_u32 v0, v3, 16, 1
	v_cmp_o_f32_e32 vcc_lo, v3, v3
	s_mov_b32 s2, 0
	s_delay_alu instid0(VALU_DEP_2) | instskip(NEXT) | instid1(VALU_DEP_1)
	v_add3_u32 v0, v3, v0, 0x7fff
	v_lshrrev_b32_e32 v0, 16, v0
	s_delay_alu instid0(VALU_DEP_1)
	v_cndmask_b32_e32 v0, 0x7fc0, v0, vcc_lo
	global_store_b32 v[1:2], v0, off
.LBB329_965:
	s_mov_b32 s4, 0
.LBB329_966:
	s_delay_alu instid0(SALU_CYCLE_1)
	s_and_b32 vcc_lo, exec_lo, s4
	s_cbranch_vccz .LBB329_971
; %bb.967:
	v_cmp_eq_u16_e32 vcc_lo, 44, v5
	s_mov_b32 s2, -1
	s_cbranch_vccz .LBB329_971
; %bb.968:
	v_bfe_u32 v4, v3, 23, 8
	v_mov_b32_e32 v0, 0xff
	s_mov_b32 s4, exec_lo
	s_delay_alu instid0(VALU_DEP_2)
	v_cmpx_ne_u32_e32 0xff, v4
; %bb.969:
	v_and_b32_e32 v0, 0x400000, v3
	v_and_or_b32 v4, 0x3fffff, v3, v4
	s_delay_alu instid0(VALU_DEP_2) | instskip(NEXT) | instid1(VALU_DEP_2)
	v_cmp_ne_u32_e32 vcc_lo, 0, v0
	v_cmp_ne_u32_e64 s2, 0, v4
	v_lshrrev_b32_e32 v0, 23, v3
	s_delay_alu instid0(VALU_DEP_2) | instskip(NEXT) | instid1(SALU_CYCLE_1)
	s_and_b32 s2, vcc_lo, s2
	v_cndmask_b32_e64 v4, 0, 1, s2
	s_delay_alu instid0(VALU_DEP_1)
	v_add_nc_u32_e32 v0, v0, v4
; %bb.970:
	s_or_b32 exec_lo, exec_lo, s4
	s_mov_b32 s2, 0
	global_store_b8 v[1:2], v0, off
.LBB329_971:
	s_mov_b32 s4, 0
.LBB329_972:
	s_delay_alu instid0(SALU_CYCLE_1)
	s_and_b32 vcc_lo, exec_lo, s4
	s_cbranch_vccz .LBB329_975
; %bb.973:
	v_cmp_eq_u16_e32 vcc_lo, 29, v5
	s_mov_b32 s2, -1
	s_cbranch_vccz .LBB329_975
; %bb.974:
	v_trunc_f32_e32 v0, v3
	s_mov_b32 s2, 0
	s_delay_alu instid0(VALU_DEP_1) | instskip(NEXT) | instid1(VALU_DEP_1)
	v_mul_f32_e32 v4, 0x2f800000, v0
	v_floor_f32_e32 v4, v4
	s_delay_alu instid0(VALU_DEP_1) | instskip(SKIP_1) | instid1(VALU_DEP_2)
	v_fmamk_f32 v0, v4, 0xcf800000, v0
	v_cvt_u32_f32_e32 v7, v4
	v_cvt_u32_f32_e32 v6, v0
	global_store_b64 v[1:2], v[6:7], off
.LBB329_975:
	s_mov_b32 s4, 0
.LBB329_976:
	s_delay_alu instid0(SALU_CYCLE_1)
	s_and_b32 vcc_lo, exec_lo, s4
	s_cbranch_vccz .LBB329_991
; %bb.977:
	v_cmp_gt_i16_e32 vcc_lo, 27, v5
	s_mov_b32 s4, -1
	s_cbranch_vccnz .LBB329_983
; %bb.978:
	v_cmp_lt_i16_e32 vcc_lo, 27, v5
	v_cvt_u32_f32_e32 v0, v3
	s_cbranch_vccz .LBB329_980
; %bb.979:
	s_mov_b32 s4, 0
	global_store_b32 v[1:2], v0, off
.LBB329_980:
	s_and_not1_b32 vcc_lo, exec_lo, s4
	s_cbranch_vccnz .LBB329_982
; %bb.981:
	global_store_b16 v[1:2], v0, off
.LBB329_982:
	s_mov_b32 s4, 0
.LBB329_983:
	s_delay_alu instid0(SALU_CYCLE_1)
	s_and_not1_b32 vcc_lo, exec_lo, s4
	s_cbranch_vccnz .LBB329_991
; %bb.984:
	v_and_b32_e32 v0, 0x7fffffff, v3
	v_mov_b32_e32 v4, 0x80
	s_mov_b32 s4, exec_lo
	s_delay_alu instid0(VALU_DEP_2)
	v_cmpx_gt_u32_e32 0x43800000, v0
	s_cbranch_execz .LBB329_990
; %bb.985:
	v_cmp_lt_u32_e32 vcc_lo, 0x3bffffff, v0
	s_mov_b32 s5, 0
                                        ; implicit-def: $vgpr0
	s_and_saveexec_b32 s7, vcc_lo
	s_delay_alu instid0(SALU_CYCLE_1)
	s_xor_b32 s7, exec_lo, s7
	s_cbranch_execz .LBB329_1279
; %bb.986:
	v_bfe_u32 v0, v3, 20, 1
	s_mov_b32 s5, exec_lo
	s_delay_alu instid0(VALU_DEP_1) | instskip(NEXT) | instid1(VALU_DEP_1)
	v_add3_u32 v0, v3, v0, 0x487ffff
	v_lshrrev_b32_e32 v0, 20, v0
	s_or_saveexec_b32 s7, s7
                                        ; implicit-def: $sgpr8
	s_delay_alu instid0(SALU_CYCLE_1)
	s_xor_b32 exec_lo, exec_lo, s7
	s_cbranch_execnz .LBB329_1280
.LBB329_987:
	s_or_b32 exec_lo, exec_lo, s7
	v_mov_b32_e32 v4, s8
	s_and_saveexec_b32 s7, s5
.LBB329_988:
	v_lshrrev_b32_e32 v4, 24, v3
	s_delay_alu instid0(VALU_DEP_1)
	v_and_or_b32 v4, 0x80, v4, v0
.LBB329_989:
	s_or_b32 exec_lo, exec_lo, s7
.LBB329_990:
	s_delay_alu instid0(SALU_CYCLE_1)
	s_or_b32 exec_lo, exec_lo, s4
	global_store_b8 v[1:2], v4, off
.LBB329_991:
	s_mov_b32 s4, 0
.LBB329_992:
	s_delay_alu instid0(SALU_CYCLE_1)
	s_and_b32 vcc_lo, exec_lo, s4
	s_mov_b32 s4, 0
	s_cbranch_vccz .LBB329_1032
; %bb.993:
	v_cmp_lt_i16_e32 vcc_lo, 22, v5
	s_mov_b32 s5, -1
	s_cbranch_vccz .LBB329_1025
; %bb.994:
	v_cmp_gt_i16_e32 vcc_lo, 24, v5
	s_cbranch_vccnz .LBB329_1014
; %bb.995:
	v_cmp_lt_i16_e32 vcc_lo, 24, v5
	s_cbranch_vccz .LBB329_1003
; %bb.996:
	v_and_b32_e32 v0, 0x7fffffff, v3
	v_mov_b32_e32 v4, 0x80
	s_mov_b32 s5, exec_lo
	s_delay_alu instid0(VALU_DEP_2)
	v_cmpx_gt_u32_e32 0x47800000, v0
	s_cbranch_execz .LBB329_1002
; %bb.997:
	v_cmp_lt_u32_e32 vcc_lo, 0x37ffffff, v0
	s_mov_b32 s7, 0
                                        ; implicit-def: $vgpr0
	s_and_saveexec_b32 s8, vcc_lo
	s_delay_alu instid0(SALU_CYCLE_1)
	s_xor_b32 s8, exec_lo, s8
	s_cbranch_execz .LBB329_1323
; %bb.998:
	v_bfe_u32 v0, v3, 21, 1
	s_mov_b32 s7, exec_lo
	s_delay_alu instid0(VALU_DEP_1) | instskip(NEXT) | instid1(VALU_DEP_1)
	v_add3_u32 v0, v3, v0, 0x88fffff
	v_lshrrev_b32_e32 v0, 21, v0
	s_or_saveexec_b32 s8, s8
                                        ; implicit-def: $sgpr9
	s_delay_alu instid0(SALU_CYCLE_1)
	s_xor_b32 exec_lo, exec_lo, s8
	s_cbranch_execnz .LBB329_1324
.LBB329_999:
	s_or_b32 exec_lo, exec_lo, s8
	v_mov_b32_e32 v4, s9
	s_and_saveexec_b32 s8, s7
.LBB329_1000:
	v_lshrrev_b32_e32 v4, 24, v3
	s_delay_alu instid0(VALU_DEP_1)
	v_and_or_b32 v4, 0x80, v4, v0
.LBB329_1001:
	s_or_b32 exec_lo, exec_lo, s8
.LBB329_1002:
	s_delay_alu instid0(SALU_CYCLE_1)
	s_or_b32 exec_lo, exec_lo, s5
	s_mov_b32 s5, 0
	global_store_b8 v[1:2], v4, off
.LBB329_1003:
	s_and_b32 vcc_lo, exec_lo, s5
	s_cbranch_vccz .LBB329_1013
; %bb.1004:
	v_and_b32_e32 v4, 0x7fffffff, v3
	s_mov_b32 s5, exec_lo
                                        ; implicit-def: $vgpr0
	s_delay_alu instid0(VALU_DEP_1)
	v_cmpx_gt_u32_e32 0x43f00000, v4
	s_xor_b32 s5, exec_lo, s5
	s_cbranch_execz .LBB329_1010
; %bb.1005:
	s_mov_b32 s7, exec_lo
                                        ; implicit-def: $vgpr0
	v_cmpx_lt_u32_e32 0x3c7fffff, v4
	s_xor_b32 s7, exec_lo, s7
; %bb.1006:
	v_bfe_u32 v0, v3, 20, 1
	s_delay_alu instid0(VALU_DEP_1) | instskip(NEXT) | instid1(VALU_DEP_1)
	v_add3_u32 v0, v3, v0, 0x407ffff
	v_and_b32_e32 v4, 0xff00000, v0
	v_lshrrev_b32_e32 v0, 20, v0
	s_delay_alu instid0(VALU_DEP_2) | instskip(NEXT) | instid1(VALU_DEP_2)
	v_cmp_ne_u32_e32 vcc_lo, 0x7f00000, v4
	v_cndmask_b32_e32 v0, 0x7e, v0, vcc_lo
; %bb.1007:
	s_and_not1_saveexec_b32 s7, s7
; %bb.1008:
	v_add_f32_e64 v0, 0x46800000, |v3|
; %bb.1009:
	s_or_b32 exec_lo, exec_lo, s7
                                        ; implicit-def: $vgpr4
.LBB329_1010:
	s_and_not1_saveexec_b32 s5, s5
; %bb.1011:
	v_mov_b32_e32 v0, 0x7f
	v_cmp_lt_u32_e32 vcc_lo, 0x7f800000, v4
	s_delay_alu instid0(VALU_DEP_2)
	v_cndmask_b32_e32 v0, 0x7e, v0, vcc_lo
; %bb.1012:
	s_or_b32 exec_lo, exec_lo, s5
	v_lshrrev_b32_e32 v4, 24, v3
	s_delay_alu instid0(VALU_DEP_1)
	v_and_or_b32 v0, 0x80, v4, v0
	global_store_b8 v[1:2], v0, off
.LBB329_1013:
	s_mov_b32 s5, 0
.LBB329_1014:
	s_delay_alu instid0(SALU_CYCLE_1)
	s_and_not1_b32 vcc_lo, exec_lo, s5
	s_cbranch_vccnz .LBB329_1024
; %bb.1015:
	v_and_b32_e32 v4, 0x7fffffff, v3
	s_mov_b32 s5, exec_lo
                                        ; implicit-def: $vgpr0
	s_delay_alu instid0(VALU_DEP_1)
	v_cmpx_gt_u32_e32 0x47800000, v4
	s_xor_b32 s5, exec_lo, s5
	s_cbranch_execz .LBB329_1021
; %bb.1016:
	s_mov_b32 s7, exec_lo
                                        ; implicit-def: $vgpr0
	v_cmpx_lt_u32_e32 0x387fffff, v4
	s_xor_b32 s7, exec_lo, s7
; %bb.1017:
	v_bfe_u32 v0, v3, 21, 1
	s_delay_alu instid0(VALU_DEP_1) | instskip(NEXT) | instid1(VALU_DEP_1)
	v_add3_u32 v0, v3, v0, 0x80fffff
	v_lshrrev_b32_e32 v0, 21, v0
; %bb.1018:
	s_and_not1_saveexec_b32 s7, s7
; %bb.1019:
	v_add_f32_e64 v0, 0x43000000, |v3|
; %bb.1020:
	s_or_b32 exec_lo, exec_lo, s7
                                        ; implicit-def: $vgpr4
.LBB329_1021:
	s_and_not1_saveexec_b32 s5, s5
; %bb.1022:
	v_mov_b32_e32 v0, 0x7f
	v_cmp_lt_u32_e32 vcc_lo, 0x7f800000, v4
	s_delay_alu instid0(VALU_DEP_2)
	v_cndmask_b32_e32 v0, 0x7c, v0, vcc_lo
; %bb.1023:
	s_or_b32 exec_lo, exec_lo, s5
	v_lshrrev_b32_e32 v4, 24, v3
	s_delay_alu instid0(VALU_DEP_1)
	v_and_or_b32 v0, 0x80, v4, v0
	global_store_b8 v[1:2], v0, off
.LBB329_1024:
	s_mov_b32 s5, 0
.LBB329_1025:
	s_delay_alu instid0(SALU_CYCLE_1)
	s_and_not1_b32 vcc_lo, exec_lo, s5
	s_mov_b32 s8, 0
	s_cbranch_vccnz .LBB329_1033
; %bb.1026:
	v_cmp_lt_i16_e32 vcc_lo, 14, v5
	s_mov_b32 s5, -1
	s_cbranch_vccz .LBB329_1030
; %bb.1027:
	v_cmp_eq_u16_e32 vcc_lo, 15, v5
	s_mov_b32 s2, -1
	s_cbranch_vccz .LBB329_1029
; %bb.1028:
	v_bfe_u32 v0, v3, 16, 1
	v_cmp_o_f32_e32 vcc_lo, v3, v3
	s_mov_b32 s2, 0
	s_delay_alu instid0(VALU_DEP_2) | instskip(NEXT) | instid1(VALU_DEP_1)
	v_add3_u32 v0, v3, v0, 0x7fff
	v_lshrrev_b32_e32 v0, 16, v0
	s_delay_alu instid0(VALU_DEP_1)
	v_cndmask_b32_e32 v0, 0x7fc0, v0, vcc_lo
	global_store_b16 v[1:2], v0, off
.LBB329_1029:
	s_mov_b32 s5, 0
.LBB329_1030:
	s_delay_alu instid0(SALU_CYCLE_1)
	s_and_b32 vcc_lo, exec_lo, s5
	s_cbranch_vccz .LBB329_1033
; %bb.1031:
	v_cmp_ne_u16_e32 vcc_lo, 11, v5
	s_and_not1_b32 s2, s2, exec_lo
	s_mov_b32 s8, -1
	s_and_b32 s5, vcc_lo, exec_lo
	s_delay_alu instid0(SALU_CYCLE_1)
	s_or_b32 s2, s2, s5
	s_branch .LBB329_1033
.LBB329_1032:
	s_mov_b32 s8, 0
.LBB329_1033:
	s_and_b32 s7, s4, exec_lo
	s_and_not1_b32 s4, s37, exec_lo
	s_and_b32 s2, s2, exec_lo
	s_and_b32 s8, s8, exec_lo
	s_or_b32 s37, s4, s2
.LBB329_1034:
	s_or_b32 exec_lo, exec_lo, s6
	s_and_saveexec_b32 s2, s37
	s_cbranch_execnz .LBB329_1148
; %bb.1035:
	s_or_b32 exec_lo, exec_lo, s2
	s_and_saveexec_b32 s2, s8
	s_delay_alu instid0(SALU_CYCLE_1)
	s_xor_b32 s2, exec_lo, s2
	s_cbranch_execz .LBB329_1037
.LBB329_1036:
	s_waitcnt vmcnt(0)
	v_cmp_neq_f32_e32 vcc_lo, 0, v3
	v_cndmask_b32_e64 v0, 0, 1, vcc_lo
	global_store_b8 v[1:2], v0, off
.LBB329_1037:
	s_or_b32 exec_lo, exec_lo, s2
	s_and_saveexec_b32 s2, s7
	s_delay_alu instid0(SALU_CYCLE_1)
	s_xor_b32 s2, exec_lo, s2
	s_cbranch_execz .LBB329_1075
; %bb.1038:
	v_cmp_gt_i16_e32 vcc_lo, 5, v5
	s_mov_b32 s4, -1
	s_cbranch_vccnz .LBB329_1059
; %bb.1039:
	v_cmp_gt_i16_e32 vcc_lo, 8, v5
	s_cbranch_vccnz .LBB329_1049
; %bb.1040:
	v_cmp_gt_i16_e32 vcc_lo, 9, v5
	s_cbranch_vccnz .LBB329_1046
; %bb.1041:
	v_cmp_lt_i16_e32 vcc_lo, 9, v5
	s_cbranch_vccz .LBB329_1043
; %bb.1042:
	s_waitcnt vmcnt(0)
	v_cvt_f64_f32_e32 v[6:7], v3
	v_mov_b32_e32 v8, 0
	s_mov_b32 s4, 0
	s_delay_alu instid0(VALU_DEP_1)
	v_mov_b32_e32 v9, v8
	global_store_b128 v[1:2], v[6:9], off
.LBB329_1043:
	s_and_not1_b32 vcc_lo, exec_lo, s4
	s_cbranch_vccnz .LBB329_1045
; %bb.1044:
	v_mov_b32_e32 v4, 0
	s_waitcnt vmcnt(0)
	global_store_b64 v[1:2], v[3:4], off
.LBB329_1045:
	s_mov_b32 s4, 0
.LBB329_1046:
	s_delay_alu instid0(SALU_CYCLE_1)
	s_and_not1_b32 vcc_lo, exec_lo, s4
	s_cbranch_vccnz .LBB329_1048
; %bb.1047:
	s_waitcnt vmcnt(0)
	v_cvt_f16_f32_e32 v0, v3
	s_delay_alu instid0(VALU_DEP_1)
	v_and_b32_e32 v0, 0xffff, v0
	global_store_b32 v[1:2], v0, off
.LBB329_1048:
	s_mov_b32 s4, 0
.LBB329_1049:
	s_delay_alu instid0(SALU_CYCLE_1)
	s_and_not1_b32 vcc_lo, exec_lo, s4
	s_cbranch_vccnz .LBB329_1058
; %bb.1050:
	v_cmp_gt_i16_e32 vcc_lo, 6, v5
	s_mov_b32 s4, -1
	s_cbranch_vccnz .LBB329_1056
; %bb.1051:
	v_cmp_lt_i16_e32 vcc_lo, 6, v5
	s_cbranch_vccz .LBB329_1053
; %bb.1052:
	s_waitcnt vmcnt(0)
	v_cvt_f64_f32_e32 v[6:7], v3
	s_mov_b32 s4, 0
	global_store_b64 v[1:2], v[6:7], off
.LBB329_1053:
	s_and_not1_b32 vcc_lo, exec_lo, s4
	s_cbranch_vccnz .LBB329_1055
; %bb.1054:
	s_waitcnt vmcnt(0)
	global_store_b32 v[1:2], v3, off
.LBB329_1055:
	s_mov_b32 s4, 0
.LBB329_1056:
	s_delay_alu instid0(SALU_CYCLE_1)
	s_and_not1_b32 vcc_lo, exec_lo, s4
	s_cbranch_vccnz .LBB329_1058
; %bb.1057:
	s_waitcnt vmcnt(0)
	v_cvt_f16_f32_e32 v0, v3
	global_store_b16 v[1:2], v0, off
.LBB329_1058:
	s_mov_b32 s4, 0
.LBB329_1059:
	s_delay_alu instid0(SALU_CYCLE_1)
	s_and_not1_b32 vcc_lo, exec_lo, s4
	s_cbranch_vccnz .LBB329_1075
; %bb.1060:
	v_cmp_gt_i16_e32 vcc_lo, 2, v5
	s_mov_b32 s4, -1
	s_cbranch_vccnz .LBB329_1070
; %bb.1061:
	v_cmp_gt_i16_e32 vcc_lo, 3, v5
	s_cbranch_vccnz .LBB329_1067
; %bb.1062:
	v_cmp_lt_i16_e32 vcc_lo, 3, v5
	s_cbranch_vccz .LBB329_1064
; %bb.1063:
	s_waitcnt vmcnt(0)
	v_trunc_f32_e32 v0, v3
	s_mov_b32 s4, 0
	s_delay_alu instid0(VALU_DEP_1) | instskip(NEXT) | instid1(VALU_DEP_1)
	v_mul_f32_e64 v4, 0x2f800000, |v0|
	v_floor_f32_e32 v4, v4
	s_delay_alu instid0(VALU_DEP_1) | instskip(SKIP_2) | instid1(VALU_DEP_3)
	v_fma_f32 v6, 0xcf800000, v4, |v0|
	v_ashrrev_i32_e32 v0, 31, v0
	v_cvt_u32_f32_e32 v4, v4
	v_cvt_u32_f32_e32 v6, v6
	s_delay_alu instid0(VALU_DEP_2) | instskip(NEXT) | instid1(VALU_DEP_2)
	v_xor_b32_e32 v4, v4, v0
	v_xor_b32_e32 v6, v6, v0
	s_delay_alu instid0(VALU_DEP_1) | instskip(NEXT) | instid1(VALU_DEP_3)
	v_sub_co_u32 v6, vcc_lo, v6, v0
	v_sub_co_ci_u32_e32 v7, vcc_lo, v4, v0, vcc_lo
	global_store_b64 v[1:2], v[6:7], off
.LBB329_1064:
	s_and_not1_b32 vcc_lo, exec_lo, s4
	s_cbranch_vccnz .LBB329_1066
; %bb.1065:
	s_waitcnt vmcnt(0)
	v_cvt_i32_f32_e32 v0, v3
	global_store_b32 v[1:2], v0, off
.LBB329_1066:
	s_mov_b32 s4, 0
.LBB329_1067:
	s_delay_alu instid0(SALU_CYCLE_1)
	s_and_not1_b32 vcc_lo, exec_lo, s4
	s_cbranch_vccnz .LBB329_1069
; %bb.1068:
	s_waitcnt vmcnt(0)
	v_cvt_i32_f32_e32 v0, v3
	global_store_b16 v[1:2], v0, off
.LBB329_1069:
	s_mov_b32 s4, 0
.LBB329_1070:
	s_delay_alu instid0(SALU_CYCLE_1)
	s_and_not1_b32 vcc_lo, exec_lo, s4
	s_cbranch_vccnz .LBB329_1075
; %bb.1071:
	v_cmp_lt_i16_e32 vcc_lo, 0, v5
	s_mov_b32 s4, -1
	s_cbranch_vccz .LBB329_1073
; %bb.1072:
	s_waitcnt vmcnt(0)
	v_cvt_i32_f32_e32 v0, v3
	s_mov_b32 s4, 0
	global_store_b8 v[1:2], v0, off
.LBB329_1073:
	s_and_not1_b32 vcc_lo, exec_lo, s4
	s_cbranch_vccnz .LBB329_1075
; %bb.1074:
	s_waitcnt vmcnt(0)
	v_trunc_f32_e32 v0, v3
	s_delay_alu instid0(VALU_DEP_1) | instskip(NEXT) | instid1(VALU_DEP_1)
	v_mul_f32_e64 v3, 0x2f800000, |v0|
	v_floor_f32_e32 v3, v3
	s_delay_alu instid0(VALU_DEP_1) | instskip(SKIP_1) | instid1(VALU_DEP_2)
	v_fma_f32 v3, 0xcf800000, v3, |v0|
	v_ashrrev_i32_e32 v0, 31, v0
	v_cvt_u32_f32_e32 v3, v3
	s_delay_alu instid0(VALU_DEP_1) | instskip(NEXT) | instid1(VALU_DEP_1)
	v_xor_b32_e32 v3, v3, v0
	v_sub_nc_u32_e32 v0, v3, v0
	global_store_b8 v[1:2], v0, off
.LBB329_1075:
	s_or_b32 exec_lo, exec_lo, s2
	s_delay_alu instid0(SALU_CYCLE_1)
	s_and_b32 s8, s3, exec_lo
                                        ; implicit-def: $vgpr8
                                        ; implicit-def: $vgpr5
.LBB329_1076:
	s_or_saveexec_b32 s9, s30
	s_mov_b32 s4, 0
                                        ; implicit-def: $vgpr0_vgpr1
                                        ; implicit-def: $sgpr2
                                        ; implicit-def: $vgpr2
	s_xor_b32 exec_lo, exec_lo, s9
	s_cbranch_execz .LBB329_2051
; %bb.1077:
	v_cndmask_b32_e64 v0, 0, 1, s29
	s_and_not1_b32 vcc_lo, exec_lo, s29
	s_cbranch_vccnz .LBB329_1083
; %bb.1078:
	s_waitcnt vmcnt(0)
	v_mov_b32_e32 v3, 0
	v_mov_b32_e32 v7, 0
	s_cmp_lg_u32 s26, 0
	s_mov_b32 s6, 0
	s_cbranch_scc0 .LBB329_1087
; %bb.1079:
	s_min_u32 s7, s27, 15
	v_mov_b32_e32 v3, 0
	s_add_i32 s7, s7, 1
	s_cmp_eq_u32 s27, 2
	s_mov_b32 s10, 0
	s_cbranch_scc1 .LBB329_1084
; %bb.1080:
	v_mov_b32_e32 v7, 0
	v_mov_b32_e32 v3, 0
	;; [unrolled: 1-line block ×3, first 2 shown]
	s_add_u32 s2, s16, 0xc4
	s_addc_u32 s3, s17, 0
	s_and_b32 s10, s7, 28
	s_mov_b32 s11, 0
	s_mov_b64 s[4:5], s[16:17]
.LBB329_1081:                           ; =>This Inner Loop Header: Depth=1
	s_clause 0x1
	s_load_b256 s[36:43], s[4:5], 0x4
	s_load_b128 s[12:15], s[4:5], 0x24
	s_load_b256 s[44:51], s[2:3], 0x0
	s_add_u32 s4, s4, 48
	s_addc_u32 s5, s5, 0
	s_add_i32 s11, s11, 4
	s_add_u32 s2, s2, 32
	s_addc_u32 s3, s3, 0
	s_cmp_lg_u32 s10, s11
	s_waitcnt lgkmcnt(0)
	v_mul_hi_u32 v2, s37, v1
	s_delay_alu instid0(VALU_DEP_1) | instskip(NEXT) | instid1(VALU_DEP_1)
	v_add_nc_u32_e32 v2, v1, v2
	v_lshrrev_b32_e32 v2, s38, v2
	s_delay_alu instid0(VALU_DEP_1) | instskip(SKIP_1) | instid1(VALU_DEP_2)
	v_mul_hi_u32 v4, s40, v2
	v_mul_lo_u32 v9, v2, s36
	v_add_nc_u32_e32 v4, v2, v4
	s_delay_alu instid0(VALU_DEP_2) | instskip(NEXT) | instid1(VALU_DEP_2)
	v_sub_nc_u32_e32 v1, v1, v9
	v_lshrrev_b32_e32 v4, s41, v4
	s_delay_alu instid0(VALU_DEP_2) | instskip(SKIP_1) | instid1(VALU_DEP_3)
	v_mul_lo_u32 v9, v1, s44
	v_mul_lo_u32 v11, v1, s45
	v_mul_hi_u32 v6, s43, v4
	s_delay_alu instid0(VALU_DEP_1) | instskip(NEXT) | instid1(VALU_DEP_1)
	v_add_nc_u32_e32 v6, v4, v6
	v_lshrrev_b32_e32 v6, s12, v6
	s_delay_alu instid0(VALU_DEP_1) | instskip(SKIP_1) | instid1(VALU_DEP_2)
	v_mul_hi_u32 v10, s14, v6
	v_mul_lo_u32 v12, v6, s42
	v_add_nc_u32_e32 v1, v6, v10
	v_mul_lo_u32 v10, v4, s39
	s_delay_alu instid0(VALU_DEP_3) | instskip(NEXT) | instid1(VALU_DEP_3)
	v_sub_nc_u32_e32 v4, v4, v12
	v_lshrrev_b32_e32 v1, s15, v1
	s_delay_alu instid0(VALU_DEP_2) | instskip(SKIP_2) | instid1(VALU_DEP_4)
	v_mul_lo_u32 v12, v4, s48
	v_mul_lo_u32 v4, v4, s49
	v_sub_nc_u32_e32 v2, v2, v10
	v_mul_lo_u32 v13, v1, s13
	s_delay_alu instid0(VALU_DEP_2) | instskip(SKIP_1) | instid1(VALU_DEP_3)
	v_mul_lo_u32 v10, v2, s46
	v_mul_lo_u32 v2, v2, s47
	v_sub_nc_u32_e32 v6, v6, v13
	s_delay_alu instid0(VALU_DEP_3) | instskip(NEXT) | instid1(VALU_DEP_2)
	v_add3_u32 v3, v9, v3, v10
	v_mul_lo_u32 v13, v6, s50
	v_mul_lo_u32 v6, v6, s51
	v_add3_u32 v2, v11, v7, v2
	s_delay_alu instid0(VALU_DEP_3) | instskip(NEXT) | instid1(VALU_DEP_2)
	v_add3_u32 v3, v12, v3, v13
	v_add3_u32 v7, v4, v2, v6
	s_cbranch_scc1 .LBB329_1081
; %bb.1082:
	s_and_b32 s7, s7, 3
	s_delay_alu instid0(SALU_CYCLE_1)
	s_cmp_eq_u32 s7, 0
	s_cbranch_scc0 .LBB329_1085
	s_branch .LBB329_1087
.LBB329_1083:
	s_mov_b32 s6, -1
                                        ; implicit-def: $vgpr3
                                        ; implicit-def: $vgpr7
	s_branch .LBB329_1087
.LBB329_1084:
	v_mov_b32_e32 v1, v5
	v_mov_b32_e32 v7, 0
	s_and_b32 s7, s7, 3
	s_delay_alu instid0(SALU_CYCLE_1)
	s_cmp_eq_u32 s7, 0
	s_cbranch_scc1 .LBB329_1087
.LBB329_1085:
	s_lshl_b32 s2, s10, 3
	s_mul_i32 s4, s10, 12
	s_add_u32 s2, s2, s16
	s_addc_u32 s3, 0, s17
	s_add_u32 s2, s2, 0xc4
	s_addc_u32 s3, s3, 0
	;; [unrolled: 2-line block ×3, first 2 shown]
	.p2align	6
.LBB329_1086:                           ; =>This Inner Loop Header: Depth=1
	s_clause 0x1
	s_load_b64 s[10:11], s[4:5], 0x4
	s_load_b32 s14, s[4:5], 0xc
	s_load_b64 s[12:13], s[2:3], 0x0
	s_add_u32 s4, s4, 12
	s_addc_u32 s5, s5, 0
	s_add_u32 s2, s2, 8
	s_addc_u32 s3, s3, 0
	s_add_i32 s7, s7, -1
	s_delay_alu instid0(SALU_CYCLE_1) | instskip(SKIP_2) | instid1(VALU_DEP_1)
	s_cmp_lg_u32 s7, 0
	s_waitcnt lgkmcnt(0)
	v_mul_hi_u32 v2, s11, v1
	v_add_nc_u32_e32 v2, v1, v2
	s_delay_alu instid0(VALU_DEP_1) | instskip(NEXT) | instid1(VALU_DEP_1)
	v_lshrrev_b32_e32 v4, s14, v2
	v_mul_lo_u32 v2, v4, s10
	s_delay_alu instid0(VALU_DEP_1) | instskip(NEXT) | instid1(VALU_DEP_1)
	v_sub_nc_u32_e32 v1, v1, v2
	v_mad_u64_u32 v[9:10], null, v1, s12, v[3:4]
	v_mad_u64_u32 v[2:3], null, v1, s13, v[7:8]
	v_mov_b32_e32 v1, v4
	s_delay_alu instid0(VALU_DEP_3) | instskip(NEXT) | instid1(VALU_DEP_3)
	v_mov_b32_e32 v3, v9
	v_mov_b32_e32 v7, v2
	s_cbranch_scc1 .LBB329_1086
.LBB329_1087:
	s_and_not1_b32 vcc_lo, exec_lo, s6
	s_cbranch_vccnz .LBB329_1090
; %bb.1088:
	s_clause 0x1
	s_load_b128 s[4:7], s[16:17], 0x4
	s_load_b64 s[2:3], s[16:17], 0xc4
	s_cmp_lt_u32 s26, 2
	s_waitcnt lgkmcnt(0)
	v_mul_hi_u32 v1, s5, v5
	s_delay_alu instid0(VALU_DEP_1) | instskip(NEXT) | instid1(VALU_DEP_1)
	v_add_nc_u32_e32 v1, v5, v1
	v_lshrrev_b32_e32 v1, s6, v1
	s_delay_alu instid0(VALU_DEP_1) | instskip(NEXT) | instid1(VALU_DEP_1)
	v_mul_lo_u32 v2, v1, s4
	v_sub_nc_u32_e32 v2, v5, v2
	s_waitcnt vmcnt(0)
	s_delay_alu instid0(VALU_DEP_1)
	v_mul_lo_u32 v3, v2, s2
	v_mul_lo_u32 v7, v2, s3
	s_cbranch_scc1 .LBB329_1090
; %bb.1089:
	s_clause 0x1
	s_load_b128 s[4:7], s[16:17], 0x10
	s_load_b64 s[2:3], s[16:17], 0xcc
	s_waitcnt lgkmcnt(0)
	v_mul_hi_u32 v2, s5, v1
	s_delay_alu instid0(VALU_DEP_1) | instskip(NEXT) | instid1(VALU_DEP_1)
	v_add_nc_u32_e32 v2, v1, v2
	v_lshrrev_b32_e32 v2, s6, v2
	s_delay_alu instid0(VALU_DEP_1) | instskip(NEXT) | instid1(VALU_DEP_1)
	v_mul_lo_u32 v2, v2, s4
	v_sub_nc_u32_e32 v4, v1, v2
	s_delay_alu instid0(VALU_DEP_1) | instskip(SKIP_1) | instid1(VALU_DEP_2)
	v_mad_u64_u32 v[1:2], null, v4, s2, v[3:4]
	v_mad_u64_u32 v[2:3], null, v4, s3, v[7:8]
	v_mov_b32_e32 v3, v1
	s_delay_alu instid0(VALU_DEP_2)
	v_mov_b32_e32 v7, v2
.LBB329_1090:
	v_cmp_ne_u32_e32 vcc_lo, 1, v0
	v_add_nc_u32_e32 v1, 0x80, v5
	s_cbranch_vccnz .LBB329_1096
; %bb.1091:
	v_mov_b32_e32 v2, 0
	s_waitcnt vmcnt(0)
	v_mov_b32_e32 v6, 0
	s_cmp_lg_u32 s26, 0
	s_mov_b32 s6, 0
	s_cbranch_scc0 .LBB329_1100
; %bb.1092:
	s_min_u32 s7, s27, 15
	v_mov_b32_e32 v2, 0
	s_add_i32 s7, s7, 1
	s_cmp_eq_u32 s27, 2
	s_mov_b32 s10, 0
	s_cbranch_scc1 .LBB329_1097
; %bb.1093:
	v_mov_b32_e32 v6, 0
	v_mov_b32_e32 v2, 0
	;; [unrolled: 1-line block ×3, first 2 shown]
	s_add_u32 s2, s16, 0xc4
	s_addc_u32 s3, s17, 0
	s_and_b32 s10, s7, 28
	s_mov_b32 s11, 0
	s_mov_b64 s[4:5], s[16:17]
.LBB329_1094:                           ; =>This Inner Loop Header: Depth=1
	s_clause 0x1
	s_load_b256 s[36:43], s[4:5], 0x4
	s_load_b128 s[12:15], s[4:5], 0x24
	s_load_b256 s[44:51], s[2:3], 0x0
	s_add_u32 s4, s4, 48
	s_addc_u32 s5, s5, 0
	s_add_i32 s11, s11, 4
	s_add_u32 s2, s2, 32
	s_addc_u32 s3, s3, 0
	s_cmp_lg_u32 s10, s11
	s_waitcnt lgkmcnt(0)
	v_mul_hi_u32 v9, s37, v4
	s_delay_alu instid0(VALU_DEP_1) | instskip(NEXT) | instid1(VALU_DEP_1)
	v_add_nc_u32_e32 v9, v4, v9
	v_lshrrev_b32_e32 v9, s38, v9
	s_delay_alu instid0(VALU_DEP_1) | instskip(SKIP_1) | instid1(VALU_DEP_2)
	v_mul_hi_u32 v10, s40, v9
	v_mul_lo_u32 v12, v9, s36
	v_add_nc_u32_e32 v10, v9, v10
	s_delay_alu instid0(VALU_DEP_2) | instskip(NEXT) | instid1(VALU_DEP_2)
	v_sub_nc_u32_e32 v4, v4, v12
	v_lshrrev_b32_e32 v10, s41, v10
	s_delay_alu instid0(VALU_DEP_2) | instskip(SKIP_1) | instid1(VALU_DEP_3)
	v_mul_lo_u32 v12, v4, s44
	v_mul_lo_u32 v14, v4, s45
	v_mul_hi_u32 v11, s43, v10
	s_delay_alu instid0(VALU_DEP_1) | instskip(NEXT) | instid1(VALU_DEP_1)
	v_add_nc_u32_e32 v11, v10, v11
	v_lshrrev_b32_e32 v11, s12, v11
	s_delay_alu instid0(VALU_DEP_1) | instskip(SKIP_1) | instid1(VALU_DEP_2)
	v_mul_hi_u32 v13, s14, v11
	v_mul_lo_u32 v15, v11, s42
	v_add_nc_u32_e32 v4, v11, v13
	v_mul_lo_u32 v13, v10, s39
	s_delay_alu instid0(VALU_DEP_3) | instskip(NEXT) | instid1(VALU_DEP_3)
	v_sub_nc_u32_e32 v10, v10, v15
	v_lshrrev_b32_e32 v4, s15, v4
	s_delay_alu instid0(VALU_DEP_2) | instskip(SKIP_2) | instid1(VALU_DEP_4)
	v_mul_lo_u32 v15, v10, s48
	v_mul_lo_u32 v10, v10, s49
	v_sub_nc_u32_e32 v9, v9, v13
	v_mul_lo_u32 v16, v4, s13
	s_delay_alu instid0(VALU_DEP_2) | instskip(SKIP_1) | instid1(VALU_DEP_3)
	v_mul_lo_u32 v13, v9, s46
	v_mul_lo_u32 v9, v9, s47
	v_sub_nc_u32_e32 v11, v11, v16
	s_delay_alu instid0(VALU_DEP_3) | instskip(NEXT) | instid1(VALU_DEP_2)
	v_add3_u32 v2, v12, v2, v13
	v_mul_lo_u32 v16, v11, s50
	v_mul_lo_u32 v11, v11, s51
	v_add3_u32 v6, v14, v6, v9
	s_delay_alu instid0(VALU_DEP_3) | instskip(NEXT) | instid1(VALU_DEP_2)
	v_add3_u32 v2, v15, v2, v16
	v_add3_u32 v6, v10, v6, v11
	s_cbranch_scc1 .LBB329_1094
; %bb.1095:
	s_and_b32 s7, s7, 3
	s_delay_alu instid0(SALU_CYCLE_1)
	s_cmp_eq_u32 s7, 0
	s_cbranch_scc0 .LBB329_1098
	s_branch .LBB329_1100
.LBB329_1096:
	s_mov_b32 s6, -1
                                        ; implicit-def: $vgpr2
                                        ; implicit-def: $vgpr6
	s_branch .LBB329_1100
.LBB329_1097:
	v_mov_b32_e32 v4, v1
	v_mov_b32_e32 v6, 0
	s_and_b32 s7, s7, 3
	s_delay_alu instid0(SALU_CYCLE_1)
	s_cmp_eq_u32 s7, 0
	s_cbranch_scc1 .LBB329_1100
.LBB329_1098:
	s_lshl_b32 s2, s10, 3
	s_mul_i32 s4, s10, 12
	s_add_u32 s2, s2, s16
	s_addc_u32 s3, 0, s17
	s_add_u32 s2, s2, 0xc4
	s_addc_u32 s3, s3, 0
	;; [unrolled: 2-line block ×3, first 2 shown]
	.p2align	6
.LBB329_1099:                           ; =>This Inner Loop Header: Depth=1
	s_clause 0x1
	s_load_b64 s[10:11], s[4:5], 0x4
	s_load_b32 s14, s[4:5], 0xc
	s_load_b64 s[12:13], s[2:3], 0x0
	s_add_u32 s4, s4, 12
	s_addc_u32 s5, s5, 0
	s_add_u32 s2, s2, 8
	s_addc_u32 s3, s3, 0
	s_add_i32 s7, s7, -1
	s_delay_alu instid0(SALU_CYCLE_1) | instskip(SKIP_2) | instid1(VALU_DEP_1)
	s_cmp_lg_u32 s7, 0
	s_waitcnt lgkmcnt(0)
	v_mul_hi_u32 v9, s11, v4
	v_add_nc_u32_e32 v9, v4, v9
	s_delay_alu instid0(VALU_DEP_1) | instskip(NEXT) | instid1(VALU_DEP_1)
	v_lshrrev_b32_e32 v12, s14, v9
	v_mul_lo_u32 v9, v12, s10
	s_delay_alu instid0(VALU_DEP_1) | instskip(NEXT) | instid1(VALU_DEP_1)
	v_sub_nc_u32_e32 v4, v4, v9
	v_mad_u64_u32 v[9:10], null, v4, s12, v[2:3]
	v_mad_u64_u32 v[10:11], null, v4, s13, v[6:7]
	v_mov_b32_e32 v4, v12
	s_delay_alu instid0(VALU_DEP_3) | instskip(NEXT) | instid1(VALU_DEP_3)
	v_mov_b32_e32 v2, v9
	v_mov_b32_e32 v6, v10
	s_cbranch_scc1 .LBB329_1099
.LBB329_1100:
	s_and_not1_b32 vcc_lo, exec_lo, s6
	s_cbranch_vccnz .LBB329_1103
; %bb.1101:
	s_clause 0x1
	s_load_b128 s[4:7], s[16:17], 0x4
	s_load_b64 s[2:3], s[16:17], 0xc4
	s_cmp_lt_u32 s26, 2
	s_waitcnt lgkmcnt(0)
	v_mul_hi_u32 v2, s5, v1
	s_delay_alu instid0(VALU_DEP_1) | instskip(NEXT) | instid1(VALU_DEP_1)
	v_add_nc_u32_e32 v2, v1, v2
	v_lshrrev_b32_e32 v4, s6, v2
	s_delay_alu instid0(VALU_DEP_1) | instskip(NEXT) | instid1(VALU_DEP_1)
	v_mul_lo_u32 v2, v4, s4
	v_sub_nc_u32_e32 v1, v1, v2
	s_delay_alu instid0(VALU_DEP_1)
	v_mul_lo_u32 v2, v1, s2
	s_waitcnt vmcnt(0)
	v_mul_lo_u32 v6, v1, s3
	s_cbranch_scc1 .LBB329_1103
; %bb.1102:
	s_clause 0x1
	s_load_b128 s[4:7], s[16:17], 0x10
	s_load_b64 s[2:3], s[16:17], 0xcc
	s_waitcnt lgkmcnt(0)
	v_mul_hi_u32 v1, s5, v4
	s_delay_alu instid0(VALU_DEP_1) | instskip(NEXT) | instid1(VALU_DEP_1)
	v_add_nc_u32_e32 v1, v4, v1
	v_lshrrev_b32_e32 v1, s6, v1
	s_delay_alu instid0(VALU_DEP_1) | instskip(NEXT) | instid1(VALU_DEP_1)
	v_mul_lo_u32 v1, v1, s4
	v_sub_nc_u32_e32 v4, v4, v1
	s_delay_alu instid0(VALU_DEP_1) | instskip(SKIP_1) | instid1(VALU_DEP_2)
	v_mad_u64_u32 v[9:10], null, v4, s2, v[2:3]
	v_mad_u64_u32 v[1:2], null, v4, s3, v[6:7]
	v_mov_b32_e32 v2, v9
	s_delay_alu instid0(VALU_DEP_2)
	v_mov_b32_e32 v6, v1
.LBB329_1103:
	v_cmp_ne_u32_e32 vcc_lo, 1, v0
	v_add_nc_u32_e32 v4, 0x100, v5
	s_cbranch_vccnz .LBB329_1109
; %bb.1104:
	v_mov_b32_e32 v1, 0
	v_mov_b32_e32 v5, 0
	s_cmp_lg_u32 s26, 0
	s_mov_b32 s6, 0
	s_cbranch_scc0 .LBB329_1113
; %bb.1105:
	s_min_u32 s7, s27, 15
	v_mov_b32_e32 v1, 0
	s_add_i32 s7, s7, 1
	s_cmp_eq_u32 s27, 2
	s_mov_b32 s10, 0
	s_cbranch_scc1 .LBB329_1110
; %bb.1106:
	v_mov_b32_e32 v5, 0
	v_mov_b32_e32 v1, 0
	;; [unrolled: 1-line block ×3, first 2 shown]
	s_add_u32 s2, s16, 0xc4
	s_addc_u32 s3, s17, 0
	s_and_b32 s10, s7, 28
	s_mov_b32 s11, 0
	s_mov_b64 s[4:5], s[16:17]
.LBB329_1107:                           ; =>This Inner Loop Header: Depth=1
	s_clause 0x1
	s_load_b256 s[36:43], s[4:5], 0x4
	s_load_b128 s[12:15], s[4:5], 0x24
	s_load_b256 s[44:51], s[2:3], 0x0
	s_add_u32 s4, s4, 48
	s_addc_u32 s5, s5, 0
	s_add_i32 s11, s11, 4
	s_add_u32 s2, s2, 32
	s_addc_u32 s3, s3, 0
	s_cmp_lg_u32 s10, s11
	s_waitcnt lgkmcnt(0)
	v_mul_hi_u32 v10, s37, v9
	s_delay_alu instid0(VALU_DEP_1) | instskip(NEXT) | instid1(VALU_DEP_1)
	v_add_nc_u32_e32 v10, v9, v10
	v_lshrrev_b32_e32 v10, s38, v10
	s_delay_alu instid0(VALU_DEP_1) | instskip(SKIP_1) | instid1(VALU_DEP_2)
	v_mul_hi_u32 v11, s40, v10
	v_mul_lo_u32 v13, v10, s36
	v_add_nc_u32_e32 v11, v10, v11
	s_delay_alu instid0(VALU_DEP_2) | instskip(NEXT) | instid1(VALU_DEP_2)
	v_sub_nc_u32_e32 v9, v9, v13
	v_lshrrev_b32_e32 v11, s41, v11
	s_delay_alu instid0(VALU_DEP_2) | instskip(SKIP_1) | instid1(VALU_DEP_3)
	v_mul_lo_u32 v13, v9, s44
	v_mul_lo_u32 v15, v9, s45
	v_mul_hi_u32 v12, s43, v11
	s_delay_alu instid0(VALU_DEP_1) | instskip(NEXT) | instid1(VALU_DEP_1)
	v_add_nc_u32_e32 v12, v11, v12
	v_lshrrev_b32_e32 v12, s12, v12
	s_delay_alu instid0(VALU_DEP_1) | instskip(SKIP_1) | instid1(VALU_DEP_2)
	v_mul_hi_u32 v14, s14, v12
	v_mul_lo_u32 v16, v12, s42
	v_add_nc_u32_e32 v9, v12, v14
	v_mul_lo_u32 v14, v11, s39
	s_delay_alu instid0(VALU_DEP_3) | instskip(NEXT) | instid1(VALU_DEP_3)
	v_sub_nc_u32_e32 v11, v11, v16
	v_lshrrev_b32_e32 v9, s15, v9
	s_delay_alu instid0(VALU_DEP_2) | instskip(SKIP_2) | instid1(VALU_DEP_4)
	v_mul_lo_u32 v16, v11, s48
	v_mul_lo_u32 v11, v11, s49
	v_sub_nc_u32_e32 v10, v10, v14
	v_mul_lo_u32 v17, v9, s13
	s_delay_alu instid0(VALU_DEP_2) | instskip(SKIP_1) | instid1(VALU_DEP_3)
	v_mul_lo_u32 v14, v10, s46
	v_mul_lo_u32 v10, v10, s47
	v_sub_nc_u32_e32 v12, v12, v17
	s_delay_alu instid0(VALU_DEP_3) | instskip(NEXT) | instid1(VALU_DEP_2)
	v_add3_u32 v1, v13, v1, v14
	v_mul_lo_u32 v17, v12, s50
	v_mul_lo_u32 v12, v12, s51
	v_add3_u32 v5, v15, v5, v10
	s_delay_alu instid0(VALU_DEP_3) | instskip(NEXT) | instid1(VALU_DEP_2)
	v_add3_u32 v1, v16, v1, v17
	v_add3_u32 v5, v11, v5, v12
	s_cbranch_scc1 .LBB329_1107
; %bb.1108:
	s_and_b32 s7, s7, 3
	s_delay_alu instid0(SALU_CYCLE_1)
	s_cmp_eq_u32 s7, 0
	s_cbranch_scc0 .LBB329_1111
	s_branch .LBB329_1113
.LBB329_1109:
	s_mov_b32 s6, -1
                                        ; implicit-def: $vgpr1
                                        ; implicit-def: $vgpr5
	s_branch .LBB329_1113
.LBB329_1110:
	v_mov_b32_e32 v9, v4
	v_mov_b32_e32 v5, 0
	s_and_b32 s7, s7, 3
	s_delay_alu instid0(SALU_CYCLE_1)
	s_cmp_eq_u32 s7, 0
	s_cbranch_scc1 .LBB329_1113
.LBB329_1111:
	s_lshl_b32 s2, s10, 3
	s_mul_i32 s4, s10, 12
	s_add_u32 s2, s2, s16
	s_addc_u32 s3, 0, s17
	s_add_u32 s2, s2, 0xc4
	s_addc_u32 s3, s3, 0
	;; [unrolled: 2-line block ×3, first 2 shown]
	.p2align	6
.LBB329_1112:                           ; =>This Inner Loop Header: Depth=1
	s_clause 0x1
	s_load_b64 s[10:11], s[4:5], 0x4
	s_load_b32 s14, s[4:5], 0xc
	s_load_b64 s[12:13], s[2:3], 0x0
	s_add_u32 s4, s4, 12
	s_addc_u32 s5, s5, 0
	s_add_u32 s2, s2, 8
	s_addc_u32 s3, s3, 0
	s_add_i32 s7, s7, -1
	s_delay_alu instid0(SALU_CYCLE_1) | instskip(SKIP_2) | instid1(VALU_DEP_1)
	s_cmp_lg_u32 s7, 0
	s_waitcnt lgkmcnt(0)
	v_mul_hi_u32 v10, s11, v9
	v_add_nc_u32_e32 v10, v9, v10
	s_delay_alu instid0(VALU_DEP_1) | instskip(NEXT) | instid1(VALU_DEP_1)
	v_lshrrev_b32_e32 v13, s14, v10
	v_mul_lo_u32 v10, v13, s10
	s_delay_alu instid0(VALU_DEP_1) | instskip(NEXT) | instid1(VALU_DEP_1)
	v_sub_nc_u32_e32 v9, v9, v10
	v_mad_u64_u32 v[10:11], null, v9, s12, v[1:2]
	s_waitcnt vmcnt(0)
	v_mad_u64_u32 v[11:12], null, v9, s13, v[5:6]
	v_mov_b32_e32 v9, v13
	s_delay_alu instid0(VALU_DEP_3) | instskip(NEXT) | instid1(VALU_DEP_3)
	v_mov_b32_e32 v1, v10
	v_mov_b32_e32 v5, v11
	s_cbranch_scc1 .LBB329_1112
.LBB329_1113:
	s_and_not1_b32 vcc_lo, exec_lo, s6
	s_cbranch_vccnz .LBB329_1116
; %bb.1114:
	s_clause 0x1
	s_load_b128 s[4:7], s[16:17], 0x4
	s_load_b64 s[2:3], s[16:17], 0xc4
	s_cmp_lt_u32 s26, 2
	s_waitcnt lgkmcnt(0)
	v_mul_hi_u32 v1, s5, v4
	s_delay_alu instid0(VALU_DEP_1) | instskip(NEXT) | instid1(VALU_DEP_1)
	v_add_nc_u32_e32 v1, v4, v1
	v_lshrrev_b32_e32 v9, s6, v1
	s_delay_alu instid0(VALU_DEP_1) | instskip(NEXT) | instid1(VALU_DEP_1)
	v_mul_lo_u32 v1, v9, s4
	v_sub_nc_u32_e32 v4, v4, v1
	s_delay_alu instid0(VALU_DEP_1)
	v_mul_lo_u32 v1, v4, s2
	v_mul_lo_u32 v5, v4, s3
	s_cbranch_scc1 .LBB329_1116
; %bb.1115:
	s_clause 0x1
	s_load_b128 s[4:7], s[16:17], 0x10
	s_load_b64 s[2:3], s[16:17], 0xcc
	s_waitcnt lgkmcnt(0)
	v_mul_hi_u32 v4, s5, v9
	s_delay_alu instid0(VALU_DEP_1) | instskip(NEXT) | instid1(VALU_DEP_1)
	v_add_nc_u32_e32 v4, v9, v4
	v_lshrrev_b32_e32 v4, s6, v4
	s_delay_alu instid0(VALU_DEP_1) | instskip(NEXT) | instid1(VALU_DEP_1)
	v_mul_lo_u32 v4, v4, s4
	v_sub_nc_u32_e32 v4, v9, v4
	s_delay_alu instid0(VALU_DEP_1) | instskip(SKIP_2) | instid1(VALU_DEP_2)
	v_mad_u64_u32 v[9:10], null, v4, s2, v[1:2]
	s_waitcnt vmcnt(0)
	v_mad_u64_u32 v[10:11], null, v4, s3, v[5:6]
	v_mov_b32_e32 v1, v9
	s_delay_alu instid0(VALU_DEP_2)
	v_mov_b32_e32 v5, v10
.LBB329_1116:
	v_cmp_ne_u32_e32 vcc_lo, 1, v0
	s_cbranch_vccnz .LBB329_1122
; %bb.1117:
	v_mov_b32_e32 v0, 0
	v_mov_b32_e32 v4, 0
	s_cmp_lg_u32 s26, 0
	s_mov_b32 s6, 0
	s_cbranch_scc0 .LBB329_1126
; %bb.1118:
	s_min_u32 s7, s27, 15
	v_mov_b32_e32 v0, 0
	s_add_i32 s7, s7, 1
	s_cmp_eq_u32 s27, 2
	s_mov_b32 s10, 0
	s_cbranch_scc1 .LBB329_1123
; %bb.1119:
	v_dual_mov_b32 v4, 0 :: v_dual_mov_b32 v9, v8
	v_mov_b32_e32 v0, 0
	s_add_u32 s2, s16, 0xc4
	s_addc_u32 s3, s17, 0
	s_and_b32 s10, s7, 28
	s_mov_b32 s11, 0
	s_mov_b64 s[4:5], s[16:17]
.LBB329_1120:                           ; =>This Inner Loop Header: Depth=1
	s_clause 0x1
	s_load_b256 s[36:43], s[4:5], 0x4
	s_load_b128 s[12:15], s[4:5], 0x24
	s_load_b256 s[44:51], s[2:3], 0x0
	s_add_u32 s4, s4, 48
	s_addc_u32 s5, s5, 0
	s_add_i32 s11, s11, 4
	s_add_u32 s2, s2, 32
	s_addc_u32 s3, s3, 0
	s_cmp_lg_u32 s10, s11
	s_waitcnt lgkmcnt(0)
	v_mul_hi_u32 v10, s37, v9
	s_delay_alu instid0(VALU_DEP_1) | instskip(NEXT) | instid1(VALU_DEP_1)
	v_add_nc_u32_e32 v10, v9, v10
	v_lshrrev_b32_e32 v10, s38, v10
	s_delay_alu instid0(VALU_DEP_1) | instskip(SKIP_1) | instid1(VALU_DEP_2)
	v_mul_hi_u32 v11, s40, v10
	v_mul_lo_u32 v13, v10, s36
	v_add_nc_u32_e32 v11, v10, v11
	s_delay_alu instid0(VALU_DEP_2) | instskip(NEXT) | instid1(VALU_DEP_2)
	v_sub_nc_u32_e32 v9, v9, v13
	v_lshrrev_b32_e32 v11, s41, v11
	s_delay_alu instid0(VALU_DEP_2) | instskip(SKIP_1) | instid1(VALU_DEP_3)
	v_mul_lo_u32 v13, v9, s44
	v_mul_lo_u32 v15, v9, s45
	v_mul_hi_u32 v12, s43, v11
	s_delay_alu instid0(VALU_DEP_1) | instskip(NEXT) | instid1(VALU_DEP_1)
	v_add_nc_u32_e32 v12, v11, v12
	v_lshrrev_b32_e32 v12, s12, v12
	s_delay_alu instid0(VALU_DEP_1) | instskip(SKIP_1) | instid1(VALU_DEP_2)
	v_mul_hi_u32 v14, s14, v12
	v_mul_lo_u32 v16, v12, s42
	v_add_nc_u32_e32 v9, v12, v14
	v_mul_lo_u32 v14, v11, s39
	s_delay_alu instid0(VALU_DEP_3) | instskip(NEXT) | instid1(VALU_DEP_3)
	v_sub_nc_u32_e32 v11, v11, v16
	v_lshrrev_b32_e32 v9, s15, v9
	s_delay_alu instid0(VALU_DEP_2) | instskip(SKIP_2) | instid1(VALU_DEP_4)
	v_mul_lo_u32 v16, v11, s48
	v_mul_lo_u32 v11, v11, s49
	v_sub_nc_u32_e32 v10, v10, v14
	v_mul_lo_u32 v17, v9, s13
	s_delay_alu instid0(VALU_DEP_2) | instskip(SKIP_1) | instid1(VALU_DEP_3)
	v_mul_lo_u32 v14, v10, s46
	v_mul_lo_u32 v10, v10, s47
	v_sub_nc_u32_e32 v12, v12, v17
	s_delay_alu instid0(VALU_DEP_3) | instskip(NEXT) | instid1(VALU_DEP_2)
	v_add3_u32 v0, v13, v0, v14
	v_mul_lo_u32 v17, v12, s50
	v_mul_lo_u32 v12, v12, s51
	v_add3_u32 v4, v15, v4, v10
	s_delay_alu instid0(VALU_DEP_3) | instskip(NEXT) | instid1(VALU_DEP_2)
	v_add3_u32 v0, v16, v0, v17
	v_add3_u32 v4, v11, v4, v12
	s_cbranch_scc1 .LBB329_1120
; %bb.1121:
	s_and_b32 s7, s7, 3
	s_delay_alu instid0(SALU_CYCLE_1)
	s_cmp_eq_u32 s7, 0
	s_cbranch_scc0 .LBB329_1124
	s_branch .LBB329_1126
.LBB329_1122:
	s_mov_b32 s6, -1
                                        ; implicit-def: $vgpr0
                                        ; implicit-def: $vgpr4
	s_branch .LBB329_1126
.LBB329_1123:
	v_dual_mov_b32 v9, v8 :: v_dual_mov_b32 v4, 0
	s_and_b32 s7, s7, 3
	s_delay_alu instid0(SALU_CYCLE_1)
	s_cmp_eq_u32 s7, 0
	s_cbranch_scc1 .LBB329_1126
.LBB329_1124:
	s_lshl_b32 s2, s10, 3
	s_mul_i32 s4, s10, 12
	s_add_u32 s2, s2, s16
	s_addc_u32 s3, 0, s17
	s_add_u32 s2, s2, 0xc4
	s_addc_u32 s3, s3, 0
	;; [unrolled: 2-line block ×3, first 2 shown]
	.p2align	6
.LBB329_1125:                           ; =>This Inner Loop Header: Depth=1
	s_clause 0x1
	s_load_b64 s[10:11], s[4:5], 0x4
	s_load_b32 s14, s[4:5], 0xc
	s_load_b64 s[12:13], s[2:3], 0x0
	s_add_u32 s4, s4, 12
	s_addc_u32 s5, s5, 0
	s_add_u32 s2, s2, 8
	s_addc_u32 s3, s3, 0
	s_add_i32 s7, s7, -1
	s_delay_alu instid0(SALU_CYCLE_1) | instskip(SKIP_2) | instid1(VALU_DEP_1)
	s_cmp_lg_u32 s7, 0
	s_waitcnt lgkmcnt(0)
	v_mul_hi_u32 v10, s11, v9
	v_add_nc_u32_e32 v10, v9, v10
	s_delay_alu instid0(VALU_DEP_1) | instskip(NEXT) | instid1(VALU_DEP_1)
	v_lshrrev_b32_e32 v13, s14, v10
	v_mul_lo_u32 v10, v13, s10
	s_delay_alu instid0(VALU_DEP_1) | instskip(NEXT) | instid1(VALU_DEP_1)
	v_sub_nc_u32_e32 v9, v9, v10
	v_mad_u64_u32 v[10:11], null, v9, s12, v[0:1]
	v_mad_u64_u32 v[11:12], null, v9, s13, v[4:5]
	s_delay_alu instid0(VALU_DEP_2) | instskip(NEXT) | instid1(VALU_DEP_2)
	v_dual_mov_b32 v9, v13 :: v_dual_mov_b32 v0, v10
	v_mov_b32_e32 v4, v11
	s_cbranch_scc1 .LBB329_1125
.LBB329_1126:
	s_and_not1_b32 vcc_lo, exec_lo, s6
	s_cbranch_vccnz .LBB329_1129
; %bb.1127:
	s_clause 0x1
	s_load_b128 s[4:7], s[16:17], 0x4
	s_load_b64 s[2:3], s[16:17], 0xc4
	s_cmp_lt_u32 s26, 2
	s_waitcnt lgkmcnt(0)
	v_mul_hi_u32 v0, s5, v8
	s_delay_alu instid0(VALU_DEP_1) | instskip(NEXT) | instid1(VALU_DEP_1)
	v_add_nc_u32_e32 v0, v8, v0
	v_lshrrev_b32_e32 v9, s6, v0
	s_delay_alu instid0(VALU_DEP_1) | instskip(NEXT) | instid1(VALU_DEP_1)
	v_mul_lo_u32 v0, v9, s4
	v_sub_nc_u32_e32 v4, v8, v0
	s_delay_alu instid0(VALU_DEP_1)
	v_mul_lo_u32 v0, v4, s2
	v_mul_lo_u32 v4, v4, s3
	s_cbranch_scc1 .LBB329_1129
; %bb.1128:
	s_clause 0x1
	s_load_b128 s[4:7], s[16:17], 0x10
	s_load_b64 s[2:3], s[16:17], 0xcc
	s_waitcnt lgkmcnt(0)
	v_mul_hi_u32 v8, s5, v9
	s_delay_alu instid0(VALU_DEP_1) | instskip(NEXT) | instid1(VALU_DEP_1)
	v_add_nc_u32_e32 v8, v9, v8
	v_lshrrev_b32_e32 v8, s6, v8
	s_delay_alu instid0(VALU_DEP_1) | instskip(NEXT) | instid1(VALU_DEP_1)
	v_mul_lo_u32 v8, v8, s4
	v_sub_nc_u32_e32 v11, v9, v8
	s_delay_alu instid0(VALU_DEP_1) | instskip(SKIP_1) | instid1(VALU_DEP_2)
	v_mad_u64_u32 v[8:9], null, v11, s2, v[0:1]
	v_mad_u64_u32 v[9:10], null, v11, s3, v[4:5]
	v_mov_b32_e32 v0, v8
	s_delay_alu instid0(VALU_DEP_2)
	v_mov_b32_e32 v4, v9
.LBB329_1129:
	s_clause 0x1
	s_load_b32 s0, s[0:1], 0x168
	s_load_b128 s[4:7], s[16:17], 0x148
	s_mov_b32 s3, 0
	s_waitcnt lgkmcnt(0)
	s_lshr_b32 s0, s0, 8
	s_delay_alu instid0(SALU_CYCLE_1) | instskip(SKIP_1) | instid1(VALU_DEP_1)
	v_and_b32_e64 v9, 0xff, s0
	v_add_co_u32 v7, s0, s6, v7
	v_add_co_ci_u32_e64 v8, null, s7, 0, s0
	s_delay_alu instid0(VALU_DEP_3)
	v_cmp_gt_i16_e32 vcc_lo, 11, v9
	s_cbranch_vccnz .LBB329_1136
; %bb.1130:
	v_cmp_lt_i16_e32 vcc_lo, 25, v9
	s_mov_b32 s2, 0
	s_cbranch_vccz .LBB329_1142
; %bb.1131:
	v_cmp_lt_i16_e32 vcc_lo, 28, v9
	s_cbranch_vccz .LBB329_1144
; %bb.1132:
	v_cmp_lt_i16_e32 vcc_lo, 43, v9
	;; [unrolled: 3-line block ×3, first 2 shown]
	s_cbranch_vccz .LBB329_1150
; %bb.1134:
	v_cmp_eq_u16_e32 vcc_lo, 46, v9
	s_mov_b32 s1, 0
	s_cbranch_vccz .LBB329_1192
; %bb.1135:
	global_load_b32 v10, v[7:8], off
	s_mov_b32 s0, 0
	s_mov_b32 s3, -1
	s_waitcnt vmcnt(0)
	v_lshlrev_b32_e32 v10, 16, v10
	s_branch .LBB329_1194
.LBB329_1136:
	s_mov_b32 s1, s8
                                        ; implicit-def: $vgpr10
	s_cbranch_execz .LBB329_1257
; %bb.1137:
	v_cmp_gt_i16_e32 vcc_lo, 5, v9
	s_cbranch_vccnz .LBB329_1143
; %bb.1138:
	v_cmp_gt_i16_e32 vcc_lo, 8, v9
	s_cbranch_vccnz .LBB329_1145
	;; [unrolled: 3-line block ×3, first 2 shown]
; %bb.1140:
	v_cmp_lt_i16_e32 vcc_lo, 9, v9
	s_cbranch_vccz .LBB329_1151
; %bb.1141:
	global_load_b64 v[10:11], v[7:8], off
	s_mov_b32 s0, 0
	s_waitcnt vmcnt(0)
	v_cvt_f32_f64_e32 v10, v[10:11]
	s_branch .LBB329_1152
.LBB329_1142:
	s_mov_b32 s0, 0
                                        ; implicit-def: $vgpr10
	s_cbranch_execnz .LBB329_1222
	s_branch .LBB329_1253
.LBB329_1143:
                                        ; implicit-def: $vgpr10
	s_branch .LBB329_1169
.LBB329_1144:
	s_mov_b32 s1, -1
	s_mov_b32 s0, 0
                                        ; implicit-def: $vgpr10
	s_branch .LBB329_1203
.LBB329_1145:
                                        ; implicit-def: $vgpr10
	s_branch .LBB329_1158
.LBB329_1146:
	s_mov_b32 s0, 0
                                        ; implicit-def: $vgpr10
	s_cbranch_execnz .LBB329_1199
	s_branch .LBB329_1202
.LBB329_1147:
	s_mov_b32 s0, -1
                                        ; implicit-def: $vgpr10
	s_branch .LBB329_1155
.LBB329_1148:
	s_cbranch_execnz .LBB329_1190
; %bb.1149:
	s_or_b32 s3, s3, exec_lo
	s_and_not1_b32 s8, s8, exec_lo
	s_or_b32 exec_lo, exec_lo, s2
	s_and_saveexec_b32 s2, s8
	s_delay_alu instid0(SALU_CYCLE_1)
	s_xor_b32 s2, exec_lo, s2
	s_cbranch_execnz .LBB329_1036
	s_branch .LBB329_1037
.LBB329_1150:
	s_mov_b32 s1, -1
	s_mov_b32 s0, 0
	s_branch .LBB329_1193
.LBB329_1151:
	s_mov_b32 s0, -1
                                        ; implicit-def: $vgpr10
.LBB329_1152:
	s_delay_alu instid0(SALU_CYCLE_1)
	s_and_not1_b32 vcc_lo, exec_lo, s0
	s_cbranch_vccnz .LBB329_1154
; %bb.1153:
	global_load_b32 v10, v[7:8], off
.LBB329_1154:
	s_mov_b32 s0, 0
.LBB329_1155:
	s_delay_alu instid0(SALU_CYCLE_1)
	s_and_not1_b32 vcc_lo, exec_lo, s0
	s_cbranch_vccnz .LBB329_1157
; %bb.1156:
	global_load_b32 v10, v[7:8], off
	s_waitcnt vmcnt(0)
	v_cvt_f32_f16_e32 v10, v10
.LBB329_1157:
	s_cbranch_execnz .LBB329_1168
.LBB329_1158:
	v_cmp_gt_i16_e32 vcc_lo, 6, v9
	s_cbranch_vccnz .LBB329_1161
; %bb.1159:
	v_cmp_lt_i16_e32 vcc_lo, 6, v9
	s_cbranch_vccz .LBB329_1162
; %bb.1160:
	global_load_b64 v[10:11], v[7:8], off
	s_mov_b32 s0, 0
	s_waitcnt vmcnt(0)
	v_cvt_f32_f64_e32 v10, v[10:11]
	s_branch .LBB329_1163
.LBB329_1161:
	s_mov_b32 s0, -1
                                        ; implicit-def: $vgpr10
	s_branch .LBB329_1166
.LBB329_1162:
	s_mov_b32 s0, -1
                                        ; implicit-def: $vgpr10
.LBB329_1163:
	s_delay_alu instid0(SALU_CYCLE_1)
	s_and_not1_b32 vcc_lo, exec_lo, s0
	s_cbranch_vccnz .LBB329_1165
; %bb.1164:
	global_load_b32 v10, v[7:8], off
.LBB329_1165:
	s_mov_b32 s0, 0
.LBB329_1166:
	s_delay_alu instid0(SALU_CYCLE_1)
	s_and_not1_b32 vcc_lo, exec_lo, s0
	s_cbranch_vccnz .LBB329_1168
; %bb.1167:
	global_load_u16 v10, v[7:8], off
	s_waitcnt vmcnt(0)
	v_cvt_f32_f16_e32 v10, v10
.LBB329_1168:
	s_cbranch_execnz .LBB329_1187
.LBB329_1169:
	v_cmp_gt_i16_e32 vcc_lo, 2, v9
	s_cbranch_vccnz .LBB329_1173
; %bb.1170:
	v_cmp_gt_i16_e32 vcc_lo, 3, v9
	s_cbranch_vccnz .LBB329_1174
; %bb.1171:
	v_cmp_lt_i16_e32 vcc_lo, 3, v9
	s_cbranch_vccz .LBB329_1175
; %bb.1172:
	global_load_b64 v[10:11], v[7:8], off
	s_mov_b32 s0, 0
	s_waitcnt vmcnt(0)
	v_xor_b32_e32 v12, v10, v11
	v_cls_i32_e32 v13, v11
	s_delay_alu instid0(VALU_DEP_2) | instskip(NEXT) | instid1(VALU_DEP_2)
	v_ashrrev_i32_e32 v12, 31, v12
	v_add_nc_u32_e32 v13, -1, v13
	s_delay_alu instid0(VALU_DEP_2) | instskip(NEXT) | instid1(VALU_DEP_1)
	v_add_nc_u32_e32 v12, 32, v12
	v_min_u32_e32 v12, v13, v12
	s_delay_alu instid0(VALU_DEP_1) | instskip(NEXT) | instid1(VALU_DEP_1)
	v_lshlrev_b64 v[10:11], v12, v[10:11]
	v_min_u32_e32 v10, 1, v10
	s_delay_alu instid0(VALU_DEP_1) | instskip(SKIP_1) | instid1(VALU_DEP_2)
	v_or_b32_e32 v10, v11, v10
	v_sub_nc_u32_e32 v11, 32, v12
	v_cvt_f32_i32_e32 v10, v10
	s_delay_alu instid0(VALU_DEP_1)
	v_ldexp_f32 v10, v10, v11
	s_branch .LBB329_1176
.LBB329_1173:
                                        ; implicit-def: $vgpr10
	s_branch .LBB329_1182
.LBB329_1174:
	s_mov_b32 s0, -1
                                        ; implicit-def: $vgpr10
	s_branch .LBB329_1179
.LBB329_1175:
	s_mov_b32 s0, -1
                                        ; implicit-def: $vgpr10
.LBB329_1176:
	s_delay_alu instid0(SALU_CYCLE_1)
	s_and_not1_b32 vcc_lo, exec_lo, s0
	s_cbranch_vccnz .LBB329_1178
; %bb.1177:
	global_load_b32 v10, v[7:8], off
	s_waitcnt vmcnt(0)
	v_cvt_f32_i32_e32 v10, v10
.LBB329_1178:
	s_mov_b32 s0, 0
.LBB329_1179:
	s_delay_alu instid0(SALU_CYCLE_1)
	s_and_not1_b32 vcc_lo, exec_lo, s0
	s_cbranch_vccnz .LBB329_1181
; %bb.1180:
	global_load_i16 v10, v[7:8], off
	s_waitcnt vmcnt(0)
	v_cvt_f32_i32_e32 v10, v10
.LBB329_1181:
	s_cbranch_execnz .LBB329_1187
.LBB329_1182:
	v_cmp_lt_i16_e32 vcc_lo, 0, v9
	s_mov_b32 s0, 0
	s_cbranch_vccz .LBB329_1184
; %bb.1183:
	global_load_i8 v10, v[7:8], off
	s_waitcnt vmcnt(0)
	v_cvt_f32_i32_e32 v10, v10
	s_branch .LBB329_1185
.LBB329_1184:
	s_mov_b32 s0, -1
                                        ; implicit-def: $vgpr10
.LBB329_1185:
	s_delay_alu instid0(SALU_CYCLE_1)
	s_and_not1_b32 vcc_lo, exec_lo, s0
	s_cbranch_vccnz .LBB329_1187
; %bb.1186:
	global_load_u8 v7, v[7:8], off
	s_waitcnt vmcnt(0)
	v_cvt_f32_ubyte0_e32 v10, v7
.LBB329_1187:
	s_branch .LBB329_1258
.LBB329_1188:
	s_trap 2
	s_sendmsg_rtn_b32 s0, sendmsg(MSG_RTN_GET_DOORBELL)
	s_mov_b32 ttmp2, m0
	s_waitcnt lgkmcnt(0)
	s_and_b32 s0, s0, 0x3ff
	s_delay_alu instid0(SALU_CYCLE_1) | instskip(NEXT) | instid1(SALU_CYCLE_1)
	s_bitset1_b32 s0, 10
	s_mov_b32 m0, s0
	s_sendmsg sendmsg(MSG_INTERRUPT)
	s_mov_b32 m0, ttmp2
.LBB329_1189:                           ; =>This Inner Loop Header: Depth=1
	s_sethalt 5
	s_branch .LBB329_1189
.LBB329_1190:
	s_trap 2
	s_sendmsg_rtn_b32 s0, sendmsg(MSG_RTN_GET_DOORBELL)
	s_mov_b32 ttmp2, m0
	s_waitcnt lgkmcnt(0)
	s_and_b32 s0, s0, 0x3ff
	s_delay_alu instid0(SALU_CYCLE_1) | instskip(NEXT) | instid1(SALU_CYCLE_1)
	s_bitset1_b32 s0, 10
	s_mov_b32 m0, s0
	s_sendmsg sendmsg(MSG_INTERRUPT)
	s_mov_b32 m0, ttmp2
.LBB329_1191:                           ; =>This Inner Loop Header: Depth=1
	s_sethalt 5
	s_branch .LBB329_1191
.LBB329_1192:
	s_mov_b32 s0, -1
.LBB329_1193:
                                        ; implicit-def: $vgpr10
.LBB329_1194:
	s_and_b32 vcc_lo, exec_lo, s1
	s_cbranch_vccz .LBB329_1197
; %bb.1195:
	v_cmp_eq_u16_e32 vcc_lo, 44, v9
	s_cbranch_vccz .LBB329_1198
; %bb.1196:
	global_load_u8 v10, v[7:8], off
	s_mov_b32 s0, 0
	s_mov_b32 s3, -1
	s_waitcnt vmcnt(0)
	v_lshlrev_b32_e32 v11, 23, v10
	v_cmp_ne_u32_e32 vcc_lo, 0xff, v10
	s_delay_alu instid0(VALU_DEP_2) | instskip(SKIP_1) | instid1(VALU_DEP_2)
	v_cndmask_b32_e32 v11, 0x7f800001, v11, vcc_lo
	v_cmp_ne_u32_e32 vcc_lo, 0, v10
	v_cndmask_b32_e32 v10, 0x400000, v11, vcc_lo
.LBB329_1197:
	s_branch .LBB329_1202
.LBB329_1198:
	s_mov_b32 s0, -1
                                        ; implicit-def: $vgpr10
	s_branch .LBB329_1202
.LBB329_1199:
	v_cmp_eq_u16_e32 vcc_lo, 29, v9
	s_cbranch_vccz .LBB329_1201
; %bb.1200:
	global_load_b64 v[10:11], v[7:8], off
	s_mov_b32 s0, 0
	s_mov_b32 s3, -1
	s_mov_b32 s1, 0
	s_waitcnt vmcnt(0)
	v_clz_i32_u32_e32 v12, v11
	s_delay_alu instid0(VALU_DEP_1) | instskip(NEXT) | instid1(VALU_DEP_1)
	v_min_u32_e32 v12, 32, v12
	v_lshlrev_b64 v[10:11], v12, v[10:11]
	s_delay_alu instid0(VALU_DEP_1) | instskip(NEXT) | instid1(VALU_DEP_1)
	v_min_u32_e32 v10, 1, v10
	v_or_b32_e32 v10, v11, v10
	v_sub_nc_u32_e32 v11, 32, v12
	s_delay_alu instid0(VALU_DEP_2) | instskip(NEXT) | instid1(VALU_DEP_1)
	v_cvt_f32_u32_e32 v10, v10
	v_ldexp_f32 v10, v10, v11
	s_branch .LBB329_1203
.LBB329_1201:
	s_mov_b32 s0, -1
                                        ; implicit-def: $vgpr10
.LBB329_1202:
	s_mov_b32 s1, 0
.LBB329_1203:
	s_delay_alu instid0(SALU_CYCLE_1)
	s_and_b32 vcc_lo, exec_lo, s1
	s_cbranch_vccz .LBB329_1221
; %bb.1204:
	v_cmp_gt_i16_e32 vcc_lo, 27, v9
	s_cbranch_vccnz .LBB329_1207
; %bb.1205:
	v_cmp_lt_i16_e32 vcc_lo, 27, v9
	s_cbranch_vccz .LBB329_1208
; %bb.1206:
	global_load_b32 v10, v[7:8], off
	s_mov_b32 s1, 0
	s_waitcnt vmcnt(0)
	v_cvt_f32_u32_e32 v10, v10
	s_branch .LBB329_1209
.LBB329_1207:
	s_mov_b32 s1, -1
                                        ; implicit-def: $vgpr10
	s_branch .LBB329_1212
.LBB329_1208:
	s_mov_b32 s1, -1
                                        ; implicit-def: $vgpr10
.LBB329_1209:
	s_delay_alu instid0(SALU_CYCLE_1)
	s_and_not1_b32 vcc_lo, exec_lo, s1
	s_cbranch_vccnz .LBB329_1211
; %bb.1210:
	global_load_u16 v10, v[7:8], off
	s_waitcnt vmcnt(0)
	v_cvt_f32_u32_e32 v10, v10
.LBB329_1211:
	s_mov_b32 s1, 0
.LBB329_1212:
	s_delay_alu instid0(SALU_CYCLE_1)
	s_and_not1_b32 vcc_lo, exec_lo, s1
	s_cbranch_vccnz .LBB329_1220
; %bb.1213:
	global_load_u8 v11, v[7:8], off
	s_mov_b32 s1, 0
	s_mov_b32 s10, exec_lo
                                        ; implicit-def: $sgpr3
	s_waitcnt vmcnt(0)
	v_cmpx_lt_i16_e32 0x7f, v11
	s_xor_b32 s10, exec_lo, s10
	s_cbranch_execz .LBB329_1233
; %bb.1214:
	s_mov_b32 s1, -1
	s_mov_b32 s11, exec_lo
                                        ; implicit-def: $sgpr3
	v_cmpx_eq_u16_e32 0x80, v11
; %bb.1215:
	s_mov_b32 s3, 0x7f800001
	s_xor_b32 s1, exec_lo, -1
; %bb.1216:
	s_or_b32 exec_lo, exec_lo, s11
	s_delay_alu instid0(SALU_CYCLE_1)
	s_and_b32 s1, s1, exec_lo
	s_or_saveexec_b32 s10, s10
	v_mov_b32_e32 v10, s3
	s_xor_b32 exec_lo, exec_lo, s10
	s_cbranch_execnz .LBB329_1234
.LBB329_1217:
	s_or_b32 exec_lo, exec_lo, s10
	s_and_saveexec_b32 s3, s1
	s_cbranch_execz .LBB329_1219
.LBB329_1218:
	v_and_b32_e32 v10, 0xffff, v11
	s_delay_alu instid0(VALU_DEP_1) | instskip(NEXT) | instid1(VALU_DEP_1)
	v_and_b32_e32 v12, 7, v10
	v_clz_i32_u32_e32 v13, v12
	s_delay_alu instid0(VALU_DEP_1) | instskip(NEXT) | instid1(VALU_DEP_1)
	v_min_u32_e32 v13, 32, v13
	v_subrev_nc_u32_e32 v14, 28, v13
	v_sub_nc_u32_e32 v13, 29, v13
	s_delay_alu instid0(VALU_DEP_2) | instskip(SKIP_1) | instid1(VALU_DEP_2)
	v_lshlrev_b32_e32 v14, v14, v10
	v_bfe_u32 v10, v10, 3, 4
	v_and_b32_e32 v14, 7, v14
	s_delay_alu instid0(VALU_DEP_2) | instskip(SKIP_1) | instid1(VALU_DEP_1)
	v_cmp_eq_u32_e32 vcc_lo, 0, v10
	v_dual_cndmask_b32 v10, v10, v13 :: v_dual_lshlrev_b32 v11, 24, v11
	v_dual_cndmask_b32 v12, v12, v14 :: v_dual_and_b32 v11, 0x80000000, v11
	s_delay_alu instid0(VALU_DEP_2) | instskip(NEXT) | instid1(VALU_DEP_2)
	v_lshl_add_u32 v10, v10, 23, 0x3b800000
	v_lshlrev_b32_e32 v12, 20, v12
	s_delay_alu instid0(VALU_DEP_1)
	v_or3_b32 v10, v11, v10, v12
.LBB329_1219:
	s_or_b32 exec_lo, exec_lo, s3
.LBB329_1220:
	s_mov_b32 s3, -1
.LBB329_1221:
	s_branch .LBB329_1253
.LBB329_1222:
	v_cmp_lt_i16_e32 vcc_lo, 22, v9
	s_cbranch_vccz .LBB329_1232
; %bb.1223:
	v_cmp_gt_i16_e32 vcc_lo, 24, v9
	s_cbranch_vccnz .LBB329_1235
; %bb.1224:
	v_cmp_lt_i16_e32 vcc_lo, 24, v9
	s_cbranch_vccz .LBB329_1236
; %bb.1225:
	global_load_u8 v11, v[7:8], off
	s_mov_b32 s1, 0
	s_mov_b32 s3, exec_lo
                                        ; implicit-def: $sgpr2
	s_waitcnt vmcnt(0)
	v_cmpx_lt_i16_e32 0x7f, v11
	s_xor_b32 s3, exec_lo, s3
	s_cbranch_execz .LBB329_1247
; %bb.1226:
	s_mov_b32 s1, -1
	s_mov_b32 s10, exec_lo
                                        ; implicit-def: $sgpr2
	v_cmpx_eq_u16_e32 0x80, v11
; %bb.1227:
	s_mov_b32 s2, 0x7f800001
	s_xor_b32 s1, exec_lo, -1
; %bb.1228:
	s_or_b32 exec_lo, exec_lo, s10
	s_delay_alu instid0(SALU_CYCLE_1)
	s_and_b32 s1, s1, exec_lo
	s_or_saveexec_b32 s3, s3
	v_mov_b32_e32 v10, s2
	s_xor_b32 exec_lo, exec_lo, s3
	s_cbranch_execnz .LBB329_1248
.LBB329_1229:
	s_or_b32 exec_lo, exec_lo, s3
	s_and_saveexec_b32 s2, s1
	s_cbranch_execz .LBB329_1231
.LBB329_1230:
	v_and_b32_e32 v10, 0xffff, v11
	s_delay_alu instid0(VALU_DEP_1) | instskip(NEXT) | instid1(VALU_DEP_1)
	v_and_b32_e32 v12, 3, v10
	v_clz_i32_u32_e32 v13, v12
	s_delay_alu instid0(VALU_DEP_1) | instskip(NEXT) | instid1(VALU_DEP_1)
	v_min_u32_e32 v13, 32, v13
	v_subrev_nc_u32_e32 v14, 29, v13
	v_sub_nc_u32_e32 v13, 30, v13
	s_delay_alu instid0(VALU_DEP_2) | instskip(SKIP_1) | instid1(VALU_DEP_2)
	v_lshlrev_b32_e32 v14, v14, v10
	v_bfe_u32 v10, v10, 2, 5
	v_and_b32_e32 v14, 3, v14
	s_delay_alu instid0(VALU_DEP_2) | instskip(SKIP_1) | instid1(VALU_DEP_1)
	v_cmp_eq_u32_e32 vcc_lo, 0, v10
	v_dual_cndmask_b32 v10, v10, v13 :: v_dual_lshlrev_b32 v11, 24, v11
	v_dual_cndmask_b32 v12, v12, v14 :: v_dual_and_b32 v11, 0x80000000, v11
	s_delay_alu instid0(VALU_DEP_2) | instskip(NEXT) | instid1(VALU_DEP_2)
	v_lshl_add_u32 v10, v10, 23, 0x37800000
	v_lshlrev_b32_e32 v12, 21, v12
	s_delay_alu instid0(VALU_DEP_1)
	v_or3_b32 v10, v11, v10, v12
.LBB329_1231:
	s_or_b32 exec_lo, exec_lo, s2
	s_mov_b32 s1, 0
	s_branch .LBB329_1237
.LBB329_1232:
                                        ; implicit-def: $vgpr10
	s_mov_b32 s2, 0
	s_branch .LBB329_1243
.LBB329_1233:
	s_or_saveexec_b32 s10, s10
	v_mov_b32_e32 v10, s3
	s_xor_b32 exec_lo, exec_lo, s10
	s_cbranch_execz .LBB329_1217
.LBB329_1234:
	v_cmp_ne_u16_e32 vcc_lo, 0, v11
	v_mov_b32_e32 v10, 0
	s_and_not1_b32 s1, s1, exec_lo
	s_and_b32 s3, vcc_lo, exec_lo
	s_delay_alu instid0(SALU_CYCLE_1)
	s_or_b32 s1, s1, s3
	s_or_b32 exec_lo, exec_lo, s10
	s_and_saveexec_b32 s3, s1
	s_cbranch_execnz .LBB329_1218
	s_branch .LBB329_1219
.LBB329_1235:
	s_mov_b32 s1, -1
                                        ; implicit-def: $vgpr10
	s_branch .LBB329_1240
.LBB329_1236:
	s_mov_b32 s1, -1
                                        ; implicit-def: $vgpr10
.LBB329_1237:
	s_delay_alu instid0(SALU_CYCLE_1)
	s_and_b32 vcc_lo, exec_lo, s1
	s_cbranch_vccz .LBB329_1239
; %bb.1238:
	global_load_u8 v10, v[7:8], off
	s_waitcnt vmcnt(0)
	v_lshlrev_b32_e32 v10, 24, v10
	s_delay_alu instid0(VALU_DEP_1) | instskip(NEXT) | instid1(VALU_DEP_1)
	v_and_b32_e32 v11, 0x7f000000, v10
	v_clz_i32_u32_e32 v12, v11
	v_add_nc_u32_e32 v14, 0x1000000, v11
	v_cmp_ne_u32_e32 vcc_lo, 0, v11
	s_delay_alu instid0(VALU_DEP_3) | instskip(NEXT) | instid1(VALU_DEP_1)
	v_min_u32_e32 v12, 32, v12
	v_sub_nc_u32_e64 v12, v12, 4 clamp
	s_delay_alu instid0(VALU_DEP_1) | instskip(SKIP_1) | instid1(VALU_DEP_2)
	v_lshlrev_b32_e32 v13, v12, v11
	v_lshlrev_b32_e32 v12, 23, v12
	v_lshrrev_b32_e32 v13, 4, v13
	s_delay_alu instid0(VALU_DEP_1) | instskip(SKIP_1) | instid1(VALU_DEP_2)
	v_sub_nc_u32_e32 v12, v13, v12
	v_ashrrev_i32_e32 v13, 8, v14
	v_add_nc_u32_e32 v12, 0x3c000000, v12
	s_delay_alu instid0(VALU_DEP_1) | instskip(NEXT) | instid1(VALU_DEP_1)
	v_and_or_b32 v12, 0x7f800000, v13, v12
	v_cndmask_b32_e32 v11, 0, v12, vcc_lo
	s_delay_alu instid0(VALU_DEP_1)
	v_and_or_b32 v10, 0x80000000, v10, v11
.LBB329_1239:
	s_mov_b32 s1, 0
.LBB329_1240:
	s_delay_alu instid0(SALU_CYCLE_1)
	s_and_not1_b32 vcc_lo, exec_lo, s1
	s_cbranch_vccnz .LBB329_1242
; %bb.1241:
	global_load_u8 v10, v[7:8], off
	s_waitcnt vmcnt(0)
	v_lshlrev_b32_e32 v11, 25, v10
	v_lshlrev_b16 v10, 8, v10
	s_delay_alu instid0(VALU_DEP_2) | instskip(NEXT) | instid1(VALU_DEP_2)
	v_lshrrev_b32_e32 v12, 4, v11
	v_and_or_b32 v13, 0x7f00, v10, 0.5
	v_bfe_i32 v10, v10, 0, 16
	s_delay_alu instid0(VALU_DEP_3) | instskip(NEXT) | instid1(VALU_DEP_1)
	v_or_b32_e32 v12, 0x70000000, v12
	v_dual_add_f32 v13, -0.5, v13 :: v_dual_mul_f32 v12, 0x7800000, v12
	v_cmp_gt_u32_e32 vcc_lo, 0x8000000, v11
	s_delay_alu instid0(VALU_DEP_2) | instskip(NEXT) | instid1(VALU_DEP_1)
	v_cndmask_b32_e32 v11, v12, v13, vcc_lo
	v_and_or_b32 v10, 0x80000000, v10, v11
.LBB329_1242:
	s_mov_b32 s3, -1
	s_mov_b32 s2, 0
	s_cbranch_execnz .LBB329_1253
.LBB329_1243:
	v_cmp_lt_i16_e32 vcc_lo, 14, v9
	s_cbranch_vccz .LBB329_1246
; %bb.1244:
	v_cmp_eq_u16_e32 vcc_lo, 15, v9
	s_cbranch_vccz .LBB329_1249
; %bb.1245:
	global_load_u16 v10, v[7:8], off
	s_mov_b32 s0, 0
	s_mov_b32 s3, -1
	s_waitcnt vmcnt(0)
	v_lshlrev_b32_e32 v10, 16, v10
	s_branch .LBB329_1250
.LBB329_1246:
	s_mov_b32 s1, -1
                                        ; implicit-def: $vgpr10
	s_branch .LBB329_1251
.LBB329_1247:
	s_or_saveexec_b32 s3, s3
	v_mov_b32_e32 v10, s2
	s_xor_b32 exec_lo, exec_lo, s3
	s_cbranch_execz .LBB329_1229
.LBB329_1248:
	v_cmp_ne_u16_e32 vcc_lo, 0, v11
	v_mov_b32_e32 v10, 0
	s_and_not1_b32 s1, s1, exec_lo
	s_and_b32 s2, vcc_lo, exec_lo
	s_delay_alu instid0(SALU_CYCLE_1)
	s_or_b32 s1, s1, s2
	s_or_b32 exec_lo, exec_lo, s3
	s_and_saveexec_b32 s2, s1
	s_cbranch_execnz .LBB329_1230
	s_branch .LBB329_1231
.LBB329_1249:
	s_mov_b32 s0, -1
                                        ; implicit-def: $vgpr10
.LBB329_1250:
	s_mov_b32 s1, 0
.LBB329_1251:
	s_delay_alu instid0(SALU_CYCLE_1)
	s_and_b32 vcc_lo, exec_lo, s1
	s_cbranch_vccz .LBB329_1253
; %bb.1252:
	v_cmp_ne_u16_e64 s0, 11, v9
	s_mov_b32 s2, -1
                                        ; implicit-def: $vgpr10
.LBB329_1253:
	s_delay_alu instid0(VALU_DEP_1)
	s_and_b32 vcc_lo, exec_lo, s0
	s_mov_b32 s1, s8
	s_cbranch_vccnz .LBB329_1277
; %bb.1254:
	s_and_not1_b32 vcc_lo, exec_lo, s2
	s_cbranch_vccnz .LBB329_1256
.LBB329_1255:
	global_load_u8 v10, v[7:8], off
	s_mov_b32 s3, -1
	s_waitcnt vmcnt(0)
	v_cmp_ne_u16_e32 vcc_lo, 0, v10
	v_cndmask_b32_e64 v10, 0, 1.0, vcc_lo
.LBB329_1256:
.LBB329_1257:
	s_and_not1_b32 vcc_lo, exec_lo, s3
	s_cbranch_vccnz .LBB329_2049
.LBB329_1258:
	v_cmp_gt_i16_e32 vcc_lo, 11, v9
	s_waitcnt vmcnt(0)
	v_add_co_u32 v6, s0, s6, v6
	s_delay_alu instid0(VALU_DEP_1)
	v_add_co_ci_u32_e64 v7, null, s7, 0, s0
	s_mov_b32 s3, 0
	s_cbranch_vccnz .LBB329_1265
; %bb.1259:
	v_cmp_lt_i16_e32 vcc_lo, 25, v9
	s_mov_b32 s2, 0
	s_cbranch_vccz .LBB329_1271
; %bb.1260:
	v_cmp_lt_i16_e32 vcc_lo, 28, v9
	s_cbranch_vccz .LBB329_1273
; %bb.1261:
	v_cmp_lt_i16_e32 vcc_lo, 43, v9
	;; [unrolled: 3-line block ×3, first 2 shown]
	s_cbranch_vccz .LBB329_1281
; %bb.1263:
	v_cmp_eq_u16_e32 vcc_lo, 46, v9
	s_mov_b32 s10, 0
	s_cbranch_vccz .LBB329_1325
; %bb.1264:
	global_load_b32 v8, v[6:7], off
	s_mov_b32 s0, 0
	s_mov_b32 s3, -1
	s_waitcnt vmcnt(0)
	v_lshlrev_b32_e32 v8, 16, v8
	s_branch .LBB329_1327
.LBB329_1265:
                                        ; implicit-def: $vgpr8
	s_cbranch_execz .LBB329_1392
; %bb.1266:
	v_cmp_gt_i16_e32 vcc_lo, 5, v9
	s_cbranch_vccnz .LBB329_1272
; %bb.1267:
	v_cmp_gt_i16_e32 vcc_lo, 8, v9
	s_cbranch_vccnz .LBB329_1274
	;; [unrolled: 3-line block ×3, first 2 shown]
; %bb.1269:
	v_cmp_lt_i16_e32 vcc_lo, 9, v9
	s_cbranch_vccz .LBB329_1282
; %bb.1270:
	global_load_b64 v[11:12], v[6:7], off
	s_mov_b32 s0, 0
	s_waitcnt vmcnt(0)
	v_cvt_f32_f64_e32 v8, v[11:12]
	s_branch .LBB329_1283
.LBB329_1271:
	s_mov_b32 s0, 0
                                        ; implicit-def: $vgpr8
	s_cbranch_execnz .LBB329_1356
	s_branch .LBB329_1388
.LBB329_1272:
                                        ; implicit-def: $vgpr8
	s_branch .LBB329_1301
.LBB329_1273:
	s_mov_b32 s10, -1
	s_mov_b32 s0, 0
                                        ; implicit-def: $vgpr8
	s_branch .LBB329_1337
.LBB329_1274:
	s_mov_b32 s0, -1
                                        ; implicit-def: $vgpr8
	s_branch .LBB329_1289
.LBB329_1275:
	s_mov_b32 s10, -1
	s_mov_b32 s0, 0
                                        ; implicit-def: $vgpr8
	s_branch .LBB329_1332
.LBB329_1276:
	s_mov_b32 s0, -1
                                        ; implicit-def: $vgpr8
	s_branch .LBB329_1286
.LBB329_1277:
	s_cbranch_execnz .LBB329_1321
; %bb.1278:
	s_or_b32 s1, s8, exec_lo
                                        ; implicit-def: $vgpr10
	s_cbranch_execz .LBB329_1255
	s_branch .LBB329_1256
.LBB329_1279:
	s_or_saveexec_b32 s7, s7
                                        ; implicit-def: $sgpr8
	s_delay_alu instid0(SALU_CYCLE_1)
	s_xor_b32 exec_lo, exec_lo, s7
	s_cbranch_execz .LBB329_987
.LBB329_1280:
	v_add_f32_e64 v0, 0x46000000, |v3|
	s_and_not1_b32 s5, s5, exec_lo
	s_mov_b32 s8, 0
	s_delay_alu instid0(VALU_DEP_1) | instskip(NEXT) | instid1(VALU_DEP_1)
	v_and_b32_e32 v0, 0xff, v0
	v_cmp_ne_u32_e32 vcc_lo, 0, v0
	s_and_b32 s9, vcc_lo, exec_lo
	s_delay_alu instid0(SALU_CYCLE_1)
	s_or_b32 s5, s5, s9
	s_or_b32 exec_lo, exec_lo, s7
	v_mov_b32_e32 v4, s8
	s_and_saveexec_b32 s7, s5
	s_cbranch_execnz .LBB329_988
	s_branch .LBB329_989
.LBB329_1281:
	s_mov_b32 s10, -1
	s_mov_b32 s0, 0
	s_branch .LBB329_1326
.LBB329_1282:
	s_mov_b32 s0, -1
                                        ; implicit-def: $vgpr8
.LBB329_1283:
	s_delay_alu instid0(SALU_CYCLE_1)
	s_and_not1_b32 vcc_lo, exec_lo, s0
	s_cbranch_vccnz .LBB329_1285
; %bb.1284:
	global_load_b32 v8, v[6:7], off
.LBB329_1285:
	s_mov_b32 s0, 0
.LBB329_1286:
	s_delay_alu instid0(SALU_CYCLE_1)
	s_and_not1_b32 vcc_lo, exec_lo, s0
	s_cbranch_vccnz .LBB329_1288
; %bb.1287:
	global_load_b32 v8, v[6:7], off
	s_waitcnt vmcnt(0)
	v_cvt_f32_f16_e32 v8, v8
.LBB329_1288:
	s_mov_b32 s0, 0
.LBB329_1289:
	s_delay_alu instid0(SALU_CYCLE_1)
	s_and_not1_b32 vcc_lo, exec_lo, s0
	s_cbranch_vccnz .LBB329_1300
; %bb.1290:
	v_cmp_gt_i16_e32 vcc_lo, 6, v9
	s_cbranch_vccnz .LBB329_1293
; %bb.1291:
	v_cmp_lt_i16_e32 vcc_lo, 6, v9
	s_cbranch_vccz .LBB329_1294
; %bb.1292:
	global_load_b64 v[11:12], v[6:7], off
	s_mov_b32 s0, 0
	s_waitcnt vmcnt(0)
	v_cvt_f32_f64_e32 v8, v[11:12]
	s_branch .LBB329_1295
.LBB329_1293:
	s_mov_b32 s0, -1
                                        ; implicit-def: $vgpr8
	s_branch .LBB329_1298
.LBB329_1294:
	s_mov_b32 s0, -1
                                        ; implicit-def: $vgpr8
.LBB329_1295:
	s_delay_alu instid0(SALU_CYCLE_1)
	s_and_not1_b32 vcc_lo, exec_lo, s0
	s_cbranch_vccnz .LBB329_1297
; %bb.1296:
	global_load_b32 v8, v[6:7], off
.LBB329_1297:
	s_mov_b32 s0, 0
.LBB329_1298:
	s_delay_alu instid0(SALU_CYCLE_1)
	s_and_not1_b32 vcc_lo, exec_lo, s0
	s_cbranch_vccnz .LBB329_1300
; %bb.1299:
	global_load_u16 v8, v[6:7], off
	s_waitcnt vmcnt(0)
	v_cvt_f32_f16_e32 v8, v8
.LBB329_1300:
	s_cbranch_execnz .LBB329_1320
.LBB329_1301:
	v_cmp_gt_i16_e32 vcc_lo, 2, v9
	s_cbranch_vccnz .LBB329_1305
; %bb.1302:
	v_cmp_gt_i16_e32 vcc_lo, 3, v9
	s_cbranch_vccnz .LBB329_1306
; %bb.1303:
	v_cmp_lt_i16_e32 vcc_lo, 3, v9
	s_cbranch_vccz .LBB329_1307
; %bb.1304:
	global_load_b64 v[11:12], v[6:7], off
	s_mov_b32 s0, 0
	s_waitcnt vmcnt(0)
	v_xor_b32_e32 v8, v11, v12
	v_cls_i32_e32 v13, v12
	s_delay_alu instid0(VALU_DEP_2) | instskip(NEXT) | instid1(VALU_DEP_2)
	v_ashrrev_i32_e32 v8, 31, v8
	v_add_nc_u32_e32 v13, -1, v13
	s_delay_alu instid0(VALU_DEP_2) | instskip(NEXT) | instid1(VALU_DEP_1)
	v_add_nc_u32_e32 v8, 32, v8
	v_min_u32_e32 v8, v13, v8
	s_delay_alu instid0(VALU_DEP_1) | instskip(SKIP_1) | instid1(VALU_DEP_2)
	v_lshlrev_b64 v[11:12], v8, v[11:12]
	v_sub_nc_u32_e32 v8, 32, v8
	v_min_u32_e32 v11, 1, v11
	s_delay_alu instid0(VALU_DEP_1) | instskip(NEXT) | instid1(VALU_DEP_1)
	v_or_b32_e32 v11, v12, v11
	v_cvt_f32_i32_e32 v11, v11
	s_delay_alu instid0(VALU_DEP_1)
	v_ldexp_f32 v8, v11, v8
	s_branch .LBB329_1308
.LBB329_1305:
	s_mov_b32 s0, -1
                                        ; implicit-def: $vgpr8
	s_branch .LBB329_1314
.LBB329_1306:
	s_mov_b32 s0, -1
                                        ; implicit-def: $vgpr8
	s_branch .LBB329_1311
.LBB329_1307:
	s_mov_b32 s0, -1
                                        ; implicit-def: $vgpr8
.LBB329_1308:
	s_delay_alu instid0(SALU_CYCLE_1)
	s_and_not1_b32 vcc_lo, exec_lo, s0
	s_cbranch_vccnz .LBB329_1310
; %bb.1309:
	global_load_b32 v8, v[6:7], off
	s_waitcnt vmcnt(0)
	v_cvt_f32_i32_e32 v8, v8
.LBB329_1310:
	s_mov_b32 s0, 0
.LBB329_1311:
	s_delay_alu instid0(SALU_CYCLE_1)
	s_and_not1_b32 vcc_lo, exec_lo, s0
	s_cbranch_vccnz .LBB329_1313
; %bb.1312:
	global_load_i16 v8, v[6:7], off
	s_waitcnt vmcnt(0)
	v_cvt_f32_i32_e32 v8, v8
.LBB329_1313:
	s_mov_b32 s0, 0
.LBB329_1314:
	s_delay_alu instid0(SALU_CYCLE_1)
	s_and_not1_b32 vcc_lo, exec_lo, s0
	s_cbranch_vccnz .LBB329_1320
; %bb.1315:
	v_cmp_lt_i16_e32 vcc_lo, 0, v9
	s_mov_b32 s0, 0
	s_cbranch_vccz .LBB329_1317
; %bb.1316:
	global_load_i8 v8, v[6:7], off
	s_waitcnt vmcnt(0)
	v_cvt_f32_i32_e32 v8, v8
	s_branch .LBB329_1318
.LBB329_1317:
	s_mov_b32 s0, -1
                                        ; implicit-def: $vgpr8
.LBB329_1318:
	s_delay_alu instid0(SALU_CYCLE_1)
	s_and_not1_b32 vcc_lo, exec_lo, s0
	s_cbranch_vccnz .LBB329_1320
; %bb.1319:
	global_load_u8 v6, v[6:7], off
	s_waitcnt vmcnt(0)
	v_cvt_f32_ubyte0_e32 v8, v6
.LBB329_1320:
	s_branch .LBB329_1393
.LBB329_1321:
	s_trap 2
	s_sendmsg_rtn_b32 s0, sendmsg(MSG_RTN_GET_DOORBELL)
	s_mov_b32 ttmp2, m0
	s_waitcnt lgkmcnt(0)
	s_and_b32 s0, s0, 0x3ff
	s_delay_alu instid0(SALU_CYCLE_1) | instskip(NEXT) | instid1(SALU_CYCLE_1)
	s_bitset1_b32 s0, 10
	s_mov_b32 m0, s0
	s_sendmsg sendmsg(MSG_INTERRUPT)
	s_mov_b32 m0, ttmp2
.LBB329_1322:                           ; =>This Inner Loop Header: Depth=1
	s_sethalt 5
	s_branch .LBB329_1322
.LBB329_1323:
	s_or_saveexec_b32 s8, s8
                                        ; implicit-def: $sgpr9
	s_delay_alu instid0(SALU_CYCLE_1)
	s_xor_b32 exec_lo, exec_lo, s8
	s_cbranch_execz .LBB329_999
.LBB329_1324:
	v_add_f32_e64 v0, 0x42800000, |v3|
	s_and_not1_b32 s7, s7, exec_lo
	s_mov_b32 s9, 0
	s_delay_alu instid0(VALU_DEP_1) | instskip(NEXT) | instid1(VALU_DEP_1)
	v_and_b32_e32 v0, 0xff, v0
	v_cmp_ne_u32_e32 vcc_lo, 0, v0
	s_and_b32 s10, vcc_lo, exec_lo
	s_delay_alu instid0(SALU_CYCLE_1)
	s_or_b32 s7, s7, s10
	s_or_b32 exec_lo, exec_lo, s8
	v_mov_b32_e32 v4, s9
	s_and_saveexec_b32 s8, s7
	s_cbranch_execnz .LBB329_1000
	s_branch .LBB329_1001
.LBB329_1325:
	s_mov_b32 s0, -1
.LBB329_1326:
                                        ; implicit-def: $vgpr8
.LBB329_1327:
	s_and_b32 vcc_lo, exec_lo, s10
	s_cbranch_vccz .LBB329_1331
; %bb.1328:
	v_cmp_eq_u16_e32 vcc_lo, 44, v9
	s_cbranch_vccz .LBB329_1330
; %bb.1329:
	global_load_u8 v8, v[6:7], off
	s_mov_b32 s0, 0
	s_mov_b32 s3, -1
	s_waitcnt vmcnt(0)
	v_lshlrev_b32_e32 v11, 23, v8
	v_cmp_ne_u32_e32 vcc_lo, 0xff, v8
	s_delay_alu instid0(VALU_DEP_2) | instskip(SKIP_1) | instid1(VALU_DEP_2)
	v_cndmask_b32_e32 v11, 0x7f800001, v11, vcc_lo
	v_cmp_ne_u32_e32 vcc_lo, 0, v8
	v_cndmask_b32_e32 v8, 0x400000, v11, vcc_lo
	s_branch .LBB329_1331
.LBB329_1330:
	s_mov_b32 s0, -1
                                        ; implicit-def: $vgpr8
.LBB329_1331:
	s_mov_b32 s10, 0
.LBB329_1332:
	s_delay_alu instid0(SALU_CYCLE_1)
	s_and_b32 vcc_lo, exec_lo, s10
	s_cbranch_vccz .LBB329_1336
; %bb.1333:
	v_cmp_eq_u16_e32 vcc_lo, 29, v9
	s_cbranch_vccz .LBB329_1335
; %bb.1334:
	global_load_b64 v[11:12], v[6:7], off
	s_mov_b32 s0, 0
	s_mov_b32 s3, -1
	s_mov_b32 s10, 0
	s_waitcnt vmcnt(0)
	v_clz_i32_u32_e32 v8, v12
	s_delay_alu instid0(VALU_DEP_1) | instskip(NEXT) | instid1(VALU_DEP_1)
	v_min_u32_e32 v8, 32, v8
	v_lshlrev_b64 v[11:12], v8, v[11:12]
	v_sub_nc_u32_e32 v8, 32, v8
	s_delay_alu instid0(VALU_DEP_2) | instskip(NEXT) | instid1(VALU_DEP_1)
	v_min_u32_e32 v11, 1, v11
	v_or_b32_e32 v11, v12, v11
	s_delay_alu instid0(VALU_DEP_1) | instskip(NEXT) | instid1(VALU_DEP_1)
	v_cvt_f32_u32_e32 v11, v11
	v_ldexp_f32 v8, v11, v8
	s_branch .LBB329_1337
.LBB329_1335:
	s_mov_b32 s0, -1
                                        ; implicit-def: $vgpr8
.LBB329_1336:
	s_mov_b32 s10, 0
.LBB329_1337:
	s_delay_alu instid0(SALU_CYCLE_1)
	s_and_b32 vcc_lo, exec_lo, s10
	s_cbranch_vccz .LBB329_1355
; %bb.1338:
	v_cmp_gt_i16_e32 vcc_lo, 27, v9
	s_cbranch_vccnz .LBB329_1341
; %bb.1339:
	v_cmp_lt_i16_e32 vcc_lo, 27, v9
	s_cbranch_vccz .LBB329_1342
; %bb.1340:
	global_load_b32 v8, v[6:7], off
	s_mov_b32 s3, 0
	s_waitcnt vmcnt(0)
	v_cvt_f32_u32_e32 v8, v8
	s_branch .LBB329_1343
.LBB329_1341:
	s_mov_b32 s3, -1
                                        ; implicit-def: $vgpr8
	s_branch .LBB329_1346
.LBB329_1342:
	s_mov_b32 s3, -1
                                        ; implicit-def: $vgpr8
.LBB329_1343:
	s_delay_alu instid0(SALU_CYCLE_1)
	s_and_not1_b32 vcc_lo, exec_lo, s3
	s_cbranch_vccnz .LBB329_1345
; %bb.1344:
	global_load_u16 v8, v[6:7], off
	s_waitcnt vmcnt(0)
	v_cvt_f32_u32_e32 v8, v8
.LBB329_1345:
	s_mov_b32 s3, 0
.LBB329_1346:
	s_delay_alu instid0(SALU_CYCLE_1)
	s_and_not1_b32 vcc_lo, exec_lo, s3
	s_cbranch_vccnz .LBB329_1354
; %bb.1347:
	global_load_u8 v11, v[6:7], off
	s_mov_b32 s3, 0
	s_mov_b32 s11, exec_lo
                                        ; implicit-def: $sgpr10
	s_waitcnt vmcnt(0)
	v_cmpx_lt_i16_e32 0x7f, v11
	s_xor_b32 s11, exec_lo, s11
	s_cbranch_execz .LBB329_1367
; %bb.1348:
	s_mov_b32 s3, -1
	s_mov_b32 s12, exec_lo
                                        ; implicit-def: $sgpr10
	v_cmpx_eq_u16_e32 0x80, v11
; %bb.1349:
	s_mov_b32 s10, 0x7f800001
	s_xor_b32 s3, exec_lo, -1
; %bb.1350:
	s_or_b32 exec_lo, exec_lo, s12
	s_delay_alu instid0(SALU_CYCLE_1)
	s_and_b32 s3, s3, exec_lo
	s_or_saveexec_b32 s11, s11
	v_mov_b32_e32 v8, s10
	s_xor_b32 exec_lo, exec_lo, s11
	s_cbranch_execnz .LBB329_1368
.LBB329_1351:
	s_or_b32 exec_lo, exec_lo, s11
	s_and_saveexec_b32 s10, s3
	s_cbranch_execz .LBB329_1353
.LBB329_1352:
	v_and_b32_e32 v8, 0xffff, v11
	s_delay_alu instid0(VALU_DEP_1) | instskip(NEXT) | instid1(VALU_DEP_1)
	v_and_b32_e32 v12, 7, v8
	v_clz_i32_u32_e32 v13, v12
	s_delay_alu instid0(VALU_DEP_1) | instskip(NEXT) | instid1(VALU_DEP_1)
	v_min_u32_e32 v13, 32, v13
	v_subrev_nc_u32_e32 v14, 28, v13
	v_sub_nc_u32_e32 v13, 29, v13
	s_delay_alu instid0(VALU_DEP_2) | instskip(SKIP_1) | instid1(VALU_DEP_2)
	v_lshlrev_b32_e32 v14, v14, v8
	v_bfe_u32 v8, v8, 3, 4
	v_and_b32_e32 v14, 7, v14
	s_delay_alu instid0(VALU_DEP_2) | instskip(SKIP_1) | instid1(VALU_DEP_1)
	v_cmp_eq_u32_e32 vcc_lo, 0, v8
	v_dual_cndmask_b32 v8, v8, v13 :: v_dual_lshlrev_b32 v11, 24, v11
	v_dual_cndmask_b32 v12, v12, v14 :: v_dual_and_b32 v11, 0x80000000, v11
	s_delay_alu instid0(VALU_DEP_2) | instskip(NEXT) | instid1(VALU_DEP_2)
	v_lshl_add_u32 v8, v8, 23, 0x3b800000
	v_lshlrev_b32_e32 v12, 20, v12
	s_delay_alu instid0(VALU_DEP_1)
	v_or3_b32 v8, v11, v8, v12
.LBB329_1353:
	s_or_b32 exec_lo, exec_lo, s10
.LBB329_1354:
	s_mov_b32 s3, -1
.LBB329_1355:
	s_branch .LBB329_1388
.LBB329_1356:
	v_cmp_lt_i16_e32 vcc_lo, 22, v9
	s_cbranch_vccz .LBB329_1366
; %bb.1357:
	v_cmp_gt_i16_e32 vcc_lo, 24, v9
	s_cbranch_vccnz .LBB329_1369
; %bb.1358:
	v_cmp_lt_i16_e32 vcc_lo, 24, v9
	s_cbranch_vccz .LBB329_1370
; %bb.1359:
	global_load_u8 v11, v[6:7], off
	s_mov_b32 s10, exec_lo
                                        ; implicit-def: $sgpr3
	s_waitcnt vmcnt(0)
	v_cmpx_lt_i16_e32 0x7f, v11
	s_xor_b32 s10, exec_lo, s10
	s_cbranch_execz .LBB329_1382
; %bb.1360:
	s_mov_b32 s2, -1
	s_mov_b32 s11, exec_lo
                                        ; implicit-def: $sgpr3
	v_cmpx_eq_u16_e32 0x80, v11
; %bb.1361:
	s_mov_b32 s3, 0x7f800001
	s_xor_b32 s2, exec_lo, -1
; %bb.1362:
	s_or_b32 exec_lo, exec_lo, s11
	s_delay_alu instid0(SALU_CYCLE_1)
	s_and_b32 s2, s2, exec_lo
	s_or_saveexec_b32 s10, s10
	v_mov_b32_e32 v8, s3
	s_xor_b32 exec_lo, exec_lo, s10
	s_cbranch_execnz .LBB329_1383
.LBB329_1363:
	s_or_b32 exec_lo, exec_lo, s10
	s_and_saveexec_b32 s3, s2
	s_cbranch_execz .LBB329_1365
.LBB329_1364:
	v_and_b32_e32 v8, 0xffff, v11
	s_delay_alu instid0(VALU_DEP_1) | instskip(NEXT) | instid1(VALU_DEP_1)
	v_and_b32_e32 v12, 3, v8
	v_clz_i32_u32_e32 v13, v12
	s_delay_alu instid0(VALU_DEP_1) | instskip(NEXT) | instid1(VALU_DEP_1)
	v_min_u32_e32 v13, 32, v13
	v_subrev_nc_u32_e32 v14, 29, v13
	v_sub_nc_u32_e32 v13, 30, v13
	s_delay_alu instid0(VALU_DEP_2) | instskip(SKIP_1) | instid1(VALU_DEP_2)
	v_lshlrev_b32_e32 v14, v14, v8
	v_bfe_u32 v8, v8, 2, 5
	v_and_b32_e32 v14, 3, v14
	s_delay_alu instid0(VALU_DEP_2) | instskip(SKIP_1) | instid1(VALU_DEP_1)
	v_cmp_eq_u32_e32 vcc_lo, 0, v8
	v_dual_cndmask_b32 v8, v8, v13 :: v_dual_lshlrev_b32 v11, 24, v11
	v_dual_cndmask_b32 v12, v12, v14 :: v_dual_and_b32 v11, 0x80000000, v11
	s_delay_alu instid0(VALU_DEP_2) | instskip(NEXT) | instid1(VALU_DEP_2)
	v_lshl_add_u32 v8, v8, 23, 0x37800000
	v_lshlrev_b32_e32 v12, 21, v12
	s_delay_alu instid0(VALU_DEP_1)
	v_or3_b32 v8, v11, v8, v12
.LBB329_1365:
	s_or_b32 exec_lo, exec_lo, s3
	s_mov_b32 s2, 0
	s_branch .LBB329_1371
.LBB329_1366:
	s_mov_b32 s2, -1
                                        ; implicit-def: $vgpr8
	s_branch .LBB329_1377
.LBB329_1367:
	s_or_saveexec_b32 s11, s11
	v_mov_b32_e32 v8, s10
	s_xor_b32 exec_lo, exec_lo, s11
	s_cbranch_execz .LBB329_1351
.LBB329_1368:
	v_cmp_ne_u16_e32 vcc_lo, 0, v11
	v_mov_b32_e32 v8, 0
	s_and_not1_b32 s3, s3, exec_lo
	s_and_b32 s10, vcc_lo, exec_lo
	s_delay_alu instid0(SALU_CYCLE_1)
	s_or_b32 s3, s3, s10
	s_or_b32 exec_lo, exec_lo, s11
	s_and_saveexec_b32 s10, s3
	s_cbranch_execnz .LBB329_1352
	s_branch .LBB329_1353
.LBB329_1369:
	s_mov_b32 s2, -1
                                        ; implicit-def: $vgpr8
	s_branch .LBB329_1374
.LBB329_1370:
	s_mov_b32 s2, -1
                                        ; implicit-def: $vgpr8
.LBB329_1371:
	s_delay_alu instid0(SALU_CYCLE_1)
	s_and_b32 vcc_lo, exec_lo, s2
	s_cbranch_vccz .LBB329_1373
; %bb.1372:
	global_load_u8 v8, v[6:7], off
	s_waitcnt vmcnt(0)
	v_lshlrev_b32_e32 v8, 24, v8
	s_delay_alu instid0(VALU_DEP_1) | instskip(NEXT) | instid1(VALU_DEP_1)
	v_and_b32_e32 v11, 0x7f000000, v8
	v_clz_i32_u32_e32 v12, v11
	v_cmp_ne_u32_e32 vcc_lo, 0, v11
	v_add_nc_u32_e32 v14, 0x1000000, v11
	s_delay_alu instid0(VALU_DEP_3) | instskip(NEXT) | instid1(VALU_DEP_1)
	v_min_u32_e32 v12, 32, v12
	v_sub_nc_u32_e64 v12, v12, 4 clamp
	s_delay_alu instid0(VALU_DEP_1) | instskip(SKIP_1) | instid1(VALU_DEP_2)
	v_lshlrev_b32_e32 v13, v12, v11
	v_lshlrev_b32_e32 v12, 23, v12
	v_lshrrev_b32_e32 v13, 4, v13
	s_delay_alu instid0(VALU_DEP_1) | instskip(SKIP_1) | instid1(VALU_DEP_2)
	v_sub_nc_u32_e32 v12, v13, v12
	v_ashrrev_i32_e32 v13, 8, v14
	v_add_nc_u32_e32 v12, 0x3c000000, v12
	s_delay_alu instid0(VALU_DEP_1) | instskip(NEXT) | instid1(VALU_DEP_1)
	v_and_or_b32 v12, 0x7f800000, v13, v12
	v_cndmask_b32_e32 v11, 0, v12, vcc_lo
	s_delay_alu instid0(VALU_DEP_1)
	v_and_or_b32 v8, 0x80000000, v8, v11
.LBB329_1373:
	s_mov_b32 s2, 0
.LBB329_1374:
	s_delay_alu instid0(SALU_CYCLE_1)
	s_and_not1_b32 vcc_lo, exec_lo, s2
	s_cbranch_vccnz .LBB329_1376
; %bb.1375:
	global_load_u8 v8, v[6:7], off
	s_waitcnt vmcnt(0)
	v_lshlrev_b32_e32 v11, 25, v8
	v_lshlrev_b16 v8, 8, v8
	s_delay_alu instid0(VALU_DEP_2) | instskip(NEXT) | instid1(VALU_DEP_2)
	v_lshrrev_b32_e32 v12, 4, v11
	v_and_or_b32 v13, 0x7f00, v8, 0.5
	v_cmp_gt_u32_e32 vcc_lo, 0x8000000, v11
	v_bfe_i32 v8, v8, 0, 16
	s_delay_alu instid0(VALU_DEP_4) | instskip(NEXT) | instid1(VALU_DEP_1)
	v_or_b32_e32 v12, 0x70000000, v12
	v_dual_add_f32 v13, -0.5, v13 :: v_dual_mul_f32 v12, 0x7800000, v12
	s_delay_alu instid0(VALU_DEP_1) | instskip(NEXT) | instid1(VALU_DEP_1)
	v_cndmask_b32_e32 v11, v12, v13, vcc_lo
	v_and_or_b32 v8, 0x80000000, v8, v11
.LBB329_1376:
	s_mov_b32 s2, 0
	s_mov_b32 s3, -1
.LBB329_1377:
	s_and_not1_b32 vcc_lo, exec_lo, s2
	s_mov_b32 s2, 0
	s_cbranch_vccnz .LBB329_1388
; %bb.1378:
	v_cmp_lt_i16_e32 vcc_lo, 14, v9
	s_cbranch_vccz .LBB329_1381
; %bb.1379:
	v_cmp_eq_u16_e32 vcc_lo, 15, v9
	s_cbranch_vccz .LBB329_1384
; %bb.1380:
	global_load_u16 v8, v[6:7], off
	s_mov_b32 s0, 0
	s_mov_b32 s3, -1
	s_waitcnt vmcnt(0)
	v_lshlrev_b32_e32 v8, 16, v8
	s_branch .LBB329_1386
.LBB329_1381:
	s_mov_b32 s2, -1
	s_branch .LBB329_1385
.LBB329_1382:
	s_or_saveexec_b32 s10, s10
	v_mov_b32_e32 v8, s3
	s_xor_b32 exec_lo, exec_lo, s10
	s_cbranch_execz .LBB329_1363
.LBB329_1383:
	v_cmp_ne_u16_e32 vcc_lo, 0, v11
	v_mov_b32_e32 v8, 0
	s_and_not1_b32 s2, s2, exec_lo
	s_and_b32 s3, vcc_lo, exec_lo
	s_delay_alu instid0(SALU_CYCLE_1)
	s_or_b32 s2, s2, s3
	s_or_b32 exec_lo, exec_lo, s10
	s_and_saveexec_b32 s3, s2
	s_cbranch_execnz .LBB329_1364
	s_branch .LBB329_1365
.LBB329_1384:
	s_mov_b32 s0, -1
.LBB329_1385:
                                        ; implicit-def: $vgpr8
.LBB329_1386:
	s_and_b32 vcc_lo, exec_lo, s2
	s_mov_b32 s2, 0
	s_cbranch_vccz .LBB329_1388
; %bb.1387:
	v_cmp_ne_u16_e64 s0, 11, v9
	s_mov_b32 s2, -1
                                        ; implicit-def: $vgpr8
.LBB329_1388:
	s_delay_alu instid0(VALU_DEP_1)
	s_and_b32 vcc_lo, exec_lo, s0
	s_cbranch_vccnz .LBB329_1412
; %bb.1389:
	s_and_not1_b32 vcc_lo, exec_lo, s2
	s_cbranch_vccnz .LBB329_1391
.LBB329_1390:
	global_load_u8 v8, v[6:7], off
	s_mov_b32 s3, -1
	s_waitcnt vmcnt(0)
	v_cmp_ne_u16_e32 vcc_lo, 0, v8
	v_cndmask_b32_e64 v8, 0, 1.0, vcc_lo
.LBB329_1391:
.LBB329_1392:
	s_and_not1_b32 vcc_lo, exec_lo, s3
	s_cbranch_vccnz .LBB329_2049
.LBB329_1393:
	v_cmp_gt_i16_e32 vcc_lo, 11, v9
	v_add_co_u32 v5, s0, s6, v5
	s_delay_alu instid0(VALU_DEP_1)
	v_add_co_ci_u32_e64 v6, null, s7, 0, s0
	s_mov_b32 s3, 0
	s_cbranch_vccnz .LBB329_1400
; %bb.1394:
	v_cmp_lt_i16_e32 vcc_lo, 25, v9
	s_mov_b32 s2, 0
	s_cbranch_vccz .LBB329_1406
; %bb.1395:
	v_cmp_lt_i16_e32 vcc_lo, 28, v9
	s_cbranch_vccz .LBB329_1408
; %bb.1396:
	v_cmp_lt_i16_e32 vcc_lo, 43, v9
	;; [unrolled: 3-line block ×3, first 2 shown]
	s_cbranch_vccz .LBB329_1414
; %bb.1398:
	v_cmp_eq_u16_e32 vcc_lo, 46, v9
	s_mov_b32 s10, 0
	s_cbranch_vccz .LBB329_1457
; %bb.1399:
	global_load_b32 v7, v[5:6], off
	s_mov_b32 s0, 0
	s_mov_b32 s3, -1
	s_waitcnt vmcnt(0)
	v_lshlrev_b32_e32 v7, 16, v7
	s_branch .LBB329_1459
.LBB329_1400:
                                        ; implicit-def: $vgpr7
	s_cbranch_execz .LBB329_1525
; %bb.1401:
	v_cmp_gt_i16_e32 vcc_lo, 5, v9
	s_cbranch_vccnz .LBB329_1407
; %bb.1402:
	v_cmp_gt_i16_e32 vcc_lo, 8, v9
	s_cbranch_vccnz .LBB329_1409
	;; [unrolled: 3-line block ×3, first 2 shown]
; %bb.1404:
	v_cmp_lt_i16_e32 vcc_lo, 9, v9
	s_cbranch_vccz .LBB329_1415
; %bb.1405:
	global_load_b64 v[11:12], v[5:6], off
	s_mov_b32 s0, 0
	s_waitcnt vmcnt(0)
	v_cvt_f32_f64_e32 v7, v[11:12]
	s_branch .LBB329_1416
.LBB329_1406:
	s_mov_b32 s10, -1
	s_mov_b32 s0, 0
                                        ; implicit-def: $vgpr7
	s_branch .LBB329_1488
.LBB329_1407:
	s_mov_b32 s0, -1
                                        ; implicit-def: $vgpr7
	s_branch .LBB329_1434
.LBB329_1408:
	s_mov_b32 s10, -1
	s_mov_b32 s0, 0
                                        ; implicit-def: $vgpr7
	s_branch .LBB329_1469
.LBB329_1409:
	s_mov_b32 s0, -1
                                        ; implicit-def: $vgpr7
	s_branch .LBB329_1422
.LBB329_1410:
	s_mov_b32 s10, -1
	s_mov_b32 s0, 0
                                        ; implicit-def: $vgpr7
	s_branch .LBB329_1464
.LBB329_1411:
	s_mov_b32 s0, -1
                                        ; implicit-def: $vgpr7
	s_branch .LBB329_1419
.LBB329_1412:
	s_cbranch_execnz .LBB329_1455
; %bb.1413:
	s_or_b32 s1, s1, exec_lo
                                        ; implicit-def: $vgpr8
	s_cbranch_execz .LBB329_1390
	s_branch .LBB329_1391
.LBB329_1414:
	s_mov_b32 s10, -1
	s_mov_b32 s0, 0
	s_branch .LBB329_1458
.LBB329_1415:
	s_mov_b32 s0, -1
                                        ; implicit-def: $vgpr7
.LBB329_1416:
	s_delay_alu instid0(SALU_CYCLE_1)
	s_and_not1_b32 vcc_lo, exec_lo, s0
	s_cbranch_vccnz .LBB329_1418
; %bb.1417:
	global_load_b32 v7, v[5:6], off
.LBB329_1418:
	s_mov_b32 s0, 0
.LBB329_1419:
	s_delay_alu instid0(SALU_CYCLE_1)
	s_and_not1_b32 vcc_lo, exec_lo, s0
	s_cbranch_vccnz .LBB329_1421
; %bb.1420:
	global_load_b32 v7, v[5:6], off
	s_waitcnt vmcnt(0)
	v_cvt_f32_f16_e32 v7, v7
.LBB329_1421:
	s_mov_b32 s0, 0
.LBB329_1422:
	s_delay_alu instid0(SALU_CYCLE_1)
	s_and_not1_b32 vcc_lo, exec_lo, s0
	s_cbranch_vccnz .LBB329_1433
; %bb.1423:
	v_cmp_gt_i16_e32 vcc_lo, 6, v9
	s_cbranch_vccnz .LBB329_1426
; %bb.1424:
	v_cmp_lt_i16_e32 vcc_lo, 6, v9
	s_cbranch_vccz .LBB329_1427
; %bb.1425:
	global_load_b64 v[11:12], v[5:6], off
	s_mov_b32 s0, 0
	s_waitcnt vmcnt(0)
	v_cvt_f32_f64_e32 v7, v[11:12]
	s_branch .LBB329_1428
.LBB329_1426:
	s_mov_b32 s0, -1
                                        ; implicit-def: $vgpr7
	s_branch .LBB329_1431
.LBB329_1427:
	s_mov_b32 s0, -1
                                        ; implicit-def: $vgpr7
.LBB329_1428:
	s_delay_alu instid0(SALU_CYCLE_1)
	s_and_not1_b32 vcc_lo, exec_lo, s0
	s_cbranch_vccnz .LBB329_1430
; %bb.1429:
	global_load_b32 v7, v[5:6], off
.LBB329_1430:
	s_mov_b32 s0, 0
.LBB329_1431:
	s_delay_alu instid0(SALU_CYCLE_1)
	s_and_not1_b32 vcc_lo, exec_lo, s0
	s_cbranch_vccnz .LBB329_1433
; %bb.1432:
	global_load_u16 v7, v[5:6], off
	s_waitcnt vmcnt(0)
	v_cvt_f32_f16_e32 v7, v7
.LBB329_1433:
	s_mov_b32 s0, 0
.LBB329_1434:
	s_delay_alu instid0(SALU_CYCLE_1)
	s_and_not1_b32 vcc_lo, exec_lo, s0
	s_cbranch_vccnz .LBB329_1454
; %bb.1435:
	v_cmp_gt_i16_e32 vcc_lo, 2, v9
	s_cbranch_vccnz .LBB329_1439
; %bb.1436:
	v_cmp_gt_i16_e32 vcc_lo, 3, v9
	s_cbranch_vccnz .LBB329_1440
; %bb.1437:
	v_cmp_lt_i16_e32 vcc_lo, 3, v9
	s_cbranch_vccz .LBB329_1441
; %bb.1438:
	global_load_b64 v[11:12], v[5:6], off
	s_mov_b32 s0, 0
	s_waitcnt vmcnt(0)
	v_xor_b32_e32 v7, v11, v12
	v_cls_i32_e32 v13, v12
	s_delay_alu instid0(VALU_DEP_2) | instskip(NEXT) | instid1(VALU_DEP_2)
	v_ashrrev_i32_e32 v7, 31, v7
	v_add_nc_u32_e32 v13, -1, v13
	s_delay_alu instid0(VALU_DEP_2) | instskip(NEXT) | instid1(VALU_DEP_1)
	v_add_nc_u32_e32 v7, 32, v7
	v_min_u32_e32 v7, v13, v7
	s_delay_alu instid0(VALU_DEP_1) | instskip(SKIP_1) | instid1(VALU_DEP_2)
	v_lshlrev_b64 v[11:12], v7, v[11:12]
	v_sub_nc_u32_e32 v7, 32, v7
	v_min_u32_e32 v11, 1, v11
	s_delay_alu instid0(VALU_DEP_1) | instskip(NEXT) | instid1(VALU_DEP_1)
	v_or_b32_e32 v11, v12, v11
	v_cvt_f32_i32_e32 v11, v11
	s_delay_alu instid0(VALU_DEP_1)
	v_ldexp_f32 v7, v11, v7
	s_branch .LBB329_1442
.LBB329_1439:
	s_mov_b32 s0, -1
                                        ; implicit-def: $vgpr7
	s_branch .LBB329_1448
.LBB329_1440:
	s_mov_b32 s0, -1
                                        ; implicit-def: $vgpr7
	s_branch .LBB329_1445
.LBB329_1441:
	s_mov_b32 s0, -1
                                        ; implicit-def: $vgpr7
.LBB329_1442:
	s_delay_alu instid0(SALU_CYCLE_1)
	s_and_not1_b32 vcc_lo, exec_lo, s0
	s_cbranch_vccnz .LBB329_1444
; %bb.1443:
	global_load_b32 v7, v[5:6], off
	s_waitcnt vmcnt(0)
	v_cvt_f32_i32_e32 v7, v7
.LBB329_1444:
	s_mov_b32 s0, 0
.LBB329_1445:
	s_delay_alu instid0(SALU_CYCLE_1)
	s_and_not1_b32 vcc_lo, exec_lo, s0
	s_cbranch_vccnz .LBB329_1447
; %bb.1446:
	global_load_i16 v7, v[5:6], off
	s_waitcnt vmcnt(0)
	v_cvt_f32_i32_e32 v7, v7
.LBB329_1447:
	s_mov_b32 s0, 0
.LBB329_1448:
	s_delay_alu instid0(SALU_CYCLE_1)
	s_and_not1_b32 vcc_lo, exec_lo, s0
	s_cbranch_vccnz .LBB329_1454
; %bb.1449:
	v_cmp_lt_i16_e32 vcc_lo, 0, v9
	s_mov_b32 s0, 0
	s_cbranch_vccz .LBB329_1451
; %bb.1450:
	global_load_i8 v7, v[5:6], off
	s_waitcnt vmcnt(0)
	v_cvt_f32_i32_e32 v7, v7
	s_branch .LBB329_1452
.LBB329_1451:
	s_mov_b32 s0, -1
                                        ; implicit-def: $vgpr7
.LBB329_1452:
	s_delay_alu instid0(SALU_CYCLE_1)
	s_and_not1_b32 vcc_lo, exec_lo, s0
	s_cbranch_vccnz .LBB329_1454
; %bb.1453:
	global_load_u8 v5, v[5:6], off
	s_waitcnt vmcnt(0)
	v_cvt_f32_ubyte0_e32 v7, v5
.LBB329_1454:
	s_branch .LBB329_1526
.LBB329_1455:
	s_trap 2
	s_sendmsg_rtn_b32 s0, sendmsg(MSG_RTN_GET_DOORBELL)
	s_mov_b32 ttmp2, m0
	s_waitcnt lgkmcnt(0)
	s_and_b32 s0, s0, 0x3ff
	s_delay_alu instid0(SALU_CYCLE_1) | instskip(NEXT) | instid1(SALU_CYCLE_1)
	s_bitset1_b32 s0, 10
	s_mov_b32 m0, s0
	s_sendmsg sendmsg(MSG_INTERRUPT)
	s_mov_b32 m0, ttmp2
.LBB329_1456:                           ; =>This Inner Loop Header: Depth=1
	s_sethalt 5
	s_branch .LBB329_1456
.LBB329_1457:
	s_mov_b32 s0, -1
.LBB329_1458:
                                        ; implicit-def: $vgpr7
.LBB329_1459:
	s_and_b32 vcc_lo, exec_lo, s10
	s_cbranch_vccz .LBB329_1463
; %bb.1460:
	v_cmp_eq_u16_e32 vcc_lo, 44, v9
	s_cbranch_vccz .LBB329_1462
; %bb.1461:
	global_load_u8 v7, v[5:6], off
	s_mov_b32 s0, 0
	s_mov_b32 s3, -1
	s_waitcnt vmcnt(0)
	v_lshlrev_b32_e32 v11, 23, v7
	v_cmp_ne_u32_e32 vcc_lo, 0xff, v7
	s_delay_alu instid0(VALU_DEP_2) | instskip(SKIP_1) | instid1(VALU_DEP_2)
	v_cndmask_b32_e32 v11, 0x7f800001, v11, vcc_lo
	v_cmp_ne_u32_e32 vcc_lo, 0, v7
	v_cndmask_b32_e32 v7, 0x400000, v11, vcc_lo
	s_branch .LBB329_1463
.LBB329_1462:
	s_mov_b32 s0, -1
                                        ; implicit-def: $vgpr7
.LBB329_1463:
	s_mov_b32 s10, 0
.LBB329_1464:
	s_delay_alu instid0(SALU_CYCLE_1)
	s_and_b32 vcc_lo, exec_lo, s10
	s_cbranch_vccz .LBB329_1468
; %bb.1465:
	v_cmp_eq_u16_e32 vcc_lo, 29, v9
	s_cbranch_vccz .LBB329_1467
; %bb.1466:
	global_load_b64 v[11:12], v[5:6], off
	s_mov_b32 s0, 0
	s_mov_b32 s3, -1
	s_mov_b32 s10, 0
	s_waitcnt vmcnt(0)
	v_clz_i32_u32_e32 v7, v12
	s_delay_alu instid0(VALU_DEP_1) | instskip(NEXT) | instid1(VALU_DEP_1)
	v_min_u32_e32 v7, 32, v7
	v_lshlrev_b64 v[11:12], v7, v[11:12]
	v_sub_nc_u32_e32 v7, 32, v7
	s_delay_alu instid0(VALU_DEP_2) | instskip(NEXT) | instid1(VALU_DEP_1)
	v_min_u32_e32 v11, 1, v11
	v_or_b32_e32 v11, v12, v11
	s_delay_alu instid0(VALU_DEP_1) | instskip(NEXT) | instid1(VALU_DEP_1)
	v_cvt_f32_u32_e32 v11, v11
	v_ldexp_f32 v7, v11, v7
	s_branch .LBB329_1469
.LBB329_1467:
	s_mov_b32 s0, -1
                                        ; implicit-def: $vgpr7
.LBB329_1468:
	s_mov_b32 s10, 0
.LBB329_1469:
	s_delay_alu instid0(SALU_CYCLE_1)
	s_and_b32 vcc_lo, exec_lo, s10
	s_cbranch_vccz .LBB329_1487
; %bb.1470:
	v_cmp_gt_i16_e32 vcc_lo, 27, v9
	s_cbranch_vccnz .LBB329_1473
; %bb.1471:
	v_cmp_lt_i16_e32 vcc_lo, 27, v9
	s_cbranch_vccz .LBB329_1474
; %bb.1472:
	global_load_b32 v7, v[5:6], off
	s_mov_b32 s3, 0
	s_waitcnt vmcnt(0)
	v_cvt_f32_u32_e32 v7, v7
	s_branch .LBB329_1475
.LBB329_1473:
	s_mov_b32 s3, -1
                                        ; implicit-def: $vgpr7
	s_branch .LBB329_1478
.LBB329_1474:
	s_mov_b32 s3, -1
                                        ; implicit-def: $vgpr7
.LBB329_1475:
	s_delay_alu instid0(SALU_CYCLE_1)
	s_and_not1_b32 vcc_lo, exec_lo, s3
	s_cbranch_vccnz .LBB329_1477
; %bb.1476:
	global_load_u16 v7, v[5:6], off
	s_waitcnt vmcnt(0)
	v_cvt_f32_u32_e32 v7, v7
.LBB329_1477:
	s_mov_b32 s3, 0
.LBB329_1478:
	s_delay_alu instid0(SALU_CYCLE_1)
	s_and_not1_b32 vcc_lo, exec_lo, s3
	s_cbranch_vccnz .LBB329_1486
; %bb.1479:
	global_load_u8 v11, v[5:6], off
	s_mov_b32 s3, 0
	s_mov_b32 s11, exec_lo
                                        ; implicit-def: $sgpr10
	s_waitcnt vmcnt(0)
	v_cmpx_lt_i16_e32 0x7f, v11
	s_xor_b32 s11, exec_lo, s11
	s_cbranch_execz .LBB329_1500
; %bb.1480:
	s_mov_b32 s3, -1
	s_mov_b32 s12, exec_lo
                                        ; implicit-def: $sgpr10
	v_cmpx_eq_u16_e32 0x80, v11
; %bb.1481:
	s_mov_b32 s10, 0x7f800001
	s_xor_b32 s3, exec_lo, -1
; %bb.1482:
	s_or_b32 exec_lo, exec_lo, s12
	s_delay_alu instid0(SALU_CYCLE_1)
	s_and_b32 s3, s3, exec_lo
	s_or_saveexec_b32 s11, s11
	v_mov_b32_e32 v7, s10
	s_xor_b32 exec_lo, exec_lo, s11
	s_cbranch_execnz .LBB329_1501
.LBB329_1483:
	s_or_b32 exec_lo, exec_lo, s11
	s_and_saveexec_b32 s10, s3
	s_cbranch_execz .LBB329_1485
.LBB329_1484:
	v_and_b32_e32 v7, 0xffff, v11
	v_lshlrev_b32_e32 v11, 24, v11
	s_delay_alu instid0(VALU_DEP_2) | instskip(NEXT) | instid1(VALU_DEP_2)
	v_and_b32_e32 v12, 7, v7
	v_and_b32_e32 v11, 0x80000000, v11
	s_delay_alu instid0(VALU_DEP_2) | instskip(NEXT) | instid1(VALU_DEP_1)
	v_clz_i32_u32_e32 v13, v12
	v_min_u32_e32 v13, 32, v13
	s_delay_alu instid0(VALU_DEP_1) | instskip(SKIP_1) | instid1(VALU_DEP_2)
	v_subrev_nc_u32_e32 v14, 28, v13
	v_sub_nc_u32_e32 v13, 29, v13
	v_lshlrev_b32_e32 v14, v14, v7
	v_bfe_u32 v7, v7, 3, 4
	s_delay_alu instid0(VALU_DEP_2) | instskip(NEXT) | instid1(VALU_DEP_2)
	v_and_b32_e32 v14, 7, v14
	v_cmp_eq_u32_e32 vcc_lo, 0, v7
	s_delay_alu instid0(VALU_DEP_2) | instskip(NEXT) | instid1(VALU_DEP_1)
	v_dual_cndmask_b32 v7, v7, v13 :: v_dual_cndmask_b32 v12, v12, v14
	v_lshl_add_u32 v7, v7, 23, 0x3b800000
	s_delay_alu instid0(VALU_DEP_2) | instskip(NEXT) | instid1(VALU_DEP_1)
	v_lshlrev_b32_e32 v12, 20, v12
	v_or3_b32 v7, v11, v7, v12
.LBB329_1485:
	s_or_b32 exec_lo, exec_lo, s10
.LBB329_1486:
	s_mov_b32 s3, -1
.LBB329_1487:
	s_mov_b32 s10, 0
.LBB329_1488:
	s_delay_alu instid0(SALU_CYCLE_1)
	s_and_b32 vcc_lo, exec_lo, s10
	s_cbranch_vccz .LBB329_1521
; %bb.1489:
	v_cmp_lt_i16_e32 vcc_lo, 22, v9
	s_cbranch_vccz .LBB329_1499
; %bb.1490:
	v_cmp_gt_i16_e32 vcc_lo, 24, v9
	s_cbranch_vccnz .LBB329_1502
; %bb.1491:
	v_cmp_lt_i16_e32 vcc_lo, 24, v9
	s_cbranch_vccz .LBB329_1503
; %bb.1492:
	global_load_u8 v11, v[5:6], off
	s_mov_b32 s10, exec_lo
                                        ; implicit-def: $sgpr3
	s_waitcnt vmcnt(0)
	v_cmpx_lt_i16_e32 0x7f, v11
	s_xor_b32 s10, exec_lo, s10
	s_cbranch_execz .LBB329_1515
; %bb.1493:
	s_mov_b32 s2, -1
	s_mov_b32 s11, exec_lo
                                        ; implicit-def: $sgpr3
	v_cmpx_eq_u16_e32 0x80, v11
; %bb.1494:
	s_mov_b32 s3, 0x7f800001
	s_xor_b32 s2, exec_lo, -1
; %bb.1495:
	s_or_b32 exec_lo, exec_lo, s11
	s_delay_alu instid0(SALU_CYCLE_1)
	s_and_b32 s2, s2, exec_lo
	s_or_saveexec_b32 s10, s10
	v_mov_b32_e32 v7, s3
	s_xor_b32 exec_lo, exec_lo, s10
	s_cbranch_execnz .LBB329_1516
.LBB329_1496:
	s_or_b32 exec_lo, exec_lo, s10
	s_and_saveexec_b32 s3, s2
	s_cbranch_execz .LBB329_1498
.LBB329_1497:
	v_and_b32_e32 v7, 0xffff, v11
	v_lshlrev_b32_e32 v11, 24, v11
	s_delay_alu instid0(VALU_DEP_2) | instskip(NEXT) | instid1(VALU_DEP_2)
	v_and_b32_e32 v12, 3, v7
	v_and_b32_e32 v11, 0x80000000, v11
	s_delay_alu instid0(VALU_DEP_2) | instskip(NEXT) | instid1(VALU_DEP_1)
	v_clz_i32_u32_e32 v13, v12
	v_min_u32_e32 v13, 32, v13
	s_delay_alu instid0(VALU_DEP_1) | instskip(SKIP_1) | instid1(VALU_DEP_2)
	v_subrev_nc_u32_e32 v14, 29, v13
	v_sub_nc_u32_e32 v13, 30, v13
	v_lshlrev_b32_e32 v14, v14, v7
	v_bfe_u32 v7, v7, 2, 5
	s_delay_alu instid0(VALU_DEP_2) | instskip(NEXT) | instid1(VALU_DEP_2)
	v_and_b32_e32 v14, 3, v14
	v_cmp_eq_u32_e32 vcc_lo, 0, v7
	s_delay_alu instid0(VALU_DEP_2) | instskip(NEXT) | instid1(VALU_DEP_1)
	v_dual_cndmask_b32 v7, v7, v13 :: v_dual_cndmask_b32 v12, v12, v14
	v_lshl_add_u32 v7, v7, 23, 0x37800000
	s_delay_alu instid0(VALU_DEP_2) | instskip(NEXT) | instid1(VALU_DEP_1)
	v_lshlrev_b32_e32 v12, 21, v12
	v_or3_b32 v7, v11, v7, v12
.LBB329_1498:
	s_or_b32 exec_lo, exec_lo, s3
	s_mov_b32 s2, 0
	s_branch .LBB329_1504
.LBB329_1499:
	s_mov_b32 s2, -1
                                        ; implicit-def: $vgpr7
	s_branch .LBB329_1510
.LBB329_1500:
	s_or_saveexec_b32 s11, s11
	v_mov_b32_e32 v7, s10
	s_xor_b32 exec_lo, exec_lo, s11
	s_cbranch_execz .LBB329_1483
.LBB329_1501:
	v_cmp_ne_u16_e32 vcc_lo, 0, v11
	v_mov_b32_e32 v7, 0
	s_and_not1_b32 s3, s3, exec_lo
	s_and_b32 s10, vcc_lo, exec_lo
	s_delay_alu instid0(SALU_CYCLE_1)
	s_or_b32 s3, s3, s10
	s_or_b32 exec_lo, exec_lo, s11
	s_and_saveexec_b32 s10, s3
	s_cbranch_execnz .LBB329_1484
	s_branch .LBB329_1485
.LBB329_1502:
	s_mov_b32 s2, -1
                                        ; implicit-def: $vgpr7
	s_branch .LBB329_1507
.LBB329_1503:
	s_mov_b32 s2, -1
                                        ; implicit-def: $vgpr7
.LBB329_1504:
	s_delay_alu instid0(SALU_CYCLE_1)
	s_and_b32 vcc_lo, exec_lo, s2
	s_cbranch_vccz .LBB329_1506
; %bb.1505:
	global_load_u8 v7, v[5:6], off
	s_waitcnt vmcnt(0)
	v_lshlrev_b32_e32 v7, 24, v7
	s_delay_alu instid0(VALU_DEP_1) | instskip(NEXT) | instid1(VALU_DEP_1)
	v_and_b32_e32 v11, 0x7f000000, v7
	v_clz_i32_u32_e32 v12, v11
	v_cmp_ne_u32_e32 vcc_lo, 0, v11
	v_add_nc_u32_e32 v14, 0x1000000, v11
	s_delay_alu instid0(VALU_DEP_3) | instskip(NEXT) | instid1(VALU_DEP_1)
	v_min_u32_e32 v12, 32, v12
	v_sub_nc_u32_e64 v12, v12, 4 clamp
	s_delay_alu instid0(VALU_DEP_1) | instskip(SKIP_1) | instid1(VALU_DEP_2)
	v_lshlrev_b32_e32 v13, v12, v11
	v_lshlrev_b32_e32 v12, 23, v12
	v_lshrrev_b32_e32 v13, 4, v13
	s_delay_alu instid0(VALU_DEP_1) | instskip(SKIP_1) | instid1(VALU_DEP_2)
	v_sub_nc_u32_e32 v12, v13, v12
	v_ashrrev_i32_e32 v13, 8, v14
	v_add_nc_u32_e32 v12, 0x3c000000, v12
	s_delay_alu instid0(VALU_DEP_1) | instskip(NEXT) | instid1(VALU_DEP_1)
	v_and_or_b32 v12, 0x7f800000, v13, v12
	v_cndmask_b32_e32 v11, 0, v12, vcc_lo
	s_delay_alu instid0(VALU_DEP_1)
	v_and_or_b32 v7, 0x80000000, v7, v11
.LBB329_1506:
	s_mov_b32 s2, 0
.LBB329_1507:
	s_delay_alu instid0(SALU_CYCLE_1)
	s_and_not1_b32 vcc_lo, exec_lo, s2
	s_cbranch_vccnz .LBB329_1509
; %bb.1508:
	global_load_u8 v7, v[5:6], off
	s_waitcnt vmcnt(0)
	v_lshlrev_b32_e32 v11, 25, v7
	v_lshlrev_b16 v7, 8, v7
	s_delay_alu instid0(VALU_DEP_2) | instskip(NEXT) | instid1(VALU_DEP_2)
	v_lshrrev_b32_e32 v12, 4, v11
	v_and_or_b32 v13, 0x7f00, v7, 0.5
	v_bfe_i32 v7, v7, 0, 16
	s_delay_alu instid0(VALU_DEP_3) | instskip(NEXT) | instid1(VALU_DEP_1)
	v_or_b32_e32 v12, 0x70000000, v12
	v_dual_add_f32 v13, -0.5, v13 :: v_dual_mul_f32 v12, 0x7800000, v12
	v_cmp_gt_u32_e32 vcc_lo, 0x8000000, v11
	s_delay_alu instid0(VALU_DEP_2) | instskip(NEXT) | instid1(VALU_DEP_1)
	v_cndmask_b32_e32 v11, v12, v13, vcc_lo
	v_and_or_b32 v7, 0x80000000, v7, v11
.LBB329_1509:
	s_mov_b32 s2, 0
	s_mov_b32 s3, -1
.LBB329_1510:
	s_and_not1_b32 vcc_lo, exec_lo, s2
	s_mov_b32 s2, 0
	s_cbranch_vccnz .LBB329_1521
; %bb.1511:
	v_cmp_lt_i16_e32 vcc_lo, 14, v9
	s_cbranch_vccz .LBB329_1514
; %bb.1512:
	v_cmp_eq_u16_e32 vcc_lo, 15, v9
	s_cbranch_vccz .LBB329_1517
; %bb.1513:
	global_load_u16 v7, v[5:6], off
	s_mov_b32 s0, 0
	s_mov_b32 s3, -1
	s_waitcnt vmcnt(0)
	v_lshlrev_b32_e32 v7, 16, v7
	s_branch .LBB329_1519
.LBB329_1514:
	s_mov_b32 s2, -1
	s_branch .LBB329_1518
.LBB329_1515:
	s_or_saveexec_b32 s10, s10
	v_mov_b32_e32 v7, s3
	s_xor_b32 exec_lo, exec_lo, s10
	s_cbranch_execz .LBB329_1496
.LBB329_1516:
	v_cmp_ne_u16_e32 vcc_lo, 0, v11
	v_mov_b32_e32 v7, 0
	s_and_not1_b32 s2, s2, exec_lo
	s_and_b32 s3, vcc_lo, exec_lo
	s_delay_alu instid0(SALU_CYCLE_1)
	s_or_b32 s2, s2, s3
	s_or_b32 exec_lo, exec_lo, s10
	s_and_saveexec_b32 s3, s2
	s_cbranch_execnz .LBB329_1497
	s_branch .LBB329_1498
.LBB329_1517:
	s_mov_b32 s0, -1
.LBB329_1518:
                                        ; implicit-def: $vgpr7
.LBB329_1519:
	s_and_b32 vcc_lo, exec_lo, s2
	s_mov_b32 s2, 0
	s_cbranch_vccz .LBB329_1521
; %bb.1520:
	v_cmp_ne_u16_e64 s0, 11, v9
	s_mov_b32 s2, -1
                                        ; implicit-def: $vgpr7
.LBB329_1521:
	s_delay_alu instid0(VALU_DEP_1)
	s_and_b32 vcc_lo, exec_lo, s0
	s_cbranch_vccnz .LBB329_1537
; %bb.1522:
	s_and_not1_b32 vcc_lo, exec_lo, s2
	s_cbranch_vccnz .LBB329_1524
.LBB329_1523:
	global_load_u8 v7, v[5:6], off
	s_mov_b32 s3, -1
	s_waitcnt vmcnt(0)
	v_cmp_ne_u16_e32 vcc_lo, 0, v7
	v_cndmask_b32_e64 v7, 0, 1.0, vcc_lo
.LBB329_1524:
.LBB329_1525:
	s_and_not1_b32 vcc_lo, exec_lo, s3
	s_cbranch_vccnz .LBB329_2049
.LBB329_1526:
	v_cmp_gt_i16_e32 vcc_lo, 11, v9
	v_add_co_u32 v4, s0, s6, v4
	s_delay_alu instid0(VALU_DEP_1)
	v_add_co_ci_u32_e64 v5, null, s7, 0, s0
	s_mov_b32 s3, 0
	s_cbranch_vccnz .LBB329_1533
; %bb.1527:
	v_cmp_lt_i16_e32 vcc_lo, 25, v9
	s_mov_b32 s2, 0
	s_cbranch_vccz .LBB329_1534
; %bb.1528:
	v_cmp_lt_i16_e32 vcc_lo, 28, v9
	s_cbranch_vccz .LBB329_1535
; %bb.1529:
	v_cmp_lt_i16_e32 vcc_lo, 43, v9
	;; [unrolled: 3-line block ×3, first 2 shown]
	s_cbranch_vccz .LBB329_1539
; %bb.1531:
	v_cmp_eq_u16_e32 vcc_lo, 46, v9
	s_mov_b32 s6, 0
	s_cbranch_vccz .LBB329_1542
; %bb.1532:
	global_load_b32 v6, v[4:5], off
	s_mov_b32 s0, 0
	s_mov_b32 s3, -1
	s_waitcnt vmcnt(0)
	v_lshlrev_b32_e32 v11, 16, v6
	s_branch .LBB329_1544
.LBB329_1533:
	s_mov_b32 s0, -1
                                        ; implicit-def: $vgpr11
	s_branch .LBB329_1610
.LBB329_1534:
	s_mov_b32 s6, -1
	s_mov_b32 s0, 0
                                        ; implicit-def: $vgpr11
	s_branch .LBB329_1573
.LBB329_1535:
	s_mov_b32 s6, -1
	s_mov_b32 s0, 0
                                        ; implicit-def: $vgpr11
	s_branch .LBB329_1554
.LBB329_1536:
	s_mov_b32 s6, -1
	s_mov_b32 s0, 0
                                        ; implicit-def: $vgpr11
	s_branch .LBB329_1549
.LBB329_1537:
	s_cbranch_execnz .LBB329_1540
; %bb.1538:
	s_or_b32 s1, s1, exec_lo
                                        ; implicit-def: $vgpr7
	s_cbranch_execz .LBB329_1523
	s_branch .LBB329_1524
.LBB329_1539:
	s_mov_b32 s6, -1
	s_mov_b32 s0, 0
	s_branch .LBB329_1543
.LBB329_1540:
	s_trap 2
	s_sendmsg_rtn_b32 s0, sendmsg(MSG_RTN_GET_DOORBELL)
	s_mov_b32 ttmp2, m0
	s_waitcnt lgkmcnt(0)
	s_and_b32 s0, s0, 0x3ff
	s_delay_alu instid0(SALU_CYCLE_1) | instskip(NEXT) | instid1(SALU_CYCLE_1)
	s_bitset1_b32 s0, 10
	s_mov_b32 m0, s0
	s_sendmsg sendmsg(MSG_INTERRUPT)
	s_mov_b32 m0, ttmp2
.LBB329_1541:                           ; =>This Inner Loop Header: Depth=1
	s_sethalt 5
	s_branch .LBB329_1541
.LBB329_1542:
	s_mov_b32 s0, -1
.LBB329_1543:
                                        ; implicit-def: $vgpr11
.LBB329_1544:
	s_and_b32 vcc_lo, exec_lo, s6
	s_cbranch_vccz .LBB329_1548
; %bb.1545:
	v_cmp_eq_u16_e32 vcc_lo, 44, v9
	s_cbranch_vccz .LBB329_1547
; %bb.1546:
	global_load_u8 v6, v[4:5], off
	s_mov_b32 s0, 0
	s_mov_b32 s3, -1
	s_waitcnt vmcnt(0)
	v_lshlrev_b32_e32 v11, 23, v6
	v_cmp_ne_u32_e32 vcc_lo, 0xff, v6
	s_delay_alu instid0(VALU_DEP_2) | instskip(SKIP_1) | instid1(VALU_DEP_2)
	v_cndmask_b32_e32 v11, 0x7f800001, v11, vcc_lo
	v_cmp_ne_u32_e32 vcc_lo, 0, v6
	v_cndmask_b32_e32 v11, 0x400000, v11, vcc_lo
	s_branch .LBB329_1548
.LBB329_1547:
	s_mov_b32 s0, -1
                                        ; implicit-def: $vgpr11
.LBB329_1548:
	s_mov_b32 s6, 0
.LBB329_1549:
	s_delay_alu instid0(SALU_CYCLE_1)
	s_and_b32 vcc_lo, exec_lo, s6
	s_cbranch_vccz .LBB329_1553
; %bb.1550:
	v_cmp_eq_u16_e32 vcc_lo, 29, v9
	s_cbranch_vccz .LBB329_1552
; %bb.1551:
	global_load_b64 v[11:12], v[4:5], off
	s_mov_b32 s0, 0
	s_mov_b32 s3, -1
	s_mov_b32 s6, 0
	s_waitcnt vmcnt(0)
	v_clz_i32_u32_e32 v6, v12
	s_delay_alu instid0(VALU_DEP_1) | instskip(NEXT) | instid1(VALU_DEP_1)
	v_min_u32_e32 v6, 32, v6
	v_lshlrev_b64 v[11:12], v6, v[11:12]
	v_sub_nc_u32_e32 v6, 32, v6
	s_delay_alu instid0(VALU_DEP_2) | instskip(NEXT) | instid1(VALU_DEP_1)
	v_min_u32_e32 v11, 1, v11
	v_or_b32_e32 v11, v12, v11
	s_delay_alu instid0(VALU_DEP_1) | instskip(NEXT) | instid1(VALU_DEP_1)
	v_cvt_f32_u32_e32 v11, v11
	v_ldexp_f32 v11, v11, v6
	s_branch .LBB329_1554
.LBB329_1552:
	s_mov_b32 s0, -1
                                        ; implicit-def: $vgpr11
.LBB329_1553:
	s_mov_b32 s6, 0
.LBB329_1554:
	s_delay_alu instid0(SALU_CYCLE_1)
	s_and_b32 vcc_lo, exec_lo, s6
	s_cbranch_vccz .LBB329_1572
; %bb.1555:
	v_cmp_gt_i16_e32 vcc_lo, 27, v9
	s_cbranch_vccnz .LBB329_1558
; %bb.1556:
	v_cmp_lt_i16_e32 vcc_lo, 27, v9
	s_cbranch_vccz .LBB329_1559
; %bb.1557:
	global_load_b32 v6, v[4:5], off
	s_mov_b32 s3, 0
	s_waitcnt vmcnt(0)
	v_cvt_f32_u32_e32 v11, v6
	s_branch .LBB329_1560
.LBB329_1558:
	s_mov_b32 s3, -1
                                        ; implicit-def: $vgpr11
	s_branch .LBB329_1563
.LBB329_1559:
	s_mov_b32 s3, -1
                                        ; implicit-def: $vgpr11
.LBB329_1560:
	s_delay_alu instid0(SALU_CYCLE_1)
	s_and_not1_b32 vcc_lo, exec_lo, s3
	s_cbranch_vccnz .LBB329_1562
; %bb.1561:
	global_load_u16 v6, v[4:5], off
	s_waitcnt vmcnt(0)
	v_cvt_f32_u32_e32 v11, v6
.LBB329_1562:
	s_mov_b32 s3, 0
.LBB329_1563:
	s_delay_alu instid0(SALU_CYCLE_1)
	s_and_not1_b32 vcc_lo, exec_lo, s3
	s_cbranch_vccnz .LBB329_1571
; %bb.1564:
	global_load_u8 v6, v[4:5], off
	s_mov_b32 s3, 0
	s_mov_b32 s7, exec_lo
                                        ; implicit-def: $sgpr6
	s_waitcnt vmcnt(0)
	v_cmpx_lt_i16_e32 0x7f, v6
	s_xor_b32 s7, exec_lo, s7
	s_cbranch_execz .LBB329_1585
; %bb.1565:
	s_mov_b32 s3, -1
	s_mov_b32 s10, exec_lo
                                        ; implicit-def: $sgpr6
	v_cmpx_eq_u16_e32 0x80, v6
; %bb.1566:
	s_mov_b32 s6, 0x7f800001
	s_xor_b32 s3, exec_lo, -1
; %bb.1567:
	s_or_b32 exec_lo, exec_lo, s10
	s_delay_alu instid0(SALU_CYCLE_1)
	s_and_b32 s3, s3, exec_lo
	s_or_saveexec_b32 s7, s7
	v_mov_b32_e32 v11, s6
	s_xor_b32 exec_lo, exec_lo, s7
	s_cbranch_execnz .LBB329_1586
.LBB329_1568:
	s_or_b32 exec_lo, exec_lo, s7
	s_and_saveexec_b32 s6, s3
	s_cbranch_execz .LBB329_1570
.LBB329_1569:
	v_and_b32_e32 v11, 0xffff, v6
	v_lshlrev_b32_e32 v6, 24, v6
	s_delay_alu instid0(VALU_DEP_2) | instskip(NEXT) | instid1(VALU_DEP_2)
	v_and_b32_e32 v12, 7, v11
	v_and_b32_e32 v6, 0x80000000, v6
	s_delay_alu instid0(VALU_DEP_2) | instskip(NEXT) | instid1(VALU_DEP_1)
	v_clz_i32_u32_e32 v13, v12
	v_min_u32_e32 v13, 32, v13
	s_delay_alu instid0(VALU_DEP_1) | instskip(SKIP_1) | instid1(VALU_DEP_2)
	v_subrev_nc_u32_e32 v14, 28, v13
	v_sub_nc_u32_e32 v13, 29, v13
	v_lshlrev_b32_e32 v14, v14, v11
	v_bfe_u32 v11, v11, 3, 4
	s_delay_alu instid0(VALU_DEP_2) | instskip(NEXT) | instid1(VALU_DEP_2)
	v_and_b32_e32 v14, 7, v14
	v_cmp_eq_u32_e32 vcc_lo, 0, v11
	s_delay_alu instid0(VALU_DEP_2) | instskip(NEXT) | instid1(VALU_DEP_1)
	v_dual_cndmask_b32 v11, v11, v13 :: v_dual_cndmask_b32 v12, v12, v14
	v_lshl_add_u32 v11, v11, 23, 0x3b800000
	s_delay_alu instid0(VALU_DEP_2) | instskip(NEXT) | instid1(VALU_DEP_1)
	v_lshlrev_b32_e32 v12, 20, v12
	v_or3_b32 v11, v6, v11, v12
.LBB329_1570:
	s_or_b32 exec_lo, exec_lo, s6
.LBB329_1571:
	s_mov_b32 s3, -1
.LBB329_1572:
	s_mov_b32 s6, 0
.LBB329_1573:
	s_delay_alu instid0(SALU_CYCLE_1)
	s_and_b32 vcc_lo, exec_lo, s6
	s_cbranch_vccz .LBB329_1606
; %bb.1574:
	v_cmp_lt_i16_e32 vcc_lo, 22, v9
	s_cbranch_vccz .LBB329_1584
; %bb.1575:
	v_cmp_gt_i16_e32 vcc_lo, 24, v9
	s_cbranch_vccnz .LBB329_1587
; %bb.1576:
	v_cmp_lt_i16_e32 vcc_lo, 24, v9
	s_cbranch_vccz .LBB329_1588
; %bb.1577:
	global_load_u8 v6, v[4:5], off
	s_mov_b32 s6, exec_lo
                                        ; implicit-def: $sgpr3
	s_waitcnt vmcnt(0)
	v_cmpx_lt_i16_e32 0x7f, v6
	s_xor_b32 s6, exec_lo, s6
	s_cbranch_execz .LBB329_1600
; %bb.1578:
	s_mov_b32 s2, -1
	s_mov_b32 s7, exec_lo
                                        ; implicit-def: $sgpr3
	v_cmpx_eq_u16_e32 0x80, v6
; %bb.1579:
	s_mov_b32 s3, 0x7f800001
	s_xor_b32 s2, exec_lo, -1
; %bb.1580:
	s_or_b32 exec_lo, exec_lo, s7
	s_delay_alu instid0(SALU_CYCLE_1)
	s_and_b32 s2, s2, exec_lo
	s_or_saveexec_b32 s6, s6
	v_mov_b32_e32 v11, s3
	s_xor_b32 exec_lo, exec_lo, s6
	s_cbranch_execnz .LBB329_1601
.LBB329_1581:
	s_or_b32 exec_lo, exec_lo, s6
	s_and_saveexec_b32 s3, s2
	s_cbranch_execz .LBB329_1583
.LBB329_1582:
	v_and_b32_e32 v11, 0xffff, v6
	v_lshlrev_b32_e32 v6, 24, v6
	s_delay_alu instid0(VALU_DEP_2) | instskip(NEXT) | instid1(VALU_DEP_2)
	v_and_b32_e32 v12, 3, v11
	v_and_b32_e32 v6, 0x80000000, v6
	s_delay_alu instid0(VALU_DEP_2) | instskip(NEXT) | instid1(VALU_DEP_1)
	v_clz_i32_u32_e32 v13, v12
	v_min_u32_e32 v13, 32, v13
	s_delay_alu instid0(VALU_DEP_1) | instskip(SKIP_1) | instid1(VALU_DEP_2)
	v_subrev_nc_u32_e32 v14, 29, v13
	v_sub_nc_u32_e32 v13, 30, v13
	v_lshlrev_b32_e32 v14, v14, v11
	v_bfe_u32 v11, v11, 2, 5
	s_delay_alu instid0(VALU_DEP_2) | instskip(NEXT) | instid1(VALU_DEP_2)
	v_and_b32_e32 v14, 3, v14
	v_cmp_eq_u32_e32 vcc_lo, 0, v11
	s_delay_alu instid0(VALU_DEP_2) | instskip(NEXT) | instid1(VALU_DEP_1)
	v_dual_cndmask_b32 v11, v11, v13 :: v_dual_cndmask_b32 v12, v12, v14
	v_lshl_add_u32 v11, v11, 23, 0x37800000
	s_delay_alu instid0(VALU_DEP_2) | instskip(NEXT) | instid1(VALU_DEP_1)
	v_lshlrev_b32_e32 v12, 21, v12
	v_or3_b32 v11, v6, v11, v12
.LBB329_1583:
	s_or_b32 exec_lo, exec_lo, s3
	s_mov_b32 s2, 0
	s_branch .LBB329_1589
.LBB329_1584:
	s_mov_b32 s2, -1
                                        ; implicit-def: $vgpr11
	s_branch .LBB329_1595
.LBB329_1585:
	s_or_saveexec_b32 s7, s7
	v_mov_b32_e32 v11, s6
	s_xor_b32 exec_lo, exec_lo, s7
	s_cbranch_execz .LBB329_1568
.LBB329_1586:
	v_cmp_ne_u16_e32 vcc_lo, 0, v6
	v_mov_b32_e32 v11, 0
	s_and_not1_b32 s3, s3, exec_lo
	s_and_b32 s6, vcc_lo, exec_lo
	s_delay_alu instid0(SALU_CYCLE_1)
	s_or_b32 s3, s3, s6
	s_or_b32 exec_lo, exec_lo, s7
	s_and_saveexec_b32 s6, s3
	s_cbranch_execnz .LBB329_1569
	s_branch .LBB329_1570
.LBB329_1587:
	s_mov_b32 s2, -1
                                        ; implicit-def: $vgpr11
	s_branch .LBB329_1592
.LBB329_1588:
	s_mov_b32 s2, -1
                                        ; implicit-def: $vgpr11
.LBB329_1589:
	s_delay_alu instid0(SALU_CYCLE_1)
	s_and_b32 vcc_lo, exec_lo, s2
	s_cbranch_vccz .LBB329_1591
; %bb.1590:
	global_load_u8 v6, v[4:5], off
	s_waitcnt vmcnt(0)
	v_lshlrev_b32_e32 v6, 24, v6
	s_delay_alu instid0(VALU_DEP_1) | instskip(NEXT) | instid1(VALU_DEP_1)
	v_and_b32_e32 v11, 0x7f000000, v6
	v_clz_i32_u32_e32 v12, v11
	v_add_nc_u32_e32 v14, 0x1000000, v11
	v_cmp_ne_u32_e32 vcc_lo, 0, v11
	s_delay_alu instid0(VALU_DEP_3) | instskip(NEXT) | instid1(VALU_DEP_1)
	v_min_u32_e32 v12, 32, v12
	v_sub_nc_u32_e64 v12, v12, 4 clamp
	s_delay_alu instid0(VALU_DEP_1) | instskip(SKIP_1) | instid1(VALU_DEP_2)
	v_lshlrev_b32_e32 v13, v12, v11
	v_lshlrev_b32_e32 v12, 23, v12
	v_lshrrev_b32_e32 v13, 4, v13
	s_delay_alu instid0(VALU_DEP_1) | instskip(SKIP_1) | instid1(VALU_DEP_2)
	v_sub_nc_u32_e32 v12, v13, v12
	v_ashrrev_i32_e32 v13, 8, v14
	v_add_nc_u32_e32 v12, 0x3c000000, v12
	s_delay_alu instid0(VALU_DEP_1) | instskip(NEXT) | instid1(VALU_DEP_1)
	v_and_or_b32 v12, 0x7f800000, v13, v12
	v_cndmask_b32_e32 v11, 0, v12, vcc_lo
	s_delay_alu instid0(VALU_DEP_1)
	v_and_or_b32 v11, 0x80000000, v6, v11
.LBB329_1591:
	s_mov_b32 s2, 0
.LBB329_1592:
	s_delay_alu instid0(SALU_CYCLE_1)
	s_and_not1_b32 vcc_lo, exec_lo, s2
	s_cbranch_vccnz .LBB329_1594
; %bb.1593:
	global_load_u8 v6, v[4:5], off
	s_waitcnt vmcnt(0)
	v_lshlrev_b32_e32 v11, 25, v6
	v_lshlrev_b16 v6, 8, v6
	s_delay_alu instid0(VALU_DEP_2) | instskip(NEXT) | instid1(VALU_DEP_2)
	v_lshrrev_b32_e32 v12, 4, v11
	v_and_or_b32 v13, 0x7f00, v6, 0.5
	v_bfe_i32 v6, v6, 0, 16
	s_delay_alu instid0(VALU_DEP_3) | instskip(NEXT) | instid1(VALU_DEP_1)
	v_or_b32_e32 v12, 0x70000000, v12
	v_dual_add_f32 v13, -0.5, v13 :: v_dual_mul_f32 v12, 0x7800000, v12
	v_cmp_gt_u32_e32 vcc_lo, 0x8000000, v11
	s_delay_alu instid0(VALU_DEP_2) | instskip(NEXT) | instid1(VALU_DEP_1)
	v_cndmask_b32_e32 v11, v12, v13, vcc_lo
	v_and_or_b32 v11, 0x80000000, v6, v11
.LBB329_1594:
	s_mov_b32 s2, 0
	s_mov_b32 s3, -1
.LBB329_1595:
	s_and_not1_b32 vcc_lo, exec_lo, s2
	s_mov_b32 s2, 0
	s_cbranch_vccnz .LBB329_1606
; %bb.1596:
	v_cmp_lt_i16_e32 vcc_lo, 14, v9
	s_cbranch_vccz .LBB329_1599
; %bb.1597:
	v_cmp_eq_u16_e32 vcc_lo, 15, v9
	s_cbranch_vccz .LBB329_1602
; %bb.1598:
	global_load_u16 v6, v[4:5], off
	s_mov_b32 s0, 0
	s_mov_b32 s3, -1
	s_waitcnt vmcnt(0)
	v_lshlrev_b32_e32 v11, 16, v6
	s_branch .LBB329_1604
.LBB329_1599:
	s_mov_b32 s2, -1
	s_branch .LBB329_1603
.LBB329_1600:
	s_or_saveexec_b32 s6, s6
	v_mov_b32_e32 v11, s3
	s_xor_b32 exec_lo, exec_lo, s6
	s_cbranch_execz .LBB329_1581
.LBB329_1601:
	v_cmp_ne_u16_e32 vcc_lo, 0, v6
	v_mov_b32_e32 v11, 0
	s_and_not1_b32 s2, s2, exec_lo
	s_and_b32 s3, vcc_lo, exec_lo
	s_delay_alu instid0(SALU_CYCLE_1)
	s_or_b32 s2, s2, s3
	s_or_b32 exec_lo, exec_lo, s6
	s_and_saveexec_b32 s3, s2
	s_cbranch_execnz .LBB329_1582
	s_branch .LBB329_1583
.LBB329_1602:
	s_mov_b32 s0, -1
.LBB329_1603:
                                        ; implicit-def: $vgpr11
.LBB329_1604:
	s_and_b32 vcc_lo, exec_lo, s2
	s_mov_b32 s2, 0
	s_cbranch_vccz .LBB329_1606
; %bb.1605:
	v_cmp_ne_u16_e64 s0, 11, v9
	s_mov_b32 s2, -1
                                        ; implicit-def: $vgpr11
.LBB329_1606:
	s_delay_alu instid0(VALU_DEP_1)
	s_and_b32 vcc_lo, exec_lo, s0
	s_cbranch_vccnz .LBB329_1669
; %bb.1607:
	s_and_not1_b32 vcc_lo, exec_lo, s2
	s_cbranch_vccnz .LBB329_1609
.LBB329_1608:
	global_load_u8 v6, v[4:5], off
	s_mov_b32 s3, -1
	s_waitcnt vmcnt(0)
	v_cmp_ne_u16_e32 vcc_lo, 0, v6
	v_cndmask_b32_e64 v11, 0, 1.0, vcc_lo
.LBB329_1609:
	s_mov_b32 s0, 0
.LBB329_1610:
	s_delay_alu instid0(SALU_CYCLE_1)
	s_and_b32 vcc_lo, exec_lo, s0
	s_cbranch_vccz .LBB329_1659
; %bb.1611:
	v_cmp_gt_i16_e32 vcc_lo, 5, v9
	s_cbranch_vccnz .LBB329_1616
; %bb.1612:
	v_cmp_gt_i16_e32 vcc_lo, 8, v9
	s_cbranch_vccnz .LBB329_1617
	;; [unrolled: 3-line block ×3, first 2 shown]
; %bb.1614:
	v_cmp_lt_i16_e32 vcc_lo, 9, v9
	s_cbranch_vccz .LBB329_1619
; %bb.1615:
	global_load_b64 v[11:12], v[4:5], off
	s_mov_b32 s0, 0
	s_waitcnt vmcnt(0)
	v_cvt_f32_f64_e32 v11, v[11:12]
	s_branch .LBB329_1620
.LBB329_1616:
	s_mov_b32 s0, -1
                                        ; implicit-def: $vgpr11
	s_branch .LBB329_1638
.LBB329_1617:
	s_mov_b32 s0, -1
                                        ; implicit-def: $vgpr11
	s_branch .LBB329_1626
.LBB329_1618:
	s_mov_b32 s0, -1
                                        ; implicit-def: $vgpr11
	s_branch .LBB329_1623
.LBB329_1619:
	s_mov_b32 s0, -1
                                        ; implicit-def: $vgpr11
.LBB329_1620:
	s_delay_alu instid0(SALU_CYCLE_1)
	s_and_not1_b32 vcc_lo, exec_lo, s0
	s_cbranch_vccnz .LBB329_1622
; %bb.1621:
	global_load_b32 v11, v[4:5], off
.LBB329_1622:
	s_mov_b32 s0, 0
.LBB329_1623:
	s_delay_alu instid0(SALU_CYCLE_1)
	s_and_not1_b32 vcc_lo, exec_lo, s0
	s_cbranch_vccnz .LBB329_1625
; %bb.1624:
	global_load_b32 v6, v[4:5], off
	s_waitcnt vmcnt(0)
	v_cvt_f32_f16_e32 v11, v6
.LBB329_1625:
	s_mov_b32 s0, 0
.LBB329_1626:
	s_delay_alu instid0(SALU_CYCLE_1)
	s_and_not1_b32 vcc_lo, exec_lo, s0
	s_cbranch_vccnz .LBB329_1637
; %bb.1627:
	v_cmp_gt_i16_e32 vcc_lo, 6, v9
	s_cbranch_vccnz .LBB329_1630
; %bb.1628:
	v_cmp_lt_i16_e32 vcc_lo, 6, v9
	s_cbranch_vccz .LBB329_1631
; %bb.1629:
	global_load_b64 v[11:12], v[4:5], off
	s_mov_b32 s0, 0
	s_waitcnt vmcnt(0)
	v_cvt_f32_f64_e32 v11, v[11:12]
	s_branch .LBB329_1632
.LBB329_1630:
	s_mov_b32 s0, -1
                                        ; implicit-def: $vgpr11
	s_branch .LBB329_1635
.LBB329_1631:
	s_mov_b32 s0, -1
                                        ; implicit-def: $vgpr11
.LBB329_1632:
	s_delay_alu instid0(SALU_CYCLE_1)
	s_and_not1_b32 vcc_lo, exec_lo, s0
	s_cbranch_vccnz .LBB329_1634
; %bb.1633:
	global_load_b32 v11, v[4:5], off
.LBB329_1634:
	s_mov_b32 s0, 0
.LBB329_1635:
	s_delay_alu instid0(SALU_CYCLE_1)
	s_and_not1_b32 vcc_lo, exec_lo, s0
	s_cbranch_vccnz .LBB329_1637
; %bb.1636:
	global_load_u16 v6, v[4:5], off
	s_waitcnt vmcnt(0)
	v_cvt_f32_f16_e32 v11, v6
.LBB329_1637:
	s_mov_b32 s0, 0
.LBB329_1638:
	s_delay_alu instid0(SALU_CYCLE_1)
	s_and_not1_b32 vcc_lo, exec_lo, s0
	s_cbranch_vccnz .LBB329_1658
; %bb.1639:
	v_cmp_gt_i16_e32 vcc_lo, 2, v9
	s_cbranch_vccnz .LBB329_1643
; %bb.1640:
	v_cmp_gt_i16_e32 vcc_lo, 3, v9
	s_cbranch_vccnz .LBB329_1644
; %bb.1641:
	v_cmp_lt_i16_e32 vcc_lo, 3, v9
	s_cbranch_vccz .LBB329_1645
; %bb.1642:
	global_load_b64 v[11:12], v[4:5], off
	s_mov_b32 s0, 0
	s_waitcnt vmcnt(0)
	v_xor_b32_e32 v6, v11, v12
	v_cls_i32_e32 v13, v12
	s_delay_alu instid0(VALU_DEP_2) | instskip(NEXT) | instid1(VALU_DEP_2)
	v_ashrrev_i32_e32 v6, 31, v6
	v_add_nc_u32_e32 v13, -1, v13
	s_delay_alu instid0(VALU_DEP_2) | instskip(NEXT) | instid1(VALU_DEP_1)
	v_add_nc_u32_e32 v6, 32, v6
	v_min_u32_e32 v6, v13, v6
	s_delay_alu instid0(VALU_DEP_1) | instskip(SKIP_1) | instid1(VALU_DEP_2)
	v_lshlrev_b64 v[11:12], v6, v[11:12]
	v_sub_nc_u32_e32 v6, 32, v6
	v_min_u32_e32 v11, 1, v11
	s_delay_alu instid0(VALU_DEP_1) | instskip(NEXT) | instid1(VALU_DEP_1)
	v_or_b32_e32 v11, v12, v11
	v_cvt_f32_i32_e32 v11, v11
	s_delay_alu instid0(VALU_DEP_1)
	v_ldexp_f32 v11, v11, v6
	s_branch .LBB329_1646
.LBB329_1643:
	s_mov_b32 s0, -1
                                        ; implicit-def: $vgpr11
	s_branch .LBB329_1652
.LBB329_1644:
	s_mov_b32 s0, -1
                                        ; implicit-def: $vgpr11
	s_branch .LBB329_1649
.LBB329_1645:
	s_mov_b32 s0, -1
                                        ; implicit-def: $vgpr11
.LBB329_1646:
	s_delay_alu instid0(SALU_CYCLE_1)
	s_and_not1_b32 vcc_lo, exec_lo, s0
	s_cbranch_vccnz .LBB329_1648
; %bb.1647:
	global_load_b32 v6, v[4:5], off
	s_waitcnt vmcnt(0)
	v_cvt_f32_i32_e32 v11, v6
.LBB329_1648:
	s_mov_b32 s0, 0
.LBB329_1649:
	s_delay_alu instid0(SALU_CYCLE_1)
	s_and_not1_b32 vcc_lo, exec_lo, s0
	s_cbranch_vccnz .LBB329_1651
; %bb.1650:
	global_load_i16 v6, v[4:5], off
	s_waitcnt vmcnt(0)
	v_cvt_f32_i32_e32 v11, v6
.LBB329_1651:
	s_mov_b32 s0, 0
.LBB329_1652:
	s_delay_alu instid0(SALU_CYCLE_1)
	s_and_not1_b32 vcc_lo, exec_lo, s0
	s_cbranch_vccnz .LBB329_1658
; %bb.1653:
	v_cmp_lt_i16_e32 vcc_lo, 0, v9
	s_mov_b32 s0, 0
	s_cbranch_vccz .LBB329_1655
; %bb.1654:
	global_load_i8 v6, v[4:5], off
	s_waitcnt vmcnt(0)
	v_cvt_f32_i32_e32 v11, v6
	s_branch .LBB329_1656
.LBB329_1655:
	s_mov_b32 s0, -1
                                        ; implicit-def: $vgpr11
.LBB329_1656:
	s_delay_alu instid0(SALU_CYCLE_1)
	s_and_not1_b32 vcc_lo, exec_lo, s0
	s_cbranch_vccnz .LBB329_1658
; %bb.1657:
	global_load_u8 v4, v[4:5], off
	s_waitcnt vmcnt(0)
	v_cvt_f32_ubyte0_e32 v11, v4
.LBB329_1658:
	s_mov_b32 s3, -1
.LBB329_1659:
	s_delay_alu instid0(SALU_CYCLE_1)
	s_and_not1_b32 vcc_lo, exec_lo, s3
	s_cbranch_vccnz .LBB329_2049
; %bb.1660:
	s_clause 0x1
	s_load_b64 s[2:3], s[16:17], 0x158
	s_load_b32 s0, s[16:17], 0x160
	v_max_f32_e32 v4, v10, v10
	v_cmp_u_f32_e32 vcc_lo, v10, v10
	s_mov_b32 s6, 0
	s_waitcnt lgkmcnt(0)
	v_max_f32_e64 v9, s2, s2
	v_max_f32_e64 v12, s3, s3
	s_and_b32 s2, s0, 0xff
	v_add_co_u32 v3, s3, s4, v3
	v_cmp_lt_i16_e64 s0, s2, 11
	s_delay_alu instid0(VALU_DEP_3) | instskip(SKIP_1) | instid1(VALU_DEP_2)
	v_maxmin_f32 v5, v4, v9, v12
	v_add_co_ci_u32_e64 v4, null, s5, 0, s3
	v_cndmask_b32_e32 v5, v5, v10, vcc_lo
	s_delay_alu instid0(VALU_DEP_4)
	s_and_b32 vcc_lo, exec_lo, s0
	s_mov_b32 s0, -1
	s_cbranch_vccnz .LBB329_1743
; %bb.1661:
	v_cmp_gt_i16_e64 s0, s2, 25
	s_mov_b32 s7, -1
	s_mov_b32 s3, 0
	s_delay_alu instid0(VALU_DEP_1)
	s_and_b32 vcc_lo, exec_lo, s0
	s_mov_b32 s0, 0
	s_cbranch_vccz .LBB329_1699
; %bb.1662:
	v_cmp_gt_i16_e64 s0, s2, 28
	s_delay_alu instid0(VALU_DEP_1)
	s_and_b32 vcc_lo, exec_lo, s0
	s_cbranch_vccz .LBB329_1667
; %bb.1663:
	v_cmp_gt_i16_e64 s0, s2, 43
	s_delay_alu instid0(VALU_DEP_1)
	s_and_b32 vcc_lo, exec_lo, s0
	;; [unrolled: 5-line block ×3, first 2 shown]
	s_cbranch_vccz .LBB329_1671
; %bb.1665:
	v_cmp_eq_u16_e64 s6, s2, 46
	s_mov_b32 s0, -1
	s_mov_b32 s7, 0
	s_delay_alu instid0(VALU_DEP_1)
	s_and_b32 vcc_lo, exec_lo, s6
	s_mov_b32 s6, 0
	s_cbranch_vccz .LBB329_1672
; %bb.1666:
	v_bfe_u32 v6, v5, 16, 1
	v_cmp_o_f32_e32 vcc_lo, v5, v5
	s_mov_b32 s0, 0
	s_mov_b32 s6, -1
	s_delay_alu instid0(VALU_DEP_2) | instskip(NEXT) | instid1(VALU_DEP_1)
	v_add3_u32 v6, v5, v6, 0x7fff
	v_lshrrev_b32_e32 v6, 16, v6
	s_delay_alu instid0(VALU_DEP_1)
	v_cndmask_b32_e32 v6, 0x7fc0, v6, vcc_lo
	global_store_b32 v[3:4], v6, off
	s_branch .LBB329_1672
.LBB329_1667:
	s_mov_b32 s0, 0
	s_branch .LBB329_1682
.LBB329_1668:
	s_mov_b32 s0, 0
	s_branch .LBB329_1678
.LBB329_1669:
	s_cbranch_execnz .LBB329_1794
; %bb.1670:
	s_or_b32 s1, s1, exec_lo
                                        ; implicit-def: $vgpr11
	s_cbranch_execz .LBB329_1608
	s_branch .LBB329_1609
.LBB329_1671:
	s_mov_b32 s0, 0
.LBB329_1672:
	s_and_b32 vcc_lo, exec_lo, s7
	s_cbranch_vccz .LBB329_1677
; %bb.1673:
	v_cmp_eq_u16_e64 s0, s2, 44
	s_delay_alu instid0(VALU_DEP_1)
	s_and_b32 vcc_lo, exec_lo, s0
	s_mov_b32 s0, -1
	s_cbranch_vccz .LBB329_1677
; %bb.1674:
	v_bfe_u32 v10, v5, 23, 8
	v_mov_b32_e32 v6, 0xff
	s_mov_b32 s6, exec_lo
	s_delay_alu instid0(VALU_DEP_2)
	v_cmpx_ne_u32_e32 0xff, v10
; %bb.1675:
	v_and_b32_e32 v6, 0x400000, v5
	v_and_or_b32 v10, 0x3fffff, v5, v10
	s_delay_alu instid0(VALU_DEP_2) | instskip(NEXT) | instid1(VALU_DEP_2)
	v_cmp_ne_u32_e32 vcc_lo, 0, v6
	v_cmp_ne_u32_e64 s0, 0, v10
	v_lshrrev_b32_e32 v6, 23, v5
	s_delay_alu instid0(VALU_DEP_2) | instskip(NEXT) | instid1(SALU_CYCLE_1)
	s_and_b32 s0, vcc_lo, s0
	v_cndmask_b32_e64 v10, 0, 1, s0
	s_delay_alu instid0(VALU_DEP_1)
	v_add_nc_u32_e32 v6, v6, v10
; %bb.1676:
	s_or_b32 exec_lo, exec_lo, s6
	s_mov_b32 s0, 0
	s_mov_b32 s6, -1
	global_store_b8 v[3:4], v6, off
.LBB329_1677:
	s_mov_b32 s7, 0
.LBB329_1678:
	s_delay_alu instid0(SALU_CYCLE_1)
	s_and_b32 vcc_lo, exec_lo, s7
	s_cbranch_vccz .LBB329_1681
; %bb.1679:
	v_cmp_eq_u16_e64 s0, s2, 29
	s_delay_alu instid0(VALU_DEP_1)
	s_and_b32 vcc_lo, exec_lo, s0
	s_mov_b32 s0, -1
	s_cbranch_vccz .LBB329_1681
; %bb.1680:
	v_trunc_f32_e32 v6, v5
	s_mov_b32 s0, 0
	s_mov_b32 s6, -1
	s_mov_b32 s7, 0
	s_delay_alu instid0(VALU_DEP_1) | instskip(NEXT) | instid1(VALU_DEP_1)
	v_mul_f32_e32 v10, 0x2f800000, v6
	v_floor_f32_e32 v10, v10
	s_delay_alu instid0(VALU_DEP_1) | instskip(SKIP_1) | instid1(VALU_DEP_2)
	v_fmamk_f32 v6, v10, 0xcf800000, v6
	v_cvt_u32_f32_e32 v14, v10
	v_cvt_u32_f32_e32 v13, v6
	global_store_b64 v[3:4], v[13:14], off
	s_branch .LBB329_1682
.LBB329_1681:
	s_mov_b32 s7, 0
.LBB329_1682:
	s_delay_alu instid0(SALU_CYCLE_1)
	s_and_b32 vcc_lo, exec_lo, s7
	s_cbranch_vccz .LBB329_1698
; %bb.1683:
	v_cmp_lt_i16_e64 s6, s2, 27
	s_delay_alu instid0(VALU_DEP_1)
	s_and_b32 vcc_lo, exec_lo, s6
	s_mov_b32 s6, -1
	s_cbranch_vccnz .LBB329_1689
; %bb.1684:
	v_cmp_gt_i16_e64 s6, s2, 27
	v_cvt_u32_f32_e32 v6, v5
	s_delay_alu instid0(VALU_DEP_2)
	s_and_b32 vcc_lo, exec_lo, s6
	s_mov_b32 s6, -1
	s_cbranch_vccz .LBB329_1686
; %bb.1685:
	s_mov_b32 s6, 0
	global_store_b32 v[3:4], v6, off
.LBB329_1686:
	s_and_not1_b32 vcc_lo, exec_lo, s6
	s_cbranch_vccnz .LBB329_1688
; %bb.1687:
	global_store_b16 v[3:4], v6, off
.LBB329_1688:
	s_mov_b32 s6, 0
.LBB329_1689:
	s_delay_alu instid0(SALU_CYCLE_1)
	s_and_not1_b32 vcc_lo, exec_lo, s6
	s_cbranch_vccnz .LBB329_1697
; %bb.1690:
	v_and_b32_e32 v6, 0x7fffffff, v5
	v_mov_b32_e32 v10, 0x80
	s_mov_b32 s6, exec_lo
	s_delay_alu instid0(VALU_DEP_2)
	v_cmpx_gt_u32_e32 0x43800000, v6
	s_cbranch_execz .LBB329_1696
; %bb.1691:
	v_cmp_lt_u32_e32 vcc_lo, 0x3bffffff, v6
	s_mov_b32 s7, 0
                                        ; implicit-def: $vgpr6
	s_and_saveexec_b32 s10, vcc_lo
	s_delay_alu instid0(SALU_CYCLE_1)
	s_xor_b32 s10, exec_lo, s10
	s_cbranch_execz .LBB329_1791
; %bb.1692:
	v_bfe_u32 v6, v5, 20, 1
	s_mov_b32 s7, exec_lo
	s_delay_alu instid0(VALU_DEP_1) | instskip(NEXT) | instid1(VALU_DEP_1)
	v_add3_u32 v6, v5, v6, 0x487ffff
	v_lshrrev_b32_e32 v6, 20, v6
	s_or_saveexec_b32 s10, s10
                                        ; implicit-def: $sgpr11
	s_delay_alu instid0(SALU_CYCLE_1)
	s_xor_b32 exec_lo, exec_lo, s10
	s_cbranch_execnz .LBB329_1792
.LBB329_1693:
	s_or_b32 exec_lo, exec_lo, s10
	v_mov_b32_e32 v10, s11
	s_and_saveexec_b32 s10, s7
.LBB329_1694:
	v_lshrrev_b32_e32 v10, 24, v5
	s_delay_alu instid0(VALU_DEP_1)
	v_and_or_b32 v10, 0x80, v10, v6
.LBB329_1695:
	s_or_b32 exec_lo, exec_lo, s10
.LBB329_1696:
	s_delay_alu instid0(SALU_CYCLE_1)
	s_or_b32 exec_lo, exec_lo, s6
	global_store_b8 v[3:4], v10, off
.LBB329_1697:
	s_mov_b32 s6, -1
.LBB329_1698:
	s_mov_b32 s7, 0
.LBB329_1699:
	s_delay_alu instid0(SALU_CYCLE_1)
	s_and_b32 vcc_lo, exec_lo, s7
	s_cbranch_vccz .LBB329_1739
; %bb.1700:
	v_cmp_gt_i16_e64 s3, s2, 22
	s_delay_alu instid0(VALU_DEP_1)
	s_and_b32 vcc_lo, exec_lo, s3
	s_mov_b32 s3, -1
	s_cbranch_vccz .LBB329_1732
; %bb.1701:
	v_cmp_lt_i16_e64 s3, s2, 24
	s_delay_alu instid0(VALU_DEP_1)
	s_and_b32 vcc_lo, exec_lo, s3
	s_mov_b32 s3, -1
	s_cbranch_vccnz .LBB329_1721
; %bb.1702:
	v_cmp_gt_i16_e64 s3, s2, 24
	s_delay_alu instid0(VALU_DEP_1)
	s_and_b32 vcc_lo, exec_lo, s3
	s_mov_b32 s3, -1
	s_cbranch_vccz .LBB329_1710
; %bb.1703:
	v_and_b32_e32 v6, 0x7fffffff, v5
	v_mov_b32_e32 v10, 0x80
	s_mov_b32 s3, exec_lo
	s_delay_alu instid0(VALU_DEP_2)
	v_cmpx_gt_u32_e32 0x47800000, v6
	s_cbranch_execz .LBB329_1709
; %bb.1704:
	v_cmp_lt_u32_e32 vcc_lo, 0x37ffffff, v6
	s_mov_b32 s6, 0
                                        ; implicit-def: $vgpr6
	s_and_saveexec_b32 s7, vcc_lo
	s_delay_alu instid0(SALU_CYCLE_1)
	s_xor_b32 s7, exec_lo, s7
	s_cbranch_execz .LBB329_1798
; %bb.1705:
	v_bfe_u32 v6, v5, 21, 1
	s_mov_b32 s6, exec_lo
	s_delay_alu instid0(VALU_DEP_1) | instskip(NEXT) | instid1(VALU_DEP_1)
	v_add3_u32 v6, v5, v6, 0x88fffff
	v_lshrrev_b32_e32 v6, 21, v6
	s_or_saveexec_b32 s7, s7
                                        ; implicit-def: $sgpr10
	s_delay_alu instid0(SALU_CYCLE_1)
	s_xor_b32 exec_lo, exec_lo, s7
	s_cbranch_execnz .LBB329_1799
.LBB329_1706:
	s_or_b32 exec_lo, exec_lo, s7
	v_mov_b32_e32 v10, s10
	s_and_saveexec_b32 s7, s6
.LBB329_1707:
	v_lshrrev_b32_e32 v10, 24, v5
	s_delay_alu instid0(VALU_DEP_1)
	v_and_or_b32 v10, 0x80, v10, v6
.LBB329_1708:
	s_or_b32 exec_lo, exec_lo, s7
.LBB329_1709:
	s_delay_alu instid0(SALU_CYCLE_1)
	s_or_b32 exec_lo, exec_lo, s3
	s_mov_b32 s3, 0
	global_store_b8 v[3:4], v10, off
.LBB329_1710:
	s_and_b32 vcc_lo, exec_lo, s3
	s_cbranch_vccz .LBB329_1720
; %bb.1711:
	v_and_b32_e32 v10, 0x7fffffff, v5
	s_mov_b32 s3, exec_lo
                                        ; implicit-def: $vgpr6
	s_delay_alu instid0(VALU_DEP_1)
	v_cmpx_gt_u32_e32 0x43f00000, v10
	s_xor_b32 s3, exec_lo, s3
	s_cbranch_execz .LBB329_1717
; %bb.1712:
	s_mov_b32 s6, exec_lo
                                        ; implicit-def: $vgpr6
	v_cmpx_lt_u32_e32 0x3c7fffff, v10
	s_xor_b32 s6, exec_lo, s6
; %bb.1713:
	v_bfe_u32 v6, v5, 20, 1
	s_delay_alu instid0(VALU_DEP_1) | instskip(NEXT) | instid1(VALU_DEP_1)
	v_add3_u32 v6, v5, v6, 0x407ffff
	v_and_b32_e32 v10, 0xff00000, v6
	v_lshrrev_b32_e32 v6, 20, v6
	s_delay_alu instid0(VALU_DEP_2) | instskip(NEXT) | instid1(VALU_DEP_2)
	v_cmp_ne_u32_e32 vcc_lo, 0x7f00000, v10
	v_cndmask_b32_e32 v6, 0x7e, v6, vcc_lo
; %bb.1714:
	s_and_not1_saveexec_b32 s6, s6
; %bb.1715:
	v_add_f32_e64 v6, 0x46800000, |v5|
; %bb.1716:
	s_or_b32 exec_lo, exec_lo, s6
                                        ; implicit-def: $vgpr10
.LBB329_1717:
	s_and_not1_saveexec_b32 s3, s3
; %bb.1718:
	v_mov_b32_e32 v6, 0x7f
	v_cmp_lt_u32_e32 vcc_lo, 0x7f800000, v10
	s_delay_alu instid0(VALU_DEP_2)
	v_cndmask_b32_e32 v6, 0x7e, v6, vcc_lo
; %bb.1719:
	s_or_b32 exec_lo, exec_lo, s3
	v_lshrrev_b32_e32 v10, 24, v5
	s_delay_alu instid0(VALU_DEP_1)
	v_and_or_b32 v6, 0x80, v10, v6
	global_store_b8 v[3:4], v6, off
.LBB329_1720:
	s_mov_b32 s3, 0
.LBB329_1721:
	s_delay_alu instid0(SALU_CYCLE_1)
	s_and_not1_b32 vcc_lo, exec_lo, s3
	s_cbranch_vccnz .LBB329_1731
; %bb.1722:
	v_and_b32_e32 v10, 0x7fffffff, v5
	s_mov_b32 s3, exec_lo
                                        ; implicit-def: $vgpr6
	s_delay_alu instid0(VALU_DEP_1)
	v_cmpx_gt_u32_e32 0x47800000, v10
	s_xor_b32 s3, exec_lo, s3
	s_cbranch_execz .LBB329_1728
; %bb.1723:
	s_mov_b32 s6, exec_lo
                                        ; implicit-def: $vgpr6
	v_cmpx_lt_u32_e32 0x387fffff, v10
	s_xor_b32 s6, exec_lo, s6
; %bb.1724:
	v_bfe_u32 v6, v5, 21, 1
	s_delay_alu instid0(VALU_DEP_1) | instskip(NEXT) | instid1(VALU_DEP_1)
	v_add3_u32 v6, v5, v6, 0x80fffff
	v_lshrrev_b32_e32 v6, 21, v6
; %bb.1725:
	s_and_not1_saveexec_b32 s6, s6
; %bb.1726:
	v_add_f32_e64 v6, 0x43000000, |v5|
; %bb.1727:
	s_or_b32 exec_lo, exec_lo, s6
                                        ; implicit-def: $vgpr10
.LBB329_1728:
	s_and_not1_saveexec_b32 s3, s3
; %bb.1729:
	v_mov_b32_e32 v6, 0x7f
	v_cmp_lt_u32_e32 vcc_lo, 0x7f800000, v10
	s_delay_alu instid0(VALU_DEP_2)
	v_cndmask_b32_e32 v6, 0x7c, v6, vcc_lo
; %bb.1730:
	s_or_b32 exec_lo, exec_lo, s3
	v_lshrrev_b32_e32 v10, 24, v5
	s_delay_alu instid0(VALU_DEP_1)
	v_and_or_b32 v6, 0x80, v10, v6
	global_store_b8 v[3:4], v6, off
.LBB329_1731:
	s_mov_b32 s3, 0
	s_mov_b32 s6, -1
.LBB329_1732:
	s_and_not1_b32 vcc_lo, exec_lo, s3
	s_mov_b32 s3, 0
	s_cbranch_vccnz .LBB329_1739
; %bb.1733:
	v_cmp_gt_i16_e64 s3, s2, 14
	s_delay_alu instid0(VALU_DEP_1)
	s_and_b32 vcc_lo, exec_lo, s3
	s_mov_b32 s3, -1
	s_cbranch_vccz .LBB329_1737
; %bb.1734:
	v_cmp_eq_u16_e64 s0, s2, 15
	s_delay_alu instid0(VALU_DEP_1)
	s_and_b32 vcc_lo, exec_lo, s0
	s_mov_b32 s0, -1
	s_cbranch_vccz .LBB329_1736
; %bb.1735:
	v_bfe_u32 v6, v5, 16, 1
	v_cmp_o_f32_e32 vcc_lo, v5, v5
	s_mov_b32 s0, 0
	s_mov_b32 s6, -1
	s_delay_alu instid0(VALU_DEP_2) | instskip(NEXT) | instid1(VALU_DEP_1)
	v_add3_u32 v6, v5, v6, 0x7fff
	v_lshrrev_b32_e32 v6, 16, v6
	s_delay_alu instid0(VALU_DEP_1)
	v_cndmask_b32_e32 v6, 0x7fc0, v6, vcc_lo
	global_store_b16 v[3:4], v6, off
.LBB329_1736:
	s_mov_b32 s3, 0
.LBB329_1737:
	s_delay_alu instid0(SALU_CYCLE_1)
	s_and_b32 vcc_lo, exec_lo, s3
	s_mov_b32 s3, 0
	s_cbranch_vccz .LBB329_1739
; %bb.1738:
	v_cmp_ne_u16_e64 s0, s2, 11
	s_mov_b32 s3, -1
.LBB329_1739:
	s_delay_alu instid0(VALU_DEP_1)
	s_and_b32 vcc_lo, exec_lo, s0
	s_cbranch_vccnz .LBB329_1796
; %bb.1740:
	s_and_not1_b32 vcc_lo, exec_lo, s3
	s_cbranch_vccnz .LBB329_1742
.LBB329_1741:
	v_cmp_neq_f32_e32 vcc_lo, 0, v5
	s_mov_b32 s6, -1
	v_cndmask_b32_e64 v6, 0, 1, vcc_lo
	global_store_b8 v[3:4], v6, off
.LBB329_1742:
	s_mov_b32 s0, 0
.LBB329_1743:
	s_delay_alu instid0(SALU_CYCLE_1)
	s_and_b32 vcc_lo, exec_lo, s0
	s_cbranch_vccz .LBB329_1782
; %bb.1744:
	v_cmp_lt_i16_e64 s0, s2, 5
	s_delay_alu instid0(VALU_DEP_1)
	s_and_b32 vcc_lo, exec_lo, s0
	s_mov_b32 s0, -1
	s_cbranch_vccnz .LBB329_1765
; %bb.1745:
	v_cmp_lt_i16_e64 s0, s2, 8
	s_delay_alu instid0(VALU_DEP_1)
	s_and_b32 vcc_lo, exec_lo, s0
	s_mov_b32 s0, -1
	s_cbranch_vccnz .LBB329_1755
	;; [unrolled: 6-line block ×3, first 2 shown]
; %bb.1747:
	v_cmp_gt_i16_e64 s0, s2, 9
	s_delay_alu instid0(VALU_DEP_1)
	s_and_b32 vcc_lo, exec_lo, s0
	s_mov_b32 s0, -1
	s_cbranch_vccz .LBB329_1749
; %bb.1748:
	v_cvt_f64_f32_e32 v[13:14], v5
	v_mov_b32_e32 v15, 0
	s_mov_b32 s0, 0
	s_delay_alu instid0(VALU_DEP_1)
	v_mov_b32_e32 v16, v15
	global_store_b128 v[3:4], v[13:16], off
.LBB329_1749:
	s_and_not1_b32 vcc_lo, exec_lo, s0
	s_cbranch_vccnz .LBB329_1751
; %bb.1750:
	v_mov_b32_e32 v6, 0
	global_store_b64 v[3:4], v[5:6], off
.LBB329_1751:
	s_mov_b32 s0, 0
.LBB329_1752:
	s_delay_alu instid0(SALU_CYCLE_1)
	s_and_not1_b32 vcc_lo, exec_lo, s0
	s_cbranch_vccnz .LBB329_1754
; %bb.1753:
	v_cvt_f16_f32_e32 v6, v5
	s_delay_alu instid0(VALU_DEP_1)
	v_and_b32_e32 v6, 0xffff, v6
	global_store_b32 v[3:4], v6, off
.LBB329_1754:
	s_mov_b32 s0, 0
.LBB329_1755:
	s_delay_alu instid0(SALU_CYCLE_1)
	s_and_not1_b32 vcc_lo, exec_lo, s0
	s_cbranch_vccnz .LBB329_1764
; %bb.1756:
	v_cmp_lt_i16_e64 s0, s2, 6
	s_delay_alu instid0(VALU_DEP_1)
	s_and_b32 vcc_lo, exec_lo, s0
	s_mov_b32 s0, -1
	s_cbranch_vccnz .LBB329_1762
; %bb.1757:
	v_cmp_gt_i16_e64 s0, s2, 6
	s_delay_alu instid0(VALU_DEP_1)
	s_and_b32 vcc_lo, exec_lo, s0
	s_mov_b32 s0, -1
	s_cbranch_vccz .LBB329_1759
; %bb.1758:
	v_cvt_f64_f32_e32 v[13:14], v5
	s_mov_b32 s0, 0
	global_store_b64 v[3:4], v[13:14], off
.LBB329_1759:
	s_and_not1_b32 vcc_lo, exec_lo, s0
	s_cbranch_vccnz .LBB329_1761
; %bb.1760:
	global_store_b32 v[3:4], v5, off
.LBB329_1761:
	s_mov_b32 s0, 0
.LBB329_1762:
	s_delay_alu instid0(SALU_CYCLE_1)
	s_and_not1_b32 vcc_lo, exec_lo, s0
	s_cbranch_vccnz .LBB329_1764
; %bb.1763:
	v_cvt_f16_f32_e32 v6, v5
	global_store_b16 v[3:4], v6, off
.LBB329_1764:
	s_mov_b32 s0, 0
.LBB329_1765:
	s_delay_alu instid0(SALU_CYCLE_1)
	s_and_not1_b32 vcc_lo, exec_lo, s0
	s_cbranch_vccnz .LBB329_1781
; %bb.1766:
	v_cmp_lt_i16_e64 s0, s2, 2
	s_delay_alu instid0(VALU_DEP_1)
	s_and_b32 vcc_lo, exec_lo, s0
	s_mov_b32 s0, -1
	s_cbranch_vccnz .LBB329_1776
; %bb.1767:
	v_cmp_lt_i16_e64 s0, s2, 3
	s_delay_alu instid0(VALU_DEP_1)
	s_and_b32 vcc_lo, exec_lo, s0
	s_mov_b32 s0, -1
	s_cbranch_vccnz .LBB329_1773
; %bb.1768:
	v_cmp_gt_i16_e64 s0, s2, 3
	s_delay_alu instid0(VALU_DEP_1)
	s_and_b32 vcc_lo, exec_lo, s0
	s_mov_b32 s0, -1
	s_cbranch_vccz .LBB329_1770
; %bb.1769:
	v_trunc_f32_e32 v6, v5
	s_mov_b32 s0, 0
	s_delay_alu instid0(VALU_DEP_1) | instskip(NEXT) | instid1(VALU_DEP_1)
	v_mul_f32_e64 v10, 0x2f800000, |v6|
	v_floor_f32_e32 v10, v10
	s_delay_alu instid0(VALU_DEP_1) | instskip(SKIP_2) | instid1(VALU_DEP_3)
	v_fma_f32 v13, 0xcf800000, v10, |v6|
	v_ashrrev_i32_e32 v6, 31, v6
	v_cvt_u32_f32_e32 v10, v10
	v_cvt_u32_f32_e32 v13, v13
	s_delay_alu instid0(VALU_DEP_2) | instskip(NEXT) | instid1(VALU_DEP_2)
	v_xor_b32_e32 v10, v10, v6
	v_xor_b32_e32 v13, v13, v6
	s_delay_alu instid0(VALU_DEP_1) | instskip(NEXT) | instid1(VALU_DEP_3)
	v_sub_co_u32 v13, vcc_lo, v13, v6
	v_sub_co_ci_u32_e32 v14, vcc_lo, v10, v6, vcc_lo
	global_store_b64 v[3:4], v[13:14], off
.LBB329_1770:
	s_and_not1_b32 vcc_lo, exec_lo, s0
	s_cbranch_vccnz .LBB329_1772
; %bb.1771:
	v_cvt_i32_f32_e32 v6, v5
	global_store_b32 v[3:4], v6, off
.LBB329_1772:
	s_mov_b32 s0, 0
.LBB329_1773:
	s_delay_alu instid0(SALU_CYCLE_1)
	s_and_not1_b32 vcc_lo, exec_lo, s0
	s_cbranch_vccnz .LBB329_1775
; %bb.1774:
	v_cvt_i32_f32_e32 v6, v5
	global_store_b16 v[3:4], v6, off
.LBB329_1775:
	s_mov_b32 s0, 0
.LBB329_1776:
	s_delay_alu instid0(SALU_CYCLE_1)
	s_and_not1_b32 vcc_lo, exec_lo, s0
	s_cbranch_vccnz .LBB329_1781
; %bb.1777:
	v_cmp_gt_i16_e64 s0, s2, 0
	s_delay_alu instid0(VALU_DEP_1)
	s_and_b32 vcc_lo, exec_lo, s0
	s_mov_b32 s0, -1
	s_cbranch_vccz .LBB329_1779
; %bb.1778:
	v_cvt_i32_f32_e32 v6, v5
	s_mov_b32 s0, 0
	global_store_b8 v[3:4], v6, off
.LBB329_1779:
	s_and_not1_b32 vcc_lo, exec_lo, s0
	s_cbranch_vccnz .LBB329_1781
; %bb.1780:
	v_trunc_f32_e32 v5, v5
	s_delay_alu instid0(VALU_DEP_1) | instskip(NEXT) | instid1(VALU_DEP_1)
	v_mul_f32_e64 v6, 0x2f800000, |v5|
	v_floor_f32_e32 v6, v6
	s_delay_alu instid0(VALU_DEP_1) | instskip(SKIP_1) | instid1(VALU_DEP_2)
	v_fma_f32 v6, 0xcf800000, v6, |v5|
	v_ashrrev_i32_e32 v5, 31, v5
	v_cvt_u32_f32_e32 v6, v6
	s_delay_alu instid0(VALU_DEP_1) | instskip(NEXT) | instid1(VALU_DEP_1)
	v_xor_b32_e32 v6, v6, v5
	v_sub_nc_u32_e32 v5, v6, v5
	global_store_b8 v[3:4], v5, off
.LBB329_1781:
	s_mov_b32 s6, -1
.LBB329_1782:
	s_delay_alu instid0(SALU_CYCLE_1)
	s_and_not1_b32 vcc_lo, exec_lo, s6
	s_cbranch_vccnz .LBB329_2049
; %bb.1783:
	s_waitcnt vmcnt(0)
	v_max_f32_e32 v3, v8, v8
	v_cmp_u_f32_e32 vcc_lo, v8, v8
	v_cmp_lt_i16_e64 s0, s2, 11
	v_add_co_u32 v2, s3, s4, v2
	s_delay_alu instid0(VALU_DEP_4) | instskip(SKIP_2) | instid1(VALU_DEP_2)
	v_maxmin_f32 v4, v3, v9, v12
	v_add_co_ci_u32_e64 v3, null, s5, 0, s3
	s_mov_b32 s6, 0
	v_cndmask_b32_e32 v4, v4, v8, vcc_lo
	s_and_b32 vcc_lo, exec_lo, s0
	s_mov_b32 s0, -1
	s_cbranch_vccnz .LBB329_1872
; %bb.1784:
	v_cmp_gt_i16_e64 s0, s2, 25
	s_mov_b32 s7, -1
	s_mov_b32 s3, 0
	s_delay_alu instid0(VALU_DEP_1)
	s_and_b32 vcc_lo, exec_lo, s0
	s_mov_b32 s0, 0
	s_cbranch_vccz .LBB329_1828
; %bb.1785:
	v_cmp_gt_i16_e64 s0, s2, 28
	s_delay_alu instid0(VALU_DEP_1)
	s_and_b32 vcc_lo, exec_lo, s0
	s_cbranch_vccz .LBB329_1790
; %bb.1786:
	v_cmp_gt_i16_e64 s0, s2, 43
	s_delay_alu instid0(VALU_DEP_1)
	s_and_b32 vcc_lo, exec_lo, s0
	s_cbranch_vccz .LBB329_1793
; %bb.1787:
	v_cmp_gt_i16_e64 s0, s2, 45
	s_delay_alu instid0(VALU_DEP_1)
	s_and_b32 vcc_lo, exec_lo, s0
	s_cbranch_vccz .LBB329_1800
; %bb.1788:
	v_cmp_eq_u16_e64 s6, s2, 46
	s_mov_b32 s0, -1
	s_mov_b32 s7, 0
	s_delay_alu instid0(VALU_DEP_1)
	s_and_b32 vcc_lo, exec_lo, s6
	s_mov_b32 s6, 0
	s_cbranch_vccz .LBB329_1801
; %bb.1789:
	v_bfe_u32 v5, v4, 16, 1
	v_cmp_o_f32_e32 vcc_lo, v4, v4
	s_mov_b32 s0, 0
	s_mov_b32 s6, -1
	s_delay_alu instid0(VALU_DEP_2) | instskip(NEXT) | instid1(VALU_DEP_1)
	v_add3_u32 v5, v4, v5, 0x7fff
	v_lshrrev_b32_e32 v5, 16, v5
	s_delay_alu instid0(VALU_DEP_1)
	v_cndmask_b32_e32 v5, 0x7fc0, v5, vcc_lo
	global_store_b32 v[2:3], v5, off
	s_branch .LBB329_1801
.LBB329_1790:
	s_mov_b32 s0, 0
	s_branch .LBB329_1811
.LBB329_1791:
	s_or_saveexec_b32 s10, s10
                                        ; implicit-def: $sgpr11
	s_delay_alu instid0(SALU_CYCLE_1)
	s_xor_b32 exec_lo, exec_lo, s10
	s_cbranch_execz .LBB329_1693
.LBB329_1792:
	v_add_f32_e64 v6, 0x46000000, |v5|
	s_and_not1_b32 s7, s7, exec_lo
	s_mov_b32 s11, 0
	s_delay_alu instid0(VALU_DEP_1) | instskip(NEXT) | instid1(VALU_DEP_1)
	v_and_b32_e32 v6, 0xff, v6
	v_cmp_ne_u32_e32 vcc_lo, 0, v6
	s_and_b32 s12, vcc_lo, exec_lo
	s_delay_alu instid0(SALU_CYCLE_1)
	s_or_b32 s7, s7, s12
	s_or_b32 exec_lo, exec_lo, s10
	v_mov_b32_e32 v10, s11
	s_and_saveexec_b32 s10, s7
	s_cbranch_execnz .LBB329_1694
	s_branch .LBB329_1695
.LBB329_1793:
	s_mov_b32 s0, 0
	s_branch .LBB329_1807
.LBB329_1794:
	s_trap 2
	s_sendmsg_rtn_b32 s0, sendmsg(MSG_RTN_GET_DOORBELL)
	s_mov_b32 ttmp2, m0
	s_waitcnt lgkmcnt(0)
	s_and_b32 s0, s0, 0x3ff
	s_delay_alu instid0(SALU_CYCLE_1) | instskip(NEXT) | instid1(SALU_CYCLE_1)
	s_bitset1_b32 s0, 10
	s_mov_b32 m0, s0
	s_sendmsg sendmsg(MSG_INTERRUPT)
	s_mov_b32 m0, ttmp2
.LBB329_1795:                           ; =>This Inner Loop Header: Depth=1
	s_sethalt 5
	s_branch .LBB329_1795
.LBB329_1796:
	s_cbranch_execnz .LBB329_1923
; %bb.1797:
	s_or_b32 s1, s1, exec_lo
	s_cbranch_execz .LBB329_1741
	s_branch .LBB329_1742
.LBB329_1798:
	s_or_saveexec_b32 s7, s7
                                        ; implicit-def: $sgpr10
	s_delay_alu instid0(SALU_CYCLE_1)
	s_xor_b32 exec_lo, exec_lo, s7
	s_cbranch_execz .LBB329_1706
.LBB329_1799:
	v_add_f32_e64 v6, 0x42800000, |v5|
	s_and_not1_b32 s6, s6, exec_lo
	s_mov_b32 s10, 0
	s_delay_alu instid0(VALU_DEP_1) | instskip(NEXT) | instid1(VALU_DEP_1)
	v_and_b32_e32 v6, 0xff, v6
	v_cmp_ne_u32_e32 vcc_lo, 0, v6
	s_and_b32 s11, vcc_lo, exec_lo
	s_delay_alu instid0(SALU_CYCLE_1)
	s_or_b32 s6, s6, s11
	s_or_b32 exec_lo, exec_lo, s7
	v_mov_b32_e32 v10, s10
	s_and_saveexec_b32 s7, s6
	s_cbranch_execnz .LBB329_1707
	s_branch .LBB329_1708
.LBB329_1800:
	s_mov_b32 s0, 0
.LBB329_1801:
	s_and_b32 vcc_lo, exec_lo, s7
	s_cbranch_vccz .LBB329_1806
; %bb.1802:
	v_cmp_eq_u16_e64 s0, s2, 44
	s_delay_alu instid0(VALU_DEP_1)
	s_and_b32 vcc_lo, exec_lo, s0
	s_mov_b32 s0, -1
	s_cbranch_vccz .LBB329_1806
; %bb.1803:
	v_bfe_u32 v6, v4, 23, 8
	v_mov_b32_e32 v5, 0xff
	s_mov_b32 s6, exec_lo
	s_delay_alu instid0(VALU_DEP_2)
	v_cmpx_ne_u32_e32 0xff, v6
; %bb.1804:
	v_and_b32_e32 v5, 0x400000, v4
	v_and_or_b32 v6, 0x3fffff, v4, v6
	s_delay_alu instid0(VALU_DEP_2) | instskip(NEXT) | instid1(VALU_DEP_2)
	v_cmp_ne_u32_e32 vcc_lo, 0, v5
	v_cmp_ne_u32_e64 s0, 0, v6
	v_lshrrev_b32_e32 v5, 23, v4
	s_delay_alu instid0(VALU_DEP_2) | instskip(NEXT) | instid1(SALU_CYCLE_1)
	s_and_b32 s0, vcc_lo, s0
	v_cndmask_b32_e64 v6, 0, 1, s0
	s_delay_alu instid0(VALU_DEP_1)
	v_add_nc_u32_e32 v5, v5, v6
; %bb.1805:
	s_or_b32 exec_lo, exec_lo, s6
	s_mov_b32 s0, 0
	s_mov_b32 s6, -1
	global_store_b8 v[2:3], v5, off
.LBB329_1806:
	s_mov_b32 s7, 0
.LBB329_1807:
	s_delay_alu instid0(SALU_CYCLE_1)
	s_and_b32 vcc_lo, exec_lo, s7
	s_cbranch_vccz .LBB329_1810
; %bb.1808:
	v_cmp_eq_u16_e64 s0, s2, 29
	s_delay_alu instid0(VALU_DEP_1)
	s_and_b32 vcc_lo, exec_lo, s0
	s_mov_b32 s0, -1
	s_cbranch_vccz .LBB329_1810
; %bb.1809:
	v_trunc_f32_e32 v5, v4
	s_mov_b32 s0, 0
	s_mov_b32 s6, -1
	s_mov_b32 s7, 0
	s_delay_alu instid0(VALU_DEP_1) | instskip(NEXT) | instid1(VALU_DEP_1)
	v_mul_f32_e32 v6, 0x2f800000, v5
	v_floor_f32_e32 v6, v6
	s_delay_alu instid0(VALU_DEP_1) | instskip(SKIP_1) | instid1(VALU_DEP_2)
	v_fmamk_f32 v5, v6, 0xcf800000, v5
	v_cvt_u32_f32_e32 v6, v6
	v_cvt_u32_f32_e32 v5, v5
	global_store_b64 v[2:3], v[5:6], off
	s_branch .LBB329_1811
.LBB329_1810:
	s_mov_b32 s7, 0
.LBB329_1811:
	s_delay_alu instid0(SALU_CYCLE_1)
	s_and_b32 vcc_lo, exec_lo, s7
	s_cbranch_vccz .LBB329_1827
; %bb.1812:
	v_cmp_lt_i16_e64 s6, s2, 27
	s_delay_alu instid0(VALU_DEP_1)
	s_and_b32 vcc_lo, exec_lo, s6
	s_mov_b32 s6, -1
	s_cbranch_vccnz .LBB329_1818
; %bb.1813:
	v_cmp_gt_i16_e64 s6, s2, 27
	v_cvt_u32_f32_e32 v5, v4
	s_delay_alu instid0(VALU_DEP_2)
	s_and_b32 vcc_lo, exec_lo, s6
	s_mov_b32 s6, -1
	s_cbranch_vccz .LBB329_1815
; %bb.1814:
	s_mov_b32 s6, 0
	global_store_b32 v[2:3], v5, off
.LBB329_1815:
	s_and_not1_b32 vcc_lo, exec_lo, s6
	s_cbranch_vccnz .LBB329_1817
; %bb.1816:
	global_store_b16 v[2:3], v5, off
.LBB329_1817:
	s_mov_b32 s6, 0
.LBB329_1818:
	s_delay_alu instid0(SALU_CYCLE_1)
	s_and_not1_b32 vcc_lo, exec_lo, s6
	s_cbranch_vccnz .LBB329_1826
; %bb.1819:
	v_and_b32_e32 v5, 0x7fffffff, v4
	v_mov_b32_e32 v6, 0x80
	s_mov_b32 s6, exec_lo
	s_delay_alu instid0(VALU_DEP_2)
	v_cmpx_gt_u32_e32 0x43800000, v5
	s_cbranch_execz .LBB329_1825
; %bb.1820:
	v_cmp_lt_u32_e32 vcc_lo, 0x3bffffff, v5
	s_mov_b32 s7, 0
                                        ; implicit-def: $vgpr5
	s_and_saveexec_b32 s10, vcc_lo
	s_delay_alu instid0(SALU_CYCLE_1)
	s_xor_b32 s10, exec_lo, s10
	s_cbranch_execz .LBB329_1920
; %bb.1821:
	v_bfe_u32 v5, v4, 20, 1
	s_mov_b32 s7, exec_lo
	s_delay_alu instid0(VALU_DEP_1) | instskip(NEXT) | instid1(VALU_DEP_1)
	v_add3_u32 v5, v4, v5, 0x487ffff
	v_lshrrev_b32_e32 v5, 20, v5
	s_or_saveexec_b32 s10, s10
                                        ; implicit-def: $sgpr11
	s_delay_alu instid0(SALU_CYCLE_1)
	s_xor_b32 exec_lo, exec_lo, s10
	s_cbranch_execnz .LBB329_1921
.LBB329_1822:
	s_or_b32 exec_lo, exec_lo, s10
	v_mov_b32_e32 v6, s11
	s_and_saveexec_b32 s10, s7
.LBB329_1823:
	v_lshrrev_b32_e32 v6, 24, v4
	s_delay_alu instid0(VALU_DEP_1)
	v_and_or_b32 v6, 0x80, v6, v5
.LBB329_1824:
	s_or_b32 exec_lo, exec_lo, s10
.LBB329_1825:
	s_delay_alu instid0(SALU_CYCLE_1)
	s_or_b32 exec_lo, exec_lo, s6
	global_store_b8 v[2:3], v6, off
.LBB329_1826:
	s_mov_b32 s6, -1
.LBB329_1827:
	s_mov_b32 s7, 0
.LBB329_1828:
	s_delay_alu instid0(SALU_CYCLE_1)
	s_and_b32 vcc_lo, exec_lo, s7
	s_cbranch_vccz .LBB329_1868
; %bb.1829:
	v_cmp_gt_i16_e64 s3, s2, 22
	s_delay_alu instid0(VALU_DEP_1)
	s_and_b32 vcc_lo, exec_lo, s3
	s_mov_b32 s3, -1
	s_cbranch_vccz .LBB329_1861
; %bb.1830:
	v_cmp_lt_i16_e64 s3, s2, 24
	s_delay_alu instid0(VALU_DEP_1)
	s_and_b32 vcc_lo, exec_lo, s3
	s_mov_b32 s3, -1
	s_cbranch_vccnz .LBB329_1850
; %bb.1831:
	v_cmp_gt_i16_e64 s3, s2, 24
	s_delay_alu instid0(VALU_DEP_1)
	s_and_b32 vcc_lo, exec_lo, s3
	s_mov_b32 s3, -1
	s_cbranch_vccz .LBB329_1839
; %bb.1832:
	v_and_b32_e32 v5, 0x7fffffff, v4
	v_mov_b32_e32 v6, 0x80
	s_mov_b32 s3, exec_lo
	s_delay_alu instid0(VALU_DEP_2)
	v_cmpx_gt_u32_e32 0x47800000, v5
	s_cbranch_execz .LBB329_1838
; %bb.1833:
	v_cmp_lt_u32_e32 vcc_lo, 0x37ffffff, v5
	s_mov_b32 s6, 0
                                        ; implicit-def: $vgpr5
	s_and_saveexec_b32 s7, vcc_lo
	s_delay_alu instid0(SALU_CYCLE_1)
	s_xor_b32 s7, exec_lo, s7
	s_cbranch_execz .LBB329_1927
; %bb.1834:
	v_bfe_u32 v5, v4, 21, 1
	s_mov_b32 s6, exec_lo
	s_delay_alu instid0(VALU_DEP_1) | instskip(NEXT) | instid1(VALU_DEP_1)
	v_add3_u32 v5, v4, v5, 0x88fffff
	v_lshrrev_b32_e32 v5, 21, v5
	s_or_saveexec_b32 s7, s7
                                        ; implicit-def: $sgpr10
	s_delay_alu instid0(SALU_CYCLE_1)
	s_xor_b32 exec_lo, exec_lo, s7
	s_cbranch_execnz .LBB329_1928
.LBB329_1835:
	s_or_b32 exec_lo, exec_lo, s7
	v_mov_b32_e32 v6, s10
	s_and_saveexec_b32 s7, s6
.LBB329_1836:
	v_lshrrev_b32_e32 v6, 24, v4
	s_delay_alu instid0(VALU_DEP_1)
	v_and_or_b32 v6, 0x80, v6, v5
.LBB329_1837:
	s_or_b32 exec_lo, exec_lo, s7
.LBB329_1838:
	s_delay_alu instid0(SALU_CYCLE_1)
	s_or_b32 exec_lo, exec_lo, s3
	s_mov_b32 s3, 0
	global_store_b8 v[2:3], v6, off
.LBB329_1839:
	s_and_b32 vcc_lo, exec_lo, s3
	s_cbranch_vccz .LBB329_1849
; %bb.1840:
	v_and_b32_e32 v6, 0x7fffffff, v4
	s_mov_b32 s3, exec_lo
                                        ; implicit-def: $vgpr5
	s_delay_alu instid0(VALU_DEP_1)
	v_cmpx_gt_u32_e32 0x43f00000, v6
	s_xor_b32 s3, exec_lo, s3
	s_cbranch_execz .LBB329_1846
; %bb.1841:
	s_mov_b32 s6, exec_lo
                                        ; implicit-def: $vgpr5
	v_cmpx_lt_u32_e32 0x3c7fffff, v6
	s_xor_b32 s6, exec_lo, s6
; %bb.1842:
	v_bfe_u32 v5, v4, 20, 1
	s_delay_alu instid0(VALU_DEP_1) | instskip(NEXT) | instid1(VALU_DEP_1)
	v_add3_u32 v5, v4, v5, 0x407ffff
	v_and_b32_e32 v6, 0xff00000, v5
	v_lshrrev_b32_e32 v5, 20, v5
	s_delay_alu instid0(VALU_DEP_2) | instskip(NEXT) | instid1(VALU_DEP_2)
	v_cmp_ne_u32_e32 vcc_lo, 0x7f00000, v6
	v_cndmask_b32_e32 v5, 0x7e, v5, vcc_lo
; %bb.1843:
	s_and_not1_saveexec_b32 s6, s6
; %bb.1844:
	v_add_f32_e64 v5, 0x46800000, |v4|
; %bb.1845:
	s_or_b32 exec_lo, exec_lo, s6
                                        ; implicit-def: $vgpr6
.LBB329_1846:
	s_and_not1_saveexec_b32 s3, s3
; %bb.1847:
	v_mov_b32_e32 v5, 0x7f
	v_cmp_lt_u32_e32 vcc_lo, 0x7f800000, v6
	s_delay_alu instid0(VALU_DEP_2)
	v_cndmask_b32_e32 v5, 0x7e, v5, vcc_lo
; %bb.1848:
	s_or_b32 exec_lo, exec_lo, s3
	v_lshrrev_b32_e32 v6, 24, v4
	s_delay_alu instid0(VALU_DEP_1)
	v_and_or_b32 v5, 0x80, v6, v5
	global_store_b8 v[2:3], v5, off
.LBB329_1849:
	s_mov_b32 s3, 0
.LBB329_1850:
	s_delay_alu instid0(SALU_CYCLE_1)
	s_and_not1_b32 vcc_lo, exec_lo, s3
	s_cbranch_vccnz .LBB329_1860
; %bb.1851:
	v_and_b32_e32 v6, 0x7fffffff, v4
	s_mov_b32 s3, exec_lo
                                        ; implicit-def: $vgpr5
	s_delay_alu instid0(VALU_DEP_1)
	v_cmpx_gt_u32_e32 0x47800000, v6
	s_xor_b32 s3, exec_lo, s3
	s_cbranch_execz .LBB329_1857
; %bb.1852:
	s_mov_b32 s6, exec_lo
                                        ; implicit-def: $vgpr5
	v_cmpx_lt_u32_e32 0x387fffff, v6
	s_xor_b32 s6, exec_lo, s6
; %bb.1853:
	v_bfe_u32 v5, v4, 21, 1
	s_delay_alu instid0(VALU_DEP_1) | instskip(NEXT) | instid1(VALU_DEP_1)
	v_add3_u32 v5, v4, v5, 0x80fffff
	v_lshrrev_b32_e32 v5, 21, v5
; %bb.1854:
	s_and_not1_saveexec_b32 s6, s6
; %bb.1855:
	v_add_f32_e64 v5, 0x43000000, |v4|
; %bb.1856:
	s_or_b32 exec_lo, exec_lo, s6
                                        ; implicit-def: $vgpr6
.LBB329_1857:
	s_and_not1_saveexec_b32 s3, s3
; %bb.1858:
	v_mov_b32_e32 v5, 0x7f
	v_cmp_lt_u32_e32 vcc_lo, 0x7f800000, v6
	s_delay_alu instid0(VALU_DEP_2)
	v_cndmask_b32_e32 v5, 0x7c, v5, vcc_lo
; %bb.1859:
	s_or_b32 exec_lo, exec_lo, s3
	v_lshrrev_b32_e32 v6, 24, v4
	s_delay_alu instid0(VALU_DEP_1)
	v_and_or_b32 v5, 0x80, v6, v5
	global_store_b8 v[2:3], v5, off
.LBB329_1860:
	s_mov_b32 s3, 0
	s_mov_b32 s6, -1
.LBB329_1861:
	s_and_not1_b32 vcc_lo, exec_lo, s3
	s_mov_b32 s3, 0
	s_cbranch_vccnz .LBB329_1868
; %bb.1862:
	v_cmp_gt_i16_e64 s3, s2, 14
	s_delay_alu instid0(VALU_DEP_1)
	s_and_b32 vcc_lo, exec_lo, s3
	s_mov_b32 s3, -1
	s_cbranch_vccz .LBB329_1866
; %bb.1863:
	v_cmp_eq_u16_e64 s0, s2, 15
	s_delay_alu instid0(VALU_DEP_1)
	s_and_b32 vcc_lo, exec_lo, s0
	s_mov_b32 s0, -1
	s_cbranch_vccz .LBB329_1865
; %bb.1864:
	v_bfe_u32 v5, v4, 16, 1
	v_cmp_o_f32_e32 vcc_lo, v4, v4
	s_mov_b32 s0, 0
	s_mov_b32 s6, -1
	s_delay_alu instid0(VALU_DEP_2) | instskip(NEXT) | instid1(VALU_DEP_1)
	v_add3_u32 v5, v4, v5, 0x7fff
	v_lshrrev_b32_e32 v5, 16, v5
	s_delay_alu instid0(VALU_DEP_1)
	v_cndmask_b32_e32 v5, 0x7fc0, v5, vcc_lo
	global_store_b16 v[2:3], v5, off
.LBB329_1865:
	s_mov_b32 s3, 0
.LBB329_1866:
	s_delay_alu instid0(SALU_CYCLE_1)
	s_and_b32 vcc_lo, exec_lo, s3
	s_mov_b32 s3, 0
	s_cbranch_vccz .LBB329_1868
; %bb.1867:
	v_cmp_ne_u16_e64 s0, s2, 11
	s_mov_b32 s3, -1
.LBB329_1868:
	s_delay_alu instid0(VALU_DEP_1)
	s_and_b32 vcc_lo, exec_lo, s0
	s_cbranch_vccnz .LBB329_1925
; %bb.1869:
	s_and_not1_b32 vcc_lo, exec_lo, s3
	s_cbranch_vccnz .LBB329_1871
.LBB329_1870:
	v_cmp_neq_f32_e32 vcc_lo, 0, v4
	s_mov_b32 s6, -1
	v_cndmask_b32_e64 v5, 0, 1, vcc_lo
	global_store_b8 v[2:3], v5, off
.LBB329_1871:
	s_mov_b32 s0, 0
.LBB329_1872:
	s_delay_alu instid0(SALU_CYCLE_1)
	s_and_b32 vcc_lo, exec_lo, s0
	s_cbranch_vccz .LBB329_1911
; %bb.1873:
	v_cmp_lt_i16_e64 s0, s2, 5
	s_delay_alu instid0(VALU_DEP_1)
	s_and_b32 vcc_lo, exec_lo, s0
	s_mov_b32 s0, -1
	s_cbranch_vccnz .LBB329_1894
; %bb.1874:
	v_cmp_lt_i16_e64 s0, s2, 8
	s_delay_alu instid0(VALU_DEP_1)
	s_and_b32 vcc_lo, exec_lo, s0
	s_mov_b32 s0, -1
	s_cbranch_vccnz .LBB329_1884
	;; [unrolled: 6-line block ×3, first 2 shown]
; %bb.1876:
	v_cmp_gt_i16_e64 s0, s2, 9
	s_delay_alu instid0(VALU_DEP_1)
	s_and_b32 vcc_lo, exec_lo, s0
	s_mov_b32 s0, -1
	s_cbranch_vccz .LBB329_1878
; %bb.1877:
	v_cvt_f64_f32_e32 v[13:14], v4
	v_mov_b32_e32 v15, 0
	s_mov_b32 s0, 0
	s_delay_alu instid0(VALU_DEP_1)
	v_mov_b32_e32 v16, v15
	global_store_b128 v[2:3], v[13:16], off
.LBB329_1878:
	s_and_not1_b32 vcc_lo, exec_lo, s0
	s_cbranch_vccnz .LBB329_1880
; %bb.1879:
	v_mov_b32_e32 v5, 0
	global_store_b64 v[2:3], v[4:5], off
.LBB329_1880:
	s_mov_b32 s0, 0
.LBB329_1881:
	s_delay_alu instid0(SALU_CYCLE_1)
	s_and_not1_b32 vcc_lo, exec_lo, s0
	s_cbranch_vccnz .LBB329_1883
; %bb.1882:
	v_cvt_f16_f32_e32 v5, v4
	s_delay_alu instid0(VALU_DEP_1)
	v_and_b32_e32 v5, 0xffff, v5
	global_store_b32 v[2:3], v5, off
.LBB329_1883:
	s_mov_b32 s0, 0
.LBB329_1884:
	s_delay_alu instid0(SALU_CYCLE_1)
	s_and_not1_b32 vcc_lo, exec_lo, s0
	s_cbranch_vccnz .LBB329_1893
; %bb.1885:
	v_cmp_lt_i16_e64 s0, s2, 6
	s_delay_alu instid0(VALU_DEP_1)
	s_and_b32 vcc_lo, exec_lo, s0
	s_mov_b32 s0, -1
	s_cbranch_vccnz .LBB329_1891
; %bb.1886:
	v_cmp_gt_i16_e64 s0, s2, 6
	s_delay_alu instid0(VALU_DEP_1)
	s_and_b32 vcc_lo, exec_lo, s0
	s_mov_b32 s0, -1
	s_cbranch_vccz .LBB329_1888
; %bb.1887:
	v_cvt_f64_f32_e32 v[5:6], v4
	s_mov_b32 s0, 0
	global_store_b64 v[2:3], v[5:6], off
.LBB329_1888:
	s_and_not1_b32 vcc_lo, exec_lo, s0
	s_cbranch_vccnz .LBB329_1890
; %bb.1889:
	global_store_b32 v[2:3], v4, off
.LBB329_1890:
	s_mov_b32 s0, 0
.LBB329_1891:
	s_delay_alu instid0(SALU_CYCLE_1)
	s_and_not1_b32 vcc_lo, exec_lo, s0
	s_cbranch_vccnz .LBB329_1893
; %bb.1892:
	v_cvt_f16_f32_e32 v5, v4
	global_store_b16 v[2:3], v5, off
.LBB329_1893:
	s_mov_b32 s0, 0
.LBB329_1894:
	s_delay_alu instid0(SALU_CYCLE_1)
	s_and_not1_b32 vcc_lo, exec_lo, s0
	s_cbranch_vccnz .LBB329_1910
; %bb.1895:
	v_cmp_lt_i16_e64 s0, s2, 2
	s_delay_alu instid0(VALU_DEP_1)
	s_and_b32 vcc_lo, exec_lo, s0
	s_mov_b32 s0, -1
	s_cbranch_vccnz .LBB329_1905
; %bb.1896:
	v_cmp_lt_i16_e64 s0, s2, 3
	s_delay_alu instid0(VALU_DEP_1)
	s_and_b32 vcc_lo, exec_lo, s0
	s_mov_b32 s0, -1
	s_cbranch_vccnz .LBB329_1902
; %bb.1897:
	v_cmp_gt_i16_e64 s0, s2, 3
	s_delay_alu instid0(VALU_DEP_1)
	s_and_b32 vcc_lo, exec_lo, s0
	s_mov_b32 s0, -1
	s_cbranch_vccz .LBB329_1899
; %bb.1898:
	v_trunc_f32_e32 v5, v4
	s_mov_b32 s0, 0
	s_delay_alu instid0(VALU_DEP_1) | instskip(SKIP_1) | instid1(VALU_DEP_2)
	v_mul_f32_e64 v6, 0x2f800000, |v5|
	v_ashrrev_i32_e32 v10, 31, v5
	v_floor_f32_e32 v6, v6
	s_delay_alu instid0(VALU_DEP_1) | instskip(SKIP_1) | instid1(VALU_DEP_2)
	v_fma_f32 v8, 0xcf800000, v6, |v5|
	v_cvt_u32_f32_e32 v6, v6
	v_cvt_u32_f32_e32 v5, v8
	s_delay_alu instid0(VALU_DEP_2) | instskip(NEXT) | instid1(VALU_DEP_2)
	v_xor_b32_e32 v6, v6, v10
	v_xor_b32_e32 v5, v5, v10
	s_delay_alu instid0(VALU_DEP_1) | instskip(NEXT) | instid1(VALU_DEP_3)
	v_sub_co_u32 v5, vcc_lo, v5, v10
	v_sub_co_ci_u32_e32 v6, vcc_lo, v6, v10, vcc_lo
	global_store_b64 v[2:3], v[5:6], off
.LBB329_1899:
	s_and_not1_b32 vcc_lo, exec_lo, s0
	s_cbranch_vccnz .LBB329_1901
; %bb.1900:
	v_cvt_i32_f32_e32 v5, v4
	global_store_b32 v[2:3], v5, off
.LBB329_1901:
	s_mov_b32 s0, 0
.LBB329_1902:
	s_delay_alu instid0(SALU_CYCLE_1)
	s_and_not1_b32 vcc_lo, exec_lo, s0
	s_cbranch_vccnz .LBB329_1904
; %bb.1903:
	v_cvt_i32_f32_e32 v5, v4
	global_store_b16 v[2:3], v5, off
.LBB329_1904:
	s_mov_b32 s0, 0
.LBB329_1905:
	s_delay_alu instid0(SALU_CYCLE_1)
	s_and_not1_b32 vcc_lo, exec_lo, s0
	s_cbranch_vccnz .LBB329_1910
; %bb.1906:
	v_cmp_gt_i16_e64 s0, s2, 0
	s_delay_alu instid0(VALU_DEP_1)
	s_and_b32 vcc_lo, exec_lo, s0
	s_mov_b32 s0, -1
	s_cbranch_vccz .LBB329_1908
; %bb.1907:
	v_cvt_i32_f32_e32 v5, v4
	s_mov_b32 s0, 0
	global_store_b8 v[2:3], v5, off
.LBB329_1908:
	s_and_not1_b32 vcc_lo, exec_lo, s0
	s_cbranch_vccnz .LBB329_1910
; %bb.1909:
	v_trunc_f32_e32 v4, v4
	s_delay_alu instid0(VALU_DEP_1) | instskip(NEXT) | instid1(VALU_DEP_1)
	v_mul_f32_e64 v5, 0x2f800000, |v4|
	v_floor_f32_e32 v5, v5
	s_delay_alu instid0(VALU_DEP_1) | instskip(SKIP_1) | instid1(VALU_DEP_2)
	v_fma_f32 v5, 0xcf800000, v5, |v4|
	v_ashrrev_i32_e32 v4, 31, v4
	v_cvt_u32_f32_e32 v5, v5
	s_delay_alu instid0(VALU_DEP_1) | instskip(NEXT) | instid1(VALU_DEP_1)
	v_xor_b32_e32 v5, v5, v4
	v_sub_nc_u32_e32 v4, v5, v4
	global_store_b8 v[2:3], v4, off
.LBB329_1910:
	s_mov_b32 s6, -1
.LBB329_1911:
	s_delay_alu instid0(SALU_CYCLE_1)
	s_and_not1_b32 vcc_lo, exec_lo, s6
	s_cbranch_vccnz .LBB329_2049
; %bb.1912:
	v_max_f32_e32 v2, v7, v7
	v_cmp_u_f32_e32 vcc_lo, v7, v7
	v_cmp_lt_i16_e64 s0, s2, 11
	v_add_co_u32 v1, s3, s4, v1
	s_delay_alu instid0(VALU_DEP_4) | instskip(SKIP_2) | instid1(VALU_DEP_2)
	v_maxmin_f32 v3, v2, v9, v12
	v_add_co_ci_u32_e64 v2, null, s5, 0, s3
	s_mov_b32 s6, 0
	v_cndmask_b32_e32 v3, v3, v7, vcc_lo
	s_and_b32 vcc_lo, exec_lo, s0
	s_mov_b32 s0, -1
	s_cbranch_vccnz .LBB329_2001
; %bb.1913:
	v_cmp_gt_i16_e64 s0, s2, 25
	s_mov_b32 s7, -1
	s_mov_b32 s3, 0
	s_delay_alu instid0(VALU_DEP_1)
	s_and_b32 vcc_lo, exec_lo, s0
	s_mov_b32 s0, 0
	s_cbranch_vccz .LBB329_1957
; %bb.1914:
	v_cmp_gt_i16_e64 s0, s2, 28
	s_delay_alu instid0(VALU_DEP_1)
	s_and_b32 vcc_lo, exec_lo, s0
	s_cbranch_vccz .LBB329_1919
; %bb.1915:
	v_cmp_gt_i16_e64 s0, s2, 43
	s_delay_alu instid0(VALU_DEP_1)
	s_and_b32 vcc_lo, exec_lo, s0
	;; [unrolled: 5-line block ×3, first 2 shown]
	s_cbranch_vccz .LBB329_1929
; %bb.1917:
	v_cmp_eq_u16_e64 s6, s2, 46
	s_mov_b32 s0, -1
	s_mov_b32 s7, 0
	s_delay_alu instid0(VALU_DEP_1)
	s_and_b32 vcc_lo, exec_lo, s6
	s_mov_b32 s6, 0
	s_cbranch_vccz .LBB329_1930
; %bb.1918:
	v_bfe_u32 v4, v3, 16, 1
	v_cmp_o_f32_e32 vcc_lo, v3, v3
	s_mov_b32 s0, 0
	s_mov_b32 s6, -1
	s_delay_alu instid0(VALU_DEP_2) | instskip(NEXT) | instid1(VALU_DEP_1)
	v_add3_u32 v4, v3, v4, 0x7fff
	v_lshrrev_b32_e32 v4, 16, v4
	s_delay_alu instid0(VALU_DEP_1)
	v_cndmask_b32_e32 v4, 0x7fc0, v4, vcc_lo
	global_store_b32 v[1:2], v4, off
	s_branch .LBB329_1930
.LBB329_1919:
	s_mov_b32 s0, 0
	s_branch .LBB329_1940
.LBB329_1920:
	s_or_saveexec_b32 s10, s10
                                        ; implicit-def: $sgpr11
	s_delay_alu instid0(SALU_CYCLE_1)
	s_xor_b32 exec_lo, exec_lo, s10
	s_cbranch_execz .LBB329_1822
.LBB329_1921:
	v_add_f32_e64 v5, 0x46000000, |v4|
	s_and_not1_b32 s7, s7, exec_lo
	s_mov_b32 s11, 0
	s_delay_alu instid0(VALU_DEP_1) | instskip(NEXT) | instid1(VALU_DEP_1)
	v_and_b32_e32 v5, 0xff, v5
	v_cmp_ne_u32_e32 vcc_lo, 0, v5
	s_and_b32 s12, vcc_lo, exec_lo
	s_delay_alu instid0(SALU_CYCLE_1)
	s_or_b32 s7, s7, s12
	s_or_b32 exec_lo, exec_lo, s10
	v_mov_b32_e32 v6, s11
	s_and_saveexec_b32 s10, s7
	s_cbranch_execnz .LBB329_1823
	s_branch .LBB329_1824
.LBB329_1922:
	s_mov_b32 s0, 0
	s_branch .LBB329_1936
.LBB329_1923:
	s_trap 2
	s_sendmsg_rtn_b32 s0, sendmsg(MSG_RTN_GET_DOORBELL)
	s_mov_b32 ttmp2, m0
	s_waitcnt lgkmcnt(0)
	s_and_b32 s0, s0, 0x3ff
	s_delay_alu instid0(SALU_CYCLE_1) | instskip(NEXT) | instid1(SALU_CYCLE_1)
	s_bitset1_b32 s0, 10
	s_mov_b32 m0, s0
	s_sendmsg sendmsg(MSG_INTERRUPT)
	s_mov_b32 m0, ttmp2
.LBB329_1924:                           ; =>This Inner Loop Header: Depth=1
	s_sethalt 5
	s_branch .LBB329_1924
.LBB329_1925:
	s_cbranch_execnz .LBB329_2098
; %bb.1926:
	s_or_b32 s1, s1, exec_lo
	s_cbranch_execz .LBB329_1870
	s_branch .LBB329_1871
.LBB329_1927:
	s_or_saveexec_b32 s7, s7
                                        ; implicit-def: $sgpr10
	s_delay_alu instid0(SALU_CYCLE_1)
	s_xor_b32 exec_lo, exec_lo, s7
	s_cbranch_execz .LBB329_1835
.LBB329_1928:
	v_add_f32_e64 v5, 0x42800000, |v4|
	s_and_not1_b32 s6, s6, exec_lo
	s_mov_b32 s10, 0
	s_delay_alu instid0(VALU_DEP_1) | instskip(NEXT) | instid1(VALU_DEP_1)
	v_and_b32_e32 v5, 0xff, v5
	v_cmp_ne_u32_e32 vcc_lo, 0, v5
	s_and_b32 s11, vcc_lo, exec_lo
	s_delay_alu instid0(SALU_CYCLE_1)
	s_or_b32 s6, s6, s11
	s_or_b32 exec_lo, exec_lo, s7
	v_mov_b32_e32 v6, s10
	s_and_saveexec_b32 s7, s6
	s_cbranch_execnz .LBB329_1836
	s_branch .LBB329_1837
.LBB329_1929:
	s_mov_b32 s0, 0
.LBB329_1930:
	s_and_b32 vcc_lo, exec_lo, s7
	s_cbranch_vccz .LBB329_1935
; %bb.1931:
	v_cmp_eq_u16_e64 s0, s2, 44
	s_delay_alu instid0(VALU_DEP_1)
	s_and_b32 vcc_lo, exec_lo, s0
	s_mov_b32 s0, -1
	s_cbranch_vccz .LBB329_1935
; %bb.1932:
	v_bfe_u32 v5, v3, 23, 8
	v_mov_b32_e32 v4, 0xff
	s_mov_b32 s6, exec_lo
	s_delay_alu instid0(VALU_DEP_2)
	v_cmpx_ne_u32_e32 0xff, v5
; %bb.1933:
	v_and_b32_e32 v4, 0x400000, v3
	v_and_or_b32 v5, 0x3fffff, v3, v5
	s_delay_alu instid0(VALU_DEP_2) | instskip(NEXT) | instid1(VALU_DEP_2)
	v_cmp_ne_u32_e32 vcc_lo, 0, v4
	v_cmp_ne_u32_e64 s0, 0, v5
	v_lshrrev_b32_e32 v4, 23, v3
	s_delay_alu instid0(VALU_DEP_2) | instskip(NEXT) | instid1(SALU_CYCLE_1)
	s_and_b32 s0, vcc_lo, s0
	v_cndmask_b32_e64 v5, 0, 1, s0
	s_delay_alu instid0(VALU_DEP_1)
	v_add_nc_u32_e32 v4, v4, v5
; %bb.1934:
	s_or_b32 exec_lo, exec_lo, s6
	s_mov_b32 s0, 0
	s_mov_b32 s6, -1
	global_store_b8 v[1:2], v4, off
.LBB329_1935:
	s_mov_b32 s7, 0
.LBB329_1936:
	s_delay_alu instid0(SALU_CYCLE_1)
	s_and_b32 vcc_lo, exec_lo, s7
	s_cbranch_vccz .LBB329_1939
; %bb.1937:
	v_cmp_eq_u16_e64 s0, s2, 29
	s_delay_alu instid0(VALU_DEP_1)
	s_and_b32 vcc_lo, exec_lo, s0
	s_mov_b32 s0, -1
	s_cbranch_vccz .LBB329_1939
; %bb.1938:
	v_trunc_f32_e32 v4, v3
	s_mov_b32 s0, 0
	s_mov_b32 s6, -1
	s_mov_b32 s7, 0
	s_delay_alu instid0(VALU_DEP_1) | instskip(NEXT) | instid1(VALU_DEP_1)
	v_mul_f32_e32 v5, 0x2f800000, v4
	v_floor_f32_e32 v5, v5
	s_delay_alu instid0(VALU_DEP_1) | instskip(SKIP_1) | instid1(VALU_DEP_2)
	v_fmamk_f32 v4, v5, 0xcf800000, v4
	v_cvt_u32_f32_e32 v5, v5
	v_cvt_u32_f32_e32 v4, v4
	global_store_b64 v[1:2], v[4:5], off
	s_branch .LBB329_1940
.LBB329_1939:
	s_mov_b32 s7, 0
.LBB329_1940:
	s_delay_alu instid0(SALU_CYCLE_1)
	s_and_b32 vcc_lo, exec_lo, s7
	s_cbranch_vccz .LBB329_1956
; %bb.1941:
	v_cmp_lt_i16_e64 s6, s2, 27
	s_delay_alu instid0(VALU_DEP_1)
	s_and_b32 vcc_lo, exec_lo, s6
	s_mov_b32 s6, -1
	s_cbranch_vccnz .LBB329_1947
; %bb.1942:
	v_cmp_gt_i16_e64 s6, s2, 27
	v_cvt_u32_f32_e32 v4, v3
	s_delay_alu instid0(VALU_DEP_2)
	s_and_b32 vcc_lo, exec_lo, s6
	s_mov_b32 s6, -1
	s_cbranch_vccz .LBB329_1944
; %bb.1943:
	s_mov_b32 s6, 0
	global_store_b32 v[1:2], v4, off
.LBB329_1944:
	s_and_not1_b32 vcc_lo, exec_lo, s6
	s_cbranch_vccnz .LBB329_1946
; %bb.1945:
	global_store_b16 v[1:2], v4, off
.LBB329_1946:
	s_mov_b32 s6, 0
.LBB329_1947:
	s_delay_alu instid0(SALU_CYCLE_1)
	s_and_not1_b32 vcc_lo, exec_lo, s6
	s_cbranch_vccnz .LBB329_1955
; %bb.1948:
	v_and_b32_e32 v4, 0x7fffffff, v3
	v_mov_b32_e32 v5, 0x80
	s_mov_b32 s6, exec_lo
	s_delay_alu instid0(VALU_DEP_2)
	v_cmpx_gt_u32_e32 0x43800000, v4
	s_cbranch_execz .LBB329_1954
; %bb.1949:
	v_cmp_lt_u32_e32 vcc_lo, 0x3bffffff, v4
	s_mov_b32 s7, 0
                                        ; implicit-def: $vgpr4
	s_and_saveexec_b32 s10, vcc_lo
	s_delay_alu instid0(SALU_CYCLE_1)
	s_xor_b32 s10, exec_lo, s10
	s_cbranch_execz .LBB329_2095
; %bb.1950:
	v_bfe_u32 v4, v3, 20, 1
	s_mov_b32 s7, exec_lo
	s_delay_alu instid0(VALU_DEP_1) | instskip(NEXT) | instid1(VALU_DEP_1)
	v_add3_u32 v4, v3, v4, 0x487ffff
	v_lshrrev_b32_e32 v4, 20, v4
	s_or_saveexec_b32 s10, s10
                                        ; implicit-def: $sgpr11
	s_delay_alu instid0(SALU_CYCLE_1)
	s_xor_b32 exec_lo, exec_lo, s10
	s_cbranch_execnz .LBB329_2096
.LBB329_1951:
	s_or_b32 exec_lo, exec_lo, s10
	v_mov_b32_e32 v5, s11
	s_and_saveexec_b32 s10, s7
.LBB329_1952:
	v_lshrrev_b32_e32 v5, 24, v3
	s_delay_alu instid0(VALU_DEP_1)
	v_and_or_b32 v5, 0x80, v5, v4
.LBB329_1953:
	s_or_b32 exec_lo, exec_lo, s10
.LBB329_1954:
	s_delay_alu instid0(SALU_CYCLE_1)
	s_or_b32 exec_lo, exec_lo, s6
	global_store_b8 v[1:2], v5, off
.LBB329_1955:
	s_mov_b32 s6, -1
.LBB329_1956:
	s_mov_b32 s7, 0
.LBB329_1957:
	s_delay_alu instid0(SALU_CYCLE_1)
	s_and_b32 vcc_lo, exec_lo, s7
	s_cbranch_vccz .LBB329_1997
; %bb.1958:
	v_cmp_gt_i16_e64 s3, s2, 22
	s_delay_alu instid0(VALU_DEP_1)
	s_and_b32 vcc_lo, exec_lo, s3
	s_mov_b32 s3, -1
	s_cbranch_vccz .LBB329_1990
; %bb.1959:
	v_cmp_lt_i16_e64 s3, s2, 24
	s_delay_alu instid0(VALU_DEP_1)
	s_and_b32 vcc_lo, exec_lo, s3
	s_mov_b32 s3, -1
	s_cbranch_vccnz .LBB329_1979
; %bb.1960:
	v_cmp_gt_i16_e64 s3, s2, 24
	s_delay_alu instid0(VALU_DEP_1)
	s_and_b32 vcc_lo, exec_lo, s3
	s_mov_b32 s3, -1
	s_cbranch_vccz .LBB329_1968
; %bb.1961:
	v_and_b32_e32 v4, 0x7fffffff, v3
	v_mov_b32_e32 v5, 0x80
	s_mov_b32 s3, exec_lo
	s_delay_alu instid0(VALU_DEP_2)
	v_cmpx_gt_u32_e32 0x47800000, v4
	s_cbranch_execz .LBB329_1967
; %bb.1962:
	v_cmp_lt_u32_e32 vcc_lo, 0x37ffffff, v4
	s_mov_b32 s6, 0
                                        ; implicit-def: $vgpr4
	s_and_saveexec_b32 s7, vcc_lo
	s_delay_alu instid0(SALU_CYCLE_1)
	s_xor_b32 s7, exec_lo, s7
	s_cbranch_execz .LBB329_2102
; %bb.1963:
	v_bfe_u32 v4, v3, 21, 1
	s_mov_b32 s6, exec_lo
	s_delay_alu instid0(VALU_DEP_1) | instskip(NEXT) | instid1(VALU_DEP_1)
	v_add3_u32 v4, v3, v4, 0x88fffff
	v_lshrrev_b32_e32 v4, 21, v4
	s_or_saveexec_b32 s7, s7
                                        ; implicit-def: $sgpr10
	s_delay_alu instid0(SALU_CYCLE_1)
	s_xor_b32 exec_lo, exec_lo, s7
	s_cbranch_execnz .LBB329_2103
.LBB329_1964:
	s_or_b32 exec_lo, exec_lo, s7
	v_mov_b32_e32 v5, s10
	s_and_saveexec_b32 s7, s6
.LBB329_1965:
	v_lshrrev_b32_e32 v5, 24, v3
	s_delay_alu instid0(VALU_DEP_1)
	v_and_or_b32 v5, 0x80, v5, v4
.LBB329_1966:
	s_or_b32 exec_lo, exec_lo, s7
.LBB329_1967:
	s_delay_alu instid0(SALU_CYCLE_1)
	s_or_b32 exec_lo, exec_lo, s3
	s_mov_b32 s3, 0
	global_store_b8 v[1:2], v5, off
.LBB329_1968:
	s_and_b32 vcc_lo, exec_lo, s3
	s_cbranch_vccz .LBB329_1978
; %bb.1969:
	v_and_b32_e32 v5, 0x7fffffff, v3
	s_mov_b32 s3, exec_lo
                                        ; implicit-def: $vgpr4
	s_delay_alu instid0(VALU_DEP_1)
	v_cmpx_gt_u32_e32 0x43f00000, v5
	s_xor_b32 s3, exec_lo, s3
	s_cbranch_execz .LBB329_1975
; %bb.1970:
	s_mov_b32 s6, exec_lo
                                        ; implicit-def: $vgpr4
	v_cmpx_lt_u32_e32 0x3c7fffff, v5
	s_xor_b32 s6, exec_lo, s6
; %bb.1971:
	v_bfe_u32 v4, v3, 20, 1
	s_delay_alu instid0(VALU_DEP_1) | instskip(NEXT) | instid1(VALU_DEP_1)
	v_add3_u32 v4, v3, v4, 0x407ffff
	v_and_b32_e32 v5, 0xff00000, v4
	v_lshrrev_b32_e32 v4, 20, v4
	s_delay_alu instid0(VALU_DEP_2) | instskip(NEXT) | instid1(VALU_DEP_2)
	v_cmp_ne_u32_e32 vcc_lo, 0x7f00000, v5
	v_cndmask_b32_e32 v4, 0x7e, v4, vcc_lo
; %bb.1972:
	s_and_not1_saveexec_b32 s6, s6
; %bb.1973:
	v_add_f32_e64 v4, 0x46800000, |v3|
; %bb.1974:
	s_or_b32 exec_lo, exec_lo, s6
                                        ; implicit-def: $vgpr5
.LBB329_1975:
	s_and_not1_saveexec_b32 s3, s3
; %bb.1976:
	v_mov_b32_e32 v4, 0x7f
	v_cmp_lt_u32_e32 vcc_lo, 0x7f800000, v5
	s_delay_alu instid0(VALU_DEP_2)
	v_cndmask_b32_e32 v4, 0x7e, v4, vcc_lo
; %bb.1977:
	s_or_b32 exec_lo, exec_lo, s3
	v_lshrrev_b32_e32 v5, 24, v3
	s_delay_alu instid0(VALU_DEP_1)
	v_and_or_b32 v4, 0x80, v5, v4
	global_store_b8 v[1:2], v4, off
.LBB329_1978:
	s_mov_b32 s3, 0
.LBB329_1979:
	s_delay_alu instid0(SALU_CYCLE_1)
	s_and_not1_b32 vcc_lo, exec_lo, s3
	s_cbranch_vccnz .LBB329_1989
; %bb.1980:
	v_and_b32_e32 v5, 0x7fffffff, v3
	s_mov_b32 s3, exec_lo
                                        ; implicit-def: $vgpr4
	s_delay_alu instid0(VALU_DEP_1)
	v_cmpx_gt_u32_e32 0x47800000, v5
	s_xor_b32 s3, exec_lo, s3
	s_cbranch_execz .LBB329_1986
; %bb.1981:
	s_mov_b32 s6, exec_lo
                                        ; implicit-def: $vgpr4
	v_cmpx_lt_u32_e32 0x387fffff, v5
	s_xor_b32 s6, exec_lo, s6
; %bb.1982:
	v_bfe_u32 v4, v3, 21, 1
	s_delay_alu instid0(VALU_DEP_1) | instskip(NEXT) | instid1(VALU_DEP_1)
	v_add3_u32 v4, v3, v4, 0x80fffff
	v_lshrrev_b32_e32 v4, 21, v4
; %bb.1983:
	s_and_not1_saveexec_b32 s6, s6
; %bb.1984:
	v_add_f32_e64 v4, 0x43000000, |v3|
; %bb.1985:
	s_or_b32 exec_lo, exec_lo, s6
                                        ; implicit-def: $vgpr5
.LBB329_1986:
	s_and_not1_saveexec_b32 s3, s3
; %bb.1987:
	v_mov_b32_e32 v4, 0x7f
	v_cmp_lt_u32_e32 vcc_lo, 0x7f800000, v5
	s_delay_alu instid0(VALU_DEP_2)
	v_cndmask_b32_e32 v4, 0x7c, v4, vcc_lo
; %bb.1988:
	s_or_b32 exec_lo, exec_lo, s3
	v_lshrrev_b32_e32 v5, 24, v3
	s_delay_alu instid0(VALU_DEP_1)
	v_and_or_b32 v4, 0x80, v5, v4
	global_store_b8 v[1:2], v4, off
.LBB329_1989:
	s_mov_b32 s3, 0
	s_mov_b32 s6, -1
.LBB329_1990:
	s_and_not1_b32 vcc_lo, exec_lo, s3
	s_mov_b32 s3, 0
	s_cbranch_vccnz .LBB329_1997
; %bb.1991:
	v_cmp_gt_i16_e64 s3, s2, 14
	s_delay_alu instid0(VALU_DEP_1)
	s_and_b32 vcc_lo, exec_lo, s3
	s_mov_b32 s3, -1
	s_cbranch_vccz .LBB329_1995
; %bb.1992:
	v_cmp_eq_u16_e64 s0, s2, 15
	s_delay_alu instid0(VALU_DEP_1)
	s_and_b32 vcc_lo, exec_lo, s0
	s_mov_b32 s0, -1
	s_cbranch_vccz .LBB329_1994
; %bb.1993:
	v_bfe_u32 v4, v3, 16, 1
	v_cmp_o_f32_e32 vcc_lo, v3, v3
	s_mov_b32 s0, 0
	s_mov_b32 s6, -1
	s_delay_alu instid0(VALU_DEP_2) | instskip(NEXT) | instid1(VALU_DEP_1)
	v_add3_u32 v4, v3, v4, 0x7fff
	v_lshrrev_b32_e32 v4, 16, v4
	s_delay_alu instid0(VALU_DEP_1)
	v_cndmask_b32_e32 v4, 0x7fc0, v4, vcc_lo
	global_store_b16 v[1:2], v4, off
.LBB329_1994:
	s_mov_b32 s3, 0
.LBB329_1995:
	s_delay_alu instid0(SALU_CYCLE_1)
	s_and_b32 vcc_lo, exec_lo, s3
	s_mov_b32 s3, 0
	s_cbranch_vccz .LBB329_1997
; %bb.1996:
	v_cmp_ne_u16_e64 s0, s2, 11
	s_mov_b32 s3, -1
.LBB329_1997:
	s_delay_alu instid0(VALU_DEP_1)
	s_and_b32 vcc_lo, exec_lo, s0
	s_cbranch_vccnz .LBB329_2100
; %bb.1998:
	s_and_not1_b32 vcc_lo, exec_lo, s3
	s_cbranch_vccnz .LBB329_2000
.LBB329_1999:
	v_cmp_neq_f32_e32 vcc_lo, 0, v3
	s_mov_b32 s6, -1
	v_cndmask_b32_e64 v4, 0, 1, vcc_lo
	global_store_b8 v[1:2], v4, off
.LBB329_2000:
	s_mov_b32 s0, 0
.LBB329_2001:
	s_delay_alu instid0(SALU_CYCLE_1)
	s_and_b32 vcc_lo, exec_lo, s0
	s_cbranch_vccz .LBB329_2040
; %bb.2002:
	v_cmp_lt_i16_e64 s0, s2, 5
	s_delay_alu instid0(VALU_DEP_1)
	s_and_b32 vcc_lo, exec_lo, s0
	s_mov_b32 s0, -1
	s_cbranch_vccnz .LBB329_2023
; %bb.2003:
	v_cmp_lt_i16_e64 s0, s2, 8
	s_delay_alu instid0(VALU_DEP_1)
	s_and_b32 vcc_lo, exec_lo, s0
	s_mov_b32 s0, -1
	s_cbranch_vccnz .LBB329_2013
; %bb.2004:
	v_cmp_lt_i16_e64 s0, s2, 9
	s_delay_alu instid0(VALU_DEP_1)
	s_and_b32 vcc_lo, exec_lo, s0
	s_mov_b32 s0, -1
	s_cbranch_vccnz .LBB329_2010
; %bb.2005:
	v_cmp_gt_i16_e64 s0, s2, 9
	s_delay_alu instid0(VALU_DEP_1)
	s_and_b32 vcc_lo, exec_lo, s0
	s_mov_b32 s0, -1
	s_cbranch_vccz .LBB329_2007
; %bb.2006:
	v_cvt_f64_f32_e32 v[4:5], v3
	v_mov_b32_e32 v6, 0
	s_mov_b32 s0, 0
	s_delay_alu instid0(VALU_DEP_1)
	v_mov_b32_e32 v7, v6
	global_store_b128 v[1:2], v[4:7], off
.LBB329_2007:
	s_and_not1_b32 vcc_lo, exec_lo, s0
	s_cbranch_vccnz .LBB329_2009
; %bb.2008:
	v_mov_b32_e32 v4, 0
	global_store_b64 v[1:2], v[3:4], off
.LBB329_2009:
	s_mov_b32 s0, 0
.LBB329_2010:
	s_delay_alu instid0(SALU_CYCLE_1)
	s_and_not1_b32 vcc_lo, exec_lo, s0
	s_cbranch_vccnz .LBB329_2012
; %bb.2011:
	v_cvt_f16_f32_e32 v4, v3
	s_delay_alu instid0(VALU_DEP_1)
	v_and_b32_e32 v4, 0xffff, v4
	global_store_b32 v[1:2], v4, off
.LBB329_2012:
	s_mov_b32 s0, 0
.LBB329_2013:
	s_delay_alu instid0(SALU_CYCLE_1)
	s_and_not1_b32 vcc_lo, exec_lo, s0
	s_cbranch_vccnz .LBB329_2022
; %bb.2014:
	v_cmp_lt_i16_e64 s0, s2, 6
	s_delay_alu instid0(VALU_DEP_1)
	s_and_b32 vcc_lo, exec_lo, s0
	s_mov_b32 s0, -1
	s_cbranch_vccnz .LBB329_2020
; %bb.2015:
	v_cmp_gt_i16_e64 s0, s2, 6
	s_delay_alu instid0(VALU_DEP_1)
	s_and_b32 vcc_lo, exec_lo, s0
	s_mov_b32 s0, -1
	s_cbranch_vccz .LBB329_2017
; %bb.2016:
	v_cvt_f64_f32_e32 v[4:5], v3
	s_mov_b32 s0, 0
	global_store_b64 v[1:2], v[4:5], off
.LBB329_2017:
	s_and_not1_b32 vcc_lo, exec_lo, s0
	s_cbranch_vccnz .LBB329_2019
; %bb.2018:
	global_store_b32 v[1:2], v3, off
.LBB329_2019:
	s_mov_b32 s0, 0
.LBB329_2020:
	s_delay_alu instid0(SALU_CYCLE_1)
	s_and_not1_b32 vcc_lo, exec_lo, s0
	s_cbranch_vccnz .LBB329_2022
; %bb.2021:
	v_cvt_f16_f32_e32 v4, v3
	global_store_b16 v[1:2], v4, off
.LBB329_2022:
	s_mov_b32 s0, 0
.LBB329_2023:
	s_delay_alu instid0(SALU_CYCLE_1)
	s_and_not1_b32 vcc_lo, exec_lo, s0
	s_cbranch_vccnz .LBB329_2039
; %bb.2024:
	v_cmp_lt_i16_e64 s0, s2, 2
	s_delay_alu instid0(VALU_DEP_1)
	s_and_b32 vcc_lo, exec_lo, s0
	s_mov_b32 s0, -1
	s_cbranch_vccnz .LBB329_2034
; %bb.2025:
	v_cmp_lt_i16_e64 s0, s2, 3
	s_delay_alu instid0(VALU_DEP_1)
	s_and_b32 vcc_lo, exec_lo, s0
	s_mov_b32 s0, -1
	s_cbranch_vccnz .LBB329_2031
; %bb.2026:
	v_cmp_gt_i16_e64 s0, s2, 3
	s_delay_alu instid0(VALU_DEP_1)
	s_and_b32 vcc_lo, exec_lo, s0
	s_mov_b32 s0, -1
	s_cbranch_vccz .LBB329_2028
; %bb.2027:
	v_trunc_f32_e32 v4, v3
	s_mov_b32 s0, 0
	s_delay_alu instid0(VALU_DEP_1) | instskip(SKIP_1) | instid1(VALU_DEP_2)
	v_mul_f32_e64 v5, 0x2f800000, |v4|
	v_ashrrev_i32_e32 v7, 31, v4
	v_floor_f32_e32 v5, v5
	s_delay_alu instid0(VALU_DEP_1) | instskip(SKIP_1) | instid1(VALU_DEP_2)
	v_fma_f32 v6, 0xcf800000, v5, |v4|
	v_cvt_u32_f32_e32 v5, v5
	v_cvt_u32_f32_e32 v4, v6
	s_delay_alu instid0(VALU_DEP_2) | instskip(NEXT) | instid1(VALU_DEP_2)
	v_xor_b32_e32 v5, v5, v7
	v_xor_b32_e32 v4, v4, v7
	s_delay_alu instid0(VALU_DEP_1) | instskip(NEXT) | instid1(VALU_DEP_3)
	v_sub_co_u32 v4, vcc_lo, v4, v7
	v_sub_co_ci_u32_e32 v5, vcc_lo, v5, v7, vcc_lo
	global_store_b64 v[1:2], v[4:5], off
.LBB329_2028:
	s_and_not1_b32 vcc_lo, exec_lo, s0
	s_cbranch_vccnz .LBB329_2030
; %bb.2029:
	v_cvt_i32_f32_e32 v4, v3
	global_store_b32 v[1:2], v4, off
.LBB329_2030:
	s_mov_b32 s0, 0
.LBB329_2031:
	s_delay_alu instid0(SALU_CYCLE_1)
	s_and_not1_b32 vcc_lo, exec_lo, s0
	s_cbranch_vccnz .LBB329_2033
; %bb.2032:
	v_cvt_i32_f32_e32 v4, v3
	global_store_b16 v[1:2], v4, off
.LBB329_2033:
	s_mov_b32 s0, 0
.LBB329_2034:
	s_delay_alu instid0(SALU_CYCLE_1)
	s_and_not1_b32 vcc_lo, exec_lo, s0
	s_cbranch_vccnz .LBB329_2039
; %bb.2035:
	v_cmp_gt_i16_e64 s0, s2, 0
	s_delay_alu instid0(VALU_DEP_1)
	s_and_b32 vcc_lo, exec_lo, s0
	s_mov_b32 s0, -1
	s_cbranch_vccz .LBB329_2037
; %bb.2036:
	v_cvt_i32_f32_e32 v4, v3
	s_mov_b32 s0, 0
	global_store_b8 v[1:2], v4, off
.LBB329_2037:
	s_and_not1_b32 vcc_lo, exec_lo, s0
	s_cbranch_vccnz .LBB329_2039
; %bb.2038:
	v_trunc_f32_e32 v3, v3
	s_delay_alu instid0(VALU_DEP_1) | instskip(NEXT) | instid1(VALU_DEP_1)
	v_mul_f32_e64 v4, 0x2f800000, |v3|
	v_floor_f32_e32 v4, v4
	s_delay_alu instid0(VALU_DEP_1) | instskip(SKIP_1) | instid1(VALU_DEP_2)
	v_fma_f32 v4, 0xcf800000, v4, |v3|
	v_ashrrev_i32_e32 v3, 31, v3
	v_cvt_u32_f32_e32 v4, v4
	s_delay_alu instid0(VALU_DEP_1) | instskip(NEXT) | instid1(VALU_DEP_1)
	v_xor_b32_e32 v4, v4, v3
	v_sub_nc_u32_e32 v3, v4, v3
	global_store_b8 v[1:2], v3, off
.LBB329_2039:
	s_mov_b32 s6, -1
.LBB329_2040:
	s_delay_alu instid0(SALU_CYCLE_1)
	s_and_not1_b32 vcc_lo, exec_lo, s6
	s_cbranch_vccnz .LBB329_2049
; %bb.2041:
	v_max_f32_e32 v1, v11, v11
	v_cmp_u_f32_e32 vcc_lo, v11, v11
	v_cmp_lt_i16_e64 s0, s2, 11
	v_add_co_u32 v0, s4, s4, v0
	s_delay_alu instid0(VALU_DEP_4) | instskip(SKIP_2) | instid1(VALU_DEP_2)
	v_maxmin_f32 v2, v1, v9, v12
	v_add_co_ci_u32_e64 v1, null, s5, 0, s4
	s_mov_b32 s3, 0
	v_cndmask_b32_e32 v2, v2, v11, vcc_lo
	s_and_b32 vcc_lo, exec_lo, s0
	s_mov_b32 s0, -1
	s_cbranch_vccnz .LBB329_2050
; %bb.2042:
	v_cmp_gt_i16_e64 s0, s2, 25
	s_mov_b32 s4, -1
	s_delay_alu instid0(VALU_DEP_1)
	s_and_b32 vcc_lo, exec_lo, s0
	s_mov_b32 s0, 0
	s_cbranch_vccz .LBB329_2131
; %bb.2043:
	v_cmp_gt_i16_e64 s0, s2, 28
	s_delay_alu instid0(VALU_DEP_1)
	s_and_b32 vcc_lo, exec_lo, s0
	s_cbranch_vccz .LBB329_2094
; %bb.2044:
	v_cmp_gt_i16_e64 s0, s2, 43
	s_delay_alu instid0(VALU_DEP_1)
	s_and_b32 vcc_lo, exec_lo, s0
	;; [unrolled: 5-line block ×3, first 2 shown]
	s_cbranch_vccz .LBB329_2104
; %bb.2046:
	v_cmp_eq_u16_e64 s0, s2, 46
	s_delay_alu instid0(VALU_DEP_1)
	s_and_b32 vcc_lo, exec_lo, s0
	s_mov_b32 s0, -1
	s_cbranch_vccz .LBB329_2048
; %bb.2047:
	v_bfe_u32 v3, v2, 16, 1
	v_cmp_o_f32_e32 vcc_lo, v2, v2
	s_mov_b32 s0, 0
	s_delay_alu instid0(VALU_DEP_2) | instskip(NEXT) | instid1(VALU_DEP_1)
	v_add3_u32 v3, v2, v3, 0x7fff
	v_lshrrev_b32_e32 v3, 16, v3
	s_delay_alu instid0(VALU_DEP_1)
	v_cndmask_b32_e32 v3, 0x7fc0, v3, vcc_lo
	global_store_b32 v[0:1], v3, off
.LBB329_2048:
	s_mov_b32 s4, 0
	s_branch .LBB329_2105
.LBB329_2049:
	s_mov_b32 s0, 0
	s_mov_b32 s3, 0
                                        ; implicit-def: $vgpr0_vgpr1
                                        ; implicit-def: $sgpr2
                                        ; implicit-def: $vgpr2
.LBB329_2050:
	s_and_b32 s4, s0, exec_lo
	s_and_not1_b32 s0, s8, exec_lo
	s_and_b32 s1, s1, exec_lo
	s_and_b32 s28, s3, exec_lo
	s_or_b32 s8, s0, s1
.LBB329_2051:
	s_or_b32 exec_lo, exec_lo, s9
	s_and_saveexec_b32 s0, s8
	s_cbranch_execz .LBB329_2054
; %bb.2052:
	; divergent unreachable
	s_or_b32 exec_lo, exec_lo, s0
	s_and_saveexec_b32 s0, s28
	s_delay_alu instid0(SALU_CYCLE_1)
	s_xor_b32 s0, exec_lo, s0
	s_cbranch_execnz .LBB329_2055
.LBB329_2053:
	s_or_b32 exec_lo, exec_lo, s0
	s_and_saveexec_b32 s0, s4
	s_cbranch_execnz .LBB329_2056
	s_branch .LBB329_2093
.LBB329_2054:
	s_or_b32 exec_lo, exec_lo, s0
	s_and_saveexec_b32 s0, s28
	s_delay_alu instid0(SALU_CYCLE_1)
	s_xor_b32 s0, exec_lo, s0
	s_cbranch_execz .LBB329_2053
.LBB329_2055:
	v_cmp_neq_f32_e32 vcc_lo, 0, v2
	s_waitcnt vmcnt(0)
	v_cndmask_b32_e64 v3, 0, 1, vcc_lo
	global_store_b8 v[0:1], v3, off
	s_or_b32 exec_lo, exec_lo, s0
	s_and_saveexec_b32 s0, s4
	s_cbranch_execz .LBB329_2093
.LBB329_2056:
	v_cmp_lt_i16_e64 s0, s2, 5
	s_delay_alu instid0(VALU_DEP_1)
	s_and_b32 vcc_lo, exec_lo, s0
	s_mov_b32 s0, -1
	s_cbranch_vccnz .LBB329_2077
; %bb.2057:
	v_cmp_lt_i16_e64 s0, s2, 8
	s_delay_alu instid0(VALU_DEP_1)
	s_and_b32 vcc_lo, exec_lo, s0
	s_mov_b32 s0, -1
	s_cbranch_vccnz .LBB329_2067
; %bb.2058:
	;; [unrolled: 6-line block ×3, first 2 shown]
	v_cmp_gt_i16_e64 s0, s2, 9
	s_delay_alu instid0(VALU_DEP_1)
	s_and_b32 vcc_lo, exec_lo, s0
	s_mov_b32 s0, -1
	s_cbranch_vccz .LBB329_2061
; %bb.2060:
	s_waitcnt vmcnt(0)
	v_cvt_f64_f32_e32 v[3:4], v2
	v_mov_b32_e32 v5, 0
	s_mov_b32 s0, 0
	s_delay_alu instid0(VALU_DEP_1)
	v_mov_b32_e32 v6, v5
	global_store_b128 v[0:1], v[3:6], off
.LBB329_2061:
	s_and_not1_b32 vcc_lo, exec_lo, s0
	s_cbranch_vccnz .LBB329_2063
; %bb.2062:
	s_waitcnt vmcnt(0)
	v_mov_b32_e32 v3, 0
	global_store_b64 v[0:1], v[2:3], off
.LBB329_2063:
	s_mov_b32 s0, 0
.LBB329_2064:
	s_delay_alu instid0(SALU_CYCLE_1)
	s_and_not1_b32 vcc_lo, exec_lo, s0
	s_cbranch_vccnz .LBB329_2066
; %bb.2065:
	s_waitcnt vmcnt(0)
	v_cvt_f16_f32_e32 v3, v2
	s_delay_alu instid0(VALU_DEP_1)
	v_and_b32_e32 v3, 0xffff, v3
	global_store_b32 v[0:1], v3, off
.LBB329_2066:
	s_mov_b32 s0, 0
.LBB329_2067:
	s_delay_alu instid0(SALU_CYCLE_1)
	s_and_not1_b32 vcc_lo, exec_lo, s0
	s_cbranch_vccnz .LBB329_2076
; %bb.2068:
	v_cmp_lt_i16_e64 s0, s2, 6
	s_delay_alu instid0(VALU_DEP_1)
	s_and_b32 vcc_lo, exec_lo, s0
	s_mov_b32 s0, -1
	s_cbranch_vccnz .LBB329_2074
; %bb.2069:
	v_cmp_gt_i16_e64 s0, s2, 6
	s_delay_alu instid0(VALU_DEP_1)
	s_and_b32 vcc_lo, exec_lo, s0
	s_mov_b32 s0, -1
	s_cbranch_vccz .LBB329_2071
; %bb.2070:
	s_waitcnt vmcnt(0)
	v_cvt_f64_f32_e32 v[3:4], v2
	s_mov_b32 s0, 0
	global_store_b64 v[0:1], v[3:4], off
.LBB329_2071:
	s_and_not1_b32 vcc_lo, exec_lo, s0
	s_cbranch_vccnz .LBB329_2073
; %bb.2072:
	global_store_b32 v[0:1], v2, off
.LBB329_2073:
	s_mov_b32 s0, 0
.LBB329_2074:
	s_delay_alu instid0(SALU_CYCLE_1)
	s_and_not1_b32 vcc_lo, exec_lo, s0
	s_cbranch_vccnz .LBB329_2076
; %bb.2075:
	s_waitcnt vmcnt(0)
	v_cvt_f16_f32_e32 v3, v2
	global_store_b16 v[0:1], v3, off
.LBB329_2076:
	s_mov_b32 s0, 0
.LBB329_2077:
	s_delay_alu instid0(SALU_CYCLE_1)
	s_and_not1_b32 vcc_lo, exec_lo, s0
	s_cbranch_vccnz .LBB329_2093
; %bb.2078:
	v_cmp_lt_i16_e64 s0, s2, 2
	s_delay_alu instid0(VALU_DEP_1)
	s_and_b32 vcc_lo, exec_lo, s0
	s_mov_b32 s0, -1
	s_cbranch_vccnz .LBB329_2088
; %bb.2079:
	v_cmp_lt_i16_e64 s0, s2, 3
	s_delay_alu instid0(VALU_DEP_1)
	s_and_b32 vcc_lo, exec_lo, s0
	s_mov_b32 s0, -1
	s_cbranch_vccnz .LBB329_2085
; %bb.2080:
	v_cmp_gt_i16_e64 s0, s2, 3
	s_delay_alu instid0(VALU_DEP_1)
	s_and_b32 vcc_lo, exec_lo, s0
	s_mov_b32 s0, -1
	s_cbranch_vccz .LBB329_2082
; %bb.2081:
	s_waitcnt vmcnt(0)
	v_trunc_f32_e32 v3, v2
	s_mov_b32 s0, 0
	s_delay_alu instid0(VALU_DEP_1) | instskip(SKIP_1) | instid1(VALU_DEP_2)
	v_mul_f32_e64 v4, 0x2f800000, |v3|
	v_ashrrev_i32_e32 v6, 31, v3
	v_floor_f32_e32 v4, v4
	s_delay_alu instid0(VALU_DEP_1) | instskip(SKIP_1) | instid1(VALU_DEP_2)
	v_fma_f32 v5, 0xcf800000, v4, |v3|
	v_cvt_u32_f32_e32 v4, v4
	v_cvt_u32_f32_e32 v3, v5
	s_delay_alu instid0(VALU_DEP_2) | instskip(NEXT) | instid1(VALU_DEP_2)
	v_xor_b32_e32 v4, v4, v6
	v_xor_b32_e32 v3, v3, v6
	s_delay_alu instid0(VALU_DEP_1) | instskip(NEXT) | instid1(VALU_DEP_3)
	v_sub_co_u32 v3, vcc_lo, v3, v6
	v_sub_co_ci_u32_e32 v4, vcc_lo, v4, v6, vcc_lo
	global_store_b64 v[0:1], v[3:4], off
.LBB329_2082:
	s_and_not1_b32 vcc_lo, exec_lo, s0
	s_cbranch_vccnz .LBB329_2084
; %bb.2083:
	s_waitcnt vmcnt(0)
	v_cvt_i32_f32_e32 v3, v2
	global_store_b32 v[0:1], v3, off
.LBB329_2084:
	s_mov_b32 s0, 0
.LBB329_2085:
	s_delay_alu instid0(SALU_CYCLE_1)
	s_and_not1_b32 vcc_lo, exec_lo, s0
	s_cbranch_vccnz .LBB329_2087
; %bb.2086:
	s_waitcnt vmcnt(0)
	v_cvt_i32_f32_e32 v3, v2
	global_store_b16 v[0:1], v3, off
.LBB329_2087:
	s_mov_b32 s0, 0
.LBB329_2088:
	s_delay_alu instid0(SALU_CYCLE_1)
	s_and_not1_b32 vcc_lo, exec_lo, s0
	s_cbranch_vccnz .LBB329_2093
; %bb.2089:
	v_cmp_gt_i16_e64 s0, s2, 0
	s_delay_alu instid0(VALU_DEP_1)
	s_and_b32 vcc_lo, exec_lo, s0
	s_mov_b32 s0, -1
	s_cbranch_vccz .LBB329_2091
; %bb.2090:
	s_waitcnt vmcnt(0)
	v_cvt_i32_f32_e32 v3, v2
	s_mov_b32 s0, 0
	global_store_b8 v[0:1], v3, off
.LBB329_2091:
	s_and_not1_b32 vcc_lo, exec_lo, s0
	s_cbranch_vccnz .LBB329_2093
; %bb.2092:
	v_trunc_f32_e32 v2, v2
	s_waitcnt vmcnt(0)
	s_delay_alu instid0(VALU_DEP_1) | instskip(NEXT) | instid1(VALU_DEP_1)
	v_mul_f32_e64 v3, 0x2f800000, |v2|
	v_floor_f32_e32 v3, v3
	s_delay_alu instid0(VALU_DEP_1) | instskip(SKIP_1) | instid1(VALU_DEP_2)
	v_fma_f32 v3, 0xcf800000, v3, |v2|
	v_ashrrev_i32_e32 v2, 31, v2
	v_cvt_u32_f32_e32 v3, v3
	s_delay_alu instid0(VALU_DEP_1) | instskip(NEXT) | instid1(VALU_DEP_1)
	v_xor_b32_e32 v3, v3, v2
	v_sub_nc_u32_e32 v2, v3, v2
	global_store_b8 v[0:1], v2, off
	s_nop 0
	s_sendmsg sendmsg(MSG_DEALLOC_VGPRS)
	s_endpgm
.LBB329_2093:
	s_nop 0
	s_sendmsg sendmsg(MSG_DEALLOC_VGPRS)
	s_endpgm
.LBB329_2094:
	s_mov_b32 s0, 0
	s_branch .LBB329_2115
.LBB329_2095:
	s_or_saveexec_b32 s10, s10
                                        ; implicit-def: $sgpr11
	s_delay_alu instid0(SALU_CYCLE_1)
	s_xor_b32 exec_lo, exec_lo, s10
	s_cbranch_execz .LBB329_1951
.LBB329_2096:
	v_add_f32_e64 v4, 0x46000000, |v3|
	s_and_not1_b32 s7, s7, exec_lo
	s_mov_b32 s11, 0
	s_delay_alu instid0(VALU_DEP_1) | instskip(NEXT) | instid1(VALU_DEP_1)
	v_and_b32_e32 v4, 0xff, v4
	v_cmp_ne_u32_e32 vcc_lo, 0, v4
	s_and_b32 s12, vcc_lo, exec_lo
	s_delay_alu instid0(SALU_CYCLE_1)
	s_or_b32 s7, s7, s12
	s_or_b32 exec_lo, exec_lo, s10
	v_mov_b32_e32 v5, s11
	s_and_saveexec_b32 s10, s7
	s_cbranch_execnz .LBB329_1952
	s_branch .LBB329_1953
.LBB329_2097:
	s_mov_b32 s0, 0
	s_branch .LBB329_2111
.LBB329_2098:
	s_trap 2
	s_sendmsg_rtn_b32 s0, sendmsg(MSG_RTN_GET_DOORBELL)
	s_mov_b32 ttmp2, m0
	s_waitcnt lgkmcnt(0)
	s_and_b32 s0, s0, 0x3ff
	s_delay_alu instid0(SALU_CYCLE_1) | instskip(NEXT) | instid1(SALU_CYCLE_1)
	s_bitset1_b32 s0, 10
	s_mov_b32 m0, s0
	s_sendmsg sendmsg(MSG_INTERRUPT)
	s_mov_b32 m0, ttmp2
.LBB329_2099:                           ; =>This Inner Loop Header: Depth=1
	s_sethalt 5
	s_branch .LBB329_2099
.LBB329_2100:
	s_cbranch_execnz .LBB329_2175
; %bb.2101:
	s_or_b32 s1, s1, exec_lo
	s_cbranch_execz .LBB329_1999
	s_branch .LBB329_2000
.LBB329_2102:
	s_or_saveexec_b32 s7, s7
                                        ; implicit-def: $sgpr10
	s_delay_alu instid0(SALU_CYCLE_1)
	s_xor_b32 exec_lo, exec_lo, s7
	s_cbranch_execz .LBB329_1964
.LBB329_2103:
	v_add_f32_e64 v4, 0x42800000, |v3|
	s_and_not1_b32 s6, s6, exec_lo
	s_mov_b32 s10, 0
	s_delay_alu instid0(VALU_DEP_1) | instskip(NEXT) | instid1(VALU_DEP_1)
	v_and_b32_e32 v4, 0xff, v4
	v_cmp_ne_u32_e32 vcc_lo, 0, v4
	s_and_b32 s11, vcc_lo, exec_lo
	s_delay_alu instid0(SALU_CYCLE_1)
	s_or_b32 s6, s6, s11
	s_or_b32 exec_lo, exec_lo, s7
	v_mov_b32_e32 v5, s10
	s_and_saveexec_b32 s7, s6
	s_cbranch_execnz .LBB329_1965
	s_branch .LBB329_1966
.LBB329_2104:
	s_mov_b32 s0, 0
.LBB329_2105:
	s_and_b32 vcc_lo, exec_lo, s4
	s_cbranch_vccz .LBB329_2110
; %bb.2106:
	v_cmp_eq_u16_e64 s0, s2, 44
	s_delay_alu instid0(VALU_DEP_1)
	s_and_b32 vcc_lo, exec_lo, s0
	s_mov_b32 s0, -1
	s_cbranch_vccz .LBB329_2110
; %bb.2107:
	v_bfe_u32 v4, v2, 23, 8
	v_mov_b32_e32 v3, 0xff
	s_mov_b32 s4, exec_lo
	s_delay_alu instid0(VALU_DEP_2)
	v_cmpx_ne_u32_e32 0xff, v4
; %bb.2108:
	v_and_b32_e32 v3, 0x400000, v2
	v_and_or_b32 v4, 0x3fffff, v2, v4
	s_delay_alu instid0(VALU_DEP_2) | instskip(NEXT) | instid1(VALU_DEP_2)
	v_cmp_ne_u32_e32 vcc_lo, 0, v3
	v_cmp_ne_u32_e64 s0, 0, v4
	v_lshrrev_b32_e32 v3, 23, v2
	s_delay_alu instid0(VALU_DEP_2) | instskip(NEXT) | instid1(SALU_CYCLE_1)
	s_and_b32 s0, vcc_lo, s0
	v_cndmask_b32_e64 v4, 0, 1, s0
	s_delay_alu instid0(VALU_DEP_1)
	v_add_nc_u32_e32 v3, v3, v4
; %bb.2109:
	s_or_b32 exec_lo, exec_lo, s4
	s_mov_b32 s0, 0
	global_store_b8 v[0:1], v3, off
.LBB329_2110:
	s_mov_b32 s4, 0
.LBB329_2111:
	s_delay_alu instid0(SALU_CYCLE_1)
	s_and_b32 vcc_lo, exec_lo, s4
	s_cbranch_vccz .LBB329_2114
; %bb.2112:
	v_cmp_eq_u16_e64 s0, s2, 29
	s_delay_alu instid0(VALU_DEP_1)
	s_and_b32 vcc_lo, exec_lo, s0
	s_mov_b32 s0, -1
	s_cbranch_vccz .LBB329_2114
; %bb.2113:
	v_trunc_f32_e32 v3, v2
	s_mov_b32 s0, 0
	s_delay_alu instid0(VALU_DEP_1) | instskip(NEXT) | instid1(VALU_DEP_1)
	v_mul_f32_e32 v4, 0x2f800000, v3
	v_floor_f32_e32 v4, v4
	s_delay_alu instid0(VALU_DEP_1) | instskip(SKIP_1) | instid1(VALU_DEP_2)
	v_fmamk_f32 v3, v4, 0xcf800000, v3
	v_cvt_u32_f32_e32 v4, v4
	v_cvt_u32_f32_e32 v3, v3
	global_store_b64 v[0:1], v[3:4], off
.LBB329_2114:
	s_mov_b32 s4, 0
.LBB329_2115:
	s_delay_alu instid0(SALU_CYCLE_1)
	s_and_b32 vcc_lo, exec_lo, s4
	s_cbranch_vccz .LBB329_2130
; %bb.2116:
	v_cmp_lt_i16_e64 s4, s2, 27
	s_delay_alu instid0(VALU_DEP_1)
	s_and_b32 vcc_lo, exec_lo, s4
	s_mov_b32 s4, -1
	s_cbranch_vccnz .LBB329_2122
; %bb.2117:
	v_cmp_gt_i16_e64 s4, s2, 27
	v_cvt_u32_f32_e32 v3, v2
	s_delay_alu instid0(VALU_DEP_2)
	s_and_b32 vcc_lo, exec_lo, s4
	s_mov_b32 s4, -1
	s_cbranch_vccz .LBB329_2119
; %bb.2118:
	s_mov_b32 s4, 0
	global_store_b32 v[0:1], v3, off
.LBB329_2119:
	s_and_not1_b32 vcc_lo, exec_lo, s4
	s_cbranch_vccnz .LBB329_2121
; %bb.2120:
	global_store_b16 v[0:1], v3, off
.LBB329_2121:
	s_mov_b32 s4, 0
.LBB329_2122:
	s_delay_alu instid0(SALU_CYCLE_1)
	s_and_not1_b32 vcc_lo, exec_lo, s4
	s_cbranch_vccnz .LBB329_2130
; %bb.2123:
	v_and_b32_e32 v3, 0x7fffffff, v2
	v_mov_b32_e32 v4, 0x80
	s_mov_b32 s4, exec_lo
	s_delay_alu instid0(VALU_DEP_2)
	v_cmpx_gt_u32_e32 0x43800000, v3
	s_cbranch_execz .LBB329_2129
; %bb.2124:
	v_cmp_lt_u32_e32 vcc_lo, 0x3bffffff, v3
	s_mov_b32 s5, 0
                                        ; implicit-def: $vgpr3
	s_and_saveexec_b32 s6, vcc_lo
	s_delay_alu instid0(SALU_CYCLE_1)
	s_xor_b32 s6, exec_lo, s6
	s_cbranch_execz .LBB329_2173
; %bb.2125:
	v_bfe_u32 v3, v2, 20, 1
	s_mov_b32 s5, exec_lo
	s_delay_alu instid0(VALU_DEP_1) | instskip(NEXT) | instid1(VALU_DEP_1)
	v_add3_u32 v3, v2, v3, 0x487ffff
	v_lshrrev_b32_e32 v3, 20, v3
	s_or_saveexec_b32 s6, s6
                                        ; implicit-def: $sgpr7
	s_delay_alu instid0(SALU_CYCLE_1)
	s_xor_b32 exec_lo, exec_lo, s6
	s_cbranch_execnz .LBB329_2174
.LBB329_2126:
	s_or_b32 exec_lo, exec_lo, s6
	v_mov_b32_e32 v4, s7
	s_and_saveexec_b32 s6, s5
.LBB329_2127:
	v_lshrrev_b32_e32 v4, 24, v2
	s_delay_alu instid0(VALU_DEP_1)
	v_and_or_b32 v4, 0x80, v4, v3
.LBB329_2128:
	s_or_b32 exec_lo, exec_lo, s6
.LBB329_2129:
	s_delay_alu instid0(SALU_CYCLE_1)
	s_or_b32 exec_lo, exec_lo, s4
	global_store_b8 v[0:1], v4, off
.LBB329_2130:
	s_mov_b32 s4, 0
.LBB329_2131:
	s_delay_alu instid0(SALU_CYCLE_1)
	s_and_b32 vcc_lo, exec_lo, s4
	s_cbranch_vccz .LBB329_2171
; %bb.2132:
	v_cmp_gt_i16_e64 s3, s2, 22
	s_delay_alu instid0(VALU_DEP_1)
	s_and_b32 vcc_lo, exec_lo, s3
	s_mov_b32 s3, -1
	s_cbranch_vccz .LBB329_2164
; %bb.2133:
	v_cmp_lt_i16_e64 s3, s2, 24
	s_delay_alu instid0(VALU_DEP_1)
	s_and_b32 vcc_lo, exec_lo, s3
	s_mov_b32 s3, -1
	s_cbranch_vccnz .LBB329_2153
; %bb.2134:
	v_cmp_gt_i16_e64 s3, s2, 24
	s_delay_alu instid0(VALU_DEP_1)
	s_and_b32 vcc_lo, exec_lo, s3
	s_mov_b32 s3, -1
	s_cbranch_vccz .LBB329_2142
; %bb.2135:
	v_and_b32_e32 v3, 0x7fffffff, v2
	v_mov_b32_e32 v4, 0x80
	s_mov_b32 s3, exec_lo
	s_delay_alu instid0(VALU_DEP_2)
	v_cmpx_gt_u32_e32 0x47800000, v3
	s_cbranch_execz .LBB329_2141
; %bb.2136:
	v_cmp_lt_u32_e32 vcc_lo, 0x37ffffff, v3
	s_mov_b32 s4, 0
                                        ; implicit-def: $vgpr3
	s_and_saveexec_b32 s5, vcc_lo
	s_delay_alu instid0(SALU_CYCLE_1)
	s_xor_b32 s5, exec_lo, s5
	s_cbranch_execz .LBB329_2179
; %bb.2137:
	v_bfe_u32 v3, v2, 21, 1
	s_mov_b32 s4, exec_lo
	s_delay_alu instid0(VALU_DEP_1) | instskip(NEXT) | instid1(VALU_DEP_1)
	v_add3_u32 v3, v2, v3, 0x88fffff
	v_lshrrev_b32_e32 v3, 21, v3
	s_or_saveexec_b32 s5, s5
                                        ; implicit-def: $sgpr6
	s_delay_alu instid0(SALU_CYCLE_1)
	s_xor_b32 exec_lo, exec_lo, s5
	s_cbranch_execnz .LBB329_2180
.LBB329_2138:
	s_or_b32 exec_lo, exec_lo, s5
	v_mov_b32_e32 v4, s6
	s_and_saveexec_b32 s5, s4
.LBB329_2139:
	v_lshrrev_b32_e32 v4, 24, v2
	s_delay_alu instid0(VALU_DEP_1)
	v_and_or_b32 v4, 0x80, v4, v3
.LBB329_2140:
	s_or_b32 exec_lo, exec_lo, s5
.LBB329_2141:
	s_delay_alu instid0(SALU_CYCLE_1)
	s_or_b32 exec_lo, exec_lo, s3
	s_mov_b32 s3, 0
	global_store_b8 v[0:1], v4, off
.LBB329_2142:
	s_and_b32 vcc_lo, exec_lo, s3
	s_cbranch_vccz .LBB329_2152
; %bb.2143:
	v_and_b32_e32 v4, 0x7fffffff, v2
	s_mov_b32 s3, exec_lo
                                        ; implicit-def: $vgpr3
	s_delay_alu instid0(VALU_DEP_1)
	v_cmpx_gt_u32_e32 0x43f00000, v4
	s_xor_b32 s3, exec_lo, s3
	s_cbranch_execz .LBB329_2149
; %bb.2144:
	s_mov_b32 s4, exec_lo
                                        ; implicit-def: $vgpr3
	v_cmpx_lt_u32_e32 0x3c7fffff, v4
	s_xor_b32 s4, exec_lo, s4
; %bb.2145:
	v_bfe_u32 v3, v2, 20, 1
	s_delay_alu instid0(VALU_DEP_1) | instskip(NEXT) | instid1(VALU_DEP_1)
	v_add3_u32 v3, v2, v3, 0x407ffff
	v_and_b32_e32 v4, 0xff00000, v3
	v_lshrrev_b32_e32 v3, 20, v3
	s_delay_alu instid0(VALU_DEP_2) | instskip(NEXT) | instid1(VALU_DEP_2)
	v_cmp_ne_u32_e32 vcc_lo, 0x7f00000, v4
	v_cndmask_b32_e32 v3, 0x7e, v3, vcc_lo
; %bb.2146:
	s_and_not1_saveexec_b32 s4, s4
; %bb.2147:
	v_add_f32_e64 v3, 0x46800000, |v2|
; %bb.2148:
	s_or_b32 exec_lo, exec_lo, s4
                                        ; implicit-def: $vgpr4
.LBB329_2149:
	s_and_not1_saveexec_b32 s3, s3
; %bb.2150:
	v_mov_b32_e32 v3, 0x7f
	v_cmp_lt_u32_e32 vcc_lo, 0x7f800000, v4
	s_delay_alu instid0(VALU_DEP_2)
	v_cndmask_b32_e32 v3, 0x7e, v3, vcc_lo
; %bb.2151:
	s_or_b32 exec_lo, exec_lo, s3
	v_lshrrev_b32_e32 v4, 24, v2
	s_delay_alu instid0(VALU_DEP_1)
	v_and_or_b32 v3, 0x80, v4, v3
	global_store_b8 v[0:1], v3, off
.LBB329_2152:
	s_mov_b32 s3, 0
.LBB329_2153:
	s_delay_alu instid0(SALU_CYCLE_1)
	s_and_not1_b32 vcc_lo, exec_lo, s3
	s_cbranch_vccnz .LBB329_2163
; %bb.2154:
	v_and_b32_e32 v4, 0x7fffffff, v2
	s_mov_b32 s3, exec_lo
                                        ; implicit-def: $vgpr3
	s_delay_alu instid0(VALU_DEP_1)
	v_cmpx_gt_u32_e32 0x47800000, v4
	s_xor_b32 s3, exec_lo, s3
	s_cbranch_execz .LBB329_2160
; %bb.2155:
	s_mov_b32 s4, exec_lo
                                        ; implicit-def: $vgpr3
	v_cmpx_lt_u32_e32 0x387fffff, v4
	s_xor_b32 s4, exec_lo, s4
; %bb.2156:
	v_bfe_u32 v3, v2, 21, 1
	s_delay_alu instid0(VALU_DEP_1) | instskip(NEXT) | instid1(VALU_DEP_1)
	v_add3_u32 v3, v2, v3, 0x80fffff
	v_lshrrev_b32_e32 v3, 21, v3
; %bb.2157:
	s_and_not1_saveexec_b32 s4, s4
; %bb.2158:
	v_add_f32_e64 v3, 0x43000000, |v2|
; %bb.2159:
	s_or_b32 exec_lo, exec_lo, s4
                                        ; implicit-def: $vgpr4
.LBB329_2160:
	s_and_not1_saveexec_b32 s3, s3
; %bb.2161:
	v_mov_b32_e32 v3, 0x7f
	v_cmp_lt_u32_e32 vcc_lo, 0x7f800000, v4
	s_delay_alu instid0(VALU_DEP_2)
	v_cndmask_b32_e32 v3, 0x7c, v3, vcc_lo
; %bb.2162:
	s_or_b32 exec_lo, exec_lo, s3
	v_lshrrev_b32_e32 v4, 24, v2
	s_delay_alu instid0(VALU_DEP_1)
	v_and_or_b32 v3, 0x80, v4, v3
	global_store_b8 v[0:1], v3, off
.LBB329_2163:
	s_mov_b32 s3, 0
.LBB329_2164:
	s_delay_alu instid0(SALU_CYCLE_1)
	s_and_not1_b32 vcc_lo, exec_lo, s3
	s_mov_b32 s3, 0
	s_cbranch_vccnz .LBB329_2171
; %bb.2165:
	v_cmp_gt_i16_e64 s3, s2, 14
	s_delay_alu instid0(VALU_DEP_1)
	s_and_b32 vcc_lo, exec_lo, s3
	s_mov_b32 s3, -1
	s_cbranch_vccz .LBB329_2169
; %bb.2166:
	v_cmp_eq_u16_e64 s0, s2, 15
	s_delay_alu instid0(VALU_DEP_1)
	s_and_b32 vcc_lo, exec_lo, s0
	s_mov_b32 s0, -1
	s_cbranch_vccz .LBB329_2168
; %bb.2167:
	v_bfe_u32 v3, v2, 16, 1
	v_cmp_o_f32_e32 vcc_lo, v2, v2
	s_mov_b32 s0, 0
	s_delay_alu instid0(VALU_DEP_2) | instskip(NEXT) | instid1(VALU_DEP_1)
	v_add3_u32 v3, v2, v3, 0x7fff
	v_lshrrev_b32_e32 v3, 16, v3
	s_delay_alu instid0(VALU_DEP_1)
	v_cndmask_b32_e32 v3, 0x7fc0, v3, vcc_lo
	global_store_b16 v[0:1], v3, off
.LBB329_2168:
	s_mov_b32 s3, 0
.LBB329_2169:
	s_delay_alu instid0(SALU_CYCLE_1)
	s_and_b32 vcc_lo, exec_lo, s3
	s_mov_b32 s3, 0
	s_cbranch_vccz .LBB329_2171
; %bb.2170:
	v_cmp_ne_u16_e64 s0, s2, 11
	s_mov_b32 s3, -1
.LBB329_2171:
	s_delay_alu instid0(VALU_DEP_1)
	s_and_b32 vcc_lo, exec_lo, s0
	s_cbranch_vccnz .LBB329_2177
.LBB329_2172:
	s_mov_b32 s0, 0
	s_branch .LBB329_2050
.LBB329_2173:
	s_or_saveexec_b32 s6, s6
                                        ; implicit-def: $sgpr7
	s_delay_alu instid0(SALU_CYCLE_1)
	s_xor_b32 exec_lo, exec_lo, s6
	s_cbranch_execz .LBB329_2126
.LBB329_2174:
	v_add_f32_e64 v3, 0x46000000, |v2|
	s_and_not1_b32 s5, s5, exec_lo
	s_mov_b32 s7, 0
	s_delay_alu instid0(VALU_DEP_1) | instskip(NEXT) | instid1(VALU_DEP_1)
	v_and_b32_e32 v3, 0xff, v3
	v_cmp_ne_u32_e32 vcc_lo, 0, v3
	s_and_b32 s10, vcc_lo, exec_lo
	s_delay_alu instid0(SALU_CYCLE_1)
	s_or_b32 s5, s5, s10
	s_or_b32 exec_lo, exec_lo, s6
	v_mov_b32_e32 v4, s7
	s_and_saveexec_b32 s6, s5
	s_cbranch_execnz .LBB329_2127
	s_branch .LBB329_2128
.LBB329_2175:
	s_trap 2
	s_sendmsg_rtn_b32 s0, sendmsg(MSG_RTN_GET_DOORBELL)
	s_mov_b32 ttmp2, m0
	s_waitcnt lgkmcnt(0)
	s_and_b32 s0, s0, 0x3ff
	s_delay_alu instid0(SALU_CYCLE_1) | instskip(NEXT) | instid1(SALU_CYCLE_1)
	s_bitset1_b32 s0, 10
	s_mov_b32 m0, s0
	s_sendmsg sendmsg(MSG_INTERRUPT)
	s_mov_b32 m0, ttmp2
.LBB329_2176:                           ; =>This Inner Loop Header: Depth=1
	s_sethalt 5
	s_branch .LBB329_2176
.LBB329_2177:
	s_cbranch_execnz .LBB329_2181
; %bb.2178:
	s_mov_b32 s3, 0
	s_or_b32 s1, s1, exec_lo
	s_branch .LBB329_2172
.LBB329_2179:
	s_or_saveexec_b32 s5, s5
                                        ; implicit-def: $sgpr6
	s_delay_alu instid0(SALU_CYCLE_1)
	s_xor_b32 exec_lo, exec_lo, s5
	s_cbranch_execz .LBB329_2138
.LBB329_2180:
	v_add_f32_e64 v3, 0x42800000, |v2|
	s_and_not1_b32 s4, s4, exec_lo
	s_mov_b32 s6, 0
	s_delay_alu instid0(VALU_DEP_1) | instskip(NEXT) | instid1(VALU_DEP_1)
	v_and_b32_e32 v3, 0xff, v3
	v_cmp_ne_u32_e32 vcc_lo, 0, v3
	s_and_b32 s7, vcc_lo, exec_lo
	s_delay_alu instid0(SALU_CYCLE_1)
	s_or_b32 s4, s4, s7
	s_or_b32 exec_lo, exec_lo, s5
	v_mov_b32_e32 v4, s6
	s_and_saveexec_b32 s5, s4
	s_cbranch_execnz .LBB329_2139
	s_branch .LBB329_2140
.LBB329_2181:
	s_trap 2
	s_sendmsg_rtn_b32 s0, sendmsg(MSG_RTN_GET_DOORBELL)
	s_mov_b32 ttmp2, m0
	s_waitcnt lgkmcnt(0)
	s_and_b32 s0, s0, 0x3ff
	s_delay_alu instid0(SALU_CYCLE_1) | instskip(NEXT) | instid1(SALU_CYCLE_1)
	s_bitset1_b32 s0, 10
	s_mov_b32 m0, s0
	s_sendmsg sendmsg(MSG_INTERRUPT)
	s_mov_b32 m0, ttmp2
.LBB329_2182:                           ; =>This Inner Loop Header: Depth=1
	s_sethalt 5
	s_branch .LBB329_2182
	.section	.rodata,"a",@progbits
	.p2align	6, 0x0
	.amdhsa_kernel _ZN2at6native32elementwise_kernel_manual_unrollILi128ELi4EZNS0_15gpu_kernel_implIZZZNS0_17clamp_kernel_cudaERNS_18TensorIteratorBaseERKN3c106ScalarES8_ENKUlvE_clEvENKUlvE5_clEvEUlfE_EEvS4_RKT_EUlibE0_EEviT1_
		.amdhsa_group_segment_fixed_size 0
		.amdhsa_private_segment_fixed_size 0
		.amdhsa_kernarg_size 368
		.amdhsa_user_sgpr_count 15
		.amdhsa_user_sgpr_dispatch_ptr 0
		.amdhsa_user_sgpr_queue_ptr 0
		.amdhsa_user_sgpr_kernarg_segment_ptr 1
		.amdhsa_user_sgpr_dispatch_id 0
		.amdhsa_user_sgpr_private_segment_size 0
		.amdhsa_wavefront_size32 1
		.amdhsa_uses_dynamic_stack 0
		.amdhsa_enable_private_segment 0
		.amdhsa_system_sgpr_workgroup_id_x 1
		.amdhsa_system_sgpr_workgroup_id_y 0
		.amdhsa_system_sgpr_workgroup_id_z 0
		.amdhsa_system_sgpr_workgroup_info 0
		.amdhsa_system_vgpr_workitem_id 0
		.amdhsa_next_free_vgpr 18
		.amdhsa_next_free_sgpr 68
		.amdhsa_reserve_vcc 1
		.amdhsa_float_round_mode_32 0
		.amdhsa_float_round_mode_16_64 0
		.amdhsa_float_denorm_mode_32 3
		.amdhsa_float_denorm_mode_16_64 3
		.amdhsa_dx10_clamp 1
		.amdhsa_ieee_mode 1
		.amdhsa_fp16_overflow 0
		.amdhsa_workgroup_processor_mode 1
		.amdhsa_memory_ordered 1
		.amdhsa_forward_progress 0
		.amdhsa_shared_vgpr_count 0
		.amdhsa_exception_fp_ieee_invalid_op 0
		.amdhsa_exception_fp_denorm_src 0
		.amdhsa_exception_fp_ieee_div_zero 0
		.amdhsa_exception_fp_ieee_overflow 0
		.amdhsa_exception_fp_ieee_underflow 0
		.amdhsa_exception_fp_ieee_inexact 0
		.amdhsa_exception_int_div_zero 0
	.end_amdhsa_kernel
	.section	.text._ZN2at6native32elementwise_kernel_manual_unrollILi128ELi4EZNS0_15gpu_kernel_implIZZZNS0_17clamp_kernel_cudaERNS_18TensorIteratorBaseERKN3c106ScalarES8_ENKUlvE_clEvENKUlvE5_clEvEUlfE_EEvS4_RKT_EUlibE0_EEviT1_,"axG",@progbits,_ZN2at6native32elementwise_kernel_manual_unrollILi128ELi4EZNS0_15gpu_kernel_implIZZZNS0_17clamp_kernel_cudaERNS_18TensorIteratorBaseERKN3c106ScalarES8_ENKUlvE_clEvENKUlvE5_clEvEUlfE_EEvS4_RKT_EUlibE0_EEviT1_,comdat
.Lfunc_end329:
	.size	_ZN2at6native32elementwise_kernel_manual_unrollILi128ELi4EZNS0_15gpu_kernel_implIZZZNS0_17clamp_kernel_cudaERNS_18TensorIteratorBaseERKN3c106ScalarES8_ENKUlvE_clEvENKUlvE5_clEvEUlfE_EEvS4_RKT_EUlibE0_EEviT1_, .Lfunc_end329-_ZN2at6native32elementwise_kernel_manual_unrollILi128ELi4EZNS0_15gpu_kernel_implIZZZNS0_17clamp_kernel_cudaERNS_18TensorIteratorBaseERKN3c106ScalarES8_ENKUlvE_clEvENKUlvE5_clEvEUlfE_EEvS4_RKT_EUlibE0_EEviT1_
                                        ; -- End function
	.section	.AMDGPU.csdata,"",@progbits
; Kernel info:
; codeLenInByte = 43080
; NumSgprs: 70
; NumVgprs: 18
; ScratchSize: 0
; MemoryBound: 1
; FloatMode: 240
; IeeeMode: 1
; LDSByteSize: 0 bytes/workgroup (compile time only)
; SGPRBlocks: 8
; VGPRBlocks: 2
; NumSGPRsForWavesPerEU: 70
; NumVGPRsForWavesPerEU: 18
; Occupancy: 16
; WaveLimiterHint : 1
; COMPUTE_PGM_RSRC2:SCRATCH_EN: 0
; COMPUTE_PGM_RSRC2:USER_SGPR: 15
; COMPUTE_PGM_RSRC2:TRAP_HANDLER: 0
; COMPUTE_PGM_RSRC2:TGID_X_EN: 1
; COMPUTE_PGM_RSRC2:TGID_Y_EN: 0
; COMPUTE_PGM_RSRC2:TGID_Z_EN: 0
; COMPUTE_PGM_RSRC2:TIDIG_COMP_CNT: 0
	.section	.text._ZN2at6native29vectorized_elementwise_kernelILi16EZZZNS0_17clamp_kernel_cudaERNS_18TensorIteratorBaseERKN3c106ScalarES7_ENKUlvE_clEvENKUlvE6_clEvEUlNS4_4HalfEE_St5arrayIPcLm2EEEEviT0_T1_,"axG",@progbits,_ZN2at6native29vectorized_elementwise_kernelILi16EZZZNS0_17clamp_kernel_cudaERNS_18TensorIteratorBaseERKN3c106ScalarES7_ENKUlvE_clEvENKUlvE6_clEvEUlNS4_4HalfEE_St5arrayIPcLm2EEEEviT0_T1_,comdat
	.globl	_ZN2at6native29vectorized_elementwise_kernelILi16EZZZNS0_17clamp_kernel_cudaERNS_18TensorIteratorBaseERKN3c106ScalarES7_ENKUlvE_clEvENKUlvE6_clEvEUlNS4_4HalfEE_St5arrayIPcLm2EEEEviT0_T1_ ; -- Begin function _ZN2at6native29vectorized_elementwise_kernelILi16EZZZNS0_17clamp_kernel_cudaERNS_18TensorIteratorBaseERKN3c106ScalarES7_ENKUlvE_clEvENKUlvE6_clEvEUlNS4_4HalfEE_St5arrayIPcLm2EEEEviT0_T1_
	.p2align	8
	.type	_ZN2at6native29vectorized_elementwise_kernelILi16EZZZNS0_17clamp_kernel_cudaERNS_18TensorIteratorBaseERKN3c106ScalarES7_ENKUlvE_clEvENKUlvE6_clEvEUlNS4_4HalfEE_St5arrayIPcLm2EEEEviT0_T1_,@function
_ZN2at6native29vectorized_elementwise_kernelILi16EZZZNS0_17clamp_kernel_cudaERNS_18TensorIteratorBaseERKN3c106ScalarES7_ENKUlvE_clEvENKUlvE6_clEvEUlNS4_4HalfEE_St5arrayIPcLm2EEEEviT0_T1_: ; @_ZN2at6native29vectorized_elementwise_kernelILi16EZZZNS0_17clamp_kernel_cudaERNS_18TensorIteratorBaseERKN3c106ScalarES7_ENKUlvE_clEvENKUlvE6_clEvEUlNS4_4HalfEE_St5arrayIPcLm2EEEEviT0_T1_
; %bb.0:
	s_clause 0x1
	s_load_b64 s[8:9], s[0:1], 0x0
	s_load_b128 s[4:7], s[0:1], 0x8
	s_lshl_b32 s2, s15, 11
	s_mov_b32 s0, -1
	s_waitcnt lgkmcnt(0)
	s_sub_i32 s1, s8, s2
	s_delay_alu instid0(SALU_CYCLE_1)
	s_cmpk_gt_i32 s1, 0x7ff
	s_cbranch_scc0 .LBB330_2
; %bb.1:
	s_ashr_i32 s3, s2, 31
	v_lshlrev_b32_e32 v5, 4, v0
	s_lshl_b64 s[10:11], s[2:3], 1
	s_lshr_b32 s0, s9, 16
	s_add_u32 s12, s6, s10
	s_addc_u32 s13, s7, s11
	s_add_u32 s10, s4, s10
	global_load_b128 v[1:4], v5, s[12:13]
	s_addc_u32 s11, s5, s11
	s_waitcnt vmcnt(0)
	v_cmp_lt_f16_e32 vcc_lo, s9, v1
	v_lshrrev_b32_e32 v6, 16, v1
	v_lshrrev_b32_e32 v7, 16, v2
	;; [unrolled: 1-line block ×4, first 2 shown]
	v_cndmask_b32_e32 v10, s9, v1, vcc_lo
	v_cmp_lt_f16_e32 vcc_lo, s9, v2
	v_cndmask_b32_e32 v11, s9, v2, vcc_lo
	v_cmp_lt_f16_e32 vcc_lo, s9, v3
	;; [unrolled: 2-line block ×3, first 2 shown]
	v_cndmask_b32_e32 v13, s9, v4, vcc_lo
	v_cmp_gt_f16_e32 vcc_lo, s0, v10
	v_cndmask_b32_e32 v10, s0, v10, vcc_lo
	v_cmp_lt_f16_e32 vcc_lo, s9, v6
	v_cndmask_b32_e32 v14, s9, v6, vcc_lo
	v_cmp_gt_f16_e32 vcc_lo, s0, v11
	v_cndmask_b32_e32 v11, s0, v11, vcc_lo
	v_cmp_lt_f16_e32 vcc_lo, s9, v7
	;; [unrolled: 4-line block ×4, first 2 shown]
	v_cndmask_b32_e32 v17, s9, v9, vcc_lo
	v_cmp_u_f16_e32 vcc_lo, v1, v1
	v_cndmask_b32_e32 v1, v10, v1, vcc_lo
	v_cmp_gt_f16_e32 vcc_lo, s0, v14
	v_cndmask_b32_e32 v10, s0, v14, vcc_lo
	v_cmp_u_f16_e32 vcc_lo, v2, v2
	v_cndmask_b32_e32 v2, v11, v2, vcc_lo
	v_cmp_gt_f16_e32 vcc_lo, s0, v15
	;; [unrolled: 4-line block ×3, first 2 shown]
	v_cndmask_b32_e32 v12, s0, v16, vcc_lo
	v_cmp_gt_f16_e32 vcc_lo, s0, v17
	v_cndmask_b32_e32 v14, s0, v17, vcc_lo
	v_cmp_u_f16_e32 vcc_lo, v4, v4
	s_mov_b32 s0, 0
	v_cndmask_b32_e32 v4, v13, v4, vcc_lo
	v_cmp_u_f16_e32 vcc_lo, v7, v7
	v_cndmask_b32_e32 v7, v11, v7, vcc_lo
	v_cmp_u_f16_e32 vcc_lo, v9, v9
	;; [unrolled: 2-line block ×3, first 2 shown]
	s_delay_alu instid0(VALU_DEP_2) | instskip(SKIP_3) | instid1(VALU_DEP_3)
	v_perm_b32 v4, v9, v4, 0x5040100
	v_cndmask_b32_e32 v8, v12, v8, vcc_lo
	v_cmp_u_f16_e32 vcc_lo, v6, v6
	v_perm_b32 v2, v7, v2, 0x5040100
	v_perm_b32 v3, v8, v3, 0x5040100
	v_cndmask_b32_e32 v6, v10, v6, vcc_lo
	s_delay_alu instid0(VALU_DEP_1)
	v_perm_b32 v1, v6, v1, 0x5040100
	global_store_b128 v5, v[1:4], s[10:11]
.LBB330_2:
	s_and_not1_b32 vcc_lo, exec_lo, s0
	s_cbranch_vccnz .LBB330_43
; %bb.3:
	v_cmp_gt_i32_e32 vcc_lo, s1, v0
	v_dual_mov_b32 v4, 0 :: v_dual_mov_b32 v5, 0
	v_or_b32_e32 v1, s2, v0
	v_or_b32_e32 v3, 0x100, v0
	v_mov_b32_e32 v9, v0
	s_and_saveexec_b32 s3, vcc_lo
	s_cbranch_execz .LBB330_5
; %bb.4:
	v_mov_b32_e32 v2, 0
	v_or_b32_e32 v9, 0x100, v0
	s_delay_alu instid0(VALU_DEP_2) | instskip(NEXT) | instid1(VALU_DEP_1)
	v_lshlrev_b64 v[5:6], 1, v[1:2]
	v_add_co_u32 v5, s0, s6, v5
	s_delay_alu instid0(VALU_DEP_1)
	v_add_co_ci_u32_e64 v6, s0, s7, v6, s0
	global_load_u16 v5, v[5:6], off
.LBB330_5:
	s_or_b32 exec_lo, exec_lo, s3
	s_delay_alu instid0(SALU_CYCLE_1)
	s_mov_b32 s3, exec_lo
	v_cmpx_gt_i32_e64 s1, v9
	s_cbranch_execz .LBB330_7
; %bb.6:
	v_dual_mov_b32 v7, 0 :: v_dual_add_nc_u32 v6, s2, v9
	v_add_nc_u32_e32 v9, 0x100, v9
	s_delay_alu instid0(VALU_DEP_2) | instskip(NEXT) | instid1(VALU_DEP_1)
	v_lshlrev_b64 v[6:7], 1, v[6:7]
	v_add_co_u32 v6, s0, s6, v6
	s_delay_alu instid0(VALU_DEP_1)
	v_add_co_ci_u32_e64 v7, s0, s7, v7, s0
	global_load_u16 v4, v[6:7], off
.LBB330_7:
	s_or_b32 exec_lo, exec_lo, s3
	v_dual_mov_b32 v2, 0 :: v_dual_mov_b32 v7, 0
	s_mov_b32 s3, exec_lo
	v_cmpx_gt_i32_e64 s1, v9
	s_cbranch_execz .LBB330_9
; %bb.8:
	v_dual_mov_b32 v7, 0 :: v_dual_add_nc_u32 v6, s2, v9
	v_add_nc_u32_e32 v9, 0x100, v9
	s_delay_alu instid0(VALU_DEP_2) | instskip(NEXT) | instid1(VALU_DEP_1)
	v_lshlrev_b64 v[6:7], 1, v[6:7]
	v_add_co_u32 v6, s0, s6, v6
	s_delay_alu instid0(VALU_DEP_1)
	v_add_co_ci_u32_e64 v7, s0, s7, v7, s0
	global_load_u16 v7, v[6:7], off
.LBB330_9:
	s_or_b32 exec_lo, exec_lo, s3
	s_delay_alu instid0(SALU_CYCLE_1)
	s_mov_b32 s3, exec_lo
	v_cmpx_gt_i32_e64 s1, v9
	s_cbranch_execz .LBB330_11
; %bb.10:
	v_dual_mov_b32 v11, 0 :: v_dual_add_nc_u32 v10, s2, v9
	v_add_nc_u32_e32 v9, 0x100, v9
	s_delay_alu instid0(VALU_DEP_2) | instskip(NEXT) | instid1(VALU_DEP_1)
	v_lshlrev_b64 v[10:11], 1, v[10:11]
	v_add_co_u32 v10, s0, s6, v10
	s_delay_alu instid0(VALU_DEP_1)
	v_add_co_ci_u32_e64 v11, s0, s7, v11, s0
	global_load_u16 v2, v[10:11], off
.LBB330_11:
	s_or_b32 exec_lo, exec_lo, s3
	v_mov_b32_e32 v6, 0
	v_mov_b32_e32 v10, 0
	s_mov_b32 s3, exec_lo
	v_cmpx_gt_i32_e64 s1, v9
	s_cbranch_execz .LBB330_13
; %bb.12:
	v_dual_mov_b32 v11, 0 :: v_dual_add_nc_u32 v10, s2, v9
	v_add_nc_u32_e32 v9, 0x100, v9
	s_delay_alu instid0(VALU_DEP_2) | instskip(NEXT) | instid1(VALU_DEP_1)
	v_lshlrev_b64 v[10:11], 1, v[10:11]
	v_add_co_u32 v10, s0, s6, v10
	s_delay_alu instid0(VALU_DEP_1)
	v_add_co_ci_u32_e64 v11, s0, s7, v11, s0
	global_load_u16 v10, v[10:11], off
.LBB330_13:
	s_or_b32 exec_lo, exec_lo, s3
	s_delay_alu instid0(SALU_CYCLE_1)
	s_mov_b32 s3, exec_lo
	v_cmpx_gt_i32_e64 s1, v9
	s_cbranch_execz .LBB330_15
; %bb.14:
	v_dual_mov_b32 v12, 0 :: v_dual_add_nc_u32 v11, s2, v9
	v_add_nc_u32_e32 v9, 0x100, v9
	s_delay_alu instid0(VALU_DEP_2) | instskip(NEXT) | instid1(VALU_DEP_1)
	v_lshlrev_b64 v[11:12], 1, v[11:12]
	v_add_co_u32 v11, s0, s6, v11
	s_delay_alu instid0(VALU_DEP_1)
	v_add_co_ci_u32_e64 v12, s0, s7, v12, s0
	global_load_u16 v6, v[11:12], off
.LBB330_15:
	s_or_b32 exec_lo, exec_lo, s3
	v_mov_b32_e32 v8, 0
	v_mov_b32_e32 v14, 0
	s_mov_b32 s3, exec_lo
	v_cmpx_gt_i32_e64 s1, v9
	s_cbranch_execz .LBB330_17
; %bb.16:
	v_dual_mov_b32 v12, 0 :: v_dual_add_nc_u32 v11, s2, v9
	v_add_nc_u32_e32 v9, 0x100, v9
	s_delay_alu instid0(VALU_DEP_2) | instskip(NEXT) | instid1(VALU_DEP_1)
	v_lshlrev_b64 v[11:12], 1, v[11:12]
	v_add_co_u32 v11, s0, s6, v11
	s_delay_alu instid0(VALU_DEP_1) | instskip(SKIP_2) | instid1(SALU_CYCLE_1)
	v_add_co_ci_u32_e64 v12, s0, s7, v12, s0
	global_load_u16 v14, v[11:12], off
	s_or_b32 exec_lo, exec_lo, s3
	s_mov_b32 s3, exec_lo
	v_cmpx_gt_i32_e64 s1, v9
	s_cbranch_execz .LBB330_19
	s_branch .LBB330_18
.LBB330_17:
	s_or_b32 exec_lo, exec_lo, s3
	s_delay_alu instid0(SALU_CYCLE_1)
	s_mov_b32 s3, exec_lo
	v_cmpx_gt_i32_e64 s1, v9
	s_cbranch_execz .LBB330_19
.LBB330_18:
	v_dual_mov_b32 v9, 0 :: v_dual_add_nc_u32 v8, s2, v9
	s_delay_alu instid0(VALU_DEP_1) | instskip(NEXT) | instid1(VALU_DEP_1)
	v_lshlrev_b64 v[8:9], 1, v[8:9]
	v_add_co_u32 v8, s0, s6, v8
	s_delay_alu instid0(VALU_DEP_1)
	v_add_co_ci_u32_e64 v9, s0, s7, v9, s0
	global_load_u16 v8, v[8:9], off
.LBB330_19:
	s_or_b32 exec_lo, exec_lo, s3
	s_lshr_b32 s3, s9, 16
                                        ; implicit-def: $vgpr15
	s_and_saveexec_b32 s6, vcc_lo
	s_cbranch_execz .LBB330_21
; %bb.20:
	s_waitcnt vmcnt(0)
	v_cmp_lt_f16_e64 s0, s9, v5
	s_delay_alu instid0(VALU_DEP_1) | instskip(NEXT) | instid1(VALU_DEP_1)
	v_cndmask_b32_e64 v9, s9, v5, s0
	v_cmp_gt_f16_e64 s0, s3, v9
	s_delay_alu instid0(VALU_DEP_1) | instskip(SKIP_1) | instid1(VALU_DEP_1)
	v_cndmask_b32_e64 v9, s3, v9, s0
	v_cmp_u_f16_e64 s0, v5, v5
	v_cndmask_b32_e64 v15, v9, v5, s0
.LBB330_21:
	s_or_b32 exec_lo, exec_lo, s6
	s_delay_alu instid0(SALU_CYCLE_1)
	s_mov_b32 s6, exec_lo
                                        ; implicit-def: $vgpr13
	v_cmpx_gt_i32_e64 s1, v3
	s_cbranch_execz .LBB330_23
; %bb.22:
	s_waitcnt vmcnt(0)
	v_cmp_lt_f16_e64 s0, s9, v4
	s_delay_alu instid0(VALU_DEP_1) | instskip(NEXT) | instid1(VALU_DEP_1)
	v_cndmask_b32_e64 v5, s9, v4, s0
	v_cmp_gt_f16_e64 s0, s3, v5
	s_delay_alu instid0(VALU_DEP_1) | instskip(SKIP_1) | instid1(VALU_DEP_1)
	v_cndmask_b32_e64 v5, s3, v5, s0
	v_cmp_u_f16_e64 s0, v4, v4
	v_cndmask_b32_e64 v13, v5, v4, s0
.LBB330_23:
	s_or_b32 exec_lo, exec_lo, s6
	s_waitcnt vmcnt(0)
	v_or_b32_e32 v4, 0x200, v0
	s_mov_b32 s6, exec_lo
                                        ; implicit-def: $vgpr12
	s_delay_alu instid0(VALU_DEP_1)
	v_cmpx_gt_i32_e64 s1, v4
; %bb.24:
	v_cmp_lt_f16_e64 s0, s9, v7
	s_delay_alu instid0(VALU_DEP_1) | instskip(NEXT) | instid1(VALU_DEP_1)
	v_cndmask_b32_e64 v4, s9, v7, s0
	v_cmp_gt_f16_e64 s0, s3, v4
	s_delay_alu instid0(VALU_DEP_1) | instskip(SKIP_1) | instid1(VALU_DEP_1)
	v_cndmask_b32_e64 v4, s3, v4, s0
	v_cmp_u_f16_e64 s0, v7, v7
	v_cndmask_b32_e64 v12, v4, v7, s0
; %bb.25:
	s_or_b32 exec_lo, exec_lo, s6
	v_or_b32_e32 v4, 0x300, v0
	s_mov_b32 s6, exec_lo
                                        ; implicit-def: $vgpr11
	s_delay_alu instid0(VALU_DEP_1)
	v_cmpx_gt_i32_e64 s1, v4
; %bb.26:
	v_cmp_lt_f16_e64 s0, s9, v2
	s_delay_alu instid0(VALU_DEP_1) | instskip(NEXT) | instid1(VALU_DEP_1)
	v_cndmask_b32_e64 v4, s9, v2, s0
	v_cmp_gt_f16_e64 s0, s3, v4
	s_delay_alu instid0(VALU_DEP_1) | instskip(SKIP_1) | instid1(VALU_DEP_1)
	v_cndmask_b32_e64 v4, s3, v4, s0
	v_cmp_u_f16_e64 s0, v2, v2
	v_cndmask_b32_e64 v11, v4, v2, s0
; %bb.27:
	s_or_b32 exec_lo, exec_lo, s6
	v_or_b32_e32 v2, 0x400, v0
	s_mov_b32 s6, exec_lo
                                        ; implicit-def: $vgpr9
	s_delay_alu instid0(VALU_DEP_1)
	v_cmpx_gt_i32_e64 s1, v2
; %bb.28:
	v_cmp_lt_f16_e64 s0, s9, v10
	s_delay_alu instid0(VALU_DEP_1) | instskip(NEXT) | instid1(VALU_DEP_1)
	v_cndmask_b32_e64 v2, s9, v10, s0
	v_cmp_gt_f16_e64 s0, s3, v2
	s_delay_alu instid0(VALU_DEP_1) | instskip(SKIP_1) | instid1(VALU_DEP_1)
	v_cndmask_b32_e64 v2, s3, v2, s0
	v_cmp_u_f16_e64 s0, v10, v10
	v_cndmask_b32_e64 v9, v2, v10, s0
; %bb.29:
	s_or_b32 exec_lo, exec_lo, s6
	v_or_b32_e32 v2, 0x500, v0
	s_mov_b32 s6, exec_lo
                                        ; implicit-def: $vgpr7
	s_delay_alu instid0(VALU_DEP_1)
	v_cmpx_gt_i32_e64 s1, v2
; %bb.30:
	v_cmp_lt_f16_e64 s0, s9, v6
	s_delay_alu instid0(VALU_DEP_1) | instskip(NEXT) | instid1(VALU_DEP_1)
	v_cndmask_b32_e64 v2, s9, v6, s0
	v_cmp_gt_f16_e64 s0, s3, v2
	s_delay_alu instid0(VALU_DEP_1) | instskip(SKIP_1) | instid1(VALU_DEP_1)
	v_cndmask_b32_e64 v2, s3, v2, s0
	v_cmp_u_f16_e64 s0, v6, v6
	v_cndmask_b32_e64 v7, v2, v6, s0
; %bb.31:
	s_or_b32 exec_lo, exec_lo, s6
	v_or_b32_e32 v2, 0x600, v0
	s_mov_b32 s6, exec_lo
                                        ; implicit-def: $vgpr5
	s_delay_alu instid0(VALU_DEP_1)
	v_cmpx_gt_i32_e64 s1, v2
; %bb.32:
	v_cmp_lt_f16_e64 s0, s9, v14
	s_delay_alu instid0(VALU_DEP_1) | instskip(NEXT) | instid1(VALU_DEP_1)
	v_cndmask_b32_e64 v2, s9, v14, s0
	v_cmp_gt_f16_e64 s0, s3, v2
	s_delay_alu instid0(VALU_DEP_1) | instskip(SKIP_1) | instid1(VALU_DEP_1)
	v_cndmask_b32_e64 v2, s3, v2, s0
	v_cmp_u_f16_e64 s0, v14, v14
	v_cndmask_b32_e64 v5, v2, v14, s0
; %bb.33:
	s_or_b32 exec_lo, exec_lo, s6
	v_or_b32_e32 v2, 0x700, v0
	s_mov_b32 s6, exec_lo
                                        ; implicit-def: $vgpr4
	s_delay_alu instid0(VALU_DEP_1)
	v_cmpx_gt_i32_e64 s1, v2
	s_cbranch_execz .LBB330_44
; %bb.34:
	v_cmp_lt_f16_e64 s0, s9, v8
	s_delay_alu instid0(VALU_DEP_1) | instskip(NEXT) | instid1(VALU_DEP_1)
	v_cndmask_b32_e64 v2, s9, v8, s0
	v_cmp_gt_f16_e64 s0, s3, v2
	s_delay_alu instid0(VALU_DEP_1) | instskip(SKIP_1) | instid1(VALU_DEP_1)
	v_cndmask_b32_e64 v2, s3, v2, s0
	v_cmp_u_f16_e64 s0, v8, v8
	v_cndmask_b32_e64 v4, v2, v8, s0
	s_or_b32 exec_lo, exec_lo, s6
	s_and_saveexec_b32 s0, vcc_lo
	s_delay_alu instid0(SALU_CYCLE_1)
	s_xor_b32 s0, exec_lo, s0
	s_cbranch_execnz .LBB330_45
.LBB330_35:
	s_or_b32 exec_lo, exec_lo, s0
	s_delay_alu instid0(SALU_CYCLE_1)
	s_mov_b32 s0, exec_lo
	v_cmpx_gt_i32_e64 s1, v0
	s_cbranch_execz .LBB330_46
.LBB330_36:
	v_dual_mov_b32 v2, 0 :: v_dual_add_nc_u32 v1, s2, v0
	v_add_nc_u32_e32 v0, 0x100, v0
	s_delay_alu instid0(VALU_DEP_2) | instskip(NEXT) | instid1(VALU_DEP_1)
	v_lshlrev_b64 v[1:2], 1, v[1:2]
	v_add_co_u32 v1, vcc_lo, s4, v1
	s_delay_alu instid0(VALU_DEP_2) | instskip(SKIP_2) | instid1(SALU_CYCLE_1)
	v_add_co_ci_u32_e32 v2, vcc_lo, s5, v2, vcc_lo
	global_store_b16 v[1:2], v13, off
	s_or_b32 exec_lo, exec_lo, s0
	s_mov_b32 s0, exec_lo
	v_cmpx_gt_i32_e64 s1, v0
	s_cbranch_execnz .LBB330_47
.LBB330_37:
	s_or_b32 exec_lo, exec_lo, s0
	s_delay_alu instid0(SALU_CYCLE_1)
	s_mov_b32 s0, exec_lo
	v_cmpx_gt_i32_e64 s1, v0
	s_cbranch_execz .LBB330_48
.LBB330_38:
	v_dual_mov_b32 v2, 0 :: v_dual_add_nc_u32 v1, s2, v0
	v_add_nc_u32_e32 v0, 0x100, v0
	s_delay_alu instid0(VALU_DEP_2) | instskip(NEXT) | instid1(VALU_DEP_1)
	v_lshlrev_b64 v[1:2], 1, v[1:2]
	v_add_co_u32 v1, vcc_lo, s4, v1
	s_delay_alu instid0(VALU_DEP_2) | instskip(SKIP_2) | instid1(SALU_CYCLE_1)
	v_add_co_ci_u32_e32 v2, vcc_lo, s5, v2, vcc_lo
	global_store_b16 v[1:2], v11, off
	s_or_b32 exec_lo, exec_lo, s0
	s_mov_b32 s0, exec_lo
	v_cmpx_gt_i32_e64 s1, v0
	s_cbranch_execnz .LBB330_49
.LBB330_39:
	s_or_b32 exec_lo, exec_lo, s0
	s_delay_alu instid0(SALU_CYCLE_1)
	s_mov_b32 s0, exec_lo
	v_cmpx_gt_i32_e64 s1, v0
	s_cbranch_execz .LBB330_50
.LBB330_40:
	v_dual_mov_b32 v2, 0 :: v_dual_add_nc_u32 v1, s2, v0
	v_add_nc_u32_e32 v0, 0x100, v0
	s_delay_alu instid0(VALU_DEP_2) | instskip(NEXT) | instid1(VALU_DEP_1)
	v_lshlrev_b64 v[1:2], 1, v[1:2]
	v_add_co_u32 v1, vcc_lo, s4, v1
	s_delay_alu instid0(VALU_DEP_2) | instskip(SKIP_2) | instid1(SALU_CYCLE_1)
	v_add_co_ci_u32_e32 v2, vcc_lo, s5, v2, vcc_lo
	global_store_b16 v[1:2], v7, off
	s_or_b32 exec_lo, exec_lo, s0
	s_mov_b32 s0, exec_lo
	v_cmpx_gt_i32_e64 s1, v0
	s_cbranch_execnz .LBB330_51
.LBB330_41:
	s_or_b32 exec_lo, exec_lo, s0
	s_delay_alu instid0(SALU_CYCLE_1)
	s_mov_b32 s0, exec_lo
	v_cmpx_gt_i32_e64 s1, v0
	s_cbranch_execz .LBB330_43
.LBB330_42:
	v_dual_mov_b32 v1, 0 :: v_dual_add_nc_u32 v0, s2, v0
	s_delay_alu instid0(VALU_DEP_1) | instskip(NEXT) | instid1(VALU_DEP_1)
	v_lshlrev_b64 v[0:1], 1, v[0:1]
	v_add_co_u32 v0, vcc_lo, s4, v0
	s_delay_alu instid0(VALU_DEP_2)
	v_add_co_ci_u32_e32 v1, vcc_lo, s5, v1, vcc_lo
	global_store_b16 v[0:1], v4, off
.LBB330_43:
	s_nop 0
	s_sendmsg sendmsg(MSG_DEALLOC_VGPRS)
	s_endpgm
.LBB330_44:
	s_or_b32 exec_lo, exec_lo, s6
	s_and_saveexec_b32 s0, vcc_lo
	s_delay_alu instid0(SALU_CYCLE_1)
	s_xor_b32 s0, exec_lo, s0
	s_cbranch_execz .LBB330_35
.LBB330_45:
	v_mov_b32_e32 v2, 0
	s_delay_alu instid0(VALU_DEP_1) | instskip(NEXT) | instid1(VALU_DEP_1)
	v_lshlrev_b64 v[0:1], 1, v[1:2]
	v_add_co_u32 v16, vcc_lo, s4, v0
	s_delay_alu instid0(VALU_DEP_2) | instskip(SKIP_3) | instid1(SALU_CYCLE_1)
	v_add_co_ci_u32_e32 v17, vcc_lo, s5, v1, vcc_lo
	v_mov_b32_e32 v0, v3
	global_store_b16 v[16:17], v15, off
	s_or_b32 exec_lo, exec_lo, s0
	s_mov_b32 s0, exec_lo
	v_cmpx_gt_i32_e64 s1, v0
	s_cbranch_execnz .LBB330_36
.LBB330_46:
	s_or_b32 exec_lo, exec_lo, s0
	s_delay_alu instid0(SALU_CYCLE_1)
	s_mov_b32 s0, exec_lo
	v_cmpx_gt_i32_e64 s1, v0
	s_cbranch_execz .LBB330_37
.LBB330_47:
	v_dual_mov_b32 v2, 0 :: v_dual_add_nc_u32 v1, s2, v0
	v_add_nc_u32_e32 v0, 0x100, v0
	s_delay_alu instid0(VALU_DEP_2) | instskip(NEXT) | instid1(VALU_DEP_1)
	v_lshlrev_b64 v[1:2], 1, v[1:2]
	v_add_co_u32 v1, vcc_lo, s4, v1
	s_delay_alu instid0(VALU_DEP_2) | instskip(SKIP_2) | instid1(SALU_CYCLE_1)
	v_add_co_ci_u32_e32 v2, vcc_lo, s5, v2, vcc_lo
	global_store_b16 v[1:2], v12, off
	s_or_b32 exec_lo, exec_lo, s0
	s_mov_b32 s0, exec_lo
	v_cmpx_gt_i32_e64 s1, v0
	s_cbranch_execnz .LBB330_38
.LBB330_48:
	s_or_b32 exec_lo, exec_lo, s0
	s_delay_alu instid0(SALU_CYCLE_1)
	s_mov_b32 s0, exec_lo
	v_cmpx_gt_i32_e64 s1, v0
	s_cbranch_execz .LBB330_39
.LBB330_49:
	v_dual_mov_b32 v2, 0 :: v_dual_add_nc_u32 v1, s2, v0
	v_add_nc_u32_e32 v0, 0x100, v0
	s_delay_alu instid0(VALU_DEP_2) | instskip(NEXT) | instid1(VALU_DEP_1)
	v_lshlrev_b64 v[1:2], 1, v[1:2]
	v_add_co_u32 v1, vcc_lo, s4, v1
	s_delay_alu instid0(VALU_DEP_2) | instskip(SKIP_2) | instid1(SALU_CYCLE_1)
	v_add_co_ci_u32_e32 v2, vcc_lo, s5, v2, vcc_lo
	global_store_b16 v[1:2], v9, off
	s_or_b32 exec_lo, exec_lo, s0
	s_mov_b32 s0, exec_lo
	v_cmpx_gt_i32_e64 s1, v0
	s_cbranch_execnz .LBB330_40
.LBB330_50:
	s_or_b32 exec_lo, exec_lo, s0
	s_delay_alu instid0(SALU_CYCLE_1)
	s_mov_b32 s0, exec_lo
	v_cmpx_gt_i32_e64 s1, v0
	s_cbranch_execz .LBB330_41
.LBB330_51:
	v_dual_mov_b32 v2, 0 :: v_dual_add_nc_u32 v1, s2, v0
	v_add_nc_u32_e32 v0, 0x100, v0
	s_delay_alu instid0(VALU_DEP_2) | instskip(NEXT) | instid1(VALU_DEP_1)
	v_lshlrev_b64 v[1:2], 1, v[1:2]
	v_add_co_u32 v1, vcc_lo, s4, v1
	s_delay_alu instid0(VALU_DEP_2) | instskip(SKIP_2) | instid1(SALU_CYCLE_1)
	v_add_co_ci_u32_e32 v2, vcc_lo, s5, v2, vcc_lo
	global_store_b16 v[1:2], v5, off
	s_or_b32 exec_lo, exec_lo, s0
	s_mov_b32 s0, exec_lo
	v_cmpx_gt_i32_e64 s1, v0
	s_cbranch_execnz .LBB330_42
	s_branch .LBB330_43
	.section	.rodata,"a",@progbits
	.p2align	6, 0x0
	.amdhsa_kernel _ZN2at6native29vectorized_elementwise_kernelILi16EZZZNS0_17clamp_kernel_cudaERNS_18TensorIteratorBaseERKN3c106ScalarES7_ENKUlvE_clEvENKUlvE6_clEvEUlNS4_4HalfEE_St5arrayIPcLm2EEEEviT0_T1_
		.amdhsa_group_segment_fixed_size 0
		.amdhsa_private_segment_fixed_size 0
		.amdhsa_kernarg_size 24
		.amdhsa_user_sgpr_count 15
		.amdhsa_user_sgpr_dispatch_ptr 0
		.amdhsa_user_sgpr_queue_ptr 0
		.amdhsa_user_sgpr_kernarg_segment_ptr 1
		.amdhsa_user_sgpr_dispatch_id 0
		.amdhsa_user_sgpr_private_segment_size 0
		.amdhsa_wavefront_size32 1
		.amdhsa_uses_dynamic_stack 0
		.amdhsa_enable_private_segment 0
		.amdhsa_system_sgpr_workgroup_id_x 1
		.amdhsa_system_sgpr_workgroup_id_y 0
		.amdhsa_system_sgpr_workgroup_id_z 0
		.amdhsa_system_sgpr_workgroup_info 0
		.amdhsa_system_vgpr_workitem_id 0
		.amdhsa_next_free_vgpr 18
		.amdhsa_next_free_sgpr 16
		.amdhsa_reserve_vcc 1
		.amdhsa_float_round_mode_32 0
		.amdhsa_float_round_mode_16_64 0
		.amdhsa_float_denorm_mode_32 3
		.amdhsa_float_denorm_mode_16_64 3
		.amdhsa_dx10_clamp 1
		.amdhsa_ieee_mode 1
		.amdhsa_fp16_overflow 0
		.amdhsa_workgroup_processor_mode 1
		.amdhsa_memory_ordered 1
		.amdhsa_forward_progress 0
		.amdhsa_shared_vgpr_count 0
		.amdhsa_exception_fp_ieee_invalid_op 0
		.amdhsa_exception_fp_denorm_src 0
		.amdhsa_exception_fp_ieee_div_zero 0
		.amdhsa_exception_fp_ieee_overflow 0
		.amdhsa_exception_fp_ieee_underflow 0
		.amdhsa_exception_fp_ieee_inexact 0
		.amdhsa_exception_int_div_zero 0
	.end_amdhsa_kernel
	.section	.text._ZN2at6native29vectorized_elementwise_kernelILi16EZZZNS0_17clamp_kernel_cudaERNS_18TensorIteratorBaseERKN3c106ScalarES7_ENKUlvE_clEvENKUlvE6_clEvEUlNS4_4HalfEE_St5arrayIPcLm2EEEEviT0_T1_,"axG",@progbits,_ZN2at6native29vectorized_elementwise_kernelILi16EZZZNS0_17clamp_kernel_cudaERNS_18TensorIteratorBaseERKN3c106ScalarES7_ENKUlvE_clEvENKUlvE6_clEvEUlNS4_4HalfEE_St5arrayIPcLm2EEEEviT0_T1_,comdat
.Lfunc_end330:
	.size	_ZN2at6native29vectorized_elementwise_kernelILi16EZZZNS0_17clamp_kernel_cudaERNS_18TensorIteratorBaseERKN3c106ScalarES7_ENKUlvE_clEvENKUlvE6_clEvEUlNS4_4HalfEE_St5arrayIPcLm2EEEEviT0_T1_, .Lfunc_end330-_ZN2at6native29vectorized_elementwise_kernelILi16EZZZNS0_17clamp_kernel_cudaERNS_18TensorIteratorBaseERKN3c106ScalarES7_ENKUlvE_clEvENKUlvE6_clEvEUlNS4_4HalfEE_St5arrayIPcLm2EEEEviT0_T1_
                                        ; -- End function
	.section	.AMDGPU.csdata,"",@progbits
; Kernel info:
; codeLenInByte = 2488
; NumSgprs: 18
; NumVgprs: 18
; ScratchSize: 0
; MemoryBound: 0
; FloatMode: 240
; IeeeMode: 1
; LDSByteSize: 0 bytes/workgroup (compile time only)
; SGPRBlocks: 2
; VGPRBlocks: 2
; NumSGPRsForWavesPerEU: 18
; NumVGPRsForWavesPerEU: 18
; Occupancy: 16
; WaveLimiterHint : 0
; COMPUTE_PGM_RSRC2:SCRATCH_EN: 0
; COMPUTE_PGM_RSRC2:USER_SGPR: 15
; COMPUTE_PGM_RSRC2:TRAP_HANDLER: 0
; COMPUTE_PGM_RSRC2:TGID_X_EN: 1
; COMPUTE_PGM_RSRC2:TGID_Y_EN: 0
; COMPUTE_PGM_RSRC2:TGID_Z_EN: 0
; COMPUTE_PGM_RSRC2:TIDIG_COMP_CNT: 0
	.section	.text._ZN2at6native29vectorized_elementwise_kernelILi8EZZZNS0_17clamp_kernel_cudaERNS_18TensorIteratorBaseERKN3c106ScalarES7_ENKUlvE_clEvENKUlvE6_clEvEUlNS4_4HalfEE_St5arrayIPcLm2EEEEviT0_T1_,"axG",@progbits,_ZN2at6native29vectorized_elementwise_kernelILi8EZZZNS0_17clamp_kernel_cudaERNS_18TensorIteratorBaseERKN3c106ScalarES7_ENKUlvE_clEvENKUlvE6_clEvEUlNS4_4HalfEE_St5arrayIPcLm2EEEEviT0_T1_,comdat
	.globl	_ZN2at6native29vectorized_elementwise_kernelILi8EZZZNS0_17clamp_kernel_cudaERNS_18TensorIteratorBaseERKN3c106ScalarES7_ENKUlvE_clEvENKUlvE6_clEvEUlNS4_4HalfEE_St5arrayIPcLm2EEEEviT0_T1_ ; -- Begin function _ZN2at6native29vectorized_elementwise_kernelILi8EZZZNS0_17clamp_kernel_cudaERNS_18TensorIteratorBaseERKN3c106ScalarES7_ENKUlvE_clEvENKUlvE6_clEvEUlNS4_4HalfEE_St5arrayIPcLm2EEEEviT0_T1_
	.p2align	8
	.type	_ZN2at6native29vectorized_elementwise_kernelILi8EZZZNS0_17clamp_kernel_cudaERNS_18TensorIteratorBaseERKN3c106ScalarES7_ENKUlvE_clEvENKUlvE6_clEvEUlNS4_4HalfEE_St5arrayIPcLm2EEEEviT0_T1_,@function
_ZN2at6native29vectorized_elementwise_kernelILi8EZZZNS0_17clamp_kernel_cudaERNS_18TensorIteratorBaseERKN3c106ScalarES7_ENKUlvE_clEvENKUlvE6_clEvEUlNS4_4HalfEE_St5arrayIPcLm2EEEEviT0_T1_: ; @_ZN2at6native29vectorized_elementwise_kernelILi8EZZZNS0_17clamp_kernel_cudaERNS_18TensorIteratorBaseERKN3c106ScalarES7_ENKUlvE_clEvENKUlvE6_clEvEUlNS4_4HalfEE_St5arrayIPcLm2EEEEviT0_T1_
; %bb.0:
	s_clause 0x1
	s_load_b64 s[8:9], s[0:1], 0x0
	s_load_b128 s[4:7], s[0:1], 0x8
	s_lshl_b32 s2, s15, 11
	s_mov_b32 s0, -1
	s_waitcnt lgkmcnt(0)
	s_sub_i32 s1, s8, s2
	s_delay_alu instid0(SALU_CYCLE_1)
	s_cmpk_gt_i32 s1, 0x7ff
	s_cbranch_scc0 .LBB331_2
; %bb.1:
	s_ashr_i32 s3, s2, 31
	v_lshlrev_b32_e32 v5, 4, v0
	s_lshl_b64 s[10:11], s[2:3], 1
	s_lshr_b32 s0, s9, 16
	s_add_u32 s12, s6, s10
	s_addc_u32 s13, s7, s11
	s_add_u32 s10, s4, s10
	global_load_b128 v[1:4], v5, s[12:13]
	s_addc_u32 s11, s5, s11
	s_waitcnt vmcnt(0)
	v_cmp_lt_f16_e32 vcc_lo, s9, v1
	v_lshrrev_b32_e32 v6, 16, v1
	v_lshrrev_b32_e32 v7, 16, v2
	;; [unrolled: 1-line block ×4, first 2 shown]
	v_cndmask_b32_e32 v10, s9, v1, vcc_lo
	v_cmp_lt_f16_e32 vcc_lo, s9, v2
	v_cndmask_b32_e32 v11, s9, v2, vcc_lo
	v_cmp_lt_f16_e32 vcc_lo, s9, v3
	;; [unrolled: 2-line block ×3, first 2 shown]
	v_cndmask_b32_e32 v13, s9, v4, vcc_lo
	v_cmp_gt_f16_e32 vcc_lo, s0, v10
	v_cndmask_b32_e32 v10, s0, v10, vcc_lo
	v_cmp_lt_f16_e32 vcc_lo, s9, v6
	v_cndmask_b32_e32 v14, s9, v6, vcc_lo
	v_cmp_gt_f16_e32 vcc_lo, s0, v11
	v_cndmask_b32_e32 v11, s0, v11, vcc_lo
	v_cmp_lt_f16_e32 vcc_lo, s9, v7
	;; [unrolled: 4-line block ×4, first 2 shown]
	v_cndmask_b32_e32 v17, s9, v9, vcc_lo
	v_cmp_u_f16_e32 vcc_lo, v1, v1
	v_cndmask_b32_e32 v1, v10, v1, vcc_lo
	v_cmp_gt_f16_e32 vcc_lo, s0, v14
	v_cndmask_b32_e32 v10, s0, v14, vcc_lo
	v_cmp_u_f16_e32 vcc_lo, v2, v2
	v_cndmask_b32_e32 v2, v11, v2, vcc_lo
	v_cmp_gt_f16_e32 vcc_lo, s0, v15
	;; [unrolled: 4-line block ×3, first 2 shown]
	v_cndmask_b32_e32 v12, s0, v16, vcc_lo
	v_cmp_gt_f16_e32 vcc_lo, s0, v17
	v_cndmask_b32_e32 v14, s0, v17, vcc_lo
	v_cmp_u_f16_e32 vcc_lo, v4, v4
	s_mov_b32 s0, 0
	v_cndmask_b32_e32 v4, v13, v4, vcc_lo
	v_cmp_u_f16_e32 vcc_lo, v7, v7
	v_cndmask_b32_e32 v7, v11, v7, vcc_lo
	v_cmp_u_f16_e32 vcc_lo, v9, v9
	;; [unrolled: 2-line block ×3, first 2 shown]
	s_delay_alu instid0(VALU_DEP_2) | instskip(SKIP_3) | instid1(VALU_DEP_3)
	v_perm_b32 v4, v9, v4, 0x5040100
	v_cndmask_b32_e32 v8, v12, v8, vcc_lo
	v_cmp_u_f16_e32 vcc_lo, v6, v6
	v_perm_b32 v2, v7, v2, 0x5040100
	v_perm_b32 v3, v8, v3, 0x5040100
	v_cndmask_b32_e32 v6, v10, v6, vcc_lo
	s_delay_alu instid0(VALU_DEP_1)
	v_perm_b32 v1, v6, v1, 0x5040100
	global_store_b128 v5, v[1:4], s[10:11]
.LBB331_2:
	s_and_not1_b32 vcc_lo, exec_lo, s0
	s_cbranch_vccnz .LBB331_43
; %bb.3:
	v_cmp_gt_i32_e32 vcc_lo, s1, v0
	v_dual_mov_b32 v4, 0 :: v_dual_mov_b32 v5, 0
	v_or_b32_e32 v1, s2, v0
	v_or_b32_e32 v3, 0x100, v0
	v_mov_b32_e32 v9, v0
	s_and_saveexec_b32 s3, vcc_lo
	s_cbranch_execz .LBB331_5
; %bb.4:
	v_mov_b32_e32 v2, 0
	v_or_b32_e32 v9, 0x100, v0
	s_delay_alu instid0(VALU_DEP_2) | instskip(NEXT) | instid1(VALU_DEP_1)
	v_lshlrev_b64 v[5:6], 1, v[1:2]
	v_add_co_u32 v5, s0, s6, v5
	s_delay_alu instid0(VALU_DEP_1)
	v_add_co_ci_u32_e64 v6, s0, s7, v6, s0
	global_load_u16 v5, v[5:6], off
.LBB331_5:
	s_or_b32 exec_lo, exec_lo, s3
	s_delay_alu instid0(SALU_CYCLE_1)
	s_mov_b32 s3, exec_lo
	v_cmpx_gt_i32_e64 s1, v9
	s_cbranch_execz .LBB331_7
; %bb.6:
	v_dual_mov_b32 v7, 0 :: v_dual_add_nc_u32 v6, s2, v9
	v_add_nc_u32_e32 v9, 0x100, v9
	s_delay_alu instid0(VALU_DEP_2) | instskip(NEXT) | instid1(VALU_DEP_1)
	v_lshlrev_b64 v[6:7], 1, v[6:7]
	v_add_co_u32 v6, s0, s6, v6
	s_delay_alu instid0(VALU_DEP_1)
	v_add_co_ci_u32_e64 v7, s0, s7, v7, s0
	global_load_u16 v4, v[6:7], off
.LBB331_7:
	s_or_b32 exec_lo, exec_lo, s3
	v_dual_mov_b32 v2, 0 :: v_dual_mov_b32 v7, 0
	s_mov_b32 s3, exec_lo
	v_cmpx_gt_i32_e64 s1, v9
	s_cbranch_execz .LBB331_9
; %bb.8:
	v_dual_mov_b32 v7, 0 :: v_dual_add_nc_u32 v6, s2, v9
	v_add_nc_u32_e32 v9, 0x100, v9
	s_delay_alu instid0(VALU_DEP_2) | instskip(NEXT) | instid1(VALU_DEP_1)
	v_lshlrev_b64 v[6:7], 1, v[6:7]
	v_add_co_u32 v6, s0, s6, v6
	s_delay_alu instid0(VALU_DEP_1)
	v_add_co_ci_u32_e64 v7, s0, s7, v7, s0
	global_load_u16 v7, v[6:7], off
.LBB331_9:
	s_or_b32 exec_lo, exec_lo, s3
	s_delay_alu instid0(SALU_CYCLE_1)
	s_mov_b32 s3, exec_lo
	v_cmpx_gt_i32_e64 s1, v9
	s_cbranch_execz .LBB331_11
; %bb.10:
	v_dual_mov_b32 v11, 0 :: v_dual_add_nc_u32 v10, s2, v9
	v_add_nc_u32_e32 v9, 0x100, v9
	s_delay_alu instid0(VALU_DEP_2) | instskip(NEXT) | instid1(VALU_DEP_1)
	v_lshlrev_b64 v[10:11], 1, v[10:11]
	v_add_co_u32 v10, s0, s6, v10
	s_delay_alu instid0(VALU_DEP_1)
	v_add_co_ci_u32_e64 v11, s0, s7, v11, s0
	global_load_u16 v2, v[10:11], off
.LBB331_11:
	s_or_b32 exec_lo, exec_lo, s3
	v_mov_b32_e32 v6, 0
	v_mov_b32_e32 v10, 0
	s_mov_b32 s3, exec_lo
	v_cmpx_gt_i32_e64 s1, v9
	s_cbranch_execz .LBB331_13
; %bb.12:
	v_dual_mov_b32 v11, 0 :: v_dual_add_nc_u32 v10, s2, v9
	v_add_nc_u32_e32 v9, 0x100, v9
	s_delay_alu instid0(VALU_DEP_2) | instskip(NEXT) | instid1(VALU_DEP_1)
	v_lshlrev_b64 v[10:11], 1, v[10:11]
	v_add_co_u32 v10, s0, s6, v10
	s_delay_alu instid0(VALU_DEP_1)
	v_add_co_ci_u32_e64 v11, s0, s7, v11, s0
	global_load_u16 v10, v[10:11], off
.LBB331_13:
	s_or_b32 exec_lo, exec_lo, s3
	s_delay_alu instid0(SALU_CYCLE_1)
	s_mov_b32 s3, exec_lo
	v_cmpx_gt_i32_e64 s1, v9
	s_cbranch_execz .LBB331_15
; %bb.14:
	v_dual_mov_b32 v12, 0 :: v_dual_add_nc_u32 v11, s2, v9
	v_add_nc_u32_e32 v9, 0x100, v9
	s_delay_alu instid0(VALU_DEP_2) | instskip(NEXT) | instid1(VALU_DEP_1)
	v_lshlrev_b64 v[11:12], 1, v[11:12]
	v_add_co_u32 v11, s0, s6, v11
	s_delay_alu instid0(VALU_DEP_1)
	v_add_co_ci_u32_e64 v12, s0, s7, v12, s0
	global_load_u16 v6, v[11:12], off
.LBB331_15:
	s_or_b32 exec_lo, exec_lo, s3
	v_mov_b32_e32 v8, 0
	v_mov_b32_e32 v14, 0
	s_mov_b32 s3, exec_lo
	v_cmpx_gt_i32_e64 s1, v9
	s_cbranch_execz .LBB331_17
; %bb.16:
	v_dual_mov_b32 v12, 0 :: v_dual_add_nc_u32 v11, s2, v9
	v_add_nc_u32_e32 v9, 0x100, v9
	s_delay_alu instid0(VALU_DEP_2) | instskip(NEXT) | instid1(VALU_DEP_1)
	v_lshlrev_b64 v[11:12], 1, v[11:12]
	v_add_co_u32 v11, s0, s6, v11
	s_delay_alu instid0(VALU_DEP_1) | instskip(SKIP_2) | instid1(SALU_CYCLE_1)
	v_add_co_ci_u32_e64 v12, s0, s7, v12, s0
	global_load_u16 v14, v[11:12], off
	s_or_b32 exec_lo, exec_lo, s3
	s_mov_b32 s3, exec_lo
	v_cmpx_gt_i32_e64 s1, v9
	s_cbranch_execz .LBB331_19
	s_branch .LBB331_18
.LBB331_17:
	s_or_b32 exec_lo, exec_lo, s3
	s_delay_alu instid0(SALU_CYCLE_1)
	s_mov_b32 s3, exec_lo
	v_cmpx_gt_i32_e64 s1, v9
	s_cbranch_execz .LBB331_19
.LBB331_18:
	v_dual_mov_b32 v9, 0 :: v_dual_add_nc_u32 v8, s2, v9
	s_delay_alu instid0(VALU_DEP_1) | instskip(NEXT) | instid1(VALU_DEP_1)
	v_lshlrev_b64 v[8:9], 1, v[8:9]
	v_add_co_u32 v8, s0, s6, v8
	s_delay_alu instid0(VALU_DEP_1)
	v_add_co_ci_u32_e64 v9, s0, s7, v9, s0
	global_load_u16 v8, v[8:9], off
.LBB331_19:
	s_or_b32 exec_lo, exec_lo, s3
	s_lshr_b32 s3, s9, 16
                                        ; implicit-def: $vgpr15
	s_and_saveexec_b32 s6, vcc_lo
	s_cbranch_execz .LBB331_21
; %bb.20:
	s_waitcnt vmcnt(0)
	v_cmp_lt_f16_e64 s0, s9, v5
	s_delay_alu instid0(VALU_DEP_1) | instskip(NEXT) | instid1(VALU_DEP_1)
	v_cndmask_b32_e64 v9, s9, v5, s0
	v_cmp_gt_f16_e64 s0, s3, v9
	s_delay_alu instid0(VALU_DEP_1) | instskip(SKIP_1) | instid1(VALU_DEP_1)
	v_cndmask_b32_e64 v9, s3, v9, s0
	v_cmp_u_f16_e64 s0, v5, v5
	v_cndmask_b32_e64 v15, v9, v5, s0
.LBB331_21:
	s_or_b32 exec_lo, exec_lo, s6
	s_delay_alu instid0(SALU_CYCLE_1)
	s_mov_b32 s6, exec_lo
                                        ; implicit-def: $vgpr13
	v_cmpx_gt_i32_e64 s1, v3
	s_cbranch_execz .LBB331_23
; %bb.22:
	s_waitcnt vmcnt(0)
	v_cmp_lt_f16_e64 s0, s9, v4
	s_delay_alu instid0(VALU_DEP_1) | instskip(NEXT) | instid1(VALU_DEP_1)
	v_cndmask_b32_e64 v5, s9, v4, s0
	v_cmp_gt_f16_e64 s0, s3, v5
	s_delay_alu instid0(VALU_DEP_1) | instskip(SKIP_1) | instid1(VALU_DEP_1)
	v_cndmask_b32_e64 v5, s3, v5, s0
	v_cmp_u_f16_e64 s0, v4, v4
	v_cndmask_b32_e64 v13, v5, v4, s0
.LBB331_23:
	s_or_b32 exec_lo, exec_lo, s6
	s_waitcnt vmcnt(0)
	v_or_b32_e32 v4, 0x200, v0
	s_mov_b32 s6, exec_lo
                                        ; implicit-def: $vgpr12
	s_delay_alu instid0(VALU_DEP_1)
	v_cmpx_gt_i32_e64 s1, v4
; %bb.24:
	v_cmp_lt_f16_e64 s0, s9, v7
	s_delay_alu instid0(VALU_DEP_1) | instskip(NEXT) | instid1(VALU_DEP_1)
	v_cndmask_b32_e64 v4, s9, v7, s0
	v_cmp_gt_f16_e64 s0, s3, v4
	s_delay_alu instid0(VALU_DEP_1) | instskip(SKIP_1) | instid1(VALU_DEP_1)
	v_cndmask_b32_e64 v4, s3, v4, s0
	v_cmp_u_f16_e64 s0, v7, v7
	v_cndmask_b32_e64 v12, v4, v7, s0
; %bb.25:
	s_or_b32 exec_lo, exec_lo, s6
	v_or_b32_e32 v4, 0x300, v0
	s_mov_b32 s6, exec_lo
                                        ; implicit-def: $vgpr11
	s_delay_alu instid0(VALU_DEP_1)
	v_cmpx_gt_i32_e64 s1, v4
; %bb.26:
	v_cmp_lt_f16_e64 s0, s9, v2
	s_delay_alu instid0(VALU_DEP_1) | instskip(NEXT) | instid1(VALU_DEP_1)
	v_cndmask_b32_e64 v4, s9, v2, s0
	v_cmp_gt_f16_e64 s0, s3, v4
	s_delay_alu instid0(VALU_DEP_1) | instskip(SKIP_1) | instid1(VALU_DEP_1)
	v_cndmask_b32_e64 v4, s3, v4, s0
	v_cmp_u_f16_e64 s0, v2, v2
	v_cndmask_b32_e64 v11, v4, v2, s0
; %bb.27:
	s_or_b32 exec_lo, exec_lo, s6
	v_or_b32_e32 v2, 0x400, v0
	s_mov_b32 s6, exec_lo
                                        ; implicit-def: $vgpr9
	s_delay_alu instid0(VALU_DEP_1)
	v_cmpx_gt_i32_e64 s1, v2
; %bb.28:
	v_cmp_lt_f16_e64 s0, s9, v10
	s_delay_alu instid0(VALU_DEP_1) | instskip(NEXT) | instid1(VALU_DEP_1)
	v_cndmask_b32_e64 v2, s9, v10, s0
	v_cmp_gt_f16_e64 s0, s3, v2
	s_delay_alu instid0(VALU_DEP_1) | instskip(SKIP_1) | instid1(VALU_DEP_1)
	v_cndmask_b32_e64 v2, s3, v2, s0
	v_cmp_u_f16_e64 s0, v10, v10
	v_cndmask_b32_e64 v9, v2, v10, s0
; %bb.29:
	s_or_b32 exec_lo, exec_lo, s6
	v_or_b32_e32 v2, 0x500, v0
	s_mov_b32 s6, exec_lo
                                        ; implicit-def: $vgpr7
	s_delay_alu instid0(VALU_DEP_1)
	v_cmpx_gt_i32_e64 s1, v2
; %bb.30:
	v_cmp_lt_f16_e64 s0, s9, v6
	s_delay_alu instid0(VALU_DEP_1) | instskip(NEXT) | instid1(VALU_DEP_1)
	v_cndmask_b32_e64 v2, s9, v6, s0
	v_cmp_gt_f16_e64 s0, s3, v2
	s_delay_alu instid0(VALU_DEP_1) | instskip(SKIP_1) | instid1(VALU_DEP_1)
	v_cndmask_b32_e64 v2, s3, v2, s0
	v_cmp_u_f16_e64 s0, v6, v6
	v_cndmask_b32_e64 v7, v2, v6, s0
; %bb.31:
	s_or_b32 exec_lo, exec_lo, s6
	v_or_b32_e32 v2, 0x600, v0
	s_mov_b32 s6, exec_lo
                                        ; implicit-def: $vgpr5
	s_delay_alu instid0(VALU_DEP_1)
	v_cmpx_gt_i32_e64 s1, v2
; %bb.32:
	v_cmp_lt_f16_e64 s0, s9, v14
	s_delay_alu instid0(VALU_DEP_1) | instskip(NEXT) | instid1(VALU_DEP_1)
	v_cndmask_b32_e64 v2, s9, v14, s0
	v_cmp_gt_f16_e64 s0, s3, v2
	s_delay_alu instid0(VALU_DEP_1) | instskip(SKIP_1) | instid1(VALU_DEP_1)
	v_cndmask_b32_e64 v2, s3, v2, s0
	v_cmp_u_f16_e64 s0, v14, v14
	v_cndmask_b32_e64 v5, v2, v14, s0
; %bb.33:
	s_or_b32 exec_lo, exec_lo, s6
	v_or_b32_e32 v2, 0x700, v0
	s_mov_b32 s6, exec_lo
                                        ; implicit-def: $vgpr4
	s_delay_alu instid0(VALU_DEP_1)
	v_cmpx_gt_i32_e64 s1, v2
	s_cbranch_execz .LBB331_44
; %bb.34:
	v_cmp_lt_f16_e64 s0, s9, v8
	s_delay_alu instid0(VALU_DEP_1) | instskip(NEXT) | instid1(VALU_DEP_1)
	v_cndmask_b32_e64 v2, s9, v8, s0
	v_cmp_gt_f16_e64 s0, s3, v2
	s_delay_alu instid0(VALU_DEP_1) | instskip(SKIP_1) | instid1(VALU_DEP_1)
	v_cndmask_b32_e64 v2, s3, v2, s0
	v_cmp_u_f16_e64 s0, v8, v8
	v_cndmask_b32_e64 v4, v2, v8, s0
	s_or_b32 exec_lo, exec_lo, s6
	s_and_saveexec_b32 s0, vcc_lo
	s_delay_alu instid0(SALU_CYCLE_1)
	s_xor_b32 s0, exec_lo, s0
	s_cbranch_execnz .LBB331_45
.LBB331_35:
	s_or_b32 exec_lo, exec_lo, s0
	s_delay_alu instid0(SALU_CYCLE_1)
	s_mov_b32 s0, exec_lo
	v_cmpx_gt_i32_e64 s1, v0
	s_cbranch_execz .LBB331_46
.LBB331_36:
	v_dual_mov_b32 v2, 0 :: v_dual_add_nc_u32 v1, s2, v0
	v_add_nc_u32_e32 v0, 0x100, v0
	s_delay_alu instid0(VALU_DEP_2) | instskip(NEXT) | instid1(VALU_DEP_1)
	v_lshlrev_b64 v[1:2], 1, v[1:2]
	v_add_co_u32 v1, vcc_lo, s4, v1
	s_delay_alu instid0(VALU_DEP_2) | instskip(SKIP_2) | instid1(SALU_CYCLE_1)
	v_add_co_ci_u32_e32 v2, vcc_lo, s5, v2, vcc_lo
	global_store_b16 v[1:2], v13, off
	s_or_b32 exec_lo, exec_lo, s0
	s_mov_b32 s0, exec_lo
	v_cmpx_gt_i32_e64 s1, v0
	s_cbranch_execnz .LBB331_47
.LBB331_37:
	s_or_b32 exec_lo, exec_lo, s0
	s_delay_alu instid0(SALU_CYCLE_1)
	s_mov_b32 s0, exec_lo
	v_cmpx_gt_i32_e64 s1, v0
	s_cbranch_execz .LBB331_48
.LBB331_38:
	v_dual_mov_b32 v2, 0 :: v_dual_add_nc_u32 v1, s2, v0
	v_add_nc_u32_e32 v0, 0x100, v0
	s_delay_alu instid0(VALU_DEP_2) | instskip(NEXT) | instid1(VALU_DEP_1)
	v_lshlrev_b64 v[1:2], 1, v[1:2]
	v_add_co_u32 v1, vcc_lo, s4, v1
	s_delay_alu instid0(VALU_DEP_2) | instskip(SKIP_2) | instid1(SALU_CYCLE_1)
	v_add_co_ci_u32_e32 v2, vcc_lo, s5, v2, vcc_lo
	global_store_b16 v[1:2], v11, off
	s_or_b32 exec_lo, exec_lo, s0
	s_mov_b32 s0, exec_lo
	v_cmpx_gt_i32_e64 s1, v0
	s_cbranch_execnz .LBB331_49
.LBB331_39:
	s_or_b32 exec_lo, exec_lo, s0
	s_delay_alu instid0(SALU_CYCLE_1)
	s_mov_b32 s0, exec_lo
	v_cmpx_gt_i32_e64 s1, v0
	s_cbranch_execz .LBB331_50
.LBB331_40:
	v_dual_mov_b32 v2, 0 :: v_dual_add_nc_u32 v1, s2, v0
	v_add_nc_u32_e32 v0, 0x100, v0
	s_delay_alu instid0(VALU_DEP_2) | instskip(NEXT) | instid1(VALU_DEP_1)
	v_lshlrev_b64 v[1:2], 1, v[1:2]
	v_add_co_u32 v1, vcc_lo, s4, v1
	s_delay_alu instid0(VALU_DEP_2) | instskip(SKIP_2) | instid1(SALU_CYCLE_1)
	v_add_co_ci_u32_e32 v2, vcc_lo, s5, v2, vcc_lo
	global_store_b16 v[1:2], v7, off
	s_or_b32 exec_lo, exec_lo, s0
	s_mov_b32 s0, exec_lo
	v_cmpx_gt_i32_e64 s1, v0
	s_cbranch_execnz .LBB331_51
.LBB331_41:
	s_or_b32 exec_lo, exec_lo, s0
	s_delay_alu instid0(SALU_CYCLE_1)
	s_mov_b32 s0, exec_lo
	v_cmpx_gt_i32_e64 s1, v0
	s_cbranch_execz .LBB331_43
.LBB331_42:
	v_dual_mov_b32 v1, 0 :: v_dual_add_nc_u32 v0, s2, v0
	s_delay_alu instid0(VALU_DEP_1) | instskip(NEXT) | instid1(VALU_DEP_1)
	v_lshlrev_b64 v[0:1], 1, v[0:1]
	v_add_co_u32 v0, vcc_lo, s4, v0
	s_delay_alu instid0(VALU_DEP_2)
	v_add_co_ci_u32_e32 v1, vcc_lo, s5, v1, vcc_lo
	global_store_b16 v[0:1], v4, off
.LBB331_43:
	s_nop 0
	s_sendmsg sendmsg(MSG_DEALLOC_VGPRS)
	s_endpgm
.LBB331_44:
	s_or_b32 exec_lo, exec_lo, s6
	s_and_saveexec_b32 s0, vcc_lo
	s_delay_alu instid0(SALU_CYCLE_1)
	s_xor_b32 s0, exec_lo, s0
	s_cbranch_execz .LBB331_35
.LBB331_45:
	v_mov_b32_e32 v2, 0
	s_delay_alu instid0(VALU_DEP_1) | instskip(NEXT) | instid1(VALU_DEP_1)
	v_lshlrev_b64 v[0:1], 1, v[1:2]
	v_add_co_u32 v16, vcc_lo, s4, v0
	s_delay_alu instid0(VALU_DEP_2) | instskip(SKIP_3) | instid1(SALU_CYCLE_1)
	v_add_co_ci_u32_e32 v17, vcc_lo, s5, v1, vcc_lo
	v_mov_b32_e32 v0, v3
	global_store_b16 v[16:17], v15, off
	s_or_b32 exec_lo, exec_lo, s0
	s_mov_b32 s0, exec_lo
	v_cmpx_gt_i32_e64 s1, v0
	s_cbranch_execnz .LBB331_36
.LBB331_46:
	s_or_b32 exec_lo, exec_lo, s0
	s_delay_alu instid0(SALU_CYCLE_1)
	s_mov_b32 s0, exec_lo
	v_cmpx_gt_i32_e64 s1, v0
	s_cbranch_execz .LBB331_37
.LBB331_47:
	v_dual_mov_b32 v2, 0 :: v_dual_add_nc_u32 v1, s2, v0
	v_add_nc_u32_e32 v0, 0x100, v0
	s_delay_alu instid0(VALU_DEP_2) | instskip(NEXT) | instid1(VALU_DEP_1)
	v_lshlrev_b64 v[1:2], 1, v[1:2]
	v_add_co_u32 v1, vcc_lo, s4, v1
	s_delay_alu instid0(VALU_DEP_2) | instskip(SKIP_2) | instid1(SALU_CYCLE_1)
	v_add_co_ci_u32_e32 v2, vcc_lo, s5, v2, vcc_lo
	global_store_b16 v[1:2], v12, off
	s_or_b32 exec_lo, exec_lo, s0
	s_mov_b32 s0, exec_lo
	v_cmpx_gt_i32_e64 s1, v0
	s_cbranch_execnz .LBB331_38
.LBB331_48:
	s_or_b32 exec_lo, exec_lo, s0
	s_delay_alu instid0(SALU_CYCLE_1)
	s_mov_b32 s0, exec_lo
	v_cmpx_gt_i32_e64 s1, v0
	s_cbranch_execz .LBB331_39
.LBB331_49:
	v_dual_mov_b32 v2, 0 :: v_dual_add_nc_u32 v1, s2, v0
	v_add_nc_u32_e32 v0, 0x100, v0
	s_delay_alu instid0(VALU_DEP_2) | instskip(NEXT) | instid1(VALU_DEP_1)
	v_lshlrev_b64 v[1:2], 1, v[1:2]
	v_add_co_u32 v1, vcc_lo, s4, v1
	s_delay_alu instid0(VALU_DEP_2) | instskip(SKIP_2) | instid1(SALU_CYCLE_1)
	v_add_co_ci_u32_e32 v2, vcc_lo, s5, v2, vcc_lo
	global_store_b16 v[1:2], v9, off
	s_or_b32 exec_lo, exec_lo, s0
	s_mov_b32 s0, exec_lo
	v_cmpx_gt_i32_e64 s1, v0
	s_cbranch_execnz .LBB331_40
.LBB331_50:
	s_or_b32 exec_lo, exec_lo, s0
	s_delay_alu instid0(SALU_CYCLE_1)
	s_mov_b32 s0, exec_lo
	v_cmpx_gt_i32_e64 s1, v0
	s_cbranch_execz .LBB331_41
.LBB331_51:
	v_dual_mov_b32 v2, 0 :: v_dual_add_nc_u32 v1, s2, v0
	v_add_nc_u32_e32 v0, 0x100, v0
	s_delay_alu instid0(VALU_DEP_2) | instskip(NEXT) | instid1(VALU_DEP_1)
	v_lshlrev_b64 v[1:2], 1, v[1:2]
	v_add_co_u32 v1, vcc_lo, s4, v1
	s_delay_alu instid0(VALU_DEP_2) | instskip(SKIP_2) | instid1(SALU_CYCLE_1)
	v_add_co_ci_u32_e32 v2, vcc_lo, s5, v2, vcc_lo
	global_store_b16 v[1:2], v5, off
	s_or_b32 exec_lo, exec_lo, s0
	s_mov_b32 s0, exec_lo
	v_cmpx_gt_i32_e64 s1, v0
	s_cbranch_execnz .LBB331_42
	s_branch .LBB331_43
	.section	.rodata,"a",@progbits
	.p2align	6, 0x0
	.amdhsa_kernel _ZN2at6native29vectorized_elementwise_kernelILi8EZZZNS0_17clamp_kernel_cudaERNS_18TensorIteratorBaseERKN3c106ScalarES7_ENKUlvE_clEvENKUlvE6_clEvEUlNS4_4HalfEE_St5arrayIPcLm2EEEEviT0_T1_
		.amdhsa_group_segment_fixed_size 0
		.amdhsa_private_segment_fixed_size 0
		.amdhsa_kernarg_size 24
		.amdhsa_user_sgpr_count 15
		.amdhsa_user_sgpr_dispatch_ptr 0
		.amdhsa_user_sgpr_queue_ptr 0
		.amdhsa_user_sgpr_kernarg_segment_ptr 1
		.amdhsa_user_sgpr_dispatch_id 0
		.amdhsa_user_sgpr_private_segment_size 0
		.amdhsa_wavefront_size32 1
		.amdhsa_uses_dynamic_stack 0
		.amdhsa_enable_private_segment 0
		.amdhsa_system_sgpr_workgroup_id_x 1
		.amdhsa_system_sgpr_workgroup_id_y 0
		.amdhsa_system_sgpr_workgroup_id_z 0
		.amdhsa_system_sgpr_workgroup_info 0
		.amdhsa_system_vgpr_workitem_id 0
		.amdhsa_next_free_vgpr 18
		.amdhsa_next_free_sgpr 16
		.amdhsa_reserve_vcc 1
		.amdhsa_float_round_mode_32 0
		.amdhsa_float_round_mode_16_64 0
		.amdhsa_float_denorm_mode_32 3
		.amdhsa_float_denorm_mode_16_64 3
		.amdhsa_dx10_clamp 1
		.amdhsa_ieee_mode 1
		.amdhsa_fp16_overflow 0
		.amdhsa_workgroup_processor_mode 1
		.amdhsa_memory_ordered 1
		.amdhsa_forward_progress 0
		.amdhsa_shared_vgpr_count 0
		.amdhsa_exception_fp_ieee_invalid_op 0
		.amdhsa_exception_fp_denorm_src 0
		.amdhsa_exception_fp_ieee_div_zero 0
		.amdhsa_exception_fp_ieee_overflow 0
		.amdhsa_exception_fp_ieee_underflow 0
		.amdhsa_exception_fp_ieee_inexact 0
		.amdhsa_exception_int_div_zero 0
	.end_amdhsa_kernel
	.section	.text._ZN2at6native29vectorized_elementwise_kernelILi8EZZZNS0_17clamp_kernel_cudaERNS_18TensorIteratorBaseERKN3c106ScalarES7_ENKUlvE_clEvENKUlvE6_clEvEUlNS4_4HalfEE_St5arrayIPcLm2EEEEviT0_T1_,"axG",@progbits,_ZN2at6native29vectorized_elementwise_kernelILi8EZZZNS0_17clamp_kernel_cudaERNS_18TensorIteratorBaseERKN3c106ScalarES7_ENKUlvE_clEvENKUlvE6_clEvEUlNS4_4HalfEE_St5arrayIPcLm2EEEEviT0_T1_,comdat
.Lfunc_end331:
	.size	_ZN2at6native29vectorized_elementwise_kernelILi8EZZZNS0_17clamp_kernel_cudaERNS_18TensorIteratorBaseERKN3c106ScalarES7_ENKUlvE_clEvENKUlvE6_clEvEUlNS4_4HalfEE_St5arrayIPcLm2EEEEviT0_T1_, .Lfunc_end331-_ZN2at6native29vectorized_elementwise_kernelILi8EZZZNS0_17clamp_kernel_cudaERNS_18TensorIteratorBaseERKN3c106ScalarES7_ENKUlvE_clEvENKUlvE6_clEvEUlNS4_4HalfEE_St5arrayIPcLm2EEEEviT0_T1_
                                        ; -- End function
	.section	.AMDGPU.csdata,"",@progbits
; Kernel info:
; codeLenInByte = 2488
; NumSgprs: 18
; NumVgprs: 18
; ScratchSize: 0
; MemoryBound: 0
; FloatMode: 240
; IeeeMode: 1
; LDSByteSize: 0 bytes/workgroup (compile time only)
; SGPRBlocks: 2
; VGPRBlocks: 2
; NumSGPRsForWavesPerEU: 18
; NumVGPRsForWavesPerEU: 18
; Occupancy: 16
; WaveLimiterHint : 0
; COMPUTE_PGM_RSRC2:SCRATCH_EN: 0
; COMPUTE_PGM_RSRC2:USER_SGPR: 15
; COMPUTE_PGM_RSRC2:TRAP_HANDLER: 0
; COMPUTE_PGM_RSRC2:TGID_X_EN: 1
; COMPUTE_PGM_RSRC2:TGID_Y_EN: 0
; COMPUTE_PGM_RSRC2:TGID_Z_EN: 0
; COMPUTE_PGM_RSRC2:TIDIG_COMP_CNT: 0
	.section	.text._ZN2at6native29vectorized_elementwise_kernelILi4EZZZNS0_17clamp_kernel_cudaERNS_18TensorIteratorBaseERKN3c106ScalarES7_ENKUlvE_clEvENKUlvE6_clEvEUlNS4_4HalfEE_St5arrayIPcLm2EEEEviT0_T1_,"axG",@progbits,_ZN2at6native29vectorized_elementwise_kernelILi4EZZZNS0_17clamp_kernel_cudaERNS_18TensorIteratorBaseERKN3c106ScalarES7_ENKUlvE_clEvENKUlvE6_clEvEUlNS4_4HalfEE_St5arrayIPcLm2EEEEviT0_T1_,comdat
	.globl	_ZN2at6native29vectorized_elementwise_kernelILi4EZZZNS0_17clamp_kernel_cudaERNS_18TensorIteratorBaseERKN3c106ScalarES7_ENKUlvE_clEvENKUlvE6_clEvEUlNS4_4HalfEE_St5arrayIPcLm2EEEEviT0_T1_ ; -- Begin function _ZN2at6native29vectorized_elementwise_kernelILi4EZZZNS0_17clamp_kernel_cudaERNS_18TensorIteratorBaseERKN3c106ScalarES7_ENKUlvE_clEvENKUlvE6_clEvEUlNS4_4HalfEE_St5arrayIPcLm2EEEEviT0_T1_
	.p2align	8
	.type	_ZN2at6native29vectorized_elementwise_kernelILi4EZZZNS0_17clamp_kernel_cudaERNS_18TensorIteratorBaseERKN3c106ScalarES7_ENKUlvE_clEvENKUlvE6_clEvEUlNS4_4HalfEE_St5arrayIPcLm2EEEEviT0_T1_,@function
_ZN2at6native29vectorized_elementwise_kernelILi4EZZZNS0_17clamp_kernel_cudaERNS_18TensorIteratorBaseERKN3c106ScalarES7_ENKUlvE_clEvENKUlvE6_clEvEUlNS4_4HalfEE_St5arrayIPcLm2EEEEviT0_T1_: ; @_ZN2at6native29vectorized_elementwise_kernelILi4EZZZNS0_17clamp_kernel_cudaERNS_18TensorIteratorBaseERKN3c106ScalarES7_ENKUlvE_clEvENKUlvE6_clEvEUlNS4_4HalfEE_St5arrayIPcLm2EEEEviT0_T1_
; %bb.0:
	s_clause 0x1
	s_load_b64 s[8:9], s[0:1], 0x0
	s_load_b128 s[4:7], s[0:1], 0x8
	s_lshl_b32 s2, s15, 11
	s_mov_b32 s0, -1
	s_waitcnt lgkmcnt(0)
	s_sub_i32 s8, s8, s2
	s_delay_alu instid0(SALU_CYCLE_1)
	s_cmpk_gt_i32 s8, 0x7ff
	s_cbranch_scc0 .LBB332_2
; %bb.1:
	s_ashr_i32 s3, s2, 31
	v_lshlrev_b32_e32 v5, 3, v0
	s_lshl_b64 s[0:1], s[2:3], 1
	s_lshr_b32 s3, s9, 16
	s_add_u32 s10, s6, s0
	s_addc_u32 s11, s7, s1
	s_clause 0x1
	global_load_b64 v[1:2], v5, s[10:11]
	global_load_b64 v[3:4], v5, s[10:11] offset:2048
	s_add_u32 s10, s4, s0
	s_addc_u32 s11, s5, s1
	s_mov_b32 s0, 0
	s_waitcnt vmcnt(1)
	v_cmp_lt_f16_e32 vcc_lo, s9, v1
	v_lshrrev_b32_e32 v6, 16, v1
	v_lshrrev_b32_e32 v7, 16, v2
	s_waitcnt vmcnt(0)
	v_lshrrev_b32_e32 v8, 16, v3
	v_lshrrev_b32_e32 v9, 16, v4
	v_cndmask_b32_e32 v10, s9, v1, vcc_lo
	v_cmp_lt_f16_e32 vcc_lo, s9, v2
	v_cndmask_b32_e32 v11, s9, v2, vcc_lo
	v_cmp_lt_f16_e32 vcc_lo, s9, v3
	v_cndmask_b32_e32 v12, s9, v3, vcc_lo
	v_cmp_lt_f16_e32 vcc_lo, s9, v4
	v_cndmask_b32_e32 v13, s9, v4, vcc_lo
	v_cmp_gt_f16_e32 vcc_lo, s3, v10
	v_cndmask_b32_e32 v10, s3, v10, vcc_lo
	v_cmp_lt_f16_e32 vcc_lo, s9, v6
	v_cndmask_b32_e32 v14, s9, v6, vcc_lo
	v_cmp_gt_f16_e32 vcc_lo, s3, v11
	v_cndmask_b32_e32 v11, s3, v11, vcc_lo
	v_cmp_lt_f16_e32 vcc_lo, s9, v7
	;; [unrolled: 4-line block ×4, first 2 shown]
	v_cndmask_b32_e32 v17, s9, v9, vcc_lo
	v_cmp_u_f16_e32 vcc_lo, v1, v1
	v_cndmask_b32_e32 v1, v10, v1, vcc_lo
	v_cmp_gt_f16_e32 vcc_lo, s3, v14
	v_cndmask_b32_e32 v10, s3, v14, vcc_lo
	v_cmp_u_f16_e32 vcc_lo, v2, v2
	v_cndmask_b32_e32 v2, v11, v2, vcc_lo
	v_cmp_gt_f16_e32 vcc_lo, s3, v15
	v_and_b32_e32 v1, 0xffff, v1
	s_delay_alu instid0(VALU_DEP_3)
	v_and_b32_e32 v2, 0xffff, v2
	v_cndmask_b32_e32 v11, s3, v15, vcc_lo
	v_cmp_u_f16_e32 vcc_lo, v3, v3
	v_cndmask_b32_e32 v3, v12, v3, vcc_lo
	v_cmp_gt_f16_e32 vcc_lo, s3, v16
	v_cndmask_b32_e32 v12, s3, v16, vcc_lo
	v_cmp_u_f16_e32 vcc_lo, v4, v4
	v_cndmask_b32_e32 v4, v13, v4, vcc_lo
	v_cmp_gt_f16_e32 vcc_lo, s3, v17
	v_and_b32_e32 v3, 0xffff, v3
	s_delay_alu instid0(VALU_DEP_3)
	v_and_b32_e32 v4, 0xffff, v4
	v_cndmask_b32_e32 v13, s3, v17, vcc_lo
	v_cmp_u_f16_e32 vcc_lo, v6, v6
	v_cndmask_b32_e32 v6, v10, v6, vcc_lo
	v_cmp_u_f16_e32 vcc_lo, v7, v7
	;; [unrolled: 2-line block ×3, first 2 shown]
	s_delay_alu instid0(VALU_DEP_4) | instskip(NEXT) | instid1(VALU_DEP_3)
	v_lshlrev_b32_e32 v6, 16, v6
	v_dual_cndmask_b32 v8, v12, v8 :: v_dual_lshlrev_b32 v7, 16, v7
	v_cmp_u_f16_e32 vcc_lo, v9, v9
	s_delay_alu instid0(VALU_DEP_3) | instskip(NEXT) | instid1(VALU_DEP_3)
	v_or_b32_e32 v1, v6, v1
	v_or3_b32 v2, 0, v2, v7
	s_delay_alu instid0(VALU_DEP_4) | instskip(NEXT) | instid1(VALU_DEP_3)
	v_dual_cndmask_b32 v9, v13, v9 :: v_dual_lshlrev_b32 v8, 16, v8
	v_or3_b32 v1, v1, 0, 0
	s_delay_alu instid0(VALU_DEP_2) | instskip(NEXT) | instid1(VALU_DEP_3)
	v_lshlrev_b32_e32 v9, 16, v9
	v_or_b32_e32 v3, v8, v3
	s_delay_alu instid0(VALU_DEP_2) | instskip(NEXT) | instid1(VALU_DEP_2)
	v_or3_b32 v4, 0, v4, v9
	v_or3_b32 v3, v3, 0, 0
	s_clause 0x1
	global_store_b64 v5, v[1:2], s[10:11]
	global_store_b64 v5, v[3:4], s[10:11] offset:2048
.LBB332_2:
	s_and_not1_b32 vcc_lo, exec_lo, s0
	s_cbranch_vccnz .LBB332_43
; %bb.3:
	v_cmp_gt_i32_e32 vcc_lo, s8, v0
	v_dual_mov_b32 v4, 0 :: v_dual_mov_b32 v5, 0
	v_or_b32_e32 v1, s2, v0
	v_or_b32_e32 v3, 0x100, v0
	v_mov_b32_e32 v9, v0
	s_and_saveexec_b32 s1, vcc_lo
	s_cbranch_execz .LBB332_5
; %bb.4:
	v_mov_b32_e32 v2, 0
	v_or_b32_e32 v9, 0x100, v0
	s_delay_alu instid0(VALU_DEP_2) | instskip(NEXT) | instid1(VALU_DEP_1)
	v_lshlrev_b64 v[5:6], 1, v[1:2]
	v_add_co_u32 v5, s0, s6, v5
	s_delay_alu instid0(VALU_DEP_1)
	v_add_co_ci_u32_e64 v6, s0, s7, v6, s0
	global_load_u16 v5, v[5:6], off
.LBB332_5:
	s_or_b32 exec_lo, exec_lo, s1
	s_delay_alu instid0(SALU_CYCLE_1)
	s_mov_b32 s1, exec_lo
	v_cmpx_gt_i32_e64 s8, v9
	s_cbranch_execz .LBB332_7
; %bb.6:
	v_dual_mov_b32 v7, 0 :: v_dual_add_nc_u32 v6, s2, v9
	v_add_nc_u32_e32 v9, 0x100, v9
	s_delay_alu instid0(VALU_DEP_2) | instskip(NEXT) | instid1(VALU_DEP_1)
	v_lshlrev_b64 v[6:7], 1, v[6:7]
	v_add_co_u32 v6, s0, s6, v6
	s_delay_alu instid0(VALU_DEP_1)
	v_add_co_ci_u32_e64 v7, s0, s7, v7, s0
	global_load_u16 v4, v[6:7], off
.LBB332_7:
	s_or_b32 exec_lo, exec_lo, s1
	v_dual_mov_b32 v2, 0 :: v_dual_mov_b32 v7, 0
	s_mov_b32 s1, exec_lo
	v_cmpx_gt_i32_e64 s8, v9
	s_cbranch_execz .LBB332_9
; %bb.8:
	v_dual_mov_b32 v7, 0 :: v_dual_add_nc_u32 v6, s2, v9
	v_add_nc_u32_e32 v9, 0x100, v9
	s_delay_alu instid0(VALU_DEP_2) | instskip(NEXT) | instid1(VALU_DEP_1)
	v_lshlrev_b64 v[6:7], 1, v[6:7]
	v_add_co_u32 v6, s0, s6, v6
	s_delay_alu instid0(VALU_DEP_1)
	v_add_co_ci_u32_e64 v7, s0, s7, v7, s0
	global_load_u16 v7, v[6:7], off
.LBB332_9:
	s_or_b32 exec_lo, exec_lo, s1
	s_delay_alu instid0(SALU_CYCLE_1)
	s_mov_b32 s1, exec_lo
	v_cmpx_gt_i32_e64 s8, v9
	s_cbranch_execz .LBB332_11
; %bb.10:
	v_dual_mov_b32 v11, 0 :: v_dual_add_nc_u32 v10, s2, v9
	v_add_nc_u32_e32 v9, 0x100, v9
	s_delay_alu instid0(VALU_DEP_2) | instskip(NEXT) | instid1(VALU_DEP_1)
	v_lshlrev_b64 v[10:11], 1, v[10:11]
	v_add_co_u32 v10, s0, s6, v10
	s_delay_alu instid0(VALU_DEP_1)
	v_add_co_ci_u32_e64 v11, s0, s7, v11, s0
	global_load_u16 v2, v[10:11], off
.LBB332_11:
	s_or_b32 exec_lo, exec_lo, s1
	v_mov_b32_e32 v6, 0
	v_mov_b32_e32 v10, 0
	s_mov_b32 s1, exec_lo
	v_cmpx_gt_i32_e64 s8, v9
	s_cbranch_execz .LBB332_13
; %bb.12:
	v_dual_mov_b32 v11, 0 :: v_dual_add_nc_u32 v10, s2, v9
	v_add_nc_u32_e32 v9, 0x100, v9
	s_delay_alu instid0(VALU_DEP_2) | instskip(NEXT) | instid1(VALU_DEP_1)
	v_lshlrev_b64 v[10:11], 1, v[10:11]
	v_add_co_u32 v10, s0, s6, v10
	s_delay_alu instid0(VALU_DEP_1)
	v_add_co_ci_u32_e64 v11, s0, s7, v11, s0
	global_load_u16 v10, v[10:11], off
.LBB332_13:
	s_or_b32 exec_lo, exec_lo, s1
	s_delay_alu instid0(SALU_CYCLE_1)
	s_mov_b32 s1, exec_lo
	v_cmpx_gt_i32_e64 s8, v9
	s_cbranch_execz .LBB332_15
; %bb.14:
	v_dual_mov_b32 v12, 0 :: v_dual_add_nc_u32 v11, s2, v9
	v_add_nc_u32_e32 v9, 0x100, v9
	s_delay_alu instid0(VALU_DEP_2) | instskip(NEXT) | instid1(VALU_DEP_1)
	v_lshlrev_b64 v[11:12], 1, v[11:12]
	v_add_co_u32 v11, s0, s6, v11
	s_delay_alu instid0(VALU_DEP_1)
	v_add_co_ci_u32_e64 v12, s0, s7, v12, s0
	global_load_u16 v6, v[11:12], off
.LBB332_15:
	s_or_b32 exec_lo, exec_lo, s1
	v_mov_b32_e32 v8, 0
	v_mov_b32_e32 v14, 0
	s_mov_b32 s1, exec_lo
	v_cmpx_gt_i32_e64 s8, v9
	s_cbranch_execz .LBB332_17
; %bb.16:
	v_dual_mov_b32 v12, 0 :: v_dual_add_nc_u32 v11, s2, v9
	v_add_nc_u32_e32 v9, 0x100, v9
	s_delay_alu instid0(VALU_DEP_2) | instskip(NEXT) | instid1(VALU_DEP_1)
	v_lshlrev_b64 v[11:12], 1, v[11:12]
	v_add_co_u32 v11, s0, s6, v11
	s_delay_alu instid0(VALU_DEP_1) | instskip(SKIP_2) | instid1(SALU_CYCLE_1)
	v_add_co_ci_u32_e64 v12, s0, s7, v12, s0
	global_load_u16 v14, v[11:12], off
	s_or_b32 exec_lo, exec_lo, s1
	s_mov_b32 s1, exec_lo
	v_cmpx_gt_i32_e64 s8, v9
	s_cbranch_execz .LBB332_19
	s_branch .LBB332_18
.LBB332_17:
	s_or_b32 exec_lo, exec_lo, s1
	s_delay_alu instid0(SALU_CYCLE_1)
	s_mov_b32 s1, exec_lo
	v_cmpx_gt_i32_e64 s8, v9
	s_cbranch_execz .LBB332_19
.LBB332_18:
	v_dual_mov_b32 v9, 0 :: v_dual_add_nc_u32 v8, s2, v9
	s_delay_alu instid0(VALU_DEP_1) | instskip(NEXT) | instid1(VALU_DEP_1)
	v_lshlrev_b64 v[8:9], 1, v[8:9]
	v_add_co_u32 v8, s0, s6, v8
	s_delay_alu instid0(VALU_DEP_1)
	v_add_co_ci_u32_e64 v9, s0, s7, v9, s0
	global_load_u16 v8, v[8:9], off
.LBB332_19:
	s_or_b32 exec_lo, exec_lo, s1
	s_lshr_b32 s1, s9, 16
                                        ; implicit-def: $vgpr15
	s_and_saveexec_b32 s3, vcc_lo
	s_cbranch_execz .LBB332_21
; %bb.20:
	s_waitcnt vmcnt(0)
	v_cmp_lt_f16_e64 s0, s9, v5
	s_delay_alu instid0(VALU_DEP_1) | instskip(NEXT) | instid1(VALU_DEP_1)
	v_cndmask_b32_e64 v9, s9, v5, s0
	v_cmp_gt_f16_e64 s0, s1, v9
	s_delay_alu instid0(VALU_DEP_1) | instskip(SKIP_1) | instid1(VALU_DEP_1)
	v_cndmask_b32_e64 v9, s1, v9, s0
	v_cmp_u_f16_e64 s0, v5, v5
	v_cndmask_b32_e64 v15, v9, v5, s0
.LBB332_21:
	s_or_b32 exec_lo, exec_lo, s3
	s_delay_alu instid0(SALU_CYCLE_1)
	s_mov_b32 s3, exec_lo
                                        ; implicit-def: $vgpr13
	v_cmpx_gt_i32_e64 s8, v3
	s_cbranch_execz .LBB332_23
; %bb.22:
	s_waitcnt vmcnt(0)
	v_cmp_lt_f16_e64 s0, s9, v4
	s_delay_alu instid0(VALU_DEP_1) | instskip(NEXT) | instid1(VALU_DEP_1)
	v_cndmask_b32_e64 v5, s9, v4, s0
	v_cmp_gt_f16_e64 s0, s1, v5
	s_delay_alu instid0(VALU_DEP_1) | instskip(SKIP_1) | instid1(VALU_DEP_1)
	v_cndmask_b32_e64 v5, s1, v5, s0
	v_cmp_u_f16_e64 s0, v4, v4
	v_cndmask_b32_e64 v13, v5, v4, s0
.LBB332_23:
	s_or_b32 exec_lo, exec_lo, s3
	s_waitcnt vmcnt(0)
	v_or_b32_e32 v4, 0x200, v0
	s_mov_b32 s3, exec_lo
                                        ; implicit-def: $vgpr12
	s_delay_alu instid0(VALU_DEP_1)
	v_cmpx_gt_i32_e64 s8, v4
; %bb.24:
	v_cmp_lt_f16_e64 s0, s9, v7
	s_delay_alu instid0(VALU_DEP_1) | instskip(NEXT) | instid1(VALU_DEP_1)
	v_cndmask_b32_e64 v4, s9, v7, s0
	v_cmp_gt_f16_e64 s0, s1, v4
	s_delay_alu instid0(VALU_DEP_1) | instskip(SKIP_1) | instid1(VALU_DEP_1)
	v_cndmask_b32_e64 v4, s1, v4, s0
	v_cmp_u_f16_e64 s0, v7, v7
	v_cndmask_b32_e64 v12, v4, v7, s0
; %bb.25:
	s_or_b32 exec_lo, exec_lo, s3
	v_or_b32_e32 v4, 0x300, v0
	s_mov_b32 s3, exec_lo
                                        ; implicit-def: $vgpr11
	s_delay_alu instid0(VALU_DEP_1)
	v_cmpx_gt_i32_e64 s8, v4
; %bb.26:
	v_cmp_lt_f16_e64 s0, s9, v2
	s_delay_alu instid0(VALU_DEP_1) | instskip(NEXT) | instid1(VALU_DEP_1)
	v_cndmask_b32_e64 v4, s9, v2, s0
	v_cmp_gt_f16_e64 s0, s1, v4
	s_delay_alu instid0(VALU_DEP_1) | instskip(SKIP_1) | instid1(VALU_DEP_1)
	v_cndmask_b32_e64 v4, s1, v4, s0
	v_cmp_u_f16_e64 s0, v2, v2
	v_cndmask_b32_e64 v11, v4, v2, s0
; %bb.27:
	s_or_b32 exec_lo, exec_lo, s3
	v_or_b32_e32 v2, 0x400, v0
	s_mov_b32 s3, exec_lo
                                        ; implicit-def: $vgpr9
	s_delay_alu instid0(VALU_DEP_1)
	v_cmpx_gt_i32_e64 s8, v2
; %bb.28:
	v_cmp_lt_f16_e64 s0, s9, v10
	s_delay_alu instid0(VALU_DEP_1) | instskip(NEXT) | instid1(VALU_DEP_1)
	v_cndmask_b32_e64 v2, s9, v10, s0
	v_cmp_gt_f16_e64 s0, s1, v2
	s_delay_alu instid0(VALU_DEP_1) | instskip(SKIP_1) | instid1(VALU_DEP_1)
	v_cndmask_b32_e64 v2, s1, v2, s0
	v_cmp_u_f16_e64 s0, v10, v10
	v_cndmask_b32_e64 v9, v2, v10, s0
; %bb.29:
	s_or_b32 exec_lo, exec_lo, s3
	v_or_b32_e32 v2, 0x500, v0
	s_mov_b32 s3, exec_lo
                                        ; implicit-def: $vgpr7
	s_delay_alu instid0(VALU_DEP_1)
	v_cmpx_gt_i32_e64 s8, v2
; %bb.30:
	v_cmp_lt_f16_e64 s0, s9, v6
	s_delay_alu instid0(VALU_DEP_1) | instskip(NEXT) | instid1(VALU_DEP_1)
	v_cndmask_b32_e64 v2, s9, v6, s0
	v_cmp_gt_f16_e64 s0, s1, v2
	s_delay_alu instid0(VALU_DEP_1) | instskip(SKIP_1) | instid1(VALU_DEP_1)
	v_cndmask_b32_e64 v2, s1, v2, s0
	v_cmp_u_f16_e64 s0, v6, v6
	v_cndmask_b32_e64 v7, v2, v6, s0
; %bb.31:
	s_or_b32 exec_lo, exec_lo, s3
	v_or_b32_e32 v2, 0x600, v0
	s_mov_b32 s3, exec_lo
                                        ; implicit-def: $vgpr5
	s_delay_alu instid0(VALU_DEP_1)
	v_cmpx_gt_i32_e64 s8, v2
; %bb.32:
	v_cmp_lt_f16_e64 s0, s9, v14
	s_delay_alu instid0(VALU_DEP_1) | instskip(NEXT) | instid1(VALU_DEP_1)
	v_cndmask_b32_e64 v2, s9, v14, s0
	v_cmp_gt_f16_e64 s0, s1, v2
	s_delay_alu instid0(VALU_DEP_1) | instskip(SKIP_1) | instid1(VALU_DEP_1)
	v_cndmask_b32_e64 v2, s1, v2, s0
	v_cmp_u_f16_e64 s0, v14, v14
	v_cndmask_b32_e64 v5, v2, v14, s0
; %bb.33:
	s_or_b32 exec_lo, exec_lo, s3
	v_or_b32_e32 v2, 0x700, v0
	s_mov_b32 s3, exec_lo
                                        ; implicit-def: $vgpr4
	s_delay_alu instid0(VALU_DEP_1)
	v_cmpx_gt_i32_e64 s8, v2
	s_cbranch_execz .LBB332_44
; %bb.34:
	v_cmp_lt_f16_e64 s0, s9, v8
	s_delay_alu instid0(VALU_DEP_1) | instskip(NEXT) | instid1(VALU_DEP_1)
	v_cndmask_b32_e64 v2, s9, v8, s0
	v_cmp_gt_f16_e64 s0, s1, v2
	s_delay_alu instid0(VALU_DEP_1) | instskip(SKIP_1) | instid1(VALU_DEP_1)
	v_cndmask_b32_e64 v2, s1, v2, s0
	v_cmp_u_f16_e64 s0, v8, v8
	v_cndmask_b32_e64 v4, v2, v8, s0
	s_or_b32 exec_lo, exec_lo, s3
	s_and_saveexec_b32 s0, vcc_lo
	s_delay_alu instid0(SALU_CYCLE_1)
	s_xor_b32 s0, exec_lo, s0
	s_cbranch_execnz .LBB332_45
.LBB332_35:
	s_or_b32 exec_lo, exec_lo, s0
	s_delay_alu instid0(SALU_CYCLE_1)
	s_mov_b32 s0, exec_lo
	v_cmpx_gt_i32_e64 s8, v0
	s_cbranch_execz .LBB332_46
.LBB332_36:
	v_dual_mov_b32 v2, 0 :: v_dual_add_nc_u32 v1, s2, v0
	v_add_nc_u32_e32 v0, 0x100, v0
	s_delay_alu instid0(VALU_DEP_2) | instskip(NEXT) | instid1(VALU_DEP_1)
	v_lshlrev_b64 v[1:2], 1, v[1:2]
	v_add_co_u32 v1, vcc_lo, s4, v1
	s_delay_alu instid0(VALU_DEP_2) | instskip(SKIP_2) | instid1(SALU_CYCLE_1)
	v_add_co_ci_u32_e32 v2, vcc_lo, s5, v2, vcc_lo
	global_store_b16 v[1:2], v13, off
	s_or_b32 exec_lo, exec_lo, s0
	s_mov_b32 s0, exec_lo
	v_cmpx_gt_i32_e64 s8, v0
	s_cbranch_execnz .LBB332_47
.LBB332_37:
	s_or_b32 exec_lo, exec_lo, s0
	s_delay_alu instid0(SALU_CYCLE_1)
	s_mov_b32 s0, exec_lo
	v_cmpx_gt_i32_e64 s8, v0
	s_cbranch_execz .LBB332_48
.LBB332_38:
	v_dual_mov_b32 v2, 0 :: v_dual_add_nc_u32 v1, s2, v0
	v_add_nc_u32_e32 v0, 0x100, v0
	s_delay_alu instid0(VALU_DEP_2) | instskip(NEXT) | instid1(VALU_DEP_1)
	v_lshlrev_b64 v[1:2], 1, v[1:2]
	v_add_co_u32 v1, vcc_lo, s4, v1
	s_delay_alu instid0(VALU_DEP_2) | instskip(SKIP_2) | instid1(SALU_CYCLE_1)
	v_add_co_ci_u32_e32 v2, vcc_lo, s5, v2, vcc_lo
	global_store_b16 v[1:2], v11, off
	s_or_b32 exec_lo, exec_lo, s0
	s_mov_b32 s0, exec_lo
	v_cmpx_gt_i32_e64 s8, v0
	s_cbranch_execnz .LBB332_49
.LBB332_39:
	s_or_b32 exec_lo, exec_lo, s0
	s_delay_alu instid0(SALU_CYCLE_1)
	s_mov_b32 s0, exec_lo
	v_cmpx_gt_i32_e64 s8, v0
	s_cbranch_execz .LBB332_50
.LBB332_40:
	v_dual_mov_b32 v2, 0 :: v_dual_add_nc_u32 v1, s2, v0
	v_add_nc_u32_e32 v0, 0x100, v0
	s_delay_alu instid0(VALU_DEP_2) | instskip(NEXT) | instid1(VALU_DEP_1)
	v_lshlrev_b64 v[1:2], 1, v[1:2]
	v_add_co_u32 v1, vcc_lo, s4, v1
	s_delay_alu instid0(VALU_DEP_2) | instskip(SKIP_2) | instid1(SALU_CYCLE_1)
	v_add_co_ci_u32_e32 v2, vcc_lo, s5, v2, vcc_lo
	global_store_b16 v[1:2], v7, off
	s_or_b32 exec_lo, exec_lo, s0
	s_mov_b32 s0, exec_lo
	v_cmpx_gt_i32_e64 s8, v0
	s_cbranch_execnz .LBB332_51
.LBB332_41:
	s_or_b32 exec_lo, exec_lo, s0
	s_delay_alu instid0(SALU_CYCLE_1)
	s_mov_b32 s0, exec_lo
	v_cmpx_gt_i32_e64 s8, v0
	s_cbranch_execz .LBB332_43
.LBB332_42:
	v_dual_mov_b32 v1, 0 :: v_dual_add_nc_u32 v0, s2, v0
	s_delay_alu instid0(VALU_DEP_1) | instskip(NEXT) | instid1(VALU_DEP_1)
	v_lshlrev_b64 v[0:1], 1, v[0:1]
	v_add_co_u32 v0, vcc_lo, s4, v0
	s_delay_alu instid0(VALU_DEP_2)
	v_add_co_ci_u32_e32 v1, vcc_lo, s5, v1, vcc_lo
	global_store_b16 v[0:1], v4, off
.LBB332_43:
	s_nop 0
	s_sendmsg sendmsg(MSG_DEALLOC_VGPRS)
	s_endpgm
.LBB332_44:
	s_or_b32 exec_lo, exec_lo, s3
	s_and_saveexec_b32 s0, vcc_lo
	s_delay_alu instid0(SALU_CYCLE_1)
	s_xor_b32 s0, exec_lo, s0
	s_cbranch_execz .LBB332_35
.LBB332_45:
	v_mov_b32_e32 v2, 0
	s_delay_alu instid0(VALU_DEP_1) | instskip(NEXT) | instid1(VALU_DEP_1)
	v_lshlrev_b64 v[0:1], 1, v[1:2]
	v_add_co_u32 v16, vcc_lo, s4, v0
	s_delay_alu instid0(VALU_DEP_2) | instskip(SKIP_3) | instid1(SALU_CYCLE_1)
	v_add_co_ci_u32_e32 v17, vcc_lo, s5, v1, vcc_lo
	v_mov_b32_e32 v0, v3
	global_store_b16 v[16:17], v15, off
	s_or_b32 exec_lo, exec_lo, s0
	s_mov_b32 s0, exec_lo
	v_cmpx_gt_i32_e64 s8, v0
	s_cbranch_execnz .LBB332_36
.LBB332_46:
	s_or_b32 exec_lo, exec_lo, s0
	s_delay_alu instid0(SALU_CYCLE_1)
	s_mov_b32 s0, exec_lo
	v_cmpx_gt_i32_e64 s8, v0
	s_cbranch_execz .LBB332_37
.LBB332_47:
	v_dual_mov_b32 v2, 0 :: v_dual_add_nc_u32 v1, s2, v0
	v_add_nc_u32_e32 v0, 0x100, v0
	s_delay_alu instid0(VALU_DEP_2) | instskip(NEXT) | instid1(VALU_DEP_1)
	v_lshlrev_b64 v[1:2], 1, v[1:2]
	v_add_co_u32 v1, vcc_lo, s4, v1
	s_delay_alu instid0(VALU_DEP_2) | instskip(SKIP_2) | instid1(SALU_CYCLE_1)
	v_add_co_ci_u32_e32 v2, vcc_lo, s5, v2, vcc_lo
	global_store_b16 v[1:2], v12, off
	s_or_b32 exec_lo, exec_lo, s0
	s_mov_b32 s0, exec_lo
	v_cmpx_gt_i32_e64 s8, v0
	s_cbranch_execnz .LBB332_38
.LBB332_48:
	s_or_b32 exec_lo, exec_lo, s0
	s_delay_alu instid0(SALU_CYCLE_1)
	s_mov_b32 s0, exec_lo
	v_cmpx_gt_i32_e64 s8, v0
	s_cbranch_execz .LBB332_39
.LBB332_49:
	v_dual_mov_b32 v2, 0 :: v_dual_add_nc_u32 v1, s2, v0
	v_add_nc_u32_e32 v0, 0x100, v0
	s_delay_alu instid0(VALU_DEP_2) | instskip(NEXT) | instid1(VALU_DEP_1)
	v_lshlrev_b64 v[1:2], 1, v[1:2]
	v_add_co_u32 v1, vcc_lo, s4, v1
	s_delay_alu instid0(VALU_DEP_2) | instskip(SKIP_2) | instid1(SALU_CYCLE_1)
	v_add_co_ci_u32_e32 v2, vcc_lo, s5, v2, vcc_lo
	global_store_b16 v[1:2], v9, off
	s_or_b32 exec_lo, exec_lo, s0
	s_mov_b32 s0, exec_lo
	v_cmpx_gt_i32_e64 s8, v0
	s_cbranch_execnz .LBB332_40
.LBB332_50:
	s_or_b32 exec_lo, exec_lo, s0
	s_delay_alu instid0(SALU_CYCLE_1)
	s_mov_b32 s0, exec_lo
	v_cmpx_gt_i32_e64 s8, v0
	s_cbranch_execz .LBB332_41
.LBB332_51:
	v_dual_mov_b32 v2, 0 :: v_dual_add_nc_u32 v1, s2, v0
	v_add_nc_u32_e32 v0, 0x100, v0
	s_delay_alu instid0(VALU_DEP_2) | instskip(NEXT) | instid1(VALU_DEP_1)
	v_lshlrev_b64 v[1:2], 1, v[1:2]
	v_add_co_u32 v1, vcc_lo, s4, v1
	s_delay_alu instid0(VALU_DEP_2) | instskip(SKIP_2) | instid1(SALU_CYCLE_1)
	v_add_co_ci_u32_e32 v2, vcc_lo, s5, v2, vcc_lo
	global_store_b16 v[1:2], v5, off
	s_or_b32 exec_lo, exec_lo, s0
	s_mov_b32 s0, exec_lo
	v_cmpx_gt_i32_e64 s8, v0
	s_cbranch_execnz .LBB332_42
	s_branch .LBB332_43
	.section	.rodata,"a",@progbits
	.p2align	6, 0x0
	.amdhsa_kernel _ZN2at6native29vectorized_elementwise_kernelILi4EZZZNS0_17clamp_kernel_cudaERNS_18TensorIteratorBaseERKN3c106ScalarES7_ENKUlvE_clEvENKUlvE6_clEvEUlNS4_4HalfEE_St5arrayIPcLm2EEEEviT0_T1_
		.amdhsa_group_segment_fixed_size 0
		.amdhsa_private_segment_fixed_size 0
		.amdhsa_kernarg_size 24
		.amdhsa_user_sgpr_count 15
		.amdhsa_user_sgpr_dispatch_ptr 0
		.amdhsa_user_sgpr_queue_ptr 0
		.amdhsa_user_sgpr_kernarg_segment_ptr 1
		.amdhsa_user_sgpr_dispatch_id 0
		.amdhsa_user_sgpr_private_segment_size 0
		.amdhsa_wavefront_size32 1
		.amdhsa_uses_dynamic_stack 0
		.amdhsa_enable_private_segment 0
		.amdhsa_system_sgpr_workgroup_id_x 1
		.amdhsa_system_sgpr_workgroup_id_y 0
		.amdhsa_system_sgpr_workgroup_id_z 0
		.amdhsa_system_sgpr_workgroup_info 0
		.amdhsa_system_vgpr_workitem_id 0
		.amdhsa_next_free_vgpr 18
		.amdhsa_next_free_sgpr 16
		.amdhsa_reserve_vcc 1
		.amdhsa_float_round_mode_32 0
		.amdhsa_float_round_mode_16_64 0
		.amdhsa_float_denorm_mode_32 3
		.amdhsa_float_denorm_mode_16_64 3
		.amdhsa_dx10_clamp 1
		.amdhsa_ieee_mode 1
		.amdhsa_fp16_overflow 0
		.amdhsa_workgroup_processor_mode 1
		.amdhsa_memory_ordered 1
		.amdhsa_forward_progress 0
		.amdhsa_shared_vgpr_count 0
		.amdhsa_exception_fp_ieee_invalid_op 0
		.amdhsa_exception_fp_denorm_src 0
		.amdhsa_exception_fp_ieee_div_zero 0
		.amdhsa_exception_fp_ieee_overflow 0
		.amdhsa_exception_fp_ieee_underflow 0
		.amdhsa_exception_fp_ieee_inexact 0
		.amdhsa_exception_int_div_zero 0
	.end_amdhsa_kernel
	.section	.text._ZN2at6native29vectorized_elementwise_kernelILi4EZZZNS0_17clamp_kernel_cudaERNS_18TensorIteratorBaseERKN3c106ScalarES7_ENKUlvE_clEvENKUlvE6_clEvEUlNS4_4HalfEE_St5arrayIPcLm2EEEEviT0_T1_,"axG",@progbits,_ZN2at6native29vectorized_elementwise_kernelILi4EZZZNS0_17clamp_kernel_cudaERNS_18TensorIteratorBaseERKN3c106ScalarES7_ENKUlvE_clEvENKUlvE6_clEvEUlNS4_4HalfEE_St5arrayIPcLm2EEEEviT0_T1_,comdat
.Lfunc_end332:
	.size	_ZN2at6native29vectorized_elementwise_kernelILi4EZZZNS0_17clamp_kernel_cudaERNS_18TensorIteratorBaseERKN3c106ScalarES7_ENKUlvE_clEvENKUlvE6_clEvEUlNS4_4HalfEE_St5arrayIPcLm2EEEEviT0_T1_, .Lfunc_end332-_ZN2at6native29vectorized_elementwise_kernelILi4EZZZNS0_17clamp_kernel_cudaERNS_18TensorIteratorBaseERKN3c106ScalarES7_ENKUlvE_clEvENKUlvE6_clEvEUlNS4_4HalfEE_St5arrayIPcLm2EEEEviT0_T1_
                                        ; -- End function
	.section	.AMDGPU.csdata,"",@progbits
; Kernel info:
; codeLenInByte = 2576
; NumSgprs: 18
; NumVgprs: 18
; ScratchSize: 0
; MemoryBound: 0
; FloatMode: 240
; IeeeMode: 1
; LDSByteSize: 0 bytes/workgroup (compile time only)
; SGPRBlocks: 2
; VGPRBlocks: 2
; NumSGPRsForWavesPerEU: 18
; NumVGPRsForWavesPerEU: 18
; Occupancy: 16
; WaveLimiterHint : 1
; COMPUTE_PGM_RSRC2:SCRATCH_EN: 0
; COMPUTE_PGM_RSRC2:USER_SGPR: 15
; COMPUTE_PGM_RSRC2:TRAP_HANDLER: 0
; COMPUTE_PGM_RSRC2:TGID_X_EN: 1
; COMPUTE_PGM_RSRC2:TGID_Y_EN: 0
; COMPUTE_PGM_RSRC2:TGID_Z_EN: 0
; COMPUTE_PGM_RSRC2:TIDIG_COMP_CNT: 0
	.section	.text._ZN2at6native29vectorized_elementwise_kernelILi2EZZZNS0_17clamp_kernel_cudaERNS_18TensorIteratorBaseERKN3c106ScalarES7_ENKUlvE_clEvENKUlvE6_clEvEUlNS4_4HalfEE_St5arrayIPcLm2EEEEviT0_T1_,"axG",@progbits,_ZN2at6native29vectorized_elementwise_kernelILi2EZZZNS0_17clamp_kernel_cudaERNS_18TensorIteratorBaseERKN3c106ScalarES7_ENKUlvE_clEvENKUlvE6_clEvEUlNS4_4HalfEE_St5arrayIPcLm2EEEEviT0_T1_,comdat
	.globl	_ZN2at6native29vectorized_elementwise_kernelILi2EZZZNS0_17clamp_kernel_cudaERNS_18TensorIteratorBaseERKN3c106ScalarES7_ENKUlvE_clEvENKUlvE6_clEvEUlNS4_4HalfEE_St5arrayIPcLm2EEEEviT0_T1_ ; -- Begin function _ZN2at6native29vectorized_elementwise_kernelILi2EZZZNS0_17clamp_kernel_cudaERNS_18TensorIteratorBaseERKN3c106ScalarES7_ENKUlvE_clEvENKUlvE6_clEvEUlNS4_4HalfEE_St5arrayIPcLm2EEEEviT0_T1_
	.p2align	8
	.type	_ZN2at6native29vectorized_elementwise_kernelILi2EZZZNS0_17clamp_kernel_cudaERNS_18TensorIteratorBaseERKN3c106ScalarES7_ENKUlvE_clEvENKUlvE6_clEvEUlNS4_4HalfEE_St5arrayIPcLm2EEEEviT0_T1_,@function
_ZN2at6native29vectorized_elementwise_kernelILi2EZZZNS0_17clamp_kernel_cudaERNS_18TensorIteratorBaseERKN3c106ScalarES7_ENKUlvE_clEvENKUlvE6_clEvEUlNS4_4HalfEE_St5arrayIPcLm2EEEEviT0_T1_: ; @_ZN2at6native29vectorized_elementwise_kernelILi2EZZZNS0_17clamp_kernel_cudaERNS_18TensorIteratorBaseERKN3c106ScalarES7_ENKUlvE_clEvENKUlvE6_clEvEUlNS4_4HalfEE_St5arrayIPcLm2EEEEviT0_T1_
; %bb.0:
	s_clause 0x1
	s_load_b64 s[8:9], s[0:1], 0x0
	s_load_b128 s[4:7], s[0:1], 0x8
	s_lshl_b32 s2, s15, 11
	s_mov_b32 s0, -1
	s_waitcnt lgkmcnt(0)
	s_sub_i32 s8, s8, s2
	s_delay_alu instid0(SALU_CYCLE_1)
	s_cmpk_gt_i32 s8, 0x7ff
	s_cbranch_scc0 .LBB333_2
; %bb.1:
	s_ashr_i32 s3, s2, 31
	v_lshlrev_b32_e32 v1, 2, v0
	s_lshl_b64 s[0:1], s[2:3], 1
	s_lshr_b32 s3, s9, 16
	s_add_u32 s10, s6, s0
	s_addc_u32 s11, s7, s1
	s_clause 0x3
	global_load_b32 v2, v1, s[10:11]
	global_load_b32 v3, v1, s[10:11] offset:1024
	global_load_b32 v4, v1, s[10:11] offset:2048
	;; [unrolled: 1-line block ×3, first 2 shown]
	s_add_u32 s10, s4, s0
	s_addc_u32 s11, s5, s1
	s_mov_b32 s0, 0
	s_waitcnt vmcnt(3)
	v_cmp_lt_f16_e32 vcc_lo, s9, v2
	v_lshrrev_b32_e32 v6, 16, v2
	s_waitcnt vmcnt(2)
	v_lshrrev_b32_e32 v7, 16, v3
	s_waitcnt vmcnt(1)
	;; [unrolled: 2-line block ×3, first 2 shown]
	v_lshrrev_b32_e32 v9, 16, v5
	v_cndmask_b32_e32 v10, s9, v2, vcc_lo
	v_cmp_lt_f16_e32 vcc_lo, s9, v3
	v_cndmask_b32_e32 v11, s9, v3, vcc_lo
	v_cmp_lt_f16_e32 vcc_lo, s9, v4
	;; [unrolled: 2-line block ×3, first 2 shown]
	v_cndmask_b32_e32 v13, s9, v5, vcc_lo
	v_cmp_gt_f16_e32 vcc_lo, s3, v10
	v_cndmask_b32_e32 v10, s3, v10, vcc_lo
	v_cmp_lt_f16_e32 vcc_lo, s9, v6
	v_cndmask_b32_e32 v14, s9, v6, vcc_lo
	v_cmp_gt_f16_e32 vcc_lo, s3, v11
	v_cndmask_b32_e32 v11, s3, v11, vcc_lo
	v_cmp_lt_f16_e32 vcc_lo, s9, v7
	;; [unrolled: 4-line block ×4, first 2 shown]
	v_cndmask_b32_e32 v17, s9, v9, vcc_lo
	v_cmp_u_f16_e32 vcc_lo, v2, v2
	v_cndmask_b32_e32 v2, v10, v2, vcc_lo
	v_cmp_gt_f16_e32 vcc_lo, s3, v14
	v_cndmask_b32_e32 v10, s3, v14, vcc_lo
	v_cmp_u_f16_e32 vcc_lo, v3, v3
	v_cndmask_b32_e32 v3, v11, v3, vcc_lo
	v_cmp_gt_f16_e32 vcc_lo, s3, v15
	v_and_b32_e32 v2, 0xffff, v2
	s_delay_alu instid0(VALU_DEP_3)
	v_and_b32_e32 v3, 0xffff, v3
	v_cndmask_b32_e32 v11, s3, v15, vcc_lo
	v_cmp_u_f16_e32 vcc_lo, v4, v4
	v_cndmask_b32_e32 v4, v12, v4, vcc_lo
	v_cmp_gt_f16_e32 vcc_lo, s3, v16
	v_cndmask_b32_e32 v12, s3, v16, vcc_lo
	v_cmp_u_f16_e32 vcc_lo, v5, v5
	v_cndmask_b32_e32 v5, v13, v5, vcc_lo
	v_cmp_gt_f16_e32 vcc_lo, s3, v17
	v_and_b32_e32 v4, 0xffff, v4
	s_delay_alu instid0(VALU_DEP_3)
	v_and_b32_e32 v5, 0xffff, v5
	v_cndmask_b32_e32 v13, s3, v17, vcc_lo
	v_cmp_u_f16_e32 vcc_lo, v6, v6
	v_cndmask_b32_e32 v6, v10, v6, vcc_lo
	v_cmp_u_f16_e32 vcc_lo, v7, v7
	;; [unrolled: 2-line block ×3, first 2 shown]
	s_delay_alu instid0(VALU_DEP_4) | instskip(NEXT) | instid1(VALU_DEP_3)
	v_lshlrev_b32_e32 v6, 16, v6
	v_dual_cndmask_b32 v8, v12, v8 :: v_dual_lshlrev_b32 v7, 16, v7
	v_cmp_u_f16_e32 vcc_lo, v9, v9
	s_delay_alu instid0(VALU_DEP_3) | instskip(NEXT) | instid1(VALU_DEP_3)
	v_or_b32_e32 v2, v6, v2
	v_or_b32_e32 v3, v7, v3
	s_delay_alu instid0(VALU_DEP_4) | instskip(NEXT) | instid1(VALU_DEP_1)
	v_dual_cndmask_b32 v9, v13, v9 :: v_dual_lshlrev_b32 v8, 16, v8
	v_lshlrev_b32_e32 v9, 16, v9
	s_delay_alu instid0(VALU_DEP_2) | instskip(NEXT) | instid1(VALU_DEP_2)
	v_or_b32_e32 v4, v8, v4
	v_or_b32_e32 v5, v9, v5
	s_clause 0x3
	global_store_b32 v1, v2, s[10:11]
	global_store_b32 v1, v3, s[10:11] offset:1024
	global_store_b32 v1, v4, s[10:11] offset:2048
	;; [unrolled: 1-line block ×3, first 2 shown]
.LBB333_2:
	s_and_not1_b32 vcc_lo, exec_lo, s0
	s_cbranch_vccnz .LBB333_43
; %bb.3:
	v_cmp_gt_i32_e32 vcc_lo, s8, v0
	v_dual_mov_b32 v4, 0 :: v_dual_mov_b32 v5, 0
	v_or_b32_e32 v1, s2, v0
	v_or_b32_e32 v3, 0x100, v0
	v_mov_b32_e32 v9, v0
	s_and_saveexec_b32 s1, vcc_lo
	s_cbranch_execz .LBB333_5
; %bb.4:
	v_mov_b32_e32 v2, 0
	v_or_b32_e32 v9, 0x100, v0
	s_delay_alu instid0(VALU_DEP_2) | instskip(NEXT) | instid1(VALU_DEP_1)
	v_lshlrev_b64 v[5:6], 1, v[1:2]
	v_add_co_u32 v5, s0, s6, v5
	s_delay_alu instid0(VALU_DEP_1)
	v_add_co_ci_u32_e64 v6, s0, s7, v6, s0
	global_load_u16 v5, v[5:6], off
.LBB333_5:
	s_or_b32 exec_lo, exec_lo, s1
	s_delay_alu instid0(SALU_CYCLE_1)
	s_mov_b32 s1, exec_lo
	v_cmpx_gt_i32_e64 s8, v9
	s_cbranch_execz .LBB333_7
; %bb.6:
	v_dual_mov_b32 v7, 0 :: v_dual_add_nc_u32 v6, s2, v9
	v_add_nc_u32_e32 v9, 0x100, v9
	s_delay_alu instid0(VALU_DEP_2) | instskip(NEXT) | instid1(VALU_DEP_1)
	v_lshlrev_b64 v[6:7], 1, v[6:7]
	v_add_co_u32 v6, s0, s6, v6
	s_delay_alu instid0(VALU_DEP_1)
	v_add_co_ci_u32_e64 v7, s0, s7, v7, s0
	global_load_u16 v4, v[6:7], off
.LBB333_7:
	s_or_b32 exec_lo, exec_lo, s1
	v_dual_mov_b32 v2, 0 :: v_dual_mov_b32 v7, 0
	s_mov_b32 s1, exec_lo
	v_cmpx_gt_i32_e64 s8, v9
	s_cbranch_execz .LBB333_9
; %bb.8:
	v_dual_mov_b32 v7, 0 :: v_dual_add_nc_u32 v6, s2, v9
	v_add_nc_u32_e32 v9, 0x100, v9
	s_delay_alu instid0(VALU_DEP_2) | instskip(NEXT) | instid1(VALU_DEP_1)
	v_lshlrev_b64 v[6:7], 1, v[6:7]
	v_add_co_u32 v6, s0, s6, v6
	s_delay_alu instid0(VALU_DEP_1)
	v_add_co_ci_u32_e64 v7, s0, s7, v7, s0
	global_load_u16 v7, v[6:7], off
.LBB333_9:
	s_or_b32 exec_lo, exec_lo, s1
	s_delay_alu instid0(SALU_CYCLE_1)
	s_mov_b32 s1, exec_lo
	v_cmpx_gt_i32_e64 s8, v9
	s_cbranch_execz .LBB333_11
; %bb.10:
	v_dual_mov_b32 v11, 0 :: v_dual_add_nc_u32 v10, s2, v9
	v_add_nc_u32_e32 v9, 0x100, v9
	s_delay_alu instid0(VALU_DEP_2) | instskip(NEXT) | instid1(VALU_DEP_1)
	v_lshlrev_b64 v[10:11], 1, v[10:11]
	v_add_co_u32 v10, s0, s6, v10
	s_delay_alu instid0(VALU_DEP_1)
	v_add_co_ci_u32_e64 v11, s0, s7, v11, s0
	global_load_u16 v2, v[10:11], off
.LBB333_11:
	s_or_b32 exec_lo, exec_lo, s1
	v_mov_b32_e32 v6, 0
	v_mov_b32_e32 v10, 0
	s_mov_b32 s1, exec_lo
	v_cmpx_gt_i32_e64 s8, v9
	s_cbranch_execz .LBB333_13
; %bb.12:
	v_dual_mov_b32 v11, 0 :: v_dual_add_nc_u32 v10, s2, v9
	v_add_nc_u32_e32 v9, 0x100, v9
	s_delay_alu instid0(VALU_DEP_2) | instskip(NEXT) | instid1(VALU_DEP_1)
	v_lshlrev_b64 v[10:11], 1, v[10:11]
	v_add_co_u32 v10, s0, s6, v10
	s_delay_alu instid0(VALU_DEP_1)
	v_add_co_ci_u32_e64 v11, s0, s7, v11, s0
	global_load_u16 v10, v[10:11], off
.LBB333_13:
	s_or_b32 exec_lo, exec_lo, s1
	s_delay_alu instid0(SALU_CYCLE_1)
	s_mov_b32 s1, exec_lo
	v_cmpx_gt_i32_e64 s8, v9
	s_cbranch_execz .LBB333_15
; %bb.14:
	v_dual_mov_b32 v12, 0 :: v_dual_add_nc_u32 v11, s2, v9
	v_add_nc_u32_e32 v9, 0x100, v9
	s_delay_alu instid0(VALU_DEP_2) | instskip(NEXT) | instid1(VALU_DEP_1)
	v_lshlrev_b64 v[11:12], 1, v[11:12]
	v_add_co_u32 v11, s0, s6, v11
	s_delay_alu instid0(VALU_DEP_1)
	v_add_co_ci_u32_e64 v12, s0, s7, v12, s0
	global_load_u16 v6, v[11:12], off
.LBB333_15:
	s_or_b32 exec_lo, exec_lo, s1
	v_mov_b32_e32 v8, 0
	v_mov_b32_e32 v14, 0
	s_mov_b32 s1, exec_lo
	v_cmpx_gt_i32_e64 s8, v9
	s_cbranch_execz .LBB333_17
; %bb.16:
	v_dual_mov_b32 v12, 0 :: v_dual_add_nc_u32 v11, s2, v9
	v_add_nc_u32_e32 v9, 0x100, v9
	s_delay_alu instid0(VALU_DEP_2) | instskip(NEXT) | instid1(VALU_DEP_1)
	v_lshlrev_b64 v[11:12], 1, v[11:12]
	v_add_co_u32 v11, s0, s6, v11
	s_delay_alu instid0(VALU_DEP_1) | instskip(SKIP_2) | instid1(SALU_CYCLE_1)
	v_add_co_ci_u32_e64 v12, s0, s7, v12, s0
	global_load_u16 v14, v[11:12], off
	s_or_b32 exec_lo, exec_lo, s1
	s_mov_b32 s1, exec_lo
	v_cmpx_gt_i32_e64 s8, v9
	s_cbranch_execz .LBB333_19
	s_branch .LBB333_18
.LBB333_17:
	s_or_b32 exec_lo, exec_lo, s1
	s_delay_alu instid0(SALU_CYCLE_1)
	s_mov_b32 s1, exec_lo
	v_cmpx_gt_i32_e64 s8, v9
	s_cbranch_execz .LBB333_19
.LBB333_18:
	v_dual_mov_b32 v9, 0 :: v_dual_add_nc_u32 v8, s2, v9
	s_delay_alu instid0(VALU_DEP_1) | instskip(NEXT) | instid1(VALU_DEP_1)
	v_lshlrev_b64 v[8:9], 1, v[8:9]
	v_add_co_u32 v8, s0, s6, v8
	s_delay_alu instid0(VALU_DEP_1)
	v_add_co_ci_u32_e64 v9, s0, s7, v9, s0
	global_load_u16 v8, v[8:9], off
.LBB333_19:
	s_or_b32 exec_lo, exec_lo, s1
	s_lshr_b32 s1, s9, 16
                                        ; implicit-def: $vgpr15
	s_and_saveexec_b32 s3, vcc_lo
	s_cbranch_execz .LBB333_21
; %bb.20:
	s_waitcnt vmcnt(0)
	v_cmp_lt_f16_e64 s0, s9, v5
	s_delay_alu instid0(VALU_DEP_1) | instskip(NEXT) | instid1(VALU_DEP_1)
	v_cndmask_b32_e64 v9, s9, v5, s0
	v_cmp_gt_f16_e64 s0, s1, v9
	s_delay_alu instid0(VALU_DEP_1) | instskip(SKIP_1) | instid1(VALU_DEP_1)
	v_cndmask_b32_e64 v9, s1, v9, s0
	v_cmp_u_f16_e64 s0, v5, v5
	v_cndmask_b32_e64 v15, v9, v5, s0
.LBB333_21:
	s_or_b32 exec_lo, exec_lo, s3
	s_delay_alu instid0(SALU_CYCLE_1)
	s_mov_b32 s3, exec_lo
                                        ; implicit-def: $vgpr13
	v_cmpx_gt_i32_e64 s8, v3
	s_cbranch_execz .LBB333_23
; %bb.22:
	s_waitcnt vmcnt(0)
	v_cmp_lt_f16_e64 s0, s9, v4
	s_delay_alu instid0(VALU_DEP_1) | instskip(NEXT) | instid1(VALU_DEP_1)
	v_cndmask_b32_e64 v5, s9, v4, s0
	v_cmp_gt_f16_e64 s0, s1, v5
	s_delay_alu instid0(VALU_DEP_1) | instskip(SKIP_1) | instid1(VALU_DEP_1)
	v_cndmask_b32_e64 v5, s1, v5, s0
	v_cmp_u_f16_e64 s0, v4, v4
	v_cndmask_b32_e64 v13, v5, v4, s0
.LBB333_23:
	s_or_b32 exec_lo, exec_lo, s3
	s_waitcnt vmcnt(0)
	v_or_b32_e32 v4, 0x200, v0
	s_mov_b32 s3, exec_lo
                                        ; implicit-def: $vgpr12
	s_delay_alu instid0(VALU_DEP_1)
	v_cmpx_gt_i32_e64 s8, v4
; %bb.24:
	v_cmp_lt_f16_e64 s0, s9, v7
	s_delay_alu instid0(VALU_DEP_1) | instskip(NEXT) | instid1(VALU_DEP_1)
	v_cndmask_b32_e64 v4, s9, v7, s0
	v_cmp_gt_f16_e64 s0, s1, v4
	s_delay_alu instid0(VALU_DEP_1) | instskip(SKIP_1) | instid1(VALU_DEP_1)
	v_cndmask_b32_e64 v4, s1, v4, s0
	v_cmp_u_f16_e64 s0, v7, v7
	v_cndmask_b32_e64 v12, v4, v7, s0
; %bb.25:
	s_or_b32 exec_lo, exec_lo, s3
	v_or_b32_e32 v4, 0x300, v0
	s_mov_b32 s3, exec_lo
                                        ; implicit-def: $vgpr11
	s_delay_alu instid0(VALU_DEP_1)
	v_cmpx_gt_i32_e64 s8, v4
; %bb.26:
	v_cmp_lt_f16_e64 s0, s9, v2
	s_delay_alu instid0(VALU_DEP_1) | instskip(NEXT) | instid1(VALU_DEP_1)
	v_cndmask_b32_e64 v4, s9, v2, s0
	v_cmp_gt_f16_e64 s0, s1, v4
	s_delay_alu instid0(VALU_DEP_1) | instskip(SKIP_1) | instid1(VALU_DEP_1)
	v_cndmask_b32_e64 v4, s1, v4, s0
	v_cmp_u_f16_e64 s0, v2, v2
	v_cndmask_b32_e64 v11, v4, v2, s0
; %bb.27:
	s_or_b32 exec_lo, exec_lo, s3
	v_or_b32_e32 v2, 0x400, v0
	s_mov_b32 s3, exec_lo
                                        ; implicit-def: $vgpr9
	s_delay_alu instid0(VALU_DEP_1)
	v_cmpx_gt_i32_e64 s8, v2
; %bb.28:
	v_cmp_lt_f16_e64 s0, s9, v10
	s_delay_alu instid0(VALU_DEP_1) | instskip(NEXT) | instid1(VALU_DEP_1)
	v_cndmask_b32_e64 v2, s9, v10, s0
	v_cmp_gt_f16_e64 s0, s1, v2
	s_delay_alu instid0(VALU_DEP_1) | instskip(SKIP_1) | instid1(VALU_DEP_1)
	v_cndmask_b32_e64 v2, s1, v2, s0
	v_cmp_u_f16_e64 s0, v10, v10
	v_cndmask_b32_e64 v9, v2, v10, s0
; %bb.29:
	s_or_b32 exec_lo, exec_lo, s3
	v_or_b32_e32 v2, 0x500, v0
	s_mov_b32 s3, exec_lo
                                        ; implicit-def: $vgpr7
	s_delay_alu instid0(VALU_DEP_1)
	v_cmpx_gt_i32_e64 s8, v2
; %bb.30:
	v_cmp_lt_f16_e64 s0, s9, v6
	s_delay_alu instid0(VALU_DEP_1) | instskip(NEXT) | instid1(VALU_DEP_1)
	v_cndmask_b32_e64 v2, s9, v6, s0
	v_cmp_gt_f16_e64 s0, s1, v2
	s_delay_alu instid0(VALU_DEP_1) | instskip(SKIP_1) | instid1(VALU_DEP_1)
	v_cndmask_b32_e64 v2, s1, v2, s0
	v_cmp_u_f16_e64 s0, v6, v6
	v_cndmask_b32_e64 v7, v2, v6, s0
; %bb.31:
	s_or_b32 exec_lo, exec_lo, s3
	v_or_b32_e32 v2, 0x600, v0
	s_mov_b32 s3, exec_lo
                                        ; implicit-def: $vgpr5
	s_delay_alu instid0(VALU_DEP_1)
	v_cmpx_gt_i32_e64 s8, v2
; %bb.32:
	v_cmp_lt_f16_e64 s0, s9, v14
	s_delay_alu instid0(VALU_DEP_1) | instskip(NEXT) | instid1(VALU_DEP_1)
	v_cndmask_b32_e64 v2, s9, v14, s0
	v_cmp_gt_f16_e64 s0, s1, v2
	s_delay_alu instid0(VALU_DEP_1) | instskip(SKIP_1) | instid1(VALU_DEP_1)
	v_cndmask_b32_e64 v2, s1, v2, s0
	v_cmp_u_f16_e64 s0, v14, v14
	v_cndmask_b32_e64 v5, v2, v14, s0
; %bb.33:
	s_or_b32 exec_lo, exec_lo, s3
	v_or_b32_e32 v2, 0x700, v0
	s_mov_b32 s3, exec_lo
                                        ; implicit-def: $vgpr4
	s_delay_alu instid0(VALU_DEP_1)
	v_cmpx_gt_i32_e64 s8, v2
	s_cbranch_execz .LBB333_44
; %bb.34:
	v_cmp_lt_f16_e64 s0, s9, v8
	s_delay_alu instid0(VALU_DEP_1) | instskip(NEXT) | instid1(VALU_DEP_1)
	v_cndmask_b32_e64 v2, s9, v8, s0
	v_cmp_gt_f16_e64 s0, s1, v2
	s_delay_alu instid0(VALU_DEP_1) | instskip(SKIP_1) | instid1(VALU_DEP_1)
	v_cndmask_b32_e64 v2, s1, v2, s0
	v_cmp_u_f16_e64 s0, v8, v8
	v_cndmask_b32_e64 v4, v2, v8, s0
	s_or_b32 exec_lo, exec_lo, s3
	s_and_saveexec_b32 s0, vcc_lo
	s_delay_alu instid0(SALU_CYCLE_1)
	s_xor_b32 s0, exec_lo, s0
	s_cbranch_execnz .LBB333_45
.LBB333_35:
	s_or_b32 exec_lo, exec_lo, s0
	s_delay_alu instid0(SALU_CYCLE_1)
	s_mov_b32 s0, exec_lo
	v_cmpx_gt_i32_e64 s8, v0
	s_cbranch_execz .LBB333_46
.LBB333_36:
	v_dual_mov_b32 v2, 0 :: v_dual_add_nc_u32 v1, s2, v0
	v_add_nc_u32_e32 v0, 0x100, v0
	s_delay_alu instid0(VALU_DEP_2) | instskip(NEXT) | instid1(VALU_DEP_1)
	v_lshlrev_b64 v[1:2], 1, v[1:2]
	v_add_co_u32 v1, vcc_lo, s4, v1
	s_delay_alu instid0(VALU_DEP_2) | instskip(SKIP_2) | instid1(SALU_CYCLE_1)
	v_add_co_ci_u32_e32 v2, vcc_lo, s5, v2, vcc_lo
	global_store_b16 v[1:2], v13, off
	s_or_b32 exec_lo, exec_lo, s0
	s_mov_b32 s0, exec_lo
	v_cmpx_gt_i32_e64 s8, v0
	s_cbranch_execnz .LBB333_47
.LBB333_37:
	s_or_b32 exec_lo, exec_lo, s0
	s_delay_alu instid0(SALU_CYCLE_1)
	s_mov_b32 s0, exec_lo
	v_cmpx_gt_i32_e64 s8, v0
	s_cbranch_execz .LBB333_48
.LBB333_38:
	v_dual_mov_b32 v2, 0 :: v_dual_add_nc_u32 v1, s2, v0
	v_add_nc_u32_e32 v0, 0x100, v0
	s_delay_alu instid0(VALU_DEP_2) | instskip(NEXT) | instid1(VALU_DEP_1)
	v_lshlrev_b64 v[1:2], 1, v[1:2]
	v_add_co_u32 v1, vcc_lo, s4, v1
	s_delay_alu instid0(VALU_DEP_2) | instskip(SKIP_2) | instid1(SALU_CYCLE_1)
	v_add_co_ci_u32_e32 v2, vcc_lo, s5, v2, vcc_lo
	global_store_b16 v[1:2], v11, off
	s_or_b32 exec_lo, exec_lo, s0
	s_mov_b32 s0, exec_lo
	v_cmpx_gt_i32_e64 s8, v0
	s_cbranch_execnz .LBB333_49
.LBB333_39:
	s_or_b32 exec_lo, exec_lo, s0
	s_delay_alu instid0(SALU_CYCLE_1)
	s_mov_b32 s0, exec_lo
	v_cmpx_gt_i32_e64 s8, v0
	s_cbranch_execz .LBB333_50
.LBB333_40:
	v_dual_mov_b32 v2, 0 :: v_dual_add_nc_u32 v1, s2, v0
	v_add_nc_u32_e32 v0, 0x100, v0
	s_delay_alu instid0(VALU_DEP_2) | instskip(NEXT) | instid1(VALU_DEP_1)
	v_lshlrev_b64 v[1:2], 1, v[1:2]
	v_add_co_u32 v1, vcc_lo, s4, v1
	s_delay_alu instid0(VALU_DEP_2) | instskip(SKIP_2) | instid1(SALU_CYCLE_1)
	v_add_co_ci_u32_e32 v2, vcc_lo, s5, v2, vcc_lo
	global_store_b16 v[1:2], v7, off
	s_or_b32 exec_lo, exec_lo, s0
	s_mov_b32 s0, exec_lo
	v_cmpx_gt_i32_e64 s8, v0
	s_cbranch_execnz .LBB333_51
.LBB333_41:
	s_or_b32 exec_lo, exec_lo, s0
	s_delay_alu instid0(SALU_CYCLE_1)
	s_mov_b32 s0, exec_lo
	v_cmpx_gt_i32_e64 s8, v0
	s_cbranch_execz .LBB333_43
.LBB333_42:
	v_dual_mov_b32 v1, 0 :: v_dual_add_nc_u32 v0, s2, v0
	s_delay_alu instid0(VALU_DEP_1) | instskip(NEXT) | instid1(VALU_DEP_1)
	v_lshlrev_b64 v[0:1], 1, v[0:1]
	v_add_co_u32 v0, vcc_lo, s4, v0
	s_delay_alu instid0(VALU_DEP_2)
	v_add_co_ci_u32_e32 v1, vcc_lo, s5, v1, vcc_lo
	global_store_b16 v[0:1], v4, off
.LBB333_43:
	s_nop 0
	s_sendmsg sendmsg(MSG_DEALLOC_VGPRS)
	s_endpgm
.LBB333_44:
	s_or_b32 exec_lo, exec_lo, s3
	s_and_saveexec_b32 s0, vcc_lo
	s_delay_alu instid0(SALU_CYCLE_1)
	s_xor_b32 s0, exec_lo, s0
	s_cbranch_execz .LBB333_35
.LBB333_45:
	v_mov_b32_e32 v2, 0
	s_delay_alu instid0(VALU_DEP_1) | instskip(NEXT) | instid1(VALU_DEP_1)
	v_lshlrev_b64 v[0:1], 1, v[1:2]
	v_add_co_u32 v16, vcc_lo, s4, v0
	s_delay_alu instid0(VALU_DEP_2) | instskip(SKIP_3) | instid1(SALU_CYCLE_1)
	v_add_co_ci_u32_e32 v17, vcc_lo, s5, v1, vcc_lo
	v_mov_b32_e32 v0, v3
	global_store_b16 v[16:17], v15, off
	s_or_b32 exec_lo, exec_lo, s0
	s_mov_b32 s0, exec_lo
	v_cmpx_gt_i32_e64 s8, v0
	s_cbranch_execnz .LBB333_36
.LBB333_46:
	s_or_b32 exec_lo, exec_lo, s0
	s_delay_alu instid0(SALU_CYCLE_1)
	s_mov_b32 s0, exec_lo
	v_cmpx_gt_i32_e64 s8, v0
	s_cbranch_execz .LBB333_37
.LBB333_47:
	v_dual_mov_b32 v2, 0 :: v_dual_add_nc_u32 v1, s2, v0
	v_add_nc_u32_e32 v0, 0x100, v0
	s_delay_alu instid0(VALU_DEP_2) | instskip(NEXT) | instid1(VALU_DEP_1)
	v_lshlrev_b64 v[1:2], 1, v[1:2]
	v_add_co_u32 v1, vcc_lo, s4, v1
	s_delay_alu instid0(VALU_DEP_2) | instskip(SKIP_2) | instid1(SALU_CYCLE_1)
	v_add_co_ci_u32_e32 v2, vcc_lo, s5, v2, vcc_lo
	global_store_b16 v[1:2], v12, off
	s_or_b32 exec_lo, exec_lo, s0
	s_mov_b32 s0, exec_lo
	v_cmpx_gt_i32_e64 s8, v0
	s_cbranch_execnz .LBB333_38
.LBB333_48:
	s_or_b32 exec_lo, exec_lo, s0
	s_delay_alu instid0(SALU_CYCLE_1)
	s_mov_b32 s0, exec_lo
	v_cmpx_gt_i32_e64 s8, v0
	s_cbranch_execz .LBB333_39
.LBB333_49:
	v_dual_mov_b32 v2, 0 :: v_dual_add_nc_u32 v1, s2, v0
	v_add_nc_u32_e32 v0, 0x100, v0
	s_delay_alu instid0(VALU_DEP_2) | instskip(NEXT) | instid1(VALU_DEP_1)
	v_lshlrev_b64 v[1:2], 1, v[1:2]
	v_add_co_u32 v1, vcc_lo, s4, v1
	s_delay_alu instid0(VALU_DEP_2) | instskip(SKIP_2) | instid1(SALU_CYCLE_1)
	v_add_co_ci_u32_e32 v2, vcc_lo, s5, v2, vcc_lo
	global_store_b16 v[1:2], v9, off
	s_or_b32 exec_lo, exec_lo, s0
	s_mov_b32 s0, exec_lo
	v_cmpx_gt_i32_e64 s8, v0
	s_cbranch_execnz .LBB333_40
.LBB333_50:
	s_or_b32 exec_lo, exec_lo, s0
	s_delay_alu instid0(SALU_CYCLE_1)
	s_mov_b32 s0, exec_lo
	v_cmpx_gt_i32_e64 s8, v0
	s_cbranch_execz .LBB333_41
.LBB333_51:
	v_dual_mov_b32 v2, 0 :: v_dual_add_nc_u32 v1, s2, v0
	v_add_nc_u32_e32 v0, 0x100, v0
	s_delay_alu instid0(VALU_DEP_2) | instskip(NEXT) | instid1(VALU_DEP_1)
	v_lshlrev_b64 v[1:2], 1, v[1:2]
	v_add_co_u32 v1, vcc_lo, s4, v1
	s_delay_alu instid0(VALU_DEP_2) | instskip(SKIP_2) | instid1(SALU_CYCLE_1)
	v_add_co_ci_u32_e32 v2, vcc_lo, s5, v2, vcc_lo
	global_store_b16 v[1:2], v5, off
	s_or_b32 exec_lo, exec_lo, s0
	s_mov_b32 s0, exec_lo
	v_cmpx_gt_i32_e64 s8, v0
	s_cbranch_execnz .LBB333_42
	s_branch .LBB333_43
	.section	.rodata,"a",@progbits
	.p2align	6, 0x0
	.amdhsa_kernel _ZN2at6native29vectorized_elementwise_kernelILi2EZZZNS0_17clamp_kernel_cudaERNS_18TensorIteratorBaseERKN3c106ScalarES7_ENKUlvE_clEvENKUlvE6_clEvEUlNS4_4HalfEE_St5arrayIPcLm2EEEEviT0_T1_
		.amdhsa_group_segment_fixed_size 0
		.amdhsa_private_segment_fixed_size 0
		.amdhsa_kernarg_size 24
		.amdhsa_user_sgpr_count 15
		.amdhsa_user_sgpr_dispatch_ptr 0
		.amdhsa_user_sgpr_queue_ptr 0
		.amdhsa_user_sgpr_kernarg_segment_ptr 1
		.amdhsa_user_sgpr_dispatch_id 0
		.amdhsa_user_sgpr_private_segment_size 0
		.amdhsa_wavefront_size32 1
		.amdhsa_uses_dynamic_stack 0
		.amdhsa_enable_private_segment 0
		.amdhsa_system_sgpr_workgroup_id_x 1
		.amdhsa_system_sgpr_workgroup_id_y 0
		.amdhsa_system_sgpr_workgroup_id_z 0
		.amdhsa_system_sgpr_workgroup_info 0
		.amdhsa_system_vgpr_workitem_id 0
		.amdhsa_next_free_vgpr 18
		.amdhsa_next_free_sgpr 16
		.amdhsa_reserve_vcc 1
		.amdhsa_float_round_mode_32 0
		.amdhsa_float_round_mode_16_64 0
		.amdhsa_float_denorm_mode_32 3
		.amdhsa_float_denorm_mode_16_64 3
		.amdhsa_dx10_clamp 1
		.amdhsa_ieee_mode 1
		.amdhsa_fp16_overflow 0
		.amdhsa_workgroup_processor_mode 1
		.amdhsa_memory_ordered 1
		.amdhsa_forward_progress 0
		.amdhsa_shared_vgpr_count 0
		.amdhsa_exception_fp_ieee_invalid_op 0
		.amdhsa_exception_fp_denorm_src 0
		.amdhsa_exception_fp_ieee_div_zero 0
		.amdhsa_exception_fp_ieee_overflow 0
		.amdhsa_exception_fp_ieee_underflow 0
		.amdhsa_exception_fp_ieee_inexact 0
		.amdhsa_exception_int_div_zero 0
	.end_amdhsa_kernel
	.section	.text._ZN2at6native29vectorized_elementwise_kernelILi2EZZZNS0_17clamp_kernel_cudaERNS_18TensorIteratorBaseERKN3c106ScalarES7_ENKUlvE_clEvENKUlvE6_clEvEUlNS4_4HalfEE_St5arrayIPcLm2EEEEviT0_T1_,"axG",@progbits,_ZN2at6native29vectorized_elementwise_kernelILi2EZZZNS0_17clamp_kernel_cudaERNS_18TensorIteratorBaseERKN3c106ScalarES7_ENKUlvE_clEvENKUlvE6_clEvEUlNS4_4HalfEE_St5arrayIPcLm2EEEEviT0_T1_,comdat
.Lfunc_end333:
	.size	_ZN2at6native29vectorized_elementwise_kernelILi2EZZZNS0_17clamp_kernel_cudaERNS_18TensorIteratorBaseERKN3c106ScalarES7_ENKUlvE_clEvENKUlvE6_clEvEUlNS4_4HalfEE_St5arrayIPcLm2EEEEviT0_T1_, .Lfunc_end333-_ZN2at6native29vectorized_elementwise_kernelILi2EZZZNS0_17clamp_kernel_cudaERNS_18TensorIteratorBaseERKN3c106ScalarES7_ENKUlvE_clEvENKUlvE6_clEvEUlNS4_4HalfEE_St5arrayIPcLm2EEEEviT0_T1_
                                        ; -- End function
	.section	.AMDGPU.csdata,"",@progbits
; Kernel info:
; codeLenInByte = 2588
; NumSgprs: 18
; NumVgprs: 18
; ScratchSize: 0
; MemoryBound: 0
; FloatMode: 240
; IeeeMode: 1
; LDSByteSize: 0 bytes/workgroup (compile time only)
; SGPRBlocks: 2
; VGPRBlocks: 2
; NumSGPRsForWavesPerEU: 18
; NumVGPRsForWavesPerEU: 18
; Occupancy: 16
; WaveLimiterHint : 1
; COMPUTE_PGM_RSRC2:SCRATCH_EN: 0
; COMPUTE_PGM_RSRC2:USER_SGPR: 15
; COMPUTE_PGM_RSRC2:TRAP_HANDLER: 0
; COMPUTE_PGM_RSRC2:TGID_X_EN: 1
; COMPUTE_PGM_RSRC2:TGID_Y_EN: 0
; COMPUTE_PGM_RSRC2:TGID_Z_EN: 0
; COMPUTE_PGM_RSRC2:TIDIG_COMP_CNT: 0
	.section	.text._ZN2at6native27unrolled_elementwise_kernelIZZZNS0_17clamp_kernel_cudaERNS_18TensorIteratorBaseERKN3c106ScalarES7_ENKUlvE_clEvENKUlvE6_clEvEUlNS4_4HalfEE_St5arrayIPcLm2EELi4E23TrivialOffsetCalculatorILi1EjESG_NS0_6memory15LoadWithoutCastENSH_16StoreWithoutCastEEEviT_T0_T2_T3_T4_T5_,"axG",@progbits,_ZN2at6native27unrolled_elementwise_kernelIZZZNS0_17clamp_kernel_cudaERNS_18TensorIteratorBaseERKN3c106ScalarES7_ENKUlvE_clEvENKUlvE6_clEvEUlNS4_4HalfEE_St5arrayIPcLm2EELi4E23TrivialOffsetCalculatorILi1EjESG_NS0_6memory15LoadWithoutCastENSH_16StoreWithoutCastEEEviT_T0_T2_T3_T4_T5_,comdat
	.globl	_ZN2at6native27unrolled_elementwise_kernelIZZZNS0_17clamp_kernel_cudaERNS_18TensorIteratorBaseERKN3c106ScalarES7_ENKUlvE_clEvENKUlvE6_clEvEUlNS4_4HalfEE_St5arrayIPcLm2EELi4E23TrivialOffsetCalculatorILi1EjESG_NS0_6memory15LoadWithoutCastENSH_16StoreWithoutCastEEEviT_T0_T2_T3_T4_T5_ ; -- Begin function _ZN2at6native27unrolled_elementwise_kernelIZZZNS0_17clamp_kernel_cudaERNS_18TensorIteratorBaseERKN3c106ScalarES7_ENKUlvE_clEvENKUlvE6_clEvEUlNS4_4HalfEE_St5arrayIPcLm2EELi4E23TrivialOffsetCalculatorILi1EjESG_NS0_6memory15LoadWithoutCastENSH_16StoreWithoutCastEEEviT_T0_T2_T3_T4_T5_
	.p2align	8
	.type	_ZN2at6native27unrolled_elementwise_kernelIZZZNS0_17clamp_kernel_cudaERNS_18TensorIteratorBaseERKN3c106ScalarES7_ENKUlvE_clEvENKUlvE6_clEvEUlNS4_4HalfEE_St5arrayIPcLm2EELi4E23TrivialOffsetCalculatorILi1EjESG_NS0_6memory15LoadWithoutCastENSH_16StoreWithoutCastEEEviT_T0_T2_T3_T4_T5_,@function
_ZN2at6native27unrolled_elementwise_kernelIZZZNS0_17clamp_kernel_cudaERNS_18TensorIteratorBaseERKN3c106ScalarES7_ENKUlvE_clEvENKUlvE6_clEvEUlNS4_4HalfEE_St5arrayIPcLm2EELi4E23TrivialOffsetCalculatorILi1EjESG_NS0_6memory15LoadWithoutCastENSH_16StoreWithoutCastEEEviT_T0_T2_T3_T4_T5_: ; @_ZN2at6native27unrolled_elementwise_kernelIZZZNS0_17clamp_kernel_cudaERNS_18TensorIteratorBaseERKN3c106ScalarES7_ENKUlvE_clEvENKUlvE6_clEvEUlNS4_4HalfEE_St5arrayIPcLm2EELi4E23TrivialOffsetCalculatorILi1EjESG_NS0_6memory15LoadWithoutCastENSH_16StoreWithoutCastEEEviT_T0_T2_T3_T4_T5_
; %bb.0:
	s_clause 0x1
	s_load_b64 s[2:3], s[0:1], 0x0
	s_load_b128 s[4:7], s[0:1], 0x8
	s_lshl_b32 s1, s15, 10
	v_dual_mov_b32 v4, 0 :: v_dual_mov_b32 v5, 0
	v_or_b32_e32 v1, s1, v0
	v_or_b32_e32 v3, 0x100, v0
	v_mov_b32_e32 v6, v0
	s_waitcnt lgkmcnt(0)
	s_sub_i32 s2, s2, s1
	s_delay_alu instid0(SALU_CYCLE_1)
	v_cmp_gt_i32_e32 vcc_lo, s2, v0
	s_and_saveexec_b32 s8, vcc_lo
	s_cbranch_execz .LBB334_2
; %bb.1:
	v_mov_b32_e32 v2, 0
	s_delay_alu instid0(VALU_DEP_1) | instskip(NEXT) | instid1(VALU_DEP_1)
	v_lshlrev_b64 v[5:6], 1, v[1:2]
	v_add_co_u32 v5, s0, s6, v5
	s_delay_alu instid0(VALU_DEP_1)
	v_add_co_ci_u32_e64 v6, s0, s7, v6, s0
	global_load_u16 v5, v[5:6], off
	v_or_b32_e32 v6, 0x100, v0
.LBB334_2:
	s_or_b32 exec_lo, exec_lo, s8
	s_delay_alu instid0(SALU_CYCLE_1) | instskip(NEXT) | instid1(VALU_DEP_1)
	s_mov_b32 s8, exec_lo
	v_cmpx_gt_i32_e64 s2, v6
	s_cbranch_execz .LBB334_4
; %bb.3:
	v_dual_mov_b32 v8, 0 :: v_dual_add_nc_u32 v7, s1, v6
	v_add_nc_u32_e32 v6, 0x100, v6
	s_delay_alu instid0(VALU_DEP_2) | instskip(NEXT) | instid1(VALU_DEP_1)
	v_lshlrev_b64 v[7:8], 1, v[7:8]
	v_add_co_u32 v7, s0, s6, v7
	s_delay_alu instid0(VALU_DEP_1)
	v_add_co_ci_u32_e64 v8, s0, s7, v8, s0
	global_load_u16 v4, v[7:8], off
.LBB334_4:
	s_or_b32 exec_lo, exec_lo, s8
	v_dual_mov_b32 v2, 0 :: v_dual_mov_b32 v7, 0
	s_mov_b32 s8, exec_lo
	v_cmpx_gt_i32_e64 s2, v6
	s_cbranch_execz .LBB334_6
; %bb.5:
	v_dual_mov_b32 v8, 0 :: v_dual_add_nc_u32 v7, s1, v6
	v_add_nc_u32_e32 v6, 0x100, v6
	s_delay_alu instid0(VALU_DEP_2) | instskip(NEXT) | instid1(VALU_DEP_1)
	v_lshlrev_b64 v[7:8], 1, v[7:8]
	v_add_co_u32 v7, s0, s6, v7
	s_delay_alu instid0(VALU_DEP_1) | instskip(SKIP_2) | instid1(SALU_CYCLE_1)
	v_add_co_ci_u32_e64 v8, s0, s7, v8, s0
	global_load_u16 v7, v[7:8], off
	s_or_b32 exec_lo, exec_lo, s8
	s_mov_b32 s8, exec_lo
	v_cmpx_gt_i32_e64 s2, v6
	s_cbranch_execz .LBB334_8
	s_branch .LBB334_7
.LBB334_6:
	s_or_b32 exec_lo, exec_lo, s8
	s_delay_alu instid0(SALU_CYCLE_1)
	s_mov_b32 s8, exec_lo
	v_cmpx_gt_i32_e64 s2, v6
	s_cbranch_execz .LBB334_8
.LBB334_7:
	v_dual_mov_b32 v9, 0 :: v_dual_add_nc_u32 v8, s1, v6
	s_delay_alu instid0(VALU_DEP_1) | instskip(NEXT) | instid1(VALU_DEP_1)
	v_lshlrev_b64 v[8:9], 1, v[8:9]
	v_add_co_u32 v8, s0, s6, v8
	s_delay_alu instid0(VALU_DEP_1)
	v_add_co_ci_u32_e64 v9, s0, s7, v9, s0
	global_load_u16 v2, v[8:9], off
.LBB334_8:
	s_or_b32 exec_lo, exec_lo, s8
	s_lshr_b32 s6, s3, 16
                                        ; implicit-def: $vgpr8
	s_and_saveexec_b32 s7, vcc_lo
	s_cbranch_execz .LBB334_10
; %bb.9:
	s_waitcnt vmcnt(0)
	v_cmp_lt_f16_e64 s0, s3, v5
	s_delay_alu instid0(VALU_DEP_1) | instskip(NEXT) | instid1(VALU_DEP_1)
	v_cndmask_b32_e64 v6, s3, v5, s0
	v_cmp_gt_f16_e64 s0, s6, v6
	s_delay_alu instid0(VALU_DEP_1) | instskip(SKIP_1) | instid1(VALU_DEP_1)
	v_cndmask_b32_e64 v6, s6, v6, s0
	v_cmp_u_f16_e64 s0, v5, v5
	v_cndmask_b32_e64 v8, v6, v5, s0
.LBB334_10:
	s_or_b32 exec_lo, exec_lo, s7
	s_delay_alu instid0(SALU_CYCLE_1)
	s_mov_b32 s7, exec_lo
                                        ; implicit-def: $vgpr6
	v_cmpx_gt_i32_e64 s2, v3
	s_cbranch_execz .LBB334_12
; %bb.11:
	s_waitcnt vmcnt(0)
	v_cmp_lt_f16_e64 s0, s3, v4
	s_delay_alu instid0(VALU_DEP_1) | instskip(NEXT) | instid1(VALU_DEP_1)
	v_cndmask_b32_e64 v5, s3, v4, s0
	v_cmp_gt_f16_e64 s0, s6, v5
	s_delay_alu instid0(VALU_DEP_1) | instskip(SKIP_1) | instid1(VALU_DEP_1)
	v_cndmask_b32_e64 v5, s6, v5, s0
	v_cmp_u_f16_e64 s0, v4, v4
	v_cndmask_b32_e64 v6, v5, v4, s0
.LBB334_12:
	s_or_b32 exec_lo, exec_lo, s7
	s_waitcnt vmcnt(0)
	v_or_b32_e32 v4, 0x200, v0
	s_delay_alu instid0(VALU_DEP_1) | instskip(NEXT) | instid1(VALU_DEP_1)
	v_cmp_gt_i32_e64 s0, s2, v4
                                        ; implicit-def: $vgpr4
	s_and_saveexec_b32 s7, s0
; %bb.13:
	v_cmp_lt_f16_e64 s0, s3, v7
	s_delay_alu instid0(VALU_DEP_1) | instskip(NEXT) | instid1(VALU_DEP_1)
	v_cndmask_b32_e64 v4, s3, v7, s0
	v_cmp_gt_f16_e64 s0, s6, v4
	s_delay_alu instid0(VALU_DEP_1) | instskip(SKIP_1) | instid1(VALU_DEP_1)
	v_cndmask_b32_e64 v4, s6, v4, s0
	v_cmp_u_f16_e64 s0, v7, v7
	v_cndmask_b32_e64 v4, v4, v7, s0
; %bb.14:
	s_or_b32 exec_lo, exec_lo, s7
	v_or_b32_e32 v5, 0x300, v0
	s_delay_alu instid0(VALU_DEP_1) | instskip(NEXT) | instid1(VALU_DEP_1)
	v_cmp_gt_i32_e64 s0, s2, v5
                                        ; implicit-def: $vgpr5
	s_and_saveexec_b32 s7, s0
	s_cbranch_execz .LBB334_20
; %bb.15:
	v_cmp_lt_f16_e64 s0, s3, v2
	s_delay_alu instid0(VALU_DEP_1) | instskip(NEXT) | instid1(VALU_DEP_1)
	v_cndmask_b32_e64 v5, s3, v2, s0
	v_cmp_gt_f16_e64 s0, s6, v5
	s_delay_alu instid0(VALU_DEP_1) | instskip(SKIP_1) | instid1(VALU_DEP_1)
	v_cndmask_b32_e64 v5, s6, v5, s0
	v_cmp_u_f16_e64 s0, v2, v2
	v_cndmask_b32_e64 v5, v5, v2, s0
	s_or_b32 exec_lo, exec_lo, s7
	s_and_saveexec_b32 s0, vcc_lo
	s_delay_alu instid0(SALU_CYCLE_1)
	s_xor_b32 s0, exec_lo, s0
	s_cbranch_execnz .LBB334_21
.LBB334_16:
	s_or_b32 exec_lo, exec_lo, s0
	s_delay_alu instid0(SALU_CYCLE_1)
	s_mov_b32 s0, exec_lo
	v_cmpx_gt_i32_e64 s2, v0
	s_cbranch_execz .LBB334_22
.LBB334_17:
	v_dual_mov_b32 v2, 0 :: v_dual_add_nc_u32 v1, s1, v0
	v_add_nc_u32_e32 v0, 0x100, v0
	s_delay_alu instid0(VALU_DEP_2) | instskip(NEXT) | instid1(VALU_DEP_1)
	v_lshlrev_b64 v[1:2], 1, v[1:2]
	v_add_co_u32 v1, vcc_lo, s4, v1
	s_delay_alu instid0(VALU_DEP_2) | instskip(SKIP_2) | instid1(SALU_CYCLE_1)
	v_add_co_ci_u32_e32 v2, vcc_lo, s5, v2, vcc_lo
	global_store_b16 v[1:2], v6, off
	s_or_b32 exec_lo, exec_lo, s0
	s_mov_b32 s0, exec_lo
	v_cmpx_gt_i32_e64 s2, v0
	s_cbranch_execnz .LBB334_23
.LBB334_18:
	s_or_b32 exec_lo, exec_lo, s0
	s_delay_alu instid0(SALU_CYCLE_1)
	s_mov_b32 s0, exec_lo
	v_cmpx_gt_i32_e64 s2, v0
	s_cbranch_execz .LBB334_24
.LBB334_19:
	v_dual_mov_b32 v1, 0 :: v_dual_add_nc_u32 v0, s1, v0
	s_delay_alu instid0(VALU_DEP_1) | instskip(NEXT) | instid1(VALU_DEP_1)
	v_lshlrev_b64 v[0:1], 1, v[0:1]
	v_add_co_u32 v0, vcc_lo, s4, v0
	s_delay_alu instid0(VALU_DEP_2)
	v_add_co_ci_u32_e32 v1, vcc_lo, s5, v1, vcc_lo
	global_store_b16 v[0:1], v5, off
	s_nop 0
	s_sendmsg sendmsg(MSG_DEALLOC_VGPRS)
	s_endpgm
.LBB334_20:
	s_or_b32 exec_lo, exec_lo, s7
	s_and_saveexec_b32 s0, vcc_lo
	s_delay_alu instid0(SALU_CYCLE_1)
	s_xor_b32 s0, exec_lo, s0
	s_cbranch_execz .LBB334_16
.LBB334_21:
	v_mov_b32_e32 v2, 0
	s_delay_alu instid0(VALU_DEP_1) | instskip(NEXT) | instid1(VALU_DEP_1)
	v_lshlrev_b64 v[0:1], 1, v[1:2]
	v_add_co_u32 v9, vcc_lo, s4, v0
	s_delay_alu instid0(VALU_DEP_2) | instskip(SKIP_3) | instid1(SALU_CYCLE_1)
	v_add_co_ci_u32_e32 v10, vcc_lo, s5, v1, vcc_lo
	v_mov_b32_e32 v0, v3
	global_store_b16 v[9:10], v8, off
	s_or_b32 exec_lo, exec_lo, s0
	s_mov_b32 s0, exec_lo
	v_cmpx_gt_i32_e64 s2, v0
	s_cbranch_execnz .LBB334_17
.LBB334_22:
	s_or_b32 exec_lo, exec_lo, s0
	s_delay_alu instid0(SALU_CYCLE_1)
	s_mov_b32 s0, exec_lo
	v_cmpx_gt_i32_e64 s2, v0
	s_cbranch_execz .LBB334_18
.LBB334_23:
	v_dual_mov_b32 v2, 0 :: v_dual_add_nc_u32 v1, s1, v0
	v_add_nc_u32_e32 v0, 0x100, v0
	s_delay_alu instid0(VALU_DEP_2) | instskip(NEXT) | instid1(VALU_DEP_1)
	v_lshlrev_b64 v[1:2], 1, v[1:2]
	v_add_co_u32 v1, vcc_lo, s4, v1
	s_delay_alu instid0(VALU_DEP_2) | instskip(SKIP_2) | instid1(SALU_CYCLE_1)
	v_add_co_ci_u32_e32 v2, vcc_lo, s5, v2, vcc_lo
	global_store_b16 v[1:2], v4, off
	s_or_b32 exec_lo, exec_lo, s0
	s_mov_b32 s0, exec_lo
	v_cmpx_gt_i32_e64 s2, v0
	s_cbranch_execnz .LBB334_19
.LBB334_24:
	s_nop 0
	s_sendmsg sendmsg(MSG_DEALLOC_VGPRS)
	s_endpgm
	.section	.rodata,"a",@progbits
	.p2align	6, 0x0
	.amdhsa_kernel _ZN2at6native27unrolled_elementwise_kernelIZZZNS0_17clamp_kernel_cudaERNS_18TensorIteratorBaseERKN3c106ScalarES7_ENKUlvE_clEvENKUlvE6_clEvEUlNS4_4HalfEE_St5arrayIPcLm2EELi4E23TrivialOffsetCalculatorILi1EjESG_NS0_6memory15LoadWithoutCastENSH_16StoreWithoutCastEEEviT_T0_T2_T3_T4_T5_
		.amdhsa_group_segment_fixed_size 0
		.amdhsa_private_segment_fixed_size 0
		.amdhsa_kernarg_size 28
		.amdhsa_user_sgpr_count 15
		.amdhsa_user_sgpr_dispatch_ptr 0
		.amdhsa_user_sgpr_queue_ptr 0
		.amdhsa_user_sgpr_kernarg_segment_ptr 1
		.amdhsa_user_sgpr_dispatch_id 0
		.amdhsa_user_sgpr_private_segment_size 0
		.amdhsa_wavefront_size32 1
		.amdhsa_uses_dynamic_stack 0
		.amdhsa_enable_private_segment 0
		.amdhsa_system_sgpr_workgroup_id_x 1
		.amdhsa_system_sgpr_workgroup_id_y 0
		.amdhsa_system_sgpr_workgroup_id_z 0
		.amdhsa_system_sgpr_workgroup_info 0
		.amdhsa_system_vgpr_workitem_id 0
		.amdhsa_next_free_vgpr 11
		.amdhsa_next_free_sgpr 16
		.amdhsa_reserve_vcc 1
		.amdhsa_float_round_mode_32 0
		.amdhsa_float_round_mode_16_64 0
		.amdhsa_float_denorm_mode_32 3
		.amdhsa_float_denorm_mode_16_64 3
		.amdhsa_dx10_clamp 1
		.amdhsa_ieee_mode 1
		.amdhsa_fp16_overflow 0
		.amdhsa_workgroup_processor_mode 1
		.amdhsa_memory_ordered 1
		.amdhsa_forward_progress 0
		.amdhsa_shared_vgpr_count 0
		.amdhsa_exception_fp_ieee_invalid_op 0
		.amdhsa_exception_fp_denorm_src 0
		.amdhsa_exception_fp_ieee_div_zero 0
		.amdhsa_exception_fp_ieee_overflow 0
		.amdhsa_exception_fp_ieee_underflow 0
		.amdhsa_exception_fp_ieee_inexact 0
		.amdhsa_exception_int_div_zero 0
	.end_amdhsa_kernel
	.section	.text._ZN2at6native27unrolled_elementwise_kernelIZZZNS0_17clamp_kernel_cudaERNS_18TensorIteratorBaseERKN3c106ScalarES7_ENKUlvE_clEvENKUlvE6_clEvEUlNS4_4HalfEE_St5arrayIPcLm2EELi4E23TrivialOffsetCalculatorILi1EjESG_NS0_6memory15LoadWithoutCastENSH_16StoreWithoutCastEEEviT_T0_T2_T3_T4_T5_,"axG",@progbits,_ZN2at6native27unrolled_elementwise_kernelIZZZNS0_17clamp_kernel_cudaERNS_18TensorIteratorBaseERKN3c106ScalarES7_ENKUlvE_clEvENKUlvE6_clEvEUlNS4_4HalfEE_St5arrayIPcLm2EELi4E23TrivialOffsetCalculatorILi1EjESG_NS0_6memory15LoadWithoutCastENSH_16StoreWithoutCastEEEviT_T0_T2_T3_T4_T5_,comdat
.Lfunc_end334:
	.size	_ZN2at6native27unrolled_elementwise_kernelIZZZNS0_17clamp_kernel_cudaERNS_18TensorIteratorBaseERKN3c106ScalarES7_ENKUlvE_clEvENKUlvE6_clEvEUlNS4_4HalfEE_St5arrayIPcLm2EELi4E23TrivialOffsetCalculatorILi1EjESG_NS0_6memory15LoadWithoutCastENSH_16StoreWithoutCastEEEviT_T0_T2_T3_T4_T5_, .Lfunc_end334-_ZN2at6native27unrolled_elementwise_kernelIZZZNS0_17clamp_kernel_cudaERNS_18TensorIteratorBaseERKN3c106ScalarES7_ENKUlvE_clEvENKUlvE6_clEvEUlNS4_4HalfEE_St5arrayIPcLm2EELi4E23TrivialOffsetCalculatorILi1EjESG_NS0_6memory15LoadWithoutCastENSH_16StoreWithoutCastEEEviT_T0_T2_T3_T4_T5_
                                        ; -- End function
	.section	.AMDGPU.csdata,"",@progbits
; Kernel info:
; codeLenInByte = 1108
; NumSgprs: 18
; NumVgprs: 11
; ScratchSize: 0
; MemoryBound: 0
; FloatMode: 240
; IeeeMode: 1
; LDSByteSize: 0 bytes/workgroup (compile time only)
; SGPRBlocks: 2
; VGPRBlocks: 1
; NumSGPRsForWavesPerEU: 18
; NumVGPRsForWavesPerEU: 11
; Occupancy: 16
; WaveLimiterHint : 0
; COMPUTE_PGM_RSRC2:SCRATCH_EN: 0
; COMPUTE_PGM_RSRC2:USER_SGPR: 15
; COMPUTE_PGM_RSRC2:TRAP_HANDLER: 0
; COMPUTE_PGM_RSRC2:TGID_X_EN: 1
; COMPUTE_PGM_RSRC2:TGID_Y_EN: 0
; COMPUTE_PGM_RSRC2:TGID_Z_EN: 0
; COMPUTE_PGM_RSRC2:TIDIG_COMP_CNT: 0
	.section	.text._ZN2at6native32elementwise_kernel_manual_unrollILi128ELi8EZNS0_22gpu_kernel_impl_nocastIZZZNS0_17clamp_kernel_cudaERNS_18TensorIteratorBaseERKN3c106ScalarES8_ENKUlvE_clEvENKUlvE6_clEvEUlNS5_4HalfEE_EEvS4_RKT_EUlibE_EEviT1_,"axG",@progbits,_ZN2at6native32elementwise_kernel_manual_unrollILi128ELi8EZNS0_22gpu_kernel_impl_nocastIZZZNS0_17clamp_kernel_cudaERNS_18TensorIteratorBaseERKN3c106ScalarES8_ENKUlvE_clEvENKUlvE6_clEvEUlNS5_4HalfEE_EEvS4_RKT_EUlibE_EEviT1_,comdat
	.globl	_ZN2at6native32elementwise_kernel_manual_unrollILi128ELi8EZNS0_22gpu_kernel_impl_nocastIZZZNS0_17clamp_kernel_cudaERNS_18TensorIteratorBaseERKN3c106ScalarES8_ENKUlvE_clEvENKUlvE6_clEvEUlNS5_4HalfEE_EEvS4_RKT_EUlibE_EEviT1_ ; -- Begin function _ZN2at6native32elementwise_kernel_manual_unrollILi128ELi8EZNS0_22gpu_kernel_impl_nocastIZZZNS0_17clamp_kernel_cudaERNS_18TensorIteratorBaseERKN3c106ScalarES8_ENKUlvE_clEvENKUlvE6_clEvEUlNS5_4HalfEE_EEvS4_RKT_EUlibE_EEviT1_
	.p2align	8
	.type	_ZN2at6native32elementwise_kernel_manual_unrollILi128ELi8EZNS0_22gpu_kernel_impl_nocastIZZZNS0_17clamp_kernel_cudaERNS_18TensorIteratorBaseERKN3c106ScalarES8_ENKUlvE_clEvENKUlvE6_clEvEUlNS5_4HalfEE_EEvS4_RKT_EUlibE_EEviT1_,@function
_ZN2at6native32elementwise_kernel_manual_unrollILi128ELi8EZNS0_22gpu_kernel_impl_nocastIZZZNS0_17clamp_kernel_cudaERNS_18TensorIteratorBaseERKN3c106ScalarES8_ENKUlvE_clEvENKUlvE6_clEvEUlNS5_4HalfEE_EEvS4_RKT_EUlibE_EEviT1_: ; @_ZN2at6native32elementwise_kernel_manual_unrollILi128ELi8EZNS0_22gpu_kernel_impl_nocastIZZZNS0_17clamp_kernel_cudaERNS_18TensorIteratorBaseERKN3c106ScalarES8_ENKUlvE_clEvENKUlvE6_clEvEUlNS5_4HalfEE_EEvS4_RKT_EUlibE_EEviT1_
; %bb.0:
	s_clause 0x1
	s_load_b32 s22, s[0:1], 0x8
	s_load_b32 s29, s[0:1], 0x0
	v_lshl_or_b32 v12, s15, 10, v0
	s_or_b32 s0, s0, 8
	s_mov_b32 s2, exec_lo
	s_delay_alu instid0(VALU_DEP_1) | instskip(SKIP_2) | instid1(SALU_CYCLE_1)
	v_or_b32_e32 v16, 0x380, v12
	s_waitcnt lgkmcnt(0)
	s_add_i32 s23, s22, -1
	s_cmp_gt_u32 s23, 1
	s_cselect_b32 s24, -1, 0
	v_cmpx_le_i32_e64 s29, v16
	s_xor_b32 s25, exec_lo, s2
	s_cbranch_execz .LBB335_7
; %bb.1:
	s_clause 0x4
	s_load_b128 s[8:11], s[0:1], 0x4
	s_load_b64 s[2:3], s[0:1], 0x14
	s_load_b32 s26, s[0:1], 0x158
	s_load_b128 s[12:15], s[0:1], 0xc4
	s_load_b128 s[4:7], s[0:1], 0x148
	s_cmp_lg_u32 s22, 0
	s_mov_b32 s33, exec_lo
	s_cselect_b32 s31, -1, 0
	s_add_u32 s16, s0, 0xc4
	s_addc_u32 s17, s1, 0
	s_min_u32 s30, s23, 15
	s_cmp_gt_u32 s22, 1
	s_cselect_b32 s28, -1, 0
	s_waitcnt lgkmcnt(0)
	s_lshr_b32 s27, s26, 16
	v_cmpx_gt_i32_e64 s29, v12
	s_cbranch_execz .LBB335_14
; %bb.2:
	s_and_not1_b32 vcc_lo, exec_lo, s24
	s_cbranch_vccnz .LBB335_21
; %bb.3:
	v_dual_mov_b32 v0, 0 :: v_dual_mov_b32 v1, 0
	s_and_not1_b32 vcc_lo, exec_lo, s31
	s_mov_b32 s34, 0
	s_cbranch_vccnz .LBB335_125
; %bb.4:
	v_mov_b32_e32 v0, 0
	s_add_i32 s36, s30, 1
	s_cmp_eq_u32 s23, 2
	s_mov_b32 s35, 0
	s_cbranch_scc1 .LBB335_121
; %bb.5:
	v_dual_mov_b32 v1, 0 :: v_dual_mov_b32 v0, 0
	v_mov_b32_e32 v2, v12
	s_and_b32 s35, s36, 28
	s_mov_b32 s37, 0
	s_mov_b64 s[18:19], s[16:17]
	s_mov_b64 s[20:21], s[0:1]
.LBB335_6:                              ; =>This Inner Loop Header: Depth=1
	s_clause 0x1
	s_load_b256 s[40:47], s[20:21], 0x4
	s_load_b128 s[56:59], s[20:21], 0x24
	s_load_b256 s[48:55], s[18:19], 0x0
	s_add_u32 s20, s20, 48
	s_addc_u32 s21, s21, 0
	s_add_i32 s37, s37, 4
	s_add_u32 s18, s18, 32
	s_addc_u32 s19, s19, 0
	s_cmp_lg_u32 s35, s37
	s_waitcnt lgkmcnt(0)
	v_mul_hi_u32 v3, s41, v2
	s_delay_alu instid0(VALU_DEP_1) | instskip(NEXT) | instid1(VALU_DEP_1)
	v_add_nc_u32_e32 v3, v2, v3
	v_lshrrev_b32_e32 v3, s42, v3
	s_delay_alu instid0(VALU_DEP_1) | instskip(SKIP_1) | instid1(VALU_DEP_2)
	v_mul_hi_u32 v4, s44, v3
	v_mul_lo_u32 v6, v3, s40
	v_add_nc_u32_e32 v4, v3, v4
	s_delay_alu instid0(VALU_DEP_2) | instskip(NEXT) | instid1(VALU_DEP_2)
	v_sub_nc_u32_e32 v2, v2, v6
	v_lshrrev_b32_e32 v4, s45, v4
	s_delay_alu instid0(VALU_DEP_2) | instskip(SKIP_1) | instid1(VALU_DEP_3)
	v_mul_lo_u32 v6, v2, s48
	v_mul_lo_u32 v8, v2, s49
	v_mul_hi_u32 v5, s47, v4
	s_delay_alu instid0(VALU_DEP_1) | instskip(NEXT) | instid1(VALU_DEP_1)
	v_add_nc_u32_e32 v5, v4, v5
	v_lshrrev_b32_e32 v5, s56, v5
	s_delay_alu instid0(VALU_DEP_1) | instskip(SKIP_1) | instid1(VALU_DEP_2)
	v_mul_hi_u32 v7, s58, v5
	v_mul_lo_u32 v9, v5, s46
	v_add_nc_u32_e32 v2, v5, v7
	v_mul_lo_u32 v7, v4, s43
	s_delay_alu instid0(VALU_DEP_3) | instskip(NEXT) | instid1(VALU_DEP_3)
	v_sub_nc_u32_e32 v4, v4, v9
	v_lshrrev_b32_e32 v2, s59, v2
	s_delay_alu instid0(VALU_DEP_2) | instskip(SKIP_2) | instid1(VALU_DEP_4)
	v_mul_lo_u32 v9, v4, s52
	v_mul_lo_u32 v4, v4, s53
	v_sub_nc_u32_e32 v3, v3, v7
	v_mul_lo_u32 v10, v2, s57
	s_delay_alu instid0(VALU_DEP_2) | instskip(SKIP_1) | instid1(VALU_DEP_3)
	v_mul_lo_u32 v7, v3, s50
	v_mul_lo_u32 v3, v3, s51
	v_sub_nc_u32_e32 v5, v5, v10
	s_delay_alu instid0(VALU_DEP_3) | instskip(NEXT) | instid1(VALU_DEP_2)
	v_add3_u32 v0, v6, v0, v7
	v_mul_lo_u32 v10, v5, s54
	v_mul_lo_u32 v5, v5, s55
	v_add3_u32 v1, v8, v1, v3
	s_delay_alu instid0(VALU_DEP_3) | instskip(NEXT) | instid1(VALU_DEP_2)
	v_add3_u32 v0, v9, v0, v10
	v_add3_u32 v1, v4, v1, v5
	s_cbranch_scc1 .LBB335_6
	s_branch .LBB335_122
.LBB335_7:
	s_and_not1_saveexec_b32 s2, s25
	s_cbranch_execz .LBB335_206
.LBB335_8:
	v_cndmask_b32_e64 v14, 0, 1, s24
	s_and_not1_b32 vcc_lo, exec_lo, s24
	s_cbranch_vccnz .LBB335_20
; %bb.9:
	v_dual_mov_b32 v0, 0 :: v_dual_mov_b32 v1, 0
	s_cmp_lg_u32 s22, 0
	s_mov_b32 s6, 0
	s_cbranch_scc0 .LBB335_26
; %bb.10:
	s_min_u32 s7, s23, 15
	v_mov_b32_e32 v0, 0
	s_add_i32 s7, s7, 1
	s_cmp_eq_u32 s23, 2
	s_mov_b32 s8, 0
	s_cbranch_scc1 .LBB335_23
; %bb.11:
	v_dual_mov_b32 v1, 0 :: v_dual_mov_b32 v0, 0
	v_mov_b32_e32 v2, v12
	s_add_u32 s2, s0, 0xc4
	s_addc_u32 s3, s1, 0
	s_and_b32 s8, s7, 28
	s_mov_b32 s9, 0
	s_mov_b64 s[4:5], s[0:1]
.LBB335_12:                             ; =>This Inner Loop Header: Depth=1
	s_clause 0x1
	s_load_b256 s[12:19], s[4:5], 0x4
	s_load_b128 s[36:39], s[4:5], 0x24
	s_load_b256 s[24:31], s[2:3], 0x0
	s_add_u32 s4, s4, 48
	s_addc_u32 s5, s5, 0
	s_add_i32 s9, s9, 4
	s_add_u32 s2, s2, 32
	s_addc_u32 s3, s3, 0
	s_cmp_lg_u32 s8, s9
	s_waitcnt lgkmcnt(0)
	v_mul_hi_u32 v3, s13, v2
	s_delay_alu instid0(VALU_DEP_1) | instskip(NEXT) | instid1(VALU_DEP_1)
	v_add_nc_u32_e32 v3, v2, v3
	v_lshrrev_b32_e32 v3, s14, v3
	s_delay_alu instid0(VALU_DEP_1) | instskip(SKIP_1) | instid1(VALU_DEP_2)
	v_mul_hi_u32 v4, s16, v3
	v_mul_lo_u32 v6, v3, s12
	v_add_nc_u32_e32 v4, v3, v4
	s_delay_alu instid0(VALU_DEP_2) | instskip(NEXT) | instid1(VALU_DEP_2)
	v_sub_nc_u32_e32 v2, v2, v6
	v_lshrrev_b32_e32 v4, s17, v4
	s_delay_alu instid0(VALU_DEP_2) | instskip(SKIP_1) | instid1(VALU_DEP_3)
	v_mul_lo_u32 v6, v2, s24
	v_mul_lo_u32 v8, v2, s25
	v_mul_hi_u32 v5, s19, v4
	s_delay_alu instid0(VALU_DEP_1) | instskip(NEXT) | instid1(VALU_DEP_1)
	v_add_nc_u32_e32 v5, v4, v5
	v_lshrrev_b32_e32 v5, s36, v5
	s_delay_alu instid0(VALU_DEP_1) | instskip(SKIP_1) | instid1(VALU_DEP_2)
	v_mul_hi_u32 v7, s38, v5
	v_mul_lo_u32 v9, v5, s18
	v_add_nc_u32_e32 v2, v5, v7
	v_mul_lo_u32 v7, v4, s15
	s_delay_alu instid0(VALU_DEP_3) | instskip(NEXT) | instid1(VALU_DEP_3)
	v_sub_nc_u32_e32 v4, v4, v9
	v_lshrrev_b32_e32 v2, s39, v2
	s_delay_alu instid0(VALU_DEP_2) | instskip(SKIP_2) | instid1(VALU_DEP_4)
	v_mul_lo_u32 v9, v4, s28
	v_mul_lo_u32 v4, v4, s29
	v_sub_nc_u32_e32 v3, v3, v7
	v_mul_lo_u32 v10, v2, s37
	s_delay_alu instid0(VALU_DEP_2) | instskip(SKIP_1) | instid1(VALU_DEP_3)
	v_mul_lo_u32 v7, v3, s26
	v_mul_lo_u32 v3, v3, s27
	v_sub_nc_u32_e32 v5, v5, v10
	s_delay_alu instid0(VALU_DEP_3) | instskip(NEXT) | instid1(VALU_DEP_2)
	v_add3_u32 v0, v6, v0, v7
	v_mul_lo_u32 v10, v5, s30
	v_mul_lo_u32 v5, v5, s31
	v_add3_u32 v1, v8, v1, v3
	s_delay_alu instid0(VALU_DEP_3) | instskip(NEXT) | instid1(VALU_DEP_2)
	v_add3_u32 v0, v9, v0, v10
	v_add3_u32 v1, v4, v1, v5
	s_cbranch_scc1 .LBB335_12
; %bb.13:
	s_and_b32 s7, s7, 3
	s_delay_alu instid0(SALU_CYCLE_1)
	s_cmp_eq_u32 s7, 0
	s_cbranch_scc0 .LBB335_24
	s_branch .LBB335_26
.LBB335_14:
	s_or_b32 exec_lo, exec_lo, s33
	s_delay_alu instid0(SALU_CYCLE_1)
	s_mov_b32 s33, exec_lo
	v_cmpx_gt_i32_e64 s29, v12
	s_cbranch_execz .LBB335_129
.LBB335_15:
	s_and_not1_b32 vcc_lo, exec_lo, s24
	s_cbranch_vccnz .LBB335_22
; %bb.16:
	v_dual_mov_b32 v0, 0 :: v_dual_mov_b32 v1, 0
	s_and_not1_b32 vcc_lo, exec_lo, s31
	s_mov_b32 s34, 0
	s_cbranch_vccnz .LBB335_140
; %bb.17:
	v_mov_b32_e32 v0, 0
	s_add_i32 s36, s30, 1
	s_cmp_eq_u32 s23, 2
	s_mov_b32 s35, 0
	s_cbranch_scc1 .LBB335_136
; %bb.18:
	v_dual_mov_b32 v1, 0 :: v_dual_mov_b32 v0, 0
	v_mov_b32_e32 v2, v12
	s_and_b32 s35, s36, 28
	s_mov_b32 s37, 0
	s_mov_b64 s[18:19], s[16:17]
	s_mov_b64 s[20:21], s[0:1]
.LBB335_19:                             ; =>This Inner Loop Header: Depth=1
	s_clause 0x1
	s_load_b256 s[40:47], s[20:21], 0x4
	s_load_b128 s[56:59], s[20:21], 0x24
	s_load_b256 s[48:55], s[18:19], 0x0
	s_add_u32 s20, s20, 48
	s_addc_u32 s21, s21, 0
	s_add_i32 s37, s37, 4
	s_add_u32 s18, s18, 32
	s_addc_u32 s19, s19, 0
	s_cmp_eq_u32 s35, s37
	s_waitcnt lgkmcnt(0)
	v_mul_hi_u32 v3, s41, v2
	s_delay_alu instid0(VALU_DEP_1) | instskip(NEXT) | instid1(VALU_DEP_1)
	v_add_nc_u32_e32 v3, v2, v3
	v_lshrrev_b32_e32 v3, s42, v3
	s_delay_alu instid0(VALU_DEP_1) | instskip(SKIP_1) | instid1(VALU_DEP_2)
	v_mul_hi_u32 v4, s44, v3
	v_mul_lo_u32 v6, v3, s40
	v_add_nc_u32_e32 v4, v3, v4
	s_delay_alu instid0(VALU_DEP_2) | instskip(NEXT) | instid1(VALU_DEP_2)
	v_sub_nc_u32_e32 v2, v2, v6
	v_lshrrev_b32_e32 v4, s45, v4
	s_delay_alu instid0(VALU_DEP_2) | instskip(SKIP_1) | instid1(VALU_DEP_3)
	v_mul_lo_u32 v6, v2, s48
	v_mul_lo_u32 v8, v2, s49
	v_mul_hi_u32 v5, s47, v4
	s_delay_alu instid0(VALU_DEP_1) | instskip(NEXT) | instid1(VALU_DEP_1)
	v_add_nc_u32_e32 v5, v4, v5
	v_lshrrev_b32_e32 v5, s56, v5
	s_delay_alu instid0(VALU_DEP_1) | instskip(SKIP_1) | instid1(VALU_DEP_2)
	v_mul_hi_u32 v7, s58, v5
	v_mul_lo_u32 v9, v5, s46
	v_add_nc_u32_e32 v2, v5, v7
	v_mul_lo_u32 v7, v4, s43
	s_delay_alu instid0(VALU_DEP_3) | instskip(NEXT) | instid1(VALU_DEP_3)
	v_sub_nc_u32_e32 v4, v4, v9
	v_lshrrev_b32_e32 v2, s59, v2
	s_delay_alu instid0(VALU_DEP_2) | instskip(SKIP_2) | instid1(VALU_DEP_4)
	v_mul_lo_u32 v9, v4, s52
	v_mul_lo_u32 v4, v4, s53
	v_sub_nc_u32_e32 v3, v3, v7
	v_mul_lo_u32 v10, v2, s57
	s_delay_alu instid0(VALU_DEP_2) | instskip(SKIP_1) | instid1(VALU_DEP_3)
	v_mul_lo_u32 v7, v3, s50
	v_mul_lo_u32 v3, v3, s51
	v_sub_nc_u32_e32 v5, v5, v10
	s_delay_alu instid0(VALU_DEP_3) | instskip(NEXT) | instid1(VALU_DEP_2)
	v_add3_u32 v0, v6, v0, v7
	v_mul_lo_u32 v10, v5, s54
	v_mul_lo_u32 v5, v5, s55
	v_add3_u32 v1, v8, v1, v3
	s_delay_alu instid0(VALU_DEP_3) | instskip(NEXT) | instid1(VALU_DEP_2)
	v_add3_u32 v0, v9, v0, v10
	v_add3_u32 v1, v4, v1, v5
	s_cbranch_scc0 .LBB335_19
	s_branch .LBB335_137
.LBB335_20:
	s_mov_b32 s6, -1
                                        ; implicit-def: $vgpr0
                                        ; implicit-def: $vgpr1
	s_branch .LBB335_26
.LBB335_21:
	s_mov_b32 s34, -1
                                        ; implicit-def: $vgpr0
                                        ; implicit-def: $vgpr1
	s_branch .LBB335_125
.LBB335_22:
	s_mov_b32 s34, -1
                                        ; implicit-def: $vgpr0
                                        ; implicit-def: $vgpr1
	s_branch .LBB335_140
.LBB335_23:
	v_dual_mov_b32 v2, v12 :: v_dual_mov_b32 v1, 0
	s_and_b32 s7, s7, 3
	s_delay_alu instid0(SALU_CYCLE_1)
	s_cmp_eq_u32 s7, 0
	s_cbranch_scc1 .LBB335_26
.LBB335_24:
	s_lshl_b32 s2, s8, 3
	s_mul_i32 s4, s8, 12
	s_add_u32 s2, s2, s0
	s_addc_u32 s3, 0, s1
	s_add_u32 s2, s2, 0xc4
	s_addc_u32 s3, s3, 0
	;; [unrolled: 2-line block ×3, first 2 shown]
	.p2align	6
.LBB335_25:                             ; =>This Inner Loop Header: Depth=1
	s_clause 0x1
	s_load_b64 s[8:9], s[4:5], 0x4
	s_load_b32 s12, s[4:5], 0xc
	s_load_b64 s[10:11], s[2:3], 0x0
	s_add_u32 s4, s4, 12
	s_addc_u32 s5, s5, 0
	s_add_u32 s2, s2, 8
	s_addc_u32 s3, s3, 0
	s_add_i32 s7, s7, -1
	s_delay_alu instid0(SALU_CYCLE_1) | instskip(SKIP_2) | instid1(VALU_DEP_1)
	s_cmp_lg_u32 s7, 0
	s_waitcnt lgkmcnt(0)
	v_mul_hi_u32 v3, s9, v2
	v_add_nc_u32_e32 v3, v2, v3
	s_delay_alu instid0(VALU_DEP_1) | instskip(NEXT) | instid1(VALU_DEP_1)
	v_lshrrev_b32_e32 v6, s12, v3
	v_mul_lo_u32 v3, v6, s8
	s_delay_alu instid0(VALU_DEP_1) | instskip(NEXT) | instid1(VALU_DEP_1)
	v_sub_nc_u32_e32 v2, v2, v3
	v_mad_u64_u32 v[3:4], null, v2, s10, v[0:1]
	v_mad_u64_u32 v[4:5], null, v2, s11, v[1:2]
	v_mov_b32_e32 v2, v6
	s_delay_alu instid0(VALU_DEP_2)
	v_dual_mov_b32 v0, v3 :: v_dual_mov_b32 v1, v4
	s_cbranch_scc1 .LBB335_25
.LBB335_26:
	s_and_not1_b32 vcc_lo, exec_lo, s6
	s_cbranch_vccnz .LBB335_29
; %bb.27:
	s_clause 0x1
	s_load_b128 s[4:7], s[0:1], 0x4
	s_load_b64 s[2:3], s[0:1], 0xc4
	s_cmp_lt_u32 s22, 2
	s_waitcnt lgkmcnt(0)
	v_mul_hi_u32 v0, s5, v12
	s_delay_alu instid0(VALU_DEP_1) | instskip(NEXT) | instid1(VALU_DEP_1)
	v_add_nc_u32_e32 v0, v12, v0
	v_lshrrev_b32_e32 v2, s6, v0
	s_delay_alu instid0(VALU_DEP_1) | instskip(NEXT) | instid1(VALU_DEP_1)
	v_mul_lo_u32 v0, v2, s4
	v_sub_nc_u32_e32 v1, v12, v0
	s_delay_alu instid0(VALU_DEP_1)
	v_mul_lo_u32 v0, v1, s2
	v_mul_lo_u32 v1, v1, s3
	s_cbranch_scc1 .LBB335_29
; %bb.28:
	s_clause 0x1
	s_load_b128 s[4:7], s[0:1], 0x10
	s_load_b64 s[2:3], s[0:1], 0xcc
	s_waitcnt lgkmcnt(0)
	v_mul_hi_u32 v3, s5, v2
	s_delay_alu instid0(VALU_DEP_1) | instskip(NEXT) | instid1(VALU_DEP_1)
	v_add_nc_u32_e32 v3, v2, v3
	v_lshrrev_b32_e32 v3, s6, v3
	s_delay_alu instid0(VALU_DEP_1) | instskip(NEXT) | instid1(VALU_DEP_1)
	v_mul_lo_u32 v3, v3, s4
	v_sub_nc_u32_e32 v5, v2, v3
	s_delay_alu instid0(VALU_DEP_1) | instskip(NEXT) | instid1(VALU_DEP_1)
	v_mad_u64_u32 v[2:3], null, v5, s2, v[0:1]
	v_mad_u64_u32 v[3:4], null, v5, s3, v[1:2]
	s_delay_alu instid0(VALU_DEP_1)
	v_dual_mov_b32 v0, v2 :: v_dual_mov_b32 v1, v3
.LBB335_29:
	v_cmp_ne_u32_e32 vcc_lo, 1, v14
	v_add_nc_u32_e32 v4, 0x80, v12
	s_cbranch_vccnz .LBB335_35
; %bb.30:
	v_dual_mov_b32 v2, 0 :: v_dual_mov_b32 v3, 0
	s_cmp_lg_u32 s22, 0
	s_mov_b32 s6, 0
	s_cbranch_scc0 .LBB335_39
; %bb.31:
	s_min_u32 s7, s23, 15
	v_mov_b32_e32 v2, 0
	s_add_i32 s7, s7, 1
	s_cmp_eq_u32 s23, 2
	s_mov_b32 s8, 0
	s_cbranch_scc1 .LBB335_36
; %bb.32:
	v_dual_mov_b32 v3, 0 :: v_dual_mov_b32 v2, 0
	v_mov_b32_e32 v5, v4
	s_add_u32 s2, s0, 0xc4
	s_addc_u32 s3, s1, 0
	s_and_b32 s8, s7, 28
	s_mov_b32 s9, 0
	s_mov_b64 s[4:5], s[0:1]
.LBB335_33:                             ; =>This Inner Loop Header: Depth=1
	s_clause 0x1
	s_load_b256 s[12:19], s[4:5], 0x4
	s_load_b128 s[36:39], s[4:5], 0x24
	s_load_b256 s[24:31], s[2:3], 0x0
	s_add_u32 s4, s4, 48
	s_addc_u32 s5, s5, 0
	s_add_i32 s9, s9, 4
	s_add_u32 s2, s2, 32
	s_addc_u32 s3, s3, 0
	s_cmp_lg_u32 s8, s9
	s_waitcnt lgkmcnt(0)
	v_mul_hi_u32 v6, s13, v5
	s_delay_alu instid0(VALU_DEP_1) | instskip(NEXT) | instid1(VALU_DEP_1)
	v_add_nc_u32_e32 v6, v5, v6
	v_lshrrev_b32_e32 v6, s14, v6
	s_delay_alu instid0(VALU_DEP_1) | instskip(SKIP_1) | instid1(VALU_DEP_2)
	v_mul_hi_u32 v7, s16, v6
	v_mul_lo_u32 v9, v6, s12
	v_add_nc_u32_e32 v7, v6, v7
	s_delay_alu instid0(VALU_DEP_2) | instskip(NEXT) | instid1(VALU_DEP_2)
	v_sub_nc_u32_e32 v5, v5, v9
	v_lshrrev_b32_e32 v7, s17, v7
	s_delay_alu instid0(VALU_DEP_2) | instskip(SKIP_1) | instid1(VALU_DEP_3)
	v_mul_lo_u32 v9, v5, s24
	v_mul_lo_u32 v11, v5, s25
	v_mul_hi_u32 v8, s19, v7
	s_delay_alu instid0(VALU_DEP_1) | instskip(NEXT) | instid1(VALU_DEP_1)
	v_add_nc_u32_e32 v8, v7, v8
	v_lshrrev_b32_e32 v8, s36, v8
	s_delay_alu instid0(VALU_DEP_1) | instskip(SKIP_1) | instid1(VALU_DEP_2)
	v_mul_hi_u32 v10, s38, v8
	v_mul_lo_u32 v13, v8, s18
	v_add_nc_u32_e32 v5, v8, v10
	v_mul_lo_u32 v10, v7, s15
	s_delay_alu instid0(VALU_DEP_3) | instskip(NEXT) | instid1(VALU_DEP_3)
	v_sub_nc_u32_e32 v7, v7, v13
	v_lshrrev_b32_e32 v5, s39, v5
	s_delay_alu instid0(VALU_DEP_2) | instskip(SKIP_2) | instid1(VALU_DEP_4)
	v_mul_lo_u32 v13, v7, s28
	v_mul_lo_u32 v7, v7, s29
	v_sub_nc_u32_e32 v6, v6, v10
	v_mul_lo_u32 v15, v5, s37
	s_delay_alu instid0(VALU_DEP_2) | instskip(SKIP_1) | instid1(VALU_DEP_3)
	v_mul_lo_u32 v10, v6, s26
	v_mul_lo_u32 v6, v6, s27
	v_sub_nc_u32_e32 v8, v8, v15
	s_delay_alu instid0(VALU_DEP_3) | instskip(NEXT) | instid1(VALU_DEP_2)
	v_add3_u32 v2, v9, v2, v10
	v_mul_lo_u32 v15, v8, s30
	v_mul_lo_u32 v8, v8, s31
	v_add3_u32 v3, v11, v3, v6
	s_delay_alu instid0(VALU_DEP_3) | instskip(NEXT) | instid1(VALU_DEP_2)
	v_add3_u32 v2, v13, v2, v15
	v_add3_u32 v3, v7, v3, v8
	s_cbranch_scc1 .LBB335_33
; %bb.34:
	s_and_b32 s7, s7, 3
	s_delay_alu instid0(SALU_CYCLE_1)
	s_cmp_eq_u32 s7, 0
	s_cbranch_scc0 .LBB335_37
	s_branch .LBB335_39
.LBB335_35:
	s_mov_b32 s6, -1
                                        ; implicit-def: $vgpr2
                                        ; implicit-def: $vgpr3
	s_branch .LBB335_39
.LBB335_36:
	v_mov_b32_e32 v5, v4
	v_mov_b32_e32 v3, 0
	s_and_b32 s7, s7, 3
	s_delay_alu instid0(SALU_CYCLE_1)
	s_cmp_eq_u32 s7, 0
	s_cbranch_scc1 .LBB335_39
.LBB335_37:
	s_lshl_b32 s2, s8, 3
	s_mul_i32 s4, s8, 12
	s_add_u32 s2, s2, s0
	s_addc_u32 s3, 0, s1
	s_add_u32 s2, s2, 0xc4
	s_addc_u32 s3, s3, 0
	;; [unrolled: 2-line block ×3, first 2 shown]
	.p2align	6
.LBB335_38:                             ; =>This Inner Loop Header: Depth=1
	s_clause 0x1
	s_load_b64 s[8:9], s[4:5], 0x4
	s_load_b32 s12, s[4:5], 0xc
	s_load_b64 s[10:11], s[2:3], 0x0
	s_add_u32 s4, s4, 12
	s_addc_u32 s5, s5, 0
	s_add_u32 s2, s2, 8
	s_addc_u32 s3, s3, 0
	s_add_i32 s7, s7, -1
	s_delay_alu instid0(SALU_CYCLE_1) | instskip(SKIP_2) | instid1(VALU_DEP_1)
	s_cmp_lg_u32 s7, 0
	s_waitcnt lgkmcnt(0)
	v_mul_hi_u32 v6, s9, v5
	v_add_nc_u32_e32 v6, v5, v6
	s_delay_alu instid0(VALU_DEP_1) | instskip(NEXT) | instid1(VALU_DEP_1)
	v_lshrrev_b32_e32 v9, s12, v6
	v_mul_lo_u32 v6, v9, s8
	s_delay_alu instid0(VALU_DEP_1) | instskip(NEXT) | instid1(VALU_DEP_1)
	v_sub_nc_u32_e32 v5, v5, v6
	v_mad_u64_u32 v[6:7], null, v5, s10, v[2:3]
	v_mad_u64_u32 v[7:8], null, v5, s11, v[3:4]
	s_delay_alu instid0(VALU_DEP_2) | instskip(NEXT) | instid1(VALU_DEP_2)
	v_dual_mov_b32 v5, v9 :: v_dual_mov_b32 v2, v6
	v_mov_b32_e32 v3, v7
	s_cbranch_scc1 .LBB335_38
.LBB335_39:
	s_and_not1_b32 vcc_lo, exec_lo, s6
	s_cbranch_vccnz .LBB335_42
; %bb.40:
	s_clause 0x1
	s_load_b128 s[4:7], s[0:1], 0x4
	s_load_b64 s[2:3], s[0:1], 0xc4
	s_cmp_lt_u32 s22, 2
	s_waitcnt lgkmcnt(0)
	v_mul_hi_u32 v2, s5, v4
	s_delay_alu instid0(VALU_DEP_1) | instskip(NEXT) | instid1(VALU_DEP_1)
	v_add_nc_u32_e32 v2, v4, v2
	v_lshrrev_b32_e32 v5, s6, v2
	s_delay_alu instid0(VALU_DEP_1) | instskip(NEXT) | instid1(VALU_DEP_1)
	v_mul_lo_u32 v2, v5, s4
	v_sub_nc_u32_e32 v3, v4, v2
	s_delay_alu instid0(VALU_DEP_1)
	v_mul_lo_u32 v2, v3, s2
	v_mul_lo_u32 v3, v3, s3
	s_cbranch_scc1 .LBB335_42
; %bb.41:
	s_clause 0x1
	s_load_b128 s[4:7], s[0:1], 0x10
	s_load_b64 s[2:3], s[0:1], 0xcc
	s_waitcnt lgkmcnt(0)
	v_mul_hi_u32 v4, s5, v5
	s_delay_alu instid0(VALU_DEP_1) | instskip(NEXT) | instid1(VALU_DEP_1)
	v_add_nc_u32_e32 v4, v5, v4
	v_lshrrev_b32_e32 v4, s6, v4
	s_delay_alu instid0(VALU_DEP_1) | instskip(NEXT) | instid1(VALU_DEP_1)
	v_mul_lo_u32 v4, v4, s4
	v_sub_nc_u32_e32 v7, v5, v4
	s_delay_alu instid0(VALU_DEP_1) | instskip(NEXT) | instid1(VALU_DEP_1)
	v_mad_u64_u32 v[4:5], null, v7, s2, v[2:3]
	v_mad_u64_u32 v[5:6], null, v7, s3, v[3:4]
	s_delay_alu instid0(VALU_DEP_1)
	v_dual_mov_b32 v2, v4 :: v_dual_mov_b32 v3, v5
.LBB335_42:
	v_cmp_ne_u32_e32 vcc_lo, 1, v14
	v_add_nc_u32_e32 v6, 0x100, v12
	s_cbranch_vccnz .LBB335_48
; %bb.43:
	v_dual_mov_b32 v4, 0 :: v_dual_mov_b32 v5, 0
	s_cmp_lg_u32 s22, 0
	s_mov_b32 s6, 0
	s_cbranch_scc0 .LBB335_52
; %bb.44:
	s_min_u32 s7, s23, 15
	v_mov_b32_e32 v4, 0
	s_add_i32 s7, s7, 1
	s_cmp_eq_u32 s23, 2
	s_mov_b32 s8, 0
	s_cbranch_scc1 .LBB335_49
; %bb.45:
	v_dual_mov_b32 v5, 0 :: v_dual_mov_b32 v4, 0
	v_mov_b32_e32 v7, v6
	s_add_u32 s2, s0, 0xc4
	s_addc_u32 s3, s1, 0
	s_and_b32 s8, s7, 28
	s_mov_b32 s9, 0
	s_mov_b64 s[4:5], s[0:1]
.LBB335_46:                             ; =>This Inner Loop Header: Depth=1
	s_clause 0x1
	s_load_b256 s[12:19], s[4:5], 0x4
	s_load_b128 s[36:39], s[4:5], 0x24
	s_load_b256 s[24:31], s[2:3], 0x0
	s_add_u32 s4, s4, 48
	s_addc_u32 s5, s5, 0
	s_add_i32 s9, s9, 4
	s_add_u32 s2, s2, 32
	s_addc_u32 s3, s3, 0
	s_cmp_lg_u32 s8, s9
	s_waitcnt lgkmcnt(0)
	v_mul_hi_u32 v8, s13, v7
	s_delay_alu instid0(VALU_DEP_1) | instskip(NEXT) | instid1(VALU_DEP_1)
	v_add_nc_u32_e32 v8, v7, v8
	v_lshrrev_b32_e32 v8, s14, v8
	s_delay_alu instid0(VALU_DEP_1) | instskip(SKIP_1) | instid1(VALU_DEP_2)
	v_mul_hi_u32 v9, s16, v8
	v_mul_lo_u32 v11, v8, s12
	v_add_nc_u32_e32 v9, v8, v9
	s_delay_alu instid0(VALU_DEP_2) | instskip(NEXT) | instid1(VALU_DEP_2)
	v_sub_nc_u32_e32 v7, v7, v11
	v_lshrrev_b32_e32 v9, s17, v9
	s_delay_alu instid0(VALU_DEP_2) | instskip(SKIP_1) | instid1(VALU_DEP_3)
	v_mul_lo_u32 v11, v7, s24
	v_mul_lo_u32 v15, v7, s25
	v_mul_hi_u32 v10, s19, v9
	s_delay_alu instid0(VALU_DEP_1) | instskip(NEXT) | instid1(VALU_DEP_1)
	v_add_nc_u32_e32 v10, v9, v10
	v_lshrrev_b32_e32 v10, s36, v10
	s_delay_alu instid0(VALU_DEP_1) | instskip(SKIP_1) | instid1(VALU_DEP_2)
	v_mul_hi_u32 v13, s38, v10
	v_mul_lo_u32 v17, v10, s18
	v_add_nc_u32_e32 v7, v10, v13
	v_mul_lo_u32 v13, v9, s15
	s_delay_alu instid0(VALU_DEP_3) | instskip(NEXT) | instid1(VALU_DEP_3)
	v_sub_nc_u32_e32 v9, v9, v17
	v_lshrrev_b32_e32 v7, s39, v7
	s_delay_alu instid0(VALU_DEP_2) | instskip(SKIP_2) | instid1(VALU_DEP_4)
	v_mul_lo_u32 v17, v9, s28
	v_mul_lo_u32 v9, v9, s29
	v_sub_nc_u32_e32 v8, v8, v13
	v_mul_lo_u32 v18, v7, s37
	s_delay_alu instid0(VALU_DEP_2) | instskip(SKIP_1) | instid1(VALU_DEP_3)
	v_mul_lo_u32 v13, v8, s26
	v_mul_lo_u32 v8, v8, s27
	v_sub_nc_u32_e32 v10, v10, v18
	s_delay_alu instid0(VALU_DEP_3) | instskip(NEXT) | instid1(VALU_DEP_2)
	v_add3_u32 v4, v11, v4, v13
	v_mul_lo_u32 v18, v10, s30
	v_mul_lo_u32 v10, v10, s31
	v_add3_u32 v5, v15, v5, v8
	s_delay_alu instid0(VALU_DEP_3) | instskip(NEXT) | instid1(VALU_DEP_2)
	v_add3_u32 v4, v17, v4, v18
	v_add3_u32 v5, v9, v5, v10
	s_cbranch_scc1 .LBB335_46
; %bb.47:
	s_and_b32 s7, s7, 3
	s_delay_alu instid0(SALU_CYCLE_1)
	s_cmp_eq_u32 s7, 0
	s_cbranch_scc0 .LBB335_50
	s_branch .LBB335_52
.LBB335_48:
	s_mov_b32 s6, -1
                                        ; implicit-def: $vgpr4
                                        ; implicit-def: $vgpr5
	s_branch .LBB335_52
.LBB335_49:
	v_mov_b32_e32 v7, v6
	v_mov_b32_e32 v5, 0
	s_and_b32 s7, s7, 3
	s_delay_alu instid0(SALU_CYCLE_1)
	s_cmp_eq_u32 s7, 0
	s_cbranch_scc1 .LBB335_52
.LBB335_50:
	s_lshl_b32 s2, s8, 3
	s_mul_i32 s4, s8, 12
	s_add_u32 s2, s2, s0
	s_addc_u32 s3, 0, s1
	s_add_u32 s2, s2, 0xc4
	s_addc_u32 s3, s3, 0
	;; [unrolled: 2-line block ×3, first 2 shown]
	.p2align	6
.LBB335_51:                             ; =>This Inner Loop Header: Depth=1
	s_clause 0x1
	s_load_b64 s[8:9], s[4:5], 0x4
	s_load_b32 s12, s[4:5], 0xc
	s_load_b64 s[10:11], s[2:3], 0x0
	s_add_u32 s4, s4, 12
	s_addc_u32 s5, s5, 0
	s_add_u32 s2, s2, 8
	s_addc_u32 s3, s3, 0
	s_add_i32 s7, s7, -1
	s_delay_alu instid0(SALU_CYCLE_1) | instskip(SKIP_2) | instid1(VALU_DEP_1)
	s_cmp_lg_u32 s7, 0
	s_waitcnt lgkmcnt(0)
	v_mul_hi_u32 v8, s9, v7
	v_add_nc_u32_e32 v8, v7, v8
	s_delay_alu instid0(VALU_DEP_1) | instskip(NEXT) | instid1(VALU_DEP_1)
	v_lshrrev_b32_e32 v11, s12, v8
	v_mul_lo_u32 v8, v11, s8
	s_delay_alu instid0(VALU_DEP_1) | instskip(NEXT) | instid1(VALU_DEP_1)
	v_sub_nc_u32_e32 v7, v7, v8
	v_mad_u64_u32 v[8:9], null, v7, s10, v[4:5]
	v_mad_u64_u32 v[9:10], null, v7, s11, v[5:6]
	s_delay_alu instid0(VALU_DEP_2) | instskip(NEXT) | instid1(VALU_DEP_2)
	v_dual_mov_b32 v7, v11 :: v_dual_mov_b32 v4, v8
	v_mov_b32_e32 v5, v9
	s_cbranch_scc1 .LBB335_51
.LBB335_52:
	s_and_not1_b32 vcc_lo, exec_lo, s6
	s_cbranch_vccnz .LBB335_55
; %bb.53:
	s_clause 0x1
	s_load_b128 s[4:7], s[0:1], 0x4
	s_load_b64 s[2:3], s[0:1], 0xc4
	s_cmp_lt_u32 s22, 2
	s_waitcnt lgkmcnt(0)
	v_mul_hi_u32 v4, s5, v6
	s_delay_alu instid0(VALU_DEP_1) | instskip(NEXT) | instid1(VALU_DEP_1)
	v_add_nc_u32_e32 v4, v6, v4
	v_lshrrev_b32_e32 v7, s6, v4
	s_delay_alu instid0(VALU_DEP_1) | instskip(NEXT) | instid1(VALU_DEP_1)
	v_mul_lo_u32 v4, v7, s4
	v_sub_nc_u32_e32 v5, v6, v4
	s_delay_alu instid0(VALU_DEP_1)
	v_mul_lo_u32 v4, v5, s2
	v_mul_lo_u32 v5, v5, s3
	s_cbranch_scc1 .LBB335_55
; %bb.54:
	s_clause 0x1
	s_load_b128 s[4:7], s[0:1], 0x10
	s_load_b64 s[2:3], s[0:1], 0xcc
	s_waitcnt lgkmcnt(0)
	v_mul_hi_u32 v6, s5, v7
	s_delay_alu instid0(VALU_DEP_1) | instskip(NEXT) | instid1(VALU_DEP_1)
	v_add_nc_u32_e32 v6, v7, v6
	v_lshrrev_b32_e32 v6, s6, v6
	s_delay_alu instid0(VALU_DEP_1) | instskip(NEXT) | instid1(VALU_DEP_1)
	v_mul_lo_u32 v6, v6, s4
	v_sub_nc_u32_e32 v9, v7, v6
	s_delay_alu instid0(VALU_DEP_1) | instskip(NEXT) | instid1(VALU_DEP_1)
	v_mad_u64_u32 v[6:7], null, v9, s2, v[4:5]
	v_mad_u64_u32 v[7:8], null, v9, s3, v[5:6]
	s_delay_alu instid0(VALU_DEP_1)
	v_dual_mov_b32 v4, v6 :: v_dual_mov_b32 v5, v7
.LBB335_55:
	v_cmp_ne_u32_e32 vcc_lo, 1, v14
	v_add_nc_u32_e32 v8, 0x180, v12
	s_cbranch_vccnz .LBB335_61
; %bb.56:
	v_dual_mov_b32 v6, 0 :: v_dual_mov_b32 v7, 0
	s_cmp_lg_u32 s22, 0
	s_mov_b32 s6, 0
	s_cbranch_scc0 .LBB335_65
; %bb.57:
	s_min_u32 s7, s23, 15
	v_mov_b32_e32 v6, 0
	s_add_i32 s7, s7, 1
	s_cmp_eq_u32 s23, 2
	s_mov_b32 s8, 0
	s_cbranch_scc1 .LBB335_62
; %bb.58:
	v_dual_mov_b32 v7, 0 :: v_dual_mov_b32 v6, 0
	v_mov_b32_e32 v9, v8
	s_add_u32 s2, s0, 0xc4
	s_addc_u32 s3, s1, 0
	s_and_b32 s8, s7, 28
	s_mov_b32 s9, 0
	s_mov_b64 s[4:5], s[0:1]
.LBB335_59:                             ; =>This Inner Loop Header: Depth=1
	s_clause 0x1
	s_load_b256 s[12:19], s[4:5], 0x4
	s_load_b128 s[36:39], s[4:5], 0x24
	s_load_b256 s[24:31], s[2:3], 0x0
	s_add_u32 s4, s4, 48
	s_addc_u32 s5, s5, 0
	s_add_i32 s9, s9, 4
	s_add_u32 s2, s2, 32
	s_addc_u32 s3, s3, 0
	s_cmp_lg_u32 s8, s9
	s_waitcnt lgkmcnt(0)
	v_mul_hi_u32 v10, s13, v9
	s_delay_alu instid0(VALU_DEP_1) | instskip(NEXT) | instid1(VALU_DEP_1)
	v_add_nc_u32_e32 v10, v9, v10
	v_lshrrev_b32_e32 v10, s14, v10
	s_delay_alu instid0(VALU_DEP_1) | instskip(SKIP_1) | instid1(VALU_DEP_2)
	v_mul_hi_u32 v11, s16, v10
	v_mul_lo_u32 v15, v10, s12
	v_add_nc_u32_e32 v11, v10, v11
	s_delay_alu instid0(VALU_DEP_2) | instskip(NEXT) | instid1(VALU_DEP_2)
	v_sub_nc_u32_e32 v9, v9, v15
	v_lshrrev_b32_e32 v11, s17, v11
	s_delay_alu instid0(VALU_DEP_2) | instskip(SKIP_1) | instid1(VALU_DEP_3)
	v_mul_lo_u32 v15, v9, s24
	v_mul_lo_u32 v18, v9, s25
	v_mul_hi_u32 v13, s19, v11
	s_delay_alu instid0(VALU_DEP_1) | instskip(NEXT) | instid1(VALU_DEP_1)
	v_add_nc_u32_e32 v13, v11, v13
	v_lshrrev_b32_e32 v13, s36, v13
	s_delay_alu instid0(VALU_DEP_1) | instskip(SKIP_1) | instid1(VALU_DEP_2)
	v_mul_hi_u32 v17, s38, v13
	v_mul_lo_u32 v19, v13, s18
	v_add_nc_u32_e32 v9, v13, v17
	v_mul_lo_u32 v17, v11, s15
	s_delay_alu instid0(VALU_DEP_3) | instskip(NEXT) | instid1(VALU_DEP_3)
	v_sub_nc_u32_e32 v11, v11, v19
	v_lshrrev_b32_e32 v9, s39, v9
	s_delay_alu instid0(VALU_DEP_2) | instskip(SKIP_2) | instid1(VALU_DEP_4)
	v_mul_lo_u32 v19, v11, s28
	v_mul_lo_u32 v11, v11, s29
	v_sub_nc_u32_e32 v10, v10, v17
	v_mul_lo_u32 v20, v9, s37
	s_delay_alu instid0(VALU_DEP_2) | instskip(SKIP_1) | instid1(VALU_DEP_3)
	v_mul_lo_u32 v17, v10, s26
	v_mul_lo_u32 v10, v10, s27
	v_sub_nc_u32_e32 v13, v13, v20
	s_delay_alu instid0(VALU_DEP_3) | instskip(NEXT) | instid1(VALU_DEP_2)
	v_add3_u32 v6, v15, v6, v17
	v_mul_lo_u32 v20, v13, s30
	v_mul_lo_u32 v13, v13, s31
	v_add3_u32 v7, v18, v7, v10
	s_delay_alu instid0(VALU_DEP_3) | instskip(NEXT) | instid1(VALU_DEP_2)
	v_add3_u32 v6, v19, v6, v20
	v_add3_u32 v7, v11, v7, v13
	s_cbranch_scc1 .LBB335_59
; %bb.60:
	s_and_b32 s7, s7, 3
	s_delay_alu instid0(SALU_CYCLE_1)
	s_cmp_eq_u32 s7, 0
	s_cbranch_scc0 .LBB335_63
	s_branch .LBB335_65
.LBB335_61:
	s_mov_b32 s6, -1
                                        ; implicit-def: $vgpr6
                                        ; implicit-def: $vgpr7
	s_branch .LBB335_65
.LBB335_62:
	v_mov_b32_e32 v9, v8
	v_mov_b32_e32 v7, 0
	s_and_b32 s7, s7, 3
	s_delay_alu instid0(SALU_CYCLE_1)
	s_cmp_eq_u32 s7, 0
	s_cbranch_scc1 .LBB335_65
.LBB335_63:
	s_lshl_b32 s2, s8, 3
	s_mul_i32 s4, s8, 12
	s_add_u32 s2, s2, s0
	s_addc_u32 s3, 0, s1
	s_add_u32 s2, s2, 0xc4
	s_addc_u32 s3, s3, 0
	;; [unrolled: 2-line block ×3, first 2 shown]
	.p2align	6
.LBB335_64:                             ; =>This Inner Loop Header: Depth=1
	s_clause 0x1
	s_load_b64 s[8:9], s[4:5], 0x4
	s_load_b32 s12, s[4:5], 0xc
	s_load_b64 s[10:11], s[2:3], 0x0
	s_add_u32 s4, s4, 12
	s_addc_u32 s5, s5, 0
	s_add_u32 s2, s2, 8
	s_addc_u32 s3, s3, 0
	s_add_i32 s7, s7, -1
	s_delay_alu instid0(SALU_CYCLE_1) | instskip(SKIP_2) | instid1(VALU_DEP_1)
	s_cmp_lg_u32 s7, 0
	s_waitcnt lgkmcnt(0)
	v_mul_hi_u32 v10, s9, v9
	v_add_nc_u32_e32 v10, v9, v10
	s_delay_alu instid0(VALU_DEP_1) | instskip(NEXT) | instid1(VALU_DEP_1)
	v_lshrrev_b32_e32 v13, s12, v10
	v_mul_lo_u32 v10, v13, s8
	s_delay_alu instid0(VALU_DEP_1) | instskip(NEXT) | instid1(VALU_DEP_1)
	v_sub_nc_u32_e32 v9, v9, v10
	v_mad_u64_u32 v[10:11], null, v9, s10, v[6:7]
	v_mad_u64_u32 v[17:18], null, v9, s11, v[7:8]
	s_delay_alu instid0(VALU_DEP_2) | instskip(NEXT) | instid1(VALU_DEP_2)
	v_dual_mov_b32 v9, v13 :: v_dual_mov_b32 v6, v10
	v_mov_b32_e32 v7, v17
	s_cbranch_scc1 .LBB335_64
.LBB335_65:
	s_and_not1_b32 vcc_lo, exec_lo, s6
	s_cbranch_vccnz .LBB335_68
; %bb.66:
	s_clause 0x1
	s_load_b128 s[4:7], s[0:1], 0x4
	s_load_b64 s[2:3], s[0:1], 0xc4
	s_cmp_lt_u32 s22, 2
	s_waitcnt lgkmcnt(0)
	v_mul_hi_u32 v6, s5, v8
	s_delay_alu instid0(VALU_DEP_1) | instskip(NEXT) | instid1(VALU_DEP_1)
	v_add_nc_u32_e32 v6, v8, v6
	v_lshrrev_b32_e32 v9, s6, v6
	s_delay_alu instid0(VALU_DEP_1) | instskip(NEXT) | instid1(VALU_DEP_1)
	v_mul_lo_u32 v6, v9, s4
	v_sub_nc_u32_e32 v7, v8, v6
	s_delay_alu instid0(VALU_DEP_1)
	v_mul_lo_u32 v6, v7, s2
	v_mul_lo_u32 v7, v7, s3
	s_cbranch_scc1 .LBB335_68
; %bb.67:
	s_clause 0x1
	s_load_b128 s[4:7], s[0:1], 0x10
	s_load_b64 s[2:3], s[0:1], 0xcc
	s_waitcnt lgkmcnt(0)
	v_mul_hi_u32 v8, s5, v9
	s_delay_alu instid0(VALU_DEP_1) | instskip(NEXT) | instid1(VALU_DEP_1)
	v_add_nc_u32_e32 v8, v9, v8
	v_lshrrev_b32_e32 v8, s6, v8
	s_delay_alu instid0(VALU_DEP_1) | instskip(NEXT) | instid1(VALU_DEP_1)
	v_mul_lo_u32 v8, v8, s4
	v_sub_nc_u32_e32 v11, v9, v8
	s_delay_alu instid0(VALU_DEP_1) | instskip(NEXT) | instid1(VALU_DEP_1)
	v_mad_u64_u32 v[8:9], null, v11, s2, v[6:7]
	v_mad_u64_u32 v[9:10], null, v11, s3, v[7:8]
	s_delay_alu instid0(VALU_DEP_1)
	v_dual_mov_b32 v6, v8 :: v_dual_mov_b32 v7, v9
.LBB335_68:
	v_cmp_ne_u32_e32 vcc_lo, 1, v14
	v_add_nc_u32_e32 v10, 0x200, v12
	s_cbranch_vccnz .LBB335_74
; %bb.69:
	v_dual_mov_b32 v8, 0 :: v_dual_mov_b32 v9, 0
	s_cmp_lg_u32 s22, 0
	s_mov_b32 s6, 0
	s_cbranch_scc0 .LBB335_78
; %bb.70:
	s_min_u32 s7, s23, 15
	v_mov_b32_e32 v8, 0
	s_add_i32 s7, s7, 1
	s_cmp_eq_u32 s23, 2
	s_mov_b32 s8, 0
	s_cbranch_scc1 .LBB335_75
; %bb.71:
	v_dual_mov_b32 v9, 0 :: v_dual_mov_b32 v8, 0
	v_mov_b32_e32 v11, v10
	s_add_u32 s2, s0, 0xc4
	s_addc_u32 s3, s1, 0
	s_and_b32 s8, s7, 28
	s_mov_b32 s9, 0
	s_mov_b64 s[4:5], s[0:1]
.LBB335_72:                             ; =>This Inner Loop Header: Depth=1
	s_clause 0x1
	s_load_b256 s[12:19], s[4:5], 0x4
	s_load_b128 s[36:39], s[4:5], 0x24
	s_load_b256 s[24:31], s[2:3], 0x0
	s_add_u32 s4, s4, 48
	s_addc_u32 s5, s5, 0
	s_add_i32 s9, s9, 4
	s_add_u32 s2, s2, 32
	s_addc_u32 s3, s3, 0
	s_cmp_lg_u32 s8, s9
	s_waitcnt lgkmcnt(0)
	v_mul_hi_u32 v13, s13, v11
	s_delay_alu instid0(VALU_DEP_1) | instskip(NEXT) | instid1(VALU_DEP_1)
	v_add_nc_u32_e32 v13, v11, v13
	v_lshrrev_b32_e32 v13, s14, v13
	s_delay_alu instid0(VALU_DEP_1) | instskip(SKIP_1) | instid1(VALU_DEP_2)
	v_mul_hi_u32 v15, s16, v13
	v_mul_lo_u32 v18, v13, s12
	v_add_nc_u32_e32 v15, v13, v15
	s_delay_alu instid0(VALU_DEP_2) | instskip(NEXT) | instid1(VALU_DEP_2)
	v_sub_nc_u32_e32 v11, v11, v18
	v_lshrrev_b32_e32 v15, s17, v15
	s_delay_alu instid0(VALU_DEP_2) | instskip(SKIP_1) | instid1(VALU_DEP_3)
	v_mul_lo_u32 v18, v11, s24
	v_mul_lo_u32 v20, v11, s25
	v_mul_hi_u32 v17, s19, v15
	s_delay_alu instid0(VALU_DEP_1) | instskip(NEXT) | instid1(VALU_DEP_1)
	v_add_nc_u32_e32 v17, v15, v17
	v_lshrrev_b32_e32 v17, s36, v17
	s_delay_alu instid0(VALU_DEP_1) | instskip(SKIP_1) | instid1(VALU_DEP_2)
	v_mul_hi_u32 v19, s38, v17
	v_mul_lo_u32 v21, v17, s18
	v_add_nc_u32_e32 v11, v17, v19
	v_mul_lo_u32 v19, v15, s15
	s_delay_alu instid0(VALU_DEP_3) | instskip(NEXT) | instid1(VALU_DEP_3)
	v_sub_nc_u32_e32 v15, v15, v21
	v_lshrrev_b32_e32 v11, s39, v11
	s_delay_alu instid0(VALU_DEP_2) | instskip(SKIP_2) | instid1(VALU_DEP_4)
	v_mul_lo_u32 v21, v15, s28
	v_mul_lo_u32 v15, v15, s29
	v_sub_nc_u32_e32 v13, v13, v19
	v_mul_lo_u32 v22, v11, s37
	s_delay_alu instid0(VALU_DEP_2) | instskip(SKIP_1) | instid1(VALU_DEP_3)
	v_mul_lo_u32 v19, v13, s26
	v_mul_lo_u32 v13, v13, s27
	v_sub_nc_u32_e32 v17, v17, v22
	s_delay_alu instid0(VALU_DEP_3) | instskip(NEXT) | instid1(VALU_DEP_2)
	v_add3_u32 v8, v18, v8, v19
	v_mul_lo_u32 v22, v17, s30
	v_mul_lo_u32 v17, v17, s31
	v_add3_u32 v9, v20, v9, v13
	s_delay_alu instid0(VALU_DEP_3) | instskip(NEXT) | instid1(VALU_DEP_2)
	v_add3_u32 v8, v21, v8, v22
	v_add3_u32 v9, v15, v9, v17
	s_cbranch_scc1 .LBB335_72
; %bb.73:
	s_and_b32 s7, s7, 3
	s_delay_alu instid0(SALU_CYCLE_1)
	s_cmp_eq_u32 s7, 0
	s_cbranch_scc0 .LBB335_76
	s_branch .LBB335_78
.LBB335_74:
	s_mov_b32 s6, -1
                                        ; implicit-def: $vgpr8
                                        ; implicit-def: $vgpr9
	s_branch .LBB335_78
.LBB335_75:
	v_mov_b32_e32 v11, v10
	v_mov_b32_e32 v9, 0
	s_and_b32 s7, s7, 3
	s_delay_alu instid0(SALU_CYCLE_1)
	s_cmp_eq_u32 s7, 0
	s_cbranch_scc1 .LBB335_78
.LBB335_76:
	s_lshl_b32 s2, s8, 3
	s_mul_i32 s4, s8, 12
	s_add_u32 s2, s2, s0
	s_addc_u32 s3, 0, s1
	s_add_u32 s2, s2, 0xc4
	s_addc_u32 s3, s3, 0
	;; [unrolled: 2-line block ×3, first 2 shown]
	.p2align	6
.LBB335_77:                             ; =>This Inner Loop Header: Depth=1
	s_clause 0x1
	s_load_b64 s[8:9], s[4:5], 0x4
	s_load_b32 s12, s[4:5], 0xc
	s_load_b64 s[10:11], s[2:3], 0x0
	s_add_u32 s4, s4, 12
	s_addc_u32 s5, s5, 0
	s_add_u32 s2, s2, 8
	s_addc_u32 s3, s3, 0
	s_add_i32 s7, s7, -1
	s_delay_alu instid0(SALU_CYCLE_1) | instskip(SKIP_2) | instid1(VALU_DEP_1)
	s_cmp_lg_u32 s7, 0
	s_waitcnt lgkmcnt(0)
	v_mul_hi_u32 v13, s9, v11
	v_add_nc_u32_e32 v13, v11, v13
	s_delay_alu instid0(VALU_DEP_1) | instskip(NEXT) | instid1(VALU_DEP_1)
	v_lshrrev_b32_e32 v13, s12, v13
	v_mul_lo_u32 v15, v13, s8
	s_delay_alu instid0(VALU_DEP_1) | instskip(NEXT) | instid1(VALU_DEP_1)
	v_sub_nc_u32_e32 v11, v11, v15
	v_mad_u64_u32 v[17:18], null, v11, s10, v[8:9]
	v_mad_u64_u32 v[18:19], null, v11, s11, v[9:10]
	v_mov_b32_e32 v11, v13
	s_delay_alu instid0(VALU_DEP_2)
	v_dual_mov_b32 v8, v17 :: v_dual_mov_b32 v9, v18
	s_cbranch_scc1 .LBB335_77
.LBB335_78:
	s_and_not1_b32 vcc_lo, exec_lo, s6
	s_cbranch_vccnz .LBB335_81
; %bb.79:
	s_clause 0x1
	s_load_b128 s[4:7], s[0:1], 0x4
	s_load_b64 s[2:3], s[0:1], 0xc4
	s_cmp_lt_u32 s22, 2
	s_waitcnt lgkmcnt(0)
	v_mul_hi_u32 v8, s5, v10
	s_delay_alu instid0(VALU_DEP_1) | instskip(NEXT) | instid1(VALU_DEP_1)
	v_add_nc_u32_e32 v8, v10, v8
	v_lshrrev_b32_e32 v11, s6, v8
	s_delay_alu instid0(VALU_DEP_1) | instskip(NEXT) | instid1(VALU_DEP_1)
	v_mul_lo_u32 v8, v11, s4
	v_sub_nc_u32_e32 v9, v10, v8
	s_delay_alu instid0(VALU_DEP_1)
	v_mul_lo_u32 v8, v9, s2
	v_mul_lo_u32 v9, v9, s3
	s_cbranch_scc1 .LBB335_81
; %bb.80:
	s_clause 0x1
	s_load_b128 s[4:7], s[0:1], 0x10
	s_load_b64 s[2:3], s[0:1], 0xcc
	s_waitcnt lgkmcnt(0)
	v_mul_hi_u32 v10, s5, v11
	s_delay_alu instid0(VALU_DEP_1) | instskip(NEXT) | instid1(VALU_DEP_1)
	v_add_nc_u32_e32 v10, v11, v10
	v_lshrrev_b32_e32 v10, s6, v10
	s_delay_alu instid0(VALU_DEP_1) | instskip(NEXT) | instid1(VALU_DEP_1)
	v_mul_lo_u32 v10, v10, s4
	v_sub_nc_u32_e32 v13, v11, v10
	s_delay_alu instid0(VALU_DEP_1) | instskip(NEXT) | instid1(VALU_DEP_1)
	v_mad_u64_u32 v[10:11], null, v13, s2, v[8:9]
	v_mad_u64_u32 v[17:18], null, v13, s3, v[9:10]
	s_delay_alu instid0(VALU_DEP_1)
	v_dual_mov_b32 v8, v10 :: v_dual_mov_b32 v9, v17
.LBB335_81:
	v_cmp_ne_u32_e32 vcc_lo, 1, v14
	v_add_nc_u32_e32 v13, 0x280, v12
	s_cbranch_vccnz .LBB335_87
; %bb.82:
	v_dual_mov_b32 v10, 0 :: v_dual_mov_b32 v11, 0
	s_cmp_lg_u32 s22, 0
	s_mov_b32 s6, 0
	s_cbranch_scc0 .LBB335_91
; %bb.83:
	s_min_u32 s7, s23, 15
	v_mov_b32_e32 v10, 0
	s_add_i32 s7, s7, 1
	s_cmp_eq_u32 s23, 2
	s_mov_b32 s8, 0
	s_cbranch_scc1 .LBB335_88
; %bb.84:
	v_dual_mov_b32 v11, 0 :: v_dual_mov_b32 v10, 0
	v_mov_b32_e32 v15, v13
	s_add_u32 s2, s0, 0xc4
	s_addc_u32 s3, s1, 0
	s_and_b32 s8, s7, 28
	s_mov_b32 s9, 0
	s_mov_b64 s[4:5], s[0:1]
.LBB335_85:                             ; =>This Inner Loop Header: Depth=1
	s_clause 0x1
	s_load_b256 s[12:19], s[4:5], 0x4
	s_load_b128 s[36:39], s[4:5], 0x24
	s_load_b256 s[24:31], s[2:3], 0x0
	s_add_u32 s4, s4, 48
	s_addc_u32 s5, s5, 0
	s_add_i32 s9, s9, 4
	s_add_u32 s2, s2, 32
	s_addc_u32 s3, s3, 0
	s_cmp_lg_u32 s8, s9
	s_waitcnt lgkmcnt(0)
	v_mul_hi_u32 v17, s13, v15
	s_delay_alu instid0(VALU_DEP_1) | instskip(NEXT) | instid1(VALU_DEP_1)
	v_add_nc_u32_e32 v17, v15, v17
	v_lshrrev_b32_e32 v17, s14, v17
	s_delay_alu instid0(VALU_DEP_1) | instskip(SKIP_1) | instid1(VALU_DEP_2)
	v_mul_hi_u32 v18, s16, v17
	v_mul_lo_u32 v20, v17, s12
	v_add_nc_u32_e32 v18, v17, v18
	s_delay_alu instid0(VALU_DEP_2) | instskip(NEXT) | instid1(VALU_DEP_2)
	v_sub_nc_u32_e32 v15, v15, v20
	v_lshrrev_b32_e32 v18, s17, v18
	s_delay_alu instid0(VALU_DEP_2) | instskip(SKIP_1) | instid1(VALU_DEP_3)
	v_mul_lo_u32 v20, v15, s24
	v_mul_lo_u32 v22, v15, s25
	v_mul_hi_u32 v19, s19, v18
	s_delay_alu instid0(VALU_DEP_1) | instskip(NEXT) | instid1(VALU_DEP_1)
	v_add_nc_u32_e32 v19, v18, v19
	v_lshrrev_b32_e32 v19, s36, v19
	s_delay_alu instid0(VALU_DEP_1) | instskip(SKIP_1) | instid1(VALU_DEP_2)
	v_mul_hi_u32 v21, s38, v19
	v_mul_lo_u32 v23, v19, s18
	v_add_nc_u32_e32 v15, v19, v21
	v_mul_lo_u32 v21, v18, s15
	s_delay_alu instid0(VALU_DEP_3) | instskip(NEXT) | instid1(VALU_DEP_3)
	v_sub_nc_u32_e32 v18, v18, v23
	v_lshrrev_b32_e32 v15, s39, v15
	s_delay_alu instid0(VALU_DEP_2) | instskip(SKIP_2) | instid1(VALU_DEP_4)
	v_mul_lo_u32 v23, v18, s28
	v_mul_lo_u32 v18, v18, s29
	v_sub_nc_u32_e32 v17, v17, v21
	v_mul_lo_u32 v24, v15, s37
	s_delay_alu instid0(VALU_DEP_2) | instskip(SKIP_1) | instid1(VALU_DEP_3)
	v_mul_lo_u32 v21, v17, s26
	v_mul_lo_u32 v17, v17, s27
	v_sub_nc_u32_e32 v19, v19, v24
	s_delay_alu instid0(VALU_DEP_3) | instskip(NEXT) | instid1(VALU_DEP_2)
	v_add3_u32 v10, v20, v10, v21
	v_mul_lo_u32 v24, v19, s30
	v_mul_lo_u32 v19, v19, s31
	v_add3_u32 v11, v22, v11, v17
	s_delay_alu instid0(VALU_DEP_3) | instskip(NEXT) | instid1(VALU_DEP_2)
	v_add3_u32 v10, v23, v10, v24
	v_add3_u32 v11, v18, v11, v19
	s_cbranch_scc1 .LBB335_85
; %bb.86:
	s_and_b32 s7, s7, 3
	s_delay_alu instid0(SALU_CYCLE_1)
	s_cmp_eq_u32 s7, 0
	s_cbranch_scc0 .LBB335_89
	s_branch .LBB335_91
.LBB335_87:
	s_mov_b32 s6, -1
                                        ; implicit-def: $vgpr10
                                        ; implicit-def: $vgpr11
	s_branch .LBB335_91
.LBB335_88:
	v_mov_b32_e32 v15, v13
	v_mov_b32_e32 v11, 0
	s_and_b32 s7, s7, 3
	s_delay_alu instid0(SALU_CYCLE_1)
	s_cmp_eq_u32 s7, 0
	s_cbranch_scc1 .LBB335_91
.LBB335_89:
	s_lshl_b32 s2, s8, 3
	s_mul_i32 s4, s8, 12
	s_add_u32 s2, s2, s0
	s_addc_u32 s3, 0, s1
	s_add_u32 s2, s2, 0xc4
	s_addc_u32 s3, s3, 0
	;; [unrolled: 2-line block ×3, first 2 shown]
	.p2align	6
.LBB335_90:                             ; =>This Inner Loop Header: Depth=1
	s_clause 0x1
	s_load_b64 s[8:9], s[4:5], 0x4
	s_load_b32 s12, s[4:5], 0xc
	s_load_b64 s[10:11], s[2:3], 0x0
	s_add_u32 s4, s4, 12
	s_addc_u32 s5, s5, 0
	s_add_u32 s2, s2, 8
	s_addc_u32 s3, s3, 0
	s_add_i32 s7, s7, -1
	s_delay_alu instid0(SALU_CYCLE_1) | instskip(SKIP_2) | instid1(VALU_DEP_1)
	s_cmp_lg_u32 s7, 0
	s_waitcnt lgkmcnt(0)
	v_mul_hi_u32 v17, s9, v15
	v_add_nc_u32_e32 v17, v15, v17
	s_delay_alu instid0(VALU_DEP_1) | instskip(NEXT) | instid1(VALU_DEP_1)
	v_lshrrev_b32_e32 v20, s12, v17
	v_mul_lo_u32 v17, v20, s8
	s_delay_alu instid0(VALU_DEP_1) | instskip(NEXT) | instid1(VALU_DEP_1)
	v_sub_nc_u32_e32 v15, v15, v17
	v_mad_u64_u32 v[17:18], null, v15, s10, v[10:11]
	v_mad_u64_u32 v[18:19], null, v15, s11, v[11:12]
	s_delay_alu instid0(VALU_DEP_2) | instskip(NEXT) | instid1(VALU_DEP_2)
	v_dual_mov_b32 v15, v20 :: v_dual_mov_b32 v10, v17
	v_mov_b32_e32 v11, v18
	s_cbranch_scc1 .LBB335_90
.LBB335_91:
	s_and_not1_b32 vcc_lo, exec_lo, s6
	s_cbranch_vccnz .LBB335_94
; %bb.92:
	s_clause 0x1
	s_load_b128 s[4:7], s[0:1], 0x4
	s_load_b64 s[2:3], s[0:1], 0xc4
	s_cmp_lt_u32 s22, 2
	s_waitcnt lgkmcnt(0)
	v_mul_hi_u32 v10, s5, v13
	s_delay_alu instid0(VALU_DEP_1) | instskip(NEXT) | instid1(VALU_DEP_1)
	v_add_nc_u32_e32 v10, v13, v10
	v_lshrrev_b32_e32 v15, s6, v10
	s_delay_alu instid0(VALU_DEP_1) | instskip(NEXT) | instid1(VALU_DEP_1)
	v_mul_lo_u32 v10, v15, s4
	v_sub_nc_u32_e32 v11, v13, v10
	s_delay_alu instid0(VALU_DEP_1)
	v_mul_lo_u32 v10, v11, s2
	v_mul_lo_u32 v11, v11, s3
	s_cbranch_scc1 .LBB335_94
; %bb.93:
	s_clause 0x1
	s_load_b128 s[4:7], s[0:1], 0x10
	s_load_b64 s[2:3], s[0:1], 0xcc
	s_waitcnt lgkmcnt(0)
	v_mul_hi_u32 v13, s5, v15
	s_delay_alu instid0(VALU_DEP_1) | instskip(NEXT) | instid1(VALU_DEP_1)
	v_add_nc_u32_e32 v13, v15, v13
	v_lshrrev_b32_e32 v13, s6, v13
	s_delay_alu instid0(VALU_DEP_1) | instskip(NEXT) | instid1(VALU_DEP_1)
	v_mul_lo_u32 v13, v13, s4
	v_sub_nc_u32_e32 v13, v15, v13
	s_delay_alu instid0(VALU_DEP_1) | instskip(SKIP_1) | instid1(VALU_DEP_1)
	v_mad_u64_u32 v[17:18], null, v13, s2, v[10:11]
	v_mad_u64_u32 v[18:19], null, v13, s3, v[11:12]
	v_dual_mov_b32 v10, v17 :: v_dual_mov_b32 v11, v18
.LBB335_94:
	v_cmp_ne_u32_e32 vcc_lo, 1, v14
	v_add_nc_u32_e32 v15, 0x300, v12
	s_cbranch_vccnz .LBB335_100
; %bb.95:
	v_dual_mov_b32 v12, 0 :: v_dual_mov_b32 v13, 0
	s_cmp_lg_u32 s22, 0
	s_mov_b32 s6, 0
	s_cbranch_scc0 .LBB335_104
; %bb.96:
	s_min_u32 s7, s23, 15
	v_mov_b32_e32 v12, 0
	s_add_i32 s7, s7, 1
	s_cmp_eq_u32 s23, 2
	s_mov_b32 s8, 0
	s_cbranch_scc1 .LBB335_101
; %bb.97:
	v_dual_mov_b32 v13, 0 :: v_dual_mov_b32 v12, 0
	v_mov_b32_e32 v17, v15
	s_add_u32 s2, s0, 0xc4
	s_addc_u32 s3, s1, 0
	s_and_b32 s8, s7, 28
	s_mov_b32 s9, 0
	s_mov_b64 s[4:5], s[0:1]
.LBB335_98:                             ; =>This Inner Loop Header: Depth=1
	s_clause 0x1
	s_load_b256 s[12:19], s[4:5], 0x4
	s_load_b128 s[36:39], s[4:5], 0x24
	s_load_b256 s[24:31], s[2:3], 0x0
	s_add_u32 s4, s4, 48
	s_addc_u32 s5, s5, 0
	s_add_i32 s9, s9, 4
	s_add_u32 s2, s2, 32
	s_addc_u32 s3, s3, 0
	s_cmp_lg_u32 s8, s9
	s_waitcnt lgkmcnt(0)
	v_mul_hi_u32 v18, s13, v17
	s_delay_alu instid0(VALU_DEP_1) | instskip(NEXT) | instid1(VALU_DEP_1)
	v_add_nc_u32_e32 v18, v17, v18
	v_lshrrev_b32_e32 v18, s14, v18
	s_delay_alu instid0(VALU_DEP_1) | instskip(SKIP_1) | instid1(VALU_DEP_2)
	v_mul_hi_u32 v19, s16, v18
	v_mul_lo_u32 v21, v18, s12
	v_add_nc_u32_e32 v19, v18, v19
	s_delay_alu instid0(VALU_DEP_2) | instskip(NEXT) | instid1(VALU_DEP_2)
	v_sub_nc_u32_e32 v17, v17, v21
	v_lshrrev_b32_e32 v19, s17, v19
	s_delay_alu instid0(VALU_DEP_2) | instskip(SKIP_1) | instid1(VALU_DEP_3)
	v_mul_lo_u32 v21, v17, s24
	v_mul_lo_u32 v23, v17, s25
	v_mul_hi_u32 v20, s19, v19
	s_delay_alu instid0(VALU_DEP_1) | instskip(NEXT) | instid1(VALU_DEP_1)
	v_add_nc_u32_e32 v20, v19, v20
	v_lshrrev_b32_e32 v20, s36, v20
	s_delay_alu instid0(VALU_DEP_1) | instskip(SKIP_1) | instid1(VALU_DEP_2)
	v_mul_hi_u32 v22, s38, v20
	v_mul_lo_u32 v24, v20, s18
	v_add_nc_u32_e32 v17, v20, v22
	v_mul_lo_u32 v22, v19, s15
	s_delay_alu instid0(VALU_DEP_3) | instskip(NEXT) | instid1(VALU_DEP_3)
	v_sub_nc_u32_e32 v19, v19, v24
	v_lshrrev_b32_e32 v17, s39, v17
	s_delay_alu instid0(VALU_DEP_2) | instskip(SKIP_2) | instid1(VALU_DEP_4)
	v_mul_lo_u32 v24, v19, s28
	v_mul_lo_u32 v19, v19, s29
	v_sub_nc_u32_e32 v18, v18, v22
	v_mul_lo_u32 v25, v17, s37
	s_delay_alu instid0(VALU_DEP_2) | instskip(SKIP_1) | instid1(VALU_DEP_3)
	v_mul_lo_u32 v22, v18, s26
	v_mul_lo_u32 v18, v18, s27
	v_sub_nc_u32_e32 v20, v20, v25
	s_delay_alu instid0(VALU_DEP_3) | instskip(NEXT) | instid1(VALU_DEP_2)
	v_add3_u32 v12, v21, v12, v22
	v_mul_lo_u32 v25, v20, s30
	v_mul_lo_u32 v20, v20, s31
	v_add3_u32 v13, v23, v13, v18
	s_delay_alu instid0(VALU_DEP_3) | instskip(NEXT) | instid1(VALU_DEP_2)
	v_add3_u32 v12, v24, v12, v25
	v_add3_u32 v13, v19, v13, v20
	s_cbranch_scc1 .LBB335_98
; %bb.99:
	s_and_b32 s7, s7, 3
	s_delay_alu instid0(SALU_CYCLE_1)
	s_cmp_eq_u32 s7, 0
	s_cbranch_scc0 .LBB335_102
	s_branch .LBB335_104
.LBB335_100:
	s_mov_b32 s6, -1
                                        ; implicit-def: $vgpr12
                                        ; implicit-def: $vgpr13
	s_branch .LBB335_104
.LBB335_101:
	v_mov_b32_e32 v17, v15
	v_mov_b32_e32 v13, 0
	s_and_b32 s7, s7, 3
	s_delay_alu instid0(SALU_CYCLE_1)
	s_cmp_eq_u32 s7, 0
	s_cbranch_scc1 .LBB335_104
.LBB335_102:
	s_lshl_b32 s2, s8, 3
	s_mul_i32 s4, s8, 12
	s_add_u32 s2, s2, s0
	s_addc_u32 s3, 0, s1
	s_add_u32 s2, s2, 0xc4
	s_addc_u32 s3, s3, 0
	;; [unrolled: 2-line block ×3, first 2 shown]
	.p2align	6
.LBB335_103:                            ; =>This Inner Loop Header: Depth=1
	s_clause 0x1
	s_load_b64 s[8:9], s[4:5], 0x4
	s_load_b32 s12, s[4:5], 0xc
	s_load_b64 s[10:11], s[2:3], 0x0
	s_add_u32 s4, s4, 12
	s_addc_u32 s5, s5, 0
	s_add_u32 s2, s2, 8
	s_addc_u32 s3, s3, 0
	s_add_i32 s7, s7, -1
	s_delay_alu instid0(SALU_CYCLE_1) | instskip(SKIP_2) | instid1(VALU_DEP_1)
	s_cmp_lg_u32 s7, 0
	s_waitcnt lgkmcnt(0)
	v_mul_hi_u32 v18, s9, v17
	v_add_nc_u32_e32 v18, v17, v18
	s_delay_alu instid0(VALU_DEP_1) | instskip(NEXT) | instid1(VALU_DEP_1)
	v_lshrrev_b32_e32 v21, s12, v18
	v_mul_lo_u32 v18, v21, s8
	s_delay_alu instid0(VALU_DEP_1) | instskip(NEXT) | instid1(VALU_DEP_1)
	v_sub_nc_u32_e32 v17, v17, v18
	v_mad_u64_u32 v[18:19], null, v17, s10, v[12:13]
	v_mad_u64_u32 v[19:20], null, v17, s11, v[13:14]
	s_delay_alu instid0(VALU_DEP_2) | instskip(NEXT) | instid1(VALU_DEP_2)
	v_dual_mov_b32 v17, v21 :: v_dual_mov_b32 v12, v18
	v_mov_b32_e32 v13, v19
	s_cbranch_scc1 .LBB335_103
.LBB335_104:
	s_and_not1_b32 vcc_lo, exec_lo, s6
	s_cbranch_vccnz .LBB335_107
; %bb.105:
	s_clause 0x1
	s_load_b128 s[4:7], s[0:1], 0x4
	s_load_b64 s[2:3], s[0:1], 0xc4
	s_cmp_lt_u32 s22, 2
	s_waitcnt lgkmcnt(0)
	v_mul_hi_u32 v12, s5, v15
	s_delay_alu instid0(VALU_DEP_1) | instskip(NEXT) | instid1(VALU_DEP_1)
	v_add_nc_u32_e32 v12, v15, v12
	v_lshrrev_b32_e32 v17, s6, v12
	s_delay_alu instid0(VALU_DEP_1) | instskip(NEXT) | instid1(VALU_DEP_1)
	v_mul_lo_u32 v12, v17, s4
	v_sub_nc_u32_e32 v13, v15, v12
	s_delay_alu instid0(VALU_DEP_1)
	v_mul_lo_u32 v12, v13, s2
	v_mul_lo_u32 v13, v13, s3
	s_cbranch_scc1 .LBB335_107
; %bb.106:
	s_clause 0x1
	s_load_b128 s[4:7], s[0:1], 0x10
	s_load_b64 s[2:3], s[0:1], 0xcc
	s_waitcnt lgkmcnt(0)
	v_mul_hi_u32 v15, s5, v17
	s_delay_alu instid0(VALU_DEP_1) | instskip(NEXT) | instid1(VALU_DEP_1)
	v_add_nc_u32_e32 v15, v17, v15
	v_lshrrev_b32_e32 v15, s6, v15
	s_delay_alu instid0(VALU_DEP_1) | instskip(NEXT) | instid1(VALU_DEP_1)
	v_mul_lo_u32 v15, v15, s4
	v_sub_nc_u32_e32 v15, v17, v15
	s_delay_alu instid0(VALU_DEP_1) | instskip(SKIP_1) | instid1(VALU_DEP_1)
	v_mad_u64_u32 v[17:18], null, v15, s2, v[12:13]
	v_mad_u64_u32 v[18:19], null, v15, s3, v[13:14]
	v_dual_mov_b32 v12, v17 :: v_dual_mov_b32 v13, v18
.LBB335_107:
	v_cmp_ne_u32_e32 vcc_lo, 1, v14
	s_cbranch_vccnz .LBB335_113
; %bb.108:
	v_dual_mov_b32 v14, 0 :: v_dual_mov_b32 v15, 0
	s_cmp_lg_u32 s22, 0
	s_mov_b32 s6, 0
	s_cbranch_scc0 .LBB335_117
; %bb.109:
	s_min_u32 s7, s23, 15
	v_mov_b32_e32 v14, 0
	s_add_i32 s7, s7, 1
	s_cmp_eq_u32 s23, 2
	s_mov_b32 s8, 0
	s_cbranch_scc1 .LBB335_114
; %bb.110:
	v_dual_mov_b32 v15, 0 :: v_dual_mov_b32 v14, 0
	v_mov_b32_e32 v17, v16
	s_add_u32 s2, s0, 0xc4
	s_addc_u32 s3, s1, 0
	s_and_b32 s8, s7, 28
	s_mov_b32 s9, 0
	s_mov_b64 s[4:5], s[0:1]
.LBB335_111:                            ; =>This Inner Loop Header: Depth=1
	s_clause 0x1
	s_load_b256 s[12:19], s[4:5], 0x4
	s_load_b128 s[36:39], s[4:5], 0x24
	s_load_b256 s[24:31], s[2:3], 0x0
	s_add_u32 s4, s4, 48
	s_addc_u32 s5, s5, 0
	s_add_i32 s9, s9, 4
	s_add_u32 s2, s2, 32
	s_addc_u32 s3, s3, 0
	s_cmp_lg_u32 s8, s9
	s_waitcnt lgkmcnt(0)
	v_mul_hi_u32 v18, s13, v17
	s_delay_alu instid0(VALU_DEP_1) | instskip(NEXT) | instid1(VALU_DEP_1)
	v_add_nc_u32_e32 v18, v17, v18
	v_lshrrev_b32_e32 v18, s14, v18
	s_delay_alu instid0(VALU_DEP_1) | instskip(SKIP_1) | instid1(VALU_DEP_2)
	v_mul_hi_u32 v19, s16, v18
	v_mul_lo_u32 v21, v18, s12
	v_add_nc_u32_e32 v19, v18, v19
	s_delay_alu instid0(VALU_DEP_2) | instskip(NEXT) | instid1(VALU_DEP_2)
	v_sub_nc_u32_e32 v17, v17, v21
	v_lshrrev_b32_e32 v19, s17, v19
	s_delay_alu instid0(VALU_DEP_2) | instskip(SKIP_1) | instid1(VALU_DEP_3)
	v_mul_lo_u32 v21, v17, s24
	v_mul_lo_u32 v23, v17, s25
	v_mul_hi_u32 v20, s19, v19
	s_delay_alu instid0(VALU_DEP_1) | instskip(NEXT) | instid1(VALU_DEP_1)
	v_add_nc_u32_e32 v20, v19, v20
	v_lshrrev_b32_e32 v20, s36, v20
	s_delay_alu instid0(VALU_DEP_1) | instskip(SKIP_1) | instid1(VALU_DEP_2)
	v_mul_hi_u32 v22, s38, v20
	v_mul_lo_u32 v24, v20, s18
	v_add_nc_u32_e32 v17, v20, v22
	v_mul_lo_u32 v22, v19, s15
	s_delay_alu instid0(VALU_DEP_3) | instskip(NEXT) | instid1(VALU_DEP_3)
	v_sub_nc_u32_e32 v19, v19, v24
	v_lshrrev_b32_e32 v17, s39, v17
	s_delay_alu instid0(VALU_DEP_2) | instskip(SKIP_2) | instid1(VALU_DEP_4)
	v_mul_lo_u32 v24, v19, s28
	v_mul_lo_u32 v19, v19, s29
	v_sub_nc_u32_e32 v18, v18, v22
	v_mul_lo_u32 v25, v17, s37
	s_delay_alu instid0(VALU_DEP_2) | instskip(SKIP_1) | instid1(VALU_DEP_3)
	v_mul_lo_u32 v22, v18, s26
	v_mul_lo_u32 v18, v18, s27
	v_sub_nc_u32_e32 v20, v20, v25
	s_delay_alu instid0(VALU_DEP_3) | instskip(NEXT) | instid1(VALU_DEP_2)
	v_add3_u32 v14, v21, v14, v22
	v_mul_lo_u32 v25, v20, s30
	v_mul_lo_u32 v20, v20, s31
	v_add3_u32 v15, v23, v15, v18
	s_delay_alu instid0(VALU_DEP_3) | instskip(NEXT) | instid1(VALU_DEP_2)
	v_add3_u32 v14, v24, v14, v25
	v_add3_u32 v15, v19, v15, v20
	s_cbranch_scc1 .LBB335_111
; %bb.112:
	s_and_b32 s7, s7, 3
	s_delay_alu instid0(SALU_CYCLE_1)
	s_cmp_eq_u32 s7, 0
	s_cbranch_scc0 .LBB335_115
	s_branch .LBB335_117
.LBB335_113:
	s_mov_b32 s6, -1
                                        ; implicit-def: $vgpr14
                                        ; implicit-def: $vgpr15
	s_branch .LBB335_117
.LBB335_114:
	v_mov_b32_e32 v17, v16
	v_mov_b32_e32 v15, 0
	s_and_b32 s7, s7, 3
	s_delay_alu instid0(SALU_CYCLE_1)
	s_cmp_eq_u32 s7, 0
	s_cbranch_scc1 .LBB335_117
.LBB335_115:
	s_lshl_b32 s2, s8, 3
	s_mul_i32 s4, s8, 12
	s_add_u32 s2, s2, s0
	s_addc_u32 s3, 0, s1
	s_add_u32 s2, s2, 0xc4
	s_addc_u32 s3, s3, 0
	s_add_u32 s4, s0, s4
	s_addc_u32 s5, 0, s1
	.p2align	6
.LBB335_116:                            ; =>This Inner Loop Header: Depth=1
	s_clause 0x1
	s_load_b64 s[8:9], s[4:5], 0x4
	s_load_b32 s12, s[4:5], 0xc
	s_load_b64 s[10:11], s[2:3], 0x0
	s_add_u32 s4, s4, 12
	s_addc_u32 s5, s5, 0
	s_add_u32 s2, s2, 8
	s_addc_u32 s3, s3, 0
	s_add_i32 s7, s7, -1
	s_delay_alu instid0(SALU_CYCLE_1) | instskip(SKIP_2) | instid1(VALU_DEP_1)
	s_cmp_lg_u32 s7, 0
	s_waitcnt lgkmcnt(0)
	v_mul_hi_u32 v18, s9, v17
	v_add_nc_u32_e32 v18, v17, v18
	s_delay_alu instid0(VALU_DEP_1) | instskip(NEXT) | instid1(VALU_DEP_1)
	v_lshrrev_b32_e32 v21, s12, v18
	v_mul_lo_u32 v18, v21, s8
	s_delay_alu instid0(VALU_DEP_1) | instskip(NEXT) | instid1(VALU_DEP_1)
	v_sub_nc_u32_e32 v17, v17, v18
	v_mad_u64_u32 v[18:19], null, v17, s10, v[14:15]
	v_mad_u64_u32 v[19:20], null, v17, s11, v[15:16]
	s_delay_alu instid0(VALU_DEP_2) | instskip(NEXT) | instid1(VALU_DEP_2)
	v_dual_mov_b32 v17, v21 :: v_dual_mov_b32 v14, v18
	v_mov_b32_e32 v15, v19
	s_cbranch_scc1 .LBB335_116
.LBB335_117:
	s_and_not1_b32 vcc_lo, exec_lo, s6
	s_cbranch_vccnz .LBB335_120
; %bb.118:
	s_clause 0x1
	s_load_b128 s[4:7], s[0:1], 0x4
	s_load_b64 s[2:3], s[0:1], 0xc4
	s_cmp_lt_u32 s22, 2
	s_waitcnt lgkmcnt(0)
	v_mul_hi_u32 v14, s5, v16
	s_delay_alu instid0(VALU_DEP_1) | instskip(NEXT) | instid1(VALU_DEP_1)
	v_add_nc_u32_e32 v14, v16, v14
	v_lshrrev_b32_e32 v17, s6, v14
	s_delay_alu instid0(VALU_DEP_1) | instskip(NEXT) | instid1(VALU_DEP_1)
	v_mul_lo_u32 v14, v17, s4
	v_sub_nc_u32_e32 v15, v16, v14
	s_delay_alu instid0(VALU_DEP_1)
	v_mul_lo_u32 v14, v15, s2
	v_mul_lo_u32 v15, v15, s3
	s_cbranch_scc1 .LBB335_120
; %bb.119:
	s_clause 0x1
	s_load_b128 s[4:7], s[0:1], 0x10
	s_load_b64 s[2:3], s[0:1], 0xcc
	s_waitcnt lgkmcnt(0)
	v_mul_hi_u32 v16, s5, v17
	s_delay_alu instid0(VALU_DEP_1) | instskip(NEXT) | instid1(VALU_DEP_1)
	v_add_nc_u32_e32 v16, v17, v16
	v_lshrrev_b32_e32 v16, s6, v16
	s_delay_alu instid0(VALU_DEP_1) | instskip(NEXT) | instid1(VALU_DEP_1)
	v_mul_lo_u32 v16, v16, s4
	v_sub_nc_u32_e32 v19, v17, v16
	s_delay_alu instid0(VALU_DEP_1) | instskip(NEXT) | instid1(VALU_DEP_1)
	v_mad_u64_u32 v[16:17], null, v19, s2, v[14:15]
	v_mad_u64_u32 v[17:18], null, v19, s3, v[15:16]
	s_delay_alu instid0(VALU_DEP_1)
	v_dual_mov_b32 v14, v16 :: v_dual_mov_b32 v15, v17
.LBB335_120:
	s_clause 0x1
	s_load_b128 s[4:7], s[0:1], 0x148
	s_load_b32 s0, s[0:1], 0x158
	s_waitcnt lgkmcnt(0)
	s_clause 0x7
	global_load_u16 v1, v1, s[6:7]
	global_load_u16 v3, v3, s[6:7]
	global_load_u16 v5, v5, s[6:7]
	global_load_u16 v7, v7, s[6:7]
	global_load_u16 v9, v9, s[6:7]
	global_load_u16 v11, v11, s[6:7]
	global_load_u16 v13, v13, s[6:7]
	global_load_u16 v15, v15, s[6:7]
	s_lshr_b32 s1, s0, 16
	s_waitcnt vmcnt(7)
	v_cmp_lt_f16_e32 vcc_lo, s0, v1
	v_cndmask_b32_e32 v16, s0, v1, vcc_lo
	s_waitcnt vmcnt(6)
	v_cmp_lt_f16_e32 vcc_lo, s0, v3
	v_cndmask_b32_e32 v17, s0, v3, vcc_lo
	;; [unrolled: 3-line block ×8, first 2 shown]
	v_cmp_gt_f16_e32 vcc_lo, s1, v16
	v_cndmask_b32_e32 v16, s1, v16, vcc_lo
	v_cmp_gt_f16_e32 vcc_lo, s1, v17
	v_cndmask_b32_e32 v17, s1, v17, vcc_lo
	;; [unrolled: 2-line block ×8, first 2 shown]
	v_cmp_u_f16_e32 vcc_lo, v1, v1
	v_cndmask_b32_e32 v1, v16, v1, vcc_lo
	v_cmp_u_f16_e32 vcc_lo, v3, v3
	v_cndmask_b32_e32 v3, v17, v3, vcc_lo
	;; [unrolled: 2-line block ×8, first 2 shown]
	s_clause 0x7
	global_store_b16 v0, v1, s[4:5]
	global_store_b16 v2, v3, s[4:5]
	;; [unrolled: 1-line block ×8, first 2 shown]
	s_nop 0
	s_sendmsg sendmsg(MSG_DEALLOC_VGPRS)
	s_endpgm
.LBB335_121:
	v_dual_mov_b32 v2, v12 :: v_dual_mov_b32 v1, 0
.LBB335_122:
	s_and_b32 s36, s36, 3
	s_delay_alu instid0(SALU_CYCLE_1)
	s_cmp_eq_u32 s36, 0
	s_cbranch_scc1 .LBB335_125
; %bb.123:
	s_lshl_b32 s18, s35, 3
	s_mul_i32 s20, s35, 12
	s_add_u32 s18, s18, s0
	s_addc_u32 s19, s1, 0
	s_add_u32 s18, s18, 0xc4
	s_addc_u32 s19, s19, 0
	;; [unrolled: 2-line block ×3, first 2 shown]
	.p2align	6
.LBB335_124:                            ; =>This Inner Loop Header: Depth=1
	s_clause 0x1
	s_load_b64 s[38:39], s[20:21], 0x4
	s_load_b32 s35, s[20:21], 0xc
	s_load_b64 s[40:41], s[18:19], 0x0
	s_add_u32 s20, s20, 12
	s_addc_u32 s21, s21, 0
	s_add_u32 s18, s18, 8
	s_addc_u32 s19, s19, 0
	s_add_i32 s36, s36, -1
	s_delay_alu instid0(SALU_CYCLE_1) | instskip(SKIP_2) | instid1(VALU_DEP_1)
	s_cmp_lg_u32 s36, 0
	s_waitcnt lgkmcnt(0)
	v_mul_hi_u32 v3, s39, v2
	v_add_nc_u32_e32 v3, v2, v3
	s_delay_alu instid0(VALU_DEP_1) | instskip(NEXT) | instid1(VALU_DEP_1)
	v_lshrrev_b32_e32 v6, s35, v3
	v_mul_lo_u32 v3, v6, s38
	s_delay_alu instid0(VALU_DEP_1) | instskip(NEXT) | instid1(VALU_DEP_1)
	v_sub_nc_u32_e32 v2, v2, v3
	v_mad_u64_u32 v[3:4], null, v2, s40, v[0:1]
	v_mad_u64_u32 v[4:5], null, v2, s41, v[1:2]
	v_mov_b32_e32 v2, v6
	s_delay_alu instid0(VALU_DEP_2)
	v_dual_mov_b32 v0, v3 :: v_dual_mov_b32 v1, v4
	s_cbranch_scc1 .LBB335_124
.LBB335_125:
	s_and_not1_b32 vcc_lo, exec_lo, s34
	s_cbranch_vccnz .LBB335_128
; %bb.126:
	v_mul_hi_u32 v0, s9, v12
	s_and_not1_b32 vcc_lo, exec_lo, s28
	s_delay_alu instid0(VALU_DEP_1) | instskip(NEXT) | instid1(VALU_DEP_1)
	v_add_nc_u32_e32 v0, v12, v0
	v_lshrrev_b32_e32 v2, s10, v0
	s_delay_alu instid0(VALU_DEP_1) | instskip(NEXT) | instid1(VALU_DEP_1)
	v_mul_lo_u32 v0, v2, s8
	v_sub_nc_u32_e32 v1, v12, v0
	s_delay_alu instid0(VALU_DEP_1)
	v_mul_lo_u32 v0, v1, s12
	v_mul_lo_u32 v1, v1, s13
	s_cbranch_vccnz .LBB335_128
; %bb.127:
	v_mul_hi_u32 v3, s2, v2
	s_delay_alu instid0(VALU_DEP_1) | instskip(NEXT) | instid1(VALU_DEP_1)
	v_add_nc_u32_e32 v3, v2, v3
	v_lshrrev_b32_e32 v3, s3, v3
	s_delay_alu instid0(VALU_DEP_1) | instskip(NEXT) | instid1(VALU_DEP_1)
	v_mul_lo_u32 v3, v3, s11
	v_sub_nc_u32_e32 v5, v2, v3
	s_delay_alu instid0(VALU_DEP_1) | instskip(NEXT) | instid1(VALU_DEP_1)
	v_mad_u64_u32 v[2:3], null, v5, s14, v[0:1]
	v_mad_u64_u32 v[3:4], null, v5, s15, v[1:2]
	s_delay_alu instid0(VALU_DEP_1)
	v_dual_mov_b32 v0, v2 :: v_dual_mov_b32 v1, v3
.LBB335_128:
	global_load_u16 v1, v1, s[6:7]
	v_add_nc_u32_e32 v12, 0x80, v12
	s_waitcnt vmcnt(0)
	v_cmp_lt_f16_e32 vcc_lo, s26, v1
	v_cndmask_b32_e32 v2, s26, v1, vcc_lo
	s_delay_alu instid0(VALU_DEP_1) | instskip(SKIP_2) | instid1(VALU_DEP_2)
	v_cmp_gt_f16_e32 vcc_lo, s27, v2
	v_cndmask_b32_e32 v2, s27, v2, vcc_lo
	v_cmp_u_f16_e32 vcc_lo, v1, v1
	v_cndmask_b32_e32 v1, v2, v1, vcc_lo
	global_store_b16 v0, v1, s[4:5]
	s_or_b32 exec_lo, exec_lo, s33
	s_delay_alu instid0(SALU_CYCLE_1)
	s_mov_b32 s33, exec_lo
	v_cmpx_gt_i32_e64 s29, v12
	s_cbranch_execnz .LBB335_15
.LBB335_129:
	s_or_b32 exec_lo, exec_lo, s33
	s_delay_alu instid0(SALU_CYCLE_1)
	s_mov_b32 s33, exec_lo
	v_cmpx_gt_i32_e64 s29, v12
	s_cbranch_execz .LBB335_144
.LBB335_130:
	s_and_not1_b32 vcc_lo, exec_lo, s24
	s_cbranch_vccnz .LBB335_135
; %bb.131:
	v_dual_mov_b32 v0, 0 :: v_dual_mov_b32 v1, 0
	s_and_not1_b32 vcc_lo, exec_lo, s31
	s_mov_b32 s34, 0
	s_cbranch_vccnz .LBB335_155
; %bb.132:
	v_mov_b32_e32 v0, 0
	s_add_i32 s36, s30, 1
	s_cmp_eq_u32 s23, 2
	s_mov_b32 s35, 0
	s_cbranch_scc1 .LBB335_151
; %bb.133:
	v_dual_mov_b32 v1, 0 :: v_dual_mov_b32 v0, 0
	v_mov_b32_e32 v2, v12
	s_and_b32 s35, s36, 28
	s_mov_b32 s37, 0
	s_mov_b64 s[18:19], s[16:17]
	s_mov_b64 s[20:21], s[0:1]
.LBB335_134:                            ; =>This Inner Loop Header: Depth=1
	s_clause 0x1
	s_load_b256 s[40:47], s[20:21], 0x4
	s_load_b128 s[56:59], s[20:21], 0x24
	s_load_b256 s[48:55], s[18:19], 0x0
	s_add_u32 s20, s20, 48
	s_addc_u32 s21, s21, 0
	s_add_i32 s37, s37, 4
	s_add_u32 s18, s18, 32
	s_addc_u32 s19, s19, 0
	s_cmp_eq_u32 s35, s37
	s_waitcnt lgkmcnt(0)
	v_mul_hi_u32 v3, s41, v2
	s_delay_alu instid0(VALU_DEP_1) | instskip(NEXT) | instid1(VALU_DEP_1)
	v_add_nc_u32_e32 v3, v2, v3
	v_lshrrev_b32_e32 v3, s42, v3
	s_delay_alu instid0(VALU_DEP_1) | instskip(SKIP_1) | instid1(VALU_DEP_2)
	v_mul_hi_u32 v4, s44, v3
	v_mul_lo_u32 v6, v3, s40
	v_add_nc_u32_e32 v4, v3, v4
	s_delay_alu instid0(VALU_DEP_2) | instskip(NEXT) | instid1(VALU_DEP_2)
	v_sub_nc_u32_e32 v2, v2, v6
	v_lshrrev_b32_e32 v4, s45, v4
	s_delay_alu instid0(VALU_DEP_2) | instskip(SKIP_1) | instid1(VALU_DEP_3)
	v_mul_lo_u32 v6, v2, s48
	v_mul_lo_u32 v8, v2, s49
	v_mul_hi_u32 v5, s47, v4
	s_delay_alu instid0(VALU_DEP_1) | instskip(NEXT) | instid1(VALU_DEP_1)
	v_add_nc_u32_e32 v5, v4, v5
	v_lshrrev_b32_e32 v5, s56, v5
	s_delay_alu instid0(VALU_DEP_1) | instskip(SKIP_1) | instid1(VALU_DEP_2)
	v_mul_hi_u32 v7, s58, v5
	v_mul_lo_u32 v9, v5, s46
	v_add_nc_u32_e32 v2, v5, v7
	v_mul_lo_u32 v7, v4, s43
	s_delay_alu instid0(VALU_DEP_3) | instskip(NEXT) | instid1(VALU_DEP_3)
	v_sub_nc_u32_e32 v4, v4, v9
	v_lshrrev_b32_e32 v2, s59, v2
	s_delay_alu instid0(VALU_DEP_2) | instskip(SKIP_2) | instid1(VALU_DEP_4)
	v_mul_lo_u32 v9, v4, s52
	v_mul_lo_u32 v4, v4, s53
	v_sub_nc_u32_e32 v3, v3, v7
	v_mul_lo_u32 v10, v2, s57
	s_delay_alu instid0(VALU_DEP_2) | instskip(SKIP_1) | instid1(VALU_DEP_3)
	v_mul_lo_u32 v7, v3, s50
	v_mul_lo_u32 v3, v3, s51
	v_sub_nc_u32_e32 v5, v5, v10
	s_delay_alu instid0(VALU_DEP_3) | instskip(NEXT) | instid1(VALU_DEP_2)
	v_add3_u32 v0, v6, v0, v7
	v_mul_lo_u32 v10, v5, s54
	v_mul_lo_u32 v5, v5, s55
	v_add3_u32 v1, v8, v1, v3
	s_delay_alu instid0(VALU_DEP_3) | instskip(NEXT) | instid1(VALU_DEP_2)
	v_add3_u32 v0, v9, v0, v10
	v_add3_u32 v1, v4, v1, v5
	s_cbranch_scc0 .LBB335_134
	s_branch .LBB335_152
.LBB335_135:
	s_mov_b32 s34, -1
                                        ; implicit-def: $vgpr0
                                        ; implicit-def: $vgpr1
	s_branch .LBB335_155
.LBB335_136:
	v_dual_mov_b32 v2, v12 :: v_dual_mov_b32 v1, 0
.LBB335_137:
	s_and_b32 s36, s36, 3
	s_delay_alu instid0(SALU_CYCLE_1)
	s_cmp_eq_u32 s36, 0
	s_cbranch_scc1 .LBB335_140
; %bb.138:
	s_lshl_b32 s18, s35, 3
	s_mul_i32 s20, s35, 12
	s_add_u32 s18, s18, s0
	s_addc_u32 s19, s1, 0
	s_add_u32 s18, s18, 0xc4
	s_addc_u32 s19, s19, 0
	;; [unrolled: 2-line block ×3, first 2 shown]
	.p2align	6
.LBB335_139:                            ; =>This Inner Loop Header: Depth=1
	s_clause 0x1
	s_load_b64 s[38:39], s[20:21], 0x4
	s_load_b32 s35, s[20:21], 0xc
	s_load_b64 s[40:41], s[18:19], 0x0
	s_add_u32 s20, s20, 12
	s_addc_u32 s21, s21, 0
	s_add_u32 s18, s18, 8
	s_addc_u32 s19, s19, 0
	s_add_i32 s36, s36, -1
	s_delay_alu instid0(SALU_CYCLE_1) | instskip(SKIP_2) | instid1(VALU_DEP_1)
	s_cmp_lg_u32 s36, 0
	s_waitcnt lgkmcnt(0)
	v_mul_hi_u32 v3, s39, v2
	v_add_nc_u32_e32 v3, v2, v3
	s_delay_alu instid0(VALU_DEP_1) | instskip(NEXT) | instid1(VALU_DEP_1)
	v_lshrrev_b32_e32 v6, s35, v3
	v_mul_lo_u32 v3, v6, s38
	s_delay_alu instid0(VALU_DEP_1) | instskip(NEXT) | instid1(VALU_DEP_1)
	v_sub_nc_u32_e32 v2, v2, v3
	v_mad_u64_u32 v[3:4], null, v2, s40, v[0:1]
	v_mad_u64_u32 v[4:5], null, v2, s41, v[1:2]
	v_mov_b32_e32 v2, v6
	s_delay_alu instid0(VALU_DEP_2)
	v_dual_mov_b32 v0, v3 :: v_dual_mov_b32 v1, v4
	s_cbranch_scc1 .LBB335_139
.LBB335_140:
	s_and_not1_b32 vcc_lo, exec_lo, s34
	s_cbranch_vccnz .LBB335_143
; %bb.141:
	v_mul_hi_u32 v0, s9, v12
	s_and_not1_b32 vcc_lo, exec_lo, s28
	s_delay_alu instid0(VALU_DEP_1) | instskip(NEXT) | instid1(VALU_DEP_1)
	v_add_nc_u32_e32 v0, v12, v0
	v_lshrrev_b32_e32 v2, s10, v0
	s_delay_alu instid0(VALU_DEP_1) | instskip(NEXT) | instid1(VALU_DEP_1)
	v_mul_lo_u32 v0, v2, s8
	v_sub_nc_u32_e32 v1, v12, v0
	s_delay_alu instid0(VALU_DEP_1)
	v_mul_lo_u32 v0, v1, s12
	v_mul_lo_u32 v1, v1, s13
	s_cbranch_vccnz .LBB335_143
; %bb.142:
	v_mul_hi_u32 v3, s2, v2
	s_delay_alu instid0(VALU_DEP_1) | instskip(NEXT) | instid1(VALU_DEP_1)
	v_add_nc_u32_e32 v3, v2, v3
	v_lshrrev_b32_e32 v3, s3, v3
	s_delay_alu instid0(VALU_DEP_1) | instskip(NEXT) | instid1(VALU_DEP_1)
	v_mul_lo_u32 v3, v3, s11
	v_sub_nc_u32_e32 v5, v2, v3
	s_delay_alu instid0(VALU_DEP_1) | instskip(NEXT) | instid1(VALU_DEP_1)
	v_mad_u64_u32 v[2:3], null, v5, s14, v[0:1]
	v_mad_u64_u32 v[3:4], null, v5, s15, v[1:2]
	s_delay_alu instid0(VALU_DEP_1)
	v_dual_mov_b32 v0, v2 :: v_dual_mov_b32 v1, v3
.LBB335_143:
	global_load_u16 v1, v1, s[6:7]
	v_add_nc_u32_e32 v12, 0x80, v12
	s_waitcnt vmcnt(0)
	v_cmp_lt_f16_e32 vcc_lo, s26, v1
	v_cndmask_b32_e32 v2, s26, v1, vcc_lo
	s_delay_alu instid0(VALU_DEP_1) | instskip(SKIP_2) | instid1(VALU_DEP_2)
	v_cmp_gt_f16_e32 vcc_lo, s27, v2
	v_cndmask_b32_e32 v2, s27, v2, vcc_lo
	v_cmp_u_f16_e32 vcc_lo, v1, v1
	v_cndmask_b32_e32 v1, v2, v1, vcc_lo
	global_store_b16 v0, v1, s[4:5]
	s_or_b32 exec_lo, exec_lo, s33
	s_delay_alu instid0(SALU_CYCLE_1)
	s_mov_b32 s33, exec_lo
	v_cmpx_gt_i32_e64 s29, v12
	s_cbranch_execnz .LBB335_130
.LBB335_144:
	s_or_b32 exec_lo, exec_lo, s33
	s_delay_alu instid0(SALU_CYCLE_1)
	s_mov_b32 s33, exec_lo
	v_cmpx_gt_i32_e64 s29, v12
	s_cbranch_execz .LBB335_159
.LBB335_145:
	s_and_not1_b32 vcc_lo, exec_lo, s24
	s_cbranch_vccnz .LBB335_150
; %bb.146:
	v_dual_mov_b32 v0, 0 :: v_dual_mov_b32 v1, 0
	s_and_not1_b32 vcc_lo, exec_lo, s31
	s_mov_b32 s34, 0
	s_cbranch_vccnz .LBB335_170
; %bb.147:
	v_mov_b32_e32 v0, 0
	s_add_i32 s36, s30, 1
	s_cmp_eq_u32 s23, 2
	s_mov_b32 s35, 0
	s_cbranch_scc1 .LBB335_166
; %bb.148:
	v_dual_mov_b32 v1, 0 :: v_dual_mov_b32 v0, 0
	v_mov_b32_e32 v2, v12
	s_and_b32 s35, s36, 28
	s_mov_b32 s37, 0
	s_mov_b64 s[18:19], s[16:17]
	s_mov_b64 s[20:21], s[0:1]
.LBB335_149:                            ; =>This Inner Loop Header: Depth=1
	s_clause 0x1
	s_load_b256 s[40:47], s[20:21], 0x4
	s_load_b128 s[56:59], s[20:21], 0x24
	s_load_b256 s[48:55], s[18:19], 0x0
	s_add_u32 s20, s20, 48
	s_addc_u32 s21, s21, 0
	s_add_i32 s37, s37, 4
	s_add_u32 s18, s18, 32
	s_addc_u32 s19, s19, 0
	s_cmp_eq_u32 s35, s37
	s_waitcnt lgkmcnt(0)
	v_mul_hi_u32 v3, s41, v2
	s_delay_alu instid0(VALU_DEP_1) | instskip(NEXT) | instid1(VALU_DEP_1)
	v_add_nc_u32_e32 v3, v2, v3
	v_lshrrev_b32_e32 v3, s42, v3
	s_delay_alu instid0(VALU_DEP_1) | instskip(SKIP_1) | instid1(VALU_DEP_2)
	v_mul_hi_u32 v4, s44, v3
	v_mul_lo_u32 v6, v3, s40
	v_add_nc_u32_e32 v4, v3, v4
	s_delay_alu instid0(VALU_DEP_2) | instskip(NEXT) | instid1(VALU_DEP_2)
	v_sub_nc_u32_e32 v2, v2, v6
	v_lshrrev_b32_e32 v4, s45, v4
	s_delay_alu instid0(VALU_DEP_2) | instskip(SKIP_1) | instid1(VALU_DEP_3)
	v_mul_lo_u32 v6, v2, s48
	v_mul_lo_u32 v8, v2, s49
	v_mul_hi_u32 v5, s47, v4
	s_delay_alu instid0(VALU_DEP_1) | instskip(NEXT) | instid1(VALU_DEP_1)
	v_add_nc_u32_e32 v5, v4, v5
	v_lshrrev_b32_e32 v5, s56, v5
	s_delay_alu instid0(VALU_DEP_1) | instskip(SKIP_1) | instid1(VALU_DEP_2)
	v_mul_hi_u32 v7, s58, v5
	v_mul_lo_u32 v9, v5, s46
	v_add_nc_u32_e32 v2, v5, v7
	v_mul_lo_u32 v7, v4, s43
	s_delay_alu instid0(VALU_DEP_3) | instskip(NEXT) | instid1(VALU_DEP_3)
	v_sub_nc_u32_e32 v4, v4, v9
	v_lshrrev_b32_e32 v2, s59, v2
	s_delay_alu instid0(VALU_DEP_2) | instskip(SKIP_2) | instid1(VALU_DEP_4)
	v_mul_lo_u32 v9, v4, s52
	v_mul_lo_u32 v4, v4, s53
	v_sub_nc_u32_e32 v3, v3, v7
	v_mul_lo_u32 v10, v2, s57
	s_delay_alu instid0(VALU_DEP_2) | instskip(SKIP_1) | instid1(VALU_DEP_3)
	v_mul_lo_u32 v7, v3, s50
	v_mul_lo_u32 v3, v3, s51
	v_sub_nc_u32_e32 v5, v5, v10
	s_delay_alu instid0(VALU_DEP_3) | instskip(NEXT) | instid1(VALU_DEP_2)
	v_add3_u32 v0, v6, v0, v7
	v_mul_lo_u32 v10, v5, s54
	v_mul_lo_u32 v5, v5, s55
	v_add3_u32 v1, v8, v1, v3
	s_delay_alu instid0(VALU_DEP_3) | instskip(NEXT) | instid1(VALU_DEP_2)
	v_add3_u32 v0, v9, v0, v10
	v_add3_u32 v1, v4, v1, v5
	s_cbranch_scc0 .LBB335_149
	s_branch .LBB335_167
.LBB335_150:
	s_mov_b32 s34, -1
                                        ; implicit-def: $vgpr0
                                        ; implicit-def: $vgpr1
	s_branch .LBB335_170
.LBB335_151:
	v_dual_mov_b32 v2, v12 :: v_dual_mov_b32 v1, 0
.LBB335_152:
	s_and_b32 s36, s36, 3
	s_delay_alu instid0(SALU_CYCLE_1)
	s_cmp_eq_u32 s36, 0
	s_cbranch_scc1 .LBB335_155
; %bb.153:
	s_lshl_b32 s18, s35, 3
	s_mul_i32 s20, s35, 12
	s_add_u32 s18, s18, s0
	s_addc_u32 s19, s1, 0
	s_add_u32 s18, s18, 0xc4
	s_addc_u32 s19, s19, 0
	;; [unrolled: 2-line block ×3, first 2 shown]
	.p2align	6
.LBB335_154:                            ; =>This Inner Loop Header: Depth=1
	s_clause 0x1
	s_load_b64 s[38:39], s[20:21], 0x4
	s_load_b32 s35, s[20:21], 0xc
	s_load_b64 s[40:41], s[18:19], 0x0
	s_add_u32 s20, s20, 12
	s_addc_u32 s21, s21, 0
	s_add_u32 s18, s18, 8
	s_addc_u32 s19, s19, 0
	s_add_i32 s36, s36, -1
	s_delay_alu instid0(SALU_CYCLE_1) | instskip(SKIP_2) | instid1(VALU_DEP_1)
	s_cmp_lg_u32 s36, 0
	s_waitcnt lgkmcnt(0)
	v_mul_hi_u32 v3, s39, v2
	v_add_nc_u32_e32 v3, v2, v3
	s_delay_alu instid0(VALU_DEP_1) | instskip(NEXT) | instid1(VALU_DEP_1)
	v_lshrrev_b32_e32 v6, s35, v3
	v_mul_lo_u32 v3, v6, s38
	s_delay_alu instid0(VALU_DEP_1) | instskip(NEXT) | instid1(VALU_DEP_1)
	v_sub_nc_u32_e32 v2, v2, v3
	v_mad_u64_u32 v[3:4], null, v2, s40, v[0:1]
	v_mad_u64_u32 v[4:5], null, v2, s41, v[1:2]
	v_mov_b32_e32 v2, v6
	s_delay_alu instid0(VALU_DEP_2)
	v_dual_mov_b32 v0, v3 :: v_dual_mov_b32 v1, v4
	s_cbranch_scc1 .LBB335_154
.LBB335_155:
	s_and_not1_b32 vcc_lo, exec_lo, s34
	s_cbranch_vccnz .LBB335_158
; %bb.156:
	v_mul_hi_u32 v0, s9, v12
	s_and_not1_b32 vcc_lo, exec_lo, s28
	s_delay_alu instid0(VALU_DEP_1) | instskip(NEXT) | instid1(VALU_DEP_1)
	v_add_nc_u32_e32 v0, v12, v0
	v_lshrrev_b32_e32 v2, s10, v0
	s_delay_alu instid0(VALU_DEP_1) | instskip(NEXT) | instid1(VALU_DEP_1)
	v_mul_lo_u32 v0, v2, s8
	v_sub_nc_u32_e32 v1, v12, v0
	s_delay_alu instid0(VALU_DEP_1)
	v_mul_lo_u32 v0, v1, s12
	v_mul_lo_u32 v1, v1, s13
	s_cbranch_vccnz .LBB335_158
; %bb.157:
	v_mul_hi_u32 v3, s2, v2
	s_delay_alu instid0(VALU_DEP_1) | instskip(NEXT) | instid1(VALU_DEP_1)
	v_add_nc_u32_e32 v3, v2, v3
	v_lshrrev_b32_e32 v3, s3, v3
	s_delay_alu instid0(VALU_DEP_1) | instskip(NEXT) | instid1(VALU_DEP_1)
	v_mul_lo_u32 v3, v3, s11
	v_sub_nc_u32_e32 v5, v2, v3
	s_delay_alu instid0(VALU_DEP_1) | instskip(NEXT) | instid1(VALU_DEP_1)
	v_mad_u64_u32 v[2:3], null, v5, s14, v[0:1]
	v_mad_u64_u32 v[3:4], null, v5, s15, v[1:2]
	s_delay_alu instid0(VALU_DEP_1)
	v_dual_mov_b32 v0, v2 :: v_dual_mov_b32 v1, v3
.LBB335_158:
	global_load_u16 v1, v1, s[6:7]
	v_add_nc_u32_e32 v12, 0x80, v12
	s_waitcnt vmcnt(0)
	v_cmp_lt_f16_e32 vcc_lo, s26, v1
	v_cndmask_b32_e32 v2, s26, v1, vcc_lo
	s_delay_alu instid0(VALU_DEP_1) | instskip(SKIP_2) | instid1(VALU_DEP_2)
	v_cmp_gt_f16_e32 vcc_lo, s27, v2
	v_cndmask_b32_e32 v2, s27, v2, vcc_lo
	v_cmp_u_f16_e32 vcc_lo, v1, v1
	v_cndmask_b32_e32 v1, v2, v1, vcc_lo
	global_store_b16 v0, v1, s[4:5]
	s_or_b32 exec_lo, exec_lo, s33
	s_delay_alu instid0(SALU_CYCLE_1)
	s_mov_b32 s33, exec_lo
	v_cmpx_gt_i32_e64 s29, v12
	s_cbranch_execnz .LBB335_145
.LBB335_159:
	s_or_b32 exec_lo, exec_lo, s33
	s_delay_alu instid0(SALU_CYCLE_1)
	s_mov_b32 s33, exec_lo
	v_cmpx_gt_i32_e64 s29, v12
	s_cbranch_execz .LBB335_174
.LBB335_160:
	s_and_not1_b32 vcc_lo, exec_lo, s24
	s_cbranch_vccnz .LBB335_165
; %bb.161:
	v_dual_mov_b32 v0, 0 :: v_dual_mov_b32 v1, 0
	s_and_not1_b32 vcc_lo, exec_lo, s31
	s_mov_b32 s34, 0
	s_cbranch_vccnz .LBB335_185
; %bb.162:
	v_mov_b32_e32 v0, 0
	s_add_i32 s36, s30, 1
	s_cmp_eq_u32 s23, 2
	s_mov_b32 s35, 0
	s_cbranch_scc1 .LBB335_181
; %bb.163:
	v_dual_mov_b32 v1, 0 :: v_dual_mov_b32 v0, 0
	v_mov_b32_e32 v2, v12
	s_and_b32 s35, s36, 28
	s_mov_b32 s37, 0
	s_mov_b64 s[18:19], s[16:17]
	s_mov_b64 s[20:21], s[0:1]
.LBB335_164:                            ; =>This Inner Loop Header: Depth=1
	s_clause 0x1
	s_load_b256 s[40:47], s[20:21], 0x4
	s_load_b128 s[56:59], s[20:21], 0x24
	s_load_b256 s[48:55], s[18:19], 0x0
	s_add_u32 s20, s20, 48
	s_addc_u32 s21, s21, 0
	s_add_i32 s37, s37, 4
	s_add_u32 s18, s18, 32
	s_addc_u32 s19, s19, 0
	s_cmp_eq_u32 s35, s37
	s_waitcnt lgkmcnt(0)
	v_mul_hi_u32 v3, s41, v2
	s_delay_alu instid0(VALU_DEP_1) | instskip(NEXT) | instid1(VALU_DEP_1)
	v_add_nc_u32_e32 v3, v2, v3
	v_lshrrev_b32_e32 v3, s42, v3
	s_delay_alu instid0(VALU_DEP_1) | instskip(SKIP_1) | instid1(VALU_DEP_2)
	v_mul_hi_u32 v4, s44, v3
	v_mul_lo_u32 v6, v3, s40
	v_add_nc_u32_e32 v4, v3, v4
	s_delay_alu instid0(VALU_DEP_2) | instskip(NEXT) | instid1(VALU_DEP_2)
	v_sub_nc_u32_e32 v2, v2, v6
	v_lshrrev_b32_e32 v4, s45, v4
	s_delay_alu instid0(VALU_DEP_2) | instskip(SKIP_1) | instid1(VALU_DEP_3)
	v_mul_lo_u32 v6, v2, s48
	v_mul_lo_u32 v8, v2, s49
	v_mul_hi_u32 v5, s47, v4
	s_delay_alu instid0(VALU_DEP_1) | instskip(NEXT) | instid1(VALU_DEP_1)
	v_add_nc_u32_e32 v5, v4, v5
	v_lshrrev_b32_e32 v5, s56, v5
	s_delay_alu instid0(VALU_DEP_1) | instskip(SKIP_1) | instid1(VALU_DEP_2)
	v_mul_hi_u32 v7, s58, v5
	v_mul_lo_u32 v9, v5, s46
	v_add_nc_u32_e32 v2, v5, v7
	v_mul_lo_u32 v7, v4, s43
	s_delay_alu instid0(VALU_DEP_3) | instskip(NEXT) | instid1(VALU_DEP_3)
	v_sub_nc_u32_e32 v4, v4, v9
	v_lshrrev_b32_e32 v2, s59, v2
	s_delay_alu instid0(VALU_DEP_2) | instskip(SKIP_2) | instid1(VALU_DEP_4)
	v_mul_lo_u32 v9, v4, s52
	v_mul_lo_u32 v4, v4, s53
	v_sub_nc_u32_e32 v3, v3, v7
	v_mul_lo_u32 v10, v2, s57
	s_delay_alu instid0(VALU_DEP_2) | instskip(SKIP_1) | instid1(VALU_DEP_3)
	v_mul_lo_u32 v7, v3, s50
	v_mul_lo_u32 v3, v3, s51
	v_sub_nc_u32_e32 v5, v5, v10
	s_delay_alu instid0(VALU_DEP_3) | instskip(NEXT) | instid1(VALU_DEP_2)
	v_add3_u32 v0, v6, v0, v7
	v_mul_lo_u32 v10, v5, s54
	v_mul_lo_u32 v5, v5, s55
	v_add3_u32 v1, v8, v1, v3
	s_delay_alu instid0(VALU_DEP_3) | instskip(NEXT) | instid1(VALU_DEP_2)
	v_add3_u32 v0, v9, v0, v10
	v_add3_u32 v1, v4, v1, v5
	s_cbranch_scc0 .LBB335_164
	s_branch .LBB335_182
.LBB335_165:
	s_mov_b32 s34, -1
                                        ; implicit-def: $vgpr0
                                        ; implicit-def: $vgpr1
	s_branch .LBB335_185
.LBB335_166:
	v_dual_mov_b32 v2, v12 :: v_dual_mov_b32 v1, 0
.LBB335_167:
	s_and_b32 s36, s36, 3
	s_delay_alu instid0(SALU_CYCLE_1)
	s_cmp_eq_u32 s36, 0
	s_cbranch_scc1 .LBB335_170
; %bb.168:
	s_lshl_b32 s18, s35, 3
	s_mul_i32 s20, s35, 12
	s_add_u32 s18, s18, s0
	s_addc_u32 s19, s1, 0
	s_add_u32 s18, s18, 0xc4
	s_addc_u32 s19, s19, 0
	;; [unrolled: 2-line block ×3, first 2 shown]
	.p2align	6
.LBB335_169:                            ; =>This Inner Loop Header: Depth=1
	s_clause 0x1
	s_load_b64 s[38:39], s[20:21], 0x4
	s_load_b32 s35, s[20:21], 0xc
	s_load_b64 s[40:41], s[18:19], 0x0
	s_add_u32 s20, s20, 12
	s_addc_u32 s21, s21, 0
	s_add_u32 s18, s18, 8
	s_addc_u32 s19, s19, 0
	s_add_i32 s36, s36, -1
	s_delay_alu instid0(SALU_CYCLE_1) | instskip(SKIP_2) | instid1(VALU_DEP_1)
	s_cmp_lg_u32 s36, 0
	s_waitcnt lgkmcnt(0)
	v_mul_hi_u32 v3, s39, v2
	v_add_nc_u32_e32 v3, v2, v3
	s_delay_alu instid0(VALU_DEP_1) | instskip(NEXT) | instid1(VALU_DEP_1)
	v_lshrrev_b32_e32 v6, s35, v3
	v_mul_lo_u32 v3, v6, s38
	s_delay_alu instid0(VALU_DEP_1) | instskip(NEXT) | instid1(VALU_DEP_1)
	v_sub_nc_u32_e32 v2, v2, v3
	v_mad_u64_u32 v[3:4], null, v2, s40, v[0:1]
	v_mad_u64_u32 v[4:5], null, v2, s41, v[1:2]
	v_mov_b32_e32 v2, v6
	s_delay_alu instid0(VALU_DEP_2)
	v_dual_mov_b32 v0, v3 :: v_dual_mov_b32 v1, v4
	s_cbranch_scc1 .LBB335_169
.LBB335_170:
	s_and_not1_b32 vcc_lo, exec_lo, s34
	s_cbranch_vccnz .LBB335_173
; %bb.171:
	v_mul_hi_u32 v0, s9, v12
	s_and_not1_b32 vcc_lo, exec_lo, s28
	s_delay_alu instid0(VALU_DEP_1) | instskip(NEXT) | instid1(VALU_DEP_1)
	v_add_nc_u32_e32 v0, v12, v0
	v_lshrrev_b32_e32 v2, s10, v0
	s_delay_alu instid0(VALU_DEP_1) | instskip(NEXT) | instid1(VALU_DEP_1)
	v_mul_lo_u32 v0, v2, s8
	v_sub_nc_u32_e32 v1, v12, v0
	s_delay_alu instid0(VALU_DEP_1)
	v_mul_lo_u32 v0, v1, s12
	v_mul_lo_u32 v1, v1, s13
	s_cbranch_vccnz .LBB335_173
; %bb.172:
	v_mul_hi_u32 v3, s2, v2
	s_delay_alu instid0(VALU_DEP_1) | instskip(NEXT) | instid1(VALU_DEP_1)
	v_add_nc_u32_e32 v3, v2, v3
	v_lshrrev_b32_e32 v3, s3, v3
	s_delay_alu instid0(VALU_DEP_1) | instskip(NEXT) | instid1(VALU_DEP_1)
	v_mul_lo_u32 v3, v3, s11
	v_sub_nc_u32_e32 v5, v2, v3
	s_delay_alu instid0(VALU_DEP_1) | instskip(NEXT) | instid1(VALU_DEP_1)
	v_mad_u64_u32 v[2:3], null, v5, s14, v[0:1]
	v_mad_u64_u32 v[3:4], null, v5, s15, v[1:2]
	s_delay_alu instid0(VALU_DEP_1)
	v_dual_mov_b32 v0, v2 :: v_dual_mov_b32 v1, v3
.LBB335_173:
	global_load_u16 v1, v1, s[6:7]
	v_add_nc_u32_e32 v12, 0x80, v12
	s_waitcnt vmcnt(0)
	v_cmp_lt_f16_e32 vcc_lo, s26, v1
	v_cndmask_b32_e32 v2, s26, v1, vcc_lo
	s_delay_alu instid0(VALU_DEP_1) | instskip(SKIP_2) | instid1(VALU_DEP_2)
	v_cmp_gt_f16_e32 vcc_lo, s27, v2
	v_cndmask_b32_e32 v2, s27, v2, vcc_lo
	v_cmp_u_f16_e32 vcc_lo, v1, v1
	v_cndmask_b32_e32 v1, v2, v1, vcc_lo
	global_store_b16 v0, v1, s[4:5]
	s_or_b32 exec_lo, exec_lo, s33
	s_delay_alu instid0(SALU_CYCLE_1)
	s_mov_b32 s33, exec_lo
	v_cmpx_gt_i32_e64 s29, v12
	s_cbranch_execnz .LBB335_160
.LBB335_174:
	s_or_b32 exec_lo, exec_lo, s33
	s_delay_alu instid0(SALU_CYCLE_1)
	s_mov_b32 s33, exec_lo
	v_cmpx_gt_i32_e64 s29, v12
	s_cbranch_execz .LBB335_189
.LBB335_175:
	s_and_not1_b32 vcc_lo, exec_lo, s24
	s_cbranch_vccnz .LBB335_180
; %bb.176:
	v_dual_mov_b32 v0, 0 :: v_dual_mov_b32 v1, 0
	s_and_not1_b32 vcc_lo, exec_lo, s31
	s_mov_b32 s34, 0
	s_cbranch_vccnz .LBB335_200
; %bb.177:
	v_mov_b32_e32 v0, 0
	s_add_i32 s36, s30, 1
	s_cmp_eq_u32 s23, 2
	s_mov_b32 s35, 0
	s_cbranch_scc1 .LBB335_196
; %bb.178:
	v_dual_mov_b32 v1, 0 :: v_dual_mov_b32 v0, 0
	v_mov_b32_e32 v2, v12
	s_and_b32 s35, s36, 28
	s_mov_b32 s37, 0
	s_mov_b64 s[18:19], s[16:17]
	s_mov_b64 s[20:21], s[0:1]
.LBB335_179:                            ; =>This Inner Loop Header: Depth=1
	s_clause 0x1
	s_load_b256 s[40:47], s[20:21], 0x4
	s_load_b128 s[56:59], s[20:21], 0x24
	s_load_b256 s[48:55], s[18:19], 0x0
	s_add_u32 s20, s20, 48
	s_addc_u32 s21, s21, 0
	s_add_i32 s37, s37, 4
	s_add_u32 s18, s18, 32
	s_addc_u32 s19, s19, 0
	s_cmp_eq_u32 s35, s37
	s_waitcnt lgkmcnt(0)
	v_mul_hi_u32 v3, s41, v2
	s_delay_alu instid0(VALU_DEP_1) | instskip(NEXT) | instid1(VALU_DEP_1)
	v_add_nc_u32_e32 v3, v2, v3
	v_lshrrev_b32_e32 v3, s42, v3
	s_delay_alu instid0(VALU_DEP_1) | instskip(SKIP_1) | instid1(VALU_DEP_2)
	v_mul_hi_u32 v4, s44, v3
	v_mul_lo_u32 v6, v3, s40
	v_add_nc_u32_e32 v4, v3, v4
	s_delay_alu instid0(VALU_DEP_2) | instskip(NEXT) | instid1(VALU_DEP_2)
	v_sub_nc_u32_e32 v2, v2, v6
	v_lshrrev_b32_e32 v4, s45, v4
	s_delay_alu instid0(VALU_DEP_2) | instskip(SKIP_1) | instid1(VALU_DEP_3)
	v_mul_lo_u32 v6, v2, s48
	v_mul_lo_u32 v8, v2, s49
	v_mul_hi_u32 v5, s47, v4
	s_delay_alu instid0(VALU_DEP_1) | instskip(NEXT) | instid1(VALU_DEP_1)
	v_add_nc_u32_e32 v5, v4, v5
	v_lshrrev_b32_e32 v5, s56, v5
	s_delay_alu instid0(VALU_DEP_1) | instskip(SKIP_1) | instid1(VALU_DEP_2)
	v_mul_hi_u32 v7, s58, v5
	v_mul_lo_u32 v9, v5, s46
	v_add_nc_u32_e32 v2, v5, v7
	v_mul_lo_u32 v7, v4, s43
	s_delay_alu instid0(VALU_DEP_3) | instskip(NEXT) | instid1(VALU_DEP_3)
	v_sub_nc_u32_e32 v4, v4, v9
	v_lshrrev_b32_e32 v2, s59, v2
	s_delay_alu instid0(VALU_DEP_2) | instskip(SKIP_2) | instid1(VALU_DEP_4)
	v_mul_lo_u32 v9, v4, s52
	v_mul_lo_u32 v4, v4, s53
	v_sub_nc_u32_e32 v3, v3, v7
	v_mul_lo_u32 v10, v2, s57
	s_delay_alu instid0(VALU_DEP_2) | instskip(SKIP_1) | instid1(VALU_DEP_3)
	v_mul_lo_u32 v7, v3, s50
	v_mul_lo_u32 v3, v3, s51
	v_sub_nc_u32_e32 v5, v5, v10
	s_delay_alu instid0(VALU_DEP_3) | instskip(NEXT) | instid1(VALU_DEP_2)
	v_add3_u32 v0, v6, v0, v7
	v_mul_lo_u32 v10, v5, s54
	v_mul_lo_u32 v5, v5, s55
	v_add3_u32 v1, v8, v1, v3
	s_delay_alu instid0(VALU_DEP_3) | instskip(NEXT) | instid1(VALU_DEP_2)
	v_add3_u32 v0, v9, v0, v10
	v_add3_u32 v1, v4, v1, v5
	s_cbranch_scc0 .LBB335_179
	s_branch .LBB335_197
.LBB335_180:
	s_mov_b32 s34, -1
                                        ; implicit-def: $vgpr0
                                        ; implicit-def: $vgpr1
	s_branch .LBB335_200
.LBB335_181:
	v_dual_mov_b32 v2, v12 :: v_dual_mov_b32 v1, 0
.LBB335_182:
	s_and_b32 s36, s36, 3
	s_delay_alu instid0(SALU_CYCLE_1)
	s_cmp_eq_u32 s36, 0
	s_cbranch_scc1 .LBB335_185
; %bb.183:
	s_lshl_b32 s18, s35, 3
	s_mul_i32 s20, s35, 12
	s_add_u32 s18, s18, s0
	s_addc_u32 s19, s1, 0
	s_add_u32 s18, s18, 0xc4
	s_addc_u32 s19, s19, 0
	s_add_u32 s20, s0, s20
	s_addc_u32 s21, s1, 0
	.p2align	6
.LBB335_184:                            ; =>This Inner Loop Header: Depth=1
	s_clause 0x1
	s_load_b64 s[38:39], s[20:21], 0x4
	s_load_b32 s35, s[20:21], 0xc
	s_load_b64 s[40:41], s[18:19], 0x0
	s_add_u32 s20, s20, 12
	s_addc_u32 s21, s21, 0
	s_add_u32 s18, s18, 8
	s_addc_u32 s19, s19, 0
	s_add_i32 s36, s36, -1
	s_delay_alu instid0(SALU_CYCLE_1) | instskip(SKIP_2) | instid1(VALU_DEP_1)
	s_cmp_lg_u32 s36, 0
	s_waitcnt lgkmcnt(0)
	v_mul_hi_u32 v3, s39, v2
	v_add_nc_u32_e32 v3, v2, v3
	s_delay_alu instid0(VALU_DEP_1) | instskip(NEXT) | instid1(VALU_DEP_1)
	v_lshrrev_b32_e32 v6, s35, v3
	v_mul_lo_u32 v3, v6, s38
	s_delay_alu instid0(VALU_DEP_1) | instskip(NEXT) | instid1(VALU_DEP_1)
	v_sub_nc_u32_e32 v2, v2, v3
	v_mad_u64_u32 v[3:4], null, v2, s40, v[0:1]
	v_mad_u64_u32 v[4:5], null, v2, s41, v[1:2]
	v_mov_b32_e32 v2, v6
	s_delay_alu instid0(VALU_DEP_2)
	v_dual_mov_b32 v0, v3 :: v_dual_mov_b32 v1, v4
	s_cbranch_scc1 .LBB335_184
.LBB335_185:
	s_and_not1_b32 vcc_lo, exec_lo, s34
	s_cbranch_vccnz .LBB335_188
; %bb.186:
	v_mul_hi_u32 v0, s9, v12
	s_and_not1_b32 vcc_lo, exec_lo, s28
	s_delay_alu instid0(VALU_DEP_1) | instskip(NEXT) | instid1(VALU_DEP_1)
	v_add_nc_u32_e32 v0, v12, v0
	v_lshrrev_b32_e32 v2, s10, v0
	s_delay_alu instid0(VALU_DEP_1) | instskip(NEXT) | instid1(VALU_DEP_1)
	v_mul_lo_u32 v0, v2, s8
	v_sub_nc_u32_e32 v1, v12, v0
	s_delay_alu instid0(VALU_DEP_1)
	v_mul_lo_u32 v0, v1, s12
	v_mul_lo_u32 v1, v1, s13
	s_cbranch_vccnz .LBB335_188
; %bb.187:
	v_mul_hi_u32 v3, s2, v2
	s_delay_alu instid0(VALU_DEP_1) | instskip(NEXT) | instid1(VALU_DEP_1)
	v_add_nc_u32_e32 v3, v2, v3
	v_lshrrev_b32_e32 v3, s3, v3
	s_delay_alu instid0(VALU_DEP_1) | instskip(NEXT) | instid1(VALU_DEP_1)
	v_mul_lo_u32 v3, v3, s11
	v_sub_nc_u32_e32 v5, v2, v3
	s_delay_alu instid0(VALU_DEP_1) | instskip(NEXT) | instid1(VALU_DEP_1)
	v_mad_u64_u32 v[2:3], null, v5, s14, v[0:1]
	v_mad_u64_u32 v[3:4], null, v5, s15, v[1:2]
	s_delay_alu instid0(VALU_DEP_1)
	v_dual_mov_b32 v0, v2 :: v_dual_mov_b32 v1, v3
.LBB335_188:
	global_load_u16 v1, v1, s[6:7]
	v_add_nc_u32_e32 v12, 0x80, v12
	s_waitcnt vmcnt(0)
	v_cmp_lt_f16_e32 vcc_lo, s26, v1
	v_cndmask_b32_e32 v2, s26, v1, vcc_lo
	s_delay_alu instid0(VALU_DEP_1) | instskip(SKIP_2) | instid1(VALU_DEP_2)
	v_cmp_gt_f16_e32 vcc_lo, s27, v2
	v_cndmask_b32_e32 v2, s27, v2, vcc_lo
	v_cmp_u_f16_e32 vcc_lo, v1, v1
	v_cndmask_b32_e32 v1, v2, v1, vcc_lo
	global_store_b16 v0, v1, s[4:5]
	s_or_b32 exec_lo, exec_lo, s33
	s_delay_alu instid0(SALU_CYCLE_1)
	s_mov_b32 s33, exec_lo
	v_cmpx_gt_i32_e64 s29, v12
	s_cbranch_execnz .LBB335_175
.LBB335_189:
	s_or_b32 exec_lo, exec_lo, s33
	s_delay_alu instid0(SALU_CYCLE_1)
	s_mov_b32 s33, exec_lo
	v_cmpx_gt_i32_e64 s29, v12
	s_cbranch_execz .LBB335_204
.LBB335_190:
	s_and_not1_b32 vcc_lo, exec_lo, s24
	s_cbranch_vccnz .LBB335_195
; %bb.191:
	v_dual_mov_b32 v0, 0 :: v_dual_mov_b32 v1, 0
	s_and_not1_b32 vcc_lo, exec_lo, s31
	s_mov_b32 s34, 0
	s_cbranch_vccnz .LBB335_211
; %bb.192:
	v_mov_b32_e32 v0, 0
	s_add_i32 s36, s30, 1
	s_cmp_eq_u32 s23, 2
	s_mov_b32 s35, 0
	s_cbranch_scc1 .LBB335_207
; %bb.193:
	v_dual_mov_b32 v1, 0 :: v_dual_mov_b32 v0, 0
	v_mov_b32_e32 v2, v12
	s_and_b32 s35, s36, 28
	s_mov_b32 s37, 0
	s_mov_b64 s[18:19], s[16:17]
	s_mov_b64 s[20:21], s[0:1]
.LBB335_194:                            ; =>This Inner Loop Header: Depth=1
	s_clause 0x1
	s_load_b256 s[40:47], s[20:21], 0x4
	s_load_b128 s[56:59], s[20:21], 0x24
	s_load_b256 s[48:55], s[18:19], 0x0
	s_add_u32 s20, s20, 48
	s_addc_u32 s21, s21, 0
	s_add_i32 s37, s37, 4
	s_add_u32 s18, s18, 32
	s_addc_u32 s19, s19, 0
	s_cmp_eq_u32 s35, s37
	s_waitcnt lgkmcnt(0)
	v_mul_hi_u32 v3, s41, v2
	s_delay_alu instid0(VALU_DEP_1) | instskip(NEXT) | instid1(VALU_DEP_1)
	v_add_nc_u32_e32 v3, v2, v3
	v_lshrrev_b32_e32 v3, s42, v3
	s_delay_alu instid0(VALU_DEP_1) | instskip(SKIP_1) | instid1(VALU_DEP_2)
	v_mul_hi_u32 v4, s44, v3
	v_mul_lo_u32 v6, v3, s40
	v_add_nc_u32_e32 v4, v3, v4
	s_delay_alu instid0(VALU_DEP_2) | instskip(NEXT) | instid1(VALU_DEP_2)
	v_sub_nc_u32_e32 v2, v2, v6
	v_lshrrev_b32_e32 v4, s45, v4
	s_delay_alu instid0(VALU_DEP_2) | instskip(SKIP_1) | instid1(VALU_DEP_3)
	v_mul_lo_u32 v6, v2, s48
	v_mul_lo_u32 v8, v2, s49
	v_mul_hi_u32 v5, s47, v4
	s_delay_alu instid0(VALU_DEP_1) | instskip(NEXT) | instid1(VALU_DEP_1)
	v_add_nc_u32_e32 v5, v4, v5
	v_lshrrev_b32_e32 v5, s56, v5
	s_delay_alu instid0(VALU_DEP_1) | instskip(SKIP_1) | instid1(VALU_DEP_2)
	v_mul_hi_u32 v7, s58, v5
	v_mul_lo_u32 v9, v5, s46
	v_add_nc_u32_e32 v2, v5, v7
	v_mul_lo_u32 v7, v4, s43
	s_delay_alu instid0(VALU_DEP_3) | instskip(NEXT) | instid1(VALU_DEP_3)
	v_sub_nc_u32_e32 v4, v4, v9
	v_lshrrev_b32_e32 v2, s59, v2
	s_delay_alu instid0(VALU_DEP_2) | instskip(SKIP_2) | instid1(VALU_DEP_4)
	v_mul_lo_u32 v9, v4, s52
	v_mul_lo_u32 v4, v4, s53
	v_sub_nc_u32_e32 v3, v3, v7
	v_mul_lo_u32 v10, v2, s57
	s_delay_alu instid0(VALU_DEP_2) | instskip(SKIP_1) | instid1(VALU_DEP_3)
	v_mul_lo_u32 v7, v3, s50
	v_mul_lo_u32 v3, v3, s51
	v_sub_nc_u32_e32 v5, v5, v10
	s_delay_alu instid0(VALU_DEP_3) | instskip(NEXT) | instid1(VALU_DEP_2)
	v_add3_u32 v0, v6, v0, v7
	v_mul_lo_u32 v10, v5, s54
	v_mul_lo_u32 v5, v5, s55
	v_add3_u32 v1, v8, v1, v3
	s_delay_alu instid0(VALU_DEP_3) | instskip(NEXT) | instid1(VALU_DEP_2)
	v_add3_u32 v0, v9, v0, v10
	v_add3_u32 v1, v4, v1, v5
	s_cbranch_scc0 .LBB335_194
	s_branch .LBB335_208
.LBB335_195:
	s_mov_b32 s34, -1
                                        ; implicit-def: $vgpr0
                                        ; implicit-def: $vgpr1
	s_branch .LBB335_211
.LBB335_196:
	v_dual_mov_b32 v2, v12 :: v_dual_mov_b32 v1, 0
.LBB335_197:
	s_and_b32 s36, s36, 3
	s_delay_alu instid0(SALU_CYCLE_1)
	s_cmp_eq_u32 s36, 0
	s_cbranch_scc1 .LBB335_200
; %bb.198:
	s_lshl_b32 s18, s35, 3
	s_mul_i32 s20, s35, 12
	s_add_u32 s18, s18, s0
	s_addc_u32 s19, s1, 0
	s_add_u32 s18, s18, 0xc4
	s_addc_u32 s19, s19, 0
	s_add_u32 s20, s0, s20
	s_addc_u32 s21, s1, 0
	.p2align	6
.LBB335_199:                            ; =>This Inner Loop Header: Depth=1
	s_clause 0x1
	s_load_b64 s[38:39], s[20:21], 0x4
	s_load_b32 s35, s[20:21], 0xc
	s_load_b64 s[40:41], s[18:19], 0x0
	s_add_u32 s20, s20, 12
	s_addc_u32 s21, s21, 0
	s_add_u32 s18, s18, 8
	s_addc_u32 s19, s19, 0
	s_add_i32 s36, s36, -1
	s_delay_alu instid0(SALU_CYCLE_1) | instskip(SKIP_2) | instid1(VALU_DEP_1)
	s_cmp_lg_u32 s36, 0
	s_waitcnt lgkmcnt(0)
	v_mul_hi_u32 v3, s39, v2
	v_add_nc_u32_e32 v3, v2, v3
	s_delay_alu instid0(VALU_DEP_1) | instskip(NEXT) | instid1(VALU_DEP_1)
	v_lshrrev_b32_e32 v6, s35, v3
	v_mul_lo_u32 v3, v6, s38
	s_delay_alu instid0(VALU_DEP_1) | instskip(NEXT) | instid1(VALU_DEP_1)
	v_sub_nc_u32_e32 v2, v2, v3
	v_mad_u64_u32 v[3:4], null, v2, s40, v[0:1]
	v_mad_u64_u32 v[4:5], null, v2, s41, v[1:2]
	v_mov_b32_e32 v2, v6
	s_delay_alu instid0(VALU_DEP_2)
	v_dual_mov_b32 v0, v3 :: v_dual_mov_b32 v1, v4
	s_cbranch_scc1 .LBB335_199
.LBB335_200:
	s_and_not1_b32 vcc_lo, exec_lo, s34
	s_cbranch_vccnz .LBB335_203
; %bb.201:
	v_mul_hi_u32 v0, s9, v12
	s_and_not1_b32 vcc_lo, exec_lo, s28
	s_delay_alu instid0(VALU_DEP_1) | instskip(NEXT) | instid1(VALU_DEP_1)
	v_add_nc_u32_e32 v0, v12, v0
	v_lshrrev_b32_e32 v2, s10, v0
	s_delay_alu instid0(VALU_DEP_1) | instskip(NEXT) | instid1(VALU_DEP_1)
	v_mul_lo_u32 v0, v2, s8
	v_sub_nc_u32_e32 v1, v12, v0
	s_delay_alu instid0(VALU_DEP_1)
	v_mul_lo_u32 v0, v1, s12
	v_mul_lo_u32 v1, v1, s13
	s_cbranch_vccnz .LBB335_203
; %bb.202:
	v_mul_hi_u32 v3, s2, v2
	s_delay_alu instid0(VALU_DEP_1) | instskip(NEXT) | instid1(VALU_DEP_1)
	v_add_nc_u32_e32 v3, v2, v3
	v_lshrrev_b32_e32 v3, s3, v3
	s_delay_alu instid0(VALU_DEP_1) | instskip(NEXT) | instid1(VALU_DEP_1)
	v_mul_lo_u32 v3, v3, s11
	v_sub_nc_u32_e32 v5, v2, v3
	s_delay_alu instid0(VALU_DEP_1) | instskip(NEXT) | instid1(VALU_DEP_1)
	v_mad_u64_u32 v[2:3], null, v5, s14, v[0:1]
	v_mad_u64_u32 v[3:4], null, v5, s15, v[1:2]
	s_delay_alu instid0(VALU_DEP_1)
	v_dual_mov_b32 v0, v2 :: v_dual_mov_b32 v1, v3
.LBB335_203:
	global_load_u16 v1, v1, s[6:7]
	v_add_nc_u32_e32 v12, 0x80, v12
	s_waitcnt vmcnt(0)
	v_cmp_lt_f16_e32 vcc_lo, s26, v1
	v_cndmask_b32_e32 v2, s26, v1, vcc_lo
	s_delay_alu instid0(VALU_DEP_1) | instskip(SKIP_2) | instid1(VALU_DEP_2)
	v_cmp_gt_f16_e32 vcc_lo, s27, v2
	v_cndmask_b32_e32 v2, s27, v2, vcc_lo
	v_cmp_u_f16_e32 vcc_lo, v1, v1
	v_cndmask_b32_e32 v1, v2, v1, vcc_lo
	global_store_b16 v0, v1, s[4:5]
	s_or_b32 exec_lo, exec_lo, s33
	s_delay_alu instid0(SALU_CYCLE_1)
	s_mov_b32 s33, exec_lo
	v_cmpx_gt_i32_e64 s29, v12
	s_cbranch_execnz .LBB335_190
.LBB335_204:
	s_or_b32 exec_lo, exec_lo, s33
	s_delay_alu instid0(SALU_CYCLE_1)
	s_mov_b32 s20, exec_lo
	v_cmpx_gt_i32_e64 s29, v12
	s_cbranch_execnz .LBB335_215
.LBB335_205:
	s_or_b32 exec_lo, exec_lo, s20
                                        ; implicit-def: $vgpr16
                                        ; implicit-def: $vgpr12
	s_and_not1_saveexec_b32 s2, s25
	s_cbranch_execnz .LBB335_8
.LBB335_206:
	s_nop 0
	s_sendmsg sendmsg(MSG_DEALLOC_VGPRS)
	s_endpgm
.LBB335_207:
	v_dual_mov_b32 v2, v12 :: v_dual_mov_b32 v1, 0
.LBB335_208:
	s_and_b32 s36, s36, 3
	s_delay_alu instid0(SALU_CYCLE_1)
	s_cmp_eq_u32 s36, 0
	s_cbranch_scc1 .LBB335_211
; %bb.209:
	s_lshl_b32 s18, s35, 3
	s_mul_i32 s20, s35, 12
	s_add_u32 s18, s18, s0
	s_addc_u32 s19, s1, 0
	s_add_u32 s18, s18, 0xc4
	s_addc_u32 s19, s19, 0
	s_add_u32 s20, s0, s20
	s_addc_u32 s21, s1, 0
	.p2align	6
.LBB335_210:                            ; =>This Inner Loop Header: Depth=1
	s_clause 0x1
	s_load_b64 s[38:39], s[20:21], 0x4
	s_load_b32 s35, s[20:21], 0xc
	s_load_b64 s[40:41], s[18:19], 0x0
	s_add_u32 s20, s20, 12
	s_addc_u32 s21, s21, 0
	s_add_u32 s18, s18, 8
	s_addc_u32 s19, s19, 0
	s_add_i32 s36, s36, -1
	s_delay_alu instid0(SALU_CYCLE_1) | instskip(SKIP_2) | instid1(VALU_DEP_1)
	s_cmp_lg_u32 s36, 0
	s_waitcnt lgkmcnt(0)
	v_mul_hi_u32 v3, s39, v2
	v_add_nc_u32_e32 v3, v2, v3
	s_delay_alu instid0(VALU_DEP_1) | instskip(NEXT) | instid1(VALU_DEP_1)
	v_lshrrev_b32_e32 v6, s35, v3
	v_mul_lo_u32 v3, v6, s38
	s_delay_alu instid0(VALU_DEP_1) | instskip(NEXT) | instid1(VALU_DEP_1)
	v_sub_nc_u32_e32 v2, v2, v3
	v_mad_u64_u32 v[3:4], null, v2, s40, v[0:1]
	v_mad_u64_u32 v[4:5], null, v2, s41, v[1:2]
	v_mov_b32_e32 v2, v6
	s_delay_alu instid0(VALU_DEP_2)
	v_dual_mov_b32 v0, v3 :: v_dual_mov_b32 v1, v4
	s_cbranch_scc1 .LBB335_210
.LBB335_211:
	s_and_not1_b32 vcc_lo, exec_lo, s34
	s_cbranch_vccnz .LBB335_214
; %bb.212:
	v_mul_hi_u32 v0, s9, v12
	s_and_not1_b32 vcc_lo, exec_lo, s28
	s_delay_alu instid0(VALU_DEP_1) | instskip(NEXT) | instid1(VALU_DEP_1)
	v_add_nc_u32_e32 v0, v12, v0
	v_lshrrev_b32_e32 v2, s10, v0
	s_delay_alu instid0(VALU_DEP_1) | instskip(NEXT) | instid1(VALU_DEP_1)
	v_mul_lo_u32 v0, v2, s8
	v_sub_nc_u32_e32 v1, v12, v0
	s_delay_alu instid0(VALU_DEP_1)
	v_mul_lo_u32 v0, v1, s12
	v_mul_lo_u32 v1, v1, s13
	s_cbranch_vccnz .LBB335_214
; %bb.213:
	v_mul_hi_u32 v3, s2, v2
	s_delay_alu instid0(VALU_DEP_1) | instskip(NEXT) | instid1(VALU_DEP_1)
	v_add_nc_u32_e32 v3, v2, v3
	v_lshrrev_b32_e32 v3, s3, v3
	s_delay_alu instid0(VALU_DEP_1) | instskip(NEXT) | instid1(VALU_DEP_1)
	v_mul_lo_u32 v3, v3, s11
	v_sub_nc_u32_e32 v5, v2, v3
	s_delay_alu instid0(VALU_DEP_1) | instskip(NEXT) | instid1(VALU_DEP_1)
	v_mad_u64_u32 v[2:3], null, v5, s14, v[0:1]
	v_mad_u64_u32 v[3:4], null, v5, s15, v[1:2]
	s_delay_alu instid0(VALU_DEP_1)
	v_dual_mov_b32 v0, v2 :: v_dual_mov_b32 v1, v3
.LBB335_214:
	global_load_u16 v1, v1, s[6:7]
	v_add_nc_u32_e32 v12, 0x80, v12
	s_waitcnt vmcnt(0)
	v_cmp_lt_f16_e32 vcc_lo, s26, v1
	v_cndmask_b32_e32 v2, s26, v1, vcc_lo
	s_delay_alu instid0(VALU_DEP_1) | instskip(SKIP_2) | instid1(VALU_DEP_2)
	v_cmp_gt_f16_e32 vcc_lo, s27, v2
	v_cndmask_b32_e32 v2, s27, v2, vcc_lo
	v_cmp_u_f16_e32 vcc_lo, v1, v1
	v_cndmask_b32_e32 v1, v2, v1, vcc_lo
	global_store_b16 v0, v1, s[4:5]
	s_or_b32 exec_lo, exec_lo, s33
	s_delay_alu instid0(SALU_CYCLE_1)
	s_mov_b32 s20, exec_lo
	v_cmpx_gt_i32_e64 s29, v12
	s_cbranch_execz .LBB335_205
.LBB335_215:
	s_and_not1_b32 vcc_lo, exec_lo, s24
	s_cbranch_vccnz .LBB335_220
; %bb.216:
	v_dual_mov_b32 v0, 0 :: v_dual_mov_b32 v1, 0
	s_and_not1_b32 vcc_lo, exec_lo, s31
	s_mov_b32 s21, 0
	s_cbranch_vccnz .LBB335_225
; %bb.217:
	v_mov_b32_e32 v0, 0
	s_add_i32 s30, s30, 1
	s_cmp_eq_u32 s23, 2
	s_mov_b32 s29, 0
	s_cbranch_scc1 .LBB335_221
; %bb.218:
	v_dual_mov_b32 v1, 0 :: v_dual_mov_b32 v0, 0
	v_mov_b32_e32 v2, v12
	s_and_b32 s29, s30, 28
	s_mov_b32 s31, 0
	s_mov_b64 s[18:19], s[0:1]
.LBB335_219:                            ; =>This Inner Loop Header: Depth=1
	s_clause 0x1
	s_load_b256 s[36:43], s[18:19], 0x4
	s_load_b128 s[52:55], s[18:19], 0x24
	s_load_b256 s[44:51], s[16:17], 0x0
	s_add_u32 s18, s18, 48
	s_addc_u32 s19, s19, 0
	s_add_i32 s31, s31, 4
	s_add_u32 s16, s16, 32
	s_addc_u32 s17, s17, 0
	s_cmp_eq_u32 s29, s31
	s_waitcnt lgkmcnt(0)
	v_mul_hi_u32 v3, s37, v2
	s_delay_alu instid0(VALU_DEP_1) | instskip(NEXT) | instid1(VALU_DEP_1)
	v_add_nc_u32_e32 v3, v2, v3
	v_lshrrev_b32_e32 v3, s38, v3
	s_delay_alu instid0(VALU_DEP_1) | instskip(SKIP_1) | instid1(VALU_DEP_2)
	v_mul_hi_u32 v4, s40, v3
	v_mul_lo_u32 v6, v3, s36
	v_add_nc_u32_e32 v4, v3, v4
	s_delay_alu instid0(VALU_DEP_2) | instskip(NEXT) | instid1(VALU_DEP_2)
	v_sub_nc_u32_e32 v2, v2, v6
	v_lshrrev_b32_e32 v4, s41, v4
	s_delay_alu instid0(VALU_DEP_2) | instskip(SKIP_1) | instid1(VALU_DEP_3)
	v_mul_lo_u32 v6, v2, s44
	v_mul_lo_u32 v8, v2, s45
	v_mul_hi_u32 v5, s43, v4
	s_delay_alu instid0(VALU_DEP_1) | instskip(NEXT) | instid1(VALU_DEP_1)
	v_add_nc_u32_e32 v5, v4, v5
	v_lshrrev_b32_e32 v5, s52, v5
	s_delay_alu instid0(VALU_DEP_1) | instskip(SKIP_1) | instid1(VALU_DEP_2)
	v_mul_hi_u32 v7, s54, v5
	v_mul_lo_u32 v9, v5, s42
	v_add_nc_u32_e32 v2, v5, v7
	v_mul_lo_u32 v7, v4, s39
	s_delay_alu instid0(VALU_DEP_3) | instskip(NEXT) | instid1(VALU_DEP_3)
	v_sub_nc_u32_e32 v4, v4, v9
	v_lshrrev_b32_e32 v2, s55, v2
	s_delay_alu instid0(VALU_DEP_2) | instskip(SKIP_2) | instid1(VALU_DEP_4)
	v_mul_lo_u32 v9, v4, s48
	v_mul_lo_u32 v4, v4, s49
	v_sub_nc_u32_e32 v3, v3, v7
	v_mul_lo_u32 v10, v2, s53
	s_delay_alu instid0(VALU_DEP_2) | instskip(SKIP_1) | instid1(VALU_DEP_3)
	v_mul_lo_u32 v7, v3, s46
	v_mul_lo_u32 v3, v3, s47
	v_sub_nc_u32_e32 v5, v5, v10
	s_delay_alu instid0(VALU_DEP_3) | instskip(NEXT) | instid1(VALU_DEP_2)
	v_add3_u32 v0, v6, v0, v7
	v_mul_lo_u32 v10, v5, s50
	v_mul_lo_u32 v5, v5, s51
	v_add3_u32 v1, v8, v1, v3
	s_delay_alu instid0(VALU_DEP_3) | instskip(NEXT) | instid1(VALU_DEP_2)
	v_add3_u32 v0, v9, v0, v10
	v_add3_u32 v1, v4, v1, v5
	s_cbranch_scc0 .LBB335_219
	s_branch .LBB335_222
.LBB335_220:
	s_mov_b32 s21, -1
                                        ; implicit-def: $vgpr0
                                        ; implicit-def: $vgpr1
	s_branch .LBB335_225
.LBB335_221:
	v_dual_mov_b32 v2, v12 :: v_dual_mov_b32 v1, 0
.LBB335_222:
	s_and_b32 s30, s30, 3
	s_delay_alu instid0(SALU_CYCLE_1)
	s_cmp_eq_u32 s30, 0
	s_cbranch_scc1 .LBB335_225
; %bb.223:
	s_lshl_b32 s16, s29, 3
	s_mul_i32 s18, s29, 12
	s_add_u32 s16, s16, s0
	s_addc_u32 s17, s1, 0
	s_add_u32 s16, s16, 0xc4
	s_addc_u32 s17, s17, 0
	;; [unrolled: 2-line block ×3, first 2 shown]
	.p2align	6
.LBB335_224:                            ; =>This Inner Loop Header: Depth=1
	s_clause 0x1
	s_load_b64 s[34:35], s[18:19], 0x4
	s_load_b32 s29, s[18:19], 0xc
	s_load_b64 s[36:37], s[16:17], 0x0
	s_add_u32 s18, s18, 12
	s_addc_u32 s19, s19, 0
	s_add_u32 s16, s16, 8
	s_addc_u32 s17, s17, 0
	s_add_i32 s30, s30, -1
	s_delay_alu instid0(SALU_CYCLE_1) | instskip(SKIP_2) | instid1(VALU_DEP_1)
	s_cmp_lg_u32 s30, 0
	s_waitcnt lgkmcnt(0)
	v_mul_hi_u32 v3, s35, v2
	v_add_nc_u32_e32 v3, v2, v3
	s_delay_alu instid0(VALU_DEP_1) | instskip(NEXT) | instid1(VALU_DEP_1)
	v_lshrrev_b32_e32 v6, s29, v3
	v_mul_lo_u32 v3, v6, s34
	s_delay_alu instid0(VALU_DEP_1) | instskip(NEXT) | instid1(VALU_DEP_1)
	v_sub_nc_u32_e32 v2, v2, v3
	v_mad_u64_u32 v[3:4], null, v2, s36, v[0:1]
	v_mad_u64_u32 v[4:5], null, v2, s37, v[1:2]
	v_mov_b32_e32 v2, v6
	s_delay_alu instid0(VALU_DEP_2)
	v_dual_mov_b32 v0, v3 :: v_dual_mov_b32 v1, v4
	s_cbranch_scc1 .LBB335_224
.LBB335_225:
	s_and_not1_b32 vcc_lo, exec_lo, s21
	s_cbranch_vccnz .LBB335_228
; %bb.226:
	v_mul_hi_u32 v0, s9, v12
	s_and_not1_b32 vcc_lo, exec_lo, s28
	s_delay_alu instid0(VALU_DEP_1) | instskip(NEXT) | instid1(VALU_DEP_1)
	v_add_nc_u32_e32 v0, v12, v0
	v_lshrrev_b32_e32 v2, s10, v0
	s_delay_alu instid0(VALU_DEP_1) | instskip(NEXT) | instid1(VALU_DEP_1)
	v_mul_lo_u32 v0, v2, s8
	v_sub_nc_u32_e32 v1, v12, v0
	s_delay_alu instid0(VALU_DEP_1)
	v_mul_lo_u32 v0, v1, s12
	v_mul_lo_u32 v1, v1, s13
	s_cbranch_vccnz .LBB335_228
; %bb.227:
	v_mul_hi_u32 v3, s2, v2
	s_delay_alu instid0(VALU_DEP_1) | instskip(NEXT) | instid1(VALU_DEP_1)
	v_add_nc_u32_e32 v3, v2, v3
	v_lshrrev_b32_e32 v3, s3, v3
	s_delay_alu instid0(VALU_DEP_1) | instskip(NEXT) | instid1(VALU_DEP_1)
	v_mul_lo_u32 v3, v3, s11
	v_sub_nc_u32_e32 v5, v2, v3
	s_delay_alu instid0(VALU_DEP_1) | instskip(NEXT) | instid1(VALU_DEP_1)
	v_mad_u64_u32 v[2:3], null, v5, s14, v[0:1]
	v_mad_u64_u32 v[3:4], null, v5, s15, v[1:2]
	s_delay_alu instid0(VALU_DEP_1)
	v_dual_mov_b32 v0, v2 :: v_dual_mov_b32 v1, v3
.LBB335_228:
	global_load_u16 v1, v1, s[6:7]
	s_waitcnt vmcnt(0)
	v_cmp_lt_f16_e32 vcc_lo, s26, v1
	v_cndmask_b32_e32 v2, s26, v1, vcc_lo
	s_delay_alu instid0(VALU_DEP_1) | instskip(SKIP_2) | instid1(VALU_DEP_2)
	v_cmp_gt_f16_e32 vcc_lo, s27, v2
	v_cndmask_b32_e32 v2, s27, v2, vcc_lo
	v_cmp_u_f16_e32 vcc_lo, v1, v1
	v_cndmask_b32_e32 v1, v2, v1, vcc_lo
	global_store_b16 v0, v1, s[4:5]
	s_or_b32 exec_lo, exec_lo, s20
                                        ; implicit-def: $vgpr16
                                        ; implicit-def: $vgpr12
	s_and_not1_saveexec_b32 s2, s25
	s_cbranch_execz .LBB335_206
	s_branch .LBB335_8
	.section	.rodata,"a",@progbits
	.p2align	6, 0x0
	.amdhsa_kernel _ZN2at6native32elementwise_kernel_manual_unrollILi128ELi8EZNS0_22gpu_kernel_impl_nocastIZZZNS0_17clamp_kernel_cudaERNS_18TensorIteratorBaseERKN3c106ScalarES8_ENKUlvE_clEvENKUlvE6_clEvEUlNS5_4HalfEE_EEvS4_RKT_EUlibE_EEviT1_
		.amdhsa_group_segment_fixed_size 0
		.amdhsa_private_segment_fixed_size 0
		.amdhsa_kernarg_size 360
		.amdhsa_user_sgpr_count 15
		.amdhsa_user_sgpr_dispatch_ptr 0
		.amdhsa_user_sgpr_queue_ptr 0
		.amdhsa_user_sgpr_kernarg_segment_ptr 1
		.amdhsa_user_sgpr_dispatch_id 0
		.amdhsa_user_sgpr_private_segment_size 0
		.amdhsa_wavefront_size32 1
		.amdhsa_uses_dynamic_stack 0
		.amdhsa_enable_private_segment 0
		.amdhsa_system_sgpr_workgroup_id_x 1
		.amdhsa_system_sgpr_workgroup_id_y 0
		.amdhsa_system_sgpr_workgroup_id_z 0
		.amdhsa_system_sgpr_workgroup_info 0
		.amdhsa_system_vgpr_workitem_id 0
		.amdhsa_next_free_vgpr 26
		.amdhsa_next_free_sgpr 60
		.amdhsa_reserve_vcc 1
		.amdhsa_float_round_mode_32 0
		.amdhsa_float_round_mode_16_64 0
		.amdhsa_float_denorm_mode_32 3
		.amdhsa_float_denorm_mode_16_64 3
		.amdhsa_dx10_clamp 1
		.amdhsa_ieee_mode 1
		.amdhsa_fp16_overflow 0
		.amdhsa_workgroup_processor_mode 1
		.amdhsa_memory_ordered 1
		.amdhsa_forward_progress 0
		.amdhsa_shared_vgpr_count 0
		.amdhsa_exception_fp_ieee_invalid_op 0
		.amdhsa_exception_fp_denorm_src 0
		.amdhsa_exception_fp_ieee_div_zero 0
		.amdhsa_exception_fp_ieee_overflow 0
		.amdhsa_exception_fp_ieee_underflow 0
		.amdhsa_exception_fp_ieee_inexact 0
		.amdhsa_exception_int_div_zero 0
	.end_amdhsa_kernel
	.section	.text._ZN2at6native32elementwise_kernel_manual_unrollILi128ELi8EZNS0_22gpu_kernel_impl_nocastIZZZNS0_17clamp_kernel_cudaERNS_18TensorIteratorBaseERKN3c106ScalarES8_ENKUlvE_clEvENKUlvE6_clEvEUlNS5_4HalfEE_EEvS4_RKT_EUlibE_EEviT1_,"axG",@progbits,_ZN2at6native32elementwise_kernel_manual_unrollILi128ELi8EZNS0_22gpu_kernel_impl_nocastIZZZNS0_17clamp_kernel_cudaERNS_18TensorIteratorBaseERKN3c106ScalarES8_ENKUlvE_clEvENKUlvE6_clEvEUlNS5_4HalfEE_EEvS4_RKT_EUlibE_EEviT1_,comdat
.Lfunc_end335:
	.size	_ZN2at6native32elementwise_kernel_manual_unrollILi128ELi8EZNS0_22gpu_kernel_impl_nocastIZZZNS0_17clamp_kernel_cudaERNS_18TensorIteratorBaseERKN3c106ScalarES8_ENKUlvE_clEvENKUlvE6_clEvEUlNS5_4HalfEE_EEvS4_RKT_EUlibE_EEviT1_, .Lfunc_end335-_ZN2at6native32elementwise_kernel_manual_unrollILi128ELi8EZNS0_22gpu_kernel_impl_nocastIZZZNS0_17clamp_kernel_cudaERNS_18TensorIteratorBaseERKN3c106ScalarES8_ENKUlvE_clEvENKUlvE6_clEvEUlNS5_4HalfEE_EEvS4_RKT_EUlibE_EEviT1_
                                        ; -- End function
	.section	.AMDGPU.csdata,"",@progbits
; Kernel info:
; codeLenInByte = 13768
; NumSgprs: 62
; NumVgprs: 26
; ScratchSize: 0
; MemoryBound: 0
; FloatMode: 240
; IeeeMode: 1
; LDSByteSize: 0 bytes/workgroup (compile time only)
; SGPRBlocks: 7
; VGPRBlocks: 3
; NumSGPRsForWavesPerEU: 62
; NumVGPRsForWavesPerEU: 26
; Occupancy: 16
; WaveLimiterHint : 1
; COMPUTE_PGM_RSRC2:SCRATCH_EN: 0
; COMPUTE_PGM_RSRC2:USER_SGPR: 15
; COMPUTE_PGM_RSRC2:TRAP_HANDLER: 0
; COMPUTE_PGM_RSRC2:TGID_X_EN: 1
; COMPUTE_PGM_RSRC2:TGID_Y_EN: 0
; COMPUTE_PGM_RSRC2:TGID_Z_EN: 0
; COMPUTE_PGM_RSRC2:TIDIG_COMP_CNT: 0
	.section	.text._ZN2at6native32elementwise_kernel_manual_unrollILi128ELi4EZNS0_15gpu_kernel_implIZZZNS0_17clamp_kernel_cudaERNS_18TensorIteratorBaseERKN3c106ScalarES8_ENKUlvE_clEvENKUlvE6_clEvEUlNS5_4HalfEE_EEvS4_RKT_EUlibE_EEviT1_,"axG",@progbits,_ZN2at6native32elementwise_kernel_manual_unrollILi128ELi4EZNS0_15gpu_kernel_implIZZZNS0_17clamp_kernel_cudaERNS_18TensorIteratorBaseERKN3c106ScalarES8_ENKUlvE_clEvENKUlvE6_clEvEUlNS5_4HalfEE_EEvS4_RKT_EUlibE_EEviT1_,comdat
	.globl	_ZN2at6native32elementwise_kernel_manual_unrollILi128ELi4EZNS0_15gpu_kernel_implIZZZNS0_17clamp_kernel_cudaERNS_18TensorIteratorBaseERKN3c106ScalarES8_ENKUlvE_clEvENKUlvE6_clEvEUlNS5_4HalfEE_EEvS4_RKT_EUlibE_EEviT1_ ; -- Begin function _ZN2at6native32elementwise_kernel_manual_unrollILi128ELi4EZNS0_15gpu_kernel_implIZZZNS0_17clamp_kernel_cudaERNS_18TensorIteratorBaseERKN3c106ScalarES8_ENKUlvE_clEvENKUlvE6_clEvEUlNS5_4HalfEE_EEvS4_RKT_EUlibE_EEviT1_
	.p2align	8
	.type	_ZN2at6native32elementwise_kernel_manual_unrollILi128ELi4EZNS0_15gpu_kernel_implIZZZNS0_17clamp_kernel_cudaERNS_18TensorIteratorBaseERKN3c106ScalarES8_ENKUlvE_clEvENKUlvE6_clEvEUlNS5_4HalfEE_EEvS4_RKT_EUlibE_EEviT1_,@function
_ZN2at6native32elementwise_kernel_manual_unrollILi128ELi4EZNS0_15gpu_kernel_implIZZZNS0_17clamp_kernel_cudaERNS_18TensorIteratorBaseERKN3c106ScalarES8_ENKUlvE_clEvENKUlvE6_clEvEUlNS5_4HalfEE_EEvS4_RKT_EUlibE_EEviT1_: ; @_ZN2at6native32elementwise_kernel_manual_unrollILi128ELi4EZNS0_15gpu_kernel_implIZZZNS0_17clamp_kernel_cudaERNS_18TensorIteratorBaseERKN3c106ScalarES8_ENKUlvE_clEvENKUlvE6_clEvEUlNS5_4HalfEE_EEvS4_RKT_EUlibE_EEviT1_
; %bb.0:
	s_clause 0x1
	s_load_b256 s[4:11], s[0:1], 0x8
	s_load_b32 s13, s[0:1], 0x0
	v_lshl_or_b32 v2, s15, 9, v0
	s_mov_b32 s2, 0
	s_mov_b32 s12, 0
	s_mov_b32 s0, exec_lo
	s_delay_alu instid0(VALU_DEP_1) | instskip(SKIP_3) | instid1(VALU_DEP_2)
	v_or_b32_e32 v0, 0x180, v2
	s_waitcnt lgkmcnt(0)
	v_lshrrev_b16 v3, 8, s11
	s_lshr_b32 s1, s10, 16
	v_cmpx_le_i32_e64 s13, v0
	s_xor_b32 s3, exec_lo, s0
	s_cbranch_execz .LBB336_1033
; %bb.1:
	s_mov_b32 s18, -1
	s_mov_b32 s16, 0
	s_mov_b32 s14, 0
	s_mov_b32 s15, exec_lo
	v_cmpx_gt_i32_e64 s13, v2
	s_cbranch_execz .LBB336_252
; %bb.2:
	v_mul_lo_u32 v0, v2, s9
	v_cmp_gt_i16_e32 vcc_lo, 11, v3
	s_delay_alu instid0(VALU_DEP_2) | instskip(SKIP_1) | instid1(VALU_DEP_1)
	v_ashrrev_i32_e32 v1, 31, v0
	v_add_co_u32 v0, s0, s6, v0
	v_add_co_ci_u32_e64 v1, s0, s7, v1, s0
	s_cbranch_vccnz .LBB336_9
; %bb.3:
	v_cmp_lt_i16_e32 vcc_lo, 25, v3
	s_cbranch_vccz .LBB336_18
; %bb.4:
	v_cmp_lt_i16_e32 vcc_lo, 28, v3
	s_cbranch_vccz .LBB336_21
; %bb.5:
	v_cmp_lt_i16_e32 vcc_lo, 43, v3
	s_cbranch_vccz .LBB336_23
; %bb.6:
	v_cmp_lt_i16_e32 vcc_lo, 45, v3
	s_cbranch_vccz .LBB336_25
; %bb.7:
	v_cmp_eq_u16_e32 vcc_lo, 46, v3
	s_cbranch_vccz .LBB336_27
; %bb.8:
	global_load_b32 v4, v[0:1], off
	s_mov_b32 s0, -1
	s_waitcnt vmcnt(0)
	v_lshlrev_b32_e32 v4, 16, v4
	s_delay_alu instid0(VALU_DEP_1)
	v_cvt_f16_f32_e32 v4, v4
	s_branch .LBB336_29
.LBB336_9:
	s_mov_b32 s0, 0
                                        ; implicit-def: $vgpr4
	s_cbranch_execnz .LBB336_202
.LBB336_10:
	s_and_not1_b32 vcc_lo, exec_lo, s0
	s_cbranch_vccnz .LBB336_249
.LBB336_11:
	s_waitcnt vmcnt(0)
	s_delay_alu instid0(VALU_DEP_1) | instskip(SKIP_4) | instid1(VALU_DEP_4)
	v_cmp_lt_f16_e32 vcc_lo, s10, v4
	v_mul_lo_u32 v1, v2, s8
	v_and_b32_e64 v5, 0xff, s11
	v_cmp_u_f16_e64 s0, v4, v4
	v_cndmask_b32_e32 v0, s10, v4, vcc_lo
	v_ashrrev_i32_e32 v6, 31, v1
	s_delay_alu instid0(VALU_DEP_2) | instskip(SKIP_2) | instid1(VALU_DEP_2)
	v_cmp_gt_f16_e32 vcc_lo, s1, v0
	v_cndmask_b32_e32 v0, s1, v0, vcc_lo
	v_cmp_gt_i16_e32 vcc_lo, 11, v5
	v_cndmask_b32_e64 v4, v0, v4, s0
	v_add_co_u32 v0, s0, s4, v1
	s_delay_alu instid0(VALU_DEP_1)
	v_add_co_ci_u32_e64 v1, s0, s5, v6, s0
	s_cbranch_vccnz .LBB336_19
; %bb.12:
	v_cmp_lt_i16_e32 vcc_lo, 25, v5
	s_cbranch_vccz .LBB336_22
; %bb.13:
	v_cmp_lt_i16_e32 vcc_lo, 28, v5
	s_cbranch_vccz .LBB336_24
	;; [unrolled: 3-line block ×4, first 2 shown]
; %bb.16:
	v_cmp_eq_u16_e32 vcc_lo, 46, v5
	s_mov_b32 s17, 0
	s_mov_b32 s0, -1
	s_mov_b32 s12, 0
	s_cbranch_vccz .LBB336_33
; %bb.17:
	v_cvt_f32_f16_e32 v6, v4
	v_cmp_o_f16_e32 vcc_lo, v4, v4
	s_mov_b32 s12, -1
	s_mov_b32 s0, 0
	s_delay_alu instid0(VALU_DEP_2) | instskip(NEXT) | instid1(VALU_DEP_1)
	v_bfe_u32 v7, v6, 16, 1
	v_add3_u32 v6, v6, v7, 0x7fff
	s_delay_alu instid0(VALU_DEP_1) | instskip(NEXT) | instid1(VALU_DEP_1)
	v_lshrrev_b32_e32 v6, 16, v6
	v_cndmask_b32_e32 v6, 0x7fc0, v6, vcc_lo
	global_store_b32 v[0:1], v6, off
	s_branch .LBB336_33
.LBB336_18:
	s_mov_b32 s0, 0
                                        ; implicit-def: $vgpr4
	s_cbranch_execnz .LBB336_167
	s_branch .LBB336_201
.LBB336_19:
	s_mov_b32 s0, 0
	s_mov_b32 s12, 0
	s_cbranch_execnz .LBB336_102
.LBB336_20:
	s_and_not1_b32 vcc_lo, exec_lo, s12
	s_cbranch_vccnz .LBB336_250
	s_branch .LBB336_140
.LBB336_21:
	s_mov_b32 s12, -1
	s_mov_b32 s0, 0
                                        ; implicit-def: $vgpr4
	s_branch .LBB336_148
.LBB336_22:
	s_mov_b32 s17, -1
	s_mov_b32 s0, 0
	s_mov_b32 s12, 0
	s_branch .LBB336_60
.LBB336_23:
	s_mov_b32 s12, -1
	s_mov_b32 s0, 0
                                        ; implicit-def: $vgpr4
	s_branch .LBB336_143
.LBB336_24:
	s_mov_b32 s17, -1
	s_mov_b32 s0, 0
	s_mov_b32 s12, 0
	s_branch .LBB336_43
.LBB336_25:
	s_mov_b32 s12, -1
	s_branch .LBB336_28
.LBB336_26:
	s_mov_b32 s17, -1
	s_mov_b32 s0, 0
	s_mov_b32 s12, 0
	s_branch .LBB336_39
.LBB336_27:
	s_mov_b32 s14, -1
.LBB336_28:
	s_mov_b32 s0, 0
                                        ; implicit-def: $vgpr4
.LBB336_29:
	s_and_b32 vcc_lo, exec_lo, s12
	s_cbranch_vccz .LBB336_142
; %bb.30:
	v_cmp_eq_u16_e32 vcc_lo, 44, v3
	s_cbranch_vccz .LBB336_141
; %bb.31:
	global_load_u8 v4, v[0:1], off
	s_mov_b32 s14, 0
	s_mov_b32 s0, -1
	s_waitcnt vmcnt(0)
	v_lshlrev_b32_e32 v5, 23, v4
	v_cmp_ne_u32_e32 vcc_lo, 0xff, v4
	s_delay_alu instid0(VALU_DEP_2) | instskip(NEXT) | instid1(VALU_DEP_1)
	v_cvt_f16_f32_e32 v5, v5
	v_cndmask_b32_e32 v5, 0x7e00, v5, vcc_lo
	v_cmp_ne_u32_e32 vcc_lo, 0, v4
	s_delay_alu instid0(VALU_DEP_2)
	v_cndmask_b32_e32 v4, 0, v5, vcc_lo
	s_branch .LBB336_142
.LBB336_32:
	s_mov_b32 s17, -1
	s_mov_b32 s0, 0
	s_mov_b32 s12, 0
.LBB336_33:
	s_and_b32 vcc_lo, exec_lo, s17
	s_cbranch_vccz .LBB336_38
; %bb.34:
	v_cmp_eq_u16_e32 vcc_lo, 44, v5
	s_mov_b32 s0, -1
	s_cbranch_vccz .LBB336_38
; %bb.35:
	v_cvt_f32_f16_e32 v6, v4
	v_mov_b32_e32 v7, 0xff
	s_mov_b32 s12, exec_lo
	s_delay_alu instid0(VALU_DEP_2) | instskip(NEXT) | instid1(VALU_DEP_1)
	v_bfe_u32 v8, v6, 23, 8
	v_cmpx_ne_u32_e32 0xff, v8
; %bb.36:
	v_and_b32_e32 v7, 0x400000, v6
	v_and_or_b32 v8, 0x3fffff, v6, v8
	v_lshrrev_b32_e32 v6, 23, v6
	s_delay_alu instid0(VALU_DEP_3) | instskip(NEXT) | instid1(VALU_DEP_3)
	v_cmp_ne_u32_e32 vcc_lo, 0, v7
	v_cmp_ne_u32_e64 s0, 0, v8
	s_delay_alu instid0(VALU_DEP_1) | instskip(NEXT) | instid1(SALU_CYCLE_1)
	s_and_b32 s0, vcc_lo, s0
	v_cndmask_b32_e64 v7, 0, 1, s0
	s_delay_alu instid0(VALU_DEP_1)
	v_add_nc_u32_e32 v7, v6, v7
; %bb.37:
	s_or_b32 exec_lo, exec_lo, s12
	s_mov_b32 s12, -1
	s_mov_b32 s0, 0
	global_store_b8 v[0:1], v7, off
.LBB336_38:
	s_mov_b32 s17, 0
.LBB336_39:
	s_delay_alu instid0(SALU_CYCLE_1)
	s_and_b32 vcc_lo, exec_lo, s17
	s_cbranch_vccz .LBB336_42
; %bb.40:
	v_cmp_eq_u16_e32 vcc_lo, 29, v5
	s_mov_b32 s0, -1
	s_cbranch_vccz .LBB336_42
; %bb.41:
	v_cvt_f32_f16_e32 v6, v4
	v_mov_b32_e32 v7, 0
	s_mov_b32 s0, 0
	s_mov_b32 s12, -1
	s_mov_b32 s17, 0
	v_cvt_u32_f32_e32 v6, v6
	global_store_b64 v[0:1], v[6:7], off
	s_branch .LBB336_43
.LBB336_42:
	s_mov_b32 s17, 0
.LBB336_43:
	s_delay_alu instid0(SALU_CYCLE_1)
	s_and_b32 vcc_lo, exec_lo, s17
	s_cbranch_vccz .LBB336_59
; %bb.44:
	v_cmp_gt_i16_e32 vcc_lo, 27, v5
	s_mov_b32 s12, -1
	s_cbranch_vccnz .LBB336_50
; %bb.45:
	v_cmp_lt_i16_e32 vcc_lo, 27, v5
	s_cbranch_vccz .LBB336_47
; %bb.46:
	v_cvt_f32_f16_e32 v6, v4
	s_mov_b32 s12, 0
	s_delay_alu instid0(VALU_DEP_1)
	v_cvt_u32_f32_e32 v6, v6
	global_store_b32 v[0:1], v6, off
.LBB336_47:
	s_and_not1_b32 vcc_lo, exec_lo, s12
	s_cbranch_vccnz .LBB336_49
; %bb.48:
	v_cvt_u16_f16_e32 v6, v4
	global_store_b16 v[0:1], v6, off
.LBB336_49:
	s_mov_b32 s12, 0
.LBB336_50:
	s_delay_alu instid0(SALU_CYCLE_1)
	s_and_not1_b32 vcc_lo, exec_lo, s12
	s_cbranch_vccnz .LBB336_58
; %bb.51:
	v_cvt_f32_f16_e32 v6, v4
	v_mov_b32_e32 v8, 0x80
	s_mov_b32 s12, exec_lo
	s_delay_alu instid0(VALU_DEP_2) | instskip(NEXT) | instid1(VALU_DEP_1)
	v_and_b32_e32 v7, 0x7fffffff, v6
	v_cmpx_gt_u32_e32 0x43800000, v7
	s_cbranch_execz .LBB336_57
; %bb.52:
	v_cmp_lt_u32_e32 vcc_lo, 0x3bffffff, v7
	s_mov_b32 s17, 0
                                        ; implicit-def: $vgpr7
	s_and_saveexec_b32 s18, vcc_lo
	s_delay_alu instid0(SALU_CYCLE_1)
	s_xor_b32 s18, exec_lo, s18
	s_cbranch_execz .LBB336_276
; %bb.53:
	v_bfe_u32 v7, v6, 20, 1
	s_mov_b32 s17, exec_lo
	s_delay_alu instid0(VALU_DEP_1) | instskip(NEXT) | instid1(VALU_DEP_1)
	v_add3_u32 v7, v6, v7, 0x487ffff
	v_lshrrev_b32_e32 v7, 20, v7
	s_or_saveexec_b32 s18, s18
                                        ; implicit-def: $sgpr19
	s_delay_alu instid0(SALU_CYCLE_1)
	s_xor_b32 exec_lo, exec_lo, s18
	s_cbranch_execnz .LBB336_277
.LBB336_54:
	s_or_b32 exec_lo, exec_lo, s18
	v_mov_b32_e32 v8, s19
	s_and_saveexec_b32 s18, s17
.LBB336_55:
	v_lshrrev_b32_e32 v6, 24, v6
	s_delay_alu instid0(VALU_DEP_1)
	v_and_or_b32 v8, 0x80, v6, v7
.LBB336_56:
	s_or_b32 exec_lo, exec_lo, s18
.LBB336_57:
	s_delay_alu instid0(SALU_CYCLE_1)
	s_or_b32 exec_lo, exec_lo, s12
	global_store_b8 v[0:1], v8, off
.LBB336_58:
	s_mov_b32 s12, -1
.LBB336_59:
	s_mov_b32 s17, 0
.LBB336_60:
	s_delay_alu instid0(SALU_CYCLE_1)
	s_and_b32 vcc_lo, exec_lo, s17
	s_cbranch_vccz .LBB336_101
; %bb.61:
	v_cmp_lt_i16_e32 vcc_lo, 22, v5
	s_mov_b32 s17, -1
	s_cbranch_vccz .LBB336_93
; %bb.62:
	v_cmp_gt_i16_e32 vcc_lo, 24, v5
	s_mov_b32 s12, -1
	s_cbranch_vccnz .LBB336_82
; %bb.63:
	v_cmp_lt_i16_e32 vcc_lo, 24, v5
	s_cbranch_vccz .LBB336_71
; %bb.64:
	v_cvt_f32_f16_e32 v6, v4
	v_mov_b32_e32 v8, 0x80
	s_mov_b32 s12, exec_lo
	s_delay_alu instid0(VALU_DEP_2) | instskip(NEXT) | instid1(VALU_DEP_1)
	v_and_b32_e32 v7, 0x7fffffff, v6
	v_cmpx_gt_u32_e32 0x47800000, v7
	s_cbranch_execz .LBB336_70
; %bb.65:
	v_cmp_lt_u32_e32 vcc_lo, 0x37ffffff, v7
	s_mov_b32 s17, 0
                                        ; implicit-def: $vgpr7
	s_and_saveexec_b32 s18, vcc_lo
	s_delay_alu instid0(SALU_CYCLE_1)
	s_xor_b32 s18, exec_lo, s18
	s_cbranch_execz .LBB336_280
; %bb.66:
	v_bfe_u32 v7, v6, 21, 1
	s_mov_b32 s17, exec_lo
	s_delay_alu instid0(VALU_DEP_1) | instskip(NEXT) | instid1(VALU_DEP_1)
	v_add3_u32 v7, v6, v7, 0x88fffff
	v_lshrrev_b32_e32 v7, 21, v7
	s_or_saveexec_b32 s18, s18
                                        ; implicit-def: $sgpr19
	s_delay_alu instid0(SALU_CYCLE_1)
	s_xor_b32 exec_lo, exec_lo, s18
	s_cbranch_execnz .LBB336_281
.LBB336_67:
	s_or_b32 exec_lo, exec_lo, s18
	v_mov_b32_e32 v8, s19
	s_and_saveexec_b32 s18, s17
.LBB336_68:
	v_lshrrev_b32_e32 v6, 24, v6
	s_delay_alu instid0(VALU_DEP_1)
	v_and_or_b32 v8, 0x80, v6, v7
.LBB336_69:
	s_or_b32 exec_lo, exec_lo, s18
.LBB336_70:
	s_delay_alu instid0(SALU_CYCLE_1)
	s_or_b32 exec_lo, exec_lo, s12
	s_mov_b32 s12, 0
	global_store_b8 v[0:1], v8, off
.LBB336_71:
	s_and_b32 vcc_lo, exec_lo, s12
	s_cbranch_vccz .LBB336_81
; %bb.72:
	v_cvt_f32_f16_e32 v6, v4
	s_mov_b32 s12, exec_lo
                                        ; implicit-def: $vgpr7
	s_delay_alu instid0(VALU_DEP_1) | instskip(NEXT) | instid1(VALU_DEP_1)
	v_and_b32_e32 v8, 0x7fffffff, v6
	v_cmpx_gt_u32_e32 0x43f00000, v8
	s_xor_b32 s12, exec_lo, s12
	s_cbranch_execz .LBB336_78
; %bb.73:
	s_mov_b32 s17, exec_lo
                                        ; implicit-def: $vgpr7
	v_cmpx_lt_u32_e32 0x3c7fffff, v8
	s_xor_b32 s17, exec_lo, s17
; %bb.74:
	v_bfe_u32 v7, v6, 20, 1
	s_delay_alu instid0(VALU_DEP_1) | instskip(NEXT) | instid1(VALU_DEP_1)
	v_add3_u32 v7, v6, v7, 0x407ffff
	v_and_b32_e32 v8, 0xff00000, v7
	v_lshrrev_b32_e32 v7, 20, v7
	s_delay_alu instid0(VALU_DEP_2) | instskip(NEXT) | instid1(VALU_DEP_2)
	v_cmp_ne_u32_e32 vcc_lo, 0x7f00000, v8
	v_cndmask_b32_e32 v7, 0x7e, v7, vcc_lo
; %bb.75:
	s_and_not1_saveexec_b32 s17, s17
; %bb.76:
	v_add_f32_e64 v7, 0x46800000, |v6|
; %bb.77:
	s_or_b32 exec_lo, exec_lo, s17
                                        ; implicit-def: $vgpr8
.LBB336_78:
	s_and_not1_saveexec_b32 s12, s12
; %bb.79:
	v_mov_b32_e32 v7, 0x7f
	v_cmp_lt_u32_e32 vcc_lo, 0x7f800000, v8
	s_delay_alu instid0(VALU_DEP_2)
	v_cndmask_b32_e32 v7, 0x7e, v7, vcc_lo
; %bb.80:
	s_or_b32 exec_lo, exec_lo, s12
	v_lshrrev_b32_e32 v6, 24, v6
	s_delay_alu instid0(VALU_DEP_1)
	v_and_or_b32 v6, 0x80, v6, v7
	global_store_b8 v[0:1], v6, off
.LBB336_81:
	s_mov_b32 s12, 0
.LBB336_82:
	s_delay_alu instid0(SALU_CYCLE_1)
	s_and_not1_b32 vcc_lo, exec_lo, s12
	s_cbranch_vccnz .LBB336_92
; %bb.83:
	v_cvt_f32_f16_e32 v6, v4
	s_mov_b32 s12, exec_lo
                                        ; implicit-def: $vgpr7
	s_delay_alu instid0(VALU_DEP_1) | instskip(NEXT) | instid1(VALU_DEP_1)
	v_and_b32_e32 v8, 0x7fffffff, v6
	v_cmpx_gt_u32_e32 0x47800000, v8
	s_xor_b32 s12, exec_lo, s12
	s_cbranch_execz .LBB336_89
; %bb.84:
	s_mov_b32 s17, exec_lo
                                        ; implicit-def: $vgpr7
	v_cmpx_lt_u32_e32 0x387fffff, v8
	s_xor_b32 s17, exec_lo, s17
; %bb.85:
	v_bfe_u32 v7, v6, 21, 1
	s_delay_alu instid0(VALU_DEP_1) | instskip(NEXT) | instid1(VALU_DEP_1)
	v_add3_u32 v7, v6, v7, 0x80fffff
	v_lshrrev_b32_e32 v7, 21, v7
; %bb.86:
	s_and_not1_saveexec_b32 s17, s17
; %bb.87:
	v_add_f32_e64 v7, 0x43000000, |v6|
; %bb.88:
	s_or_b32 exec_lo, exec_lo, s17
                                        ; implicit-def: $vgpr8
.LBB336_89:
	s_and_not1_saveexec_b32 s12, s12
; %bb.90:
	v_mov_b32_e32 v7, 0x7f
	v_cmp_lt_u32_e32 vcc_lo, 0x7f800000, v8
	s_delay_alu instid0(VALU_DEP_2)
	v_cndmask_b32_e32 v7, 0x7c, v7, vcc_lo
; %bb.91:
	s_or_b32 exec_lo, exec_lo, s12
	v_lshrrev_b32_e32 v6, 24, v6
	s_delay_alu instid0(VALU_DEP_1)
	v_and_or_b32 v6, 0x80, v6, v7
	global_store_b8 v[0:1], v6, off
.LBB336_92:
	s_mov_b32 s17, 0
	s_mov_b32 s12, -1
.LBB336_93:
	s_and_not1_b32 vcc_lo, exec_lo, s17
	s_cbranch_vccnz .LBB336_101
; %bb.94:
	v_cmp_lt_i16_e32 vcc_lo, 14, v5
	s_mov_b32 s17, -1
	s_cbranch_vccz .LBB336_98
; %bb.95:
	v_cmp_eq_u16_e32 vcc_lo, 15, v5
	s_mov_b32 s0, -1
	s_cbranch_vccz .LBB336_97
; %bb.96:
	v_cvt_f32_f16_e32 v6, v4
	v_cmp_o_f16_e32 vcc_lo, v4, v4
	s_mov_b32 s12, -1
	s_mov_b32 s0, 0
	s_delay_alu instid0(VALU_DEP_2) | instskip(NEXT) | instid1(VALU_DEP_1)
	v_bfe_u32 v7, v6, 16, 1
	v_add3_u32 v6, v6, v7, 0x7fff
	s_delay_alu instid0(VALU_DEP_1) | instskip(NEXT) | instid1(VALU_DEP_1)
	v_lshrrev_b32_e32 v6, 16, v6
	v_cndmask_b32_e32 v6, 0x7fc0, v6, vcc_lo
	global_store_b16 v[0:1], v6, off
.LBB336_97:
	s_mov_b32 s17, 0
.LBB336_98:
	s_delay_alu instid0(SALU_CYCLE_1)
	s_and_b32 vcc_lo, exec_lo, s17
	s_cbranch_vccz .LBB336_101
; %bb.99:
	v_cmp_eq_u16_e32 vcc_lo, 11, v5
	s_mov_b32 s0, -1
	s_cbranch_vccz .LBB336_101
; %bb.100:
	v_and_b32_e32 v6, 0x7fff, v4
	s_mov_b32 s0, 0
	s_mov_b32 s12, -1
	s_delay_alu instid0(VALU_DEP_1)
	v_cmp_ne_u16_e32 vcc_lo, 0, v6
	v_cndmask_b32_e64 v6, 0, 1, vcc_lo
	global_store_b8 v[0:1], v6, off
.LBB336_101:
	s_branch .LBB336_20
.LBB336_102:
	v_cmp_gt_i16_e32 vcc_lo, 5, v5
	s_mov_b32 s12, -1
	s_cbranch_vccnz .LBB336_123
; %bb.103:
	v_cmp_gt_i16_e32 vcc_lo, 8, v5
	s_cbranch_vccnz .LBB336_113
; %bb.104:
	v_cmp_gt_i16_e32 vcc_lo, 9, v5
	s_cbranch_vccnz .LBB336_110
; %bb.105:
	v_cmp_lt_i16_e32 vcc_lo, 9, v5
	s_cbranch_vccz .LBB336_107
; %bb.106:
	v_cvt_f32_f16_e32 v6, v4
	v_mov_b32_e32 v8, 0
	s_mov_b32 s12, 0
	s_delay_alu instid0(VALU_DEP_2) | instskip(NEXT) | instid1(VALU_DEP_2)
	v_cvt_f64_f32_e32 v[6:7], v6
	v_mov_b32_e32 v9, v8
	global_store_b128 v[0:1], v[6:9], off
.LBB336_107:
	s_and_not1_b32 vcc_lo, exec_lo, s12
	s_cbranch_vccnz .LBB336_109
; %bb.108:
	v_cvt_f32_f16_e32 v6, v4
	v_mov_b32_e32 v7, 0
	global_store_b64 v[0:1], v[6:7], off
.LBB336_109:
	s_mov_b32 s12, 0
.LBB336_110:
	s_delay_alu instid0(SALU_CYCLE_1)
	s_and_not1_b32 vcc_lo, exec_lo, s12
	s_cbranch_vccnz .LBB336_112
; %bb.111:
	v_and_b32_e32 v6, 0xffff, v4
	global_store_b32 v[0:1], v6, off
.LBB336_112:
	s_mov_b32 s12, 0
.LBB336_113:
	s_delay_alu instid0(SALU_CYCLE_1)
	s_and_not1_b32 vcc_lo, exec_lo, s12
	s_cbranch_vccnz .LBB336_122
; %bb.114:
	v_cmp_gt_i16_e32 vcc_lo, 6, v5
	s_mov_b32 s12, -1
	s_cbranch_vccnz .LBB336_120
; %bb.115:
	v_cmp_lt_i16_e32 vcc_lo, 6, v5
	s_cbranch_vccz .LBB336_117
; %bb.116:
	v_cvt_f32_f16_e32 v6, v4
	s_mov_b32 s12, 0
	s_delay_alu instid0(VALU_DEP_1)
	v_cvt_f64_f32_e32 v[6:7], v6
	global_store_b64 v[0:1], v[6:7], off
.LBB336_117:
	s_and_not1_b32 vcc_lo, exec_lo, s12
	s_cbranch_vccnz .LBB336_119
; %bb.118:
	v_cvt_f32_f16_e32 v6, v4
	global_store_b32 v[0:1], v6, off
.LBB336_119:
	s_mov_b32 s12, 0
.LBB336_120:
	s_delay_alu instid0(SALU_CYCLE_1)
	s_and_not1_b32 vcc_lo, exec_lo, s12
	s_cbranch_vccnz .LBB336_122
; %bb.121:
	global_store_b16 v[0:1], v4, off
.LBB336_122:
	s_mov_b32 s12, 0
.LBB336_123:
	s_delay_alu instid0(SALU_CYCLE_1)
	s_and_not1_b32 vcc_lo, exec_lo, s12
	s_cbranch_vccnz .LBB336_139
; %bb.124:
	v_cmp_gt_i16_e32 vcc_lo, 2, v5
	s_mov_b32 s12, -1
	s_cbranch_vccnz .LBB336_134
; %bb.125:
	v_cmp_gt_i16_e32 vcc_lo, 3, v5
	s_cbranch_vccnz .LBB336_131
; %bb.126:
	v_cmp_lt_i16_e32 vcc_lo, 3, v5
	s_cbranch_vccz .LBB336_128
; %bb.127:
	v_cvt_f32_f16_e32 v6, v4
	s_mov_b32 s12, 0
	s_delay_alu instid0(VALU_DEP_1) | instskip(NEXT) | instid1(VALU_DEP_1)
	v_cvt_i32_f32_e32 v6, v6
	v_ashrrev_i32_e32 v7, 31, v6
	global_store_b64 v[0:1], v[6:7], off
.LBB336_128:
	s_and_not1_b32 vcc_lo, exec_lo, s12
	s_cbranch_vccnz .LBB336_130
; %bb.129:
	v_cvt_f32_f16_e32 v6, v4
	s_delay_alu instid0(VALU_DEP_1)
	v_cvt_i32_f32_e32 v6, v6
	global_store_b32 v[0:1], v6, off
.LBB336_130:
	s_mov_b32 s12, 0
.LBB336_131:
	s_delay_alu instid0(SALU_CYCLE_1)
	s_and_not1_b32 vcc_lo, exec_lo, s12
	s_cbranch_vccnz .LBB336_133
; %bb.132:
	v_cvt_i16_f16_e32 v6, v4
	global_store_b16 v[0:1], v6, off
.LBB336_133:
	s_mov_b32 s12, 0
.LBB336_134:
	s_delay_alu instid0(SALU_CYCLE_1)
	s_and_not1_b32 vcc_lo, exec_lo, s12
	s_cbranch_vccnz .LBB336_139
; %bb.135:
	v_cmp_lt_i16_e32 vcc_lo, 0, v5
	s_mov_b32 s12, -1
	s_cbranch_vccz .LBB336_137
; %bb.136:
	v_cvt_i16_f16_e32 v5, v4
	s_mov_b32 s12, 0
	global_store_b8 v[0:1], v5, off
.LBB336_137:
	s_and_not1_b32 vcc_lo, exec_lo, s12
	s_cbranch_vccnz .LBB336_139
; %bb.138:
	v_cvt_f32_f16_e32 v4, v4
	s_delay_alu instid0(VALU_DEP_1)
	v_cvt_i32_f32_e32 v4, v4
	global_store_b8 v[0:1], v4, off
.LBB336_139:
.LBB336_140:
	v_add_nc_u32_e32 v2, 0x80, v2
	s_mov_b32 s17, -1
	s_branch .LBB336_251
.LBB336_141:
	s_mov_b32 s14, -1
                                        ; implicit-def: $vgpr4
.LBB336_142:
	s_mov_b32 s12, 0
.LBB336_143:
	s_delay_alu instid0(SALU_CYCLE_1)
	s_and_b32 vcc_lo, exec_lo, s12
	s_cbranch_vccz .LBB336_147
; %bb.144:
	v_cmp_eq_u16_e32 vcc_lo, 29, v3
	s_cbranch_vccz .LBB336_146
; %bb.145:
	global_load_b64 v[4:5], v[0:1], off
	s_mov_b32 s0, -1
	s_mov_b32 s14, 0
	s_mov_b32 s12, 0
	s_waitcnt vmcnt(0)
	v_clz_i32_u32_e32 v6, v5
	s_delay_alu instid0(VALU_DEP_1) | instskip(NEXT) | instid1(VALU_DEP_1)
	v_min_u32_e32 v6, 32, v6
	v_lshlrev_b64 v[4:5], v6, v[4:5]
	s_delay_alu instid0(VALU_DEP_1) | instskip(NEXT) | instid1(VALU_DEP_1)
	v_min_u32_e32 v4, 1, v4
	v_or_b32_e32 v4, v5, v4
	v_sub_nc_u32_e32 v5, 32, v6
	s_delay_alu instid0(VALU_DEP_2) | instskip(NEXT) | instid1(VALU_DEP_1)
	v_cvt_f32_u32_e32 v4, v4
	v_ldexp_f32 v4, v4, v5
	s_delay_alu instid0(VALU_DEP_1)
	v_cvt_f16_f32_e32 v4, v4
	s_branch .LBB336_148
.LBB336_146:
	s_mov_b32 s14, -1
                                        ; implicit-def: $vgpr4
.LBB336_147:
	s_mov_b32 s12, 0
.LBB336_148:
	s_delay_alu instid0(SALU_CYCLE_1)
	s_and_b32 vcc_lo, exec_lo, s12
	s_cbranch_vccz .LBB336_166
; %bb.149:
	v_cmp_gt_i16_e32 vcc_lo, 27, v3
	s_cbranch_vccnz .LBB336_152
; %bb.150:
	v_cmp_lt_i16_e32 vcc_lo, 27, v3
	s_cbranch_vccz .LBB336_153
; %bb.151:
	global_load_b32 v4, v[0:1], off
	s_mov_b32 s0, 0
	s_waitcnt vmcnt(0)
	v_cvt_f32_u32_e32 v4, v4
	s_delay_alu instid0(VALU_DEP_1)
	v_cvt_f16_f32_e32 v4, v4
	s_branch .LBB336_154
.LBB336_152:
	s_mov_b32 s0, -1
                                        ; implicit-def: $vgpr4
	s_branch .LBB336_157
.LBB336_153:
	s_mov_b32 s0, -1
                                        ; implicit-def: $vgpr4
.LBB336_154:
	s_delay_alu instid0(SALU_CYCLE_1)
	s_and_not1_b32 vcc_lo, exec_lo, s0
	s_cbranch_vccnz .LBB336_156
; %bb.155:
	global_load_u16 v4, v[0:1], off
	s_waitcnt vmcnt(0)
	v_cvt_f16_u16_e32 v4, v4
.LBB336_156:
	s_mov_b32 s0, 0
.LBB336_157:
	s_delay_alu instid0(SALU_CYCLE_1)
	s_and_not1_b32 vcc_lo, exec_lo, s0
	s_cbranch_vccnz .LBB336_165
; %bb.158:
	global_load_u8 v5, v[0:1], off
	s_mov_b32 s0, 0
	s_mov_b32 s17, exec_lo
                                        ; implicit-def: $sgpr12
	s_waitcnt vmcnt(0)
	v_cmpx_lt_i16_e32 0x7f, v5
	s_xor_b32 s17, exec_lo, s17
	s_cbranch_execz .LBB336_178
; %bb.159:
	s_mov_b32 s0, -1
	s_mov_b32 s18, exec_lo
                                        ; implicit-def: $sgpr12
	v_cmpx_eq_u16_e32 0x80, v5
; %bb.160:
	s_movk_i32 s12, 0x7e00
	s_xor_b32 s0, exec_lo, -1
; %bb.161:
	s_or_b32 exec_lo, exec_lo, s18
	s_delay_alu instid0(SALU_CYCLE_1)
	s_and_b32 s0, s0, exec_lo
	s_or_saveexec_b32 s17, s17
	v_mov_b32_e32 v4, s12
	s_xor_b32 exec_lo, exec_lo, s17
	s_cbranch_execnz .LBB336_179
.LBB336_162:
	s_or_b32 exec_lo, exec_lo, s17
	s_and_saveexec_b32 s12, s0
	s_cbranch_execz .LBB336_164
.LBB336_163:
	v_and_b32_e32 v4, 0xffff, v5
	s_delay_alu instid0(VALU_DEP_1) | instskip(NEXT) | instid1(VALU_DEP_1)
	v_and_b32_e32 v6, 7, v4
	v_clz_i32_u32_e32 v7, v6
	s_delay_alu instid0(VALU_DEP_1) | instskip(NEXT) | instid1(VALU_DEP_1)
	v_min_u32_e32 v7, 32, v7
	v_subrev_nc_u32_e32 v8, 28, v7
	v_sub_nc_u32_e32 v7, 29, v7
	s_delay_alu instid0(VALU_DEP_2) | instskip(SKIP_1) | instid1(VALU_DEP_2)
	v_lshlrev_b32_e32 v8, v8, v4
	v_bfe_u32 v4, v4, 3, 4
	v_and_b32_e32 v8, 7, v8
	s_delay_alu instid0(VALU_DEP_2) | instskip(SKIP_1) | instid1(VALU_DEP_1)
	v_cmp_eq_u32_e32 vcc_lo, 0, v4
	v_dual_cndmask_b32 v4, v4, v7 :: v_dual_lshlrev_b32 v5, 24, v5
	v_dual_cndmask_b32 v6, v6, v8 :: v_dual_and_b32 v5, 0x80000000, v5
	s_delay_alu instid0(VALU_DEP_2) | instskip(NEXT) | instid1(VALU_DEP_2)
	v_lshl_add_u32 v4, v4, 23, 0x3b800000
	v_lshlrev_b32_e32 v6, 20, v6
	s_delay_alu instid0(VALU_DEP_1) | instskip(NEXT) | instid1(VALU_DEP_1)
	v_or3_b32 v4, v5, v4, v6
	v_cvt_f16_f32_e32 v4, v4
.LBB336_164:
	s_or_b32 exec_lo, exec_lo, s12
.LBB336_165:
	s_mov_b32 s0, -1
.LBB336_166:
	s_branch .LBB336_201
.LBB336_167:
	v_cmp_lt_i16_e32 vcc_lo, 22, v3
	s_cbranch_vccz .LBB336_177
; %bb.168:
	v_cmp_gt_i16_e32 vcc_lo, 24, v3
	s_cbranch_vccnz .LBB336_180
; %bb.169:
	v_cmp_lt_i16_e32 vcc_lo, 24, v3
	s_cbranch_vccz .LBB336_181
; %bb.170:
	global_load_u8 v5, v[0:1], off
	s_mov_b32 s0, 0
	s_mov_b32 s17, exec_lo
                                        ; implicit-def: $sgpr12
	s_waitcnt vmcnt(0)
	v_cmpx_lt_i16_e32 0x7f, v5
	s_xor_b32 s17, exec_lo, s17
	s_cbranch_execz .LBB336_193
; %bb.171:
	s_mov_b32 s0, -1
	s_mov_b32 s18, exec_lo
                                        ; implicit-def: $sgpr12
	v_cmpx_eq_u16_e32 0x80, v5
; %bb.172:
	s_movk_i32 s12, 0x7e00
	s_xor_b32 s0, exec_lo, -1
; %bb.173:
	s_or_b32 exec_lo, exec_lo, s18
	s_delay_alu instid0(SALU_CYCLE_1)
	s_and_b32 s0, s0, exec_lo
	s_or_saveexec_b32 s17, s17
	v_mov_b32_e32 v4, s12
	s_xor_b32 exec_lo, exec_lo, s17
	s_cbranch_execnz .LBB336_194
.LBB336_174:
	s_or_b32 exec_lo, exec_lo, s17
	s_and_saveexec_b32 s12, s0
	s_cbranch_execz .LBB336_176
.LBB336_175:
	v_and_b32_e32 v4, 0xffff, v5
	s_delay_alu instid0(VALU_DEP_1) | instskip(NEXT) | instid1(VALU_DEP_1)
	v_and_b32_e32 v6, 3, v4
	v_clz_i32_u32_e32 v7, v6
	s_delay_alu instid0(VALU_DEP_1) | instskip(NEXT) | instid1(VALU_DEP_1)
	v_min_u32_e32 v7, 32, v7
	v_subrev_nc_u32_e32 v8, 29, v7
	v_sub_nc_u32_e32 v7, 30, v7
	s_delay_alu instid0(VALU_DEP_2) | instskip(SKIP_1) | instid1(VALU_DEP_2)
	v_lshlrev_b32_e32 v8, v8, v4
	v_bfe_u32 v4, v4, 2, 5
	v_and_b32_e32 v8, 3, v8
	s_delay_alu instid0(VALU_DEP_2) | instskip(SKIP_1) | instid1(VALU_DEP_1)
	v_cmp_eq_u32_e32 vcc_lo, 0, v4
	v_dual_cndmask_b32 v4, v4, v7 :: v_dual_lshlrev_b32 v5, 24, v5
	v_dual_cndmask_b32 v6, v6, v8 :: v_dual_and_b32 v5, 0x80000000, v5
	s_delay_alu instid0(VALU_DEP_2) | instskip(NEXT) | instid1(VALU_DEP_2)
	v_lshl_add_u32 v4, v4, 23, 0x37800000
	v_lshlrev_b32_e32 v6, 21, v6
	s_delay_alu instid0(VALU_DEP_1) | instskip(NEXT) | instid1(VALU_DEP_1)
	v_or3_b32 v4, v5, v4, v6
	v_cvt_f16_f32_e32 v4, v4
.LBB336_176:
	s_or_b32 exec_lo, exec_lo, s12
	s_mov_b32 s0, 0
	s_branch .LBB336_182
.LBB336_177:
	s_mov_b32 s12, -1
                                        ; implicit-def: $vgpr4
	s_branch .LBB336_188
.LBB336_178:
	s_or_saveexec_b32 s17, s17
	v_mov_b32_e32 v4, s12
	s_xor_b32 exec_lo, exec_lo, s17
	s_cbranch_execz .LBB336_162
.LBB336_179:
	v_cmp_ne_u16_e32 vcc_lo, 0, v5
	v_mov_b32_e32 v4, v5
	s_and_not1_b32 s0, s0, exec_lo
	s_and_b32 s12, vcc_lo, exec_lo
	s_delay_alu instid0(SALU_CYCLE_1)
	s_or_b32 s0, s0, s12
	s_or_b32 exec_lo, exec_lo, s17
	s_and_saveexec_b32 s12, s0
	s_cbranch_execnz .LBB336_163
	s_branch .LBB336_164
.LBB336_180:
	s_mov_b32 s0, -1
                                        ; implicit-def: $vgpr4
	s_branch .LBB336_185
.LBB336_181:
	s_mov_b32 s0, -1
                                        ; implicit-def: $vgpr4
.LBB336_182:
	s_delay_alu instid0(SALU_CYCLE_1)
	s_and_b32 vcc_lo, exec_lo, s0
	s_cbranch_vccz .LBB336_184
; %bb.183:
	global_load_u8 v4, v[0:1], off
	s_waitcnt vmcnt(0)
	v_lshlrev_b32_e32 v4, 24, v4
	s_delay_alu instid0(VALU_DEP_1) | instskip(NEXT) | instid1(VALU_DEP_1)
	v_and_b32_e32 v5, 0x7f000000, v4
	v_clz_i32_u32_e32 v6, v5
	v_add_nc_u32_e32 v8, 0x1000000, v5
	v_cmp_ne_u32_e32 vcc_lo, 0, v5
	s_delay_alu instid0(VALU_DEP_3) | instskip(NEXT) | instid1(VALU_DEP_1)
	v_min_u32_e32 v6, 32, v6
	v_sub_nc_u32_e64 v6, v6, 4 clamp
	s_delay_alu instid0(VALU_DEP_1) | instskip(SKIP_1) | instid1(VALU_DEP_2)
	v_lshlrev_b32_e32 v7, v6, v5
	v_lshlrev_b32_e32 v6, 23, v6
	v_lshrrev_b32_e32 v7, 4, v7
	s_delay_alu instid0(VALU_DEP_1) | instskip(SKIP_1) | instid1(VALU_DEP_2)
	v_sub_nc_u32_e32 v6, v7, v6
	v_ashrrev_i32_e32 v7, 8, v8
	v_add_nc_u32_e32 v6, 0x3c000000, v6
	s_delay_alu instid0(VALU_DEP_1) | instskip(NEXT) | instid1(VALU_DEP_1)
	v_and_or_b32 v6, 0x7f800000, v7, v6
	v_cndmask_b32_e32 v5, 0, v6, vcc_lo
	s_delay_alu instid0(VALU_DEP_1) | instskip(NEXT) | instid1(VALU_DEP_1)
	v_and_or_b32 v4, 0x80000000, v4, v5
	v_cvt_f16_f32_e32 v4, v4
.LBB336_184:
	s_mov_b32 s0, 0
.LBB336_185:
	s_delay_alu instid0(SALU_CYCLE_1)
	s_and_not1_b32 vcc_lo, exec_lo, s0
	s_cbranch_vccnz .LBB336_187
; %bb.186:
	global_load_u8 v4, v[0:1], off
	s_waitcnt vmcnt(0)
	v_lshlrev_b32_e32 v5, 25, v4
	v_lshlrev_b16 v4, 8, v4
	s_delay_alu instid0(VALU_DEP_2) | instskip(NEXT) | instid1(VALU_DEP_2)
	v_lshrrev_b32_e32 v6, 4, v5
	v_and_or_b32 v7, 0x7f00, v4, 0.5
	v_bfe_i32 v4, v4, 0, 16
	s_delay_alu instid0(VALU_DEP_3) | instskip(NEXT) | instid1(VALU_DEP_1)
	v_or_b32_e32 v6, 0x70000000, v6
	v_dual_add_f32 v7, -0.5, v7 :: v_dual_mul_f32 v6, 0x7800000, v6
	v_cmp_gt_u32_e32 vcc_lo, 0x8000000, v5
	s_delay_alu instid0(VALU_DEP_2) | instskip(NEXT) | instid1(VALU_DEP_1)
	v_cndmask_b32_e32 v5, v6, v7, vcc_lo
	v_and_or_b32 v4, 0x80000000, v4, v5
	s_delay_alu instid0(VALU_DEP_1)
	v_cvt_f16_f32_e32 v4, v4
.LBB336_187:
	s_mov_b32 s12, 0
	s_mov_b32 s0, -1
.LBB336_188:
	s_and_not1_b32 vcc_lo, exec_lo, s12
	s_cbranch_vccnz .LBB336_201
; %bb.189:
	v_cmp_lt_i16_e32 vcc_lo, 14, v3
	s_cbranch_vccz .LBB336_192
; %bb.190:
	v_cmp_eq_u16_e32 vcc_lo, 15, v3
	s_cbranch_vccz .LBB336_195
; %bb.191:
	global_load_u16 v4, v[0:1], off
	s_mov_b32 s0, -1
	s_mov_b32 s14, 0
	s_waitcnt vmcnt(0)
	v_lshlrev_b32_e32 v4, 16, v4
	s_delay_alu instid0(VALU_DEP_1)
	v_cvt_f16_f32_e32 v4, v4
	s_branch .LBB336_196
.LBB336_192:
	s_mov_b32 s12, -1
                                        ; implicit-def: $vgpr4
	s_branch .LBB336_197
.LBB336_193:
	s_or_saveexec_b32 s17, s17
	v_mov_b32_e32 v4, s12
	s_xor_b32 exec_lo, exec_lo, s17
	s_cbranch_execz .LBB336_174
.LBB336_194:
	v_cmp_ne_u16_e32 vcc_lo, 0, v5
	v_mov_b32_e32 v4, v5
	s_and_not1_b32 s0, s0, exec_lo
	s_and_b32 s12, vcc_lo, exec_lo
	s_delay_alu instid0(SALU_CYCLE_1)
	s_or_b32 s0, s0, s12
	s_or_b32 exec_lo, exec_lo, s17
	s_and_saveexec_b32 s12, s0
	s_cbranch_execnz .LBB336_175
	s_branch .LBB336_176
.LBB336_195:
	s_mov_b32 s14, -1
                                        ; implicit-def: $vgpr4
.LBB336_196:
	s_mov_b32 s12, 0
.LBB336_197:
	s_delay_alu instid0(SALU_CYCLE_1)
	s_and_b32 vcc_lo, exec_lo, s12
	s_cbranch_vccz .LBB336_201
; %bb.198:
	v_cmp_eq_u16_e32 vcc_lo, 11, v3
	s_cbranch_vccz .LBB336_200
; %bb.199:
	global_load_u8 v4, v[0:1], off
	s_mov_b32 s14, 0
	s_mov_b32 s0, -1
	s_waitcnt vmcnt(0)
	v_cmp_ne_u16_e32 vcc_lo, 0, v4
	v_cndmask_b32_e64 v4, 0, 0x3c00, vcc_lo
	s_branch .LBB336_201
.LBB336_200:
	s_mov_b32 s14, -1
                                        ; implicit-def: $vgpr4
.LBB336_201:
	s_branch .LBB336_10
.LBB336_202:
	v_cmp_gt_i16_e32 vcc_lo, 5, v3
	s_cbranch_vccnz .LBB336_207
; %bb.203:
	v_cmp_gt_i16_e32 vcc_lo, 8, v3
	s_cbranch_vccnz .LBB336_208
; %bb.204:
	;; [unrolled: 3-line block ×3, first 2 shown]
	v_cmp_lt_i16_e32 vcc_lo, 9, v3
	s_cbranch_vccz .LBB336_210
; %bb.206:
	global_load_b64 v[4:5], v[0:1], off
	s_mov_b32 s0, 0
	s_waitcnt vmcnt(0)
	v_cvt_f32_f64_e32 v4, v[4:5]
	s_delay_alu instid0(VALU_DEP_1)
	v_cvt_f16_f32_e32 v4, v4
	s_branch .LBB336_211
.LBB336_207:
                                        ; implicit-def: $vgpr4
	s_branch .LBB336_229
.LBB336_208:
	s_mov_b32 s0, -1
                                        ; implicit-def: $vgpr4
	s_branch .LBB336_217
.LBB336_209:
	s_mov_b32 s0, -1
                                        ; implicit-def: $vgpr4
	s_branch .LBB336_214
.LBB336_210:
	s_mov_b32 s0, -1
                                        ; implicit-def: $vgpr4
.LBB336_211:
	s_delay_alu instid0(SALU_CYCLE_1)
	s_and_not1_b32 vcc_lo, exec_lo, s0
	s_cbranch_vccnz .LBB336_213
; %bb.212:
	global_load_b32 v4, v[0:1], off
	s_waitcnt vmcnt(0)
	v_cvt_f16_f32_e32 v4, v4
.LBB336_213:
	s_mov_b32 s0, 0
.LBB336_214:
	s_delay_alu instid0(SALU_CYCLE_1)
	s_and_not1_b32 vcc_lo, exec_lo, s0
	s_cbranch_vccnz .LBB336_216
; %bb.215:
	global_load_b32 v4, v[0:1], off
.LBB336_216:
	s_mov_b32 s0, 0
.LBB336_217:
	s_delay_alu instid0(SALU_CYCLE_1)
	s_and_not1_b32 vcc_lo, exec_lo, s0
	s_cbranch_vccnz .LBB336_228
; %bb.218:
	v_cmp_gt_i16_e32 vcc_lo, 6, v3
	s_cbranch_vccnz .LBB336_221
; %bb.219:
	v_cmp_lt_i16_e32 vcc_lo, 6, v3
	s_cbranch_vccz .LBB336_222
; %bb.220:
	global_load_b64 v[4:5], v[0:1], off
	s_mov_b32 s0, 0
	s_waitcnt vmcnt(0)
	v_cvt_f32_f64_e32 v4, v[4:5]
	s_delay_alu instid0(VALU_DEP_1)
	v_cvt_f16_f32_e32 v4, v4
	s_branch .LBB336_223
.LBB336_221:
	s_mov_b32 s0, -1
                                        ; implicit-def: $vgpr4
	s_branch .LBB336_226
.LBB336_222:
	s_mov_b32 s0, -1
                                        ; implicit-def: $vgpr4
.LBB336_223:
	s_delay_alu instid0(SALU_CYCLE_1)
	s_and_not1_b32 vcc_lo, exec_lo, s0
	s_cbranch_vccnz .LBB336_225
; %bb.224:
	global_load_b32 v4, v[0:1], off
	s_waitcnt vmcnt(0)
	v_cvt_f16_f32_e32 v4, v4
.LBB336_225:
	s_mov_b32 s0, 0
.LBB336_226:
	s_delay_alu instid0(SALU_CYCLE_1)
	s_and_not1_b32 vcc_lo, exec_lo, s0
	s_cbranch_vccnz .LBB336_228
; %bb.227:
	global_load_u16 v4, v[0:1], off
.LBB336_228:
	s_cbranch_execnz .LBB336_248
.LBB336_229:
	v_cmp_gt_i16_e32 vcc_lo, 2, v3
	s_cbranch_vccnz .LBB336_233
; %bb.230:
	v_cmp_gt_i16_e32 vcc_lo, 3, v3
	s_cbranch_vccnz .LBB336_234
; %bb.231:
	v_cmp_lt_i16_e32 vcc_lo, 3, v3
	s_cbranch_vccz .LBB336_235
; %bb.232:
	global_load_b64 v[4:5], v[0:1], off
	s_mov_b32 s0, 0
	s_waitcnt vmcnt(0)
	v_xor_b32_e32 v6, v4, v5
	v_cls_i32_e32 v7, v5
	s_delay_alu instid0(VALU_DEP_2) | instskip(NEXT) | instid1(VALU_DEP_2)
	v_ashrrev_i32_e32 v6, 31, v6
	v_add_nc_u32_e32 v7, -1, v7
	s_delay_alu instid0(VALU_DEP_2) | instskip(NEXT) | instid1(VALU_DEP_1)
	v_add_nc_u32_e32 v6, 32, v6
	v_min_u32_e32 v6, v7, v6
	s_delay_alu instid0(VALU_DEP_1) | instskip(NEXT) | instid1(VALU_DEP_1)
	v_lshlrev_b64 v[4:5], v6, v[4:5]
	v_min_u32_e32 v4, 1, v4
	s_delay_alu instid0(VALU_DEP_1) | instskip(SKIP_1) | instid1(VALU_DEP_2)
	v_or_b32_e32 v4, v5, v4
	v_sub_nc_u32_e32 v5, 32, v6
	v_cvt_f32_i32_e32 v4, v4
	s_delay_alu instid0(VALU_DEP_1) | instskip(NEXT) | instid1(VALU_DEP_1)
	v_ldexp_f32 v4, v4, v5
	v_cvt_f16_f32_e32 v4, v4
	s_branch .LBB336_236
.LBB336_233:
	s_mov_b32 s0, -1
                                        ; implicit-def: $vgpr4
	s_branch .LBB336_242
.LBB336_234:
	s_mov_b32 s0, -1
                                        ; implicit-def: $vgpr4
	s_branch .LBB336_239
.LBB336_235:
	s_mov_b32 s0, -1
                                        ; implicit-def: $vgpr4
.LBB336_236:
	s_delay_alu instid0(SALU_CYCLE_1)
	s_and_not1_b32 vcc_lo, exec_lo, s0
	s_cbranch_vccnz .LBB336_238
; %bb.237:
	global_load_b32 v4, v[0:1], off
	s_waitcnt vmcnt(0)
	v_cvt_f32_i32_e32 v4, v4
	s_delay_alu instid0(VALU_DEP_1)
	v_cvt_f16_f32_e32 v4, v4
.LBB336_238:
	s_mov_b32 s0, 0
.LBB336_239:
	s_delay_alu instid0(SALU_CYCLE_1)
	s_and_not1_b32 vcc_lo, exec_lo, s0
	s_cbranch_vccnz .LBB336_241
; %bb.240:
	global_load_u16 v4, v[0:1], off
	s_waitcnt vmcnt(0)
	v_cvt_f16_i16_e32 v4, v4
.LBB336_241:
	s_mov_b32 s0, 0
.LBB336_242:
	s_delay_alu instid0(SALU_CYCLE_1)
	s_and_not1_b32 vcc_lo, exec_lo, s0
	s_cbranch_vccnz .LBB336_248
; %bb.243:
	v_cmp_lt_i16_e32 vcc_lo, 0, v3
	s_mov_b32 s0, 0
	s_cbranch_vccz .LBB336_245
; %bb.244:
	global_load_i8 v4, v[0:1], off
	s_waitcnt vmcnt(0)
	v_cvt_f16_i16_e32 v4, v4
	s_branch .LBB336_246
.LBB336_245:
	s_mov_b32 s0, -1
                                        ; implicit-def: $vgpr4
.LBB336_246:
	s_delay_alu instid0(SALU_CYCLE_1)
	s_and_not1_b32 vcc_lo, exec_lo, s0
	s_cbranch_vccnz .LBB336_248
; %bb.247:
	global_load_u8 v0, v[0:1], off
	s_waitcnt vmcnt(0)
	v_cvt_f16_u16_e32 v4, v0
.LBB336_248:
	s_branch .LBB336_11
.LBB336_249:
	s_mov_b32 s0, 0
.LBB336_250:
	s_mov_b32 s17, 0
                                        ; implicit-def: $vgpr2
.LBB336_251:
	s_and_b32 s12, s0, exec_lo
	s_and_b32 s14, s14, exec_lo
	s_or_not1_b32 s18, s17, exec_lo
.LBB336_252:
	s_or_b32 exec_lo, exec_lo, s15
	s_mov_b32 s17, 0
	s_mov_b32 s0, 0
                                        ; implicit-def: $vgpr0_vgpr1
                                        ; implicit-def: $vgpr5
	s_and_saveexec_b32 s15, s18
	s_cbranch_execz .LBB336_860
; %bb.253:
	s_mov_b32 s20, -1
	s_mov_b32 s16, s14
	s_mov_b32 s17, s12
	s_mov_b32 s18, exec_lo
	v_cmpx_gt_i32_e64 s13, v2
	s_cbranch_execz .LBB336_512
; %bb.254:
	v_mul_lo_u32 v0, v2, s9
	v_cmp_gt_i16_e32 vcc_lo, 11, v3
	s_delay_alu instid0(VALU_DEP_2) | instskip(SKIP_1) | instid1(VALU_DEP_1)
	v_ashrrev_i32_e32 v1, 31, v0
	v_add_co_u32 v0, s0, s6, v0
	v_add_co_ci_u32_e64 v1, s0, s7, v1, s0
	s_cbranch_vccnz .LBB336_261
; %bb.255:
	v_cmp_lt_i16_e32 vcc_lo, 25, v3
	s_cbranch_vccz .LBB336_270
; %bb.256:
	v_cmp_lt_i16_e32 vcc_lo, 28, v3
	s_cbranch_vccz .LBB336_272
	;; [unrolled: 3-line block ×4, first 2 shown]
; %bb.259:
	v_cmp_eq_u16_e32 vcc_lo, 46, v3
	s_mov_b32 s17, 0
	s_cbranch_vccz .LBB336_282
; %bb.260:
	global_load_b32 v4, v[0:1], off
	s_mov_b32 s0, -1
	s_mov_b32 s16, 0
	s_waitcnt vmcnt(0)
	v_lshlrev_b32_e32 v4, 16, v4
	s_delay_alu instid0(VALU_DEP_1)
	v_cvt_f16_f32_e32 v4, v4
	s_branch .LBB336_284
.LBB336_261:
	s_mov_b32 s0, 0
	s_mov_b32 s16, s14
                                        ; implicit-def: $vgpr4
	s_cbranch_execnz .LBB336_461
.LBB336_262:
	s_and_not1_b32 vcc_lo, exec_lo, s0
	s_cbranch_vccnz .LBB336_509
.LBB336_263:
	s_waitcnt vmcnt(0)
	s_delay_alu instid0(VALU_DEP_1) | instskip(SKIP_4) | instid1(VALU_DEP_4)
	v_cmp_lt_f16_e32 vcc_lo, s10, v4
	v_mul_lo_u32 v1, v2, s8
	v_and_b32_e64 v5, 0xff, s11
	v_cmp_u_f16_e64 s0, v4, v4
	v_cndmask_b32_e32 v0, s10, v4, vcc_lo
	v_ashrrev_i32_e32 v6, 31, v1
	s_delay_alu instid0(VALU_DEP_2) | instskip(SKIP_2) | instid1(VALU_DEP_2)
	v_cmp_gt_f16_e32 vcc_lo, s1, v0
	v_cndmask_b32_e32 v0, s1, v0, vcc_lo
	v_cmp_gt_i16_e32 vcc_lo, 11, v5
	v_cndmask_b32_e64 v4, v0, v4, s0
	v_add_co_u32 v0, s0, s4, v1
	s_delay_alu instid0(VALU_DEP_1)
	v_add_co_ci_u32_e64 v1, s0, s5, v6, s0
	s_cbranch_vccnz .LBB336_271
; %bb.264:
	v_cmp_lt_i16_e32 vcc_lo, 25, v5
	s_cbranch_vccz .LBB336_273
; %bb.265:
	v_cmp_lt_i16_e32 vcc_lo, 28, v5
	s_cbranch_vccz .LBB336_275
	;; [unrolled: 3-line block ×4, first 2 shown]
; %bb.268:
	v_cmp_eq_u16_e32 vcc_lo, 46, v5
	s_mov_b32 s19, 0
	s_mov_b32 s0, -1
	s_mov_b32 s17, 0
	s_cbranch_vccz .LBB336_288
; %bb.269:
	v_cvt_f32_f16_e32 v6, v4
	v_cmp_o_f16_e32 vcc_lo, v4, v4
	s_mov_b32 s17, -1
	s_mov_b32 s0, 0
	s_delay_alu instid0(VALU_DEP_2) | instskip(NEXT) | instid1(VALU_DEP_1)
	v_bfe_u32 v7, v6, 16, 1
	v_add3_u32 v6, v6, v7, 0x7fff
	s_delay_alu instid0(VALU_DEP_1) | instskip(NEXT) | instid1(VALU_DEP_1)
	v_lshrrev_b32_e32 v6, 16, v6
	v_cndmask_b32_e32 v6, 0x7fc0, v6, vcc_lo
	global_store_b32 v[0:1], v6, off
	s_branch .LBB336_288
.LBB336_270:
	s_mov_b32 s17, -1
	s_mov_b32 s0, 0
	s_mov_b32 s16, s14
                                        ; implicit-def: $vgpr4
	s_branch .LBB336_425
.LBB336_271:
	s_mov_b32 s19, -1
	s_mov_b32 s17, 0
	s_mov_b32 s0, s12
	s_branch .LBB336_357
.LBB336_272:
	s_mov_b32 s17, -1
	s_mov_b32 s0, 0
	s_mov_b32 s16, s14
                                        ; implicit-def: $vgpr4
	s_branch .LBB336_406
.LBB336_273:
	s_mov_b32 s19, -1
	s_mov_b32 s17, 0
	s_mov_b32 s0, s12
	s_branch .LBB336_315
.LBB336_274:
	s_mov_b32 s17, -1
	s_mov_b32 s0, 0
	s_mov_b32 s16, s14
                                        ; implicit-def: $vgpr4
	s_branch .LBB336_401
.LBB336_275:
	s_mov_b32 s19, -1
	s_mov_b32 s17, 0
	s_mov_b32 s0, s12
	s_branch .LBB336_298
.LBB336_276:
	s_or_saveexec_b32 s18, s18
                                        ; implicit-def: $sgpr19
	s_delay_alu instid0(SALU_CYCLE_1)
	s_xor_b32 exec_lo, exec_lo, s18
	s_cbranch_execz .LBB336_54
.LBB336_277:
	v_add_f32_e64 v7, 0x46000000, |v6|
	s_and_not1_b32 s17, s17, exec_lo
	s_mov_b32 s19, 0
	s_delay_alu instid0(VALU_DEP_1) | instskip(NEXT) | instid1(VALU_DEP_1)
	v_and_b32_e32 v7, 0xff, v7
	v_cmp_ne_u32_e32 vcc_lo, 0, v7
	s_and_b32 s20, vcc_lo, exec_lo
	s_delay_alu instid0(SALU_CYCLE_1)
	s_or_b32 s17, s17, s20
	s_or_b32 exec_lo, exec_lo, s18
	v_mov_b32_e32 v8, s19
	s_and_saveexec_b32 s18, s17
	s_cbranch_execnz .LBB336_55
	s_branch .LBB336_56
.LBB336_278:
	s_mov_b32 s17, -1
	s_mov_b32 s0, 0
	s_mov_b32 s16, s14
	s_branch .LBB336_283
.LBB336_279:
	s_mov_b32 s19, -1
	s_mov_b32 s17, 0
	s_mov_b32 s0, s12
	s_branch .LBB336_294
.LBB336_280:
	s_or_saveexec_b32 s18, s18
                                        ; implicit-def: $sgpr19
	s_delay_alu instid0(SALU_CYCLE_1)
	s_xor_b32 exec_lo, exec_lo, s18
	s_cbranch_execz .LBB336_67
.LBB336_281:
	v_add_f32_e64 v7, 0x42800000, |v6|
	s_and_not1_b32 s17, s17, exec_lo
	s_mov_b32 s19, 0
	s_delay_alu instid0(VALU_DEP_1) | instskip(NEXT) | instid1(VALU_DEP_1)
	v_and_b32_e32 v7, 0xff, v7
	v_cmp_ne_u32_e32 vcc_lo, 0, v7
	s_and_b32 s20, vcc_lo, exec_lo
	s_delay_alu instid0(SALU_CYCLE_1)
	s_or_b32 s17, s17, s20
	s_or_b32 exec_lo, exec_lo, s18
	v_mov_b32_e32 v8, s19
	s_and_saveexec_b32 s18, s17
	s_cbranch_execnz .LBB336_68
	s_branch .LBB336_69
.LBB336_282:
	s_mov_b32 s16, -1
	s_mov_b32 s0, 0
.LBB336_283:
                                        ; implicit-def: $vgpr4
.LBB336_284:
	s_and_b32 vcc_lo, exec_lo, s17
	s_cbranch_vccz .LBB336_400
; %bb.285:
	v_cmp_eq_u16_e32 vcc_lo, 44, v3
	s_cbranch_vccz .LBB336_399
; %bb.286:
	global_load_u8 v4, v[0:1], off
	s_mov_b32 s16, 0
	s_mov_b32 s0, -1
	s_waitcnt vmcnt(0)
	v_lshlrev_b32_e32 v5, 23, v4
	v_cmp_ne_u32_e32 vcc_lo, 0xff, v4
	s_delay_alu instid0(VALU_DEP_2) | instskip(NEXT) | instid1(VALU_DEP_1)
	v_cvt_f16_f32_e32 v5, v5
	v_cndmask_b32_e32 v5, 0x7e00, v5, vcc_lo
	v_cmp_ne_u32_e32 vcc_lo, 0, v4
	s_delay_alu instid0(VALU_DEP_2)
	v_cndmask_b32_e32 v4, 0, v5, vcc_lo
	s_branch .LBB336_400
.LBB336_287:
	s_mov_b32 s19, -1
	s_mov_b32 s17, 0
	s_mov_b32 s0, s12
.LBB336_288:
	s_and_b32 vcc_lo, exec_lo, s19
	s_cbranch_vccz .LBB336_293
; %bb.289:
	v_cmp_eq_u16_e32 vcc_lo, 44, v5
	s_mov_b32 s0, -1
	s_cbranch_vccz .LBB336_293
; %bb.290:
	v_cvt_f32_f16_e32 v6, v4
	v_mov_b32_e32 v7, 0xff
	s_mov_b32 s17, exec_lo
	s_delay_alu instid0(VALU_DEP_2) | instskip(NEXT) | instid1(VALU_DEP_1)
	v_bfe_u32 v8, v6, 23, 8
	v_cmpx_ne_u32_e32 0xff, v8
; %bb.291:
	v_and_b32_e32 v7, 0x400000, v6
	v_and_or_b32 v8, 0x3fffff, v6, v8
	v_lshrrev_b32_e32 v6, 23, v6
	s_delay_alu instid0(VALU_DEP_3) | instskip(NEXT) | instid1(VALU_DEP_3)
	v_cmp_ne_u32_e32 vcc_lo, 0, v7
	v_cmp_ne_u32_e64 s0, 0, v8
	s_delay_alu instid0(VALU_DEP_1) | instskip(NEXT) | instid1(SALU_CYCLE_1)
	s_and_b32 s0, vcc_lo, s0
	v_cndmask_b32_e64 v7, 0, 1, s0
	s_delay_alu instid0(VALU_DEP_1)
	v_add_nc_u32_e32 v7, v6, v7
; %bb.292:
	s_or_b32 exec_lo, exec_lo, s17
	s_mov_b32 s17, -1
	s_mov_b32 s0, 0
	global_store_b8 v[0:1], v7, off
.LBB336_293:
	s_mov_b32 s19, 0
.LBB336_294:
	s_delay_alu instid0(SALU_CYCLE_1)
	s_and_b32 vcc_lo, exec_lo, s19
	s_cbranch_vccz .LBB336_297
; %bb.295:
	v_cmp_eq_u16_e32 vcc_lo, 29, v5
	s_mov_b32 s0, -1
	s_cbranch_vccz .LBB336_297
; %bb.296:
	v_cvt_f32_f16_e32 v6, v4
	v_mov_b32_e32 v7, 0
	s_mov_b32 s0, 0
	s_mov_b32 s17, -1
	s_mov_b32 s19, 0
	v_cvt_u32_f32_e32 v6, v6
	global_store_b64 v[0:1], v[6:7], off
	s_branch .LBB336_298
.LBB336_297:
	s_mov_b32 s19, 0
.LBB336_298:
	s_delay_alu instid0(SALU_CYCLE_1)
	s_and_b32 vcc_lo, exec_lo, s19
	s_cbranch_vccz .LBB336_314
; %bb.299:
	v_cmp_gt_i16_e32 vcc_lo, 27, v5
	s_mov_b32 s17, -1
	s_cbranch_vccnz .LBB336_305
; %bb.300:
	v_cmp_lt_i16_e32 vcc_lo, 27, v5
	s_cbranch_vccz .LBB336_302
; %bb.301:
	v_cvt_f32_f16_e32 v6, v4
	s_mov_b32 s17, 0
	s_delay_alu instid0(VALU_DEP_1)
	v_cvt_u32_f32_e32 v6, v6
	global_store_b32 v[0:1], v6, off
.LBB336_302:
	s_and_not1_b32 vcc_lo, exec_lo, s17
	s_cbranch_vccnz .LBB336_304
; %bb.303:
	v_cvt_u16_f16_e32 v6, v4
	global_store_b16 v[0:1], v6, off
.LBB336_304:
	s_mov_b32 s17, 0
.LBB336_305:
	s_delay_alu instid0(SALU_CYCLE_1)
	s_and_not1_b32 vcc_lo, exec_lo, s17
	s_cbranch_vccnz .LBB336_313
; %bb.306:
	v_cvt_f32_f16_e32 v6, v4
	v_mov_b32_e32 v8, 0x80
	s_mov_b32 s17, exec_lo
	s_delay_alu instid0(VALU_DEP_2) | instskip(NEXT) | instid1(VALU_DEP_1)
	v_and_b32_e32 v7, 0x7fffffff, v6
	v_cmpx_gt_u32_e32 0x43800000, v7
	s_cbranch_execz .LBB336_312
; %bb.307:
	v_cmp_lt_u32_e32 vcc_lo, 0x3bffffff, v7
	s_mov_b32 s19, 0
                                        ; implicit-def: $vgpr7
	s_and_saveexec_b32 s20, vcc_lo
	s_delay_alu instid0(SALU_CYCLE_1)
	s_xor_b32 s20, exec_lo, s20
	s_cbranch_execz .LBB336_525
; %bb.308:
	v_bfe_u32 v7, v6, 20, 1
	s_mov_b32 s19, exec_lo
	s_delay_alu instid0(VALU_DEP_1) | instskip(NEXT) | instid1(VALU_DEP_1)
	v_add3_u32 v7, v6, v7, 0x487ffff
	v_lshrrev_b32_e32 v7, 20, v7
	s_or_saveexec_b32 s20, s20
                                        ; implicit-def: $sgpr21
	s_delay_alu instid0(SALU_CYCLE_1)
	s_xor_b32 exec_lo, exec_lo, s20
	s_cbranch_execnz .LBB336_526
.LBB336_309:
	s_or_b32 exec_lo, exec_lo, s20
	v_mov_b32_e32 v8, s21
	s_and_saveexec_b32 s20, s19
.LBB336_310:
	v_lshrrev_b32_e32 v6, 24, v6
	s_delay_alu instid0(VALU_DEP_1)
	v_and_or_b32 v8, 0x80, v6, v7
.LBB336_311:
	s_or_b32 exec_lo, exec_lo, s20
.LBB336_312:
	s_delay_alu instid0(SALU_CYCLE_1)
	s_or_b32 exec_lo, exec_lo, s17
	global_store_b8 v[0:1], v8, off
.LBB336_313:
	s_mov_b32 s17, -1
.LBB336_314:
	s_mov_b32 s19, 0
.LBB336_315:
	s_delay_alu instid0(SALU_CYCLE_1)
	s_and_b32 vcc_lo, exec_lo, s19
	s_cbranch_vccz .LBB336_356
; %bb.316:
	v_cmp_lt_i16_e32 vcc_lo, 22, v5
	s_mov_b32 s19, -1
	s_cbranch_vccz .LBB336_348
; %bb.317:
	v_cmp_gt_i16_e32 vcc_lo, 24, v5
	s_mov_b32 s17, -1
	s_cbranch_vccnz .LBB336_337
; %bb.318:
	v_cmp_lt_i16_e32 vcc_lo, 24, v5
	s_cbranch_vccz .LBB336_326
; %bb.319:
	v_cvt_f32_f16_e32 v6, v4
	v_mov_b32_e32 v8, 0x80
	s_mov_b32 s17, exec_lo
	s_delay_alu instid0(VALU_DEP_2) | instskip(NEXT) | instid1(VALU_DEP_1)
	v_and_b32_e32 v7, 0x7fffffff, v6
	v_cmpx_gt_u32_e32 0x47800000, v7
	s_cbranch_execz .LBB336_325
; %bb.320:
	v_cmp_lt_u32_e32 vcc_lo, 0x37ffffff, v7
	s_mov_b32 s19, 0
                                        ; implicit-def: $vgpr7
	s_and_saveexec_b32 s20, vcc_lo
	s_delay_alu instid0(SALU_CYCLE_1)
	s_xor_b32 s20, exec_lo, s20
	s_cbranch_execz .LBB336_528
; %bb.321:
	v_bfe_u32 v7, v6, 21, 1
	s_mov_b32 s19, exec_lo
	s_delay_alu instid0(VALU_DEP_1) | instskip(NEXT) | instid1(VALU_DEP_1)
	v_add3_u32 v7, v6, v7, 0x88fffff
	v_lshrrev_b32_e32 v7, 21, v7
	s_or_saveexec_b32 s20, s20
                                        ; implicit-def: $sgpr21
	s_delay_alu instid0(SALU_CYCLE_1)
	s_xor_b32 exec_lo, exec_lo, s20
	s_cbranch_execnz .LBB336_529
.LBB336_322:
	s_or_b32 exec_lo, exec_lo, s20
	v_mov_b32_e32 v8, s21
	s_and_saveexec_b32 s20, s19
.LBB336_323:
	v_lshrrev_b32_e32 v6, 24, v6
	s_delay_alu instid0(VALU_DEP_1)
	v_and_or_b32 v8, 0x80, v6, v7
.LBB336_324:
	s_or_b32 exec_lo, exec_lo, s20
.LBB336_325:
	s_delay_alu instid0(SALU_CYCLE_1)
	s_or_b32 exec_lo, exec_lo, s17
	s_mov_b32 s17, 0
	global_store_b8 v[0:1], v8, off
.LBB336_326:
	s_and_b32 vcc_lo, exec_lo, s17
	s_cbranch_vccz .LBB336_336
; %bb.327:
	v_cvt_f32_f16_e32 v6, v4
	s_mov_b32 s17, exec_lo
                                        ; implicit-def: $vgpr7
	s_delay_alu instid0(VALU_DEP_1) | instskip(NEXT) | instid1(VALU_DEP_1)
	v_and_b32_e32 v8, 0x7fffffff, v6
	v_cmpx_gt_u32_e32 0x43f00000, v8
	s_xor_b32 s17, exec_lo, s17
	s_cbranch_execz .LBB336_333
; %bb.328:
	s_mov_b32 s19, exec_lo
                                        ; implicit-def: $vgpr7
	v_cmpx_lt_u32_e32 0x3c7fffff, v8
	s_xor_b32 s19, exec_lo, s19
; %bb.329:
	v_bfe_u32 v7, v6, 20, 1
	s_delay_alu instid0(VALU_DEP_1) | instskip(NEXT) | instid1(VALU_DEP_1)
	v_add3_u32 v7, v6, v7, 0x407ffff
	v_and_b32_e32 v8, 0xff00000, v7
	v_lshrrev_b32_e32 v7, 20, v7
	s_delay_alu instid0(VALU_DEP_2) | instskip(NEXT) | instid1(VALU_DEP_2)
	v_cmp_ne_u32_e32 vcc_lo, 0x7f00000, v8
	v_cndmask_b32_e32 v7, 0x7e, v7, vcc_lo
; %bb.330:
	s_and_not1_saveexec_b32 s19, s19
; %bb.331:
	v_add_f32_e64 v7, 0x46800000, |v6|
; %bb.332:
	s_or_b32 exec_lo, exec_lo, s19
                                        ; implicit-def: $vgpr8
.LBB336_333:
	s_and_not1_saveexec_b32 s17, s17
; %bb.334:
	v_mov_b32_e32 v7, 0x7f
	v_cmp_lt_u32_e32 vcc_lo, 0x7f800000, v8
	s_delay_alu instid0(VALU_DEP_2)
	v_cndmask_b32_e32 v7, 0x7e, v7, vcc_lo
; %bb.335:
	s_or_b32 exec_lo, exec_lo, s17
	v_lshrrev_b32_e32 v6, 24, v6
	s_delay_alu instid0(VALU_DEP_1)
	v_and_or_b32 v6, 0x80, v6, v7
	global_store_b8 v[0:1], v6, off
.LBB336_336:
	s_mov_b32 s17, 0
.LBB336_337:
	s_delay_alu instid0(SALU_CYCLE_1)
	s_and_not1_b32 vcc_lo, exec_lo, s17
	s_cbranch_vccnz .LBB336_347
; %bb.338:
	v_cvt_f32_f16_e32 v6, v4
	s_mov_b32 s17, exec_lo
                                        ; implicit-def: $vgpr7
	s_delay_alu instid0(VALU_DEP_1) | instskip(NEXT) | instid1(VALU_DEP_1)
	v_and_b32_e32 v8, 0x7fffffff, v6
	v_cmpx_gt_u32_e32 0x47800000, v8
	s_xor_b32 s17, exec_lo, s17
	s_cbranch_execz .LBB336_344
; %bb.339:
	s_mov_b32 s19, exec_lo
                                        ; implicit-def: $vgpr7
	v_cmpx_lt_u32_e32 0x387fffff, v8
	s_xor_b32 s19, exec_lo, s19
; %bb.340:
	v_bfe_u32 v7, v6, 21, 1
	s_delay_alu instid0(VALU_DEP_1) | instskip(NEXT) | instid1(VALU_DEP_1)
	v_add3_u32 v7, v6, v7, 0x80fffff
	v_lshrrev_b32_e32 v7, 21, v7
; %bb.341:
	s_and_not1_saveexec_b32 s19, s19
; %bb.342:
	v_add_f32_e64 v7, 0x43000000, |v6|
; %bb.343:
	s_or_b32 exec_lo, exec_lo, s19
                                        ; implicit-def: $vgpr8
.LBB336_344:
	s_and_not1_saveexec_b32 s17, s17
; %bb.345:
	v_mov_b32_e32 v7, 0x7f
	v_cmp_lt_u32_e32 vcc_lo, 0x7f800000, v8
	s_delay_alu instid0(VALU_DEP_2)
	v_cndmask_b32_e32 v7, 0x7c, v7, vcc_lo
; %bb.346:
	s_or_b32 exec_lo, exec_lo, s17
	v_lshrrev_b32_e32 v6, 24, v6
	s_delay_alu instid0(VALU_DEP_1)
	v_and_or_b32 v6, 0x80, v6, v7
	global_store_b8 v[0:1], v6, off
.LBB336_347:
	s_mov_b32 s19, 0
	s_mov_b32 s17, -1
.LBB336_348:
	s_and_not1_b32 vcc_lo, exec_lo, s19
	s_cbranch_vccnz .LBB336_356
; %bb.349:
	v_cmp_lt_i16_e32 vcc_lo, 14, v5
	s_mov_b32 s19, -1
	s_cbranch_vccz .LBB336_353
; %bb.350:
	v_cmp_eq_u16_e32 vcc_lo, 15, v5
	s_mov_b32 s0, -1
	s_cbranch_vccz .LBB336_352
; %bb.351:
	v_cvt_f32_f16_e32 v6, v4
	v_cmp_o_f16_e32 vcc_lo, v4, v4
	s_mov_b32 s17, -1
	s_mov_b32 s0, 0
	s_delay_alu instid0(VALU_DEP_2) | instskip(NEXT) | instid1(VALU_DEP_1)
	v_bfe_u32 v7, v6, 16, 1
	v_add3_u32 v6, v6, v7, 0x7fff
	s_delay_alu instid0(VALU_DEP_1) | instskip(NEXT) | instid1(VALU_DEP_1)
	v_lshrrev_b32_e32 v6, 16, v6
	v_cndmask_b32_e32 v6, 0x7fc0, v6, vcc_lo
	global_store_b16 v[0:1], v6, off
.LBB336_352:
	s_mov_b32 s19, 0
.LBB336_353:
	s_delay_alu instid0(SALU_CYCLE_1)
	s_and_b32 vcc_lo, exec_lo, s19
	s_cbranch_vccz .LBB336_356
; %bb.354:
	v_cmp_eq_u16_e32 vcc_lo, 11, v5
	s_mov_b32 s0, -1
	s_cbranch_vccz .LBB336_356
; %bb.355:
	v_and_b32_e32 v6, 0x7fff, v4
	s_mov_b32 s0, 0
	s_mov_b32 s17, -1
	s_delay_alu instid0(VALU_DEP_1)
	v_cmp_ne_u16_e32 vcc_lo, 0, v6
	v_cndmask_b32_e64 v6, 0, 1, vcc_lo
	global_store_b8 v[0:1], v6, off
.LBB336_356:
	s_mov_b32 s19, 0
.LBB336_357:
	s_delay_alu instid0(SALU_CYCLE_1)
	s_and_b32 vcc_lo, exec_lo, s19
	s_cbranch_vccz .LBB336_396
; %bb.358:
	v_cmp_gt_i16_e32 vcc_lo, 5, v5
	s_mov_b32 s17, -1
	s_cbranch_vccnz .LBB336_379
; %bb.359:
	v_cmp_gt_i16_e32 vcc_lo, 8, v5
	s_cbranch_vccnz .LBB336_369
; %bb.360:
	v_cmp_gt_i16_e32 vcc_lo, 9, v5
	s_cbranch_vccnz .LBB336_366
; %bb.361:
	v_cmp_lt_i16_e32 vcc_lo, 9, v5
	s_cbranch_vccz .LBB336_363
; %bb.362:
	v_cvt_f32_f16_e32 v6, v4
	v_mov_b32_e32 v8, 0
	s_mov_b32 s17, 0
	s_delay_alu instid0(VALU_DEP_2) | instskip(NEXT) | instid1(VALU_DEP_2)
	v_cvt_f64_f32_e32 v[6:7], v6
	v_mov_b32_e32 v9, v8
	global_store_b128 v[0:1], v[6:9], off
.LBB336_363:
	s_and_not1_b32 vcc_lo, exec_lo, s17
	s_cbranch_vccnz .LBB336_365
; %bb.364:
	v_cvt_f32_f16_e32 v6, v4
	v_mov_b32_e32 v7, 0
	global_store_b64 v[0:1], v[6:7], off
.LBB336_365:
	s_mov_b32 s17, 0
.LBB336_366:
	s_delay_alu instid0(SALU_CYCLE_1)
	s_and_not1_b32 vcc_lo, exec_lo, s17
	s_cbranch_vccnz .LBB336_368
; %bb.367:
	v_and_b32_e32 v6, 0xffff, v4
	global_store_b32 v[0:1], v6, off
.LBB336_368:
	s_mov_b32 s17, 0
.LBB336_369:
	s_delay_alu instid0(SALU_CYCLE_1)
	s_and_not1_b32 vcc_lo, exec_lo, s17
	s_cbranch_vccnz .LBB336_378
; %bb.370:
	v_cmp_gt_i16_e32 vcc_lo, 6, v5
	s_mov_b32 s17, -1
	s_cbranch_vccnz .LBB336_376
; %bb.371:
	v_cmp_lt_i16_e32 vcc_lo, 6, v5
	s_cbranch_vccz .LBB336_373
; %bb.372:
	v_cvt_f32_f16_e32 v6, v4
	s_mov_b32 s17, 0
	s_delay_alu instid0(VALU_DEP_1)
	v_cvt_f64_f32_e32 v[6:7], v6
	global_store_b64 v[0:1], v[6:7], off
.LBB336_373:
	s_and_not1_b32 vcc_lo, exec_lo, s17
	s_cbranch_vccnz .LBB336_375
; %bb.374:
	v_cvt_f32_f16_e32 v6, v4
	global_store_b32 v[0:1], v6, off
.LBB336_375:
	s_mov_b32 s17, 0
.LBB336_376:
	s_delay_alu instid0(SALU_CYCLE_1)
	s_and_not1_b32 vcc_lo, exec_lo, s17
	s_cbranch_vccnz .LBB336_378
; %bb.377:
	global_store_b16 v[0:1], v4, off
.LBB336_378:
	s_mov_b32 s17, 0
.LBB336_379:
	s_delay_alu instid0(SALU_CYCLE_1)
	s_and_not1_b32 vcc_lo, exec_lo, s17
	s_cbranch_vccnz .LBB336_395
; %bb.380:
	v_cmp_gt_i16_e32 vcc_lo, 2, v5
	s_mov_b32 s17, -1
	s_cbranch_vccnz .LBB336_390
; %bb.381:
	v_cmp_gt_i16_e32 vcc_lo, 3, v5
	s_cbranch_vccnz .LBB336_387
; %bb.382:
	v_cmp_lt_i16_e32 vcc_lo, 3, v5
	s_cbranch_vccz .LBB336_384
; %bb.383:
	v_cvt_f32_f16_e32 v6, v4
	s_mov_b32 s17, 0
	s_delay_alu instid0(VALU_DEP_1) | instskip(NEXT) | instid1(VALU_DEP_1)
	v_cvt_i32_f32_e32 v6, v6
	v_ashrrev_i32_e32 v7, 31, v6
	global_store_b64 v[0:1], v[6:7], off
.LBB336_384:
	s_and_not1_b32 vcc_lo, exec_lo, s17
	s_cbranch_vccnz .LBB336_386
; %bb.385:
	v_cvt_f32_f16_e32 v6, v4
	s_delay_alu instid0(VALU_DEP_1)
	v_cvt_i32_f32_e32 v6, v6
	global_store_b32 v[0:1], v6, off
.LBB336_386:
	s_mov_b32 s17, 0
.LBB336_387:
	s_delay_alu instid0(SALU_CYCLE_1)
	s_and_not1_b32 vcc_lo, exec_lo, s17
	s_cbranch_vccnz .LBB336_389
; %bb.388:
	v_cvt_i16_f16_e32 v6, v4
	global_store_b16 v[0:1], v6, off
.LBB336_389:
	s_mov_b32 s17, 0
.LBB336_390:
	s_delay_alu instid0(SALU_CYCLE_1)
	s_and_not1_b32 vcc_lo, exec_lo, s17
	s_cbranch_vccnz .LBB336_395
; %bb.391:
	v_cmp_lt_i16_e32 vcc_lo, 0, v5
	s_mov_b32 s17, -1
	s_cbranch_vccz .LBB336_393
; %bb.392:
	v_cvt_i16_f16_e32 v5, v4
	s_mov_b32 s17, 0
	global_store_b8 v[0:1], v5, off
.LBB336_393:
	s_and_not1_b32 vcc_lo, exec_lo, s17
	s_cbranch_vccnz .LBB336_395
; %bb.394:
	v_cvt_f32_f16_e32 v4, v4
	s_delay_alu instid0(VALU_DEP_1)
	v_cvt_i32_f32_e32 v4, v4
	global_store_b8 v[0:1], v4, off
.LBB336_395:
	s_mov_b32 s17, -1
.LBB336_396:
	s_delay_alu instid0(SALU_CYCLE_1)
	s_and_not1_b32 vcc_lo, exec_lo, s17
	s_cbranch_vccnz .LBB336_398
; %bb.397:
	v_add_nc_u32_e32 v2, 0x80, v2
	s_mov_b32 s19, -1
	s_branch .LBB336_511
.LBB336_398:
	s_mov_b32 s19, 0
	s_branch .LBB336_510
.LBB336_399:
	s_mov_b32 s16, -1
                                        ; implicit-def: $vgpr4
.LBB336_400:
	s_mov_b32 s17, 0
.LBB336_401:
	s_delay_alu instid0(SALU_CYCLE_1)
	s_and_b32 vcc_lo, exec_lo, s17
	s_cbranch_vccz .LBB336_405
; %bb.402:
	v_cmp_eq_u16_e32 vcc_lo, 29, v3
	s_cbranch_vccz .LBB336_404
; %bb.403:
	global_load_b64 v[4:5], v[0:1], off
	s_mov_b32 s0, -1
	s_mov_b32 s16, 0
	s_mov_b32 s17, 0
	s_waitcnt vmcnt(0)
	v_clz_i32_u32_e32 v6, v5
	s_delay_alu instid0(VALU_DEP_1) | instskip(NEXT) | instid1(VALU_DEP_1)
	v_min_u32_e32 v6, 32, v6
	v_lshlrev_b64 v[4:5], v6, v[4:5]
	s_delay_alu instid0(VALU_DEP_1) | instskip(NEXT) | instid1(VALU_DEP_1)
	v_min_u32_e32 v4, 1, v4
	v_or_b32_e32 v4, v5, v4
	v_sub_nc_u32_e32 v5, 32, v6
	s_delay_alu instid0(VALU_DEP_2) | instskip(NEXT) | instid1(VALU_DEP_1)
	v_cvt_f32_u32_e32 v4, v4
	v_ldexp_f32 v4, v4, v5
	s_delay_alu instid0(VALU_DEP_1)
	v_cvt_f16_f32_e32 v4, v4
	s_branch .LBB336_406
.LBB336_404:
	s_mov_b32 s16, -1
                                        ; implicit-def: $vgpr4
.LBB336_405:
	s_mov_b32 s17, 0
.LBB336_406:
	s_delay_alu instid0(SALU_CYCLE_1)
	s_and_b32 vcc_lo, exec_lo, s17
	s_cbranch_vccz .LBB336_424
; %bb.407:
	v_cmp_gt_i16_e32 vcc_lo, 27, v3
	s_cbranch_vccnz .LBB336_410
; %bb.408:
	v_cmp_lt_i16_e32 vcc_lo, 27, v3
	s_cbranch_vccz .LBB336_411
; %bb.409:
	global_load_b32 v4, v[0:1], off
	s_mov_b32 s0, 0
	s_waitcnt vmcnt(0)
	v_cvt_f32_u32_e32 v4, v4
	s_delay_alu instid0(VALU_DEP_1)
	v_cvt_f16_f32_e32 v4, v4
	s_branch .LBB336_412
.LBB336_410:
	s_mov_b32 s0, -1
                                        ; implicit-def: $vgpr4
	s_branch .LBB336_415
.LBB336_411:
	s_mov_b32 s0, -1
                                        ; implicit-def: $vgpr4
.LBB336_412:
	s_delay_alu instid0(SALU_CYCLE_1)
	s_and_not1_b32 vcc_lo, exec_lo, s0
	s_cbranch_vccnz .LBB336_414
; %bb.413:
	global_load_u16 v4, v[0:1], off
	s_waitcnt vmcnt(0)
	v_cvt_f16_u16_e32 v4, v4
.LBB336_414:
	s_mov_b32 s0, 0
.LBB336_415:
	s_delay_alu instid0(SALU_CYCLE_1)
	s_and_not1_b32 vcc_lo, exec_lo, s0
	s_cbranch_vccnz .LBB336_423
; %bb.416:
	global_load_u8 v5, v[0:1], off
	s_mov_b32 s0, 0
	s_mov_b32 s19, exec_lo
                                        ; implicit-def: $sgpr17
	s_waitcnt vmcnt(0)
	v_cmpx_lt_i16_e32 0x7f, v5
	s_xor_b32 s19, exec_lo, s19
	s_cbranch_execz .LBB336_437
; %bb.417:
	s_mov_b32 s0, -1
	s_mov_b32 s20, exec_lo
                                        ; implicit-def: $sgpr17
	v_cmpx_eq_u16_e32 0x80, v5
; %bb.418:
	s_movk_i32 s17, 0x7e00
	s_xor_b32 s0, exec_lo, -1
; %bb.419:
	s_or_b32 exec_lo, exec_lo, s20
	s_delay_alu instid0(SALU_CYCLE_1)
	s_and_b32 s0, s0, exec_lo
	s_or_saveexec_b32 s19, s19
	v_mov_b32_e32 v4, s17
	s_xor_b32 exec_lo, exec_lo, s19
	s_cbranch_execnz .LBB336_438
.LBB336_420:
	s_or_b32 exec_lo, exec_lo, s19
	s_and_saveexec_b32 s17, s0
	s_cbranch_execz .LBB336_422
.LBB336_421:
	v_and_b32_e32 v4, 0xffff, v5
	s_delay_alu instid0(VALU_DEP_1) | instskip(NEXT) | instid1(VALU_DEP_1)
	v_and_b32_e32 v6, 7, v4
	v_clz_i32_u32_e32 v7, v6
	s_delay_alu instid0(VALU_DEP_1) | instskip(NEXT) | instid1(VALU_DEP_1)
	v_min_u32_e32 v7, 32, v7
	v_subrev_nc_u32_e32 v8, 28, v7
	v_sub_nc_u32_e32 v7, 29, v7
	s_delay_alu instid0(VALU_DEP_2) | instskip(SKIP_1) | instid1(VALU_DEP_2)
	v_lshlrev_b32_e32 v8, v8, v4
	v_bfe_u32 v4, v4, 3, 4
	v_and_b32_e32 v8, 7, v8
	s_delay_alu instid0(VALU_DEP_2) | instskip(SKIP_1) | instid1(VALU_DEP_1)
	v_cmp_eq_u32_e32 vcc_lo, 0, v4
	v_dual_cndmask_b32 v4, v4, v7 :: v_dual_lshlrev_b32 v5, 24, v5
	v_dual_cndmask_b32 v6, v6, v8 :: v_dual_and_b32 v5, 0x80000000, v5
	s_delay_alu instid0(VALU_DEP_2) | instskip(NEXT) | instid1(VALU_DEP_2)
	v_lshl_add_u32 v4, v4, 23, 0x3b800000
	v_lshlrev_b32_e32 v6, 20, v6
	s_delay_alu instid0(VALU_DEP_1) | instskip(NEXT) | instid1(VALU_DEP_1)
	v_or3_b32 v4, v5, v4, v6
	v_cvt_f16_f32_e32 v4, v4
.LBB336_422:
	s_or_b32 exec_lo, exec_lo, s17
.LBB336_423:
	s_mov_b32 s0, -1
.LBB336_424:
	s_mov_b32 s17, 0
.LBB336_425:
	s_delay_alu instid0(SALU_CYCLE_1)
	s_and_b32 vcc_lo, exec_lo, s17
	s_cbranch_vccz .LBB336_460
; %bb.426:
	v_cmp_lt_i16_e32 vcc_lo, 22, v3
	s_cbranch_vccz .LBB336_436
; %bb.427:
	v_cmp_gt_i16_e32 vcc_lo, 24, v3
	s_cbranch_vccnz .LBB336_439
; %bb.428:
	v_cmp_lt_i16_e32 vcc_lo, 24, v3
	s_cbranch_vccz .LBB336_440
; %bb.429:
	global_load_u8 v5, v[0:1], off
	s_mov_b32 s0, 0
	s_mov_b32 s19, exec_lo
                                        ; implicit-def: $sgpr17
	s_waitcnt vmcnt(0)
	v_cmpx_lt_i16_e32 0x7f, v5
	s_xor_b32 s19, exec_lo, s19
	s_cbranch_execz .LBB336_452
; %bb.430:
	s_mov_b32 s0, -1
	s_mov_b32 s20, exec_lo
                                        ; implicit-def: $sgpr17
	v_cmpx_eq_u16_e32 0x80, v5
; %bb.431:
	s_movk_i32 s17, 0x7e00
	s_xor_b32 s0, exec_lo, -1
; %bb.432:
	s_or_b32 exec_lo, exec_lo, s20
	s_delay_alu instid0(SALU_CYCLE_1)
	s_and_b32 s0, s0, exec_lo
	s_or_saveexec_b32 s19, s19
	v_mov_b32_e32 v4, s17
	s_xor_b32 exec_lo, exec_lo, s19
	s_cbranch_execnz .LBB336_453
.LBB336_433:
	s_or_b32 exec_lo, exec_lo, s19
	s_and_saveexec_b32 s17, s0
	s_cbranch_execz .LBB336_435
.LBB336_434:
	v_and_b32_e32 v4, 0xffff, v5
	s_delay_alu instid0(VALU_DEP_1) | instskip(NEXT) | instid1(VALU_DEP_1)
	v_and_b32_e32 v6, 3, v4
	v_clz_i32_u32_e32 v7, v6
	s_delay_alu instid0(VALU_DEP_1) | instskip(NEXT) | instid1(VALU_DEP_1)
	v_min_u32_e32 v7, 32, v7
	v_subrev_nc_u32_e32 v8, 29, v7
	v_sub_nc_u32_e32 v7, 30, v7
	s_delay_alu instid0(VALU_DEP_2) | instskip(SKIP_1) | instid1(VALU_DEP_2)
	v_lshlrev_b32_e32 v8, v8, v4
	v_bfe_u32 v4, v4, 2, 5
	v_and_b32_e32 v8, 3, v8
	s_delay_alu instid0(VALU_DEP_2) | instskip(SKIP_1) | instid1(VALU_DEP_1)
	v_cmp_eq_u32_e32 vcc_lo, 0, v4
	v_dual_cndmask_b32 v4, v4, v7 :: v_dual_lshlrev_b32 v5, 24, v5
	v_dual_cndmask_b32 v6, v6, v8 :: v_dual_and_b32 v5, 0x80000000, v5
	s_delay_alu instid0(VALU_DEP_2) | instskip(NEXT) | instid1(VALU_DEP_2)
	v_lshl_add_u32 v4, v4, 23, 0x37800000
	v_lshlrev_b32_e32 v6, 21, v6
	s_delay_alu instid0(VALU_DEP_1) | instskip(NEXT) | instid1(VALU_DEP_1)
	v_or3_b32 v4, v5, v4, v6
	v_cvt_f16_f32_e32 v4, v4
.LBB336_435:
	s_or_b32 exec_lo, exec_lo, s17
	s_mov_b32 s0, 0
	s_branch .LBB336_441
.LBB336_436:
	s_mov_b32 s17, -1
                                        ; implicit-def: $vgpr4
	s_branch .LBB336_447
.LBB336_437:
	s_or_saveexec_b32 s19, s19
	v_mov_b32_e32 v4, s17
	s_xor_b32 exec_lo, exec_lo, s19
	s_cbranch_execz .LBB336_420
.LBB336_438:
	v_cmp_ne_u16_e32 vcc_lo, 0, v5
	v_mov_b32_e32 v4, v5
	s_and_not1_b32 s0, s0, exec_lo
	s_and_b32 s17, vcc_lo, exec_lo
	s_delay_alu instid0(SALU_CYCLE_1)
	s_or_b32 s0, s0, s17
	s_or_b32 exec_lo, exec_lo, s19
	s_and_saveexec_b32 s17, s0
	s_cbranch_execnz .LBB336_421
	s_branch .LBB336_422
.LBB336_439:
	s_mov_b32 s0, -1
                                        ; implicit-def: $vgpr4
	s_branch .LBB336_444
.LBB336_440:
	s_mov_b32 s0, -1
                                        ; implicit-def: $vgpr4
.LBB336_441:
	s_delay_alu instid0(SALU_CYCLE_1)
	s_and_b32 vcc_lo, exec_lo, s0
	s_cbranch_vccz .LBB336_443
; %bb.442:
	global_load_u8 v4, v[0:1], off
	s_waitcnt vmcnt(0)
	v_lshlrev_b32_e32 v4, 24, v4
	s_delay_alu instid0(VALU_DEP_1) | instskip(NEXT) | instid1(VALU_DEP_1)
	v_and_b32_e32 v5, 0x7f000000, v4
	v_clz_i32_u32_e32 v6, v5
	v_add_nc_u32_e32 v8, 0x1000000, v5
	v_cmp_ne_u32_e32 vcc_lo, 0, v5
	s_delay_alu instid0(VALU_DEP_3) | instskip(NEXT) | instid1(VALU_DEP_1)
	v_min_u32_e32 v6, 32, v6
	v_sub_nc_u32_e64 v6, v6, 4 clamp
	s_delay_alu instid0(VALU_DEP_1) | instskip(SKIP_1) | instid1(VALU_DEP_2)
	v_lshlrev_b32_e32 v7, v6, v5
	v_lshlrev_b32_e32 v6, 23, v6
	v_lshrrev_b32_e32 v7, 4, v7
	s_delay_alu instid0(VALU_DEP_1) | instskip(SKIP_1) | instid1(VALU_DEP_2)
	v_sub_nc_u32_e32 v6, v7, v6
	v_ashrrev_i32_e32 v7, 8, v8
	v_add_nc_u32_e32 v6, 0x3c000000, v6
	s_delay_alu instid0(VALU_DEP_1) | instskip(NEXT) | instid1(VALU_DEP_1)
	v_and_or_b32 v6, 0x7f800000, v7, v6
	v_cndmask_b32_e32 v5, 0, v6, vcc_lo
	s_delay_alu instid0(VALU_DEP_1) | instskip(NEXT) | instid1(VALU_DEP_1)
	v_and_or_b32 v4, 0x80000000, v4, v5
	v_cvt_f16_f32_e32 v4, v4
.LBB336_443:
	s_mov_b32 s0, 0
.LBB336_444:
	s_delay_alu instid0(SALU_CYCLE_1)
	s_and_not1_b32 vcc_lo, exec_lo, s0
	s_cbranch_vccnz .LBB336_446
; %bb.445:
	global_load_u8 v4, v[0:1], off
	s_waitcnt vmcnt(0)
	v_lshlrev_b32_e32 v5, 25, v4
	v_lshlrev_b16 v4, 8, v4
	s_delay_alu instid0(VALU_DEP_2) | instskip(NEXT) | instid1(VALU_DEP_2)
	v_lshrrev_b32_e32 v6, 4, v5
	v_and_or_b32 v7, 0x7f00, v4, 0.5
	v_bfe_i32 v4, v4, 0, 16
	s_delay_alu instid0(VALU_DEP_3) | instskip(NEXT) | instid1(VALU_DEP_1)
	v_or_b32_e32 v6, 0x70000000, v6
	v_dual_add_f32 v7, -0.5, v7 :: v_dual_mul_f32 v6, 0x7800000, v6
	v_cmp_gt_u32_e32 vcc_lo, 0x8000000, v5
	s_delay_alu instid0(VALU_DEP_2) | instskip(NEXT) | instid1(VALU_DEP_1)
	v_cndmask_b32_e32 v5, v6, v7, vcc_lo
	v_and_or_b32 v4, 0x80000000, v4, v5
	s_delay_alu instid0(VALU_DEP_1)
	v_cvt_f16_f32_e32 v4, v4
.LBB336_446:
	s_mov_b32 s17, 0
	s_mov_b32 s0, -1
.LBB336_447:
	s_and_not1_b32 vcc_lo, exec_lo, s17
	s_cbranch_vccnz .LBB336_460
; %bb.448:
	v_cmp_lt_i16_e32 vcc_lo, 14, v3
	s_cbranch_vccz .LBB336_451
; %bb.449:
	v_cmp_eq_u16_e32 vcc_lo, 15, v3
	s_cbranch_vccz .LBB336_454
; %bb.450:
	global_load_u16 v4, v[0:1], off
	s_mov_b32 s0, -1
	s_mov_b32 s16, 0
	s_waitcnt vmcnt(0)
	v_lshlrev_b32_e32 v4, 16, v4
	s_delay_alu instid0(VALU_DEP_1)
	v_cvt_f16_f32_e32 v4, v4
	s_branch .LBB336_455
.LBB336_451:
	s_mov_b32 s17, -1
                                        ; implicit-def: $vgpr4
	s_branch .LBB336_456
.LBB336_452:
	s_or_saveexec_b32 s19, s19
	v_mov_b32_e32 v4, s17
	s_xor_b32 exec_lo, exec_lo, s19
	s_cbranch_execz .LBB336_433
.LBB336_453:
	v_cmp_ne_u16_e32 vcc_lo, 0, v5
	v_mov_b32_e32 v4, v5
	s_and_not1_b32 s0, s0, exec_lo
	s_and_b32 s17, vcc_lo, exec_lo
	s_delay_alu instid0(SALU_CYCLE_1)
	s_or_b32 s0, s0, s17
	s_or_b32 exec_lo, exec_lo, s19
	s_and_saveexec_b32 s17, s0
	s_cbranch_execnz .LBB336_434
	s_branch .LBB336_435
.LBB336_454:
	s_mov_b32 s16, -1
                                        ; implicit-def: $vgpr4
.LBB336_455:
	s_mov_b32 s17, 0
.LBB336_456:
	s_delay_alu instid0(SALU_CYCLE_1)
	s_and_b32 vcc_lo, exec_lo, s17
	s_cbranch_vccz .LBB336_460
; %bb.457:
	v_cmp_eq_u16_e32 vcc_lo, 11, v3
	s_cbranch_vccz .LBB336_459
; %bb.458:
	global_load_u8 v4, v[0:1], off
	s_mov_b32 s16, 0
	s_mov_b32 s0, -1
	s_waitcnt vmcnt(0)
	v_cmp_ne_u16_e32 vcc_lo, 0, v4
	v_cndmask_b32_e64 v4, 0, 0x3c00, vcc_lo
	s_branch .LBB336_460
.LBB336_459:
	s_mov_b32 s16, -1
                                        ; implicit-def: $vgpr4
.LBB336_460:
	s_branch .LBB336_262
.LBB336_461:
	v_cmp_gt_i16_e32 vcc_lo, 5, v3
	s_cbranch_vccnz .LBB336_466
; %bb.462:
	v_cmp_gt_i16_e32 vcc_lo, 8, v3
	s_cbranch_vccnz .LBB336_467
; %bb.463:
	;; [unrolled: 3-line block ×3, first 2 shown]
	v_cmp_lt_i16_e32 vcc_lo, 9, v3
	s_cbranch_vccz .LBB336_469
; %bb.465:
	global_load_b64 v[4:5], v[0:1], off
	s_mov_b32 s0, 0
	s_waitcnt vmcnt(0)
	v_cvt_f32_f64_e32 v4, v[4:5]
	s_delay_alu instid0(VALU_DEP_1)
	v_cvt_f16_f32_e32 v4, v4
	s_branch .LBB336_470
.LBB336_466:
	s_mov_b32 s0, -1
                                        ; implicit-def: $vgpr4
	s_branch .LBB336_488
.LBB336_467:
	s_mov_b32 s0, -1
                                        ; implicit-def: $vgpr4
	s_branch .LBB336_476
.LBB336_468:
	s_mov_b32 s0, -1
                                        ; implicit-def: $vgpr4
	s_branch .LBB336_473
.LBB336_469:
	s_mov_b32 s0, -1
                                        ; implicit-def: $vgpr4
.LBB336_470:
	s_delay_alu instid0(SALU_CYCLE_1)
	s_and_not1_b32 vcc_lo, exec_lo, s0
	s_cbranch_vccnz .LBB336_472
; %bb.471:
	global_load_b32 v4, v[0:1], off
	s_waitcnt vmcnt(0)
	v_cvt_f16_f32_e32 v4, v4
.LBB336_472:
	s_mov_b32 s0, 0
.LBB336_473:
	s_delay_alu instid0(SALU_CYCLE_1)
	s_and_not1_b32 vcc_lo, exec_lo, s0
	s_cbranch_vccnz .LBB336_475
; %bb.474:
	global_load_b32 v4, v[0:1], off
.LBB336_475:
	s_mov_b32 s0, 0
.LBB336_476:
	s_delay_alu instid0(SALU_CYCLE_1)
	s_and_not1_b32 vcc_lo, exec_lo, s0
	s_cbranch_vccnz .LBB336_487
; %bb.477:
	v_cmp_gt_i16_e32 vcc_lo, 6, v3
	s_cbranch_vccnz .LBB336_480
; %bb.478:
	v_cmp_lt_i16_e32 vcc_lo, 6, v3
	s_cbranch_vccz .LBB336_481
; %bb.479:
	global_load_b64 v[4:5], v[0:1], off
	s_mov_b32 s0, 0
	s_waitcnt vmcnt(0)
	v_cvt_f32_f64_e32 v4, v[4:5]
	s_delay_alu instid0(VALU_DEP_1)
	v_cvt_f16_f32_e32 v4, v4
	s_branch .LBB336_482
.LBB336_480:
	s_mov_b32 s0, -1
                                        ; implicit-def: $vgpr4
	s_branch .LBB336_485
.LBB336_481:
	s_mov_b32 s0, -1
                                        ; implicit-def: $vgpr4
.LBB336_482:
	s_delay_alu instid0(SALU_CYCLE_1)
	s_and_not1_b32 vcc_lo, exec_lo, s0
	s_cbranch_vccnz .LBB336_484
; %bb.483:
	global_load_b32 v4, v[0:1], off
	s_waitcnt vmcnt(0)
	v_cvt_f16_f32_e32 v4, v4
.LBB336_484:
	s_mov_b32 s0, 0
.LBB336_485:
	s_delay_alu instid0(SALU_CYCLE_1)
	s_and_not1_b32 vcc_lo, exec_lo, s0
	s_cbranch_vccnz .LBB336_487
; %bb.486:
	global_load_u16 v4, v[0:1], off
.LBB336_487:
	s_mov_b32 s0, 0
.LBB336_488:
	s_delay_alu instid0(SALU_CYCLE_1)
	s_and_not1_b32 vcc_lo, exec_lo, s0
	s_cbranch_vccnz .LBB336_508
; %bb.489:
	v_cmp_gt_i16_e32 vcc_lo, 2, v3
	s_cbranch_vccnz .LBB336_493
; %bb.490:
	v_cmp_gt_i16_e32 vcc_lo, 3, v3
	s_cbranch_vccnz .LBB336_494
; %bb.491:
	v_cmp_lt_i16_e32 vcc_lo, 3, v3
	s_cbranch_vccz .LBB336_495
; %bb.492:
	global_load_b64 v[4:5], v[0:1], off
	s_mov_b32 s0, 0
	s_waitcnt vmcnt(0)
	v_xor_b32_e32 v6, v4, v5
	v_cls_i32_e32 v7, v5
	s_delay_alu instid0(VALU_DEP_2) | instskip(NEXT) | instid1(VALU_DEP_2)
	v_ashrrev_i32_e32 v6, 31, v6
	v_add_nc_u32_e32 v7, -1, v7
	s_delay_alu instid0(VALU_DEP_2) | instskip(NEXT) | instid1(VALU_DEP_1)
	v_add_nc_u32_e32 v6, 32, v6
	v_min_u32_e32 v6, v7, v6
	s_delay_alu instid0(VALU_DEP_1) | instskip(NEXT) | instid1(VALU_DEP_1)
	v_lshlrev_b64 v[4:5], v6, v[4:5]
	v_min_u32_e32 v4, 1, v4
	s_delay_alu instid0(VALU_DEP_1) | instskip(SKIP_1) | instid1(VALU_DEP_2)
	v_or_b32_e32 v4, v5, v4
	v_sub_nc_u32_e32 v5, 32, v6
	v_cvt_f32_i32_e32 v4, v4
	s_delay_alu instid0(VALU_DEP_1) | instskip(NEXT) | instid1(VALU_DEP_1)
	v_ldexp_f32 v4, v4, v5
	v_cvt_f16_f32_e32 v4, v4
	s_branch .LBB336_496
.LBB336_493:
	s_mov_b32 s0, -1
                                        ; implicit-def: $vgpr4
	s_branch .LBB336_502
.LBB336_494:
	s_mov_b32 s0, -1
                                        ; implicit-def: $vgpr4
	s_branch .LBB336_499
.LBB336_495:
	s_mov_b32 s0, -1
                                        ; implicit-def: $vgpr4
.LBB336_496:
	s_delay_alu instid0(SALU_CYCLE_1)
	s_and_not1_b32 vcc_lo, exec_lo, s0
	s_cbranch_vccnz .LBB336_498
; %bb.497:
	global_load_b32 v4, v[0:1], off
	s_waitcnt vmcnt(0)
	v_cvt_f32_i32_e32 v4, v4
	s_delay_alu instid0(VALU_DEP_1)
	v_cvt_f16_f32_e32 v4, v4
.LBB336_498:
	s_mov_b32 s0, 0
.LBB336_499:
	s_delay_alu instid0(SALU_CYCLE_1)
	s_and_not1_b32 vcc_lo, exec_lo, s0
	s_cbranch_vccnz .LBB336_501
; %bb.500:
	global_load_u16 v4, v[0:1], off
	s_waitcnt vmcnt(0)
	v_cvt_f16_i16_e32 v4, v4
.LBB336_501:
	s_mov_b32 s0, 0
.LBB336_502:
	s_delay_alu instid0(SALU_CYCLE_1)
	s_and_not1_b32 vcc_lo, exec_lo, s0
	s_cbranch_vccnz .LBB336_508
; %bb.503:
	v_cmp_lt_i16_e32 vcc_lo, 0, v3
	s_mov_b32 s0, 0
	s_cbranch_vccz .LBB336_505
; %bb.504:
	global_load_i8 v4, v[0:1], off
	s_waitcnt vmcnt(0)
	v_cvt_f16_i16_e32 v4, v4
	s_branch .LBB336_506
.LBB336_505:
	s_mov_b32 s0, -1
                                        ; implicit-def: $vgpr4
.LBB336_506:
	s_delay_alu instid0(SALU_CYCLE_1)
	s_and_not1_b32 vcc_lo, exec_lo, s0
	s_cbranch_vccnz .LBB336_508
; %bb.507:
	global_load_u8 v0, v[0:1], off
	s_waitcnt vmcnt(0)
	v_cvt_f16_u16_e32 v4, v0
.LBB336_508:
	s_branch .LBB336_263
.LBB336_509:
	s_mov_b32 s19, 0
	s_mov_b32 s0, s12
.LBB336_510:
                                        ; implicit-def: $vgpr2
.LBB336_511:
	s_and_not1_b32 s17, s12, exec_lo
	s_and_b32 s0, s0, exec_lo
	s_and_not1_b32 s20, s14, exec_lo
	s_and_b32 s16, s16, exec_lo
	s_or_b32 s17, s17, s0
	s_or_b32 s16, s20, s16
	s_or_not1_b32 s20, s19, exec_lo
.LBB336_512:
	s_or_b32 exec_lo, exec_lo, s18
	s_mov_b32 s19, 0
	s_mov_b32 s21, 0
	;; [unrolled: 1-line block ×3, first 2 shown]
                                        ; implicit-def: $vgpr0_vgpr1
                                        ; implicit-def: $vgpr5
	s_and_saveexec_b32 s18, s20
	s_cbranch_execz .LBB336_859
; %bb.513:
	s_mov_b32 s0, -1
	s_mov_b32 s20, s16
	s_mov_b32 s21, s17
	s_mov_b32 s19, exec_lo
	v_cmpx_gt_i32_e64 s13, v2
	s_cbranch_execz .LBB336_773
; %bb.514:
	v_mul_lo_u32 v0, v2, s9
	v_cmp_gt_i16_e32 vcc_lo, 11, v3
	s_delay_alu instid0(VALU_DEP_2) | instskip(SKIP_1) | instid1(VALU_DEP_1)
	v_ashrrev_i32_e32 v1, 31, v0
	v_add_co_u32 v0, s0, s6, v0
	v_add_co_ci_u32_e64 v1, s0, s7, v1, s0
	s_cbranch_vccnz .LBB336_521
; %bb.515:
	v_cmp_lt_i16_e32 vcc_lo, 25, v3
	s_cbranch_vccz .LBB336_522
; %bb.516:
	v_cmp_lt_i16_e32 vcc_lo, 28, v3
	s_cbranch_vccz .LBB336_523
	;; [unrolled: 3-line block ×4, first 2 shown]
; %bb.519:
	v_cmp_eq_u16_e32 vcc_lo, 46, v3
	s_mov_b32 s21, 0
	s_cbranch_vccz .LBB336_530
; %bb.520:
	global_load_b32 v4, v[0:1], off
	s_mov_b32 s0, -1
	s_mov_b32 s20, 0
	s_waitcnt vmcnt(0)
	v_lshlrev_b32_e32 v4, 16, v4
	s_delay_alu instid0(VALU_DEP_1)
	v_cvt_f16_f32_e32 v4, v4
	s_branch .LBB336_532
.LBB336_521:
	s_mov_b32 s21, -1
	s_mov_b32 s0, 0
	s_mov_b32 s20, s16
                                        ; implicit-def: $vgpr4
	s_branch .LBB336_597
.LBB336_522:
	s_mov_b32 s21, -1
	s_mov_b32 s0, 0
	s_mov_b32 s20, s16
                                        ; implicit-def: $vgpr4
	s_branch .LBB336_561
.LBB336_523:
	s_mov_b32 s21, -1
	s_mov_b32 s0, 0
	s_mov_b32 s20, s16
                                        ; implicit-def: $vgpr4
	s_branch .LBB336_542
.LBB336_524:
	s_mov_b32 s21, -1
	s_mov_b32 s0, 0
	s_mov_b32 s20, s16
                                        ; implicit-def: $vgpr4
	s_branch .LBB336_537
.LBB336_525:
	s_or_saveexec_b32 s20, s20
                                        ; implicit-def: $sgpr21
	s_delay_alu instid0(SALU_CYCLE_1)
	s_xor_b32 exec_lo, exec_lo, s20
	s_cbranch_execz .LBB336_309
.LBB336_526:
	v_add_f32_e64 v7, 0x46000000, |v6|
	s_and_not1_b32 s19, s19, exec_lo
	s_mov_b32 s21, 0
	s_delay_alu instid0(VALU_DEP_1) | instskip(NEXT) | instid1(VALU_DEP_1)
	v_and_b32_e32 v7, 0xff, v7
	v_cmp_ne_u32_e32 vcc_lo, 0, v7
	s_and_b32 s22, vcc_lo, exec_lo
	s_delay_alu instid0(SALU_CYCLE_1)
	s_or_b32 s19, s19, s22
	s_or_b32 exec_lo, exec_lo, s20
	v_mov_b32_e32 v8, s21
	s_and_saveexec_b32 s20, s19
	s_cbranch_execnz .LBB336_310
	s_branch .LBB336_311
.LBB336_527:
	s_mov_b32 s21, -1
	s_mov_b32 s0, 0
	s_mov_b32 s20, s16
	s_branch .LBB336_531
.LBB336_528:
	s_or_saveexec_b32 s20, s20
                                        ; implicit-def: $sgpr21
	s_delay_alu instid0(SALU_CYCLE_1)
	s_xor_b32 exec_lo, exec_lo, s20
	s_cbranch_execz .LBB336_322
.LBB336_529:
	v_add_f32_e64 v7, 0x42800000, |v6|
	s_and_not1_b32 s19, s19, exec_lo
	s_mov_b32 s21, 0
	s_delay_alu instid0(VALU_DEP_1) | instskip(NEXT) | instid1(VALU_DEP_1)
	v_and_b32_e32 v7, 0xff, v7
	v_cmp_ne_u32_e32 vcc_lo, 0, v7
	s_and_b32 s22, vcc_lo, exec_lo
	s_delay_alu instid0(SALU_CYCLE_1)
	s_or_b32 s19, s19, s22
	s_or_b32 exec_lo, exec_lo, s20
	v_mov_b32_e32 v8, s21
	s_and_saveexec_b32 s20, s19
	s_cbranch_execnz .LBB336_323
	s_branch .LBB336_324
.LBB336_530:
	s_mov_b32 s20, -1
	s_mov_b32 s0, 0
.LBB336_531:
                                        ; implicit-def: $vgpr4
.LBB336_532:
	s_and_b32 vcc_lo, exec_lo, s21
	s_cbranch_vccz .LBB336_536
; %bb.533:
	v_cmp_eq_u16_e32 vcc_lo, 44, v3
	s_cbranch_vccz .LBB336_535
; %bb.534:
	global_load_u8 v4, v[0:1], off
	s_mov_b32 s20, 0
	s_mov_b32 s0, -1
	s_waitcnt vmcnt(0)
	v_lshlrev_b32_e32 v5, 23, v4
	v_cmp_ne_u32_e32 vcc_lo, 0xff, v4
	s_delay_alu instid0(VALU_DEP_2) | instskip(NEXT) | instid1(VALU_DEP_1)
	v_cvt_f16_f32_e32 v5, v5
	v_cndmask_b32_e32 v5, 0x7e00, v5, vcc_lo
	v_cmp_ne_u32_e32 vcc_lo, 0, v4
	s_delay_alu instid0(VALU_DEP_2)
	v_cndmask_b32_e32 v4, 0, v5, vcc_lo
	s_branch .LBB336_536
.LBB336_535:
	s_mov_b32 s20, -1
                                        ; implicit-def: $vgpr4
.LBB336_536:
	s_mov_b32 s21, 0
.LBB336_537:
	s_delay_alu instid0(SALU_CYCLE_1)
	s_and_b32 vcc_lo, exec_lo, s21
	s_cbranch_vccz .LBB336_541
; %bb.538:
	v_cmp_eq_u16_e32 vcc_lo, 29, v3
	s_cbranch_vccz .LBB336_540
; %bb.539:
	global_load_b64 v[4:5], v[0:1], off
	s_mov_b32 s0, -1
	s_mov_b32 s20, 0
	s_mov_b32 s21, 0
	s_waitcnt vmcnt(0)
	v_clz_i32_u32_e32 v6, v5
	s_delay_alu instid0(VALU_DEP_1) | instskip(NEXT) | instid1(VALU_DEP_1)
	v_min_u32_e32 v6, 32, v6
	v_lshlrev_b64 v[4:5], v6, v[4:5]
	s_delay_alu instid0(VALU_DEP_1) | instskip(NEXT) | instid1(VALU_DEP_1)
	v_min_u32_e32 v4, 1, v4
	v_or_b32_e32 v4, v5, v4
	v_sub_nc_u32_e32 v5, 32, v6
	s_delay_alu instid0(VALU_DEP_2) | instskip(NEXT) | instid1(VALU_DEP_1)
	v_cvt_f32_u32_e32 v4, v4
	v_ldexp_f32 v4, v4, v5
	s_delay_alu instid0(VALU_DEP_1)
	v_cvt_f16_f32_e32 v4, v4
	s_branch .LBB336_542
.LBB336_540:
	s_mov_b32 s20, -1
                                        ; implicit-def: $vgpr4
.LBB336_541:
	s_mov_b32 s21, 0
.LBB336_542:
	s_delay_alu instid0(SALU_CYCLE_1)
	s_and_b32 vcc_lo, exec_lo, s21
	s_cbranch_vccz .LBB336_560
; %bb.543:
	v_cmp_gt_i16_e32 vcc_lo, 27, v3
	s_cbranch_vccnz .LBB336_546
; %bb.544:
	v_cmp_lt_i16_e32 vcc_lo, 27, v3
	s_cbranch_vccz .LBB336_547
; %bb.545:
	global_load_b32 v4, v[0:1], off
	s_mov_b32 s0, 0
	s_waitcnt vmcnt(0)
	v_cvt_f32_u32_e32 v4, v4
	s_delay_alu instid0(VALU_DEP_1)
	v_cvt_f16_f32_e32 v4, v4
	s_branch .LBB336_548
.LBB336_546:
	s_mov_b32 s0, -1
                                        ; implicit-def: $vgpr4
	s_branch .LBB336_551
.LBB336_547:
	s_mov_b32 s0, -1
                                        ; implicit-def: $vgpr4
.LBB336_548:
	s_delay_alu instid0(SALU_CYCLE_1)
	s_and_not1_b32 vcc_lo, exec_lo, s0
	s_cbranch_vccnz .LBB336_550
; %bb.549:
	global_load_u16 v4, v[0:1], off
	s_waitcnt vmcnt(0)
	v_cvt_f16_u16_e32 v4, v4
.LBB336_550:
	s_mov_b32 s0, 0
.LBB336_551:
	s_delay_alu instid0(SALU_CYCLE_1)
	s_and_not1_b32 vcc_lo, exec_lo, s0
	s_cbranch_vccnz .LBB336_559
; %bb.552:
	global_load_u8 v5, v[0:1], off
	s_mov_b32 s0, 0
	s_mov_b32 s22, exec_lo
                                        ; implicit-def: $sgpr21
	s_waitcnt vmcnt(0)
	v_cmpx_lt_i16_e32 0x7f, v5
	s_xor_b32 s22, exec_lo, s22
	s_cbranch_execz .LBB336_573
; %bb.553:
	s_mov_b32 s0, -1
	s_mov_b32 s23, exec_lo
                                        ; implicit-def: $sgpr21
	v_cmpx_eq_u16_e32 0x80, v5
; %bb.554:
	s_movk_i32 s21, 0x7e00
	s_xor_b32 s0, exec_lo, -1
; %bb.555:
	s_or_b32 exec_lo, exec_lo, s23
	s_delay_alu instid0(SALU_CYCLE_1)
	s_and_b32 s0, s0, exec_lo
	s_or_saveexec_b32 s22, s22
	v_mov_b32_e32 v4, s21
	s_xor_b32 exec_lo, exec_lo, s22
	s_cbranch_execnz .LBB336_574
.LBB336_556:
	s_or_b32 exec_lo, exec_lo, s22
	s_and_saveexec_b32 s21, s0
	s_cbranch_execz .LBB336_558
.LBB336_557:
	v_and_b32_e32 v4, 0xffff, v5
	s_delay_alu instid0(VALU_DEP_1) | instskip(NEXT) | instid1(VALU_DEP_1)
	v_and_b32_e32 v6, 7, v4
	v_clz_i32_u32_e32 v7, v6
	s_delay_alu instid0(VALU_DEP_1) | instskip(NEXT) | instid1(VALU_DEP_1)
	v_min_u32_e32 v7, 32, v7
	v_subrev_nc_u32_e32 v8, 28, v7
	v_sub_nc_u32_e32 v7, 29, v7
	s_delay_alu instid0(VALU_DEP_2) | instskip(SKIP_1) | instid1(VALU_DEP_2)
	v_lshlrev_b32_e32 v8, v8, v4
	v_bfe_u32 v4, v4, 3, 4
	v_and_b32_e32 v8, 7, v8
	s_delay_alu instid0(VALU_DEP_2) | instskip(SKIP_1) | instid1(VALU_DEP_1)
	v_cmp_eq_u32_e32 vcc_lo, 0, v4
	v_dual_cndmask_b32 v4, v4, v7 :: v_dual_lshlrev_b32 v5, 24, v5
	v_dual_cndmask_b32 v6, v6, v8 :: v_dual_and_b32 v5, 0x80000000, v5
	s_delay_alu instid0(VALU_DEP_2) | instskip(NEXT) | instid1(VALU_DEP_2)
	v_lshl_add_u32 v4, v4, 23, 0x3b800000
	v_lshlrev_b32_e32 v6, 20, v6
	s_delay_alu instid0(VALU_DEP_1) | instskip(NEXT) | instid1(VALU_DEP_1)
	v_or3_b32 v4, v5, v4, v6
	v_cvt_f16_f32_e32 v4, v4
.LBB336_558:
	s_or_b32 exec_lo, exec_lo, s21
.LBB336_559:
	s_mov_b32 s0, -1
.LBB336_560:
	s_mov_b32 s21, 0
.LBB336_561:
	s_delay_alu instid0(SALU_CYCLE_1)
	s_and_b32 vcc_lo, exec_lo, s21
	s_cbranch_vccz .LBB336_596
; %bb.562:
	v_cmp_lt_i16_e32 vcc_lo, 22, v3
	s_cbranch_vccz .LBB336_572
; %bb.563:
	v_cmp_gt_i16_e32 vcc_lo, 24, v3
	s_cbranch_vccnz .LBB336_575
; %bb.564:
	v_cmp_lt_i16_e32 vcc_lo, 24, v3
	s_cbranch_vccz .LBB336_576
; %bb.565:
	global_load_u8 v5, v[0:1], off
	s_mov_b32 s0, 0
	s_mov_b32 s22, exec_lo
                                        ; implicit-def: $sgpr21
	s_waitcnt vmcnt(0)
	v_cmpx_lt_i16_e32 0x7f, v5
	s_xor_b32 s22, exec_lo, s22
	s_cbranch_execz .LBB336_588
; %bb.566:
	s_mov_b32 s0, -1
	s_mov_b32 s23, exec_lo
                                        ; implicit-def: $sgpr21
	v_cmpx_eq_u16_e32 0x80, v5
; %bb.567:
	s_movk_i32 s21, 0x7e00
	s_xor_b32 s0, exec_lo, -1
; %bb.568:
	s_or_b32 exec_lo, exec_lo, s23
	s_delay_alu instid0(SALU_CYCLE_1)
	s_and_b32 s0, s0, exec_lo
	s_or_saveexec_b32 s22, s22
	v_mov_b32_e32 v4, s21
	s_xor_b32 exec_lo, exec_lo, s22
	s_cbranch_execnz .LBB336_589
.LBB336_569:
	s_or_b32 exec_lo, exec_lo, s22
	s_and_saveexec_b32 s21, s0
	s_cbranch_execz .LBB336_571
.LBB336_570:
	v_and_b32_e32 v4, 0xffff, v5
	s_delay_alu instid0(VALU_DEP_1) | instskip(NEXT) | instid1(VALU_DEP_1)
	v_and_b32_e32 v6, 3, v4
	v_clz_i32_u32_e32 v7, v6
	s_delay_alu instid0(VALU_DEP_1) | instskip(NEXT) | instid1(VALU_DEP_1)
	v_min_u32_e32 v7, 32, v7
	v_subrev_nc_u32_e32 v8, 29, v7
	v_sub_nc_u32_e32 v7, 30, v7
	s_delay_alu instid0(VALU_DEP_2) | instskip(SKIP_1) | instid1(VALU_DEP_2)
	v_lshlrev_b32_e32 v8, v8, v4
	v_bfe_u32 v4, v4, 2, 5
	v_and_b32_e32 v8, 3, v8
	s_delay_alu instid0(VALU_DEP_2) | instskip(SKIP_1) | instid1(VALU_DEP_1)
	v_cmp_eq_u32_e32 vcc_lo, 0, v4
	v_dual_cndmask_b32 v4, v4, v7 :: v_dual_lshlrev_b32 v5, 24, v5
	v_dual_cndmask_b32 v6, v6, v8 :: v_dual_and_b32 v5, 0x80000000, v5
	s_delay_alu instid0(VALU_DEP_2) | instskip(NEXT) | instid1(VALU_DEP_2)
	v_lshl_add_u32 v4, v4, 23, 0x37800000
	v_lshlrev_b32_e32 v6, 21, v6
	s_delay_alu instid0(VALU_DEP_1) | instskip(NEXT) | instid1(VALU_DEP_1)
	v_or3_b32 v4, v5, v4, v6
	v_cvt_f16_f32_e32 v4, v4
.LBB336_571:
	s_or_b32 exec_lo, exec_lo, s21
	s_mov_b32 s0, 0
	s_branch .LBB336_577
.LBB336_572:
	s_mov_b32 s21, -1
                                        ; implicit-def: $vgpr4
	s_branch .LBB336_583
.LBB336_573:
	s_or_saveexec_b32 s22, s22
	v_mov_b32_e32 v4, s21
	s_xor_b32 exec_lo, exec_lo, s22
	s_cbranch_execz .LBB336_556
.LBB336_574:
	v_cmp_ne_u16_e32 vcc_lo, 0, v5
	v_mov_b32_e32 v4, v5
	s_and_not1_b32 s0, s0, exec_lo
	s_and_b32 s21, vcc_lo, exec_lo
	s_delay_alu instid0(SALU_CYCLE_1)
	s_or_b32 s0, s0, s21
	s_or_b32 exec_lo, exec_lo, s22
	s_and_saveexec_b32 s21, s0
	s_cbranch_execnz .LBB336_557
	s_branch .LBB336_558
.LBB336_575:
	s_mov_b32 s0, -1
                                        ; implicit-def: $vgpr4
	s_branch .LBB336_580
.LBB336_576:
	s_mov_b32 s0, -1
                                        ; implicit-def: $vgpr4
.LBB336_577:
	s_delay_alu instid0(SALU_CYCLE_1)
	s_and_b32 vcc_lo, exec_lo, s0
	s_cbranch_vccz .LBB336_579
; %bb.578:
	global_load_u8 v4, v[0:1], off
	s_waitcnt vmcnt(0)
	v_lshlrev_b32_e32 v4, 24, v4
	s_delay_alu instid0(VALU_DEP_1) | instskip(NEXT) | instid1(VALU_DEP_1)
	v_and_b32_e32 v5, 0x7f000000, v4
	v_clz_i32_u32_e32 v6, v5
	v_add_nc_u32_e32 v8, 0x1000000, v5
	v_cmp_ne_u32_e32 vcc_lo, 0, v5
	s_delay_alu instid0(VALU_DEP_3) | instskip(NEXT) | instid1(VALU_DEP_1)
	v_min_u32_e32 v6, 32, v6
	v_sub_nc_u32_e64 v6, v6, 4 clamp
	s_delay_alu instid0(VALU_DEP_1) | instskip(SKIP_1) | instid1(VALU_DEP_2)
	v_lshlrev_b32_e32 v7, v6, v5
	v_lshlrev_b32_e32 v6, 23, v6
	v_lshrrev_b32_e32 v7, 4, v7
	s_delay_alu instid0(VALU_DEP_1) | instskip(SKIP_1) | instid1(VALU_DEP_2)
	v_sub_nc_u32_e32 v6, v7, v6
	v_ashrrev_i32_e32 v7, 8, v8
	v_add_nc_u32_e32 v6, 0x3c000000, v6
	s_delay_alu instid0(VALU_DEP_1) | instskip(NEXT) | instid1(VALU_DEP_1)
	v_and_or_b32 v6, 0x7f800000, v7, v6
	v_cndmask_b32_e32 v5, 0, v6, vcc_lo
	s_delay_alu instid0(VALU_DEP_1) | instskip(NEXT) | instid1(VALU_DEP_1)
	v_and_or_b32 v4, 0x80000000, v4, v5
	v_cvt_f16_f32_e32 v4, v4
.LBB336_579:
	s_mov_b32 s0, 0
.LBB336_580:
	s_delay_alu instid0(SALU_CYCLE_1)
	s_and_not1_b32 vcc_lo, exec_lo, s0
	s_cbranch_vccnz .LBB336_582
; %bb.581:
	global_load_u8 v4, v[0:1], off
	s_waitcnt vmcnt(0)
	v_lshlrev_b32_e32 v5, 25, v4
	v_lshlrev_b16 v4, 8, v4
	s_delay_alu instid0(VALU_DEP_2) | instskip(NEXT) | instid1(VALU_DEP_2)
	v_lshrrev_b32_e32 v6, 4, v5
	v_and_or_b32 v7, 0x7f00, v4, 0.5
	v_bfe_i32 v4, v4, 0, 16
	s_delay_alu instid0(VALU_DEP_3) | instskip(NEXT) | instid1(VALU_DEP_1)
	v_or_b32_e32 v6, 0x70000000, v6
	v_dual_add_f32 v7, -0.5, v7 :: v_dual_mul_f32 v6, 0x7800000, v6
	v_cmp_gt_u32_e32 vcc_lo, 0x8000000, v5
	s_delay_alu instid0(VALU_DEP_2) | instskip(NEXT) | instid1(VALU_DEP_1)
	v_cndmask_b32_e32 v5, v6, v7, vcc_lo
	v_and_or_b32 v4, 0x80000000, v4, v5
	s_delay_alu instid0(VALU_DEP_1)
	v_cvt_f16_f32_e32 v4, v4
.LBB336_582:
	s_mov_b32 s21, 0
	s_mov_b32 s0, -1
.LBB336_583:
	s_and_not1_b32 vcc_lo, exec_lo, s21
	s_cbranch_vccnz .LBB336_596
; %bb.584:
	v_cmp_lt_i16_e32 vcc_lo, 14, v3
	s_cbranch_vccz .LBB336_587
; %bb.585:
	v_cmp_eq_u16_e32 vcc_lo, 15, v3
	s_cbranch_vccz .LBB336_590
; %bb.586:
	global_load_u16 v4, v[0:1], off
	s_mov_b32 s0, -1
	s_mov_b32 s20, 0
	s_waitcnt vmcnt(0)
	v_lshlrev_b32_e32 v4, 16, v4
	s_delay_alu instid0(VALU_DEP_1)
	v_cvt_f16_f32_e32 v4, v4
	s_branch .LBB336_591
.LBB336_587:
	s_mov_b32 s21, -1
                                        ; implicit-def: $vgpr4
	s_branch .LBB336_592
.LBB336_588:
	s_or_saveexec_b32 s22, s22
	v_mov_b32_e32 v4, s21
	s_xor_b32 exec_lo, exec_lo, s22
	s_cbranch_execz .LBB336_569
.LBB336_589:
	v_cmp_ne_u16_e32 vcc_lo, 0, v5
	v_mov_b32_e32 v4, v5
	s_and_not1_b32 s0, s0, exec_lo
	s_and_b32 s21, vcc_lo, exec_lo
	s_delay_alu instid0(SALU_CYCLE_1)
	s_or_b32 s0, s0, s21
	s_or_b32 exec_lo, exec_lo, s22
	s_and_saveexec_b32 s21, s0
	s_cbranch_execnz .LBB336_570
	s_branch .LBB336_571
.LBB336_590:
	s_mov_b32 s20, -1
                                        ; implicit-def: $vgpr4
.LBB336_591:
	s_mov_b32 s21, 0
.LBB336_592:
	s_delay_alu instid0(SALU_CYCLE_1)
	s_and_b32 vcc_lo, exec_lo, s21
	s_cbranch_vccz .LBB336_596
; %bb.593:
	v_cmp_eq_u16_e32 vcc_lo, 11, v3
	s_cbranch_vccz .LBB336_595
; %bb.594:
	global_load_u8 v4, v[0:1], off
	s_mov_b32 s20, 0
	s_mov_b32 s0, -1
	s_waitcnt vmcnt(0)
	v_cmp_ne_u16_e32 vcc_lo, 0, v4
	v_cndmask_b32_e64 v4, 0, 0x3c00, vcc_lo
	s_branch .LBB336_596
.LBB336_595:
	s_mov_b32 s20, -1
                                        ; implicit-def: $vgpr4
.LBB336_596:
	s_mov_b32 s21, 0
.LBB336_597:
	s_delay_alu instid0(SALU_CYCLE_1)
	s_and_b32 vcc_lo, exec_lo, s21
	s_cbranch_vccz .LBB336_646
; %bb.598:
	v_cmp_gt_i16_e32 vcc_lo, 5, v3
	s_cbranch_vccnz .LBB336_603
; %bb.599:
	v_cmp_gt_i16_e32 vcc_lo, 8, v3
	s_cbranch_vccnz .LBB336_604
	;; [unrolled: 3-line block ×3, first 2 shown]
; %bb.601:
	v_cmp_lt_i16_e32 vcc_lo, 9, v3
	s_cbranch_vccz .LBB336_606
; %bb.602:
	global_load_b64 v[4:5], v[0:1], off
	s_mov_b32 s0, 0
	s_waitcnt vmcnt(0)
	v_cvt_f32_f64_e32 v4, v[4:5]
	s_delay_alu instid0(VALU_DEP_1)
	v_cvt_f16_f32_e32 v4, v4
	s_branch .LBB336_607
.LBB336_603:
	s_mov_b32 s0, -1
                                        ; implicit-def: $vgpr4
	s_branch .LBB336_625
.LBB336_604:
	s_mov_b32 s0, -1
                                        ; implicit-def: $vgpr4
	s_branch .LBB336_613
.LBB336_605:
	s_mov_b32 s0, -1
                                        ; implicit-def: $vgpr4
	s_branch .LBB336_610
.LBB336_606:
	s_mov_b32 s0, -1
                                        ; implicit-def: $vgpr4
.LBB336_607:
	s_delay_alu instid0(SALU_CYCLE_1)
	s_and_not1_b32 vcc_lo, exec_lo, s0
	s_cbranch_vccnz .LBB336_609
; %bb.608:
	global_load_b32 v4, v[0:1], off
	s_waitcnt vmcnt(0)
	v_cvt_f16_f32_e32 v4, v4
.LBB336_609:
	s_mov_b32 s0, 0
.LBB336_610:
	s_delay_alu instid0(SALU_CYCLE_1)
	s_and_not1_b32 vcc_lo, exec_lo, s0
	s_cbranch_vccnz .LBB336_612
; %bb.611:
	global_load_b32 v4, v[0:1], off
.LBB336_612:
	s_mov_b32 s0, 0
.LBB336_613:
	s_delay_alu instid0(SALU_CYCLE_1)
	s_and_not1_b32 vcc_lo, exec_lo, s0
	s_cbranch_vccnz .LBB336_624
; %bb.614:
	v_cmp_gt_i16_e32 vcc_lo, 6, v3
	s_cbranch_vccnz .LBB336_617
; %bb.615:
	v_cmp_lt_i16_e32 vcc_lo, 6, v3
	s_cbranch_vccz .LBB336_618
; %bb.616:
	global_load_b64 v[4:5], v[0:1], off
	s_mov_b32 s0, 0
	s_waitcnt vmcnt(0)
	v_cvt_f32_f64_e32 v4, v[4:5]
	s_delay_alu instid0(VALU_DEP_1)
	v_cvt_f16_f32_e32 v4, v4
	s_branch .LBB336_619
.LBB336_617:
	s_mov_b32 s0, -1
                                        ; implicit-def: $vgpr4
	s_branch .LBB336_622
.LBB336_618:
	s_mov_b32 s0, -1
                                        ; implicit-def: $vgpr4
.LBB336_619:
	s_delay_alu instid0(SALU_CYCLE_1)
	s_and_not1_b32 vcc_lo, exec_lo, s0
	s_cbranch_vccnz .LBB336_621
; %bb.620:
	global_load_b32 v4, v[0:1], off
	s_waitcnt vmcnt(0)
	v_cvt_f16_f32_e32 v4, v4
.LBB336_621:
	s_mov_b32 s0, 0
.LBB336_622:
	s_delay_alu instid0(SALU_CYCLE_1)
	s_and_not1_b32 vcc_lo, exec_lo, s0
	s_cbranch_vccnz .LBB336_624
; %bb.623:
	global_load_u16 v4, v[0:1], off
.LBB336_624:
	s_mov_b32 s0, 0
.LBB336_625:
	s_delay_alu instid0(SALU_CYCLE_1)
	s_and_not1_b32 vcc_lo, exec_lo, s0
	s_cbranch_vccnz .LBB336_645
; %bb.626:
	v_cmp_gt_i16_e32 vcc_lo, 2, v3
	s_cbranch_vccnz .LBB336_630
; %bb.627:
	v_cmp_gt_i16_e32 vcc_lo, 3, v3
	s_cbranch_vccnz .LBB336_631
; %bb.628:
	v_cmp_lt_i16_e32 vcc_lo, 3, v3
	s_cbranch_vccz .LBB336_632
; %bb.629:
	global_load_b64 v[4:5], v[0:1], off
	s_mov_b32 s0, 0
	s_waitcnt vmcnt(0)
	v_xor_b32_e32 v6, v4, v5
	v_cls_i32_e32 v7, v5
	s_delay_alu instid0(VALU_DEP_2) | instskip(NEXT) | instid1(VALU_DEP_2)
	v_ashrrev_i32_e32 v6, 31, v6
	v_add_nc_u32_e32 v7, -1, v7
	s_delay_alu instid0(VALU_DEP_2) | instskip(NEXT) | instid1(VALU_DEP_1)
	v_add_nc_u32_e32 v6, 32, v6
	v_min_u32_e32 v6, v7, v6
	s_delay_alu instid0(VALU_DEP_1) | instskip(NEXT) | instid1(VALU_DEP_1)
	v_lshlrev_b64 v[4:5], v6, v[4:5]
	v_min_u32_e32 v4, 1, v4
	s_delay_alu instid0(VALU_DEP_1) | instskip(SKIP_1) | instid1(VALU_DEP_2)
	v_or_b32_e32 v4, v5, v4
	v_sub_nc_u32_e32 v5, 32, v6
	v_cvt_f32_i32_e32 v4, v4
	s_delay_alu instid0(VALU_DEP_1) | instskip(NEXT) | instid1(VALU_DEP_1)
	v_ldexp_f32 v4, v4, v5
	v_cvt_f16_f32_e32 v4, v4
	s_branch .LBB336_633
.LBB336_630:
	s_mov_b32 s0, -1
                                        ; implicit-def: $vgpr4
	s_branch .LBB336_639
.LBB336_631:
	s_mov_b32 s0, -1
                                        ; implicit-def: $vgpr4
	s_branch .LBB336_636
.LBB336_632:
	s_mov_b32 s0, -1
                                        ; implicit-def: $vgpr4
.LBB336_633:
	s_delay_alu instid0(SALU_CYCLE_1)
	s_and_not1_b32 vcc_lo, exec_lo, s0
	s_cbranch_vccnz .LBB336_635
; %bb.634:
	global_load_b32 v4, v[0:1], off
	s_waitcnt vmcnt(0)
	v_cvt_f32_i32_e32 v4, v4
	s_delay_alu instid0(VALU_DEP_1)
	v_cvt_f16_f32_e32 v4, v4
.LBB336_635:
	s_mov_b32 s0, 0
.LBB336_636:
	s_delay_alu instid0(SALU_CYCLE_1)
	s_and_not1_b32 vcc_lo, exec_lo, s0
	s_cbranch_vccnz .LBB336_638
; %bb.637:
	global_load_u16 v4, v[0:1], off
	s_waitcnt vmcnt(0)
	v_cvt_f16_i16_e32 v4, v4
.LBB336_638:
	s_mov_b32 s0, 0
.LBB336_639:
	s_delay_alu instid0(SALU_CYCLE_1)
	s_and_not1_b32 vcc_lo, exec_lo, s0
	s_cbranch_vccnz .LBB336_645
; %bb.640:
	v_cmp_lt_i16_e32 vcc_lo, 0, v3
	s_mov_b32 s0, 0
	s_cbranch_vccz .LBB336_642
; %bb.641:
	global_load_i8 v4, v[0:1], off
	s_waitcnt vmcnt(0)
	v_cvt_f16_i16_e32 v4, v4
	s_branch .LBB336_643
.LBB336_642:
	s_mov_b32 s0, -1
                                        ; implicit-def: $vgpr4
.LBB336_643:
	s_delay_alu instid0(SALU_CYCLE_1)
	s_and_not1_b32 vcc_lo, exec_lo, s0
	s_cbranch_vccnz .LBB336_645
; %bb.644:
	global_load_u8 v0, v[0:1], off
	s_waitcnt vmcnt(0)
	v_cvt_f16_u16_e32 v4, v0
.LBB336_645:
	s_mov_b32 s0, -1
.LBB336_646:
	s_delay_alu instid0(SALU_CYCLE_1)
	s_and_not1_b32 vcc_lo, exec_lo, s0
	s_cbranch_vccnz .LBB336_654
; %bb.647:
	s_waitcnt vmcnt(0)
	v_cmp_lt_f16_e32 vcc_lo, s10, v4
	v_mul_lo_u32 v1, v2, s8
	v_and_b32_e64 v5, 0xff, s11
	v_cmp_u_f16_e64 s0, v4, v4
	v_cndmask_b32_e32 v0, s10, v4, vcc_lo
	s_delay_alu instid0(VALU_DEP_4) | instskip(NEXT) | instid1(VALU_DEP_2)
	v_ashrrev_i32_e32 v6, 31, v1
	v_cmp_gt_f16_e32 vcc_lo, s1, v0
	v_cndmask_b32_e32 v0, s1, v0, vcc_lo
	v_cmp_gt_i16_e32 vcc_lo, 11, v5
	s_delay_alu instid0(VALU_DEP_2) | instskip(SKIP_1) | instid1(VALU_DEP_1)
	v_cndmask_b32_e64 v4, v0, v4, s0
	v_add_co_u32 v0, s0, s4, v1
	v_add_co_ci_u32_e64 v1, s0, s5, v6, s0
	s_cbranch_vccnz .LBB336_655
; %bb.648:
	v_cmp_lt_i16_e32 vcc_lo, 25, v5
	s_cbranch_vccz .LBB336_656
; %bb.649:
	v_cmp_lt_i16_e32 vcc_lo, 28, v5
	s_cbranch_vccz .LBB336_657
	;; [unrolled: 3-line block ×4, first 2 shown]
; %bb.652:
	v_cmp_eq_u16_e32 vcc_lo, 46, v5
	s_mov_b32 s22, 0
	s_mov_b32 s0, -1
	s_mov_b32 s21, 0
	s_cbranch_vccz .LBB336_660
; %bb.653:
	v_cvt_f32_f16_e32 v6, v4
	v_cmp_o_f16_e32 vcc_lo, v4, v4
	s_mov_b32 s21, -1
	s_mov_b32 s0, 0
	s_delay_alu instid0(VALU_DEP_2) | instskip(NEXT) | instid1(VALU_DEP_1)
	v_bfe_u32 v7, v6, 16, 1
	v_add3_u32 v6, v6, v7, 0x7fff
	s_delay_alu instid0(VALU_DEP_1) | instskip(NEXT) | instid1(VALU_DEP_1)
	v_lshrrev_b32_e32 v6, 16, v6
	v_cndmask_b32_e32 v6, 0x7fc0, v6, vcc_lo
	global_store_b32 v[0:1], v6, off
	s_branch .LBB336_660
.LBB336_654:
	s_mov_b32 s22, 0
	s_mov_b32 s0, s17
	s_branch .LBB336_771
.LBB336_655:
	s_mov_b32 s22, -1
	s_mov_b32 s21, 0
	s_mov_b32 s0, s17
	s_branch .LBB336_729
.LBB336_656:
	s_mov_b32 s22, -1
	s_mov_b32 s21, 0
	s_mov_b32 s0, s17
	s_branch .LBB336_687
.LBB336_657:
	s_mov_b32 s22, -1
	s_mov_b32 s21, 0
	s_mov_b32 s0, s17
	s_branch .LBB336_670
.LBB336_658:
	s_mov_b32 s22, -1
	s_mov_b32 s21, 0
	s_mov_b32 s0, s17
	s_branch .LBB336_666
.LBB336_659:
	s_mov_b32 s22, -1
	s_mov_b32 s21, 0
	s_mov_b32 s0, s17
.LBB336_660:
	s_and_b32 vcc_lo, exec_lo, s22
	s_cbranch_vccz .LBB336_665
; %bb.661:
	v_cmp_eq_u16_e32 vcc_lo, 44, v5
	s_mov_b32 s0, -1
	s_cbranch_vccz .LBB336_665
; %bb.662:
	v_cvt_f32_f16_e32 v6, v4
	v_mov_b32_e32 v7, 0xff
	s_mov_b32 s21, exec_lo
	s_delay_alu instid0(VALU_DEP_2) | instskip(NEXT) | instid1(VALU_DEP_1)
	v_bfe_u32 v8, v6, 23, 8
	v_cmpx_ne_u32_e32 0xff, v8
; %bb.663:
	v_and_b32_e32 v7, 0x400000, v6
	v_and_or_b32 v8, 0x3fffff, v6, v8
	v_lshrrev_b32_e32 v6, 23, v6
	s_delay_alu instid0(VALU_DEP_3) | instskip(NEXT) | instid1(VALU_DEP_3)
	v_cmp_ne_u32_e32 vcc_lo, 0, v7
	v_cmp_ne_u32_e64 s0, 0, v8
	s_delay_alu instid0(VALU_DEP_1) | instskip(NEXT) | instid1(SALU_CYCLE_1)
	s_and_b32 s0, vcc_lo, s0
	v_cndmask_b32_e64 v7, 0, 1, s0
	s_delay_alu instid0(VALU_DEP_1)
	v_add_nc_u32_e32 v7, v6, v7
; %bb.664:
	s_or_b32 exec_lo, exec_lo, s21
	s_mov_b32 s21, -1
	s_mov_b32 s0, 0
	global_store_b8 v[0:1], v7, off
.LBB336_665:
	s_mov_b32 s22, 0
.LBB336_666:
	s_delay_alu instid0(SALU_CYCLE_1)
	s_and_b32 vcc_lo, exec_lo, s22
	s_cbranch_vccz .LBB336_669
; %bb.667:
	v_cmp_eq_u16_e32 vcc_lo, 29, v5
	s_mov_b32 s0, -1
	s_cbranch_vccz .LBB336_669
; %bb.668:
	v_cvt_f32_f16_e32 v6, v4
	v_mov_b32_e32 v7, 0
	s_mov_b32 s0, 0
	s_mov_b32 s21, -1
	s_mov_b32 s22, 0
	v_cvt_u32_f32_e32 v6, v6
	global_store_b64 v[0:1], v[6:7], off
	s_branch .LBB336_670
.LBB336_669:
	s_mov_b32 s22, 0
.LBB336_670:
	s_delay_alu instid0(SALU_CYCLE_1)
	s_and_b32 vcc_lo, exec_lo, s22
	s_cbranch_vccz .LBB336_686
; %bb.671:
	v_cmp_gt_i16_e32 vcc_lo, 27, v5
	s_mov_b32 s21, -1
	s_cbranch_vccnz .LBB336_677
; %bb.672:
	v_cmp_lt_i16_e32 vcc_lo, 27, v5
	s_cbranch_vccz .LBB336_674
; %bb.673:
	v_cvt_f32_f16_e32 v6, v4
	s_mov_b32 s21, 0
	s_delay_alu instid0(VALU_DEP_1)
	v_cvt_u32_f32_e32 v6, v6
	global_store_b32 v[0:1], v6, off
.LBB336_674:
	s_and_not1_b32 vcc_lo, exec_lo, s21
	s_cbranch_vccnz .LBB336_676
; %bb.675:
	v_cvt_u16_f16_e32 v6, v4
	global_store_b16 v[0:1], v6, off
.LBB336_676:
	s_mov_b32 s21, 0
.LBB336_677:
	s_delay_alu instid0(SALU_CYCLE_1)
	s_and_not1_b32 vcc_lo, exec_lo, s21
	s_cbranch_vccnz .LBB336_685
; %bb.678:
	v_cvt_f32_f16_e32 v6, v4
	v_mov_b32_e32 v8, 0x80
	s_mov_b32 s21, exec_lo
	s_delay_alu instid0(VALU_DEP_2) | instskip(NEXT) | instid1(VALU_DEP_1)
	v_and_b32_e32 v7, 0x7fffffff, v6
	v_cmpx_gt_u32_e32 0x43800000, v7
	s_cbranch_execz .LBB336_684
; %bb.679:
	v_cmp_lt_u32_e32 vcc_lo, 0x3bffffff, v7
	s_mov_b32 s22, 0
                                        ; implicit-def: $vgpr7
	s_and_saveexec_b32 s23, vcc_lo
	s_delay_alu instid0(SALU_CYCLE_1)
	s_xor_b32 s23, exec_lo, s23
	s_cbranch_execz .LBB336_786
; %bb.680:
	v_bfe_u32 v7, v6, 20, 1
	s_mov_b32 s22, exec_lo
	s_delay_alu instid0(VALU_DEP_1) | instskip(NEXT) | instid1(VALU_DEP_1)
	v_add3_u32 v7, v6, v7, 0x487ffff
	v_lshrrev_b32_e32 v7, 20, v7
	s_or_saveexec_b32 s23, s23
                                        ; implicit-def: $sgpr24
	s_delay_alu instid0(SALU_CYCLE_1)
	s_xor_b32 exec_lo, exec_lo, s23
	s_cbranch_execnz .LBB336_787
.LBB336_681:
	s_or_b32 exec_lo, exec_lo, s23
	v_mov_b32_e32 v8, s24
	s_and_saveexec_b32 s23, s22
.LBB336_682:
	v_lshrrev_b32_e32 v6, 24, v6
	s_delay_alu instid0(VALU_DEP_1)
	v_and_or_b32 v8, 0x80, v6, v7
.LBB336_683:
	s_or_b32 exec_lo, exec_lo, s23
.LBB336_684:
	s_delay_alu instid0(SALU_CYCLE_1)
	s_or_b32 exec_lo, exec_lo, s21
	global_store_b8 v[0:1], v8, off
.LBB336_685:
	s_mov_b32 s21, -1
.LBB336_686:
	s_mov_b32 s22, 0
.LBB336_687:
	s_delay_alu instid0(SALU_CYCLE_1)
	s_and_b32 vcc_lo, exec_lo, s22
	s_cbranch_vccz .LBB336_728
; %bb.688:
	v_cmp_lt_i16_e32 vcc_lo, 22, v5
	s_mov_b32 s22, -1
	s_cbranch_vccz .LBB336_720
; %bb.689:
	v_cmp_gt_i16_e32 vcc_lo, 24, v5
	s_mov_b32 s21, -1
	s_cbranch_vccnz .LBB336_709
; %bb.690:
	v_cmp_lt_i16_e32 vcc_lo, 24, v5
	s_cbranch_vccz .LBB336_698
; %bb.691:
	v_cvt_f32_f16_e32 v6, v4
	v_mov_b32_e32 v8, 0x80
	s_mov_b32 s21, exec_lo
	s_delay_alu instid0(VALU_DEP_2) | instskip(NEXT) | instid1(VALU_DEP_1)
	v_and_b32_e32 v7, 0x7fffffff, v6
	v_cmpx_gt_u32_e32 0x47800000, v7
	s_cbranch_execz .LBB336_697
; %bb.692:
	v_cmp_lt_u32_e32 vcc_lo, 0x37ffffff, v7
	s_mov_b32 s22, 0
                                        ; implicit-def: $vgpr7
	s_and_saveexec_b32 s23, vcc_lo
	s_delay_alu instid0(SALU_CYCLE_1)
	s_xor_b32 s23, exec_lo, s23
	s_cbranch_execz .LBB336_789
; %bb.693:
	v_bfe_u32 v7, v6, 21, 1
	s_mov_b32 s22, exec_lo
	s_delay_alu instid0(VALU_DEP_1) | instskip(NEXT) | instid1(VALU_DEP_1)
	v_add3_u32 v7, v6, v7, 0x88fffff
	v_lshrrev_b32_e32 v7, 21, v7
	s_or_saveexec_b32 s23, s23
                                        ; implicit-def: $sgpr24
	s_delay_alu instid0(SALU_CYCLE_1)
	s_xor_b32 exec_lo, exec_lo, s23
	s_cbranch_execnz .LBB336_790
.LBB336_694:
	s_or_b32 exec_lo, exec_lo, s23
	v_mov_b32_e32 v8, s24
	s_and_saveexec_b32 s23, s22
.LBB336_695:
	v_lshrrev_b32_e32 v6, 24, v6
	s_delay_alu instid0(VALU_DEP_1)
	v_and_or_b32 v8, 0x80, v6, v7
.LBB336_696:
	s_or_b32 exec_lo, exec_lo, s23
.LBB336_697:
	s_delay_alu instid0(SALU_CYCLE_1)
	s_or_b32 exec_lo, exec_lo, s21
	s_mov_b32 s21, 0
	global_store_b8 v[0:1], v8, off
.LBB336_698:
	s_and_b32 vcc_lo, exec_lo, s21
	s_cbranch_vccz .LBB336_708
; %bb.699:
	v_cvt_f32_f16_e32 v6, v4
	s_mov_b32 s21, exec_lo
                                        ; implicit-def: $vgpr7
	s_delay_alu instid0(VALU_DEP_1) | instskip(NEXT) | instid1(VALU_DEP_1)
	v_and_b32_e32 v8, 0x7fffffff, v6
	v_cmpx_gt_u32_e32 0x43f00000, v8
	s_xor_b32 s21, exec_lo, s21
	s_cbranch_execz .LBB336_705
; %bb.700:
	s_mov_b32 s22, exec_lo
                                        ; implicit-def: $vgpr7
	v_cmpx_lt_u32_e32 0x3c7fffff, v8
	s_xor_b32 s22, exec_lo, s22
; %bb.701:
	v_bfe_u32 v7, v6, 20, 1
	s_delay_alu instid0(VALU_DEP_1) | instskip(NEXT) | instid1(VALU_DEP_1)
	v_add3_u32 v7, v6, v7, 0x407ffff
	v_and_b32_e32 v8, 0xff00000, v7
	v_lshrrev_b32_e32 v7, 20, v7
	s_delay_alu instid0(VALU_DEP_2) | instskip(NEXT) | instid1(VALU_DEP_2)
	v_cmp_ne_u32_e32 vcc_lo, 0x7f00000, v8
	v_cndmask_b32_e32 v7, 0x7e, v7, vcc_lo
; %bb.702:
	s_and_not1_saveexec_b32 s22, s22
; %bb.703:
	v_add_f32_e64 v7, 0x46800000, |v6|
; %bb.704:
	s_or_b32 exec_lo, exec_lo, s22
                                        ; implicit-def: $vgpr8
.LBB336_705:
	s_and_not1_saveexec_b32 s21, s21
; %bb.706:
	v_mov_b32_e32 v7, 0x7f
	v_cmp_lt_u32_e32 vcc_lo, 0x7f800000, v8
	s_delay_alu instid0(VALU_DEP_2)
	v_cndmask_b32_e32 v7, 0x7e, v7, vcc_lo
; %bb.707:
	s_or_b32 exec_lo, exec_lo, s21
	v_lshrrev_b32_e32 v6, 24, v6
	s_delay_alu instid0(VALU_DEP_1)
	v_and_or_b32 v6, 0x80, v6, v7
	global_store_b8 v[0:1], v6, off
.LBB336_708:
	s_mov_b32 s21, 0
.LBB336_709:
	s_delay_alu instid0(SALU_CYCLE_1)
	s_and_not1_b32 vcc_lo, exec_lo, s21
	s_cbranch_vccnz .LBB336_719
; %bb.710:
	v_cvt_f32_f16_e32 v6, v4
	s_mov_b32 s21, exec_lo
                                        ; implicit-def: $vgpr7
	s_delay_alu instid0(VALU_DEP_1) | instskip(NEXT) | instid1(VALU_DEP_1)
	v_and_b32_e32 v8, 0x7fffffff, v6
	v_cmpx_gt_u32_e32 0x47800000, v8
	s_xor_b32 s21, exec_lo, s21
	s_cbranch_execz .LBB336_716
; %bb.711:
	s_mov_b32 s22, exec_lo
                                        ; implicit-def: $vgpr7
	v_cmpx_lt_u32_e32 0x387fffff, v8
	s_xor_b32 s22, exec_lo, s22
; %bb.712:
	v_bfe_u32 v7, v6, 21, 1
	s_delay_alu instid0(VALU_DEP_1) | instskip(NEXT) | instid1(VALU_DEP_1)
	v_add3_u32 v7, v6, v7, 0x80fffff
	v_lshrrev_b32_e32 v7, 21, v7
; %bb.713:
	s_and_not1_saveexec_b32 s22, s22
; %bb.714:
	v_add_f32_e64 v7, 0x43000000, |v6|
; %bb.715:
	s_or_b32 exec_lo, exec_lo, s22
                                        ; implicit-def: $vgpr8
.LBB336_716:
	s_and_not1_saveexec_b32 s21, s21
; %bb.717:
	v_mov_b32_e32 v7, 0x7f
	v_cmp_lt_u32_e32 vcc_lo, 0x7f800000, v8
	s_delay_alu instid0(VALU_DEP_2)
	v_cndmask_b32_e32 v7, 0x7c, v7, vcc_lo
; %bb.718:
	s_or_b32 exec_lo, exec_lo, s21
	v_lshrrev_b32_e32 v6, 24, v6
	s_delay_alu instid0(VALU_DEP_1)
	v_and_or_b32 v6, 0x80, v6, v7
	global_store_b8 v[0:1], v6, off
.LBB336_719:
	s_mov_b32 s22, 0
	s_mov_b32 s21, -1
.LBB336_720:
	s_and_not1_b32 vcc_lo, exec_lo, s22
	s_cbranch_vccnz .LBB336_728
; %bb.721:
	v_cmp_lt_i16_e32 vcc_lo, 14, v5
	s_mov_b32 s22, -1
	s_cbranch_vccz .LBB336_725
; %bb.722:
	v_cmp_eq_u16_e32 vcc_lo, 15, v5
	s_mov_b32 s0, -1
	s_cbranch_vccz .LBB336_724
; %bb.723:
	v_cvt_f32_f16_e32 v6, v4
	v_cmp_o_f16_e32 vcc_lo, v4, v4
	s_mov_b32 s21, -1
	s_mov_b32 s0, 0
	s_delay_alu instid0(VALU_DEP_2) | instskip(NEXT) | instid1(VALU_DEP_1)
	v_bfe_u32 v7, v6, 16, 1
	v_add3_u32 v6, v6, v7, 0x7fff
	s_delay_alu instid0(VALU_DEP_1) | instskip(NEXT) | instid1(VALU_DEP_1)
	v_lshrrev_b32_e32 v6, 16, v6
	v_cndmask_b32_e32 v6, 0x7fc0, v6, vcc_lo
	global_store_b16 v[0:1], v6, off
.LBB336_724:
	s_mov_b32 s22, 0
.LBB336_725:
	s_delay_alu instid0(SALU_CYCLE_1)
	s_and_b32 vcc_lo, exec_lo, s22
	s_cbranch_vccz .LBB336_728
; %bb.726:
	v_cmp_eq_u16_e32 vcc_lo, 11, v5
	s_mov_b32 s0, -1
	s_cbranch_vccz .LBB336_728
; %bb.727:
	v_and_b32_e32 v6, 0x7fff, v4
	s_mov_b32 s0, 0
	s_mov_b32 s21, -1
	s_delay_alu instid0(VALU_DEP_1)
	v_cmp_ne_u16_e32 vcc_lo, 0, v6
	v_cndmask_b32_e64 v6, 0, 1, vcc_lo
	global_store_b8 v[0:1], v6, off
.LBB336_728:
	s_mov_b32 s22, 0
.LBB336_729:
	s_delay_alu instid0(SALU_CYCLE_1)
	s_and_b32 vcc_lo, exec_lo, s22
	s_cbranch_vccz .LBB336_768
; %bb.730:
	v_cmp_gt_i16_e32 vcc_lo, 5, v5
	s_mov_b32 s21, -1
	s_cbranch_vccnz .LBB336_751
; %bb.731:
	v_cmp_gt_i16_e32 vcc_lo, 8, v5
	s_cbranch_vccnz .LBB336_741
; %bb.732:
	v_cmp_gt_i16_e32 vcc_lo, 9, v5
	s_cbranch_vccnz .LBB336_738
; %bb.733:
	v_cmp_lt_i16_e32 vcc_lo, 9, v5
	s_cbranch_vccz .LBB336_735
; %bb.734:
	v_cvt_f32_f16_e32 v6, v4
	v_mov_b32_e32 v8, 0
	s_mov_b32 s21, 0
	s_delay_alu instid0(VALU_DEP_2) | instskip(NEXT) | instid1(VALU_DEP_2)
	v_cvt_f64_f32_e32 v[6:7], v6
	v_mov_b32_e32 v9, v8
	global_store_b128 v[0:1], v[6:9], off
.LBB336_735:
	s_and_not1_b32 vcc_lo, exec_lo, s21
	s_cbranch_vccnz .LBB336_737
; %bb.736:
	v_cvt_f32_f16_e32 v6, v4
	v_mov_b32_e32 v7, 0
	global_store_b64 v[0:1], v[6:7], off
.LBB336_737:
	s_mov_b32 s21, 0
.LBB336_738:
	s_delay_alu instid0(SALU_CYCLE_1)
	s_and_not1_b32 vcc_lo, exec_lo, s21
	s_cbranch_vccnz .LBB336_740
; %bb.739:
	v_and_b32_e32 v6, 0xffff, v4
	global_store_b32 v[0:1], v6, off
.LBB336_740:
	s_mov_b32 s21, 0
.LBB336_741:
	s_delay_alu instid0(SALU_CYCLE_1)
	s_and_not1_b32 vcc_lo, exec_lo, s21
	s_cbranch_vccnz .LBB336_750
; %bb.742:
	v_cmp_gt_i16_e32 vcc_lo, 6, v5
	s_mov_b32 s21, -1
	s_cbranch_vccnz .LBB336_748
; %bb.743:
	v_cmp_lt_i16_e32 vcc_lo, 6, v5
	s_cbranch_vccz .LBB336_745
; %bb.744:
	v_cvt_f32_f16_e32 v6, v4
	s_mov_b32 s21, 0
	s_delay_alu instid0(VALU_DEP_1)
	v_cvt_f64_f32_e32 v[6:7], v6
	global_store_b64 v[0:1], v[6:7], off
.LBB336_745:
	s_and_not1_b32 vcc_lo, exec_lo, s21
	s_cbranch_vccnz .LBB336_747
; %bb.746:
	v_cvt_f32_f16_e32 v6, v4
	global_store_b32 v[0:1], v6, off
.LBB336_747:
	s_mov_b32 s21, 0
.LBB336_748:
	s_delay_alu instid0(SALU_CYCLE_1)
	s_and_not1_b32 vcc_lo, exec_lo, s21
	s_cbranch_vccnz .LBB336_750
; %bb.749:
	global_store_b16 v[0:1], v4, off
.LBB336_750:
	s_mov_b32 s21, 0
.LBB336_751:
	s_delay_alu instid0(SALU_CYCLE_1)
	s_and_not1_b32 vcc_lo, exec_lo, s21
	s_cbranch_vccnz .LBB336_767
; %bb.752:
	v_cmp_gt_i16_e32 vcc_lo, 2, v5
	s_mov_b32 s21, -1
	s_cbranch_vccnz .LBB336_762
; %bb.753:
	v_cmp_gt_i16_e32 vcc_lo, 3, v5
	s_cbranch_vccnz .LBB336_759
; %bb.754:
	v_cmp_lt_i16_e32 vcc_lo, 3, v5
	s_cbranch_vccz .LBB336_756
; %bb.755:
	v_cvt_f32_f16_e32 v6, v4
	s_mov_b32 s21, 0
	s_delay_alu instid0(VALU_DEP_1) | instskip(NEXT) | instid1(VALU_DEP_1)
	v_cvt_i32_f32_e32 v6, v6
	v_ashrrev_i32_e32 v7, 31, v6
	global_store_b64 v[0:1], v[6:7], off
.LBB336_756:
	s_and_not1_b32 vcc_lo, exec_lo, s21
	s_cbranch_vccnz .LBB336_758
; %bb.757:
	v_cvt_f32_f16_e32 v6, v4
	s_delay_alu instid0(VALU_DEP_1)
	v_cvt_i32_f32_e32 v6, v6
	global_store_b32 v[0:1], v6, off
.LBB336_758:
	s_mov_b32 s21, 0
.LBB336_759:
	s_delay_alu instid0(SALU_CYCLE_1)
	s_and_not1_b32 vcc_lo, exec_lo, s21
	s_cbranch_vccnz .LBB336_761
; %bb.760:
	v_cvt_i16_f16_e32 v6, v4
	global_store_b16 v[0:1], v6, off
.LBB336_761:
	s_mov_b32 s21, 0
.LBB336_762:
	s_delay_alu instid0(SALU_CYCLE_1)
	s_and_not1_b32 vcc_lo, exec_lo, s21
	s_cbranch_vccnz .LBB336_767
; %bb.763:
	v_cmp_lt_i16_e32 vcc_lo, 0, v5
	s_mov_b32 s21, -1
	s_cbranch_vccz .LBB336_765
; %bb.764:
	v_cvt_i16_f16_e32 v5, v4
	s_mov_b32 s21, 0
	global_store_b8 v[0:1], v5, off
.LBB336_765:
	s_and_not1_b32 vcc_lo, exec_lo, s21
	s_cbranch_vccnz .LBB336_767
; %bb.766:
	v_cvt_f32_f16_e32 v4, v4
	s_delay_alu instid0(VALU_DEP_1)
	v_cvt_i32_f32_e32 v4, v4
	global_store_b8 v[0:1], v4, off
.LBB336_767:
	s_mov_b32 s21, -1
.LBB336_768:
	s_delay_alu instid0(SALU_CYCLE_1)
	s_and_not1_b32 vcc_lo, exec_lo, s21
	s_cbranch_vccnz .LBB336_770
; %bb.769:
	v_add_nc_u32_e32 v2, 0x80, v2
	s_mov_b32 s22, -1
	s_branch .LBB336_772
.LBB336_770:
	s_mov_b32 s22, 0
.LBB336_771:
                                        ; implicit-def: $vgpr2
.LBB336_772:
	s_and_not1_b32 s21, s17, exec_lo
	s_and_b32 s0, s0, exec_lo
	s_and_not1_b32 s23, s16, exec_lo
	s_and_b32 s20, s20, exec_lo
	s_or_b32 s21, s21, s0
	s_or_b32 s20, s23, s20
	s_or_not1_b32 s0, s22, exec_lo
.LBB336_773:
	s_or_b32 exec_lo, exec_lo, s19
	s_mov_b32 s22, 0
	s_mov_b32 s23, 0
	;; [unrolled: 1-line block ×3, first 2 shown]
                                        ; implicit-def: $vgpr0_vgpr1
                                        ; implicit-def: $vgpr5
	s_and_saveexec_b32 s19, s0
	s_cbranch_execz .LBB336_858
; %bb.774:
	v_cmp_gt_i32_e32 vcc_lo, s13, v2
	s_mov_b32 s0, 0
	s_mov_b32 s22, s20
                                        ; implicit-def: $vgpr0_vgpr1
                                        ; implicit-def: $vgpr5
	s_and_saveexec_b32 s13, vcc_lo
	s_cbranch_execz .LBB336_857
; %bb.775:
	v_mul_lo_u32 v0, v2, s9
	v_cmp_gt_i16_e32 vcc_lo, 11, v3
	s_delay_alu instid0(VALU_DEP_2) | instskip(SKIP_1) | instid1(VALU_DEP_1)
	v_ashrrev_i32_e32 v1, 31, v0
	v_add_co_u32 v0, s0, s6, v0
	v_add_co_ci_u32_e64 v1, s0, s7, v1, s0
	s_cbranch_vccnz .LBB336_782
; %bb.776:
	v_cmp_lt_i16_e32 vcc_lo, 25, v3
	s_mov_b32 s22, 0
	s_cbranch_vccz .LBB336_783
; %bb.777:
	v_cmp_lt_i16_e32 vcc_lo, 28, v3
	s_cbranch_vccz .LBB336_784
; %bb.778:
	v_cmp_lt_i16_e32 vcc_lo, 43, v3
	;; [unrolled: 3-line block ×3, first 2 shown]
	s_cbranch_vccz .LBB336_788
; %bb.780:
	v_cmp_eq_u16_e32 vcc_lo, 46, v3
	s_cbranch_vccz .LBB336_791
; %bb.781:
	global_load_b32 v4, v[0:1], off
	s_mov_b32 s0, 0
	s_mov_b32 s23, -1
	s_waitcnt vmcnt(0)
	v_lshlrev_b32_e32 v4, 16, v4
	s_delay_alu instid0(VALU_DEP_1)
	v_cvt_f16_f32_e32 v5, v4
	s_branch .LBB336_793
.LBB336_782:
	s_mov_b32 s25, -1
	s_mov_b32 s22, 0
	s_mov_b32 s0, s20
                                        ; implicit-def: $vgpr5
	s_branch .LBB336_856
.LBB336_783:
	s_mov_b32 s24, -1
	s_mov_b32 s0, s20
                                        ; implicit-def: $vgpr5
	s_branch .LBB336_822
.LBB336_784:
	s_mov_b32 s24, -1
	s_mov_b32 s0, s20
                                        ; implicit-def: $vgpr5
	s_branch .LBB336_803
.LBB336_785:
	s_mov_b32 s24, -1
	s_mov_b32 s0, s20
                                        ; implicit-def: $vgpr5
	s_branch .LBB336_798
.LBB336_786:
	s_or_saveexec_b32 s23, s23
                                        ; implicit-def: $sgpr24
	s_delay_alu instid0(SALU_CYCLE_1)
	s_xor_b32 exec_lo, exec_lo, s23
	s_cbranch_execz .LBB336_681
.LBB336_787:
	v_add_f32_e64 v7, 0x46000000, |v6|
	s_and_not1_b32 s22, s22, exec_lo
	s_mov_b32 s24, 0
	s_delay_alu instid0(VALU_DEP_1) | instskip(NEXT) | instid1(VALU_DEP_1)
	v_and_b32_e32 v7, 0xff, v7
	v_cmp_ne_u32_e32 vcc_lo, 0, v7
	s_and_b32 s25, vcc_lo, exec_lo
	s_delay_alu instid0(SALU_CYCLE_1)
	s_or_b32 s22, s22, s25
	s_or_b32 exec_lo, exec_lo, s23
	v_mov_b32_e32 v8, s24
	s_and_saveexec_b32 s23, s22
	s_cbranch_execnz .LBB336_682
	s_branch .LBB336_683
.LBB336_788:
	s_mov_b32 s24, -1
	s_mov_b32 s0, s20
	s_branch .LBB336_792
.LBB336_789:
	s_or_saveexec_b32 s23, s23
                                        ; implicit-def: $sgpr24
	s_delay_alu instid0(SALU_CYCLE_1)
	s_xor_b32 exec_lo, exec_lo, s23
	s_cbranch_execz .LBB336_694
.LBB336_790:
	v_add_f32_e64 v7, 0x42800000, |v6|
	s_and_not1_b32 s22, s22, exec_lo
	s_mov_b32 s24, 0
	s_delay_alu instid0(VALU_DEP_1) | instskip(NEXT) | instid1(VALU_DEP_1)
	v_and_b32_e32 v7, 0xff, v7
	v_cmp_ne_u32_e32 vcc_lo, 0, v7
	s_and_b32 s25, vcc_lo, exec_lo
	s_delay_alu instid0(SALU_CYCLE_1)
	s_or_b32 s22, s22, s25
	s_or_b32 exec_lo, exec_lo, s23
	v_mov_b32_e32 v8, s24
	s_and_saveexec_b32 s23, s22
	s_cbranch_execnz .LBB336_695
	s_branch .LBB336_696
.LBB336_791:
	s_mov_b32 s0, -1
.LBB336_792:
                                        ; implicit-def: $vgpr5
.LBB336_793:
	s_and_b32 vcc_lo, exec_lo, s24
	s_cbranch_vccz .LBB336_797
; %bb.794:
	v_cmp_eq_u16_e32 vcc_lo, 44, v3
	s_cbranch_vccz .LBB336_796
; %bb.795:
	global_load_u8 v4, v[0:1], off
	s_mov_b32 s0, 0
	s_mov_b32 s23, -1
	s_waitcnt vmcnt(0)
	v_lshlrev_b32_e32 v5, 23, v4
	v_cmp_ne_u32_e32 vcc_lo, 0xff, v4
	s_delay_alu instid0(VALU_DEP_2) | instskip(NEXT) | instid1(VALU_DEP_1)
	v_cvt_f16_f32_e32 v5, v5
	v_cndmask_b32_e32 v5, 0x7e00, v5, vcc_lo
	v_cmp_ne_u32_e32 vcc_lo, 0, v4
	s_delay_alu instid0(VALU_DEP_2)
	v_cndmask_b32_e32 v5, 0, v5, vcc_lo
	s_branch .LBB336_797
.LBB336_796:
	s_mov_b32 s0, -1
                                        ; implicit-def: $vgpr5
.LBB336_797:
	s_mov_b32 s24, 0
.LBB336_798:
	s_delay_alu instid0(SALU_CYCLE_1)
	s_and_b32 vcc_lo, exec_lo, s24
	s_cbranch_vccz .LBB336_802
; %bb.799:
	v_cmp_eq_u16_e32 vcc_lo, 29, v3
	s_cbranch_vccz .LBB336_801
; %bb.800:
	global_load_b64 v[4:5], v[0:1], off
	s_mov_b32 s0, 0
	s_mov_b32 s23, -1
	s_mov_b32 s24, 0
	s_waitcnt vmcnt(0)
	v_clz_i32_u32_e32 v6, v5
	s_delay_alu instid0(VALU_DEP_1) | instskip(NEXT) | instid1(VALU_DEP_1)
	v_min_u32_e32 v6, 32, v6
	v_lshlrev_b64 v[4:5], v6, v[4:5]
	s_delay_alu instid0(VALU_DEP_1) | instskip(NEXT) | instid1(VALU_DEP_1)
	v_min_u32_e32 v4, 1, v4
	v_or_b32_e32 v4, v5, v4
	v_sub_nc_u32_e32 v5, 32, v6
	s_delay_alu instid0(VALU_DEP_2) | instskip(NEXT) | instid1(VALU_DEP_1)
	v_cvt_f32_u32_e32 v4, v4
	v_ldexp_f32 v4, v4, v5
	s_delay_alu instid0(VALU_DEP_1)
	v_cvt_f16_f32_e32 v5, v4
	s_branch .LBB336_803
.LBB336_801:
	s_mov_b32 s0, -1
                                        ; implicit-def: $vgpr5
.LBB336_802:
	s_mov_b32 s24, 0
.LBB336_803:
	s_delay_alu instid0(SALU_CYCLE_1)
	s_and_b32 vcc_lo, exec_lo, s24
	s_cbranch_vccz .LBB336_821
; %bb.804:
	v_cmp_gt_i16_e32 vcc_lo, 27, v3
	s_cbranch_vccnz .LBB336_807
; %bb.805:
	v_cmp_lt_i16_e32 vcc_lo, 27, v3
	s_cbranch_vccz .LBB336_808
; %bb.806:
	global_load_b32 v4, v[0:1], off
	s_mov_b32 s23, 0
	s_waitcnt vmcnt(0)
	v_cvt_f32_u32_e32 v4, v4
	s_delay_alu instid0(VALU_DEP_1)
	v_cvt_f16_f32_e32 v5, v4
	s_branch .LBB336_809
.LBB336_807:
	s_mov_b32 s23, -1
                                        ; implicit-def: $vgpr5
	s_branch .LBB336_812
.LBB336_808:
	s_mov_b32 s23, -1
                                        ; implicit-def: $vgpr5
.LBB336_809:
	s_delay_alu instid0(SALU_CYCLE_1)
	s_and_not1_b32 vcc_lo, exec_lo, s23
	s_cbranch_vccnz .LBB336_811
; %bb.810:
	global_load_u16 v4, v[0:1], off
	s_waitcnt vmcnt(0)
	v_cvt_f16_u16_e32 v5, v4
.LBB336_811:
	s_mov_b32 s23, 0
.LBB336_812:
	s_delay_alu instid0(SALU_CYCLE_1)
	s_and_not1_b32 vcc_lo, exec_lo, s23
	s_cbranch_vccnz .LBB336_820
; %bb.813:
	global_load_u8 v4, v[0:1], off
	s_mov_b32 s23, 0
	s_mov_b32 s25, exec_lo
                                        ; implicit-def: $sgpr24
	s_waitcnt vmcnt(0)
	v_cmpx_lt_i16_e32 0x7f, v4
	s_xor_b32 s25, exec_lo, s25
	s_cbranch_execz .LBB336_834
; %bb.814:
	s_mov_b32 s23, -1
	s_mov_b32 s26, exec_lo
                                        ; implicit-def: $sgpr24
	v_cmpx_eq_u16_e32 0x80, v4
; %bb.815:
	s_movk_i32 s24, 0x7e00
	s_xor_b32 s23, exec_lo, -1
; %bb.816:
	s_or_b32 exec_lo, exec_lo, s26
	s_delay_alu instid0(SALU_CYCLE_1)
	s_and_b32 s23, s23, exec_lo
	s_or_saveexec_b32 s25, s25
	v_mov_b32_e32 v5, s24
	s_xor_b32 exec_lo, exec_lo, s25
	s_cbranch_execnz .LBB336_835
.LBB336_817:
	s_or_b32 exec_lo, exec_lo, s25
	s_and_saveexec_b32 s24, s23
	s_cbranch_execz .LBB336_819
.LBB336_818:
	v_and_b32_e32 v5, 0xffff, v4
	v_lshlrev_b32_e32 v4, 24, v4
	s_delay_alu instid0(VALU_DEP_2) | instskip(NEXT) | instid1(VALU_DEP_2)
	v_and_b32_e32 v6, 7, v5
	v_and_b32_e32 v4, 0x80000000, v4
	s_delay_alu instid0(VALU_DEP_2) | instskip(NEXT) | instid1(VALU_DEP_1)
	v_clz_i32_u32_e32 v7, v6
	v_min_u32_e32 v7, 32, v7
	s_delay_alu instid0(VALU_DEP_1) | instskip(SKIP_1) | instid1(VALU_DEP_2)
	v_subrev_nc_u32_e32 v8, 28, v7
	v_sub_nc_u32_e32 v7, 29, v7
	v_lshlrev_b32_e32 v8, v8, v5
	v_bfe_u32 v5, v5, 3, 4
	s_delay_alu instid0(VALU_DEP_2) | instskip(NEXT) | instid1(VALU_DEP_2)
	v_and_b32_e32 v8, 7, v8
	v_cmp_eq_u32_e32 vcc_lo, 0, v5
	s_delay_alu instid0(VALU_DEP_2) | instskip(NEXT) | instid1(VALU_DEP_1)
	v_dual_cndmask_b32 v5, v5, v7 :: v_dual_cndmask_b32 v6, v6, v8
	v_lshl_add_u32 v5, v5, 23, 0x3b800000
	s_delay_alu instid0(VALU_DEP_2) | instskip(NEXT) | instid1(VALU_DEP_1)
	v_lshlrev_b32_e32 v6, 20, v6
	v_or3_b32 v4, v4, v5, v6
	s_delay_alu instid0(VALU_DEP_1)
	v_cvt_f16_f32_e32 v5, v4
.LBB336_819:
	s_or_b32 exec_lo, exec_lo, s24
.LBB336_820:
	s_mov_b32 s23, -1
.LBB336_821:
	s_mov_b32 s24, 0
.LBB336_822:
	s_delay_alu instid0(SALU_CYCLE_1)
	s_and_b32 vcc_lo, exec_lo, s24
	s_cbranch_vccz .LBB336_855
; %bb.823:
	v_cmp_lt_i16_e32 vcc_lo, 22, v3
	s_cbranch_vccz .LBB336_833
; %bb.824:
	v_cmp_gt_i16_e32 vcc_lo, 24, v3
	s_cbranch_vccnz .LBB336_836
; %bb.825:
	v_cmp_lt_i16_e32 vcc_lo, 24, v3
	s_cbranch_vccz .LBB336_837
; %bb.826:
	global_load_u8 v4, v[0:1], off
	s_mov_b32 s24, exec_lo
                                        ; implicit-def: $sgpr23
	s_waitcnt vmcnt(0)
	v_cmpx_lt_i16_e32 0x7f, v4
	s_xor_b32 s24, exec_lo, s24
	s_cbranch_execz .LBB336_849
; %bb.827:
	s_mov_b32 s22, -1
	s_mov_b32 s25, exec_lo
                                        ; implicit-def: $sgpr23
	v_cmpx_eq_u16_e32 0x80, v4
; %bb.828:
	s_movk_i32 s23, 0x7e00
	s_xor_b32 s22, exec_lo, -1
; %bb.829:
	s_or_b32 exec_lo, exec_lo, s25
	s_delay_alu instid0(SALU_CYCLE_1)
	s_and_b32 s22, s22, exec_lo
	s_or_saveexec_b32 s24, s24
	v_mov_b32_e32 v5, s23
	s_xor_b32 exec_lo, exec_lo, s24
	s_cbranch_execnz .LBB336_850
.LBB336_830:
	s_or_b32 exec_lo, exec_lo, s24
	s_and_saveexec_b32 s23, s22
	s_cbranch_execz .LBB336_832
.LBB336_831:
	v_and_b32_e32 v5, 0xffff, v4
	v_lshlrev_b32_e32 v4, 24, v4
	s_delay_alu instid0(VALU_DEP_2) | instskip(NEXT) | instid1(VALU_DEP_2)
	v_and_b32_e32 v6, 3, v5
	v_and_b32_e32 v4, 0x80000000, v4
	s_delay_alu instid0(VALU_DEP_2) | instskip(NEXT) | instid1(VALU_DEP_1)
	v_clz_i32_u32_e32 v7, v6
	v_min_u32_e32 v7, 32, v7
	s_delay_alu instid0(VALU_DEP_1) | instskip(SKIP_1) | instid1(VALU_DEP_2)
	v_subrev_nc_u32_e32 v8, 29, v7
	v_sub_nc_u32_e32 v7, 30, v7
	v_lshlrev_b32_e32 v8, v8, v5
	v_bfe_u32 v5, v5, 2, 5
	s_delay_alu instid0(VALU_DEP_2) | instskip(NEXT) | instid1(VALU_DEP_2)
	v_and_b32_e32 v8, 3, v8
	v_cmp_eq_u32_e32 vcc_lo, 0, v5
	s_delay_alu instid0(VALU_DEP_2) | instskip(NEXT) | instid1(VALU_DEP_1)
	v_dual_cndmask_b32 v5, v5, v7 :: v_dual_cndmask_b32 v6, v6, v8
	v_lshl_add_u32 v5, v5, 23, 0x37800000
	s_delay_alu instid0(VALU_DEP_2) | instskip(NEXT) | instid1(VALU_DEP_1)
	v_lshlrev_b32_e32 v6, 21, v6
	v_or3_b32 v4, v4, v5, v6
	s_delay_alu instid0(VALU_DEP_1)
	v_cvt_f16_f32_e32 v5, v4
.LBB336_832:
	s_or_b32 exec_lo, exec_lo, s23
	s_mov_b32 s22, 0
	s_branch .LBB336_838
.LBB336_833:
	s_mov_b32 s22, -1
                                        ; implicit-def: $vgpr5
	s_branch .LBB336_844
.LBB336_834:
	s_or_saveexec_b32 s25, s25
	v_mov_b32_e32 v5, s24
	s_xor_b32 exec_lo, exec_lo, s25
	s_cbranch_execz .LBB336_817
.LBB336_835:
	v_cmp_ne_u16_e32 vcc_lo, 0, v4
	v_mov_b32_e32 v5, v4
	s_and_not1_b32 s23, s23, exec_lo
	s_and_b32 s24, vcc_lo, exec_lo
	s_delay_alu instid0(SALU_CYCLE_1)
	s_or_b32 s23, s23, s24
	s_or_b32 exec_lo, exec_lo, s25
	s_and_saveexec_b32 s24, s23
	s_cbranch_execnz .LBB336_818
	s_branch .LBB336_819
.LBB336_836:
	s_mov_b32 s22, -1
                                        ; implicit-def: $vgpr5
	s_branch .LBB336_841
.LBB336_837:
	s_mov_b32 s22, -1
                                        ; implicit-def: $vgpr5
.LBB336_838:
	s_delay_alu instid0(SALU_CYCLE_1)
	s_and_b32 vcc_lo, exec_lo, s22
	s_cbranch_vccz .LBB336_840
; %bb.839:
	global_load_u8 v4, v[0:1], off
	s_waitcnt vmcnt(0)
	v_lshlrev_b32_e32 v4, 24, v4
	s_delay_alu instid0(VALU_DEP_1) | instskip(NEXT) | instid1(VALU_DEP_1)
	v_and_b32_e32 v5, 0x7f000000, v4
	v_clz_i32_u32_e32 v6, v5
	v_add_nc_u32_e32 v8, 0x1000000, v5
	v_cmp_ne_u32_e32 vcc_lo, 0, v5
	s_delay_alu instid0(VALU_DEP_3) | instskip(NEXT) | instid1(VALU_DEP_1)
	v_min_u32_e32 v6, 32, v6
	v_sub_nc_u32_e64 v6, v6, 4 clamp
	s_delay_alu instid0(VALU_DEP_1) | instskip(SKIP_1) | instid1(VALU_DEP_2)
	v_lshlrev_b32_e32 v7, v6, v5
	v_lshlrev_b32_e32 v6, 23, v6
	v_lshrrev_b32_e32 v7, 4, v7
	s_delay_alu instid0(VALU_DEP_1) | instskip(SKIP_1) | instid1(VALU_DEP_2)
	v_sub_nc_u32_e32 v6, v7, v6
	v_ashrrev_i32_e32 v7, 8, v8
	v_add_nc_u32_e32 v6, 0x3c000000, v6
	s_delay_alu instid0(VALU_DEP_1) | instskip(NEXT) | instid1(VALU_DEP_1)
	v_and_or_b32 v6, 0x7f800000, v7, v6
	v_cndmask_b32_e32 v5, 0, v6, vcc_lo
	s_delay_alu instid0(VALU_DEP_1) | instskip(NEXT) | instid1(VALU_DEP_1)
	v_and_or_b32 v4, 0x80000000, v4, v5
	v_cvt_f16_f32_e32 v5, v4
.LBB336_840:
	s_mov_b32 s22, 0
.LBB336_841:
	s_delay_alu instid0(SALU_CYCLE_1)
	s_and_not1_b32 vcc_lo, exec_lo, s22
	s_cbranch_vccnz .LBB336_843
; %bb.842:
	global_load_u8 v4, v[0:1], off
	s_waitcnt vmcnt(0)
	v_lshlrev_b32_e32 v5, 25, v4
	v_lshlrev_b16 v4, 8, v4
	s_delay_alu instid0(VALU_DEP_2) | instskip(NEXT) | instid1(VALU_DEP_2)
	v_lshrrev_b32_e32 v6, 4, v5
	v_and_or_b32 v7, 0x7f00, v4, 0.5
	v_bfe_i32 v4, v4, 0, 16
	s_delay_alu instid0(VALU_DEP_3) | instskip(NEXT) | instid1(VALU_DEP_1)
	v_or_b32_e32 v6, 0x70000000, v6
	v_dual_add_f32 v7, -0.5, v7 :: v_dual_mul_f32 v6, 0x7800000, v6
	v_cmp_gt_u32_e32 vcc_lo, 0x8000000, v5
	s_delay_alu instid0(VALU_DEP_2) | instskip(NEXT) | instid1(VALU_DEP_1)
	v_cndmask_b32_e32 v5, v6, v7, vcc_lo
	v_and_or_b32 v4, 0x80000000, v4, v5
	s_delay_alu instid0(VALU_DEP_1)
	v_cvt_f16_f32_e32 v5, v4
.LBB336_843:
	s_mov_b32 s22, 0
	s_mov_b32 s23, -1
.LBB336_844:
	s_and_not1_b32 vcc_lo, exec_lo, s22
	s_mov_b32 s22, 0
	s_cbranch_vccnz .LBB336_855
; %bb.845:
	v_cmp_lt_i16_e32 vcc_lo, 14, v3
	s_cbranch_vccz .LBB336_848
; %bb.846:
	v_cmp_eq_u16_e32 vcc_lo, 15, v3
	s_cbranch_vccz .LBB336_851
; %bb.847:
	global_load_u16 v4, v[0:1], off
	s_mov_b32 s0, 0
	s_mov_b32 s23, -1
	s_waitcnt vmcnt(0)
	v_lshlrev_b32_e32 v4, 16, v4
	s_delay_alu instid0(VALU_DEP_1)
	v_cvt_f16_f32_e32 v5, v4
	s_branch .LBB336_853
.LBB336_848:
	s_mov_b32 s22, -1
	s_branch .LBB336_852
.LBB336_849:
	s_or_saveexec_b32 s24, s24
	v_mov_b32_e32 v5, s23
	s_xor_b32 exec_lo, exec_lo, s24
	s_cbranch_execz .LBB336_830
.LBB336_850:
	v_cmp_ne_u16_e32 vcc_lo, 0, v4
	v_mov_b32_e32 v5, v4
	s_and_not1_b32 s22, s22, exec_lo
	s_and_b32 s23, vcc_lo, exec_lo
	s_delay_alu instid0(SALU_CYCLE_1)
	s_or_b32 s22, s22, s23
	s_or_b32 exec_lo, exec_lo, s24
	s_and_saveexec_b32 s23, s22
	s_cbranch_execnz .LBB336_831
	s_branch .LBB336_832
.LBB336_851:
	s_mov_b32 s0, -1
.LBB336_852:
                                        ; implicit-def: $vgpr5
.LBB336_853:
	s_and_b32 vcc_lo, exec_lo, s22
	s_mov_b32 s22, 0
	s_cbranch_vccz .LBB336_855
; %bb.854:
	v_cmp_ne_u16_e32 vcc_lo, 11, v3
	s_and_not1_b32 s0, s0, exec_lo
	s_mov_b32 s22, -1
                                        ; implicit-def: $vgpr5
	s_and_b32 s24, vcc_lo, exec_lo
	s_delay_alu instid0(SALU_CYCLE_1)
	s_or_b32 s0, s0, s24
.LBB336_855:
	s_mov_b32 s25, 0
.LBB336_856:
	s_and_b32 s24, s23, exec_lo
	s_and_b32 s23, s25, exec_lo
	s_and_not1_b32 s25, s20, exec_lo
	s_and_b32 s26, s0, exec_lo
	s_and_b32 s0, s22, exec_lo
	s_or_b32 s22, s25, s26
.LBB336_857:
	s_or_b32 exec_lo, exec_lo, s13
	s_delay_alu instid0(SALU_CYCLE_1)
	s_and_not1_b32 s13, s20, exec_lo
	s_and_b32 s20, s22, exec_lo
	s_and_b32 s24, s24, exec_lo
	;; [unrolled: 1-line block ×4, first 2 shown]
	s_or_b32 s20, s13, s20
.LBB336_858:
	s_or_b32 exec_lo, exec_lo, s19
	s_delay_alu instid0(SALU_CYCLE_1)
	s_and_not1_b32 s0, s17, exec_lo
	s_and_b32 s13, s21, exec_lo
	s_and_b32 s21, s23, exec_lo
	s_or_b32 s17, s0, s13
	s_and_not1_b32 s13, s16, exec_lo
	s_and_b32 s16, s20, exec_lo
	s_and_b32 s0, s24, exec_lo
	;; [unrolled: 1-line block ×3, first 2 shown]
	s_or_b32 s16, s13, s16
.LBB336_859:
	s_or_b32 exec_lo, exec_lo, s18
	s_delay_alu instid0(SALU_CYCLE_1)
	s_and_not1_b32 s12, s12, exec_lo
	s_and_b32 s13, s17, exec_lo
	s_and_b32 s0, s0, exec_lo
	s_or_b32 s12, s12, s13
	s_and_not1_b32 s13, s14, exec_lo
	s_and_b32 s14, s16, exec_lo
	s_and_b32 s17, s21, exec_lo
	;; [unrolled: 1-line block ×3, first 2 shown]
	s_or_b32 s14, s13, s14
.LBB336_860:
	s_or_b32 exec_lo, exec_lo, s15
	s_mov_b32 s13, 0
	s_and_saveexec_b32 s15, s14
	s_cbranch_execnz .LBB336_872
; %bb.861:
	s_or_b32 exec_lo, exec_lo, s15
	s_and_saveexec_b32 s14, s16
	s_delay_alu instid0(SALU_CYCLE_1)
	s_xor_b32 s14, exec_lo, s14
	s_cbranch_execz .LBB336_863
.LBB336_862:
	global_load_u8 v4, v[0:1], off
	s_or_b32 s0, s0, exec_lo
	s_waitcnt vmcnt(0)
	v_cmp_ne_u16_e32 vcc_lo, 0, v4
	v_cndmask_b32_e64 v5, 0, 0x3c00, vcc_lo
.LBB336_863:
	s_or_b32 exec_lo, exec_lo, s14
	s_and_saveexec_b32 s14, s17
	s_cbranch_execz .LBB336_911
; %bb.864:
	v_cmp_gt_i16_e32 vcc_lo, 5, v3
	s_cbranch_vccnz .LBB336_869
; %bb.865:
	v_cmp_gt_i16_e32 vcc_lo, 8, v3
	s_cbranch_vccnz .LBB336_870
	;; [unrolled: 3-line block ×3, first 2 shown]
; %bb.867:
	v_cmp_lt_i16_e32 vcc_lo, 9, v3
	s_cbranch_vccz .LBB336_874
; %bb.868:
	global_load_b64 v[4:5], v[0:1], off
	s_mov_b32 s15, 0
	s_waitcnt vmcnt(0)
	v_cvt_f32_f64_e32 v4, v[4:5]
	s_delay_alu instid0(VALU_DEP_1)
	v_cvt_f16_f32_e32 v5, v4
	s_branch .LBB336_875
.LBB336_869:
                                        ; implicit-def: $vgpr5
	s_branch .LBB336_892
.LBB336_870:
                                        ; implicit-def: $vgpr5
	s_branch .LBB336_881
.LBB336_871:
	s_mov_b32 s15, -1
                                        ; implicit-def: $vgpr5
	s_branch .LBB336_878
.LBB336_872:
	s_cbranch_execnz .LBB336_920
; %bb.873:
	s_mov_b32 s13, exec_lo
	s_and_not1_b32 s16, s16, exec_lo
                                        ; implicit-def: $vgpr5
	s_or_b32 exec_lo, exec_lo, s15
	s_and_saveexec_b32 s14, s16
	s_delay_alu instid0(SALU_CYCLE_1)
	s_xor_b32 s14, exec_lo, s14
	s_cbranch_execnz .LBB336_862
	s_branch .LBB336_863
.LBB336_874:
	s_mov_b32 s15, -1
                                        ; implicit-def: $vgpr5
.LBB336_875:
	s_delay_alu instid0(SALU_CYCLE_1)
	s_and_not1_b32 vcc_lo, exec_lo, s15
	s_cbranch_vccnz .LBB336_877
; %bb.876:
	global_load_b32 v4, v[0:1], off
	s_waitcnt vmcnt(0)
	v_cvt_f16_f32_e32 v5, v4
.LBB336_877:
	s_mov_b32 s15, 0
.LBB336_878:
	s_delay_alu instid0(SALU_CYCLE_1)
	s_and_not1_b32 vcc_lo, exec_lo, s15
	s_cbranch_vccnz .LBB336_880
; %bb.879:
	global_load_b32 v5, v[0:1], off
.LBB336_880:
	s_cbranch_execnz .LBB336_891
.LBB336_881:
	v_cmp_gt_i16_e32 vcc_lo, 6, v3
	s_cbranch_vccnz .LBB336_884
; %bb.882:
	v_cmp_lt_i16_e32 vcc_lo, 6, v3
	s_cbranch_vccz .LBB336_885
; %bb.883:
	global_load_b64 v[4:5], v[0:1], off
	s_mov_b32 s15, 0
	s_waitcnt vmcnt(0)
	v_cvt_f32_f64_e32 v4, v[4:5]
	s_delay_alu instid0(VALU_DEP_1)
	v_cvt_f16_f32_e32 v5, v4
	s_branch .LBB336_886
.LBB336_884:
	s_mov_b32 s15, -1
                                        ; implicit-def: $vgpr5
	s_branch .LBB336_889
.LBB336_885:
	s_mov_b32 s15, -1
                                        ; implicit-def: $vgpr5
.LBB336_886:
	s_delay_alu instid0(SALU_CYCLE_1)
	s_and_not1_b32 vcc_lo, exec_lo, s15
	s_cbranch_vccnz .LBB336_888
; %bb.887:
	global_load_b32 v4, v[0:1], off
	s_waitcnt vmcnt(0)
	v_cvt_f16_f32_e32 v5, v4
.LBB336_888:
	s_mov_b32 s15, 0
.LBB336_889:
	s_delay_alu instid0(SALU_CYCLE_1)
	s_and_not1_b32 vcc_lo, exec_lo, s15
	s_cbranch_vccnz .LBB336_891
; %bb.890:
	global_load_u16 v5, v[0:1], off
.LBB336_891:
	s_cbranch_execnz .LBB336_910
.LBB336_892:
	v_cmp_gt_i16_e32 vcc_lo, 2, v3
	s_cbranch_vccnz .LBB336_896
; %bb.893:
	v_cmp_gt_i16_e32 vcc_lo, 3, v3
	s_cbranch_vccnz .LBB336_897
; %bb.894:
	v_cmp_lt_i16_e32 vcc_lo, 3, v3
	s_cbranch_vccz .LBB336_898
; %bb.895:
	global_load_b64 v[4:5], v[0:1], off
	s_mov_b32 s15, 0
	s_waitcnt vmcnt(0)
	v_xor_b32_e32 v6, v4, v5
	v_cls_i32_e32 v7, v5
	s_delay_alu instid0(VALU_DEP_2) | instskip(NEXT) | instid1(VALU_DEP_2)
	v_ashrrev_i32_e32 v6, 31, v6
	v_add_nc_u32_e32 v7, -1, v7
	s_delay_alu instid0(VALU_DEP_2) | instskip(NEXT) | instid1(VALU_DEP_1)
	v_add_nc_u32_e32 v6, 32, v6
	v_min_u32_e32 v6, v7, v6
	s_delay_alu instid0(VALU_DEP_1) | instskip(NEXT) | instid1(VALU_DEP_1)
	v_lshlrev_b64 v[4:5], v6, v[4:5]
	v_min_u32_e32 v4, 1, v4
	s_delay_alu instid0(VALU_DEP_1) | instskip(SKIP_1) | instid1(VALU_DEP_2)
	v_or_b32_e32 v4, v5, v4
	v_sub_nc_u32_e32 v5, 32, v6
	v_cvt_f32_i32_e32 v4, v4
	s_delay_alu instid0(VALU_DEP_1) | instskip(NEXT) | instid1(VALU_DEP_1)
	v_ldexp_f32 v4, v4, v5
	v_cvt_f16_f32_e32 v5, v4
	s_branch .LBB336_899
.LBB336_896:
                                        ; implicit-def: $vgpr5
	s_branch .LBB336_905
.LBB336_897:
	s_mov_b32 s15, -1
                                        ; implicit-def: $vgpr5
	s_branch .LBB336_902
.LBB336_898:
	s_mov_b32 s15, -1
                                        ; implicit-def: $vgpr5
.LBB336_899:
	s_delay_alu instid0(SALU_CYCLE_1)
	s_and_not1_b32 vcc_lo, exec_lo, s15
	s_cbranch_vccnz .LBB336_901
; %bb.900:
	global_load_b32 v4, v[0:1], off
	s_waitcnt vmcnt(0)
	v_cvt_f32_i32_e32 v4, v4
	s_delay_alu instid0(VALU_DEP_1)
	v_cvt_f16_f32_e32 v5, v4
.LBB336_901:
	s_mov_b32 s15, 0
.LBB336_902:
	s_delay_alu instid0(SALU_CYCLE_1)
	s_and_not1_b32 vcc_lo, exec_lo, s15
	s_cbranch_vccnz .LBB336_904
; %bb.903:
	global_load_u16 v4, v[0:1], off
	s_waitcnt vmcnt(0)
	v_cvt_f16_i16_e32 v5, v4
.LBB336_904:
	s_cbranch_execnz .LBB336_910
.LBB336_905:
	v_cmp_lt_i16_e32 vcc_lo, 0, v3
	s_mov_b32 s15, 0
	s_cbranch_vccz .LBB336_907
; %bb.906:
	global_load_i8 v3, v[0:1], off
	s_waitcnt vmcnt(0)
	v_cvt_f16_i16_e32 v5, v3
	s_branch .LBB336_908
.LBB336_907:
	s_mov_b32 s15, -1
                                        ; implicit-def: $vgpr5
.LBB336_908:
	s_delay_alu instid0(SALU_CYCLE_1)
	s_and_not1_b32 vcc_lo, exec_lo, s15
	s_cbranch_vccnz .LBB336_910
; %bb.909:
	global_load_u8 v0, v[0:1], off
	s_waitcnt vmcnt(0)
	v_cvt_f16_u16_e32 v5, v0
.LBB336_910:
	s_or_b32 s0, s0, exec_lo
.LBB336_911:
	s_or_b32 exec_lo, exec_lo, s14
	s_mov_b32 s16, 0
	s_mov_b32 s15, 0
                                        ; implicit-def: $vgpr4
                                        ; implicit-def: $vgpr0_vgpr1
                                        ; implicit-def: $vgpr3
	s_and_saveexec_b32 s14, s0
	s_cbranch_execz .LBB336_991
; %bb.912:
	s_waitcnt vmcnt(0)
	v_cmp_lt_f16_e32 vcc_lo, s10, v5
	v_mul_lo_u32 v1, v2, s8
	v_and_b32_e64 v4, 0xff, s11
	v_cmp_u_f16_e64 s0, v5, v5
	v_cndmask_b32_e32 v0, s10, v5, vcc_lo
	s_delay_alu instid0(VALU_DEP_4) | instskip(NEXT) | instid1(VALU_DEP_2)
	v_ashrrev_i32_e32 v2, 31, v1
	v_cmp_gt_f16_e32 vcc_lo, s1, v0
	v_cndmask_b32_e32 v0, s1, v0, vcc_lo
	v_cmp_gt_i16_e32 vcc_lo, 11, v4
	s_delay_alu instid0(VALU_DEP_2) | instskip(SKIP_1) | instid1(VALU_DEP_1)
	v_cndmask_b32_e64 v3, v0, v5, s0
	v_add_co_u32 v0, s0, s4, v1
	v_add_co_ci_u32_e64 v1, s0, s5, v2, s0
	s_cbranch_vccnz .LBB336_919
; %bb.913:
	v_cmp_lt_i16_e32 vcc_lo, 25, v4
	s_mov_b32 s15, -1
	s_mov_b32 s0, s12
	s_cbranch_vccz .LBB336_949
; %bb.914:
	v_cmp_lt_i16_e32 vcc_lo, 28, v4
	s_mov_b32 s0, s12
	s_cbranch_vccz .LBB336_933
; %bb.915:
	v_cmp_lt_i16_e32 vcc_lo, 43, v4
	;; [unrolled: 4-line block ×3, first 2 shown]
	s_mov_b32 s0, s12
	s_cbranch_vccz .LBB336_923
; %bb.917:
	v_cmp_eq_u16_e32 vcc_lo, 46, v4
	s_mov_b32 s0, -1
	s_cbranch_vccz .LBB336_922
; %bb.918:
	v_cvt_f32_f16_e32 v2, v3
	v_cmp_o_f16_e32 vcc_lo, v3, v3
	s_mov_b32 s0, 0
	s_mov_b32 s15, 0
	s_delay_alu instid0(VALU_DEP_2) | instskip(NEXT) | instid1(VALU_DEP_1)
	v_bfe_u32 v5, v2, 16, 1
	v_add3_u32 v2, v2, v5, 0x7fff
	s_delay_alu instid0(VALU_DEP_1) | instskip(NEXT) | instid1(VALU_DEP_1)
	v_lshrrev_b32_e32 v2, 16, v2
	v_cndmask_b32_e32 v2, 0x7fc0, v2, vcc_lo
	global_store_b32 v[0:1], v2, off
	s_branch .LBB336_923
.LBB336_919:
	s_mov_b32 s15, -1
	s_mov_b32 s0, s12
	s_branch .LBB336_990
.LBB336_920:
	s_trap 2
	s_sendmsg_rtn_b32 s0, sendmsg(MSG_RTN_GET_DOORBELL)
	s_mov_b32 ttmp2, m0
	s_waitcnt lgkmcnt(0)
	s_and_b32 s0, s0, 0x3ff
	s_delay_alu instid0(SALU_CYCLE_1) | instskip(NEXT) | instid1(SALU_CYCLE_1)
	s_bitset1_b32 s0, 10
	s_mov_b32 m0, s0
	s_sendmsg sendmsg(MSG_INTERRUPT)
	s_mov_b32 m0, ttmp2
.LBB336_921:                            ; =>This Inner Loop Header: Depth=1
	s_sethalt 5
	s_branch .LBB336_921
.LBB336_922:
	s_mov_b32 s15, 0
.LBB336_923:
	s_delay_alu instid0(SALU_CYCLE_1)
	s_and_b32 vcc_lo, exec_lo, s15
	s_cbranch_vccz .LBB336_928
; %bb.924:
	v_cmp_eq_u16_e32 vcc_lo, 44, v4
	s_mov_b32 s0, -1
	s_cbranch_vccz .LBB336_928
; %bb.925:
	v_cvt_f32_f16_e32 v2, v3
	v_mov_b32_e32 v5, 0xff
	s_mov_b32 s15, exec_lo
	s_delay_alu instid0(VALU_DEP_2) | instskip(NEXT) | instid1(VALU_DEP_1)
	v_bfe_u32 v6, v2, 23, 8
	v_cmpx_ne_u32_e32 0xff, v6
; %bb.926:
	v_and_b32_e32 v5, 0x400000, v2
	v_and_or_b32 v6, 0x3fffff, v2, v6
	v_lshrrev_b32_e32 v2, 23, v2
	s_delay_alu instid0(VALU_DEP_3) | instskip(NEXT) | instid1(VALU_DEP_3)
	v_cmp_ne_u32_e32 vcc_lo, 0, v5
	v_cmp_ne_u32_e64 s0, 0, v6
	s_delay_alu instid0(VALU_DEP_1) | instskip(NEXT) | instid1(SALU_CYCLE_1)
	s_and_b32 s0, vcc_lo, s0
	v_cndmask_b32_e64 v5, 0, 1, s0
	s_delay_alu instid0(VALU_DEP_1)
	v_add_nc_u32_e32 v5, v2, v5
; %bb.927:
	s_or_b32 exec_lo, exec_lo, s15
	s_mov_b32 s0, 0
	global_store_b8 v[0:1], v5, off
.LBB336_928:
	s_mov_b32 s15, 0
.LBB336_929:
	s_delay_alu instid0(SALU_CYCLE_1)
	s_and_b32 vcc_lo, exec_lo, s15
	s_cbranch_vccz .LBB336_932
; %bb.930:
	v_cmp_eq_u16_e32 vcc_lo, 29, v4
	s_mov_b32 s0, -1
	s_cbranch_vccz .LBB336_932
; %bb.931:
	v_cvt_f32_f16_e32 v2, v3
	v_mov_b32_e32 v6, 0
	s_mov_b32 s0, 0
	s_mov_b32 s15, 0
	s_delay_alu instid0(VALU_DEP_2)
	v_cvt_u32_f32_e32 v5, v2
	global_store_b64 v[0:1], v[5:6], off
	s_branch .LBB336_933
.LBB336_932:
	s_mov_b32 s15, 0
.LBB336_933:
	s_delay_alu instid0(SALU_CYCLE_1)
	s_and_b32 vcc_lo, exec_lo, s15
	s_cbranch_vccz .LBB336_948
; %bb.934:
	v_cmp_gt_i16_e32 vcc_lo, 27, v4
	s_mov_b32 s15, -1
	s_cbranch_vccnz .LBB336_940
; %bb.935:
	v_cmp_lt_i16_e32 vcc_lo, 27, v4
	s_cbranch_vccz .LBB336_937
; %bb.936:
	v_cvt_f32_f16_e32 v2, v3
	s_mov_b32 s15, 0
	s_delay_alu instid0(VALU_DEP_1)
	v_cvt_u32_f32_e32 v2, v2
	global_store_b32 v[0:1], v2, off
.LBB336_937:
	s_and_not1_b32 vcc_lo, exec_lo, s15
	s_cbranch_vccnz .LBB336_939
; %bb.938:
	v_cvt_u16_f16_e32 v2, v3
	global_store_b16 v[0:1], v2, off
.LBB336_939:
	s_mov_b32 s15, 0
.LBB336_940:
	s_delay_alu instid0(SALU_CYCLE_1)
	s_and_not1_b32 vcc_lo, exec_lo, s15
	s_cbranch_vccnz .LBB336_948
; %bb.941:
	v_cvt_f32_f16_e32 v2, v3
	v_mov_b32_e32 v6, 0x80
	s_mov_b32 s15, exec_lo
	s_delay_alu instid0(VALU_DEP_2) | instskip(NEXT) | instid1(VALU_DEP_1)
	v_and_b32_e32 v5, 0x7fffffff, v2
	v_cmpx_gt_u32_e32 0x43800000, v5
	s_cbranch_execz .LBB336_947
; %bb.942:
	v_cmp_lt_u32_e32 vcc_lo, 0x3bffffff, v5
                                        ; implicit-def: $vgpr5
	s_and_saveexec_b32 s17, vcc_lo
	s_delay_alu instid0(SALU_CYCLE_1)
	s_xor_b32 s17, exec_lo, s17
	s_cbranch_execz .LBB336_1182
; %bb.943:
	v_bfe_u32 v5, v2, 20, 1
	s_mov_b32 s16, exec_lo
	s_delay_alu instid0(VALU_DEP_1) | instskip(NEXT) | instid1(VALU_DEP_1)
	v_add3_u32 v5, v2, v5, 0x487ffff
	v_lshrrev_b32_e32 v5, 20, v5
	s_or_saveexec_b32 s17, s17
                                        ; implicit-def: $sgpr18
	s_delay_alu instid0(SALU_CYCLE_1)
	s_xor_b32 exec_lo, exec_lo, s17
	s_cbranch_execnz .LBB336_1183
.LBB336_944:
	s_or_b32 exec_lo, exec_lo, s17
	v_mov_b32_e32 v6, s18
	s_and_saveexec_b32 s17, s16
.LBB336_945:
	v_lshrrev_b32_e32 v2, 24, v2
	s_delay_alu instid0(VALU_DEP_1)
	v_and_or_b32 v6, 0x80, v2, v5
.LBB336_946:
	s_or_b32 exec_lo, exec_lo, s17
.LBB336_947:
	s_delay_alu instid0(SALU_CYCLE_1)
	s_or_b32 exec_lo, exec_lo, s15
	global_store_b8 v[0:1], v6, off
.LBB336_948:
	s_mov_b32 s15, 0
.LBB336_949:
	s_delay_alu instid0(SALU_CYCLE_1)
	s_and_b32 vcc_lo, exec_lo, s15
	s_mov_b32 s15, 0
	s_cbranch_vccz .LBB336_989
; %bb.950:
	v_cmp_lt_i16_e32 vcc_lo, 22, v4
	s_mov_b32 s16, -1
	s_cbranch_vccz .LBB336_982
; %bb.951:
	v_cmp_gt_i16_e32 vcc_lo, 24, v4
	s_cbranch_vccnz .LBB336_971
; %bb.952:
	v_cmp_lt_i16_e32 vcc_lo, 24, v4
	s_cbranch_vccz .LBB336_960
; %bb.953:
	v_cvt_f32_f16_e32 v2, v3
	v_mov_b32_e32 v6, 0x80
	s_mov_b32 s16, exec_lo
	s_delay_alu instid0(VALU_DEP_2) | instskip(NEXT) | instid1(VALU_DEP_1)
	v_and_b32_e32 v5, 0x7fffffff, v2
	v_cmpx_gt_u32_e32 0x47800000, v5
	s_cbranch_execz .LBB336_959
; %bb.954:
	v_cmp_lt_u32_e32 vcc_lo, 0x37ffffff, v5
	s_mov_b32 s17, 0
                                        ; implicit-def: $vgpr5
	s_and_saveexec_b32 s18, vcc_lo
	s_delay_alu instid0(SALU_CYCLE_1)
	s_xor_b32 s18, exec_lo, s18
	s_cbranch_execz .LBB336_1226
; %bb.955:
	v_bfe_u32 v5, v2, 21, 1
	s_mov_b32 s17, exec_lo
	s_delay_alu instid0(VALU_DEP_1) | instskip(NEXT) | instid1(VALU_DEP_1)
	v_add3_u32 v5, v2, v5, 0x88fffff
	v_lshrrev_b32_e32 v5, 21, v5
	s_or_saveexec_b32 s18, s18
                                        ; implicit-def: $sgpr19
	s_delay_alu instid0(SALU_CYCLE_1)
	s_xor_b32 exec_lo, exec_lo, s18
	s_cbranch_execnz .LBB336_1227
.LBB336_956:
	s_or_b32 exec_lo, exec_lo, s18
	v_mov_b32_e32 v6, s19
	s_and_saveexec_b32 s18, s17
.LBB336_957:
	v_lshrrev_b32_e32 v2, 24, v2
	s_delay_alu instid0(VALU_DEP_1)
	v_and_or_b32 v6, 0x80, v2, v5
.LBB336_958:
	s_or_b32 exec_lo, exec_lo, s18
.LBB336_959:
	s_delay_alu instid0(SALU_CYCLE_1)
	s_or_b32 exec_lo, exec_lo, s16
	s_mov_b32 s16, 0
	global_store_b8 v[0:1], v6, off
.LBB336_960:
	s_and_b32 vcc_lo, exec_lo, s16
	s_cbranch_vccz .LBB336_970
; %bb.961:
	v_cvt_f32_f16_e32 v2, v3
	s_mov_b32 s16, exec_lo
                                        ; implicit-def: $vgpr5
	s_delay_alu instid0(VALU_DEP_1) | instskip(NEXT) | instid1(VALU_DEP_1)
	v_and_b32_e32 v6, 0x7fffffff, v2
	v_cmpx_gt_u32_e32 0x43f00000, v6
	s_xor_b32 s16, exec_lo, s16
	s_cbranch_execz .LBB336_967
; %bb.962:
	s_mov_b32 s17, exec_lo
                                        ; implicit-def: $vgpr5
	v_cmpx_lt_u32_e32 0x3c7fffff, v6
	s_xor_b32 s17, exec_lo, s17
; %bb.963:
	v_bfe_u32 v5, v2, 20, 1
	s_delay_alu instid0(VALU_DEP_1) | instskip(NEXT) | instid1(VALU_DEP_1)
	v_add3_u32 v5, v2, v5, 0x407ffff
	v_and_b32_e32 v6, 0xff00000, v5
	v_lshrrev_b32_e32 v5, 20, v5
	s_delay_alu instid0(VALU_DEP_2) | instskip(NEXT) | instid1(VALU_DEP_2)
	v_cmp_ne_u32_e32 vcc_lo, 0x7f00000, v6
	v_cndmask_b32_e32 v5, 0x7e, v5, vcc_lo
; %bb.964:
	s_and_not1_saveexec_b32 s17, s17
; %bb.965:
	v_add_f32_e64 v5, 0x46800000, |v2|
; %bb.966:
	s_or_b32 exec_lo, exec_lo, s17
                                        ; implicit-def: $vgpr6
.LBB336_967:
	s_and_not1_saveexec_b32 s16, s16
; %bb.968:
	v_mov_b32_e32 v5, 0x7f
	v_cmp_lt_u32_e32 vcc_lo, 0x7f800000, v6
	s_delay_alu instid0(VALU_DEP_2)
	v_cndmask_b32_e32 v5, 0x7e, v5, vcc_lo
; %bb.969:
	s_or_b32 exec_lo, exec_lo, s16
	v_lshrrev_b32_e32 v2, 24, v2
	s_delay_alu instid0(VALU_DEP_1)
	v_and_or_b32 v2, 0x80, v2, v5
	global_store_b8 v[0:1], v2, off
.LBB336_970:
	s_mov_b32 s16, 0
.LBB336_971:
	s_delay_alu instid0(SALU_CYCLE_1)
	s_and_not1_b32 vcc_lo, exec_lo, s16
	s_cbranch_vccnz .LBB336_981
; %bb.972:
	v_cvt_f32_f16_e32 v2, v3
	s_mov_b32 s16, exec_lo
                                        ; implicit-def: $vgpr5
	s_delay_alu instid0(VALU_DEP_1) | instskip(NEXT) | instid1(VALU_DEP_1)
	v_and_b32_e32 v6, 0x7fffffff, v2
	v_cmpx_gt_u32_e32 0x47800000, v6
	s_xor_b32 s16, exec_lo, s16
	s_cbranch_execz .LBB336_978
; %bb.973:
	s_mov_b32 s17, exec_lo
                                        ; implicit-def: $vgpr5
	v_cmpx_lt_u32_e32 0x387fffff, v6
	s_xor_b32 s17, exec_lo, s17
; %bb.974:
	v_bfe_u32 v5, v2, 21, 1
	s_delay_alu instid0(VALU_DEP_1) | instskip(NEXT) | instid1(VALU_DEP_1)
	v_add3_u32 v5, v2, v5, 0x80fffff
	v_lshrrev_b32_e32 v5, 21, v5
; %bb.975:
	s_and_not1_saveexec_b32 s17, s17
; %bb.976:
	v_add_f32_e64 v5, 0x43000000, |v2|
; %bb.977:
	s_or_b32 exec_lo, exec_lo, s17
                                        ; implicit-def: $vgpr6
.LBB336_978:
	s_and_not1_saveexec_b32 s16, s16
; %bb.979:
	v_mov_b32_e32 v5, 0x7f
	v_cmp_lt_u32_e32 vcc_lo, 0x7f800000, v6
	s_delay_alu instid0(VALU_DEP_2)
	v_cndmask_b32_e32 v5, 0x7c, v5, vcc_lo
; %bb.980:
	s_or_b32 exec_lo, exec_lo, s16
	v_lshrrev_b32_e32 v2, 24, v2
	s_delay_alu instid0(VALU_DEP_1)
	v_and_or_b32 v2, 0x80, v2, v5
	global_store_b8 v[0:1], v2, off
.LBB336_981:
	s_mov_b32 s16, 0
.LBB336_982:
	s_delay_alu instid0(SALU_CYCLE_1)
	s_and_not1_b32 vcc_lo, exec_lo, s16
	s_mov_b32 s16, 0
	s_cbranch_vccnz .LBB336_990
; %bb.983:
	v_cmp_lt_i16_e32 vcc_lo, 14, v4
	s_mov_b32 s16, -1
	s_cbranch_vccz .LBB336_987
; %bb.984:
	v_cmp_eq_u16_e32 vcc_lo, 15, v4
	s_mov_b32 s0, -1
	s_cbranch_vccz .LBB336_986
; %bb.985:
	v_cvt_f32_f16_e32 v2, v3
	v_cmp_o_f16_e32 vcc_lo, v3, v3
	s_mov_b32 s0, 0
	s_delay_alu instid0(VALU_DEP_2) | instskip(NEXT) | instid1(VALU_DEP_1)
	v_bfe_u32 v5, v2, 16, 1
	v_add3_u32 v2, v2, v5, 0x7fff
	s_delay_alu instid0(VALU_DEP_1) | instskip(NEXT) | instid1(VALU_DEP_1)
	v_lshrrev_b32_e32 v2, 16, v2
	v_cndmask_b32_e32 v2, 0x7fc0, v2, vcc_lo
	global_store_b16 v[0:1], v2, off
.LBB336_986:
	s_mov_b32 s16, 0
.LBB336_987:
	s_delay_alu instid0(SALU_CYCLE_1)
	s_and_b32 vcc_lo, exec_lo, s16
	s_mov_b32 s16, 0
	s_cbranch_vccz .LBB336_990
; %bb.988:
	v_cmp_ne_u16_e32 vcc_lo, 11, v4
	s_and_not1_b32 s0, s0, exec_lo
	s_mov_b32 s16, -1
	s_and_b32 s17, vcc_lo, exec_lo
	s_delay_alu instid0(SALU_CYCLE_1)
	s_or_b32 s0, s0, s17
	s_branch .LBB336_990
.LBB336_989:
	s_mov_b32 s16, 0
.LBB336_990:
	s_and_not1_b32 s12, s12, exec_lo
	s_and_b32 s0, s0, exec_lo
	s_and_b32 s15, s15, exec_lo
	;; [unrolled: 1-line block ×3, first 2 shown]
	s_or_b32 s12, s12, s0
.LBB336_991:
	s_or_b32 exec_lo, exec_lo, s14
	s_and_saveexec_b32 s0, s12
	s_cbranch_execnz .LBB336_1053
; %bb.992:
	s_or_b32 exec_lo, exec_lo, s0
	s_and_saveexec_b32 s0, s16
	s_delay_alu instid0(SALU_CYCLE_1)
	s_xor_b32 s0, exec_lo, s0
	s_cbranch_execz .LBB336_994
.LBB336_993:
	v_and_b32_e32 v2, 0x7fff, v3
	s_delay_alu instid0(VALU_DEP_1)
	v_cmp_ne_u16_e32 vcc_lo, 0, v2
	v_cndmask_b32_e64 v2, 0, 1, vcc_lo
	global_store_b8 v[0:1], v2, off
.LBB336_994:
	s_or_b32 exec_lo, exec_lo, s0
	s_and_saveexec_b32 s0, s15
	s_delay_alu instid0(SALU_CYCLE_1)
	s_xor_b32 s0, exec_lo, s0
	s_cbranch_execz .LBB336_1032
; %bb.995:
	s_waitcnt vmcnt(0)
	v_cmp_gt_i16_e32 vcc_lo, 5, v4
	s_mov_b32 s12, -1
	s_cbranch_vccnz .LBB336_1016
; %bb.996:
	v_cmp_gt_i16_e32 vcc_lo, 8, v4
	s_cbranch_vccnz .LBB336_1006
; %bb.997:
	v_cmp_gt_i16_e32 vcc_lo, 9, v4
	s_cbranch_vccnz .LBB336_1003
; %bb.998:
	v_cmp_lt_i16_e32 vcc_lo, 9, v4
	s_cbranch_vccz .LBB336_1000
; %bb.999:
	v_cvt_f32_f16_e32 v2, v3
	v_mov_b32_e32 v7, 0
	s_mov_b32 s12, 0
	s_delay_alu instid0(VALU_DEP_2) | instskip(NEXT) | instid1(VALU_DEP_2)
	v_cvt_f64_f32_e32 v[5:6], v2
	v_mov_b32_e32 v8, v7
	global_store_b128 v[0:1], v[5:8], off
.LBB336_1000:
	s_and_not1_b32 vcc_lo, exec_lo, s12
	s_cbranch_vccnz .LBB336_1002
; %bb.1001:
	v_cvt_f32_f16_e32 v5, v3
	v_mov_b32_e32 v6, 0
	global_store_b64 v[0:1], v[5:6], off
.LBB336_1002:
	s_mov_b32 s12, 0
.LBB336_1003:
	s_delay_alu instid0(SALU_CYCLE_1)
	s_and_not1_b32 vcc_lo, exec_lo, s12
	s_cbranch_vccnz .LBB336_1005
; %bb.1004:
	v_and_b32_e32 v2, 0xffff, v3
	global_store_b32 v[0:1], v2, off
.LBB336_1005:
	s_mov_b32 s12, 0
.LBB336_1006:
	s_delay_alu instid0(SALU_CYCLE_1)
	s_and_not1_b32 vcc_lo, exec_lo, s12
	s_cbranch_vccnz .LBB336_1015
; %bb.1007:
	v_cmp_gt_i16_e32 vcc_lo, 6, v4
	s_mov_b32 s12, -1
	s_cbranch_vccnz .LBB336_1013
; %bb.1008:
	v_cmp_lt_i16_e32 vcc_lo, 6, v4
	s_cbranch_vccz .LBB336_1010
; %bb.1009:
	v_cvt_f32_f16_e32 v2, v3
	s_mov_b32 s12, 0
	s_delay_alu instid0(VALU_DEP_1)
	v_cvt_f64_f32_e32 v[5:6], v2
	global_store_b64 v[0:1], v[5:6], off
.LBB336_1010:
	s_and_not1_b32 vcc_lo, exec_lo, s12
	s_cbranch_vccnz .LBB336_1012
; %bb.1011:
	v_cvt_f32_f16_e32 v2, v3
	global_store_b32 v[0:1], v2, off
.LBB336_1012:
	s_mov_b32 s12, 0
.LBB336_1013:
	s_delay_alu instid0(SALU_CYCLE_1)
	s_and_not1_b32 vcc_lo, exec_lo, s12
	s_cbranch_vccnz .LBB336_1015
; %bb.1014:
	global_store_b16 v[0:1], v3, off
.LBB336_1015:
	s_mov_b32 s12, 0
.LBB336_1016:
	s_delay_alu instid0(SALU_CYCLE_1)
	s_and_not1_b32 vcc_lo, exec_lo, s12
	s_cbranch_vccnz .LBB336_1032
; %bb.1017:
	v_cmp_gt_i16_e32 vcc_lo, 2, v4
	s_mov_b32 s12, -1
	s_cbranch_vccnz .LBB336_1027
; %bb.1018:
	v_cmp_gt_i16_e32 vcc_lo, 3, v4
	s_cbranch_vccnz .LBB336_1024
; %bb.1019:
	v_cmp_lt_i16_e32 vcc_lo, 3, v4
	s_cbranch_vccz .LBB336_1021
; %bb.1020:
	v_cvt_f32_f16_e32 v2, v3
	s_mov_b32 s12, 0
	s_delay_alu instid0(VALU_DEP_1) | instskip(NEXT) | instid1(VALU_DEP_1)
	v_cvt_i32_f32_e32 v5, v2
	v_ashrrev_i32_e32 v6, 31, v5
	global_store_b64 v[0:1], v[5:6], off
.LBB336_1021:
	s_and_not1_b32 vcc_lo, exec_lo, s12
	s_cbranch_vccnz .LBB336_1023
; %bb.1022:
	v_cvt_f32_f16_e32 v2, v3
	s_delay_alu instid0(VALU_DEP_1)
	v_cvt_i32_f32_e32 v2, v2
	global_store_b32 v[0:1], v2, off
.LBB336_1023:
	s_mov_b32 s12, 0
.LBB336_1024:
	s_delay_alu instid0(SALU_CYCLE_1)
	s_and_not1_b32 vcc_lo, exec_lo, s12
	s_cbranch_vccnz .LBB336_1026
; %bb.1025:
	v_cvt_i16_f16_e32 v2, v3
	global_store_b16 v[0:1], v2, off
.LBB336_1026:
	s_mov_b32 s12, 0
.LBB336_1027:
	s_delay_alu instid0(SALU_CYCLE_1)
	s_and_not1_b32 vcc_lo, exec_lo, s12
	s_cbranch_vccnz .LBB336_1032
; %bb.1028:
	v_cmp_lt_i16_e32 vcc_lo, 0, v4
	s_mov_b32 s12, -1
	s_cbranch_vccz .LBB336_1030
; %bb.1029:
	v_cvt_i16_f16_e32 v2, v3
	s_mov_b32 s12, 0
	global_store_b8 v[0:1], v2, off
.LBB336_1030:
	s_and_not1_b32 vcc_lo, exec_lo, s12
	s_cbranch_vccnz .LBB336_1032
; %bb.1031:
	v_cvt_f32_f16_e32 v2, v3
	s_delay_alu instid0(VALU_DEP_1)
	v_cvt_i32_f32_e32 v2, v2
	global_store_b8 v[0:1], v2, off
.LBB336_1032:
	s_or_b32 exec_lo, exec_lo, s0
	s_delay_alu instid0(SALU_CYCLE_1)
	s_and_b32 s12, s13, exec_lo
                                        ; implicit-def: $vgpr2
                                        ; implicit-def: $vgpr3
.LBB336_1033:
	s_or_saveexec_b32 s3, s3
	s_mov_b32 s0, 0
                                        ; implicit-def: $vgpr4
                                        ; implicit-def: $vgpr0_vgpr1
                                        ; implicit-def: $vgpr5
	s_xor_b32 exec_lo, exec_lo, s3
	s_cbranch_execz .LBB336_1998
; %bb.1034:
	s_waitcnt vmcnt(0)
	v_mul_lo_u32 v4, s9, v2
	v_cmp_gt_i16_e32 vcc_lo, 11, v3
	s_delay_alu instid0(VALU_DEP_2) | instskip(SKIP_1) | instid1(VALU_DEP_1)
	v_ashrrev_i32_e32 v1, 31, v4
	v_add_co_u32 v0, s0, s6, v4
	v_add_co_ci_u32_e64 v1, s0, s7, v1, s0
	s_cbranch_vccnz .LBB336_1041
; %bb.1035:
	v_cmp_lt_i16_e32 vcc_lo, 25, v3
	s_mov_b32 s13, 0
	s_cbranch_vccz .LBB336_1047
; %bb.1036:
	v_cmp_lt_i16_e32 vcc_lo, 28, v3
	s_cbranch_vccz .LBB336_1049
; %bb.1037:
	v_cmp_lt_i16_e32 vcc_lo, 43, v3
	;; [unrolled: 3-line block ×3, first 2 shown]
	s_cbranch_vccz .LBB336_1055
; %bb.1039:
	v_cmp_eq_u16_e32 vcc_lo, 46, v3
	s_cbranch_vccz .LBB336_1095
; %bb.1040:
	global_load_b32 v5, v[0:1], off
	s_mov_b32 s0, 0
	s_mov_b32 s14, -1
	s_waitcnt vmcnt(0)
	v_lshlrev_b32_e32 v5, 16, v5
	s_delay_alu instid0(VALU_DEP_1)
	v_cvt_f16_f32_e32 v5, v5
	s_branch .LBB336_1097
.LBB336_1041:
	s_mov_b32 s14, 0
	s_mov_b32 s2, s12
                                        ; implicit-def: $vgpr5
	s_cbranch_execz .LBB336_1160
; %bb.1042:
	v_cmp_gt_i16_e32 vcc_lo, 5, v3
	s_cbranch_vccnz .LBB336_1048
; %bb.1043:
	v_cmp_gt_i16_e32 vcc_lo, 8, v3
	s_cbranch_vccnz .LBB336_1050
; %bb.1044:
	v_cmp_gt_i16_e32 vcc_lo, 9, v3
	s_cbranch_vccnz .LBB336_1052
; %bb.1045:
	v_cmp_lt_i16_e32 vcc_lo, 9, v3
	s_cbranch_vccz .LBB336_1056
; %bb.1046:
	global_load_b64 v[5:6], v[0:1], off
	s_mov_b32 s0, 0
	s_waitcnt vmcnt(0)
	v_cvt_f32_f64_e32 v5, v[5:6]
	s_delay_alu instid0(VALU_DEP_1)
	v_cvt_f16_f32_e32 v5, v5
	s_branch .LBB336_1057
.LBB336_1047:
	s_mov_b32 s14, 0
	s_mov_b32 s0, 0
                                        ; implicit-def: $vgpr5
	s_cbranch_execnz .LBB336_1125
	s_branch .LBB336_1156
.LBB336_1048:
                                        ; implicit-def: $vgpr5
	s_branch .LBB336_1074
.LBB336_1049:
	s_mov_b32 s2, -1
	s_mov_b32 s14, 0
	s_mov_b32 s0, 0
                                        ; implicit-def: $vgpr5
	s_branch .LBB336_1106
.LBB336_1050:
                                        ; implicit-def: $vgpr5
	s_branch .LBB336_1063
.LBB336_1051:
	s_mov_b32 s14, 0
	s_mov_b32 s0, 0
                                        ; implicit-def: $vgpr5
	s_cbranch_execnz .LBB336_1102
	s_branch .LBB336_1105
.LBB336_1052:
	s_mov_b32 s0, -1
                                        ; implicit-def: $vgpr5
	s_branch .LBB336_1060
.LBB336_1053:
	s_cbranch_execnz .LBB336_1093
; %bb.1054:
	s_or_b32 s13, s13, exec_lo
	s_and_not1_b32 s16, s16, exec_lo
	s_or_b32 exec_lo, exec_lo, s0
	s_and_saveexec_b32 s0, s16
	s_delay_alu instid0(SALU_CYCLE_1)
	s_xor_b32 s0, exec_lo, s0
	s_cbranch_execnz .LBB336_993
	s_branch .LBB336_994
.LBB336_1055:
	s_mov_b32 s2, -1
	s_mov_b32 s14, 0
	s_mov_b32 s0, 0
	s_branch .LBB336_1096
.LBB336_1056:
	s_mov_b32 s0, -1
                                        ; implicit-def: $vgpr5
.LBB336_1057:
	s_delay_alu instid0(SALU_CYCLE_1)
	s_and_not1_b32 vcc_lo, exec_lo, s0
	s_cbranch_vccnz .LBB336_1059
; %bb.1058:
	global_load_b32 v5, v[0:1], off
	s_waitcnt vmcnt(0)
	v_cvt_f16_f32_e32 v5, v5
.LBB336_1059:
	s_mov_b32 s0, 0
.LBB336_1060:
	s_delay_alu instid0(SALU_CYCLE_1)
	s_and_not1_b32 vcc_lo, exec_lo, s0
	s_cbranch_vccnz .LBB336_1062
; %bb.1061:
	global_load_b32 v5, v[0:1], off
.LBB336_1062:
	s_cbranch_execnz .LBB336_1073
.LBB336_1063:
	v_cmp_gt_i16_e32 vcc_lo, 6, v3
	s_cbranch_vccnz .LBB336_1066
; %bb.1064:
	v_cmp_lt_i16_e32 vcc_lo, 6, v3
	s_cbranch_vccz .LBB336_1067
; %bb.1065:
	global_load_b64 v[5:6], v[0:1], off
	s_mov_b32 s0, 0
	s_waitcnt vmcnt(0)
	v_cvt_f32_f64_e32 v5, v[5:6]
	s_delay_alu instid0(VALU_DEP_1)
	v_cvt_f16_f32_e32 v5, v5
	s_branch .LBB336_1068
.LBB336_1066:
	s_mov_b32 s0, -1
                                        ; implicit-def: $vgpr5
	s_branch .LBB336_1071
.LBB336_1067:
	s_mov_b32 s0, -1
                                        ; implicit-def: $vgpr5
.LBB336_1068:
	s_delay_alu instid0(SALU_CYCLE_1)
	s_and_not1_b32 vcc_lo, exec_lo, s0
	s_cbranch_vccnz .LBB336_1070
; %bb.1069:
	global_load_b32 v5, v[0:1], off
	s_waitcnt vmcnt(0)
	v_cvt_f16_f32_e32 v5, v5
.LBB336_1070:
	s_mov_b32 s0, 0
.LBB336_1071:
	s_delay_alu instid0(SALU_CYCLE_1)
	s_and_not1_b32 vcc_lo, exec_lo, s0
	s_cbranch_vccnz .LBB336_1073
; %bb.1072:
	global_load_u16 v5, v[0:1], off
.LBB336_1073:
	s_cbranch_execnz .LBB336_1092
.LBB336_1074:
	v_cmp_gt_i16_e32 vcc_lo, 2, v3
	s_cbranch_vccnz .LBB336_1078
; %bb.1075:
	v_cmp_gt_i16_e32 vcc_lo, 3, v3
	s_cbranch_vccnz .LBB336_1079
; %bb.1076:
	v_cmp_lt_i16_e32 vcc_lo, 3, v3
	s_cbranch_vccz .LBB336_1080
; %bb.1077:
	global_load_b64 v[5:6], v[0:1], off
	s_mov_b32 s0, 0
	s_waitcnt vmcnt(0)
	v_xor_b32_e32 v7, v5, v6
	v_cls_i32_e32 v8, v6
	s_delay_alu instid0(VALU_DEP_2) | instskip(NEXT) | instid1(VALU_DEP_2)
	v_ashrrev_i32_e32 v7, 31, v7
	v_add_nc_u32_e32 v8, -1, v8
	s_delay_alu instid0(VALU_DEP_2) | instskip(NEXT) | instid1(VALU_DEP_1)
	v_add_nc_u32_e32 v7, 32, v7
	v_min_u32_e32 v7, v8, v7
	s_delay_alu instid0(VALU_DEP_1) | instskip(NEXT) | instid1(VALU_DEP_1)
	v_lshlrev_b64 v[5:6], v7, v[5:6]
	v_min_u32_e32 v5, 1, v5
	s_delay_alu instid0(VALU_DEP_1) | instskip(SKIP_1) | instid1(VALU_DEP_2)
	v_or_b32_e32 v5, v6, v5
	v_sub_nc_u32_e32 v6, 32, v7
	v_cvt_f32_i32_e32 v5, v5
	s_delay_alu instid0(VALU_DEP_1) | instskip(NEXT) | instid1(VALU_DEP_1)
	v_ldexp_f32 v5, v5, v6
	v_cvt_f16_f32_e32 v5, v5
	s_branch .LBB336_1081
.LBB336_1078:
                                        ; implicit-def: $vgpr5
	s_branch .LBB336_1087
.LBB336_1079:
	s_mov_b32 s0, -1
                                        ; implicit-def: $vgpr5
	s_branch .LBB336_1084
.LBB336_1080:
	s_mov_b32 s0, -1
                                        ; implicit-def: $vgpr5
.LBB336_1081:
	s_delay_alu instid0(SALU_CYCLE_1)
	s_and_not1_b32 vcc_lo, exec_lo, s0
	s_cbranch_vccnz .LBB336_1083
; %bb.1082:
	global_load_b32 v5, v[0:1], off
	s_waitcnt vmcnt(0)
	v_cvt_f32_i32_e32 v5, v5
	s_delay_alu instid0(VALU_DEP_1)
	v_cvt_f16_f32_e32 v5, v5
.LBB336_1083:
	s_mov_b32 s0, 0
.LBB336_1084:
	s_delay_alu instid0(SALU_CYCLE_1)
	s_and_not1_b32 vcc_lo, exec_lo, s0
	s_cbranch_vccnz .LBB336_1086
; %bb.1085:
	global_load_u16 v5, v[0:1], off
	s_waitcnt vmcnt(0)
	v_cvt_f16_i16_e32 v5, v5
.LBB336_1086:
	s_cbranch_execnz .LBB336_1092
.LBB336_1087:
	v_cmp_lt_i16_e32 vcc_lo, 0, v3
	s_mov_b32 s0, 0
	s_cbranch_vccz .LBB336_1089
; %bb.1088:
	global_load_i8 v5, v[0:1], off
	s_waitcnt vmcnt(0)
	v_cvt_f16_i16_e32 v5, v5
	s_branch .LBB336_1090
.LBB336_1089:
	s_mov_b32 s0, -1
                                        ; implicit-def: $vgpr5
.LBB336_1090:
	s_delay_alu instid0(SALU_CYCLE_1)
	s_and_not1_b32 vcc_lo, exec_lo, s0
	s_cbranch_vccnz .LBB336_1092
; %bb.1091:
	global_load_u8 v0, v[0:1], off
	s_waitcnt vmcnt(0)
	v_cvt_f16_u16_e32 v5, v0
.LBB336_1092:
	s_branch .LBB336_1161
.LBB336_1093:
	s_trap 2
	s_sendmsg_rtn_b32 s0, sendmsg(MSG_RTN_GET_DOORBELL)
	s_mov_b32 ttmp2, m0
	s_waitcnt lgkmcnt(0)
	s_and_b32 s0, s0, 0x3ff
	s_delay_alu instid0(SALU_CYCLE_1) | instskip(NEXT) | instid1(SALU_CYCLE_1)
	s_bitset1_b32 s0, 10
	s_mov_b32 m0, s0
	s_sendmsg sendmsg(MSG_INTERRUPT)
	s_mov_b32 m0, ttmp2
.LBB336_1094:                           ; =>This Inner Loop Header: Depth=1
	s_sethalt 5
	s_branch .LBB336_1094
.LBB336_1095:
	s_mov_b32 s0, -1
	s_mov_b32 s14, 0
.LBB336_1096:
                                        ; implicit-def: $vgpr5
.LBB336_1097:
	s_and_b32 vcc_lo, exec_lo, s2
	s_cbranch_vccz .LBB336_1100
; %bb.1098:
	v_cmp_eq_u16_e32 vcc_lo, 44, v3
	s_cbranch_vccz .LBB336_1101
; %bb.1099:
	global_load_u8 v5, v[0:1], off
	s_mov_b32 s0, 0
	s_mov_b32 s14, -1
	s_waitcnt vmcnt(0)
	v_lshlrev_b32_e32 v6, 23, v5
	v_cmp_ne_u32_e32 vcc_lo, 0xff, v5
	s_delay_alu instid0(VALU_DEP_2) | instskip(NEXT) | instid1(VALU_DEP_1)
	v_cvt_f16_f32_e32 v6, v6
	v_cndmask_b32_e32 v6, 0x7e00, v6, vcc_lo
	v_cmp_ne_u32_e32 vcc_lo, 0, v5
	s_delay_alu instid0(VALU_DEP_2)
	v_cndmask_b32_e32 v5, 0, v6, vcc_lo
.LBB336_1100:
	s_branch .LBB336_1105
.LBB336_1101:
	s_mov_b32 s0, -1
                                        ; implicit-def: $vgpr5
	s_branch .LBB336_1105
.LBB336_1102:
	v_cmp_eq_u16_e32 vcc_lo, 29, v3
	s_cbranch_vccz .LBB336_1104
; %bb.1103:
	global_load_b64 v[5:6], v[0:1], off
	s_mov_b32 s0, 0
	s_mov_b32 s14, -1
	s_mov_b32 s2, 0
	s_waitcnt vmcnt(0)
	v_clz_i32_u32_e32 v7, v6
	s_delay_alu instid0(VALU_DEP_1) | instskip(NEXT) | instid1(VALU_DEP_1)
	v_min_u32_e32 v7, 32, v7
	v_lshlrev_b64 v[5:6], v7, v[5:6]
	s_delay_alu instid0(VALU_DEP_1) | instskip(NEXT) | instid1(VALU_DEP_1)
	v_min_u32_e32 v5, 1, v5
	v_or_b32_e32 v5, v6, v5
	v_sub_nc_u32_e32 v6, 32, v7
	s_delay_alu instid0(VALU_DEP_2) | instskip(NEXT) | instid1(VALU_DEP_1)
	v_cvt_f32_u32_e32 v5, v5
	v_ldexp_f32 v5, v5, v6
	s_delay_alu instid0(VALU_DEP_1)
	v_cvt_f16_f32_e32 v5, v5
	s_branch .LBB336_1106
.LBB336_1104:
	s_mov_b32 s0, -1
                                        ; implicit-def: $vgpr5
.LBB336_1105:
	s_mov_b32 s2, 0
.LBB336_1106:
	s_delay_alu instid0(SALU_CYCLE_1)
	s_and_b32 vcc_lo, exec_lo, s2
	s_cbranch_vccz .LBB336_1124
; %bb.1107:
	v_cmp_gt_i16_e32 vcc_lo, 27, v3
	s_cbranch_vccnz .LBB336_1110
; %bb.1108:
	v_cmp_lt_i16_e32 vcc_lo, 27, v3
	s_cbranch_vccz .LBB336_1111
; %bb.1109:
	global_load_b32 v5, v[0:1], off
	s_mov_b32 s2, 0
	s_waitcnt vmcnt(0)
	v_cvt_f32_u32_e32 v5, v5
	s_delay_alu instid0(VALU_DEP_1)
	v_cvt_f16_f32_e32 v5, v5
	s_branch .LBB336_1112
.LBB336_1110:
	s_mov_b32 s2, -1
                                        ; implicit-def: $vgpr5
	s_branch .LBB336_1115
.LBB336_1111:
	s_mov_b32 s2, -1
                                        ; implicit-def: $vgpr5
.LBB336_1112:
	s_delay_alu instid0(SALU_CYCLE_1)
	s_and_not1_b32 vcc_lo, exec_lo, s2
	s_cbranch_vccnz .LBB336_1114
; %bb.1113:
	global_load_u16 v5, v[0:1], off
	s_waitcnt vmcnt(0)
	v_cvt_f16_u16_e32 v5, v5
.LBB336_1114:
	s_mov_b32 s2, 0
.LBB336_1115:
	s_delay_alu instid0(SALU_CYCLE_1)
	s_and_not1_b32 vcc_lo, exec_lo, s2
	s_cbranch_vccnz .LBB336_1123
; %bb.1116:
	global_load_u8 v6, v[0:1], off
	s_mov_b32 s2, 0
	s_mov_b32 s15, exec_lo
                                        ; implicit-def: $sgpr14
	s_waitcnt vmcnt(0)
	v_cmpx_lt_i16_e32 0x7f, v6
	s_xor_b32 s15, exec_lo, s15
	s_cbranch_execz .LBB336_1136
; %bb.1117:
	s_mov_b32 s2, -1
	s_mov_b32 s16, exec_lo
                                        ; implicit-def: $sgpr14
	v_cmpx_eq_u16_e32 0x80, v6
; %bb.1118:
	s_movk_i32 s14, 0x7e00
	s_xor_b32 s2, exec_lo, -1
; %bb.1119:
	s_or_b32 exec_lo, exec_lo, s16
	s_delay_alu instid0(SALU_CYCLE_1)
	s_and_b32 s2, s2, exec_lo
	s_or_saveexec_b32 s15, s15
	v_mov_b32_e32 v5, s14
	s_xor_b32 exec_lo, exec_lo, s15
	s_cbranch_execnz .LBB336_1137
.LBB336_1120:
	s_or_b32 exec_lo, exec_lo, s15
	s_and_saveexec_b32 s14, s2
	s_cbranch_execz .LBB336_1122
.LBB336_1121:
	v_and_b32_e32 v5, 0xffff, v6
	s_delay_alu instid0(VALU_DEP_1) | instskip(NEXT) | instid1(VALU_DEP_1)
	v_and_b32_e32 v7, 7, v5
	v_clz_i32_u32_e32 v8, v7
	s_delay_alu instid0(VALU_DEP_1) | instskip(NEXT) | instid1(VALU_DEP_1)
	v_min_u32_e32 v8, 32, v8
	v_subrev_nc_u32_e32 v9, 28, v8
	v_sub_nc_u32_e32 v8, 29, v8
	s_delay_alu instid0(VALU_DEP_2) | instskip(SKIP_1) | instid1(VALU_DEP_2)
	v_lshlrev_b32_e32 v9, v9, v5
	v_bfe_u32 v5, v5, 3, 4
	v_and_b32_e32 v9, 7, v9
	s_delay_alu instid0(VALU_DEP_2) | instskip(SKIP_1) | instid1(VALU_DEP_1)
	v_cmp_eq_u32_e32 vcc_lo, 0, v5
	v_dual_cndmask_b32 v5, v5, v8 :: v_dual_lshlrev_b32 v6, 24, v6
	v_dual_cndmask_b32 v7, v7, v9 :: v_dual_and_b32 v6, 0x80000000, v6
	s_delay_alu instid0(VALU_DEP_2) | instskip(NEXT) | instid1(VALU_DEP_2)
	v_lshl_add_u32 v5, v5, 23, 0x3b800000
	v_lshlrev_b32_e32 v7, 20, v7
	s_delay_alu instid0(VALU_DEP_1) | instskip(NEXT) | instid1(VALU_DEP_1)
	v_or3_b32 v5, v6, v5, v7
	v_cvt_f16_f32_e32 v5, v5
.LBB336_1122:
	s_or_b32 exec_lo, exec_lo, s14
.LBB336_1123:
	s_mov_b32 s14, -1
.LBB336_1124:
	s_branch .LBB336_1156
.LBB336_1125:
	v_cmp_lt_i16_e32 vcc_lo, 22, v3
	s_cbranch_vccz .LBB336_1135
; %bb.1126:
	v_cmp_gt_i16_e32 vcc_lo, 24, v3
	s_cbranch_vccnz .LBB336_1138
; %bb.1127:
	v_cmp_lt_i16_e32 vcc_lo, 24, v3
	s_cbranch_vccz .LBB336_1139
; %bb.1128:
	global_load_u8 v6, v[0:1], off
	s_mov_b32 s2, 0
	s_mov_b32 s14, exec_lo
                                        ; implicit-def: $sgpr13
	s_waitcnt vmcnt(0)
	v_cmpx_lt_i16_e32 0x7f, v6
	s_xor_b32 s14, exec_lo, s14
	s_cbranch_execz .LBB336_1150
; %bb.1129:
	s_mov_b32 s2, -1
	s_mov_b32 s15, exec_lo
                                        ; implicit-def: $sgpr13
	v_cmpx_eq_u16_e32 0x80, v6
; %bb.1130:
	s_movk_i32 s13, 0x7e00
	s_xor_b32 s2, exec_lo, -1
; %bb.1131:
	s_or_b32 exec_lo, exec_lo, s15
	s_delay_alu instid0(SALU_CYCLE_1)
	s_and_b32 s2, s2, exec_lo
	s_or_saveexec_b32 s14, s14
	v_mov_b32_e32 v5, s13
	s_xor_b32 exec_lo, exec_lo, s14
	s_cbranch_execnz .LBB336_1151
.LBB336_1132:
	s_or_b32 exec_lo, exec_lo, s14
	s_and_saveexec_b32 s13, s2
	s_cbranch_execz .LBB336_1134
.LBB336_1133:
	v_and_b32_e32 v5, 0xffff, v6
	s_delay_alu instid0(VALU_DEP_1) | instskip(NEXT) | instid1(VALU_DEP_1)
	v_and_b32_e32 v7, 3, v5
	v_clz_i32_u32_e32 v8, v7
	s_delay_alu instid0(VALU_DEP_1) | instskip(NEXT) | instid1(VALU_DEP_1)
	v_min_u32_e32 v8, 32, v8
	v_subrev_nc_u32_e32 v9, 29, v8
	v_sub_nc_u32_e32 v8, 30, v8
	s_delay_alu instid0(VALU_DEP_2) | instskip(SKIP_1) | instid1(VALU_DEP_2)
	v_lshlrev_b32_e32 v9, v9, v5
	v_bfe_u32 v5, v5, 2, 5
	v_and_b32_e32 v9, 3, v9
	s_delay_alu instid0(VALU_DEP_2) | instskip(SKIP_1) | instid1(VALU_DEP_1)
	v_cmp_eq_u32_e32 vcc_lo, 0, v5
	v_dual_cndmask_b32 v5, v5, v8 :: v_dual_lshlrev_b32 v6, 24, v6
	v_dual_cndmask_b32 v7, v7, v9 :: v_dual_and_b32 v6, 0x80000000, v6
	s_delay_alu instid0(VALU_DEP_2) | instskip(NEXT) | instid1(VALU_DEP_2)
	v_lshl_add_u32 v5, v5, 23, 0x37800000
	v_lshlrev_b32_e32 v7, 21, v7
	s_delay_alu instid0(VALU_DEP_1) | instskip(NEXT) | instid1(VALU_DEP_1)
	v_or3_b32 v5, v6, v5, v7
	v_cvt_f16_f32_e32 v5, v5
.LBB336_1134:
	s_or_b32 exec_lo, exec_lo, s13
	s_mov_b32 s2, 0
	s_branch .LBB336_1140
.LBB336_1135:
                                        ; implicit-def: $vgpr5
	s_mov_b32 s13, 0
	s_branch .LBB336_1146
.LBB336_1136:
	s_or_saveexec_b32 s15, s15
	v_mov_b32_e32 v5, s14
	s_xor_b32 exec_lo, exec_lo, s15
	s_cbranch_execz .LBB336_1120
.LBB336_1137:
	v_cmp_ne_u16_e32 vcc_lo, 0, v6
	v_mov_b32_e32 v5, v6
	s_and_not1_b32 s2, s2, exec_lo
	s_and_b32 s14, vcc_lo, exec_lo
	s_delay_alu instid0(SALU_CYCLE_1)
	s_or_b32 s2, s2, s14
	s_or_b32 exec_lo, exec_lo, s15
	s_and_saveexec_b32 s14, s2
	s_cbranch_execnz .LBB336_1121
	s_branch .LBB336_1122
.LBB336_1138:
	s_mov_b32 s2, -1
                                        ; implicit-def: $vgpr5
	s_branch .LBB336_1143
.LBB336_1139:
	s_mov_b32 s2, -1
                                        ; implicit-def: $vgpr5
.LBB336_1140:
	s_delay_alu instid0(SALU_CYCLE_1)
	s_and_b32 vcc_lo, exec_lo, s2
	s_cbranch_vccz .LBB336_1142
; %bb.1141:
	global_load_u8 v5, v[0:1], off
	s_waitcnt vmcnt(0)
	v_lshlrev_b32_e32 v5, 24, v5
	s_delay_alu instid0(VALU_DEP_1) | instskip(NEXT) | instid1(VALU_DEP_1)
	v_and_b32_e32 v6, 0x7f000000, v5
	v_clz_i32_u32_e32 v7, v6
	v_add_nc_u32_e32 v9, 0x1000000, v6
	v_cmp_ne_u32_e32 vcc_lo, 0, v6
	s_delay_alu instid0(VALU_DEP_3) | instskip(NEXT) | instid1(VALU_DEP_1)
	v_min_u32_e32 v7, 32, v7
	v_sub_nc_u32_e64 v7, v7, 4 clamp
	s_delay_alu instid0(VALU_DEP_1) | instskip(SKIP_1) | instid1(VALU_DEP_2)
	v_lshlrev_b32_e32 v8, v7, v6
	v_lshlrev_b32_e32 v7, 23, v7
	v_lshrrev_b32_e32 v8, 4, v8
	s_delay_alu instid0(VALU_DEP_1) | instskip(SKIP_1) | instid1(VALU_DEP_2)
	v_sub_nc_u32_e32 v7, v8, v7
	v_ashrrev_i32_e32 v8, 8, v9
	v_add_nc_u32_e32 v7, 0x3c000000, v7
	s_delay_alu instid0(VALU_DEP_1) | instskip(NEXT) | instid1(VALU_DEP_1)
	v_and_or_b32 v7, 0x7f800000, v8, v7
	v_cndmask_b32_e32 v6, 0, v7, vcc_lo
	s_delay_alu instid0(VALU_DEP_1) | instskip(NEXT) | instid1(VALU_DEP_1)
	v_and_or_b32 v5, 0x80000000, v5, v6
	v_cvt_f16_f32_e32 v5, v5
.LBB336_1142:
	s_mov_b32 s2, 0
.LBB336_1143:
	s_delay_alu instid0(SALU_CYCLE_1)
	s_and_not1_b32 vcc_lo, exec_lo, s2
	s_cbranch_vccnz .LBB336_1145
; %bb.1144:
	global_load_u8 v5, v[0:1], off
	s_waitcnt vmcnt(0)
	v_lshlrev_b32_e32 v6, 25, v5
	v_lshlrev_b16 v5, 8, v5
	s_delay_alu instid0(VALU_DEP_2) | instskip(NEXT) | instid1(VALU_DEP_2)
	v_lshrrev_b32_e32 v7, 4, v6
	v_and_or_b32 v8, 0x7f00, v5, 0.5
	v_bfe_i32 v5, v5, 0, 16
	s_delay_alu instid0(VALU_DEP_3) | instskip(NEXT) | instid1(VALU_DEP_1)
	v_or_b32_e32 v7, 0x70000000, v7
	v_dual_add_f32 v8, -0.5, v8 :: v_dual_mul_f32 v7, 0x7800000, v7
	v_cmp_gt_u32_e32 vcc_lo, 0x8000000, v6
	s_delay_alu instid0(VALU_DEP_2) | instskip(NEXT) | instid1(VALU_DEP_1)
	v_cndmask_b32_e32 v6, v7, v8, vcc_lo
	v_and_or_b32 v5, 0x80000000, v5, v6
	s_delay_alu instid0(VALU_DEP_1)
	v_cvt_f16_f32_e32 v5, v5
.LBB336_1145:
	s_mov_b32 s14, -1
	s_mov_b32 s13, 0
	s_cbranch_execnz .LBB336_1156
.LBB336_1146:
	v_cmp_lt_i16_e32 vcc_lo, 14, v3
	s_cbranch_vccz .LBB336_1149
; %bb.1147:
	v_cmp_eq_u16_e32 vcc_lo, 15, v3
	s_cbranch_vccz .LBB336_1152
; %bb.1148:
	global_load_u16 v5, v[0:1], off
	s_mov_b32 s0, 0
	s_mov_b32 s14, -1
	s_waitcnt vmcnt(0)
	v_lshlrev_b32_e32 v5, 16, v5
	s_delay_alu instid0(VALU_DEP_1)
	v_cvt_f16_f32_e32 v5, v5
	s_branch .LBB336_1153
.LBB336_1149:
	s_mov_b32 s2, -1
                                        ; implicit-def: $vgpr5
	s_branch .LBB336_1154
.LBB336_1150:
	s_or_saveexec_b32 s14, s14
	v_mov_b32_e32 v5, s13
	s_xor_b32 exec_lo, exec_lo, s14
	s_cbranch_execz .LBB336_1132
.LBB336_1151:
	v_cmp_ne_u16_e32 vcc_lo, 0, v6
	v_mov_b32_e32 v5, v6
	s_and_not1_b32 s2, s2, exec_lo
	s_and_b32 s13, vcc_lo, exec_lo
	s_delay_alu instid0(SALU_CYCLE_1)
	s_or_b32 s2, s2, s13
	s_or_b32 exec_lo, exec_lo, s14
	s_and_saveexec_b32 s13, s2
	s_cbranch_execnz .LBB336_1133
	s_branch .LBB336_1134
.LBB336_1152:
	s_mov_b32 s0, -1
                                        ; implicit-def: $vgpr5
.LBB336_1153:
	s_mov_b32 s2, 0
.LBB336_1154:
	s_delay_alu instid0(SALU_CYCLE_1)
	s_and_b32 vcc_lo, exec_lo, s2
	s_cbranch_vccz .LBB336_1156
; %bb.1155:
	v_cmp_ne_u16_e64 s0, 11, v3
	s_mov_b32 s13, -1
                                        ; implicit-def: $vgpr5
.LBB336_1156:
	s_delay_alu instid0(VALU_DEP_1)
	s_and_b32 vcc_lo, exec_lo, s0
	s_mov_b32 s2, s12
	s_cbranch_vccnz .LBB336_1180
; %bb.1157:
	s_and_not1_b32 vcc_lo, exec_lo, s13
	s_cbranch_vccnz .LBB336_1159
.LBB336_1158:
	global_load_u8 v5, v[0:1], off
	s_mov_b32 s14, -1
	s_waitcnt vmcnt(0)
	v_cmp_ne_u16_e32 vcc_lo, 0, v5
	v_cndmask_b32_e64 v5, 0, 0x3c00, vcc_lo
.LBB336_1159:
.LBB336_1160:
	s_and_not1_b32 vcc_lo, exec_lo, s14
	s_cbranch_vccnz .LBB336_1996
.LBB336_1161:
	s_lshl_b32 s9, s9, 7
	v_cmp_gt_i16_e32 vcc_lo, 11, v3
	v_add_nc_u32_e32 v4, s9, v4
	s_delay_alu instid0(VALU_DEP_1) | instskip(SKIP_1) | instid1(VALU_DEP_1)
	v_ashrrev_i32_e32 v1, 31, v4
	v_add_co_u32 v0, s0, s6, v4
	v_add_co_ci_u32_e64 v1, s0, s7, v1, s0
	s_cbranch_vccnz .LBB336_1168
; %bb.1162:
	v_cmp_lt_i16_e32 vcc_lo, 25, v3
	s_mov_b32 s13, 0
	s_cbranch_vccz .LBB336_1174
; %bb.1163:
	v_cmp_lt_i16_e32 vcc_lo, 28, v3
	s_cbranch_vccz .LBB336_1176
; %bb.1164:
	v_cmp_lt_i16_e32 vcc_lo, 43, v3
	;; [unrolled: 3-line block ×3, first 2 shown]
	s_cbranch_vccz .LBB336_1184
; %bb.1166:
	v_cmp_eq_u16_e32 vcc_lo, 46, v3
	s_mov_b32 s15, 0
	s_cbranch_vccz .LBB336_1228
; %bb.1167:
	global_load_b32 v6, v[0:1], off
	s_mov_b32 s0, 0
	s_mov_b32 s14, -1
	s_waitcnt vmcnt(0)
	v_lshlrev_b32_e32 v6, 16, v6
	s_delay_alu instid0(VALU_DEP_1)
	v_cvt_f16_f32_e32 v6, v6
	s_branch .LBB336_1230
.LBB336_1168:
	s_mov_b32 s14, 0
                                        ; implicit-def: $vgpr6
	s_cbranch_execz .LBB336_1295
; %bb.1169:
	v_cmp_gt_i16_e32 vcc_lo, 5, v3
	s_cbranch_vccnz .LBB336_1175
; %bb.1170:
	v_cmp_gt_i16_e32 vcc_lo, 8, v3
	s_cbranch_vccnz .LBB336_1177
	;; [unrolled: 3-line block ×3, first 2 shown]
; %bb.1172:
	v_cmp_lt_i16_e32 vcc_lo, 9, v3
	s_cbranch_vccz .LBB336_1185
; %bb.1173:
	global_load_b64 v[6:7], v[0:1], off
	s_mov_b32 s0, 0
	s_waitcnt vmcnt(0)
	v_cvt_f32_f64_e32 v6, v[6:7]
	s_delay_alu instid0(VALU_DEP_1)
	v_cvt_f16_f32_e32 v6, v6
	s_branch .LBB336_1186
.LBB336_1174:
	s_mov_b32 s14, 0
	s_mov_b32 s0, 0
                                        ; implicit-def: $vgpr6
	s_cbranch_execnz .LBB336_1259
	s_branch .LBB336_1291
.LBB336_1175:
                                        ; implicit-def: $vgpr6
	s_branch .LBB336_1204
.LBB336_1176:
	s_mov_b32 s15, -1
	s_mov_b32 s14, 0
	s_mov_b32 s0, 0
                                        ; implicit-def: $vgpr6
	s_branch .LBB336_1240
.LBB336_1177:
	s_mov_b32 s0, -1
                                        ; implicit-def: $vgpr6
	s_branch .LBB336_1192
.LBB336_1178:
	s_mov_b32 s15, -1
	s_mov_b32 s14, 0
	s_mov_b32 s0, 0
                                        ; implicit-def: $vgpr6
	s_branch .LBB336_1235
.LBB336_1179:
	s_mov_b32 s0, -1
                                        ; implicit-def: $vgpr6
	s_branch .LBB336_1189
.LBB336_1180:
	s_cbranch_execnz .LBB336_1224
; %bb.1181:
	s_or_b32 s2, s12, exec_lo
                                        ; implicit-def: $vgpr5
	s_cbranch_execz .LBB336_1158
	s_branch .LBB336_1159
.LBB336_1182:
	s_or_saveexec_b32 s17, s17
                                        ; implicit-def: $sgpr18
	s_delay_alu instid0(SALU_CYCLE_1)
	s_xor_b32 exec_lo, exec_lo, s17
	s_cbranch_execz .LBB336_944
.LBB336_1183:
	v_add_f32_e64 v5, 0x46000000, |v2|
	s_and_not1_b32 s16, s16, exec_lo
	s_mov_b32 s18, 0
	s_delay_alu instid0(VALU_DEP_1) | instskip(NEXT) | instid1(VALU_DEP_1)
	v_and_b32_e32 v5, 0xff, v5
	v_cmp_ne_u32_e32 vcc_lo, 0, v5
	s_and_b32 s19, vcc_lo, exec_lo
	s_delay_alu instid0(SALU_CYCLE_1)
	s_or_b32 s16, s16, s19
	s_or_b32 exec_lo, exec_lo, s17
	v_mov_b32_e32 v6, s18
	s_and_saveexec_b32 s17, s16
	s_cbranch_execnz .LBB336_945
	s_branch .LBB336_946
.LBB336_1184:
	s_mov_b32 s15, -1
	s_mov_b32 s14, 0
	s_mov_b32 s0, 0
	s_branch .LBB336_1229
.LBB336_1185:
	s_mov_b32 s0, -1
                                        ; implicit-def: $vgpr6
.LBB336_1186:
	s_delay_alu instid0(SALU_CYCLE_1)
	s_and_not1_b32 vcc_lo, exec_lo, s0
	s_cbranch_vccnz .LBB336_1188
; %bb.1187:
	global_load_b32 v6, v[0:1], off
	s_waitcnt vmcnt(0)
	v_cvt_f16_f32_e32 v6, v6
.LBB336_1188:
	s_mov_b32 s0, 0
.LBB336_1189:
	s_delay_alu instid0(SALU_CYCLE_1)
	s_and_not1_b32 vcc_lo, exec_lo, s0
	s_cbranch_vccnz .LBB336_1191
; %bb.1190:
	global_load_b32 v6, v[0:1], off
.LBB336_1191:
	s_mov_b32 s0, 0
.LBB336_1192:
	s_delay_alu instid0(SALU_CYCLE_1)
	s_and_not1_b32 vcc_lo, exec_lo, s0
	s_cbranch_vccnz .LBB336_1203
; %bb.1193:
	v_cmp_gt_i16_e32 vcc_lo, 6, v3
	s_cbranch_vccnz .LBB336_1196
; %bb.1194:
	v_cmp_lt_i16_e32 vcc_lo, 6, v3
	s_cbranch_vccz .LBB336_1197
; %bb.1195:
	global_load_b64 v[6:7], v[0:1], off
	s_mov_b32 s0, 0
	s_waitcnt vmcnt(0)
	v_cvt_f32_f64_e32 v6, v[6:7]
	s_delay_alu instid0(VALU_DEP_1)
	v_cvt_f16_f32_e32 v6, v6
	s_branch .LBB336_1198
.LBB336_1196:
	s_mov_b32 s0, -1
                                        ; implicit-def: $vgpr6
	s_branch .LBB336_1201
.LBB336_1197:
	s_mov_b32 s0, -1
                                        ; implicit-def: $vgpr6
.LBB336_1198:
	s_delay_alu instid0(SALU_CYCLE_1)
	s_and_not1_b32 vcc_lo, exec_lo, s0
	s_cbranch_vccnz .LBB336_1200
; %bb.1199:
	global_load_b32 v6, v[0:1], off
	s_waitcnt vmcnt(0)
	v_cvt_f16_f32_e32 v6, v6
.LBB336_1200:
	s_mov_b32 s0, 0
.LBB336_1201:
	s_delay_alu instid0(SALU_CYCLE_1)
	s_and_not1_b32 vcc_lo, exec_lo, s0
	s_cbranch_vccnz .LBB336_1203
; %bb.1202:
	global_load_u16 v6, v[0:1], off
.LBB336_1203:
	s_cbranch_execnz .LBB336_1223
.LBB336_1204:
	v_cmp_gt_i16_e32 vcc_lo, 2, v3
	s_cbranch_vccnz .LBB336_1208
; %bb.1205:
	v_cmp_gt_i16_e32 vcc_lo, 3, v3
	s_cbranch_vccnz .LBB336_1209
; %bb.1206:
	v_cmp_lt_i16_e32 vcc_lo, 3, v3
	s_cbranch_vccz .LBB336_1210
; %bb.1207:
	global_load_b64 v[6:7], v[0:1], off
	s_mov_b32 s0, 0
	s_waitcnt vmcnt(0)
	v_xor_b32_e32 v8, v6, v7
	v_cls_i32_e32 v9, v7
	s_delay_alu instid0(VALU_DEP_2) | instskip(NEXT) | instid1(VALU_DEP_2)
	v_ashrrev_i32_e32 v8, 31, v8
	v_add_nc_u32_e32 v9, -1, v9
	s_delay_alu instid0(VALU_DEP_2) | instskip(NEXT) | instid1(VALU_DEP_1)
	v_add_nc_u32_e32 v8, 32, v8
	v_min_u32_e32 v8, v9, v8
	s_delay_alu instid0(VALU_DEP_1) | instskip(NEXT) | instid1(VALU_DEP_1)
	v_lshlrev_b64 v[6:7], v8, v[6:7]
	v_min_u32_e32 v6, 1, v6
	s_delay_alu instid0(VALU_DEP_1) | instskip(SKIP_1) | instid1(VALU_DEP_2)
	v_or_b32_e32 v6, v7, v6
	v_sub_nc_u32_e32 v7, 32, v8
	v_cvt_f32_i32_e32 v6, v6
	s_delay_alu instid0(VALU_DEP_1) | instskip(NEXT) | instid1(VALU_DEP_1)
	v_ldexp_f32 v6, v6, v7
	v_cvt_f16_f32_e32 v6, v6
	s_branch .LBB336_1211
.LBB336_1208:
	s_mov_b32 s0, -1
                                        ; implicit-def: $vgpr6
	s_branch .LBB336_1217
.LBB336_1209:
	s_mov_b32 s0, -1
                                        ; implicit-def: $vgpr6
	s_branch .LBB336_1214
.LBB336_1210:
	s_mov_b32 s0, -1
                                        ; implicit-def: $vgpr6
.LBB336_1211:
	s_delay_alu instid0(SALU_CYCLE_1)
	s_and_not1_b32 vcc_lo, exec_lo, s0
	s_cbranch_vccnz .LBB336_1213
; %bb.1212:
	global_load_b32 v6, v[0:1], off
	s_waitcnt vmcnt(0)
	v_cvt_f32_i32_e32 v6, v6
	s_delay_alu instid0(VALU_DEP_1)
	v_cvt_f16_f32_e32 v6, v6
.LBB336_1213:
	s_mov_b32 s0, 0
.LBB336_1214:
	s_delay_alu instid0(SALU_CYCLE_1)
	s_and_not1_b32 vcc_lo, exec_lo, s0
	s_cbranch_vccnz .LBB336_1216
; %bb.1215:
	global_load_u16 v6, v[0:1], off
	s_waitcnt vmcnt(0)
	v_cvt_f16_i16_e32 v6, v6
.LBB336_1216:
	s_mov_b32 s0, 0
.LBB336_1217:
	s_delay_alu instid0(SALU_CYCLE_1)
	s_and_not1_b32 vcc_lo, exec_lo, s0
	s_cbranch_vccnz .LBB336_1223
; %bb.1218:
	v_cmp_lt_i16_e32 vcc_lo, 0, v3
	s_mov_b32 s0, 0
	s_cbranch_vccz .LBB336_1220
; %bb.1219:
	global_load_i8 v6, v[0:1], off
	s_waitcnt vmcnt(0)
	v_cvt_f16_i16_e32 v6, v6
	s_branch .LBB336_1221
.LBB336_1220:
	s_mov_b32 s0, -1
                                        ; implicit-def: $vgpr6
.LBB336_1221:
	s_delay_alu instid0(SALU_CYCLE_1)
	s_and_not1_b32 vcc_lo, exec_lo, s0
	s_cbranch_vccnz .LBB336_1223
; %bb.1222:
	global_load_u8 v0, v[0:1], off
	s_waitcnt vmcnt(0)
	v_cvt_f16_u16_e32 v6, v0
.LBB336_1223:
	s_branch .LBB336_1296
.LBB336_1224:
	s_trap 2
	s_sendmsg_rtn_b32 s0, sendmsg(MSG_RTN_GET_DOORBELL)
	s_mov_b32 ttmp2, m0
	s_waitcnt lgkmcnt(0)
	s_and_b32 s0, s0, 0x3ff
	s_delay_alu instid0(SALU_CYCLE_1) | instskip(NEXT) | instid1(SALU_CYCLE_1)
	s_bitset1_b32 s0, 10
	s_mov_b32 m0, s0
	s_sendmsg sendmsg(MSG_INTERRUPT)
	s_mov_b32 m0, ttmp2
.LBB336_1225:                           ; =>This Inner Loop Header: Depth=1
	s_sethalt 5
	s_branch .LBB336_1225
.LBB336_1226:
	s_or_saveexec_b32 s18, s18
                                        ; implicit-def: $sgpr19
	s_delay_alu instid0(SALU_CYCLE_1)
	s_xor_b32 exec_lo, exec_lo, s18
	s_cbranch_execz .LBB336_956
.LBB336_1227:
	v_add_f32_e64 v5, 0x42800000, |v2|
	s_and_not1_b32 s17, s17, exec_lo
	s_mov_b32 s19, 0
	s_delay_alu instid0(VALU_DEP_1) | instskip(NEXT) | instid1(VALU_DEP_1)
	v_and_b32_e32 v5, 0xff, v5
	v_cmp_ne_u32_e32 vcc_lo, 0, v5
	s_and_b32 s20, vcc_lo, exec_lo
	s_delay_alu instid0(SALU_CYCLE_1)
	s_or_b32 s17, s17, s20
	s_or_b32 exec_lo, exec_lo, s18
	v_mov_b32_e32 v6, s19
	s_and_saveexec_b32 s18, s17
	s_cbranch_execnz .LBB336_957
	s_branch .LBB336_958
.LBB336_1228:
	s_mov_b32 s0, -1
	s_mov_b32 s14, 0
.LBB336_1229:
                                        ; implicit-def: $vgpr6
.LBB336_1230:
	s_and_b32 vcc_lo, exec_lo, s15
	s_cbranch_vccz .LBB336_1234
; %bb.1231:
	v_cmp_eq_u16_e32 vcc_lo, 44, v3
	s_cbranch_vccz .LBB336_1233
; %bb.1232:
	global_load_u8 v6, v[0:1], off
	s_mov_b32 s0, 0
	s_mov_b32 s14, -1
	s_waitcnt vmcnt(0)
	v_lshlrev_b32_e32 v7, 23, v6
	v_cmp_ne_u32_e32 vcc_lo, 0xff, v6
	s_delay_alu instid0(VALU_DEP_2) | instskip(NEXT) | instid1(VALU_DEP_1)
	v_cvt_f16_f32_e32 v7, v7
	v_cndmask_b32_e32 v7, 0x7e00, v7, vcc_lo
	v_cmp_ne_u32_e32 vcc_lo, 0, v6
	s_delay_alu instid0(VALU_DEP_2)
	v_cndmask_b32_e32 v6, 0, v7, vcc_lo
	s_branch .LBB336_1234
.LBB336_1233:
	s_mov_b32 s0, -1
                                        ; implicit-def: $vgpr6
.LBB336_1234:
	s_mov_b32 s15, 0
.LBB336_1235:
	s_delay_alu instid0(SALU_CYCLE_1)
	s_and_b32 vcc_lo, exec_lo, s15
	s_cbranch_vccz .LBB336_1239
; %bb.1236:
	v_cmp_eq_u16_e32 vcc_lo, 29, v3
	s_cbranch_vccz .LBB336_1238
; %bb.1237:
	global_load_b64 v[6:7], v[0:1], off
	s_mov_b32 s0, 0
	s_mov_b32 s14, -1
	s_mov_b32 s15, 0
	s_waitcnt vmcnt(0)
	v_clz_i32_u32_e32 v8, v7
	s_delay_alu instid0(VALU_DEP_1) | instskip(NEXT) | instid1(VALU_DEP_1)
	v_min_u32_e32 v8, 32, v8
	v_lshlrev_b64 v[6:7], v8, v[6:7]
	s_delay_alu instid0(VALU_DEP_1) | instskip(NEXT) | instid1(VALU_DEP_1)
	v_min_u32_e32 v6, 1, v6
	v_or_b32_e32 v6, v7, v6
	v_sub_nc_u32_e32 v7, 32, v8
	s_delay_alu instid0(VALU_DEP_2) | instskip(NEXT) | instid1(VALU_DEP_1)
	v_cvt_f32_u32_e32 v6, v6
	v_ldexp_f32 v6, v6, v7
	s_delay_alu instid0(VALU_DEP_1)
	v_cvt_f16_f32_e32 v6, v6
	s_branch .LBB336_1240
.LBB336_1238:
	s_mov_b32 s0, -1
                                        ; implicit-def: $vgpr6
.LBB336_1239:
	s_mov_b32 s15, 0
.LBB336_1240:
	s_delay_alu instid0(SALU_CYCLE_1)
	s_and_b32 vcc_lo, exec_lo, s15
	s_cbranch_vccz .LBB336_1258
; %bb.1241:
	v_cmp_gt_i16_e32 vcc_lo, 27, v3
	s_cbranch_vccnz .LBB336_1244
; %bb.1242:
	v_cmp_lt_i16_e32 vcc_lo, 27, v3
	s_cbranch_vccz .LBB336_1245
; %bb.1243:
	global_load_b32 v6, v[0:1], off
	s_mov_b32 s14, 0
	s_waitcnt vmcnt(0)
	v_cvt_f32_u32_e32 v6, v6
	s_delay_alu instid0(VALU_DEP_1)
	v_cvt_f16_f32_e32 v6, v6
	s_branch .LBB336_1246
.LBB336_1244:
	s_mov_b32 s14, -1
                                        ; implicit-def: $vgpr6
	s_branch .LBB336_1249
.LBB336_1245:
	s_mov_b32 s14, -1
                                        ; implicit-def: $vgpr6
.LBB336_1246:
	s_delay_alu instid0(SALU_CYCLE_1)
	s_and_not1_b32 vcc_lo, exec_lo, s14
	s_cbranch_vccnz .LBB336_1248
; %bb.1247:
	global_load_u16 v6, v[0:1], off
	s_waitcnt vmcnt(0)
	v_cvt_f16_u16_e32 v6, v6
.LBB336_1248:
	s_mov_b32 s14, 0
.LBB336_1249:
	s_delay_alu instid0(SALU_CYCLE_1)
	s_and_not1_b32 vcc_lo, exec_lo, s14
	s_cbranch_vccnz .LBB336_1257
; %bb.1250:
	global_load_u8 v7, v[0:1], off
	s_mov_b32 s14, 0
	s_mov_b32 s16, exec_lo
                                        ; implicit-def: $sgpr15
	s_waitcnt vmcnt(0)
	v_cmpx_lt_i16_e32 0x7f, v7
	s_xor_b32 s16, exec_lo, s16
	s_cbranch_execz .LBB336_1270
; %bb.1251:
	s_mov_b32 s14, -1
	s_mov_b32 s17, exec_lo
                                        ; implicit-def: $sgpr15
	v_cmpx_eq_u16_e32 0x80, v7
; %bb.1252:
	s_movk_i32 s15, 0x7e00
	s_xor_b32 s14, exec_lo, -1
; %bb.1253:
	s_or_b32 exec_lo, exec_lo, s17
	s_delay_alu instid0(SALU_CYCLE_1)
	s_and_b32 s14, s14, exec_lo
	s_or_saveexec_b32 s16, s16
	v_mov_b32_e32 v6, s15
	s_xor_b32 exec_lo, exec_lo, s16
	s_cbranch_execnz .LBB336_1271
.LBB336_1254:
	s_or_b32 exec_lo, exec_lo, s16
	s_and_saveexec_b32 s15, s14
	s_cbranch_execz .LBB336_1256
.LBB336_1255:
	v_and_b32_e32 v6, 0xffff, v7
	s_delay_alu instid0(VALU_DEP_1) | instskip(NEXT) | instid1(VALU_DEP_1)
	v_and_b32_e32 v8, 7, v6
	v_clz_i32_u32_e32 v9, v8
	s_delay_alu instid0(VALU_DEP_1) | instskip(NEXT) | instid1(VALU_DEP_1)
	v_min_u32_e32 v9, 32, v9
	v_subrev_nc_u32_e32 v10, 28, v9
	v_sub_nc_u32_e32 v9, 29, v9
	s_delay_alu instid0(VALU_DEP_2) | instskip(SKIP_1) | instid1(VALU_DEP_2)
	v_lshlrev_b32_e32 v10, v10, v6
	v_bfe_u32 v6, v6, 3, 4
	v_and_b32_e32 v10, 7, v10
	s_delay_alu instid0(VALU_DEP_2) | instskip(SKIP_1) | instid1(VALU_DEP_1)
	v_cmp_eq_u32_e32 vcc_lo, 0, v6
	v_dual_cndmask_b32 v6, v6, v9 :: v_dual_lshlrev_b32 v7, 24, v7
	v_dual_cndmask_b32 v8, v8, v10 :: v_dual_and_b32 v7, 0x80000000, v7
	s_delay_alu instid0(VALU_DEP_2) | instskip(NEXT) | instid1(VALU_DEP_2)
	v_lshl_add_u32 v6, v6, 23, 0x3b800000
	v_lshlrev_b32_e32 v8, 20, v8
	s_delay_alu instid0(VALU_DEP_1) | instskip(NEXT) | instid1(VALU_DEP_1)
	v_or3_b32 v6, v7, v6, v8
	v_cvt_f16_f32_e32 v6, v6
.LBB336_1256:
	s_or_b32 exec_lo, exec_lo, s15
.LBB336_1257:
	s_mov_b32 s14, -1
.LBB336_1258:
	s_branch .LBB336_1291
.LBB336_1259:
	v_cmp_lt_i16_e32 vcc_lo, 22, v3
	s_cbranch_vccz .LBB336_1269
; %bb.1260:
	v_cmp_gt_i16_e32 vcc_lo, 24, v3
	s_cbranch_vccnz .LBB336_1272
; %bb.1261:
	v_cmp_lt_i16_e32 vcc_lo, 24, v3
	s_cbranch_vccz .LBB336_1273
; %bb.1262:
	global_load_u8 v7, v[0:1], off
	s_mov_b32 s15, exec_lo
                                        ; implicit-def: $sgpr14
	s_waitcnt vmcnt(0)
	v_cmpx_lt_i16_e32 0x7f, v7
	s_xor_b32 s15, exec_lo, s15
	s_cbranch_execz .LBB336_1285
; %bb.1263:
	s_mov_b32 s13, -1
	s_mov_b32 s16, exec_lo
                                        ; implicit-def: $sgpr14
	v_cmpx_eq_u16_e32 0x80, v7
; %bb.1264:
	s_movk_i32 s14, 0x7e00
	s_xor_b32 s13, exec_lo, -1
; %bb.1265:
	s_or_b32 exec_lo, exec_lo, s16
	s_delay_alu instid0(SALU_CYCLE_1)
	s_and_b32 s13, s13, exec_lo
	s_or_saveexec_b32 s15, s15
	v_mov_b32_e32 v6, s14
	s_xor_b32 exec_lo, exec_lo, s15
	s_cbranch_execnz .LBB336_1286
.LBB336_1266:
	s_or_b32 exec_lo, exec_lo, s15
	s_and_saveexec_b32 s14, s13
	s_cbranch_execz .LBB336_1268
.LBB336_1267:
	v_and_b32_e32 v6, 0xffff, v7
	s_delay_alu instid0(VALU_DEP_1) | instskip(NEXT) | instid1(VALU_DEP_1)
	v_and_b32_e32 v8, 3, v6
	v_clz_i32_u32_e32 v9, v8
	s_delay_alu instid0(VALU_DEP_1) | instskip(NEXT) | instid1(VALU_DEP_1)
	v_min_u32_e32 v9, 32, v9
	v_subrev_nc_u32_e32 v10, 29, v9
	v_sub_nc_u32_e32 v9, 30, v9
	s_delay_alu instid0(VALU_DEP_2) | instskip(SKIP_1) | instid1(VALU_DEP_2)
	v_lshlrev_b32_e32 v10, v10, v6
	v_bfe_u32 v6, v6, 2, 5
	v_and_b32_e32 v10, 3, v10
	s_delay_alu instid0(VALU_DEP_2) | instskip(SKIP_1) | instid1(VALU_DEP_1)
	v_cmp_eq_u32_e32 vcc_lo, 0, v6
	v_dual_cndmask_b32 v6, v6, v9 :: v_dual_lshlrev_b32 v7, 24, v7
	v_dual_cndmask_b32 v8, v8, v10 :: v_dual_and_b32 v7, 0x80000000, v7
	s_delay_alu instid0(VALU_DEP_2) | instskip(NEXT) | instid1(VALU_DEP_2)
	v_lshl_add_u32 v6, v6, 23, 0x37800000
	v_lshlrev_b32_e32 v8, 21, v8
	s_delay_alu instid0(VALU_DEP_1) | instskip(NEXT) | instid1(VALU_DEP_1)
	v_or3_b32 v6, v7, v6, v8
	v_cvt_f16_f32_e32 v6, v6
.LBB336_1268:
	s_or_b32 exec_lo, exec_lo, s14
	s_mov_b32 s13, 0
	s_branch .LBB336_1274
.LBB336_1269:
	s_mov_b32 s13, -1
                                        ; implicit-def: $vgpr6
	s_branch .LBB336_1280
.LBB336_1270:
	s_or_saveexec_b32 s16, s16
	v_mov_b32_e32 v6, s15
	s_xor_b32 exec_lo, exec_lo, s16
	s_cbranch_execz .LBB336_1254
.LBB336_1271:
	v_cmp_ne_u16_e32 vcc_lo, 0, v7
	v_mov_b32_e32 v6, v7
	s_and_not1_b32 s14, s14, exec_lo
	s_and_b32 s15, vcc_lo, exec_lo
	s_delay_alu instid0(SALU_CYCLE_1)
	s_or_b32 s14, s14, s15
	s_or_b32 exec_lo, exec_lo, s16
	s_and_saveexec_b32 s15, s14
	s_cbranch_execnz .LBB336_1255
	s_branch .LBB336_1256
.LBB336_1272:
	s_mov_b32 s13, -1
                                        ; implicit-def: $vgpr6
	s_branch .LBB336_1277
.LBB336_1273:
	s_mov_b32 s13, -1
                                        ; implicit-def: $vgpr6
.LBB336_1274:
	s_delay_alu instid0(SALU_CYCLE_1)
	s_and_b32 vcc_lo, exec_lo, s13
	s_cbranch_vccz .LBB336_1276
; %bb.1275:
	global_load_u8 v6, v[0:1], off
	s_waitcnt vmcnt(0)
	v_lshlrev_b32_e32 v6, 24, v6
	s_delay_alu instid0(VALU_DEP_1) | instskip(NEXT) | instid1(VALU_DEP_1)
	v_and_b32_e32 v7, 0x7f000000, v6
	v_clz_i32_u32_e32 v8, v7
	v_add_nc_u32_e32 v10, 0x1000000, v7
	v_cmp_ne_u32_e32 vcc_lo, 0, v7
	s_delay_alu instid0(VALU_DEP_3) | instskip(NEXT) | instid1(VALU_DEP_1)
	v_min_u32_e32 v8, 32, v8
	v_sub_nc_u32_e64 v8, v8, 4 clamp
	s_delay_alu instid0(VALU_DEP_1) | instskip(SKIP_1) | instid1(VALU_DEP_2)
	v_lshlrev_b32_e32 v9, v8, v7
	v_lshlrev_b32_e32 v8, 23, v8
	v_lshrrev_b32_e32 v9, 4, v9
	s_delay_alu instid0(VALU_DEP_1) | instskip(SKIP_1) | instid1(VALU_DEP_2)
	v_sub_nc_u32_e32 v8, v9, v8
	v_ashrrev_i32_e32 v9, 8, v10
	v_add_nc_u32_e32 v8, 0x3c000000, v8
	s_delay_alu instid0(VALU_DEP_1) | instskip(NEXT) | instid1(VALU_DEP_1)
	v_and_or_b32 v8, 0x7f800000, v9, v8
	v_cndmask_b32_e32 v7, 0, v8, vcc_lo
	s_delay_alu instid0(VALU_DEP_1) | instskip(NEXT) | instid1(VALU_DEP_1)
	v_and_or_b32 v6, 0x80000000, v6, v7
	v_cvt_f16_f32_e32 v6, v6
.LBB336_1276:
	s_mov_b32 s13, 0
.LBB336_1277:
	s_delay_alu instid0(SALU_CYCLE_1)
	s_and_not1_b32 vcc_lo, exec_lo, s13
	s_cbranch_vccnz .LBB336_1279
; %bb.1278:
	global_load_u8 v6, v[0:1], off
	s_waitcnt vmcnt(0)
	v_lshlrev_b32_e32 v7, 25, v6
	v_lshlrev_b16 v6, 8, v6
	s_delay_alu instid0(VALU_DEP_2) | instskip(NEXT) | instid1(VALU_DEP_2)
	v_lshrrev_b32_e32 v8, 4, v7
	v_and_or_b32 v9, 0x7f00, v6, 0.5
	v_bfe_i32 v6, v6, 0, 16
	s_delay_alu instid0(VALU_DEP_3) | instskip(NEXT) | instid1(VALU_DEP_1)
	v_or_b32_e32 v8, 0x70000000, v8
	v_dual_add_f32 v9, -0.5, v9 :: v_dual_mul_f32 v8, 0x7800000, v8
	v_cmp_gt_u32_e32 vcc_lo, 0x8000000, v7
	s_delay_alu instid0(VALU_DEP_2) | instskip(NEXT) | instid1(VALU_DEP_1)
	v_cndmask_b32_e32 v7, v8, v9, vcc_lo
	v_and_or_b32 v6, 0x80000000, v6, v7
	s_delay_alu instid0(VALU_DEP_1)
	v_cvt_f16_f32_e32 v6, v6
.LBB336_1279:
	s_mov_b32 s13, 0
	s_mov_b32 s14, -1
.LBB336_1280:
	s_and_not1_b32 vcc_lo, exec_lo, s13
	s_mov_b32 s13, 0
	s_cbranch_vccnz .LBB336_1291
; %bb.1281:
	v_cmp_lt_i16_e32 vcc_lo, 14, v3
	s_cbranch_vccz .LBB336_1284
; %bb.1282:
	v_cmp_eq_u16_e32 vcc_lo, 15, v3
	s_cbranch_vccz .LBB336_1287
; %bb.1283:
	global_load_u16 v6, v[0:1], off
	s_mov_b32 s0, 0
	s_mov_b32 s14, -1
	s_waitcnt vmcnt(0)
	v_lshlrev_b32_e32 v6, 16, v6
	s_delay_alu instid0(VALU_DEP_1)
	v_cvt_f16_f32_e32 v6, v6
	s_branch .LBB336_1289
.LBB336_1284:
	s_mov_b32 s13, -1
	s_branch .LBB336_1288
.LBB336_1285:
	s_or_saveexec_b32 s15, s15
	v_mov_b32_e32 v6, s14
	s_xor_b32 exec_lo, exec_lo, s15
	s_cbranch_execz .LBB336_1266
.LBB336_1286:
	v_cmp_ne_u16_e32 vcc_lo, 0, v7
	v_mov_b32_e32 v6, v7
	s_and_not1_b32 s13, s13, exec_lo
	s_and_b32 s14, vcc_lo, exec_lo
	s_delay_alu instid0(SALU_CYCLE_1)
	s_or_b32 s13, s13, s14
	s_or_b32 exec_lo, exec_lo, s15
	s_and_saveexec_b32 s14, s13
	s_cbranch_execnz .LBB336_1267
	s_branch .LBB336_1268
.LBB336_1287:
	s_mov_b32 s0, -1
.LBB336_1288:
                                        ; implicit-def: $vgpr6
.LBB336_1289:
	s_and_b32 vcc_lo, exec_lo, s13
	s_mov_b32 s13, 0
	s_cbranch_vccz .LBB336_1291
; %bb.1290:
	v_cmp_ne_u16_e64 s0, 11, v3
	s_mov_b32 s13, -1
                                        ; implicit-def: $vgpr6
.LBB336_1291:
	s_delay_alu instid0(VALU_DEP_1)
	s_and_b32 vcc_lo, exec_lo, s0
	s_cbranch_vccnz .LBB336_1315
; %bb.1292:
	s_and_not1_b32 vcc_lo, exec_lo, s13
	s_cbranch_vccnz .LBB336_1294
.LBB336_1293:
	global_load_u8 v6, v[0:1], off
	s_mov_b32 s14, -1
	s_waitcnt vmcnt(0)
	v_cmp_ne_u16_e32 vcc_lo, 0, v6
	v_cndmask_b32_e64 v6, 0, 0x3c00, vcc_lo
.LBB336_1294:
.LBB336_1295:
	s_and_not1_b32 vcc_lo, exec_lo, s14
	s_cbranch_vccnz .LBB336_1996
.LBB336_1296:
	v_add_nc_u32_e32 v4, s9, v4
	v_cmp_gt_i16_e32 vcc_lo, 11, v3
	s_delay_alu instid0(VALU_DEP_2) | instskip(SKIP_1) | instid1(VALU_DEP_1)
	v_ashrrev_i32_e32 v1, 31, v4
	v_add_co_u32 v0, s0, s6, v4
	v_add_co_ci_u32_e64 v1, s0, s7, v1, s0
	s_cbranch_vccnz .LBB336_1303
; %bb.1297:
	v_cmp_lt_i16_e32 vcc_lo, 25, v3
	s_mov_b32 s13, 0
	s_cbranch_vccz .LBB336_1309
; %bb.1298:
	v_cmp_lt_i16_e32 vcc_lo, 28, v3
	s_cbranch_vccz .LBB336_1311
; %bb.1299:
	v_cmp_lt_i16_e32 vcc_lo, 43, v3
	;; [unrolled: 3-line block ×3, first 2 shown]
	s_cbranch_vccz .LBB336_1317
; %bb.1301:
	v_cmp_eq_u16_e32 vcc_lo, 46, v3
	s_mov_b32 s15, 0
	s_cbranch_vccz .LBB336_1360
; %bb.1302:
	global_load_b32 v7, v[0:1], off
	s_mov_b32 s0, 0
	s_mov_b32 s14, -1
	s_waitcnt vmcnt(0)
	v_lshlrev_b32_e32 v7, 16, v7
	s_delay_alu instid0(VALU_DEP_1)
	v_cvt_f16_f32_e32 v7, v7
	s_branch .LBB336_1362
.LBB336_1303:
	s_mov_b32 s14, 0
                                        ; implicit-def: $vgpr7
	s_cbranch_execz .LBB336_1428
; %bb.1304:
	v_cmp_gt_i16_e32 vcc_lo, 5, v3
	s_cbranch_vccnz .LBB336_1310
; %bb.1305:
	v_cmp_gt_i16_e32 vcc_lo, 8, v3
	s_cbranch_vccnz .LBB336_1312
	;; [unrolled: 3-line block ×3, first 2 shown]
; %bb.1307:
	v_cmp_lt_i16_e32 vcc_lo, 9, v3
	s_cbranch_vccz .LBB336_1318
; %bb.1308:
	global_load_b64 v[7:8], v[0:1], off
	s_mov_b32 s0, 0
	s_waitcnt vmcnt(0)
	v_cvt_f32_f64_e32 v7, v[7:8]
	s_delay_alu instid0(VALU_DEP_1)
	v_cvt_f16_f32_e32 v7, v7
	s_branch .LBB336_1319
.LBB336_1309:
	s_mov_b32 s15, -1
	s_mov_b32 s14, 0
	s_mov_b32 s0, 0
                                        ; implicit-def: $vgpr7
	s_branch .LBB336_1391
.LBB336_1310:
	s_mov_b32 s0, -1
                                        ; implicit-def: $vgpr7
	s_branch .LBB336_1337
.LBB336_1311:
	s_mov_b32 s15, -1
	s_mov_b32 s14, 0
	s_mov_b32 s0, 0
                                        ; implicit-def: $vgpr7
	s_branch .LBB336_1372
.LBB336_1312:
	s_mov_b32 s0, -1
                                        ; implicit-def: $vgpr7
	s_branch .LBB336_1325
.LBB336_1313:
	s_mov_b32 s15, -1
	s_mov_b32 s14, 0
	s_mov_b32 s0, 0
                                        ; implicit-def: $vgpr7
	s_branch .LBB336_1367
.LBB336_1314:
	s_mov_b32 s0, -1
                                        ; implicit-def: $vgpr7
	s_branch .LBB336_1322
.LBB336_1315:
	s_cbranch_execnz .LBB336_1358
; %bb.1316:
	s_or_b32 s2, s2, exec_lo
                                        ; implicit-def: $vgpr6
	s_cbranch_execz .LBB336_1293
	s_branch .LBB336_1294
.LBB336_1317:
	s_mov_b32 s15, -1
	s_mov_b32 s14, 0
	s_mov_b32 s0, 0
	s_branch .LBB336_1361
.LBB336_1318:
	s_mov_b32 s0, -1
                                        ; implicit-def: $vgpr7
.LBB336_1319:
	s_delay_alu instid0(SALU_CYCLE_1)
	s_and_not1_b32 vcc_lo, exec_lo, s0
	s_cbranch_vccnz .LBB336_1321
; %bb.1320:
	global_load_b32 v7, v[0:1], off
	s_waitcnt vmcnt(0)
	v_cvt_f16_f32_e32 v7, v7
.LBB336_1321:
	s_mov_b32 s0, 0
.LBB336_1322:
	s_delay_alu instid0(SALU_CYCLE_1)
	s_and_not1_b32 vcc_lo, exec_lo, s0
	s_cbranch_vccnz .LBB336_1324
; %bb.1323:
	global_load_b32 v7, v[0:1], off
.LBB336_1324:
	s_mov_b32 s0, 0
.LBB336_1325:
	s_delay_alu instid0(SALU_CYCLE_1)
	s_and_not1_b32 vcc_lo, exec_lo, s0
	s_cbranch_vccnz .LBB336_1336
; %bb.1326:
	v_cmp_gt_i16_e32 vcc_lo, 6, v3
	s_cbranch_vccnz .LBB336_1329
; %bb.1327:
	v_cmp_lt_i16_e32 vcc_lo, 6, v3
	s_cbranch_vccz .LBB336_1330
; %bb.1328:
	global_load_b64 v[7:8], v[0:1], off
	s_mov_b32 s0, 0
	s_waitcnt vmcnt(0)
	v_cvt_f32_f64_e32 v7, v[7:8]
	s_delay_alu instid0(VALU_DEP_1)
	v_cvt_f16_f32_e32 v7, v7
	s_branch .LBB336_1331
.LBB336_1329:
	s_mov_b32 s0, -1
                                        ; implicit-def: $vgpr7
	s_branch .LBB336_1334
.LBB336_1330:
	s_mov_b32 s0, -1
                                        ; implicit-def: $vgpr7
.LBB336_1331:
	s_delay_alu instid0(SALU_CYCLE_1)
	s_and_not1_b32 vcc_lo, exec_lo, s0
	s_cbranch_vccnz .LBB336_1333
; %bb.1332:
	global_load_b32 v7, v[0:1], off
	s_waitcnt vmcnt(0)
	v_cvt_f16_f32_e32 v7, v7
.LBB336_1333:
	s_mov_b32 s0, 0
.LBB336_1334:
	s_delay_alu instid0(SALU_CYCLE_1)
	s_and_not1_b32 vcc_lo, exec_lo, s0
	s_cbranch_vccnz .LBB336_1336
; %bb.1335:
	global_load_u16 v7, v[0:1], off
.LBB336_1336:
	s_mov_b32 s0, 0
.LBB336_1337:
	s_delay_alu instid0(SALU_CYCLE_1)
	s_and_not1_b32 vcc_lo, exec_lo, s0
	s_cbranch_vccnz .LBB336_1357
; %bb.1338:
	v_cmp_gt_i16_e32 vcc_lo, 2, v3
	s_cbranch_vccnz .LBB336_1342
; %bb.1339:
	v_cmp_gt_i16_e32 vcc_lo, 3, v3
	s_cbranch_vccnz .LBB336_1343
; %bb.1340:
	v_cmp_lt_i16_e32 vcc_lo, 3, v3
	s_cbranch_vccz .LBB336_1344
; %bb.1341:
	global_load_b64 v[7:8], v[0:1], off
	s_mov_b32 s0, 0
	s_waitcnt vmcnt(0)
	v_xor_b32_e32 v9, v7, v8
	v_cls_i32_e32 v10, v8
	s_delay_alu instid0(VALU_DEP_2) | instskip(NEXT) | instid1(VALU_DEP_2)
	v_ashrrev_i32_e32 v9, 31, v9
	v_add_nc_u32_e32 v10, -1, v10
	s_delay_alu instid0(VALU_DEP_2) | instskip(NEXT) | instid1(VALU_DEP_1)
	v_add_nc_u32_e32 v9, 32, v9
	v_min_u32_e32 v9, v10, v9
	s_delay_alu instid0(VALU_DEP_1) | instskip(NEXT) | instid1(VALU_DEP_1)
	v_lshlrev_b64 v[7:8], v9, v[7:8]
	v_min_u32_e32 v7, 1, v7
	s_delay_alu instid0(VALU_DEP_1) | instskip(SKIP_1) | instid1(VALU_DEP_2)
	v_or_b32_e32 v7, v8, v7
	v_sub_nc_u32_e32 v8, 32, v9
	v_cvt_f32_i32_e32 v7, v7
	s_delay_alu instid0(VALU_DEP_1) | instskip(NEXT) | instid1(VALU_DEP_1)
	v_ldexp_f32 v7, v7, v8
	v_cvt_f16_f32_e32 v7, v7
	s_branch .LBB336_1345
.LBB336_1342:
	s_mov_b32 s0, -1
                                        ; implicit-def: $vgpr7
	s_branch .LBB336_1351
.LBB336_1343:
	s_mov_b32 s0, -1
                                        ; implicit-def: $vgpr7
	s_branch .LBB336_1348
.LBB336_1344:
	s_mov_b32 s0, -1
                                        ; implicit-def: $vgpr7
.LBB336_1345:
	s_delay_alu instid0(SALU_CYCLE_1)
	s_and_not1_b32 vcc_lo, exec_lo, s0
	s_cbranch_vccnz .LBB336_1347
; %bb.1346:
	global_load_b32 v7, v[0:1], off
	s_waitcnt vmcnt(0)
	v_cvt_f32_i32_e32 v7, v7
	s_delay_alu instid0(VALU_DEP_1)
	v_cvt_f16_f32_e32 v7, v7
.LBB336_1347:
	s_mov_b32 s0, 0
.LBB336_1348:
	s_delay_alu instid0(SALU_CYCLE_1)
	s_and_not1_b32 vcc_lo, exec_lo, s0
	s_cbranch_vccnz .LBB336_1350
; %bb.1349:
	global_load_u16 v7, v[0:1], off
	s_waitcnt vmcnt(0)
	v_cvt_f16_i16_e32 v7, v7
.LBB336_1350:
	s_mov_b32 s0, 0
.LBB336_1351:
	s_delay_alu instid0(SALU_CYCLE_1)
	s_and_not1_b32 vcc_lo, exec_lo, s0
	s_cbranch_vccnz .LBB336_1357
; %bb.1352:
	v_cmp_lt_i16_e32 vcc_lo, 0, v3
	s_mov_b32 s0, 0
	s_cbranch_vccz .LBB336_1354
; %bb.1353:
	global_load_i8 v7, v[0:1], off
	s_waitcnt vmcnt(0)
	v_cvt_f16_i16_e32 v7, v7
	s_branch .LBB336_1355
.LBB336_1354:
	s_mov_b32 s0, -1
                                        ; implicit-def: $vgpr7
.LBB336_1355:
	s_delay_alu instid0(SALU_CYCLE_1)
	s_and_not1_b32 vcc_lo, exec_lo, s0
	s_cbranch_vccnz .LBB336_1357
; %bb.1356:
	global_load_u8 v0, v[0:1], off
	s_waitcnt vmcnt(0)
	v_cvt_f16_u16_e32 v7, v0
.LBB336_1357:
	s_branch .LBB336_1429
.LBB336_1358:
	s_trap 2
	s_sendmsg_rtn_b32 s0, sendmsg(MSG_RTN_GET_DOORBELL)
	s_mov_b32 ttmp2, m0
	s_waitcnt lgkmcnt(0)
	s_and_b32 s0, s0, 0x3ff
	s_delay_alu instid0(SALU_CYCLE_1) | instskip(NEXT) | instid1(SALU_CYCLE_1)
	s_bitset1_b32 s0, 10
	s_mov_b32 m0, s0
	s_sendmsg sendmsg(MSG_INTERRUPT)
	s_mov_b32 m0, ttmp2
.LBB336_1359:                           ; =>This Inner Loop Header: Depth=1
	s_sethalt 5
	s_branch .LBB336_1359
.LBB336_1360:
	s_mov_b32 s0, -1
	s_mov_b32 s14, 0
.LBB336_1361:
                                        ; implicit-def: $vgpr7
.LBB336_1362:
	s_and_b32 vcc_lo, exec_lo, s15
	s_cbranch_vccz .LBB336_1366
; %bb.1363:
	v_cmp_eq_u16_e32 vcc_lo, 44, v3
	s_cbranch_vccz .LBB336_1365
; %bb.1364:
	global_load_u8 v7, v[0:1], off
	s_mov_b32 s0, 0
	s_mov_b32 s14, -1
	s_waitcnt vmcnt(0)
	v_lshlrev_b32_e32 v8, 23, v7
	v_cmp_ne_u32_e32 vcc_lo, 0xff, v7
	s_delay_alu instid0(VALU_DEP_2) | instskip(NEXT) | instid1(VALU_DEP_1)
	v_cvt_f16_f32_e32 v8, v8
	v_cndmask_b32_e32 v8, 0x7e00, v8, vcc_lo
	v_cmp_ne_u32_e32 vcc_lo, 0, v7
	s_delay_alu instid0(VALU_DEP_2)
	v_cndmask_b32_e32 v7, 0, v8, vcc_lo
	s_branch .LBB336_1366
.LBB336_1365:
	s_mov_b32 s0, -1
                                        ; implicit-def: $vgpr7
.LBB336_1366:
	s_mov_b32 s15, 0
.LBB336_1367:
	s_delay_alu instid0(SALU_CYCLE_1)
	s_and_b32 vcc_lo, exec_lo, s15
	s_cbranch_vccz .LBB336_1371
; %bb.1368:
	v_cmp_eq_u16_e32 vcc_lo, 29, v3
	s_cbranch_vccz .LBB336_1370
; %bb.1369:
	global_load_b64 v[7:8], v[0:1], off
	s_mov_b32 s0, 0
	s_mov_b32 s14, -1
	s_mov_b32 s15, 0
	s_waitcnt vmcnt(0)
	v_clz_i32_u32_e32 v9, v8
	s_delay_alu instid0(VALU_DEP_1) | instskip(NEXT) | instid1(VALU_DEP_1)
	v_min_u32_e32 v9, 32, v9
	v_lshlrev_b64 v[7:8], v9, v[7:8]
	s_delay_alu instid0(VALU_DEP_1) | instskip(NEXT) | instid1(VALU_DEP_1)
	v_min_u32_e32 v7, 1, v7
	v_or_b32_e32 v7, v8, v7
	v_sub_nc_u32_e32 v8, 32, v9
	s_delay_alu instid0(VALU_DEP_2) | instskip(NEXT) | instid1(VALU_DEP_1)
	v_cvt_f32_u32_e32 v7, v7
	v_ldexp_f32 v7, v7, v8
	s_delay_alu instid0(VALU_DEP_1)
	v_cvt_f16_f32_e32 v7, v7
	s_branch .LBB336_1372
.LBB336_1370:
	s_mov_b32 s0, -1
                                        ; implicit-def: $vgpr7
.LBB336_1371:
	s_mov_b32 s15, 0
.LBB336_1372:
	s_delay_alu instid0(SALU_CYCLE_1)
	s_and_b32 vcc_lo, exec_lo, s15
	s_cbranch_vccz .LBB336_1390
; %bb.1373:
	v_cmp_gt_i16_e32 vcc_lo, 27, v3
	s_cbranch_vccnz .LBB336_1376
; %bb.1374:
	v_cmp_lt_i16_e32 vcc_lo, 27, v3
	s_cbranch_vccz .LBB336_1377
; %bb.1375:
	global_load_b32 v7, v[0:1], off
	s_mov_b32 s14, 0
	s_waitcnt vmcnt(0)
	v_cvt_f32_u32_e32 v7, v7
	s_delay_alu instid0(VALU_DEP_1)
	v_cvt_f16_f32_e32 v7, v7
	s_branch .LBB336_1378
.LBB336_1376:
	s_mov_b32 s14, -1
                                        ; implicit-def: $vgpr7
	s_branch .LBB336_1381
.LBB336_1377:
	s_mov_b32 s14, -1
                                        ; implicit-def: $vgpr7
.LBB336_1378:
	s_delay_alu instid0(SALU_CYCLE_1)
	s_and_not1_b32 vcc_lo, exec_lo, s14
	s_cbranch_vccnz .LBB336_1380
; %bb.1379:
	global_load_u16 v7, v[0:1], off
	s_waitcnt vmcnt(0)
	v_cvt_f16_u16_e32 v7, v7
.LBB336_1380:
	s_mov_b32 s14, 0
.LBB336_1381:
	s_delay_alu instid0(SALU_CYCLE_1)
	s_and_not1_b32 vcc_lo, exec_lo, s14
	s_cbranch_vccnz .LBB336_1389
; %bb.1382:
	global_load_u8 v8, v[0:1], off
	s_mov_b32 s14, 0
	s_mov_b32 s16, exec_lo
                                        ; implicit-def: $sgpr15
	s_waitcnt vmcnt(0)
	v_cmpx_lt_i16_e32 0x7f, v8
	s_xor_b32 s16, exec_lo, s16
	s_cbranch_execz .LBB336_1403
; %bb.1383:
	s_mov_b32 s14, -1
	s_mov_b32 s17, exec_lo
                                        ; implicit-def: $sgpr15
	v_cmpx_eq_u16_e32 0x80, v8
; %bb.1384:
	s_movk_i32 s15, 0x7e00
	s_xor_b32 s14, exec_lo, -1
; %bb.1385:
	s_or_b32 exec_lo, exec_lo, s17
	s_delay_alu instid0(SALU_CYCLE_1)
	s_and_b32 s14, s14, exec_lo
	s_or_saveexec_b32 s16, s16
	v_mov_b32_e32 v7, s15
	s_xor_b32 exec_lo, exec_lo, s16
	s_cbranch_execnz .LBB336_1404
.LBB336_1386:
	s_or_b32 exec_lo, exec_lo, s16
	s_and_saveexec_b32 s15, s14
	s_cbranch_execz .LBB336_1388
.LBB336_1387:
	v_and_b32_e32 v7, 0xffff, v8
	s_delay_alu instid0(VALU_DEP_1) | instskip(NEXT) | instid1(VALU_DEP_1)
	v_and_b32_e32 v9, 7, v7
	v_clz_i32_u32_e32 v10, v9
	s_delay_alu instid0(VALU_DEP_1) | instskip(NEXT) | instid1(VALU_DEP_1)
	v_min_u32_e32 v10, 32, v10
	v_subrev_nc_u32_e32 v11, 28, v10
	v_sub_nc_u32_e32 v10, 29, v10
	s_delay_alu instid0(VALU_DEP_2) | instskip(SKIP_1) | instid1(VALU_DEP_2)
	v_lshlrev_b32_e32 v11, v11, v7
	v_bfe_u32 v7, v7, 3, 4
	v_and_b32_e32 v11, 7, v11
	s_delay_alu instid0(VALU_DEP_2) | instskip(SKIP_1) | instid1(VALU_DEP_1)
	v_cmp_eq_u32_e32 vcc_lo, 0, v7
	v_dual_cndmask_b32 v7, v7, v10 :: v_dual_lshlrev_b32 v8, 24, v8
	v_dual_cndmask_b32 v9, v9, v11 :: v_dual_and_b32 v8, 0x80000000, v8
	s_delay_alu instid0(VALU_DEP_2) | instskip(NEXT) | instid1(VALU_DEP_2)
	v_lshl_add_u32 v7, v7, 23, 0x3b800000
	v_lshlrev_b32_e32 v9, 20, v9
	s_delay_alu instid0(VALU_DEP_1) | instskip(NEXT) | instid1(VALU_DEP_1)
	v_or3_b32 v7, v8, v7, v9
	v_cvt_f16_f32_e32 v7, v7
.LBB336_1388:
	s_or_b32 exec_lo, exec_lo, s15
.LBB336_1389:
	s_mov_b32 s14, -1
.LBB336_1390:
	s_mov_b32 s15, 0
.LBB336_1391:
	s_delay_alu instid0(SALU_CYCLE_1)
	s_and_b32 vcc_lo, exec_lo, s15
	s_cbranch_vccz .LBB336_1424
; %bb.1392:
	v_cmp_lt_i16_e32 vcc_lo, 22, v3
	s_cbranch_vccz .LBB336_1402
; %bb.1393:
	v_cmp_gt_i16_e32 vcc_lo, 24, v3
	s_cbranch_vccnz .LBB336_1405
; %bb.1394:
	v_cmp_lt_i16_e32 vcc_lo, 24, v3
	s_cbranch_vccz .LBB336_1406
; %bb.1395:
	global_load_u8 v8, v[0:1], off
	s_mov_b32 s15, exec_lo
                                        ; implicit-def: $sgpr14
	s_waitcnt vmcnt(0)
	v_cmpx_lt_i16_e32 0x7f, v8
	s_xor_b32 s15, exec_lo, s15
	s_cbranch_execz .LBB336_1418
; %bb.1396:
	s_mov_b32 s13, -1
	s_mov_b32 s16, exec_lo
                                        ; implicit-def: $sgpr14
	v_cmpx_eq_u16_e32 0x80, v8
; %bb.1397:
	s_movk_i32 s14, 0x7e00
	s_xor_b32 s13, exec_lo, -1
; %bb.1398:
	s_or_b32 exec_lo, exec_lo, s16
	s_delay_alu instid0(SALU_CYCLE_1)
	s_and_b32 s13, s13, exec_lo
	s_or_saveexec_b32 s15, s15
	v_mov_b32_e32 v7, s14
	s_xor_b32 exec_lo, exec_lo, s15
	s_cbranch_execnz .LBB336_1419
.LBB336_1399:
	s_or_b32 exec_lo, exec_lo, s15
	s_and_saveexec_b32 s14, s13
	s_cbranch_execz .LBB336_1401
.LBB336_1400:
	v_and_b32_e32 v7, 0xffff, v8
	s_delay_alu instid0(VALU_DEP_1) | instskip(NEXT) | instid1(VALU_DEP_1)
	v_and_b32_e32 v9, 3, v7
	v_clz_i32_u32_e32 v10, v9
	s_delay_alu instid0(VALU_DEP_1) | instskip(NEXT) | instid1(VALU_DEP_1)
	v_min_u32_e32 v10, 32, v10
	v_subrev_nc_u32_e32 v11, 29, v10
	v_sub_nc_u32_e32 v10, 30, v10
	s_delay_alu instid0(VALU_DEP_2) | instskip(SKIP_1) | instid1(VALU_DEP_2)
	v_lshlrev_b32_e32 v11, v11, v7
	v_bfe_u32 v7, v7, 2, 5
	v_and_b32_e32 v11, 3, v11
	s_delay_alu instid0(VALU_DEP_2) | instskip(SKIP_1) | instid1(VALU_DEP_1)
	v_cmp_eq_u32_e32 vcc_lo, 0, v7
	v_dual_cndmask_b32 v7, v7, v10 :: v_dual_lshlrev_b32 v8, 24, v8
	v_dual_cndmask_b32 v9, v9, v11 :: v_dual_and_b32 v8, 0x80000000, v8
	s_delay_alu instid0(VALU_DEP_2) | instskip(NEXT) | instid1(VALU_DEP_2)
	v_lshl_add_u32 v7, v7, 23, 0x37800000
	v_lshlrev_b32_e32 v9, 21, v9
	s_delay_alu instid0(VALU_DEP_1) | instskip(NEXT) | instid1(VALU_DEP_1)
	v_or3_b32 v7, v8, v7, v9
	v_cvt_f16_f32_e32 v7, v7
.LBB336_1401:
	s_or_b32 exec_lo, exec_lo, s14
	s_mov_b32 s13, 0
	s_branch .LBB336_1407
.LBB336_1402:
	s_mov_b32 s13, -1
                                        ; implicit-def: $vgpr7
	s_branch .LBB336_1413
.LBB336_1403:
	s_or_saveexec_b32 s16, s16
	v_mov_b32_e32 v7, s15
	s_xor_b32 exec_lo, exec_lo, s16
	s_cbranch_execz .LBB336_1386
.LBB336_1404:
	v_cmp_ne_u16_e32 vcc_lo, 0, v8
	v_mov_b32_e32 v7, v8
	s_and_not1_b32 s14, s14, exec_lo
	s_and_b32 s15, vcc_lo, exec_lo
	s_delay_alu instid0(SALU_CYCLE_1)
	s_or_b32 s14, s14, s15
	s_or_b32 exec_lo, exec_lo, s16
	s_and_saveexec_b32 s15, s14
	s_cbranch_execnz .LBB336_1387
	s_branch .LBB336_1388
.LBB336_1405:
	s_mov_b32 s13, -1
                                        ; implicit-def: $vgpr7
	s_branch .LBB336_1410
.LBB336_1406:
	s_mov_b32 s13, -1
                                        ; implicit-def: $vgpr7
.LBB336_1407:
	s_delay_alu instid0(SALU_CYCLE_1)
	s_and_b32 vcc_lo, exec_lo, s13
	s_cbranch_vccz .LBB336_1409
; %bb.1408:
	global_load_u8 v7, v[0:1], off
	s_waitcnt vmcnt(0)
	v_lshlrev_b32_e32 v7, 24, v7
	s_delay_alu instid0(VALU_DEP_1) | instskip(NEXT) | instid1(VALU_DEP_1)
	v_and_b32_e32 v8, 0x7f000000, v7
	v_clz_i32_u32_e32 v9, v8
	v_add_nc_u32_e32 v11, 0x1000000, v8
	v_cmp_ne_u32_e32 vcc_lo, 0, v8
	s_delay_alu instid0(VALU_DEP_3) | instskip(NEXT) | instid1(VALU_DEP_1)
	v_min_u32_e32 v9, 32, v9
	v_sub_nc_u32_e64 v9, v9, 4 clamp
	s_delay_alu instid0(VALU_DEP_1) | instskip(SKIP_1) | instid1(VALU_DEP_2)
	v_lshlrev_b32_e32 v10, v9, v8
	v_lshlrev_b32_e32 v9, 23, v9
	v_lshrrev_b32_e32 v10, 4, v10
	s_delay_alu instid0(VALU_DEP_1) | instskip(SKIP_1) | instid1(VALU_DEP_2)
	v_sub_nc_u32_e32 v9, v10, v9
	v_ashrrev_i32_e32 v10, 8, v11
	v_add_nc_u32_e32 v9, 0x3c000000, v9
	s_delay_alu instid0(VALU_DEP_1) | instskip(NEXT) | instid1(VALU_DEP_1)
	v_and_or_b32 v9, 0x7f800000, v10, v9
	v_cndmask_b32_e32 v8, 0, v9, vcc_lo
	s_delay_alu instid0(VALU_DEP_1) | instskip(NEXT) | instid1(VALU_DEP_1)
	v_and_or_b32 v7, 0x80000000, v7, v8
	v_cvt_f16_f32_e32 v7, v7
.LBB336_1409:
	s_mov_b32 s13, 0
.LBB336_1410:
	s_delay_alu instid0(SALU_CYCLE_1)
	s_and_not1_b32 vcc_lo, exec_lo, s13
	s_cbranch_vccnz .LBB336_1412
; %bb.1411:
	global_load_u8 v7, v[0:1], off
	s_waitcnt vmcnt(0)
	v_lshlrev_b32_e32 v8, 25, v7
	v_lshlrev_b16 v7, 8, v7
	s_delay_alu instid0(VALU_DEP_2) | instskip(NEXT) | instid1(VALU_DEP_2)
	v_lshrrev_b32_e32 v9, 4, v8
	v_and_or_b32 v10, 0x7f00, v7, 0.5
	v_bfe_i32 v7, v7, 0, 16
	s_delay_alu instid0(VALU_DEP_3) | instskip(NEXT) | instid1(VALU_DEP_1)
	v_or_b32_e32 v9, 0x70000000, v9
	v_dual_add_f32 v10, -0.5, v10 :: v_dual_mul_f32 v9, 0x7800000, v9
	v_cmp_gt_u32_e32 vcc_lo, 0x8000000, v8
	s_delay_alu instid0(VALU_DEP_2) | instskip(NEXT) | instid1(VALU_DEP_1)
	v_cndmask_b32_e32 v8, v9, v10, vcc_lo
	v_and_or_b32 v7, 0x80000000, v7, v8
	s_delay_alu instid0(VALU_DEP_1)
	v_cvt_f16_f32_e32 v7, v7
.LBB336_1412:
	s_mov_b32 s13, 0
	s_mov_b32 s14, -1
.LBB336_1413:
	s_and_not1_b32 vcc_lo, exec_lo, s13
	s_mov_b32 s13, 0
	s_cbranch_vccnz .LBB336_1424
; %bb.1414:
	v_cmp_lt_i16_e32 vcc_lo, 14, v3
	s_cbranch_vccz .LBB336_1417
; %bb.1415:
	v_cmp_eq_u16_e32 vcc_lo, 15, v3
	s_cbranch_vccz .LBB336_1420
; %bb.1416:
	global_load_u16 v7, v[0:1], off
	s_mov_b32 s0, 0
	s_mov_b32 s14, -1
	s_waitcnt vmcnt(0)
	v_lshlrev_b32_e32 v7, 16, v7
	s_delay_alu instid0(VALU_DEP_1)
	v_cvt_f16_f32_e32 v7, v7
	s_branch .LBB336_1422
.LBB336_1417:
	s_mov_b32 s13, -1
	s_branch .LBB336_1421
.LBB336_1418:
	s_or_saveexec_b32 s15, s15
	v_mov_b32_e32 v7, s14
	s_xor_b32 exec_lo, exec_lo, s15
	s_cbranch_execz .LBB336_1399
.LBB336_1419:
	v_cmp_ne_u16_e32 vcc_lo, 0, v8
	v_mov_b32_e32 v7, v8
	s_and_not1_b32 s13, s13, exec_lo
	s_and_b32 s14, vcc_lo, exec_lo
	s_delay_alu instid0(SALU_CYCLE_1)
	s_or_b32 s13, s13, s14
	s_or_b32 exec_lo, exec_lo, s15
	s_and_saveexec_b32 s14, s13
	s_cbranch_execnz .LBB336_1400
	s_branch .LBB336_1401
.LBB336_1420:
	s_mov_b32 s0, -1
.LBB336_1421:
                                        ; implicit-def: $vgpr7
.LBB336_1422:
	s_and_b32 vcc_lo, exec_lo, s13
	s_mov_b32 s13, 0
	s_cbranch_vccz .LBB336_1424
; %bb.1423:
	v_cmp_ne_u16_e64 s0, 11, v3
	s_mov_b32 s13, -1
                                        ; implicit-def: $vgpr7
.LBB336_1424:
	s_delay_alu instid0(VALU_DEP_1)
	s_and_b32 vcc_lo, exec_lo, s0
	s_cbranch_vccnz .LBB336_1440
; %bb.1425:
	s_and_not1_b32 vcc_lo, exec_lo, s13
	s_cbranch_vccnz .LBB336_1427
.LBB336_1426:
	global_load_u8 v7, v[0:1], off
	s_mov_b32 s14, -1
	s_waitcnt vmcnt(0)
	v_cmp_ne_u16_e32 vcc_lo, 0, v7
	v_cndmask_b32_e64 v7, 0, 0x3c00, vcc_lo
.LBB336_1427:
.LBB336_1428:
	s_and_not1_b32 vcc_lo, exec_lo, s14
	s_cbranch_vccnz .LBB336_1996
.LBB336_1429:
	v_add_nc_u32_e32 v0, s9, v4
	v_cmp_gt_i16_e32 vcc_lo, 11, v3
	s_delay_alu instid0(VALU_DEP_2) | instskip(SKIP_1) | instid1(VALU_DEP_1)
	v_ashrrev_i32_e32 v1, 31, v0
	v_add_co_u32 v0, s0, s6, v0
	v_add_co_ci_u32_e64 v1, s0, s7, v1, s0
	s_cbranch_vccnz .LBB336_1436
; %bb.1430:
	v_cmp_lt_i16_e32 vcc_lo, 25, v3
	s_mov_b32 s6, 0
	s_cbranch_vccz .LBB336_1437
; %bb.1431:
	v_cmp_lt_i16_e32 vcc_lo, 28, v3
	s_cbranch_vccz .LBB336_1438
; %bb.1432:
	v_cmp_lt_i16_e32 vcc_lo, 43, v3
	;; [unrolled: 3-line block ×3, first 2 shown]
	s_cbranch_vccz .LBB336_1442
; %bb.1434:
	v_cmp_eq_u16_e32 vcc_lo, 46, v3
	s_mov_b32 s9, 0
	s_cbranch_vccz .LBB336_1445
; %bb.1435:
	global_load_b32 v4, v[0:1], off
	s_mov_b32 s0, 0
	s_mov_b32 s7, -1
	s_waitcnt vmcnt(0)
	v_lshlrev_b32_e32 v4, 16, v4
	s_delay_alu instid0(VALU_DEP_1)
	v_cvt_f16_f32_e32 v8, v4
	s_branch .LBB336_1447
.LBB336_1436:
	s_mov_b32 s0, -1
	s_mov_b32 s7, 0
                                        ; implicit-def: $vgpr8
	s_branch .LBB336_1513
.LBB336_1437:
	s_mov_b32 s9, -1
	s_mov_b32 s7, 0
	s_mov_b32 s0, 0
                                        ; implicit-def: $vgpr8
	s_branch .LBB336_1476
.LBB336_1438:
	s_mov_b32 s9, -1
	s_mov_b32 s7, 0
	s_mov_b32 s0, 0
                                        ; implicit-def: $vgpr8
	s_branch .LBB336_1457
.LBB336_1439:
	s_mov_b32 s9, -1
	s_mov_b32 s7, 0
	s_mov_b32 s0, 0
                                        ; implicit-def: $vgpr8
	s_branch .LBB336_1452
.LBB336_1440:
	s_cbranch_execnz .LBB336_1443
; %bb.1441:
	s_or_b32 s2, s2, exec_lo
                                        ; implicit-def: $vgpr7
	s_cbranch_execz .LBB336_1426
	s_branch .LBB336_1427
.LBB336_1442:
	s_mov_b32 s9, -1
	s_mov_b32 s7, 0
	s_mov_b32 s0, 0
	s_branch .LBB336_1446
.LBB336_1443:
	s_trap 2
	s_sendmsg_rtn_b32 s0, sendmsg(MSG_RTN_GET_DOORBELL)
	s_mov_b32 ttmp2, m0
	s_waitcnt lgkmcnt(0)
	s_and_b32 s0, s0, 0x3ff
	s_delay_alu instid0(SALU_CYCLE_1) | instskip(NEXT) | instid1(SALU_CYCLE_1)
	s_bitset1_b32 s0, 10
	s_mov_b32 m0, s0
	s_sendmsg sendmsg(MSG_INTERRUPT)
	s_mov_b32 m0, ttmp2
.LBB336_1444:                           ; =>This Inner Loop Header: Depth=1
	s_sethalt 5
	s_branch .LBB336_1444
.LBB336_1445:
	s_mov_b32 s0, -1
	s_mov_b32 s7, 0
.LBB336_1446:
                                        ; implicit-def: $vgpr8
.LBB336_1447:
	s_and_b32 vcc_lo, exec_lo, s9
	s_cbranch_vccz .LBB336_1451
; %bb.1448:
	v_cmp_eq_u16_e32 vcc_lo, 44, v3
	s_cbranch_vccz .LBB336_1450
; %bb.1449:
	global_load_u8 v4, v[0:1], off
	s_mov_b32 s0, 0
	s_mov_b32 s7, -1
	s_waitcnt vmcnt(0)
	v_lshlrev_b32_e32 v8, 23, v4
	v_cmp_ne_u32_e32 vcc_lo, 0xff, v4
	s_delay_alu instid0(VALU_DEP_2) | instskip(NEXT) | instid1(VALU_DEP_1)
	v_cvt_f16_f32_e32 v8, v8
	v_cndmask_b32_e32 v8, 0x7e00, v8, vcc_lo
	v_cmp_ne_u32_e32 vcc_lo, 0, v4
	s_delay_alu instid0(VALU_DEP_2)
	v_cndmask_b32_e32 v8, 0, v8, vcc_lo
	s_branch .LBB336_1451
.LBB336_1450:
	s_mov_b32 s0, -1
                                        ; implicit-def: $vgpr8
.LBB336_1451:
	s_mov_b32 s9, 0
.LBB336_1452:
	s_delay_alu instid0(SALU_CYCLE_1)
	s_and_b32 vcc_lo, exec_lo, s9
	s_cbranch_vccz .LBB336_1456
; %bb.1453:
	v_cmp_eq_u16_e32 vcc_lo, 29, v3
	s_cbranch_vccz .LBB336_1455
; %bb.1454:
	global_load_b64 v[8:9], v[0:1], off
	s_mov_b32 s0, 0
	s_mov_b32 s7, -1
	s_mov_b32 s9, 0
	s_waitcnt vmcnt(0)
	v_clz_i32_u32_e32 v4, v9
	s_delay_alu instid0(VALU_DEP_1) | instskip(NEXT) | instid1(VALU_DEP_1)
	v_min_u32_e32 v4, 32, v4
	v_lshlrev_b64 v[8:9], v4, v[8:9]
	v_sub_nc_u32_e32 v4, 32, v4
	s_delay_alu instid0(VALU_DEP_2) | instskip(NEXT) | instid1(VALU_DEP_1)
	v_min_u32_e32 v8, 1, v8
	v_or_b32_e32 v8, v9, v8
	s_delay_alu instid0(VALU_DEP_1) | instskip(NEXT) | instid1(VALU_DEP_1)
	v_cvt_f32_u32_e32 v8, v8
	v_ldexp_f32 v4, v8, v4
	s_delay_alu instid0(VALU_DEP_1)
	v_cvt_f16_f32_e32 v8, v4
	s_branch .LBB336_1457
.LBB336_1455:
	s_mov_b32 s0, -1
                                        ; implicit-def: $vgpr8
.LBB336_1456:
	s_mov_b32 s9, 0
.LBB336_1457:
	s_delay_alu instid0(SALU_CYCLE_1)
	s_and_b32 vcc_lo, exec_lo, s9
	s_cbranch_vccz .LBB336_1475
; %bb.1458:
	v_cmp_gt_i16_e32 vcc_lo, 27, v3
	s_cbranch_vccnz .LBB336_1461
; %bb.1459:
	v_cmp_lt_i16_e32 vcc_lo, 27, v3
	s_cbranch_vccz .LBB336_1462
; %bb.1460:
	global_load_b32 v4, v[0:1], off
	s_mov_b32 s7, 0
	s_waitcnt vmcnt(0)
	v_cvt_f32_u32_e32 v4, v4
	s_delay_alu instid0(VALU_DEP_1)
	v_cvt_f16_f32_e32 v8, v4
	s_branch .LBB336_1463
.LBB336_1461:
	s_mov_b32 s7, -1
                                        ; implicit-def: $vgpr8
	s_branch .LBB336_1466
.LBB336_1462:
	s_mov_b32 s7, -1
                                        ; implicit-def: $vgpr8
.LBB336_1463:
	s_delay_alu instid0(SALU_CYCLE_1)
	s_and_not1_b32 vcc_lo, exec_lo, s7
	s_cbranch_vccnz .LBB336_1465
; %bb.1464:
	global_load_u16 v4, v[0:1], off
	s_waitcnt vmcnt(0)
	v_cvt_f16_u16_e32 v8, v4
.LBB336_1465:
	s_mov_b32 s7, 0
.LBB336_1466:
	s_delay_alu instid0(SALU_CYCLE_1)
	s_and_not1_b32 vcc_lo, exec_lo, s7
	s_cbranch_vccnz .LBB336_1474
; %bb.1467:
	global_load_u8 v4, v[0:1], off
	s_mov_b32 s7, 0
	s_mov_b32 s13, exec_lo
                                        ; implicit-def: $sgpr9
	s_waitcnt vmcnt(0)
	v_cmpx_lt_i16_e32 0x7f, v4
	s_xor_b32 s13, exec_lo, s13
	s_cbranch_execz .LBB336_1488
; %bb.1468:
	s_mov_b32 s7, -1
	s_mov_b32 s14, exec_lo
                                        ; implicit-def: $sgpr9
	v_cmpx_eq_u16_e32 0x80, v4
; %bb.1469:
	s_movk_i32 s9, 0x7e00
	s_xor_b32 s7, exec_lo, -1
; %bb.1470:
	s_or_b32 exec_lo, exec_lo, s14
	s_delay_alu instid0(SALU_CYCLE_1)
	s_and_b32 s7, s7, exec_lo
	s_or_saveexec_b32 s13, s13
	v_mov_b32_e32 v8, s9
	s_xor_b32 exec_lo, exec_lo, s13
	s_cbranch_execnz .LBB336_1489
.LBB336_1471:
	s_or_b32 exec_lo, exec_lo, s13
	s_and_saveexec_b32 s9, s7
	s_cbranch_execz .LBB336_1473
.LBB336_1472:
	v_and_b32_e32 v8, 0xffff, v4
	v_lshlrev_b32_e32 v4, 24, v4
	s_delay_alu instid0(VALU_DEP_2) | instskip(NEXT) | instid1(VALU_DEP_2)
	v_and_b32_e32 v9, 7, v8
	v_and_b32_e32 v4, 0x80000000, v4
	s_delay_alu instid0(VALU_DEP_2) | instskip(NEXT) | instid1(VALU_DEP_1)
	v_clz_i32_u32_e32 v10, v9
	v_min_u32_e32 v10, 32, v10
	s_delay_alu instid0(VALU_DEP_1) | instskip(SKIP_1) | instid1(VALU_DEP_2)
	v_subrev_nc_u32_e32 v11, 28, v10
	v_sub_nc_u32_e32 v10, 29, v10
	v_lshlrev_b32_e32 v11, v11, v8
	v_bfe_u32 v8, v8, 3, 4
	s_delay_alu instid0(VALU_DEP_2) | instskip(NEXT) | instid1(VALU_DEP_2)
	v_and_b32_e32 v11, 7, v11
	v_cmp_eq_u32_e32 vcc_lo, 0, v8
	s_delay_alu instid0(VALU_DEP_2) | instskip(NEXT) | instid1(VALU_DEP_1)
	v_dual_cndmask_b32 v8, v8, v10 :: v_dual_cndmask_b32 v9, v9, v11
	v_lshl_add_u32 v8, v8, 23, 0x3b800000
	s_delay_alu instid0(VALU_DEP_2) | instskip(NEXT) | instid1(VALU_DEP_1)
	v_lshlrev_b32_e32 v9, 20, v9
	v_or3_b32 v4, v4, v8, v9
	s_delay_alu instid0(VALU_DEP_1)
	v_cvt_f16_f32_e32 v8, v4
.LBB336_1473:
	s_or_b32 exec_lo, exec_lo, s9
.LBB336_1474:
	s_mov_b32 s7, -1
.LBB336_1475:
	s_mov_b32 s9, 0
.LBB336_1476:
	s_delay_alu instid0(SALU_CYCLE_1)
	s_and_b32 vcc_lo, exec_lo, s9
	s_cbranch_vccz .LBB336_1509
; %bb.1477:
	v_cmp_lt_i16_e32 vcc_lo, 22, v3
	s_cbranch_vccz .LBB336_1487
; %bb.1478:
	v_cmp_gt_i16_e32 vcc_lo, 24, v3
	s_cbranch_vccnz .LBB336_1490
; %bb.1479:
	v_cmp_lt_i16_e32 vcc_lo, 24, v3
	s_cbranch_vccz .LBB336_1491
; %bb.1480:
	global_load_u8 v4, v[0:1], off
	s_mov_b32 s9, exec_lo
                                        ; implicit-def: $sgpr7
	s_waitcnt vmcnt(0)
	v_cmpx_lt_i16_e32 0x7f, v4
	s_xor_b32 s9, exec_lo, s9
	s_cbranch_execz .LBB336_1503
; %bb.1481:
	s_mov_b32 s6, -1
	s_mov_b32 s13, exec_lo
                                        ; implicit-def: $sgpr7
	v_cmpx_eq_u16_e32 0x80, v4
; %bb.1482:
	s_movk_i32 s7, 0x7e00
	s_xor_b32 s6, exec_lo, -1
; %bb.1483:
	s_or_b32 exec_lo, exec_lo, s13
	s_delay_alu instid0(SALU_CYCLE_1)
	s_and_b32 s6, s6, exec_lo
	s_or_saveexec_b32 s9, s9
	v_mov_b32_e32 v8, s7
	s_xor_b32 exec_lo, exec_lo, s9
	s_cbranch_execnz .LBB336_1504
.LBB336_1484:
	s_or_b32 exec_lo, exec_lo, s9
	s_and_saveexec_b32 s7, s6
	s_cbranch_execz .LBB336_1486
.LBB336_1485:
	v_and_b32_e32 v8, 0xffff, v4
	v_lshlrev_b32_e32 v4, 24, v4
	s_delay_alu instid0(VALU_DEP_2) | instskip(NEXT) | instid1(VALU_DEP_2)
	v_and_b32_e32 v9, 3, v8
	v_and_b32_e32 v4, 0x80000000, v4
	s_delay_alu instid0(VALU_DEP_2) | instskip(NEXT) | instid1(VALU_DEP_1)
	v_clz_i32_u32_e32 v10, v9
	v_min_u32_e32 v10, 32, v10
	s_delay_alu instid0(VALU_DEP_1) | instskip(SKIP_1) | instid1(VALU_DEP_2)
	v_subrev_nc_u32_e32 v11, 29, v10
	v_sub_nc_u32_e32 v10, 30, v10
	v_lshlrev_b32_e32 v11, v11, v8
	v_bfe_u32 v8, v8, 2, 5
	s_delay_alu instid0(VALU_DEP_2) | instskip(NEXT) | instid1(VALU_DEP_2)
	v_and_b32_e32 v11, 3, v11
	v_cmp_eq_u32_e32 vcc_lo, 0, v8
	s_delay_alu instid0(VALU_DEP_2) | instskip(NEXT) | instid1(VALU_DEP_1)
	v_dual_cndmask_b32 v8, v8, v10 :: v_dual_cndmask_b32 v9, v9, v11
	v_lshl_add_u32 v8, v8, 23, 0x37800000
	s_delay_alu instid0(VALU_DEP_2) | instskip(NEXT) | instid1(VALU_DEP_1)
	v_lshlrev_b32_e32 v9, 21, v9
	v_or3_b32 v4, v4, v8, v9
	s_delay_alu instid0(VALU_DEP_1)
	v_cvt_f16_f32_e32 v8, v4
.LBB336_1486:
	s_or_b32 exec_lo, exec_lo, s7
	s_mov_b32 s6, 0
	s_branch .LBB336_1492
.LBB336_1487:
	s_mov_b32 s6, -1
                                        ; implicit-def: $vgpr8
	s_branch .LBB336_1498
.LBB336_1488:
	s_or_saveexec_b32 s13, s13
	v_mov_b32_e32 v8, s9
	s_xor_b32 exec_lo, exec_lo, s13
	s_cbranch_execz .LBB336_1471
.LBB336_1489:
	v_cmp_ne_u16_e32 vcc_lo, 0, v4
	v_mov_b32_e32 v8, v4
	s_and_not1_b32 s7, s7, exec_lo
	s_and_b32 s9, vcc_lo, exec_lo
	s_delay_alu instid0(SALU_CYCLE_1)
	s_or_b32 s7, s7, s9
	s_or_b32 exec_lo, exec_lo, s13
	s_and_saveexec_b32 s9, s7
	s_cbranch_execnz .LBB336_1472
	s_branch .LBB336_1473
.LBB336_1490:
	s_mov_b32 s6, -1
                                        ; implicit-def: $vgpr8
	s_branch .LBB336_1495
.LBB336_1491:
	s_mov_b32 s6, -1
                                        ; implicit-def: $vgpr8
.LBB336_1492:
	s_delay_alu instid0(SALU_CYCLE_1)
	s_and_b32 vcc_lo, exec_lo, s6
	s_cbranch_vccz .LBB336_1494
; %bb.1493:
	global_load_u8 v4, v[0:1], off
	s_waitcnt vmcnt(0)
	v_lshlrev_b32_e32 v4, 24, v4
	s_delay_alu instid0(VALU_DEP_1) | instskip(NEXT) | instid1(VALU_DEP_1)
	v_and_b32_e32 v8, 0x7f000000, v4
	v_clz_i32_u32_e32 v9, v8
	v_cmp_ne_u32_e32 vcc_lo, 0, v8
	v_add_nc_u32_e32 v11, 0x1000000, v8
	s_delay_alu instid0(VALU_DEP_3) | instskip(NEXT) | instid1(VALU_DEP_1)
	v_min_u32_e32 v9, 32, v9
	v_sub_nc_u32_e64 v9, v9, 4 clamp
	s_delay_alu instid0(VALU_DEP_1) | instskip(SKIP_1) | instid1(VALU_DEP_2)
	v_lshlrev_b32_e32 v10, v9, v8
	v_lshlrev_b32_e32 v9, 23, v9
	v_lshrrev_b32_e32 v10, 4, v10
	s_delay_alu instid0(VALU_DEP_1) | instskip(SKIP_1) | instid1(VALU_DEP_2)
	v_sub_nc_u32_e32 v9, v10, v9
	v_ashrrev_i32_e32 v10, 8, v11
	v_add_nc_u32_e32 v9, 0x3c000000, v9
	s_delay_alu instid0(VALU_DEP_1) | instskip(NEXT) | instid1(VALU_DEP_1)
	v_and_or_b32 v9, 0x7f800000, v10, v9
	v_cndmask_b32_e32 v8, 0, v9, vcc_lo
	s_delay_alu instid0(VALU_DEP_1) | instskip(NEXT) | instid1(VALU_DEP_1)
	v_and_or_b32 v4, 0x80000000, v4, v8
	v_cvt_f16_f32_e32 v8, v4
.LBB336_1494:
	s_mov_b32 s6, 0
.LBB336_1495:
	s_delay_alu instid0(SALU_CYCLE_1)
	s_and_not1_b32 vcc_lo, exec_lo, s6
	s_cbranch_vccnz .LBB336_1497
; %bb.1496:
	global_load_u8 v4, v[0:1], off
	s_waitcnt vmcnt(0)
	v_lshlrev_b32_e32 v8, 25, v4
	v_lshlrev_b16 v4, 8, v4
	s_delay_alu instid0(VALU_DEP_2) | instskip(NEXT) | instid1(VALU_DEP_2)
	v_lshrrev_b32_e32 v9, 4, v8
	v_and_or_b32 v10, 0x7f00, v4, 0.5
	v_bfe_i32 v4, v4, 0, 16
	s_delay_alu instid0(VALU_DEP_3) | instskip(NEXT) | instid1(VALU_DEP_1)
	v_or_b32_e32 v9, 0x70000000, v9
	v_dual_add_f32 v10, -0.5, v10 :: v_dual_mul_f32 v9, 0x7800000, v9
	v_cmp_gt_u32_e32 vcc_lo, 0x8000000, v8
	s_delay_alu instid0(VALU_DEP_2) | instskip(NEXT) | instid1(VALU_DEP_1)
	v_cndmask_b32_e32 v8, v9, v10, vcc_lo
	v_and_or_b32 v4, 0x80000000, v4, v8
	s_delay_alu instid0(VALU_DEP_1)
	v_cvt_f16_f32_e32 v8, v4
.LBB336_1497:
	s_mov_b32 s6, 0
	s_mov_b32 s7, -1
.LBB336_1498:
	s_and_not1_b32 vcc_lo, exec_lo, s6
	s_mov_b32 s6, 0
	s_cbranch_vccnz .LBB336_1509
; %bb.1499:
	v_cmp_lt_i16_e32 vcc_lo, 14, v3
	s_cbranch_vccz .LBB336_1502
; %bb.1500:
	v_cmp_eq_u16_e32 vcc_lo, 15, v3
	s_cbranch_vccz .LBB336_1505
; %bb.1501:
	global_load_u16 v4, v[0:1], off
	s_mov_b32 s0, 0
	s_mov_b32 s7, -1
	s_waitcnt vmcnt(0)
	v_lshlrev_b32_e32 v4, 16, v4
	s_delay_alu instid0(VALU_DEP_1)
	v_cvt_f16_f32_e32 v8, v4
	s_branch .LBB336_1507
.LBB336_1502:
	s_mov_b32 s6, -1
	s_branch .LBB336_1506
.LBB336_1503:
	s_or_saveexec_b32 s9, s9
	v_mov_b32_e32 v8, s7
	s_xor_b32 exec_lo, exec_lo, s9
	s_cbranch_execz .LBB336_1484
.LBB336_1504:
	v_cmp_ne_u16_e32 vcc_lo, 0, v4
	v_mov_b32_e32 v8, v4
	s_and_not1_b32 s6, s6, exec_lo
	s_and_b32 s7, vcc_lo, exec_lo
	s_delay_alu instid0(SALU_CYCLE_1)
	s_or_b32 s6, s6, s7
	s_or_b32 exec_lo, exec_lo, s9
	s_and_saveexec_b32 s7, s6
	s_cbranch_execnz .LBB336_1485
	s_branch .LBB336_1486
.LBB336_1505:
	s_mov_b32 s0, -1
.LBB336_1506:
                                        ; implicit-def: $vgpr8
.LBB336_1507:
	s_and_b32 vcc_lo, exec_lo, s6
	s_mov_b32 s6, 0
	s_cbranch_vccz .LBB336_1509
; %bb.1508:
	v_cmp_ne_u16_e64 s0, 11, v3
	s_mov_b32 s6, -1
                                        ; implicit-def: $vgpr8
.LBB336_1509:
	s_delay_alu instid0(VALU_DEP_1)
	s_and_b32 vcc_lo, exec_lo, s0
	s_cbranch_vccnz .LBB336_2042
; %bb.1510:
	s_and_not1_b32 vcc_lo, exec_lo, s6
	s_cbranch_vccnz .LBB336_1512
.LBB336_1511:
	global_load_u8 v4, v[0:1], off
	s_mov_b32 s7, -1
	s_waitcnt vmcnt(0)
	v_cmp_ne_u16_e32 vcc_lo, 0, v4
	v_cndmask_b32_e64 v8, 0, 0x3c00, vcc_lo
.LBB336_1512:
	s_mov_b32 s0, 0
.LBB336_1513:
	s_delay_alu instid0(SALU_CYCLE_1)
	s_and_b32 vcc_lo, exec_lo, s0
	s_cbranch_vccz .LBB336_1562
; %bb.1514:
	v_cmp_gt_i16_e32 vcc_lo, 5, v3
	s_cbranch_vccnz .LBB336_1519
; %bb.1515:
	v_cmp_gt_i16_e32 vcc_lo, 8, v3
	s_cbranch_vccnz .LBB336_1520
	;; [unrolled: 3-line block ×3, first 2 shown]
; %bb.1517:
	v_cmp_lt_i16_e32 vcc_lo, 9, v3
	s_cbranch_vccz .LBB336_1522
; %bb.1518:
	global_load_b64 v[8:9], v[0:1], off
	s_mov_b32 s0, 0
	s_waitcnt vmcnt(0)
	v_cvt_f32_f64_e32 v4, v[8:9]
	s_delay_alu instid0(VALU_DEP_1)
	v_cvt_f16_f32_e32 v8, v4
	s_branch .LBB336_1523
.LBB336_1519:
	s_mov_b32 s0, -1
                                        ; implicit-def: $vgpr8
	s_branch .LBB336_1541
.LBB336_1520:
	s_mov_b32 s0, -1
                                        ; implicit-def: $vgpr8
	s_branch .LBB336_1529
.LBB336_1521:
	s_mov_b32 s0, -1
                                        ; implicit-def: $vgpr8
	s_branch .LBB336_1526
.LBB336_1522:
	s_mov_b32 s0, -1
                                        ; implicit-def: $vgpr8
.LBB336_1523:
	s_delay_alu instid0(SALU_CYCLE_1)
	s_and_not1_b32 vcc_lo, exec_lo, s0
	s_cbranch_vccnz .LBB336_1525
; %bb.1524:
	global_load_b32 v4, v[0:1], off
	s_waitcnt vmcnt(0)
	v_cvt_f16_f32_e32 v8, v4
.LBB336_1525:
	s_mov_b32 s0, 0
.LBB336_1526:
	s_delay_alu instid0(SALU_CYCLE_1)
	s_and_not1_b32 vcc_lo, exec_lo, s0
	s_cbranch_vccnz .LBB336_1528
; %bb.1527:
	global_load_b32 v8, v[0:1], off
.LBB336_1528:
	s_mov_b32 s0, 0
.LBB336_1529:
	s_delay_alu instid0(SALU_CYCLE_1)
	s_and_not1_b32 vcc_lo, exec_lo, s0
	s_cbranch_vccnz .LBB336_1540
; %bb.1530:
	v_cmp_gt_i16_e32 vcc_lo, 6, v3
	s_cbranch_vccnz .LBB336_1533
; %bb.1531:
	v_cmp_lt_i16_e32 vcc_lo, 6, v3
	s_cbranch_vccz .LBB336_1534
; %bb.1532:
	global_load_b64 v[8:9], v[0:1], off
	s_mov_b32 s0, 0
	s_waitcnt vmcnt(0)
	v_cvt_f32_f64_e32 v4, v[8:9]
	s_delay_alu instid0(VALU_DEP_1)
	v_cvt_f16_f32_e32 v8, v4
	s_branch .LBB336_1535
.LBB336_1533:
	s_mov_b32 s0, -1
                                        ; implicit-def: $vgpr8
	s_branch .LBB336_1538
.LBB336_1534:
	s_mov_b32 s0, -1
                                        ; implicit-def: $vgpr8
.LBB336_1535:
	s_delay_alu instid0(SALU_CYCLE_1)
	s_and_not1_b32 vcc_lo, exec_lo, s0
	s_cbranch_vccnz .LBB336_1537
; %bb.1536:
	global_load_b32 v4, v[0:1], off
	s_waitcnt vmcnt(0)
	v_cvt_f16_f32_e32 v8, v4
.LBB336_1537:
	s_mov_b32 s0, 0
.LBB336_1538:
	s_delay_alu instid0(SALU_CYCLE_1)
	s_and_not1_b32 vcc_lo, exec_lo, s0
	s_cbranch_vccnz .LBB336_1540
; %bb.1539:
	global_load_u16 v8, v[0:1], off
.LBB336_1540:
	s_mov_b32 s0, 0
.LBB336_1541:
	s_delay_alu instid0(SALU_CYCLE_1)
	s_and_not1_b32 vcc_lo, exec_lo, s0
	s_cbranch_vccnz .LBB336_1561
; %bb.1542:
	v_cmp_gt_i16_e32 vcc_lo, 2, v3
	s_cbranch_vccnz .LBB336_1546
; %bb.1543:
	v_cmp_gt_i16_e32 vcc_lo, 3, v3
	s_cbranch_vccnz .LBB336_1547
; %bb.1544:
	v_cmp_lt_i16_e32 vcc_lo, 3, v3
	s_cbranch_vccz .LBB336_1548
; %bb.1545:
	global_load_b64 v[8:9], v[0:1], off
	s_mov_b32 s0, 0
	s_waitcnt vmcnt(0)
	v_xor_b32_e32 v4, v8, v9
	v_cls_i32_e32 v10, v9
	s_delay_alu instid0(VALU_DEP_2) | instskip(NEXT) | instid1(VALU_DEP_2)
	v_ashrrev_i32_e32 v4, 31, v4
	v_add_nc_u32_e32 v10, -1, v10
	s_delay_alu instid0(VALU_DEP_2) | instskip(NEXT) | instid1(VALU_DEP_1)
	v_add_nc_u32_e32 v4, 32, v4
	v_min_u32_e32 v4, v10, v4
	s_delay_alu instid0(VALU_DEP_1) | instskip(SKIP_1) | instid1(VALU_DEP_2)
	v_lshlrev_b64 v[8:9], v4, v[8:9]
	v_sub_nc_u32_e32 v4, 32, v4
	v_min_u32_e32 v8, 1, v8
	s_delay_alu instid0(VALU_DEP_1) | instskip(NEXT) | instid1(VALU_DEP_1)
	v_or_b32_e32 v8, v9, v8
	v_cvt_f32_i32_e32 v8, v8
	s_delay_alu instid0(VALU_DEP_1) | instskip(NEXT) | instid1(VALU_DEP_1)
	v_ldexp_f32 v4, v8, v4
	v_cvt_f16_f32_e32 v8, v4
	s_branch .LBB336_1549
.LBB336_1546:
	s_mov_b32 s0, -1
                                        ; implicit-def: $vgpr8
	s_branch .LBB336_1555
.LBB336_1547:
	s_mov_b32 s0, -1
                                        ; implicit-def: $vgpr8
	s_branch .LBB336_1552
.LBB336_1548:
	s_mov_b32 s0, -1
                                        ; implicit-def: $vgpr8
.LBB336_1549:
	s_delay_alu instid0(SALU_CYCLE_1)
	s_and_not1_b32 vcc_lo, exec_lo, s0
	s_cbranch_vccnz .LBB336_1551
; %bb.1550:
	global_load_b32 v4, v[0:1], off
	s_waitcnt vmcnt(0)
	v_cvt_f32_i32_e32 v4, v4
	s_delay_alu instid0(VALU_DEP_1)
	v_cvt_f16_f32_e32 v8, v4
.LBB336_1551:
	s_mov_b32 s0, 0
.LBB336_1552:
	s_delay_alu instid0(SALU_CYCLE_1)
	s_and_not1_b32 vcc_lo, exec_lo, s0
	s_cbranch_vccnz .LBB336_1554
; %bb.1553:
	global_load_u16 v4, v[0:1], off
	s_waitcnt vmcnt(0)
	v_cvt_f16_i16_e32 v8, v4
.LBB336_1554:
	s_mov_b32 s0, 0
.LBB336_1555:
	s_delay_alu instid0(SALU_CYCLE_1)
	s_and_not1_b32 vcc_lo, exec_lo, s0
	s_cbranch_vccnz .LBB336_1561
; %bb.1556:
	v_cmp_lt_i16_e32 vcc_lo, 0, v3
	s_mov_b32 s0, 0
	s_cbranch_vccz .LBB336_1558
; %bb.1557:
	global_load_i8 v3, v[0:1], off
	s_waitcnt vmcnt(0)
	v_cvt_f16_i16_e32 v8, v3
	s_branch .LBB336_1559
.LBB336_1558:
	s_mov_b32 s0, -1
                                        ; implicit-def: $vgpr8
.LBB336_1559:
	s_delay_alu instid0(SALU_CYCLE_1)
	s_and_not1_b32 vcc_lo, exec_lo, s0
	s_cbranch_vccnz .LBB336_1561
; %bb.1560:
	global_load_u8 v0, v[0:1], off
	s_waitcnt vmcnt(0)
	v_cvt_f16_u16_e32 v8, v0
.LBB336_1561:
	s_mov_b32 s7, -1
.LBB336_1562:
	s_delay_alu instid0(SALU_CYCLE_1)
	s_and_not1_b32 vcc_lo, exec_lo, s7
	s_cbranch_vccnz .LBB336_1996
; %bb.1563:
	s_waitcnt vmcnt(0)
	v_cmp_lt_f16_e32 vcc_lo, s10, v5
	v_mul_lo_u32 v2, s8, v2
	v_and_b32_e64 v4, 0xff, s11
	v_cmp_u_f16_e64 s0, v5, v5
	v_cndmask_b32_e32 v0, s10, v5, vcc_lo
	s_delay_alu instid0(VALU_DEP_4) | instskip(NEXT) | instid1(VALU_DEP_2)
	v_ashrrev_i32_e32 v1, 31, v2
	v_cmp_gt_f16_e32 vcc_lo, s1, v0
	v_cndmask_b32_e32 v0, s1, v0, vcc_lo
	v_cmp_gt_i16_e32 vcc_lo, 11, v4
	s_delay_alu instid0(VALU_DEP_2) | instskip(SKIP_1) | instid1(VALU_DEP_1)
	v_cndmask_b32_e64 v3, v0, v5, s0
	v_add_co_u32 v0, s0, s4, v2
	v_add_co_ci_u32_e64 v1, s0, s5, v1, s0
	s_cbranch_vccnz .LBB336_1641
; %bb.1564:
	v_cmp_lt_i16_e32 vcc_lo, 25, v4
	s_mov_b32 s9, -1
	s_mov_b32 s6, 0
	s_mov_b32 s7, 0
	;; [unrolled: 1-line block ×3, first 2 shown]
	s_cbranch_vccz .LBB336_1597
; %bb.1565:
	v_cmp_lt_i16_e32 vcc_lo, 28, v4
	s_cbranch_vccz .LBB336_1580
; %bb.1566:
	v_cmp_lt_i16_e32 vcc_lo, 43, v4
	;; [unrolled: 3-line block ×3, first 2 shown]
	s_cbranch_vccz .LBB336_1570
; %bb.1568:
	v_cmp_eq_u16_e32 vcc_lo, 46, v4
	s_mov_b32 s0, -1
	s_mov_b32 s9, 0
	s_cbranch_vccz .LBB336_1570
; %bb.1569:
	v_cvt_f32_f16_e32 v5, v3
	v_cmp_o_f16_e32 vcc_lo, v3, v3
	s_mov_b32 s0, 0
	s_mov_b32 s7, -1
	s_delay_alu instid0(VALU_DEP_2) | instskip(NEXT) | instid1(VALU_DEP_1)
	v_bfe_u32 v9, v5, 16, 1
	v_add3_u32 v5, v5, v9, 0x7fff
	s_delay_alu instid0(VALU_DEP_1) | instskip(NEXT) | instid1(VALU_DEP_1)
	v_lshrrev_b32_e32 v5, 16, v5
	v_cndmask_b32_e32 v5, 0x7fc0, v5, vcc_lo
	global_store_b32 v[0:1], v5, off
.LBB336_1570:
	s_and_b32 vcc_lo, exec_lo, s9
	s_cbranch_vccz .LBB336_1575
; %bb.1571:
	v_cmp_eq_u16_e32 vcc_lo, 44, v4
	s_mov_b32 s0, -1
	s_cbranch_vccz .LBB336_1575
; %bb.1572:
	v_cvt_f32_f16_e32 v5, v3
	v_mov_b32_e32 v9, 0xff
	s_mov_b32 s7, exec_lo
	s_delay_alu instid0(VALU_DEP_2) | instskip(NEXT) | instid1(VALU_DEP_1)
	v_bfe_u32 v10, v5, 23, 8
	v_cmpx_ne_u32_e32 0xff, v10
; %bb.1573:
	v_and_b32_e32 v9, 0x400000, v5
	v_and_or_b32 v10, 0x3fffff, v5, v10
	v_lshrrev_b32_e32 v5, 23, v5
	s_delay_alu instid0(VALU_DEP_3) | instskip(NEXT) | instid1(VALU_DEP_3)
	v_cmp_ne_u32_e32 vcc_lo, 0, v9
	v_cmp_ne_u32_e64 s0, 0, v10
	s_delay_alu instid0(VALU_DEP_1) | instskip(NEXT) | instid1(SALU_CYCLE_1)
	s_and_b32 s0, vcc_lo, s0
	v_cndmask_b32_e64 v9, 0, 1, s0
	s_delay_alu instid0(VALU_DEP_1)
	v_add_nc_u32_e32 v9, v5, v9
; %bb.1574:
	s_or_b32 exec_lo, exec_lo, s7
	s_mov_b32 s0, 0
	s_mov_b32 s7, -1
	global_store_b8 v[0:1], v9, off
.LBB336_1575:
	s_mov_b32 s9, 0
.LBB336_1576:
	s_delay_alu instid0(SALU_CYCLE_1)
	s_and_b32 vcc_lo, exec_lo, s9
	s_cbranch_vccz .LBB336_1579
; %bb.1577:
	v_cmp_eq_u16_e32 vcc_lo, 29, v4
	s_mov_b32 s0, -1
	s_cbranch_vccz .LBB336_1579
; %bb.1578:
	v_cvt_f32_f16_e32 v5, v3
	v_mov_b32_e32 v10, 0
	s_mov_b32 s0, 0
	s_mov_b32 s7, -1
	s_delay_alu instid0(VALU_DEP_2)
	v_cvt_u32_f32_e32 v9, v5
	global_store_b64 v[0:1], v[9:10], off
.LBB336_1579:
	s_mov_b32 s9, 0
.LBB336_1580:
	s_delay_alu instid0(SALU_CYCLE_1)
	s_and_b32 vcc_lo, exec_lo, s9
	s_cbranch_vccz .LBB336_1596
; %bb.1581:
	v_cmp_gt_i16_e32 vcc_lo, 27, v4
	s_mov_b32 s7, -1
	s_cbranch_vccnz .LBB336_1587
; %bb.1582:
	v_cmp_lt_i16_e32 vcc_lo, 27, v4
	s_cbranch_vccz .LBB336_1584
; %bb.1583:
	v_cvt_f32_f16_e32 v5, v3
	s_mov_b32 s7, 0
	s_delay_alu instid0(VALU_DEP_1)
	v_cvt_u32_f32_e32 v5, v5
	global_store_b32 v[0:1], v5, off
.LBB336_1584:
	s_and_not1_b32 vcc_lo, exec_lo, s7
	s_cbranch_vccnz .LBB336_1586
; %bb.1585:
	v_cvt_u16_f16_e32 v5, v3
	global_store_b16 v[0:1], v5, off
.LBB336_1586:
	s_mov_b32 s7, 0
.LBB336_1587:
	s_delay_alu instid0(SALU_CYCLE_1)
	s_and_not1_b32 vcc_lo, exec_lo, s7
	s_cbranch_vccnz .LBB336_1595
; %bb.1588:
	v_cvt_f32_f16_e32 v5, v3
	v_mov_b32_e32 v10, 0x80
	s_mov_b32 s7, exec_lo
	s_delay_alu instid0(VALU_DEP_2) | instskip(NEXT) | instid1(VALU_DEP_1)
	v_and_b32_e32 v9, 0x7fffffff, v5
	v_cmpx_gt_u32_e32 0x43800000, v9
	s_cbranch_execz .LBB336_1594
; %bb.1589:
	v_cmp_lt_u32_e32 vcc_lo, 0x3bffffff, v9
	s_mov_b32 s9, 0
                                        ; implicit-def: $vgpr9
	s_and_saveexec_b32 s11, vcc_lo
	s_delay_alu instid0(SALU_CYCLE_1)
	s_xor_b32 s11, exec_lo, s11
	s_cbranch_execz .LBB336_2044
; %bb.1590:
	v_bfe_u32 v9, v5, 20, 1
	s_mov_b32 s9, exec_lo
	s_delay_alu instid0(VALU_DEP_1) | instskip(NEXT) | instid1(VALU_DEP_1)
	v_add3_u32 v9, v5, v9, 0x487ffff
	v_lshrrev_b32_e32 v9, 20, v9
	s_or_saveexec_b32 s11, s11
                                        ; implicit-def: $sgpr13
	s_delay_alu instid0(SALU_CYCLE_1)
	s_xor_b32 exec_lo, exec_lo, s11
	s_cbranch_execnz .LBB336_2045
.LBB336_1591:
	s_or_b32 exec_lo, exec_lo, s11
	v_mov_b32_e32 v10, s13
	s_and_saveexec_b32 s11, s9
.LBB336_1592:
	v_lshrrev_b32_e32 v5, 24, v5
	s_delay_alu instid0(VALU_DEP_1)
	v_and_or_b32 v10, 0x80, v5, v9
.LBB336_1593:
	s_or_b32 exec_lo, exec_lo, s11
.LBB336_1594:
	s_delay_alu instid0(SALU_CYCLE_1)
	s_or_b32 exec_lo, exec_lo, s7
	global_store_b8 v[0:1], v10, off
.LBB336_1595:
	s_mov_b32 s7, -1
.LBB336_1596:
	s_mov_b32 s9, 0
.LBB336_1597:
	s_delay_alu instid0(SALU_CYCLE_1)
	s_and_b32 vcc_lo, exec_lo, s9
	s_cbranch_vccz .LBB336_1637
; %bb.1598:
	v_cmp_lt_i16_e32 vcc_lo, 22, v4
	s_mov_b32 s6, -1
	s_cbranch_vccz .LBB336_1630
; %bb.1599:
	v_cmp_gt_i16_e32 vcc_lo, 24, v4
	s_cbranch_vccnz .LBB336_1619
; %bb.1600:
	v_cmp_lt_i16_e32 vcc_lo, 24, v4
	s_cbranch_vccz .LBB336_1608
; %bb.1601:
	v_cvt_f32_f16_e32 v5, v3
	v_mov_b32_e32 v10, 0x80
	s_mov_b32 s6, exec_lo
	s_delay_alu instid0(VALU_DEP_2) | instskip(NEXT) | instid1(VALU_DEP_1)
	v_and_b32_e32 v9, 0x7fffffff, v5
	v_cmpx_gt_u32_e32 0x47800000, v9
	s_cbranch_execz .LBB336_1607
; %bb.1602:
	v_cmp_lt_u32_e32 vcc_lo, 0x37ffffff, v9
	s_mov_b32 s7, 0
                                        ; implicit-def: $vgpr9
	s_and_saveexec_b32 s9, vcc_lo
	s_delay_alu instid0(SALU_CYCLE_1)
	s_xor_b32 s9, exec_lo, s9
	s_cbranch_execz .LBB336_2050
; %bb.1603:
	v_bfe_u32 v9, v5, 21, 1
	s_mov_b32 s7, exec_lo
	s_delay_alu instid0(VALU_DEP_1) | instskip(NEXT) | instid1(VALU_DEP_1)
	v_add3_u32 v9, v5, v9, 0x88fffff
	v_lshrrev_b32_e32 v9, 21, v9
	s_or_saveexec_b32 s9, s9
                                        ; implicit-def: $sgpr11
	s_delay_alu instid0(SALU_CYCLE_1)
	s_xor_b32 exec_lo, exec_lo, s9
	s_cbranch_execnz .LBB336_2051
.LBB336_1604:
	s_or_b32 exec_lo, exec_lo, s9
	v_mov_b32_e32 v10, s11
	s_and_saveexec_b32 s9, s7
.LBB336_1605:
	v_lshrrev_b32_e32 v5, 24, v5
	s_delay_alu instid0(VALU_DEP_1)
	v_and_or_b32 v10, 0x80, v5, v9
.LBB336_1606:
	s_or_b32 exec_lo, exec_lo, s9
.LBB336_1607:
	s_delay_alu instid0(SALU_CYCLE_1)
	s_or_b32 exec_lo, exec_lo, s6
	s_mov_b32 s6, 0
	global_store_b8 v[0:1], v10, off
.LBB336_1608:
	s_and_b32 vcc_lo, exec_lo, s6
	s_cbranch_vccz .LBB336_1618
; %bb.1609:
	v_cvt_f32_f16_e32 v5, v3
	s_mov_b32 s6, exec_lo
                                        ; implicit-def: $vgpr9
	s_delay_alu instid0(VALU_DEP_1) | instskip(NEXT) | instid1(VALU_DEP_1)
	v_and_b32_e32 v10, 0x7fffffff, v5
	v_cmpx_gt_u32_e32 0x43f00000, v10
	s_xor_b32 s6, exec_lo, s6
	s_cbranch_execz .LBB336_1615
; %bb.1610:
	s_mov_b32 s7, exec_lo
                                        ; implicit-def: $vgpr9
	v_cmpx_lt_u32_e32 0x3c7fffff, v10
	s_xor_b32 s7, exec_lo, s7
; %bb.1611:
	v_bfe_u32 v9, v5, 20, 1
	s_delay_alu instid0(VALU_DEP_1) | instskip(NEXT) | instid1(VALU_DEP_1)
	v_add3_u32 v9, v5, v9, 0x407ffff
	v_and_b32_e32 v10, 0xff00000, v9
	v_lshrrev_b32_e32 v9, 20, v9
	s_delay_alu instid0(VALU_DEP_2) | instskip(NEXT) | instid1(VALU_DEP_2)
	v_cmp_ne_u32_e32 vcc_lo, 0x7f00000, v10
	v_cndmask_b32_e32 v9, 0x7e, v9, vcc_lo
; %bb.1612:
	s_and_not1_saveexec_b32 s7, s7
; %bb.1613:
	v_add_f32_e64 v9, 0x46800000, |v5|
; %bb.1614:
	s_or_b32 exec_lo, exec_lo, s7
                                        ; implicit-def: $vgpr10
.LBB336_1615:
	s_and_not1_saveexec_b32 s6, s6
; %bb.1616:
	v_mov_b32_e32 v9, 0x7f
	v_cmp_lt_u32_e32 vcc_lo, 0x7f800000, v10
	s_delay_alu instid0(VALU_DEP_2)
	v_cndmask_b32_e32 v9, 0x7e, v9, vcc_lo
; %bb.1617:
	s_or_b32 exec_lo, exec_lo, s6
	v_lshrrev_b32_e32 v5, 24, v5
	s_delay_alu instid0(VALU_DEP_1)
	v_and_or_b32 v5, 0x80, v5, v9
	global_store_b8 v[0:1], v5, off
.LBB336_1618:
	s_mov_b32 s6, 0
.LBB336_1619:
	s_delay_alu instid0(SALU_CYCLE_1)
	s_and_not1_b32 vcc_lo, exec_lo, s6
	s_cbranch_vccnz .LBB336_1629
; %bb.1620:
	v_cvt_f32_f16_e32 v5, v3
	s_mov_b32 s6, exec_lo
                                        ; implicit-def: $vgpr9
	s_delay_alu instid0(VALU_DEP_1) | instskip(NEXT) | instid1(VALU_DEP_1)
	v_and_b32_e32 v10, 0x7fffffff, v5
	v_cmpx_gt_u32_e32 0x47800000, v10
	s_xor_b32 s6, exec_lo, s6
	s_cbranch_execz .LBB336_1626
; %bb.1621:
	s_mov_b32 s7, exec_lo
                                        ; implicit-def: $vgpr9
	v_cmpx_lt_u32_e32 0x387fffff, v10
	s_xor_b32 s7, exec_lo, s7
; %bb.1622:
	v_bfe_u32 v9, v5, 21, 1
	s_delay_alu instid0(VALU_DEP_1) | instskip(NEXT) | instid1(VALU_DEP_1)
	v_add3_u32 v9, v5, v9, 0x80fffff
	v_lshrrev_b32_e32 v9, 21, v9
; %bb.1623:
	s_and_not1_saveexec_b32 s7, s7
; %bb.1624:
	v_add_f32_e64 v9, 0x43000000, |v5|
; %bb.1625:
	s_or_b32 exec_lo, exec_lo, s7
                                        ; implicit-def: $vgpr10
.LBB336_1626:
	s_and_not1_saveexec_b32 s6, s6
; %bb.1627:
	v_mov_b32_e32 v9, 0x7f
	v_cmp_lt_u32_e32 vcc_lo, 0x7f800000, v10
	s_delay_alu instid0(VALU_DEP_2)
	v_cndmask_b32_e32 v9, 0x7c, v9, vcc_lo
; %bb.1628:
	s_or_b32 exec_lo, exec_lo, s6
	v_lshrrev_b32_e32 v5, 24, v5
	s_delay_alu instid0(VALU_DEP_1)
	v_and_or_b32 v5, 0x80, v5, v9
	global_store_b8 v[0:1], v5, off
.LBB336_1629:
	s_mov_b32 s6, 0
	s_mov_b32 s7, -1
.LBB336_1630:
	s_and_not1_b32 vcc_lo, exec_lo, s6
	s_mov_b32 s6, 0
	s_cbranch_vccnz .LBB336_1637
; %bb.1631:
	v_cmp_lt_i16_e32 vcc_lo, 14, v4
	s_mov_b32 s6, -1
	s_cbranch_vccz .LBB336_1635
; %bb.1632:
	v_cmp_eq_u16_e32 vcc_lo, 15, v4
	s_mov_b32 s0, -1
	s_cbranch_vccz .LBB336_1634
; %bb.1633:
	v_cvt_f32_f16_e32 v5, v3
	v_cmp_o_f16_e32 vcc_lo, v3, v3
	s_mov_b32 s0, 0
	s_mov_b32 s7, -1
	s_delay_alu instid0(VALU_DEP_2) | instskip(NEXT) | instid1(VALU_DEP_1)
	v_bfe_u32 v9, v5, 16, 1
	v_add3_u32 v5, v5, v9, 0x7fff
	s_delay_alu instid0(VALU_DEP_1) | instskip(NEXT) | instid1(VALU_DEP_1)
	v_lshrrev_b32_e32 v5, 16, v5
	v_cndmask_b32_e32 v5, 0x7fc0, v5, vcc_lo
	global_store_b16 v[0:1], v5, off
.LBB336_1634:
	s_mov_b32 s6, 0
.LBB336_1635:
	s_delay_alu instid0(SALU_CYCLE_1)
	s_and_b32 vcc_lo, exec_lo, s6
	s_mov_b32 s6, 0
	s_cbranch_vccz .LBB336_1637
; %bb.1636:
	v_cmp_ne_u16_e64 s0, 11, v4
	s_mov_b32 s6, -1
.LBB336_1637:
	s_delay_alu instid0(VALU_DEP_1)
	s_and_b32 vcc_lo, exec_lo, s0
	s_cbranch_vccnz .LBB336_2048
; %bb.1638:
	s_and_not1_b32 vcc_lo, exec_lo, s6
	s_cbranch_vccnz .LBB336_1640
.LBB336_1639:
	v_and_b32_e32 v5, 0x7fff, v3
	s_mov_b32 s7, -1
	s_delay_alu instid0(VALU_DEP_1)
	v_cmp_ne_u16_e32 vcc_lo, 0, v5
	v_cndmask_b32_e64 v5, 0, 1, vcc_lo
	global_store_b8 v[0:1], v5, off
.LBB336_1640:
	s_mov_b32 s0, 0
	s_branch .LBB336_1642
.LBB336_1641:
	s_mov_b32 s0, -1
	s_mov_b32 s7, 0
.LBB336_1642:
	s_and_b32 vcc_lo, exec_lo, s0
	s_cbranch_vccz .LBB336_1681
; %bb.1643:
	v_cmp_gt_i16_e32 vcc_lo, 5, v4
	s_mov_b32 s0, -1
	s_cbranch_vccnz .LBB336_1664
; %bb.1644:
	v_cmp_gt_i16_e32 vcc_lo, 8, v4
	s_cbranch_vccnz .LBB336_1654
; %bb.1645:
	v_cmp_gt_i16_e32 vcc_lo, 9, v4
	s_cbranch_vccnz .LBB336_1651
; %bb.1646:
	v_cmp_lt_i16_e32 vcc_lo, 9, v4
	s_cbranch_vccz .LBB336_1648
; %bb.1647:
	v_cvt_f32_f16_e32 v5, v3
	v_mov_b32_e32 v11, 0
	s_mov_b32 s0, 0
	s_delay_alu instid0(VALU_DEP_2) | instskip(NEXT) | instid1(VALU_DEP_2)
	v_cvt_f64_f32_e32 v[9:10], v5
	v_mov_b32_e32 v12, v11
	global_store_b128 v[0:1], v[9:12], off
.LBB336_1648:
	s_and_not1_b32 vcc_lo, exec_lo, s0
	s_cbranch_vccnz .LBB336_1650
; %bb.1649:
	v_cvt_f32_f16_e32 v9, v3
	v_mov_b32_e32 v10, 0
	global_store_b64 v[0:1], v[9:10], off
.LBB336_1650:
	s_mov_b32 s0, 0
.LBB336_1651:
	s_delay_alu instid0(SALU_CYCLE_1)
	s_and_not1_b32 vcc_lo, exec_lo, s0
	s_cbranch_vccnz .LBB336_1653
; %bb.1652:
	v_and_b32_e32 v5, 0xffff, v3
	global_store_b32 v[0:1], v5, off
.LBB336_1653:
	s_mov_b32 s0, 0
.LBB336_1654:
	s_delay_alu instid0(SALU_CYCLE_1)
	s_and_not1_b32 vcc_lo, exec_lo, s0
	s_cbranch_vccnz .LBB336_1663
; %bb.1655:
	v_cmp_gt_i16_e32 vcc_lo, 6, v4
	s_mov_b32 s0, -1
	s_cbranch_vccnz .LBB336_1661
; %bb.1656:
	v_cmp_lt_i16_e32 vcc_lo, 6, v4
	s_cbranch_vccz .LBB336_1658
; %bb.1657:
	v_cvt_f32_f16_e32 v5, v3
	s_mov_b32 s0, 0
	s_delay_alu instid0(VALU_DEP_1)
	v_cvt_f64_f32_e32 v[9:10], v5
	global_store_b64 v[0:1], v[9:10], off
.LBB336_1658:
	s_and_not1_b32 vcc_lo, exec_lo, s0
	s_cbranch_vccnz .LBB336_1660
; %bb.1659:
	v_cvt_f32_f16_e32 v5, v3
	global_store_b32 v[0:1], v5, off
.LBB336_1660:
	s_mov_b32 s0, 0
.LBB336_1661:
	s_delay_alu instid0(SALU_CYCLE_1)
	s_and_not1_b32 vcc_lo, exec_lo, s0
	s_cbranch_vccnz .LBB336_1663
; %bb.1662:
	global_store_b16 v[0:1], v3, off
.LBB336_1663:
	s_mov_b32 s0, 0
.LBB336_1664:
	s_delay_alu instid0(SALU_CYCLE_1)
	s_and_not1_b32 vcc_lo, exec_lo, s0
	s_cbranch_vccnz .LBB336_1680
; %bb.1665:
	v_cmp_gt_i16_e32 vcc_lo, 2, v4
	s_mov_b32 s0, -1
	s_cbranch_vccnz .LBB336_1675
; %bb.1666:
	v_cmp_gt_i16_e32 vcc_lo, 3, v4
	s_cbranch_vccnz .LBB336_1672
; %bb.1667:
	v_cmp_lt_i16_e32 vcc_lo, 3, v4
	s_cbranch_vccz .LBB336_1669
; %bb.1668:
	v_cvt_f32_f16_e32 v5, v3
	s_mov_b32 s0, 0
	s_delay_alu instid0(VALU_DEP_1) | instskip(NEXT) | instid1(VALU_DEP_1)
	v_cvt_i32_f32_e32 v9, v5
	v_ashrrev_i32_e32 v10, 31, v9
	global_store_b64 v[0:1], v[9:10], off
.LBB336_1669:
	s_and_not1_b32 vcc_lo, exec_lo, s0
	s_cbranch_vccnz .LBB336_1671
; %bb.1670:
	v_cvt_f32_f16_e32 v5, v3
	s_delay_alu instid0(VALU_DEP_1)
	v_cvt_i32_f32_e32 v5, v5
	global_store_b32 v[0:1], v5, off
.LBB336_1671:
	s_mov_b32 s0, 0
.LBB336_1672:
	s_delay_alu instid0(SALU_CYCLE_1)
	s_and_not1_b32 vcc_lo, exec_lo, s0
	s_cbranch_vccnz .LBB336_1674
; %bb.1673:
	v_cvt_i16_f16_e32 v5, v3
	global_store_b16 v[0:1], v5, off
.LBB336_1674:
	s_mov_b32 s0, 0
.LBB336_1675:
	s_delay_alu instid0(SALU_CYCLE_1)
	s_and_not1_b32 vcc_lo, exec_lo, s0
	s_cbranch_vccnz .LBB336_1680
; %bb.1676:
	v_cmp_lt_i16_e32 vcc_lo, 0, v4
	s_mov_b32 s0, -1
	s_cbranch_vccz .LBB336_1678
; %bb.1677:
	v_cvt_i16_f16_e32 v5, v3
	s_mov_b32 s0, 0
	global_store_b8 v[0:1], v5, off
.LBB336_1678:
	s_and_not1_b32 vcc_lo, exec_lo, s0
	s_cbranch_vccnz .LBB336_1680
; %bb.1679:
	v_cvt_f32_f16_e32 v3, v3
	s_delay_alu instid0(VALU_DEP_1)
	v_cvt_i32_f32_e32 v3, v3
	global_store_b8 v[0:1], v3, off
.LBB336_1680:
	s_mov_b32 s7, -1
.LBB336_1681:
	s_delay_alu instid0(SALU_CYCLE_1)
	s_and_not1_b32 vcc_lo, exec_lo, s7
	s_cbranch_vccnz .LBB336_1996
; %bb.1682:
	v_cmp_lt_f16_e32 vcc_lo, s10, v6
	s_lshl_b32 s6, s8, 7
	v_cmp_u_f16_e64 s0, v6, v6
	v_add_nc_u32_e32 v2, s6, v2
	v_cndmask_b32_e32 v0, s10, v6, vcc_lo
	s_delay_alu instid0(VALU_DEP_2) | instskip(NEXT) | instid1(VALU_DEP_2)
	v_ashrrev_i32_e32 v1, 31, v2
	v_cmp_gt_f16_e32 vcc_lo, s1, v0
	v_cndmask_b32_e32 v0, s1, v0, vcc_lo
	v_cmp_gt_i16_e32 vcc_lo, 11, v4
	s_delay_alu instid0(VALU_DEP_2) | instskip(SKIP_1) | instid1(VALU_DEP_1)
	v_cndmask_b32_e64 v3, v0, v6, s0
	v_add_co_u32 v0, s0, s4, v2
	v_add_co_ci_u32_e64 v1, s0, s5, v1, s0
	s_cbranch_vccnz .LBB336_1760
; %bb.1683:
	v_cmp_lt_i16_e32 vcc_lo, 25, v4
	s_mov_b32 s9, -1
	s_mov_b32 s7, 0
	s_mov_b32 s8, 0
	;; [unrolled: 1-line block ×3, first 2 shown]
	s_cbranch_vccz .LBB336_1716
; %bb.1684:
	v_cmp_lt_i16_e32 vcc_lo, 28, v4
	s_cbranch_vccz .LBB336_1699
; %bb.1685:
	v_cmp_lt_i16_e32 vcc_lo, 43, v4
	;; [unrolled: 3-line block ×3, first 2 shown]
	s_cbranch_vccz .LBB336_1689
; %bb.1687:
	v_cmp_eq_u16_e32 vcc_lo, 46, v4
	s_mov_b32 s0, -1
	s_mov_b32 s9, 0
	s_cbranch_vccz .LBB336_1689
; %bb.1688:
	v_cvt_f32_f16_e32 v5, v3
	v_cmp_o_f16_e32 vcc_lo, v3, v3
	s_mov_b32 s0, 0
	s_mov_b32 s8, -1
	s_delay_alu instid0(VALU_DEP_2) | instskip(NEXT) | instid1(VALU_DEP_1)
	v_bfe_u32 v6, v5, 16, 1
	v_add3_u32 v5, v5, v6, 0x7fff
	s_delay_alu instid0(VALU_DEP_1) | instskip(NEXT) | instid1(VALU_DEP_1)
	v_lshrrev_b32_e32 v5, 16, v5
	v_cndmask_b32_e32 v5, 0x7fc0, v5, vcc_lo
	global_store_b32 v[0:1], v5, off
.LBB336_1689:
	s_and_b32 vcc_lo, exec_lo, s9
	s_cbranch_vccz .LBB336_1694
; %bb.1690:
	v_cmp_eq_u16_e32 vcc_lo, 44, v4
	s_mov_b32 s0, -1
	s_cbranch_vccz .LBB336_1694
; %bb.1691:
	v_cvt_f32_f16_e32 v5, v3
	v_mov_b32_e32 v6, 0xff
	s_mov_b32 s8, exec_lo
	s_delay_alu instid0(VALU_DEP_2) | instskip(NEXT) | instid1(VALU_DEP_1)
	v_bfe_u32 v9, v5, 23, 8
	v_cmpx_ne_u32_e32 0xff, v9
; %bb.1692:
	v_and_b32_e32 v6, 0x400000, v5
	v_and_or_b32 v9, 0x3fffff, v5, v9
	v_lshrrev_b32_e32 v5, 23, v5
	s_delay_alu instid0(VALU_DEP_3) | instskip(NEXT) | instid1(VALU_DEP_3)
	v_cmp_ne_u32_e32 vcc_lo, 0, v6
	v_cmp_ne_u32_e64 s0, 0, v9
	s_delay_alu instid0(VALU_DEP_1) | instskip(NEXT) | instid1(SALU_CYCLE_1)
	s_and_b32 s0, vcc_lo, s0
	v_cndmask_b32_e64 v6, 0, 1, s0
	s_delay_alu instid0(VALU_DEP_1)
	v_add_nc_u32_e32 v6, v5, v6
; %bb.1693:
	s_or_b32 exec_lo, exec_lo, s8
	s_mov_b32 s0, 0
	s_mov_b32 s8, -1
	global_store_b8 v[0:1], v6, off
.LBB336_1694:
	s_mov_b32 s9, 0
.LBB336_1695:
	s_delay_alu instid0(SALU_CYCLE_1)
	s_and_b32 vcc_lo, exec_lo, s9
	s_cbranch_vccz .LBB336_1698
; %bb.1696:
	v_cmp_eq_u16_e32 vcc_lo, 29, v4
	s_mov_b32 s0, -1
	s_cbranch_vccz .LBB336_1698
; %bb.1697:
	v_cvt_f32_f16_e32 v5, v3
	v_mov_b32_e32 v6, 0
	s_mov_b32 s0, 0
	s_mov_b32 s8, -1
	s_delay_alu instid0(VALU_DEP_2)
	v_cvt_u32_f32_e32 v5, v5
	global_store_b64 v[0:1], v[5:6], off
.LBB336_1698:
	s_mov_b32 s9, 0
.LBB336_1699:
	s_delay_alu instid0(SALU_CYCLE_1)
	s_and_b32 vcc_lo, exec_lo, s9
	s_cbranch_vccz .LBB336_1715
; %bb.1700:
	v_cmp_gt_i16_e32 vcc_lo, 27, v4
	s_mov_b32 s8, -1
	s_cbranch_vccnz .LBB336_1706
; %bb.1701:
	v_cmp_lt_i16_e32 vcc_lo, 27, v4
	s_cbranch_vccz .LBB336_1703
; %bb.1702:
	v_cvt_f32_f16_e32 v5, v3
	s_mov_b32 s8, 0
	s_delay_alu instid0(VALU_DEP_1)
	v_cvt_u32_f32_e32 v5, v5
	global_store_b32 v[0:1], v5, off
.LBB336_1703:
	s_and_not1_b32 vcc_lo, exec_lo, s8
	s_cbranch_vccnz .LBB336_1705
; %bb.1704:
	v_cvt_u16_f16_e32 v5, v3
	global_store_b16 v[0:1], v5, off
.LBB336_1705:
	s_mov_b32 s8, 0
.LBB336_1706:
	s_delay_alu instid0(SALU_CYCLE_1)
	s_and_not1_b32 vcc_lo, exec_lo, s8
	s_cbranch_vccnz .LBB336_1714
; %bb.1707:
	v_cvt_f32_f16_e32 v5, v3
	v_mov_b32_e32 v9, 0x80
	s_mov_b32 s8, exec_lo
	s_delay_alu instid0(VALU_DEP_2) | instskip(NEXT) | instid1(VALU_DEP_1)
	v_and_b32_e32 v6, 0x7fffffff, v5
	v_cmpx_gt_u32_e32 0x43800000, v6
	s_cbranch_execz .LBB336_1713
; %bb.1708:
	v_cmp_lt_u32_e32 vcc_lo, 0x3bffffff, v6
	s_mov_b32 s9, 0
                                        ; implicit-def: $vgpr6
	s_and_saveexec_b32 s11, vcc_lo
	s_delay_alu instid0(SALU_CYCLE_1)
	s_xor_b32 s11, exec_lo, s11
	s_cbranch_execz .LBB336_2052
; %bb.1709:
	v_bfe_u32 v6, v5, 20, 1
	s_mov_b32 s9, exec_lo
	s_delay_alu instid0(VALU_DEP_1) | instskip(NEXT) | instid1(VALU_DEP_1)
	v_add3_u32 v6, v5, v6, 0x487ffff
	v_lshrrev_b32_e32 v6, 20, v6
	s_or_saveexec_b32 s11, s11
                                        ; implicit-def: $sgpr13
	s_delay_alu instid0(SALU_CYCLE_1)
	s_xor_b32 exec_lo, exec_lo, s11
	s_cbranch_execnz .LBB336_2053
.LBB336_1710:
	s_or_b32 exec_lo, exec_lo, s11
	v_mov_b32_e32 v9, s13
	s_and_saveexec_b32 s11, s9
.LBB336_1711:
	v_lshrrev_b32_e32 v5, 24, v5
	s_delay_alu instid0(VALU_DEP_1)
	v_and_or_b32 v9, 0x80, v5, v6
.LBB336_1712:
	s_or_b32 exec_lo, exec_lo, s11
.LBB336_1713:
	s_delay_alu instid0(SALU_CYCLE_1)
	s_or_b32 exec_lo, exec_lo, s8
	global_store_b8 v[0:1], v9, off
.LBB336_1714:
	s_mov_b32 s8, -1
.LBB336_1715:
	s_mov_b32 s9, 0
.LBB336_1716:
	s_delay_alu instid0(SALU_CYCLE_1)
	s_and_b32 vcc_lo, exec_lo, s9
	s_cbranch_vccz .LBB336_1756
; %bb.1717:
	v_cmp_lt_i16_e32 vcc_lo, 22, v4
	s_mov_b32 s7, -1
	s_cbranch_vccz .LBB336_1749
; %bb.1718:
	v_cmp_gt_i16_e32 vcc_lo, 24, v4
	s_cbranch_vccnz .LBB336_1738
; %bb.1719:
	v_cmp_lt_i16_e32 vcc_lo, 24, v4
	s_cbranch_vccz .LBB336_1727
; %bb.1720:
	v_cvt_f32_f16_e32 v5, v3
	v_mov_b32_e32 v9, 0x80
	s_mov_b32 s7, exec_lo
	s_delay_alu instid0(VALU_DEP_2) | instskip(NEXT) | instid1(VALU_DEP_1)
	v_and_b32_e32 v6, 0x7fffffff, v5
	v_cmpx_gt_u32_e32 0x47800000, v6
	s_cbranch_execz .LBB336_1726
; %bb.1721:
	v_cmp_lt_u32_e32 vcc_lo, 0x37ffffff, v6
	s_mov_b32 s8, 0
                                        ; implicit-def: $vgpr6
	s_and_saveexec_b32 s9, vcc_lo
	s_delay_alu instid0(SALU_CYCLE_1)
	s_xor_b32 s9, exec_lo, s9
	s_cbranch_execz .LBB336_2058
; %bb.1722:
	v_bfe_u32 v6, v5, 21, 1
	s_mov_b32 s8, exec_lo
	s_delay_alu instid0(VALU_DEP_1) | instskip(NEXT) | instid1(VALU_DEP_1)
	v_add3_u32 v6, v5, v6, 0x88fffff
	v_lshrrev_b32_e32 v6, 21, v6
	s_or_saveexec_b32 s9, s9
                                        ; implicit-def: $sgpr11
	s_delay_alu instid0(SALU_CYCLE_1)
	s_xor_b32 exec_lo, exec_lo, s9
	s_cbranch_execnz .LBB336_2059
.LBB336_1723:
	s_or_b32 exec_lo, exec_lo, s9
	v_mov_b32_e32 v9, s11
	s_and_saveexec_b32 s9, s8
.LBB336_1724:
	v_lshrrev_b32_e32 v5, 24, v5
	s_delay_alu instid0(VALU_DEP_1)
	v_and_or_b32 v9, 0x80, v5, v6
.LBB336_1725:
	s_or_b32 exec_lo, exec_lo, s9
.LBB336_1726:
	s_delay_alu instid0(SALU_CYCLE_1)
	s_or_b32 exec_lo, exec_lo, s7
	s_mov_b32 s7, 0
	global_store_b8 v[0:1], v9, off
.LBB336_1727:
	s_and_b32 vcc_lo, exec_lo, s7
	s_cbranch_vccz .LBB336_1737
; %bb.1728:
	v_cvt_f32_f16_e32 v5, v3
	s_mov_b32 s7, exec_lo
                                        ; implicit-def: $vgpr6
	s_delay_alu instid0(VALU_DEP_1) | instskip(NEXT) | instid1(VALU_DEP_1)
	v_and_b32_e32 v9, 0x7fffffff, v5
	v_cmpx_gt_u32_e32 0x43f00000, v9
	s_xor_b32 s7, exec_lo, s7
	s_cbranch_execz .LBB336_1734
; %bb.1729:
	s_mov_b32 s8, exec_lo
                                        ; implicit-def: $vgpr6
	v_cmpx_lt_u32_e32 0x3c7fffff, v9
	s_xor_b32 s8, exec_lo, s8
; %bb.1730:
	v_bfe_u32 v6, v5, 20, 1
	s_delay_alu instid0(VALU_DEP_1) | instskip(NEXT) | instid1(VALU_DEP_1)
	v_add3_u32 v6, v5, v6, 0x407ffff
	v_and_b32_e32 v9, 0xff00000, v6
	v_lshrrev_b32_e32 v6, 20, v6
	s_delay_alu instid0(VALU_DEP_2) | instskip(NEXT) | instid1(VALU_DEP_2)
	v_cmp_ne_u32_e32 vcc_lo, 0x7f00000, v9
	v_cndmask_b32_e32 v6, 0x7e, v6, vcc_lo
; %bb.1731:
	s_and_not1_saveexec_b32 s8, s8
; %bb.1732:
	v_add_f32_e64 v6, 0x46800000, |v5|
; %bb.1733:
	s_or_b32 exec_lo, exec_lo, s8
                                        ; implicit-def: $vgpr9
.LBB336_1734:
	s_and_not1_saveexec_b32 s7, s7
; %bb.1735:
	v_mov_b32_e32 v6, 0x7f
	v_cmp_lt_u32_e32 vcc_lo, 0x7f800000, v9
	s_delay_alu instid0(VALU_DEP_2)
	v_cndmask_b32_e32 v6, 0x7e, v6, vcc_lo
; %bb.1736:
	s_or_b32 exec_lo, exec_lo, s7
	v_lshrrev_b32_e32 v5, 24, v5
	s_delay_alu instid0(VALU_DEP_1)
	v_and_or_b32 v5, 0x80, v5, v6
	global_store_b8 v[0:1], v5, off
.LBB336_1737:
	s_mov_b32 s7, 0
.LBB336_1738:
	s_delay_alu instid0(SALU_CYCLE_1)
	s_and_not1_b32 vcc_lo, exec_lo, s7
	s_cbranch_vccnz .LBB336_1748
; %bb.1739:
	v_cvt_f32_f16_e32 v5, v3
	s_mov_b32 s7, exec_lo
                                        ; implicit-def: $vgpr6
	s_delay_alu instid0(VALU_DEP_1) | instskip(NEXT) | instid1(VALU_DEP_1)
	v_and_b32_e32 v9, 0x7fffffff, v5
	v_cmpx_gt_u32_e32 0x47800000, v9
	s_xor_b32 s7, exec_lo, s7
	s_cbranch_execz .LBB336_1745
; %bb.1740:
	s_mov_b32 s8, exec_lo
                                        ; implicit-def: $vgpr6
	v_cmpx_lt_u32_e32 0x387fffff, v9
	s_xor_b32 s8, exec_lo, s8
; %bb.1741:
	v_bfe_u32 v6, v5, 21, 1
	s_delay_alu instid0(VALU_DEP_1) | instskip(NEXT) | instid1(VALU_DEP_1)
	v_add3_u32 v6, v5, v6, 0x80fffff
	v_lshrrev_b32_e32 v6, 21, v6
; %bb.1742:
	s_and_not1_saveexec_b32 s8, s8
; %bb.1743:
	v_add_f32_e64 v6, 0x43000000, |v5|
; %bb.1744:
	s_or_b32 exec_lo, exec_lo, s8
                                        ; implicit-def: $vgpr9
.LBB336_1745:
	s_and_not1_saveexec_b32 s7, s7
; %bb.1746:
	v_mov_b32_e32 v6, 0x7f
	v_cmp_lt_u32_e32 vcc_lo, 0x7f800000, v9
	s_delay_alu instid0(VALU_DEP_2)
	v_cndmask_b32_e32 v6, 0x7c, v6, vcc_lo
; %bb.1747:
	s_or_b32 exec_lo, exec_lo, s7
	v_lshrrev_b32_e32 v5, 24, v5
	s_delay_alu instid0(VALU_DEP_1)
	v_and_or_b32 v5, 0x80, v5, v6
	global_store_b8 v[0:1], v5, off
.LBB336_1748:
	s_mov_b32 s7, 0
	s_mov_b32 s8, -1
.LBB336_1749:
	s_and_not1_b32 vcc_lo, exec_lo, s7
	s_mov_b32 s7, 0
	s_cbranch_vccnz .LBB336_1756
; %bb.1750:
	v_cmp_lt_i16_e32 vcc_lo, 14, v4
	s_mov_b32 s7, -1
	s_cbranch_vccz .LBB336_1754
; %bb.1751:
	v_cmp_eq_u16_e32 vcc_lo, 15, v4
	s_mov_b32 s0, -1
	s_cbranch_vccz .LBB336_1753
; %bb.1752:
	v_cvt_f32_f16_e32 v5, v3
	v_cmp_o_f16_e32 vcc_lo, v3, v3
	s_mov_b32 s0, 0
	s_mov_b32 s8, -1
	s_delay_alu instid0(VALU_DEP_2) | instskip(NEXT) | instid1(VALU_DEP_1)
	v_bfe_u32 v6, v5, 16, 1
	v_add3_u32 v5, v5, v6, 0x7fff
	s_delay_alu instid0(VALU_DEP_1) | instskip(NEXT) | instid1(VALU_DEP_1)
	v_lshrrev_b32_e32 v5, 16, v5
	v_cndmask_b32_e32 v5, 0x7fc0, v5, vcc_lo
	global_store_b16 v[0:1], v5, off
.LBB336_1753:
	s_mov_b32 s7, 0
.LBB336_1754:
	s_delay_alu instid0(SALU_CYCLE_1)
	s_and_b32 vcc_lo, exec_lo, s7
	s_mov_b32 s7, 0
	s_cbranch_vccz .LBB336_1756
; %bb.1755:
	v_cmp_ne_u16_e64 s0, 11, v4
	s_mov_b32 s7, -1
.LBB336_1756:
	s_delay_alu instid0(VALU_DEP_1)
	s_and_b32 vcc_lo, exec_lo, s0
	s_cbranch_vccnz .LBB336_2056
; %bb.1757:
	s_and_not1_b32 vcc_lo, exec_lo, s7
	s_cbranch_vccnz .LBB336_1759
.LBB336_1758:
	v_and_b32_e32 v5, 0x7fff, v3
	s_mov_b32 s8, -1
	s_delay_alu instid0(VALU_DEP_1)
	v_cmp_ne_u16_e32 vcc_lo, 0, v5
	v_cndmask_b32_e64 v5, 0, 1, vcc_lo
	global_store_b8 v[0:1], v5, off
.LBB336_1759:
	s_mov_b32 s0, 0
	s_branch .LBB336_1761
.LBB336_1760:
	s_mov_b32 s0, -1
	s_mov_b32 s8, 0
.LBB336_1761:
	s_and_b32 vcc_lo, exec_lo, s0
	s_cbranch_vccz .LBB336_1800
; %bb.1762:
	v_cmp_gt_i16_e32 vcc_lo, 5, v4
	s_mov_b32 s0, -1
	s_cbranch_vccnz .LBB336_1783
; %bb.1763:
	v_cmp_gt_i16_e32 vcc_lo, 8, v4
	s_cbranch_vccnz .LBB336_1773
; %bb.1764:
	v_cmp_gt_i16_e32 vcc_lo, 9, v4
	s_cbranch_vccnz .LBB336_1770
; %bb.1765:
	v_cmp_lt_i16_e32 vcc_lo, 9, v4
	s_cbranch_vccz .LBB336_1767
; %bb.1766:
	v_cvt_f32_f16_e32 v5, v3
	v_mov_b32_e32 v11, 0
	s_mov_b32 s0, 0
	s_delay_alu instid0(VALU_DEP_2) | instskip(NEXT) | instid1(VALU_DEP_2)
	v_cvt_f64_f32_e32 v[9:10], v5
	v_mov_b32_e32 v12, v11
	global_store_b128 v[0:1], v[9:12], off
.LBB336_1767:
	s_and_not1_b32 vcc_lo, exec_lo, s0
	s_cbranch_vccnz .LBB336_1769
; %bb.1768:
	v_cvt_f32_f16_e32 v5, v3
	v_mov_b32_e32 v6, 0
	global_store_b64 v[0:1], v[5:6], off
.LBB336_1769:
	s_mov_b32 s0, 0
.LBB336_1770:
	s_delay_alu instid0(SALU_CYCLE_1)
	s_and_not1_b32 vcc_lo, exec_lo, s0
	s_cbranch_vccnz .LBB336_1772
; %bb.1771:
	v_and_b32_e32 v5, 0xffff, v3
	global_store_b32 v[0:1], v5, off
.LBB336_1772:
	s_mov_b32 s0, 0
.LBB336_1773:
	s_delay_alu instid0(SALU_CYCLE_1)
	s_and_not1_b32 vcc_lo, exec_lo, s0
	s_cbranch_vccnz .LBB336_1782
; %bb.1774:
	v_cmp_gt_i16_e32 vcc_lo, 6, v4
	s_mov_b32 s0, -1
	s_cbranch_vccnz .LBB336_1780
; %bb.1775:
	v_cmp_lt_i16_e32 vcc_lo, 6, v4
	s_cbranch_vccz .LBB336_1777
; %bb.1776:
	v_cvt_f32_f16_e32 v5, v3
	s_mov_b32 s0, 0
	s_delay_alu instid0(VALU_DEP_1)
	v_cvt_f64_f32_e32 v[5:6], v5
	global_store_b64 v[0:1], v[5:6], off
.LBB336_1777:
	s_and_not1_b32 vcc_lo, exec_lo, s0
	s_cbranch_vccnz .LBB336_1779
; %bb.1778:
	v_cvt_f32_f16_e32 v5, v3
	global_store_b32 v[0:1], v5, off
.LBB336_1779:
	s_mov_b32 s0, 0
.LBB336_1780:
	s_delay_alu instid0(SALU_CYCLE_1)
	s_and_not1_b32 vcc_lo, exec_lo, s0
	s_cbranch_vccnz .LBB336_1782
; %bb.1781:
	global_store_b16 v[0:1], v3, off
.LBB336_1782:
	s_mov_b32 s0, 0
.LBB336_1783:
	s_delay_alu instid0(SALU_CYCLE_1)
	s_and_not1_b32 vcc_lo, exec_lo, s0
	s_cbranch_vccnz .LBB336_1799
; %bb.1784:
	v_cmp_gt_i16_e32 vcc_lo, 2, v4
	s_mov_b32 s0, -1
	s_cbranch_vccnz .LBB336_1794
; %bb.1785:
	v_cmp_gt_i16_e32 vcc_lo, 3, v4
	s_cbranch_vccnz .LBB336_1791
; %bb.1786:
	v_cmp_lt_i16_e32 vcc_lo, 3, v4
	s_cbranch_vccz .LBB336_1788
; %bb.1787:
	v_cvt_f32_f16_e32 v5, v3
	s_mov_b32 s0, 0
	s_delay_alu instid0(VALU_DEP_1) | instskip(NEXT) | instid1(VALU_DEP_1)
	v_cvt_i32_f32_e32 v5, v5
	v_ashrrev_i32_e32 v6, 31, v5
	global_store_b64 v[0:1], v[5:6], off
.LBB336_1788:
	s_and_not1_b32 vcc_lo, exec_lo, s0
	s_cbranch_vccnz .LBB336_1790
; %bb.1789:
	v_cvt_f32_f16_e32 v5, v3
	s_delay_alu instid0(VALU_DEP_1)
	v_cvt_i32_f32_e32 v5, v5
	global_store_b32 v[0:1], v5, off
.LBB336_1790:
	s_mov_b32 s0, 0
.LBB336_1791:
	s_delay_alu instid0(SALU_CYCLE_1)
	s_and_not1_b32 vcc_lo, exec_lo, s0
	s_cbranch_vccnz .LBB336_1793
; %bb.1792:
	v_cvt_i16_f16_e32 v5, v3
	global_store_b16 v[0:1], v5, off
.LBB336_1793:
	s_mov_b32 s0, 0
.LBB336_1794:
	s_delay_alu instid0(SALU_CYCLE_1)
	s_and_not1_b32 vcc_lo, exec_lo, s0
	s_cbranch_vccnz .LBB336_1799
; %bb.1795:
	v_cmp_lt_i16_e32 vcc_lo, 0, v4
	s_mov_b32 s0, -1
	s_cbranch_vccz .LBB336_1797
; %bb.1796:
	v_cvt_i16_f16_e32 v5, v3
	s_mov_b32 s0, 0
	global_store_b8 v[0:1], v5, off
.LBB336_1797:
	s_and_not1_b32 vcc_lo, exec_lo, s0
	s_cbranch_vccnz .LBB336_1799
; %bb.1798:
	v_cvt_f32_f16_e32 v3, v3
	s_delay_alu instid0(VALU_DEP_1)
	v_cvt_i32_f32_e32 v3, v3
	global_store_b8 v[0:1], v3, off
.LBB336_1799:
	s_mov_b32 s8, -1
.LBB336_1800:
	s_delay_alu instid0(SALU_CYCLE_1)
	s_and_not1_b32 vcc_lo, exec_lo, s8
	s_cbranch_vccnz .LBB336_1996
; %bb.1801:
	v_cmp_lt_f16_e32 vcc_lo, s10, v7
	v_add_nc_u32_e32 v2, s6, v2
	v_cmp_u_f16_e64 s0, v7, v7
	v_cndmask_b32_e32 v0, s10, v7, vcc_lo
	s_delay_alu instid0(VALU_DEP_3) | instskip(NEXT) | instid1(VALU_DEP_2)
	v_ashrrev_i32_e32 v1, 31, v2
	v_cmp_gt_f16_e32 vcc_lo, s1, v0
	v_cndmask_b32_e32 v0, s1, v0, vcc_lo
	v_cmp_gt_i16_e32 vcc_lo, 11, v4
	s_delay_alu instid0(VALU_DEP_2) | instskip(SKIP_1) | instid1(VALU_DEP_1)
	v_cndmask_b32_e64 v3, v0, v7, s0
	v_add_co_u32 v0, s0, s4, v2
	v_add_co_ci_u32_e64 v1, s0, s5, v1, s0
	s_cbranch_vccnz .LBB336_1879
; %bb.1802:
	v_cmp_lt_i16_e32 vcc_lo, 25, v4
	s_mov_b32 s9, -1
	s_mov_b32 s7, 0
	s_mov_b32 s8, 0
	;; [unrolled: 1-line block ×3, first 2 shown]
	s_cbranch_vccz .LBB336_1835
; %bb.1803:
	v_cmp_lt_i16_e32 vcc_lo, 28, v4
	s_cbranch_vccz .LBB336_1818
; %bb.1804:
	v_cmp_lt_i16_e32 vcc_lo, 43, v4
	;; [unrolled: 3-line block ×3, first 2 shown]
	s_cbranch_vccz .LBB336_1808
; %bb.1806:
	v_cmp_eq_u16_e32 vcc_lo, 46, v4
	s_mov_b32 s0, -1
	s_mov_b32 s9, 0
	s_cbranch_vccz .LBB336_1808
; %bb.1807:
	v_cvt_f32_f16_e32 v5, v3
	v_cmp_o_f16_e32 vcc_lo, v3, v3
	s_mov_b32 s0, 0
	s_mov_b32 s8, -1
	s_delay_alu instid0(VALU_DEP_2) | instskip(NEXT) | instid1(VALU_DEP_1)
	v_bfe_u32 v6, v5, 16, 1
	v_add3_u32 v5, v5, v6, 0x7fff
	s_delay_alu instid0(VALU_DEP_1) | instskip(NEXT) | instid1(VALU_DEP_1)
	v_lshrrev_b32_e32 v5, 16, v5
	v_cndmask_b32_e32 v5, 0x7fc0, v5, vcc_lo
	global_store_b32 v[0:1], v5, off
.LBB336_1808:
	s_and_b32 vcc_lo, exec_lo, s9
	s_cbranch_vccz .LBB336_1813
; %bb.1809:
	v_cmp_eq_u16_e32 vcc_lo, 44, v4
	s_mov_b32 s0, -1
	s_cbranch_vccz .LBB336_1813
; %bb.1810:
	v_cvt_f32_f16_e32 v5, v3
	v_mov_b32_e32 v6, 0xff
	s_mov_b32 s8, exec_lo
	s_delay_alu instid0(VALU_DEP_2) | instskip(NEXT) | instid1(VALU_DEP_1)
	v_bfe_u32 v7, v5, 23, 8
	v_cmpx_ne_u32_e32 0xff, v7
; %bb.1811:
	v_and_b32_e32 v6, 0x400000, v5
	v_and_or_b32 v7, 0x3fffff, v5, v7
	v_lshrrev_b32_e32 v5, 23, v5
	s_delay_alu instid0(VALU_DEP_3) | instskip(NEXT) | instid1(VALU_DEP_3)
	v_cmp_ne_u32_e32 vcc_lo, 0, v6
	v_cmp_ne_u32_e64 s0, 0, v7
	s_delay_alu instid0(VALU_DEP_1) | instskip(NEXT) | instid1(SALU_CYCLE_1)
	s_and_b32 s0, vcc_lo, s0
	v_cndmask_b32_e64 v6, 0, 1, s0
	s_delay_alu instid0(VALU_DEP_1)
	v_add_nc_u32_e32 v6, v5, v6
; %bb.1812:
	s_or_b32 exec_lo, exec_lo, s8
	s_mov_b32 s0, 0
	s_mov_b32 s8, -1
	global_store_b8 v[0:1], v6, off
.LBB336_1813:
	s_mov_b32 s9, 0
.LBB336_1814:
	s_delay_alu instid0(SALU_CYCLE_1)
	s_and_b32 vcc_lo, exec_lo, s9
	s_cbranch_vccz .LBB336_1817
; %bb.1815:
	v_cmp_eq_u16_e32 vcc_lo, 29, v4
	s_mov_b32 s0, -1
	s_cbranch_vccz .LBB336_1817
; %bb.1816:
	v_cvt_f32_f16_e32 v5, v3
	v_mov_b32_e32 v6, 0
	s_mov_b32 s0, 0
	s_mov_b32 s8, -1
	s_delay_alu instid0(VALU_DEP_2)
	v_cvt_u32_f32_e32 v5, v5
	global_store_b64 v[0:1], v[5:6], off
.LBB336_1817:
	s_mov_b32 s9, 0
.LBB336_1818:
	s_delay_alu instid0(SALU_CYCLE_1)
	s_and_b32 vcc_lo, exec_lo, s9
	s_cbranch_vccz .LBB336_1834
; %bb.1819:
	v_cmp_gt_i16_e32 vcc_lo, 27, v4
	s_mov_b32 s8, -1
	s_cbranch_vccnz .LBB336_1825
; %bb.1820:
	v_cmp_lt_i16_e32 vcc_lo, 27, v4
	s_cbranch_vccz .LBB336_1822
; %bb.1821:
	v_cvt_f32_f16_e32 v5, v3
	s_mov_b32 s8, 0
	s_delay_alu instid0(VALU_DEP_1)
	v_cvt_u32_f32_e32 v5, v5
	global_store_b32 v[0:1], v5, off
.LBB336_1822:
	s_and_not1_b32 vcc_lo, exec_lo, s8
	s_cbranch_vccnz .LBB336_1824
; %bb.1823:
	v_cvt_u16_f16_e32 v5, v3
	global_store_b16 v[0:1], v5, off
.LBB336_1824:
	s_mov_b32 s8, 0
.LBB336_1825:
	s_delay_alu instid0(SALU_CYCLE_1)
	s_and_not1_b32 vcc_lo, exec_lo, s8
	s_cbranch_vccnz .LBB336_1833
; %bb.1826:
	v_cvt_f32_f16_e32 v5, v3
	v_mov_b32_e32 v7, 0x80
	s_mov_b32 s8, exec_lo
	s_delay_alu instid0(VALU_DEP_2) | instskip(NEXT) | instid1(VALU_DEP_1)
	v_and_b32_e32 v6, 0x7fffffff, v5
	v_cmpx_gt_u32_e32 0x43800000, v6
	s_cbranch_execz .LBB336_1832
; %bb.1827:
	v_cmp_lt_u32_e32 vcc_lo, 0x3bffffff, v6
	s_mov_b32 s9, 0
                                        ; implicit-def: $vgpr6
	s_and_saveexec_b32 s11, vcc_lo
	s_delay_alu instid0(SALU_CYCLE_1)
	s_xor_b32 s11, exec_lo, s11
	s_cbranch_execz .LBB336_2060
; %bb.1828:
	v_bfe_u32 v6, v5, 20, 1
	s_mov_b32 s9, exec_lo
	s_delay_alu instid0(VALU_DEP_1) | instskip(NEXT) | instid1(VALU_DEP_1)
	v_add3_u32 v6, v5, v6, 0x487ffff
	v_lshrrev_b32_e32 v6, 20, v6
	s_or_saveexec_b32 s11, s11
                                        ; implicit-def: $sgpr13
	s_delay_alu instid0(SALU_CYCLE_1)
	s_xor_b32 exec_lo, exec_lo, s11
	s_cbranch_execnz .LBB336_2061
.LBB336_1829:
	s_or_b32 exec_lo, exec_lo, s11
	v_mov_b32_e32 v7, s13
	s_and_saveexec_b32 s11, s9
.LBB336_1830:
	v_lshrrev_b32_e32 v5, 24, v5
	s_delay_alu instid0(VALU_DEP_1)
	v_and_or_b32 v7, 0x80, v5, v6
.LBB336_1831:
	s_or_b32 exec_lo, exec_lo, s11
.LBB336_1832:
	s_delay_alu instid0(SALU_CYCLE_1)
	s_or_b32 exec_lo, exec_lo, s8
	global_store_b8 v[0:1], v7, off
.LBB336_1833:
	s_mov_b32 s8, -1
.LBB336_1834:
	s_mov_b32 s9, 0
.LBB336_1835:
	s_delay_alu instid0(SALU_CYCLE_1)
	s_and_b32 vcc_lo, exec_lo, s9
	s_cbranch_vccz .LBB336_1875
; %bb.1836:
	v_cmp_lt_i16_e32 vcc_lo, 22, v4
	s_mov_b32 s7, -1
	s_cbranch_vccz .LBB336_1868
; %bb.1837:
	v_cmp_gt_i16_e32 vcc_lo, 24, v4
	s_cbranch_vccnz .LBB336_1857
; %bb.1838:
	v_cmp_lt_i16_e32 vcc_lo, 24, v4
	s_cbranch_vccz .LBB336_1846
; %bb.1839:
	v_cvt_f32_f16_e32 v5, v3
	v_mov_b32_e32 v7, 0x80
	s_mov_b32 s7, exec_lo
	s_delay_alu instid0(VALU_DEP_2) | instskip(NEXT) | instid1(VALU_DEP_1)
	v_and_b32_e32 v6, 0x7fffffff, v5
	v_cmpx_gt_u32_e32 0x47800000, v6
	s_cbranch_execz .LBB336_1845
; %bb.1840:
	v_cmp_lt_u32_e32 vcc_lo, 0x37ffffff, v6
	s_mov_b32 s8, 0
                                        ; implicit-def: $vgpr6
	s_and_saveexec_b32 s9, vcc_lo
	s_delay_alu instid0(SALU_CYCLE_1)
	s_xor_b32 s9, exec_lo, s9
	s_cbranch_execz .LBB336_2066
; %bb.1841:
	v_bfe_u32 v6, v5, 21, 1
	s_mov_b32 s8, exec_lo
	s_delay_alu instid0(VALU_DEP_1) | instskip(NEXT) | instid1(VALU_DEP_1)
	v_add3_u32 v6, v5, v6, 0x88fffff
	v_lshrrev_b32_e32 v6, 21, v6
	s_or_saveexec_b32 s9, s9
                                        ; implicit-def: $sgpr11
	s_delay_alu instid0(SALU_CYCLE_1)
	s_xor_b32 exec_lo, exec_lo, s9
	s_cbranch_execnz .LBB336_2067
.LBB336_1842:
	s_or_b32 exec_lo, exec_lo, s9
	v_mov_b32_e32 v7, s11
	s_and_saveexec_b32 s9, s8
.LBB336_1843:
	v_lshrrev_b32_e32 v5, 24, v5
	s_delay_alu instid0(VALU_DEP_1)
	v_and_or_b32 v7, 0x80, v5, v6
.LBB336_1844:
	s_or_b32 exec_lo, exec_lo, s9
.LBB336_1845:
	s_delay_alu instid0(SALU_CYCLE_1)
	s_or_b32 exec_lo, exec_lo, s7
	s_mov_b32 s7, 0
	global_store_b8 v[0:1], v7, off
.LBB336_1846:
	s_and_b32 vcc_lo, exec_lo, s7
	s_cbranch_vccz .LBB336_1856
; %bb.1847:
	v_cvt_f32_f16_e32 v5, v3
	s_mov_b32 s7, exec_lo
                                        ; implicit-def: $vgpr6
	s_delay_alu instid0(VALU_DEP_1) | instskip(NEXT) | instid1(VALU_DEP_1)
	v_and_b32_e32 v7, 0x7fffffff, v5
	v_cmpx_gt_u32_e32 0x43f00000, v7
	s_xor_b32 s7, exec_lo, s7
	s_cbranch_execz .LBB336_1853
; %bb.1848:
	s_mov_b32 s8, exec_lo
                                        ; implicit-def: $vgpr6
	v_cmpx_lt_u32_e32 0x3c7fffff, v7
	s_xor_b32 s8, exec_lo, s8
; %bb.1849:
	v_bfe_u32 v6, v5, 20, 1
	s_delay_alu instid0(VALU_DEP_1) | instskip(NEXT) | instid1(VALU_DEP_1)
	v_add3_u32 v6, v5, v6, 0x407ffff
	v_and_b32_e32 v7, 0xff00000, v6
	v_lshrrev_b32_e32 v6, 20, v6
	s_delay_alu instid0(VALU_DEP_2) | instskip(NEXT) | instid1(VALU_DEP_2)
	v_cmp_ne_u32_e32 vcc_lo, 0x7f00000, v7
	v_cndmask_b32_e32 v6, 0x7e, v6, vcc_lo
; %bb.1850:
	s_and_not1_saveexec_b32 s8, s8
; %bb.1851:
	v_add_f32_e64 v6, 0x46800000, |v5|
; %bb.1852:
	s_or_b32 exec_lo, exec_lo, s8
                                        ; implicit-def: $vgpr7
.LBB336_1853:
	s_and_not1_saveexec_b32 s7, s7
; %bb.1854:
	v_mov_b32_e32 v6, 0x7f
	v_cmp_lt_u32_e32 vcc_lo, 0x7f800000, v7
	s_delay_alu instid0(VALU_DEP_2)
	v_cndmask_b32_e32 v6, 0x7e, v6, vcc_lo
; %bb.1855:
	s_or_b32 exec_lo, exec_lo, s7
	v_lshrrev_b32_e32 v5, 24, v5
	s_delay_alu instid0(VALU_DEP_1)
	v_and_or_b32 v5, 0x80, v5, v6
	global_store_b8 v[0:1], v5, off
.LBB336_1856:
	s_mov_b32 s7, 0
.LBB336_1857:
	s_delay_alu instid0(SALU_CYCLE_1)
	s_and_not1_b32 vcc_lo, exec_lo, s7
	s_cbranch_vccnz .LBB336_1867
; %bb.1858:
	v_cvt_f32_f16_e32 v5, v3
	s_mov_b32 s7, exec_lo
                                        ; implicit-def: $vgpr6
	s_delay_alu instid0(VALU_DEP_1) | instskip(NEXT) | instid1(VALU_DEP_1)
	v_and_b32_e32 v7, 0x7fffffff, v5
	v_cmpx_gt_u32_e32 0x47800000, v7
	s_xor_b32 s7, exec_lo, s7
	s_cbranch_execz .LBB336_1864
; %bb.1859:
	s_mov_b32 s8, exec_lo
                                        ; implicit-def: $vgpr6
	v_cmpx_lt_u32_e32 0x387fffff, v7
	s_xor_b32 s8, exec_lo, s8
; %bb.1860:
	v_bfe_u32 v6, v5, 21, 1
	s_delay_alu instid0(VALU_DEP_1) | instskip(NEXT) | instid1(VALU_DEP_1)
	v_add3_u32 v6, v5, v6, 0x80fffff
	v_lshrrev_b32_e32 v6, 21, v6
; %bb.1861:
	s_and_not1_saveexec_b32 s8, s8
; %bb.1862:
	v_add_f32_e64 v6, 0x43000000, |v5|
; %bb.1863:
	s_or_b32 exec_lo, exec_lo, s8
                                        ; implicit-def: $vgpr7
.LBB336_1864:
	s_and_not1_saveexec_b32 s7, s7
; %bb.1865:
	v_mov_b32_e32 v6, 0x7f
	v_cmp_lt_u32_e32 vcc_lo, 0x7f800000, v7
	s_delay_alu instid0(VALU_DEP_2)
	v_cndmask_b32_e32 v6, 0x7c, v6, vcc_lo
; %bb.1866:
	s_or_b32 exec_lo, exec_lo, s7
	v_lshrrev_b32_e32 v5, 24, v5
	s_delay_alu instid0(VALU_DEP_1)
	v_and_or_b32 v5, 0x80, v5, v6
	global_store_b8 v[0:1], v5, off
.LBB336_1867:
	s_mov_b32 s7, 0
	s_mov_b32 s8, -1
.LBB336_1868:
	s_and_not1_b32 vcc_lo, exec_lo, s7
	s_mov_b32 s7, 0
	s_cbranch_vccnz .LBB336_1875
; %bb.1869:
	v_cmp_lt_i16_e32 vcc_lo, 14, v4
	s_mov_b32 s7, -1
	s_cbranch_vccz .LBB336_1873
; %bb.1870:
	v_cmp_eq_u16_e32 vcc_lo, 15, v4
	s_mov_b32 s0, -1
	s_cbranch_vccz .LBB336_1872
; %bb.1871:
	v_cvt_f32_f16_e32 v5, v3
	v_cmp_o_f16_e32 vcc_lo, v3, v3
	s_mov_b32 s0, 0
	s_mov_b32 s8, -1
	s_delay_alu instid0(VALU_DEP_2) | instskip(NEXT) | instid1(VALU_DEP_1)
	v_bfe_u32 v6, v5, 16, 1
	v_add3_u32 v5, v5, v6, 0x7fff
	s_delay_alu instid0(VALU_DEP_1) | instskip(NEXT) | instid1(VALU_DEP_1)
	v_lshrrev_b32_e32 v5, 16, v5
	v_cndmask_b32_e32 v5, 0x7fc0, v5, vcc_lo
	global_store_b16 v[0:1], v5, off
.LBB336_1872:
	s_mov_b32 s7, 0
.LBB336_1873:
	s_delay_alu instid0(SALU_CYCLE_1)
	s_and_b32 vcc_lo, exec_lo, s7
	s_mov_b32 s7, 0
	s_cbranch_vccz .LBB336_1875
; %bb.1874:
	v_cmp_ne_u16_e64 s0, 11, v4
	s_mov_b32 s7, -1
.LBB336_1875:
	s_delay_alu instid0(VALU_DEP_1)
	s_and_b32 vcc_lo, exec_lo, s0
	s_cbranch_vccnz .LBB336_2064
; %bb.1876:
	s_and_not1_b32 vcc_lo, exec_lo, s7
	s_cbranch_vccnz .LBB336_1878
.LBB336_1877:
	v_and_b32_e32 v5, 0x7fff, v3
	s_mov_b32 s8, -1
	s_delay_alu instid0(VALU_DEP_1)
	v_cmp_ne_u16_e32 vcc_lo, 0, v5
	v_cndmask_b32_e64 v5, 0, 1, vcc_lo
	global_store_b8 v[0:1], v5, off
.LBB336_1878:
	s_mov_b32 s0, 0
	s_branch .LBB336_1880
.LBB336_1879:
	s_mov_b32 s0, -1
	s_mov_b32 s8, 0
.LBB336_1880:
	s_and_b32 vcc_lo, exec_lo, s0
	s_cbranch_vccz .LBB336_1919
; %bb.1881:
	v_cmp_gt_i16_e32 vcc_lo, 5, v4
	s_mov_b32 s0, -1
	s_cbranch_vccnz .LBB336_1902
; %bb.1882:
	v_cmp_gt_i16_e32 vcc_lo, 8, v4
	s_cbranch_vccnz .LBB336_1892
; %bb.1883:
	v_cmp_gt_i16_e32 vcc_lo, 9, v4
	s_cbranch_vccnz .LBB336_1889
; %bb.1884:
	v_cmp_lt_i16_e32 vcc_lo, 9, v4
	s_cbranch_vccz .LBB336_1886
; %bb.1885:
	v_cvt_f32_f16_e32 v5, v3
	v_mov_b32_e32 v11, 0
	s_mov_b32 s0, 0
	s_delay_alu instid0(VALU_DEP_2) | instskip(NEXT) | instid1(VALU_DEP_2)
	v_cvt_f64_f32_e32 v[9:10], v5
	v_mov_b32_e32 v12, v11
	global_store_b128 v[0:1], v[9:12], off
.LBB336_1886:
	s_and_not1_b32 vcc_lo, exec_lo, s0
	s_cbranch_vccnz .LBB336_1888
; %bb.1887:
	v_cvt_f32_f16_e32 v5, v3
	v_mov_b32_e32 v6, 0
	global_store_b64 v[0:1], v[5:6], off
.LBB336_1888:
	s_mov_b32 s0, 0
.LBB336_1889:
	s_delay_alu instid0(SALU_CYCLE_1)
	s_and_not1_b32 vcc_lo, exec_lo, s0
	s_cbranch_vccnz .LBB336_1891
; %bb.1890:
	v_and_b32_e32 v5, 0xffff, v3
	global_store_b32 v[0:1], v5, off
.LBB336_1891:
	s_mov_b32 s0, 0
.LBB336_1892:
	s_delay_alu instid0(SALU_CYCLE_1)
	s_and_not1_b32 vcc_lo, exec_lo, s0
	s_cbranch_vccnz .LBB336_1901
; %bb.1893:
	v_cmp_gt_i16_e32 vcc_lo, 6, v4
	s_mov_b32 s0, -1
	s_cbranch_vccnz .LBB336_1899
; %bb.1894:
	v_cmp_lt_i16_e32 vcc_lo, 6, v4
	s_cbranch_vccz .LBB336_1896
; %bb.1895:
	v_cvt_f32_f16_e32 v5, v3
	s_mov_b32 s0, 0
	s_delay_alu instid0(VALU_DEP_1)
	v_cvt_f64_f32_e32 v[5:6], v5
	global_store_b64 v[0:1], v[5:6], off
.LBB336_1896:
	s_and_not1_b32 vcc_lo, exec_lo, s0
	s_cbranch_vccnz .LBB336_1898
; %bb.1897:
	v_cvt_f32_f16_e32 v5, v3
	global_store_b32 v[0:1], v5, off
.LBB336_1898:
	s_mov_b32 s0, 0
.LBB336_1899:
	s_delay_alu instid0(SALU_CYCLE_1)
	s_and_not1_b32 vcc_lo, exec_lo, s0
	s_cbranch_vccnz .LBB336_1901
; %bb.1900:
	global_store_b16 v[0:1], v3, off
.LBB336_1901:
	s_mov_b32 s0, 0
.LBB336_1902:
	s_delay_alu instid0(SALU_CYCLE_1)
	s_and_not1_b32 vcc_lo, exec_lo, s0
	s_cbranch_vccnz .LBB336_1918
; %bb.1903:
	v_cmp_gt_i16_e32 vcc_lo, 2, v4
	s_mov_b32 s0, -1
	s_cbranch_vccnz .LBB336_1913
; %bb.1904:
	v_cmp_gt_i16_e32 vcc_lo, 3, v4
	s_cbranch_vccnz .LBB336_1910
; %bb.1905:
	v_cmp_lt_i16_e32 vcc_lo, 3, v4
	s_cbranch_vccz .LBB336_1907
; %bb.1906:
	v_cvt_f32_f16_e32 v5, v3
	s_mov_b32 s0, 0
	s_delay_alu instid0(VALU_DEP_1) | instskip(NEXT) | instid1(VALU_DEP_1)
	v_cvt_i32_f32_e32 v5, v5
	v_ashrrev_i32_e32 v6, 31, v5
	global_store_b64 v[0:1], v[5:6], off
.LBB336_1907:
	s_and_not1_b32 vcc_lo, exec_lo, s0
	s_cbranch_vccnz .LBB336_1909
; %bb.1908:
	v_cvt_f32_f16_e32 v5, v3
	s_delay_alu instid0(VALU_DEP_1)
	v_cvt_i32_f32_e32 v5, v5
	global_store_b32 v[0:1], v5, off
.LBB336_1909:
	s_mov_b32 s0, 0
.LBB336_1910:
	s_delay_alu instid0(SALU_CYCLE_1)
	s_and_not1_b32 vcc_lo, exec_lo, s0
	s_cbranch_vccnz .LBB336_1912
; %bb.1911:
	v_cvt_i16_f16_e32 v5, v3
	global_store_b16 v[0:1], v5, off
.LBB336_1912:
	s_mov_b32 s0, 0
.LBB336_1913:
	s_delay_alu instid0(SALU_CYCLE_1)
	s_and_not1_b32 vcc_lo, exec_lo, s0
	s_cbranch_vccnz .LBB336_1918
; %bb.1914:
	v_cmp_lt_i16_e32 vcc_lo, 0, v4
	s_mov_b32 s0, -1
	s_cbranch_vccz .LBB336_1916
; %bb.1915:
	v_cvt_i16_f16_e32 v5, v3
	s_mov_b32 s0, 0
	global_store_b8 v[0:1], v5, off
.LBB336_1916:
	s_and_not1_b32 vcc_lo, exec_lo, s0
	s_cbranch_vccnz .LBB336_1918
; %bb.1917:
	v_cvt_f32_f16_e32 v3, v3
	s_delay_alu instid0(VALU_DEP_1)
	v_cvt_i32_f32_e32 v3, v3
	global_store_b8 v[0:1], v3, off
.LBB336_1918:
	s_mov_b32 s8, -1
.LBB336_1919:
	s_delay_alu instid0(SALU_CYCLE_1)
	s_and_not1_b32 vcc_lo, exec_lo, s8
	s_cbranch_vccnz .LBB336_1996
; %bb.1920:
	v_cmp_lt_f16_e32 vcc_lo, s10, v8
	v_add_nc_u32_e32 v1, s6, v2
	v_cmp_u_f16_e64 s0, v8, v8
	v_cndmask_b32_e32 v0, s10, v8, vcc_lo
	s_delay_alu instid0(VALU_DEP_3) | instskip(NEXT) | instid1(VALU_DEP_2)
	v_ashrrev_i32_e32 v2, 31, v1
	v_cmp_gt_f16_e32 vcc_lo, s1, v0
	v_cndmask_b32_e32 v0, s1, v0, vcc_lo
	v_cmp_gt_i16_e32 vcc_lo, 11, v4
	s_delay_alu instid0(VALU_DEP_2) | instskip(SKIP_1) | instid1(VALU_DEP_1)
	v_cndmask_b32_e64 v5, v0, v8, s0
	v_add_co_u32 v0, s0, s4, v1
	v_add_co_ci_u32_e64 v1, s0, s5, v2, s0
	s_cbranch_vccnz .LBB336_2041
; %bb.1921:
	v_cmp_lt_i16_e32 vcc_lo, 25, v4
	s_mov_b32 s4, -1
	s_mov_b32 s1, 0
	s_mov_b32 s0, 0
	s_cbranch_vccz .LBB336_1954
; %bb.1922:
	v_cmp_lt_i16_e32 vcc_lo, 28, v4
	s_cbranch_vccz .LBB336_1938
; %bb.1923:
	v_cmp_lt_i16_e32 vcc_lo, 43, v4
	;; [unrolled: 3-line block ×3, first 2 shown]
	s_cbranch_vccz .LBB336_1928
; %bb.1925:
	v_cmp_eq_u16_e32 vcc_lo, 46, v4
	s_mov_b32 s0, -1
	s_cbranch_vccz .LBB336_1927
; %bb.1926:
	v_cvt_f32_f16_e32 v2, v5
	v_cmp_o_f16_e32 vcc_lo, v5, v5
	s_mov_b32 s0, 0
	s_delay_alu instid0(VALU_DEP_2) | instskip(NEXT) | instid1(VALU_DEP_1)
	v_bfe_u32 v3, v2, 16, 1
	v_add3_u32 v2, v2, v3, 0x7fff
	s_delay_alu instid0(VALU_DEP_1) | instskip(NEXT) | instid1(VALU_DEP_1)
	v_lshrrev_b32_e32 v2, 16, v2
	v_cndmask_b32_e32 v2, 0x7fc0, v2, vcc_lo
	global_store_b32 v[0:1], v2, off
.LBB336_1927:
	s_mov_b32 s4, 0
.LBB336_1928:
	s_delay_alu instid0(SALU_CYCLE_1)
	s_and_b32 vcc_lo, exec_lo, s4
	s_cbranch_vccz .LBB336_1933
; %bb.1929:
	v_cmp_eq_u16_e32 vcc_lo, 44, v4
	s_mov_b32 s0, -1
	s_cbranch_vccz .LBB336_1933
; %bb.1930:
	v_cvt_f32_f16_e32 v2, v5
	v_mov_b32_e32 v3, 0xff
	s_mov_b32 s4, exec_lo
	s_delay_alu instid0(VALU_DEP_2) | instskip(NEXT) | instid1(VALU_DEP_1)
	v_bfe_u32 v6, v2, 23, 8
	v_cmpx_ne_u32_e32 0xff, v6
; %bb.1931:
	v_and_b32_e32 v3, 0x400000, v2
	v_and_or_b32 v6, 0x3fffff, v2, v6
	v_lshrrev_b32_e32 v2, 23, v2
	s_delay_alu instid0(VALU_DEP_3) | instskip(NEXT) | instid1(VALU_DEP_3)
	v_cmp_ne_u32_e32 vcc_lo, 0, v3
	v_cmp_ne_u32_e64 s0, 0, v6
	s_delay_alu instid0(VALU_DEP_1) | instskip(NEXT) | instid1(SALU_CYCLE_1)
	s_and_b32 s0, vcc_lo, s0
	v_cndmask_b32_e64 v3, 0, 1, s0
	s_delay_alu instid0(VALU_DEP_1)
	v_add_nc_u32_e32 v3, v2, v3
; %bb.1932:
	s_or_b32 exec_lo, exec_lo, s4
	s_mov_b32 s0, 0
	global_store_b8 v[0:1], v3, off
.LBB336_1933:
	s_mov_b32 s4, 0
.LBB336_1934:
	s_delay_alu instid0(SALU_CYCLE_1)
	s_and_b32 vcc_lo, exec_lo, s4
	s_cbranch_vccz .LBB336_1937
; %bb.1935:
	v_cmp_eq_u16_e32 vcc_lo, 29, v4
	s_mov_b32 s0, -1
	s_cbranch_vccz .LBB336_1937
; %bb.1936:
	v_cvt_f32_f16_e32 v2, v5
	v_mov_b32_e32 v3, 0
	s_mov_b32 s0, 0
	s_delay_alu instid0(VALU_DEP_2)
	v_cvt_u32_f32_e32 v2, v2
	global_store_b64 v[0:1], v[2:3], off
.LBB336_1937:
	s_mov_b32 s4, 0
.LBB336_1938:
	s_delay_alu instid0(SALU_CYCLE_1)
	s_and_b32 vcc_lo, exec_lo, s4
	s_cbranch_vccz .LBB336_1953
; %bb.1939:
	v_cmp_gt_i16_e32 vcc_lo, 27, v4
	s_mov_b32 s4, -1
	s_cbranch_vccnz .LBB336_1945
; %bb.1940:
	v_cmp_lt_i16_e32 vcc_lo, 27, v4
	s_cbranch_vccz .LBB336_1942
; %bb.1941:
	v_cvt_f32_f16_e32 v2, v5
	s_mov_b32 s4, 0
	s_delay_alu instid0(VALU_DEP_1)
	v_cvt_u32_f32_e32 v2, v2
	global_store_b32 v[0:1], v2, off
.LBB336_1942:
	s_and_not1_b32 vcc_lo, exec_lo, s4
	s_cbranch_vccnz .LBB336_1944
; %bb.1943:
	v_cvt_u16_f16_e32 v2, v5
	global_store_b16 v[0:1], v2, off
.LBB336_1944:
	s_mov_b32 s4, 0
.LBB336_1945:
	s_delay_alu instid0(SALU_CYCLE_1)
	s_and_not1_b32 vcc_lo, exec_lo, s4
	s_cbranch_vccnz .LBB336_1953
; %bb.1946:
	v_cvt_f32_f16_e32 v2, v5
	v_mov_b32_e32 v6, 0x80
	s_mov_b32 s4, exec_lo
	s_delay_alu instid0(VALU_DEP_2) | instskip(NEXT) | instid1(VALU_DEP_1)
	v_and_b32_e32 v3, 0x7fffffff, v2
	v_cmpx_gt_u32_e32 0x43800000, v3
	s_cbranch_execz .LBB336_1952
; %bb.1947:
	v_cmp_lt_u32_e32 vcc_lo, 0x3bffffff, v3
	s_mov_b32 s5, 0
                                        ; implicit-def: $vgpr3
	s_and_saveexec_b32 s6, vcc_lo
	s_delay_alu instid0(SALU_CYCLE_1)
	s_xor_b32 s6, exec_lo, s6
	s_cbranch_execz .LBB336_2068
; %bb.1948:
	v_bfe_u32 v3, v2, 20, 1
	s_mov_b32 s5, exec_lo
	s_delay_alu instid0(VALU_DEP_1) | instskip(NEXT) | instid1(VALU_DEP_1)
	v_add3_u32 v3, v2, v3, 0x487ffff
	v_lshrrev_b32_e32 v3, 20, v3
	s_or_saveexec_b32 s6, s6
                                        ; implicit-def: $sgpr7
	s_delay_alu instid0(SALU_CYCLE_1)
	s_xor_b32 exec_lo, exec_lo, s6
	s_cbranch_execnz .LBB336_2069
.LBB336_1949:
	s_or_b32 exec_lo, exec_lo, s6
	v_mov_b32_e32 v6, s7
	s_and_saveexec_b32 s6, s5
.LBB336_1950:
	v_lshrrev_b32_e32 v2, 24, v2
	s_delay_alu instid0(VALU_DEP_1)
	v_and_or_b32 v6, 0x80, v2, v3
.LBB336_1951:
	s_or_b32 exec_lo, exec_lo, s6
.LBB336_1952:
	s_delay_alu instid0(SALU_CYCLE_1)
	s_or_b32 exec_lo, exec_lo, s4
	global_store_b8 v[0:1], v6, off
.LBB336_1953:
	s_mov_b32 s4, 0
.LBB336_1954:
	s_delay_alu instid0(SALU_CYCLE_1)
	s_and_b32 vcc_lo, exec_lo, s4
	s_cbranch_vccz .LBB336_1994
; %bb.1955:
	v_cmp_lt_i16_e32 vcc_lo, 22, v4
	s_mov_b32 s1, -1
	s_cbranch_vccz .LBB336_1987
; %bb.1956:
	v_cmp_gt_i16_e32 vcc_lo, 24, v4
	s_cbranch_vccnz .LBB336_1976
; %bb.1957:
	v_cmp_lt_i16_e32 vcc_lo, 24, v4
	s_cbranch_vccz .LBB336_1965
; %bb.1958:
	v_cvt_f32_f16_e32 v2, v5
	v_mov_b32_e32 v6, 0x80
	s_mov_b32 s1, exec_lo
	s_delay_alu instid0(VALU_DEP_2) | instskip(NEXT) | instid1(VALU_DEP_1)
	v_and_b32_e32 v3, 0x7fffffff, v2
	v_cmpx_gt_u32_e32 0x47800000, v3
	s_cbranch_execz .LBB336_1964
; %bb.1959:
	v_cmp_lt_u32_e32 vcc_lo, 0x37ffffff, v3
	s_mov_b32 s4, 0
                                        ; implicit-def: $vgpr3
	s_and_saveexec_b32 s5, vcc_lo
	s_delay_alu instid0(SALU_CYCLE_1)
	s_xor_b32 s5, exec_lo, s5
	s_cbranch_execz .LBB336_2074
; %bb.1960:
	v_bfe_u32 v3, v2, 21, 1
	s_mov_b32 s4, exec_lo
	s_delay_alu instid0(VALU_DEP_1) | instskip(NEXT) | instid1(VALU_DEP_1)
	v_add3_u32 v3, v2, v3, 0x88fffff
	v_lshrrev_b32_e32 v3, 21, v3
	s_or_saveexec_b32 s5, s5
                                        ; implicit-def: $sgpr6
	s_delay_alu instid0(SALU_CYCLE_1)
	s_xor_b32 exec_lo, exec_lo, s5
	s_cbranch_execnz .LBB336_2075
.LBB336_1961:
	s_or_b32 exec_lo, exec_lo, s5
	v_mov_b32_e32 v6, s6
	s_and_saveexec_b32 s5, s4
.LBB336_1962:
	v_lshrrev_b32_e32 v2, 24, v2
	s_delay_alu instid0(VALU_DEP_1)
	v_and_or_b32 v6, 0x80, v2, v3
.LBB336_1963:
	s_or_b32 exec_lo, exec_lo, s5
.LBB336_1964:
	s_delay_alu instid0(SALU_CYCLE_1)
	s_or_b32 exec_lo, exec_lo, s1
	s_mov_b32 s1, 0
	global_store_b8 v[0:1], v6, off
.LBB336_1965:
	s_and_b32 vcc_lo, exec_lo, s1
	s_cbranch_vccz .LBB336_1975
; %bb.1966:
	v_cvt_f32_f16_e32 v2, v5
	s_mov_b32 s1, exec_lo
                                        ; implicit-def: $vgpr3
	s_delay_alu instid0(VALU_DEP_1) | instskip(NEXT) | instid1(VALU_DEP_1)
	v_and_b32_e32 v6, 0x7fffffff, v2
	v_cmpx_gt_u32_e32 0x43f00000, v6
	s_xor_b32 s1, exec_lo, s1
	s_cbranch_execz .LBB336_1972
; %bb.1967:
	s_mov_b32 s4, exec_lo
                                        ; implicit-def: $vgpr3
	v_cmpx_lt_u32_e32 0x3c7fffff, v6
	s_xor_b32 s4, exec_lo, s4
; %bb.1968:
	v_bfe_u32 v3, v2, 20, 1
	s_delay_alu instid0(VALU_DEP_1) | instskip(NEXT) | instid1(VALU_DEP_1)
	v_add3_u32 v3, v2, v3, 0x407ffff
	v_and_b32_e32 v6, 0xff00000, v3
	v_lshrrev_b32_e32 v3, 20, v3
	s_delay_alu instid0(VALU_DEP_2) | instskip(NEXT) | instid1(VALU_DEP_2)
	v_cmp_ne_u32_e32 vcc_lo, 0x7f00000, v6
	v_cndmask_b32_e32 v3, 0x7e, v3, vcc_lo
; %bb.1969:
	s_and_not1_saveexec_b32 s4, s4
; %bb.1970:
	v_add_f32_e64 v3, 0x46800000, |v2|
; %bb.1971:
	s_or_b32 exec_lo, exec_lo, s4
                                        ; implicit-def: $vgpr6
.LBB336_1972:
	s_and_not1_saveexec_b32 s1, s1
; %bb.1973:
	v_mov_b32_e32 v3, 0x7f
	v_cmp_lt_u32_e32 vcc_lo, 0x7f800000, v6
	s_delay_alu instid0(VALU_DEP_2)
	v_cndmask_b32_e32 v3, 0x7e, v3, vcc_lo
; %bb.1974:
	s_or_b32 exec_lo, exec_lo, s1
	v_lshrrev_b32_e32 v2, 24, v2
	s_delay_alu instid0(VALU_DEP_1)
	v_and_or_b32 v2, 0x80, v2, v3
	global_store_b8 v[0:1], v2, off
.LBB336_1975:
	s_mov_b32 s1, 0
.LBB336_1976:
	s_delay_alu instid0(SALU_CYCLE_1)
	s_and_not1_b32 vcc_lo, exec_lo, s1
	s_cbranch_vccnz .LBB336_1986
; %bb.1977:
	v_cvt_f32_f16_e32 v2, v5
	s_mov_b32 s1, exec_lo
                                        ; implicit-def: $vgpr3
	s_delay_alu instid0(VALU_DEP_1) | instskip(NEXT) | instid1(VALU_DEP_1)
	v_and_b32_e32 v6, 0x7fffffff, v2
	v_cmpx_gt_u32_e32 0x47800000, v6
	s_xor_b32 s1, exec_lo, s1
	s_cbranch_execz .LBB336_1983
; %bb.1978:
	s_mov_b32 s4, exec_lo
                                        ; implicit-def: $vgpr3
	v_cmpx_lt_u32_e32 0x387fffff, v6
	s_xor_b32 s4, exec_lo, s4
; %bb.1979:
	v_bfe_u32 v3, v2, 21, 1
	s_delay_alu instid0(VALU_DEP_1) | instskip(NEXT) | instid1(VALU_DEP_1)
	v_add3_u32 v3, v2, v3, 0x80fffff
	v_lshrrev_b32_e32 v3, 21, v3
; %bb.1980:
	s_and_not1_saveexec_b32 s4, s4
; %bb.1981:
	v_add_f32_e64 v3, 0x43000000, |v2|
; %bb.1982:
	s_or_b32 exec_lo, exec_lo, s4
                                        ; implicit-def: $vgpr6
.LBB336_1983:
	s_and_not1_saveexec_b32 s1, s1
; %bb.1984:
	v_mov_b32_e32 v3, 0x7f
	v_cmp_lt_u32_e32 vcc_lo, 0x7f800000, v6
	s_delay_alu instid0(VALU_DEP_2)
	v_cndmask_b32_e32 v3, 0x7c, v3, vcc_lo
; %bb.1985:
	s_or_b32 exec_lo, exec_lo, s1
	v_lshrrev_b32_e32 v2, 24, v2
	s_delay_alu instid0(VALU_DEP_1)
	v_and_or_b32 v2, 0x80, v2, v3
	global_store_b8 v[0:1], v2, off
.LBB336_1986:
	s_mov_b32 s1, 0
.LBB336_1987:
	s_delay_alu instid0(SALU_CYCLE_1)
	s_and_not1_b32 vcc_lo, exec_lo, s1
	s_mov_b32 s1, 0
	s_cbranch_vccnz .LBB336_1994
; %bb.1988:
	v_cmp_lt_i16_e32 vcc_lo, 14, v4
	s_mov_b32 s1, -1
	s_cbranch_vccz .LBB336_1992
; %bb.1989:
	v_cmp_eq_u16_e32 vcc_lo, 15, v4
	s_mov_b32 s0, -1
	s_cbranch_vccz .LBB336_1991
; %bb.1990:
	v_cvt_f32_f16_e32 v2, v5
	v_cmp_o_f16_e32 vcc_lo, v5, v5
	s_mov_b32 s0, 0
	s_delay_alu instid0(VALU_DEP_2) | instskip(NEXT) | instid1(VALU_DEP_1)
	v_bfe_u32 v3, v2, 16, 1
	v_add3_u32 v2, v2, v3, 0x7fff
	s_delay_alu instid0(VALU_DEP_1) | instskip(NEXT) | instid1(VALU_DEP_1)
	v_lshrrev_b32_e32 v2, 16, v2
	v_cndmask_b32_e32 v2, 0x7fc0, v2, vcc_lo
	global_store_b16 v[0:1], v2, off
.LBB336_1991:
	s_mov_b32 s1, 0
.LBB336_1992:
	s_delay_alu instid0(SALU_CYCLE_1)
	s_and_b32 vcc_lo, exec_lo, s1
	s_mov_b32 s1, 0
	s_cbranch_vccz .LBB336_1994
; %bb.1993:
	v_cmp_ne_u16_e64 s0, 11, v4
	s_mov_b32 s1, -1
.LBB336_1994:
	s_delay_alu instid0(VALU_DEP_1)
	s_and_b32 vcc_lo, exec_lo, s0
	s_cbranch_vccnz .LBB336_2072
.LBB336_1995:
	s_mov_b32 s0, 0
	s_branch .LBB336_1997
.LBB336_1996:
	s_mov_b32 s0, 0
	s_mov_b32 s1, 0
                                        ; implicit-def: $vgpr4
                                        ; implicit-def: $vgpr0_vgpr1
                                        ; implicit-def: $vgpr5
.LBB336_1997:
	s_and_not1_b32 s4, s12, exec_lo
	s_and_b32 s5, s2, exec_lo
	s_and_b32 s0, s0, exec_lo
	;; [unrolled: 1-line block ×3, first 2 shown]
	s_or_b32 s12, s4, s5
.LBB336_1998:
	s_or_b32 exec_lo, exec_lo, s3
	s_and_saveexec_b32 s1, s12
	s_cbranch_execz .LBB336_2001
; %bb.1999:
	; divergent unreachable
	s_or_b32 exec_lo, exec_lo, s1
	s_and_saveexec_b32 s1, s2
	s_delay_alu instid0(SALU_CYCLE_1)
	s_xor_b32 s1, exec_lo, s1
	s_cbranch_execnz .LBB336_2002
.LBB336_2000:
	s_or_b32 exec_lo, exec_lo, s1
	s_and_saveexec_b32 s1, s0
	s_cbranch_execnz .LBB336_2003
	s_branch .LBB336_2040
.LBB336_2001:
	s_or_b32 exec_lo, exec_lo, s1
	s_and_saveexec_b32 s1, s2
	s_delay_alu instid0(SALU_CYCLE_1)
	s_xor_b32 s1, exec_lo, s1
	s_cbranch_execz .LBB336_2000
.LBB336_2002:
	s_waitcnt vmcnt(0)
	v_and_b32_e32 v2, 0x7fff, v5
	s_delay_alu instid0(VALU_DEP_1)
	v_cmp_ne_u16_e32 vcc_lo, 0, v2
	v_cndmask_b32_e64 v2, 0, 1, vcc_lo
	global_store_b8 v[0:1], v2, off
	s_or_b32 exec_lo, exec_lo, s1
	s_and_saveexec_b32 s1, s0
	s_cbranch_execz .LBB336_2040
.LBB336_2003:
	s_waitcnt vmcnt(0)
	v_cmp_gt_i16_e32 vcc_lo, 5, v4
	s_mov_b32 s0, -1
	s_cbranch_vccnz .LBB336_2024
; %bb.2004:
	v_cmp_gt_i16_e32 vcc_lo, 8, v4
	s_cbranch_vccnz .LBB336_2014
; %bb.2005:
	v_cmp_gt_i16_e32 vcc_lo, 9, v4
	s_cbranch_vccnz .LBB336_2011
; %bb.2006:
	v_cmp_lt_i16_e32 vcc_lo, 9, v4
	s_cbranch_vccz .LBB336_2008
; %bb.2007:
	v_cvt_f32_f16_e32 v2, v5
	v_mov_b32_e32 v8, 0
	s_mov_b32 s0, 0
	s_delay_alu instid0(VALU_DEP_2) | instskip(NEXT) | instid1(VALU_DEP_2)
	v_cvt_f64_f32_e32 v[6:7], v2
	v_mov_b32_e32 v9, v8
	global_store_b128 v[0:1], v[6:9], off
.LBB336_2008:
	s_and_not1_b32 vcc_lo, exec_lo, s0
	s_cbranch_vccnz .LBB336_2010
; %bb.2009:
	v_cvt_f32_f16_e32 v2, v5
	v_mov_b32_e32 v3, 0
	global_store_b64 v[0:1], v[2:3], off
.LBB336_2010:
	s_mov_b32 s0, 0
.LBB336_2011:
	s_delay_alu instid0(SALU_CYCLE_1)
	s_and_not1_b32 vcc_lo, exec_lo, s0
	s_cbranch_vccnz .LBB336_2013
; %bb.2012:
	v_and_b32_e32 v2, 0xffff, v5
	global_store_b32 v[0:1], v2, off
.LBB336_2013:
	s_mov_b32 s0, 0
.LBB336_2014:
	s_delay_alu instid0(SALU_CYCLE_1)
	s_and_not1_b32 vcc_lo, exec_lo, s0
	s_cbranch_vccnz .LBB336_2023
; %bb.2015:
	v_cmp_gt_i16_e32 vcc_lo, 6, v4
	s_mov_b32 s0, -1
	s_cbranch_vccnz .LBB336_2021
; %bb.2016:
	v_cmp_lt_i16_e32 vcc_lo, 6, v4
	s_cbranch_vccz .LBB336_2018
; %bb.2017:
	v_cvt_f32_f16_e32 v2, v5
	s_mov_b32 s0, 0
	s_delay_alu instid0(VALU_DEP_1)
	v_cvt_f64_f32_e32 v[2:3], v2
	global_store_b64 v[0:1], v[2:3], off
.LBB336_2018:
	s_and_not1_b32 vcc_lo, exec_lo, s0
	s_cbranch_vccnz .LBB336_2020
; %bb.2019:
	v_cvt_f32_f16_e32 v2, v5
	global_store_b32 v[0:1], v2, off
.LBB336_2020:
	s_mov_b32 s0, 0
.LBB336_2021:
	s_delay_alu instid0(SALU_CYCLE_1)
	s_and_not1_b32 vcc_lo, exec_lo, s0
	s_cbranch_vccnz .LBB336_2023
; %bb.2022:
	global_store_b16 v[0:1], v5, off
.LBB336_2023:
	s_mov_b32 s0, 0
.LBB336_2024:
	s_delay_alu instid0(SALU_CYCLE_1)
	s_and_not1_b32 vcc_lo, exec_lo, s0
	s_cbranch_vccnz .LBB336_2040
; %bb.2025:
	v_cmp_gt_i16_e32 vcc_lo, 2, v4
	s_mov_b32 s0, -1
	s_cbranch_vccnz .LBB336_2035
; %bb.2026:
	v_cmp_gt_i16_e32 vcc_lo, 3, v4
	s_cbranch_vccnz .LBB336_2032
; %bb.2027:
	v_cmp_lt_i16_e32 vcc_lo, 3, v4
	s_cbranch_vccz .LBB336_2029
; %bb.2028:
	v_cvt_f32_f16_e32 v2, v5
	s_mov_b32 s0, 0
	s_delay_alu instid0(VALU_DEP_1) | instskip(NEXT) | instid1(VALU_DEP_1)
	v_cvt_i32_f32_e32 v2, v2
	v_ashrrev_i32_e32 v3, 31, v2
	global_store_b64 v[0:1], v[2:3], off
.LBB336_2029:
	s_and_not1_b32 vcc_lo, exec_lo, s0
	s_cbranch_vccnz .LBB336_2031
; %bb.2030:
	v_cvt_f32_f16_e32 v2, v5
	s_delay_alu instid0(VALU_DEP_1)
	v_cvt_i32_f32_e32 v2, v2
	global_store_b32 v[0:1], v2, off
.LBB336_2031:
	s_mov_b32 s0, 0
.LBB336_2032:
	s_delay_alu instid0(SALU_CYCLE_1)
	s_and_not1_b32 vcc_lo, exec_lo, s0
	s_cbranch_vccnz .LBB336_2034
; %bb.2033:
	v_cvt_i16_f16_e32 v2, v5
	global_store_b16 v[0:1], v2, off
.LBB336_2034:
	s_mov_b32 s0, 0
.LBB336_2035:
	s_delay_alu instid0(SALU_CYCLE_1)
	s_and_not1_b32 vcc_lo, exec_lo, s0
	s_cbranch_vccnz .LBB336_2040
; %bb.2036:
	v_cmp_lt_i16_e32 vcc_lo, 0, v4
	s_mov_b32 s0, -1
	s_cbranch_vccz .LBB336_2038
; %bb.2037:
	v_cvt_i16_f16_e32 v2, v5
	s_mov_b32 s0, 0
	global_store_b8 v[0:1], v2, off
.LBB336_2038:
	s_and_not1_b32 vcc_lo, exec_lo, s0
	s_cbranch_vccnz .LBB336_2040
; %bb.2039:
	v_cvt_f32_f16_e32 v2, v5
	s_delay_alu instid0(VALU_DEP_1)
	v_cvt_i32_f32_e32 v2, v2
	global_store_b8 v[0:1], v2, off
	s_nop 0
	s_sendmsg sendmsg(MSG_DEALLOC_VGPRS)
	s_endpgm
.LBB336_2040:
	s_nop 0
	s_sendmsg sendmsg(MSG_DEALLOC_VGPRS)
	s_endpgm
.LBB336_2041:
	s_mov_b32 s1, 0
	s_mov_b32 s0, -1
	s_branch .LBB336_1997
.LBB336_2042:
	s_cbranch_execnz .LBB336_2046
; %bb.2043:
	s_or_b32 s2, s2, exec_lo
                                        ; implicit-def: $vgpr8
	s_cbranch_execz .LBB336_1511
	s_branch .LBB336_1512
.LBB336_2044:
	s_or_saveexec_b32 s11, s11
                                        ; implicit-def: $sgpr13
	s_delay_alu instid0(SALU_CYCLE_1)
	s_xor_b32 exec_lo, exec_lo, s11
	s_cbranch_execz .LBB336_1591
.LBB336_2045:
	v_add_f32_e64 v9, 0x46000000, |v5|
	s_and_not1_b32 s9, s9, exec_lo
	s_mov_b32 s13, 0
	s_delay_alu instid0(VALU_DEP_1) | instskip(NEXT) | instid1(VALU_DEP_1)
	v_and_b32_e32 v9, 0xff, v9
	v_cmp_ne_u32_e32 vcc_lo, 0, v9
	s_and_b32 s14, vcc_lo, exec_lo
	s_delay_alu instid0(SALU_CYCLE_1)
	s_or_b32 s9, s9, s14
	s_or_b32 exec_lo, exec_lo, s11
	v_mov_b32_e32 v10, s13
	s_and_saveexec_b32 s11, s9
	s_cbranch_execnz .LBB336_1592
	s_branch .LBB336_1593
.LBB336_2046:
	s_trap 2
	s_sendmsg_rtn_b32 s0, sendmsg(MSG_RTN_GET_DOORBELL)
	s_mov_b32 ttmp2, m0
	s_waitcnt lgkmcnt(0)
	s_and_b32 s0, s0, 0x3ff
	s_delay_alu instid0(SALU_CYCLE_1) | instskip(NEXT) | instid1(SALU_CYCLE_1)
	s_bitset1_b32 s0, 10
	s_mov_b32 m0, s0
	s_sendmsg sendmsg(MSG_INTERRUPT)
	s_mov_b32 m0, ttmp2
.LBB336_2047:                           ; =>This Inner Loop Header: Depth=1
	s_sethalt 5
	s_branch .LBB336_2047
.LBB336_2048:
	s_cbranch_execnz .LBB336_2054
; %bb.2049:
	s_or_b32 s2, s2, exec_lo
	s_cbranch_execz .LBB336_1639
	s_branch .LBB336_1640
.LBB336_2050:
	s_or_saveexec_b32 s9, s9
                                        ; implicit-def: $sgpr11
	s_delay_alu instid0(SALU_CYCLE_1)
	s_xor_b32 exec_lo, exec_lo, s9
	s_cbranch_execz .LBB336_1604
.LBB336_2051:
	v_add_f32_e64 v9, 0x42800000, |v5|
	s_and_not1_b32 s7, s7, exec_lo
	s_mov_b32 s11, 0
	s_delay_alu instid0(VALU_DEP_1) | instskip(NEXT) | instid1(VALU_DEP_1)
	v_and_b32_e32 v9, 0xff, v9
	v_cmp_ne_u32_e32 vcc_lo, 0, v9
	s_and_b32 s13, vcc_lo, exec_lo
	s_delay_alu instid0(SALU_CYCLE_1)
	s_or_b32 s7, s7, s13
	s_or_b32 exec_lo, exec_lo, s9
	v_mov_b32_e32 v10, s11
	s_and_saveexec_b32 s9, s7
	s_cbranch_execnz .LBB336_1605
	s_branch .LBB336_1606
.LBB336_2052:
	s_or_saveexec_b32 s11, s11
                                        ; implicit-def: $sgpr13
	s_delay_alu instid0(SALU_CYCLE_1)
	s_xor_b32 exec_lo, exec_lo, s11
	s_cbranch_execz .LBB336_1710
.LBB336_2053:
	v_add_f32_e64 v6, 0x46000000, |v5|
	s_and_not1_b32 s9, s9, exec_lo
	s_mov_b32 s13, 0
	s_delay_alu instid0(VALU_DEP_1) | instskip(NEXT) | instid1(VALU_DEP_1)
	v_and_b32_e32 v6, 0xff, v6
	v_cmp_ne_u32_e32 vcc_lo, 0, v6
	s_and_b32 s14, vcc_lo, exec_lo
	s_delay_alu instid0(SALU_CYCLE_1)
	s_or_b32 s9, s9, s14
	s_or_b32 exec_lo, exec_lo, s11
	v_mov_b32_e32 v9, s13
	s_and_saveexec_b32 s11, s9
	s_cbranch_execnz .LBB336_1711
	s_branch .LBB336_1712
.LBB336_2054:
	s_trap 2
	s_sendmsg_rtn_b32 s0, sendmsg(MSG_RTN_GET_DOORBELL)
	s_mov_b32 ttmp2, m0
	s_waitcnt lgkmcnt(0)
	s_and_b32 s0, s0, 0x3ff
	s_delay_alu instid0(SALU_CYCLE_1) | instskip(NEXT) | instid1(SALU_CYCLE_1)
	s_bitset1_b32 s0, 10
	s_mov_b32 m0, s0
	s_sendmsg sendmsg(MSG_INTERRUPT)
	s_mov_b32 m0, ttmp2
.LBB336_2055:                           ; =>This Inner Loop Header: Depth=1
	s_sethalt 5
	s_branch .LBB336_2055
.LBB336_2056:
	s_cbranch_execnz .LBB336_2062
; %bb.2057:
	s_or_b32 s2, s2, exec_lo
	s_cbranch_execz .LBB336_1758
	s_branch .LBB336_1759
.LBB336_2058:
	s_or_saveexec_b32 s9, s9
                                        ; implicit-def: $sgpr11
	s_delay_alu instid0(SALU_CYCLE_1)
	s_xor_b32 exec_lo, exec_lo, s9
	s_cbranch_execz .LBB336_1723
.LBB336_2059:
	v_add_f32_e64 v6, 0x42800000, |v5|
	s_and_not1_b32 s8, s8, exec_lo
	s_mov_b32 s11, 0
	s_delay_alu instid0(VALU_DEP_1) | instskip(NEXT) | instid1(VALU_DEP_1)
	v_and_b32_e32 v6, 0xff, v6
	v_cmp_ne_u32_e32 vcc_lo, 0, v6
	s_and_b32 s13, vcc_lo, exec_lo
	s_delay_alu instid0(SALU_CYCLE_1)
	s_or_b32 s8, s8, s13
	s_or_b32 exec_lo, exec_lo, s9
	v_mov_b32_e32 v9, s11
	s_and_saveexec_b32 s9, s8
	s_cbranch_execnz .LBB336_1724
	s_branch .LBB336_1725
.LBB336_2060:
	s_or_saveexec_b32 s11, s11
                                        ; implicit-def: $sgpr13
	s_delay_alu instid0(SALU_CYCLE_1)
	s_xor_b32 exec_lo, exec_lo, s11
	s_cbranch_execz .LBB336_1829
.LBB336_2061:
	v_add_f32_e64 v6, 0x46000000, |v5|
	s_and_not1_b32 s9, s9, exec_lo
	s_mov_b32 s13, 0
	s_delay_alu instid0(VALU_DEP_1) | instskip(NEXT) | instid1(VALU_DEP_1)
	v_and_b32_e32 v6, 0xff, v6
	v_cmp_ne_u32_e32 vcc_lo, 0, v6
	s_and_b32 s14, vcc_lo, exec_lo
	s_delay_alu instid0(SALU_CYCLE_1)
	s_or_b32 s9, s9, s14
	s_or_b32 exec_lo, exec_lo, s11
	v_mov_b32_e32 v7, s13
	s_and_saveexec_b32 s11, s9
	s_cbranch_execnz .LBB336_1830
	s_branch .LBB336_1831
.LBB336_2062:
	s_trap 2
	s_sendmsg_rtn_b32 s0, sendmsg(MSG_RTN_GET_DOORBELL)
	s_mov_b32 ttmp2, m0
	s_waitcnt lgkmcnt(0)
	s_and_b32 s0, s0, 0x3ff
	s_delay_alu instid0(SALU_CYCLE_1) | instskip(NEXT) | instid1(SALU_CYCLE_1)
	s_bitset1_b32 s0, 10
	s_mov_b32 m0, s0
	s_sendmsg sendmsg(MSG_INTERRUPT)
	s_mov_b32 m0, ttmp2
.LBB336_2063:                           ; =>This Inner Loop Header: Depth=1
	s_sethalt 5
	s_branch .LBB336_2063
.LBB336_2064:
	s_cbranch_execnz .LBB336_2070
; %bb.2065:
	s_or_b32 s2, s2, exec_lo
	s_cbranch_execz .LBB336_1877
	s_branch .LBB336_1878
.LBB336_2066:
	s_or_saveexec_b32 s9, s9
                                        ; implicit-def: $sgpr11
	s_delay_alu instid0(SALU_CYCLE_1)
	s_xor_b32 exec_lo, exec_lo, s9
	s_cbranch_execz .LBB336_1842
.LBB336_2067:
	v_add_f32_e64 v6, 0x42800000, |v5|
	s_and_not1_b32 s8, s8, exec_lo
	s_mov_b32 s11, 0
	s_delay_alu instid0(VALU_DEP_1) | instskip(NEXT) | instid1(VALU_DEP_1)
	v_and_b32_e32 v6, 0xff, v6
	v_cmp_ne_u32_e32 vcc_lo, 0, v6
	s_and_b32 s13, vcc_lo, exec_lo
	s_delay_alu instid0(SALU_CYCLE_1)
	s_or_b32 s8, s8, s13
	s_or_b32 exec_lo, exec_lo, s9
	v_mov_b32_e32 v7, s11
	s_and_saveexec_b32 s9, s8
	s_cbranch_execnz .LBB336_1843
	s_branch .LBB336_1844
.LBB336_2068:
	s_or_saveexec_b32 s6, s6
                                        ; implicit-def: $sgpr7
	s_delay_alu instid0(SALU_CYCLE_1)
	s_xor_b32 exec_lo, exec_lo, s6
	s_cbranch_execz .LBB336_1949
.LBB336_2069:
	v_add_f32_e64 v3, 0x46000000, |v2|
	s_and_not1_b32 s5, s5, exec_lo
	s_mov_b32 s7, 0
	s_delay_alu instid0(VALU_DEP_1) | instskip(NEXT) | instid1(VALU_DEP_1)
	v_and_b32_e32 v3, 0xff, v3
	v_cmp_ne_u32_e32 vcc_lo, 0, v3
	s_and_b32 s8, vcc_lo, exec_lo
	s_delay_alu instid0(SALU_CYCLE_1)
	s_or_b32 s5, s5, s8
	s_or_b32 exec_lo, exec_lo, s6
	v_mov_b32_e32 v6, s7
	s_and_saveexec_b32 s6, s5
	s_cbranch_execnz .LBB336_1950
	s_branch .LBB336_1951
.LBB336_2070:
	s_trap 2
	s_sendmsg_rtn_b32 s0, sendmsg(MSG_RTN_GET_DOORBELL)
	s_mov_b32 ttmp2, m0
	s_waitcnt lgkmcnt(0)
	s_and_b32 s0, s0, 0x3ff
	s_delay_alu instid0(SALU_CYCLE_1) | instskip(NEXT) | instid1(SALU_CYCLE_1)
	s_bitset1_b32 s0, 10
	s_mov_b32 m0, s0
	s_sendmsg sendmsg(MSG_INTERRUPT)
	s_mov_b32 m0, ttmp2
.LBB336_2071:                           ; =>This Inner Loop Header: Depth=1
	s_sethalt 5
	s_branch .LBB336_2071
.LBB336_2072:
	s_cbranch_execnz .LBB336_2076
; %bb.2073:
	s_mov_b32 s1, 0
	s_or_b32 s2, s2, exec_lo
	s_branch .LBB336_1995
.LBB336_2074:
	s_or_saveexec_b32 s5, s5
                                        ; implicit-def: $sgpr6
	s_delay_alu instid0(SALU_CYCLE_1)
	s_xor_b32 exec_lo, exec_lo, s5
	s_cbranch_execz .LBB336_1961
.LBB336_2075:
	v_add_f32_e64 v3, 0x42800000, |v2|
	s_and_not1_b32 s4, s4, exec_lo
	s_mov_b32 s6, 0
	s_delay_alu instid0(VALU_DEP_1) | instskip(NEXT) | instid1(VALU_DEP_1)
	v_and_b32_e32 v3, 0xff, v3
	v_cmp_ne_u32_e32 vcc_lo, 0, v3
	s_and_b32 s7, vcc_lo, exec_lo
	s_delay_alu instid0(SALU_CYCLE_1)
	s_or_b32 s4, s4, s7
	s_or_b32 exec_lo, exec_lo, s5
	v_mov_b32_e32 v6, s6
	s_and_saveexec_b32 s5, s4
	s_cbranch_execnz .LBB336_1962
	s_branch .LBB336_1963
.LBB336_2076:
	s_trap 2
	s_sendmsg_rtn_b32 s0, sendmsg(MSG_RTN_GET_DOORBELL)
	s_mov_b32 ttmp2, m0
	s_waitcnt lgkmcnt(0)
	s_and_b32 s0, s0, 0x3ff
	s_delay_alu instid0(SALU_CYCLE_1) | instskip(NEXT) | instid1(SALU_CYCLE_1)
	s_bitset1_b32 s0, 10
	s_mov_b32 m0, s0
	s_sendmsg sendmsg(MSG_INTERRUPT)
	s_mov_b32 m0, ttmp2
.LBB336_2077:                           ; =>This Inner Loop Header: Depth=1
	s_sethalt 5
	s_branch .LBB336_2077
	.section	.rodata,"a",@progbits
	.p2align	6, 0x0
	.amdhsa_kernel _ZN2at6native32elementwise_kernel_manual_unrollILi128ELi4EZNS0_15gpu_kernel_implIZZZNS0_17clamp_kernel_cudaERNS_18TensorIteratorBaseERKN3c106ScalarES8_ENKUlvE_clEvENKUlvE6_clEvEUlNS5_4HalfEE_EEvS4_RKT_EUlibE_EEviT1_
		.amdhsa_group_segment_fixed_size 0
		.amdhsa_private_segment_fixed_size 0
		.amdhsa_kernarg_size 40
		.amdhsa_user_sgpr_count 15
		.amdhsa_user_sgpr_dispatch_ptr 0
		.amdhsa_user_sgpr_queue_ptr 0
		.amdhsa_user_sgpr_kernarg_segment_ptr 1
		.amdhsa_user_sgpr_dispatch_id 0
		.amdhsa_user_sgpr_private_segment_size 0
		.amdhsa_wavefront_size32 1
		.amdhsa_uses_dynamic_stack 0
		.amdhsa_enable_private_segment 0
		.amdhsa_system_sgpr_workgroup_id_x 1
		.amdhsa_system_sgpr_workgroup_id_y 0
		.amdhsa_system_sgpr_workgroup_id_z 0
		.amdhsa_system_sgpr_workgroup_info 0
		.amdhsa_system_vgpr_workitem_id 0
		.amdhsa_next_free_vgpr 13
		.amdhsa_next_free_sgpr 27
		.amdhsa_reserve_vcc 1
		.amdhsa_float_round_mode_32 0
		.amdhsa_float_round_mode_16_64 0
		.amdhsa_float_denorm_mode_32 3
		.amdhsa_float_denorm_mode_16_64 3
		.amdhsa_dx10_clamp 1
		.amdhsa_ieee_mode 1
		.amdhsa_fp16_overflow 0
		.amdhsa_workgroup_processor_mode 1
		.amdhsa_memory_ordered 1
		.amdhsa_forward_progress 0
		.amdhsa_shared_vgpr_count 0
		.amdhsa_exception_fp_ieee_invalid_op 0
		.amdhsa_exception_fp_denorm_src 0
		.amdhsa_exception_fp_ieee_div_zero 0
		.amdhsa_exception_fp_ieee_overflow 0
		.amdhsa_exception_fp_ieee_underflow 0
		.amdhsa_exception_fp_ieee_inexact 0
		.amdhsa_exception_int_div_zero 0
	.end_amdhsa_kernel
	.section	.text._ZN2at6native32elementwise_kernel_manual_unrollILi128ELi4EZNS0_15gpu_kernel_implIZZZNS0_17clamp_kernel_cudaERNS_18TensorIteratorBaseERKN3c106ScalarES8_ENKUlvE_clEvENKUlvE6_clEvEUlNS5_4HalfEE_EEvS4_RKT_EUlibE_EEviT1_,"axG",@progbits,_ZN2at6native32elementwise_kernel_manual_unrollILi128ELi4EZNS0_15gpu_kernel_implIZZZNS0_17clamp_kernel_cudaERNS_18TensorIteratorBaseERKN3c106ScalarES8_ENKUlvE_clEvENKUlvE6_clEvEUlNS5_4HalfEE_EEvS4_RKT_EUlibE_EEviT1_,comdat
.Lfunc_end336:
	.size	_ZN2at6native32elementwise_kernel_manual_unrollILi128ELi4EZNS0_15gpu_kernel_implIZZZNS0_17clamp_kernel_cudaERNS_18TensorIteratorBaseERKN3c106ScalarES8_ENKUlvE_clEvENKUlvE6_clEvEUlNS5_4HalfEE_EEvS4_RKT_EUlibE_EEviT1_, .Lfunc_end336-_ZN2at6native32elementwise_kernel_manual_unrollILi128ELi4EZNS0_15gpu_kernel_implIZZZNS0_17clamp_kernel_cudaERNS_18TensorIteratorBaseERKN3c106ScalarES8_ENKUlvE_clEvENKUlvE6_clEvEUlNS5_4HalfEE_EEvS4_RKT_EUlibE_EEviT1_
                                        ; -- End function
	.section	.AMDGPU.csdata,"",@progbits
; Kernel info:
; codeLenInByte = 35752
; NumSgprs: 29
; NumVgprs: 13
; ScratchSize: 0
; MemoryBound: 0
; FloatMode: 240
; IeeeMode: 1
; LDSByteSize: 0 bytes/workgroup (compile time only)
; SGPRBlocks: 3
; VGPRBlocks: 1
; NumSGPRsForWavesPerEU: 29
; NumVGPRsForWavesPerEU: 13
; Occupancy: 16
; WaveLimiterHint : 0
; COMPUTE_PGM_RSRC2:SCRATCH_EN: 0
; COMPUTE_PGM_RSRC2:USER_SGPR: 15
; COMPUTE_PGM_RSRC2:TRAP_HANDLER: 0
; COMPUTE_PGM_RSRC2:TGID_X_EN: 1
; COMPUTE_PGM_RSRC2:TGID_Y_EN: 0
; COMPUTE_PGM_RSRC2:TGID_Z_EN: 0
; COMPUTE_PGM_RSRC2:TIDIG_COMP_CNT: 0
	.section	.text._ZN2at6native32elementwise_kernel_manual_unrollILi128ELi4EZNS0_15gpu_kernel_implIZZZNS0_17clamp_kernel_cudaERNS_18TensorIteratorBaseERKN3c106ScalarES8_ENKUlvE_clEvENKUlvE6_clEvEUlNS5_4HalfEE_EEvS4_RKT_EUlibE0_EEviT1_,"axG",@progbits,_ZN2at6native32elementwise_kernel_manual_unrollILi128ELi4EZNS0_15gpu_kernel_implIZZZNS0_17clamp_kernel_cudaERNS_18TensorIteratorBaseERKN3c106ScalarES8_ENKUlvE_clEvENKUlvE6_clEvEUlNS5_4HalfEE_EEvS4_RKT_EUlibE0_EEviT1_,comdat
	.globl	_ZN2at6native32elementwise_kernel_manual_unrollILi128ELi4EZNS0_15gpu_kernel_implIZZZNS0_17clamp_kernel_cudaERNS_18TensorIteratorBaseERKN3c106ScalarES8_ENKUlvE_clEvENKUlvE6_clEvEUlNS5_4HalfEE_EEvS4_RKT_EUlibE0_EEviT1_ ; -- Begin function _ZN2at6native32elementwise_kernel_manual_unrollILi128ELi4EZNS0_15gpu_kernel_implIZZZNS0_17clamp_kernel_cudaERNS_18TensorIteratorBaseERKN3c106ScalarES8_ENKUlvE_clEvENKUlvE6_clEvEUlNS5_4HalfEE_EEvS4_RKT_EUlibE0_EEviT1_
	.p2align	8
	.type	_ZN2at6native32elementwise_kernel_manual_unrollILi128ELi4EZNS0_15gpu_kernel_implIZZZNS0_17clamp_kernel_cudaERNS_18TensorIteratorBaseERKN3c106ScalarES8_ENKUlvE_clEvENKUlvE6_clEvEUlNS5_4HalfEE_EEvS4_RKT_EUlibE0_EEviT1_,@function
_ZN2at6native32elementwise_kernel_manual_unrollILi128ELi4EZNS0_15gpu_kernel_implIZZZNS0_17clamp_kernel_cudaERNS_18TensorIteratorBaseERKN3c106ScalarES8_ENKUlvE_clEvENKUlvE6_clEvEUlNS5_4HalfEE_EEvS4_RKT_EUlibE0_EEviT1_: ; @_ZN2at6native32elementwise_kernel_manual_unrollILi128ELi4EZNS0_15gpu_kernel_implIZZZNS0_17clamp_kernel_cudaERNS_18TensorIteratorBaseERKN3c106ScalarES8_ENKUlvE_clEvENKUlvE6_clEvEUlNS5_4HalfEE_EEvS4_RKT_EUlibE0_EEviT1_
; %bb.0:
	s_clause 0x1
	s_load_b32 s26, s[0:1], 0x8
	s_load_b32 s34, s[0:1], 0x0
	v_lshl_or_b32 v4, s15, 9, v0
	s_or_b32 s16, s0, 8
	s_mov_b32 s3, -1
	s_mov_b32 s28, 0
	s_mov_b32 s17, s1
	v_or_b32_e32 v8, 0x180, v4
	s_mov_b32 s8, 0
	s_mov_b32 s2, exec_lo
	s_waitcnt lgkmcnt(0)
	s_add_i32 s27, s26, -1
	s_delay_alu instid0(SALU_CYCLE_1)
	s_cmp_gt_u32 s27, 1
	s_cselect_b32 s29, -1, 0
	v_cmpx_le_i32_e64 s34, v8
	s_xor_b32 s30, exec_lo, s2
	s_cbranch_execz .LBB337_1076
; %bb.1:
	s_clause 0x4
	s_load_b64 s[18:19], s[16:17], 0x158
	s_load_b128 s[12:15], s[16:17], 0x4
	s_load_b64 s[20:21], s[16:17], 0x14
	s_load_b128 s[8:11], s[16:17], 0xc4
	s_load_b128 s[4:7], s[16:17], 0x148
	s_cmp_lg_u32 s26, 0
	s_mov_b32 s40, 0
	s_cselect_b32 s36, -1, 0
	s_add_u32 s22, s16, 0xc4
	s_addc_u32 s23, s17, 0
	s_min_u32 s35, s27, 15
	s_cmp_gt_u32 s26, 1
	s_mov_b32 s38, 0
	s_cselect_b32 s33, -1, 0
	s_mov_b32 s37, 0
	s_mov_b32 s39, exec_lo
	s_waitcnt lgkmcnt(0)
	v_lshrrev_b16 v3, 8, s19
	s_lshr_b32 s31, s18, 16
	v_cmpx_gt_i32_e64 s34, v4
	s_cbranch_execz .LBB337_263
; %bb.2:
	s_and_not1_b32 vcc_lo, exec_lo, s29
	s_cbranch_vccnz .LBB337_7
; %bb.3:
	v_dual_mov_b32 v0, 0 :: v_dual_mov_b32 v1, 0
	s_and_not1_b32 vcc_lo, exec_lo, s36
	s_cbranch_vccnz .LBB337_12
; %bb.4:
	v_mov_b32_e32 v0, 0
	s_add_i32 s41, s35, 1
	s_cmp_eq_u32 s27, 2
	s_cbranch_scc1 .LBB337_8
; %bb.5:
	v_dual_mov_b32 v1, 0 :: v_dual_mov_b32 v0, 0
	v_mov_b32_e32 v2, v4
	s_and_b32 s38, s41, 28
	s_mov_b32 s42, 0
	s_mov_b64 s[2:3], s[22:23]
	s_mov_b64 s[24:25], s[16:17]
.LBB337_6:                              ; =>This Inner Loop Header: Depth=1
	s_clause 0x1
	s_load_b256 s[44:51], s[24:25], 0x4
	s_load_b128 s[60:63], s[24:25], 0x24
	s_load_b256 s[52:59], s[2:3], 0x0
	s_add_u32 s24, s24, 48
	s_addc_u32 s25, s25, 0
	s_add_i32 s42, s42, 4
	s_add_u32 s2, s2, 32
	s_addc_u32 s3, s3, 0
	s_cmp_lg_u32 s38, s42
	s_waitcnt lgkmcnt(0)
	v_mul_hi_u32 v5, s45, v2
	s_delay_alu instid0(VALU_DEP_1) | instskip(NEXT) | instid1(VALU_DEP_1)
	v_add_nc_u32_e32 v5, v2, v5
	v_lshrrev_b32_e32 v5, s46, v5
	s_delay_alu instid0(VALU_DEP_1) | instskip(SKIP_1) | instid1(VALU_DEP_2)
	v_mul_hi_u32 v6, s48, v5
	v_mul_lo_u32 v8, v5, s44
	v_add_nc_u32_e32 v6, v5, v6
	s_delay_alu instid0(VALU_DEP_2) | instskip(NEXT) | instid1(VALU_DEP_2)
	v_sub_nc_u32_e32 v2, v2, v8
	v_lshrrev_b32_e32 v6, s49, v6
	s_delay_alu instid0(VALU_DEP_2) | instskip(SKIP_1) | instid1(VALU_DEP_3)
	v_mul_lo_u32 v8, v2, s52
	v_mul_lo_u32 v10, v2, s53
	v_mul_hi_u32 v7, s51, v6
	s_delay_alu instid0(VALU_DEP_1) | instskip(NEXT) | instid1(VALU_DEP_1)
	v_add_nc_u32_e32 v7, v6, v7
	v_lshrrev_b32_e32 v7, s60, v7
	s_delay_alu instid0(VALU_DEP_1) | instskip(SKIP_1) | instid1(VALU_DEP_2)
	v_mul_hi_u32 v9, s62, v7
	v_mul_lo_u32 v11, v7, s50
	v_add_nc_u32_e32 v2, v7, v9
	v_mul_lo_u32 v9, v6, s47
	s_delay_alu instid0(VALU_DEP_3) | instskip(NEXT) | instid1(VALU_DEP_3)
	v_sub_nc_u32_e32 v6, v6, v11
	v_lshrrev_b32_e32 v2, s63, v2
	s_delay_alu instid0(VALU_DEP_2) | instskip(SKIP_2) | instid1(VALU_DEP_4)
	v_mul_lo_u32 v11, v6, s56
	v_mul_lo_u32 v6, v6, s57
	v_sub_nc_u32_e32 v5, v5, v9
	v_mul_lo_u32 v12, v2, s61
	s_delay_alu instid0(VALU_DEP_2) | instskip(SKIP_1) | instid1(VALU_DEP_3)
	v_mul_lo_u32 v9, v5, s54
	v_mul_lo_u32 v5, v5, s55
	v_sub_nc_u32_e32 v7, v7, v12
	s_delay_alu instid0(VALU_DEP_3) | instskip(NEXT) | instid1(VALU_DEP_2)
	v_add3_u32 v0, v8, v0, v9
	v_mul_lo_u32 v12, v7, s58
	v_mul_lo_u32 v7, v7, s59
	v_add3_u32 v1, v10, v1, v5
	s_delay_alu instid0(VALU_DEP_3) | instskip(NEXT) | instid1(VALU_DEP_2)
	v_add3_u32 v0, v11, v0, v12
	v_add3_u32 v1, v6, v1, v7
	s_cbranch_scc1 .LBB337_6
	s_branch .LBB337_9
.LBB337_7:
	s_mov_b32 s37, -1
                                        ; implicit-def: $vgpr0
                                        ; implicit-def: $vgpr1
	s_branch .LBB337_12
.LBB337_8:
	v_dual_mov_b32 v2, v4 :: v_dual_mov_b32 v1, 0
.LBB337_9:
	s_and_b32 s41, s41, 3
	s_delay_alu instid0(SALU_CYCLE_1)
	s_cmp_eq_u32 s41, 0
	s_cbranch_scc1 .LBB337_12
; %bb.10:
	s_lshl_b32 s2, s38, 3
	s_mul_i32 s24, s38, 12
	s_add_u32 s2, s2, s16
	s_addc_u32 s3, s17, 0
	s_add_u32 s2, s2, 0xc4
	s_addc_u32 s3, s3, 0
	;; [unrolled: 2-line block ×3, first 2 shown]
	.p2align	6
.LBB337_11:                             ; =>This Inner Loop Header: Depth=1
	s_clause 0x1
	s_load_b64 s[42:43], s[24:25], 0x4
	s_load_b32 s38, s[24:25], 0xc
	s_load_b64 s[44:45], s[2:3], 0x0
	s_add_u32 s24, s24, 12
	s_addc_u32 s25, s25, 0
	s_add_u32 s2, s2, 8
	s_addc_u32 s3, s3, 0
	s_add_i32 s41, s41, -1
	s_delay_alu instid0(SALU_CYCLE_1) | instskip(SKIP_2) | instid1(VALU_DEP_1)
	s_cmp_lg_u32 s41, 0
	s_waitcnt lgkmcnt(0)
	v_mul_hi_u32 v5, s43, v2
	v_add_nc_u32_e32 v5, v2, v5
	s_delay_alu instid0(VALU_DEP_1) | instskip(NEXT) | instid1(VALU_DEP_1)
	v_lshrrev_b32_e32 v8, s38, v5
	v_mul_lo_u32 v5, v8, s42
	s_delay_alu instid0(VALU_DEP_1) | instskip(NEXT) | instid1(VALU_DEP_1)
	v_sub_nc_u32_e32 v2, v2, v5
	v_mad_u64_u32 v[5:6], null, v2, s44, v[0:1]
	v_mad_u64_u32 v[6:7], null, v2, s45, v[1:2]
	v_mov_b32_e32 v2, v8
	s_delay_alu instid0(VALU_DEP_2)
	v_dual_mov_b32 v0, v5 :: v_dual_mov_b32 v1, v6
	s_cbranch_scc1 .LBB337_11
.LBB337_12:
	s_and_not1_b32 vcc_lo, exec_lo, s37
	s_cbranch_vccnz .LBB337_15
; %bb.13:
	v_mul_hi_u32 v0, s13, v4
	s_and_not1_b32 vcc_lo, exec_lo, s33
	s_delay_alu instid0(VALU_DEP_1) | instskip(NEXT) | instid1(VALU_DEP_1)
	v_add_nc_u32_e32 v0, v4, v0
	v_lshrrev_b32_e32 v2, s14, v0
	s_delay_alu instid0(VALU_DEP_1) | instskip(NEXT) | instid1(VALU_DEP_1)
	v_mul_lo_u32 v0, v2, s12
	v_sub_nc_u32_e32 v1, v4, v0
	s_delay_alu instid0(VALU_DEP_1)
	v_mul_lo_u32 v0, v1, s8
	v_mul_lo_u32 v1, v1, s9
	s_cbranch_vccnz .LBB337_15
; %bb.14:
	v_mul_hi_u32 v5, s20, v2
	s_delay_alu instid0(VALU_DEP_1) | instskip(NEXT) | instid1(VALU_DEP_1)
	v_add_nc_u32_e32 v5, v2, v5
	v_lshrrev_b32_e32 v5, s21, v5
	s_delay_alu instid0(VALU_DEP_1) | instskip(NEXT) | instid1(VALU_DEP_1)
	v_mul_lo_u32 v5, v5, s15
	v_sub_nc_u32_e32 v2, v2, v5
	s_delay_alu instid0(VALU_DEP_1) | instskip(SKIP_1) | instid1(VALU_DEP_1)
	v_mad_u64_u32 v[5:6], null, v2, s10, v[0:1]
	v_mad_u64_u32 v[6:7], null, v2, s11, v[1:2]
	v_dual_mov_b32 v0, v5 :: v_dual_mov_b32 v1, v6
.LBB337_15:
	v_cmp_gt_i16_e32 vcc_lo, 11, v3
	s_delay_alu instid0(VALU_DEP_2) | instskip(NEXT) | instid1(VALU_DEP_1)
	v_add_co_u32 v1, s2, s6, v1
	v_add_co_ci_u32_e64 v2, null, s7, 0, s2
	s_mov_b32 s3, 0
	s_cbranch_vccnz .LBB337_22
; %bb.16:
	v_cmp_lt_i16_e32 vcc_lo, 25, v3
	s_cbranch_vccz .LBB337_141
; %bb.17:
	v_cmp_lt_i16_e32 vcc_lo, 28, v3
	s_cbranch_vccz .LBB337_142
	;; [unrolled: 3-line block ×4, first 2 shown]
; %bb.20:
	v_cmp_eq_u16_e32 vcc_lo, 46, v3
	s_mov_b32 s24, 0
	s_cbranch_vccz .LBB337_145
; %bb.21:
	global_load_b32 v5, v[1:2], off
	s_mov_b32 s2, -1
	s_waitcnt vmcnt(0)
	v_lshlrev_b32_e32 v5, 16, v5
	s_delay_alu instid0(VALU_DEP_1)
	v_cvt_f16_f32_e32 v6, v5
	s_branch .LBB337_147
.LBB337_22:
	s_mov_b32 s2, 0
                                        ; implicit-def: $vgpr6
	s_cbranch_execnz .LBB337_213
.LBB337_23:
	s_and_not1_b32 vcc_lo, exec_lo, s2
	s_cbranch_vccnz .LBB337_260
.LBB337_24:
	s_waitcnt vmcnt(0)
	s_delay_alu instid0(VALU_DEP_1)
	v_cmp_lt_f16_e32 vcc_lo, s18, v6
	v_and_b32_e64 v5, 0xff, s19
	v_cmp_u_f16_e64 s2, v6, v6
	s_mov_b32 s24, 0
	s_mov_b32 s25, -1
	v_cndmask_b32_e32 v1, s18, v6, vcc_lo
	s_delay_alu instid0(VALU_DEP_1) | instskip(SKIP_2) | instid1(VALU_DEP_2)
	v_cmp_gt_f16_e32 vcc_lo, s31, v1
	v_cndmask_b32_e32 v1, s31, v1, vcc_lo
	v_cmp_gt_i16_e32 vcc_lo, 11, v5
	v_cndmask_b32_e64 v2, v1, v6, s2
	v_add_co_u32 v0, s2, s4, v0
	s_delay_alu instid0(VALU_DEP_1)
	v_add_co_ci_u32_e64 v1, null, s5, 0, s2
	s_mov_b32 s2, 0
	s_cbranch_vccnz .LBB337_101
; %bb.25:
	v_cmp_lt_i16_e32 vcc_lo, 25, v5
	s_cbranch_vccz .LBB337_58
; %bb.26:
	v_cmp_lt_i16_e32 vcc_lo, 28, v5
	s_cbranch_vccz .LBB337_41
	;; [unrolled: 3-line block ×4, first 2 shown]
; %bb.29:
	v_cmp_eq_u16_e32 vcc_lo, 46, v5
	s_mov_b32 s25, 0
	s_mov_b32 s24, -1
	s_cbranch_vccz .LBB337_31
; %bb.30:
	v_cvt_f32_f16_e32 v6, v2
	v_cmp_o_f16_e32 vcc_lo, v2, v2
	s_mov_b32 s2, -1
	s_mov_b32 s24, 0
	s_delay_alu instid0(VALU_DEP_2) | instskip(NEXT) | instid1(VALU_DEP_1)
	v_bfe_u32 v7, v6, 16, 1
	v_add3_u32 v6, v6, v7, 0x7fff
	s_delay_alu instid0(VALU_DEP_1) | instskip(NEXT) | instid1(VALU_DEP_1)
	v_lshrrev_b32_e32 v6, 16, v6
	v_cndmask_b32_e32 v6, 0x7fc0, v6, vcc_lo
	global_store_b32 v[0:1], v6, off
.LBB337_31:
	s_and_b32 vcc_lo, exec_lo, s25
	s_cbranch_vccz .LBB337_36
; %bb.32:
	v_cmp_eq_u16_e32 vcc_lo, 44, v5
	s_mov_b32 s24, -1
	s_cbranch_vccz .LBB337_36
; %bb.33:
	v_cvt_f32_f16_e32 v6, v2
	v_mov_b32_e32 v7, 0xff
	s_mov_b32 s24, exec_lo
	s_delay_alu instid0(VALU_DEP_2) | instskip(NEXT) | instid1(VALU_DEP_1)
	v_bfe_u32 v8, v6, 23, 8
	v_cmpx_ne_u32_e32 0xff, v8
; %bb.34:
	v_and_b32_e32 v7, 0x400000, v6
	v_and_or_b32 v8, 0x3fffff, v6, v8
	v_lshrrev_b32_e32 v6, 23, v6
	s_delay_alu instid0(VALU_DEP_3) | instskip(NEXT) | instid1(VALU_DEP_3)
	v_cmp_ne_u32_e32 vcc_lo, 0, v7
	v_cmp_ne_u32_e64 s2, 0, v8
	s_delay_alu instid0(VALU_DEP_1) | instskip(NEXT) | instid1(SALU_CYCLE_1)
	s_and_b32 s2, vcc_lo, s2
	v_cndmask_b32_e64 v7, 0, 1, s2
	s_delay_alu instid0(VALU_DEP_1)
	v_add_nc_u32_e32 v7, v6, v7
; %bb.35:
	s_or_b32 exec_lo, exec_lo, s24
	s_mov_b32 s2, -1
	s_mov_b32 s24, 0
	global_store_b8 v[0:1], v7, off
.LBB337_36:
	s_mov_b32 s25, 0
.LBB337_37:
	s_delay_alu instid0(SALU_CYCLE_1)
	s_and_b32 vcc_lo, exec_lo, s25
	s_cbranch_vccz .LBB337_40
; %bb.38:
	v_cmp_eq_u16_e32 vcc_lo, 29, v5
	s_mov_b32 s24, -1
	s_cbranch_vccz .LBB337_40
; %bb.39:
	v_cvt_f32_f16_e32 v6, v2
	v_mov_b32_e32 v7, 0
	s_mov_b32 s24, 0
	s_mov_b32 s2, -1
	s_delay_alu instid0(VALU_DEP_2)
	v_cvt_u32_f32_e32 v6, v6
	global_store_b64 v[0:1], v[6:7], off
.LBB337_40:
	s_mov_b32 s25, 0
.LBB337_41:
	s_delay_alu instid0(SALU_CYCLE_1)
	s_and_b32 vcc_lo, exec_lo, s25
	s_cbranch_vccz .LBB337_57
; %bb.42:
	v_cmp_gt_i16_e32 vcc_lo, 27, v5
	s_mov_b32 s2, -1
	s_cbranch_vccnz .LBB337_48
; %bb.43:
	v_cmp_lt_i16_e32 vcc_lo, 27, v5
	s_cbranch_vccz .LBB337_45
; %bb.44:
	v_cvt_f32_f16_e32 v6, v2
	s_mov_b32 s2, 0
	s_delay_alu instid0(VALU_DEP_1)
	v_cvt_u32_f32_e32 v6, v6
	global_store_b32 v[0:1], v6, off
.LBB337_45:
	s_and_not1_b32 vcc_lo, exec_lo, s2
	s_cbranch_vccnz .LBB337_47
; %bb.46:
	v_cvt_u16_f16_e32 v6, v2
	global_store_b16 v[0:1], v6, off
.LBB337_47:
	s_mov_b32 s2, 0
.LBB337_48:
	s_delay_alu instid0(SALU_CYCLE_1)
	s_and_not1_b32 vcc_lo, exec_lo, s2
	s_cbranch_vccnz .LBB337_56
; %bb.49:
	v_cvt_f32_f16_e32 v6, v2
	v_mov_b32_e32 v8, 0x80
	s_mov_b32 s2, exec_lo
	s_delay_alu instid0(VALU_DEP_2) | instskip(NEXT) | instid1(VALU_DEP_1)
	v_and_b32_e32 v7, 0x7fffffff, v6
	v_cmpx_gt_u32_e32 0x43800000, v7
	s_cbranch_execz .LBB337_55
; %bb.50:
	v_cmp_lt_u32_e32 vcc_lo, 0x3bffffff, v7
	s_mov_b32 s25, 0
                                        ; implicit-def: $vgpr7
	s_and_saveexec_b32 s37, vcc_lo
	s_delay_alu instid0(SALU_CYCLE_1)
	s_xor_b32 s37, exec_lo, s37
	s_cbranch_execz .LBB337_150
; %bb.51:
	v_bfe_u32 v7, v6, 20, 1
	s_mov_b32 s25, exec_lo
	s_delay_alu instid0(VALU_DEP_1) | instskip(NEXT) | instid1(VALU_DEP_1)
	v_add3_u32 v7, v6, v7, 0x487ffff
	v_lshrrev_b32_e32 v7, 20, v7
	s_or_saveexec_b32 s37, s37
                                        ; implicit-def: $sgpr38
	s_delay_alu instid0(SALU_CYCLE_1)
	s_xor_b32 exec_lo, exec_lo, s37
	s_cbranch_execnz .LBB337_151
.LBB337_52:
	s_or_b32 exec_lo, exec_lo, s37
	v_mov_b32_e32 v8, s38
	s_and_saveexec_b32 s37, s25
.LBB337_53:
	v_lshrrev_b32_e32 v6, 24, v6
	s_delay_alu instid0(VALU_DEP_1)
	v_and_or_b32 v8, 0x80, v6, v7
.LBB337_54:
	s_or_b32 exec_lo, exec_lo, s37
.LBB337_55:
	s_delay_alu instid0(SALU_CYCLE_1)
	s_or_b32 exec_lo, exec_lo, s2
	global_store_b8 v[0:1], v8, off
.LBB337_56:
	s_mov_b32 s2, -1
.LBB337_57:
	s_mov_b32 s25, 0
.LBB337_58:
	s_delay_alu instid0(SALU_CYCLE_1)
	s_and_b32 vcc_lo, exec_lo, s25
	s_cbranch_vccz .LBB337_99
; %bb.59:
	v_cmp_lt_i16_e32 vcc_lo, 22, v5
	s_mov_b32 s25, -1
	s_cbranch_vccz .LBB337_91
; %bb.60:
	v_cmp_gt_i16_e32 vcc_lo, 24, v5
	s_mov_b32 s2, -1
	s_cbranch_vccnz .LBB337_80
; %bb.61:
	v_cmp_lt_i16_e32 vcc_lo, 24, v5
	s_cbranch_vccz .LBB337_69
; %bb.62:
	v_cvt_f32_f16_e32 v6, v2
	v_mov_b32_e32 v8, 0x80
	s_mov_b32 s2, exec_lo
	s_delay_alu instid0(VALU_DEP_2) | instskip(NEXT) | instid1(VALU_DEP_1)
	v_and_b32_e32 v7, 0x7fffffff, v6
	v_cmpx_gt_u32_e32 0x47800000, v7
	s_cbranch_execz .LBB337_68
; %bb.63:
	v_cmp_lt_u32_e32 vcc_lo, 0x37ffffff, v7
	s_mov_b32 s25, 0
                                        ; implicit-def: $vgpr7
	s_and_saveexec_b32 s37, vcc_lo
	s_delay_alu instid0(SALU_CYCLE_1)
	s_xor_b32 s37, exec_lo, s37
	s_cbranch_execz .LBB337_341
; %bb.64:
	v_bfe_u32 v7, v6, 21, 1
	s_mov_b32 s25, exec_lo
	s_delay_alu instid0(VALU_DEP_1) | instskip(NEXT) | instid1(VALU_DEP_1)
	v_add3_u32 v7, v6, v7, 0x88fffff
	v_lshrrev_b32_e32 v7, 21, v7
	s_or_saveexec_b32 s37, s37
                                        ; implicit-def: $sgpr38
	s_delay_alu instid0(SALU_CYCLE_1)
	s_xor_b32 exec_lo, exec_lo, s37
	s_cbranch_execnz .LBB337_342
.LBB337_65:
	s_or_b32 exec_lo, exec_lo, s37
	v_mov_b32_e32 v8, s38
	s_and_saveexec_b32 s37, s25
.LBB337_66:
	v_lshrrev_b32_e32 v6, 24, v6
	s_delay_alu instid0(VALU_DEP_1)
	v_and_or_b32 v8, 0x80, v6, v7
.LBB337_67:
	s_or_b32 exec_lo, exec_lo, s37
.LBB337_68:
	s_delay_alu instid0(SALU_CYCLE_1)
	s_or_b32 exec_lo, exec_lo, s2
	s_mov_b32 s2, 0
	global_store_b8 v[0:1], v8, off
.LBB337_69:
	s_and_b32 vcc_lo, exec_lo, s2
	s_cbranch_vccz .LBB337_79
; %bb.70:
	v_cvt_f32_f16_e32 v6, v2
	s_mov_b32 s2, exec_lo
                                        ; implicit-def: $vgpr7
	s_delay_alu instid0(VALU_DEP_1) | instskip(NEXT) | instid1(VALU_DEP_1)
	v_and_b32_e32 v8, 0x7fffffff, v6
	v_cmpx_gt_u32_e32 0x43f00000, v8
	s_xor_b32 s2, exec_lo, s2
	s_cbranch_execz .LBB337_76
; %bb.71:
	s_mov_b32 s25, exec_lo
                                        ; implicit-def: $vgpr7
	v_cmpx_lt_u32_e32 0x3c7fffff, v8
	s_xor_b32 s25, exec_lo, s25
; %bb.72:
	v_bfe_u32 v7, v6, 20, 1
	s_delay_alu instid0(VALU_DEP_1) | instskip(NEXT) | instid1(VALU_DEP_1)
	v_add3_u32 v7, v6, v7, 0x407ffff
	v_and_b32_e32 v8, 0xff00000, v7
	v_lshrrev_b32_e32 v7, 20, v7
	s_delay_alu instid0(VALU_DEP_2) | instskip(NEXT) | instid1(VALU_DEP_2)
	v_cmp_ne_u32_e32 vcc_lo, 0x7f00000, v8
	v_cndmask_b32_e32 v7, 0x7e, v7, vcc_lo
; %bb.73:
	s_and_not1_saveexec_b32 s25, s25
; %bb.74:
	v_add_f32_e64 v7, 0x46800000, |v6|
; %bb.75:
	s_or_b32 exec_lo, exec_lo, s25
                                        ; implicit-def: $vgpr8
.LBB337_76:
	s_and_not1_saveexec_b32 s2, s2
; %bb.77:
	v_mov_b32_e32 v7, 0x7f
	v_cmp_lt_u32_e32 vcc_lo, 0x7f800000, v8
	s_delay_alu instid0(VALU_DEP_2)
	v_cndmask_b32_e32 v7, 0x7e, v7, vcc_lo
; %bb.78:
	s_or_b32 exec_lo, exec_lo, s2
	v_lshrrev_b32_e32 v6, 24, v6
	s_delay_alu instid0(VALU_DEP_1)
	v_and_or_b32 v6, 0x80, v6, v7
	global_store_b8 v[0:1], v6, off
.LBB337_79:
	s_mov_b32 s2, 0
.LBB337_80:
	s_delay_alu instid0(SALU_CYCLE_1)
	s_and_not1_b32 vcc_lo, exec_lo, s2
	s_cbranch_vccnz .LBB337_90
; %bb.81:
	v_cvt_f32_f16_e32 v6, v2
	s_mov_b32 s2, exec_lo
                                        ; implicit-def: $vgpr7
	s_delay_alu instid0(VALU_DEP_1) | instskip(NEXT) | instid1(VALU_DEP_1)
	v_and_b32_e32 v8, 0x7fffffff, v6
	v_cmpx_gt_u32_e32 0x47800000, v8
	s_xor_b32 s2, exec_lo, s2
	s_cbranch_execz .LBB337_87
; %bb.82:
	s_mov_b32 s25, exec_lo
                                        ; implicit-def: $vgpr7
	v_cmpx_lt_u32_e32 0x387fffff, v8
	s_xor_b32 s25, exec_lo, s25
; %bb.83:
	v_bfe_u32 v7, v6, 21, 1
	s_delay_alu instid0(VALU_DEP_1) | instskip(NEXT) | instid1(VALU_DEP_1)
	v_add3_u32 v7, v6, v7, 0x80fffff
	v_lshrrev_b32_e32 v7, 21, v7
; %bb.84:
	s_and_not1_saveexec_b32 s25, s25
; %bb.85:
	v_add_f32_e64 v7, 0x43000000, |v6|
; %bb.86:
	s_or_b32 exec_lo, exec_lo, s25
                                        ; implicit-def: $vgpr8
.LBB337_87:
	s_and_not1_saveexec_b32 s2, s2
; %bb.88:
	v_mov_b32_e32 v7, 0x7f
	v_cmp_lt_u32_e32 vcc_lo, 0x7f800000, v8
	s_delay_alu instid0(VALU_DEP_2)
	v_cndmask_b32_e32 v7, 0x7c, v7, vcc_lo
; %bb.89:
	s_or_b32 exec_lo, exec_lo, s2
	v_lshrrev_b32_e32 v6, 24, v6
	s_delay_alu instid0(VALU_DEP_1)
	v_and_or_b32 v6, 0x80, v6, v7
	global_store_b8 v[0:1], v6, off
.LBB337_90:
	s_mov_b32 s25, 0
	s_mov_b32 s2, -1
.LBB337_91:
	s_and_not1_b32 vcc_lo, exec_lo, s25
	s_cbranch_vccnz .LBB337_99
; %bb.92:
	v_cmp_lt_i16_e32 vcc_lo, 14, v5
	s_mov_b32 s25, -1
	s_cbranch_vccz .LBB337_96
; %bb.93:
	v_cmp_eq_u16_e32 vcc_lo, 15, v5
	s_mov_b32 s24, -1
	s_cbranch_vccz .LBB337_95
; %bb.94:
	v_cvt_f32_f16_e32 v6, v2
	v_cmp_o_f16_e32 vcc_lo, v2, v2
	s_mov_b32 s2, -1
	s_mov_b32 s24, 0
	s_delay_alu instid0(VALU_DEP_2) | instskip(NEXT) | instid1(VALU_DEP_1)
	v_bfe_u32 v7, v6, 16, 1
	v_add3_u32 v6, v6, v7, 0x7fff
	s_delay_alu instid0(VALU_DEP_1) | instskip(NEXT) | instid1(VALU_DEP_1)
	v_lshrrev_b32_e32 v6, 16, v6
	v_cndmask_b32_e32 v6, 0x7fc0, v6, vcc_lo
	global_store_b16 v[0:1], v6, off
.LBB337_95:
	s_mov_b32 s25, 0
.LBB337_96:
	s_delay_alu instid0(SALU_CYCLE_1)
	s_and_b32 vcc_lo, exec_lo, s25
	s_cbranch_vccz .LBB337_99
; %bb.97:
	v_cmp_eq_u16_e32 vcc_lo, 11, v5
	s_mov_b32 s24, -1
	s_cbranch_vccz .LBB337_99
; %bb.98:
	v_and_b32_e32 v6, 0x7fff, v2
	s_mov_b32 s24, 0
	s_mov_b32 s2, -1
	s_delay_alu instid0(VALU_DEP_1)
	v_cmp_ne_u16_e32 vcc_lo, 0, v6
	v_cndmask_b32_e64 v6, 0, 1, vcc_lo
	global_store_b8 v[0:1], v6, off
.LBB337_99:
.LBB337_100:
	s_and_not1_b32 vcc_lo, exec_lo, s2
	s_cbranch_vccz .LBB337_140
	s_branch .LBB337_261
.LBB337_101:
	s_and_b32 vcc_lo, exec_lo, s25
	s_cbranch_vccz .LBB337_100
; %bb.102:
	v_cmp_gt_i16_e32 vcc_lo, 5, v5
	s_mov_b32 s2, -1
	s_cbranch_vccnz .LBB337_123
; %bb.103:
	v_cmp_gt_i16_e32 vcc_lo, 8, v5
	s_cbranch_vccnz .LBB337_113
; %bb.104:
	v_cmp_gt_i16_e32 vcc_lo, 9, v5
	s_cbranch_vccnz .LBB337_110
; %bb.105:
	v_cmp_lt_i16_e32 vcc_lo, 9, v5
	s_cbranch_vccz .LBB337_107
; %bb.106:
	v_cvt_f32_f16_e32 v6, v2
	v_mov_b32_e32 v8, 0
	s_mov_b32 s2, 0
	s_delay_alu instid0(VALU_DEP_2) | instskip(NEXT) | instid1(VALU_DEP_2)
	v_cvt_f64_f32_e32 v[6:7], v6
	v_mov_b32_e32 v9, v8
	global_store_b128 v[0:1], v[6:9], off
.LBB337_107:
	s_and_not1_b32 vcc_lo, exec_lo, s2
	s_cbranch_vccnz .LBB337_109
; %bb.108:
	v_cvt_f32_f16_e32 v6, v2
	v_mov_b32_e32 v7, 0
	global_store_b64 v[0:1], v[6:7], off
.LBB337_109:
	s_mov_b32 s2, 0
.LBB337_110:
	s_delay_alu instid0(SALU_CYCLE_1)
	s_and_not1_b32 vcc_lo, exec_lo, s2
	s_cbranch_vccnz .LBB337_112
; %bb.111:
	v_and_b32_e32 v6, 0xffff, v2
	global_store_b32 v[0:1], v6, off
.LBB337_112:
	s_mov_b32 s2, 0
.LBB337_113:
	s_delay_alu instid0(SALU_CYCLE_1)
	s_and_not1_b32 vcc_lo, exec_lo, s2
	s_cbranch_vccnz .LBB337_122
; %bb.114:
	v_cmp_gt_i16_e32 vcc_lo, 6, v5
	s_mov_b32 s2, -1
	s_cbranch_vccnz .LBB337_120
; %bb.115:
	v_cmp_lt_i16_e32 vcc_lo, 6, v5
	s_cbranch_vccz .LBB337_117
; %bb.116:
	v_cvt_f32_f16_e32 v6, v2
	s_mov_b32 s2, 0
	s_delay_alu instid0(VALU_DEP_1)
	v_cvt_f64_f32_e32 v[6:7], v6
	global_store_b64 v[0:1], v[6:7], off
.LBB337_117:
	s_and_not1_b32 vcc_lo, exec_lo, s2
	s_cbranch_vccnz .LBB337_119
; %bb.118:
	v_cvt_f32_f16_e32 v6, v2
	global_store_b32 v[0:1], v6, off
.LBB337_119:
	s_mov_b32 s2, 0
.LBB337_120:
	s_delay_alu instid0(SALU_CYCLE_1)
	s_and_not1_b32 vcc_lo, exec_lo, s2
	s_cbranch_vccnz .LBB337_122
; %bb.121:
	global_store_b16 v[0:1], v2, off
.LBB337_122:
	s_mov_b32 s2, 0
.LBB337_123:
	s_delay_alu instid0(SALU_CYCLE_1)
	s_and_not1_b32 vcc_lo, exec_lo, s2
	s_cbranch_vccnz .LBB337_139
; %bb.124:
	v_cmp_gt_i16_e32 vcc_lo, 2, v5
	s_mov_b32 s2, -1
	s_cbranch_vccnz .LBB337_134
; %bb.125:
	v_cmp_gt_i16_e32 vcc_lo, 3, v5
	s_cbranch_vccnz .LBB337_131
; %bb.126:
	v_cmp_lt_i16_e32 vcc_lo, 3, v5
	s_cbranch_vccz .LBB337_128
; %bb.127:
	v_cvt_f32_f16_e32 v6, v2
	s_mov_b32 s2, 0
	s_delay_alu instid0(VALU_DEP_1) | instskip(NEXT) | instid1(VALU_DEP_1)
	v_cvt_i32_f32_e32 v6, v6
	v_ashrrev_i32_e32 v7, 31, v6
	global_store_b64 v[0:1], v[6:7], off
.LBB337_128:
	s_and_not1_b32 vcc_lo, exec_lo, s2
	s_cbranch_vccnz .LBB337_130
; %bb.129:
	v_cvt_f32_f16_e32 v6, v2
	s_delay_alu instid0(VALU_DEP_1)
	v_cvt_i32_f32_e32 v6, v6
	global_store_b32 v[0:1], v6, off
.LBB337_130:
	s_mov_b32 s2, 0
.LBB337_131:
	s_delay_alu instid0(SALU_CYCLE_1)
	s_and_not1_b32 vcc_lo, exec_lo, s2
	s_cbranch_vccnz .LBB337_133
; %bb.132:
	v_cvt_i16_f16_e32 v6, v2
	global_store_b16 v[0:1], v6, off
.LBB337_133:
	s_mov_b32 s2, 0
.LBB337_134:
	s_delay_alu instid0(SALU_CYCLE_1)
	s_and_not1_b32 vcc_lo, exec_lo, s2
	s_cbranch_vccnz .LBB337_139
; %bb.135:
	v_cmp_lt_i16_e32 vcc_lo, 0, v5
	s_mov_b32 s2, -1
	s_cbranch_vccz .LBB337_137
; %bb.136:
	v_cvt_i16_f16_e32 v5, v2
	s_mov_b32 s2, 0
	global_store_b8 v[0:1], v5, off
.LBB337_137:
	s_and_not1_b32 vcc_lo, exec_lo, s2
	s_cbranch_vccnz .LBB337_139
; %bb.138:
	v_cvt_f32_f16_e32 v2, v2
	s_delay_alu instid0(VALU_DEP_1)
	v_cvt_i32_f32_e32 v2, v2
	global_store_b8 v[0:1], v2, off
.LBB337_139:
.LBB337_140:
	v_add_nc_u32_e32 v4, 0x80, v4
	s_mov_b32 s2, -1
	s_branch .LBB337_262
.LBB337_141:
	s_mov_b32 s2, 0
                                        ; implicit-def: $vgpr6
	s_cbranch_execnz .LBB337_178
	s_branch .LBB337_212
.LBB337_142:
	s_mov_b32 s24, -1
	s_mov_b32 s2, 0
                                        ; implicit-def: $vgpr6
	s_branch .LBB337_159
.LBB337_143:
	s_mov_b32 s24, -1
	s_mov_b32 s2, 0
                                        ; implicit-def: $vgpr6
	s_branch .LBB337_154
.LBB337_144:
	s_mov_b32 s24, -1
	s_branch .LBB337_146
.LBB337_145:
	s_mov_b32 s3, -1
.LBB337_146:
	s_mov_b32 s2, 0
                                        ; implicit-def: $vgpr6
.LBB337_147:
	s_and_b32 vcc_lo, exec_lo, s24
	s_cbranch_vccz .LBB337_153
; %bb.148:
	v_cmp_eq_u16_e32 vcc_lo, 44, v3
	s_cbranch_vccz .LBB337_152
; %bb.149:
	global_load_u8 v5, v[1:2], off
	s_mov_b32 s3, 0
	s_mov_b32 s2, -1
	s_waitcnt vmcnt(0)
	v_lshlrev_b32_e32 v6, 23, v5
	v_cmp_ne_u32_e32 vcc_lo, 0xff, v5
	s_delay_alu instid0(VALU_DEP_2) | instskip(NEXT) | instid1(VALU_DEP_1)
	v_cvt_f16_f32_e32 v6, v6
	v_cndmask_b32_e32 v6, 0x7e00, v6, vcc_lo
	v_cmp_ne_u32_e32 vcc_lo, 0, v5
	s_delay_alu instid0(VALU_DEP_2)
	v_cndmask_b32_e32 v6, 0, v6, vcc_lo
	s_branch .LBB337_153
.LBB337_150:
	s_or_saveexec_b32 s37, s37
                                        ; implicit-def: $sgpr38
	s_delay_alu instid0(SALU_CYCLE_1)
	s_xor_b32 exec_lo, exec_lo, s37
	s_cbranch_execz .LBB337_52
.LBB337_151:
	v_add_f32_e64 v7, 0x46000000, |v6|
	s_and_not1_b32 s25, s25, exec_lo
	s_mov_b32 s38, 0
	s_delay_alu instid0(VALU_DEP_1) | instskip(NEXT) | instid1(VALU_DEP_1)
	v_and_b32_e32 v7, 0xff, v7
	v_cmp_ne_u32_e32 vcc_lo, 0, v7
	s_and_b32 s41, vcc_lo, exec_lo
	s_delay_alu instid0(SALU_CYCLE_1)
	s_or_b32 s25, s25, s41
	s_or_b32 exec_lo, exec_lo, s37
	v_mov_b32_e32 v8, s38
	s_and_saveexec_b32 s37, s25
	s_cbranch_execnz .LBB337_53
	s_branch .LBB337_54
.LBB337_152:
	s_mov_b32 s3, -1
                                        ; implicit-def: $vgpr6
.LBB337_153:
	s_mov_b32 s24, 0
.LBB337_154:
	s_delay_alu instid0(SALU_CYCLE_1)
	s_and_b32 vcc_lo, exec_lo, s24
	s_cbranch_vccz .LBB337_158
; %bb.155:
	v_cmp_eq_u16_e32 vcc_lo, 29, v3
	s_cbranch_vccz .LBB337_157
; %bb.156:
	global_load_b64 v[5:6], v[1:2], off
	s_mov_b32 s2, -1
	s_mov_b32 s3, 0
	s_mov_b32 s24, 0
	s_waitcnt vmcnt(0)
	v_clz_i32_u32_e32 v7, v6
	s_delay_alu instid0(VALU_DEP_1) | instskip(NEXT) | instid1(VALU_DEP_1)
	v_min_u32_e32 v7, 32, v7
	v_lshlrev_b64 v[5:6], v7, v[5:6]
	s_delay_alu instid0(VALU_DEP_1) | instskip(NEXT) | instid1(VALU_DEP_1)
	v_min_u32_e32 v5, 1, v5
	v_or_b32_e32 v5, v6, v5
	v_sub_nc_u32_e32 v6, 32, v7
	s_delay_alu instid0(VALU_DEP_2) | instskip(NEXT) | instid1(VALU_DEP_1)
	v_cvt_f32_u32_e32 v5, v5
	v_ldexp_f32 v5, v5, v6
	s_delay_alu instid0(VALU_DEP_1)
	v_cvt_f16_f32_e32 v6, v5
	s_branch .LBB337_159
.LBB337_157:
	s_mov_b32 s3, -1
                                        ; implicit-def: $vgpr6
.LBB337_158:
	s_mov_b32 s24, 0
.LBB337_159:
	s_delay_alu instid0(SALU_CYCLE_1)
	s_and_b32 vcc_lo, exec_lo, s24
	s_cbranch_vccz .LBB337_177
; %bb.160:
	v_cmp_gt_i16_e32 vcc_lo, 27, v3
	s_cbranch_vccnz .LBB337_163
; %bb.161:
	v_cmp_lt_i16_e32 vcc_lo, 27, v3
	s_cbranch_vccz .LBB337_164
; %bb.162:
	global_load_b32 v5, v[1:2], off
	s_mov_b32 s2, 0
	s_waitcnt vmcnt(0)
	v_cvt_f32_u32_e32 v5, v5
	s_delay_alu instid0(VALU_DEP_1)
	v_cvt_f16_f32_e32 v6, v5
	s_branch .LBB337_165
.LBB337_163:
	s_mov_b32 s2, -1
                                        ; implicit-def: $vgpr6
	s_branch .LBB337_168
.LBB337_164:
	s_mov_b32 s2, -1
                                        ; implicit-def: $vgpr6
.LBB337_165:
	s_delay_alu instid0(SALU_CYCLE_1)
	s_and_not1_b32 vcc_lo, exec_lo, s2
	s_cbranch_vccnz .LBB337_167
; %bb.166:
	global_load_u16 v5, v[1:2], off
	s_waitcnt vmcnt(0)
	v_cvt_f16_u16_e32 v6, v5
.LBB337_167:
	s_mov_b32 s2, 0
.LBB337_168:
	s_delay_alu instid0(SALU_CYCLE_1)
	s_and_not1_b32 vcc_lo, exec_lo, s2
	s_cbranch_vccnz .LBB337_176
; %bb.169:
	global_load_u8 v5, v[1:2], off
	s_mov_b32 s2, 0
	s_mov_b32 s25, exec_lo
                                        ; implicit-def: $sgpr24
	s_waitcnt vmcnt(0)
	v_cmpx_lt_i16_e32 0x7f, v5
	s_xor_b32 s25, exec_lo, s25
	s_cbranch_execz .LBB337_189
; %bb.170:
	s_mov_b32 s2, -1
	s_mov_b32 s37, exec_lo
                                        ; implicit-def: $sgpr24
	v_cmpx_eq_u16_e32 0x80, v5
; %bb.171:
	s_movk_i32 s24, 0x7e00
	s_xor_b32 s2, exec_lo, -1
; %bb.172:
	s_or_b32 exec_lo, exec_lo, s37
	s_delay_alu instid0(SALU_CYCLE_1)
	s_and_b32 s2, s2, exec_lo
	s_or_saveexec_b32 s25, s25
	v_mov_b32_e32 v6, s24
	s_xor_b32 exec_lo, exec_lo, s25
	s_cbranch_execnz .LBB337_190
.LBB337_173:
	s_or_b32 exec_lo, exec_lo, s25
	s_and_saveexec_b32 s24, s2
	s_cbranch_execz .LBB337_175
.LBB337_174:
	v_and_b32_e32 v6, 0xffff, v5
	v_lshlrev_b32_e32 v5, 24, v5
	s_delay_alu instid0(VALU_DEP_2) | instskip(NEXT) | instid1(VALU_DEP_2)
	v_and_b32_e32 v7, 7, v6
	v_and_b32_e32 v5, 0x80000000, v5
	s_delay_alu instid0(VALU_DEP_2) | instskip(NEXT) | instid1(VALU_DEP_1)
	v_clz_i32_u32_e32 v8, v7
	v_min_u32_e32 v8, 32, v8
	s_delay_alu instid0(VALU_DEP_1) | instskip(SKIP_1) | instid1(VALU_DEP_2)
	v_subrev_nc_u32_e32 v9, 28, v8
	v_sub_nc_u32_e32 v8, 29, v8
	v_lshlrev_b32_e32 v9, v9, v6
	v_bfe_u32 v6, v6, 3, 4
	s_delay_alu instid0(VALU_DEP_2) | instskip(NEXT) | instid1(VALU_DEP_2)
	v_and_b32_e32 v9, 7, v9
	v_cmp_eq_u32_e32 vcc_lo, 0, v6
	s_delay_alu instid0(VALU_DEP_2) | instskip(NEXT) | instid1(VALU_DEP_1)
	v_dual_cndmask_b32 v6, v6, v8 :: v_dual_cndmask_b32 v7, v7, v9
	v_lshl_add_u32 v6, v6, 23, 0x3b800000
	s_delay_alu instid0(VALU_DEP_2) | instskip(NEXT) | instid1(VALU_DEP_1)
	v_lshlrev_b32_e32 v7, 20, v7
	v_or3_b32 v5, v5, v6, v7
	s_delay_alu instid0(VALU_DEP_1)
	v_cvt_f16_f32_e32 v6, v5
.LBB337_175:
	s_or_b32 exec_lo, exec_lo, s24
.LBB337_176:
	s_mov_b32 s2, -1
.LBB337_177:
	s_branch .LBB337_212
.LBB337_178:
	v_cmp_lt_i16_e32 vcc_lo, 22, v3
	s_cbranch_vccz .LBB337_188
; %bb.179:
	v_cmp_gt_i16_e32 vcc_lo, 24, v3
	s_cbranch_vccnz .LBB337_191
; %bb.180:
	v_cmp_lt_i16_e32 vcc_lo, 24, v3
	s_cbranch_vccz .LBB337_192
; %bb.181:
	global_load_u8 v5, v[1:2], off
	s_mov_b32 s2, 0
	s_mov_b32 s25, exec_lo
                                        ; implicit-def: $sgpr24
	s_waitcnt vmcnt(0)
	v_cmpx_lt_i16_e32 0x7f, v5
	s_xor_b32 s25, exec_lo, s25
	s_cbranch_execz .LBB337_204
; %bb.182:
	s_mov_b32 s2, -1
	s_mov_b32 s37, exec_lo
                                        ; implicit-def: $sgpr24
	v_cmpx_eq_u16_e32 0x80, v5
; %bb.183:
	s_movk_i32 s24, 0x7e00
	s_xor_b32 s2, exec_lo, -1
; %bb.184:
	s_or_b32 exec_lo, exec_lo, s37
	s_delay_alu instid0(SALU_CYCLE_1)
	s_and_b32 s2, s2, exec_lo
	s_or_saveexec_b32 s25, s25
	v_mov_b32_e32 v6, s24
	s_xor_b32 exec_lo, exec_lo, s25
	s_cbranch_execnz .LBB337_205
.LBB337_185:
	s_or_b32 exec_lo, exec_lo, s25
	s_and_saveexec_b32 s24, s2
	s_cbranch_execz .LBB337_187
.LBB337_186:
	v_and_b32_e32 v6, 0xffff, v5
	v_lshlrev_b32_e32 v5, 24, v5
	s_delay_alu instid0(VALU_DEP_2) | instskip(NEXT) | instid1(VALU_DEP_2)
	v_and_b32_e32 v7, 3, v6
	v_and_b32_e32 v5, 0x80000000, v5
	s_delay_alu instid0(VALU_DEP_2) | instskip(NEXT) | instid1(VALU_DEP_1)
	v_clz_i32_u32_e32 v8, v7
	v_min_u32_e32 v8, 32, v8
	s_delay_alu instid0(VALU_DEP_1) | instskip(SKIP_1) | instid1(VALU_DEP_2)
	v_subrev_nc_u32_e32 v9, 29, v8
	v_sub_nc_u32_e32 v8, 30, v8
	v_lshlrev_b32_e32 v9, v9, v6
	v_bfe_u32 v6, v6, 2, 5
	s_delay_alu instid0(VALU_DEP_2) | instskip(NEXT) | instid1(VALU_DEP_2)
	v_and_b32_e32 v9, 3, v9
	v_cmp_eq_u32_e32 vcc_lo, 0, v6
	s_delay_alu instid0(VALU_DEP_2) | instskip(NEXT) | instid1(VALU_DEP_1)
	v_dual_cndmask_b32 v6, v6, v8 :: v_dual_cndmask_b32 v7, v7, v9
	v_lshl_add_u32 v6, v6, 23, 0x37800000
	s_delay_alu instid0(VALU_DEP_2) | instskip(NEXT) | instid1(VALU_DEP_1)
	v_lshlrev_b32_e32 v7, 21, v7
	v_or3_b32 v5, v5, v6, v7
	s_delay_alu instid0(VALU_DEP_1)
	v_cvt_f16_f32_e32 v6, v5
.LBB337_187:
	s_or_b32 exec_lo, exec_lo, s24
	s_mov_b32 s2, 0
	s_branch .LBB337_193
.LBB337_188:
	s_mov_b32 s24, -1
                                        ; implicit-def: $vgpr6
	s_branch .LBB337_199
.LBB337_189:
	s_or_saveexec_b32 s25, s25
	v_mov_b32_e32 v6, s24
	s_xor_b32 exec_lo, exec_lo, s25
	s_cbranch_execz .LBB337_173
.LBB337_190:
	v_cmp_ne_u16_e32 vcc_lo, 0, v5
	v_mov_b32_e32 v6, v5
	s_and_not1_b32 s2, s2, exec_lo
	s_and_b32 s24, vcc_lo, exec_lo
	s_delay_alu instid0(SALU_CYCLE_1)
	s_or_b32 s2, s2, s24
	s_or_b32 exec_lo, exec_lo, s25
	s_and_saveexec_b32 s24, s2
	s_cbranch_execnz .LBB337_174
	s_branch .LBB337_175
.LBB337_191:
	s_mov_b32 s2, -1
                                        ; implicit-def: $vgpr6
	s_branch .LBB337_196
.LBB337_192:
	s_mov_b32 s2, -1
                                        ; implicit-def: $vgpr6
.LBB337_193:
	s_delay_alu instid0(SALU_CYCLE_1)
	s_and_b32 vcc_lo, exec_lo, s2
	s_cbranch_vccz .LBB337_195
; %bb.194:
	global_load_u8 v5, v[1:2], off
	s_waitcnt vmcnt(0)
	v_lshlrev_b32_e32 v5, 24, v5
	s_delay_alu instid0(VALU_DEP_1) | instskip(NEXT) | instid1(VALU_DEP_1)
	v_and_b32_e32 v6, 0x7f000000, v5
	v_clz_i32_u32_e32 v7, v6
	v_add_nc_u32_e32 v9, 0x1000000, v6
	v_cmp_ne_u32_e32 vcc_lo, 0, v6
	s_delay_alu instid0(VALU_DEP_3) | instskip(NEXT) | instid1(VALU_DEP_1)
	v_min_u32_e32 v7, 32, v7
	v_sub_nc_u32_e64 v7, v7, 4 clamp
	s_delay_alu instid0(VALU_DEP_1) | instskip(SKIP_1) | instid1(VALU_DEP_2)
	v_lshlrev_b32_e32 v8, v7, v6
	v_lshlrev_b32_e32 v7, 23, v7
	v_lshrrev_b32_e32 v8, 4, v8
	s_delay_alu instid0(VALU_DEP_1) | instskip(SKIP_1) | instid1(VALU_DEP_2)
	v_sub_nc_u32_e32 v7, v8, v7
	v_ashrrev_i32_e32 v8, 8, v9
	v_add_nc_u32_e32 v7, 0x3c000000, v7
	s_delay_alu instid0(VALU_DEP_1) | instskip(NEXT) | instid1(VALU_DEP_1)
	v_and_or_b32 v7, 0x7f800000, v8, v7
	v_cndmask_b32_e32 v6, 0, v7, vcc_lo
	s_delay_alu instid0(VALU_DEP_1) | instskip(NEXT) | instid1(VALU_DEP_1)
	v_and_or_b32 v5, 0x80000000, v5, v6
	v_cvt_f16_f32_e32 v6, v5
.LBB337_195:
	s_mov_b32 s2, 0
.LBB337_196:
	s_delay_alu instid0(SALU_CYCLE_1)
	s_and_not1_b32 vcc_lo, exec_lo, s2
	s_cbranch_vccnz .LBB337_198
; %bb.197:
	global_load_u8 v5, v[1:2], off
	s_waitcnt vmcnt(0)
	v_lshlrev_b32_e32 v6, 25, v5
	v_lshlrev_b16 v5, 8, v5
	s_delay_alu instid0(VALU_DEP_2) | instskip(NEXT) | instid1(VALU_DEP_2)
	v_lshrrev_b32_e32 v7, 4, v6
	v_and_or_b32 v8, 0x7f00, v5, 0.5
	v_bfe_i32 v5, v5, 0, 16
	s_delay_alu instid0(VALU_DEP_3) | instskip(NEXT) | instid1(VALU_DEP_1)
	v_or_b32_e32 v7, 0x70000000, v7
	v_dual_add_f32 v8, -0.5, v8 :: v_dual_mul_f32 v7, 0x7800000, v7
	v_cmp_gt_u32_e32 vcc_lo, 0x8000000, v6
	s_delay_alu instid0(VALU_DEP_2) | instskip(NEXT) | instid1(VALU_DEP_1)
	v_cndmask_b32_e32 v6, v7, v8, vcc_lo
	v_and_or_b32 v5, 0x80000000, v5, v6
	s_delay_alu instid0(VALU_DEP_1)
	v_cvt_f16_f32_e32 v6, v5
.LBB337_198:
	s_mov_b32 s24, 0
	s_mov_b32 s2, -1
.LBB337_199:
	s_and_not1_b32 vcc_lo, exec_lo, s24
	s_cbranch_vccnz .LBB337_212
; %bb.200:
	v_cmp_lt_i16_e32 vcc_lo, 14, v3
	s_cbranch_vccz .LBB337_203
; %bb.201:
	v_cmp_eq_u16_e32 vcc_lo, 15, v3
	s_cbranch_vccz .LBB337_206
; %bb.202:
	global_load_u16 v5, v[1:2], off
	s_mov_b32 s2, -1
	s_mov_b32 s3, 0
	s_waitcnt vmcnt(0)
	v_lshlrev_b32_e32 v5, 16, v5
	s_delay_alu instid0(VALU_DEP_1)
	v_cvt_f16_f32_e32 v6, v5
	s_branch .LBB337_207
.LBB337_203:
	s_mov_b32 s24, -1
                                        ; implicit-def: $vgpr6
	s_branch .LBB337_208
.LBB337_204:
	s_or_saveexec_b32 s25, s25
	v_mov_b32_e32 v6, s24
	s_xor_b32 exec_lo, exec_lo, s25
	s_cbranch_execz .LBB337_185
.LBB337_205:
	v_cmp_ne_u16_e32 vcc_lo, 0, v5
	v_mov_b32_e32 v6, v5
	s_and_not1_b32 s2, s2, exec_lo
	s_and_b32 s24, vcc_lo, exec_lo
	s_delay_alu instid0(SALU_CYCLE_1)
	s_or_b32 s2, s2, s24
	s_or_b32 exec_lo, exec_lo, s25
	s_and_saveexec_b32 s24, s2
	s_cbranch_execnz .LBB337_186
	s_branch .LBB337_187
.LBB337_206:
	s_mov_b32 s3, -1
                                        ; implicit-def: $vgpr6
.LBB337_207:
	s_mov_b32 s24, 0
.LBB337_208:
	s_delay_alu instid0(SALU_CYCLE_1)
	s_and_b32 vcc_lo, exec_lo, s24
	s_cbranch_vccz .LBB337_212
; %bb.209:
	v_cmp_eq_u16_e32 vcc_lo, 11, v3
	s_cbranch_vccz .LBB337_211
; %bb.210:
	global_load_u8 v5, v[1:2], off
	s_mov_b32 s3, 0
	s_mov_b32 s2, -1
	s_waitcnt vmcnt(0)
	v_cmp_ne_u16_e32 vcc_lo, 0, v5
	v_cndmask_b32_e64 v6, 0, 0x3c00, vcc_lo
	s_branch .LBB337_212
.LBB337_211:
	s_mov_b32 s3, -1
                                        ; implicit-def: $vgpr6
.LBB337_212:
	s_branch .LBB337_23
.LBB337_213:
	v_cmp_gt_i16_e32 vcc_lo, 5, v3
	s_cbranch_vccnz .LBB337_218
; %bb.214:
	v_cmp_gt_i16_e32 vcc_lo, 8, v3
	s_cbranch_vccnz .LBB337_219
; %bb.215:
	;; [unrolled: 3-line block ×3, first 2 shown]
	v_cmp_lt_i16_e32 vcc_lo, 9, v3
	s_cbranch_vccz .LBB337_221
; %bb.217:
	global_load_b64 v[5:6], v[1:2], off
	s_mov_b32 s2, 0
	s_waitcnt vmcnt(0)
	v_cvt_f32_f64_e32 v5, v[5:6]
	s_delay_alu instid0(VALU_DEP_1)
	v_cvt_f16_f32_e32 v6, v5
	s_branch .LBB337_222
.LBB337_218:
                                        ; implicit-def: $vgpr6
	s_branch .LBB337_240
.LBB337_219:
	s_mov_b32 s2, -1
                                        ; implicit-def: $vgpr6
	s_branch .LBB337_228
.LBB337_220:
	s_mov_b32 s2, -1
                                        ; implicit-def: $vgpr6
	s_branch .LBB337_225
.LBB337_221:
	s_mov_b32 s2, -1
                                        ; implicit-def: $vgpr6
.LBB337_222:
	s_delay_alu instid0(SALU_CYCLE_1)
	s_and_not1_b32 vcc_lo, exec_lo, s2
	s_cbranch_vccnz .LBB337_224
; %bb.223:
	global_load_b32 v5, v[1:2], off
	s_waitcnt vmcnt(0)
	v_cvt_f16_f32_e32 v6, v5
.LBB337_224:
	s_mov_b32 s2, 0
.LBB337_225:
	s_delay_alu instid0(SALU_CYCLE_1)
	s_and_not1_b32 vcc_lo, exec_lo, s2
	s_cbranch_vccnz .LBB337_227
; %bb.226:
	global_load_b32 v6, v[1:2], off
.LBB337_227:
	s_mov_b32 s2, 0
.LBB337_228:
	s_delay_alu instid0(SALU_CYCLE_1)
	s_and_not1_b32 vcc_lo, exec_lo, s2
	s_cbranch_vccnz .LBB337_239
; %bb.229:
	v_cmp_gt_i16_e32 vcc_lo, 6, v3
	s_cbranch_vccnz .LBB337_232
; %bb.230:
	v_cmp_lt_i16_e32 vcc_lo, 6, v3
	s_cbranch_vccz .LBB337_233
; %bb.231:
	global_load_b64 v[5:6], v[1:2], off
	s_mov_b32 s2, 0
	s_waitcnt vmcnt(0)
	v_cvt_f32_f64_e32 v5, v[5:6]
	s_delay_alu instid0(VALU_DEP_1)
	v_cvt_f16_f32_e32 v6, v5
	s_branch .LBB337_234
.LBB337_232:
	s_mov_b32 s2, -1
                                        ; implicit-def: $vgpr6
	s_branch .LBB337_237
.LBB337_233:
	s_mov_b32 s2, -1
                                        ; implicit-def: $vgpr6
.LBB337_234:
	s_delay_alu instid0(SALU_CYCLE_1)
	s_and_not1_b32 vcc_lo, exec_lo, s2
	s_cbranch_vccnz .LBB337_236
; %bb.235:
	global_load_b32 v5, v[1:2], off
	s_waitcnt vmcnt(0)
	v_cvt_f16_f32_e32 v6, v5
.LBB337_236:
	s_mov_b32 s2, 0
.LBB337_237:
	s_delay_alu instid0(SALU_CYCLE_1)
	s_and_not1_b32 vcc_lo, exec_lo, s2
	s_cbranch_vccnz .LBB337_239
; %bb.238:
	global_load_u16 v6, v[1:2], off
.LBB337_239:
	s_cbranch_execnz .LBB337_259
.LBB337_240:
	v_cmp_gt_i16_e32 vcc_lo, 2, v3
	s_cbranch_vccnz .LBB337_244
; %bb.241:
	v_cmp_gt_i16_e32 vcc_lo, 3, v3
	s_cbranch_vccnz .LBB337_245
; %bb.242:
	v_cmp_lt_i16_e32 vcc_lo, 3, v3
	s_cbranch_vccz .LBB337_246
; %bb.243:
	global_load_b64 v[5:6], v[1:2], off
	s_mov_b32 s2, 0
	s_waitcnt vmcnt(0)
	v_xor_b32_e32 v7, v5, v6
	v_cls_i32_e32 v8, v6
	s_delay_alu instid0(VALU_DEP_2) | instskip(NEXT) | instid1(VALU_DEP_2)
	v_ashrrev_i32_e32 v7, 31, v7
	v_add_nc_u32_e32 v8, -1, v8
	s_delay_alu instid0(VALU_DEP_2) | instskip(NEXT) | instid1(VALU_DEP_1)
	v_add_nc_u32_e32 v7, 32, v7
	v_min_u32_e32 v7, v8, v7
	s_delay_alu instid0(VALU_DEP_1) | instskip(NEXT) | instid1(VALU_DEP_1)
	v_lshlrev_b64 v[5:6], v7, v[5:6]
	v_min_u32_e32 v5, 1, v5
	s_delay_alu instid0(VALU_DEP_1) | instskip(SKIP_1) | instid1(VALU_DEP_2)
	v_or_b32_e32 v5, v6, v5
	v_sub_nc_u32_e32 v6, 32, v7
	v_cvt_f32_i32_e32 v5, v5
	s_delay_alu instid0(VALU_DEP_1) | instskip(NEXT) | instid1(VALU_DEP_1)
	v_ldexp_f32 v5, v5, v6
	v_cvt_f16_f32_e32 v6, v5
	s_branch .LBB337_247
.LBB337_244:
	s_mov_b32 s2, -1
                                        ; implicit-def: $vgpr6
	s_branch .LBB337_253
.LBB337_245:
	s_mov_b32 s2, -1
                                        ; implicit-def: $vgpr6
	s_branch .LBB337_250
.LBB337_246:
	s_mov_b32 s2, -1
                                        ; implicit-def: $vgpr6
.LBB337_247:
	s_delay_alu instid0(SALU_CYCLE_1)
	s_and_not1_b32 vcc_lo, exec_lo, s2
	s_cbranch_vccnz .LBB337_249
; %bb.248:
	global_load_b32 v5, v[1:2], off
	s_waitcnt vmcnt(0)
	v_cvt_f32_i32_e32 v5, v5
	s_delay_alu instid0(VALU_DEP_1)
	v_cvt_f16_f32_e32 v6, v5
.LBB337_249:
	s_mov_b32 s2, 0
.LBB337_250:
	s_delay_alu instid0(SALU_CYCLE_1)
	s_and_not1_b32 vcc_lo, exec_lo, s2
	s_cbranch_vccnz .LBB337_252
; %bb.251:
	global_load_u16 v5, v[1:2], off
	s_waitcnt vmcnt(0)
	v_cvt_f16_i16_e32 v6, v5
.LBB337_252:
	s_mov_b32 s2, 0
.LBB337_253:
	s_delay_alu instid0(SALU_CYCLE_1)
	s_and_not1_b32 vcc_lo, exec_lo, s2
	s_cbranch_vccnz .LBB337_259
; %bb.254:
	v_cmp_lt_i16_e32 vcc_lo, 0, v3
	s_mov_b32 s2, 0
	s_cbranch_vccz .LBB337_256
; %bb.255:
	global_load_i8 v5, v[1:2], off
	s_waitcnt vmcnt(0)
	v_cvt_f16_i16_e32 v6, v5
	s_branch .LBB337_257
.LBB337_256:
	s_mov_b32 s2, -1
                                        ; implicit-def: $vgpr6
.LBB337_257:
	s_delay_alu instid0(SALU_CYCLE_1)
	s_and_not1_b32 vcc_lo, exec_lo, s2
	s_cbranch_vccnz .LBB337_259
; %bb.258:
	global_load_u8 v1, v[1:2], off
	s_waitcnt vmcnt(0)
	v_cvt_f16_u16_e32 v6, v1
.LBB337_259:
	s_branch .LBB337_24
.LBB337_260:
	s_mov_b32 s24, 0
.LBB337_261:
	s_mov_b32 s2, 0
                                        ; implicit-def: $vgpr4
.LBB337_262:
	s_and_b32 s37, s24, exec_lo
	s_and_b32 s38, s3, exec_lo
	s_or_not1_b32 s3, s2, exec_lo
.LBB337_263:
	s_or_b32 exec_lo, exec_lo, s39
	s_mov_b32 s24, 0
	s_mov_b32 s2, 0
                                        ; implicit-def: $vgpr1_vgpr2
                                        ; implicit-def: $vgpr0
                                        ; implicit-def: $vgpr5
	s_and_saveexec_b32 s39, s3
	s_cbranch_execz .LBB337_906
; %bb.264:
	s_mov_b32 s2, -1
	s_mov_b32 s40, s38
	s_mov_b32 s41, s37
	s_mov_b32 s42, exec_lo
	v_cmpx_gt_i32_e64 s34, v4
	s_cbranch_execz .LBB337_533
; %bb.265:
	s_and_not1_b32 vcc_lo, exec_lo, s29
	s_cbranch_vccnz .LBB337_270
; %bb.266:
	v_dual_mov_b32 v0, 0 :: v_dual_mov_b32 v1, 0
	s_and_not1_b32 vcc_lo, exec_lo, s36
	s_mov_b32 s40, 0
	s_cbranch_vccnz .LBB337_275
; %bb.267:
	v_mov_b32_e32 v0, 0
	s_add_i32 s43, s35, 1
	s_cmp_eq_u32 s27, 2
	s_mov_b32 s41, 0
	s_cbranch_scc1 .LBB337_271
; %bb.268:
	v_dual_mov_b32 v1, 0 :: v_dual_mov_b32 v0, 0
	v_mov_b32_e32 v2, v4
	s_and_b32 s41, s43, 28
	s_mov_b32 s44, 0
	s_mov_b64 s[2:3], s[22:23]
	s_mov_b64 s[24:25], s[16:17]
.LBB337_269:                            ; =>This Inner Loop Header: Depth=1
	s_clause 0x1
	s_load_b256 s[48:55], s[24:25], 0x4
	s_load_b128 s[64:67], s[24:25], 0x24
	s_load_b256 s[56:63], s[2:3], 0x0
	s_add_u32 s24, s24, 48
	s_addc_u32 s25, s25, 0
	s_add_i32 s44, s44, 4
	s_add_u32 s2, s2, 32
	s_addc_u32 s3, s3, 0
	s_cmp_eq_u32 s41, s44
	s_waitcnt lgkmcnt(0)
	v_mul_hi_u32 v5, s49, v2
	s_delay_alu instid0(VALU_DEP_1) | instskip(NEXT) | instid1(VALU_DEP_1)
	v_add_nc_u32_e32 v5, v2, v5
	v_lshrrev_b32_e32 v5, s50, v5
	s_waitcnt vmcnt(0)
	s_delay_alu instid0(VALU_DEP_1) | instskip(SKIP_1) | instid1(VALU_DEP_2)
	v_mul_hi_u32 v6, s52, v5
	v_mul_lo_u32 v8, v5, s48
	v_add_nc_u32_e32 v6, v5, v6
	s_delay_alu instid0(VALU_DEP_2) | instskip(NEXT) | instid1(VALU_DEP_2)
	v_sub_nc_u32_e32 v2, v2, v8
	v_lshrrev_b32_e32 v6, s53, v6
	s_delay_alu instid0(VALU_DEP_2) | instskip(SKIP_1) | instid1(VALU_DEP_3)
	v_mul_lo_u32 v8, v2, s56
	v_mul_lo_u32 v10, v2, s57
	v_mul_hi_u32 v7, s55, v6
	s_delay_alu instid0(VALU_DEP_1) | instskip(NEXT) | instid1(VALU_DEP_1)
	v_add_nc_u32_e32 v7, v6, v7
	v_lshrrev_b32_e32 v7, s64, v7
	s_delay_alu instid0(VALU_DEP_1) | instskip(SKIP_1) | instid1(VALU_DEP_2)
	v_mul_hi_u32 v9, s66, v7
	v_mul_lo_u32 v11, v7, s54
	v_add_nc_u32_e32 v2, v7, v9
	v_mul_lo_u32 v9, v6, s51
	s_delay_alu instid0(VALU_DEP_3) | instskip(NEXT) | instid1(VALU_DEP_3)
	v_sub_nc_u32_e32 v6, v6, v11
	v_lshrrev_b32_e32 v2, s67, v2
	s_delay_alu instid0(VALU_DEP_2) | instskip(SKIP_2) | instid1(VALU_DEP_4)
	v_mul_lo_u32 v11, v6, s60
	v_mul_lo_u32 v6, v6, s61
	v_sub_nc_u32_e32 v5, v5, v9
	v_mul_lo_u32 v12, v2, s65
	s_delay_alu instid0(VALU_DEP_2) | instskip(SKIP_1) | instid1(VALU_DEP_3)
	v_mul_lo_u32 v9, v5, s58
	v_mul_lo_u32 v5, v5, s59
	v_sub_nc_u32_e32 v7, v7, v12
	s_delay_alu instid0(VALU_DEP_3) | instskip(NEXT) | instid1(VALU_DEP_2)
	v_add3_u32 v0, v8, v0, v9
	v_mul_lo_u32 v12, v7, s62
	v_mul_lo_u32 v7, v7, s63
	v_add3_u32 v1, v10, v1, v5
	s_delay_alu instid0(VALU_DEP_3) | instskip(NEXT) | instid1(VALU_DEP_2)
	v_add3_u32 v0, v11, v0, v12
	v_add3_u32 v1, v6, v1, v7
	s_cbranch_scc0 .LBB337_269
	s_branch .LBB337_272
.LBB337_270:
	s_mov_b32 s40, -1
                                        ; implicit-def: $vgpr0
                                        ; implicit-def: $vgpr1
	s_branch .LBB337_275
.LBB337_271:
	v_dual_mov_b32 v2, v4 :: v_dual_mov_b32 v1, 0
.LBB337_272:
	s_and_b32 s43, s43, 3
	s_delay_alu instid0(SALU_CYCLE_1)
	s_cmp_eq_u32 s43, 0
	s_cbranch_scc1 .LBB337_275
; %bb.273:
	s_lshl_b32 s2, s41, 3
	s_mul_i32 s24, s41, 12
	s_add_u32 s2, s2, s16
	s_addc_u32 s3, s17, 0
	s_add_u32 s2, s2, 0xc4
	s_addc_u32 s3, s3, 0
	;; [unrolled: 2-line block ×3, first 2 shown]
	.p2align	6
.LBB337_274:                            ; =>This Inner Loop Header: Depth=1
	s_clause 0x1
	s_load_b64 s[44:45], s[24:25], 0x4
	s_load_b32 s41, s[24:25], 0xc
	s_load_b64 s[46:47], s[2:3], 0x0
	s_add_u32 s24, s24, 12
	s_addc_u32 s25, s25, 0
	s_add_u32 s2, s2, 8
	s_addc_u32 s3, s3, 0
	s_add_i32 s43, s43, -1
	s_delay_alu instid0(SALU_CYCLE_1) | instskip(SKIP_2) | instid1(VALU_DEP_1)
	s_cmp_lg_u32 s43, 0
	s_waitcnt lgkmcnt(0)
	v_mul_hi_u32 v5, s45, v2
	v_add_nc_u32_e32 v5, v2, v5
	s_delay_alu instid0(VALU_DEP_1) | instskip(NEXT) | instid1(VALU_DEP_1)
	v_lshrrev_b32_e32 v8, s41, v5
	v_mul_lo_u32 v5, v8, s44
	s_delay_alu instid0(VALU_DEP_1) | instskip(SKIP_1) | instid1(VALU_DEP_1)
	v_sub_nc_u32_e32 v2, v2, v5
	s_waitcnt vmcnt(0)
	v_mad_u64_u32 v[5:6], null, v2, s46, v[0:1]
	v_mad_u64_u32 v[6:7], null, v2, s47, v[1:2]
	v_mov_b32_e32 v2, v8
	s_delay_alu instid0(VALU_DEP_2)
	v_dual_mov_b32 v0, v5 :: v_dual_mov_b32 v1, v6
	s_cbranch_scc1 .LBB337_274
.LBB337_275:
	s_and_not1_b32 vcc_lo, exec_lo, s40
	s_cbranch_vccnz .LBB337_278
; %bb.276:
	v_mul_hi_u32 v0, s13, v4
	s_and_not1_b32 vcc_lo, exec_lo, s33
	s_delay_alu instid0(VALU_DEP_1) | instskip(NEXT) | instid1(VALU_DEP_1)
	v_add_nc_u32_e32 v0, v4, v0
	v_lshrrev_b32_e32 v2, s14, v0
	s_delay_alu instid0(VALU_DEP_1) | instskip(NEXT) | instid1(VALU_DEP_1)
	v_mul_lo_u32 v0, v2, s12
	v_sub_nc_u32_e32 v1, v4, v0
	s_delay_alu instid0(VALU_DEP_1)
	v_mul_lo_u32 v0, v1, s8
	v_mul_lo_u32 v1, v1, s9
	s_cbranch_vccnz .LBB337_278
; %bb.277:
	v_mul_hi_u32 v5, s20, v2
	s_delay_alu instid0(VALU_DEP_1) | instskip(NEXT) | instid1(VALU_DEP_1)
	v_add_nc_u32_e32 v5, v2, v5
	v_lshrrev_b32_e32 v5, s21, v5
	s_delay_alu instid0(VALU_DEP_1) | instskip(NEXT) | instid1(VALU_DEP_1)
	v_mul_lo_u32 v5, v5, s15
	v_sub_nc_u32_e32 v2, v2, v5
	s_waitcnt vmcnt(0)
	s_delay_alu instid0(VALU_DEP_1) | instskip(SKIP_1) | instid1(VALU_DEP_1)
	v_mad_u64_u32 v[5:6], null, v2, s10, v[0:1]
	v_mad_u64_u32 v[6:7], null, v2, s11, v[1:2]
	v_dual_mov_b32 v0, v5 :: v_dual_mov_b32 v1, v6
.LBB337_278:
	v_cmp_gt_i16_e32 vcc_lo, 11, v3
	s_delay_alu instid0(VALU_DEP_2) | instskip(NEXT) | instid1(VALU_DEP_1)
	v_add_co_u32 v1, s2, s6, v1
	v_add_co_ci_u32_e64 v2, null, s7, 0, s2
	s_mov_b32 s2, 0
	s_cbranch_vccnz .LBB337_285
; %bb.279:
	v_cmp_lt_i16_e32 vcc_lo, 25, v3
	s_cbranch_vccz .LBB337_334
; %bb.280:
	v_cmp_lt_i16_e32 vcc_lo, 28, v3
	s_cbranch_vccz .LBB337_335
	;; [unrolled: 3-line block ×4, first 2 shown]
; %bb.283:
	v_cmp_eq_u16_e32 vcc_lo, 46, v3
	s_mov_b32 s24, 0
	s_cbranch_vccz .LBB337_343
; %bb.284:
	global_load_b32 v5, v[1:2], off
	s_mov_b32 s2, -1
	s_mov_b32 s3, 0
	s_waitcnt vmcnt(0)
	v_lshlrev_b32_e32 v5, 16, v5
	s_delay_alu instid0(VALU_DEP_1)
	v_cvt_f16_f32_e32 v6, v5
	s_branch .LBB337_345
.LBB337_285:
	s_mov_b32 s3, s38
                                        ; implicit-def: $vgpr6
	s_cbranch_execnz .LBB337_482
.LBB337_286:
	s_and_not1_b32 vcc_lo, exec_lo, s2
	s_cbranch_vccnz .LBB337_530
.LBB337_287:
	s_waitcnt vmcnt(0)
	s_delay_alu instid0(VALU_DEP_1)
	v_cmp_lt_f16_e32 vcc_lo, s18, v6
	v_and_b32_e64 v5, 0xff, s19
	v_cmp_u_f16_e64 s2, v6, v6
	s_mov_b32 s24, 0
	s_mov_b32 s25, -1
	v_cndmask_b32_e32 v1, s18, v6, vcc_lo
	s_delay_alu instid0(VALU_DEP_1) | instskip(SKIP_2) | instid1(VALU_DEP_2)
	v_cmp_gt_f16_e32 vcc_lo, s31, v1
	v_cndmask_b32_e32 v1, s31, v1, vcc_lo
	v_cmp_gt_i16_e32 vcc_lo, 11, v5
	v_cndmask_b32_e64 v2, v1, v6, s2
	v_add_co_u32 v0, s2, s4, v0
	s_delay_alu instid0(VALU_DEP_1)
	v_add_co_ci_u32_e64 v1, null, s5, 0, s2
	s_mov_b32 s2, s37
	s_cbranch_vccnz .LBB337_294
; %bb.288:
	v_cmp_lt_i16_e32 vcc_lo, 25, v5
	s_cbranch_vccz .LBB337_336
; %bb.289:
	v_cmp_lt_i16_e32 vcc_lo, 28, v5
	s_cbranch_vccz .LBB337_338
	;; [unrolled: 3-line block ×4, first 2 shown]
; %bb.292:
	v_cmp_eq_u16_e32 vcc_lo, 46, v5
	s_mov_b32 s25, 0
	s_mov_b32 s2, -1
	s_cbranch_vccz .LBB337_349
; %bb.293:
	v_cvt_f32_f16_e32 v6, v2
	v_cmp_o_f16_e32 vcc_lo, v2, v2
	s_mov_b32 s24, -1
	s_mov_b32 s2, 0
	s_delay_alu instid0(VALU_DEP_2) | instskip(NEXT) | instid1(VALU_DEP_1)
	v_bfe_u32 v7, v6, 16, 1
	v_add3_u32 v6, v6, v7, 0x7fff
	s_delay_alu instid0(VALU_DEP_1) | instskip(NEXT) | instid1(VALU_DEP_1)
	v_lshrrev_b32_e32 v6, 16, v6
	v_cndmask_b32_e32 v6, 0x7fc0, v6, vcc_lo
	global_store_b32 v[0:1], v6, off
	s_branch .LBB337_349
.LBB337_294:
	s_and_b32 vcc_lo, exec_lo, s25
	s_cbranch_vccz .LBB337_418
; %bb.295:
	v_cmp_gt_i16_e32 vcc_lo, 5, v5
	s_mov_b32 s24, -1
	s_cbranch_vccnz .LBB337_316
; %bb.296:
	v_cmp_gt_i16_e32 vcc_lo, 8, v5
	s_cbranch_vccnz .LBB337_306
; %bb.297:
	v_cmp_gt_i16_e32 vcc_lo, 9, v5
	s_cbranch_vccnz .LBB337_303
; %bb.298:
	v_cmp_lt_i16_e32 vcc_lo, 9, v5
	s_cbranch_vccz .LBB337_300
; %bb.299:
	v_cvt_f32_f16_e32 v6, v2
	v_mov_b32_e32 v8, 0
	s_mov_b32 s24, 0
	s_delay_alu instid0(VALU_DEP_2) | instskip(NEXT) | instid1(VALU_DEP_2)
	v_cvt_f64_f32_e32 v[6:7], v6
	v_mov_b32_e32 v9, v8
	global_store_b128 v[0:1], v[6:9], off
.LBB337_300:
	s_and_not1_b32 vcc_lo, exec_lo, s24
	s_cbranch_vccnz .LBB337_302
; %bb.301:
	v_cvt_f32_f16_e32 v6, v2
	v_mov_b32_e32 v7, 0
	global_store_b64 v[0:1], v[6:7], off
.LBB337_302:
	s_mov_b32 s24, 0
.LBB337_303:
	s_delay_alu instid0(SALU_CYCLE_1)
	s_and_not1_b32 vcc_lo, exec_lo, s24
	s_cbranch_vccnz .LBB337_305
; %bb.304:
	v_and_b32_e32 v6, 0xffff, v2
	global_store_b32 v[0:1], v6, off
.LBB337_305:
	s_mov_b32 s24, 0
.LBB337_306:
	s_delay_alu instid0(SALU_CYCLE_1)
	s_and_not1_b32 vcc_lo, exec_lo, s24
	s_cbranch_vccnz .LBB337_315
; %bb.307:
	v_cmp_gt_i16_e32 vcc_lo, 6, v5
	s_mov_b32 s24, -1
	s_cbranch_vccnz .LBB337_313
; %bb.308:
	v_cmp_lt_i16_e32 vcc_lo, 6, v5
	s_cbranch_vccz .LBB337_310
; %bb.309:
	v_cvt_f32_f16_e32 v6, v2
	s_mov_b32 s24, 0
	s_delay_alu instid0(VALU_DEP_1)
	v_cvt_f64_f32_e32 v[6:7], v6
	global_store_b64 v[0:1], v[6:7], off
.LBB337_310:
	s_and_not1_b32 vcc_lo, exec_lo, s24
	s_cbranch_vccnz .LBB337_312
; %bb.311:
	v_cvt_f32_f16_e32 v6, v2
	global_store_b32 v[0:1], v6, off
.LBB337_312:
	s_mov_b32 s24, 0
.LBB337_313:
	s_delay_alu instid0(SALU_CYCLE_1)
	s_and_not1_b32 vcc_lo, exec_lo, s24
	s_cbranch_vccnz .LBB337_315
; %bb.314:
	global_store_b16 v[0:1], v2, off
.LBB337_315:
	s_mov_b32 s24, 0
.LBB337_316:
	s_delay_alu instid0(SALU_CYCLE_1)
	s_and_not1_b32 vcc_lo, exec_lo, s24
	s_cbranch_vccnz .LBB337_332
; %bb.317:
	v_cmp_gt_i16_e32 vcc_lo, 2, v5
	s_mov_b32 s24, -1
	s_cbranch_vccnz .LBB337_327
; %bb.318:
	v_cmp_gt_i16_e32 vcc_lo, 3, v5
	s_cbranch_vccnz .LBB337_324
; %bb.319:
	v_cmp_lt_i16_e32 vcc_lo, 3, v5
	s_cbranch_vccz .LBB337_321
; %bb.320:
	v_cvt_f32_f16_e32 v6, v2
	s_mov_b32 s24, 0
	s_delay_alu instid0(VALU_DEP_1) | instskip(NEXT) | instid1(VALU_DEP_1)
	v_cvt_i32_f32_e32 v6, v6
	v_ashrrev_i32_e32 v7, 31, v6
	global_store_b64 v[0:1], v[6:7], off
.LBB337_321:
	s_and_not1_b32 vcc_lo, exec_lo, s24
	s_cbranch_vccnz .LBB337_323
; %bb.322:
	v_cvt_f32_f16_e32 v6, v2
	s_delay_alu instid0(VALU_DEP_1)
	v_cvt_i32_f32_e32 v6, v6
	global_store_b32 v[0:1], v6, off
.LBB337_323:
	s_mov_b32 s24, 0
.LBB337_324:
	s_delay_alu instid0(SALU_CYCLE_1)
	s_and_not1_b32 vcc_lo, exec_lo, s24
	s_cbranch_vccnz .LBB337_326
; %bb.325:
	v_cvt_i16_f16_e32 v6, v2
	global_store_b16 v[0:1], v6, off
.LBB337_326:
	s_mov_b32 s24, 0
.LBB337_327:
	s_delay_alu instid0(SALU_CYCLE_1)
	s_and_not1_b32 vcc_lo, exec_lo, s24
	s_cbranch_vccnz .LBB337_332
; %bb.328:
	v_cmp_lt_i16_e32 vcc_lo, 0, v5
	s_mov_b32 s24, -1
	s_cbranch_vccz .LBB337_330
; %bb.329:
	v_cvt_i16_f16_e32 v5, v2
	s_mov_b32 s24, 0
	global_store_b8 v[0:1], v5, off
.LBB337_330:
	s_and_not1_b32 vcc_lo, exec_lo, s24
	s_cbranch_vccnz .LBB337_332
; %bb.331:
	v_cvt_f32_f16_e32 v2, v2
	s_delay_alu instid0(VALU_DEP_1)
	v_cvt_i32_f32_e32 v2, v2
	global_store_b8 v[0:1], v2, off
.LBB337_332:
	s_branch .LBB337_419
.LBB337_333:
	s_mov_b32 s24, 0
	s_branch .LBB337_531
.LBB337_334:
	s_mov_b32 s24, -1
	s_mov_b32 s3, s38
                                        ; implicit-def: $vgpr6
	s_branch .LBB337_446
.LBB337_335:
	s_mov_b32 s24, -1
	s_mov_b32 s3, s38
                                        ; implicit-def: $vgpr6
	s_branch .LBB337_427
.LBB337_336:
	s_mov_b32 s2, s37
	s_branch .LBB337_376
.LBB337_337:
	s_mov_b32 s24, -1
	s_mov_b32 s3, s38
                                        ; implicit-def: $vgpr6
	s_branch .LBB337_422
.LBB337_338:
	s_mov_b32 s2, s37
	s_branch .LBB337_359
.LBB337_339:
	s_mov_b32 s24, -1
	s_mov_b32 s3, s38
	s_branch .LBB337_344
.LBB337_340:
	s_mov_b32 s2, s37
	s_branch .LBB337_355
.LBB337_341:
	s_or_saveexec_b32 s37, s37
                                        ; implicit-def: $sgpr38
	s_delay_alu instid0(SALU_CYCLE_1)
	s_xor_b32 exec_lo, exec_lo, s37
	s_cbranch_execz .LBB337_65
.LBB337_342:
	v_add_f32_e64 v7, 0x42800000, |v6|
	s_and_not1_b32 s25, s25, exec_lo
	s_mov_b32 s38, 0
	s_delay_alu instid0(VALU_DEP_1) | instskip(NEXT) | instid1(VALU_DEP_1)
	v_and_b32_e32 v7, 0xff, v7
	v_cmp_ne_u32_e32 vcc_lo, 0, v7
	s_and_b32 s41, vcc_lo, exec_lo
	s_delay_alu instid0(SALU_CYCLE_1)
	s_or_b32 s25, s25, s41
	s_or_b32 exec_lo, exec_lo, s37
	v_mov_b32_e32 v8, s38
	s_and_saveexec_b32 s37, s25
	s_cbranch_execnz .LBB337_66
	s_branch .LBB337_67
.LBB337_343:
	s_mov_b32 s3, -1
.LBB337_344:
                                        ; implicit-def: $vgpr6
.LBB337_345:
	s_and_b32 vcc_lo, exec_lo, s24
	s_cbranch_vccz .LBB337_421
; %bb.346:
	v_cmp_eq_u16_e32 vcc_lo, 44, v3
	s_cbranch_vccz .LBB337_420
; %bb.347:
	global_load_u8 v5, v[1:2], off
	s_mov_b32 s3, 0
	s_mov_b32 s2, -1
	s_waitcnt vmcnt(0)
	v_lshlrev_b32_e32 v6, 23, v5
	v_cmp_ne_u32_e32 vcc_lo, 0xff, v5
	s_delay_alu instid0(VALU_DEP_2) | instskip(NEXT) | instid1(VALU_DEP_1)
	v_cvt_f16_f32_e32 v6, v6
	v_cndmask_b32_e32 v6, 0x7e00, v6, vcc_lo
	v_cmp_ne_u32_e32 vcc_lo, 0, v5
	s_delay_alu instid0(VALU_DEP_2)
	v_cndmask_b32_e32 v6, 0, v6, vcc_lo
	s_branch .LBB337_421
.LBB337_348:
	s_mov_b32 s2, s37
.LBB337_349:
	s_and_b32 vcc_lo, exec_lo, s25
	s_cbranch_vccz .LBB337_354
; %bb.350:
	v_cmp_eq_u16_e32 vcc_lo, 44, v5
	s_mov_b32 s2, -1
	s_cbranch_vccz .LBB337_354
; %bb.351:
	v_cvt_f32_f16_e32 v6, v2
	v_mov_b32_e32 v7, 0xff
	s_mov_b32 s24, exec_lo
	s_delay_alu instid0(VALU_DEP_2) | instskip(NEXT) | instid1(VALU_DEP_1)
	v_bfe_u32 v8, v6, 23, 8
	v_cmpx_ne_u32_e32 0xff, v8
; %bb.352:
	v_and_b32_e32 v7, 0x400000, v6
	v_and_or_b32 v8, 0x3fffff, v6, v8
	v_lshrrev_b32_e32 v6, 23, v6
	s_delay_alu instid0(VALU_DEP_3) | instskip(NEXT) | instid1(VALU_DEP_3)
	v_cmp_ne_u32_e32 vcc_lo, 0, v7
	v_cmp_ne_u32_e64 s2, 0, v8
	s_delay_alu instid0(VALU_DEP_1) | instskip(NEXT) | instid1(SALU_CYCLE_1)
	s_and_b32 s2, vcc_lo, s2
	v_cndmask_b32_e64 v7, 0, 1, s2
	s_delay_alu instid0(VALU_DEP_1)
	v_add_nc_u32_e32 v7, v6, v7
; %bb.353:
	s_or_b32 exec_lo, exec_lo, s24
	s_mov_b32 s24, -1
	s_mov_b32 s2, 0
	global_store_b8 v[0:1], v7, off
.LBB337_354:
	s_mov_b32 s25, 0
.LBB337_355:
	s_delay_alu instid0(SALU_CYCLE_1)
	s_and_b32 vcc_lo, exec_lo, s25
	s_cbranch_vccz .LBB337_358
; %bb.356:
	v_cmp_eq_u16_e32 vcc_lo, 29, v5
	s_mov_b32 s2, -1
	s_cbranch_vccz .LBB337_358
; %bb.357:
	v_cvt_f32_f16_e32 v6, v2
	v_mov_b32_e32 v7, 0
	s_mov_b32 s2, 0
	s_mov_b32 s24, -1
	s_mov_b32 s25, 0
	v_cvt_u32_f32_e32 v6, v6
	global_store_b64 v[0:1], v[6:7], off
	s_branch .LBB337_359
.LBB337_358:
	s_mov_b32 s25, 0
.LBB337_359:
	s_delay_alu instid0(SALU_CYCLE_1)
	s_and_b32 vcc_lo, exec_lo, s25
	s_cbranch_vccz .LBB337_375
; %bb.360:
	v_cmp_gt_i16_e32 vcc_lo, 27, v5
	s_mov_b32 s24, -1
	s_cbranch_vccnz .LBB337_366
; %bb.361:
	v_cmp_lt_i16_e32 vcc_lo, 27, v5
	s_cbranch_vccz .LBB337_363
; %bb.362:
	v_cvt_f32_f16_e32 v6, v2
	s_mov_b32 s24, 0
	s_delay_alu instid0(VALU_DEP_1)
	v_cvt_u32_f32_e32 v6, v6
	global_store_b32 v[0:1], v6, off
.LBB337_363:
	s_and_not1_b32 vcc_lo, exec_lo, s24
	s_cbranch_vccnz .LBB337_365
; %bb.364:
	v_cvt_u16_f16_e32 v6, v2
	global_store_b16 v[0:1], v6, off
.LBB337_365:
	s_mov_b32 s24, 0
.LBB337_366:
	s_delay_alu instid0(SALU_CYCLE_1)
	s_and_not1_b32 vcc_lo, exec_lo, s24
	s_cbranch_vccnz .LBB337_374
; %bb.367:
	v_cvt_f32_f16_e32 v6, v2
	v_mov_b32_e32 v8, 0x80
	s_mov_b32 s24, exec_lo
	s_delay_alu instid0(VALU_DEP_2) | instskip(NEXT) | instid1(VALU_DEP_1)
	v_and_b32_e32 v7, 0x7fffffff, v6
	v_cmpx_gt_u32_e32 0x43800000, v7
	s_cbranch_execz .LBB337_373
; %bb.368:
	v_cmp_lt_u32_e32 vcc_lo, 0x3bffffff, v7
	s_mov_b32 s25, 0
                                        ; implicit-def: $vgpr7
	s_and_saveexec_b32 s40, vcc_lo
	s_delay_alu instid0(SALU_CYCLE_1)
	s_xor_b32 s40, exec_lo, s40
	s_cbranch_execz .LBB337_559
; %bb.369:
	v_bfe_u32 v7, v6, 20, 1
	s_mov_b32 s25, exec_lo
	s_delay_alu instid0(VALU_DEP_1) | instskip(NEXT) | instid1(VALU_DEP_1)
	v_add3_u32 v7, v6, v7, 0x487ffff
	v_lshrrev_b32_e32 v7, 20, v7
	s_or_saveexec_b32 s40, s40
                                        ; implicit-def: $sgpr41
	s_delay_alu instid0(SALU_CYCLE_1)
	s_xor_b32 exec_lo, exec_lo, s40
	s_cbranch_execnz .LBB337_560
.LBB337_370:
	s_or_b32 exec_lo, exec_lo, s40
	v_mov_b32_e32 v8, s41
	s_and_saveexec_b32 s40, s25
.LBB337_371:
	v_lshrrev_b32_e32 v6, 24, v6
	s_delay_alu instid0(VALU_DEP_1)
	v_and_or_b32 v8, 0x80, v6, v7
.LBB337_372:
	s_or_b32 exec_lo, exec_lo, s40
.LBB337_373:
	s_delay_alu instid0(SALU_CYCLE_1)
	s_or_b32 exec_lo, exec_lo, s24
	global_store_b8 v[0:1], v8, off
.LBB337_374:
	s_mov_b32 s24, -1
.LBB337_375:
	s_mov_b32 s25, 0
.LBB337_376:
	s_delay_alu instid0(SALU_CYCLE_1)
	s_and_b32 vcc_lo, exec_lo, s25
	s_cbranch_vccz .LBB337_417
; %bb.377:
	v_cmp_lt_i16_e32 vcc_lo, 22, v5
	s_mov_b32 s25, -1
	s_cbranch_vccz .LBB337_409
; %bb.378:
	v_cmp_gt_i16_e32 vcc_lo, 24, v5
	s_mov_b32 s24, -1
	s_cbranch_vccnz .LBB337_398
; %bb.379:
	v_cmp_lt_i16_e32 vcc_lo, 24, v5
	s_cbranch_vccz .LBB337_387
; %bb.380:
	v_cvt_f32_f16_e32 v6, v2
	v_mov_b32_e32 v8, 0x80
	s_mov_b32 s24, exec_lo
	s_delay_alu instid0(VALU_DEP_2) | instskip(NEXT) | instid1(VALU_DEP_1)
	v_and_b32_e32 v7, 0x7fffffff, v6
	v_cmpx_gt_u32_e32 0x47800000, v7
	s_cbranch_execz .LBB337_386
; %bb.381:
	v_cmp_lt_u32_e32 vcc_lo, 0x37ffffff, v7
	s_mov_b32 s25, 0
                                        ; implicit-def: $vgpr7
	s_and_saveexec_b32 s40, vcc_lo
	s_delay_alu instid0(SALU_CYCLE_1)
	s_xor_b32 s40, exec_lo, s40
	s_cbranch_execz .LBB337_562
; %bb.382:
	v_bfe_u32 v7, v6, 21, 1
	s_mov_b32 s25, exec_lo
	s_delay_alu instid0(VALU_DEP_1) | instskip(NEXT) | instid1(VALU_DEP_1)
	v_add3_u32 v7, v6, v7, 0x88fffff
	v_lshrrev_b32_e32 v7, 21, v7
	s_or_saveexec_b32 s40, s40
                                        ; implicit-def: $sgpr41
	s_delay_alu instid0(SALU_CYCLE_1)
	s_xor_b32 exec_lo, exec_lo, s40
	s_cbranch_execnz .LBB337_563
.LBB337_383:
	s_or_b32 exec_lo, exec_lo, s40
	v_mov_b32_e32 v8, s41
	s_and_saveexec_b32 s40, s25
.LBB337_384:
	v_lshrrev_b32_e32 v6, 24, v6
	s_delay_alu instid0(VALU_DEP_1)
	v_and_or_b32 v8, 0x80, v6, v7
.LBB337_385:
	s_or_b32 exec_lo, exec_lo, s40
.LBB337_386:
	s_delay_alu instid0(SALU_CYCLE_1)
	s_or_b32 exec_lo, exec_lo, s24
	s_mov_b32 s24, 0
	global_store_b8 v[0:1], v8, off
.LBB337_387:
	s_and_b32 vcc_lo, exec_lo, s24
	s_cbranch_vccz .LBB337_397
; %bb.388:
	v_cvt_f32_f16_e32 v6, v2
	s_mov_b32 s24, exec_lo
                                        ; implicit-def: $vgpr7
	s_delay_alu instid0(VALU_DEP_1) | instskip(NEXT) | instid1(VALU_DEP_1)
	v_and_b32_e32 v8, 0x7fffffff, v6
	v_cmpx_gt_u32_e32 0x43f00000, v8
	s_xor_b32 s24, exec_lo, s24
	s_cbranch_execz .LBB337_394
; %bb.389:
	s_mov_b32 s25, exec_lo
                                        ; implicit-def: $vgpr7
	v_cmpx_lt_u32_e32 0x3c7fffff, v8
	s_xor_b32 s25, exec_lo, s25
; %bb.390:
	v_bfe_u32 v7, v6, 20, 1
	s_delay_alu instid0(VALU_DEP_1) | instskip(NEXT) | instid1(VALU_DEP_1)
	v_add3_u32 v7, v6, v7, 0x407ffff
	v_and_b32_e32 v8, 0xff00000, v7
	v_lshrrev_b32_e32 v7, 20, v7
	s_delay_alu instid0(VALU_DEP_2) | instskip(NEXT) | instid1(VALU_DEP_2)
	v_cmp_ne_u32_e32 vcc_lo, 0x7f00000, v8
	v_cndmask_b32_e32 v7, 0x7e, v7, vcc_lo
; %bb.391:
	s_and_not1_saveexec_b32 s25, s25
; %bb.392:
	v_add_f32_e64 v7, 0x46800000, |v6|
; %bb.393:
	s_or_b32 exec_lo, exec_lo, s25
                                        ; implicit-def: $vgpr8
.LBB337_394:
	s_and_not1_saveexec_b32 s24, s24
; %bb.395:
	v_mov_b32_e32 v7, 0x7f
	v_cmp_lt_u32_e32 vcc_lo, 0x7f800000, v8
	s_delay_alu instid0(VALU_DEP_2)
	v_cndmask_b32_e32 v7, 0x7e, v7, vcc_lo
; %bb.396:
	s_or_b32 exec_lo, exec_lo, s24
	v_lshrrev_b32_e32 v6, 24, v6
	s_delay_alu instid0(VALU_DEP_1)
	v_and_or_b32 v6, 0x80, v6, v7
	global_store_b8 v[0:1], v6, off
.LBB337_397:
	s_mov_b32 s24, 0
.LBB337_398:
	s_delay_alu instid0(SALU_CYCLE_1)
	s_and_not1_b32 vcc_lo, exec_lo, s24
	s_cbranch_vccnz .LBB337_408
; %bb.399:
	v_cvt_f32_f16_e32 v6, v2
	s_mov_b32 s24, exec_lo
                                        ; implicit-def: $vgpr7
	s_delay_alu instid0(VALU_DEP_1) | instskip(NEXT) | instid1(VALU_DEP_1)
	v_and_b32_e32 v8, 0x7fffffff, v6
	v_cmpx_gt_u32_e32 0x47800000, v8
	s_xor_b32 s24, exec_lo, s24
	s_cbranch_execz .LBB337_405
; %bb.400:
	s_mov_b32 s25, exec_lo
                                        ; implicit-def: $vgpr7
	v_cmpx_lt_u32_e32 0x387fffff, v8
	s_xor_b32 s25, exec_lo, s25
; %bb.401:
	v_bfe_u32 v7, v6, 21, 1
	s_delay_alu instid0(VALU_DEP_1) | instskip(NEXT) | instid1(VALU_DEP_1)
	v_add3_u32 v7, v6, v7, 0x80fffff
	v_lshrrev_b32_e32 v7, 21, v7
; %bb.402:
	s_and_not1_saveexec_b32 s25, s25
; %bb.403:
	v_add_f32_e64 v7, 0x43000000, |v6|
; %bb.404:
	s_or_b32 exec_lo, exec_lo, s25
                                        ; implicit-def: $vgpr8
.LBB337_405:
	s_and_not1_saveexec_b32 s24, s24
; %bb.406:
	v_mov_b32_e32 v7, 0x7f
	v_cmp_lt_u32_e32 vcc_lo, 0x7f800000, v8
	s_delay_alu instid0(VALU_DEP_2)
	v_cndmask_b32_e32 v7, 0x7c, v7, vcc_lo
; %bb.407:
	s_or_b32 exec_lo, exec_lo, s24
	v_lshrrev_b32_e32 v6, 24, v6
	s_delay_alu instid0(VALU_DEP_1)
	v_and_or_b32 v6, 0x80, v6, v7
	global_store_b8 v[0:1], v6, off
.LBB337_408:
	s_mov_b32 s25, 0
	s_mov_b32 s24, -1
.LBB337_409:
	s_and_not1_b32 vcc_lo, exec_lo, s25
	s_cbranch_vccnz .LBB337_417
; %bb.410:
	v_cmp_lt_i16_e32 vcc_lo, 14, v5
	s_mov_b32 s25, -1
	s_cbranch_vccz .LBB337_414
; %bb.411:
	v_cmp_eq_u16_e32 vcc_lo, 15, v5
	s_mov_b32 s2, -1
	s_cbranch_vccz .LBB337_413
; %bb.412:
	v_cvt_f32_f16_e32 v6, v2
	v_cmp_o_f16_e32 vcc_lo, v2, v2
	s_mov_b32 s24, -1
	s_mov_b32 s2, 0
	s_delay_alu instid0(VALU_DEP_2) | instskip(NEXT) | instid1(VALU_DEP_1)
	v_bfe_u32 v7, v6, 16, 1
	v_add3_u32 v6, v6, v7, 0x7fff
	s_delay_alu instid0(VALU_DEP_1) | instskip(NEXT) | instid1(VALU_DEP_1)
	v_lshrrev_b32_e32 v6, 16, v6
	v_cndmask_b32_e32 v6, 0x7fc0, v6, vcc_lo
	global_store_b16 v[0:1], v6, off
.LBB337_413:
	s_mov_b32 s25, 0
.LBB337_414:
	s_delay_alu instid0(SALU_CYCLE_1)
	s_and_b32 vcc_lo, exec_lo, s25
	s_cbranch_vccz .LBB337_417
; %bb.415:
	v_cmp_eq_u16_e32 vcc_lo, 11, v5
	s_mov_b32 s2, -1
	s_cbranch_vccz .LBB337_417
; %bb.416:
	v_and_b32_e32 v6, 0x7fff, v2
	s_mov_b32 s2, 0
	s_mov_b32 s24, -1
	s_delay_alu instid0(VALU_DEP_1)
	v_cmp_ne_u16_e32 vcc_lo, 0, v6
	v_cndmask_b32_e64 v6, 0, 1, vcc_lo
	global_store_b8 v[0:1], v6, off
.LBB337_417:
.LBB337_418:
	s_and_not1_b32 vcc_lo, exec_lo, s24
	s_cbranch_vccnz .LBB337_333
.LBB337_419:
	v_add_nc_u32_e32 v4, 0x80, v4
	s_mov_b32 s24, -1
	s_branch .LBB337_532
.LBB337_420:
	s_mov_b32 s3, -1
                                        ; implicit-def: $vgpr6
.LBB337_421:
	s_mov_b32 s24, 0
.LBB337_422:
	s_delay_alu instid0(SALU_CYCLE_1)
	s_and_b32 vcc_lo, exec_lo, s24
	s_cbranch_vccz .LBB337_426
; %bb.423:
	v_cmp_eq_u16_e32 vcc_lo, 29, v3
	s_cbranch_vccz .LBB337_425
; %bb.424:
	global_load_b64 v[5:6], v[1:2], off
	s_mov_b32 s2, -1
	s_mov_b32 s3, 0
	s_mov_b32 s24, 0
	s_waitcnt vmcnt(0)
	v_clz_i32_u32_e32 v7, v6
	s_delay_alu instid0(VALU_DEP_1) | instskip(NEXT) | instid1(VALU_DEP_1)
	v_min_u32_e32 v7, 32, v7
	v_lshlrev_b64 v[5:6], v7, v[5:6]
	s_delay_alu instid0(VALU_DEP_1) | instskip(NEXT) | instid1(VALU_DEP_1)
	v_min_u32_e32 v5, 1, v5
	v_or_b32_e32 v5, v6, v5
	v_sub_nc_u32_e32 v6, 32, v7
	s_delay_alu instid0(VALU_DEP_2) | instskip(NEXT) | instid1(VALU_DEP_1)
	v_cvt_f32_u32_e32 v5, v5
	v_ldexp_f32 v5, v5, v6
	s_delay_alu instid0(VALU_DEP_1)
	v_cvt_f16_f32_e32 v6, v5
	s_branch .LBB337_427
.LBB337_425:
	s_mov_b32 s3, -1
                                        ; implicit-def: $vgpr6
.LBB337_426:
	s_mov_b32 s24, 0
.LBB337_427:
	s_delay_alu instid0(SALU_CYCLE_1)
	s_and_b32 vcc_lo, exec_lo, s24
	s_cbranch_vccz .LBB337_445
; %bb.428:
	v_cmp_gt_i16_e32 vcc_lo, 27, v3
	s_cbranch_vccnz .LBB337_431
; %bb.429:
	v_cmp_lt_i16_e32 vcc_lo, 27, v3
	s_cbranch_vccz .LBB337_432
; %bb.430:
	global_load_b32 v5, v[1:2], off
	s_mov_b32 s2, 0
	s_waitcnt vmcnt(0)
	v_cvt_f32_u32_e32 v5, v5
	s_delay_alu instid0(VALU_DEP_1)
	v_cvt_f16_f32_e32 v6, v5
	s_branch .LBB337_433
.LBB337_431:
	s_mov_b32 s2, -1
                                        ; implicit-def: $vgpr6
	s_branch .LBB337_436
.LBB337_432:
	s_mov_b32 s2, -1
                                        ; implicit-def: $vgpr6
.LBB337_433:
	s_delay_alu instid0(SALU_CYCLE_1)
	s_and_not1_b32 vcc_lo, exec_lo, s2
	s_cbranch_vccnz .LBB337_435
; %bb.434:
	global_load_u16 v5, v[1:2], off
	s_waitcnt vmcnt(0)
	v_cvt_f16_u16_e32 v6, v5
.LBB337_435:
	s_mov_b32 s2, 0
.LBB337_436:
	s_delay_alu instid0(SALU_CYCLE_1)
	s_and_not1_b32 vcc_lo, exec_lo, s2
	s_cbranch_vccnz .LBB337_444
; %bb.437:
	global_load_u8 v5, v[1:2], off
	s_mov_b32 s2, 0
	s_mov_b32 s25, exec_lo
                                        ; implicit-def: $sgpr24
	s_waitcnt vmcnt(0)
	v_cmpx_lt_i16_e32 0x7f, v5
	s_xor_b32 s25, exec_lo, s25
	s_cbranch_execz .LBB337_458
; %bb.438:
	s_mov_b32 s2, -1
	s_mov_b32 s40, exec_lo
                                        ; implicit-def: $sgpr24
	v_cmpx_eq_u16_e32 0x80, v5
; %bb.439:
	s_movk_i32 s24, 0x7e00
	s_xor_b32 s2, exec_lo, -1
; %bb.440:
	s_or_b32 exec_lo, exec_lo, s40
	s_delay_alu instid0(SALU_CYCLE_1)
	s_and_b32 s2, s2, exec_lo
	s_or_saveexec_b32 s25, s25
	v_mov_b32_e32 v6, s24
	s_xor_b32 exec_lo, exec_lo, s25
	s_cbranch_execnz .LBB337_459
.LBB337_441:
	s_or_b32 exec_lo, exec_lo, s25
	s_and_saveexec_b32 s24, s2
	s_cbranch_execz .LBB337_443
.LBB337_442:
	v_and_b32_e32 v6, 0xffff, v5
	v_lshlrev_b32_e32 v5, 24, v5
	s_delay_alu instid0(VALU_DEP_2) | instskip(NEXT) | instid1(VALU_DEP_2)
	v_and_b32_e32 v7, 7, v6
	v_and_b32_e32 v5, 0x80000000, v5
	s_delay_alu instid0(VALU_DEP_2) | instskip(NEXT) | instid1(VALU_DEP_1)
	v_clz_i32_u32_e32 v8, v7
	v_min_u32_e32 v8, 32, v8
	s_delay_alu instid0(VALU_DEP_1) | instskip(SKIP_1) | instid1(VALU_DEP_2)
	v_subrev_nc_u32_e32 v9, 28, v8
	v_sub_nc_u32_e32 v8, 29, v8
	v_lshlrev_b32_e32 v9, v9, v6
	v_bfe_u32 v6, v6, 3, 4
	s_delay_alu instid0(VALU_DEP_2) | instskip(NEXT) | instid1(VALU_DEP_2)
	v_and_b32_e32 v9, 7, v9
	v_cmp_eq_u32_e32 vcc_lo, 0, v6
	s_delay_alu instid0(VALU_DEP_2) | instskip(NEXT) | instid1(VALU_DEP_1)
	v_dual_cndmask_b32 v6, v6, v8 :: v_dual_cndmask_b32 v7, v7, v9
	v_lshl_add_u32 v6, v6, 23, 0x3b800000
	s_delay_alu instid0(VALU_DEP_2) | instskip(NEXT) | instid1(VALU_DEP_1)
	v_lshlrev_b32_e32 v7, 20, v7
	v_or3_b32 v5, v5, v6, v7
	s_delay_alu instid0(VALU_DEP_1)
	v_cvt_f16_f32_e32 v6, v5
.LBB337_443:
	s_or_b32 exec_lo, exec_lo, s24
.LBB337_444:
	s_mov_b32 s2, -1
.LBB337_445:
	s_mov_b32 s24, 0
.LBB337_446:
	s_delay_alu instid0(SALU_CYCLE_1)
	s_and_b32 vcc_lo, exec_lo, s24
	s_cbranch_vccz .LBB337_481
; %bb.447:
	v_cmp_lt_i16_e32 vcc_lo, 22, v3
	s_cbranch_vccz .LBB337_457
; %bb.448:
	v_cmp_gt_i16_e32 vcc_lo, 24, v3
	s_cbranch_vccnz .LBB337_460
; %bb.449:
	v_cmp_lt_i16_e32 vcc_lo, 24, v3
	s_cbranch_vccz .LBB337_461
; %bb.450:
	global_load_u8 v5, v[1:2], off
	s_mov_b32 s2, 0
	s_mov_b32 s25, exec_lo
                                        ; implicit-def: $sgpr24
	s_waitcnt vmcnt(0)
	v_cmpx_lt_i16_e32 0x7f, v5
	s_xor_b32 s25, exec_lo, s25
	s_cbranch_execz .LBB337_473
; %bb.451:
	s_mov_b32 s2, -1
	s_mov_b32 s40, exec_lo
                                        ; implicit-def: $sgpr24
	v_cmpx_eq_u16_e32 0x80, v5
; %bb.452:
	s_movk_i32 s24, 0x7e00
	s_xor_b32 s2, exec_lo, -1
; %bb.453:
	s_or_b32 exec_lo, exec_lo, s40
	s_delay_alu instid0(SALU_CYCLE_1)
	s_and_b32 s2, s2, exec_lo
	s_or_saveexec_b32 s25, s25
	v_mov_b32_e32 v6, s24
	s_xor_b32 exec_lo, exec_lo, s25
	s_cbranch_execnz .LBB337_474
.LBB337_454:
	s_or_b32 exec_lo, exec_lo, s25
	s_and_saveexec_b32 s24, s2
	s_cbranch_execz .LBB337_456
.LBB337_455:
	v_and_b32_e32 v6, 0xffff, v5
	v_lshlrev_b32_e32 v5, 24, v5
	s_delay_alu instid0(VALU_DEP_2) | instskip(NEXT) | instid1(VALU_DEP_2)
	v_and_b32_e32 v7, 3, v6
	v_and_b32_e32 v5, 0x80000000, v5
	s_delay_alu instid0(VALU_DEP_2) | instskip(NEXT) | instid1(VALU_DEP_1)
	v_clz_i32_u32_e32 v8, v7
	v_min_u32_e32 v8, 32, v8
	s_delay_alu instid0(VALU_DEP_1) | instskip(SKIP_1) | instid1(VALU_DEP_2)
	v_subrev_nc_u32_e32 v9, 29, v8
	v_sub_nc_u32_e32 v8, 30, v8
	v_lshlrev_b32_e32 v9, v9, v6
	v_bfe_u32 v6, v6, 2, 5
	s_delay_alu instid0(VALU_DEP_2) | instskip(NEXT) | instid1(VALU_DEP_2)
	v_and_b32_e32 v9, 3, v9
	v_cmp_eq_u32_e32 vcc_lo, 0, v6
	s_delay_alu instid0(VALU_DEP_2) | instskip(NEXT) | instid1(VALU_DEP_1)
	v_dual_cndmask_b32 v6, v6, v8 :: v_dual_cndmask_b32 v7, v7, v9
	v_lshl_add_u32 v6, v6, 23, 0x37800000
	s_delay_alu instid0(VALU_DEP_2) | instskip(NEXT) | instid1(VALU_DEP_1)
	v_lshlrev_b32_e32 v7, 21, v7
	v_or3_b32 v5, v5, v6, v7
	s_delay_alu instid0(VALU_DEP_1)
	v_cvt_f16_f32_e32 v6, v5
.LBB337_456:
	s_or_b32 exec_lo, exec_lo, s24
	s_mov_b32 s2, 0
	s_branch .LBB337_462
.LBB337_457:
	s_mov_b32 s24, -1
                                        ; implicit-def: $vgpr6
	s_branch .LBB337_468
.LBB337_458:
	s_or_saveexec_b32 s25, s25
	v_mov_b32_e32 v6, s24
	s_xor_b32 exec_lo, exec_lo, s25
	s_cbranch_execz .LBB337_441
.LBB337_459:
	v_cmp_ne_u16_e32 vcc_lo, 0, v5
	v_mov_b32_e32 v6, v5
	s_and_not1_b32 s2, s2, exec_lo
	s_and_b32 s24, vcc_lo, exec_lo
	s_delay_alu instid0(SALU_CYCLE_1)
	s_or_b32 s2, s2, s24
	s_or_b32 exec_lo, exec_lo, s25
	s_and_saveexec_b32 s24, s2
	s_cbranch_execnz .LBB337_442
	s_branch .LBB337_443
.LBB337_460:
	s_mov_b32 s2, -1
                                        ; implicit-def: $vgpr6
	s_branch .LBB337_465
.LBB337_461:
	s_mov_b32 s2, -1
                                        ; implicit-def: $vgpr6
.LBB337_462:
	s_delay_alu instid0(SALU_CYCLE_1)
	s_and_b32 vcc_lo, exec_lo, s2
	s_cbranch_vccz .LBB337_464
; %bb.463:
	global_load_u8 v5, v[1:2], off
	s_waitcnt vmcnt(0)
	v_lshlrev_b32_e32 v5, 24, v5
	s_delay_alu instid0(VALU_DEP_1) | instskip(NEXT) | instid1(VALU_DEP_1)
	v_and_b32_e32 v6, 0x7f000000, v5
	v_clz_i32_u32_e32 v7, v6
	v_add_nc_u32_e32 v9, 0x1000000, v6
	v_cmp_ne_u32_e32 vcc_lo, 0, v6
	s_delay_alu instid0(VALU_DEP_3) | instskip(NEXT) | instid1(VALU_DEP_1)
	v_min_u32_e32 v7, 32, v7
	v_sub_nc_u32_e64 v7, v7, 4 clamp
	s_delay_alu instid0(VALU_DEP_1) | instskip(SKIP_1) | instid1(VALU_DEP_2)
	v_lshlrev_b32_e32 v8, v7, v6
	v_lshlrev_b32_e32 v7, 23, v7
	v_lshrrev_b32_e32 v8, 4, v8
	s_delay_alu instid0(VALU_DEP_1) | instskip(SKIP_1) | instid1(VALU_DEP_2)
	v_sub_nc_u32_e32 v7, v8, v7
	v_ashrrev_i32_e32 v8, 8, v9
	v_add_nc_u32_e32 v7, 0x3c000000, v7
	s_delay_alu instid0(VALU_DEP_1) | instskip(NEXT) | instid1(VALU_DEP_1)
	v_and_or_b32 v7, 0x7f800000, v8, v7
	v_cndmask_b32_e32 v6, 0, v7, vcc_lo
	s_delay_alu instid0(VALU_DEP_1) | instskip(NEXT) | instid1(VALU_DEP_1)
	v_and_or_b32 v5, 0x80000000, v5, v6
	v_cvt_f16_f32_e32 v6, v5
.LBB337_464:
	s_mov_b32 s2, 0
.LBB337_465:
	s_delay_alu instid0(SALU_CYCLE_1)
	s_and_not1_b32 vcc_lo, exec_lo, s2
	s_cbranch_vccnz .LBB337_467
; %bb.466:
	global_load_u8 v5, v[1:2], off
	s_waitcnt vmcnt(0)
	v_lshlrev_b32_e32 v6, 25, v5
	v_lshlrev_b16 v5, 8, v5
	s_delay_alu instid0(VALU_DEP_2) | instskip(NEXT) | instid1(VALU_DEP_2)
	v_lshrrev_b32_e32 v7, 4, v6
	v_and_or_b32 v8, 0x7f00, v5, 0.5
	v_bfe_i32 v5, v5, 0, 16
	s_delay_alu instid0(VALU_DEP_3) | instskip(NEXT) | instid1(VALU_DEP_1)
	v_or_b32_e32 v7, 0x70000000, v7
	v_dual_add_f32 v8, -0.5, v8 :: v_dual_mul_f32 v7, 0x7800000, v7
	v_cmp_gt_u32_e32 vcc_lo, 0x8000000, v6
	s_delay_alu instid0(VALU_DEP_2) | instskip(NEXT) | instid1(VALU_DEP_1)
	v_cndmask_b32_e32 v6, v7, v8, vcc_lo
	v_and_or_b32 v5, 0x80000000, v5, v6
	s_delay_alu instid0(VALU_DEP_1)
	v_cvt_f16_f32_e32 v6, v5
.LBB337_467:
	s_mov_b32 s24, 0
	s_mov_b32 s2, -1
.LBB337_468:
	s_and_not1_b32 vcc_lo, exec_lo, s24
	s_cbranch_vccnz .LBB337_481
; %bb.469:
	v_cmp_lt_i16_e32 vcc_lo, 14, v3
	s_cbranch_vccz .LBB337_472
; %bb.470:
	v_cmp_eq_u16_e32 vcc_lo, 15, v3
	s_cbranch_vccz .LBB337_475
; %bb.471:
	global_load_u16 v5, v[1:2], off
	s_mov_b32 s2, -1
	s_mov_b32 s3, 0
	s_waitcnt vmcnt(0)
	v_lshlrev_b32_e32 v5, 16, v5
	s_delay_alu instid0(VALU_DEP_1)
	v_cvt_f16_f32_e32 v6, v5
	s_branch .LBB337_476
.LBB337_472:
	s_mov_b32 s24, -1
                                        ; implicit-def: $vgpr6
	s_branch .LBB337_477
.LBB337_473:
	s_or_saveexec_b32 s25, s25
	v_mov_b32_e32 v6, s24
	s_xor_b32 exec_lo, exec_lo, s25
	s_cbranch_execz .LBB337_454
.LBB337_474:
	v_cmp_ne_u16_e32 vcc_lo, 0, v5
	v_mov_b32_e32 v6, v5
	s_and_not1_b32 s2, s2, exec_lo
	s_and_b32 s24, vcc_lo, exec_lo
	s_delay_alu instid0(SALU_CYCLE_1)
	s_or_b32 s2, s2, s24
	s_or_b32 exec_lo, exec_lo, s25
	s_and_saveexec_b32 s24, s2
	s_cbranch_execnz .LBB337_455
	s_branch .LBB337_456
.LBB337_475:
	s_mov_b32 s3, -1
                                        ; implicit-def: $vgpr6
.LBB337_476:
	s_mov_b32 s24, 0
.LBB337_477:
	s_delay_alu instid0(SALU_CYCLE_1)
	s_and_b32 vcc_lo, exec_lo, s24
	s_cbranch_vccz .LBB337_481
; %bb.478:
	v_cmp_eq_u16_e32 vcc_lo, 11, v3
	s_cbranch_vccz .LBB337_480
; %bb.479:
	global_load_u8 v5, v[1:2], off
	s_mov_b32 s3, 0
	s_mov_b32 s2, -1
	s_waitcnt vmcnt(0)
	v_cmp_ne_u16_e32 vcc_lo, 0, v5
	v_cndmask_b32_e64 v6, 0, 0x3c00, vcc_lo
	s_branch .LBB337_481
.LBB337_480:
	s_mov_b32 s3, -1
                                        ; implicit-def: $vgpr6
.LBB337_481:
	s_branch .LBB337_286
.LBB337_482:
	v_cmp_gt_i16_e32 vcc_lo, 5, v3
	s_cbranch_vccnz .LBB337_487
; %bb.483:
	v_cmp_gt_i16_e32 vcc_lo, 8, v3
	s_cbranch_vccnz .LBB337_488
; %bb.484:
	;; [unrolled: 3-line block ×3, first 2 shown]
	v_cmp_lt_i16_e32 vcc_lo, 9, v3
	s_cbranch_vccz .LBB337_490
; %bb.486:
	global_load_b64 v[5:6], v[1:2], off
	s_mov_b32 s2, 0
	s_waitcnt vmcnt(0)
	v_cvt_f32_f64_e32 v5, v[5:6]
	s_delay_alu instid0(VALU_DEP_1)
	v_cvt_f16_f32_e32 v6, v5
	s_branch .LBB337_491
.LBB337_487:
	s_mov_b32 s2, -1
                                        ; implicit-def: $vgpr6
	s_branch .LBB337_509
.LBB337_488:
	s_mov_b32 s2, -1
                                        ; implicit-def: $vgpr6
	s_branch .LBB337_497
.LBB337_489:
	s_mov_b32 s2, -1
                                        ; implicit-def: $vgpr6
	s_branch .LBB337_494
.LBB337_490:
	s_mov_b32 s2, -1
                                        ; implicit-def: $vgpr6
.LBB337_491:
	s_delay_alu instid0(SALU_CYCLE_1)
	s_and_not1_b32 vcc_lo, exec_lo, s2
	s_cbranch_vccnz .LBB337_493
; %bb.492:
	global_load_b32 v5, v[1:2], off
	s_waitcnt vmcnt(0)
	v_cvt_f16_f32_e32 v6, v5
.LBB337_493:
	s_mov_b32 s2, 0
.LBB337_494:
	s_delay_alu instid0(SALU_CYCLE_1)
	s_and_not1_b32 vcc_lo, exec_lo, s2
	s_cbranch_vccnz .LBB337_496
; %bb.495:
	global_load_b32 v6, v[1:2], off
.LBB337_496:
	s_mov_b32 s2, 0
.LBB337_497:
	s_delay_alu instid0(SALU_CYCLE_1)
	s_and_not1_b32 vcc_lo, exec_lo, s2
	s_cbranch_vccnz .LBB337_508
; %bb.498:
	v_cmp_gt_i16_e32 vcc_lo, 6, v3
	s_cbranch_vccnz .LBB337_501
; %bb.499:
	v_cmp_lt_i16_e32 vcc_lo, 6, v3
	s_cbranch_vccz .LBB337_502
; %bb.500:
	global_load_b64 v[5:6], v[1:2], off
	s_mov_b32 s2, 0
	s_waitcnt vmcnt(0)
	v_cvt_f32_f64_e32 v5, v[5:6]
	s_delay_alu instid0(VALU_DEP_1)
	v_cvt_f16_f32_e32 v6, v5
	s_branch .LBB337_503
.LBB337_501:
	s_mov_b32 s2, -1
                                        ; implicit-def: $vgpr6
	s_branch .LBB337_506
.LBB337_502:
	s_mov_b32 s2, -1
                                        ; implicit-def: $vgpr6
.LBB337_503:
	s_delay_alu instid0(SALU_CYCLE_1)
	s_and_not1_b32 vcc_lo, exec_lo, s2
	s_cbranch_vccnz .LBB337_505
; %bb.504:
	global_load_b32 v5, v[1:2], off
	s_waitcnt vmcnt(0)
	v_cvt_f16_f32_e32 v6, v5
.LBB337_505:
	s_mov_b32 s2, 0
.LBB337_506:
	s_delay_alu instid0(SALU_CYCLE_1)
	s_and_not1_b32 vcc_lo, exec_lo, s2
	s_cbranch_vccnz .LBB337_508
; %bb.507:
	global_load_u16 v6, v[1:2], off
.LBB337_508:
	s_mov_b32 s2, 0
.LBB337_509:
	s_delay_alu instid0(SALU_CYCLE_1)
	s_and_not1_b32 vcc_lo, exec_lo, s2
	s_cbranch_vccnz .LBB337_529
; %bb.510:
	v_cmp_gt_i16_e32 vcc_lo, 2, v3
	s_cbranch_vccnz .LBB337_514
; %bb.511:
	v_cmp_gt_i16_e32 vcc_lo, 3, v3
	s_cbranch_vccnz .LBB337_515
; %bb.512:
	v_cmp_lt_i16_e32 vcc_lo, 3, v3
	s_cbranch_vccz .LBB337_516
; %bb.513:
	global_load_b64 v[5:6], v[1:2], off
	s_mov_b32 s2, 0
	s_waitcnt vmcnt(0)
	v_xor_b32_e32 v7, v5, v6
	v_cls_i32_e32 v8, v6
	s_delay_alu instid0(VALU_DEP_2) | instskip(NEXT) | instid1(VALU_DEP_2)
	v_ashrrev_i32_e32 v7, 31, v7
	v_add_nc_u32_e32 v8, -1, v8
	s_delay_alu instid0(VALU_DEP_2) | instskip(NEXT) | instid1(VALU_DEP_1)
	v_add_nc_u32_e32 v7, 32, v7
	v_min_u32_e32 v7, v8, v7
	s_delay_alu instid0(VALU_DEP_1) | instskip(NEXT) | instid1(VALU_DEP_1)
	v_lshlrev_b64 v[5:6], v7, v[5:6]
	v_min_u32_e32 v5, 1, v5
	s_delay_alu instid0(VALU_DEP_1) | instskip(SKIP_1) | instid1(VALU_DEP_2)
	v_or_b32_e32 v5, v6, v5
	v_sub_nc_u32_e32 v6, 32, v7
	v_cvt_f32_i32_e32 v5, v5
	s_delay_alu instid0(VALU_DEP_1) | instskip(NEXT) | instid1(VALU_DEP_1)
	v_ldexp_f32 v5, v5, v6
	v_cvt_f16_f32_e32 v6, v5
	s_branch .LBB337_517
.LBB337_514:
	s_mov_b32 s2, -1
                                        ; implicit-def: $vgpr6
	s_branch .LBB337_523
.LBB337_515:
	s_mov_b32 s2, -1
                                        ; implicit-def: $vgpr6
	s_branch .LBB337_520
.LBB337_516:
	s_mov_b32 s2, -1
                                        ; implicit-def: $vgpr6
.LBB337_517:
	s_delay_alu instid0(SALU_CYCLE_1)
	s_and_not1_b32 vcc_lo, exec_lo, s2
	s_cbranch_vccnz .LBB337_519
; %bb.518:
	global_load_b32 v5, v[1:2], off
	s_waitcnt vmcnt(0)
	v_cvt_f32_i32_e32 v5, v5
	s_delay_alu instid0(VALU_DEP_1)
	v_cvt_f16_f32_e32 v6, v5
.LBB337_519:
	s_mov_b32 s2, 0
.LBB337_520:
	s_delay_alu instid0(SALU_CYCLE_1)
	s_and_not1_b32 vcc_lo, exec_lo, s2
	s_cbranch_vccnz .LBB337_522
; %bb.521:
	global_load_u16 v5, v[1:2], off
	s_waitcnt vmcnt(0)
	v_cvt_f16_i16_e32 v6, v5
.LBB337_522:
	s_mov_b32 s2, 0
.LBB337_523:
	s_delay_alu instid0(SALU_CYCLE_1)
	s_and_not1_b32 vcc_lo, exec_lo, s2
	s_cbranch_vccnz .LBB337_529
; %bb.524:
	v_cmp_lt_i16_e32 vcc_lo, 0, v3
	s_mov_b32 s2, 0
	s_cbranch_vccz .LBB337_526
; %bb.525:
	global_load_i8 v5, v[1:2], off
	s_waitcnt vmcnt(0)
	v_cvt_f16_i16_e32 v6, v5
	s_branch .LBB337_527
.LBB337_526:
	s_mov_b32 s2, -1
                                        ; implicit-def: $vgpr6
.LBB337_527:
	s_delay_alu instid0(SALU_CYCLE_1)
	s_and_not1_b32 vcc_lo, exec_lo, s2
	s_cbranch_vccnz .LBB337_529
; %bb.528:
	global_load_u8 v1, v[1:2], off
	s_waitcnt vmcnt(0)
	v_cvt_f16_u16_e32 v6, v1
.LBB337_529:
	s_branch .LBB337_287
.LBB337_530:
	s_mov_b32 s24, 0
	s_mov_b32 s2, s37
.LBB337_531:
                                        ; implicit-def: $vgpr4
.LBB337_532:
	s_and_not1_b32 s25, s37, exec_lo
	s_and_b32 s2, s2, exec_lo
	s_and_not1_b32 s40, s38, exec_lo
	s_and_b32 s3, s3, exec_lo
	s_or_b32 s41, s25, s2
	s_or_b32 s40, s40, s3
	s_or_not1_b32 s2, s24, exec_lo
.LBB337_533:
	s_or_b32 exec_lo, exec_lo, s42
	s_mov_b32 s3, 0
	s_mov_b32 s25, 0
	;; [unrolled: 1-line block ×3, first 2 shown]
                                        ; implicit-def: $vgpr1_vgpr2
                                        ; implicit-def: $vgpr0
                                        ; implicit-def: $vgpr5
	s_and_saveexec_b32 s42, s2
	s_cbranch_execz .LBB337_905
; %bb.534:
	s_mov_b32 s45, -1
	s_mov_b32 s24, s40
	s_mov_b32 s25, s41
	s_mov_b32 s43, exec_lo
	v_cmpx_gt_i32_e64 s34, v4
	s_cbranch_execz .LBB337_806
; %bb.535:
	s_and_not1_b32 vcc_lo, exec_lo, s29
	s_cbranch_vccnz .LBB337_540
; %bb.536:
	v_dual_mov_b32 v0, 0 :: v_dual_mov_b32 v1, 0
	s_and_not1_b32 vcc_lo, exec_lo, s36
	s_mov_b32 s44, 0
	s_cbranch_vccnz .LBB337_545
; %bb.537:
	v_mov_b32_e32 v0, 0
	s_add_i32 s46, s35, 1
	s_cmp_eq_u32 s27, 2
	s_mov_b32 s45, 0
	s_cbranch_scc1 .LBB337_541
; %bb.538:
	v_dual_mov_b32 v1, 0 :: v_dual_mov_b32 v0, 0
	v_mov_b32_e32 v2, v4
	s_and_b32 s45, s46, 28
	s_mov_b32 s47, 0
	s_mov_b64 s[2:3], s[22:23]
	s_mov_b64 s[24:25], s[16:17]
.LBB337_539:                            ; =>This Inner Loop Header: Depth=1
	s_clause 0x1
	s_load_b256 s[48:55], s[24:25], 0x4
	s_load_b128 s[64:67], s[24:25], 0x24
	s_load_b256 s[56:63], s[2:3], 0x0
	s_add_u32 s24, s24, 48
	s_addc_u32 s25, s25, 0
	s_add_i32 s47, s47, 4
	s_add_u32 s2, s2, 32
	s_addc_u32 s3, s3, 0
	s_cmp_eq_u32 s45, s47
	s_waitcnt lgkmcnt(0)
	v_mul_hi_u32 v5, s49, v2
	s_delay_alu instid0(VALU_DEP_1) | instskip(NEXT) | instid1(VALU_DEP_1)
	v_add_nc_u32_e32 v5, v2, v5
	v_lshrrev_b32_e32 v5, s50, v5
	s_waitcnt vmcnt(0)
	s_delay_alu instid0(VALU_DEP_1) | instskip(SKIP_1) | instid1(VALU_DEP_2)
	v_mul_hi_u32 v6, s52, v5
	v_mul_lo_u32 v8, v5, s48
	v_add_nc_u32_e32 v6, v5, v6
	s_delay_alu instid0(VALU_DEP_2) | instskip(NEXT) | instid1(VALU_DEP_2)
	v_sub_nc_u32_e32 v2, v2, v8
	v_lshrrev_b32_e32 v6, s53, v6
	s_delay_alu instid0(VALU_DEP_2) | instskip(SKIP_1) | instid1(VALU_DEP_3)
	v_mul_lo_u32 v8, v2, s56
	v_mul_lo_u32 v10, v2, s57
	v_mul_hi_u32 v7, s55, v6
	s_delay_alu instid0(VALU_DEP_1) | instskip(NEXT) | instid1(VALU_DEP_1)
	v_add_nc_u32_e32 v7, v6, v7
	v_lshrrev_b32_e32 v7, s64, v7
	s_delay_alu instid0(VALU_DEP_1) | instskip(SKIP_1) | instid1(VALU_DEP_2)
	v_mul_hi_u32 v9, s66, v7
	v_mul_lo_u32 v11, v7, s54
	v_add_nc_u32_e32 v2, v7, v9
	v_mul_lo_u32 v9, v6, s51
	s_delay_alu instid0(VALU_DEP_3) | instskip(NEXT) | instid1(VALU_DEP_3)
	v_sub_nc_u32_e32 v6, v6, v11
	v_lshrrev_b32_e32 v2, s67, v2
	s_delay_alu instid0(VALU_DEP_2) | instskip(SKIP_2) | instid1(VALU_DEP_4)
	v_mul_lo_u32 v11, v6, s60
	v_mul_lo_u32 v6, v6, s61
	v_sub_nc_u32_e32 v5, v5, v9
	v_mul_lo_u32 v12, v2, s65
	s_delay_alu instid0(VALU_DEP_2) | instskip(SKIP_1) | instid1(VALU_DEP_3)
	v_mul_lo_u32 v9, v5, s58
	v_mul_lo_u32 v5, v5, s59
	v_sub_nc_u32_e32 v7, v7, v12
	s_delay_alu instid0(VALU_DEP_3) | instskip(NEXT) | instid1(VALU_DEP_2)
	v_add3_u32 v0, v8, v0, v9
	v_mul_lo_u32 v12, v7, s62
	v_mul_lo_u32 v7, v7, s63
	v_add3_u32 v1, v10, v1, v5
	s_delay_alu instid0(VALU_DEP_3) | instskip(NEXT) | instid1(VALU_DEP_2)
	v_add3_u32 v0, v11, v0, v12
	v_add3_u32 v1, v6, v1, v7
	s_cbranch_scc0 .LBB337_539
	s_branch .LBB337_542
.LBB337_540:
	s_mov_b32 s44, -1
                                        ; implicit-def: $vgpr0
                                        ; implicit-def: $vgpr1
	s_branch .LBB337_545
.LBB337_541:
	v_dual_mov_b32 v2, v4 :: v_dual_mov_b32 v1, 0
.LBB337_542:
	s_and_b32 s46, s46, 3
	s_delay_alu instid0(SALU_CYCLE_1)
	s_cmp_eq_u32 s46, 0
	s_cbranch_scc1 .LBB337_545
; %bb.543:
	s_lshl_b32 s2, s45, 3
	s_mul_i32 s24, s45, 12
	s_add_u32 s2, s2, s16
	s_addc_u32 s3, s17, 0
	s_add_u32 s2, s2, 0xc4
	s_addc_u32 s3, s3, 0
	;; [unrolled: 2-line block ×3, first 2 shown]
	.p2align	6
.LBB337_544:                            ; =>This Inner Loop Header: Depth=1
	s_clause 0x1
	s_load_b64 s[48:49], s[24:25], 0x4
	s_load_b32 s45, s[24:25], 0xc
	s_load_b64 s[50:51], s[2:3], 0x0
	s_add_u32 s24, s24, 12
	s_addc_u32 s25, s25, 0
	s_add_u32 s2, s2, 8
	s_addc_u32 s3, s3, 0
	s_add_i32 s46, s46, -1
	s_delay_alu instid0(SALU_CYCLE_1) | instskip(SKIP_2) | instid1(VALU_DEP_1)
	s_cmp_lg_u32 s46, 0
	s_waitcnt lgkmcnt(0)
	v_mul_hi_u32 v5, s49, v2
	v_add_nc_u32_e32 v5, v2, v5
	s_delay_alu instid0(VALU_DEP_1) | instskip(NEXT) | instid1(VALU_DEP_1)
	v_lshrrev_b32_e32 v8, s45, v5
	v_mul_lo_u32 v5, v8, s48
	s_delay_alu instid0(VALU_DEP_1) | instskip(SKIP_1) | instid1(VALU_DEP_1)
	v_sub_nc_u32_e32 v2, v2, v5
	s_waitcnt vmcnt(0)
	v_mad_u64_u32 v[5:6], null, v2, s50, v[0:1]
	v_mad_u64_u32 v[6:7], null, v2, s51, v[1:2]
	v_mov_b32_e32 v2, v8
	s_delay_alu instid0(VALU_DEP_2)
	v_dual_mov_b32 v0, v5 :: v_dual_mov_b32 v1, v6
	s_cbranch_scc1 .LBB337_544
.LBB337_545:
	s_and_not1_b32 vcc_lo, exec_lo, s44
	s_cbranch_vccnz .LBB337_548
; %bb.546:
	v_mul_hi_u32 v0, s13, v4
	s_and_not1_b32 vcc_lo, exec_lo, s33
	s_delay_alu instid0(VALU_DEP_1) | instskip(NEXT) | instid1(VALU_DEP_1)
	v_add_nc_u32_e32 v0, v4, v0
	v_lshrrev_b32_e32 v2, s14, v0
	s_delay_alu instid0(VALU_DEP_1) | instskip(NEXT) | instid1(VALU_DEP_1)
	v_mul_lo_u32 v0, v2, s12
	v_sub_nc_u32_e32 v1, v4, v0
	s_delay_alu instid0(VALU_DEP_1)
	v_mul_lo_u32 v0, v1, s8
	v_mul_lo_u32 v1, v1, s9
	s_cbranch_vccnz .LBB337_548
; %bb.547:
	v_mul_hi_u32 v5, s20, v2
	s_delay_alu instid0(VALU_DEP_1) | instskip(NEXT) | instid1(VALU_DEP_1)
	v_add_nc_u32_e32 v5, v2, v5
	v_lshrrev_b32_e32 v5, s21, v5
	s_delay_alu instid0(VALU_DEP_1) | instskip(NEXT) | instid1(VALU_DEP_1)
	v_mul_lo_u32 v5, v5, s15
	v_sub_nc_u32_e32 v2, v2, v5
	s_waitcnt vmcnt(0)
	s_delay_alu instid0(VALU_DEP_1) | instskip(SKIP_1) | instid1(VALU_DEP_1)
	v_mad_u64_u32 v[5:6], null, v2, s10, v[0:1]
	v_mad_u64_u32 v[6:7], null, v2, s11, v[1:2]
	v_dual_mov_b32 v0, v5 :: v_dual_mov_b32 v1, v6
.LBB337_548:
	v_cmp_gt_i16_e32 vcc_lo, 11, v3
	s_delay_alu instid0(VALU_DEP_2) | instskip(NEXT) | instid1(VALU_DEP_1)
	v_add_co_u32 v1, s2, s6, v1
	v_add_co_ci_u32_e64 v2, null, s7, 0, s2
	s_mov_b32 s2, 0
	s_cbranch_vccnz .LBB337_555
; %bb.549:
	v_cmp_lt_i16_e32 vcc_lo, 25, v3
	s_cbranch_vccz .LBB337_556
; %bb.550:
	v_cmp_lt_i16_e32 vcc_lo, 28, v3
	s_cbranch_vccz .LBB337_557
	;; [unrolled: 3-line block ×4, first 2 shown]
; %bb.553:
	v_cmp_eq_u16_e32 vcc_lo, 46, v3
	s_mov_b32 s24, 0
	s_cbranch_vccz .LBB337_564
; %bb.554:
	global_load_b32 v5, v[1:2], off
	s_mov_b32 s2, -1
	s_mov_b32 s3, 0
	s_waitcnt vmcnt(0)
	v_lshlrev_b32_e32 v5, 16, v5
	s_delay_alu instid0(VALU_DEP_1)
	v_cvt_f16_f32_e32 v6, v5
	s_branch .LBB337_566
.LBB337_555:
	s_mov_b32 s24, -1
	s_mov_b32 s3, s40
                                        ; implicit-def: $vgpr6
	s_branch .LBB337_631
.LBB337_556:
	s_mov_b32 s24, -1
	s_mov_b32 s3, s40
                                        ; implicit-def: $vgpr6
	s_branch .LBB337_595
.LBB337_557:
	s_mov_b32 s24, -1
	s_mov_b32 s3, s40
                                        ; implicit-def: $vgpr6
	s_branch .LBB337_576
.LBB337_558:
	s_mov_b32 s24, -1
	s_mov_b32 s3, s40
                                        ; implicit-def: $vgpr6
	s_branch .LBB337_571
.LBB337_559:
	s_or_saveexec_b32 s40, s40
                                        ; implicit-def: $sgpr41
	s_delay_alu instid0(SALU_CYCLE_1)
	s_xor_b32 exec_lo, exec_lo, s40
	s_cbranch_execz .LBB337_370
.LBB337_560:
	v_add_f32_e64 v7, 0x46000000, |v6|
	s_and_not1_b32 s25, s25, exec_lo
	s_mov_b32 s41, 0
	s_delay_alu instid0(VALU_DEP_1) | instskip(NEXT) | instid1(VALU_DEP_1)
	v_and_b32_e32 v7, 0xff, v7
	v_cmp_ne_u32_e32 vcc_lo, 0, v7
	s_and_b32 s43, vcc_lo, exec_lo
	s_delay_alu instid0(SALU_CYCLE_1)
	s_or_b32 s25, s25, s43
	s_or_b32 exec_lo, exec_lo, s40
	v_mov_b32_e32 v8, s41
	s_and_saveexec_b32 s40, s25
	s_cbranch_execnz .LBB337_371
	s_branch .LBB337_372
.LBB337_561:
	s_mov_b32 s24, -1
	s_mov_b32 s3, s40
	s_branch .LBB337_565
.LBB337_562:
	s_or_saveexec_b32 s40, s40
                                        ; implicit-def: $sgpr41
	s_delay_alu instid0(SALU_CYCLE_1)
	s_xor_b32 exec_lo, exec_lo, s40
	s_cbranch_execz .LBB337_383
.LBB337_563:
	v_add_f32_e64 v7, 0x42800000, |v6|
	s_and_not1_b32 s25, s25, exec_lo
	s_mov_b32 s41, 0
	s_delay_alu instid0(VALU_DEP_1) | instskip(NEXT) | instid1(VALU_DEP_1)
	v_and_b32_e32 v7, 0xff, v7
	v_cmp_ne_u32_e32 vcc_lo, 0, v7
	s_and_b32 s43, vcc_lo, exec_lo
	s_delay_alu instid0(SALU_CYCLE_1)
	s_or_b32 s25, s25, s43
	s_or_b32 exec_lo, exec_lo, s40
	v_mov_b32_e32 v8, s41
	s_and_saveexec_b32 s40, s25
	s_cbranch_execnz .LBB337_384
	s_branch .LBB337_385
.LBB337_564:
	s_mov_b32 s3, -1
.LBB337_565:
                                        ; implicit-def: $vgpr6
.LBB337_566:
	s_and_b32 vcc_lo, exec_lo, s24
	s_cbranch_vccz .LBB337_570
; %bb.567:
	v_cmp_eq_u16_e32 vcc_lo, 44, v3
	s_cbranch_vccz .LBB337_569
; %bb.568:
	global_load_u8 v5, v[1:2], off
	s_mov_b32 s3, 0
	s_mov_b32 s2, -1
	s_waitcnt vmcnt(0)
	v_lshlrev_b32_e32 v6, 23, v5
	v_cmp_ne_u32_e32 vcc_lo, 0xff, v5
	s_delay_alu instid0(VALU_DEP_2) | instskip(NEXT) | instid1(VALU_DEP_1)
	v_cvt_f16_f32_e32 v6, v6
	v_cndmask_b32_e32 v6, 0x7e00, v6, vcc_lo
	v_cmp_ne_u32_e32 vcc_lo, 0, v5
	s_delay_alu instid0(VALU_DEP_2)
	v_cndmask_b32_e32 v6, 0, v6, vcc_lo
	s_branch .LBB337_570
.LBB337_569:
	s_mov_b32 s3, -1
                                        ; implicit-def: $vgpr6
.LBB337_570:
	s_mov_b32 s24, 0
.LBB337_571:
	s_delay_alu instid0(SALU_CYCLE_1)
	s_and_b32 vcc_lo, exec_lo, s24
	s_cbranch_vccz .LBB337_575
; %bb.572:
	v_cmp_eq_u16_e32 vcc_lo, 29, v3
	s_cbranch_vccz .LBB337_574
; %bb.573:
	global_load_b64 v[5:6], v[1:2], off
	s_mov_b32 s2, -1
	s_mov_b32 s3, 0
	s_mov_b32 s24, 0
	s_waitcnt vmcnt(0)
	v_clz_i32_u32_e32 v7, v6
	s_delay_alu instid0(VALU_DEP_1) | instskip(NEXT) | instid1(VALU_DEP_1)
	v_min_u32_e32 v7, 32, v7
	v_lshlrev_b64 v[5:6], v7, v[5:6]
	s_delay_alu instid0(VALU_DEP_1) | instskip(NEXT) | instid1(VALU_DEP_1)
	v_min_u32_e32 v5, 1, v5
	v_or_b32_e32 v5, v6, v5
	v_sub_nc_u32_e32 v6, 32, v7
	s_delay_alu instid0(VALU_DEP_2) | instskip(NEXT) | instid1(VALU_DEP_1)
	v_cvt_f32_u32_e32 v5, v5
	v_ldexp_f32 v5, v5, v6
	s_delay_alu instid0(VALU_DEP_1)
	v_cvt_f16_f32_e32 v6, v5
	s_branch .LBB337_576
.LBB337_574:
	s_mov_b32 s3, -1
                                        ; implicit-def: $vgpr6
.LBB337_575:
	s_mov_b32 s24, 0
.LBB337_576:
	s_delay_alu instid0(SALU_CYCLE_1)
	s_and_b32 vcc_lo, exec_lo, s24
	s_cbranch_vccz .LBB337_594
; %bb.577:
	v_cmp_gt_i16_e32 vcc_lo, 27, v3
	s_cbranch_vccnz .LBB337_580
; %bb.578:
	v_cmp_lt_i16_e32 vcc_lo, 27, v3
	s_cbranch_vccz .LBB337_581
; %bb.579:
	global_load_b32 v5, v[1:2], off
	s_mov_b32 s2, 0
	s_waitcnt vmcnt(0)
	v_cvt_f32_u32_e32 v5, v5
	s_delay_alu instid0(VALU_DEP_1)
	v_cvt_f16_f32_e32 v6, v5
	s_branch .LBB337_582
.LBB337_580:
	s_mov_b32 s2, -1
                                        ; implicit-def: $vgpr6
	s_branch .LBB337_585
.LBB337_581:
	s_mov_b32 s2, -1
                                        ; implicit-def: $vgpr6
.LBB337_582:
	s_delay_alu instid0(SALU_CYCLE_1)
	s_and_not1_b32 vcc_lo, exec_lo, s2
	s_cbranch_vccnz .LBB337_584
; %bb.583:
	global_load_u16 v5, v[1:2], off
	s_waitcnt vmcnt(0)
	v_cvt_f16_u16_e32 v6, v5
.LBB337_584:
	s_mov_b32 s2, 0
.LBB337_585:
	s_delay_alu instid0(SALU_CYCLE_1)
	s_and_not1_b32 vcc_lo, exec_lo, s2
	s_cbranch_vccnz .LBB337_593
; %bb.586:
	global_load_u8 v5, v[1:2], off
	s_mov_b32 s2, 0
	s_mov_b32 s25, exec_lo
                                        ; implicit-def: $sgpr24
	s_waitcnt vmcnt(0)
	v_cmpx_lt_i16_e32 0x7f, v5
	s_xor_b32 s25, exec_lo, s25
	s_cbranch_execz .LBB337_607
; %bb.587:
	s_mov_b32 s2, -1
	s_mov_b32 s44, exec_lo
                                        ; implicit-def: $sgpr24
	v_cmpx_eq_u16_e32 0x80, v5
; %bb.588:
	s_movk_i32 s24, 0x7e00
	s_xor_b32 s2, exec_lo, -1
; %bb.589:
	s_or_b32 exec_lo, exec_lo, s44
	s_delay_alu instid0(SALU_CYCLE_1)
	s_and_b32 s2, s2, exec_lo
	s_or_saveexec_b32 s25, s25
	v_mov_b32_e32 v6, s24
	s_xor_b32 exec_lo, exec_lo, s25
	s_cbranch_execnz .LBB337_608
.LBB337_590:
	s_or_b32 exec_lo, exec_lo, s25
	s_and_saveexec_b32 s24, s2
	s_cbranch_execz .LBB337_592
.LBB337_591:
	v_and_b32_e32 v6, 0xffff, v5
	v_lshlrev_b32_e32 v5, 24, v5
	s_delay_alu instid0(VALU_DEP_2) | instskip(NEXT) | instid1(VALU_DEP_2)
	v_and_b32_e32 v7, 7, v6
	v_and_b32_e32 v5, 0x80000000, v5
	s_delay_alu instid0(VALU_DEP_2) | instskip(NEXT) | instid1(VALU_DEP_1)
	v_clz_i32_u32_e32 v8, v7
	v_min_u32_e32 v8, 32, v8
	s_delay_alu instid0(VALU_DEP_1) | instskip(SKIP_1) | instid1(VALU_DEP_2)
	v_subrev_nc_u32_e32 v9, 28, v8
	v_sub_nc_u32_e32 v8, 29, v8
	v_lshlrev_b32_e32 v9, v9, v6
	v_bfe_u32 v6, v6, 3, 4
	s_delay_alu instid0(VALU_DEP_2) | instskip(NEXT) | instid1(VALU_DEP_2)
	v_and_b32_e32 v9, 7, v9
	v_cmp_eq_u32_e32 vcc_lo, 0, v6
	s_delay_alu instid0(VALU_DEP_2) | instskip(NEXT) | instid1(VALU_DEP_1)
	v_dual_cndmask_b32 v6, v6, v8 :: v_dual_cndmask_b32 v7, v7, v9
	v_lshl_add_u32 v6, v6, 23, 0x3b800000
	s_delay_alu instid0(VALU_DEP_2) | instskip(NEXT) | instid1(VALU_DEP_1)
	v_lshlrev_b32_e32 v7, 20, v7
	v_or3_b32 v5, v5, v6, v7
	s_delay_alu instid0(VALU_DEP_1)
	v_cvt_f16_f32_e32 v6, v5
.LBB337_592:
	s_or_b32 exec_lo, exec_lo, s24
.LBB337_593:
	s_mov_b32 s2, -1
.LBB337_594:
	s_mov_b32 s24, 0
.LBB337_595:
	s_delay_alu instid0(SALU_CYCLE_1)
	s_and_b32 vcc_lo, exec_lo, s24
	s_cbranch_vccz .LBB337_630
; %bb.596:
	v_cmp_lt_i16_e32 vcc_lo, 22, v3
	s_cbranch_vccz .LBB337_606
; %bb.597:
	v_cmp_gt_i16_e32 vcc_lo, 24, v3
	s_cbranch_vccnz .LBB337_609
; %bb.598:
	v_cmp_lt_i16_e32 vcc_lo, 24, v3
	s_cbranch_vccz .LBB337_610
; %bb.599:
	global_load_u8 v5, v[1:2], off
	s_mov_b32 s2, 0
	s_mov_b32 s25, exec_lo
                                        ; implicit-def: $sgpr24
	s_waitcnt vmcnt(0)
	v_cmpx_lt_i16_e32 0x7f, v5
	s_xor_b32 s25, exec_lo, s25
	s_cbranch_execz .LBB337_622
; %bb.600:
	s_mov_b32 s2, -1
	s_mov_b32 s44, exec_lo
                                        ; implicit-def: $sgpr24
	v_cmpx_eq_u16_e32 0x80, v5
; %bb.601:
	s_movk_i32 s24, 0x7e00
	s_xor_b32 s2, exec_lo, -1
; %bb.602:
	s_or_b32 exec_lo, exec_lo, s44
	s_delay_alu instid0(SALU_CYCLE_1)
	s_and_b32 s2, s2, exec_lo
	s_or_saveexec_b32 s25, s25
	v_mov_b32_e32 v6, s24
	s_xor_b32 exec_lo, exec_lo, s25
	s_cbranch_execnz .LBB337_623
.LBB337_603:
	s_or_b32 exec_lo, exec_lo, s25
	s_and_saveexec_b32 s24, s2
	s_cbranch_execz .LBB337_605
.LBB337_604:
	v_and_b32_e32 v6, 0xffff, v5
	v_lshlrev_b32_e32 v5, 24, v5
	s_delay_alu instid0(VALU_DEP_2) | instskip(NEXT) | instid1(VALU_DEP_2)
	v_and_b32_e32 v7, 3, v6
	v_and_b32_e32 v5, 0x80000000, v5
	s_delay_alu instid0(VALU_DEP_2) | instskip(NEXT) | instid1(VALU_DEP_1)
	v_clz_i32_u32_e32 v8, v7
	v_min_u32_e32 v8, 32, v8
	s_delay_alu instid0(VALU_DEP_1) | instskip(SKIP_1) | instid1(VALU_DEP_2)
	v_subrev_nc_u32_e32 v9, 29, v8
	v_sub_nc_u32_e32 v8, 30, v8
	v_lshlrev_b32_e32 v9, v9, v6
	v_bfe_u32 v6, v6, 2, 5
	s_delay_alu instid0(VALU_DEP_2) | instskip(NEXT) | instid1(VALU_DEP_2)
	v_and_b32_e32 v9, 3, v9
	v_cmp_eq_u32_e32 vcc_lo, 0, v6
	s_delay_alu instid0(VALU_DEP_2) | instskip(NEXT) | instid1(VALU_DEP_1)
	v_dual_cndmask_b32 v6, v6, v8 :: v_dual_cndmask_b32 v7, v7, v9
	v_lshl_add_u32 v6, v6, 23, 0x37800000
	s_delay_alu instid0(VALU_DEP_2) | instskip(NEXT) | instid1(VALU_DEP_1)
	v_lshlrev_b32_e32 v7, 21, v7
	v_or3_b32 v5, v5, v6, v7
	s_delay_alu instid0(VALU_DEP_1)
	v_cvt_f16_f32_e32 v6, v5
.LBB337_605:
	s_or_b32 exec_lo, exec_lo, s24
	s_mov_b32 s2, 0
	s_branch .LBB337_611
.LBB337_606:
	s_mov_b32 s24, -1
                                        ; implicit-def: $vgpr6
	s_branch .LBB337_617
.LBB337_607:
	s_or_saveexec_b32 s25, s25
	v_mov_b32_e32 v6, s24
	s_xor_b32 exec_lo, exec_lo, s25
	s_cbranch_execz .LBB337_590
.LBB337_608:
	v_cmp_ne_u16_e32 vcc_lo, 0, v5
	v_mov_b32_e32 v6, v5
	s_and_not1_b32 s2, s2, exec_lo
	s_and_b32 s24, vcc_lo, exec_lo
	s_delay_alu instid0(SALU_CYCLE_1)
	s_or_b32 s2, s2, s24
	s_or_b32 exec_lo, exec_lo, s25
	s_and_saveexec_b32 s24, s2
	s_cbranch_execnz .LBB337_591
	s_branch .LBB337_592
.LBB337_609:
	s_mov_b32 s2, -1
                                        ; implicit-def: $vgpr6
	s_branch .LBB337_614
.LBB337_610:
	s_mov_b32 s2, -1
                                        ; implicit-def: $vgpr6
.LBB337_611:
	s_delay_alu instid0(SALU_CYCLE_1)
	s_and_b32 vcc_lo, exec_lo, s2
	s_cbranch_vccz .LBB337_613
; %bb.612:
	global_load_u8 v5, v[1:2], off
	s_waitcnt vmcnt(0)
	v_lshlrev_b32_e32 v5, 24, v5
	s_delay_alu instid0(VALU_DEP_1) | instskip(NEXT) | instid1(VALU_DEP_1)
	v_and_b32_e32 v6, 0x7f000000, v5
	v_clz_i32_u32_e32 v7, v6
	v_add_nc_u32_e32 v9, 0x1000000, v6
	v_cmp_ne_u32_e32 vcc_lo, 0, v6
	s_delay_alu instid0(VALU_DEP_3) | instskip(NEXT) | instid1(VALU_DEP_1)
	v_min_u32_e32 v7, 32, v7
	v_sub_nc_u32_e64 v7, v7, 4 clamp
	s_delay_alu instid0(VALU_DEP_1) | instskip(SKIP_1) | instid1(VALU_DEP_2)
	v_lshlrev_b32_e32 v8, v7, v6
	v_lshlrev_b32_e32 v7, 23, v7
	v_lshrrev_b32_e32 v8, 4, v8
	s_delay_alu instid0(VALU_DEP_1) | instskip(SKIP_1) | instid1(VALU_DEP_2)
	v_sub_nc_u32_e32 v7, v8, v7
	v_ashrrev_i32_e32 v8, 8, v9
	v_add_nc_u32_e32 v7, 0x3c000000, v7
	s_delay_alu instid0(VALU_DEP_1) | instskip(NEXT) | instid1(VALU_DEP_1)
	v_and_or_b32 v7, 0x7f800000, v8, v7
	v_cndmask_b32_e32 v6, 0, v7, vcc_lo
	s_delay_alu instid0(VALU_DEP_1) | instskip(NEXT) | instid1(VALU_DEP_1)
	v_and_or_b32 v5, 0x80000000, v5, v6
	v_cvt_f16_f32_e32 v6, v5
.LBB337_613:
	s_mov_b32 s2, 0
.LBB337_614:
	s_delay_alu instid0(SALU_CYCLE_1)
	s_and_not1_b32 vcc_lo, exec_lo, s2
	s_cbranch_vccnz .LBB337_616
; %bb.615:
	global_load_u8 v5, v[1:2], off
	s_waitcnt vmcnt(0)
	v_lshlrev_b32_e32 v6, 25, v5
	v_lshlrev_b16 v5, 8, v5
	s_delay_alu instid0(VALU_DEP_2) | instskip(NEXT) | instid1(VALU_DEP_2)
	v_lshrrev_b32_e32 v7, 4, v6
	v_and_or_b32 v8, 0x7f00, v5, 0.5
	v_bfe_i32 v5, v5, 0, 16
	s_delay_alu instid0(VALU_DEP_3) | instskip(NEXT) | instid1(VALU_DEP_1)
	v_or_b32_e32 v7, 0x70000000, v7
	v_dual_add_f32 v8, -0.5, v8 :: v_dual_mul_f32 v7, 0x7800000, v7
	v_cmp_gt_u32_e32 vcc_lo, 0x8000000, v6
	s_delay_alu instid0(VALU_DEP_2) | instskip(NEXT) | instid1(VALU_DEP_1)
	v_cndmask_b32_e32 v6, v7, v8, vcc_lo
	v_and_or_b32 v5, 0x80000000, v5, v6
	s_delay_alu instid0(VALU_DEP_1)
	v_cvt_f16_f32_e32 v6, v5
.LBB337_616:
	s_mov_b32 s24, 0
	s_mov_b32 s2, -1
.LBB337_617:
	s_and_not1_b32 vcc_lo, exec_lo, s24
	s_cbranch_vccnz .LBB337_630
; %bb.618:
	v_cmp_lt_i16_e32 vcc_lo, 14, v3
	s_cbranch_vccz .LBB337_621
; %bb.619:
	v_cmp_eq_u16_e32 vcc_lo, 15, v3
	s_cbranch_vccz .LBB337_624
; %bb.620:
	global_load_u16 v5, v[1:2], off
	s_mov_b32 s2, -1
	s_mov_b32 s3, 0
	s_waitcnt vmcnt(0)
	v_lshlrev_b32_e32 v5, 16, v5
	s_delay_alu instid0(VALU_DEP_1)
	v_cvt_f16_f32_e32 v6, v5
	s_branch .LBB337_625
.LBB337_621:
	s_mov_b32 s24, -1
                                        ; implicit-def: $vgpr6
	s_branch .LBB337_626
.LBB337_622:
	s_or_saveexec_b32 s25, s25
	v_mov_b32_e32 v6, s24
	s_xor_b32 exec_lo, exec_lo, s25
	s_cbranch_execz .LBB337_603
.LBB337_623:
	v_cmp_ne_u16_e32 vcc_lo, 0, v5
	v_mov_b32_e32 v6, v5
	s_and_not1_b32 s2, s2, exec_lo
	s_and_b32 s24, vcc_lo, exec_lo
	s_delay_alu instid0(SALU_CYCLE_1)
	s_or_b32 s2, s2, s24
	s_or_b32 exec_lo, exec_lo, s25
	s_and_saveexec_b32 s24, s2
	s_cbranch_execnz .LBB337_604
	s_branch .LBB337_605
.LBB337_624:
	s_mov_b32 s3, -1
                                        ; implicit-def: $vgpr6
.LBB337_625:
	s_mov_b32 s24, 0
.LBB337_626:
	s_delay_alu instid0(SALU_CYCLE_1)
	s_and_b32 vcc_lo, exec_lo, s24
	s_cbranch_vccz .LBB337_630
; %bb.627:
	v_cmp_eq_u16_e32 vcc_lo, 11, v3
	s_cbranch_vccz .LBB337_629
; %bb.628:
	global_load_u8 v5, v[1:2], off
	s_mov_b32 s3, 0
	s_mov_b32 s2, -1
	s_waitcnt vmcnt(0)
	v_cmp_ne_u16_e32 vcc_lo, 0, v5
	v_cndmask_b32_e64 v6, 0, 0x3c00, vcc_lo
	s_branch .LBB337_630
.LBB337_629:
	s_mov_b32 s3, -1
                                        ; implicit-def: $vgpr6
.LBB337_630:
	s_mov_b32 s24, 0
.LBB337_631:
	s_delay_alu instid0(SALU_CYCLE_1)
	s_and_b32 vcc_lo, exec_lo, s24
	s_cbranch_vccz .LBB337_680
; %bb.632:
	v_cmp_gt_i16_e32 vcc_lo, 5, v3
	s_cbranch_vccnz .LBB337_637
; %bb.633:
	v_cmp_gt_i16_e32 vcc_lo, 8, v3
	s_cbranch_vccnz .LBB337_638
	;; [unrolled: 3-line block ×3, first 2 shown]
; %bb.635:
	v_cmp_lt_i16_e32 vcc_lo, 9, v3
	s_cbranch_vccz .LBB337_640
; %bb.636:
	global_load_b64 v[5:6], v[1:2], off
	s_mov_b32 s2, 0
	s_waitcnt vmcnt(0)
	v_cvt_f32_f64_e32 v5, v[5:6]
	s_delay_alu instid0(VALU_DEP_1)
	v_cvt_f16_f32_e32 v6, v5
	s_branch .LBB337_641
.LBB337_637:
	s_mov_b32 s2, -1
                                        ; implicit-def: $vgpr6
	s_branch .LBB337_659
.LBB337_638:
	s_mov_b32 s2, -1
                                        ; implicit-def: $vgpr6
	s_branch .LBB337_647
.LBB337_639:
	s_mov_b32 s2, -1
                                        ; implicit-def: $vgpr6
	s_branch .LBB337_644
.LBB337_640:
	s_mov_b32 s2, -1
                                        ; implicit-def: $vgpr6
.LBB337_641:
	s_delay_alu instid0(SALU_CYCLE_1)
	s_and_not1_b32 vcc_lo, exec_lo, s2
	s_cbranch_vccnz .LBB337_643
; %bb.642:
	global_load_b32 v5, v[1:2], off
	s_waitcnt vmcnt(0)
	v_cvt_f16_f32_e32 v6, v5
.LBB337_643:
	s_mov_b32 s2, 0
.LBB337_644:
	s_delay_alu instid0(SALU_CYCLE_1)
	s_and_not1_b32 vcc_lo, exec_lo, s2
	s_cbranch_vccnz .LBB337_646
; %bb.645:
	global_load_b32 v6, v[1:2], off
.LBB337_646:
	s_mov_b32 s2, 0
.LBB337_647:
	s_delay_alu instid0(SALU_CYCLE_1)
	s_and_not1_b32 vcc_lo, exec_lo, s2
	s_cbranch_vccnz .LBB337_658
; %bb.648:
	v_cmp_gt_i16_e32 vcc_lo, 6, v3
	s_cbranch_vccnz .LBB337_651
; %bb.649:
	v_cmp_lt_i16_e32 vcc_lo, 6, v3
	s_cbranch_vccz .LBB337_652
; %bb.650:
	global_load_b64 v[5:6], v[1:2], off
	s_mov_b32 s2, 0
	s_waitcnt vmcnt(0)
	v_cvt_f32_f64_e32 v5, v[5:6]
	s_delay_alu instid0(VALU_DEP_1)
	v_cvt_f16_f32_e32 v6, v5
	s_branch .LBB337_653
.LBB337_651:
	s_mov_b32 s2, -1
                                        ; implicit-def: $vgpr6
	s_branch .LBB337_656
.LBB337_652:
	s_mov_b32 s2, -1
                                        ; implicit-def: $vgpr6
.LBB337_653:
	s_delay_alu instid0(SALU_CYCLE_1)
	s_and_not1_b32 vcc_lo, exec_lo, s2
	s_cbranch_vccnz .LBB337_655
; %bb.654:
	global_load_b32 v5, v[1:2], off
	s_waitcnt vmcnt(0)
	v_cvt_f16_f32_e32 v6, v5
.LBB337_655:
	s_mov_b32 s2, 0
.LBB337_656:
	s_delay_alu instid0(SALU_CYCLE_1)
	s_and_not1_b32 vcc_lo, exec_lo, s2
	s_cbranch_vccnz .LBB337_658
; %bb.657:
	global_load_u16 v6, v[1:2], off
.LBB337_658:
	s_mov_b32 s2, 0
.LBB337_659:
	s_delay_alu instid0(SALU_CYCLE_1)
	s_and_not1_b32 vcc_lo, exec_lo, s2
	s_cbranch_vccnz .LBB337_679
; %bb.660:
	v_cmp_gt_i16_e32 vcc_lo, 2, v3
	s_cbranch_vccnz .LBB337_664
; %bb.661:
	v_cmp_gt_i16_e32 vcc_lo, 3, v3
	s_cbranch_vccnz .LBB337_665
; %bb.662:
	v_cmp_lt_i16_e32 vcc_lo, 3, v3
	s_cbranch_vccz .LBB337_666
; %bb.663:
	global_load_b64 v[5:6], v[1:2], off
	s_mov_b32 s2, 0
	s_waitcnt vmcnt(0)
	v_xor_b32_e32 v7, v5, v6
	v_cls_i32_e32 v8, v6
	s_delay_alu instid0(VALU_DEP_2) | instskip(NEXT) | instid1(VALU_DEP_2)
	v_ashrrev_i32_e32 v7, 31, v7
	v_add_nc_u32_e32 v8, -1, v8
	s_delay_alu instid0(VALU_DEP_2) | instskip(NEXT) | instid1(VALU_DEP_1)
	v_add_nc_u32_e32 v7, 32, v7
	v_min_u32_e32 v7, v8, v7
	s_delay_alu instid0(VALU_DEP_1) | instskip(NEXT) | instid1(VALU_DEP_1)
	v_lshlrev_b64 v[5:6], v7, v[5:6]
	v_min_u32_e32 v5, 1, v5
	s_delay_alu instid0(VALU_DEP_1) | instskip(SKIP_1) | instid1(VALU_DEP_2)
	v_or_b32_e32 v5, v6, v5
	v_sub_nc_u32_e32 v6, 32, v7
	v_cvt_f32_i32_e32 v5, v5
	s_delay_alu instid0(VALU_DEP_1) | instskip(NEXT) | instid1(VALU_DEP_1)
	v_ldexp_f32 v5, v5, v6
	v_cvt_f16_f32_e32 v6, v5
	s_branch .LBB337_667
.LBB337_664:
	s_mov_b32 s2, -1
                                        ; implicit-def: $vgpr6
	s_branch .LBB337_673
.LBB337_665:
	s_mov_b32 s2, -1
                                        ; implicit-def: $vgpr6
	s_branch .LBB337_670
.LBB337_666:
	s_mov_b32 s2, -1
                                        ; implicit-def: $vgpr6
.LBB337_667:
	s_delay_alu instid0(SALU_CYCLE_1)
	s_and_not1_b32 vcc_lo, exec_lo, s2
	s_cbranch_vccnz .LBB337_669
; %bb.668:
	global_load_b32 v5, v[1:2], off
	s_waitcnt vmcnt(0)
	v_cvt_f32_i32_e32 v5, v5
	s_delay_alu instid0(VALU_DEP_1)
	v_cvt_f16_f32_e32 v6, v5
.LBB337_669:
	s_mov_b32 s2, 0
.LBB337_670:
	s_delay_alu instid0(SALU_CYCLE_1)
	s_and_not1_b32 vcc_lo, exec_lo, s2
	s_cbranch_vccnz .LBB337_672
; %bb.671:
	global_load_u16 v5, v[1:2], off
	s_waitcnt vmcnt(0)
	v_cvt_f16_i16_e32 v6, v5
.LBB337_672:
	s_mov_b32 s2, 0
.LBB337_673:
	s_delay_alu instid0(SALU_CYCLE_1)
	s_and_not1_b32 vcc_lo, exec_lo, s2
	s_cbranch_vccnz .LBB337_679
; %bb.674:
	v_cmp_lt_i16_e32 vcc_lo, 0, v3
	s_mov_b32 s2, 0
	s_cbranch_vccz .LBB337_676
; %bb.675:
	global_load_i8 v5, v[1:2], off
	s_waitcnt vmcnt(0)
	v_cvt_f16_i16_e32 v6, v5
	s_branch .LBB337_677
.LBB337_676:
	s_mov_b32 s2, -1
                                        ; implicit-def: $vgpr6
.LBB337_677:
	s_delay_alu instid0(SALU_CYCLE_1)
	s_and_not1_b32 vcc_lo, exec_lo, s2
	s_cbranch_vccnz .LBB337_679
; %bb.678:
	global_load_u8 v1, v[1:2], off
	s_waitcnt vmcnt(0)
	v_cvt_f16_u16_e32 v6, v1
.LBB337_679:
	s_mov_b32 s2, -1
.LBB337_680:
	s_delay_alu instid0(SALU_CYCLE_1)
	s_and_not1_b32 vcc_lo, exec_lo, s2
	s_cbranch_vccnz .LBB337_688
; %bb.681:
	s_waitcnt vmcnt(0)
	v_cmp_lt_f16_e32 vcc_lo, s18, v6
	v_and_b32_e64 v5, 0xff, s19
	v_cmp_u_f16_e64 s2, v6, v6
	s_mov_b32 s24, 0
	s_mov_b32 s25, -1
	v_cndmask_b32_e32 v1, s18, v6, vcc_lo
	s_delay_alu instid0(VALU_DEP_1) | instskip(SKIP_2) | instid1(VALU_DEP_2)
	v_cmp_gt_f16_e32 vcc_lo, s31, v1
	v_cndmask_b32_e32 v1, s31, v1, vcc_lo
	v_cmp_gt_i16_e32 vcc_lo, 11, v5
	v_cndmask_b32_e64 v2, v1, v6, s2
	v_add_co_u32 v0, s2, s4, v0
	s_delay_alu instid0(VALU_DEP_1)
	v_add_co_ci_u32_e64 v1, null, s5, 0, s2
	s_mov_b32 s2, s41
	s_cbranch_vccnz .LBB337_689
; %bb.682:
	v_cmp_lt_i16_e32 vcc_lo, 25, v5
	s_cbranch_vccz .LBB337_730
; %bb.683:
	v_cmp_lt_i16_e32 vcc_lo, 28, v5
	s_cbranch_vccz .LBB337_731
	;; [unrolled: 3-line block ×4, first 2 shown]
; %bb.686:
	v_cmp_eq_u16_e32 vcc_lo, 46, v5
	s_mov_b32 s25, 0
	s_mov_b32 s2, -1
	s_cbranch_vccz .LBB337_734
; %bb.687:
	v_cvt_f32_f16_e32 v6, v2
	v_cmp_o_f16_e32 vcc_lo, v2, v2
	s_mov_b32 s24, -1
	s_mov_b32 s2, 0
	s_delay_alu instid0(VALU_DEP_2) | instskip(NEXT) | instid1(VALU_DEP_1)
	v_bfe_u32 v7, v6, 16, 1
	v_add3_u32 v6, v6, v7, 0x7fff
	s_delay_alu instid0(VALU_DEP_1) | instskip(NEXT) | instid1(VALU_DEP_1)
	v_lshrrev_b32_e32 v6, 16, v6
	v_cndmask_b32_e32 v6, 0x7fc0, v6, vcc_lo
	global_store_b32 v[0:1], v6, off
	s_branch .LBB337_734
.LBB337_688:
	s_mov_b32 s44, 0
	s_mov_b32 s2, s41
	s_branch .LBB337_729
.LBB337_689:
	s_and_b32 vcc_lo, exec_lo, s25
	s_cbranch_vccz .LBB337_803
; %bb.690:
	v_cmp_gt_i16_e32 vcc_lo, 5, v5
	s_mov_b32 s24, -1
	s_cbranch_vccnz .LBB337_711
; %bb.691:
	v_cmp_gt_i16_e32 vcc_lo, 8, v5
	s_cbranch_vccnz .LBB337_701
; %bb.692:
	v_cmp_gt_i16_e32 vcc_lo, 9, v5
	s_cbranch_vccnz .LBB337_698
; %bb.693:
	v_cmp_lt_i16_e32 vcc_lo, 9, v5
	s_cbranch_vccz .LBB337_695
; %bb.694:
	v_cvt_f32_f16_e32 v6, v2
	v_mov_b32_e32 v8, 0
	s_mov_b32 s24, 0
	s_delay_alu instid0(VALU_DEP_2) | instskip(NEXT) | instid1(VALU_DEP_2)
	v_cvt_f64_f32_e32 v[6:7], v6
	v_mov_b32_e32 v9, v8
	global_store_b128 v[0:1], v[6:9], off
.LBB337_695:
	s_and_not1_b32 vcc_lo, exec_lo, s24
	s_cbranch_vccnz .LBB337_697
; %bb.696:
	v_cvt_f32_f16_e32 v6, v2
	v_mov_b32_e32 v7, 0
	global_store_b64 v[0:1], v[6:7], off
.LBB337_697:
	s_mov_b32 s24, 0
.LBB337_698:
	s_delay_alu instid0(SALU_CYCLE_1)
	s_and_not1_b32 vcc_lo, exec_lo, s24
	s_cbranch_vccnz .LBB337_700
; %bb.699:
	v_and_b32_e32 v6, 0xffff, v2
	global_store_b32 v[0:1], v6, off
.LBB337_700:
	s_mov_b32 s24, 0
.LBB337_701:
	s_delay_alu instid0(SALU_CYCLE_1)
	s_and_not1_b32 vcc_lo, exec_lo, s24
	s_cbranch_vccnz .LBB337_710
; %bb.702:
	v_cmp_gt_i16_e32 vcc_lo, 6, v5
	s_mov_b32 s24, -1
	s_cbranch_vccnz .LBB337_708
; %bb.703:
	v_cmp_lt_i16_e32 vcc_lo, 6, v5
	s_cbranch_vccz .LBB337_705
; %bb.704:
	v_cvt_f32_f16_e32 v6, v2
	s_mov_b32 s24, 0
	s_delay_alu instid0(VALU_DEP_1)
	v_cvt_f64_f32_e32 v[6:7], v6
	global_store_b64 v[0:1], v[6:7], off
.LBB337_705:
	s_and_not1_b32 vcc_lo, exec_lo, s24
	s_cbranch_vccnz .LBB337_707
; %bb.706:
	v_cvt_f32_f16_e32 v6, v2
	global_store_b32 v[0:1], v6, off
.LBB337_707:
	s_mov_b32 s24, 0
.LBB337_708:
	s_delay_alu instid0(SALU_CYCLE_1)
	s_and_not1_b32 vcc_lo, exec_lo, s24
	s_cbranch_vccnz .LBB337_710
; %bb.709:
	global_store_b16 v[0:1], v2, off
.LBB337_710:
	s_mov_b32 s24, 0
.LBB337_711:
	s_delay_alu instid0(SALU_CYCLE_1)
	s_and_not1_b32 vcc_lo, exec_lo, s24
	s_cbranch_vccnz .LBB337_727
; %bb.712:
	v_cmp_gt_i16_e32 vcc_lo, 2, v5
	s_mov_b32 s24, -1
	s_cbranch_vccnz .LBB337_722
; %bb.713:
	v_cmp_gt_i16_e32 vcc_lo, 3, v5
	s_cbranch_vccnz .LBB337_719
; %bb.714:
	v_cmp_lt_i16_e32 vcc_lo, 3, v5
	s_cbranch_vccz .LBB337_716
; %bb.715:
	v_cvt_f32_f16_e32 v6, v2
	s_mov_b32 s24, 0
	s_delay_alu instid0(VALU_DEP_1) | instskip(NEXT) | instid1(VALU_DEP_1)
	v_cvt_i32_f32_e32 v6, v6
	v_ashrrev_i32_e32 v7, 31, v6
	global_store_b64 v[0:1], v[6:7], off
.LBB337_716:
	s_and_not1_b32 vcc_lo, exec_lo, s24
	s_cbranch_vccnz .LBB337_718
; %bb.717:
	v_cvt_f32_f16_e32 v6, v2
	s_delay_alu instid0(VALU_DEP_1)
	v_cvt_i32_f32_e32 v6, v6
	global_store_b32 v[0:1], v6, off
.LBB337_718:
	s_mov_b32 s24, 0
.LBB337_719:
	s_delay_alu instid0(SALU_CYCLE_1)
	s_and_not1_b32 vcc_lo, exec_lo, s24
	s_cbranch_vccnz .LBB337_721
; %bb.720:
	v_cvt_i16_f16_e32 v6, v2
	global_store_b16 v[0:1], v6, off
.LBB337_721:
	s_mov_b32 s24, 0
.LBB337_722:
	s_delay_alu instid0(SALU_CYCLE_1)
	s_and_not1_b32 vcc_lo, exec_lo, s24
	s_cbranch_vccnz .LBB337_727
; %bb.723:
	v_cmp_lt_i16_e32 vcc_lo, 0, v5
	s_mov_b32 s24, -1
	s_cbranch_vccz .LBB337_725
; %bb.724:
	v_cvt_i16_f16_e32 v5, v2
	s_mov_b32 s24, 0
	global_store_b8 v[0:1], v5, off
.LBB337_725:
	s_and_not1_b32 vcc_lo, exec_lo, s24
	s_cbranch_vccnz .LBB337_727
; %bb.726:
	v_cvt_f32_f16_e32 v2, v2
	s_delay_alu instid0(VALU_DEP_1)
	v_cvt_i32_f32_e32 v2, v2
	global_store_b8 v[0:1], v2, off
.LBB337_727:
	s_branch .LBB337_804
.LBB337_728:
	s_mov_b32 s44, 0
.LBB337_729:
                                        ; implicit-def: $vgpr4
	s_branch .LBB337_805
.LBB337_730:
	s_mov_b32 s2, s41
	s_branch .LBB337_761
.LBB337_731:
	s_mov_b32 s2, s41
	s_branch .LBB337_744
.LBB337_732:
	s_mov_b32 s2, s41
	s_branch .LBB337_740
.LBB337_733:
	s_mov_b32 s2, s41
.LBB337_734:
	s_and_b32 vcc_lo, exec_lo, s25
	s_cbranch_vccz .LBB337_739
; %bb.735:
	v_cmp_eq_u16_e32 vcc_lo, 44, v5
	s_mov_b32 s2, -1
	s_cbranch_vccz .LBB337_739
; %bb.736:
	v_cvt_f32_f16_e32 v6, v2
	v_mov_b32_e32 v7, 0xff
	s_mov_b32 s24, exec_lo
	s_delay_alu instid0(VALU_DEP_2) | instskip(NEXT) | instid1(VALU_DEP_1)
	v_bfe_u32 v8, v6, 23, 8
	v_cmpx_ne_u32_e32 0xff, v8
; %bb.737:
	v_and_b32_e32 v7, 0x400000, v6
	v_and_or_b32 v8, 0x3fffff, v6, v8
	v_lshrrev_b32_e32 v6, 23, v6
	s_delay_alu instid0(VALU_DEP_3) | instskip(NEXT) | instid1(VALU_DEP_3)
	v_cmp_ne_u32_e32 vcc_lo, 0, v7
	v_cmp_ne_u32_e64 s2, 0, v8
	s_delay_alu instid0(VALU_DEP_1) | instskip(NEXT) | instid1(SALU_CYCLE_1)
	s_and_b32 s2, vcc_lo, s2
	v_cndmask_b32_e64 v7, 0, 1, s2
	s_delay_alu instid0(VALU_DEP_1)
	v_add_nc_u32_e32 v7, v6, v7
; %bb.738:
	s_or_b32 exec_lo, exec_lo, s24
	s_mov_b32 s24, -1
	s_mov_b32 s2, 0
	global_store_b8 v[0:1], v7, off
.LBB337_739:
	s_mov_b32 s25, 0
.LBB337_740:
	s_delay_alu instid0(SALU_CYCLE_1)
	s_and_b32 vcc_lo, exec_lo, s25
	s_cbranch_vccz .LBB337_743
; %bb.741:
	v_cmp_eq_u16_e32 vcc_lo, 29, v5
	s_mov_b32 s2, -1
	s_cbranch_vccz .LBB337_743
; %bb.742:
	v_cvt_f32_f16_e32 v6, v2
	v_mov_b32_e32 v7, 0
	s_mov_b32 s2, 0
	s_mov_b32 s24, -1
	s_mov_b32 s25, 0
	v_cvt_u32_f32_e32 v6, v6
	global_store_b64 v[0:1], v[6:7], off
	s_branch .LBB337_744
.LBB337_743:
	s_mov_b32 s25, 0
.LBB337_744:
	s_delay_alu instid0(SALU_CYCLE_1)
	s_and_b32 vcc_lo, exec_lo, s25
	s_cbranch_vccz .LBB337_760
; %bb.745:
	v_cmp_gt_i16_e32 vcc_lo, 27, v5
	s_mov_b32 s24, -1
	s_cbranch_vccnz .LBB337_751
; %bb.746:
	v_cmp_lt_i16_e32 vcc_lo, 27, v5
	s_cbranch_vccz .LBB337_748
; %bb.747:
	v_cvt_f32_f16_e32 v6, v2
	s_mov_b32 s24, 0
	s_delay_alu instid0(VALU_DEP_1)
	v_cvt_u32_f32_e32 v6, v6
	global_store_b32 v[0:1], v6, off
.LBB337_748:
	s_and_not1_b32 vcc_lo, exec_lo, s24
	s_cbranch_vccnz .LBB337_750
; %bb.749:
	v_cvt_u16_f16_e32 v6, v2
	global_store_b16 v[0:1], v6, off
.LBB337_750:
	s_mov_b32 s24, 0
.LBB337_751:
	s_delay_alu instid0(SALU_CYCLE_1)
	s_and_not1_b32 vcc_lo, exec_lo, s24
	s_cbranch_vccnz .LBB337_759
; %bb.752:
	v_cvt_f32_f16_e32 v6, v2
	v_mov_b32_e32 v8, 0x80
	s_mov_b32 s24, exec_lo
	s_delay_alu instid0(VALU_DEP_2) | instskip(NEXT) | instid1(VALU_DEP_1)
	v_and_b32_e32 v7, 0x7fffffff, v6
	v_cmpx_gt_u32_e32 0x43800000, v7
	s_cbranch_execz .LBB337_758
; %bb.753:
	v_cmp_lt_u32_e32 vcc_lo, 0x3bffffff, v7
	s_mov_b32 s25, 0
                                        ; implicit-def: $vgpr7
	s_and_saveexec_b32 s44, vcc_lo
	s_delay_alu instid0(SALU_CYCLE_1)
	s_xor_b32 s44, exec_lo, s44
	s_cbranch_execz .LBB337_832
; %bb.754:
	v_bfe_u32 v7, v6, 20, 1
	s_mov_b32 s25, exec_lo
	s_delay_alu instid0(VALU_DEP_1) | instskip(NEXT) | instid1(VALU_DEP_1)
	v_add3_u32 v7, v6, v7, 0x487ffff
	v_lshrrev_b32_e32 v7, 20, v7
	s_or_saveexec_b32 s44, s44
                                        ; implicit-def: $sgpr45
	s_delay_alu instid0(SALU_CYCLE_1)
	s_xor_b32 exec_lo, exec_lo, s44
	s_cbranch_execnz .LBB337_833
.LBB337_755:
	s_or_b32 exec_lo, exec_lo, s44
	v_mov_b32_e32 v8, s45
	s_and_saveexec_b32 s44, s25
.LBB337_756:
	v_lshrrev_b32_e32 v6, 24, v6
	s_delay_alu instid0(VALU_DEP_1)
	v_and_or_b32 v8, 0x80, v6, v7
.LBB337_757:
	s_or_b32 exec_lo, exec_lo, s44
.LBB337_758:
	s_delay_alu instid0(SALU_CYCLE_1)
	s_or_b32 exec_lo, exec_lo, s24
	global_store_b8 v[0:1], v8, off
.LBB337_759:
	s_mov_b32 s24, -1
.LBB337_760:
	s_mov_b32 s25, 0
.LBB337_761:
	s_delay_alu instid0(SALU_CYCLE_1)
	s_and_b32 vcc_lo, exec_lo, s25
	s_cbranch_vccz .LBB337_802
; %bb.762:
	v_cmp_lt_i16_e32 vcc_lo, 22, v5
	s_mov_b32 s25, -1
	s_cbranch_vccz .LBB337_794
; %bb.763:
	v_cmp_gt_i16_e32 vcc_lo, 24, v5
	s_mov_b32 s24, -1
	s_cbranch_vccnz .LBB337_783
; %bb.764:
	v_cmp_lt_i16_e32 vcc_lo, 24, v5
	s_cbranch_vccz .LBB337_772
; %bb.765:
	v_cvt_f32_f16_e32 v6, v2
	v_mov_b32_e32 v8, 0x80
	s_mov_b32 s24, exec_lo
	s_delay_alu instid0(VALU_DEP_2) | instskip(NEXT) | instid1(VALU_DEP_1)
	v_and_b32_e32 v7, 0x7fffffff, v6
	v_cmpx_gt_u32_e32 0x47800000, v7
	s_cbranch_execz .LBB337_771
; %bb.766:
	v_cmp_lt_u32_e32 vcc_lo, 0x37ffffff, v7
	s_mov_b32 s25, 0
                                        ; implicit-def: $vgpr7
	s_and_saveexec_b32 s44, vcc_lo
	s_delay_alu instid0(SALU_CYCLE_1)
	s_xor_b32 s44, exec_lo, s44
	s_cbranch_execz .LBB337_835
; %bb.767:
	v_bfe_u32 v7, v6, 21, 1
	s_mov_b32 s25, exec_lo
	s_delay_alu instid0(VALU_DEP_1) | instskip(NEXT) | instid1(VALU_DEP_1)
	v_add3_u32 v7, v6, v7, 0x88fffff
	v_lshrrev_b32_e32 v7, 21, v7
	s_or_saveexec_b32 s44, s44
                                        ; implicit-def: $sgpr45
	s_delay_alu instid0(SALU_CYCLE_1)
	s_xor_b32 exec_lo, exec_lo, s44
	s_cbranch_execnz .LBB337_836
.LBB337_768:
	s_or_b32 exec_lo, exec_lo, s44
	v_mov_b32_e32 v8, s45
	s_and_saveexec_b32 s44, s25
.LBB337_769:
	v_lshrrev_b32_e32 v6, 24, v6
	s_delay_alu instid0(VALU_DEP_1)
	v_and_or_b32 v8, 0x80, v6, v7
.LBB337_770:
	s_or_b32 exec_lo, exec_lo, s44
.LBB337_771:
	s_delay_alu instid0(SALU_CYCLE_1)
	s_or_b32 exec_lo, exec_lo, s24
	s_mov_b32 s24, 0
	global_store_b8 v[0:1], v8, off
.LBB337_772:
	s_and_b32 vcc_lo, exec_lo, s24
	s_cbranch_vccz .LBB337_782
; %bb.773:
	v_cvt_f32_f16_e32 v6, v2
	s_mov_b32 s24, exec_lo
                                        ; implicit-def: $vgpr7
	s_delay_alu instid0(VALU_DEP_1) | instskip(NEXT) | instid1(VALU_DEP_1)
	v_and_b32_e32 v8, 0x7fffffff, v6
	v_cmpx_gt_u32_e32 0x43f00000, v8
	s_xor_b32 s24, exec_lo, s24
	s_cbranch_execz .LBB337_779
; %bb.774:
	s_mov_b32 s25, exec_lo
                                        ; implicit-def: $vgpr7
	v_cmpx_lt_u32_e32 0x3c7fffff, v8
	s_xor_b32 s25, exec_lo, s25
; %bb.775:
	v_bfe_u32 v7, v6, 20, 1
	s_delay_alu instid0(VALU_DEP_1) | instskip(NEXT) | instid1(VALU_DEP_1)
	v_add3_u32 v7, v6, v7, 0x407ffff
	v_and_b32_e32 v8, 0xff00000, v7
	v_lshrrev_b32_e32 v7, 20, v7
	s_delay_alu instid0(VALU_DEP_2) | instskip(NEXT) | instid1(VALU_DEP_2)
	v_cmp_ne_u32_e32 vcc_lo, 0x7f00000, v8
	v_cndmask_b32_e32 v7, 0x7e, v7, vcc_lo
; %bb.776:
	s_and_not1_saveexec_b32 s25, s25
; %bb.777:
	v_add_f32_e64 v7, 0x46800000, |v6|
; %bb.778:
	s_or_b32 exec_lo, exec_lo, s25
                                        ; implicit-def: $vgpr8
.LBB337_779:
	s_and_not1_saveexec_b32 s24, s24
; %bb.780:
	v_mov_b32_e32 v7, 0x7f
	v_cmp_lt_u32_e32 vcc_lo, 0x7f800000, v8
	s_delay_alu instid0(VALU_DEP_2)
	v_cndmask_b32_e32 v7, 0x7e, v7, vcc_lo
; %bb.781:
	s_or_b32 exec_lo, exec_lo, s24
	v_lshrrev_b32_e32 v6, 24, v6
	s_delay_alu instid0(VALU_DEP_1)
	v_and_or_b32 v6, 0x80, v6, v7
	global_store_b8 v[0:1], v6, off
.LBB337_782:
	s_mov_b32 s24, 0
.LBB337_783:
	s_delay_alu instid0(SALU_CYCLE_1)
	s_and_not1_b32 vcc_lo, exec_lo, s24
	s_cbranch_vccnz .LBB337_793
; %bb.784:
	v_cvt_f32_f16_e32 v6, v2
	s_mov_b32 s24, exec_lo
                                        ; implicit-def: $vgpr7
	s_delay_alu instid0(VALU_DEP_1) | instskip(NEXT) | instid1(VALU_DEP_1)
	v_and_b32_e32 v8, 0x7fffffff, v6
	v_cmpx_gt_u32_e32 0x47800000, v8
	s_xor_b32 s24, exec_lo, s24
	s_cbranch_execz .LBB337_790
; %bb.785:
	s_mov_b32 s25, exec_lo
                                        ; implicit-def: $vgpr7
	v_cmpx_lt_u32_e32 0x387fffff, v8
	s_xor_b32 s25, exec_lo, s25
; %bb.786:
	v_bfe_u32 v7, v6, 21, 1
	s_delay_alu instid0(VALU_DEP_1) | instskip(NEXT) | instid1(VALU_DEP_1)
	v_add3_u32 v7, v6, v7, 0x80fffff
	v_lshrrev_b32_e32 v7, 21, v7
; %bb.787:
	s_and_not1_saveexec_b32 s25, s25
; %bb.788:
	v_add_f32_e64 v7, 0x43000000, |v6|
; %bb.789:
	s_or_b32 exec_lo, exec_lo, s25
                                        ; implicit-def: $vgpr8
.LBB337_790:
	s_and_not1_saveexec_b32 s24, s24
; %bb.791:
	v_mov_b32_e32 v7, 0x7f
	v_cmp_lt_u32_e32 vcc_lo, 0x7f800000, v8
	s_delay_alu instid0(VALU_DEP_2)
	v_cndmask_b32_e32 v7, 0x7c, v7, vcc_lo
; %bb.792:
	s_or_b32 exec_lo, exec_lo, s24
	v_lshrrev_b32_e32 v6, 24, v6
	s_delay_alu instid0(VALU_DEP_1)
	v_and_or_b32 v6, 0x80, v6, v7
	global_store_b8 v[0:1], v6, off
.LBB337_793:
	s_mov_b32 s25, 0
	s_mov_b32 s24, -1
.LBB337_794:
	s_and_not1_b32 vcc_lo, exec_lo, s25
	s_cbranch_vccnz .LBB337_802
; %bb.795:
	v_cmp_lt_i16_e32 vcc_lo, 14, v5
	s_mov_b32 s25, -1
	s_cbranch_vccz .LBB337_799
; %bb.796:
	v_cmp_eq_u16_e32 vcc_lo, 15, v5
	s_mov_b32 s2, -1
	s_cbranch_vccz .LBB337_798
; %bb.797:
	v_cvt_f32_f16_e32 v6, v2
	v_cmp_o_f16_e32 vcc_lo, v2, v2
	s_mov_b32 s24, -1
	s_mov_b32 s2, 0
	s_delay_alu instid0(VALU_DEP_2) | instskip(NEXT) | instid1(VALU_DEP_1)
	v_bfe_u32 v7, v6, 16, 1
	v_add3_u32 v6, v6, v7, 0x7fff
	s_delay_alu instid0(VALU_DEP_1) | instskip(NEXT) | instid1(VALU_DEP_1)
	v_lshrrev_b32_e32 v6, 16, v6
	v_cndmask_b32_e32 v6, 0x7fc0, v6, vcc_lo
	global_store_b16 v[0:1], v6, off
.LBB337_798:
	s_mov_b32 s25, 0
.LBB337_799:
	s_delay_alu instid0(SALU_CYCLE_1)
	s_and_b32 vcc_lo, exec_lo, s25
	s_cbranch_vccz .LBB337_802
; %bb.800:
	v_cmp_eq_u16_e32 vcc_lo, 11, v5
	s_mov_b32 s2, -1
	s_cbranch_vccz .LBB337_802
; %bb.801:
	v_and_b32_e32 v6, 0x7fff, v2
	s_mov_b32 s2, 0
	s_mov_b32 s24, -1
	s_delay_alu instid0(VALU_DEP_1)
	v_cmp_ne_u16_e32 vcc_lo, 0, v6
	v_cndmask_b32_e64 v6, 0, 1, vcc_lo
	global_store_b8 v[0:1], v6, off
.LBB337_802:
.LBB337_803:
	s_and_not1_b32 vcc_lo, exec_lo, s24
	s_cbranch_vccnz .LBB337_728
.LBB337_804:
	v_add_nc_u32_e32 v4, 0x80, v4
	s_mov_b32 s44, -1
.LBB337_805:
	s_and_not1_b32 s24, s41, exec_lo
	s_and_b32 s2, s2, exec_lo
	s_and_not1_b32 s45, s40, exec_lo
	s_and_b32 s3, s3, exec_lo
	s_or_b32 s25, s24, s2
	s_or_b32 s24, s45, s3
	s_or_not1_b32 s45, s44, exec_lo
.LBB337_806:
	s_or_b32 exec_lo, exec_lo, s43
	s_mov_b32 s2, 0
	s_mov_b32 s3, 0
	;; [unrolled: 1-line block ×3, first 2 shown]
                                        ; implicit-def: $vgpr1_vgpr2
                                        ; implicit-def: $vgpr0
                                        ; implicit-def: $vgpr5
	s_and_saveexec_b32 s43, s45
	s_cbranch_execz .LBB337_904
; %bb.807:
	v_cmp_gt_i32_e32 vcc_lo, s34, v4
	s_mov_b32 s46, s24
	s_mov_b32 s45, 0
                                        ; implicit-def: $vgpr1_vgpr2
                                        ; implicit-def: $vgpr0
                                        ; implicit-def: $vgpr5
	s_and_saveexec_b32 s34, vcc_lo
	s_cbranch_execz .LBB337_903
; %bb.808:
	s_and_not1_b32 vcc_lo, exec_lo, s29
	s_cbranch_vccnz .LBB337_813
; %bb.809:
	v_dual_mov_b32 v0, 0 :: v_dual_mov_b32 v1, 0
	s_and_not1_b32 vcc_lo, exec_lo, s36
	s_mov_b32 s36, 0
	s_cbranch_vccnz .LBB337_818
; %bb.810:
	v_mov_b32_e32 v0, 0
	s_add_i32 s44, s35, 1
	s_cmp_eq_u32 s27, 2
	s_mov_b32 s35, 0
	s_cbranch_scc1 .LBB337_814
; %bb.811:
	v_dual_mov_b32 v1, 0 :: v_dual_mov_b32 v0, 0
	v_mov_b32_e32 v2, v4
	s_and_b32 s35, s44, 28
	s_mov_b64 s[2:3], s[16:17]
.LBB337_812:                            ; =>This Inner Loop Header: Depth=1
	s_clause 0x1
	s_load_b256 s[48:55], s[2:3], 0x4
	s_load_b128 s[64:67], s[2:3], 0x24
	s_load_b256 s[56:63], s[22:23], 0x0
	s_add_u32 s2, s2, 48
	s_addc_u32 s3, s3, 0
	s_add_i32 s45, s45, 4
	s_add_u32 s22, s22, 32
	s_addc_u32 s23, s23, 0
	s_cmp_eq_u32 s35, s45
	s_waitcnt lgkmcnt(0)
	v_mul_hi_u32 v5, s49, v2
	s_delay_alu instid0(VALU_DEP_1) | instskip(NEXT) | instid1(VALU_DEP_1)
	v_add_nc_u32_e32 v5, v2, v5
	v_lshrrev_b32_e32 v5, s50, v5
	s_waitcnt vmcnt(0)
	s_delay_alu instid0(VALU_DEP_1) | instskip(SKIP_1) | instid1(VALU_DEP_2)
	v_mul_hi_u32 v6, s52, v5
	v_mul_lo_u32 v8, v5, s48
	v_add_nc_u32_e32 v6, v5, v6
	s_delay_alu instid0(VALU_DEP_2) | instskip(NEXT) | instid1(VALU_DEP_2)
	v_sub_nc_u32_e32 v2, v2, v8
	v_lshrrev_b32_e32 v6, s53, v6
	s_delay_alu instid0(VALU_DEP_2) | instskip(SKIP_1) | instid1(VALU_DEP_3)
	v_mul_lo_u32 v8, v2, s56
	v_mul_lo_u32 v10, v2, s57
	v_mul_hi_u32 v7, s55, v6
	s_delay_alu instid0(VALU_DEP_1) | instskip(NEXT) | instid1(VALU_DEP_1)
	v_add_nc_u32_e32 v7, v6, v7
	v_lshrrev_b32_e32 v7, s64, v7
	s_delay_alu instid0(VALU_DEP_1) | instskip(SKIP_1) | instid1(VALU_DEP_2)
	v_mul_hi_u32 v9, s66, v7
	v_mul_lo_u32 v11, v7, s54
	v_add_nc_u32_e32 v2, v7, v9
	v_mul_lo_u32 v9, v6, s51
	s_delay_alu instid0(VALU_DEP_3) | instskip(NEXT) | instid1(VALU_DEP_3)
	v_sub_nc_u32_e32 v6, v6, v11
	v_lshrrev_b32_e32 v2, s67, v2
	s_delay_alu instid0(VALU_DEP_2) | instskip(SKIP_2) | instid1(VALU_DEP_4)
	v_mul_lo_u32 v11, v6, s60
	v_mul_lo_u32 v6, v6, s61
	v_sub_nc_u32_e32 v5, v5, v9
	v_mul_lo_u32 v12, v2, s65
	s_delay_alu instid0(VALU_DEP_2) | instskip(SKIP_1) | instid1(VALU_DEP_3)
	v_mul_lo_u32 v9, v5, s58
	v_mul_lo_u32 v5, v5, s59
	v_sub_nc_u32_e32 v7, v7, v12
	s_delay_alu instid0(VALU_DEP_3) | instskip(NEXT) | instid1(VALU_DEP_2)
	v_add3_u32 v0, v8, v0, v9
	v_mul_lo_u32 v12, v7, s62
	v_mul_lo_u32 v7, v7, s63
	v_add3_u32 v1, v10, v1, v5
	s_delay_alu instid0(VALU_DEP_3) | instskip(NEXT) | instid1(VALU_DEP_2)
	v_add3_u32 v0, v11, v0, v12
	v_add3_u32 v1, v6, v1, v7
	s_cbranch_scc0 .LBB337_812
	s_branch .LBB337_815
.LBB337_813:
	s_mov_b32 s36, -1
                                        ; implicit-def: $vgpr0
                                        ; implicit-def: $vgpr1
	s_branch .LBB337_818
.LBB337_814:
	v_dual_mov_b32 v2, v4 :: v_dual_mov_b32 v1, 0
.LBB337_815:
	s_and_b32 s44, s44, 3
	s_delay_alu instid0(SALU_CYCLE_1)
	s_cmp_eq_u32 s44, 0
	s_cbranch_scc1 .LBB337_818
; %bb.816:
	s_lshl_b32 s2, s35, 3
	s_mul_i32 s22, s35, 12
	s_add_u32 s2, s2, s16
	s_addc_u32 s3, s17, 0
	s_add_u32 s2, s2, 0xc4
	s_addc_u32 s3, s3, 0
	;; [unrolled: 2-line block ×3, first 2 shown]
.LBB337_817:                            ; =>This Inner Loop Header: Depth=1
	s_clause 0x1
	s_load_b64 s[46:47], s[22:23], 0x4
	s_load_b32 s35, s[22:23], 0xc
	s_load_b64 s[48:49], s[2:3], 0x0
	s_add_u32 s22, s22, 12
	s_addc_u32 s23, s23, 0
	s_add_u32 s2, s2, 8
	s_addc_u32 s3, s3, 0
	s_add_i32 s44, s44, -1
	s_delay_alu instid0(SALU_CYCLE_1) | instskip(SKIP_2) | instid1(VALU_DEP_1)
	s_cmp_lg_u32 s44, 0
	s_waitcnt lgkmcnt(0)
	v_mul_hi_u32 v5, s47, v2
	v_add_nc_u32_e32 v5, v2, v5
	s_delay_alu instid0(VALU_DEP_1) | instskip(NEXT) | instid1(VALU_DEP_1)
	v_lshrrev_b32_e32 v8, s35, v5
	v_mul_lo_u32 v5, v8, s46
	s_delay_alu instid0(VALU_DEP_1) | instskip(SKIP_1) | instid1(VALU_DEP_1)
	v_sub_nc_u32_e32 v2, v2, v5
	s_waitcnt vmcnt(0)
	v_mad_u64_u32 v[5:6], null, v2, s48, v[0:1]
	v_mad_u64_u32 v[6:7], null, v2, s49, v[1:2]
	v_mov_b32_e32 v2, v8
	s_delay_alu instid0(VALU_DEP_2)
	v_dual_mov_b32 v0, v5 :: v_dual_mov_b32 v1, v6
	s_cbranch_scc1 .LBB337_817
.LBB337_818:
	s_and_not1_b32 vcc_lo, exec_lo, s36
	s_cbranch_vccnz .LBB337_821
; %bb.819:
	v_mul_hi_u32 v0, s13, v4
	s_and_not1_b32 vcc_lo, exec_lo, s33
	s_delay_alu instid0(VALU_DEP_1) | instskip(NEXT) | instid1(VALU_DEP_1)
	v_add_nc_u32_e32 v0, v4, v0
	v_lshrrev_b32_e32 v2, s14, v0
	s_delay_alu instid0(VALU_DEP_1) | instskip(NEXT) | instid1(VALU_DEP_1)
	v_mul_lo_u32 v0, v2, s12
	v_sub_nc_u32_e32 v1, v4, v0
	s_delay_alu instid0(VALU_DEP_1)
	v_mul_lo_u32 v0, v1, s8
	v_mul_lo_u32 v1, v1, s9
	s_cbranch_vccnz .LBB337_821
; %bb.820:
	v_mul_hi_u32 v4, s20, v2
	s_delay_alu instid0(VALU_DEP_1) | instskip(NEXT) | instid1(VALU_DEP_1)
	v_add_nc_u32_e32 v4, v2, v4
	v_lshrrev_b32_e32 v4, s21, v4
	s_delay_alu instid0(VALU_DEP_1) | instskip(NEXT) | instid1(VALU_DEP_1)
	v_mul_lo_u32 v4, v4, s15
	v_sub_nc_u32_e32 v2, v2, v4
	s_delay_alu instid0(VALU_DEP_1) | instskip(SKIP_2) | instid1(VALU_DEP_1)
	v_mad_u64_u32 v[4:5], null, v2, s10, v[0:1]
	s_waitcnt vmcnt(0)
	v_mad_u64_u32 v[5:6], null, v2, s11, v[1:2]
	v_dual_mov_b32 v0, v4 :: v_dual_mov_b32 v1, v5
.LBB337_821:
	v_cmp_gt_i16_e32 vcc_lo, 11, v3
	s_delay_alu instid0(VALU_DEP_2) | instskip(NEXT) | instid1(VALU_DEP_1)
	v_add_co_u32 v1, s2, s6, v1
	v_add_co_ci_u32_e64 v2, null, s7, 0, s2
	s_mov_b32 s6, 0
	s_cbranch_vccnz .LBB337_828
; %bb.822:
	v_cmp_lt_i16_e32 vcc_lo, 25, v3
	s_mov_b32 s3, 0
	s_cbranch_vccz .LBB337_829
; %bb.823:
	v_cmp_lt_i16_e32 vcc_lo, 28, v3
	s_cbranch_vccz .LBB337_830
; %bb.824:
	v_cmp_lt_i16_e32 vcc_lo, 43, v3
	;; [unrolled: 3-line block ×3, first 2 shown]
	s_cbranch_vccz .LBB337_834
; %bb.826:
	v_cmp_eq_u16_e32 vcc_lo, 46, v3
	s_mov_b32 s7, 0
	s_cbranch_vccz .LBB337_837
; %bb.827:
	global_load_b32 v4, v[1:2], off
	s_mov_b32 s2, 0
	s_mov_b32 s6, -1
	s_waitcnt vmcnt(0)
	v_lshlrev_b32_e32 v4, 16, v4
	s_delay_alu instid0(VALU_DEP_1)
	v_cvt_f16_f32_e32 v5, v4
	s_branch .LBB337_839
.LBB337_828:
	s_mov_b32 s7, -1
	s_mov_b32 s3, 0
	s_mov_b32 s2, s24
                                        ; implicit-def: $vgpr5
	s_branch .LBB337_902
.LBB337_829:
	s_mov_b32 s7, -1
	s_mov_b32 s2, s24
                                        ; implicit-def: $vgpr5
	s_branch .LBB337_868
.LBB337_830:
	s_mov_b32 s7, -1
	s_mov_b32 s2, s24
                                        ; implicit-def: $vgpr5
	s_branch .LBB337_849
.LBB337_831:
	s_mov_b32 s7, -1
	s_mov_b32 s2, s24
                                        ; implicit-def: $vgpr5
	s_branch .LBB337_844
.LBB337_832:
	s_or_saveexec_b32 s44, s44
                                        ; implicit-def: $sgpr45
	s_delay_alu instid0(SALU_CYCLE_1)
	s_xor_b32 exec_lo, exec_lo, s44
	s_cbranch_execz .LBB337_755
.LBB337_833:
	v_add_f32_e64 v7, 0x46000000, |v6|
	s_and_not1_b32 s25, s25, exec_lo
	s_mov_b32 s45, 0
	s_delay_alu instid0(VALU_DEP_1) | instskip(NEXT) | instid1(VALU_DEP_1)
	v_and_b32_e32 v7, 0xff, v7
	v_cmp_ne_u32_e32 vcc_lo, 0, v7
	s_and_b32 s46, vcc_lo, exec_lo
	s_delay_alu instid0(SALU_CYCLE_1)
	s_or_b32 s25, s25, s46
	s_or_b32 exec_lo, exec_lo, s44
	v_mov_b32_e32 v8, s45
	s_and_saveexec_b32 s44, s25
	s_cbranch_execnz .LBB337_756
	s_branch .LBB337_757
.LBB337_834:
	s_mov_b32 s7, -1
	s_mov_b32 s2, s24
	s_branch .LBB337_838
.LBB337_835:
	s_or_saveexec_b32 s44, s44
                                        ; implicit-def: $sgpr45
	s_delay_alu instid0(SALU_CYCLE_1)
	s_xor_b32 exec_lo, exec_lo, s44
	s_cbranch_execz .LBB337_768
.LBB337_836:
	v_add_f32_e64 v7, 0x42800000, |v6|
	s_and_not1_b32 s25, s25, exec_lo
	s_mov_b32 s45, 0
	s_delay_alu instid0(VALU_DEP_1) | instskip(NEXT) | instid1(VALU_DEP_1)
	v_and_b32_e32 v7, 0xff, v7
	v_cmp_ne_u32_e32 vcc_lo, 0, v7
	s_and_b32 s46, vcc_lo, exec_lo
	s_delay_alu instid0(SALU_CYCLE_1)
	s_or_b32 s25, s25, s46
	s_or_b32 exec_lo, exec_lo, s44
	v_mov_b32_e32 v8, s45
	s_and_saveexec_b32 s44, s25
	s_cbranch_execnz .LBB337_769
	s_branch .LBB337_770
.LBB337_837:
	s_mov_b32 s2, -1
.LBB337_838:
                                        ; implicit-def: $vgpr5
.LBB337_839:
	s_and_b32 vcc_lo, exec_lo, s7
	s_cbranch_vccz .LBB337_843
; %bb.840:
	v_cmp_eq_u16_e32 vcc_lo, 44, v3
	s_cbranch_vccz .LBB337_842
; %bb.841:
	global_load_u8 v4, v[1:2], off
	s_mov_b32 s2, 0
	s_mov_b32 s6, -1
	s_waitcnt vmcnt(0)
	v_lshlrev_b32_e32 v5, 23, v4
	v_cmp_ne_u32_e32 vcc_lo, 0xff, v4
	s_delay_alu instid0(VALU_DEP_2) | instskip(NEXT) | instid1(VALU_DEP_1)
	v_cvt_f16_f32_e32 v5, v5
	v_cndmask_b32_e32 v5, 0x7e00, v5, vcc_lo
	v_cmp_ne_u32_e32 vcc_lo, 0, v4
	s_delay_alu instid0(VALU_DEP_2)
	v_cndmask_b32_e32 v5, 0, v5, vcc_lo
	s_branch .LBB337_843
.LBB337_842:
	s_mov_b32 s2, -1
                                        ; implicit-def: $vgpr5
.LBB337_843:
	s_mov_b32 s7, 0
.LBB337_844:
	s_delay_alu instid0(SALU_CYCLE_1)
	s_and_b32 vcc_lo, exec_lo, s7
	s_cbranch_vccz .LBB337_848
; %bb.845:
	v_cmp_eq_u16_e32 vcc_lo, 29, v3
	s_cbranch_vccz .LBB337_847
; %bb.846:
	global_load_b64 v[4:5], v[1:2], off
	s_mov_b32 s2, 0
	s_mov_b32 s6, -1
	s_mov_b32 s7, 0
	s_waitcnt vmcnt(0)
	v_clz_i32_u32_e32 v6, v5
	s_delay_alu instid0(VALU_DEP_1) | instskip(NEXT) | instid1(VALU_DEP_1)
	v_min_u32_e32 v6, 32, v6
	v_lshlrev_b64 v[4:5], v6, v[4:5]
	s_delay_alu instid0(VALU_DEP_1) | instskip(NEXT) | instid1(VALU_DEP_1)
	v_min_u32_e32 v4, 1, v4
	v_or_b32_e32 v4, v5, v4
	v_sub_nc_u32_e32 v5, 32, v6
	s_delay_alu instid0(VALU_DEP_2) | instskip(NEXT) | instid1(VALU_DEP_1)
	v_cvt_f32_u32_e32 v4, v4
	v_ldexp_f32 v4, v4, v5
	s_delay_alu instid0(VALU_DEP_1)
	v_cvt_f16_f32_e32 v5, v4
	s_branch .LBB337_849
.LBB337_847:
	s_mov_b32 s2, -1
                                        ; implicit-def: $vgpr5
.LBB337_848:
	s_mov_b32 s7, 0
.LBB337_849:
	s_delay_alu instid0(SALU_CYCLE_1)
	s_and_b32 vcc_lo, exec_lo, s7
	s_cbranch_vccz .LBB337_867
; %bb.850:
	v_cmp_gt_i16_e32 vcc_lo, 27, v3
	s_cbranch_vccnz .LBB337_853
; %bb.851:
	v_cmp_lt_i16_e32 vcc_lo, 27, v3
	s_cbranch_vccz .LBB337_854
; %bb.852:
	global_load_b32 v4, v[1:2], off
	s_mov_b32 s6, 0
	s_waitcnt vmcnt(0)
	v_cvt_f32_u32_e32 v4, v4
	s_delay_alu instid0(VALU_DEP_1)
	v_cvt_f16_f32_e32 v5, v4
	s_branch .LBB337_855
.LBB337_853:
	s_mov_b32 s6, -1
                                        ; implicit-def: $vgpr5
	s_branch .LBB337_858
.LBB337_854:
	s_mov_b32 s6, -1
                                        ; implicit-def: $vgpr5
.LBB337_855:
	s_delay_alu instid0(SALU_CYCLE_1)
	s_and_not1_b32 vcc_lo, exec_lo, s6
	s_cbranch_vccnz .LBB337_857
; %bb.856:
	global_load_u16 v4, v[1:2], off
	s_waitcnt vmcnt(0)
	v_cvt_f16_u16_e32 v5, v4
.LBB337_857:
	s_mov_b32 s6, 0
.LBB337_858:
	s_delay_alu instid0(SALU_CYCLE_1)
	s_and_not1_b32 vcc_lo, exec_lo, s6
	s_cbranch_vccnz .LBB337_866
; %bb.859:
	global_load_u8 v4, v[1:2], off
	s_mov_b32 s6, 0
	s_mov_b32 s8, exec_lo
                                        ; implicit-def: $sgpr7
	s_waitcnt vmcnt(0)
	v_cmpx_lt_i16_e32 0x7f, v4
	s_xor_b32 s8, exec_lo, s8
	s_cbranch_execz .LBB337_880
; %bb.860:
	s_mov_b32 s6, -1
	s_mov_b32 s9, exec_lo
                                        ; implicit-def: $sgpr7
	v_cmpx_eq_u16_e32 0x80, v4
; %bb.861:
	s_movk_i32 s7, 0x7e00
	s_xor_b32 s6, exec_lo, -1
; %bb.862:
	s_or_b32 exec_lo, exec_lo, s9
	s_delay_alu instid0(SALU_CYCLE_1)
	s_and_b32 s6, s6, exec_lo
	s_or_saveexec_b32 s8, s8
	v_mov_b32_e32 v5, s7
	s_xor_b32 exec_lo, exec_lo, s8
	s_cbranch_execnz .LBB337_881
.LBB337_863:
	s_or_b32 exec_lo, exec_lo, s8
	s_and_saveexec_b32 s7, s6
	s_cbranch_execz .LBB337_865
.LBB337_864:
	v_and_b32_e32 v5, 0xffff, v4
	v_lshlrev_b32_e32 v4, 24, v4
	s_delay_alu instid0(VALU_DEP_2) | instskip(NEXT) | instid1(VALU_DEP_2)
	v_and_b32_e32 v6, 7, v5
	v_and_b32_e32 v4, 0x80000000, v4
	s_delay_alu instid0(VALU_DEP_2) | instskip(NEXT) | instid1(VALU_DEP_1)
	v_clz_i32_u32_e32 v7, v6
	v_min_u32_e32 v7, 32, v7
	s_delay_alu instid0(VALU_DEP_1) | instskip(SKIP_1) | instid1(VALU_DEP_2)
	v_subrev_nc_u32_e32 v8, 28, v7
	v_sub_nc_u32_e32 v7, 29, v7
	v_lshlrev_b32_e32 v8, v8, v5
	v_bfe_u32 v5, v5, 3, 4
	s_delay_alu instid0(VALU_DEP_2) | instskip(NEXT) | instid1(VALU_DEP_2)
	v_and_b32_e32 v8, 7, v8
	v_cmp_eq_u32_e32 vcc_lo, 0, v5
	s_delay_alu instid0(VALU_DEP_2) | instskip(NEXT) | instid1(VALU_DEP_1)
	v_dual_cndmask_b32 v5, v5, v7 :: v_dual_cndmask_b32 v6, v6, v8
	v_lshl_add_u32 v5, v5, 23, 0x3b800000
	s_delay_alu instid0(VALU_DEP_2) | instskip(NEXT) | instid1(VALU_DEP_1)
	v_lshlrev_b32_e32 v6, 20, v6
	v_or3_b32 v4, v4, v5, v6
	s_delay_alu instid0(VALU_DEP_1)
	v_cvt_f16_f32_e32 v5, v4
.LBB337_865:
	s_or_b32 exec_lo, exec_lo, s7
.LBB337_866:
	s_mov_b32 s6, -1
.LBB337_867:
	s_mov_b32 s7, 0
.LBB337_868:
	s_delay_alu instid0(SALU_CYCLE_1)
	s_and_b32 vcc_lo, exec_lo, s7
	s_cbranch_vccz .LBB337_901
; %bb.869:
	v_cmp_lt_i16_e32 vcc_lo, 22, v3
	s_cbranch_vccz .LBB337_879
; %bb.870:
	v_cmp_gt_i16_e32 vcc_lo, 24, v3
	s_cbranch_vccnz .LBB337_882
; %bb.871:
	v_cmp_lt_i16_e32 vcc_lo, 24, v3
	s_cbranch_vccz .LBB337_883
; %bb.872:
	global_load_u8 v4, v[1:2], off
	s_mov_b32 s7, exec_lo
                                        ; implicit-def: $sgpr6
	s_waitcnt vmcnt(0)
	v_cmpx_lt_i16_e32 0x7f, v4
	s_xor_b32 s7, exec_lo, s7
	s_cbranch_execz .LBB337_895
; %bb.873:
	s_mov_b32 s3, -1
	s_mov_b32 s8, exec_lo
                                        ; implicit-def: $sgpr6
	v_cmpx_eq_u16_e32 0x80, v4
; %bb.874:
	s_movk_i32 s6, 0x7e00
	s_xor_b32 s3, exec_lo, -1
; %bb.875:
	s_or_b32 exec_lo, exec_lo, s8
	s_delay_alu instid0(SALU_CYCLE_1)
	s_and_b32 s3, s3, exec_lo
	s_or_saveexec_b32 s7, s7
	v_mov_b32_e32 v5, s6
	s_xor_b32 exec_lo, exec_lo, s7
	s_cbranch_execnz .LBB337_896
.LBB337_876:
	s_or_b32 exec_lo, exec_lo, s7
	s_and_saveexec_b32 s6, s3
	s_cbranch_execz .LBB337_878
.LBB337_877:
	v_and_b32_e32 v5, 0xffff, v4
	v_lshlrev_b32_e32 v4, 24, v4
	s_delay_alu instid0(VALU_DEP_2) | instskip(NEXT) | instid1(VALU_DEP_2)
	v_and_b32_e32 v6, 3, v5
	v_and_b32_e32 v4, 0x80000000, v4
	s_delay_alu instid0(VALU_DEP_2) | instskip(NEXT) | instid1(VALU_DEP_1)
	v_clz_i32_u32_e32 v7, v6
	v_min_u32_e32 v7, 32, v7
	s_delay_alu instid0(VALU_DEP_1) | instskip(SKIP_1) | instid1(VALU_DEP_2)
	v_subrev_nc_u32_e32 v8, 29, v7
	v_sub_nc_u32_e32 v7, 30, v7
	v_lshlrev_b32_e32 v8, v8, v5
	v_bfe_u32 v5, v5, 2, 5
	s_delay_alu instid0(VALU_DEP_2) | instskip(NEXT) | instid1(VALU_DEP_2)
	v_and_b32_e32 v8, 3, v8
	v_cmp_eq_u32_e32 vcc_lo, 0, v5
	s_delay_alu instid0(VALU_DEP_2) | instskip(NEXT) | instid1(VALU_DEP_1)
	v_dual_cndmask_b32 v5, v5, v7 :: v_dual_cndmask_b32 v6, v6, v8
	v_lshl_add_u32 v5, v5, 23, 0x37800000
	s_delay_alu instid0(VALU_DEP_2) | instskip(NEXT) | instid1(VALU_DEP_1)
	v_lshlrev_b32_e32 v6, 21, v6
	v_or3_b32 v4, v4, v5, v6
	s_delay_alu instid0(VALU_DEP_1)
	v_cvt_f16_f32_e32 v5, v4
.LBB337_878:
	s_or_b32 exec_lo, exec_lo, s6
	s_mov_b32 s3, 0
	s_branch .LBB337_884
.LBB337_879:
	s_mov_b32 s3, -1
                                        ; implicit-def: $vgpr5
	s_branch .LBB337_890
.LBB337_880:
	s_or_saveexec_b32 s8, s8
	v_mov_b32_e32 v5, s7
	s_xor_b32 exec_lo, exec_lo, s8
	s_cbranch_execz .LBB337_863
.LBB337_881:
	v_cmp_ne_u16_e32 vcc_lo, 0, v4
	v_mov_b32_e32 v5, v4
	s_and_not1_b32 s6, s6, exec_lo
	s_and_b32 s7, vcc_lo, exec_lo
	s_delay_alu instid0(SALU_CYCLE_1)
	s_or_b32 s6, s6, s7
	s_or_b32 exec_lo, exec_lo, s8
	s_and_saveexec_b32 s7, s6
	s_cbranch_execnz .LBB337_864
	s_branch .LBB337_865
.LBB337_882:
	s_mov_b32 s3, -1
                                        ; implicit-def: $vgpr5
	s_branch .LBB337_887
.LBB337_883:
	s_mov_b32 s3, -1
                                        ; implicit-def: $vgpr5
.LBB337_884:
	s_delay_alu instid0(SALU_CYCLE_1)
	s_and_b32 vcc_lo, exec_lo, s3
	s_cbranch_vccz .LBB337_886
; %bb.885:
	global_load_u8 v4, v[1:2], off
	s_waitcnt vmcnt(0)
	v_lshlrev_b32_e32 v4, 24, v4
	s_delay_alu instid0(VALU_DEP_1) | instskip(NEXT) | instid1(VALU_DEP_1)
	v_and_b32_e32 v5, 0x7f000000, v4
	v_clz_i32_u32_e32 v6, v5
	v_add_nc_u32_e32 v8, 0x1000000, v5
	v_cmp_ne_u32_e32 vcc_lo, 0, v5
	s_delay_alu instid0(VALU_DEP_3) | instskip(NEXT) | instid1(VALU_DEP_1)
	v_min_u32_e32 v6, 32, v6
	v_sub_nc_u32_e64 v6, v6, 4 clamp
	s_delay_alu instid0(VALU_DEP_1) | instskip(SKIP_1) | instid1(VALU_DEP_2)
	v_lshlrev_b32_e32 v7, v6, v5
	v_lshlrev_b32_e32 v6, 23, v6
	v_lshrrev_b32_e32 v7, 4, v7
	s_delay_alu instid0(VALU_DEP_1) | instskip(SKIP_1) | instid1(VALU_DEP_2)
	v_sub_nc_u32_e32 v6, v7, v6
	v_ashrrev_i32_e32 v7, 8, v8
	v_add_nc_u32_e32 v6, 0x3c000000, v6
	s_delay_alu instid0(VALU_DEP_1) | instskip(NEXT) | instid1(VALU_DEP_1)
	v_and_or_b32 v6, 0x7f800000, v7, v6
	v_cndmask_b32_e32 v5, 0, v6, vcc_lo
	s_delay_alu instid0(VALU_DEP_1) | instskip(NEXT) | instid1(VALU_DEP_1)
	v_and_or_b32 v4, 0x80000000, v4, v5
	v_cvt_f16_f32_e32 v5, v4
.LBB337_886:
	s_mov_b32 s3, 0
.LBB337_887:
	s_delay_alu instid0(SALU_CYCLE_1)
	s_and_not1_b32 vcc_lo, exec_lo, s3
	s_cbranch_vccnz .LBB337_889
; %bb.888:
	global_load_u8 v4, v[1:2], off
	s_waitcnt vmcnt(0)
	v_lshlrev_b32_e32 v5, 25, v4
	v_lshlrev_b16 v4, 8, v4
	s_delay_alu instid0(VALU_DEP_2) | instskip(NEXT) | instid1(VALU_DEP_2)
	v_lshrrev_b32_e32 v6, 4, v5
	v_and_or_b32 v7, 0x7f00, v4, 0.5
	v_bfe_i32 v4, v4, 0, 16
	s_delay_alu instid0(VALU_DEP_3) | instskip(NEXT) | instid1(VALU_DEP_1)
	v_or_b32_e32 v6, 0x70000000, v6
	v_dual_add_f32 v7, -0.5, v7 :: v_dual_mul_f32 v6, 0x7800000, v6
	v_cmp_gt_u32_e32 vcc_lo, 0x8000000, v5
	s_delay_alu instid0(VALU_DEP_2) | instskip(NEXT) | instid1(VALU_DEP_1)
	v_cndmask_b32_e32 v5, v6, v7, vcc_lo
	v_and_or_b32 v4, 0x80000000, v4, v5
	s_delay_alu instid0(VALU_DEP_1)
	v_cvt_f16_f32_e32 v5, v4
.LBB337_889:
	s_mov_b32 s3, 0
	s_mov_b32 s6, -1
.LBB337_890:
	s_and_not1_b32 vcc_lo, exec_lo, s3
	s_mov_b32 s3, 0
	s_cbranch_vccnz .LBB337_901
; %bb.891:
	v_cmp_lt_i16_e32 vcc_lo, 14, v3
	s_cbranch_vccz .LBB337_894
; %bb.892:
	v_cmp_eq_u16_e32 vcc_lo, 15, v3
	s_cbranch_vccz .LBB337_897
; %bb.893:
	global_load_u16 v4, v[1:2], off
	s_mov_b32 s2, 0
	s_mov_b32 s6, -1
	s_waitcnt vmcnt(0)
	v_lshlrev_b32_e32 v4, 16, v4
	s_delay_alu instid0(VALU_DEP_1)
	v_cvt_f16_f32_e32 v5, v4
	s_branch .LBB337_899
.LBB337_894:
	s_mov_b32 s3, -1
	s_branch .LBB337_898
.LBB337_895:
	s_or_saveexec_b32 s7, s7
	v_mov_b32_e32 v5, s6
	s_xor_b32 exec_lo, exec_lo, s7
	s_cbranch_execz .LBB337_876
.LBB337_896:
	v_cmp_ne_u16_e32 vcc_lo, 0, v4
	v_mov_b32_e32 v5, v4
	s_and_not1_b32 s3, s3, exec_lo
	s_and_b32 s6, vcc_lo, exec_lo
	s_delay_alu instid0(SALU_CYCLE_1)
	s_or_b32 s3, s3, s6
	s_or_b32 exec_lo, exec_lo, s7
	s_and_saveexec_b32 s6, s3
	s_cbranch_execnz .LBB337_877
	s_branch .LBB337_878
.LBB337_897:
	s_mov_b32 s2, -1
.LBB337_898:
                                        ; implicit-def: $vgpr5
.LBB337_899:
	s_and_b32 vcc_lo, exec_lo, s3
	s_mov_b32 s3, 0
	s_cbranch_vccz .LBB337_901
; %bb.900:
	v_cmp_ne_u16_e32 vcc_lo, 11, v3
	s_and_not1_b32 s2, s2, exec_lo
	s_mov_b32 s3, -1
                                        ; implicit-def: $vgpr5
	s_and_b32 s7, vcc_lo, exec_lo
	s_delay_alu instid0(SALU_CYCLE_1)
	s_or_b32 s2, s2, s7
.LBB337_901:
	s_mov_b32 s7, 0
.LBB337_902:
	s_and_b32 s44, s6, exec_lo
	s_and_b32 s45, s7, exec_lo
	s_and_not1_b32 s6, s24, exec_lo
	s_and_b32 s7, s2, exec_lo
	s_and_b32 s2, s3, exec_lo
	s_or_b32 s46, s6, s7
.LBB337_903:
	s_or_b32 exec_lo, exec_lo, s34
	s_delay_alu instid0(SALU_CYCLE_1)
	s_and_not1_b32 s6, s24, exec_lo
	s_and_b32 s7, s46, exec_lo
	s_and_b32 s44, s44, exec_lo
	;; [unrolled: 1-line block ×4, first 2 shown]
	s_or_b32 s24, s6, s7
.LBB337_904:
	s_or_b32 exec_lo, exec_lo, s43
	s_delay_alu instid0(SALU_CYCLE_1)
	s_and_not1_b32 s6, s41, exec_lo
	s_and_b32 s7, s25, exec_lo
	s_and_b32 s43, s44, exec_lo
	s_or_b32 s41, s6, s7
	s_and_not1_b32 s6, s40, exec_lo
	s_and_b32 s7, s24, exec_lo
	s_and_b32 s25, s3, exec_lo
	;; [unrolled: 1-line block ×3, first 2 shown]
	s_or_b32 s40, s6, s7
.LBB337_905:
	s_or_b32 exec_lo, exec_lo, s42
	s_delay_alu instid0(SALU_CYCLE_1)
	s_and_not1_b32 s2, s37, exec_lo
	s_and_b32 s6, s41, exec_lo
	s_and_b32 s7, s40, exec_lo
	s_or_b32 s37, s2, s6
	s_and_not1_b32 s6, s38, exec_lo
	s_and_b32 s2, s43, exec_lo
	s_and_b32 s24, s25, exec_lo
	;; [unrolled: 1-line block ×3, first 2 shown]
	s_or_b32 s38, s6, s7
.LBB337_906:
	s_or_b32 exec_lo, exec_lo, s39
	s_mov_b32 s3, 0
	s_and_saveexec_b32 s6, s38
	s_cbranch_execnz .LBB337_918
; %bb.907:
	s_or_b32 exec_lo, exec_lo, s6
	s_and_saveexec_b32 s6, s40
	s_delay_alu instid0(SALU_CYCLE_1)
	s_xor_b32 s6, exec_lo, s6
	s_cbranch_execz .LBB337_909
.LBB337_908:
	global_load_u8 v4, v[1:2], off
	s_or_b32 s2, s2, exec_lo
	s_waitcnt vmcnt(0)
	v_cmp_ne_u16_e32 vcc_lo, 0, v4
	v_cndmask_b32_e64 v5, 0, 0x3c00, vcc_lo
.LBB337_909:
	s_or_b32 exec_lo, exec_lo, s6
	s_and_saveexec_b32 s6, s24
	s_cbranch_execz .LBB337_957
; %bb.910:
	v_cmp_gt_i16_e32 vcc_lo, 5, v3
	s_cbranch_vccnz .LBB337_915
; %bb.911:
	v_cmp_gt_i16_e32 vcc_lo, 8, v3
	s_cbranch_vccnz .LBB337_916
	;; [unrolled: 3-line block ×3, first 2 shown]
; %bb.913:
	v_cmp_lt_i16_e32 vcc_lo, 9, v3
	s_cbranch_vccz .LBB337_920
; %bb.914:
	global_load_b64 v[4:5], v[1:2], off
	s_mov_b32 s7, 0
	s_waitcnt vmcnt(0)
	v_cvt_f32_f64_e32 v4, v[4:5]
	s_delay_alu instid0(VALU_DEP_1)
	v_cvt_f16_f32_e32 v5, v4
	s_branch .LBB337_921
.LBB337_915:
                                        ; implicit-def: $vgpr5
	s_branch .LBB337_938
.LBB337_916:
                                        ; implicit-def: $vgpr5
	s_branch .LBB337_927
.LBB337_917:
	s_mov_b32 s7, -1
                                        ; implicit-def: $vgpr5
	s_branch .LBB337_924
.LBB337_918:
	s_cbranch_execnz .LBB337_1188
; %bb.919:
	s_mov_b32 s3, exec_lo
	s_and_not1_b32 s40, s40, exec_lo
                                        ; implicit-def: $vgpr5
	s_or_b32 exec_lo, exec_lo, s6
	s_and_saveexec_b32 s6, s40
	s_delay_alu instid0(SALU_CYCLE_1)
	s_xor_b32 s6, exec_lo, s6
	s_cbranch_execnz .LBB337_908
	s_branch .LBB337_909
.LBB337_920:
	s_mov_b32 s7, -1
                                        ; implicit-def: $vgpr5
.LBB337_921:
	s_delay_alu instid0(SALU_CYCLE_1)
	s_and_not1_b32 vcc_lo, exec_lo, s7
	s_cbranch_vccnz .LBB337_923
; %bb.922:
	global_load_b32 v4, v[1:2], off
	s_waitcnt vmcnt(0)
	v_cvt_f16_f32_e32 v5, v4
.LBB337_923:
	s_mov_b32 s7, 0
.LBB337_924:
	s_delay_alu instid0(SALU_CYCLE_1)
	s_and_not1_b32 vcc_lo, exec_lo, s7
	s_cbranch_vccnz .LBB337_926
; %bb.925:
	global_load_b32 v5, v[1:2], off
.LBB337_926:
	s_cbranch_execnz .LBB337_937
.LBB337_927:
	v_cmp_gt_i16_e32 vcc_lo, 6, v3
	s_cbranch_vccnz .LBB337_930
; %bb.928:
	v_cmp_lt_i16_e32 vcc_lo, 6, v3
	s_cbranch_vccz .LBB337_931
; %bb.929:
	global_load_b64 v[4:5], v[1:2], off
	s_mov_b32 s7, 0
	s_waitcnt vmcnt(0)
	v_cvt_f32_f64_e32 v4, v[4:5]
	s_delay_alu instid0(VALU_DEP_1)
	v_cvt_f16_f32_e32 v5, v4
	s_branch .LBB337_932
.LBB337_930:
	s_mov_b32 s7, -1
                                        ; implicit-def: $vgpr5
	s_branch .LBB337_935
.LBB337_931:
	s_mov_b32 s7, -1
                                        ; implicit-def: $vgpr5
.LBB337_932:
	s_delay_alu instid0(SALU_CYCLE_1)
	s_and_not1_b32 vcc_lo, exec_lo, s7
	s_cbranch_vccnz .LBB337_934
; %bb.933:
	global_load_b32 v4, v[1:2], off
	s_waitcnt vmcnt(0)
	v_cvt_f16_f32_e32 v5, v4
.LBB337_934:
	s_mov_b32 s7, 0
.LBB337_935:
	s_delay_alu instid0(SALU_CYCLE_1)
	s_and_not1_b32 vcc_lo, exec_lo, s7
	s_cbranch_vccnz .LBB337_937
; %bb.936:
	global_load_u16 v5, v[1:2], off
.LBB337_937:
	s_cbranch_execnz .LBB337_956
.LBB337_938:
	v_cmp_gt_i16_e32 vcc_lo, 2, v3
	s_cbranch_vccnz .LBB337_942
; %bb.939:
	v_cmp_gt_i16_e32 vcc_lo, 3, v3
	s_cbranch_vccnz .LBB337_943
; %bb.940:
	v_cmp_lt_i16_e32 vcc_lo, 3, v3
	s_cbranch_vccz .LBB337_944
; %bb.941:
	global_load_b64 v[4:5], v[1:2], off
	s_mov_b32 s7, 0
	s_waitcnt vmcnt(0)
	v_xor_b32_e32 v6, v4, v5
	v_cls_i32_e32 v7, v5
	s_delay_alu instid0(VALU_DEP_2) | instskip(NEXT) | instid1(VALU_DEP_2)
	v_ashrrev_i32_e32 v6, 31, v6
	v_add_nc_u32_e32 v7, -1, v7
	s_delay_alu instid0(VALU_DEP_2) | instskip(NEXT) | instid1(VALU_DEP_1)
	v_add_nc_u32_e32 v6, 32, v6
	v_min_u32_e32 v6, v7, v6
	s_delay_alu instid0(VALU_DEP_1) | instskip(NEXT) | instid1(VALU_DEP_1)
	v_lshlrev_b64 v[4:5], v6, v[4:5]
	v_min_u32_e32 v4, 1, v4
	s_delay_alu instid0(VALU_DEP_1) | instskip(SKIP_1) | instid1(VALU_DEP_2)
	v_or_b32_e32 v4, v5, v4
	v_sub_nc_u32_e32 v5, 32, v6
	v_cvt_f32_i32_e32 v4, v4
	s_delay_alu instid0(VALU_DEP_1) | instskip(NEXT) | instid1(VALU_DEP_1)
	v_ldexp_f32 v4, v4, v5
	v_cvt_f16_f32_e32 v5, v4
	s_branch .LBB337_945
.LBB337_942:
                                        ; implicit-def: $vgpr5
	s_branch .LBB337_951
.LBB337_943:
	s_mov_b32 s7, -1
                                        ; implicit-def: $vgpr5
	s_branch .LBB337_948
.LBB337_944:
	s_mov_b32 s7, -1
                                        ; implicit-def: $vgpr5
.LBB337_945:
	s_delay_alu instid0(SALU_CYCLE_1)
	s_and_not1_b32 vcc_lo, exec_lo, s7
	s_cbranch_vccnz .LBB337_947
; %bb.946:
	global_load_b32 v4, v[1:2], off
	s_waitcnt vmcnt(0)
	v_cvt_f32_i32_e32 v4, v4
	s_delay_alu instid0(VALU_DEP_1)
	v_cvt_f16_f32_e32 v5, v4
.LBB337_947:
	s_mov_b32 s7, 0
.LBB337_948:
	s_delay_alu instid0(SALU_CYCLE_1)
	s_and_not1_b32 vcc_lo, exec_lo, s7
	s_cbranch_vccnz .LBB337_950
; %bb.949:
	global_load_u16 v4, v[1:2], off
	s_waitcnt vmcnt(0)
	v_cvt_f16_i16_e32 v5, v4
.LBB337_950:
	s_cbranch_execnz .LBB337_956
.LBB337_951:
	v_cmp_lt_i16_e32 vcc_lo, 0, v3
	s_mov_b32 s7, 0
	s_cbranch_vccz .LBB337_953
; %bb.952:
	global_load_i8 v3, v[1:2], off
	s_waitcnt vmcnt(0)
	v_cvt_f16_i16_e32 v5, v3
	s_branch .LBB337_954
.LBB337_953:
	s_mov_b32 s7, -1
                                        ; implicit-def: $vgpr5
.LBB337_954:
	s_delay_alu instid0(SALU_CYCLE_1)
	s_and_not1_b32 vcc_lo, exec_lo, s7
	s_cbranch_vccnz .LBB337_956
; %bb.955:
	global_load_u8 v1, v[1:2], off
	s_waitcnt vmcnt(0)
	v_cvt_f16_u16_e32 v5, v1
.LBB337_956:
	s_or_b32 s2, s2, exec_lo
.LBB337_957:
	s_or_b32 exec_lo, exec_lo, s6
	s_mov_b32 s8, 0
	s_mov_b32 s7, 0
                                        ; implicit-def: $vgpr4
                                        ; implicit-def: $vgpr1_vgpr2
                                        ; implicit-def: $vgpr3
	s_and_saveexec_b32 s6, s2
	s_cbranch_execz .LBB337_1034
; %bb.958:
	s_waitcnt vmcnt(0)
	v_cmp_lt_f16_e32 vcc_lo, s18, v5
	v_and_b32_e64 v4, 0xff, s19
	v_cmp_u_f16_e64 s2, v5, v5
	v_cndmask_b32_e32 v1, s18, v5, vcc_lo
	s_delay_alu instid0(VALU_DEP_1) | instskip(SKIP_2) | instid1(VALU_DEP_2)
	v_cmp_gt_f16_e32 vcc_lo, s31, v1
	v_cndmask_b32_e32 v1, s31, v1, vcc_lo
	v_cmp_gt_i16_e32 vcc_lo, 11, v4
	v_cndmask_b32_e64 v3, v1, v5, s2
	v_add_co_u32 v1, s2, s4, v0
	s_delay_alu instid0(VALU_DEP_1)
	v_add_co_ci_u32_e64 v2, null, s5, 0, s2
	s_mov_b32 s4, -1
	s_mov_b32 s2, s37
	s_cbranch_vccnz .LBB337_1033
; %bb.959:
	v_cmp_lt_i16_e32 vcc_lo, 25, v4
	s_mov_b32 s2, s37
	s_cbranch_vccz .LBB337_992
; %bb.960:
	v_cmp_lt_i16_e32 vcc_lo, 28, v4
	s_mov_b32 s2, s37
	s_cbranch_vccz .LBB337_976
	;; [unrolled: 4-line block ×4, first 2 shown]
; %bb.963:
	v_cmp_eq_u16_e32 vcc_lo, 46, v4
	s_mov_b32 s2, -1
	s_cbranch_vccz .LBB337_965
; %bb.964:
	v_cvt_f32_f16_e32 v0, v3
	v_cmp_o_f16_e32 vcc_lo, v3, v3
	s_mov_b32 s2, 0
	s_delay_alu instid0(VALU_DEP_2) | instskip(NEXT) | instid1(VALU_DEP_1)
	v_bfe_u32 v5, v0, 16, 1
	v_add3_u32 v0, v0, v5, 0x7fff
	s_delay_alu instid0(VALU_DEP_1) | instskip(NEXT) | instid1(VALU_DEP_1)
	v_lshrrev_b32_e32 v0, 16, v0
	v_cndmask_b32_e32 v0, 0x7fc0, v0, vcc_lo
	global_store_b32 v[1:2], v0, off
.LBB337_965:
	s_mov_b32 s4, 0
.LBB337_966:
	s_delay_alu instid0(SALU_CYCLE_1)
	s_and_b32 vcc_lo, exec_lo, s4
	s_cbranch_vccz .LBB337_971
; %bb.967:
	v_cmp_eq_u16_e32 vcc_lo, 44, v4
	s_mov_b32 s2, -1
	s_cbranch_vccz .LBB337_971
; %bb.968:
	v_cvt_f32_f16_e32 v0, v3
	v_mov_b32_e32 v5, 0xff
	s_mov_b32 s4, exec_lo
	s_delay_alu instid0(VALU_DEP_2) | instskip(NEXT) | instid1(VALU_DEP_1)
	v_bfe_u32 v6, v0, 23, 8
	v_cmpx_ne_u32_e32 0xff, v6
; %bb.969:
	v_and_b32_e32 v5, 0x400000, v0
	v_and_or_b32 v6, 0x3fffff, v0, v6
	v_lshrrev_b32_e32 v0, 23, v0
	s_delay_alu instid0(VALU_DEP_3) | instskip(NEXT) | instid1(VALU_DEP_3)
	v_cmp_ne_u32_e32 vcc_lo, 0, v5
	v_cmp_ne_u32_e64 s2, 0, v6
	s_delay_alu instid0(VALU_DEP_1) | instskip(NEXT) | instid1(SALU_CYCLE_1)
	s_and_b32 s2, vcc_lo, s2
	v_cndmask_b32_e64 v5, 0, 1, s2
	s_delay_alu instid0(VALU_DEP_1)
	v_add_nc_u32_e32 v5, v0, v5
; %bb.970:
	s_or_b32 exec_lo, exec_lo, s4
	s_mov_b32 s2, 0
	global_store_b8 v[1:2], v5, off
.LBB337_971:
	s_mov_b32 s4, 0
.LBB337_972:
	s_delay_alu instid0(SALU_CYCLE_1)
	s_and_b32 vcc_lo, exec_lo, s4
	s_cbranch_vccz .LBB337_975
; %bb.973:
	v_cmp_eq_u16_e32 vcc_lo, 29, v4
	s_mov_b32 s2, -1
	s_cbranch_vccz .LBB337_975
; %bb.974:
	v_cvt_f32_f16_e32 v0, v3
	v_mov_b32_e32 v6, 0
	s_mov_b32 s2, 0
	s_delay_alu instid0(VALU_DEP_2)
	v_cvt_u32_f32_e32 v5, v0
	global_store_b64 v[1:2], v[5:6], off
.LBB337_975:
	s_mov_b32 s4, 0
.LBB337_976:
	s_delay_alu instid0(SALU_CYCLE_1)
	s_and_b32 vcc_lo, exec_lo, s4
	s_cbranch_vccz .LBB337_991
; %bb.977:
	v_cmp_gt_i16_e32 vcc_lo, 27, v4
	s_mov_b32 s4, -1
	s_cbranch_vccnz .LBB337_983
; %bb.978:
	v_cmp_lt_i16_e32 vcc_lo, 27, v4
	s_cbranch_vccz .LBB337_980
; %bb.979:
	v_cvt_f32_f16_e32 v0, v3
	s_mov_b32 s4, 0
	s_delay_alu instid0(VALU_DEP_1)
	v_cvt_u32_f32_e32 v0, v0
	global_store_b32 v[1:2], v0, off
.LBB337_980:
	s_and_not1_b32 vcc_lo, exec_lo, s4
	s_cbranch_vccnz .LBB337_982
; %bb.981:
	v_cvt_u16_f16_e32 v0, v3
	global_store_b16 v[1:2], v0, off
.LBB337_982:
	s_mov_b32 s4, 0
.LBB337_983:
	s_delay_alu instid0(SALU_CYCLE_1)
	s_and_not1_b32 vcc_lo, exec_lo, s4
	s_cbranch_vccnz .LBB337_991
; %bb.984:
	v_cvt_f32_f16_e32 v0, v3
	v_mov_b32_e32 v6, 0x80
	s_mov_b32 s4, exec_lo
	s_delay_alu instid0(VALU_DEP_2) | instskip(NEXT) | instid1(VALU_DEP_1)
	v_and_b32_e32 v5, 0x7fffffff, v0
	v_cmpx_gt_u32_e32 0x43800000, v5
	s_cbranch_execz .LBB337_990
; %bb.985:
	v_cmp_lt_u32_e32 vcc_lo, 0x3bffffff, v5
	s_mov_b32 s5, 0
                                        ; implicit-def: $vgpr5
	s_and_saveexec_b32 s7, vcc_lo
	s_delay_alu instid0(SALU_CYCLE_1)
	s_xor_b32 s7, exec_lo, s7
	s_cbranch_execz .LBB337_1279
; %bb.986:
	v_bfe_u32 v5, v0, 20, 1
	s_mov_b32 s5, exec_lo
	s_delay_alu instid0(VALU_DEP_1) | instskip(NEXT) | instid1(VALU_DEP_1)
	v_add3_u32 v5, v0, v5, 0x487ffff
	v_lshrrev_b32_e32 v5, 20, v5
	s_or_saveexec_b32 s7, s7
                                        ; implicit-def: $sgpr8
	s_delay_alu instid0(SALU_CYCLE_1)
	s_xor_b32 exec_lo, exec_lo, s7
	s_cbranch_execnz .LBB337_1280
.LBB337_987:
	s_or_b32 exec_lo, exec_lo, s7
	v_mov_b32_e32 v6, s8
	s_and_saveexec_b32 s7, s5
.LBB337_988:
	v_lshrrev_b32_e32 v0, 24, v0
	s_delay_alu instid0(VALU_DEP_1)
	v_and_or_b32 v6, 0x80, v0, v5
.LBB337_989:
	s_or_b32 exec_lo, exec_lo, s7
.LBB337_990:
	s_delay_alu instid0(SALU_CYCLE_1)
	s_or_b32 exec_lo, exec_lo, s4
	global_store_b8 v[1:2], v6, off
.LBB337_991:
	s_mov_b32 s4, 0
.LBB337_992:
	s_delay_alu instid0(SALU_CYCLE_1)
	s_and_b32 vcc_lo, exec_lo, s4
	s_mov_b32 s4, 0
	s_cbranch_vccz .LBB337_1032
; %bb.993:
	v_cmp_lt_i16_e32 vcc_lo, 22, v4
	s_mov_b32 s5, -1
	s_cbranch_vccz .LBB337_1025
; %bb.994:
	v_cmp_gt_i16_e32 vcc_lo, 24, v4
	s_cbranch_vccnz .LBB337_1014
; %bb.995:
	v_cmp_lt_i16_e32 vcc_lo, 24, v4
	s_cbranch_vccz .LBB337_1003
; %bb.996:
	v_cvt_f32_f16_e32 v0, v3
	v_mov_b32_e32 v6, 0x80
	s_mov_b32 s5, exec_lo
	s_delay_alu instid0(VALU_DEP_2) | instskip(NEXT) | instid1(VALU_DEP_1)
	v_and_b32_e32 v5, 0x7fffffff, v0
	v_cmpx_gt_u32_e32 0x47800000, v5
	s_cbranch_execz .LBB337_1002
; %bb.997:
	v_cmp_lt_u32_e32 vcc_lo, 0x37ffffff, v5
	s_mov_b32 s7, 0
                                        ; implicit-def: $vgpr5
	s_and_saveexec_b32 s8, vcc_lo
	s_delay_alu instid0(SALU_CYCLE_1)
	s_xor_b32 s8, exec_lo, s8
	s_cbranch_execz .LBB337_1323
; %bb.998:
	v_bfe_u32 v5, v0, 21, 1
	s_mov_b32 s7, exec_lo
	s_delay_alu instid0(VALU_DEP_1) | instskip(NEXT) | instid1(VALU_DEP_1)
	v_add3_u32 v5, v0, v5, 0x88fffff
	v_lshrrev_b32_e32 v5, 21, v5
	s_or_saveexec_b32 s8, s8
                                        ; implicit-def: $sgpr9
	s_delay_alu instid0(SALU_CYCLE_1)
	s_xor_b32 exec_lo, exec_lo, s8
	s_cbranch_execnz .LBB337_1324
.LBB337_999:
	s_or_b32 exec_lo, exec_lo, s8
	v_mov_b32_e32 v6, s9
	s_and_saveexec_b32 s8, s7
.LBB337_1000:
	v_lshrrev_b32_e32 v0, 24, v0
	s_delay_alu instid0(VALU_DEP_1)
	v_and_or_b32 v6, 0x80, v0, v5
.LBB337_1001:
	s_or_b32 exec_lo, exec_lo, s8
.LBB337_1002:
	s_delay_alu instid0(SALU_CYCLE_1)
	s_or_b32 exec_lo, exec_lo, s5
	s_mov_b32 s5, 0
	global_store_b8 v[1:2], v6, off
.LBB337_1003:
	s_and_b32 vcc_lo, exec_lo, s5
	s_cbranch_vccz .LBB337_1013
; %bb.1004:
	v_cvt_f32_f16_e32 v0, v3
	s_mov_b32 s5, exec_lo
                                        ; implicit-def: $vgpr5
	s_delay_alu instid0(VALU_DEP_1) | instskip(NEXT) | instid1(VALU_DEP_1)
	v_and_b32_e32 v6, 0x7fffffff, v0
	v_cmpx_gt_u32_e32 0x43f00000, v6
	s_xor_b32 s5, exec_lo, s5
	s_cbranch_execz .LBB337_1010
; %bb.1005:
	s_mov_b32 s7, exec_lo
                                        ; implicit-def: $vgpr5
	v_cmpx_lt_u32_e32 0x3c7fffff, v6
	s_xor_b32 s7, exec_lo, s7
; %bb.1006:
	v_bfe_u32 v5, v0, 20, 1
	s_delay_alu instid0(VALU_DEP_1) | instskip(NEXT) | instid1(VALU_DEP_1)
	v_add3_u32 v5, v0, v5, 0x407ffff
	v_and_b32_e32 v6, 0xff00000, v5
	v_lshrrev_b32_e32 v5, 20, v5
	s_delay_alu instid0(VALU_DEP_2) | instskip(NEXT) | instid1(VALU_DEP_2)
	v_cmp_ne_u32_e32 vcc_lo, 0x7f00000, v6
	v_cndmask_b32_e32 v5, 0x7e, v5, vcc_lo
; %bb.1007:
	s_and_not1_saveexec_b32 s7, s7
; %bb.1008:
	v_add_f32_e64 v5, 0x46800000, |v0|
; %bb.1009:
	s_or_b32 exec_lo, exec_lo, s7
                                        ; implicit-def: $vgpr6
.LBB337_1010:
	s_and_not1_saveexec_b32 s5, s5
; %bb.1011:
	v_mov_b32_e32 v5, 0x7f
	v_cmp_lt_u32_e32 vcc_lo, 0x7f800000, v6
	s_delay_alu instid0(VALU_DEP_2)
	v_cndmask_b32_e32 v5, 0x7e, v5, vcc_lo
; %bb.1012:
	s_or_b32 exec_lo, exec_lo, s5
	v_lshrrev_b32_e32 v0, 24, v0
	s_delay_alu instid0(VALU_DEP_1)
	v_and_or_b32 v0, 0x80, v0, v5
	global_store_b8 v[1:2], v0, off
.LBB337_1013:
	s_mov_b32 s5, 0
.LBB337_1014:
	s_delay_alu instid0(SALU_CYCLE_1)
	s_and_not1_b32 vcc_lo, exec_lo, s5
	s_cbranch_vccnz .LBB337_1024
; %bb.1015:
	v_cvt_f32_f16_e32 v0, v3
	s_mov_b32 s5, exec_lo
                                        ; implicit-def: $vgpr5
	s_delay_alu instid0(VALU_DEP_1) | instskip(NEXT) | instid1(VALU_DEP_1)
	v_and_b32_e32 v6, 0x7fffffff, v0
	v_cmpx_gt_u32_e32 0x47800000, v6
	s_xor_b32 s5, exec_lo, s5
	s_cbranch_execz .LBB337_1021
; %bb.1016:
	s_mov_b32 s7, exec_lo
                                        ; implicit-def: $vgpr5
	v_cmpx_lt_u32_e32 0x387fffff, v6
	s_xor_b32 s7, exec_lo, s7
; %bb.1017:
	v_bfe_u32 v5, v0, 21, 1
	s_delay_alu instid0(VALU_DEP_1) | instskip(NEXT) | instid1(VALU_DEP_1)
	v_add3_u32 v5, v0, v5, 0x80fffff
	v_lshrrev_b32_e32 v5, 21, v5
; %bb.1018:
	s_and_not1_saveexec_b32 s7, s7
; %bb.1019:
	v_add_f32_e64 v5, 0x43000000, |v0|
; %bb.1020:
	s_or_b32 exec_lo, exec_lo, s7
                                        ; implicit-def: $vgpr6
.LBB337_1021:
	s_and_not1_saveexec_b32 s5, s5
; %bb.1022:
	v_mov_b32_e32 v5, 0x7f
	v_cmp_lt_u32_e32 vcc_lo, 0x7f800000, v6
	s_delay_alu instid0(VALU_DEP_2)
	v_cndmask_b32_e32 v5, 0x7c, v5, vcc_lo
; %bb.1023:
	s_or_b32 exec_lo, exec_lo, s5
	v_lshrrev_b32_e32 v0, 24, v0
	s_delay_alu instid0(VALU_DEP_1)
	v_and_or_b32 v0, 0x80, v0, v5
	global_store_b8 v[1:2], v0, off
.LBB337_1024:
	s_mov_b32 s5, 0
.LBB337_1025:
	s_delay_alu instid0(SALU_CYCLE_1)
	s_and_not1_b32 vcc_lo, exec_lo, s5
	s_mov_b32 s8, 0
	s_cbranch_vccnz .LBB337_1033
; %bb.1026:
	v_cmp_lt_i16_e32 vcc_lo, 14, v4
	s_mov_b32 s5, -1
	s_cbranch_vccz .LBB337_1030
; %bb.1027:
	v_cmp_eq_u16_e32 vcc_lo, 15, v4
	s_mov_b32 s2, -1
	s_cbranch_vccz .LBB337_1029
; %bb.1028:
	v_cvt_f32_f16_e32 v0, v3
	v_cmp_o_f16_e32 vcc_lo, v3, v3
	s_mov_b32 s2, 0
	s_delay_alu instid0(VALU_DEP_2) | instskip(NEXT) | instid1(VALU_DEP_1)
	v_bfe_u32 v5, v0, 16, 1
	v_add3_u32 v0, v0, v5, 0x7fff
	s_delay_alu instid0(VALU_DEP_1) | instskip(NEXT) | instid1(VALU_DEP_1)
	v_lshrrev_b32_e32 v0, 16, v0
	v_cndmask_b32_e32 v0, 0x7fc0, v0, vcc_lo
	global_store_b16 v[1:2], v0, off
.LBB337_1029:
	s_mov_b32 s5, 0
.LBB337_1030:
	s_delay_alu instid0(SALU_CYCLE_1)
	s_and_b32 vcc_lo, exec_lo, s5
	s_cbranch_vccz .LBB337_1033
; %bb.1031:
	v_cmp_ne_u16_e32 vcc_lo, 11, v4
	s_and_not1_b32 s2, s2, exec_lo
	s_mov_b32 s8, -1
	s_and_b32 s5, vcc_lo, exec_lo
	s_delay_alu instid0(SALU_CYCLE_1)
	s_or_b32 s2, s2, s5
	s_branch .LBB337_1033
.LBB337_1032:
	s_mov_b32 s8, 0
.LBB337_1033:
	s_and_b32 s7, s4, exec_lo
	s_and_not1_b32 s4, s37, exec_lo
	s_and_b32 s2, s2, exec_lo
	s_and_b32 s8, s8, exec_lo
	s_or_b32 s37, s4, s2
.LBB337_1034:
	s_or_b32 exec_lo, exec_lo, s6
	s_and_saveexec_b32 s2, s37
	s_cbranch_execnz .LBB337_1148
; %bb.1035:
	s_or_b32 exec_lo, exec_lo, s2
	s_and_saveexec_b32 s2, s8
	s_delay_alu instid0(SALU_CYCLE_1)
	s_xor_b32 s2, exec_lo, s2
	s_cbranch_execz .LBB337_1037
.LBB337_1036:
	v_and_b32_e32 v0, 0x7fff, v3
	s_delay_alu instid0(VALU_DEP_1)
	v_cmp_ne_u16_e32 vcc_lo, 0, v0
	v_cndmask_b32_e64 v0, 0, 1, vcc_lo
	global_store_b8 v[1:2], v0, off
.LBB337_1037:
	s_or_b32 exec_lo, exec_lo, s2
	s_and_saveexec_b32 s2, s7
	s_delay_alu instid0(SALU_CYCLE_1)
	s_xor_b32 s2, exec_lo, s2
	s_cbranch_execz .LBB337_1075
; %bb.1038:
	v_cmp_gt_i16_e32 vcc_lo, 5, v4
	s_mov_b32 s4, -1
	s_cbranch_vccnz .LBB337_1059
; %bb.1039:
	v_cmp_gt_i16_e32 vcc_lo, 8, v4
	s_cbranch_vccnz .LBB337_1049
; %bb.1040:
	v_cmp_gt_i16_e32 vcc_lo, 9, v4
	s_cbranch_vccnz .LBB337_1046
; %bb.1041:
	v_cmp_lt_i16_e32 vcc_lo, 9, v4
	s_cbranch_vccz .LBB337_1043
; %bb.1042:
	v_cvt_f32_f16_e32 v0, v3
	v_mov_b32_e32 v7, 0
	s_mov_b32 s4, 0
	s_waitcnt vmcnt(0)
	s_delay_alu instid0(VALU_DEP_2) | instskip(NEXT) | instid1(VALU_DEP_2)
	v_cvt_f64_f32_e32 v[5:6], v0
	v_mov_b32_e32 v8, v7
	global_store_b128 v[1:2], v[5:8], off
.LBB337_1043:
	s_and_not1_b32 vcc_lo, exec_lo, s4
	s_cbranch_vccnz .LBB337_1045
; %bb.1044:
	s_waitcnt vmcnt(0)
	v_cvt_f32_f16_e32 v5, v3
	v_mov_b32_e32 v6, 0
	global_store_b64 v[1:2], v[5:6], off
.LBB337_1045:
	s_mov_b32 s4, 0
.LBB337_1046:
	s_delay_alu instid0(SALU_CYCLE_1)
	s_and_not1_b32 vcc_lo, exec_lo, s4
	s_cbranch_vccnz .LBB337_1048
; %bb.1047:
	v_and_b32_e32 v0, 0xffff, v3
	global_store_b32 v[1:2], v0, off
.LBB337_1048:
	s_mov_b32 s4, 0
.LBB337_1049:
	s_delay_alu instid0(SALU_CYCLE_1)
	s_and_not1_b32 vcc_lo, exec_lo, s4
	s_cbranch_vccnz .LBB337_1058
; %bb.1050:
	v_cmp_gt_i16_e32 vcc_lo, 6, v4
	s_mov_b32 s4, -1
	s_cbranch_vccnz .LBB337_1056
; %bb.1051:
	v_cmp_lt_i16_e32 vcc_lo, 6, v4
	s_cbranch_vccz .LBB337_1053
; %bb.1052:
	v_cvt_f32_f16_e32 v0, v3
	s_mov_b32 s4, 0
	s_waitcnt vmcnt(0)
	s_delay_alu instid0(VALU_DEP_1)
	v_cvt_f64_f32_e32 v[5:6], v0
	global_store_b64 v[1:2], v[5:6], off
.LBB337_1053:
	s_and_not1_b32 vcc_lo, exec_lo, s4
	s_cbranch_vccnz .LBB337_1055
; %bb.1054:
	v_cvt_f32_f16_e32 v0, v3
	global_store_b32 v[1:2], v0, off
.LBB337_1055:
	s_mov_b32 s4, 0
.LBB337_1056:
	s_delay_alu instid0(SALU_CYCLE_1)
	s_and_not1_b32 vcc_lo, exec_lo, s4
	s_cbranch_vccnz .LBB337_1058
; %bb.1057:
	global_store_b16 v[1:2], v3, off
.LBB337_1058:
	s_mov_b32 s4, 0
.LBB337_1059:
	s_delay_alu instid0(SALU_CYCLE_1)
	s_and_not1_b32 vcc_lo, exec_lo, s4
	s_cbranch_vccnz .LBB337_1075
; %bb.1060:
	v_cmp_gt_i16_e32 vcc_lo, 2, v4
	s_mov_b32 s4, -1
	s_cbranch_vccnz .LBB337_1070
; %bb.1061:
	v_cmp_gt_i16_e32 vcc_lo, 3, v4
	s_cbranch_vccnz .LBB337_1067
; %bb.1062:
	v_cmp_lt_i16_e32 vcc_lo, 3, v4
	s_cbranch_vccz .LBB337_1064
; %bb.1063:
	v_cvt_f32_f16_e32 v0, v3
	s_mov_b32 s4, 0
	s_waitcnt vmcnt(0)
	s_delay_alu instid0(VALU_DEP_1) | instskip(NEXT) | instid1(VALU_DEP_1)
	v_cvt_i32_f32_e32 v5, v0
	v_ashrrev_i32_e32 v6, 31, v5
	global_store_b64 v[1:2], v[5:6], off
.LBB337_1064:
	s_and_not1_b32 vcc_lo, exec_lo, s4
	s_cbranch_vccnz .LBB337_1066
; %bb.1065:
	v_cvt_f32_f16_e32 v0, v3
	s_delay_alu instid0(VALU_DEP_1)
	v_cvt_i32_f32_e32 v0, v0
	global_store_b32 v[1:2], v0, off
.LBB337_1066:
	s_mov_b32 s4, 0
.LBB337_1067:
	s_delay_alu instid0(SALU_CYCLE_1)
	s_and_not1_b32 vcc_lo, exec_lo, s4
	s_cbranch_vccnz .LBB337_1069
; %bb.1068:
	v_cvt_i16_f16_e32 v0, v3
	global_store_b16 v[1:2], v0, off
.LBB337_1069:
	s_mov_b32 s4, 0
.LBB337_1070:
	s_delay_alu instid0(SALU_CYCLE_1)
	s_and_not1_b32 vcc_lo, exec_lo, s4
	s_cbranch_vccnz .LBB337_1075
; %bb.1071:
	v_cmp_lt_i16_e32 vcc_lo, 0, v4
	s_mov_b32 s4, -1
	s_cbranch_vccz .LBB337_1073
; %bb.1072:
	v_cvt_i16_f16_e32 v0, v3
	s_mov_b32 s4, 0
	global_store_b8 v[1:2], v0, off
.LBB337_1073:
	s_and_not1_b32 vcc_lo, exec_lo, s4
	s_cbranch_vccnz .LBB337_1075
; %bb.1074:
	v_cvt_f32_f16_e32 v0, v3
	s_delay_alu instid0(VALU_DEP_1)
	v_cvt_i32_f32_e32 v0, v0
	global_store_b8 v[1:2], v0, off
.LBB337_1075:
	s_or_b32 exec_lo, exec_lo, s2
	s_delay_alu instid0(SALU_CYCLE_1)
	s_and_b32 s8, s3, exec_lo
                                        ; implicit-def: $vgpr8
                                        ; implicit-def: $vgpr4
.LBB337_1076:
	s_or_saveexec_b32 s9, s30
	s_mov_b32 s4, 0
                                        ; implicit-def: $vgpr0_vgpr1
                                        ; implicit-def: $sgpr3
                                        ; implicit-def: $vgpr2
	s_xor_b32 exec_lo, exec_lo, s9
	s_cbranch_execz .LBB337_2051
; %bb.1077:
	v_cndmask_b32_e64 v0, 0, 1, s29
	s_and_not1_b32 vcc_lo, exec_lo, s29
	s_cbranch_vccnz .LBB337_1083
; %bb.1078:
	v_mov_b32_e32 v3, 0
	v_mov_b32_e32 v7, 0
	s_cmp_lg_u32 s26, 0
	s_mov_b32 s6, 0
	s_cbranch_scc0 .LBB337_1087
; %bb.1079:
	s_min_u32 s7, s27, 15
	v_mov_b32_e32 v3, 0
	s_add_i32 s7, s7, 1
	s_cmp_eq_u32 s27, 2
	s_mov_b32 s10, 0
	s_cbranch_scc1 .LBB337_1084
; %bb.1080:
	v_mov_b32_e32 v7, 0
	v_mov_b32_e32 v3, 0
	;; [unrolled: 1-line block ×3, first 2 shown]
	s_add_u32 s2, s16, 0xc4
	s_addc_u32 s3, s17, 0
	s_and_b32 s10, s7, 28
	s_mov_b32 s11, 0
	s_mov_b64 s[4:5], s[16:17]
.LBB337_1081:                           ; =>This Inner Loop Header: Depth=1
	s_clause 0x1
	s_load_b256 s[36:43], s[4:5], 0x4
	s_load_b128 s[12:15], s[4:5], 0x24
	s_load_b256 s[44:51], s[2:3], 0x0
	s_add_u32 s4, s4, 48
	s_addc_u32 s5, s5, 0
	s_add_i32 s11, s11, 4
	s_add_u32 s2, s2, 32
	s_addc_u32 s3, s3, 0
	s_cmp_lg_u32 s10, s11
	s_waitcnt lgkmcnt(0)
	v_mul_hi_u32 v2, s37, v1
	s_delay_alu instid0(VALU_DEP_1) | instskip(NEXT) | instid1(VALU_DEP_1)
	v_add_nc_u32_e32 v2, v1, v2
	v_lshrrev_b32_e32 v2, s38, v2
	s_waitcnt vmcnt(0)
	s_delay_alu instid0(VALU_DEP_1) | instskip(SKIP_1) | instid1(VALU_DEP_2)
	v_mul_hi_u32 v5, s40, v2
	v_mul_lo_u32 v9, v2, s36
	v_add_nc_u32_e32 v5, v2, v5
	s_delay_alu instid0(VALU_DEP_2) | instskip(NEXT) | instid1(VALU_DEP_2)
	v_sub_nc_u32_e32 v1, v1, v9
	v_lshrrev_b32_e32 v5, s41, v5
	s_delay_alu instid0(VALU_DEP_2) | instskip(SKIP_1) | instid1(VALU_DEP_3)
	v_mul_lo_u32 v9, v1, s44
	v_mul_lo_u32 v11, v1, s45
	v_mul_hi_u32 v6, s43, v5
	s_delay_alu instid0(VALU_DEP_1) | instskip(NEXT) | instid1(VALU_DEP_1)
	v_add_nc_u32_e32 v6, v5, v6
	v_lshrrev_b32_e32 v6, s12, v6
	s_delay_alu instid0(VALU_DEP_1) | instskip(SKIP_1) | instid1(VALU_DEP_2)
	v_mul_hi_u32 v10, s14, v6
	v_mul_lo_u32 v12, v6, s42
	v_add_nc_u32_e32 v1, v6, v10
	v_mul_lo_u32 v10, v5, s39
	s_delay_alu instid0(VALU_DEP_3) | instskip(NEXT) | instid1(VALU_DEP_3)
	v_sub_nc_u32_e32 v5, v5, v12
	v_lshrrev_b32_e32 v1, s15, v1
	s_delay_alu instid0(VALU_DEP_2) | instskip(SKIP_2) | instid1(VALU_DEP_4)
	v_mul_lo_u32 v12, v5, s48
	v_mul_lo_u32 v5, v5, s49
	v_sub_nc_u32_e32 v2, v2, v10
	v_mul_lo_u32 v13, v1, s13
	s_delay_alu instid0(VALU_DEP_2) | instskip(SKIP_1) | instid1(VALU_DEP_3)
	v_mul_lo_u32 v10, v2, s46
	v_mul_lo_u32 v2, v2, s47
	v_sub_nc_u32_e32 v6, v6, v13
	s_delay_alu instid0(VALU_DEP_3) | instskip(NEXT) | instid1(VALU_DEP_2)
	v_add3_u32 v3, v9, v3, v10
	v_mul_lo_u32 v13, v6, s50
	v_mul_lo_u32 v6, v6, s51
	v_add3_u32 v2, v11, v7, v2
	s_delay_alu instid0(VALU_DEP_3) | instskip(NEXT) | instid1(VALU_DEP_2)
	v_add3_u32 v3, v12, v3, v13
	v_add3_u32 v7, v5, v2, v6
	s_cbranch_scc1 .LBB337_1081
; %bb.1082:
	s_and_b32 s7, s7, 3
	s_delay_alu instid0(SALU_CYCLE_1)
	s_cmp_eq_u32 s7, 0
	s_cbranch_scc0 .LBB337_1085
	s_branch .LBB337_1087
.LBB337_1083:
	s_mov_b32 s6, -1
                                        ; implicit-def: $vgpr3
                                        ; implicit-def: $vgpr7
	s_branch .LBB337_1087
.LBB337_1084:
	v_mov_b32_e32 v1, v4
	v_mov_b32_e32 v7, 0
	s_and_b32 s7, s7, 3
	s_delay_alu instid0(SALU_CYCLE_1)
	s_cmp_eq_u32 s7, 0
	s_cbranch_scc1 .LBB337_1087
.LBB337_1085:
	s_lshl_b32 s2, s10, 3
	s_mul_i32 s4, s10, 12
	s_add_u32 s2, s2, s16
	s_addc_u32 s3, 0, s17
	s_add_u32 s2, s2, 0xc4
	s_addc_u32 s3, s3, 0
	s_add_u32 s4, s16, s4
	s_addc_u32 s5, 0, s17
	.p2align	6
.LBB337_1086:                           ; =>This Inner Loop Header: Depth=1
	s_clause 0x1
	s_load_b64 s[10:11], s[4:5], 0x4
	s_load_b32 s14, s[4:5], 0xc
	s_load_b64 s[12:13], s[2:3], 0x0
	s_add_u32 s4, s4, 12
	s_addc_u32 s5, s5, 0
	s_add_u32 s2, s2, 8
	s_addc_u32 s3, s3, 0
	s_add_i32 s7, s7, -1
	s_delay_alu instid0(SALU_CYCLE_1) | instskip(SKIP_2) | instid1(VALU_DEP_1)
	s_cmp_lg_u32 s7, 0
	s_waitcnt lgkmcnt(0)
	v_mul_hi_u32 v2, s11, v1
	v_add_nc_u32_e32 v2, v1, v2
	s_delay_alu instid0(VALU_DEP_1) | instskip(NEXT) | instid1(VALU_DEP_1)
	v_lshrrev_b32_e32 v9, s14, v2
	v_mul_lo_u32 v2, v9, s10
	s_delay_alu instid0(VALU_DEP_1) | instskip(SKIP_1) | instid1(VALU_DEP_1)
	v_sub_nc_u32_e32 v1, v1, v2
	s_waitcnt vmcnt(0)
	v_mad_u64_u32 v[5:6], null, v1, s12, v[3:4]
	v_mad_u64_u32 v[2:3], null, v1, s13, v[7:8]
	v_mov_b32_e32 v1, v9
	s_delay_alu instid0(VALU_DEP_3) | instskip(NEXT) | instid1(VALU_DEP_3)
	v_mov_b32_e32 v3, v5
	v_mov_b32_e32 v7, v2
	s_cbranch_scc1 .LBB337_1086
.LBB337_1087:
	s_and_not1_b32 vcc_lo, exec_lo, s6
	s_cbranch_vccnz .LBB337_1090
; %bb.1088:
	s_clause 0x1
	s_load_b128 s[4:7], s[16:17], 0x4
	s_load_b64 s[2:3], s[16:17], 0xc4
	s_cmp_lt_u32 s26, 2
	s_waitcnt lgkmcnt(0)
	v_mul_hi_u32 v1, s5, v4
	s_delay_alu instid0(VALU_DEP_1) | instskip(NEXT) | instid1(VALU_DEP_1)
	v_add_nc_u32_e32 v1, v4, v1
	v_lshrrev_b32_e32 v1, s6, v1
	s_delay_alu instid0(VALU_DEP_1) | instskip(NEXT) | instid1(VALU_DEP_1)
	v_mul_lo_u32 v2, v1, s4
	v_sub_nc_u32_e32 v2, v4, v2
	s_delay_alu instid0(VALU_DEP_1)
	v_mul_lo_u32 v3, v2, s2
	v_mul_lo_u32 v7, v2, s3
	s_cbranch_scc1 .LBB337_1090
; %bb.1089:
	s_clause 0x1
	s_load_b128 s[4:7], s[16:17], 0x10
	s_load_b64 s[2:3], s[16:17], 0xcc
	s_waitcnt lgkmcnt(0)
	v_mul_hi_u32 v2, s5, v1
	s_delay_alu instid0(VALU_DEP_1) | instskip(NEXT) | instid1(VALU_DEP_1)
	v_add_nc_u32_e32 v2, v1, v2
	v_lshrrev_b32_e32 v2, s6, v2
	s_delay_alu instid0(VALU_DEP_1) | instskip(SKIP_1) | instid1(VALU_DEP_1)
	v_mul_lo_u32 v2, v2, s4
	s_waitcnt vmcnt(0)
	v_sub_nc_u32_e32 v5, v1, v2
	s_delay_alu instid0(VALU_DEP_1) | instskip(SKIP_1) | instid1(VALU_DEP_2)
	v_mad_u64_u32 v[1:2], null, v5, s2, v[3:4]
	v_mad_u64_u32 v[2:3], null, v5, s3, v[7:8]
	v_mov_b32_e32 v3, v1
	s_delay_alu instid0(VALU_DEP_2)
	v_mov_b32_e32 v7, v2
.LBB337_1090:
	v_cmp_ne_u32_e32 vcc_lo, 1, v0
	v_add_nc_u32_e32 v1, 0x80, v4
	s_cbranch_vccnz .LBB337_1096
; %bb.1091:
	v_mov_b32_e32 v2, 0
	s_waitcnt vmcnt(0)
	v_mov_b32_e32 v6, 0
	s_cmp_lg_u32 s26, 0
	s_mov_b32 s6, 0
	s_cbranch_scc0 .LBB337_1100
; %bb.1092:
	s_min_u32 s7, s27, 15
	v_mov_b32_e32 v2, 0
	s_add_i32 s7, s7, 1
	s_cmp_eq_u32 s27, 2
	s_mov_b32 s10, 0
	s_cbranch_scc1 .LBB337_1097
; %bb.1093:
	v_dual_mov_b32 v6, 0 :: v_dual_mov_b32 v5, v1
	v_mov_b32_e32 v2, 0
	s_add_u32 s2, s16, 0xc4
	s_addc_u32 s3, s17, 0
	s_and_b32 s10, s7, 28
	s_mov_b32 s11, 0
	s_mov_b64 s[4:5], s[16:17]
.LBB337_1094:                           ; =>This Inner Loop Header: Depth=1
	s_clause 0x1
	s_load_b256 s[36:43], s[4:5], 0x4
	s_load_b128 s[12:15], s[4:5], 0x24
	s_load_b256 s[44:51], s[2:3], 0x0
	s_add_u32 s4, s4, 48
	s_addc_u32 s5, s5, 0
	s_add_i32 s11, s11, 4
	s_add_u32 s2, s2, 32
	s_addc_u32 s3, s3, 0
	s_cmp_lg_u32 s10, s11
	s_waitcnt lgkmcnt(0)
	v_mul_hi_u32 v9, s37, v5
	s_delay_alu instid0(VALU_DEP_1) | instskip(NEXT) | instid1(VALU_DEP_1)
	v_add_nc_u32_e32 v9, v5, v9
	v_lshrrev_b32_e32 v9, s38, v9
	s_delay_alu instid0(VALU_DEP_1) | instskip(SKIP_1) | instid1(VALU_DEP_2)
	v_mul_hi_u32 v10, s40, v9
	v_mul_lo_u32 v12, v9, s36
	v_add_nc_u32_e32 v10, v9, v10
	s_delay_alu instid0(VALU_DEP_2) | instskip(NEXT) | instid1(VALU_DEP_2)
	v_sub_nc_u32_e32 v5, v5, v12
	v_lshrrev_b32_e32 v10, s41, v10
	s_delay_alu instid0(VALU_DEP_2) | instskip(SKIP_1) | instid1(VALU_DEP_3)
	v_mul_lo_u32 v12, v5, s44
	v_mul_lo_u32 v14, v5, s45
	v_mul_hi_u32 v11, s43, v10
	s_delay_alu instid0(VALU_DEP_1) | instskip(NEXT) | instid1(VALU_DEP_1)
	v_add_nc_u32_e32 v11, v10, v11
	v_lshrrev_b32_e32 v11, s12, v11
	s_delay_alu instid0(VALU_DEP_1) | instskip(SKIP_1) | instid1(VALU_DEP_2)
	v_mul_hi_u32 v13, s14, v11
	v_mul_lo_u32 v15, v11, s42
	v_add_nc_u32_e32 v5, v11, v13
	v_mul_lo_u32 v13, v10, s39
	s_delay_alu instid0(VALU_DEP_3) | instskip(NEXT) | instid1(VALU_DEP_3)
	v_sub_nc_u32_e32 v10, v10, v15
	v_lshrrev_b32_e32 v5, s15, v5
	s_delay_alu instid0(VALU_DEP_2) | instskip(SKIP_2) | instid1(VALU_DEP_4)
	v_mul_lo_u32 v15, v10, s48
	v_mul_lo_u32 v10, v10, s49
	v_sub_nc_u32_e32 v9, v9, v13
	v_mul_lo_u32 v16, v5, s13
	s_delay_alu instid0(VALU_DEP_2) | instskip(SKIP_1) | instid1(VALU_DEP_3)
	v_mul_lo_u32 v13, v9, s46
	v_mul_lo_u32 v9, v9, s47
	v_sub_nc_u32_e32 v11, v11, v16
	s_delay_alu instid0(VALU_DEP_3) | instskip(NEXT) | instid1(VALU_DEP_2)
	v_add3_u32 v2, v12, v2, v13
	v_mul_lo_u32 v16, v11, s50
	v_mul_lo_u32 v11, v11, s51
	v_add3_u32 v6, v14, v6, v9
	s_delay_alu instid0(VALU_DEP_3) | instskip(NEXT) | instid1(VALU_DEP_2)
	v_add3_u32 v2, v15, v2, v16
	v_add3_u32 v6, v10, v6, v11
	s_cbranch_scc1 .LBB337_1094
; %bb.1095:
	s_and_b32 s7, s7, 3
	s_delay_alu instid0(SALU_CYCLE_1)
	s_cmp_eq_u32 s7, 0
	s_cbranch_scc0 .LBB337_1098
	s_branch .LBB337_1100
.LBB337_1096:
	s_mov_b32 s6, -1
                                        ; implicit-def: $vgpr2
                                        ; implicit-def: $vgpr6
	s_branch .LBB337_1100
.LBB337_1097:
	v_dual_mov_b32 v5, v1 :: v_dual_mov_b32 v6, 0
	s_and_b32 s7, s7, 3
	s_delay_alu instid0(SALU_CYCLE_1)
	s_cmp_eq_u32 s7, 0
	s_cbranch_scc1 .LBB337_1100
.LBB337_1098:
	s_lshl_b32 s2, s10, 3
	s_mul_i32 s4, s10, 12
	s_add_u32 s2, s2, s16
	s_addc_u32 s3, 0, s17
	s_add_u32 s2, s2, 0xc4
	s_addc_u32 s3, s3, 0
	s_add_u32 s4, s16, s4
	s_addc_u32 s5, 0, s17
	.p2align	6
.LBB337_1099:                           ; =>This Inner Loop Header: Depth=1
	s_clause 0x1
	s_load_b64 s[10:11], s[4:5], 0x4
	s_load_b32 s14, s[4:5], 0xc
	s_load_b64 s[12:13], s[2:3], 0x0
	s_add_u32 s4, s4, 12
	s_addc_u32 s5, s5, 0
	s_add_u32 s2, s2, 8
	s_addc_u32 s3, s3, 0
	s_add_i32 s7, s7, -1
	s_delay_alu instid0(SALU_CYCLE_1) | instskip(SKIP_2) | instid1(VALU_DEP_1)
	s_cmp_lg_u32 s7, 0
	s_waitcnt lgkmcnt(0)
	v_mul_hi_u32 v9, s11, v5
	v_add_nc_u32_e32 v9, v5, v9
	s_delay_alu instid0(VALU_DEP_1) | instskip(NEXT) | instid1(VALU_DEP_1)
	v_lshrrev_b32_e32 v12, s14, v9
	v_mul_lo_u32 v9, v12, s10
	s_delay_alu instid0(VALU_DEP_1) | instskip(NEXT) | instid1(VALU_DEP_1)
	v_sub_nc_u32_e32 v5, v5, v9
	v_mad_u64_u32 v[9:10], null, v5, s12, v[2:3]
	v_mad_u64_u32 v[10:11], null, v5, s13, v[6:7]
	s_delay_alu instid0(VALU_DEP_2) | instskip(NEXT) | instid1(VALU_DEP_2)
	v_dual_mov_b32 v5, v12 :: v_dual_mov_b32 v2, v9
	v_mov_b32_e32 v6, v10
	s_cbranch_scc1 .LBB337_1099
.LBB337_1100:
	s_and_not1_b32 vcc_lo, exec_lo, s6
	s_cbranch_vccnz .LBB337_1103
; %bb.1101:
	s_clause 0x1
	s_load_b128 s[4:7], s[16:17], 0x4
	s_load_b64 s[2:3], s[16:17], 0xc4
	s_cmp_lt_u32 s26, 2
	s_waitcnt lgkmcnt(0)
	v_mul_hi_u32 v2, s5, v1
	s_delay_alu instid0(VALU_DEP_1) | instskip(SKIP_1) | instid1(VALU_DEP_1)
	v_add_nc_u32_e32 v2, v1, v2
	s_waitcnt vmcnt(0)
	v_lshrrev_b32_e32 v5, s6, v2
	s_delay_alu instid0(VALU_DEP_1) | instskip(NEXT) | instid1(VALU_DEP_1)
	v_mul_lo_u32 v2, v5, s4
	v_sub_nc_u32_e32 v1, v1, v2
	s_delay_alu instid0(VALU_DEP_1)
	v_mul_lo_u32 v2, v1, s2
	v_mul_lo_u32 v6, v1, s3
	s_cbranch_scc1 .LBB337_1103
; %bb.1102:
	s_clause 0x1
	s_load_b128 s[4:7], s[16:17], 0x10
	s_load_b64 s[2:3], s[16:17], 0xcc
	s_waitcnt lgkmcnt(0)
	v_mul_hi_u32 v1, s5, v5
	s_delay_alu instid0(VALU_DEP_1) | instskip(NEXT) | instid1(VALU_DEP_1)
	v_add_nc_u32_e32 v1, v5, v1
	v_lshrrev_b32_e32 v1, s6, v1
	s_delay_alu instid0(VALU_DEP_1) | instskip(NEXT) | instid1(VALU_DEP_1)
	v_mul_lo_u32 v1, v1, s4
	v_sub_nc_u32_e32 v5, v5, v1
	s_delay_alu instid0(VALU_DEP_1) | instskip(SKIP_1) | instid1(VALU_DEP_2)
	v_mad_u64_u32 v[9:10], null, v5, s2, v[2:3]
	v_mad_u64_u32 v[1:2], null, v5, s3, v[6:7]
	v_mov_b32_e32 v2, v9
	s_delay_alu instid0(VALU_DEP_2)
	v_mov_b32_e32 v6, v1
.LBB337_1103:
	v_cmp_ne_u32_e32 vcc_lo, 1, v0
	v_add_nc_u32_e32 v4, 0x100, v4
	s_cbranch_vccnz .LBB337_1109
; %bb.1104:
	v_mov_b32_e32 v1, 0
	s_waitcnt vmcnt(0)
	v_mov_b32_e32 v5, 0
	s_cmp_lg_u32 s26, 0
	s_mov_b32 s6, 0
	s_cbranch_scc0 .LBB337_1113
; %bb.1105:
	s_min_u32 s7, s27, 15
	v_mov_b32_e32 v1, 0
	s_add_i32 s7, s7, 1
	s_cmp_eq_u32 s27, 2
	s_mov_b32 s10, 0
	s_cbranch_scc1 .LBB337_1110
; %bb.1106:
	v_mov_b32_e32 v5, 0
	v_mov_b32_e32 v1, 0
	;; [unrolled: 1-line block ×3, first 2 shown]
	s_add_u32 s2, s16, 0xc4
	s_addc_u32 s3, s17, 0
	s_and_b32 s10, s7, 28
	s_mov_b32 s11, 0
	s_mov_b64 s[4:5], s[16:17]
.LBB337_1107:                           ; =>This Inner Loop Header: Depth=1
	s_clause 0x1
	s_load_b256 s[36:43], s[4:5], 0x4
	s_load_b128 s[12:15], s[4:5], 0x24
	s_load_b256 s[44:51], s[2:3], 0x0
	s_add_u32 s4, s4, 48
	s_addc_u32 s5, s5, 0
	s_add_i32 s11, s11, 4
	s_add_u32 s2, s2, 32
	s_addc_u32 s3, s3, 0
	s_cmp_lg_u32 s10, s11
	s_waitcnt lgkmcnt(0)
	v_mul_hi_u32 v10, s37, v9
	s_delay_alu instid0(VALU_DEP_1) | instskip(NEXT) | instid1(VALU_DEP_1)
	v_add_nc_u32_e32 v10, v9, v10
	v_lshrrev_b32_e32 v10, s38, v10
	s_delay_alu instid0(VALU_DEP_1) | instskip(SKIP_1) | instid1(VALU_DEP_2)
	v_mul_hi_u32 v11, s40, v10
	v_mul_lo_u32 v13, v10, s36
	v_add_nc_u32_e32 v11, v10, v11
	s_delay_alu instid0(VALU_DEP_2) | instskip(NEXT) | instid1(VALU_DEP_2)
	v_sub_nc_u32_e32 v9, v9, v13
	v_lshrrev_b32_e32 v11, s41, v11
	s_delay_alu instid0(VALU_DEP_2) | instskip(SKIP_1) | instid1(VALU_DEP_3)
	v_mul_lo_u32 v13, v9, s44
	v_mul_lo_u32 v15, v9, s45
	v_mul_hi_u32 v12, s43, v11
	s_delay_alu instid0(VALU_DEP_1) | instskip(NEXT) | instid1(VALU_DEP_1)
	v_add_nc_u32_e32 v12, v11, v12
	v_lshrrev_b32_e32 v12, s12, v12
	s_delay_alu instid0(VALU_DEP_1) | instskip(SKIP_1) | instid1(VALU_DEP_2)
	v_mul_hi_u32 v14, s14, v12
	v_mul_lo_u32 v16, v12, s42
	v_add_nc_u32_e32 v9, v12, v14
	v_mul_lo_u32 v14, v11, s39
	s_delay_alu instid0(VALU_DEP_3) | instskip(NEXT) | instid1(VALU_DEP_3)
	v_sub_nc_u32_e32 v11, v11, v16
	v_lshrrev_b32_e32 v9, s15, v9
	s_delay_alu instid0(VALU_DEP_2) | instskip(SKIP_2) | instid1(VALU_DEP_4)
	v_mul_lo_u32 v16, v11, s48
	v_mul_lo_u32 v11, v11, s49
	v_sub_nc_u32_e32 v10, v10, v14
	v_mul_lo_u32 v17, v9, s13
	s_delay_alu instid0(VALU_DEP_2) | instskip(SKIP_1) | instid1(VALU_DEP_3)
	v_mul_lo_u32 v14, v10, s46
	v_mul_lo_u32 v10, v10, s47
	v_sub_nc_u32_e32 v12, v12, v17
	s_delay_alu instid0(VALU_DEP_3) | instskip(NEXT) | instid1(VALU_DEP_2)
	v_add3_u32 v1, v13, v1, v14
	v_mul_lo_u32 v17, v12, s50
	v_mul_lo_u32 v12, v12, s51
	v_add3_u32 v5, v15, v5, v10
	s_delay_alu instid0(VALU_DEP_3) | instskip(NEXT) | instid1(VALU_DEP_2)
	v_add3_u32 v1, v16, v1, v17
	v_add3_u32 v5, v11, v5, v12
	s_cbranch_scc1 .LBB337_1107
; %bb.1108:
	s_and_b32 s7, s7, 3
	s_delay_alu instid0(SALU_CYCLE_1)
	s_cmp_eq_u32 s7, 0
	s_cbranch_scc0 .LBB337_1111
	s_branch .LBB337_1113
.LBB337_1109:
	s_mov_b32 s6, -1
                                        ; implicit-def: $vgpr1
                                        ; implicit-def: $vgpr5
	s_branch .LBB337_1113
.LBB337_1110:
	v_mov_b32_e32 v9, v4
	v_mov_b32_e32 v5, 0
	s_and_b32 s7, s7, 3
	s_delay_alu instid0(SALU_CYCLE_1)
	s_cmp_eq_u32 s7, 0
	s_cbranch_scc1 .LBB337_1113
.LBB337_1111:
	s_lshl_b32 s2, s10, 3
	s_mul_i32 s4, s10, 12
	s_add_u32 s2, s2, s16
	s_addc_u32 s3, 0, s17
	s_add_u32 s2, s2, 0xc4
	s_addc_u32 s3, s3, 0
	;; [unrolled: 2-line block ×3, first 2 shown]
	.p2align	6
.LBB337_1112:                           ; =>This Inner Loop Header: Depth=1
	s_clause 0x1
	s_load_b64 s[10:11], s[4:5], 0x4
	s_load_b32 s14, s[4:5], 0xc
	s_load_b64 s[12:13], s[2:3], 0x0
	s_add_u32 s4, s4, 12
	s_addc_u32 s5, s5, 0
	s_add_u32 s2, s2, 8
	s_addc_u32 s3, s3, 0
	s_add_i32 s7, s7, -1
	s_delay_alu instid0(SALU_CYCLE_1) | instskip(SKIP_2) | instid1(VALU_DEP_1)
	s_cmp_lg_u32 s7, 0
	s_waitcnt lgkmcnt(0)
	v_mul_hi_u32 v10, s11, v9
	v_add_nc_u32_e32 v10, v9, v10
	s_delay_alu instid0(VALU_DEP_1) | instskip(NEXT) | instid1(VALU_DEP_1)
	v_lshrrev_b32_e32 v13, s14, v10
	v_mul_lo_u32 v10, v13, s10
	s_delay_alu instid0(VALU_DEP_1) | instskip(NEXT) | instid1(VALU_DEP_1)
	v_sub_nc_u32_e32 v9, v9, v10
	v_mad_u64_u32 v[10:11], null, v9, s12, v[1:2]
	v_mad_u64_u32 v[11:12], null, v9, s13, v[5:6]
	v_mov_b32_e32 v9, v13
	s_delay_alu instid0(VALU_DEP_3) | instskip(NEXT) | instid1(VALU_DEP_3)
	v_mov_b32_e32 v1, v10
	v_mov_b32_e32 v5, v11
	s_cbranch_scc1 .LBB337_1112
.LBB337_1113:
	s_and_not1_b32 vcc_lo, exec_lo, s6
	s_cbranch_vccnz .LBB337_1116
; %bb.1114:
	s_clause 0x1
	s_load_b128 s[4:7], s[16:17], 0x4
	s_load_b64 s[2:3], s[16:17], 0xc4
	s_cmp_lt_u32 s26, 2
	s_waitcnt lgkmcnt(0)
	v_mul_hi_u32 v1, s5, v4
	s_delay_alu instid0(VALU_DEP_1) | instskip(NEXT) | instid1(VALU_DEP_1)
	v_add_nc_u32_e32 v1, v4, v1
	v_lshrrev_b32_e32 v9, s6, v1
	s_delay_alu instid0(VALU_DEP_1) | instskip(NEXT) | instid1(VALU_DEP_1)
	v_mul_lo_u32 v1, v9, s4
	v_sub_nc_u32_e32 v4, v4, v1
	s_delay_alu instid0(VALU_DEP_1)
	v_mul_lo_u32 v1, v4, s2
	s_waitcnt vmcnt(0)
	v_mul_lo_u32 v5, v4, s3
	s_cbranch_scc1 .LBB337_1116
; %bb.1115:
	s_clause 0x1
	s_load_b128 s[4:7], s[16:17], 0x10
	s_load_b64 s[2:3], s[16:17], 0xcc
	s_waitcnt lgkmcnt(0)
	v_mul_hi_u32 v4, s5, v9
	s_delay_alu instid0(VALU_DEP_1) | instskip(NEXT) | instid1(VALU_DEP_1)
	v_add_nc_u32_e32 v4, v9, v4
	v_lshrrev_b32_e32 v4, s6, v4
	s_delay_alu instid0(VALU_DEP_1) | instskip(NEXT) | instid1(VALU_DEP_1)
	v_mul_lo_u32 v4, v4, s4
	v_sub_nc_u32_e32 v4, v9, v4
	s_delay_alu instid0(VALU_DEP_1) | instskip(SKIP_1) | instid1(VALU_DEP_2)
	v_mad_u64_u32 v[9:10], null, v4, s2, v[1:2]
	v_mad_u64_u32 v[10:11], null, v4, s3, v[5:6]
	v_mov_b32_e32 v1, v9
	s_delay_alu instid0(VALU_DEP_2)
	v_mov_b32_e32 v5, v10
.LBB337_1116:
	v_cmp_ne_u32_e32 vcc_lo, 1, v0
	s_cbranch_vccnz .LBB337_1122
; %bb.1117:
	v_mov_b32_e32 v0, 0
	v_mov_b32_e32 v4, 0
	s_cmp_lg_u32 s26, 0
	s_mov_b32 s6, 0
	s_cbranch_scc0 .LBB337_1126
; %bb.1118:
	s_min_u32 s7, s27, 15
	v_mov_b32_e32 v0, 0
	s_add_i32 s7, s7, 1
	s_cmp_eq_u32 s27, 2
	s_mov_b32 s10, 0
	s_cbranch_scc1 .LBB337_1123
; %bb.1119:
	v_dual_mov_b32 v4, 0 :: v_dual_mov_b32 v9, v8
	v_mov_b32_e32 v0, 0
	s_add_u32 s2, s16, 0xc4
	s_addc_u32 s3, s17, 0
	s_and_b32 s10, s7, 28
	s_mov_b32 s11, 0
	s_mov_b64 s[4:5], s[16:17]
.LBB337_1120:                           ; =>This Inner Loop Header: Depth=1
	s_clause 0x1
	s_load_b256 s[36:43], s[4:5], 0x4
	s_load_b128 s[12:15], s[4:5], 0x24
	s_load_b256 s[44:51], s[2:3], 0x0
	s_add_u32 s4, s4, 48
	s_addc_u32 s5, s5, 0
	s_add_i32 s11, s11, 4
	s_add_u32 s2, s2, 32
	s_addc_u32 s3, s3, 0
	s_cmp_lg_u32 s10, s11
	s_waitcnt lgkmcnt(0)
	v_mul_hi_u32 v10, s37, v9
	s_delay_alu instid0(VALU_DEP_1) | instskip(NEXT) | instid1(VALU_DEP_1)
	v_add_nc_u32_e32 v10, v9, v10
	v_lshrrev_b32_e32 v10, s38, v10
	s_delay_alu instid0(VALU_DEP_1) | instskip(SKIP_1) | instid1(VALU_DEP_2)
	v_mul_hi_u32 v11, s40, v10
	v_mul_lo_u32 v13, v10, s36
	v_add_nc_u32_e32 v11, v10, v11
	s_delay_alu instid0(VALU_DEP_2) | instskip(NEXT) | instid1(VALU_DEP_2)
	v_sub_nc_u32_e32 v9, v9, v13
	v_lshrrev_b32_e32 v11, s41, v11
	s_delay_alu instid0(VALU_DEP_2) | instskip(SKIP_1) | instid1(VALU_DEP_3)
	v_mul_lo_u32 v13, v9, s44
	v_mul_lo_u32 v15, v9, s45
	v_mul_hi_u32 v12, s43, v11
	s_delay_alu instid0(VALU_DEP_1) | instskip(NEXT) | instid1(VALU_DEP_1)
	v_add_nc_u32_e32 v12, v11, v12
	v_lshrrev_b32_e32 v12, s12, v12
	s_delay_alu instid0(VALU_DEP_1) | instskip(SKIP_1) | instid1(VALU_DEP_2)
	v_mul_hi_u32 v14, s14, v12
	v_mul_lo_u32 v16, v12, s42
	v_add_nc_u32_e32 v9, v12, v14
	v_mul_lo_u32 v14, v11, s39
	s_delay_alu instid0(VALU_DEP_3) | instskip(NEXT) | instid1(VALU_DEP_3)
	v_sub_nc_u32_e32 v11, v11, v16
	v_lshrrev_b32_e32 v9, s15, v9
	s_delay_alu instid0(VALU_DEP_2) | instskip(SKIP_2) | instid1(VALU_DEP_4)
	v_mul_lo_u32 v16, v11, s48
	v_mul_lo_u32 v11, v11, s49
	v_sub_nc_u32_e32 v10, v10, v14
	v_mul_lo_u32 v17, v9, s13
	s_delay_alu instid0(VALU_DEP_2) | instskip(SKIP_1) | instid1(VALU_DEP_3)
	v_mul_lo_u32 v14, v10, s46
	v_mul_lo_u32 v10, v10, s47
	v_sub_nc_u32_e32 v12, v12, v17
	s_delay_alu instid0(VALU_DEP_3) | instskip(NEXT) | instid1(VALU_DEP_2)
	v_add3_u32 v0, v13, v0, v14
	v_mul_lo_u32 v17, v12, s50
	v_mul_lo_u32 v12, v12, s51
	v_add3_u32 v4, v15, v4, v10
	s_delay_alu instid0(VALU_DEP_3) | instskip(NEXT) | instid1(VALU_DEP_2)
	v_add3_u32 v0, v16, v0, v17
	v_add3_u32 v4, v11, v4, v12
	s_cbranch_scc1 .LBB337_1120
; %bb.1121:
	s_and_b32 s7, s7, 3
	s_delay_alu instid0(SALU_CYCLE_1)
	s_cmp_eq_u32 s7, 0
	s_cbranch_scc0 .LBB337_1124
	s_branch .LBB337_1126
.LBB337_1122:
	s_mov_b32 s6, -1
                                        ; implicit-def: $vgpr0
                                        ; implicit-def: $vgpr4
	s_branch .LBB337_1126
.LBB337_1123:
	v_dual_mov_b32 v9, v8 :: v_dual_mov_b32 v4, 0
	s_and_b32 s7, s7, 3
	s_delay_alu instid0(SALU_CYCLE_1)
	s_cmp_eq_u32 s7, 0
	s_cbranch_scc1 .LBB337_1126
.LBB337_1124:
	s_lshl_b32 s2, s10, 3
	s_mul_i32 s4, s10, 12
	s_add_u32 s2, s2, s16
	s_addc_u32 s3, 0, s17
	s_add_u32 s2, s2, 0xc4
	s_addc_u32 s3, s3, 0
	;; [unrolled: 2-line block ×3, first 2 shown]
	.p2align	6
.LBB337_1125:                           ; =>This Inner Loop Header: Depth=1
	s_clause 0x1
	s_load_b64 s[10:11], s[4:5], 0x4
	s_load_b32 s14, s[4:5], 0xc
	s_load_b64 s[12:13], s[2:3], 0x0
	s_add_u32 s4, s4, 12
	s_addc_u32 s5, s5, 0
	s_add_u32 s2, s2, 8
	s_addc_u32 s3, s3, 0
	s_add_i32 s7, s7, -1
	s_delay_alu instid0(SALU_CYCLE_1) | instskip(SKIP_2) | instid1(VALU_DEP_1)
	s_cmp_lg_u32 s7, 0
	s_waitcnt lgkmcnt(0)
	v_mul_hi_u32 v10, s11, v9
	v_add_nc_u32_e32 v10, v9, v10
	s_delay_alu instid0(VALU_DEP_1) | instskip(NEXT) | instid1(VALU_DEP_1)
	v_lshrrev_b32_e32 v13, s14, v10
	v_mul_lo_u32 v10, v13, s10
	s_delay_alu instid0(VALU_DEP_1) | instskip(NEXT) | instid1(VALU_DEP_1)
	v_sub_nc_u32_e32 v9, v9, v10
	v_mad_u64_u32 v[10:11], null, v9, s12, v[0:1]
	s_waitcnt vmcnt(0)
	v_mad_u64_u32 v[11:12], null, v9, s13, v[4:5]
	s_delay_alu instid0(VALU_DEP_2) | instskip(NEXT) | instid1(VALU_DEP_2)
	v_dual_mov_b32 v9, v13 :: v_dual_mov_b32 v0, v10
	v_mov_b32_e32 v4, v11
	s_cbranch_scc1 .LBB337_1125
.LBB337_1126:
	s_and_not1_b32 vcc_lo, exec_lo, s6
	s_cbranch_vccnz .LBB337_1129
; %bb.1127:
	s_clause 0x1
	s_load_b128 s[4:7], s[16:17], 0x4
	s_load_b64 s[2:3], s[16:17], 0xc4
	s_cmp_lt_u32 s26, 2
	s_waitcnt lgkmcnt(0)
	v_mul_hi_u32 v0, s5, v8
	s_delay_alu instid0(VALU_DEP_1) | instskip(NEXT) | instid1(VALU_DEP_1)
	v_add_nc_u32_e32 v0, v8, v0
	v_lshrrev_b32_e32 v9, s6, v0
	s_delay_alu instid0(VALU_DEP_1) | instskip(NEXT) | instid1(VALU_DEP_1)
	v_mul_lo_u32 v0, v9, s4
	v_sub_nc_u32_e32 v4, v8, v0
	s_delay_alu instid0(VALU_DEP_1)
	v_mul_lo_u32 v0, v4, s2
	v_mul_lo_u32 v4, v4, s3
	s_cbranch_scc1 .LBB337_1129
; %bb.1128:
	s_clause 0x1
	s_load_b128 s[4:7], s[16:17], 0x10
	s_load_b64 s[2:3], s[16:17], 0xcc
	s_waitcnt lgkmcnt(0)
	v_mul_hi_u32 v8, s5, v9
	s_delay_alu instid0(VALU_DEP_1) | instskip(NEXT) | instid1(VALU_DEP_1)
	v_add_nc_u32_e32 v8, v9, v8
	v_lshrrev_b32_e32 v8, s6, v8
	s_delay_alu instid0(VALU_DEP_1) | instskip(NEXT) | instid1(VALU_DEP_1)
	v_mul_lo_u32 v8, v8, s4
	v_sub_nc_u32_e32 v11, v9, v8
	s_delay_alu instid0(VALU_DEP_1) | instskip(SKIP_2) | instid1(VALU_DEP_2)
	v_mad_u64_u32 v[8:9], null, v11, s2, v[0:1]
	s_waitcnt vmcnt(0)
	v_mad_u64_u32 v[9:10], null, v11, s3, v[4:5]
	v_mov_b32_e32 v0, v8
	s_delay_alu instid0(VALU_DEP_2)
	v_mov_b32_e32 v4, v9
.LBB337_1129:
	s_clause 0x1
	s_load_b32 s0, s[0:1], 0x164
	s_load_b128 s[4:7], s[16:17], 0x148
	s_mov_b32 s3, 0
	s_waitcnt lgkmcnt(0)
	s_lshr_b32 s0, s0, 8
	s_delay_alu instid0(SALU_CYCLE_1) | instskip(SKIP_1) | instid1(VALU_DEP_1)
	v_and_b32_e64 v9, 0xff, s0
	v_add_co_u32 v7, s0, s6, v7
	v_add_co_ci_u32_e64 v8, null, s7, 0, s0
	s_delay_alu instid0(VALU_DEP_3)
	v_cmp_gt_i16_e32 vcc_lo, 11, v9
	s_cbranch_vccnz .LBB337_1136
; %bb.1130:
	v_cmp_lt_i16_e32 vcc_lo, 25, v9
	s_mov_b32 s2, 0
	s_cbranch_vccz .LBB337_1142
; %bb.1131:
	v_cmp_lt_i16_e32 vcc_lo, 28, v9
	s_cbranch_vccz .LBB337_1144
; %bb.1132:
	v_cmp_lt_i16_e32 vcc_lo, 43, v9
	;; [unrolled: 3-line block ×3, first 2 shown]
	s_cbranch_vccz .LBB337_1150
; %bb.1134:
	v_cmp_eq_u16_e32 vcc_lo, 46, v9
	s_mov_b32 s1, 0
	s_cbranch_vccz .LBB337_1192
; %bb.1135:
	global_load_b32 v10, v[7:8], off
	s_mov_b32 s0, 0
	s_mov_b32 s3, -1
	s_waitcnt vmcnt(0)
	v_lshlrev_b32_e32 v10, 16, v10
	s_delay_alu instid0(VALU_DEP_1)
	v_cvt_f16_f32_e32 v10, v10
	s_branch .LBB337_1194
.LBB337_1136:
	s_mov_b32 s1, s8
                                        ; implicit-def: $vgpr10
	s_cbranch_execz .LBB337_1257
; %bb.1137:
	v_cmp_gt_i16_e32 vcc_lo, 5, v9
	s_cbranch_vccnz .LBB337_1143
; %bb.1138:
	v_cmp_gt_i16_e32 vcc_lo, 8, v9
	s_cbranch_vccnz .LBB337_1145
; %bb.1139:
	v_cmp_gt_i16_e32 vcc_lo, 9, v9
	s_cbranch_vccnz .LBB337_1147
; %bb.1140:
	v_cmp_lt_i16_e32 vcc_lo, 9, v9
	s_cbranch_vccz .LBB337_1151
; %bb.1141:
	global_load_b64 v[10:11], v[7:8], off
	s_mov_b32 s0, 0
	s_waitcnt vmcnt(0)
	v_cvt_f32_f64_e32 v10, v[10:11]
	s_delay_alu instid0(VALU_DEP_1)
	v_cvt_f16_f32_e32 v10, v10
	s_branch .LBB337_1152
.LBB337_1142:
	s_mov_b32 s0, 0
                                        ; implicit-def: $vgpr10
	s_cbranch_execnz .LBB337_1222
	s_branch .LBB337_1253
.LBB337_1143:
                                        ; implicit-def: $vgpr10
	s_branch .LBB337_1169
.LBB337_1144:
	s_mov_b32 s1, -1
	s_mov_b32 s0, 0
                                        ; implicit-def: $vgpr10
	s_branch .LBB337_1203
.LBB337_1145:
                                        ; implicit-def: $vgpr10
	s_branch .LBB337_1158
.LBB337_1146:
	s_mov_b32 s0, 0
                                        ; implicit-def: $vgpr10
	s_cbranch_execnz .LBB337_1199
	s_branch .LBB337_1202
.LBB337_1147:
	s_mov_b32 s0, -1
                                        ; implicit-def: $vgpr10
	s_branch .LBB337_1155
.LBB337_1148:
	s_cbranch_execnz .LBB337_1190
; %bb.1149:
	s_or_b32 s3, s3, exec_lo
	s_and_not1_b32 s8, s8, exec_lo
	s_or_b32 exec_lo, exec_lo, s2
	s_and_saveexec_b32 s2, s8
	s_delay_alu instid0(SALU_CYCLE_1)
	s_xor_b32 s2, exec_lo, s2
	s_cbranch_execnz .LBB337_1036
	s_branch .LBB337_1037
.LBB337_1150:
	s_mov_b32 s1, -1
	s_mov_b32 s0, 0
	s_branch .LBB337_1193
.LBB337_1151:
	s_mov_b32 s0, -1
                                        ; implicit-def: $vgpr10
.LBB337_1152:
	s_delay_alu instid0(SALU_CYCLE_1)
	s_and_not1_b32 vcc_lo, exec_lo, s0
	s_cbranch_vccnz .LBB337_1154
; %bb.1153:
	global_load_b32 v10, v[7:8], off
	s_waitcnt vmcnt(0)
	v_cvt_f16_f32_e32 v10, v10
.LBB337_1154:
	s_mov_b32 s0, 0
.LBB337_1155:
	s_delay_alu instid0(SALU_CYCLE_1)
	s_and_not1_b32 vcc_lo, exec_lo, s0
	s_cbranch_vccnz .LBB337_1157
; %bb.1156:
	global_load_b32 v10, v[7:8], off
.LBB337_1157:
	s_cbranch_execnz .LBB337_1168
.LBB337_1158:
	v_cmp_gt_i16_e32 vcc_lo, 6, v9
	s_cbranch_vccnz .LBB337_1161
; %bb.1159:
	v_cmp_lt_i16_e32 vcc_lo, 6, v9
	s_cbranch_vccz .LBB337_1162
; %bb.1160:
	global_load_b64 v[10:11], v[7:8], off
	s_mov_b32 s0, 0
	s_waitcnt vmcnt(0)
	v_cvt_f32_f64_e32 v10, v[10:11]
	s_delay_alu instid0(VALU_DEP_1)
	v_cvt_f16_f32_e32 v10, v10
	s_branch .LBB337_1163
.LBB337_1161:
	s_mov_b32 s0, -1
                                        ; implicit-def: $vgpr10
	s_branch .LBB337_1166
.LBB337_1162:
	s_mov_b32 s0, -1
                                        ; implicit-def: $vgpr10
.LBB337_1163:
	s_delay_alu instid0(SALU_CYCLE_1)
	s_and_not1_b32 vcc_lo, exec_lo, s0
	s_cbranch_vccnz .LBB337_1165
; %bb.1164:
	global_load_b32 v10, v[7:8], off
	s_waitcnt vmcnt(0)
	v_cvt_f16_f32_e32 v10, v10
.LBB337_1165:
	s_mov_b32 s0, 0
.LBB337_1166:
	s_delay_alu instid0(SALU_CYCLE_1)
	s_and_not1_b32 vcc_lo, exec_lo, s0
	s_cbranch_vccnz .LBB337_1168
; %bb.1167:
	global_load_u16 v10, v[7:8], off
.LBB337_1168:
	s_cbranch_execnz .LBB337_1187
.LBB337_1169:
	v_cmp_gt_i16_e32 vcc_lo, 2, v9
	s_cbranch_vccnz .LBB337_1173
; %bb.1170:
	v_cmp_gt_i16_e32 vcc_lo, 3, v9
	s_cbranch_vccnz .LBB337_1174
; %bb.1171:
	v_cmp_lt_i16_e32 vcc_lo, 3, v9
	s_cbranch_vccz .LBB337_1175
; %bb.1172:
	global_load_b64 v[10:11], v[7:8], off
	s_mov_b32 s0, 0
	s_waitcnt vmcnt(0)
	v_xor_b32_e32 v12, v10, v11
	v_cls_i32_e32 v13, v11
	s_delay_alu instid0(VALU_DEP_2) | instskip(NEXT) | instid1(VALU_DEP_2)
	v_ashrrev_i32_e32 v12, 31, v12
	v_add_nc_u32_e32 v13, -1, v13
	s_delay_alu instid0(VALU_DEP_2) | instskip(NEXT) | instid1(VALU_DEP_1)
	v_add_nc_u32_e32 v12, 32, v12
	v_min_u32_e32 v12, v13, v12
	s_delay_alu instid0(VALU_DEP_1) | instskip(NEXT) | instid1(VALU_DEP_1)
	v_lshlrev_b64 v[10:11], v12, v[10:11]
	v_min_u32_e32 v10, 1, v10
	s_delay_alu instid0(VALU_DEP_1) | instskip(SKIP_1) | instid1(VALU_DEP_2)
	v_or_b32_e32 v10, v11, v10
	v_sub_nc_u32_e32 v11, 32, v12
	v_cvt_f32_i32_e32 v10, v10
	s_delay_alu instid0(VALU_DEP_1) | instskip(NEXT) | instid1(VALU_DEP_1)
	v_ldexp_f32 v10, v10, v11
	v_cvt_f16_f32_e32 v10, v10
	s_branch .LBB337_1176
.LBB337_1173:
                                        ; implicit-def: $vgpr10
	s_branch .LBB337_1182
.LBB337_1174:
	s_mov_b32 s0, -1
                                        ; implicit-def: $vgpr10
	s_branch .LBB337_1179
.LBB337_1175:
	s_mov_b32 s0, -1
                                        ; implicit-def: $vgpr10
.LBB337_1176:
	s_delay_alu instid0(SALU_CYCLE_1)
	s_and_not1_b32 vcc_lo, exec_lo, s0
	s_cbranch_vccnz .LBB337_1178
; %bb.1177:
	global_load_b32 v10, v[7:8], off
	s_waitcnt vmcnt(0)
	v_cvt_f32_i32_e32 v10, v10
	s_delay_alu instid0(VALU_DEP_1)
	v_cvt_f16_f32_e32 v10, v10
.LBB337_1178:
	s_mov_b32 s0, 0
.LBB337_1179:
	s_delay_alu instid0(SALU_CYCLE_1)
	s_and_not1_b32 vcc_lo, exec_lo, s0
	s_cbranch_vccnz .LBB337_1181
; %bb.1180:
	global_load_u16 v10, v[7:8], off
	s_waitcnt vmcnt(0)
	v_cvt_f16_i16_e32 v10, v10
.LBB337_1181:
	s_cbranch_execnz .LBB337_1187
.LBB337_1182:
	v_cmp_lt_i16_e32 vcc_lo, 0, v9
	s_mov_b32 s0, 0
	s_cbranch_vccz .LBB337_1184
; %bb.1183:
	global_load_i8 v10, v[7:8], off
	s_waitcnt vmcnt(0)
	v_cvt_f16_i16_e32 v10, v10
	s_branch .LBB337_1185
.LBB337_1184:
	s_mov_b32 s0, -1
                                        ; implicit-def: $vgpr10
.LBB337_1185:
	s_delay_alu instid0(SALU_CYCLE_1)
	s_and_not1_b32 vcc_lo, exec_lo, s0
	s_cbranch_vccnz .LBB337_1187
; %bb.1186:
	global_load_u8 v7, v[7:8], off
	s_waitcnt vmcnt(0)
	v_cvt_f16_u16_e32 v10, v7
.LBB337_1187:
	s_branch .LBB337_1258
.LBB337_1188:
	s_trap 2
	s_sendmsg_rtn_b32 s0, sendmsg(MSG_RTN_GET_DOORBELL)
	s_mov_b32 ttmp2, m0
	s_waitcnt lgkmcnt(0)
	s_and_b32 s0, s0, 0x3ff
	s_delay_alu instid0(SALU_CYCLE_1) | instskip(NEXT) | instid1(SALU_CYCLE_1)
	s_bitset1_b32 s0, 10
	s_mov_b32 m0, s0
	s_sendmsg sendmsg(MSG_INTERRUPT)
	s_mov_b32 m0, ttmp2
.LBB337_1189:                           ; =>This Inner Loop Header: Depth=1
	s_sethalt 5
	s_branch .LBB337_1189
.LBB337_1190:
	s_trap 2
	s_sendmsg_rtn_b32 s0, sendmsg(MSG_RTN_GET_DOORBELL)
	s_mov_b32 ttmp2, m0
	s_waitcnt lgkmcnt(0)
	s_and_b32 s0, s0, 0x3ff
	s_delay_alu instid0(SALU_CYCLE_1) | instskip(NEXT) | instid1(SALU_CYCLE_1)
	s_bitset1_b32 s0, 10
	s_mov_b32 m0, s0
	s_sendmsg sendmsg(MSG_INTERRUPT)
	s_mov_b32 m0, ttmp2
.LBB337_1191:                           ; =>This Inner Loop Header: Depth=1
	s_sethalt 5
	s_branch .LBB337_1191
.LBB337_1192:
	s_mov_b32 s0, -1
.LBB337_1193:
                                        ; implicit-def: $vgpr10
.LBB337_1194:
	s_and_b32 vcc_lo, exec_lo, s1
	s_cbranch_vccz .LBB337_1197
; %bb.1195:
	v_cmp_eq_u16_e32 vcc_lo, 44, v9
	s_cbranch_vccz .LBB337_1198
; %bb.1196:
	global_load_u8 v10, v[7:8], off
	s_mov_b32 s0, 0
	s_mov_b32 s3, -1
	s_waitcnt vmcnt(0)
	v_lshlrev_b32_e32 v11, 23, v10
	v_cmp_ne_u32_e32 vcc_lo, 0xff, v10
	s_delay_alu instid0(VALU_DEP_2) | instskip(NEXT) | instid1(VALU_DEP_1)
	v_cvt_f16_f32_e32 v11, v11
	v_cndmask_b32_e32 v11, 0x7e00, v11, vcc_lo
	v_cmp_ne_u32_e32 vcc_lo, 0, v10
	s_delay_alu instid0(VALU_DEP_2)
	v_cndmask_b32_e32 v10, 0, v11, vcc_lo
.LBB337_1197:
	s_branch .LBB337_1202
.LBB337_1198:
	s_mov_b32 s0, -1
                                        ; implicit-def: $vgpr10
	s_branch .LBB337_1202
.LBB337_1199:
	v_cmp_eq_u16_e32 vcc_lo, 29, v9
	s_cbranch_vccz .LBB337_1201
; %bb.1200:
	global_load_b64 v[10:11], v[7:8], off
	s_mov_b32 s0, 0
	s_mov_b32 s3, -1
	s_mov_b32 s1, 0
	s_waitcnt vmcnt(0)
	v_clz_i32_u32_e32 v12, v11
	s_delay_alu instid0(VALU_DEP_1) | instskip(NEXT) | instid1(VALU_DEP_1)
	v_min_u32_e32 v12, 32, v12
	v_lshlrev_b64 v[10:11], v12, v[10:11]
	s_delay_alu instid0(VALU_DEP_1) | instskip(NEXT) | instid1(VALU_DEP_1)
	v_min_u32_e32 v10, 1, v10
	v_or_b32_e32 v10, v11, v10
	v_sub_nc_u32_e32 v11, 32, v12
	s_delay_alu instid0(VALU_DEP_2) | instskip(NEXT) | instid1(VALU_DEP_1)
	v_cvt_f32_u32_e32 v10, v10
	v_ldexp_f32 v10, v10, v11
	s_delay_alu instid0(VALU_DEP_1)
	v_cvt_f16_f32_e32 v10, v10
	s_branch .LBB337_1203
.LBB337_1201:
	s_mov_b32 s0, -1
                                        ; implicit-def: $vgpr10
.LBB337_1202:
	s_mov_b32 s1, 0
.LBB337_1203:
	s_delay_alu instid0(SALU_CYCLE_1)
	s_and_b32 vcc_lo, exec_lo, s1
	s_cbranch_vccz .LBB337_1221
; %bb.1204:
	v_cmp_gt_i16_e32 vcc_lo, 27, v9
	s_cbranch_vccnz .LBB337_1207
; %bb.1205:
	v_cmp_lt_i16_e32 vcc_lo, 27, v9
	s_cbranch_vccz .LBB337_1208
; %bb.1206:
	global_load_b32 v10, v[7:8], off
	s_mov_b32 s1, 0
	s_waitcnt vmcnt(0)
	v_cvt_f32_u32_e32 v10, v10
	s_delay_alu instid0(VALU_DEP_1)
	v_cvt_f16_f32_e32 v10, v10
	s_branch .LBB337_1209
.LBB337_1207:
	s_mov_b32 s1, -1
                                        ; implicit-def: $vgpr10
	s_branch .LBB337_1212
.LBB337_1208:
	s_mov_b32 s1, -1
                                        ; implicit-def: $vgpr10
.LBB337_1209:
	s_delay_alu instid0(SALU_CYCLE_1)
	s_and_not1_b32 vcc_lo, exec_lo, s1
	s_cbranch_vccnz .LBB337_1211
; %bb.1210:
	global_load_u16 v10, v[7:8], off
	s_waitcnt vmcnt(0)
	v_cvt_f16_u16_e32 v10, v10
.LBB337_1211:
	s_mov_b32 s1, 0
.LBB337_1212:
	s_delay_alu instid0(SALU_CYCLE_1)
	s_and_not1_b32 vcc_lo, exec_lo, s1
	s_cbranch_vccnz .LBB337_1220
; %bb.1213:
	global_load_u8 v11, v[7:8], off
	s_mov_b32 s1, 0
	s_mov_b32 s10, exec_lo
                                        ; implicit-def: $sgpr3
	s_waitcnt vmcnt(0)
	v_cmpx_lt_i16_e32 0x7f, v11
	s_xor_b32 s10, exec_lo, s10
	s_cbranch_execz .LBB337_1233
; %bb.1214:
	s_mov_b32 s1, -1
	s_mov_b32 s11, exec_lo
                                        ; implicit-def: $sgpr3
	v_cmpx_eq_u16_e32 0x80, v11
; %bb.1215:
	s_movk_i32 s3, 0x7e00
	s_xor_b32 s1, exec_lo, -1
; %bb.1216:
	s_or_b32 exec_lo, exec_lo, s11
	s_delay_alu instid0(SALU_CYCLE_1)
	s_and_b32 s1, s1, exec_lo
	s_or_saveexec_b32 s10, s10
	v_mov_b32_e32 v10, s3
	s_xor_b32 exec_lo, exec_lo, s10
	s_cbranch_execnz .LBB337_1234
.LBB337_1217:
	s_or_b32 exec_lo, exec_lo, s10
	s_and_saveexec_b32 s3, s1
	s_cbranch_execz .LBB337_1219
.LBB337_1218:
	v_and_b32_e32 v10, 0xffff, v11
	s_delay_alu instid0(VALU_DEP_1) | instskip(NEXT) | instid1(VALU_DEP_1)
	v_and_b32_e32 v12, 7, v10
	v_clz_i32_u32_e32 v13, v12
	s_delay_alu instid0(VALU_DEP_1) | instskip(NEXT) | instid1(VALU_DEP_1)
	v_min_u32_e32 v13, 32, v13
	v_subrev_nc_u32_e32 v14, 28, v13
	v_sub_nc_u32_e32 v13, 29, v13
	s_delay_alu instid0(VALU_DEP_2) | instskip(SKIP_1) | instid1(VALU_DEP_2)
	v_lshlrev_b32_e32 v14, v14, v10
	v_bfe_u32 v10, v10, 3, 4
	v_and_b32_e32 v14, 7, v14
	s_delay_alu instid0(VALU_DEP_2) | instskip(SKIP_1) | instid1(VALU_DEP_1)
	v_cmp_eq_u32_e32 vcc_lo, 0, v10
	v_dual_cndmask_b32 v10, v10, v13 :: v_dual_lshlrev_b32 v11, 24, v11
	v_dual_cndmask_b32 v12, v12, v14 :: v_dual_and_b32 v11, 0x80000000, v11
	s_delay_alu instid0(VALU_DEP_2) | instskip(NEXT) | instid1(VALU_DEP_2)
	v_lshl_add_u32 v10, v10, 23, 0x3b800000
	v_lshlrev_b32_e32 v12, 20, v12
	s_delay_alu instid0(VALU_DEP_1) | instskip(NEXT) | instid1(VALU_DEP_1)
	v_or3_b32 v10, v11, v10, v12
	v_cvt_f16_f32_e32 v10, v10
.LBB337_1219:
	s_or_b32 exec_lo, exec_lo, s3
.LBB337_1220:
	s_mov_b32 s3, -1
.LBB337_1221:
	s_branch .LBB337_1253
.LBB337_1222:
	v_cmp_lt_i16_e32 vcc_lo, 22, v9
	s_cbranch_vccz .LBB337_1232
; %bb.1223:
	v_cmp_gt_i16_e32 vcc_lo, 24, v9
	s_cbranch_vccnz .LBB337_1235
; %bb.1224:
	v_cmp_lt_i16_e32 vcc_lo, 24, v9
	s_cbranch_vccz .LBB337_1236
; %bb.1225:
	global_load_u8 v11, v[7:8], off
	s_mov_b32 s1, 0
	s_mov_b32 s3, exec_lo
                                        ; implicit-def: $sgpr2
	s_waitcnt vmcnt(0)
	v_cmpx_lt_i16_e32 0x7f, v11
	s_xor_b32 s3, exec_lo, s3
	s_cbranch_execz .LBB337_1247
; %bb.1226:
	s_mov_b32 s1, -1
	s_mov_b32 s10, exec_lo
                                        ; implicit-def: $sgpr2
	v_cmpx_eq_u16_e32 0x80, v11
; %bb.1227:
	s_movk_i32 s2, 0x7e00
	s_xor_b32 s1, exec_lo, -1
; %bb.1228:
	s_or_b32 exec_lo, exec_lo, s10
	s_delay_alu instid0(SALU_CYCLE_1)
	s_and_b32 s1, s1, exec_lo
	s_or_saveexec_b32 s3, s3
	v_mov_b32_e32 v10, s2
	s_xor_b32 exec_lo, exec_lo, s3
	s_cbranch_execnz .LBB337_1248
.LBB337_1229:
	s_or_b32 exec_lo, exec_lo, s3
	s_and_saveexec_b32 s2, s1
	s_cbranch_execz .LBB337_1231
.LBB337_1230:
	v_and_b32_e32 v10, 0xffff, v11
	s_delay_alu instid0(VALU_DEP_1) | instskip(NEXT) | instid1(VALU_DEP_1)
	v_and_b32_e32 v12, 3, v10
	v_clz_i32_u32_e32 v13, v12
	s_delay_alu instid0(VALU_DEP_1) | instskip(NEXT) | instid1(VALU_DEP_1)
	v_min_u32_e32 v13, 32, v13
	v_subrev_nc_u32_e32 v14, 29, v13
	v_sub_nc_u32_e32 v13, 30, v13
	s_delay_alu instid0(VALU_DEP_2) | instskip(SKIP_1) | instid1(VALU_DEP_2)
	v_lshlrev_b32_e32 v14, v14, v10
	v_bfe_u32 v10, v10, 2, 5
	v_and_b32_e32 v14, 3, v14
	s_delay_alu instid0(VALU_DEP_2) | instskip(SKIP_1) | instid1(VALU_DEP_1)
	v_cmp_eq_u32_e32 vcc_lo, 0, v10
	v_dual_cndmask_b32 v10, v10, v13 :: v_dual_lshlrev_b32 v11, 24, v11
	v_dual_cndmask_b32 v12, v12, v14 :: v_dual_and_b32 v11, 0x80000000, v11
	s_delay_alu instid0(VALU_DEP_2) | instskip(NEXT) | instid1(VALU_DEP_2)
	v_lshl_add_u32 v10, v10, 23, 0x37800000
	v_lshlrev_b32_e32 v12, 21, v12
	s_delay_alu instid0(VALU_DEP_1) | instskip(NEXT) | instid1(VALU_DEP_1)
	v_or3_b32 v10, v11, v10, v12
	v_cvt_f16_f32_e32 v10, v10
.LBB337_1231:
	s_or_b32 exec_lo, exec_lo, s2
	s_mov_b32 s1, 0
	s_branch .LBB337_1237
.LBB337_1232:
                                        ; implicit-def: $vgpr10
	s_mov_b32 s2, 0
	s_branch .LBB337_1243
.LBB337_1233:
	s_or_saveexec_b32 s10, s10
	v_mov_b32_e32 v10, s3
	s_xor_b32 exec_lo, exec_lo, s10
	s_cbranch_execz .LBB337_1217
.LBB337_1234:
	v_cmp_ne_u16_e32 vcc_lo, 0, v11
	v_mov_b32_e32 v10, v11
	s_and_not1_b32 s1, s1, exec_lo
	s_and_b32 s3, vcc_lo, exec_lo
	s_delay_alu instid0(SALU_CYCLE_1)
	s_or_b32 s1, s1, s3
	s_or_b32 exec_lo, exec_lo, s10
	s_and_saveexec_b32 s3, s1
	s_cbranch_execnz .LBB337_1218
	s_branch .LBB337_1219
.LBB337_1235:
	s_mov_b32 s1, -1
                                        ; implicit-def: $vgpr10
	s_branch .LBB337_1240
.LBB337_1236:
	s_mov_b32 s1, -1
                                        ; implicit-def: $vgpr10
.LBB337_1237:
	s_delay_alu instid0(SALU_CYCLE_1)
	s_and_b32 vcc_lo, exec_lo, s1
	s_cbranch_vccz .LBB337_1239
; %bb.1238:
	global_load_u8 v10, v[7:8], off
	s_waitcnt vmcnt(0)
	v_lshlrev_b32_e32 v10, 24, v10
	s_delay_alu instid0(VALU_DEP_1) | instskip(NEXT) | instid1(VALU_DEP_1)
	v_and_b32_e32 v11, 0x7f000000, v10
	v_clz_i32_u32_e32 v12, v11
	v_add_nc_u32_e32 v14, 0x1000000, v11
	v_cmp_ne_u32_e32 vcc_lo, 0, v11
	s_delay_alu instid0(VALU_DEP_3) | instskip(NEXT) | instid1(VALU_DEP_1)
	v_min_u32_e32 v12, 32, v12
	v_sub_nc_u32_e64 v12, v12, 4 clamp
	s_delay_alu instid0(VALU_DEP_1) | instskip(SKIP_1) | instid1(VALU_DEP_2)
	v_lshlrev_b32_e32 v13, v12, v11
	v_lshlrev_b32_e32 v12, 23, v12
	v_lshrrev_b32_e32 v13, 4, v13
	s_delay_alu instid0(VALU_DEP_1) | instskip(SKIP_1) | instid1(VALU_DEP_2)
	v_sub_nc_u32_e32 v12, v13, v12
	v_ashrrev_i32_e32 v13, 8, v14
	v_add_nc_u32_e32 v12, 0x3c000000, v12
	s_delay_alu instid0(VALU_DEP_1) | instskip(NEXT) | instid1(VALU_DEP_1)
	v_and_or_b32 v12, 0x7f800000, v13, v12
	v_cndmask_b32_e32 v11, 0, v12, vcc_lo
	s_delay_alu instid0(VALU_DEP_1) | instskip(NEXT) | instid1(VALU_DEP_1)
	v_and_or_b32 v10, 0x80000000, v10, v11
	v_cvt_f16_f32_e32 v10, v10
.LBB337_1239:
	s_mov_b32 s1, 0
.LBB337_1240:
	s_delay_alu instid0(SALU_CYCLE_1)
	s_and_not1_b32 vcc_lo, exec_lo, s1
	s_cbranch_vccnz .LBB337_1242
; %bb.1241:
	global_load_u8 v10, v[7:8], off
	s_waitcnt vmcnt(0)
	v_lshlrev_b32_e32 v11, 25, v10
	v_lshlrev_b16 v10, 8, v10
	s_delay_alu instid0(VALU_DEP_2) | instskip(NEXT) | instid1(VALU_DEP_2)
	v_lshrrev_b32_e32 v12, 4, v11
	v_and_or_b32 v13, 0x7f00, v10, 0.5
	v_bfe_i32 v10, v10, 0, 16
	s_delay_alu instid0(VALU_DEP_3) | instskip(NEXT) | instid1(VALU_DEP_1)
	v_or_b32_e32 v12, 0x70000000, v12
	v_dual_add_f32 v13, -0.5, v13 :: v_dual_mul_f32 v12, 0x7800000, v12
	v_cmp_gt_u32_e32 vcc_lo, 0x8000000, v11
	s_delay_alu instid0(VALU_DEP_2) | instskip(NEXT) | instid1(VALU_DEP_1)
	v_cndmask_b32_e32 v11, v12, v13, vcc_lo
	v_and_or_b32 v10, 0x80000000, v10, v11
	s_delay_alu instid0(VALU_DEP_1)
	v_cvt_f16_f32_e32 v10, v10
.LBB337_1242:
	s_mov_b32 s3, -1
	s_mov_b32 s2, 0
	s_cbranch_execnz .LBB337_1253
.LBB337_1243:
	v_cmp_lt_i16_e32 vcc_lo, 14, v9
	s_cbranch_vccz .LBB337_1246
; %bb.1244:
	v_cmp_eq_u16_e32 vcc_lo, 15, v9
	s_cbranch_vccz .LBB337_1249
; %bb.1245:
	global_load_u16 v10, v[7:8], off
	s_mov_b32 s0, 0
	s_mov_b32 s3, -1
	s_waitcnt vmcnt(0)
	v_lshlrev_b32_e32 v10, 16, v10
	s_delay_alu instid0(VALU_DEP_1)
	v_cvt_f16_f32_e32 v10, v10
	s_branch .LBB337_1250
.LBB337_1246:
	s_mov_b32 s1, -1
                                        ; implicit-def: $vgpr10
	s_branch .LBB337_1251
.LBB337_1247:
	s_or_saveexec_b32 s3, s3
	v_mov_b32_e32 v10, s2
	s_xor_b32 exec_lo, exec_lo, s3
	s_cbranch_execz .LBB337_1229
.LBB337_1248:
	v_cmp_ne_u16_e32 vcc_lo, 0, v11
	v_mov_b32_e32 v10, v11
	s_and_not1_b32 s1, s1, exec_lo
	s_and_b32 s2, vcc_lo, exec_lo
	s_delay_alu instid0(SALU_CYCLE_1)
	s_or_b32 s1, s1, s2
	s_or_b32 exec_lo, exec_lo, s3
	s_and_saveexec_b32 s2, s1
	s_cbranch_execnz .LBB337_1230
	s_branch .LBB337_1231
.LBB337_1249:
	s_mov_b32 s0, -1
                                        ; implicit-def: $vgpr10
.LBB337_1250:
	s_mov_b32 s1, 0
.LBB337_1251:
	s_delay_alu instid0(SALU_CYCLE_1)
	s_and_b32 vcc_lo, exec_lo, s1
	s_cbranch_vccz .LBB337_1253
; %bb.1252:
	v_cmp_ne_u16_e64 s0, 11, v9
	s_mov_b32 s2, -1
                                        ; implicit-def: $vgpr10
.LBB337_1253:
	s_delay_alu instid0(VALU_DEP_1)
	s_and_b32 vcc_lo, exec_lo, s0
	s_mov_b32 s1, s8
	s_cbranch_vccnz .LBB337_1277
; %bb.1254:
	s_and_not1_b32 vcc_lo, exec_lo, s2
	s_cbranch_vccnz .LBB337_1256
.LBB337_1255:
	global_load_u8 v10, v[7:8], off
	s_mov_b32 s3, -1
	s_waitcnt vmcnt(0)
	v_cmp_ne_u16_e32 vcc_lo, 0, v10
	v_cndmask_b32_e64 v10, 0, 0x3c00, vcc_lo
.LBB337_1256:
.LBB337_1257:
	s_and_not1_b32 vcc_lo, exec_lo, s3
	s_cbranch_vccnz .LBB337_2049
.LBB337_1258:
	v_cmp_gt_i16_e32 vcc_lo, 11, v9
	s_waitcnt vmcnt(0)
	v_add_co_u32 v6, s0, s6, v6
	s_delay_alu instid0(VALU_DEP_1)
	v_add_co_ci_u32_e64 v7, null, s7, 0, s0
	s_mov_b32 s3, 0
	s_cbranch_vccnz .LBB337_1265
; %bb.1259:
	v_cmp_lt_i16_e32 vcc_lo, 25, v9
	s_mov_b32 s2, 0
	s_cbranch_vccz .LBB337_1271
; %bb.1260:
	v_cmp_lt_i16_e32 vcc_lo, 28, v9
	s_cbranch_vccz .LBB337_1273
; %bb.1261:
	v_cmp_lt_i16_e32 vcc_lo, 43, v9
	s_cbranch_vccz .LBB337_1275
; %bb.1262:
	v_cmp_lt_i16_e32 vcc_lo, 45, v9
	s_cbranch_vccz .LBB337_1281
; %bb.1263:
	v_cmp_eq_u16_e32 vcc_lo, 46, v9
	s_mov_b32 s10, 0
	s_cbranch_vccz .LBB337_1325
; %bb.1264:
	global_load_b32 v8, v[6:7], off
	s_mov_b32 s0, 0
	s_mov_b32 s3, -1
	s_waitcnt vmcnt(0)
	v_lshlrev_b32_e32 v8, 16, v8
	s_delay_alu instid0(VALU_DEP_1)
	v_cvt_f16_f32_e32 v8, v8
	s_branch .LBB337_1327
.LBB337_1265:
                                        ; implicit-def: $vgpr8
	s_cbranch_execz .LBB337_1392
; %bb.1266:
	v_cmp_gt_i16_e32 vcc_lo, 5, v9
	s_cbranch_vccnz .LBB337_1272
; %bb.1267:
	v_cmp_gt_i16_e32 vcc_lo, 8, v9
	s_cbranch_vccnz .LBB337_1274
	;; [unrolled: 3-line block ×3, first 2 shown]
; %bb.1269:
	v_cmp_lt_i16_e32 vcc_lo, 9, v9
	s_cbranch_vccz .LBB337_1282
; %bb.1270:
	global_load_b64 v[11:12], v[6:7], off
	s_mov_b32 s0, 0
	s_waitcnt vmcnt(0)
	v_cvt_f32_f64_e32 v8, v[11:12]
	s_delay_alu instid0(VALU_DEP_1)
	v_cvt_f16_f32_e32 v8, v8
	s_branch .LBB337_1283
.LBB337_1271:
	s_mov_b32 s0, 0
                                        ; implicit-def: $vgpr8
	s_cbranch_execnz .LBB337_1356
	s_branch .LBB337_1388
.LBB337_1272:
                                        ; implicit-def: $vgpr8
	s_branch .LBB337_1301
.LBB337_1273:
	s_mov_b32 s10, -1
	s_mov_b32 s0, 0
                                        ; implicit-def: $vgpr8
	s_branch .LBB337_1337
.LBB337_1274:
	s_mov_b32 s0, -1
                                        ; implicit-def: $vgpr8
	s_branch .LBB337_1289
.LBB337_1275:
	s_mov_b32 s10, -1
	s_mov_b32 s0, 0
                                        ; implicit-def: $vgpr8
	s_branch .LBB337_1332
.LBB337_1276:
	s_mov_b32 s0, -1
                                        ; implicit-def: $vgpr8
	s_branch .LBB337_1286
.LBB337_1277:
	s_cbranch_execnz .LBB337_1321
; %bb.1278:
	s_or_b32 s1, s8, exec_lo
                                        ; implicit-def: $vgpr10
	s_cbranch_execz .LBB337_1255
	s_branch .LBB337_1256
.LBB337_1279:
	s_or_saveexec_b32 s7, s7
                                        ; implicit-def: $sgpr8
	s_delay_alu instid0(SALU_CYCLE_1)
	s_xor_b32 exec_lo, exec_lo, s7
	s_cbranch_execz .LBB337_987
.LBB337_1280:
	v_add_f32_e64 v5, 0x46000000, |v0|
	s_and_not1_b32 s5, s5, exec_lo
	s_mov_b32 s8, 0
	s_delay_alu instid0(VALU_DEP_1) | instskip(NEXT) | instid1(VALU_DEP_1)
	v_and_b32_e32 v5, 0xff, v5
	v_cmp_ne_u32_e32 vcc_lo, 0, v5
	s_and_b32 s9, vcc_lo, exec_lo
	s_delay_alu instid0(SALU_CYCLE_1)
	s_or_b32 s5, s5, s9
	s_or_b32 exec_lo, exec_lo, s7
	v_mov_b32_e32 v6, s8
	s_and_saveexec_b32 s7, s5
	s_cbranch_execnz .LBB337_988
	s_branch .LBB337_989
.LBB337_1281:
	s_mov_b32 s10, -1
	s_mov_b32 s0, 0
	s_branch .LBB337_1326
.LBB337_1282:
	s_mov_b32 s0, -1
                                        ; implicit-def: $vgpr8
.LBB337_1283:
	s_delay_alu instid0(SALU_CYCLE_1)
	s_and_not1_b32 vcc_lo, exec_lo, s0
	s_cbranch_vccnz .LBB337_1285
; %bb.1284:
	global_load_b32 v8, v[6:7], off
	s_waitcnt vmcnt(0)
	v_cvt_f16_f32_e32 v8, v8
.LBB337_1285:
	s_mov_b32 s0, 0
.LBB337_1286:
	s_delay_alu instid0(SALU_CYCLE_1)
	s_and_not1_b32 vcc_lo, exec_lo, s0
	s_cbranch_vccnz .LBB337_1288
; %bb.1287:
	global_load_b32 v8, v[6:7], off
.LBB337_1288:
	s_mov_b32 s0, 0
.LBB337_1289:
	s_delay_alu instid0(SALU_CYCLE_1)
	s_and_not1_b32 vcc_lo, exec_lo, s0
	s_cbranch_vccnz .LBB337_1300
; %bb.1290:
	v_cmp_gt_i16_e32 vcc_lo, 6, v9
	s_cbranch_vccnz .LBB337_1293
; %bb.1291:
	v_cmp_lt_i16_e32 vcc_lo, 6, v9
	s_cbranch_vccz .LBB337_1294
; %bb.1292:
	global_load_b64 v[11:12], v[6:7], off
	s_mov_b32 s0, 0
	s_waitcnt vmcnt(0)
	v_cvt_f32_f64_e32 v8, v[11:12]
	s_delay_alu instid0(VALU_DEP_1)
	v_cvt_f16_f32_e32 v8, v8
	s_branch .LBB337_1295
.LBB337_1293:
	s_mov_b32 s0, -1
                                        ; implicit-def: $vgpr8
	s_branch .LBB337_1298
.LBB337_1294:
	s_mov_b32 s0, -1
                                        ; implicit-def: $vgpr8
.LBB337_1295:
	s_delay_alu instid0(SALU_CYCLE_1)
	s_and_not1_b32 vcc_lo, exec_lo, s0
	s_cbranch_vccnz .LBB337_1297
; %bb.1296:
	global_load_b32 v8, v[6:7], off
	s_waitcnt vmcnt(0)
	v_cvt_f16_f32_e32 v8, v8
.LBB337_1297:
	s_mov_b32 s0, 0
.LBB337_1298:
	s_delay_alu instid0(SALU_CYCLE_1)
	s_and_not1_b32 vcc_lo, exec_lo, s0
	s_cbranch_vccnz .LBB337_1300
; %bb.1299:
	global_load_u16 v8, v[6:7], off
.LBB337_1300:
	s_cbranch_execnz .LBB337_1320
.LBB337_1301:
	v_cmp_gt_i16_e32 vcc_lo, 2, v9
	s_cbranch_vccnz .LBB337_1305
; %bb.1302:
	v_cmp_gt_i16_e32 vcc_lo, 3, v9
	s_cbranch_vccnz .LBB337_1306
; %bb.1303:
	v_cmp_lt_i16_e32 vcc_lo, 3, v9
	s_cbranch_vccz .LBB337_1307
; %bb.1304:
	global_load_b64 v[11:12], v[6:7], off
	s_mov_b32 s0, 0
	s_waitcnt vmcnt(0)
	v_xor_b32_e32 v8, v11, v12
	v_cls_i32_e32 v13, v12
	s_delay_alu instid0(VALU_DEP_2) | instskip(NEXT) | instid1(VALU_DEP_2)
	v_ashrrev_i32_e32 v8, 31, v8
	v_add_nc_u32_e32 v13, -1, v13
	s_delay_alu instid0(VALU_DEP_2) | instskip(NEXT) | instid1(VALU_DEP_1)
	v_add_nc_u32_e32 v8, 32, v8
	v_min_u32_e32 v8, v13, v8
	s_delay_alu instid0(VALU_DEP_1) | instskip(SKIP_1) | instid1(VALU_DEP_2)
	v_lshlrev_b64 v[11:12], v8, v[11:12]
	v_sub_nc_u32_e32 v8, 32, v8
	v_min_u32_e32 v11, 1, v11
	s_delay_alu instid0(VALU_DEP_1) | instskip(NEXT) | instid1(VALU_DEP_1)
	v_or_b32_e32 v11, v12, v11
	v_cvt_f32_i32_e32 v11, v11
	s_delay_alu instid0(VALU_DEP_1) | instskip(NEXT) | instid1(VALU_DEP_1)
	v_ldexp_f32 v8, v11, v8
	v_cvt_f16_f32_e32 v8, v8
	s_branch .LBB337_1308
.LBB337_1305:
	s_mov_b32 s0, -1
                                        ; implicit-def: $vgpr8
	s_branch .LBB337_1314
.LBB337_1306:
	s_mov_b32 s0, -1
                                        ; implicit-def: $vgpr8
	s_branch .LBB337_1311
.LBB337_1307:
	s_mov_b32 s0, -1
                                        ; implicit-def: $vgpr8
.LBB337_1308:
	s_delay_alu instid0(SALU_CYCLE_1)
	s_and_not1_b32 vcc_lo, exec_lo, s0
	s_cbranch_vccnz .LBB337_1310
; %bb.1309:
	global_load_b32 v8, v[6:7], off
	s_waitcnt vmcnt(0)
	v_cvt_f32_i32_e32 v8, v8
	s_delay_alu instid0(VALU_DEP_1)
	v_cvt_f16_f32_e32 v8, v8
.LBB337_1310:
	s_mov_b32 s0, 0
.LBB337_1311:
	s_delay_alu instid0(SALU_CYCLE_1)
	s_and_not1_b32 vcc_lo, exec_lo, s0
	s_cbranch_vccnz .LBB337_1313
; %bb.1312:
	global_load_u16 v8, v[6:7], off
	s_waitcnt vmcnt(0)
	v_cvt_f16_i16_e32 v8, v8
.LBB337_1313:
	s_mov_b32 s0, 0
.LBB337_1314:
	s_delay_alu instid0(SALU_CYCLE_1)
	s_and_not1_b32 vcc_lo, exec_lo, s0
	s_cbranch_vccnz .LBB337_1320
; %bb.1315:
	v_cmp_lt_i16_e32 vcc_lo, 0, v9
	s_mov_b32 s0, 0
	s_cbranch_vccz .LBB337_1317
; %bb.1316:
	global_load_i8 v8, v[6:7], off
	s_waitcnt vmcnt(0)
	v_cvt_f16_i16_e32 v8, v8
	s_branch .LBB337_1318
.LBB337_1317:
	s_mov_b32 s0, -1
                                        ; implicit-def: $vgpr8
.LBB337_1318:
	s_delay_alu instid0(SALU_CYCLE_1)
	s_and_not1_b32 vcc_lo, exec_lo, s0
	s_cbranch_vccnz .LBB337_1320
; %bb.1319:
	global_load_u8 v6, v[6:7], off
	s_waitcnt vmcnt(0)
	v_cvt_f16_u16_e32 v8, v6
.LBB337_1320:
	s_branch .LBB337_1393
.LBB337_1321:
	s_trap 2
	s_sendmsg_rtn_b32 s0, sendmsg(MSG_RTN_GET_DOORBELL)
	s_mov_b32 ttmp2, m0
	s_waitcnt lgkmcnt(0)
	s_and_b32 s0, s0, 0x3ff
	s_delay_alu instid0(SALU_CYCLE_1) | instskip(NEXT) | instid1(SALU_CYCLE_1)
	s_bitset1_b32 s0, 10
	s_mov_b32 m0, s0
	s_sendmsg sendmsg(MSG_INTERRUPT)
	s_mov_b32 m0, ttmp2
.LBB337_1322:                           ; =>This Inner Loop Header: Depth=1
	s_sethalt 5
	s_branch .LBB337_1322
.LBB337_1323:
	s_or_saveexec_b32 s8, s8
                                        ; implicit-def: $sgpr9
	s_delay_alu instid0(SALU_CYCLE_1)
	s_xor_b32 exec_lo, exec_lo, s8
	s_cbranch_execz .LBB337_999
.LBB337_1324:
	v_add_f32_e64 v5, 0x42800000, |v0|
	s_and_not1_b32 s7, s7, exec_lo
	s_mov_b32 s9, 0
	s_delay_alu instid0(VALU_DEP_1) | instskip(NEXT) | instid1(VALU_DEP_1)
	v_and_b32_e32 v5, 0xff, v5
	v_cmp_ne_u32_e32 vcc_lo, 0, v5
	s_and_b32 s10, vcc_lo, exec_lo
	s_delay_alu instid0(SALU_CYCLE_1)
	s_or_b32 s7, s7, s10
	s_or_b32 exec_lo, exec_lo, s8
	v_mov_b32_e32 v6, s9
	s_and_saveexec_b32 s8, s7
	s_cbranch_execnz .LBB337_1000
	s_branch .LBB337_1001
.LBB337_1325:
	s_mov_b32 s0, -1
.LBB337_1326:
                                        ; implicit-def: $vgpr8
.LBB337_1327:
	s_and_b32 vcc_lo, exec_lo, s10
	s_cbranch_vccz .LBB337_1331
; %bb.1328:
	v_cmp_eq_u16_e32 vcc_lo, 44, v9
	s_cbranch_vccz .LBB337_1330
; %bb.1329:
	global_load_u8 v8, v[6:7], off
	s_mov_b32 s0, 0
	s_mov_b32 s3, -1
	s_waitcnt vmcnt(0)
	v_lshlrev_b32_e32 v11, 23, v8
	v_cmp_ne_u32_e32 vcc_lo, 0xff, v8
	s_delay_alu instid0(VALU_DEP_2) | instskip(NEXT) | instid1(VALU_DEP_1)
	v_cvt_f16_f32_e32 v11, v11
	v_cndmask_b32_e32 v11, 0x7e00, v11, vcc_lo
	v_cmp_ne_u32_e32 vcc_lo, 0, v8
	s_delay_alu instid0(VALU_DEP_2)
	v_cndmask_b32_e32 v8, 0, v11, vcc_lo
	s_branch .LBB337_1331
.LBB337_1330:
	s_mov_b32 s0, -1
                                        ; implicit-def: $vgpr8
.LBB337_1331:
	s_mov_b32 s10, 0
.LBB337_1332:
	s_delay_alu instid0(SALU_CYCLE_1)
	s_and_b32 vcc_lo, exec_lo, s10
	s_cbranch_vccz .LBB337_1336
; %bb.1333:
	v_cmp_eq_u16_e32 vcc_lo, 29, v9
	s_cbranch_vccz .LBB337_1335
; %bb.1334:
	global_load_b64 v[11:12], v[6:7], off
	s_mov_b32 s0, 0
	s_mov_b32 s3, -1
	s_mov_b32 s10, 0
	s_waitcnt vmcnt(0)
	v_clz_i32_u32_e32 v8, v12
	s_delay_alu instid0(VALU_DEP_1) | instskip(NEXT) | instid1(VALU_DEP_1)
	v_min_u32_e32 v8, 32, v8
	v_lshlrev_b64 v[11:12], v8, v[11:12]
	v_sub_nc_u32_e32 v8, 32, v8
	s_delay_alu instid0(VALU_DEP_2) | instskip(NEXT) | instid1(VALU_DEP_1)
	v_min_u32_e32 v11, 1, v11
	v_or_b32_e32 v11, v12, v11
	s_delay_alu instid0(VALU_DEP_1) | instskip(NEXT) | instid1(VALU_DEP_1)
	v_cvt_f32_u32_e32 v11, v11
	v_ldexp_f32 v8, v11, v8
	s_delay_alu instid0(VALU_DEP_1)
	v_cvt_f16_f32_e32 v8, v8
	s_branch .LBB337_1337
.LBB337_1335:
	s_mov_b32 s0, -1
                                        ; implicit-def: $vgpr8
.LBB337_1336:
	s_mov_b32 s10, 0
.LBB337_1337:
	s_delay_alu instid0(SALU_CYCLE_1)
	s_and_b32 vcc_lo, exec_lo, s10
	s_cbranch_vccz .LBB337_1355
; %bb.1338:
	v_cmp_gt_i16_e32 vcc_lo, 27, v9
	s_cbranch_vccnz .LBB337_1341
; %bb.1339:
	v_cmp_lt_i16_e32 vcc_lo, 27, v9
	s_cbranch_vccz .LBB337_1342
; %bb.1340:
	global_load_b32 v8, v[6:7], off
	s_mov_b32 s3, 0
	s_waitcnt vmcnt(0)
	v_cvt_f32_u32_e32 v8, v8
	s_delay_alu instid0(VALU_DEP_1)
	v_cvt_f16_f32_e32 v8, v8
	s_branch .LBB337_1343
.LBB337_1341:
	s_mov_b32 s3, -1
                                        ; implicit-def: $vgpr8
	s_branch .LBB337_1346
.LBB337_1342:
	s_mov_b32 s3, -1
                                        ; implicit-def: $vgpr8
.LBB337_1343:
	s_delay_alu instid0(SALU_CYCLE_1)
	s_and_not1_b32 vcc_lo, exec_lo, s3
	s_cbranch_vccnz .LBB337_1345
; %bb.1344:
	global_load_u16 v8, v[6:7], off
	s_waitcnt vmcnt(0)
	v_cvt_f16_u16_e32 v8, v8
.LBB337_1345:
	s_mov_b32 s3, 0
.LBB337_1346:
	s_delay_alu instid0(SALU_CYCLE_1)
	s_and_not1_b32 vcc_lo, exec_lo, s3
	s_cbranch_vccnz .LBB337_1354
; %bb.1347:
	global_load_u8 v11, v[6:7], off
	s_mov_b32 s3, 0
	s_mov_b32 s11, exec_lo
                                        ; implicit-def: $sgpr10
	s_waitcnt vmcnt(0)
	v_cmpx_lt_i16_e32 0x7f, v11
	s_xor_b32 s11, exec_lo, s11
	s_cbranch_execz .LBB337_1367
; %bb.1348:
	s_mov_b32 s3, -1
	s_mov_b32 s12, exec_lo
                                        ; implicit-def: $sgpr10
	v_cmpx_eq_u16_e32 0x80, v11
; %bb.1349:
	s_movk_i32 s10, 0x7e00
	s_xor_b32 s3, exec_lo, -1
; %bb.1350:
	s_or_b32 exec_lo, exec_lo, s12
	s_delay_alu instid0(SALU_CYCLE_1)
	s_and_b32 s3, s3, exec_lo
	s_or_saveexec_b32 s11, s11
	v_mov_b32_e32 v8, s10
	s_xor_b32 exec_lo, exec_lo, s11
	s_cbranch_execnz .LBB337_1368
.LBB337_1351:
	s_or_b32 exec_lo, exec_lo, s11
	s_and_saveexec_b32 s10, s3
	s_cbranch_execz .LBB337_1353
.LBB337_1352:
	v_and_b32_e32 v8, 0xffff, v11
	s_delay_alu instid0(VALU_DEP_1) | instskip(NEXT) | instid1(VALU_DEP_1)
	v_and_b32_e32 v12, 7, v8
	v_clz_i32_u32_e32 v13, v12
	s_delay_alu instid0(VALU_DEP_1) | instskip(NEXT) | instid1(VALU_DEP_1)
	v_min_u32_e32 v13, 32, v13
	v_subrev_nc_u32_e32 v14, 28, v13
	v_sub_nc_u32_e32 v13, 29, v13
	s_delay_alu instid0(VALU_DEP_2) | instskip(SKIP_1) | instid1(VALU_DEP_2)
	v_lshlrev_b32_e32 v14, v14, v8
	v_bfe_u32 v8, v8, 3, 4
	v_and_b32_e32 v14, 7, v14
	s_delay_alu instid0(VALU_DEP_2) | instskip(SKIP_1) | instid1(VALU_DEP_1)
	v_cmp_eq_u32_e32 vcc_lo, 0, v8
	v_dual_cndmask_b32 v8, v8, v13 :: v_dual_lshlrev_b32 v11, 24, v11
	v_dual_cndmask_b32 v12, v12, v14 :: v_dual_and_b32 v11, 0x80000000, v11
	s_delay_alu instid0(VALU_DEP_2) | instskip(NEXT) | instid1(VALU_DEP_2)
	v_lshl_add_u32 v8, v8, 23, 0x3b800000
	v_lshlrev_b32_e32 v12, 20, v12
	s_delay_alu instid0(VALU_DEP_1) | instskip(NEXT) | instid1(VALU_DEP_1)
	v_or3_b32 v8, v11, v8, v12
	v_cvt_f16_f32_e32 v8, v8
.LBB337_1353:
	s_or_b32 exec_lo, exec_lo, s10
.LBB337_1354:
	s_mov_b32 s3, -1
.LBB337_1355:
	s_branch .LBB337_1388
.LBB337_1356:
	v_cmp_lt_i16_e32 vcc_lo, 22, v9
	s_cbranch_vccz .LBB337_1366
; %bb.1357:
	v_cmp_gt_i16_e32 vcc_lo, 24, v9
	s_cbranch_vccnz .LBB337_1369
; %bb.1358:
	v_cmp_lt_i16_e32 vcc_lo, 24, v9
	s_cbranch_vccz .LBB337_1370
; %bb.1359:
	global_load_u8 v11, v[6:7], off
	s_mov_b32 s10, exec_lo
                                        ; implicit-def: $sgpr3
	s_waitcnt vmcnt(0)
	v_cmpx_lt_i16_e32 0x7f, v11
	s_xor_b32 s10, exec_lo, s10
	s_cbranch_execz .LBB337_1382
; %bb.1360:
	s_mov_b32 s2, -1
	s_mov_b32 s11, exec_lo
                                        ; implicit-def: $sgpr3
	v_cmpx_eq_u16_e32 0x80, v11
; %bb.1361:
	s_movk_i32 s3, 0x7e00
	s_xor_b32 s2, exec_lo, -1
; %bb.1362:
	s_or_b32 exec_lo, exec_lo, s11
	s_delay_alu instid0(SALU_CYCLE_1)
	s_and_b32 s2, s2, exec_lo
	s_or_saveexec_b32 s10, s10
	v_mov_b32_e32 v8, s3
	s_xor_b32 exec_lo, exec_lo, s10
	s_cbranch_execnz .LBB337_1383
.LBB337_1363:
	s_or_b32 exec_lo, exec_lo, s10
	s_and_saveexec_b32 s3, s2
	s_cbranch_execz .LBB337_1365
.LBB337_1364:
	v_and_b32_e32 v8, 0xffff, v11
	s_delay_alu instid0(VALU_DEP_1) | instskip(NEXT) | instid1(VALU_DEP_1)
	v_and_b32_e32 v12, 3, v8
	v_clz_i32_u32_e32 v13, v12
	s_delay_alu instid0(VALU_DEP_1) | instskip(NEXT) | instid1(VALU_DEP_1)
	v_min_u32_e32 v13, 32, v13
	v_subrev_nc_u32_e32 v14, 29, v13
	v_sub_nc_u32_e32 v13, 30, v13
	s_delay_alu instid0(VALU_DEP_2) | instskip(SKIP_1) | instid1(VALU_DEP_2)
	v_lshlrev_b32_e32 v14, v14, v8
	v_bfe_u32 v8, v8, 2, 5
	v_and_b32_e32 v14, 3, v14
	s_delay_alu instid0(VALU_DEP_2) | instskip(SKIP_1) | instid1(VALU_DEP_1)
	v_cmp_eq_u32_e32 vcc_lo, 0, v8
	v_dual_cndmask_b32 v8, v8, v13 :: v_dual_lshlrev_b32 v11, 24, v11
	v_dual_cndmask_b32 v12, v12, v14 :: v_dual_and_b32 v11, 0x80000000, v11
	s_delay_alu instid0(VALU_DEP_2) | instskip(NEXT) | instid1(VALU_DEP_2)
	v_lshl_add_u32 v8, v8, 23, 0x37800000
	v_lshlrev_b32_e32 v12, 21, v12
	s_delay_alu instid0(VALU_DEP_1) | instskip(NEXT) | instid1(VALU_DEP_1)
	v_or3_b32 v8, v11, v8, v12
	v_cvt_f16_f32_e32 v8, v8
.LBB337_1365:
	s_or_b32 exec_lo, exec_lo, s3
	s_mov_b32 s2, 0
	s_branch .LBB337_1371
.LBB337_1366:
	s_mov_b32 s2, -1
                                        ; implicit-def: $vgpr8
	s_branch .LBB337_1377
.LBB337_1367:
	s_or_saveexec_b32 s11, s11
	v_mov_b32_e32 v8, s10
	s_xor_b32 exec_lo, exec_lo, s11
	s_cbranch_execz .LBB337_1351
.LBB337_1368:
	v_cmp_ne_u16_e32 vcc_lo, 0, v11
	v_mov_b32_e32 v8, v11
	s_and_not1_b32 s3, s3, exec_lo
	s_and_b32 s10, vcc_lo, exec_lo
	s_delay_alu instid0(SALU_CYCLE_1)
	s_or_b32 s3, s3, s10
	s_or_b32 exec_lo, exec_lo, s11
	s_and_saveexec_b32 s10, s3
	s_cbranch_execnz .LBB337_1352
	s_branch .LBB337_1353
.LBB337_1369:
	s_mov_b32 s2, -1
                                        ; implicit-def: $vgpr8
	s_branch .LBB337_1374
.LBB337_1370:
	s_mov_b32 s2, -1
                                        ; implicit-def: $vgpr8
.LBB337_1371:
	s_delay_alu instid0(SALU_CYCLE_1)
	s_and_b32 vcc_lo, exec_lo, s2
	s_cbranch_vccz .LBB337_1373
; %bb.1372:
	global_load_u8 v8, v[6:7], off
	s_waitcnt vmcnt(0)
	v_lshlrev_b32_e32 v8, 24, v8
	s_delay_alu instid0(VALU_DEP_1) | instskip(NEXT) | instid1(VALU_DEP_1)
	v_and_b32_e32 v11, 0x7f000000, v8
	v_clz_i32_u32_e32 v12, v11
	v_cmp_ne_u32_e32 vcc_lo, 0, v11
	v_add_nc_u32_e32 v14, 0x1000000, v11
	s_delay_alu instid0(VALU_DEP_3) | instskip(NEXT) | instid1(VALU_DEP_1)
	v_min_u32_e32 v12, 32, v12
	v_sub_nc_u32_e64 v12, v12, 4 clamp
	s_delay_alu instid0(VALU_DEP_1) | instskip(SKIP_1) | instid1(VALU_DEP_2)
	v_lshlrev_b32_e32 v13, v12, v11
	v_lshlrev_b32_e32 v12, 23, v12
	v_lshrrev_b32_e32 v13, 4, v13
	s_delay_alu instid0(VALU_DEP_1) | instskip(SKIP_1) | instid1(VALU_DEP_2)
	v_sub_nc_u32_e32 v12, v13, v12
	v_ashrrev_i32_e32 v13, 8, v14
	v_add_nc_u32_e32 v12, 0x3c000000, v12
	s_delay_alu instid0(VALU_DEP_1) | instskip(NEXT) | instid1(VALU_DEP_1)
	v_and_or_b32 v12, 0x7f800000, v13, v12
	v_cndmask_b32_e32 v11, 0, v12, vcc_lo
	s_delay_alu instid0(VALU_DEP_1) | instskip(NEXT) | instid1(VALU_DEP_1)
	v_and_or_b32 v8, 0x80000000, v8, v11
	v_cvt_f16_f32_e32 v8, v8
.LBB337_1373:
	s_mov_b32 s2, 0
.LBB337_1374:
	s_delay_alu instid0(SALU_CYCLE_1)
	s_and_not1_b32 vcc_lo, exec_lo, s2
	s_cbranch_vccnz .LBB337_1376
; %bb.1375:
	global_load_u8 v8, v[6:7], off
	s_waitcnt vmcnt(0)
	v_lshlrev_b32_e32 v11, 25, v8
	v_lshlrev_b16 v8, 8, v8
	s_delay_alu instid0(VALU_DEP_2) | instskip(NEXT) | instid1(VALU_DEP_2)
	v_lshrrev_b32_e32 v12, 4, v11
	v_and_or_b32 v13, 0x7f00, v8, 0.5
	v_cmp_gt_u32_e32 vcc_lo, 0x8000000, v11
	v_bfe_i32 v8, v8, 0, 16
	s_delay_alu instid0(VALU_DEP_4) | instskip(NEXT) | instid1(VALU_DEP_1)
	v_or_b32_e32 v12, 0x70000000, v12
	v_dual_add_f32 v13, -0.5, v13 :: v_dual_mul_f32 v12, 0x7800000, v12
	s_delay_alu instid0(VALU_DEP_1) | instskip(NEXT) | instid1(VALU_DEP_1)
	v_cndmask_b32_e32 v11, v12, v13, vcc_lo
	v_and_or_b32 v8, 0x80000000, v8, v11
	s_delay_alu instid0(VALU_DEP_1)
	v_cvt_f16_f32_e32 v8, v8
.LBB337_1376:
	s_mov_b32 s2, 0
	s_mov_b32 s3, -1
.LBB337_1377:
	s_and_not1_b32 vcc_lo, exec_lo, s2
	s_mov_b32 s2, 0
	s_cbranch_vccnz .LBB337_1388
; %bb.1378:
	v_cmp_lt_i16_e32 vcc_lo, 14, v9
	s_cbranch_vccz .LBB337_1381
; %bb.1379:
	v_cmp_eq_u16_e32 vcc_lo, 15, v9
	s_cbranch_vccz .LBB337_1384
; %bb.1380:
	global_load_u16 v8, v[6:7], off
	s_mov_b32 s0, 0
	s_mov_b32 s3, -1
	s_waitcnt vmcnt(0)
	v_lshlrev_b32_e32 v8, 16, v8
	s_delay_alu instid0(VALU_DEP_1)
	v_cvt_f16_f32_e32 v8, v8
	s_branch .LBB337_1386
.LBB337_1381:
	s_mov_b32 s2, -1
	s_branch .LBB337_1385
.LBB337_1382:
	s_or_saveexec_b32 s10, s10
	v_mov_b32_e32 v8, s3
	s_xor_b32 exec_lo, exec_lo, s10
	s_cbranch_execz .LBB337_1363
.LBB337_1383:
	v_cmp_ne_u16_e32 vcc_lo, 0, v11
	v_mov_b32_e32 v8, v11
	s_and_not1_b32 s2, s2, exec_lo
	s_and_b32 s3, vcc_lo, exec_lo
	s_delay_alu instid0(SALU_CYCLE_1)
	s_or_b32 s2, s2, s3
	s_or_b32 exec_lo, exec_lo, s10
	s_and_saveexec_b32 s3, s2
	s_cbranch_execnz .LBB337_1364
	s_branch .LBB337_1365
.LBB337_1384:
	s_mov_b32 s0, -1
.LBB337_1385:
                                        ; implicit-def: $vgpr8
.LBB337_1386:
	s_and_b32 vcc_lo, exec_lo, s2
	s_mov_b32 s2, 0
	s_cbranch_vccz .LBB337_1388
; %bb.1387:
	v_cmp_ne_u16_e64 s0, 11, v9
	s_mov_b32 s2, -1
                                        ; implicit-def: $vgpr8
.LBB337_1388:
	s_delay_alu instid0(VALU_DEP_1)
	s_and_b32 vcc_lo, exec_lo, s0
	s_cbranch_vccnz .LBB337_1412
; %bb.1389:
	s_and_not1_b32 vcc_lo, exec_lo, s2
	s_cbranch_vccnz .LBB337_1391
.LBB337_1390:
	global_load_u8 v8, v[6:7], off
	s_mov_b32 s3, -1
	s_waitcnt vmcnt(0)
	v_cmp_ne_u16_e32 vcc_lo, 0, v8
	v_cndmask_b32_e64 v8, 0, 0x3c00, vcc_lo
.LBB337_1391:
.LBB337_1392:
	s_and_not1_b32 vcc_lo, exec_lo, s3
	s_cbranch_vccnz .LBB337_2049
.LBB337_1393:
	v_cmp_gt_i16_e32 vcc_lo, 11, v9
	v_add_co_u32 v5, s0, s6, v5
	s_delay_alu instid0(VALU_DEP_1)
	v_add_co_ci_u32_e64 v6, null, s7, 0, s0
	s_mov_b32 s3, 0
	s_cbranch_vccnz .LBB337_1400
; %bb.1394:
	v_cmp_lt_i16_e32 vcc_lo, 25, v9
	s_mov_b32 s2, 0
	s_cbranch_vccz .LBB337_1406
; %bb.1395:
	v_cmp_lt_i16_e32 vcc_lo, 28, v9
	s_cbranch_vccz .LBB337_1408
; %bb.1396:
	v_cmp_lt_i16_e32 vcc_lo, 43, v9
	;; [unrolled: 3-line block ×3, first 2 shown]
	s_cbranch_vccz .LBB337_1414
; %bb.1398:
	v_cmp_eq_u16_e32 vcc_lo, 46, v9
	s_mov_b32 s10, 0
	s_cbranch_vccz .LBB337_1457
; %bb.1399:
	global_load_b32 v7, v[5:6], off
	s_mov_b32 s0, 0
	s_mov_b32 s3, -1
	s_waitcnt vmcnt(0)
	v_lshlrev_b32_e32 v7, 16, v7
	s_delay_alu instid0(VALU_DEP_1)
	v_cvt_f16_f32_e32 v7, v7
	s_branch .LBB337_1459
.LBB337_1400:
                                        ; implicit-def: $vgpr7
	s_cbranch_execz .LBB337_1525
; %bb.1401:
	v_cmp_gt_i16_e32 vcc_lo, 5, v9
	s_cbranch_vccnz .LBB337_1407
; %bb.1402:
	v_cmp_gt_i16_e32 vcc_lo, 8, v9
	s_cbranch_vccnz .LBB337_1409
	;; [unrolled: 3-line block ×3, first 2 shown]
; %bb.1404:
	v_cmp_lt_i16_e32 vcc_lo, 9, v9
	s_cbranch_vccz .LBB337_1415
; %bb.1405:
	global_load_b64 v[11:12], v[5:6], off
	s_mov_b32 s0, 0
	s_waitcnt vmcnt(0)
	v_cvt_f32_f64_e32 v7, v[11:12]
	s_delay_alu instid0(VALU_DEP_1)
	v_cvt_f16_f32_e32 v7, v7
	s_branch .LBB337_1416
.LBB337_1406:
	s_mov_b32 s10, -1
	s_mov_b32 s0, 0
                                        ; implicit-def: $vgpr7
	s_branch .LBB337_1488
.LBB337_1407:
	s_mov_b32 s0, -1
                                        ; implicit-def: $vgpr7
	s_branch .LBB337_1434
.LBB337_1408:
	s_mov_b32 s10, -1
	s_mov_b32 s0, 0
                                        ; implicit-def: $vgpr7
	s_branch .LBB337_1469
.LBB337_1409:
	s_mov_b32 s0, -1
                                        ; implicit-def: $vgpr7
	s_branch .LBB337_1422
.LBB337_1410:
	s_mov_b32 s10, -1
	s_mov_b32 s0, 0
                                        ; implicit-def: $vgpr7
	s_branch .LBB337_1464
.LBB337_1411:
	s_mov_b32 s0, -1
                                        ; implicit-def: $vgpr7
	s_branch .LBB337_1419
.LBB337_1412:
	s_cbranch_execnz .LBB337_1455
; %bb.1413:
	s_or_b32 s1, s1, exec_lo
                                        ; implicit-def: $vgpr8
	s_cbranch_execz .LBB337_1390
	s_branch .LBB337_1391
.LBB337_1414:
	s_mov_b32 s10, -1
	s_mov_b32 s0, 0
	s_branch .LBB337_1458
.LBB337_1415:
	s_mov_b32 s0, -1
                                        ; implicit-def: $vgpr7
.LBB337_1416:
	s_delay_alu instid0(SALU_CYCLE_1)
	s_and_not1_b32 vcc_lo, exec_lo, s0
	s_cbranch_vccnz .LBB337_1418
; %bb.1417:
	global_load_b32 v7, v[5:6], off
	s_waitcnt vmcnt(0)
	v_cvt_f16_f32_e32 v7, v7
.LBB337_1418:
	s_mov_b32 s0, 0
.LBB337_1419:
	s_delay_alu instid0(SALU_CYCLE_1)
	s_and_not1_b32 vcc_lo, exec_lo, s0
	s_cbranch_vccnz .LBB337_1421
; %bb.1420:
	global_load_b32 v7, v[5:6], off
.LBB337_1421:
	s_mov_b32 s0, 0
.LBB337_1422:
	s_delay_alu instid0(SALU_CYCLE_1)
	s_and_not1_b32 vcc_lo, exec_lo, s0
	s_cbranch_vccnz .LBB337_1433
; %bb.1423:
	v_cmp_gt_i16_e32 vcc_lo, 6, v9
	s_cbranch_vccnz .LBB337_1426
; %bb.1424:
	v_cmp_lt_i16_e32 vcc_lo, 6, v9
	s_cbranch_vccz .LBB337_1427
; %bb.1425:
	global_load_b64 v[11:12], v[5:6], off
	s_mov_b32 s0, 0
	s_waitcnt vmcnt(0)
	v_cvt_f32_f64_e32 v7, v[11:12]
	s_delay_alu instid0(VALU_DEP_1)
	v_cvt_f16_f32_e32 v7, v7
	s_branch .LBB337_1428
.LBB337_1426:
	s_mov_b32 s0, -1
                                        ; implicit-def: $vgpr7
	s_branch .LBB337_1431
.LBB337_1427:
	s_mov_b32 s0, -1
                                        ; implicit-def: $vgpr7
.LBB337_1428:
	s_delay_alu instid0(SALU_CYCLE_1)
	s_and_not1_b32 vcc_lo, exec_lo, s0
	s_cbranch_vccnz .LBB337_1430
; %bb.1429:
	global_load_b32 v7, v[5:6], off
	s_waitcnt vmcnt(0)
	v_cvt_f16_f32_e32 v7, v7
.LBB337_1430:
	s_mov_b32 s0, 0
.LBB337_1431:
	s_delay_alu instid0(SALU_CYCLE_1)
	s_and_not1_b32 vcc_lo, exec_lo, s0
	s_cbranch_vccnz .LBB337_1433
; %bb.1432:
	global_load_u16 v7, v[5:6], off
.LBB337_1433:
	s_mov_b32 s0, 0
.LBB337_1434:
	s_delay_alu instid0(SALU_CYCLE_1)
	s_and_not1_b32 vcc_lo, exec_lo, s0
	s_cbranch_vccnz .LBB337_1454
; %bb.1435:
	v_cmp_gt_i16_e32 vcc_lo, 2, v9
	s_cbranch_vccnz .LBB337_1439
; %bb.1436:
	v_cmp_gt_i16_e32 vcc_lo, 3, v9
	s_cbranch_vccnz .LBB337_1440
; %bb.1437:
	v_cmp_lt_i16_e32 vcc_lo, 3, v9
	s_cbranch_vccz .LBB337_1441
; %bb.1438:
	global_load_b64 v[11:12], v[5:6], off
	s_mov_b32 s0, 0
	s_waitcnt vmcnt(0)
	v_xor_b32_e32 v7, v11, v12
	v_cls_i32_e32 v13, v12
	s_delay_alu instid0(VALU_DEP_2) | instskip(NEXT) | instid1(VALU_DEP_2)
	v_ashrrev_i32_e32 v7, 31, v7
	v_add_nc_u32_e32 v13, -1, v13
	s_delay_alu instid0(VALU_DEP_2) | instskip(NEXT) | instid1(VALU_DEP_1)
	v_add_nc_u32_e32 v7, 32, v7
	v_min_u32_e32 v7, v13, v7
	s_delay_alu instid0(VALU_DEP_1) | instskip(SKIP_1) | instid1(VALU_DEP_2)
	v_lshlrev_b64 v[11:12], v7, v[11:12]
	v_sub_nc_u32_e32 v7, 32, v7
	v_min_u32_e32 v11, 1, v11
	s_delay_alu instid0(VALU_DEP_1) | instskip(NEXT) | instid1(VALU_DEP_1)
	v_or_b32_e32 v11, v12, v11
	v_cvt_f32_i32_e32 v11, v11
	s_delay_alu instid0(VALU_DEP_1) | instskip(NEXT) | instid1(VALU_DEP_1)
	v_ldexp_f32 v7, v11, v7
	v_cvt_f16_f32_e32 v7, v7
	s_branch .LBB337_1442
.LBB337_1439:
	s_mov_b32 s0, -1
                                        ; implicit-def: $vgpr7
	s_branch .LBB337_1448
.LBB337_1440:
	s_mov_b32 s0, -1
                                        ; implicit-def: $vgpr7
	s_branch .LBB337_1445
.LBB337_1441:
	s_mov_b32 s0, -1
                                        ; implicit-def: $vgpr7
.LBB337_1442:
	s_delay_alu instid0(SALU_CYCLE_1)
	s_and_not1_b32 vcc_lo, exec_lo, s0
	s_cbranch_vccnz .LBB337_1444
; %bb.1443:
	global_load_b32 v7, v[5:6], off
	s_waitcnt vmcnt(0)
	v_cvt_f32_i32_e32 v7, v7
	s_delay_alu instid0(VALU_DEP_1)
	v_cvt_f16_f32_e32 v7, v7
.LBB337_1444:
	s_mov_b32 s0, 0
.LBB337_1445:
	s_delay_alu instid0(SALU_CYCLE_1)
	s_and_not1_b32 vcc_lo, exec_lo, s0
	s_cbranch_vccnz .LBB337_1447
; %bb.1446:
	global_load_u16 v7, v[5:6], off
	s_waitcnt vmcnt(0)
	v_cvt_f16_i16_e32 v7, v7
.LBB337_1447:
	s_mov_b32 s0, 0
.LBB337_1448:
	s_delay_alu instid0(SALU_CYCLE_1)
	s_and_not1_b32 vcc_lo, exec_lo, s0
	s_cbranch_vccnz .LBB337_1454
; %bb.1449:
	v_cmp_lt_i16_e32 vcc_lo, 0, v9
	s_mov_b32 s0, 0
	s_cbranch_vccz .LBB337_1451
; %bb.1450:
	global_load_i8 v7, v[5:6], off
	s_waitcnt vmcnt(0)
	v_cvt_f16_i16_e32 v7, v7
	s_branch .LBB337_1452
.LBB337_1451:
	s_mov_b32 s0, -1
                                        ; implicit-def: $vgpr7
.LBB337_1452:
	s_delay_alu instid0(SALU_CYCLE_1)
	s_and_not1_b32 vcc_lo, exec_lo, s0
	s_cbranch_vccnz .LBB337_1454
; %bb.1453:
	global_load_u8 v5, v[5:6], off
	s_waitcnt vmcnt(0)
	v_cvt_f16_u16_e32 v7, v5
.LBB337_1454:
	s_branch .LBB337_1526
.LBB337_1455:
	s_trap 2
	s_sendmsg_rtn_b32 s0, sendmsg(MSG_RTN_GET_DOORBELL)
	s_mov_b32 ttmp2, m0
	s_waitcnt lgkmcnt(0)
	s_and_b32 s0, s0, 0x3ff
	s_delay_alu instid0(SALU_CYCLE_1) | instskip(NEXT) | instid1(SALU_CYCLE_1)
	s_bitset1_b32 s0, 10
	s_mov_b32 m0, s0
	s_sendmsg sendmsg(MSG_INTERRUPT)
	s_mov_b32 m0, ttmp2
.LBB337_1456:                           ; =>This Inner Loop Header: Depth=1
	s_sethalt 5
	s_branch .LBB337_1456
.LBB337_1457:
	s_mov_b32 s0, -1
.LBB337_1458:
                                        ; implicit-def: $vgpr7
.LBB337_1459:
	s_and_b32 vcc_lo, exec_lo, s10
	s_cbranch_vccz .LBB337_1463
; %bb.1460:
	v_cmp_eq_u16_e32 vcc_lo, 44, v9
	s_cbranch_vccz .LBB337_1462
; %bb.1461:
	global_load_u8 v7, v[5:6], off
	s_mov_b32 s0, 0
	s_mov_b32 s3, -1
	s_waitcnt vmcnt(0)
	v_lshlrev_b32_e32 v11, 23, v7
	v_cmp_ne_u32_e32 vcc_lo, 0xff, v7
	s_delay_alu instid0(VALU_DEP_2) | instskip(NEXT) | instid1(VALU_DEP_1)
	v_cvt_f16_f32_e32 v11, v11
	v_cndmask_b32_e32 v11, 0x7e00, v11, vcc_lo
	v_cmp_ne_u32_e32 vcc_lo, 0, v7
	s_delay_alu instid0(VALU_DEP_2)
	v_cndmask_b32_e32 v7, 0, v11, vcc_lo
	s_branch .LBB337_1463
.LBB337_1462:
	s_mov_b32 s0, -1
                                        ; implicit-def: $vgpr7
.LBB337_1463:
	s_mov_b32 s10, 0
.LBB337_1464:
	s_delay_alu instid0(SALU_CYCLE_1)
	s_and_b32 vcc_lo, exec_lo, s10
	s_cbranch_vccz .LBB337_1468
; %bb.1465:
	v_cmp_eq_u16_e32 vcc_lo, 29, v9
	s_cbranch_vccz .LBB337_1467
; %bb.1466:
	global_load_b64 v[11:12], v[5:6], off
	s_mov_b32 s0, 0
	s_mov_b32 s3, -1
	s_mov_b32 s10, 0
	s_waitcnt vmcnt(0)
	v_clz_i32_u32_e32 v7, v12
	s_delay_alu instid0(VALU_DEP_1) | instskip(NEXT) | instid1(VALU_DEP_1)
	v_min_u32_e32 v7, 32, v7
	v_lshlrev_b64 v[11:12], v7, v[11:12]
	v_sub_nc_u32_e32 v7, 32, v7
	s_delay_alu instid0(VALU_DEP_2) | instskip(NEXT) | instid1(VALU_DEP_1)
	v_min_u32_e32 v11, 1, v11
	v_or_b32_e32 v11, v12, v11
	s_delay_alu instid0(VALU_DEP_1) | instskip(NEXT) | instid1(VALU_DEP_1)
	v_cvt_f32_u32_e32 v11, v11
	v_ldexp_f32 v7, v11, v7
	s_delay_alu instid0(VALU_DEP_1)
	v_cvt_f16_f32_e32 v7, v7
	s_branch .LBB337_1469
.LBB337_1467:
	s_mov_b32 s0, -1
                                        ; implicit-def: $vgpr7
.LBB337_1468:
	s_mov_b32 s10, 0
.LBB337_1469:
	s_delay_alu instid0(SALU_CYCLE_1)
	s_and_b32 vcc_lo, exec_lo, s10
	s_cbranch_vccz .LBB337_1487
; %bb.1470:
	v_cmp_gt_i16_e32 vcc_lo, 27, v9
	s_cbranch_vccnz .LBB337_1473
; %bb.1471:
	v_cmp_lt_i16_e32 vcc_lo, 27, v9
	s_cbranch_vccz .LBB337_1474
; %bb.1472:
	global_load_b32 v7, v[5:6], off
	s_mov_b32 s3, 0
	s_waitcnt vmcnt(0)
	v_cvt_f32_u32_e32 v7, v7
	s_delay_alu instid0(VALU_DEP_1)
	v_cvt_f16_f32_e32 v7, v7
	s_branch .LBB337_1475
.LBB337_1473:
	s_mov_b32 s3, -1
                                        ; implicit-def: $vgpr7
	s_branch .LBB337_1478
.LBB337_1474:
	s_mov_b32 s3, -1
                                        ; implicit-def: $vgpr7
.LBB337_1475:
	s_delay_alu instid0(SALU_CYCLE_1)
	s_and_not1_b32 vcc_lo, exec_lo, s3
	s_cbranch_vccnz .LBB337_1477
; %bb.1476:
	global_load_u16 v7, v[5:6], off
	s_waitcnt vmcnt(0)
	v_cvt_f16_u16_e32 v7, v7
.LBB337_1477:
	s_mov_b32 s3, 0
.LBB337_1478:
	s_delay_alu instid0(SALU_CYCLE_1)
	s_and_not1_b32 vcc_lo, exec_lo, s3
	s_cbranch_vccnz .LBB337_1486
; %bb.1479:
	global_load_u8 v11, v[5:6], off
	s_mov_b32 s3, 0
	s_mov_b32 s11, exec_lo
                                        ; implicit-def: $sgpr10
	s_waitcnt vmcnt(0)
	v_cmpx_lt_i16_e32 0x7f, v11
	s_xor_b32 s11, exec_lo, s11
	s_cbranch_execz .LBB337_1500
; %bb.1480:
	s_mov_b32 s3, -1
	s_mov_b32 s12, exec_lo
                                        ; implicit-def: $sgpr10
	v_cmpx_eq_u16_e32 0x80, v11
; %bb.1481:
	s_movk_i32 s10, 0x7e00
	s_xor_b32 s3, exec_lo, -1
; %bb.1482:
	s_or_b32 exec_lo, exec_lo, s12
	s_delay_alu instid0(SALU_CYCLE_1)
	s_and_b32 s3, s3, exec_lo
	s_or_saveexec_b32 s11, s11
	v_mov_b32_e32 v7, s10
	s_xor_b32 exec_lo, exec_lo, s11
	s_cbranch_execnz .LBB337_1501
.LBB337_1483:
	s_or_b32 exec_lo, exec_lo, s11
	s_and_saveexec_b32 s10, s3
	s_cbranch_execz .LBB337_1485
.LBB337_1484:
	v_and_b32_e32 v7, 0xffff, v11
	v_lshlrev_b32_e32 v11, 24, v11
	s_delay_alu instid0(VALU_DEP_2) | instskip(NEXT) | instid1(VALU_DEP_2)
	v_and_b32_e32 v12, 7, v7
	v_and_b32_e32 v11, 0x80000000, v11
	s_delay_alu instid0(VALU_DEP_2) | instskip(NEXT) | instid1(VALU_DEP_1)
	v_clz_i32_u32_e32 v13, v12
	v_min_u32_e32 v13, 32, v13
	s_delay_alu instid0(VALU_DEP_1) | instskip(SKIP_1) | instid1(VALU_DEP_2)
	v_subrev_nc_u32_e32 v14, 28, v13
	v_sub_nc_u32_e32 v13, 29, v13
	v_lshlrev_b32_e32 v14, v14, v7
	v_bfe_u32 v7, v7, 3, 4
	s_delay_alu instid0(VALU_DEP_2) | instskip(NEXT) | instid1(VALU_DEP_2)
	v_and_b32_e32 v14, 7, v14
	v_cmp_eq_u32_e32 vcc_lo, 0, v7
	s_delay_alu instid0(VALU_DEP_2) | instskip(NEXT) | instid1(VALU_DEP_1)
	v_dual_cndmask_b32 v7, v7, v13 :: v_dual_cndmask_b32 v12, v12, v14
	v_lshl_add_u32 v7, v7, 23, 0x3b800000
	s_delay_alu instid0(VALU_DEP_2) | instskip(NEXT) | instid1(VALU_DEP_1)
	v_lshlrev_b32_e32 v12, 20, v12
	v_or3_b32 v7, v11, v7, v12
	s_delay_alu instid0(VALU_DEP_1)
	v_cvt_f16_f32_e32 v7, v7
.LBB337_1485:
	s_or_b32 exec_lo, exec_lo, s10
.LBB337_1486:
	s_mov_b32 s3, -1
.LBB337_1487:
	s_mov_b32 s10, 0
.LBB337_1488:
	s_delay_alu instid0(SALU_CYCLE_1)
	s_and_b32 vcc_lo, exec_lo, s10
	s_cbranch_vccz .LBB337_1521
; %bb.1489:
	v_cmp_lt_i16_e32 vcc_lo, 22, v9
	s_cbranch_vccz .LBB337_1499
; %bb.1490:
	v_cmp_gt_i16_e32 vcc_lo, 24, v9
	s_cbranch_vccnz .LBB337_1502
; %bb.1491:
	v_cmp_lt_i16_e32 vcc_lo, 24, v9
	s_cbranch_vccz .LBB337_1503
; %bb.1492:
	global_load_u8 v11, v[5:6], off
	s_mov_b32 s10, exec_lo
                                        ; implicit-def: $sgpr3
	s_waitcnt vmcnt(0)
	v_cmpx_lt_i16_e32 0x7f, v11
	s_xor_b32 s10, exec_lo, s10
	s_cbranch_execz .LBB337_1515
; %bb.1493:
	s_mov_b32 s2, -1
	s_mov_b32 s11, exec_lo
                                        ; implicit-def: $sgpr3
	v_cmpx_eq_u16_e32 0x80, v11
; %bb.1494:
	s_movk_i32 s3, 0x7e00
	s_xor_b32 s2, exec_lo, -1
; %bb.1495:
	s_or_b32 exec_lo, exec_lo, s11
	s_delay_alu instid0(SALU_CYCLE_1)
	s_and_b32 s2, s2, exec_lo
	s_or_saveexec_b32 s10, s10
	v_mov_b32_e32 v7, s3
	s_xor_b32 exec_lo, exec_lo, s10
	s_cbranch_execnz .LBB337_1516
.LBB337_1496:
	s_or_b32 exec_lo, exec_lo, s10
	s_and_saveexec_b32 s3, s2
	s_cbranch_execz .LBB337_1498
.LBB337_1497:
	v_and_b32_e32 v7, 0xffff, v11
	v_lshlrev_b32_e32 v11, 24, v11
	s_delay_alu instid0(VALU_DEP_2) | instskip(NEXT) | instid1(VALU_DEP_2)
	v_and_b32_e32 v12, 3, v7
	v_and_b32_e32 v11, 0x80000000, v11
	s_delay_alu instid0(VALU_DEP_2) | instskip(NEXT) | instid1(VALU_DEP_1)
	v_clz_i32_u32_e32 v13, v12
	v_min_u32_e32 v13, 32, v13
	s_delay_alu instid0(VALU_DEP_1) | instskip(SKIP_1) | instid1(VALU_DEP_2)
	v_subrev_nc_u32_e32 v14, 29, v13
	v_sub_nc_u32_e32 v13, 30, v13
	v_lshlrev_b32_e32 v14, v14, v7
	v_bfe_u32 v7, v7, 2, 5
	s_delay_alu instid0(VALU_DEP_2) | instskip(NEXT) | instid1(VALU_DEP_2)
	v_and_b32_e32 v14, 3, v14
	v_cmp_eq_u32_e32 vcc_lo, 0, v7
	s_delay_alu instid0(VALU_DEP_2) | instskip(NEXT) | instid1(VALU_DEP_1)
	v_dual_cndmask_b32 v7, v7, v13 :: v_dual_cndmask_b32 v12, v12, v14
	v_lshl_add_u32 v7, v7, 23, 0x37800000
	s_delay_alu instid0(VALU_DEP_2) | instskip(NEXT) | instid1(VALU_DEP_1)
	v_lshlrev_b32_e32 v12, 21, v12
	v_or3_b32 v7, v11, v7, v12
	s_delay_alu instid0(VALU_DEP_1)
	v_cvt_f16_f32_e32 v7, v7
.LBB337_1498:
	s_or_b32 exec_lo, exec_lo, s3
	s_mov_b32 s2, 0
	s_branch .LBB337_1504
.LBB337_1499:
	s_mov_b32 s2, -1
                                        ; implicit-def: $vgpr7
	s_branch .LBB337_1510
.LBB337_1500:
	s_or_saveexec_b32 s11, s11
	v_mov_b32_e32 v7, s10
	s_xor_b32 exec_lo, exec_lo, s11
	s_cbranch_execz .LBB337_1483
.LBB337_1501:
	v_cmp_ne_u16_e32 vcc_lo, 0, v11
	v_mov_b32_e32 v7, v11
	s_and_not1_b32 s3, s3, exec_lo
	s_and_b32 s10, vcc_lo, exec_lo
	s_delay_alu instid0(SALU_CYCLE_1)
	s_or_b32 s3, s3, s10
	s_or_b32 exec_lo, exec_lo, s11
	s_and_saveexec_b32 s10, s3
	s_cbranch_execnz .LBB337_1484
	s_branch .LBB337_1485
.LBB337_1502:
	s_mov_b32 s2, -1
                                        ; implicit-def: $vgpr7
	s_branch .LBB337_1507
.LBB337_1503:
	s_mov_b32 s2, -1
                                        ; implicit-def: $vgpr7
.LBB337_1504:
	s_delay_alu instid0(SALU_CYCLE_1)
	s_and_b32 vcc_lo, exec_lo, s2
	s_cbranch_vccz .LBB337_1506
; %bb.1505:
	global_load_u8 v7, v[5:6], off
	s_waitcnt vmcnt(0)
	v_lshlrev_b32_e32 v7, 24, v7
	s_delay_alu instid0(VALU_DEP_1) | instskip(NEXT) | instid1(VALU_DEP_1)
	v_and_b32_e32 v11, 0x7f000000, v7
	v_clz_i32_u32_e32 v12, v11
	v_cmp_ne_u32_e32 vcc_lo, 0, v11
	v_add_nc_u32_e32 v14, 0x1000000, v11
	s_delay_alu instid0(VALU_DEP_3) | instskip(NEXT) | instid1(VALU_DEP_1)
	v_min_u32_e32 v12, 32, v12
	v_sub_nc_u32_e64 v12, v12, 4 clamp
	s_delay_alu instid0(VALU_DEP_1) | instskip(SKIP_1) | instid1(VALU_DEP_2)
	v_lshlrev_b32_e32 v13, v12, v11
	v_lshlrev_b32_e32 v12, 23, v12
	v_lshrrev_b32_e32 v13, 4, v13
	s_delay_alu instid0(VALU_DEP_1) | instskip(SKIP_1) | instid1(VALU_DEP_2)
	v_sub_nc_u32_e32 v12, v13, v12
	v_ashrrev_i32_e32 v13, 8, v14
	v_add_nc_u32_e32 v12, 0x3c000000, v12
	s_delay_alu instid0(VALU_DEP_1) | instskip(NEXT) | instid1(VALU_DEP_1)
	v_and_or_b32 v12, 0x7f800000, v13, v12
	v_cndmask_b32_e32 v11, 0, v12, vcc_lo
	s_delay_alu instid0(VALU_DEP_1) | instskip(NEXT) | instid1(VALU_DEP_1)
	v_and_or_b32 v7, 0x80000000, v7, v11
	v_cvt_f16_f32_e32 v7, v7
.LBB337_1506:
	s_mov_b32 s2, 0
.LBB337_1507:
	s_delay_alu instid0(SALU_CYCLE_1)
	s_and_not1_b32 vcc_lo, exec_lo, s2
	s_cbranch_vccnz .LBB337_1509
; %bb.1508:
	global_load_u8 v7, v[5:6], off
	s_waitcnt vmcnt(0)
	v_lshlrev_b32_e32 v11, 25, v7
	v_lshlrev_b16 v7, 8, v7
	s_delay_alu instid0(VALU_DEP_2) | instskip(NEXT) | instid1(VALU_DEP_2)
	v_lshrrev_b32_e32 v12, 4, v11
	v_and_or_b32 v13, 0x7f00, v7, 0.5
	v_bfe_i32 v7, v7, 0, 16
	s_delay_alu instid0(VALU_DEP_3) | instskip(NEXT) | instid1(VALU_DEP_1)
	v_or_b32_e32 v12, 0x70000000, v12
	v_dual_add_f32 v13, -0.5, v13 :: v_dual_mul_f32 v12, 0x7800000, v12
	v_cmp_gt_u32_e32 vcc_lo, 0x8000000, v11
	s_delay_alu instid0(VALU_DEP_2) | instskip(NEXT) | instid1(VALU_DEP_1)
	v_cndmask_b32_e32 v11, v12, v13, vcc_lo
	v_and_or_b32 v7, 0x80000000, v7, v11
	s_delay_alu instid0(VALU_DEP_1)
	v_cvt_f16_f32_e32 v7, v7
.LBB337_1509:
	s_mov_b32 s2, 0
	s_mov_b32 s3, -1
.LBB337_1510:
	s_and_not1_b32 vcc_lo, exec_lo, s2
	s_mov_b32 s2, 0
	s_cbranch_vccnz .LBB337_1521
; %bb.1511:
	v_cmp_lt_i16_e32 vcc_lo, 14, v9
	s_cbranch_vccz .LBB337_1514
; %bb.1512:
	v_cmp_eq_u16_e32 vcc_lo, 15, v9
	s_cbranch_vccz .LBB337_1517
; %bb.1513:
	global_load_u16 v7, v[5:6], off
	s_mov_b32 s0, 0
	s_mov_b32 s3, -1
	s_waitcnt vmcnt(0)
	v_lshlrev_b32_e32 v7, 16, v7
	s_delay_alu instid0(VALU_DEP_1)
	v_cvt_f16_f32_e32 v7, v7
	s_branch .LBB337_1519
.LBB337_1514:
	s_mov_b32 s2, -1
	s_branch .LBB337_1518
.LBB337_1515:
	s_or_saveexec_b32 s10, s10
	v_mov_b32_e32 v7, s3
	s_xor_b32 exec_lo, exec_lo, s10
	s_cbranch_execz .LBB337_1496
.LBB337_1516:
	v_cmp_ne_u16_e32 vcc_lo, 0, v11
	v_mov_b32_e32 v7, v11
	s_and_not1_b32 s2, s2, exec_lo
	s_and_b32 s3, vcc_lo, exec_lo
	s_delay_alu instid0(SALU_CYCLE_1)
	s_or_b32 s2, s2, s3
	s_or_b32 exec_lo, exec_lo, s10
	s_and_saveexec_b32 s3, s2
	s_cbranch_execnz .LBB337_1497
	s_branch .LBB337_1498
.LBB337_1517:
	s_mov_b32 s0, -1
.LBB337_1518:
                                        ; implicit-def: $vgpr7
.LBB337_1519:
	s_and_b32 vcc_lo, exec_lo, s2
	s_mov_b32 s2, 0
	s_cbranch_vccz .LBB337_1521
; %bb.1520:
	v_cmp_ne_u16_e64 s0, 11, v9
	s_mov_b32 s2, -1
                                        ; implicit-def: $vgpr7
.LBB337_1521:
	s_delay_alu instid0(VALU_DEP_1)
	s_and_b32 vcc_lo, exec_lo, s0
	s_cbranch_vccnz .LBB337_1537
; %bb.1522:
	s_and_not1_b32 vcc_lo, exec_lo, s2
	s_cbranch_vccnz .LBB337_1524
.LBB337_1523:
	global_load_u8 v7, v[5:6], off
	s_mov_b32 s3, -1
	s_waitcnt vmcnt(0)
	v_cmp_ne_u16_e32 vcc_lo, 0, v7
	v_cndmask_b32_e64 v7, 0, 0x3c00, vcc_lo
.LBB337_1524:
.LBB337_1525:
	s_and_not1_b32 vcc_lo, exec_lo, s3
	s_cbranch_vccnz .LBB337_2049
.LBB337_1526:
	v_cmp_gt_i16_e32 vcc_lo, 11, v9
	v_add_co_u32 v4, s0, s6, v4
	s_delay_alu instid0(VALU_DEP_1)
	v_add_co_ci_u32_e64 v5, null, s7, 0, s0
	s_mov_b32 s3, 0
	s_cbranch_vccnz .LBB337_1533
; %bb.1527:
	v_cmp_lt_i16_e32 vcc_lo, 25, v9
	s_mov_b32 s2, 0
	s_cbranch_vccz .LBB337_1534
; %bb.1528:
	v_cmp_lt_i16_e32 vcc_lo, 28, v9
	s_cbranch_vccz .LBB337_1535
; %bb.1529:
	v_cmp_lt_i16_e32 vcc_lo, 43, v9
	;; [unrolled: 3-line block ×3, first 2 shown]
	s_cbranch_vccz .LBB337_1539
; %bb.1531:
	v_cmp_eq_u16_e32 vcc_lo, 46, v9
	s_mov_b32 s6, 0
	s_cbranch_vccz .LBB337_1542
; %bb.1532:
	global_load_b32 v6, v[4:5], off
	s_mov_b32 s0, 0
	s_mov_b32 s3, -1
	s_waitcnt vmcnt(0)
	v_lshlrev_b32_e32 v6, 16, v6
	s_delay_alu instid0(VALU_DEP_1)
	v_cvt_f16_f32_e32 v6, v6
	s_branch .LBB337_1544
.LBB337_1533:
	s_mov_b32 s0, -1
                                        ; implicit-def: $vgpr6
	s_branch .LBB337_1610
.LBB337_1534:
	s_mov_b32 s6, -1
	s_mov_b32 s0, 0
                                        ; implicit-def: $vgpr6
	s_branch .LBB337_1573
.LBB337_1535:
	s_mov_b32 s6, -1
	s_mov_b32 s0, 0
                                        ; implicit-def: $vgpr6
	s_branch .LBB337_1554
.LBB337_1536:
	s_mov_b32 s6, -1
	s_mov_b32 s0, 0
                                        ; implicit-def: $vgpr6
	s_branch .LBB337_1549
.LBB337_1537:
	s_cbranch_execnz .LBB337_1540
; %bb.1538:
	s_or_b32 s1, s1, exec_lo
                                        ; implicit-def: $vgpr7
	s_cbranch_execz .LBB337_1523
	s_branch .LBB337_1524
.LBB337_1539:
	s_mov_b32 s6, -1
	s_mov_b32 s0, 0
	s_branch .LBB337_1543
.LBB337_1540:
	s_trap 2
	s_sendmsg_rtn_b32 s0, sendmsg(MSG_RTN_GET_DOORBELL)
	s_mov_b32 ttmp2, m0
	s_waitcnt lgkmcnt(0)
	s_and_b32 s0, s0, 0x3ff
	s_delay_alu instid0(SALU_CYCLE_1) | instskip(NEXT) | instid1(SALU_CYCLE_1)
	s_bitset1_b32 s0, 10
	s_mov_b32 m0, s0
	s_sendmsg sendmsg(MSG_INTERRUPT)
	s_mov_b32 m0, ttmp2
.LBB337_1541:                           ; =>This Inner Loop Header: Depth=1
	s_sethalt 5
	s_branch .LBB337_1541
.LBB337_1542:
	s_mov_b32 s0, -1
.LBB337_1543:
                                        ; implicit-def: $vgpr6
.LBB337_1544:
	s_and_b32 vcc_lo, exec_lo, s6
	s_cbranch_vccz .LBB337_1548
; %bb.1545:
	v_cmp_eq_u16_e32 vcc_lo, 44, v9
	s_cbranch_vccz .LBB337_1547
; %bb.1546:
	global_load_u8 v6, v[4:5], off
	s_mov_b32 s0, 0
	s_mov_b32 s3, -1
	s_waitcnt vmcnt(0)
	v_lshlrev_b32_e32 v11, 23, v6
	v_cmp_ne_u32_e32 vcc_lo, 0xff, v6
	s_delay_alu instid0(VALU_DEP_2) | instskip(NEXT) | instid1(VALU_DEP_1)
	v_cvt_f16_f32_e32 v11, v11
	v_cndmask_b32_e32 v11, 0x7e00, v11, vcc_lo
	v_cmp_ne_u32_e32 vcc_lo, 0, v6
	s_delay_alu instid0(VALU_DEP_2)
	v_cndmask_b32_e32 v6, 0, v11, vcc_lo
	s_branch .LBB337_1548
.LBB337_1547:
	s_mov_b32 s0, -1
                                        ; implicit-def: $vgpr6
.LBB337_1548:
	s_mov_b32 s6, 0
.LBB337_1549:
	s_delay_alu instid0(SALU_CYCLE_1)
	s_and_b32 vcc_lo, exec_lo, s6
	s_cbranch_vccz .LBB337_1553
; %bb.1550:
	v_cmp_eq_u16_e32 vcc_lo, 29, v9
	s_cbranch_vccz .LBB337_1552
; %bb.1551:
	global_load_b64 v[11:12], v[4:5], off
	s_mov_b32 s0, 0
	s_mov_b32 s3, -1
	s_mov_b32 s6, 0
	s_waitcnt vmcnt(0)
	v_clz_i32_u32_e32 v6, v12
	s_delay_alu instid0(VALU_DEP_1) | instskip(NEXT) | instid1(VALU_DEP_1)
	v_min_u32_e32 v6, 32, v6
	v_lshlrev_b64 v[11:12], v6, v[11:12]
	v_sub_nc_u32_e32 v6, 32, v6
	s_delay_alu instid0(VALU_DEP_2) | instskip(NEXT) | instid1(VALU_DEP_1)
	v_min_u32_e32 v11, 1, v11
	v_or_b32_e32 v11, v12, v11
	s_delay_alu instid0(VALU_DEP_1) | instskip(NEXT) | instid1(VALU_DEP_1)
	v_cvt_f32_u32_e32 v11, v11
	v_ldexp_f32 v6, v11, v6
	s_delay_alu instid0(VALU_DEP_1)
	v_cvt_f16_f32_e32 v6, v6
	s_branch .LBB337_1554
.LBB337_1552:
	s_mov_b32 s0, -1
                                        ; implicit-def: $vgpr6
.LBB337_1553:
	s_mov_b32 s6, 0
.LBB337_1554:
	s_delay_alu instid0(SALU_CYCLE_1)
	s_and_b32 vcc_lo, exec_lo, s6
	s_cbranch_vccz .LBB337_1572
; %bb.1555:
	v_cmp_gt_i16_e32 vcc_lo, 27, v9
	s_cbranch_vccnz .LBB337_1558
; %bb.1556:
	v_cmp_lt_i16_e32 vcc_lo, 27, v9
	s_cbranch_vccz .LBB337_1559
; %bb.1557:
	global_load_b32 v6, v[4:5], off
	s_mov_b32 s3, 0
	s_waitcnt vmcnt(0)
	v_cvt_f32_u32_e32 v6, v6
	s_delay_alu instid0(VALU_DEP_1)
	v_cvt_f16_f32_e32 v6, v6
	s_branch .LBB337_1560
.LBB337_1558:
	s_mov_b32 s3, -1
                                        ; implicit-def: $vgpr6
	s_branch .LBB337_1563
.LBB337_1559:
	s_mov_b32 s3, -1
                                        ; implicit-def: $vgpr6
.LBB337_1560:
	s_delay_alu instid0(SALU_CYCLE_1)
	s_and_not1_b32 vcc_lo, exec_lo, s3
	s_cbranch_vccnz .LBB337_1562
; %bb.1561:
	global_load_u16 v6, v[4:5], off
	s_waitcnt vmcnt(0)
	v_cvt_f16_u16_e32 v6, v6
.LBB337_1562:
	s_mov_b32 s3, 0
.LBB337_1563:
	s_delay_alu instid0(SALU_CYCLE_1)
	s_and_not1_b32 vcc_lo, exec_lo, s3
	s_cbranch_vccnz .LBB337_1571
; %bb.1564:
	global_load_u8 v11, v[4:5], off
	s_mov_b32 s3, 0
	s_mov_b32 s7, exec_lo
                                        ; implicit-def: $sgpr6
	s_waitcnt vmcnt(0)
	v_cmpx_lt_i16_e32 0x7f, v11
	s_xor_b32 s7, exec_lo, s7
	s_cbranch_execz .LBB337_1585
; %bb.1565:
	s_mov_b32 s3, -1
	s_mov_b32 s10, exec_lo
                                        ; implicit-def: $sgpr6
	v_cmpx_eq_u16_e32 0x80, v11
; %bb.1566:
	s_movk_i32 s6, 0x7e00
	s_xor_b32 s3, exec_lo, -1
; %bb.1567:
	s_or_b32 exec_lo, exec_lo, s10
	s_delay_alu instid0(SALU_CYCLE_1)
	s_and_b32 s3, s3, exec_lo
	s_or_saveexec_b32 s7, s7
	v_mov_b32_e32 v6, s6
	s_xor_b32 exec_lo, exec_lo, s7
	s_cbranch_execnz .LBB337_1586
.LBB337_1568:
	s_or_b32 exec_lo, exec_lo, s7
	s_and_saveexec_b32 s6, s3
	s_cbranch_execz .LBB337_1570
.LBB337_1569:
	v_and_b32_e32 v6, 0xffff, v11
	s_delay_alu instid0(VALU_DEP_1) | instskip(NEXT) | instid1(VALU_DEP_1)
	v_and_b32_e32 v12, 7, v6
	v_clz_i32_u32_e32 v13, v12
	s_delay_alu instid0(VALU_DEP_1) | instskip(NEXT) | instid1(VALU_DEP_1)
	v_min_u32_e32 v13, 32, v13
	v_subrev_nc_u32_e32 v14, 28, v13
	v_sub_nc_u32_e32 v13, 29, v13
	s_delay_alu instid0(VALU_DEP_2) | instskip(SKIP_1) | instid1(VALU_DEP_2)
	v_lshlrev_b32_e32 v14, v14, v6
	v_bfe_u32 v6, v6, 3, 4
	v_and_b32_e32 v14, 7, v14
	s_delay_alu instid0(VALU_DEP_2) | instskip(SKIP_1) | instid1(VALU_DEP_1)
	v_cmp_eq_u32_e32 vcc_lo, 0, v6
	v_dual_cndmask_b32 v6, v6, v13 :: v_dual_lshlrev_b32 v11, 24, v11
	v_dual_cndmask_b32 v12, v12, v14 :: v_dual_and_b32 v11, 0x80000000, v11
	s_delay_alu instid0(VALU_DEP_2) | instskip(NEXT) | instid1(VALU_DEP_2)
	v_lshl_add_u32 v6, v6, 23, 0x3b800000
	v_lshlrev_b32_e32 v12, 20, v12
	s_delay_alu instid0(VALU_DEP_1) | instskip(NEXT) | instid1(VALU_DEP_1)
	v_or3_b32 v6, v11, v6, v12
	v_cvt_f16_f32_e32 v6, v6
.LBB337_1570:
	s_or_b32 exec_lo, exec_lo, s6
.LBB337_1571:
	s_mov_b32 s3, -1
.LBB337_1572:
	s_mov_b32 s6, 0
.LBB337_1573:
	s_delay_alu instid0(SALU_CYCLE_1)
	s_and_b32 vcc_lo, exec_lo, s6
	s_cbranch_vccz .LBB337_1606
; %bb.1574:
	v_cmp_lt_i16_e32 vcc_lo, 22, v9
	s_cbranch_vccz .LBB337_1584
; %bb.1575:
	v_cmp_gt_i16_e32 vcc_lo, 24, v9
	s_cbranch_vccnz .LBB337_1587
; %bb.1576:
	v_cmp_lt_i16_e32 vcc_lo, 24, v9
	s_cbranch_vccz .LBB337_1588
; %bb.1577:
	global_load_u8 v11, v[4:5], off
	s_mov_b32 s6, exec_lo
                                        ; implicit-def: $sgpr3
	s_waitcnt vmcnt(0)
	v_cmpx_lt_i16_e32 0x7f, v11
	s_xor_b32 s6, exec_lo, s6
	s_cbranch_execz .LBB337_1600
; %bb.1578:
	s_mov_b32 s2, -1
	s_mov_b32 s7, exec_lo
                                        ; implicit-def: $sgpr3
	v_cmpx_eq_u16_e32 0x80, v11
; %bb.1579:
	s_movk_i32 s3, 0x7e00
	s_xor_b32 s2, exec_lo, -1
; %bb.1580:
	s_or_b32 exec_lo, exec_lo, s7
	s_delay_alu instid0(SALU_CYCLE_1)
	s_and_b32 s2, s2, exec_lo
	s_or_saveexec_b32 s6, s6
	v_mov_b32_e32 v6, s3
	s_xor_b32 exec_lo, exec_lo, s6
	s_cbranch_execnz .LBB337_1601
.LBB337_1581:
	s_or_b32 exec_lo, exec_lo, s6
	s_and_saveexec_b32 s3, s2
	s_cbranch_execz .LBB337_1583
.LBB337_1582:
	v_and_b32_e32 v6, 0xffff, v11
	s_delay_alu instid0(VALU_DEP_1) | instskip(NEXT) | instid1(VALU_DEP_1)
	v_and_b32_e32 v12, 3, v6
	v_clz_i32_u32_e32 v13, v12
	s_delay_alu instid0(VALU_DEP_1) | instskip(NEXT) | instid1(VALU_DEP_1)
	v_min_u32_e32 v13, 32, v13
	v_subrev_nc_u32_e32 v14, 29, v13
	v_sub_nc_u32_e32 v13, 30, v13
	s_delay_alu instid0(VALU_DEP_2) | instskip(SKIP_1) | instid1(VALU_DEP_2)
	v_lshlrev_b32_e32 v14, v14, v6
	v_bfe_u32 v6, v6, 2, 5
	v_and_b32_e32 v14, 3, v14
	s_delay_alu instid0(VALU_DEP_2) | instskip(SKIP_1) | instid1(VALU_DEP_1)
	v_cmp_eq_u32_e32 vcc_lo, 0, v6
	v_dual_cndmask_b32 v6, v6, v13 :: v_dual_lshlrev_b32 v11, 24, v11
	v_dual_cndmask_b32 v12, v12, v14 :: v_dual_and_b32 v11, 0x80000000, v11
	s_delay_alu instid0(VALU_DEP_2) | instskip(NEXT) | instid1(VALU_DEP_2)
	v_lshl_add_u32 v6, v6, 23, 0x37800000
	v_lshlrev_b32_e32 v12, 21, v12
	s_delay_alu instid0(VALU_DEP_1) | instskip(NEXT) | instid1(VALU_DEP_1)
	v_or3_b32 v6, v11, v6, v12
	v_cvt_f16_f32_e32 v6, v6
.LBB337_1583:
	s_or_b32 exec_lo, exec_lo, s3
	s_mov_b32 s2, 0
	s_branch .LBB337_1589
.LBB337_1584:
	s_mov_b32 s2, -1
                                        ; implicit-def: $vgpr6
	s_branch .LBB337_1595
.LBB337_1585:
	s_or_saveexec_b32 s7, s7
	v_mov_b32_e32 v6, s6
	s_xor_b32 exec_lo, exec_lo, s7
	s_cbranch_execz .LBB337_1568
.LBB337_1586:
	v_cmp_ne_u16_e32 vcc_lo, 0, v11
	v_mov_b32_e32 v6, v11
	s_and_not1_b32 s3, s3, exec_lo
	s_and_b32 s6, vcc_lo, exec_lo
	s_delay_alu instid0(SALU_CYCLE_1)
	s_or_b32 s3, s3, s6
	s_or_b32 exec_lo, exec_lo, s7
	s_and_saveexec_b32 s6, s3
	s_cbranch_execnz .LBB337_1569
	s_branch .LBB337_1570
.LBB337_1587:
	s_mov_b32 s2, -1
                                        ; implicit-def: $vgpr6
	s_branch .LBB337_1592
.LBB337_1588:
	s_mov_b32 s2, -1
                                        ; implicit-def: $vgpr6
.LBB337_1589:
	s_delay_alu instid0(SALU_CYCLE_1)
	s_and_b32 vcc_lo, exec_lo, s2
	s_cbranch_vccz .LBB337_1591
; %bb.1590:
	global_load_u8 v6, v[4:5], off
	s_waitcnt vmcnt(0)
	v_lshlrev_b32_e32 v6, 24, v6
	s_delay_alu instid0(VALU_DEP_1) | instskip(NEXT) | instid1(VALU_DEP_1)
	v_and_b32_e32 v11, 0x7f000000, v6
	v_clz_i32_u32_e32 v12, v11
	v_add_nc_u32_e32 v14, 0x1000000, v11
	v_cmp_ne_u32_e32 vcc_lo, 0, v11
	s_delay_alu instid0(VALU_DEP_3) | instskip(NEXT) | instid1(VALU_DEP_1)
	v_min_u32_e32 v12, 32, v12
	v_sub_nc_u32_e64 v12, v12, 4 clamp
	s_delay_alu instid0(VALU_DEP_1) | instskip(SKIP_1) | instid1(VALU_DEP_2)
	v_lshlrev_b32_e32 v13, v12, v11
	v_lshlrev_b32_e32 v12, 23, v12
	v_lshrrev_b32_e32 v13, 4, v13
	s_delay_alu instid0(VALU_DEP_1) | instskip(SKIP_1) | instid1(VALU_DEP_2)
	v_sub_nc_u32_e32 v12, v13, v12
	v_ashrrev_i32_e32 v13, 8, v14
	v_add_nc_u32_e32 v12, 0x3c000000, v12
	s_delay_alu instid0(VALU_DEP_1) | instskip(NEXT) | instid1(VALU_DEP_1)
	v_and_or_b32 v12, 0x7f800000, v13, v12
	v_cndmask_b32_e32 v11, 0, v12, vcc_lo
	s_delay_alu instid0(VALU_DEP_1) | instskip(NEXT) | instid1(VALU_DEP_1)
	v_and_or_b32 v6, 0x80000000, v6, v11
	v_cvt_f16_f32_e32 v6, v6
.LBB337_1591:
	s_mov_b32 s2, 0
.LBB337_1592:
	s_delay_alu instid0(SALU_CYCLE_1)
	s_and_not1_b32 vcc_lo, exec_lo, s2
	s_cbranch_vccnz .LBB337_1594
; %bb.1593:
	global_load_u8 v6, v[4:5], off
	s_waitcnt vmcnt(0)
	v_lshlrev_b32_e32 v11, 25, v6
	v_lshlrev_b16 v6, 8, v6
	s_delay_alu instid0(VALU_DEP_2) | instskip(NEXT) | instid1(VALU_DEP_2)
	v_lshrrev_b32_e32 v12, 4, v11
	v_and_or_b32 v13, 0x7f00, v6, 0.5
	v_bfe_i32 v6, v6, 0, 16
	s_delay_alu instid0(VALU_DEP_3) | instskip(NEXT) | instid1(VALU_DEP_1)
	v_or_b32_e32 v12, 0x70000000, v12
	v_dual_add_f32 v13, -0.5, v13 :: v_dual_mul_f32 v12, 0x7800000, v12
	v_cmp_gt_u32_e32 vcc_lo, 0x8000000, v11
	s_delay_alu instid0(VALU_DEP_2) | instskip(NEXT) | instid1(VALU_DEP_1)
	v_cndmask_b32_e32 v11, v12, v13, vcc_lo
	v_and_or_b32 v6, 0x80000000, v6, v11
	s_delay_alu instid0(VALU_DEP_1)
	v_cvt_f16_f32_e32 v6, v6
.LBB337_1594:
	s_mov_b32 s2, 0
	s_mov_b32 s3, -1
.LBB337_1595:
	s_and_not1_b32 vcc_lo, exec_lo, s2
	s_mov_b32 s2, 0
	s_cbranch_vccnz .LBB337_1606
; %bb.1596:
	v_cmp_lt_i16_e32 vcc_lo, 14, v9
	s_cbranch_vccz .LBB337_1599
; %bb.1597:
	v_cmp_eq_u16_e32 vcc_lo, 15, v9
	s_cbranch_vccz .LBB337_1602
; %bb.1598:
	global_load_u16 v6, v[4:5], off
	s_mov_b32 s0, 0
	s_mov_b32 s3, -1
	s_waitcnt vmcnt(0)
	v_lshlrev_b32_e32 v6, 16, v6
	s_delay_alu instid0(VALU_DEP_1)
	v_cvt_f16_f32_e32 v6, v6
	s_branch .LBB337_1604
.LBB337_1599:
	s_mov_b32 s2, -1
	s_branch .LBB337_1603
.LBB337_1600:
	s_or_saveexec_b32 s6, s6
	v_mov_b32_e32 v6, s3
	s_xor_b32 exec_lo, exec_lo, s6
	s_cbranch_execz .LBB337_1581
.LBB337_1601:
	v_cmp_ne_u16_e32 vcc_lo, 0, v11
	v_mov_b32_e32 v6, v11
	s_and_not1_b32 s2, s2, exec_lo
	s_and_b32 s3, vcc_lo, exec_lo
	s_delay_alu instid0(SALU_CYCLE_1)
	s_or_b32 s2, s2, s3
	s_or_b32 exec_lo, exec_lo, s6
	s_and_saveexec_b32 s3, s2
	s_cbranch_execnz .LBB337_1582
	s_branch .LBB337_1583
.LBB337_1602:
	s_mov_b32 s0, -1
.LBB337_1603:
                                        ; implicit-def: $vgpr6
.LBB337_1604:
	s_and_b32 vcc_lo, exec_lo, s2
	s_mov_b32 s2, 0
	s_cbranch_vccz .LBB337_1606
; %bb.1605:
	v_cmp_ne_u16_e64 s0, 11, v9
	s_mov_b32 s2, -1
                                        ; implicit-def: $vgpr6
.LBB337_1606:
	s_delay_alu instid0(VALU_DEP_1)
	s_and_b32 vcc_lo, exec_lo, s0
	s_cbranch_vccnz .LBB337_1669
; %bb.1607:
	s_and_not1_b32 vcc_lo, exec_lo, s2
	s_cbranch_vccnz .LBB337_1609
.LBB337_1608:
	global_load_u8 v6, v[4:5], off
	s_mov_b32 s3, -1
	s_waitcnt vmcnt(0)
	v_cmp_ne_u16_e32 vcc_lo, 0, v6
	v_cndmask_b32_e64 v6, 0, 0x3c00, vcc_lo
.LBB337_1609:
	s_mov_b32 s0, 0
.LBB337_1610:
	s_delay_alu instid0(SALU_CYCLE_1)
	s_and_b32 vcc_lo, exec_lo, s0
	s_cbranch_vccz .LBB337_1659
; %bb.1611:
	v_cmp_gt_i16_e32 vcc_lo, 5, v9
	s_cbranch_vccnz .LBB337_1616
; %bb.1612:
	v_cmp_gt_i16_e32 vcc_lo, 8, v9
	s_cbranch_vccnz .LBB337_1617
	;; [unrolled: 3-line block ×3, first 2 shown]
; %bb.1614:
	v_cmp_lt_i16_e32 vcc_lo, 9, v9
	s_cbranch_vccz .LBB337_1619
; %bb.1615:
	global_load_b64 v[11:12], v[4:5], off
	s_mov_b32 s0, 0
	s_waitcnt vmcnt(0)
	v_cvt_f32_f64_e32 v6, v[11:12]
	s_delay_alu instid0(VALU_DEP_1)
	v_cvt_f16_f32_e32 v6, v6
	s_branch .LBB337_1620
.LBB337_1616:
	s_mov_b32 s0, -1
                                        ; implicit-def: $vgpr6
	s_branch .LBB337_1638
.LBB337_1617:
	s_mov_b32 s0, -1
                                        ; implicit-def: $vgpr6
	s_branch .LBB337_1626
.LBB337_1618:
	s_mov_b32 s0, -1
                                        ; implicit-def: $vgpr6
	s_branch .LBB337_1623
.LBB337_1619:
	s_mov_b32 s0, -1
                                        ; implicit-def: $vgpr6
.LBB337_1620:
	s_delay_alu instid0(SALU_CYCLE_1)
	s_and_not1_b32 vcc_lo, exec_lo, s0
	s_cbranch_vccnz .LBB337_1622
; %bb.1621:
	global_load_b32 v6, v[4:5], off
	s_waitcnt vmcnt(0)
	v_cvt_f16_f32_e32 v6, v6
.LBB337_1622:
	s_mov_b32 s0, 0
.LBB337_1623:
	s_delay_alu instid0(SALU_CYCLE_1)
	s_and_not1_b32 vcc_lo, exec_lo, s0
	s_cbranch_vccnz .LBB337_1625
; %bb.1624:
	global_load_b32 v6, v[4:5], off
.LBB337_1625:
	s_mov_b32 s0, 0
.LBB337_1626:
	s_delay_alu instid0(SALU_CYCLE_1)
	s_and_not1_b32 vcc_lo, exec_lo, s0
	s_cbranch_vccnz .LBB337_1637
; %bb.1627:
	v_cmp_gt_i16_e32 vcc_lo, 6, v9
	s_cbranch_vccnz .LBB337_1630
; %bb.1628:
	v_cmp_lt_i16_e32 vcc_lo, 6, v9
	s_cbranch_vccz .LBB337_1631
; %bb.1629:
	global_load_b64 v[11:12], v[4:5], off
	s_mov_b32 s0, 0
	s_waitcnt vmcnt(0)
	v_cvt_f32_f64_e32 v6, v[11:12]
	s_delay_alu instid0(VALU_DEP_1)
	v_cvt_f16_f32_e32 v6, v6
	s_branch .LBB337_1632
.LBB337_1630:
	s_mov_b32 s0, -1
                                        ; implicit-def: $vgpr6
	s_branch .LBB337_1635
.LBB337_1631:
	s_mov_b32 s0, -1
                                        ; implicit-def: $vgpr6
.LBB337_1632:
	s_delay_alu instid0(SALU_CYCLE_1)
	s_and_not1_b32 vcc_lo, exec_lo, s0
	s_cbranch_vccnz .LBB337_1634
; %bb.1633:
	global_load_b32 v6, v[4:5], off
	s_waitcnt vmcnt(0)
	v_cvt_f16_f32_e32 v6, v6
.LBB337_1634:
	s_mov_b32 s0, 0
.LBB337_1635:
	s_delay_alu instid0(SALU_CYCLE_1)
	s_and_not1_b32 vcc_lo, exec_lo, s0
	s_cbranch_vccnz .LBB337_1637
; %bb.1636:
	global_load_u16 v6, v[4:5], off
.LBB337_1637:
	s_mov_b32 s0, 0
.LBB337_1638:
	s_delay_alu instid0(SALU_CYCLE_1)
	s_and_not1_b32 vcc_lo, exec_lo, s0
	s_cbranch_vccnz .LBB337_1658
; %bb.1639:
	v_cmp_gt_i16_e32 vcc_lo, 2, v9
	s_cbranch_vccnz .LBB337_1643
; %bb.1640:
	v_cmp_gt_i16_e32 vcc_lo, 3, v9
	s_cbranch_vccnz .LBB337_1644
; %bb.1641:
	v_cmp_lt_i16_e32 vcc_lo, 3, v9
	s_cbranch_vccz .LBB337_1645
; %bb.1642:
	global_load_b64 v[11:12], v[4:5], off
	s_mov_b32 s0, 0
	s_waitcnt vmcnt(0)
	v_xor_b32_e32 v6, v11, v12
	v_cls_i32_e32 v13, v12
	s_delay_alu instid0(VALU_DEP_2) | instskip(NEXT) | instid1(VALU_DEP_2)
	v_ashrrev_i32_e32 v6, 31, v6
	v_add_nc_u32_e32 v13, -1, v13
	s_delay_alu instid0(VALU_DEP_2) | instskip(NEXT) | instid1(VALU_DEP_1)
	v_add_nc_u32_e32 v6, 32, v6
	v_min_u32_e32 v6, v13, v6
	s_delay_alu instid0(VALU_DEP_1) | instskip(SKIP_1) | instid1(VALU_DEP_2)
	v_lshlrev_b64 v[11:12], v6, v[11:12]
	v_sub_nc_u32_e32 v6, 32, v6
	v_min_u32_e32 v11, 1, v11
	s_delay_alu instid0(VALU_DEP_1) | instskip(NEXT) | instid1(VALU_DEP_1)
	v_or_b32_e32 v11, v12, v11
	v_cvt_f32_i32_e32 v11, v11
	s_delay_alu instid0(VALU_DEP_1) | instskip(NEXT) | instid1(VALU_DEP_1)
	v_ldexp_f32 v6, v11, v6
	v_cvt_f16_f32_e32 v6, v6
	s_branch .LBB337_1646
.LBB337_1643:
	s_mov_b32 s0, -1
                                        ; implicit-def: $vgpr6
	s_branch .LBB337_1652
.LBB337_1644:
	s_mov_b32 s0, -1
                                        ; implicit-def: $vgpr6
	s_branch .LBB337_1649
.LBB337_1645:
	s_mov_b32 s0, -1
                                        ; implicit-def: $vgpr6
.LBB337_1646:
	s_delay_alu instid0(SALU_CYCLE_1)
	s_and_not1_b32 vcc_lo, exec_lo, s0
	s_cbranch_vccnz .LBB337_1648
; %bb.1647:
	global_load_b32 v6, v[4:5], off
	s_waitcnt vmcnt(0)
	v_cvt_f32_i32_e32 v6, v6
	s_delay_alu instid0(VALU_DEP_1)
	v_cvt_f16_f32_e32 v6, v6
.LBB337_1648:
	s_mov_b32 s0, 0
.LBB337_1649:
	s_delay_alu instid0(SALU_CYCLE_1)
	s_and_not1_b32 vcc_lo, exec_lo, s0
	s_cbranch_vccnz .LBB337_1651
; %bb.1650:
	global_load_u16 v6, v[4:5], off
	s_waitcnt vmcnt(0)
	v_cvt_f16_i16_e32 v6, v6
.LBB337_1651:
	s_mov_b32 s0, 0
.LBB337_1652:
	s_delay_alu instid0(SALU_CYCLE_1)
	s_and_not1_b32 vcc_lo, exec_lo, s0
	s_cbranch_vccnz .LBB337_1658
; %bb.1653:
	v_cmp_lt_i16_e32 vcc_lo, 0, v9
	s_mov_b32 s0, 0
	s_cbranch_vccz .LBB337_1655
; %bb.1654:
	global_load_i8 v6, v[4:5], off
	s_waitcnt vmcnt(0)
	v_cvt_f16_i16_e32 v6, v6
	s_branch .LBB337_1656
.LBB337_1655:
	s_mov_b32 s0, -1
                                        ; implicit-def: $vgpr6
.LBB337_1656:
	s_delay_alu instid0(SALU_CYCLE_1)
	s_and_not1_b32 vcc_lo, exec_lo, s0
	s_cbranch_vccnz .LBB337_1658
; %bb.1657:
	global_load_u8 v4, v[4:5], off
	s_waitcnt vmcnt(0)
	v_cvt_f16_u16_e32 v6, v4
.LBB337_1658:
	s_mov_b32 s3, -1
.LBB337_1659:
	s_delay_alu instid0(SALU_CYCLE_1)
	s_and_not1_b32 vcc_lo, exec_lo, s3
	s_cbranch_vccnz .LBB337_2049
; %bb.1660:
	s_load_b64 s[2:3], s[16:17], 0x158
	v_add_co_u32 v3, s7, s4, v3
	s_mov_b32 s10, 0
	s_waitcnt lgkmcnt(0)
	v_cmp_lt_f16_e32 vcc_lo, s2, v10
	s_lshr_b32 s6, s2, 16
	s_and_b32 s3, s3, 0xff
	s_delay_alu instid0(SALU_CYCLE_1) | instskip(SKIP_1) | instid1(VALU_DEP_1)
	v_cmp_lt_i16_e64 s0, s3, 11
	v_cndmask_b32_e32 v4, s2, v10, vcc_lo
	v_cmp_gt_f16_e32 vcc_lo, s6, v4
	v_cndmask_b32_e32 v5, s6, v4, vcc_lo
	v_cmp_u_f16_e32 vcc_lo, v10, v10
	v_add_co_ci_u32_e64 v4, null, s5, 0, s7
	s_delay_alu instid0(VALU_DEP_3)
	v_cndmask_b32_e32 v5, v5, v10, vcc_lo
	s_and_b32 vcc_lo, exec_lo, s0
	s_mov_b32 s0, -1
	s_cbranch_vccnz .LBB337_1743
; %bb.1661:
	v_cmp_gt_i16_e64 s0, s3, 25
	s_mov_b32 s11, -1
	s_mov_b32 s7, 0
	s_delay_alu instid0(VALU_DEP_1)
	s_and_b32 vcc_lo, exec_lo, s0
	s_mov_b32 s0, 0
	s_cbranch_vccz .LBB337_1699
; %bb.1662:
	v_cmp_gt_i16_e64 s0, s3, 28
	s_delay_alu instid0(VALU_DEP_1)
	s_and_b32 vcc_lo, exec_lo, s0
	s_cbranch_vccz .LBB337_1667
; %bb.1663:
	v_cmp_gt_i16_e64 s0, s3, 43
	s_delay_alu instid0(VALU_DEP_1)
	s_and_b32 vcc_lo, exec_lo, s0
	s_cbranch_vccz .LBB337_1668
; %bb.1664:
	v_cmp_gt_i16_e64 s0, s3, 45
	s_delay_alu instid0(VALU_DEP_1)
	s_and_b32 vcc_lo, exec_lo, s0
	s_cbranch_vccz .LBB337_1671
; %bb.1665:
	v_cmp_eq_u16_e64 s10, s3, 46
	s_mov_b32 s0, -1
	s_mov_b32 s11, 0
	s_delay_alu instid0(VALU_DEP_1)
	s_and_b32 vcc_lo, exec_lo, s10
	s_mov_b32 s10, 0
	s_cbranch_vccz .LBB337_1672
; %bb.1666:
	v_cvt_f32_f16_e32 v9, v5
	v_cmp_o_f16_e32 vcc_lo, v5, v5
	s_mov_b32 s0, 0
	s_mov_b32 s10, -1
	s_delay_alu instid0(VALU_DEP_2) | instskip(NEXT) | instid1(VALU_DEP_1)
	v_bfe_u32 v10, v9, 16, 1
	v_add3_u32 v9, v9, v10, 0x7fff
	s_delay_alu instid0(VALU_DEP_1) | instskip(NEXT) | instid1(VALU_DEP_1)
	v_lshrrev_b32_e32 v9, 16, v9
	v_cndmask_b32_e32 v9, 0x7fc0, v9, vcc_lo
	global_store_b32 v[3:4], v9, off
	s_branch .LBB337_1672
.LBB337_1667:
	s_mov_b32 s0, 0
	s_branch .LBB337_1682
.LBB337_1668:
	s_mov_b32 s0, 0
	s_branch .LBB337_1678
.LBB337_1669:
	s_cbranch_execnz .LBB337_1794
; %bb.1670:
	s_or_b32 s1, s1, exec_lo
                                        ; implicit-def: $vgpr6
	s_cbranch_execz .LBB337_1608
	s_branch .LBB337_1609
.LBB337_1671:
	s_mov_b32 s0, 0
.LBB337_1672:
	s_and_b32 vcc_lo, exec_lo, s11
	s_cbranch_vccz .LBB337_1677
; %bb.1673:
	v_cmp_eq_u16_e64 s0, s3, 44
	s_delay_alu instid0(VALU_DEP_1)
	s_and_b32 vcc_lo, exec_lo, s0
	s_mov_b32 s0, -1
	s_cbranch_vccz .LBB337_1677
; %bb.1674:
	v_cvt_f32_f16_e32 v9, v5
	v_mov_b32_e32 v10, 0xff
	s_mov_b32 s10, exec_lo
	s_delay_alu instid0(VALU_DEP_2) | instskip(NEXT) | instid1(VALU_DEP_1)
	v_bfe_u32 v11, v9, 23, 8
	v_cmpx_ne_u32_e32 0xff, v11
; %bb.1675:
	v_and_b32_e32 v10, 0x400000, v9
	v_and_or_b32 v11, 0x3fffff, v9, v11
	v_lshrrev_b32_e32 v9, 23, v9
	s_delay_alu instid0(VALU_DEP_3) | instskip(NEXT) | instid1(VALU_DEP_3)
	v_cmp_ne_u32_e32 vcc_lo, 0, v10
	v_cmp_ne_u32_e64 s0, 0, v11
	s_delay_alu instid0(VALU_DEP_1) | instskip(NEXT) | instid1(SALU_CYCLE_1)
	s_and_b32 s0, vcc_lo, s0
	v_cndmask_b32_e64 v10, 0, 1, s0
	s_delay_alu instid0(VALU_DEP_1)
	v_add_nc_u32_e32 v10, v9, v10
; %bb.1676:
	s_or_b32 exec_lo, exec_lo, s10
	s_mov_b32 s0, 0
	s_mov_b32 s10, -1
	global_store_b8 v[3:4], v10, off
.LBB337_1677:
	s_mov_b32 s11, 0
.LBB337_1678:
	s_delay_alu instid0(SALU_CYCLE_1)
	s_and_b32 vcc_lo, exec_lo, s11
	s_cbranch_vccz .LBB337_1681
; %bb.1679:
	v_cmp_eq_u16_e64 s0, s3, 29
	s_delay_alu instid0(VALU_DEP_1)
	s_and_b32 vcc_lo, exec_lo, s0
	s_mov_b32 s0, -1
	s_cbranch_vccz .LBB337_1681
; %bb.1680:
	v_cvt_f32_f16_e32 v9, v5
	v_mov_b32_e32 v10, 0
	s_mov_b32 s0, 0
	s_mov_b32 s10, -1
	s_mov_b32 s11, 0
	v_cvt_u32_f32_e32 v9, v9
	global_store_b64 v[3:4], v[9:10], off
	s_branch .LBB337_1682
.LBB337_1681:
	s_mov_b32 s11, 0
.LBB337_1682:
	s_delay_alu instid0(SALU_CYCLE_1)
	s_and_b32 vcc_lo, exec_lo, s11
	s_cbranch_vccz .LBB337_1698
; %bb.1683:
	v_cmp_lt_i16_e64 s10, s3, 27
	s_delay_alu instid0(VALU_DEP_1)
	s_and_b32 vcc_lo, exec_lo, s10
	s_mov_b32 s10, -1
	s_cbranch_vccnz .LBB337_1689
; %bb.1684:
	v_cmp_gt_i16_e64 s10, s3, 27
	s_delay_alu instid0(VALU_DEP_1)
	s_and_b32 vcc_lo, exec_lo, s10
	s_mov_b32 s10, -1
	s_cbranch_vccz .LBB337_1686
; %bb.1685:
	v_cvt_f32_f16_e32 v9, v5
	s_mov_b32 s10, 0
	s_delay_alu instid0(VALU_DEP_1)
	v_cvt_u32_f32_e32 v9, v9
	global_store_b32 v[3:4], v9, off
.LBB337_1686:
	s_and_not1_b32 vcc_lo, exec_lo, s10
	s_cbranch_vccnz .LBB337_1688
; %bb.1687:
	v_cvt_u16_f16_e32 v9, v5
	global_store_b16 v[3:4], v9, off
.LBB337_1688:
	s_mov_b32 s10, 0
.LBB337_1689:
	s_delay_alu instid0(SALU_CYCLE_1)
	s_and_not1_b32 vcc_lo, exec_lo, s10
	s_cbranch_vccnz .LBB337_1697
; %bb.1690:
	v_cvt_f32_f16_e32 v9, v5
	v_mov_b32_e32 v11, 0x80
	s_mov_b32 s10, exec_lo
	s_delay_alu instid0(VALU_DEP_2) | instskip(NEXT) | instid1(VALU_DEP_1)
	v_and_b32_e32 v10, 0x7fffffff, v9
	v_cmpx_gt_u32_e32 0x43800000, v10
	s_cbranch_execz .LBB337_1696
; %bb.1691:
	v_cmp_lt_u32_e32 vcc_lo, 0x3bffffff, v10
	s_mov_b32 s11, 0
                                        ; implicit-def: $vgpr10
	s_and_saveexec_b32 s12, vcc_lo
	s_delay_alu instid0(SALU_CYCLE_1)
	s_xor_b32 s12, exec_lo, s12
	s_cbranch_execz .LBB337_1791
; %bb.1692:
	v_bfe_u32 v10, v9, 20, 1
	s_mov_b32 s11, exec_lo
	s_delay_alu instid0(VALU_DEP_1) | instskip(NEXT) | instid1(VALU_DEP_1)
	v_add3_u32 v10, v9, v10, 0x487ffff
	v_lshrrev_b32_e32 v10, 20, v10
	s_or_saveexec_b32 s12, s12
                                        ; implicit-def: $sgpr13
	s_delay_alu instid0(SALU_CYCLE_1)
	s_xor_b32 exec_lo, exec_lo, s12
	s_cbranch_execnz .LBB337_1792
.LBB337_1693:
	s_or_b32 exec_lo, exec_lo, s12
	v_mov_b32_e32 v11, s13
	s_and_saveexec_b32 s12, s11
.LBB337_1694:
	v_lshrrev_b32_e32 v9, 24, v9
	s_delay_alu instid0(VALU_DEP_1)
	v_and_or_b32 v11, 0x80, v9, v10
.LBB337_1695:
	s_or_b32 exec_lo, exec_lo, s12
.LBB337_1696:
	s_delay_alu instid0(SALU_CYCLE_1)
	s_or_b32 exec_lo, exec_lo, s10
	global_store_b8 v[3:4], v11, off
.LBB337_1697:
	s_mov_b32 s10, -1
.LBB337_1698:
	s_mov_b32 s11, 0
.LBB337_1699:
	s_delay_alu instid0(SALU_CYCLE_1)
	s_and_b32 vcc_lo, exec_lo, s11
	s_cbranch_vccz .LBB337_1739
; %bb.1700:
	v_cmp_gt_i16_e64 s7, s3, 22
	s_delay_alu instid0(VALU_DEP_1)
	s_and_b32 vcc_lo, exec_lo, s7
	s_mov_b32 s7, -1
	s_cbranch_vccz .LBB337_1732
; %bb.1701:
	v_cmp_lt_i16_e64 s7, s3, 24
	s_delay_alu instid0(VALU_DEP_1)
	s_and_b32 vcc_lo, exec_lo, s7
	s_mov_b32 s7, -1
	s_cbranch_vccnz .LBB337_1721
; %bb.1702:
	v_cmp_gt_i16_e64 s7, s3, 24
	s_delay_alu instid0(VALU_DEP_1)
	s_and_b32 vcc_lo, exec_lo, s7
	s_mov_b32 s7, -1
	s_cbranch_vccz .LBB337_1710
; %bb.1703:
	v_cvt_f32_f16_e32 v9, v5
	v_mov_b32_e32 v11, 0x80
	s_mov_b32 s7, exec_lo
	s_delay_alu instid0(VALU_DEP_2) | instskip(NEXT) | instid1(VALU_DEP_1)
	v_and_b32_e32 v10, 0x7fffffff, v9
	v_cmpx_gt_u32_e32 0x47800000, v10
	s_cbranch_execz .LBB337_1709
; %bb.1704:
	v_cmp_lt_u32_e32 vcc_lo, 0x37ffffff, v10
	s_mov_b32 s10, 0
                                        ; implicit-def: $vgpr10
	s_and_saveexec_b32 s11, vcc_lo
	s_delay_alu instid0(SALU_CYCLE_1)
	s_xor_b32 s11, exec_lo, s11
	s_cbranch_execz .LBB337_1798
; %bb.1705:
	v_bfe_u32 v10, v9, 21, 1
	s_mov_b32 s10, exec_lo
	s_delay_alu instid0(VALU_DEP_1) | instskip(NEXT) | instid1(VALU_DEP_1)
	v_add3_u32 v10, v9, v10, 0x88fffff
	v_lshrrev_b32_e32 v10, 21, v10
	s_or_saveexec_b32 s11, s11
                                        ; implicit-def: $sgpr12
	s_delay_alu instid0(SALU_CYCLE_1)
	s_xor_b32 exec_lo, exec_lo, s11
	s_cbranch_execnz .LBB337_1799
.LBB337_1706:
	s_or_b32 exec_lo, exec_lo, s11
	v_mov_b32_e32 v11, s12
	s_and_saveexec_b32 s11, s10
.LBB337_1707:
	v_lshrrev_b32_e32 v9, 24, v9
	s_delay_alu instid0(VALU_DEP_1)
	v_and_or_b32 v11, 0x80, v9, v10
.LBB337_1708:
	s_or_b32 exec_lo, exec_lo, s11
.LBB337_1709:
	s_delay_alu instid0(SALU_CYCLE_1)
	s_or_b32 exec_lo, exec_lo, s7
	s_mov_b32 s7, 0
	global_store_b8 v[3:4], v11, off
.LBB337_1710:
	s_and_b32 vcc_lo, exec_lo, s7
	s_cbranch_vccz .LBB337_1720
; %bb.1711:
	v_cvt_f32_f16_e32 v9, v5
	s_mov_b32 s7, exec_lo
                                        ; implicit-def: $vgpr10
	s_delay_alu instid0(VALU_DEP_1) | instskip(NEXT) | instid1(VALU_DEP_1)
	v_and_b32_e32 v11, 0x7fffffff, v9
	v_cmpx_gt_u32_e32 0x43f00000, v11
	s_xor_b32 s7, exec_lo, s7
	s_cbranch_execz .LBB337_1717
; %bb.1712:
	s_mov_b32 s10, exec_lo
                                        ; implicit-def: $vgpr10
	v_cmpx_lt_u32_e32 0x3c7fffff, v11
	s_xor_b32 s10, exec_lo, s10
; %bb.1713:
	v_bfe_u32 v10, v9, 20, 1
	s_delay_alu instid0(VALU_DEP_1) | instskip(NEXT) | instid1(VALU_DEP_1)
	v_add3_u32 v10, v9, v10, 0x407ffff
	v_and_b32_e32 v11, 0xff00000, v10
	v_lshrrev_b32_e32 v10, 20, v10
	s_delay_alu instid0(VALU_DEP_2) | instskip(NEXT) | instid1(VALU_DEP_2)
	v_cmp_ne_u32_e32 vcc_lo, 0x7f00000, v11
	v_cndmask_b32_e32 v10, 0x7e, v10, vcc_lo
; %bb.1714:
	s_and_not1_saveexec_b32 s10, s10
; %bb.1715:
	v_add_f32_e64 v10, 0x46800000, |v9|
; %bb.1716:
	s_or_b32 exec_lo, exec_lo, s10
                                        ; implicit-def: $vgpr11
.LBB337_1717:
	s_and_not1_saveexec_b32 s7, s7
; %bb.1718:
	v_mov_b32_e32 v10, 0x7f
	v_cmp_lt_u32_e32 vcc_lo, 0x7f800000, v11
	s_delay_alu instid0(VALU_DEP_2)
	v_cndmask_b32_e32 v10, 0x7e, v10, vcc_lo
; %bb.1719:
	s_or_b32 exec_lo, exec_lo, s7
	v_lshrrev_b32_e32 v9, 24, v9
	s_delay_alu instid0(VALU_DEP_1)
	v_and_or_b32 v9, 0x80, v9, v10
	global_store_b8 v[3:4], v9, off
.LBB337_1720:
	s_mov_b32 s7, 0
.LBB337_1721:
	s_delay_alu instid0(SALU_CYCLE_1)
	s_and_not1_b32 vcc_lo, exec_lo, s7
	s_cbranch_vccnz .LBB337_1731
; %bb.1722:
	v_cvt_f32_f16_e32 v9, v5
	s_mov_b32 s7, exec_lo
                                        ; implicit-def: $vgpr10
	s_delay_alu instid0(VALU_DEP_1) | instskip(NEXT) | instid1(VALU_DEP_1)
	v_and_b32_e32 v11, 0x7fffffff, v9
	v_cmpx_gt_u32_e32 0x47800000, v11
	s_xor_b32 s7, exec_lo, s7
	s_cbranch_execz .LBB337_1728
; %bb.1723:
	s_mov_b32 s10, exec_lo
                                        ; implicit-def: $vgpr10
	v_cmpx_lt_u32_e32 0x387fffff, v11
	s_xor_b32 s10, exec_lo, s10
; %bb.1724:
	v_bfe_u32 v10, v9, 21, 1
	s_delay_alu instid0(VALU_DEP_1) | instskip(NEXT) | instid1(VALU_DEP_1)
	v_add3_u32 v10, v9, v10, 0x80fffff
	v_lshrrev_b32_e32 v10, 21, v10
; %bb.1725:
	s_and_not1_saveexec_b32 s10, s10
; %bb.1726:
	v_add_f32_e64 v10, 0x43000000, |v9|
; %bb.1727:
	s_or_b32 exec_lo, exec_lo, s10
                                        ; implicit-def: $vgpr11
.LBB337_1728:
	s_and_not1_saveexec_b32 s7, s7
; %bb.1729:
	v_mov_b32_e32 v10, 0x7f
	v_cmp_lt_u32_e32 vcc_lo, 0x7f800000, v11
	s_delay_alu instid0(VALU_DEP_2)
	v_cndmask_b32_e32 v10, 0x7c, v10, vcc_lo
; %bb.1730:
	s_or_b32 exec_lo, exec_lo, s7
	v_lshrrev_b32_e32 v9, 24, v9
	s_delay_alu instid0(VALU_DEP_1)
	v_and_or_b32 v9, 0x80, v9, v10
	global_store_b8 v[3:4], v9, off
.LBB337_1731:
	s_mov_b32 s7, 0
	s_mov_b32 s10, -1
.LBB337_1732:
	s_and_not1_b32 vcc_lo, exec_lo, s7
	s_mov_b32 s7, 0
	s_cbranch_vccnz .LBB337_1739
; %bb.1733:
	v_cmp_gt_i16_e64 s7, s3, 14
	s_delay_alu instid0(VALU_DEP_1)
	s_and_b32 vcc_lo, exec_lo, s7
	s_mov_b32 s7, -1
	s_cbranch_vccz .LBB337_1737
; %bb.1734:
	v_cmp_eq_u16_e64 s0, s3, 15
	s_delay_alu instid0(VALU_DEP_1)
	s_and_b32 vcc_lo, exec_lo, s0
	s_mov_b32 s0, -1
	s_cbranch_vccz .LBB337_1736
; %bb.1735:
	v_cvt_f32_f16_e32 v9, v5
	v_cmp_o_f16_e32 vcc_lo, v5, v5
	s_mov_b32 s0, 0
	s_mov_b32 s10, -1
	s_delay_alu instid0(VALU_DEP_2) | instskip(NEXT) | instid1(VALU_DEP_1)
	v_bfe_u32 v10, v9, 16, 1
	v_add3_u32 v9, v9, v10, 0x7fff
	s_delay_alu instid0(VALU_DEP_1) | instskip(NEXT) | instid1(VALU_DEP_1)
	v_lshrrev_b32_e32 v9, 16, v9
	v_cndmask_b32_e32 v9, 0x7fc0, v9, vcc_lo
	global_store_b16 v[3:4], v9, off
.LBB337_1736:
	s_mov_b32 s7, 0
.LBB337_1737:
	s_delay_alu instid0(SALU_CYCLE_1)
	s_and_b32 vcc_lo, exec_lo, s7
	s_mov_b32 s7, 0
	s_cbranch_vccz .LBB337_1739
; %bb.1738:
	v_cmp_ne_u16_e64 s0, s3, 11
	s_mov_b32 s7, -1
.LBB337_1739:
	s_delay_alu instid0(VALU_DEP_1)
	s_and_b32 vcc_lo, exec_lo, s0
	s_cbranch_vccnz .LBB337_1796
; %bb.1740:
	s_and_not1_b32 vcc_lo, exec_lo, s7
	s_cbranch_vccnz .LBB337_1742
.LBB337_1741:
	v_and_b32_e32 v9, 0x7fff, v5
	s_mov_b32 s10, -1
	s_delay_alu instid0(VALU_DEP_1)
	v_cmp_ne_u16_e32 vcc_lo, 0, v9
	v_cndmask_b32_e64 v9, 0, 1, vcc_lo
	global_store_b8 v[3:4], v9, off
.LBB337_1742:
	s_mov_b32 s0, 0
.LBB337_1743:
	s_delay_alu instid0(SALU_CYCLE_1)
	s_and_b32 vcc_lo, exec_lo, s0
	s_cbranch_vccz .LBB337_1782
; %bb.1744:
	v_cmp_lt_i16_e64 s0, s3, 5
	s_delay_alu instid0(VALU_DEP_1)
	s_and_b32 vcc_lo, exec_lo, s0
	s_mov_b32 s0, -1
	s_cbranch_vccnz .LBB337_1765
; %bb.1745:
	v_cmp_lt_i16_e64 s0, s3, 8
	s_delay_alu instid0(VALU_DEP_1)
	s_and_b32 vcc_lo, exec_lo, s0
	s_mov_b32 s0, -1
	s_cbranch_vccnz .LBB337_1755
	;; [unrolled: 6-line block ×3, first 2 shown]
; %bb.1747:
	v_cmp_gt_i16_e64 s0, s3, 9
	s_delay_alu instid0(VALU_DEP_1)
	s_and_b32 vcc_lo, exec_lo, s0
	s_mov_b32 s0, -1
	s_cbranch_vccz .LBB337_1749
; %bb.1748:
	v_cvt_f32_f16_e32 v9, v5
	v_mov_b32_e32 v11, 0
	s_mov_b32 s0, 0
	s_delay_alu instid0(VALU_DEP_2) | instskip(NEXT) | instid1(VALU_DEP_2)
	v_cvt_f64_f32_e32 v[9:10], v9
	v_mov_b32_e32 v12, v11
	global_store_b128 v[3:4], v[9:12], off
.LBB337_1749:
	s_and_not1_b32 vcc_lo, exec_lo, s0
	s_cbranch_vccnz .LBB337_1751
; %bb.1750:
	v_cvt_f32_f16_e32 v9, v5
	v_mov_b32_e32 v10, 0
	global_store_b64 v[3:4], v[9:10], off
.LBB337_1751:
	s_mov_b32 s0, 0
.LBB337_1752:
	s_delay_alu instid0(SALU_CYCLE_1)
	s_and_not1_b32 vcc_lo, exec_lo, s0
	s_cbranch_vccnz .LBB337_1754
; %bb.1753:
	v_and_b32_e32 v9, 0xffff, v5
	global_store_b32 v[3:4], v9, off
.LBB337_1754:
	s_mov_b32 s0, 0
.LBB337_1755:
	s_delay_alu instid0(SALU_CYCLE_1)
	s_and_not1_b32 vcc_lo, exec_lo, s0
	s_cbranch_vccnz .LBB337_1764
; %bb.1756:
	v_cmp_lt_i16_e64 s0, s3, 6
	s_delay_alu instid0(VALU_DEP_1)
	s_and_b32 vcc_lo, exec_lo, s0
	s_mov_b32 s0, -1
	s_cbranch_vccnz .LBB337_1762
; %bb.1757:
	v_cmp_gt_i16_e64 s0, s3, 6
	s_delay_alu instid0(VALU_DEP_1)
	s_and_b32 vcc_lo, exec_lo, s0
	s_mov_b32 s0, -1
	s_cbranch_vccz .LBB337_1759
; %bb.1758:
	v_cvt_f32_f16_e32 v9, v5
	s_mov_b32 s0, 0
	s_delay_alu instid0(VALU_DEP_1)
	v_cvt_f64_f32_e32 v[9:10], v9
	global_store_b64 v[3:4], v[9:10], off
.LBB337_1759:
	s_and_not1_b32 vcc_lo, exec_lo, s0
	s_cbranch_vccnz .LBB337_1761
; %bb.1760:
	v_cvt_f32_f16_e32 v9, v5
	global_store_b32 v[3:4], v9, off
.LBB337_1761:
	s_mov_b32 s0, 0
.LBB337_1762:
	s_delay_alu instid0(SALU_CYCLE_1)
	s_and_not1_b32 vcc_lo, exec_lo, s0
	s_cbranch_vccnz .LBB337_1764
; %bb.1763:
	global_store_b16 v[3:4], v5, off
.LBB337_1764:
	s_mov_b32 s0, 0
.LBB337_1765:
	s_delay_alu instid0(SALU_CYCLE_1)
	s_and_not1_b32 vcc_lo, exec_lo, s0
	s_cbranch_vccnz .LBB337_1781
; %bb.1766:
	v_cmp_lt_i16_e64 s0, s3, 2
	s_delay_alu instid0(VALU_DEP_1)
	s_and_b32 vcc_lo, exec_lo, s0
	s_mov_b32 s0, -1
	s_cbranch_vccnz .LBB337_1776
; %bb.1767:
	v_cmp_lt_i16_e64 s0, s3, 3
	s_delay_alu instid0(VALU_DEP_1)
	s_and_b32 vcc_lo, exec_lo, s0
	s_mov_b32 s0, -1
	s_cbranch_vccnz .LBB337_1773
; %bb.1768:
	v_cmp_gt_i16_e64 s0, s3, 3
	s_delay_alu instid0(VALU_DEP_1)
	s_and_b32 vcc_lo, exec_lo, s0
	s_mov_b32 s0, -1
	s_cbranch_vccz .LBB337_1770
; %bb.1769:
	v_cvt_f32_f16_e32 v9, v5
	s_mov_b32 s0, 0
	s_delay_alu instid0(VALU_DEP_1) | instskip(NEXT) | instid1(VALU_DEP_1)
	v_cvt_i32_f32_e32 v9, v9
	v_ashrrev_i32_e32 v10, 31, v9
	global_store_b64 v[3:4], v[9:10], off
.LBB337_1770:
	s_and_not1_b32 vcc_lo, exec_lo, s0
	s_cbranch_vccnz .LBB337_1772
; %bb.1771:
	v_cvt_f32_f16_e32 v9, v5
	s_delay_alu instid0(VALU_DEP_1)
	v_cvt_i32_f32_e32 v9, v9
	global_store_b32 v[3:4], v9, off
.LBB337_1772:
	s_mov_b32 s0, 0
.LBB337_1773:
	s_delay_alu instid0(SALU_CYCLE_1)
	s_and_not1_b32 vcc_lo, exec_lo, s0
	s_cbranch_vccnz .LBB337_1775
; %bb.1774:
	v_cvt_i16_f16_e32 v9, v5
	global_store_b16 v[3:4], v9, off
.LBB337_1775:
	s_mov_b32 s0, 0
.LBB337_1776:
	s_delay_alu instid0(SALU_CYCLE_1)
	s_and_not1_b32 vcc_lo, exec_lo, s0
	s_cbranch_vccnz .LBB337_1781
; %bb.1777:
	v_cmp_gt_i16_e64 s0, s3, 0
	s_delay_alu instid0(VALU_DEP_1)
	s_and_b32 vcc_lo, exec_lo, s0
	s_mov_b32 s0, -1
	s_cbranch_vccz .LBB337_1779
; %bb.1778:
	v_cvt_i16_f16_e32 v9, v5
	s_mov_b32 s0, 0
	global_store_b8 v[3:4], v9, off
.LBB337_1779:
	s_and_not1_b32 vcc_lo, exec_lo, s0
	s_cbranch_vccnz .LBB337_1781
; %bb.1780:
	v_cvt_f32_f16_e32 v5, v5
	s_delay_alu instid0(VALU_DEP_1)
	v_cvt_i32_f32_e32 v5, v5
	global_store_b8 v[3:4], v5, off
.LBB337_1781:
	s_mov_b32 s10, -1
.LBB337_1782:
	s_delay_alu instid0(SALU_CYCLE_1)
	s_and_not1_b32 vcc_lo, exec_lo, s10
	s_cbranch_vccnz .LBB337_2049
; %bb.1783:
	s_waitcnt vmcnt(0)
	v_cmp_lt_f16_e32 vcc_lo, s2, v8
	v_cmp_lt_i16_e64 s0, s3, 11
	v_add_co_u32 v2, s7, s4, v2
	s_mov_b32 s10, 0
	v_cndmask_b32_e32 v3, s2, v8, vcc_lo
	s_delay_alu instid0(VALU_DEP_1) | instskip(SKIP_2) | instid1(VALU_DEP_2)
	v_cmp_gt_f16_e32 vcc_lo, s6, v3
	v_cndmask_b32_e32 v3, s6, v3, vcc_lo
	v_cmp_u_f16_e32 vcc_lo, v8, v8
	v_cndmask_b32_e32 v4, v3, v8, vcc_lo
	v_add_co_ci_u32_e64 v3, null, s5, 0, s7
	s_and_b32 vcc_lo, exec_lo, s0
	s_mov_b32 s0, -1
	s_cbranch_vccnz .LBB337_1872
; %bb.1784:
	v_cmp_gt_i16_e64 s0, s3, 25
	s_mov_b32 s11, -1
	s_mov_b32 s7, 0
	s_delay_alu instid0(VALU_DEP_1)
	s_and_b32 vcc_lo, exec_lo, s0
	s_mov_b32 s0, 0
	s_cbranch_vccz .LBB337_1828
; %bb.1785:
	v_cmp_gt_i16_e64 s0, s3, 28
	s_delay_alu instid0(VALU_DEP_1)
	s_and_b32 vcc_lo, exec_lo, s0
	s_cbranch_vccz .LBB337_1790
; %bb.1786:
	v_cmp_gt_i16_e64 s0, s3, 43
	s_delay_alu instid0(VALU_DEP_1)
	s_and_b32 vcc_lo, exec_lo, s0
	;; [unrolled: 5-line block ×3, first 2 shown]
	s_cbranch_vccz .LBB337_1800
; %bb.1788:
	v_cmp_eq_u16_e64 s10, s3, 46
	s_mov_b32 s0, -1
	s_mov_b32 s11, 0
	s_delay_alu instid0(VALU_DEP_1)
	s_and_b32 vcc_lo, exec_lo, s10
	s_mov_b32 s10, 0
	s_cbranch_vccz .LBB337_1801
; %bb.1789:
	v_cvt_f32_f16_e32 v5, v4
	v_cmp_o_f16_e32 vcc_lo, v4, v4
	s_mov_b32 s0, 0
	s_mov_b32 s10, -1
	s_delay_alu instid0(VALU_DEP_2) | instskip(NEXT) | instid1(VALU_DEP_1)
	v_bfe_u32 v8, v5, 16, 1
	v_add3_u32 v5, v5, v8, 0x7fff
	s_delay_alu instid0(VALU_DEP_1) | instskip(NEXT) | instid1(VALU_DEP_1)
	v_lshrrev_b32_e32 v5, 16, v5
	v_cndmask_b32_e32 v5, 0x7fc0, v5, vcc_lo
	global_store_b32 v[2:3], v5, off
	s_branch .LBB337_1801
.LBB337_1790:
	s_mov_b32 s0, 0
	s_branch .LBB337_1811
.LBB337_1791:
	s_or_saveexec_b32 s12, s12
                                        ; implicit-def: $sgpr13
	s_delay_alu instid0(SALU_CYCLE_1)
	s_xor_b32 exec_lo, exec_lo, s12
	s_cbranch_execz .LBB337_1693
.LBB337_1792:
	v_add_f32_e64 v10, 0x46000000, |v9|
	s_and_not1_b32 s11, s11, exec_lo
	s_mov_b32 s13, 0
	s_delay_alu instid0(VALU_DEP_1) | instskip(NEXT) | instid1(VALU_DEP_1)
	v_and_b32_e32 v10, 0xff, v10
	v_cmp_ne_u32_e32 vcc_lo, 0, v10
	s_and_b32 s14, vcc_lo, exec_lo
	s_delay_alu instid0(SALU_CYCLE_1)
	s_or_b32 s11, s11, s14
	s_or_b32 exec_lo, exec_lo, s12
	v_mov_b32_e32 v11, s13
	s_and_saveexec_b32 s12, s11
	s_cbranch_execnz .LBB337_1694
	s_branch .LBB337_1695
.LBB337_1793:
	s_mov_b32 s0, 0
	s_branch .LBB337_1807
.LBB337_1794:
	s_trap 2
	s_sendmsg_rtn_b32 s0, sendmsg(MSG_RTN_GET_DOORBELL)
	s_mov_b32 ttmp2, m0
	s_waitcnt lgkmcnt(0)
	s_and_b32 s0, s0, 0x3ff
	s_delay_alu instid0(SALU_CYCLE_1) | instskip(NEXT) | instid1(SALU_CYCLE_1)
	s_bitset1_b32 s0, 10
	s_mov_b32 m0, s0
	s_sendmsg sendmsg(MSG_INTERRUPT)
	s_mov_b32 m0, ttmp2
.LBB337_1795:                           ; =>This Inner Loop Header: Depth=1
	s_sethalt 5
	s_branch .LBB337_1795
.LBB337_1796:
	s_cbranch_execnz .LBB337_1923
; %bb.1797:
	s_or_b32 s1, s1, exec_lo
	s_cbranch_execz .LBB337_1741
	s_branch .LBB337_1742
.LBB337_1798:
	s_or_saveexec_b32 s11, s11
                                        ; implicit-def: $sgpr12
	s_delay_alu instid0(SALU_CYCLE_1)
	s_xor_b32 exec_lo, exec_lo, s11
	s_cbranch_execz .LBB337_1706
.LBB337_1799:
	v_add_f32_e64 v10, 0x42800000, |v9|
	s_and_not1_b32 s10, s10, exec_lo
	s_mov_b32 s12, 0
	s_delay_alu instid0(VALU_DEP_1) | instskip(NEXT) | instid1(VALU_DEP_1)
	v_and_b32_e32 v10, 0xff, v10
	v_cmp_ne_u32_e32 vcc_lo, 0, v10
	s_and_b32 s13, vcc_lo, exec_lo
	s_delay_alu instid0(SALU_CYCLE_1)
	s_or_b32 s10, s10, s13
	s_or_b32 exec_lo, exec_lo, s11
	v_mov_b32_e32 v11, s12
	s_and_saveexec_b32 s11, s10
	s_cbranch_execnz .LBB337_1707
	s_branch .LBB337_1708
.LBB337_1800:
	s_mov_b32 s0, 0
.LBB337_1801:
	s_and_b32 vcc_lo, exec_lo, s11
	s_cbranch_vccz .LBB337_1806
; %bb.1802:
	v_cmp_eq_u16_e64 s0, s3, 44
	s_delay_alu instid0(VALU_DEP_1)
	s_and_b32 vcc_lo, exec_lo, s0
	s_mov_b32 s0, -1
	s_cbranch_vccz .LBB337_1806
; %bb.1803:
	v_cvt_f32_f16_e32 v5, v4
	v_mov_b32_e32 v8, 0xff
	s_mov_b32 s10, exec_lo
	s_delay_alu instid0(VALU_DEP_2) | instskip(NEXT) | instid1(VALU_DEP_1)
	v_bfe_u32 v9, v5, 23, 8
	v_cmpx_ne_u32_e32 0xff, v9
; %bb.1804:
	v_and_b32_e32 v8, 0x400000, v5
	v_and_or_b32 v9, 0x3fffff, v5, v9
	v_lshrrev_b32_e32 v5, 23, v5
	s_delay_alu instid0(VALU_DEP_3) | instskip(NEXT) | instid1(VALU_DEP_3)
	v_cmp_ne_u32_e32 vcc_lo, 0, v8
	v_cmp_ne_u32_e64 s0, 0, v9
	s_delay_alu instid0(VALU_DEP_1) | instskip(NEXT) | instid1(SALU_CYCLE_1)
	s_and_b32 s0, vcc_lo, s0
	v_cndmask_b32_e64 v8, 0, 1, s0
	s_delay_alu instid0(VALU_DEP_1)
	v_add_nc_u32_e32 v8, v5, v8
; %bb.1805:
	s_or_b32 exec_lo, exec_lo, s10
	s_mov_b32 s0, 0
	s_mov_b32 s10, -1
	global_store_b8 v[2:3], v8, off
.LBB337_1806:
	s_mov_b32 s11, 0
.LBB337_1807:
	s_delay_alu instid0(SALU_CYCLE_1)
	s_and_b32 vcc_lo, exec_lo, s11
	s_cbranch_vccz .LBB337_1810
; %bb.1808:
	v_cmp_eq_u16_e64 s0, s3, 29
	s_delay_alu instid0(VALU_DEP_1)
	s_and_b32 vcc_lo, exec_lo, s0
	s_mov_b32 s0, -1
	s_cbranch_vccz .LBB337_1810
; %bb.1809:
	v_cvt_f32_f16_e32 v5, v4
	v_mov_b32_e32 v9, 0
	s_mov_b32 s0, 0
	s_mov_b32 s10, -1
	s_mov_b32 s11, 0
	v_cvt_u32_f32_e32 v8, v5
	global_store_b64 v[2:3], v[8:9], off
	s_branch .LBB337_1811
.LBB337_1810:
	s_mov_b32 s11, 0
.LBB337_1811:
	s_delay_alu instid0(SALU_CYCLE_1)
	s_and_b32 vcc_lo, exec_lo, s11
	s_cbranch_vccz .LBB337_1827
; %bb.1812:
	v_cmp_lt_i16_e64 s10, s3, 27
	s_delay_alu instid0(VALU_DEP_1)
	s_and_b32 vcc_lo, exec_lo, s10
	s_mov_b32 s10, -1
	s_cbranch_vccnz .LBB337_1818
; %bb.1813:
	v_cmp_gt_i16_e64 s10, s3, 27
	s_delay_alu instid0(VALU_DEP_1)
	s_and_b32 vcc_lo, exec_lo, s10
	s_mov_b32 s10, -1
	s_cbranch_vccz .LBB337_1815
; %bb.1814:
	v_cvt_f32_f16_e32 v5, v4
	s_mov_b32 s10, 0
	s_delay_alu instid0(VALU_DEP_1)
	v_cvt_u32_f32_e32 v5, v5
	global_store_b32 v[2:3], v5, off
.LBB337_1815:
	s_and_not1_b32 vcc_lo, exec_lo, s10
	s_cbranch_vccnz .LBB337_1817
; %bb.1816:
	v_cvt_u16_f16_e32 v5, v4
	global_store_b16 v[2:3], v5, off
.LBB337_1817:
	s_mov_b32 s10, 0
.LBB337_1818:
	s_delay_alu instid0(SALU_CYCLE_1)
	s_and_not1_b32 vcc_lo, exec_lo, s10
	s_cbranch_vccnz .LBB337_1826
; %bb.1819:
	v_cvt_f32_f16_e32 v5, v4
	v_mov_b32_e32 v9, 0x80
	s_mov_b32 s10, exec_lo
	s_delay_alu instid0(VALU_DEP_2) | instskip(NEXT) | instid1(VALU_DEP_1)
	v_and_b32_e32 v8, 0x7fffffff, v5
	v_cmpx_gt_u32_e32 0x43800000, v8
	s_cbranch_execz .LBB337_1825
; %bb.1820:
	v_cmp_lt_u32_e32 vcc_lo, 0x3bffffff, v8
	s_mov_b32 s11, 0
                                        ; implicit-def: $vgpr8
	s_and_saveexec_b32 s12, vcc_lo
	s_delay_alu instid0(SALU_CYCLE_1)
	s_xor_b32 s12, exec_lo, s12
	s_cbranch_execz .LBB337_1920
; %bb.1821:
	v_bfe_u32 v8, v5, 20, 1
	s_mov_b32 s11, exec_lo
	s_delay_alu instid0(VALU_DEP_1) | instskip(NEXT) | instid1(VALU_DEP_1)
	v_add3_u32 v8, v5, v8, 0x487ffff
	v_lshrrev_b32_e32 v8, 20, v8
	s_or_saveexec_b32 s12, s12
                                        ; implicit-def: $sgpr13
	s_delay_alu instid0(SALU_CYCLE_1)
	s_xor_b32 exec_lo, exec_lo, s12
	s_cbranch_execnz .LBB337_1921
.LBB337_1822:
	s_or_b32 exec_lo, exec_lo, s12
	v_mov_b32_e32 v9, s13
	s_and_saveexec_b32 s12, s11
.LBB337_1823:
	v_lshrrev_b32_e32 v5, 24, v5
	s_delay_alu instid0(VALU_DEP_1)
	v_and_or_b32 v9, 0x80, v5, v8
.LBB337_1824:
	s_or_b32 exec_lo, exec_lo, s12
.LBB337_1825:
	s_delay_alu instid0(SALU_CYCLE_1)
	s_or_b32 exec_lo, exec_lo, s10
	global_store_b8 v[2:3], v9, off
.LBB337_1826:
	s_mov_b32 s10, -1
.LBB337_1827:
	s_mov_b32 s11, 0
.LBB337_1828:
	s_delay_alu instid0(SALU_CYCLE_1)
	s_and_b32 vcc_lo, exec_lo, s11
	s_cbranch_vccz .LBB337_1868
; %bb.1829:
	v_cmp_gt_i16_e64 s7, s3, 22
	s_delay_alu instid0(VALU_DEP_1)
	s_and_b32 vcc_lo, exec_lo, s7
	s_mov_b32 s7, -1
	s_cbranch_vccz .LBB337_1861
; %bb.1830:
	v_cmp_lt_i16_e64 s7, s3, 24
	s_delay_alu instid0(VALU_DEP_1)
	s_and_b32 vcc_lo, exec_lo, s7
	s_mov_b32 s7, -1
	s_cbranch_vccnz .LBB337_1850
; %bb.1831:
	v_cmp_gt_i16_e64 s7, s3, 24
	s_delay_alu instid0(VALU_DEP_1)
	s_and_b32 vcc_lo, exec_lo, s7
	s_mov_b32 s7, -1
	s_cbranch_vccz .LBB337_1839
; %bb.1832:
	v_cvt_f32_f16_e32 v5, v4
	v_mov_b32_e32 v9, 0x80
	s_mov_b32 s7, exec_lo
	s_delay_alu instid0(VALU_DEP_2) | instskip(NEXT) | instid1(VALU_DEP_1)
	v_and_b32_e32 v8, 0x7fffffff, v5
	v_cmpx_gt_u32_e32 0x47800000, v8
	s_cbranch_execz .LBB337_1838
; %bb.1833:
	v_cmp_lt_u32_e32 vcc_lo, 0x37ffffff, v8
	s_mov_b32 s10, 0
                                        ; implicit-def: $vgpr8
	s_and_saveexec_b32 s11, vcc_lo
	s_delay_alu instid0(SALU_CYCLE_1)
	s_xor_b32 s11, exec_lo, s11
	s_cbranch_execz .LBB337_1927
; %bb.1834:
	v_bfe_u32 v8, v5, 21, 1
	s_mov_b32 s10, exec_lo
	s_delay_alu instid0(VALU_DEP_1) | instskip(NEXT) | instid1(VALU_DEP_1)
	v_add3_u32 v8, v5, v8, 0x88fffff
	v_lshrrev_b32_e32 v8, 21, v8
	s_or_saveexec_b32 s11, s11
                                        ; implicit-def: $sgpr12
	s_delay_alu instid0(SALU_CYCLE_1)
	s_xor_b32 exec_lo, exec_lo, s11
	s_cbranch_execnz .LBB337_1928
.LBB337_1835:
	s_or_b32 exec_lo, exec_lo, s11
	v_mov_b32_e32 v9, s12
	s_and_saveexec_b32 s11, s10
.LBB337_1836:
	v_lshrrev_b32_e32 v5, 24, v5
	s_delay_alu instid0(VALU_DEP_1)
	v_and_or_b32 v9, 0x80, v5, v8
.LBB337_1837:
	s_or_b32 exec_lo, exec_lo, s11
.LBB337_1838:
	s_delay_alu instid0(SALU_CYCLE_1)
	s_or_b32 exec_lo, exec_lo, s7
	s_mov_b32 s7, 0
	global_store_b8 v[2:3], v9, off
.LBB337_1839:
	s_and_b32 vcc_lo, exec_lo, s7
	s_cbranch_vccz .LBB337_1849
; %bb.1840:
	v_cvt_f32_f16_e32 v5, v4
	s_mov_b32 s7, exec_lo
                                        ; implicit-def: $vgpr8
	s_delay_alu instid0(VALU_DEP_1) | instskip(NEXT) | instid1(VALU_DEP_1)
	v_and_b32_e32 v9, 0x7fffffff, v5
	v_cmpx_gt_u32_e32 0x43f00000, v9
	s_xor_b32 s7, exec_lo, s7
	s_cbranch_execz .LBB337_1846
; %bb.1841:
	s_mov_b32 s10, exec_lo
                                        ; implicit-def: $vgpr8
	v_cmpx_lt_u32_e32 0x3c7fffff, v9
	s_xor_b32 s10, exec_lo, s10
; %bb.1842:
	v_bfe_u32 v8, v5, 20, 1
	s_delay_alu instid0(VALU_DEP_1) | instskip(NEXT) | instid1(VALU_DEP_1)
	v_add3_u32 v8, v5, v8, 0x407ffff
	v_and_b32_e32 v9, 0xff00000, v8
	v_lshrrev_b32_e32 v8, 20, v8
	s_delay_alu instid0(VALU_DEP_2) | instskip(NEXT) | instid1(VALU_DEP_2)
	v_cmp_ne_u32_e32 vcc_lo, 0x7f00000, v9
	v_cndmask_b32_e32 v8, 0x7e, v8, vcc_lo
; %bb.1843:
	s_and_not1_saveexec_b32 s10, s10
; %bb.1844:
	v_add_f32_e64 v8, 0x46800000, |v5|
; %bb.1845:
	s_or_b32 exec_lo, exec_lo, s10
                                        ; implicit-def: $vgpr9
.LBB337_1846:
	s_and_not1_saveexec_b32 s7, s7
; %bb.1847:
	v_mov_b32_e32 v8, 0x7f
	v_cmp_lt_u32_e32 vcc_lo, 0x7f800000, v9
	s_delay_alu instid0(VALU_DEP_2)
	v_cndmask_b32_e32 v8, 0x7e, v8, vcc_lo
; %bb.1848:
	s_or_b32 exec_lo, exec_lo, s7
	v_lshrrev_b32_e32 v5, 24, v5
	s_delay_alu instid0(VALU_DEP_1)
	v_and_or_b32 v5, 0x80, v5, v8
	global_store_b8 v[2:3], v5, off
.LBB337_1849:
	s_mov_b32 s7, 0
.LBB337_1850:
	s_delay_alu instid0(SALU_CYCLE_1)
	s_and_not1_b32 vcc_lo, exec_lo, s7
	s_cbranch_vccnz .LBB337_1860
; %bb.1851:
	v_cvt_f32_f16_e32 v5, v4
	s_mov_b32 s7, exec_lo
                                        ; implicit-def: $vgpr8
	s_delay_alu instid0(VALU_DEP_1) | instskip(NEXT) | instid1(VALU_DEP_1)
	v_and_b32_e32 v9, 0x7fffffff, v5
	v_cmpx_gt_u32_e32 0x47800000, v9
	s_xor_b32 s7, exec_lo, s7
	s_cbranch_execz .LBB337_1857
; %bb.1852:
	s_mov_b32 s10, exec_lo
                                        ; implicit-def: $vgpr8
	v_cmpx_lt_u32_e32 0x387fffff, v9
	s_xor_b32 s10, exec_lo, s10
; %bb.1853:
	v_bfe_u32 v8, v5, 21, 1
	s_delay_alu instid0(VALU_DEP_1) | instskip(NEXT) | instid1(VALU_DEP_1)
	v_add3_u32 v8, v5, v8, 0x80fffff
	v_lshrrev_b32_e32 v8, 21, v8
; %bb.1854:
	s_and_not1_saveexec_b32 s10, s10
; %bb.1855:
	v_add_f32_e64 v8, 0x43000000, |v5|
; %bb.1856:
	s_or_b32 exec_lo, exec_lo, s10
                                        ; implicit-def: $vgpr9
.LBB337_1857:
	s_and_not1_saveexec_b32 s7, s7
; %bb.1858:
	v_mov_b32_e32 v8, 0x7f
	v_cmp_lt_u32_e32 vcc_lo, 0x7f800000, v9
	s_delay_alu instid0(VALU_DEP_2)
	v_cndmask_b32_e32 v8, 0x7c, v8, vcc_lo
; %bb.1859:
	s_or_b32 exec_lo, exec_lo, s7
	v_lshrrev_b32_e32 v5, 24, v5
	s_delay_alu instid0(VALU_DEP_1)
	v_and_or_b32 v5, 0x80, v5, v8
	global_store_b8 v[2:3], v5, off
.LBB337_1860:
	s_mov_b32 s7, 0
	s_mov_b32 s10, -1
.LBB337_1861:
	s_and_not1_b32 vcc_lo, exec_lo, s7
	s_mov_b32 s7, 0
	s_cbranch_vccnz .LBB337_1868
; %bb.1862:
	v_cmp_gt_i16_e64 s7, s3, 14
	s_delay_alu instid0(VALU_DEP_1)
	s_and_b32 vcc_lo, exec_lo, s7
	s_mov_b32 s7, -1
	s_cbranch_vccz .LBB337_1866
; %bb.1863:
	v_cmp_eq_u16_e64 s0, s3, 15
	s_delay_alu instid0(VALU_DEP_1)
	s_and_b32 vcc_lo, exec_lo, s0
	s_mov_b32 s0, -1
	s_cbranch_vccz .LBB337_1865
; %bb.1864:
	v_cvt_f32_f16_e32 v5, v4
	v_cmp_o_f16_e32 vcc_lo, v4, v4
	s_mov_b32 s0, 0
	s_mov_b32 s10, -1
	s_delay_alu instid0(VALU_DEP_2) | instskip(NEXT) | instid1(VALU_DEP_1)
	v_bfe_u32 v8, v5, 16, 1
	v_add3_u32 v5, v5, v8, 0x7fff
	s_delay_alu instid0(VALU_DEP_1) | instskip(NEXT) | instid1(VALU_DEP_1)
	v_lshrrev_b32_e32 v5, 16, v5
	v_cndmask_b32_e32 v5, 0x7fc0, v5, vcc_lo
	global_store_b16 v[2:3], v5, off
.LBB337_1865:
	s_mov_b32 s7, 0
.LBB337_1866:
	s_delay_alu instid0(SALU_CYCLE_1)
	s_and_b32 vcc_lo, exec_lo, s7
	s_mov_b32 s7, 0
	s_cbranch_vccz .LBB337_1868
; %bb.1867:
	v_cmp_ne_u16_e64 s0, s3, 11
	s_mov_b32 s7, -1
.LBB337_1868:
	s_delay_alu instid0(VALU_DEP_1)
	s_and_b32 vcc_lo, exec_lo, s0
	s_cbranch_vccnz .LBB337_1925
; %bb.1869:
	s_and_not1_b32 vcc_lo, exec_lo, s7
	s_cbranch_vccnz .LBB337_1871
.LBB337_1870:
	v_and_b32_e32 v5, 0x7fff, v4
	s_mov_b32 s10, -1
	s_delay_alu instid0(VALU_DEP_1)
	v_cmp_ne_u16_e32 vcc_lo, 0, v5
	v_cndmask_b32_e64 v5, 0, 1, vcc_lo
	global_store_b8 v[2:3], v5, off
.LBB337_1871:
	s_mov_b32 s0, 0
.LBB337_1872:
	s_delay_alu instid0(SALU_CYCLE_1)
	s_and_b32 vcc_lo, exec_lo, s0
	s_cbranch_vccz .LBB337_1911
; %bb.1873:
	v_cmp_lt_i16_e64 s0, s3, 5
	s_delay_alu instid0(VALU_DEP_1)
	s_and_b32 vcc_lo, exec_lo, s0
	s_mov_b32 s0, -1
	s_cbranch_vccnz .LBB337_1894
; %bb.1874:
	v_cmp_lt_i16_e64 s0, s3, 8
	s_delay_alu instid0(VALU_DEP_1)
	s_and_b32 vcc_lo, exec_lo, s0
	s_mov_b32 s0, -1
	s_cbranch_vccnz .LBB337_1884
	;; [unrolled: 6-line block ×3, first 2 shown]
; %bb.1876:
	v_cmp_gt_i16_e64 s0, s3, 9
	s_delay_alu instid0(VALU_DEP_1)
	s_and_b32 vcc_lo, exec_lo, s0
	s_mov_b32 s0, -1
	s_cbranch_vccz .LBB337_1878
; %bb.1877:
	v_cvt_f32_f16_e32 v5, v4
	v_mov_b32_e32 v10, 0
	s_mov_b32 s0, 0
	s_delay_alu instid0(VALU_DEP_2) | instskip(NEXT) | instid1(VALU_DEP_2)
	v_cvt_f64_f32_e32 v[8:9], v5
	v_mov_b32_e32 v11, v10
	global_store_b128 v[2:3], v[8:11], off
.LBB337_1878:
	s_and_not1_b32 vcc_lo, exec_lo, s0
	s_cbranch_vccnz .LBB337_1880
; %bb.1879:
	v_cvt_f32_f16_e32 v8, v4
	v_mov_b32_e32 v9, 0
	global_store_b64 v[2:3], v[8:9], off
.LBB337_1880:
	s_mov_b32 s0, 0
.LBB337_1881:
	s_delay_alu instid0(SALU_CYCLE_1)
	s_and_not1_b32 vcc_lo, exec_lo, s0
	s_cbranch_vccnz .LBB337_1883
; %bb.1882:
	v_and_b32_e32 v5, 0xffff, v4
	global_store_b32 v[2:3], v5, off
.LBB337_1883:
	s_mov_b32 s0, 0
.LBB337_1884:
	s_delay_alu instid0(SALU_CYCLE_1)
	s_and_not1_b32 vcc_lo, exec_lo, s0
	s_cbranch_vccnz .LBB337_1893
; %bb.1885:
	v_cmp_lt_i16_e64 s0, s3, 6
	s_delay_alu instid0(VALU_DEP_1)
	s_and_b32 vcc_lo, exec_lo, s0
	s_mov_b32 s0, -1
	s_cbranch_vccnz .LBB337_1891
; %bb.1886:
	v_cmp_gt_i16_e64 s0, s3, 6
	s_delay_alu instid0(VALU_DEP_1)
	s_and_b32 vcc_lo, exec_lo, s0
	s_mov_b32 s0, -1
	s_cbranch_vccz .LBB337_1888
; %bb.1887:
	v_cvt_f32_f16_e32 v5, v4
	s_mov_b32 s0, 0
	s_delay_alu instid0(VALU_DEP_1)
	v_cvt_f64_f32_e32 v[8:9], v5
	global_store_b64 v[2:3], v[8:9], off
.LBB337_1888:
	s_and_not1_b32 vcc_lo, exec_lo, s0
	s_cbranch_vccnz .LBB337_1890
; %bb.1889:
	v_cvt_f32_f16_e32 v5, v4
	global_store_b32 v[2:3], v5, off
.LBB337_1890:
	s_mov_b32 s0, 0
.LBB337_1891:
	s_delay_alu instid0(SALU_CYCLE_1)
	s_and_not1_b32 vcc_lo, exec_lo, s0
	s_cbranch_vccnz .LBB337_1893
; %bb.1892:
	global_store_b16 v[2:3], v4, off
.LBB337_1893:
	s_mov_b32 s0, 0
.LBB337_1894:
	s_delay_alu instid0(SALU_CYCLE_1)
	s_and_not1_b32 vcc_lo, exec_lo, s0
	s_cbranch_vccnz .LBB337_1910
; %bb.1895:
	v_cmp_lt_i16_e64 s0, s3, 2
	s_delay_alu instid0(VALU_DEP_1)
	s_and_b32 vcc_lo, exec_lo, s0
	s_mov_b32 s0, -1
	s_cbranch_vccnz .LBB337_1905
; %bb.1896:
	v_cmp_lt_i16_e64 s0, s3, 3
	s_delay_alu instid0(VALU_DEP_1)
	s_and_b32 vcc_lo, exec_lo, s0
	s_mov_b32 s0, -1
	s_cbranch_vccnz .LBB337_1902
; %bb.1897:
	v_cmp_gt_i16_e64 s0, s3, 3
	s_delay_alu instid0(VALU_DEP_1)
	s_and_b32 vcc_lo, exec_lo, s0
	s_mov_b32 s0, -1
	s_cbranch_vccz .LBB337_1899
; %bb.1898:
	v_cvt_f32_f16_e32 v5, v4
	s_mov_b32 s0, 0
	s_delay_alu instid0(VALU_DEP_1) | instskip(NEXT) | instid1(VALU_DEP_1)
	v_cvt_i32_f32_e32 v8, v5
	v_ashrrev_i32_e32 v9, 31, v8
	global_store_b64 v[2:3], v[8:9], off
.LBB337_1899:
	s_and_not1_b32 vcc_lo, exec_lo, s0
	s_cbranch_vccnz .LBB337_1901
; %bb.1900:
	v_cvt_f32_f16_e32 v5, v4
	s_delay_alu instid0(VALU_DEP_1)
	v_cvt_i32_f32_e32 v5, v5
	global_store_b32 v[2:3], v5, off
.LBB337_1901:
	s_mov_b32 s0, 0
.LBB337_1902:
	s_delay_alu instid0(SALU_CYCLE_1)
	s_and_not1_b32 vcc_lo, exec_lo, s0
	s_cbranch_vccnz .LBB337_1904
; %bb.1903:
	v_cvt_i16_f16_e32 v5, v4
	global_store_b16 v[2:3], v5, off
.LBB337_1904:
	s_mov_b32 s0, 0
.LBB337_1905:
	s_delay_alu instid0(SALU_CYCLE_1)
	s_and_not1_b32 vcc_lo, exec_lo, s0
	s_cbranch_vccnz .LBB337_1910
; %bb.1906:
	v_cmp_gt_i16_e64 s0, s3, 0
	s_delay_alu instid0(VALU_DEP_1)
	s_and_b32 vcc_lo, exec_lo, s0
	s_mov_b32 s0, -1
	s_cbranch_vccz .LBB337_1908
; %bb.1907:
	v_cvt_i16_f16_e32 v5, v4
	s_mov_b32 s0, 0
	global_store_b8 v[2:3], v5, off
.LBB337_1908:
	s_and_not1_b32 vcc_lo, exec_lo, s0
	s_cbranch_vccnz .LBB337_1910
; %bb.1909:
	v_cvt_f32_f16_e32 v4, v4
	s_delay_alu instid0(VALU_DEP_1)
	v_cvt_i32_f32_e32 v4, v4
	global_store_b8 v[2:3], v4, off
.LBB337_1910:
	s_mov_b32 s10, -1
.LBB337_1911:
	s_delay_alu instid0(SALU_CYCLE_1)
	s_and_not1_b32 vcc_lo, exec_lo, s10
	s_cbranch_vccnz .LBB337_2049
; %bb.1912:
	v_cmp_lt_f16_e32 vcc_lo, s2, v7
	v_cmp_lt_i16_e64 s0, s3, 11
	v_add_co_u32 v1, s7, s4, v1
	s_mov_b32 s10, 0
	v_cndmask_b32_e32 v2, s2, v7, vcc_lo
	s_delay_alu instid0(VALU_DEP_1) | instskip(SKIP_2) | instid1(VALU_DEP_2)
	v_cmp_gt_f16_e32 vcc_lo, s6, v2
	v_cndmask_b32_e32 v2, s6, v2, vcc_lo
	v_cmp_u_f16_e32 vcc_lo, v7, v7
	v_cndmask_b32_e32 v3, v2, v7, vcc_lo
	v_add_co_ci_u32_e64 v2, null, s5, 0, s7
	s_and_b32 vcc_lo, exec_lo, s0
	s_mov_b32 s0, -1
	s_cbranch_vccnz .LBB337_2001
; %bb.1913:
	v_cmp_gt_i16_e64 s0, s3, 25
	s_mov_b32 s11, -1
	s_mov_b32 s7, 0
	s_delay_alu instid0(VALU_DEP_1)
	s_and_b32 vcc_lo, exec_lo, s0
	s_mov_b32 s0, 0
	s_cbranch_vccz .LBB337_1957
; %bb.1914:
	v_cmp_gt_i16_e64 s0, s3, 28
	s_delay_alu instid0(VALU_DEP_1)
	s_and_b32 vcc_lo, exec_lo, s0
	s_cbranch_vccz .LBB337_1919
; %bb.1915:
	v_cmp_gt_i16_e64 s0, s3, 43
	s_delay_alu instid0(VALU_DEP_1)
	s_and_b32 vcc_lo, exec_lo, s0
	;; [unrolled: 5-line block ×3, first 2 shown]
	s_cbranch_vccz .LBB337_1929
; %bb.1917:
	v_cmp_eq_u16_e64 s10, s3, 46
	s_mov_b32 s0, -1
	s_mov_b32 s11, 0
	s_delay_alu instid0(VALU_DEP_1)
	s_and_b32 vcc_lo, exec_lo, s10
	s_mov_b32 s10, 0
	s_cbranch_vccz .LBB337_1930
; %bb.1918:
	v_cvt_f32_f16_e32 v4, v3
	v_cmp_o_f16_e32 vcc_lo, v3, v3
	s_mov_b32 s0, 0
	s_mov_b32 s10, -1
	s_delay_alu instid0(VALU_DEP_2) | instskip(NEXT) | instid1(VALU_DEP_1)
	v_bfe_u32 v5, v4, 16, 1
	v_add3_u32 v4, v4, v5, 0x7fff
	s_delay_alu instid0(VALU_DEP_1) | instskip(NEXT) | instid1(VALU_DEP_1)
	v_lshrrev_b32_e32 v4, 16, v4
	v_cndmask_b32_e32 v4, 0x7fc0, v4, vcc_lo
	global_store_b32 v[1:2], v4, off
	s_branch .LBB337_1930
.LBB337_1919:
	s_mov_b32 s0, 0
	s_branch .LBB337_1940
.LBB337_1920:
	s_or_saveexec_b32 s12, s12
                                        ; implicit-def: $sgpr13
	s_delay_alu instid0(SALU_CYCLE_1)
	s_xor_b32 exec_lo, exec_lo, s12
	s_cbranch_execz .LBB337_1822
.LBB337_1921:
	v_add_f32_e64 v8, 0x46000000, |v5|
	s_and_not1_b32 s11, s11, exec_lo
	s_mov_b32 s13, 0
	s_delay_alu instid0(VALU_DEP_1) | instskip(NEXT) | instid1(VALU_DEP_1)
	v_and_b32_e32 v8, 0xff, v8
	v_cmp_ne_u32_e32 vcc_lo, 0, v8
	s_and_b32 s14, vcc_lo, exec_lo
	s_delay_alu instid0(SALU_CYCLE_1)
	s_or_b32 s11, s11, s14
	s_or_b32 exec_lo, exec_lo, s12
	v_mov_b32_e32 v9, s13
	s_and_saveexec_b32 s12, s11
	s_cbranch_execnz .LBB337_1823
	s_branch .LBB337_1824
.LBB337_1922:
	s_mov_b32 s0, 0
	s_branch .LBB337_1936
.LBB337_1923:
	s_trap 2
	s_sendmsg_rtn_b32 s0, sendmsg(MSG_RTN_GET_DOORBELL)
	s_mov_b32 ttmp2, m0
	s_waitcnt lgkmcnt(0)
	s_and_b32 s0, s0, 0x3ff
	s_delay_alu instid0(SALU_CYCLE_1) | instskip(NEXT) | instid1(SALU_CYCLE_1)
	s_bitset1_b32 s0, 10
	s_mov_b32 m0, s0
	s_sendmsg sendmsg(MSG_INTERRUPT)
	s_mov_b32 m0, ttmp2
.LBB337_1924:                           ; =>This Inner Loop Header: Depth=1
	s_sethalt 5
	s_branch .LBB337_1924
.LBB337_1925:
	s_cbranch_execnz .LBB337_2098
; %bb.1926:
	s_or_b32 s1, s1, exec_lo
	s_cbranch_execz .LBB337_1870
	s_branch .LBB337_1871
.LBB337_1927:
	s_or_saveexec_b32 s11, s11
                                        ; implicit-def: $sgpr12
	s_delay_alu instid0(SALU_CYCLE_1)
	s_xor_b32 exec_lo, exec_lo, s11
	s_cbranch_execz .LBB337_1835
.LBB337_1928:
	v_add_f32_e64 v8, 0x42800000, |v5|
	s_and_not1_b32 s10, s10, exec_lo
	s_mov_b32 s12, 0
	s_delay_alu instid0(VALU_DEP_1) | instskip(NEXT) | instid1(VALU_DEP_1)
	v_and_b32_e32 v8, 0xff, v8
	v_cmp_ne_u32_e32 vcc_lo, 0, v8
	s_and_b32 s13, vcc_lo, exec_lo
	s_delay_alu instid0(SALU_CYCLE_1)
	s_or_b32 s10, s10, s13
	s_or_b32 exec_lo, exec_lo, s11
	v_mov_b32_e32 v9, s12
	s_and_saveexec_b32 s11, s10
	s_cbranch_execnz .LBB337_1836
	s_branch .LBB337_1837
.LBB337_1929:
	s_mov_b32 s0, 0
.LBB337_1930:
	s_and_b32 vcc_lo, exec_lo, s11
	s_cbranch_vccz .LBB337_1935
; %bb.1931:
	v_cmp_eq_u16_e64 s0, s3, 44
	s_delay_alu instid0(VALU_DEP_1)
	s_and_b32 vcc_lo, exec_lo, s0
	s_mov_b32 s0, -1
	s_cbranch_vccz .LBB337_1935
; %bb.1932:
	v_cvt_f32_f16_e32 v4, v3
	v_mov_b32_e32 v5, 0xff
	s_mov_b32 s10, exec_lo
	s_delay_alu instid0(VALU_DEP_2) | instskip(NEXT) | instid1(VALU_DEP_1)
	v_bfe_u32 v7, v4, 23, 8
	v_cmpx_ne_u32_e32 0xff, v7
; %bb.1933:
	v_and_b32_e32 v5, 0x400000, v4
	v_and_or_b32 v7, 0x3fffff, v4, v7
	v_lshrrev_b32_e32 v4, 23, v4
	s_delay_alu instid0(VALU_DEP_3) | instskip(NEXT) | instid1(VALU_DEP_3)
	v_cmp_ne_u32_e32 vcc_lo, 0, v5
	v_cmp_ne_u32_e64 s0, 0, v7
	s_delay_alu instid0(VALU_DEP_1) | instskip(NEXT) | instid1(SALU_CYCLE_1)
	s_and_b32 s0, vcc_lo, s0
	v_cndmask_b32_e64 v5, 0, 1, s0
	s_delay_alu instid0(VALU_DEP_1)
	v_add_nc_u32_e32 v5, v4, v5
; %bb.1934:
	s_or_b32 exec_lo, exec_lo, s10
	s_mov_b32 s0, 0
	s_mov_b32 s10, -1
	global_store_b8 v[1:2], v5, off
.LBB337_1935:
	s_mov_b32 s11, 0
.LBB337_1936:
	s_delay_alu instid0(SALU_CYCLE_1)
	s_and_b32 vcc_lo, exec_lo, s11
	s_cbranch_vccz .LBB337_1939
; %bb.1937:
	v_cmp_eq_u16_e64 s0, s3, 29
	s_delay_alu instid0(VALU_DEP_1)
	s_and_b32 vcc_lo, exec_lo, s0
	s_mov_b32 s0, -1
	s_cbranch_vccz .LBB337_1939
; %bb.1938:
	v_cvt_f32_f16_e32 v4, v3
	v_mov_b32_e32 v5, 0
	s_mov_b32 s0, 0
	s_mov_b32 s10, -1
	s_mov_b32 s11, 0
	v_cvt_u32_f32_e32 v4, v4
	global_store_b64 v[1:2], v[4:5], off
	s_branch .LBB337_1940
.LBB337_1939:
	s_mov_b32 s11, 0
.LBB337_1940:
	s_delay_alu instid0(SALU_CYCLE_1)
	s_and_b32 vcc_lo, exec_lo, s11
	s_cbranch_vccz .LBB337_1956
; %bb.1941:
	v_cmp_lt_i16_e64 s10, s3, 27
	s_delay_alu instid0(VALU_DEP_1)
	s_and_b32 vcc_lo, exec_lo, s10
	s_mov_b32 s10, -1
	s_cbranch_vccnz .LBB337_1947
; %bb.1942:
	v_cmp_gt_i16_e64 s10, s3, 27
	s_delay_alu instid0(VALU_DEP_1)
	s_and_b32 vcc_lo, exec_lo, s10
	s_mov_b32 s10, -1
	s_cbranch_vccz .LBB337_1944
; %bb.1943:
	v_cvt_f32_f16_e32 v4, v3
	s_mov_b32 s10, 0
	s_delay_alu instid0(VALU_DEP_1)
	v_cvt_u32_f32_e32 v4, v4
	global_store_b32 v[1:2], v4, off
.LBB337_1944:
	s_and_not1_b32 vcc_lo, exec_lo, s10
	s_cbranch_vccnz .LBB337_1946
; %bb.1945:
	v_cvt_u16_f16_e32 v4, v3
	global_store_b16 v[1:2], v4, off
.LBB337_1946:
	s_mov_b32 s10, 0
.LBB337_1947:
	s_delay_alu instid0(SALU_CYCLE_1)
	s_and_not1_b32 vcc_lo, exec_lo, s10
	s_cbranch_vccnz .LBB337_1955
; %bb.1948:
	v_cvt_f32_f16_e32 v4, v3
	v_mov_b32_e32 v7, 0x80
	s_mov_b32 s10, exec_lo
	s_delay_alu instid0(VALU_DEP_2) | instskip(NEXT) | instid1(VALU_DEP_1)
	v_and_b32_e32 v5, 0x7fffffff, v4
	v_cmpx_gt_u32_e32 0x43800000, v5
	s_cbranch_execz .LBB337_1954
; %bb.1949:
	v_cmp_lt_u32_e32 vcc_lo, 0x3bffffff, v5
	s_mov_b32 s11, 0
                                        ; implicit-def: $vgpr5
	s_and_saveexec_b32 s12, vcc_lo
	s_delay_alu instid0(SALU_CYCLE_1)
	s_xor_b32 s12, exec_lo, s12
	s_cbranch_execz .LBB337_2095
; %bb.1950:
	v_bfe_u32 v5, v4, 20, 1
	s_mov_b32 s11, exec_lo
	s_delay_alu instid0(VALU_DEP_1) | instskip(NEXT) | instid1(VALU_DEP_1)
	v_add3_u32 v5, v4, v5, 0x487ffff
	v_lshrrev_b32_e32 v5, 20, v5
	s_or_saveexec_b32 s12, s12
                                        ; implicit-def: $sgpr13
	s_delay_alu instid0(SALU_CYCLE_1)
	s_xor_b32 exec_lo, exec_lo, s12
	s_cbranch_execnz .LBB337_2096
.LBB337_1951:
	s_or_b32 exec_lo, exec_lo, s12
	v_mov_b32_e32 v7, s13
	s_and_saveexec_b32 s12, s11
.LBB337_1952:
	v_lshrrev_b32_e32 v4, 24, v4
	s_delay_alu instid0(VALU_DEP_1)
	v_and_or_b32 v7, 0x80, v4, v5
.LBB337_1953:
	s_or_b32 exec_lo, exec_lo, s12
.LBB337_1954:
	s_delay_alu instid0(SALU_CYCLE_1)
	s_or_b32 exec_lo, exec_lo, s10
	global_store_b8 v[1:2], v7, off
.LBB337_1955:
	s_mov_b32 s10, -1
.LBB337_1956:
	s_mov_b32 s11, 0
.LBB337_1957:
	s_delay_alu instid0(SALU_CYCLE_1)
	s_and_b32 vcc_lo, exec_lo, s11
	s_cbranch_vccz .LBB337_1997
; %bb.1958:
	v_cmp_gt_i16_e64 s7, s3, 22
	s_delay_alu instid0(VALU_DEP_1)
	s_and_b32 vcc_lo, exec_lo, s7
	s_mov_b32 s7, -1
	s_cbranch_vccz .LBB337_1990
; %bb.1959:
	v_cmp_lt_i16_e64 s7, s3, 24
	s_delay_alu instid0(VALU_DEP_1)
	s_and_b32 vcc_lo, exec_lo, s7
	s_mov_b32 s7, -1
	s_cbranch_vccnz .LBB337_1979
; %bb.1960:
	v_cmp_gt_i16_e64 s7, s3, 24
	s_delay_alu instid0(VALU_DEP_1)
	s_and_b32 vcc_lo, exec_lo, s7
	s_mov_b32 s7, -1
	s_cbranch_vccz .LBB337_1968
; %bb.1961:
	v_cvt_f32_f16_e32 v4, v3
	v_mov_b32_e32 v7, 0x80
	s_mov_b32 s7, exec_lo
	s_delay_alu instid0(VALU_DEP_2) | instskip(NEXT) | instid1(VALU_DEP_1)
	v_and_b32_e32 v5, 0x7fffffff, v4
	v_cmpx_gt_u32_e32 0x47800000, v5
	s_cbranch_execz .LBB337_1967
; %bb.1962:
	v_cmp_lt_u32_e32 vcc_lo, 0x37ffffff, v5
	s_mov_b32 s10, 0
                                        ; implicit-def: $vgpr5
	s_and_saveexec_b32 s11, vcc_lo
	s_delay_alu instid0(SALU_CYCLE_1)
	s_xor_b32 s11, exec_lo, s11
	s_cbranch_execz .LBB337_2102
; %bb.1963:
	v_bfe_u32 v5, v4, 21, 1
	s_mov_b32 s10, exec_lo
	s_delay_alu instid0(VALU_DEP_1) | instskip(NEXT) | instid1(VALU_DEP_1)
	v_add3_u32 v5, v4, v5, 0x88fffff
	v_lshrrev_b32_e32 v5, 21, v5
	s_or_saveexec_b32 s11, s11
                                        ; implicit-def: $sgpr12
	s_delay_alu instid0(SALU_CYCLE_1)
	s_xor_b32 exec_lo, exec_lo, s11
	s_cbranch_execnz .LBB337_2103
.LBB337_1964:
	s_or_b32 exec_lo, exec_lo, s11
	v_mov_b32_e32 v7, s12
	s_and_saveexec_b32 s11, s10
.LBB337_1965:
	v_lshrrev_b32_e32 v4, 24, v4
	s_delay_alu instid0(VALU_DEP_1)
	v_and_or_b32 v7, 0x80, v4, v5
.LBB337_1966:
	s_or_b32 exec_lo, exec_lo, s11
.LBB337_1967:
	s_delay_alu instid0(SALU_CYCLE_1)
	s_or_b32 exec_lo, exec_lo, s7
	s_mov_b32 s7, 0
	global_store_b8 v[1:2], v7, off
.LBB337_1968:
	s_and_b32 vcc_lo, exec_lo, s7
	s_cbranch_vccz .LBB337_1978
; %bb.1969:
	v_cvt_f32_f16_e32 v4, v3
	s_mov_b32 s7, exec_lo
                                        ; implicit-def: $vgpr5
	s_delay_alu instid0(VALU_DEP_1) | instskip(NEXT) | instid1(VALU_DEP_1)
	v_and_b32_e32 v7, 0x7fffffff, v4
	v_cmpx_gt_u32_e32 0x43f00000, v7
	s_xor_b32 s7, exec_lo, s7
	s_cbranch_execz .LBB337_1975
; %bb.1970:
	s_mov_b32 s10, exec_lo
                                        ; implicit-def: $vgpr5
	v_cmpx_lt_u32_e32 0x3c7fffff, v7
	s_xor_b32 s10, exec_lo, s10
; %bb.1971:
	v_bfe_u32 v5, v4, 20, 1
	s_delay_alu instid0(VALU_DEP_1) | instskip(NEXT) | instid1(VALU_DEP_1)
	v_add3_u32 v5, v4, v5, 0x407ffff
	v_and_b32_e32 v7, 0xff00000, v5
	v_lshrrev_b32_e32 v5, 20, v5
	s_delay_alu instid0(VALU_DEP_2) | instskip(NEXT) | instid1(VALU_DEP_2)
	v_cmp_ne_u32_e32 vcc_lo, 0x7f00000, v7
	v_cndmask_b32_e32 v5, 0x7e, v5, vcc_lo
; %bb.1972:
	s_and_not1_saveexec_b32 s10, s10
; %bb.1973:
	v_add_f32_e64 v5, 0x46800000, |v4|
; %bb.1974:
	s_or_b32 exec_lo, exec_lo, s10
                                        ; implicit-def: $vgpr7
.LBB337_1975:
	s_and_not1_saveexec_b32 s7, s7
; %bb.1976:
	v_mov_b32_e32 v5, 0x7f
	v_cmp_lt_u32_e32 vcc_lo, 0x7f800000, v7
	s_delay_alu instid0(VALU_DEP_2)
	v_cndmask_b32_e32 v5, 0x7e, v5, vcc_lo
; %bb.1977:
	s_or_b32 exec_lo, exec_lo, s7
	v_lshrrev_b32_e32 v4, 24, v4
	s_delay_alu instid0(VALU_DEP_1)
	v_and_or_b32 v4, 0x80, v4, v5
	global_store_b8 v[1:2], v4, off
.LBB337_1978:
	s_mov_b32 s7, 0
.LBB337_1979:
	s_delay_alu instid0(SALU_CYCLE_1)
	s_and_not1_b32 vcc_lo, exec_lo, s7
	s_cbranch_vccnz .LBB337_1989
; %bb.1980:
	v_cvt_f32_f16_e32 v4, v3
	s_mov_b32 s7, exec_lo
                                        ; implicit-def: $vgpr5
	s_delay_alu instid0(VALU_DEP_1) | instskip(NEXT) | instid1(VALU_DEP_1)
	v_and_b32_e32 v7, 0x7fffffff, v4
	v_cmpx_gt_u32_e32 0x47800000, v7
	s_xor_b32 s7, exec_lo, s7
	s_cbranch_execz .LBB337_1986
; %bb.1981:
	s_mov_b32 s10, exec_lo
                                        ; implicit-def: $vgpr5
	v_cmpx_lt_u32_e32 0x387fffff, v7
	s_xor_b32 s10, exec_lo, s10
; %bb.1982:
	v_bfe_u32 v5, v4, 21, 1
	s_delay_alu instid0(VALU_DEP_1) | instskip(NEXT) | instid1(VALU_DEP_1)
	v_add3_u32 v5, v4, v5, 0x80fffff
	v_lshrrev_b32_e32 v5, 21, v5
; %bb.1983:
	s_and_not1_saveexec_b32 s10, s10
; %bb.1984:
	v_add_f32_e64 v5, 0x43000000, |v4|
; %bb.1985:
	s_or_b32 exec_lo, exec_lo, s10
                                        ; implicit-def: $vgpr7
.LBB337_1986:
	s_and_not1_saveexec_b32 s7, s7
; %bb.1987:
	v_mov_b32_e32 v5, 0x7f
	v_cmp_lt_u32_e32 vcc_lo, 0x7f800000, v7
	s_delay_alu instid0(VALU_DEP_2)
	v_cndmask_b32_e32 v5, 0x7c, v5, vcc_lo
; %bb.1988:
	s_or_b32 exec_lo, exec_lo, s7
	v_lshrrev_b32_e32 v4, 24, v4
	s_delay_alu instid0(VALU_DEP_1)
	v_and_or_b32 v4, 0x80, v4, v5
	global_store_b8 v[1:2], v4, off
.LBB337_1989:
	s_mov_b32 s7, 0
	s_mov_b32 s10, -1
.LBB337_1990:
	s_and_not1_b32 vcc_lo, exec_lo, s7
	s_mov_b32 s7, 0
	s_cbranch_vccnz .LBB337_1997
; %bb.1991:
	v_cmp_gt_i16_e64 s7, s3, 14
	s_delay_alu instid0(VALU_DEP_1)
	s_and_b32 vcc_lo, exec_lo, s7
	s_mov_b32 s7, -1
	s_cbranch_vccz .LBB337_1995
; %bb.1992:
	v_cmp_eq_u16_e64 s0, s3, 15
	s_delay_alu instid0(VALU_DEP_1)
	s_and_b32 vcc_lo, exec_lo, s0
	s_mov_b32 s0, -1
	s_cbranch_vccz .LBB337_1994
; %bb.1993:
	v_cvt_f32_f16_e32 v4, v3
	v_cmp_o_f16_e32 vcc_lo, v3, v3
	s_mov_b32 s0, 0
	s_mov_b32 s10, -1
	s_delay_alu instid0(VALU_DEP_2) | instskip(NEXT) | instid1(VALU_DEP_1)
	v_bfe_u32 v5, v4, 16, 1
	v_add3_u32 v4, v4, v5, 0x7fff
	s_delay_alu instid0(VALU_DEP_1) | instskip(NEXT) | instid1(VALU_DEP_1)
	v_lshrrev_b32_e32 v4, 16, v4
	v_cndmask_b32_e32 v4, 0x7fc0, v4, vcc_lo
	global_store_b16 v[1:2], v4, off
.LBB337_1994:
	s_mov_b32 s7, 0
.LBB337_1995:
	s_delay_alu instid0(SALU_CYCLE_1)
	s_and_b32 vcc_lo, exec_lo, s7
	s_mov_b32 s7, 0
	s_cbranch_vccz .LBB337_1997
; %bb.1996:
	v_cmp_ne_u16_e64 s0, s3, 11
	s_mov_b32 s7, -1
.LBB337_1997:
	s_delay_alu instid0(VALU_DEP_1)
	s_and_b32 vcc_lo, exec_lo, s0
	s_cbranch_vccnz .LBB337_2100
; %bb.1998:
	s_and_not1_b32 vcc_lo, exec_lo, s7
	s_cbranch_vccnz .LBB337_2000
.LBB337_1999:
	v_and_b32_e32 v4, 0x7fff, v3
	s_mov_b32 s10, -1
	s_delay_alu instid0(VALU_DEP_1)
	v_cmp_ne_u16_e32 vcc_lo, 0, v4
	v_cndmask_b32_e64 v4, 0, 1, vcc_lo
	global_store_b8 v[1:2], v4, off
.LBB337_2000:
	s_mov_b32 s0, 0
.LBB337_2001:
	s_delay_alu instid0(SALU_CYCLE_1)
	s_and_b32 vcc_lo, exec_lo, s0
	s_cbranch_vccz .LBB337_2040
; %bb.2002:
	v_cmp_lt_i16_e64 s0, s3, 5
	s_delay_alu instid0(VALU_DEP_1)
	s_and_b32 vcc_lo, exec_lo, s0
	s_mov_b32 s0, -1
	s_cbranch_vccnz .LBB337_2023
; %bb.2003:
	v_cmp_lt_i16_e64 s0, s3, 8
	s_delay_alu instid0(VALU_DEP_1)
	s_and_b32 vcc_lo, exec_lo, s0
	s_mov_b32 s0, -1
	s_cbranch_vccnz .LBB337_2013
	;; [unrolled: 6-line block ×3, first 2 shown]
; %bb.2005:
	v_cmp_gt_i16_e64 s0, s3, 9
	s_delay_alu instid0(VALU_DEP_1)
	s_and_b32 vcc_lo, exec_lo, s0
	s_mov_b32 s0, -1
	s_cbranch_vccz .LBB337_2007
; %bb.2006:
	v_cvt_f32_f16_e32 v4, v3
	v_mov_b32_e32 v9, 0
	s_mov_b32 s0, 0
	s_delay_alu instid0(VALU_DEP_2) | instskip(NEXT) | instid1(VALU_DEP_2)
	v_cvt_f64_f32_e32 v[7:8], v4
	v_mov_b32_e32 v10, v9
	global_store_b128 v[1:2], v[7:10], off
.LBB337_2007:
	s_and_not1_b32 vcc_lo, exec_lo, s0
	s_cbranch_vccnz .LBB337_2009
; %bb.2008:
	v_cvt_f32_f16_e32 v4, v3
	v_mov_b32_e32 v5, 0
	global_store_b64 v[1:2], v[4:5], off
.LBB337_2009:
	s_mov_b32 s0, 0
.LBB337_2010:
	s_delay_alu instid0(SALU_CYCLE_1)
	s_and_not1_b32 vcc_lo, exec_lo, s0
	s_cbranch_vccnz .LBB337_2012
; %bb.2011:
	v_and_b32_e32 v4, 0xffff, v3
	global_store_b32 v[1:2], v4, off
.LBB337_2012:
	s_mov_b32 s0, 0
.LBB337_2013:
	s_delay_alu instid0(SALU_CYCLE_1)
	s_and_not1_b32 vcc_lo, exec_lo, s0
	s_cbranch_vccnz .LBB337_2022
; %bb.2014:
	v_cmp_lt_i16_e64 s0, s3, 6
	s_delay_alu instid0(VALU_DEP_1)
	s_and_b32 vcc_lo, exec_lo, s0
	s_mov_b32 s0, -1
	s_cbranch_vccnz .LBB337_2020
; %bb.2015:
	v_cmp_gt_i16_e64 s0, s3, 6
	s_delay_alu instid0(VALU_DEP_1)
	s_and_b32 vcc_lo, exec_lo, s0
	s_mov_b32 s0, -1
	s_cbranch_vccz .LBB337_2017
; %bb.2016:
	v_cvt_f32_f16_e32 v4, v3
	s_mov_b32 s0, 0
	s_delay_alu instid0(VALU_DEP_1)
	v_cvt_f64_f32_e32 v[4:5], v4
	global_store_b64 v[1:2], v[4:5], off
.LBB337_2017:
	s_and_not1_b32 vcc_lo, exec_lo, s0
	s_cbranch_vccnz .LBB337_2019
; %bb.2018:
	v_cvt_f32_f16_e32 v4, v3
	global_store_b32 v[1:2], v4, off
.LBB337_2019:
	s_mov_b32 s0, 0
.LBB337_2020:
	s_delay_alu instid0(SALU_CYCLE_1)
	s_and_not1_b32 vcc_lo, exec_lo, s0
	s_cbranch_vccnz .LBB337_2022
; %bb.2021:
	global_store_b16 v[1:2], v3, off
.LBB337_2022:
	s_mov_b32 s0, 0
.LBB337_2023:
	s_delay_alu instid0(SALU_CYCLE_1)
	s_and_not1_b32 vcc_lo, exec_lo, s0
	s_cbranch_vccnz .LBB337_2039
; %bb.2024:
	v_cmp_lt_i16_e64 s0, s3, 2
	s_delay_alu instid0(VALU_DEP_1)
	s_and_b32 vcc_lo, exec_lo, s0
	s_mov_b32 s0, -1
	s_cbranch_vccnz .LBB337_2034
; %bb.2025:
	v_cmp_lt_i16_e64 s0, s3, 3
	s_delay_alu instid0(VALU_DEP_1)
	s_and_b32 vcc_lo, exec_lo, s0
	s_mov_b32 s0, -1
	s_cbranch_vccnz .LBB337_2031
; %bb.2026:
	v_cmp_gt_i16_e64 s0, s3, 3
	s_delay_alu instid0(VALU_DEP_1)
	s_and_b32 vcc_lo, exec_lo, s0
	s_mov_b32 s0, -1
	s_cbranch_vccz .LBB337_2028
; %bb.2027:
	v_cvt_f32_f16_e32 v4, v3
	s_mov_b32 s0, 0
	s_delay_alu instid0(VALU_DEP_1) | instskip(NEXT) | instid1(VALU_DEP_1)
	v_cvt_i32_f32_e32 v4, v4
	v_ashrrev_i32_e32 v5, 31, v4
	global_store_b64 v[1:2], v[4:5], off
.LBB337_2028:
	s_and_not1_b32 vcc_lo, exec_lo, s0
	s_cbranch_vccnz .LBB337_2030
; %bb.2029:
	v_cvt_f32_f16_e32 v4, v3
	s_delay_alu instid0(VALU_DEP_1)
	v_cvt_i32_f32_e32 v4, v4
	global_store_b32 v[1:2], v4, off
.LBB337_2030:
	s_mov_b32 s0, 0
.LBB337_2031:
	s_delay_alu instid0(SALU_CYCLE_1)
	s_and_not1_b32 vcc_lo, exec_lo, s0
	s_cbranch_vccnz .LBB337_2033
; %bb.2032:
	v_cvt_i16_f16_e32 v4, v3
	global_store_b16 v[1:2], v4, off
.LBB337_2033:
	s_mov_b32 s0, 0
.LBB337_2034:
	s_delay_alu instid0(SALU_CYCLE_1)
	s_and_not1_b32 vcc_lo, exec_lo, s0
	s_cbranch_vccnz .LBB337_2039
; %bb.2035:
	v_cmp_gt_i16_e64 s0, s3, 0
	s_delay_alu instid0(VALU_DEP_1)
	s_and_b32 vcc_lo, exec_lo, s0
	s_mov_b32 s0, -1
	s_cbranch_vccz .LBB337_2037
; %bb.2036:
	v_cvt_i16_f16_e32 v4, v3
	s_mov_b32 s0, 0
	global_store_b8 v[1:2], v4, off
.LBB337_2037:
	s_and_not1_b32 vcc_lo, exec_lo, s0
	s_cbranch_vccnz .LBB337_2039
; %bb.2038:
	v_cvt_f32_f16_e32 v3, v3
	s_delay_alu instid0(VALU_DEP_1)
	v_cvt_i32_f32_e32 v3, v3
	global_store_b8 v[1:2], v3, off
.LBB337_2039:
	s_mov_b32 s10, -1
.LBB337_2040:
	s_delay_alu instid0(SALU_CYCLE_1)
	s_and_not1_b32 vcc_lo, exec_lo, s10
	s_cbranch_vccnz .LBB337_2049
; %bb.2041:
	v_cmp_lt_f16_e32 vcc_lo, s2, v6
	v_cmp_lt_i16_e64 s0, s3, 11
	v_add_co_u32 v0, s4, s4, v0
	v_cndmask_b32_e32 v1, s2, v6, vcc_lo
	s_mov_b32 s2, 0
	s_delay_alu instid0(VALU_DEP_1) | instskip(SKIP_2) | instid1(VALU_DEP_2)
	v_cmp_gt_f16_e32 vcc_lo, s6, v1
	v_cndmask_b32_e32 v1, s6, v1, vcc_lo
	v_cmp_u_f16_e32 vcc_lo, v6, v6
	v_cndmask_b32_e32 v2, v1, v6, vcc_lo
	v_add_co_ci_u32_e64 v1, null, s5, 0, s4
	s_and_b32 vcc_lo, exec_lo, s0
	s_mov_b32 s0, -1
	s_cbranch_vccnz .LBB337_2050
; %bb.2042:
	v_cmp_gt_i16_e64 s0, s3, 25
	s_mov_b32 s4, -1
	s_delay_alu instid0(VALU_DEP_1)
	s_and_b32 vcc_lo, exec_lo, s0
	s_mov_b32 s0, 0
	s_cbranch_vccz .LBB337_2131
; %bb.2043:
	v_cmp_gt_i16_e64 s0, s3, 28
	s_delay_alu instid0(VALU_DEP_1)
	s_and_b32 vcc_lo, exec_lo, s0
	s_cbranch_vccz .LBB337_2094
; %bb.2044:
	v_cmp_gt_i16_e64 s0, s3, 43
	s_delay_alu instid0(VALU_DEP_1)
	s_and_b32 vcc_lo, exec_lo, s0
	;; [unrolled: 5-line block ×3, first 2 shown]
	s_cbranch_vccz .LBB337_2104
; %bb.2046:
	v_cmp_eq_u16_e64 s0, s3, 46
	s_delay_alu instid0(VALU_DEP_1)
	s_and_b32 vcc_lo, exec_lo, s0
	s_mov_b32 s0, -1
	s_cbranch_vccz .LBB337_2048
; %bb.2047:
	v_cvt_f32_f16_e32 v3, v2
	v_cmp_o_f16_e32 vcc_lo, v2, v2
	s_mov_b32 s0, 0
	s_delay_alu instid0(VALU_DEP_2) | instskip(NEXT) | instid1(VALU_DEP_1)
	v_bfe_u32 v4, v3, 16, 1
	v_add3_u32 v3, v3, v4, 0x7fff
	s_delay_alu instid0(VALU_DEP_1) | instskip(NEXT) | instid1(VALU_DEP_1)
	v_lshrrev_b32_e32 v3, 16, v3
	v_cndmask_b32_e32 v3, 0x7fc0, v3, vcc_lo
	global_store_b32 v[0:1], v3, off
.LBB337_2048:
	s_mov_b32 s4, 0
	s_branch .LBB337_2105
.LBB337_2049:
	s_mov_b32 s0, 0
	s_mov_b32 s2, 0
                                        ; implicit-def: $vgpr0_vgpr1
                                        ; implicit-def: $sgpr3
                                        ; implicit-def: $vgpr2
.LBB337_2050:
	s_and_b32 s4, s0, exec_lo
	s_and_not1_b32 s0, s8, exec_lo
	s_and_b32 s1, s1, exec_lo
	s_and_b32 s28, s2, exec_lo
	s_or_b32 s8, s0, s1
.LBB337_2051:
	s_or_b32 exec_lo, exec_lo, s9
	s_and_saveexec_b32 s0, s8
	s_cbranch_execz .LBB337_2054
; %bb.2052:
	; divergent unreachable
	s_or_b32 exec_lo, exec_lo, s0
	s_and_saveexec_b32 s0, s28
	s_delay_alu instid0(SALU_CYCLE_1)
	s_xor_b32 s0, exec_lo, s0
	s_cbranch_execnz .LBB337_2055
.LBB337_2053:
	s_or_b32 exec_lo, exec_lo, s0
	s_and_saveexec_b32 s0, s4
	s_cbranch_execnz .LBB337_2056
	s_branch .LBB337_2093
.LBB337_2054:
	s_or_b32 exec_lo, exec_lo, s0
	s_and_saveexec_b32 s0, s28
	s_delay_alu instid0(SALU_CYCLE_1)
	s_xor_b32 s0, exec_lo, s0
	s_cbranch_execz .LBB337_2053
.LBB337_2055:
	v_and_b32_e32 v3, 0x7fff, v2
	s_delay_alu instid0(VALU_DEP_1)
	v_cmp_ne_u16_e32 vcc_lo, 0, v3
	v_cndmask_b32_e64 v3, 0, 1, vcc_lo
	global_store_b8 v[0:1], v3, off
	s_or_b32 exec_lo, exec_lo, s0
	s_and_saveexec_b32 s0, s4
	s_cbranch_execz .LBB337_2093
.LBB337_2056:
	v_cmp_lt_i16_e64 s0, s3, 5
	s_delay_alu instid0(VALU_DEP_1)
	s_and_b32 vcc_lo, exec_lo, s0
	s_mov_b32 s0, -1
	s_cbranch_vccnz .LBB337_2077
; %bb.2057:
	v_cmp_lt_i16_e64 s0, s3, 8
	s_delay_alu instid0(VALU_DEP_1)
	s_and_b32 vcc_lo, exec_lo, s0
	s_mov_b32 s0, -1
	s_cbranch_vccnz .LBB337_2067
; %bb.2058:
	;; [unrolled: 6-line block ×3, first 2 shown]
	v_cmp_gt_i16_e64 s0, s3, 9
	s_delay_alu instid0(VALU_DEP_1)
	s_and_b32 vcc_lo, exec_lo, s0
	s_mov_b32 s0, -1
	s_cbranch_vccz .LBB337_2061
; %bb.2060:
	v_cvt_f32_f16_e32 v3, v2
	s_waitcnt vmcnt(0)
	v_mov_b32_e32 v5, 0
	s_mov_b32 s0, 0
	s_delay_alu instid0(VALU_DEP_2) | instskip(NEXT) | instid1(VALU_DEP_2)
	v_cvt_f64_f32_e32 v[3:4], v3
	v_mov_b32_e32 v6, v5
	global_store_b128 v[0:1], v[3:6], off
.LBB337_2061:
	s_and_not1_b32 vcc_lo, exec_lo, s0
	s_cbranch_vccnz .LBB337_2063
; %bb.2062:
	v_cvt_f32_f16_e32 v3, v2
	v_mov_b32_e32 v4, 0
	global_store_b64 v[0:1], v[3:4], off
.LBB337_2063:
	s_mov_b32 s0, 0
.LBB337_2064:
	s_delay_alu instid0(SALU_CYCLE_1)
	s_and_not1_b32 vcc_lo, exec_lo, s0
	s_cbranch_vccnz .LBB337_2066
; %bb.2065:
	v_and_b32_e32 v3, 0xffff, v2
	global_store_b32 v[0:1], v3, off
.LBB337_2066:
	s_mov_b32 s0, 0
.LBB337_2067:
	s_delay_alu instid0(SALU_CYCLE_1)
	s_and_not1_b32 vcc_lo, exec_lo, s0
	s_cbranch_vccnz .LBB337_2076
; %bb.2068:
	v_cmp_lt_i16_e64 s0, s3, 6
	s_delay_alu instid0(VALU_DEP_1)
	s_and_b32 vcc_lo, exec_lo, s0
	s_mov_b32 s0, -1
	s_cbranch_vccnz .LBB337_2074
; %bb.2069:
	v_cmp_gt_i16_e64 s0, s3, 6
	s_delay_alu instid0(VALU_DEP_1)
	s_and_b32 vcc_lo, exec_lo, s0
	s_mov_b32 s0, -1
	s_cbranch_vccz .LBB337_2071
; %bb.2070:
	v_cvt_f32_f16_e32 v3, v2
	s_mov_b32 s0, 0
	s_delay_alu instid0(VALU_DEP_1)
	v_cvt_f64_f32_e32 v[3:4], v3
	global_store_b64 v[0:1], v[3:4], off
.LBB337_2071:
	s_and_not1_b32 vcc_lo, exec_lo, s0
	s_cbranch_vccnz .LBB337_2073
; %bb.2072:
	v_cvt_f32_f16_e32 v3, v2
	global_store_b32 v[0:1], v3, off
.LBB337_2073:
	s_mov_b32 s0, 0
.LBB337_2074:
	s_delay_alu instid0(SALU_CYCLE_1)
	s_and_not1_b32 vcc_lo, exec_lo, s0
	s_cbranch_vccnz .LBB337_2076
; %bb.2075:
	global_store_b16 v[0:1], v2, off
.LBB337_2076:
	s_mov_b32 s0, 0
.LBB337_2077:
	s_delay_alu instid0(SALU_CYCLE_1)
	s_and_not1_b32 vcc_lo, exec_lo, s0
	s_cbranch_vccnz .LBB337_2093
; %bb.2078:
	v_cmp_lt_i16_e64 s0, s3, 2
	s_delay_alu instid0(VALU_DEP_1)
	s_and_b32 vcc_lo, exec_lo, s0
	s_mov_b32 s0, -1
	s_cbranch_vccnz .LBB337_2088
; %bb.2079:
	v_cmp_lt_i16_e64 s0, s3, 3
	s_delay_alu instid0(VALU_DEP_1)
	s_and_b32 vcc_lo, exec_lo, s0
	s_mov_b32 s0, -1
	s_cbranch_vccnz .LBB337_2085
; %bb.2080:
	v_cmp_gt_i16_e64 s0, s3, 3
	s_delay_alu instid0(VALU_DEP_1)
	s_and_b32 vcc_lo, exec_lo, s0
	s_mov_b32 s0, -1
	s_cbranch_vccz .LBB337_2082
; %bb.2081:
	v_cvt_f32_f16_e32 v3, v2
	s_mov_b32 s0, 0
	s_delay_alu instid0(VALU_DEP_1) | instskip(NEXT) | instid1(VALU_DEP_1)
	v_cvt_i32_f32_e32 v3, v3
	v_ashrrev_i32_e32 v4, 31, v3
	global_store_b64 v[0:1], v[3:4], off
.LBB337_2082:
	s_and_not1_b32 vcc_lo, exec_lo, s0
	s_cbranch_vccnz .LBB337_2084
; %bb.2083:
	v_cvt_f32_f16_e32 v3, v2
	s_delay_alu instid0(VALU_DEP_1)
	v_cvt_i32_f32_e32 v3, v3
	global_store_b32 v[0:1], v3, off
.LBB337_2084:
	s_mov_b32 s0, 0
.LBB337_2085:
	s_delay_alu instid0(SALU_CYCLE_1)
	s_and_not1_b32 vcc_lo, exec_lo, s0
	s_cbranch_vccnz .LBB337_2087
; %bb.2086:
	v_cvt_i16_f16_e32 v3, v2
	global_store_b16 v[0:1], v3, off
.LBB337_2087:
	s_mov_b32 s0, 0
.LBB337_2088:
	s_delay_alu instid0(SALU_CYCLE_1)
	s_and_not1_b32 vcc_lo, exec_lo, s0
	s_cbranch_vccnz .LBB337_2093
; %bb.2089:
	v_cmp_gt_i16_e64 s0, s3, 0
	s_delay_alu instid0(VALU_DEP_1)
	s_and_b32 vcc_lo, exec_lo, s0
	s_mov_b32 s0, -1
	s_cbranch_vccz .LBB337_2091
; %bb.2090:
	v_cvt_i16_f16_e32 v3, v2
	s_mov_b32 s0, 0
	global_store_b8 v[0:1], v3, off
.LBB337_2091:
	s_and_not1_b32 vcc_lo, exec_lo, s0
	s_cbranch_vccnz .LBB337_2093
; %bb.2092:
	v_cvt_f32_f16_e32 v2, v2
	s_delay_alu instid0(VALU_DEP_1)
	v_cvt_i32_f32_e32 v2, v2
	global_store_b8 v[0:1], v2, off
	s_nop 0
	s_sendmsg sendmsg(MSG_DEALLOC_VGPRS)
	s_endpgm
.LBB337_2093:
	s_nop 0
	s_sendmsg sendmsg(MSG_DEALLOC_VGPRS)
	s_endpgm
.LBB337_2094:
	s_mov_b32 s0, 0
	s_branch .LBB337_2115
.LBB337_2095:
	s_or_saveexec_b32 s12, s12
                                        ; implicit-def: $sgpr13
	s_delay_alu instid0(SALU_CYCLE_1)
	s_xor_b32 exec_lo, exec_lo, s12
	s_cbranch_execz .LBB337_1951
.LBB337_2096:
	v_add_f32_e64 v5, 0x46000000, |v4|
	s_and_not1_b32 s11, s11, exec_lo
	s_mov_b32 s13, 0
	s_delay_alu instid0(VALU_DEP_1) | instskip(NEXT) | instid1(VALU_DEP_1)
	v_and_b32_e32 v5, 0xff, v5
	v_cmp_ne_u32_e32 vcc_lo, 0, v5
	s_and_b32 s14, vcc_lo, exec_lo
	s_delay_alu instid0(SALU_CYCLE_1)
	s_or_b32 s11, s11, s14
	s_or_b32 exec_lo, exec_lo, s12
	v_mov_b32_e32 v7, s13
	s_and_saveexec_b32 s12, s11
	s_cbranch_execnz .LBB337_1952
	s_branch .LBB337_1953
.LBB337_2097:
	s_mov_b32 s0, 0
	s_branch .LBB337_2111
.LBB337_2098:
	s_trap 2
	s_sendmsg_rtn_b32 s0, sendmsg(MSG_RTN_GET_DOORBELL)
	s_mov_b32 ttmp2, m0
	s_waitcnt lgkmcnt(0)
	s_and_b32 s0, s0, 0x3ff
	s_delay_alu instid0(SALU_CYCLE_1) | instskip(NEXT) | instid1(SALU_CYCLE_1)
	s_bitset1_b32 s0, 10
	s_mov_b32 m0, s0
	s_sendmsg sendmsg(MSG_INTERRUPT)
	s_mov_b32 m0, ttmp2
.LBB337_2099:                           ; =>This Inner Loop Header: Depth=1
	s_sethalt 5
	s_branch .LBB337_2099
.LBB337_2100:
	s_cbranch_execnz .LBB337_2175
; %bb.2101:
	s_or_b32 s1, s1, exec_lo
	s_cbranch_execz .LBB337_1999
	s_branch .LBB337_2000
.LBB337_2102:
	s_or_saveexec_b32 s11, s11
                                        ; implicit-def: $sgpr12
	s_delay_alu instid0(SALU_CYCLE_1)
	s_xor_b32 exec_lo, exec_lo, s11
	s_cbranch_execz .LBB337_1964
.LBB337_2103:
	v_add_f32_e64 v5, 0x42800000, |v4|
	s_and_not1_b32 s10, s10, exec_lo
	s_mov_b32 s12, 0
	s_delay_alu instid0(VALU_DEP_1) | instskip(NEXT) | instid1(VALU_DEP_1)
	v_and_b32_e32 v5, 0xff, v5
	v_cmp_ne_u32_e32 vcc_lo, 0, v5
	s_and_b32 s13, vcc_lo, exec_lo
	s_delay_alu instid0(SALU_CYCLE_1)
	s_or_b32 s10, s10, s13
	s_or_b32 exec_lo, exec_lo, s11
	v_mov_b32_e32 v7, s12
	s_and_saveexec_b32 s11, s10
	s_cbranch_execnz .LBB337_1965
	s_branch .LBB337_1966
.LBB337_2104:
	s_mov_b32 s0, 0
.LBB337_2105:
	s_and_b32 vcc_lo, exec_lo, s4
	s_cbranch_vccz .LBB337_2110
; %bb.2106:
	v_cmp_eq_u16_e64 s0, s3, 44
	s_delay_alu instid0(VALU_DEP_1)
	s_and_b32 vcc_lo, exec_lo, s0
	s_mov_b32 s0, -1
	s_cbranch_vccz .LBB337_2110
; %bb.2107:
	v_cvt_f32_f16_e32 v3, v2
	v_mov_b32_e32 v4, 0xff
	s_mov_b32 s4, exec_lo
	s_delay_alu instid0(VALU_DEP_2) | instskip(NEXT) | instid1(VALU_DEP_1)
	v_bfe_u32 v5, v3, 23, 8
	v_cmpx_ne_u32_e32 0xff, v5
; %bb.2108:
	v_and_b32_e32 v4, 0x400000, v3
	v_and_or_b32 v5, 0x3fffff, v3, v5
	v_lshrrev_b32_e32 v3, 23, v3
	s_delay_alu instid0(VALU_DEP_3) | instskip(NEXT) | instid1(VALU_DEP_3)
	v_cmp_ne_u32_e32 vcc_lo, 0, v4
	v_cmp_ne_u32_e64 s0, 0, v5
	s_delay_alu instid0(VALU_DEP_1) | instskip(NEXT) | instid1(SALU_CYCLE_1)
	s_and_b32 s0, vcc_lo, s0
	v_cndmask_b32_e64 v4, 0, 1, s0
	s_delay_alu instid0(VALU_DEP_1)
	v_add_nc_u32_e32 v4, v3, v4
; %bb.2109:
	s_or_b32 exec_lo, exec_lo, s4
	s_mov_b32 s0, 0
	global_store_b8 v[0:1], v4, off
.LBB337_2110:
	s_mov_b32 s4, 0
.LBB337_2111:
	s_delay_alu instid0(SALU_CYCLE_1)
	s_and_b32 vcc_lo, exec_lo, s4
	s_cbranch_vccz .LBB337_2114
; %bb.2112:
	v_cmp_eq_u16_e64 s0, s3, 29
	s_delay_alu instid0(VALU_DEP_1)
	s_and_b32 vcc_lo, exec_lo, s0
	s_mov_b32 s0, -1
	s_cbranch_vccz .LBB337_2114
; %bb.2113:
	v_cvt_f32_f16_e32 v3, v2
	v_mov_b32_e32 v4, 0
	s_mov_b32 s0, 0
	s_delay_alu instid0(VALU_DEP_2)
	v_cvt_u32_f32_e32 v3, v3
	global_store_b64 v[0:1], v[3:4], off
.LBB337_2114:
	s_mov_b32 s4, 0
.LBB337_2115:
	s_delay_alu instid0(SALU_CYCLE_1)
	s_and_b32 vcc_lo, exec_lo, s4
	s_cbranch_vccz .LBB337_2130
; %bb.2116:
	v_cmp_lt_i16_e64 s4, s3, 27
	s_delay_alu instid0(VALU_DEP_1)
	s_and_b32 vcc_lo, exec_lo, s4
	s_mov_b32 s4, -1
	s_cbranch_vccnz .LBB337_2122
; %bb.2117:
	v_cmp_gt_i16_e64 s4, s3, 27
	s_delay_alu instid0(VALU_DEP_1)
	s_and_b32 vcc_lo, exec_lo, s4
	s_mov_b32 s4, -1
	s_cbranch_vccz .LBB337_2119
; %bb.2118:
	v_cvt_f32_f16_e32 v3, v2
	s_mov_b32 s4, 0
	s_delay_alu instid0(VALU_DEP_1)
	v_cvt_u32_f32_e32 v3, v3
	global_store_b32 v[0:1], v3, off
.LBB337_2119:
	s_and_not1_b32 vcc_lo, exec_lo, s4
	s_cbranch_vccnz .LBB337_2121
; %bb.2120:
	v_cvt_u16_f16_e32 v3, v2
	global_store_b16 v[0:1], v3, off
.LBB337_2121:
	s_mov_b32 s4, 0
.LBB337_2122:
	s_delay_alu instid0(SALU_CYCLE_1)
	s_and_not1_b32 vcc_lo, exec_lo, s4
	s_cbranch_vccnz .LBB337_2130
; %bb.2123:
	v_cvt_f32_f16_e32 v3, v2
	v_mov_b32_e32 v5, 0x80
	s_mov_b32 s4, exec_lo
	s_delay_alu instid0(VALU_DEP_2) | instskip(NEXT) | instid1(VALU_DEP_1)
	v_and_b32_e32 v4, 0x7fffffff, v3
	v_cmpx_gt_u32_e32 0x43800000, v4
	s_cbranch_execz .LBB337_2129
; %bb.2124:
	v_cmp_lt_u32_e32 vcc_lo, 0x3bffffff, v4
	s_mov_b32 s5, 0
                                        ; implicit-def: $vgpr4
	s_and_saveexec_b32 s6, vcc_lo
	s_delay_alu instid0(SALU_CYCLE_1)
	s_xor_b32 s6, exec_lo, s6
	s_cbranch_execz .LBB337_2173
; %bb.2125:
	v_bfe_u32 v4, v3, 20, 1
	s_mov_b32 s5, exec_lo
	s_delay_alu instid0(VALU_DEP_1) | instskip(NEXT) | instid1(VALU_DEP_1)
	v_add3_u32 v4, v3, v4, 0x487ffff
	v_lshrrev_b32_e32 v4, 20, v4
	s_or_saveexec_b32 s6, s6
                                        ; implicit-def: $sgpr7
	s_delay_alu instid0(SALU_CYCLE_1)
	s_xor_b32 exec_lo, exec_lo, s6
	s_cbranch_execnz .LBB337_2174
.LBB337_2126:
	s_or_b32 exec_lo, exec_lo, s6
	v_mov_b32_e32 v5, s7
	s_and_saveexec_b32 s6, s5
.LBB337_2127:
	v_lshrrev_b32_e32 v3, 24, v3
	s_delay_alu instid0(VALU_DEP_1)
	v_and_or_b32 v5, 0x80, v3, v4
.LBB337_2128:
	s_or_b32 exec_lo, exec_lo, s6
.LBB337_2129:
	s_delay_alu instid0(SALU_CYCLE_1)
	s_or_b32 exec_lo, exec_lo, s4
	global_store_b8 v[0:1], v5, off
.LBB337_2130:
	s_mov_b32 s4, 0
.LBB337_2131:
	s_delay_alu instid0(SALU_CYCLE_1)
	s_and_b32 vcc_lo, exec_lo, s4
	s_cbranch_vccz .LBB337_2171
; %bb.2132:
	v_cmp_gt_i16_e64 s2, s3, 22
	s_delay_alu instid0(VALU_DEP_1)
	s_and_b32 vcc_lo, exec_lo, s2
	s_mov_b32 s2, -1
	s_cbranch_vccz .LBB337_2164
; %bb.2133:
	v_cmp_lt_i16_e64 s2, s3, 24
	s_delay_alu instid0(VALU_DEP_1)
	s_and_b32 vcc_lo, exec_lo, s2
	s_mov_b32 s2, -1
	s_cbranch_vccnz .LBB337_2153
; %bb.2134:
	v_cmp_gt_i16_e64 s2, s3, 24
	s_delay_alu instid0(VALU_DEP_1)
	s_and_b32 vcc_lo, exec_lo, s2
	s_mov_b32 s2, -1
	s_cbranch_vccz .LBB337_2142
; %bb.2135:
	v_cvt_f32_f16_e32 v3, v2
	v_mov_b32_e32 v5, 0x80
	s_mov_b32 s2, exec_lo
	s_delay_alu instid0(VALU_DEP_2) | instskip(NEXT) | instid1(VALU_DEP_1)
	v_and_b32_e32 v4, 0x7fffffff, v3
	v_cmpx_gt_u32_e32 0x47800000, v4
	s_cbranch_execz .LBB337_2141
; %bb.2136:
	v_cmp_lt_u32_e32 vcc_lo, 0x37ffffff, v4
	s_mov_b32 s4, 0
                                        ; implicit-def: $vgpr4
	s_and_saveexec_b32 s5, vcc_lo
	s_delay_alu instid0(SALU_CYCLE_1)
	s_xor_b32 s5, exec_lo, s5
	s_cbranch_execz .LBB337_2179
; %bb.2137:
	v_bfe_u32 v4, v3, 21, 1
	s_mov_b32 s4, exec_lo
	s_delay_alu instid0(VALU_DEP_1) | instskip(NEXT) | instid1(VALU_DEP_1)
	v_add3_u32 v4, v3, v4, 0x88fffff
	v_lshrrev_b32_e32 v4, 21, v4
	s_or_saveexec_b32 s5, s5
                                        ; implicit-def: $sgpr6
	s_delay_alu instid0(SALU_CYCLE_1)
	s_xor_b32 exec_lo, exec_lo, s5
	s_cbranch_execnz .LBB337_2180
.LBB337_2138:
	s_or_b32 exec_lo, exec_lo, s5
	v_mov_b32_e32 v5, s6
	s_and_saveexec_b32 s5, s4
.LBB337_2139:
	v_lshrrev_b32_e32 v3, 24, v3
	s_delay_alu instid0(VALU_DEP_1)
	v_and_or_b32 v5, 0x80, v3, v4
.LBB337_2140:
	s_or_b32 exec_lo, exec_lo, s5
.LBB337_2141:
	s_delay_alu instid0(SALU_CYCLE_1)
	s_or_b32 exec_lo, exec_lo, s2
	s_mov_b32 s2, 0
	global_store_b8 v[0:1], v5, off
.LBB337_2142:
	s_and_b32 vcc_lo, exec_lo, s2
	s_cbranch_vccz .LBB337_2152
; %bb.2143:
	v_cvt_f32_f16_e32 v3, v2
	s_mov_b32 s2, exec_lo
                                        ; implicit-def: $vgpr4
	s_delay_alu instid0(VALU_DEP_1) | instskip(NEXT) | instid1(VALU_DEP_1)
	v_and_b32_e32 v5, 0x7fffffff, v3
	v_cmpx_gt_u32_e32 0x43f00000, v5
	s_xor_b32 s2, exec_lo, s2
	s_cbranch_execz .LBB337_2149
; %bb.2144:
	s_mov_b32 s4, exec_lo
                                        ; implicit-def: $vgpr4
	v_cmpx_lt_u32_e32 0x3c7fffff, v5
	s_xor_b32 s4, exec_lo, s4
; %bb.2145:
	v_bfe_u32 v4, v3, 20, 1
	s_delay_alu instid0(VALU_DEP_1) | instskip(NEXT) | instid1(VALU_DEP_1)
	v_add3_u32 v4, v3, v4, 0x407ffff
	v_and_b32_e32 v5, 0xff00000, v4
	v_lshrrev_b32_e32 v4, 20, v4
	s_delay_alu instid0(VALU_DEP_2) | instskip(NEXT) | instid1(VALU_DEP_2)
	v_cmp_ne_u32_e32 vcc_lo, 0x7f00000, v5
	v_cndmask_b32_e32 v4, 0x7e, v4, vcc_lo
; %bb.2146:
	s_and_not1_saveexec_b32 s4, s4
; %bb.2147:
	v_add_f32_e64 v4, 0x46800000, |v3|
; %bb.2148:
	s_or_b32 exec_lo, exec_lo, s4
                                        ; implicit-def: $vgpr5
.LBB337_2149:
	s_and_not1_saveexec_b32 s2, s2
; %bb.2150:
	v_mov_b32_e32 v4, 0x7f
	v_cmp_lt_u32_e32 vcc_lo, 0x7f800000, v5
	s_delay_alu instid0(VALU_DEP_2)
	v_cndmask_b32_e32 v4, 0x7e, v4, vcc_lo
; %bb.2151:
	s_or_b32 exec_lo, exec_lo, s2
	v_lshrrev_b32_e32 v3, 24, v3
	s_delay_alu instid0(VALU_DEP_1)
	v_and_or_b32 v3, 0x80, v3, v4
	global_store_b8 v[0:1], v3, off
.LBB337_2152:
	s_mov_b32 s2, 0
.LBB337_2153:
	s_delay_alu instid0(SALU_CYCLE_1)
	s_and_not1_b32 vcc_lo, exec_lo, s2
	s_cbranch_vccnz .LBB337_2163
; %bb.2154:
	v_cvt_f32_f16_e32 v3, v2
	s_mov_b32 s2, exec_lo
                                        ; implicit-def: $vgpr4
	s_delay_alu instid0(VALU_DEP_1) | instskip(NEXT) | instid1(VALU_DEP_1)
	v_and_b32_e32 v5, 0x7fffffff, v3
	v_cmpx_gt_u32_e32 0x47800000, v5
	s_xor_b32 s2, exec_lo, s2
	s_cbranch_execz .LBB337_2160
; %bb.2155:
	s_mov_b32 s4, exec_lo
                                        ; implicit-def: $vgpr4
	v_cmpx_lt_u32_e32 0x387fffff, v5
	s_xor_b32 s4, exec_lo, s4
; %bb.2156:
	v_bfe_u32 v4, v3, 21, 1
	s_delay_alu instid0(VALU_DEP_1) | instskip(NEXT) | instid1(VALU_DEP_1)
	v_add3_u32 v4, v3, v4, 0x80fffff
	v_lshrrev_b32_e32 v4, 21, v4
; %bb.2157:
	s_and_not1_saveexec_b32 s4, s4
; %bb.2158:
	v_add_f32_e64 v4, 0x43000000, |v3|
; %bb.2159:
	s_or_b32 exec_lo, exec_lo, s4
                                        ; implicit-def: $vgpr5
.LBB337_2160:
	s_and_not1_saveexec_b32 s2, s2
; %bb.2161:
	v_mov_b32_e32 v4, 0x7f
	v_cmp_lt_u32_e32 vcc_lo, 0x7f800000, v5
	s_delay_alu instid0(VALU_DEP_2)
	v_cndmask_b32_e32 v4, 0x7c, v4, vcc_lo
; %bb.2162:
	s_or_b32 exec_lo, exec_lo, s2
	v_lshrrev_b32_e32 v3, 24, v3
	s_delay_alu instid0(VALU_DEP_1)
	v_and_or_b32 v3, 0x80, v3, v4
	global_store_b8 v[0:1], v3, off
.LBB337_2163:
	s_mov_b32 s2, 0
.LBB337_2164:
	s_delay_alu instid0(SALU_CYCLE_1)
	s_and_not1_b32 vcc_lo, exec_lo, s2
	s_mov_b32 s2, 0
	s_cbranch_vccnz .LBB337_2171
; %bb.2165:
	v_cmp_gt_i16_e64 s2, s3, 14
	s_delay_alu instid0(VALU_DEP_1)
	s_and_b32 vcc_lo, exec_lo, s2
	s_mov_b32 s2, -1
	s_cbranch_vccz .LBB337_2169
; %bb.2166:
	v_cmp_eq_u16_e64 s0, s3, 15
	s_delay_alu instid0(VALU_DEP_1)
	s_and_b32 vcc_lo, exec_lo, s0
	s_mov_b32 s0, -1
	s_cbranch_vccz .LBB337_2168
; %bb.2167:
	v_cvt_f32_f16_e32 v3, v2
	v_cmp_o_f16_e32 vcc_lo, v2, v2
	s_mov_b32 s0, 0
	s_delay_alu instid0(VALU_DEP_2) | instskip(NEXT) | instid1(VALU_DEP_1)
	v_bfe_u32 v4, v3, 16, 1
	v_add3_u32 v3, v3, v4, 0x7fff
	s_delay_alu instid0(VALU_DEP_1) | instskip(NEXT) | instid1(VALU_DEP_1)
	v_lshrrev_b32_e32 v3, 16, v3
	v_cndmask_b32_e32 v3, 0x7fc0, v3, vcc_lo
	global_store_b16 v[0:1], v3, off
.LBB337_2168:
	s_mov_b32 s2, 0
.LBB337_2169:
	s_delay_alu instid0(SALU_CYCLE_1)
	s_and_b32 vcc_lo, exec_lo, s2
	s_mov_b32 s2, 0
	s_cbranch_vccz .LBB337_2171
; %bb.2170:
	v_cmp_ne_u16_e64 s0, s3, 11
	s_mov_b32 s2, -1
.LBB337_2171:
	s_delay_alu instid0(VALU_DEP_1)
	s_and_b32 vcc_lo, exec_lo, s0
	s_cbranch_vccnz .LBB337_2177
.LBB337_2172:
	s_mov_b32 s0, 0
	s_branch .LBB337_2050
.LBB337_2173:
	s_or_saveexec_b32 s6, s6
                                        ; implicit-def: $sgpr7
	s_delay_alu instid0(SALU_CYCLE_1)
	s_xor_b32 exec_lo, exec_lo, s6
	s_cbranch_execz .LBB337_2126
.LBB337_2174:
	v_add_f32_e64 v4, 0x46000000, |v3|
	s_and_not1_b32 s5, s5, exec_lo
	s_mov_b32 s7, 0
	s_delay_alu instid0(VALU_DEP_1) | instskip(NEXT) | instid1(VALU_DEP_1)
	v_and_b32_e32 v4, 0xff, v4
	v_cmp_ne_u32_e32 vcc_lo, 0, v4
	s_and_b32 s10, vcc_lo, exec_lo
	s_delay_alu instid0(SALU_CYCLE_1)
	s_or_b32 s5, s5, s10
	s_or_b32 exec_lo, exec_lo, s6
	v_mov_b32_e32 v5, s7
	s_and_saveexec_b32 s6, s5
	s_cbranch_execnz .LBB337_2127
	s_branch .LBB337_2128
.LBB337_2175:
	s_trap 2
	s_sendmsg_rtn_b32 s0, sendmsg(MSG_RTN_GET_DOORBELL)
	s_mov_b32 ttmp2, m0
	s_waitcnt lgkmcnt(0)
	s_and_b32 s0, s0, 0x3ff
	s_delay_alu instid0(SALU_CYCLE_1) | instskip(NEXT) | instid1(SALU_CYCLE_1)
	s_bitset1_b32 s0, 10
	s_mov_b32 m0, s0
	s_sendmsg sendmsg(MSG_INTERRUPT)
	s_mov_b32 m0, ttmp2
.LBB337_2176:                           ; =>This Inner Loop Header: Depth=1
	s_sethalt 5
	s_branch .LBB337_2176
.LBB337_2177:
	s_cbranch_execnz .LBB337_2181
; %bb.2178:
	s_mov_b32 s2, 0
	s_or_b32 s1, s1, exec_lo
	s_branch .LBB337_2172
.LBB337_2179:
	s_or_saveexec_b32 s5, s5
                                        ; implicit-def: $sgpr6
	s_delay_alu instid0(SALU_CYCLE_1)
	s_xor_b32 exec_lo, exec_lo, s5
	s_cbranch_execz .LBB337_2138
.LBB337_2180:
	v_add_f32_e64 v4, 0x42800000, |v3|
	s_and_not1_b32 s4, s4, exec_lo
	s_mov_b32 s6, 0
	s_delay_alu instid0(VALU_DEP_1) | instskip(NEXT) | instid1(VALU_DEP_1)
	v_and_b32_e32 v4, 0xff, v4
	v_cmp_ne_u32_e32 vcc_lo, 0, v4
	s_and_b32 s7, vcc_lo, exec_lo
	s_delay_alu instid0(SALU_CYCLE_1)
	s_or_b32 s4, s4, s7
	s_or_b32 exec_lo, exec_lo, s5
	v_mov_b32_e32 v5, s6
	s_and_saveexec_b32 s5, s4
	s_cbranch_execnz .LBB337_2139
	s_branch .LBB337_2140
.LBB337_2181:
	s_trap 2
	s_sendmsg_rtn_b32 s0, sendmsg(MSG_RTN_GET_DOORBELL)
	s_mov_b32 ttmp2, m0
	s_waitcnt lgkmcnt(0)
	s_and_b32 s0, s0, 0x3ff
	s_delay_alu instid0(SALU_CYCLE_1) | instskip(NEXT) | instid1(SALU_CYCLE_1)
	s_bitset1_b32 s0, 10
	s_mov_b32 m0, s0
	s_sendmsg sendmsg(MSG_INTERRUPT)
	s_mov_b32 m0, ttmp2
.LBB337_2182:                           ; =>This Inner Loop Header: Depth=1
	s_sethalt 5
	s_branch .LBB337_2182
	.section	.rodata,"a",@progbits
	.p2align	6, 0x0
	.amdhsa_kernel _ZN2at6native32elementwise_kernel_manual_unrollILi128ELi4EZNS0_15gpu_kernel_implIZZZNS0_17clamp_kernel_cudaERNS_18TensorIteratorBaseERKN3c106ScalarES8_ENKUlvE_clEvENKUlvE6_clEvEUlNS5_4HalfEE_EEvS4_RKT_EUlibE0_EEviT1_
		.amdhsa_group_segment_fixed_size 0
		.amdhsa_private_segment_fixed_size 0
		.amdhsa_kernarg_size 360
		.amdhsa_user_sgpr_count 15
		.amdhsa_user_sgpr_dispatch_ptr 0
		.amdhsa_user_sgpr_queue_ptr 0
		.amdhsa_user_sgpr_kernarg_segment_ptr 1
		.amdhsa_user_sgpr_dispatch_id 0
		.amdhsa_user_sgpr_private_segment_size 0
		.amdhsa_wavefront_size32 1
		.amdhsa_uses_dynamic_stack 0
		.amdhsa_enable_private_segment 0
		.amdhsa_system_sgpr_workgroup_id_x 1
		.amdhsa_system_sgpr_workgroup_id_y 0
		.amdhsa_system_sgpr_workgroup_id_z 0
		.amdhsa_system_sgpr_workgroup_info 0
		.amdhsa_system_vgpr_workitem_id 0
		.amdhsa_next_free_vgpr 18
		.amdhsa_next_free_sgpr 68
		.amdhsa_reserve_vcc 1
		.amdhsa_float_round_mode_32 0
		.amdhsa_float_round_mode_16_64 0
		.amdhsa_float_denorm_mode_32 3
		.amdhsa_float_denorm_mode_16_64 3
		.amdhsa_dx10_clamp 1
		.amdhsa_ieee_mode 1
		.amdhsa_fp16_overflow 0
		.amdhsa_workgroup_processor_mode 1
		.amdhsa_memory_ordered 1
		.amdhsa_forward_progress 0
		.amdhsa_shared_vgpr_count 0
		.amdhsa_exception_fp_ieee_invalid_op 0
		.amdhsa_exception_fp_denorm_src 0
		.amdhsa_exception_fp_ieee_div_zero 0
		.amdhsa_exception_fp_ieee_overflow 0
		.amdhsa_exception_fp_ieee_underflow 0
		.amdhsa_exception_fp_ieee_inexact 0
		.amdhsa_exception_int_div_zero 0
	.end_amdhsa_kernel
	.section	.text._ZN2at6native32elementwise_kernel_manual_unrollILi128ELi4EZNS0_15gpu_kernel_implIZZZNS0_17clamp_kernel_cudaERNS_18TensorIteratorBaseERKN3c106ScalarES8_ENKUlvE_clEvENKUlvE6_clEvEUlNS5_4HalfEE_EEvS4_RKT_EUlibE0_EEviT1_,"axG",@progbits,_ZN2at6native32elementwise_kernel_manual_unrollILi128ELi4EZNS0_15gpu_kernel_implIZZZNS0_17clamp_kernel_cudaERNS_18TensorIteratorBaseERKN3c106ScalarES8_ENKUlvE_clEvENKUlvE6_clEvEUlNS5_4HalfEE_EEvS4_RKT_EUlibE0_EEviT1_,comdat
.Lfunc_end337:
	.size	_ZN2at6native32elementwise_kernel_manual_unrollILi128ELi4EZNS0_15gpu_kernel_implIZZZNS0_17clamp_kernel_cudaERNS_18TensorIteratorBaseERKN3c106ScalarES8_ENKUlvE_clEvENKUlvE6_clEvEUlNS5_4HalfEE_EEvS4_RKT_EUlibE0_EEviT1_, .Lfunc_end337-_ZN2at6native32elementwise_kernel_manual_unrollILi128ELi4EZNS0_15gpu_kernel_implIZZZNS0_17clamp_kernel_cudaERNS_18TensorIteratorBaseERKN3c106ScalarES8_ENKUlvE_clEvENKUlvE6_clEvEUlNS5_4HalfEE_EEvS4_RKT_EUlibE0_EEviT1_
                                        ; -- End function
	.section	.AMDGPU.csdata,"",@progbits
; Kernel info:
; codeLenInByte = 43076
; NumSgprs: 70
; NumVgprs: 18
; ScratchSize: 0
; MemoryBound: 0
; FloatMode: 240
; IeeeMode: 1
; LDSByteSize: 0 bytes/workgroup (compile time only)
; SGPRBlocks: 8
; VGPRBlocks: 2
; NumSGPRsForWavesPerEU: 70
; NumVGPRsForWavesPerEU: 18
; Occupancy: 16
; WaveLimiterHint : 1
; COMPUTE_PGM_RSRC2:SCRATCH_EN: 0
; COMPUTE_PGM_RSRC2:USER_SGPR: 15
; COMPUTE_PGM_RSRC2:TRAP_HANDLER: 0
; COMPUTE_PGM_RSRC2:TGID_X_EN: 1
; COMPUTE_PGM_RSRC2:TGID_Y_EN: 0
; COMPUTE_PGM_RSRC2:TGID_Z_EN: 0
; COMPUTE_PGM_RSRC2:TIDIG_COMP_CNT: 0
	.section	.text._ZN2at6native29vectorized_elementwise_kernelILi16EZZZNS0_17clamp_kernel_cudaERNS_18TensorIteratorBaseERKN3c106ScalarES7_ENKUlvE_clEvENKUlvE7_clEvEUlNS4_8BFloat16EE_St5arrayIPcLm2EEEEviT0_T1_,"axG",@progbits,_ZN2at6native29vectorized_elementwise_kernelILi16EZZZNS0_17clamp_kernel_cudaERNS_18TensorIteratorBaseERKN3c106ScalarES7_ENKUlvE_clEvENKUlvE7_clEvEUlNS4_8BFloat16EE_St5arrayIPcLm2EEEEviT0_T1_,comdat
	.globl	_ZN2at6native29vectorized_elementwise_kernelILi16EZZZNS0_17clamp_kernel_cudaERNS_18TensorIteratorBaseERKN3c106ScalarES7_ENKUlvE_clEvENKUlvE7_clEvEUlNS4_8BFloat16EE_St5arrayIPcLm2EEEEviT0_T1_ ; -- Begin function _ZN2at6native29vectorized_elementwise_kernelILi16EZZZNS0_17clamp_kernel_cudaERNS_18TensorIteratorBaseERKN3c106ScalarES7_ENKUlvE_clEvENKUlvE7_clEvEUlNS4_8BFloat16EE_St5arrayIPcLm2EEEEviT0_T1_
	.p2align	8
	.type	_ZN2at6native29vectorized_elementwise_kernelILi16EZZZNS0_17clamp_kernel_cudaERNS_18TensorIteratorBaseERKN3c106ScalarES7_ENKUlvE_clEvENKUlvE7_clEvEUlNS4_8BFloat16EE_St5arrayIPcLm2EEEEviT0_T1_,@function
_ZN2at6native29vectorized_elementwise_kernelILi16EZZZNS0_17clamp_kernel_cudaERNS_18TensorIteratorBaseERKN3c106ScalarES7_ENKUlvE_clEvENKUlvE7_clEvEUlNS4_8BFloat16EE_St5arrayIPcLm2EEEEviT0_T1_: ; @_ZN2at6native29vectorized_elementwise_kernelILi16EZZZNS0_17clamp_kernel_cudaERNS_18TensorIteratorBaseERKN3c106ScalarES7_ENKUlvE_clEvENKUlvE7_clEvEUlNS4_8BFloat16EE_St5arrayIPcLm2EEEEviT0_T1_
; %bb.0:
	s_clause 0x1
	s_load_b64 s[8:9], s[0:1], 0x0
	s_load_b128 s[4:7], s[0:1], 0x8
	s_lshl_b32 s2, s15, 11
	s_mov_b32 s0, -1
	s_waitcnt lgkmcnt(0)
	s_sub_i32 s8, s8, s2
	s_delay_alu instid0(SALU_CYCLE_1)
	s_cmpk_gt_i32 s8, 0x7ff
	s_cbranch_scc0 .LBB338_2
; %bb.1:
	s_ashr_i32 s3, s2, 31
	v_lshlrev_b32_e32 v5, 4, v0
	s_lshl_b64 s[0:1], s[2:3], 1
	s_lshr_b32 s3, s9, 16
	s_add_u32 s10, s6, s0
	s_addc_u32 s11, s7, s1
	global_load_b128 v[1:4], v5, s[10:11]
	s_lshl_b32 s10, s9, 16
	s_and_b32 s11, s9, 0xffff0000
	s_waitcnt vmcnt(0)
	v_lshrrev_b32_e32 v14, 16, v3
	v_and_b32_e32 v6, 0xffff0000, v1
	v_lshrrev_b32_e32 v8, 16, v1
	v_and_b32_e32 v9, 0xffff0000, v2
	;; [unrolled: 2-line block ×3, first 2 shown]
	v_cmp_lt_f32_e32 vcc_lo, s10, v6
	v_lshlrev_b32_e32 v7, 16, v1
	v_and_b32_e32 v15, 0xffff0000, v4
	v_lshrrev_b32_e32 v17, 16, v4
	v_cndmask_b32_e32 v18, s9, v8, vcc_lo
	s_delay_alu instid0(VALU_DEP_4) | instskip(SKIP_1) | instid1(VALU_DEP_3)
	v_cmp_lt_f32_e32 vcc_lo, s10, v7
	v_lshlrev_b32_e32 v10, 16, v2
	v_lshlrev_b32_e32 v27, 16, v18
	v_cndmask_b32_e32 v19, s9, v1, vcc_lo
	v_cmp_lt_f32_e32 vcc_lo, s10, v9
	s_delay_alu instid0(VALU_DEP_2)
	v_lshlrev_b32_e32 v26, 16, v19
	v_cndmask_b32_e32 v20, s9, v11, vcc_lo
	v_cmp_lt_f32_e32 vcc_lo, s10, v10
	v_dual_cndmask_b32 v21, s9, v2 :: v_dual_lshlrev_b32 v16, 16, v4
	v_cmp_lt_f32_e32 vcc_lo, s10, v12
	v_lshlrev_b32_e32 v13, 16, v3
	s_delay_alu instid0(VALU_DEP_3) | instskip(SKIP_1) | instid1(VALU_DEP_3)
	v_lshlrev_b32_e32 v28, 16, v21
	v_cndmask_b32_e32 v22, s9, v14, vcc_lo
	v_cmp_lt_f32_e32 vcc_lo, s10, v13
	v_cndmask_b32_e32 v23, s9, v3, vcc_lo
	v_cmp_lt_f32_e32 vcc_lo, s10, v15
	v_cndmask_b32_e32 v24, s9, v17, vcc_lo
	v_cmp_lt_f32_e32 vcc_lo, s10, v16
	s_add_u32 s10, s4, s0
	s_mov_b32 s0, 0
	v_cndmask_b32_e32 v25, s9, v4, vcc_lo
	v_cmp_gt_f32_e32 vcc_lo, s11, v26
	s_delay_alu instid0(VALU_DEP_2) | instskip(SKIP_4) | instid1(VALU_DEP_3)
	v_dual_cndmask_b32 v19, s3, v19 :: v_dual_lshlrev_b32 v32, 16, v25
	v_cmp_gt_f32_e32 vcc_lo, s11, v27
	v_dual_cndmask_b32 v18, s3, v18 :: v_dual_lshlrev_b32 v29, 16, v20
	v_cmp_gt_f32_e32 vcc_lo, s11, v28
	;; [unrolled: 2-line block ×3, first 2 shown]
	v_dual_cndmask_b32 v20, s3, v20 :: v_dual_lshlrev_b32 v31, 16, v22
	s_delay_alu instid0(VALU_DEP_3) | instskip(SKIP_1) | instid1(VALU_DEP_3)
	v_cmp_gt_f32_e32 vcc_lo, s11, v30
	v_cndmask_b32_e32 v23, s3, v23, vcc_lo
	v_cmp_gt_f32_e32 vcc_lo, s11, v31
	v_dual_cndmask_b32 v22, s3, v22 :: v_dual_lshlrev_b32 v33, 16, v24
	v_cmp_gt_f32_e32 vcc_lo, s11, v32
	v_cndmask_b32_e32 v25, s3, v25, vcc_lo
	s_delay_alu instid0(VALU_DEP_3)
	v_cmp_gt_f32_e32 vcc_lo, s11, v33
	s_addc_u32 s11, s5, s1
	v_cndmask_b32_e32 v24, s3, v24, vcc_lo
	v_cmp_u_f32_e32 vcc_lo, v6, v6
	v_cndmask_b32_e32 v6, v18, v8, vcc_lo
	v_cmp_u_f32_e32 vcc_lo, v9, v9
	v_cndmask_b32_e32 v8, v20, v11, vcc_lo
	v_cmp_u_f32_e32 vcc_lo, v10, v10
	v_cndmask_b32_e32 v2, v21, v2, vcc_lo
	v_cmp_u_f32_e32 vcc_lo, v12, v12
	v_cndmask_b32_e32 v9, v22, v14, vcc_lo
	v_cmp_u_f32_e32 vcc_lo, v15, v15
	v_cndmask_b32_e32 v10, v24, v17, vcc_lo
	v_cmp_u_f32_e32 vcc_lo, v16, v16
	v_cndmask_b32_e32 v4, v25, v4, vcc_lo
	v_cmp_u_f32_e32 vcc_lo, v13, v13
	s_delay_alu instid0(VALU_DEP_2) | instskip(SKIP_3) | instid1(VALU_DEP_3)
	v_perm_b32 v4, v10, v4, 0x5040100
	v_cndmask_b32_e32 v3, v23, v3, vcc_lo
	v_cmp_u_f32_e32 vcc_lo, v7, v7
	v_perm_b32 v2, v8, v2, 0x5040100
	v_perm_b32 v3, v9, v3, 0x5040100
	v_cndmask_b32_e32 v1, v19, v1, vcc_lo
	s_delay_alu instid0(VALU_DEP_1)
	v_perm_b32 v1, v6, v1, 0x5040100
	global_store_b128 v5, v[1:4], s[10:11]
.LBB338_2:
	s_and_not1_b32 vcc_lo, exec_lo, s0
	s_cbranch_vccnz .LBB338_57
; %bb.3:
	v_cmp_gt_i32_e32 vcc_lo, s8, v0
	v_dual_mov_b32 v3, 0 :: v_dual_mov_b32 v2, v0
	v_or_b32_e32 v1, s2, v0
	v_or_b32_e32 v4, 0x100, v0
	v_mov_b32_e32 v7, 0
	s_and_saveexec_b32 s1, vcc_lo
	s_cbranch_execz .LBB338_5
; %bb.4:
	v_mov_b32_e32 v2, 0
	s_delay_alu instid0(VALU_DEP_1) | instskip(SKIP_1) | instid1(VALU_DEP_2)
	v_lshlrev_b64 v[5:6], 1, v[1:2]
	v_or_b32_e32 v2, 0x100, v0
	v_add_co_u32 v5, s0, s6, v5
	s_delay_alu instid0(VALU_DEP_1)
	v_add_co_ci_u32_e64 v6, s0, s7, v6, s0
	global_load_u16 v7, v[5:6], off
.LBB338_5:
	s_or_b32 exec_lo, exec_lo, s1
	s_delay_alu instid0(SALU_CYCLE_1)
	s_mov_b32 s1, exec_lo
	v_cmpx_gt_i32_e64 s8, v2
	s_cbranch_execz .LBB338_7
; %bb.6:
	v_dual_mov_b32 v6, 0 :: v_dual_add_nc_u32 v5, s2, v2
	v_add_nc_u32_e32 v2, 0x100, v2
	s_delay_alu instid0(VALU_DEP_2) | instskip(NEXT) | instid1(VALU_DEP_1)
	v_lshlrev_b64 v[5:6], 1, v[5:6]
	v_add_co_u32 v5, s0, s6, v5
	s_delay_alu instid0(VALU_DEP_1)
	v_add_co_ci_u32_e64 v6, s0, s7, v6, s0
	global_load_u16 v3, v[5:6], off
.LBB338_7:
	s_or_b32 exec_lo, exec_lo, s1
	v_mov_b32_e32 v5, 0
	v_mov_b32_e32 v9, 0
	s_mov_b32 s1, exec_lo
	v_cmpx_gt_i32_e64 s8, v2
	s_cbranch_execz .LBB338_9
; %bb.8:
	v_dual_mov_b32 v9, 0 :: v_dual_add_nc_u32 v8, s2, v2
	v_add_nc_u32_e32 v2, 0x100, v2
	s_delay_alu instid0(VALU_DEP_2) | instskip(NEXT) | instid1(VALU_DEP_1)
	v_lshlrev_b64 v[8:9], 1, v[8:9]
	v_add_co_u32 v8, s0, s6, v8
	s_delay_alu instid0(VALU_DEP_1)
	v_add_co_ci_u32_e64 v9, s0, s7, v9, s0
	global_load_u16 v9, v[8:9], off
.LBB338_9:
	s_or_b32 exec_lo, exec_lo, s1
	s_delay_alu instid0(SALU_CYCLE_1)
	s_mov_b32 s1, exec_lo
	v_cmpx_gt_i32_e64 s8, v2
	s_cbranch_execz .LBB338_11
; %bb.10:
	v_dual_mov_b32 v6, 0 :: v_dual_add_nc_u32 v5, s2, v2
	v_add_nc_u32_e32 v2, 0x100, v2
	s_delay_alu instid0(VALU_DEP_2) | instskip(NEXT) | instid1(VALU_DEP_1)
	v_lshlrev_b64 v[5:6], 1, v[5:6]
	v_add_co_u32 v5, s0, s6, v5
	s_delay_alu instid0(VALU_DEP_1)
	v_add_co_ci_u32_e64 v6, s0, s7, v6, s0
	global_load_u16 v5, v[5:6], off
.LBB338_11:
	s_or_b32 exec_lo, exec_lo, s1
	v_mov_b32_e32 v6, 0
	v_mov_b32_e32 v10, 0
	s_mov_b32 s1, exec_lo
	v_cmpx_gt_i32_e64 s8, v2
	s_cbranch_execz .LBB338_13
; %bb.12:
	v_dual_mov_b32 v11, 0 :: v_dual_add_nc_u32 v10, s2, v2
	v_add_nc_u32_e32 v2, 0x100, v2
	s_delay_alu instid0(VALU_DEP_2) | instskip(NEXT) | instid1(VALU_DEP_1)
	v_lshlrev_b64 v[10:11], 1, v[10:11]
	v_add_co_u32 v10, s0, s6, v10
	s_delay_alu instid0(VALU_DEP_1)
	v_add_co_ci_u32_e64 v11, s0, s7, v11, s0
	global_load_u16 v10, v[10:11], off
.LBB338_13:
	s_or_b32 exec_lo, exec_lo, s1
	s_delay_alu instid0(SALU_CYCLE_1)
	s_mov_b32 s1, exec_lo
	v_cmpx_gt_i32_e64 s8, v2
	s_cbranch_execz .LBB338_15
; %bb.14:
	v_dual_mov_b32 v12, 0 :: v_dual_add_nc_u32 v11, s2, v2
	v_add_nc_u32_e32 v2, 0x100, v2
	s_delay_alu instid0(VALU_DEP_2) | instskip(NEXT) | instid1(VALU_DEP_1)
	v_lshlrev_b64 v[11:12], 1, v[11:12]
	v_add_co_u32 v11, s0, s6, v11
	s_delay_alu instid0(VALU_DEP_1)
	v_add_co_ci_u32_e64 v12, s0, s7, v12, s0
	global_load_u16 v6, v[11:12], off
.LBB338_15:
	s_or_b32 exec_lo, exec_lo, s1
	v_dual_mov_b32 v8, 0 :: v_dual_mov_b32 v11, 0
	s_mov_b32 s1, exec_lo
	v_cmpx_gt_i32_e64 s8, v2
	s_cbranch_execz .LBB338_17
; %bb.16:
	v_dual_mov_b32 v12, 0 :: v_dual_add_nc_u32 v11, s2, v2
	v_add_nc_u32_e32 v2, 0x100, v2
	s_delay_alu instid0(VALU_DEP_2) | instskip(NEXT) | instid1(VALU_DEP_1)
	v_lshlrev_b64 v[11:12], 1, v[11:12]
	v_add_co_u32 v11, s0, s6, v11
	s_delay_alu instid0(VALU_DEP_1)
	v_add_co_ci_u32_e64 v12, s0, s7, v12, s0
	global_load_u16 v11, v[11:12], off
.LBB338_17:
	s_or_b32 exec_lo, exec_lo, s1
	s_delay_alu instid0(SALU_CYCLE_1)
	s_mov_b32 s1, exec_lo
	v_cmpx_gt_i32_e64 s8, v2
	s_cbranch_execz .LBB338_19
; %bb.18:
	v_dual_mov_b32 v13, 0 :: v_dual_add_nc_u32 v12, s2, v2
	s_delay_alu instid0(VALU_DEP_1) | instskip(NEXT) | instid1(VALU_DEP_1)
	v_lshlrev_b64 v[12:13], 1, v[12:13]
	v_add_co_u32 v12, s0, s6, v12
	s_delay_alu instid0(VALU_DEP_1)
	v_add_co_ci_u32_e64 v13, s0, s7, v13, s0
	global_load_u16 v8, v[12:13], off
.LBB338_19:
	s_or_b32 exec_lo, exec_lo, s1
	s_lshr_b32 s1, s9, 16
	s_lshl_b32 s6, s9, 16
	s_and_b32 s3, s9, 0xffff0000
	s_and_saveexec_b32 s7, vcc_lo
	s_cbranch_execz .LBB338_23
; %bb.20:
	s_waitcnt vmcnt(0)
	v_lshlrev_b32_e32 v2, 16, v7
	s_mov_b32 s10, exec_lo
	s_delay_alu instid0(VALU_DEP_1)
	v_cmpx_o_f32_e32 v2, v2
; %bb.21:
	v_cmp_lt_f32_e64 s0, s6, v2
	s_delay_alu instid0(VALU_DEP_1) | instskip(NEXT) | instid1(VALU_DEP_1)
	v_cndmask_b32_e64 v2, s9, v7, s0
	v_lshlrev_b32_e32 v7, 16, v2
	s_delay_alu instid0(VALU_DEP_1) | instskip(NEXT) | instid1(VALU_DEP_1)
	v_cmp_gt_f32_e64 s0, s3, v7
	v_cndmask_b32_e64 v7, s1, v2, s0
; %bb.22:
	s_or_b32 exec_lo, exec_lo, s10
.LBB338_23:
	s_delay_alu instid0(SALU_CYCLE_1) | instskip(NEXT) | instid1(SALU_CYCLE_1)
	s_or_b32 exec_lo, exec_lo, s7
	s_mov_b32 s7, exec_lo
	v_cmpx_gt_i32_e64 s8, v4
	s_cbranch_execz .LBB338_27
; %bb.24:
	s_waitcnt vmcnt(0)
	v_lshlrev_b32_e32 v2, 16, v3
	s_mov_b32 s10, exec_lo
	s_delay_alu instid0(VALU_DEP_1)
	v_cmpx_o_f32_e32 v2, v2
; %bb.25:
	v_cmp_lt_f32_e64 s0, s6, v2
	s_delay_alu instid0(VALU_DEP_1) | instskip(NEXT) | instid1(VALU_DEP_1)
	v_cndmask_b32_e64 v2, s9, v3, s0
	v_lshlrev_b32_e32 v3, 16, v2
	s_delay_alu instid0(VALU_DEP_1) | instskip(NEXT) | instid1(VALU_DEP_1)
	v_cmp_gt_f32_e64 s0, s3, v3
	v_cndmask_b32_e64 v3, s1, v2, s0
; %bb.26:
	s_or_b32 exec_lo, exec_lo, s10
.LBB338_27:
	s_delay_alu instid0(SALU_CYCLE_1) | instskip(SKIP_2) | instid1(VALU_DEP_1)
	s_or_b32 exec_lo, exec_lo, s7
	v_or_b32_e32 v2, 0x200, v0
	s_mov_b32 s7, exec_lo
	v_cmpx_gt_i32_e64 s8, v2
	s_cbranch_execz .LBB338_31
; %bb.28:
	s_waitcnt vmcnt(0)
	v_lshlrev_b32_e32 v2, 16, v9
	s_mov_b32 s10, exec_lo
	s_delay_alu instid0(VALU_DEP_1)
	v_cmpx_o_f32_e32 v2, v2
; %bb.29:
	v_cmp_lt_f32_e64 s0, s6, v2
	s_delay_alu instid0(VALU_DEP_1) | instskip(NEXT) | instid1(VALU_DEP_1)
	v_cndmask_b32_e64 v2, s9, v9, s0
	v_lshlrev_b32_e32 v9, 16, v2
	s_delay_alu instid0(VALU_DEP_1) | instskip(NEXT) | instid1(VALU_DEP_1)
	v_cmp_gt_f32_e64 s0, s3, v9
	v_cndmask_b32_e64 v9, s1, v2, s0
; %bb.30:
	s_or_b32 exec_lo, exec_lo, s10
.LBB338_31:
	s_delay_alu instid0(SALU_CYCLE_1) | instskip(SKIP_2) | instid1(VALU_DEP_1)
	s_or_b32 exec_lo, exec_lo, s7
	v_or_b32_e32 v2, 0x300, v0
	;; [unrolled: 23-line block ×6, first 2 shown]
	s_mov_b32 s7, exec_lo
	v_cmpx_gt_i32_e64 s8, v2
	s_cbranch_execnz .LBB338_58
; %bb.48:
	s_or_b32 exec_lo, exec_lo, s7
	s_and_saveexec_b32 s0, vcc_lo
	s_delay_alu instid0(SALU_CYCLE_1)
	s_xor_b32 s0, exec_lo, s0
	s_cbranch_execnz .LBB338_61
.LBB338_49:
	s_or_b32 exec_lo, exec_lo, s0
	s_delay_alu instid0(SALU_CYCLE_1)
	s_mov_b32 s0, exec_lo
	v_cmpx_gt_i32_e64 s8, v0
	s_cbranch_execnz .LBB338_62
.LBB338_50:
	s_or_b32 exec_lo, exec_lo, s0
	s_delay_alu instid0(SALU_CYCLE_1)
	s_mov_b32 s0, exec_lo
	v_cmpx_gt_i32_e64 s8, v0
	s_cbranch_execnz .LBB338_63
.LBB338_51:
	s_or_b32 exec_lo, exec_lo, s0
	s_delay_alu instid0(SALU_CYCLE_1)
	s_mov_b32 s0, exec_lo
	v_cmpx_gt_i32_e64 s8, v0
	s_cbranch_execnz .LBB338_64
.LBB338_52:
	s_or_b32 exec_lo, exec_lo, s0
	s_delay_alu instid0(SALU_CYCLE_1)
	s_mov_b32 s0, exec_lo
	v_cmpx_gt_i32_e64 s8, v0
	s_cbranch_execnz .LBB338_65
.LBB338_53:
	s_or_b32 exec_lo, exec_lo, s0
	s_delay_alu instid0(SALU_CYCLE_1)
	s_mov_b32 s0, exec_lo
	v_cmpx_gt_i32_e64 s8, v0
	s_cbranch_execnz .LBB338_66
.LBB338_54:
	s_or_b32 exec_lo, exec_lo, s0
	s_delay_alu instid0(SALU_CYCLE_1)
	s_mov_b32 s0, exec_lo
	v_cmpx_gt_i32_e64 s8, v0
	s_cbranch_execnz .LBB338_67
.LBB338_55:
	s_or_b32 exec_lo, exec_lo, s0
	s_delay_alu instid0(SALU_CYCLE_1)
	s_mov_b32 s0, exec_lo
	v_cmpx_gt_i32_e64 s8, v0
	s_cbranch_execz .LBB338_57
.LBB338_56:
	v_dual_mov_b32 v1, 0 :: v_dual_add_nc_u32 v0, s2, v0
	s_delay_alu instid0(VALU_DEP_1) | instskip(NEXT) | instid1(VALU_DEP_1)
	v_lshlrev_b64 v[0:1], 1, v[0:1]
	v_add_co_u32 v0, vcc_lo, s4, v0
	s_delay_alu instid0(VALU_DEP_2)
	v_add_co_ci_u32_e32 v1, vcc_lo, s5, v1, vcc_lo
	s_waitcnt vmcnt(0)
	global_store_b16 v[0:1], v8, off
.LBB338_57:
	s_nop 0
	s_sendmsg sendmsg(MSG_DEALLOC_VGPRS)
	s_endpgm
.LBB338_58:
	s_waitcnt vmcnt(0)
	v_lshlrev_b32_e32 v2, 16, v8
	s_mov_b32 s10, exec_lo
	s_delay_alu instid0(VALU_DEP_1)
	v_cmpx_o_f32_e32 v2, v2
; %bb.59:
	v_cmp_lt_f32_e64 s0, s6, v2
	s_delay_alu instid0(VALU_DEP_1) | instskip(NEXT) | instid1(VALU_DEP_1)
	v_cndmask_b32_e64 v2, s9, v8, s0
	v_lshlrev_b32_e32 v8, 16, v2
	s_delay_alu instid0(VALU_DEP_1) | instskip(NEXT) | instid1(VALU_DEP_1)
	v_cmp_gt_f32_e64 s0, s3, v8
	v_cndmask_b32_e64 v8, s1, v2, s0
; %bb.60:
	s_or_b32 exec_lo, exec_lo, s10
	s_delay_alu instid0(SALU_CYCLE_1) | instskip(SKIP_1) | instid1(SALU_CYCLE_1)
	s_or_b32 exec_lo, exec_lo, s7
	s_and_saveexec_b32 s0, vcc_lo
	s_xor_b32 s0, exec_lo, s0
	s_cbranch_execz .LBB338_49
.LBB338_61:
	v_mov_b32_e32 v2, 0
	s_delay_alu instid0(VALU_DEP_1) | instskip(NEXT) | instid1(VALU_DEP_1)
	v_lshlrev_b64 v[0:1], 1, v[1:2]
	v_add_co_u32 v12, vcc_lo, s4, v0
	s_delay_alu instid0(VALU_DEP_2) | instskip(SKIP_4) | instid1(SALU_CYCLE_1)
	v_add_co_ci_u32_e32 v13, vcc_lo, s5, v1, vcc_lo
	v_mov_b32_e32 v0, v4
	s_waitcnt vmcnt(0)
	global_store_b16 v[12:13], v7, off
	s_or_b32 exec_lo, exec_lo, s0
	s_mov_b32 s0, exec_lo
	v_cmpx_gt_i32_e64 s8, v0
	s_cbranch_execz .LBB338_50
.LBB338_62:
	v_dual_mov_b32 v2, 0 :: v_dual_add_nc_u32 v1, s2, v0
	v_add_nc_u32_e32 v0, 0x100, v0
	s_delay_alu instid0(VALU_DEP_2) | instskip(NEXT) | instid1(VALU_DEP_1)
	v_lshlrev_b64 v[1:2], 1, v[1:2]
	v_add_co_u32 v1, vcc_lo, s4, v1
	s_delay_alu instid0(VALU_DEP_2) | instskip(SKIP_3) | instid1(SALU_CYCLE_1)
	v_add_co_ci_u32_e32 v2, vcc_lo, s5, v2, vcc_lo
	s_waitcnt vmcnt(0)
	global_store_b16 v[1:2], v3, off
	s_or_b32 exec_lo, exec_lo, s0
	s_mov_b32 s0, exec_lo
	v_cmpx_gt_i32_e64 s8, v0
	s_cbranch_execz .LBB338_51
.LBB338_63:
	v_dual_mov_b32 v2, 0 :: v_dual_add_nc_u32 v1, s2, v0
	v_add_nc_u32_e32 v0, 0x100, v0
	s_delay_alu instid0(VALU_DEP_2) | instskip(NEXT) | instid1(VALU_DEP_1)
	v_lshlrev_b64 v[1:2], 1, v[1:2]
	v_add_co_u32 v1, vcc_lo, s4, v1
	s_delay_alu instid0(VALU_DEP_2) | instskip(SKIP_3) | instid1(SALU_CYCLE_1)
	v_add_co_ci_u32_e32 v2, vcc_lo, s5, v2, vcc_lo
	s_waitcnt vmcnt(0)
	global_store_b16 v[1:2], v9, off
	s_or_b32 exec_lo, exec_lo, s0
	s_mov_b32 s0, exec_lo
	v_cmpx_gt_i32_e64 s8, v0
	s_cbranch_execz .LBB338_52
.LBB338_64:
	v_dual_mov_b32 v2, 0 :: v_dual_add_nc_u32 v1, s2, v0
	v_add_nc_u32_e32 v0, 0x100, v0
	s_delay_alu instid0(VALU_DEP_2) | instskip(NEXT) | instid1(VALU_DEP_1)
	v_lshlrev_b64 v[1:2], 1, v[1:2]
	v_add_co_u32 v1, vcc_lo, s4, v1
	s_delay_alu instid0(VALU_DEP_2) | instskip(SKIP_3) | instid1(SALU_CYCLE_1)
	v_add_co_ci_u32_e32 v2, vcc_lo, s5, v2, vcc_lo
	s_waitcnt vmcnt(0)
	global_store_b16 v[1:2], v5, off
	s_or_b32 exec_lo, exec_lo, s0
	s_mov_b32 s0, exec_lo
	v_cmpx_gt_i32_e64 s8, v0
	s_cbranch_execz .LBB338_53
.LBB338_65:
	v_dual_mov_b32 v2, 0 :: v_dual_add_nc_u32 v1, s2, v0
	v_add_nc_u32_e32 v0, 0x100, v0
	s_delay_alu instid0(VALU_DEP_2) | instskip(NEXT) | instid1(VALU_DEP_1)
	v_lshlrev_b64 v[1:2], 1, v[1:2]
	v_add_co_u32 v1, vcc_lo, s4, v1
	s_delay_alu instid0(VALU_DEP_2) | instskip(SKIP_3) | instid1(SALU_CYCLE_1)
	v_add_co_ci_u32_e32 v2, vcc_lo, s5, v2, vcc_lo
	s_waitcnt vmcnt(0)
	global_store_b16 v[1:2], v10, off
	s_or_b32 exec_lo, exec_lo, s0
	s_mov_b32 s0, exec_lo
	v_cmpx_gt_i32_e64 s8, v0
	s_cbranch_execz .LBB338_54
.LBB338_66:
	v_dual_mov_b32 v2, 0 :: v_dual_add_nc_u32 v1, s2, v0
	v_add_nc_u32_e32 v0, 0x100, v0
	s_delay_alu instid0(VALU_DEP_2) | instskip(NEXT) | instid1(VALU_DEP_1)
	v_lshlrev_b64 v[1:2], 1, v[1:2]
	v_add_co_u32 v1, vcc_lo, s4, v1
	s_delay_alu instid0(VALU_DEP_2) | instskip(SKIP_3) | instid1(SALU_CYCLE_1)
	v_add_co_ci_u32_e32 v2, vcc_lo, s5, v2, vcc_lo
	s_waitcnt vmcnt(0)
	global_store_b16 v[1:2], v6, off
	s_or_b32 exec_lo, exec_lo, s0
	s_mov_b32 s0, exec_lo
	v_cmpx_gt_i32_e64 s8, v0
	s_cbranch_execz .LBB338_55
.LBB338_67:
	v_dual_mov_b32 v2, 0 :: v_dual_add_nc_u32 v1, s2, v0
	v_add_nc_u32_e32 v0, 0x100, v0
	s_delay_alu instid0(VALU_DEP_2) | instskip(NEXT) | instid1(VALU_DEP_1)
	v_lshlrev_b64 v[1:2], 1, v[1:2]
	v_add_co_u32 v1, vcc_lo, s4, v1
	s_delay_alu instid0(VALU_DEP_2) | instskip(SKIP_3) | instid1(SALU_CYCLE_1)
	v_add_co_ci_u32_e32 v2, vcc_lo, s5, v2, vcc_lo
	s_waitcnt vmcnt(0)
	global_store_b16 v[1:2], v11, off
	s_or_b32 exec_lo, exec_lo, s0
	s_mov_b32 s0, exec_lo
	v_cmpx_gt_i32_e64 s8, v0
	s_cbranch_execnz .LBB338_56
	s_branch .LBB338_57
	.section	.rodata,"a",@progbits
	.p2align	6, 0x0
	.amdhsa_kernel _ZN2at6native29vectorized_elementwise_kernelILi16EZZZNS0_17clamp_kernel_cudaERNS_18TensorIteratorBaseERKN3c106ScalarES7_ENKUlvE_clEvENKUlvE7_clEvEUlNS4_8BFloat16EE_St5arrayIPcLm2EEEEviT0_T1_
		.amdhsa_group_segment_fixed_size 0
		.amdhsa_private_segment_fixed_size 0
		.amdhsa_kernarg_size 24
		.amdhsa_user_sgpr_count 15
		.amdhsa_user_sgpr_dispatch_ptr 0
		.amdhsa_user_sgpr_queue_ptr 0
		.amdhsa_user_sgpr_kernarg_segment_ptr 1
		.amdhsa_user_sgpr_dispatch_id 0
		.amdhsa_user_sgpr_private_segment_size 0
		.amdhsa_wavefront_size32 1
		.amdhsa_uses_dynamic_stack 0
		.amdhsa_enable_private_segment 0
		.amdhsa_system_sgpr_workgroup_id_x 1
		.amdhsa_system_sgpr_workgroup_id_y 0
		.amdhsa_system_sgpr_workgroup_id_z 0
		.amdhsa_system_sgpr_workgroup_info 0
		.amdhsa_system_vgpr_workitem_id 0
		.amdhsa_next_free_vgpr 34
		.amdhsa_next_free_sgpr 16
		.amdhsa_reserve_vcc 1
		.amdhsa_float_round_mode_32 0
		.amdhsa_float_round_mode_16_64 0
		.amdhsa_float_denorm_mode_32 3
		.amdhsa_float_denorm_mode_16_64 3
		.amdhsa_dx10_clamp 1
		.amdhsa_ieee_mode 1
		.amdhsa_fp16_overflow 0
		.amdhsa_workgroup_processor_mode 1
		.amdhsa_memory_ordered 1
		.amdhsa_forward_progress 0
		.amdhsa_shared_vgpr_count 0
		.amdhsa_exception_fp_ieee_invalid_op 0
		.amdhsa_exception_fp_denorm_src 0
		.amdhsa_exception_fp_ieee_div_zero 0
		.amdhsa_exception_fp_ieee_overflow 0
		.amdhsa_exception_fp_ieee_underflow 0
		.amdhsa_exception_fp_ieee_inexact 0
		.amdhsa_exception_int_div_zero 0
	.end_amdhsa_kernel
	.section	.text._ZN2at6native29vectorized_elementwise_kernelILi16EZZZNS0_17clamp_kernel_cudaERNS_18TensorIteratorBaseERKN3c106ScalarES7_ENKUlvE_clEvENKUlvE7_clEvEUlNS4_8BFloat16EE_St5arrayIPcLm2EEEEviT0_T1_,"axG",@progbits,_ZN2at6native29vectorized_elementwise_kernelILi16EZZZNS0_17clamp_kernel_cudaERNS_18TensorIteratorBaseERKN3c106ScalarES7_ENKUlvE_clEvENKUlvE7_clEvEUlNS4_8BFloat16EE_St5arrayIPcLm2EEEEviT0_T1_,comdat
.Lfunc_end338:
	.size	_ZN2at6native29vectorized_elementwise_kernelILi16EZZZNS0_17clamp_kernel_cudaERNS_18TensorIteratorBaseERKN3c106ScalarES7_ENKUlvE_clEvENKUlvE7_clEvEUlNS4_8BFloat16EE_St5arrayIPcLm2EEEEviT0_T1_, .Lfunc_end338-_ZN2at6native29vectorized_elementwise_kernelILi16EZZZNS0_17clamp_kernel_cudaERNS_18TensorIteratorBaseERKN3c106ScalarES7_ENKUlvE_clEvENKUlvE7_clEvEUlNS4_8BFloat16EE_St5arrayIPcLm2EEEEviT0_T1_
                                        ; -- End function
	.section	.AMDGPU.csdata,"",@progbits
; Kernel info:
; codeLenInByte = 2728
; NumSgprs: 18
; NumVgprs: 34
; ScratchSize: 0
; MemoryBound: 0
; FloatMode: 240
; IeeeMode: 1
; LDSByteSize: 0 bytes/workgroup (compile time only)
; SGPRBlocks: 2
; VGPRBlocks: 4
; NumSGPRsForWavesPerEU: 18
; NumVGPRsForWavesPerEU: 34
; Occupancy: 16
; WaveLimiterHint : 0
; COMPUTE_PGM_RSRC2:SCRATCH_EN: 0
; COMPUTE_PGM_RSRC2:USER_SGPR: 15
; COMPUTE_PGM_RSRC2:TRAP_HANDLER: 0
; COMPUTE_PGM_RSRC2:TGID_X_EN: 1
; COMPUTE_PGM_RSRC2:TGID_Y_EN: 0
; COMPUTE_PGM_RSRC2:TGID_Z_EN: 0
; COMPUTE_PGM_RSRC2:TIDIG_COMP_CNT: 0
	.section	.text._ZN2at6native29vectorized_elementwise_kernelILi8EZZZNS0_17clamp_kernel_cudaERNS_18TensorIteratorBaseERKN3c106ScalarES7_ENKUlvE_clEvENKUlvE7_clEvEUlNS4_8BFloat16EE_St5arrayIPcLm2EEEEviT0_T1_,"axG",@progbits,_ZN2at6native29vectorized_elementwise_kernelILi8EZZZNS0_17clamp_kernel_cudaERNS_18TensorIteratorBaseERKN3c106ScalarES7_ENKUlvE_clEvENKUlvE7_clEvEUlNS4_8BFloat16EE_St5arrayIPcLm2EEEEviT0_T1_,comdat
	.globl	_ZN2at6native29vectorized_elementwise_kernelILi8EZZZNS0_17clamp_kernel_cudaERNS_18TensorIteratorBaseERKN3c106ScalarES7_ENKUlvE_clEvENKUlvE7_clEvEUlNS4_8BFloat16EE_St5arrayIPcLm2EEEEviT0_T1_ ; -- Begin function _ZN2at6native29vectorized_elementwise_kernelILi8EZZZNS0_17clamp_kernel_cudaERNS_18TensorIteratorBaseERKN3c106ScalarES7_ENKUlvE_clEvENKUlvE7_clEvEUlNS4_8BFloat16EE_St5arrayIPcLm2EEEEviT0_T1_
	.p2align	8
	.type	_ZN2at6native29vectorized_elementwise_kernelILi8EZZZNS0_17clamp_kernel_cudaERNS_18TensorIteratorBaseERKN3c106ScalarES7_ENKUlvE_clEvENKUlvE7_clEvEUlNS4_8BFloat16EE_St5arrayIPcLm2EEEEviT0_T1_,@function
_ZN2at6native29vectorized_elementwise_kernelILi8EZZZNS0_17clamp_kernel_cudaERNS_18TensorIteratorBaseERKN3c106ScalarES7_ENKUlvE_clEvENKUlvE7_clEvEUlNS4_8BFloat16EE_St5arrayIPcLm2EEEEviT0_T1_: ; @_ZN2at6native29vectorized_elementwise_kernelILi8EZZZNS0_17clamp_kernel_cudaERNS_18TensorIteratorBaseERKN3c106ScalarES7_ENKUlvE_clEvENKUlvE7_clEvEUlNS4_8BFloat16EE_St5arrayIPcLm2EEEEviT0_T1_
; %bb.0:
	s_clause 0x1
	s_load_b64 s[8:9], s[0:1], 0x0
	s_load_b128 s[4:7], s[0:1], 0x8
	s_lshl_b32 s2, s15, 11
	s_mov_b32 s0, -1
	s_waitcnt lgkmcnt(0)
	s_sub_i32 s8, s8, s2
	s_delay_alu instid0(SALU_CYCLE_1)
	s_cmpk_gt_i32 s8, 0x7ff
	s_cbranch_scc0 .LBB339_2
; %bb.1:
	s_ashr_i32 s3, s2, 31
	v_lshlrev_b32_e32 v5, 4, v0
	s_lshl_b64 s[0:1], s[2:3], 1
	s_lshr_b32 s3, s9, 16
	s_add_u32 s10, s6, s0
	s_addc_u32 s11, s7, s1
	global_load_b128 v[1:4], v5, s[10:11]
	s_lshl_b32 s10, s9, 16
	s_and_b32 s11, s9, 0xffff0000
	s_waitcnt vmcnt(0)
	v_lshrrev_b32_e32 v14, 16, v3
	v_and_b32_e32 v6, 0xffff0000, v1
	v_lshrrev_b32_e32 v8, 16, v1
	v_and_b32_e32 v9, 0xffff0000, v2
	v_lshrrev_b32_e32 v11, 16, v2
	v_and_b32_e32 v12, 0xffff0000, v3
	v_cmp_lt_f32_e32 vcc_lo, s10, v6
	v_lshlrev_b32_e32 v7, 16, v1
	v_and_b32_e32 v15, 0xffff0000, v4
	v_lshrrev_b32_e32 v17, 16, v4
	v_cndmask_b32_e32 v18, s9, v8, vcc_lo
	s_delay_alu instid0(VALU_DEP_4) | instskip(SKIP_1) | instid1(VALU_DEP_3)
	v_cmp_lt_f32_e32 vcc_lo, s10, v7
	v_lshlrev_b32_e32 v10, 16, v2
	v_lshlrev_b32_e32 v27, 16, v18
	v_cndmask_b32_e32 v19, s9, v1, vcc_lo
	v_cmp_lt_f32_e32 vcc_lo, s10, v9
	s_delay_alu instid0(VALU_DEP_2)
	v_lshlrev_b32_e32 v26, 16, v19
	v_cndmask_b32_e32 v20, s9, v11, vcc_lo
	v_cmp_lt_f32_e32 vcc_lo, s10, v10
	v_dual_cndmask_b32 v21, s9, v2 :: v_dual_lshlrev_b32 v16, 16, v4
	v_cmp_lt_f32_e32 vcc_lo, s10, v12
	v_lshlrev_b32_e32 v13, 16, v3
	s_delay_alu instid0(VALU_DEP_3) | instskip(SKIP_1) | instid1(VALU_DEP_3)
	v_lshlrev_b32_e32 v28, 16, v21
	v_cndmask_b32_e32 v22, s9, v14, vcc_lo
	v_cmp_lt_f32_e32 vcc_lo, s10, v13
	v_cndmask_b32_e32 v23, s9, v3, vcc_lo
	v_cmp_lt_f32_e32 vcc_lo, s10, v15
	v_cndmask_b32_e32 v24, s9, v17, vcc_lo
	v_cmp_lt_f32_e32 vcc_lo, s10, v16
	s_add_u32 s10, s4, s0
	s_mov_b32 s0, 0
	v_cndmask_b32_e32 v25, s9, v4, vcc_lo
	v_cmp_gt_f32_e32 vcc_lo, s11, v26
	s_delay_alu instid0(VALU_DEP_2) | instskip(SKIP_4) | instid1(VALU_DEP_3)
	v_dual_cndmask_b32 v19, s3, v19 :: v_dual_lshlrev_b32 v32, 16, v25
	v_cmp_gt_f32_e32 vcc_lo, s11, v27
	v_dual_cndmask_b32 v18, s3, v18 :: v_dual_lshlrev_b32 v29, 16, v20
	v_cmp_gt_f32_e32 vcc_lo, s11, v28
	;; [unrolled: 2-line block ×3, first 2 shown]
	v_dual_cndmask_b32 v20, s3, v20 :: v_dual_lshlrev_b32 v31, 16, v22
	s_delay_alu instid0(VALU_DEP_3) | instskip(SKIP_1) | instid1(VALU_DEP_3)
	v_cmp_gt_f32_e32 vcc_lo, s11, v30
	v_cndmask_b32_e32 v23, s3, v23, vcc_lo
	v_cmp_gt_f32_e32 vcc_lo, s11, v31
	v_dual_cndmask_b32 v22, s3, v22 :: v_dual_lshlrev_b32 v33, 16, v24
	v_cmp_gt_f32_e32 vcc_lo, s11, v32
	v_cndmask_b32_e32 v25, s3, v25, vcc_lo
	s_delay_alu instid0(VALU_DEP_3)
	v_cmp_gt_f32_e32 vcc_lo, s11, v33
	s_addc_u32 s11, s5, s1
	v_cndmask_b32_e32 v24, s3, v24, vcc_lo
	v_cmp_u_f32_e32 vcc_lo, v6, v6
	v_cndmask_b32_e32 v6, v18, v8, vcc_lo
	v_cmp_u_f32_e32 vcc_lo, v9, v9
	;; [unrolled: 2-line block ×7, first 2 shown]
	s_delay_alu instid0(VALU_DEP_2) | instskip(SKIP_3) | instid1(VALU_DEP_3)
	v_perm_b32 v4, v10, v4, 0x5040100
	v_cndmask_b32_e32 v3, v23, v3, vcc_lo
	v_cmp_u_f32_e32 vcc_lo, v7, v7
	v_perm_b32 v2, v8, v2, 0x5040100
	v_perm_b32 v3, v9, v3, 0x5040100
	v_cndmask_b32_e32 v1, v19, v1, vcc_lo
	s_delay_alu instid0(VALU_DEP_1)
	v_perm_b32 v1, v6, v1, 0x5040100
	global_store_b128 v5, v[1:4], s[10:11]
.LBB339_2:
	s_and_not1_b32 vcc_lo, exec_lo, s0
	s_cbranch_vccnz .LBB339_57
; %bb.3:
	v_cmp_gt_i32_e32 vcc_lo, s8, v0
	v_dual_mov_b32 v3, 0 :: v_dual_mov_b32 v2, v0
	v_or_b32_e32 v1, s2, v0
	v_or_b32_e32 v4, 0x100, v0
	v_mov_b32_e32 v7, 0
	s_and_saveexec_b32 s1, vcc_lo
	s_cbranch_execz .LBB339_5
; %bb.4:
	v_mov_b32_e32 v2, 0
	s_delay_alu instid0(VALU_DEP_1) | instskip(SKIP_1) | instid1(VALU_DEP_2)
	v_lshlrev_b64 v[5:6], 1, v[1:2]
	v_or_b32_e32 v2, 0x100, v0
	v_add_co_u32 v5, s0, s6, v5
	s_delay_alu instid0(VALU_DEP_1)
	v_add_co_ci_u32_e64 v6, s0, s7, v6, s0
	global_load_u16 v7, v[5:6], off
.LBB339_5:
	s_or_b32 exec_lo, exec_lo, s1
	s_delay_alu instid0(SALU_CYCLE_1)
	s_mov_b32 s1, exec_lo
	v_cmpx_gt_i32_e64 s8, v2
	s_cbranch_execz .LBB339_7
; %bb.6:
	v_dual_mov_b32 v6, 0 :: v_dual_add_nc_u32 v5, s2, v2
	v_add_nc_u32_e32 v2, 0x100, v2
	s_delay_alu instid0(VALU_DEP_2) | instskip(NEXT) | instid1(VALU_DEP_1)
	v_lshlrev_b64 v[5:6], 1, v[5:6]
	v_add_co_u32 v5, s0, s6, v5
	s_delay_alu instid0(VALU_DEP_1)
	v_add_co_ci_u32_e64 v6, s0, s7, v6, s0
	global_load_u16 v3, v[5:6], off
.LBB339_7:
	s_or_b32 exec_lo, exec_lo, s1
	v_mov_b32_e32 v5, 0
	v_mov_b32_e32 v9, 0
	s_mov_b32 s1, exec_lo
	v_cmpx_gt_i32_e64 s8, v2
	s_cbranch_execz .LBB339_9
; %bb.8:
	v_dual_mov_b32 v9, 0 :: v_dual_add_nc_u32 v8, s2, v2
	v_add_nc_u32_e32 v2, 0x100, v2
	s_delay_alu instid0(VALU_DEP_2) | instskip(NEXT) | instid1(VALU_DEP_1)
	v_lshlrev_b64 v[8:9], 1, v[8:9]
	v_add_co_u32 v8, s0, s6, v8
	s_delay_alu instid0(VALU_DEP_1)
	v_add_co_ci_u32_e64 v9, s0, s7, v9, s0
	global_load_u16 v9, v[8:9], off
.LBB339_9:
	s_or_b32 exec_lo, exec_lo, s1
	s_delay_alu instid0(SALU_CYCLE_1)
	s_mov_b32 s1, exec_lo
	v_cmpx_gt_i32_e64 s8, v2
	s_cbranch_execz .LBB339_11
; %bb.10:
	v_dual_mov_b32 v6, 0 :: v_dual_add_nc_u32 v5, s2, v2
	v_add_nc_u32_e32 v2, 0x100, v2
	s_delay_alu instid0(VALU_DEP_2) | instskip(NEXT) | instid1(VALU_DEP_1)
	v_lshlrev_b64 v[5:6], 1, v[5:6]
	v_add_co_u32 v5, s0, s6, v5
	s_delay_alu instid0(VALU_DEP_1)
	v_add_co_ci_u32_e64 v6, s0, s7, v6, s0
	global_load_u16 v5, v[5:6], off
.LBB339_11:
	s_or_b32 exec_lo, exec_lo, s1
	v_mov_b32_e32 v6, 0
	v_mov_b32_e32 v10, 0
	s_mov_b32 s1, exec_lo
	v_cmpx_gt_i32_e64 s8, v2
	s_cbranch_execz .LBB339_13
; %bb.12:
	v_dual_mov_b32 v11, 0 :: v_dual_add_nc_u32 v10, s2, v2
	v_add_nc_u32_e32 v2, 0x100, v2
	s_delay_alu instid0(VALU_DEP_2) | instskip(NEXT) | instid1(VALU_DEP_1)
	v_lshlrev_b64 v[10:11], 1, v[10:11]
	v_add_co_u32 v10, s0, s6, v10
	s_delay_alu instid0(VALU_DEP_1)
	v_add_co_ci_u32_e64 v11, s0, s7, v11, s0
	global_load_u16 v10, v[10:11], off
.LBB339_13:
	s_or_b32 exec_lo, exec_lo, s1
	s_delay_alu instid0(SALU_CYCLE_1)
	s_mov_b32 s1, exec_lo
	v_cmpx_gt_i32_e64 s8, v2
	s_cbranch_execz .LBB339_15
; %bb.14:
	v_dual_mov_b32 v12, 0 :: v_dual_add_nc_u32 v11, s2, v2
	v_add_nc_u32_e32 v2, 0x100, v2
	s_delay_alu instid0(VALU_DEP_2) | instskip(NEXT) | instid1(VALU_DEP_1)
	v_lshlrev_b64 v[11:12], 1, v[11:12]
	v_add_co_u32 v11, s0, s6, v11
	s_delay_alu instid0(VALU_DEP_1)
	v_add_co_ci_u32_e64 v12, s0, s7, v12, s0
	global_load_u16 v6, v[11:12], off
.LBB339_15:
	s_or_b32 exec_lo, exec_lo, s1
	v_dual_mov_b32 v8, 0 :: v_dual_mov_b32 v11, 0
	s_mov_b32 s1, exec_lo
	v_cmpx_gt_i32_e64 s8, v2
	s_cbranch_execz .LBB339_17
; %bb.16:
	v_dual_mov_b32 v12, 0 :: v_dual_add_nc_u32 v11, s2, v2
	v_add_nc_u32_e32 v2, 0x100, v2
	s_delay_alu instid0(VALU_DEP_2) | instskip(NEXT) | instid1(VALU_DEP_1)
	v_lshlrev_b64 v[11:12], 1, v[11:12]
	v_add_co_u32 v11, s0, s6, v11
	s_delay_alu instid0(VALU_DEP_1)
	v_add_co_ci_u32_e64 v12, s0, s7, v12, s0
	global_load_u16 v11, v[11:12], off
.LBB339_17:
	s_or_b32 exec_lo, exec_lo, s1
	s_delay_alu instid0(SALU_CYCLE_1)
	s_mov_b32 s1, exec_lo
	v_cmpx_gt_i32_e64 s8, v2
	s_cbranch_execz .LBB339_19
; %bb.18:
	v_dual_mov_b32 v13, 0 :: v_dual_add_nc_u32 v12, s2, v2
	s_delay_alu instid0(VALU_DEP_1) | instskip(NEXT) | instid1(VALU_DEP_1)
	v_lshlrev_b64 v[12:13], 1, v[12:13]
	v_add_co_u32 v12, s0, s6, v12
	s_delay_alu instid0(VALU_DEP_1)
	v_add_co_ci_u32_e64 v13, s0, s7, v13, s0
	global_load_u16 v8, v[12:13], off
.LBB339_19:
	s_or_b32 exec_lo, exec_lo, s1
	s_lshr_b32 s1, s9, 16
	s_lshl_b32 s6, s9, 16
	s_and_b32 s3, s9, 0xffff0000
	s_and_saveexec_b32 s7, vcc_lo
	s_cbranch_execz .LBB339_23
; %bb.20:
	s_waitcnt vmcnt(0)
	v_lshlrev_b32_e32 v2, 16, v7
	s_mov_b32 s10, exec_lo
	s_delay_alu instid0(VALU_DEP_1)
	v_cmpx_o_f32_e32 v2, v2
; %bb.21:
	v_cmp_lt_f32_e64 s0, s6, v2
	s_delay_alu instid0(VALU_DEP_1) | instskip(NEXT) | instid1(VALU_DEP_1)
	v_cndmask_b32_e64 v2, s9, v7, s0
	v_lshlrev_b32_e32 v7, 16, v2
	s_delay_alu instid0(VALU_DEP_1) | instskip(NEXT) | instid1(VALU_DEP_1)
	v_cmp_gt_f32_e64 s0, s3, v7
	v_cndmask_b32_e64 v7, s1, v2, s0
; %bb.22:
	s_or_b32 exec_lo, exec_lo, s10
.LBB339_23:
	s_delay_alu instid0(SALU_CYCLE_1) | instskip(NEXT) | instid1(SALU_CYCLE_1)
	s_or_b32 exec_lo, exec_lo, s7
	s_mov_b32 s7, exec_lo
	v_cmpx_gt_i32_e64 s8, v4
	s_cbranch_execz .LBB339_27
; %bb.24:
	s_waitcnt vmcnt(0)
	v_lshlrev_b32_e32 v2, 16, v3
	s_mov_b32 s10, exec_lo
	s_delay_alu instid0(VALU_DEP_1)
	v_cmpx_o_f32_e32 v2, v2
; %bb.25:
	v_cmp_lt_f32_e64 s0, s6, v2
	s_delay_alu instid0(VALU_DEP_1) | instskip(NEXT) | instid1(VALU_DEP_1)
	v_cndmask_b32_e64 v2, s9, v3, s0
	v_lshlrev_b32_e32 v3, 16, v2
	s_delay_alu instid0(VALU_DEP_1) | instskip(NEXT) | instid1(VALU_DEP_1)
	v_cmp_gt_f32_e64 s0, s3, v3
	v_cndmask_b32_e64 v3, s1, v2, s0
; %bb.26:
	s_or_b32 exec_lo, exec_lo, s10
.LBB339_27:
	s_delay_alu instid0(SALU_CYCLE_1) | instskip(SKIP_2) | instid1(VALU_DEP_1)
	s_or_b32 exec_lo, exec_lo, s7
	v_or_b32_e32 v2, 0x200, v0
	s_mov_b32 s7, exec_lo
	v_cmpx_gt_i32_e64 s8, v2
	s_cbranch_execz .LBB339_31
; %bb.28:
	s_waitcnt vmcnt(0)
	v_lshlrev_b32_e32 v2, 16, v9
	s_mov_b32 s10, exec_lo
	s_delay_alu instid0(VALU_DEP_1)
	v_cmpx_o_f32_e32 v2, v2
; %bb.29:
	v_cmp_lt_f32_e64 s0, s6, v2
	s_delay_alu instid0(VALU_DEP_1) | instskip(NEXT) | instid1(VALU_DEP_1)
	v_cndmask_b32_e64 v2, s9, v9, s0
	v_lshlrev_b32_e32 v9, 16, v2
	s_delay_alu instid0(VALU_DEP_1) | instskip(NEXT) | instid1(VALU_DEP_1)
	v_cmp_gt_f32_e64 s0, s3, v9
	v_cndmask_b32_e64 v9, s1, v2, s0
; %bb.30:
	s_or_b32 exec_lo, exec_lo, s10
.LBB339_31:
	s_delay_alu instid0(SALU_CYCLE_1) | instskip(SKIP_2) | instid1(VALU_DEP_1)
	s_or_b32 exec_lo, exec_lo, s7
	v_or_b32_e32 v2, 0x300, v0
	;; [unrolled: 23-line block ×6, first 2 shown]
	s_mov_b32 s7, exec_lo
	v_cmpx_gt_i32_e64 s8, v2
	s_cbranch_execnz .LBB339_58
; %bb.48:
	s_or_b32 exec_lo, exec_lo, s7
	s_and_saveexec_b32 s0, vcc_lo
	s_delay_alu instid0(SALU_CYCLE_1)
	s_xor_b32 s0, exec_lo, s0
	s_cbranch_execnz .LBB339_61
.LBB339_49:
	s_or_b32 exec_lo, exec_lo, s0
	s_delay_alu instid0(SALU_CYCLE_1)
	s_mov_b32 s0, exec_lo
	v_cmpx_gt_i32_e64 s8, v0
	s_cbranch_execnz .LBB339_62
.LBB339_50:
	s_or_b32 exec_lo, exec_lo, s0
	s_delay_alu instid0(SALU_CYCLE_1)
	s_mov_b32 s0, exec_lo
	v_cmpx_gt_i32_e64 s8, v0
	s_cbranch_execnz .LBB339_63
.LBB339_51:
	s_or_b32 exec_lo, exec_lo, s0
	s_delay_alu instid0(SALU_CYCLE_1)
	s_mov_b32 s0, exec_lo
	v_cmpx_gt_i32_e64 s8, v0
	s_cbranch_execnz .LBB339_64
.LBB339_52:
	s_or_b32 exec_lo, exec_lo, s0
	s_delay_alu instid0(SALU_CYCLE_1)
	s_mov_b32 s0, exec_lo
	v_cmpx_gt_i32_e64 s8, v0
	s_cbranch_execnz .LBB339_65
.LBB339_53:
	s_or_b32 exec_lo, exec_lo, s0
	s_delay_alu instid0(SALU_CYCLE_1)
	s_mov_b32 s0, exec_lo
	v_cmpx_gt_i32_e64 s8, v0
	s_cbranch_execnz .LBB339_66
.LBB339_54:
	s_or_b32 exec_lo, exec_lo, s0
	s_delay_alu instid0(SALU_CYCLE_1)
	s_mov_b32 s0, exec_lo
	v_cmpx_gt_i32_e64 s8, v0
	s_cbranch_execnz .LBB339_67
.LBB339_55:
	s_or_b32 exec_lo, exec_lo, s0
	s_delay_alu instid0(SALU_CYCLE_1)
	s_mov_b32 s0, exec_lo
	v_cmpx_gt_i32_e64 s8, v0
	s_cbranch_execz .LBB339_57
.LBB339_56:
	v_dual_mov_b32 v1, 0 :: v_dual_add_nc_u32 v0, s2, v0
	s_delay_alu instid0(VALU_DEP_1) | instskip(NEXT) | instid1(VALU_DEP_1)
	v_lshlrev_b64 v[0:1], 1, v[0:1]
	v_add_co_u32 v0, vcc_lo, s4, v0
	s_delay_alu instid0(VALU_DEP_2)
	v_add_co_ci_u32_e32 v1, vcc_lo, s5, v1, vcc_lo
	s_waitcnt vmcnt(0)
	global_store_b16 v[0:1], v8, off
.LBB339_57:
	s_nop 0
	s_sendmsg sendmsg(MSG_DEALLOC_VGPRS)
	s_endpgm
.LBB339_58:
	s_waitcnt vmcnt(0)
	v_lshlrev_b32_e32 v2, 16, v8
	s_mov_b32 s10, exec_lo
	s_delay_alu instid0(VALU_DEP_1)
	v_cmpx_o_f32_e32 v2, v2
; %bb.59:
	v_cmp_lt_f32_e64 s0, s6, v2
	s_delay_alu instid0(VALU_DEP_1) | instskip(NEXT) | instid1(VALU_DEP_1)
	v_cndmask_b32_e64 v2, s9, v8, s0
	v_lshlrev_b32_e32 v8, 16, v2
	s_delay_alu instid0(VALU_DEP_1) | instskip(NEXT) | instid1(VALU_DEP_1)
	v_cmp_gt_f32_e64 s0, s3, v8
	v_cndmask_b32_e64 v8, s1, v2, s0
; %bb.60:
	s_or_b32 exec_lo, exec_lo, s10
	s_delay_alu instid0(SALU_CYCLE_1) | instskip(SKIP_1) | instid1(SALU_CYCLE_1)
	s_or_b32 exec_lo, exec_lo, s7
	s_and_saveexec_b32 s0, vcc_lo
	s_xor_b32 s0, exec_lo, s0
	s_cbranch_execz .LBB339_49
.LBB339_61:
	v_mov_b32_e32 v2, 0
	s_delay_alu instid0(VALU_DEP_1) | instskip(NEXT) | instid1(VALU_DEP_1)
	v_lshlrev_b64 v[0:1], 1, v[1:2]
	v_add_co_u32 v12, vcc_lo, s4, v0
	s_delay_alu instid0(VALU_DEP_2) | instskip(SKIP_4) | instid1(SALU_CYCLE_1)
	v_add_co_ci_u32_e32 v13, vcc_lo, s5, v1, vcc_lo
	v_mov_b32_e32 v0, v4
	s_waitcnt vmcnt(0)
	global_store_b16 v[12:13], v7, off
	s_or_b32 exec_lo, exec_lo, s0
	s_mov_b32 s0, exec_lo
	v_cmpx_gt_i32_e64 s8, v0
	s_cbranch_execz .LBB339_50
.LBB339_62:
	v_dual_mov_b32 v2, 0 :: v_dual_add_nc_u32 v1, s2, v0
	v_add_nc_u32_e32 v0, 0x100, v0
	s_delay_alu instid0(VALU_DEP_2) | instskip(NEXT) | instid1(VALU_DEP_1)
	v_lshlrev_b64 v[1:2], 1, v[1:2]
	v_add_co_u32 v1, vcc_lo, s4, v1
	s_delay_alu instid0(VALU_DEP_2) | instskip(SKIP_3) | instid1(SALU_CYCLE_1)
	v_add_co_ci_u32_e32 v2, vcc_lo, s5, v2, vcc_lo
	s_waitcnt vmcnt(0)
	global_store_b16 v[1:2], v3, off
	s_or_b32 exec_lo, exec_lo, s0
	s_mov_b32 s0, exec_lo
	v_cmpx_gt_i32_e64 s8, v0
	s_cbranch_execz .LBB339_51
.LBB339_63:
	v_dual_mov_b32 v2, 0 :: v_dual_add_nc_u32 v1, s2, v0
	v_add_nc_u32_e32 v0, 0x100, v0
	s_delay_alu instid0(VALU_DEP_2) | instskip(NEXT) | instid1(VALU_DEP_1)
	v_lshlrev_b64 v[1:2], 1, v[1:2]
	v_add_co_u32 v1, vcc_lo, s4, v1
	s_delay_alu instid0(VALU_DEP_2) | instskip(SKIP_3) | instid1(SALU_CYCLE_1)
	v_add_co_ci_u32_e32 v2, vcc_lo, s5, v2, vcc_lo
	s_waitcnt vmcnt(0)
	global_store_b16 v[1:2], v9, off
	s_or_b32 exec_lo, exec_lo, s0
	s_mov_b32 s0, exec_lo
	v_cmpx_gt_i32_e64 s8, v0
	s_cbranch_execz .LBB339_52
.LBB339_64:
	v_dual_mov_b32 v2, 0 :: v_dual_add_nc_u32 v1, s2, v0
	v_add_nc_u32_e32 v0, 0x100, v0
	s_delay_alu instid0(VALU_DEP_2) | instskip(NEXT) | instid1(VALU_DEP_1)
	v_lshlrev_b64 v[1:2], 1, v[1:2]
	v_add_co_u32 v1, vcc_lo, s4, v1
	s_delay_alu instid0(VALU_DEP_2) | instskip(SKIP_3) | instid1(SALU_CYCLE_1)
	v_add_co_ci_u32_e32 v2, vcc_lo, s5, v2, vcc_lo
	s_waitcnt vmcnt(0)
	global_store_b16 v[1:2], v5, off
	s_or_b32 exec_lo, exec_lo, s0
	s_mov_b32 s0, exec_lo
	v_cmpx_gt_i32_e64 s8, v0
	s_cbranch_execz .LBB339_53
.LBB339_65:
	v_dual_mov_b32 v2, 0 :: v_dual_add_nc_u32 v1, s2, v0
	v_add_nc_u32_e32 v0, 0x100, v0
	s_delay_alu instid0(VALU_DEP_2) | instskip(NEXT) | instid1(VALU_DEP_1)
	v_lshlrev_b64 v[1:2], 1, v[1:2]
	v_add_co_u32 v1, vcc_lo, s4, v1
	s_delay_alu instid0(VALU_DEP_2) | instskip(SKIP_3) | instid1(SALU_CYCLE_1)
	v_add_co_ci_u32_e32 v2, vcc_lo, s5, v2, vcc_lo
	s_waitcnt vmcnt(0)
	global_store_b16 v[1:2], v10, off
	s_or_b32 exec_lo, exec_lo, s0
	s_mov_b32 s0, exec_lo
	v_cmpx_gt_i32_e64 s8, v0
	s_cbranch_execz .LBB339_54
.LBB339_66:
	v_dual_mov_b32 v2, 0 :: v_dual_add_nc_u32 v1, s2, v0
	v_add_nc_u32_e32 v0, 0x100, v0
	s_delay_alu instid0(VALU_DEP_2) | instskip(NEXT) | instid1(VALU_DEP_1)
	v_lshlrev_b64 v[1:2], 1, v[1:2]
	v_add_co_u32 v1, vcc_lo, s4, v1
	s_delay_alu instid0(VALU_DEP_2) | instskip(SKIP_3) | instid1(SALU_CYCLE_1)
	v_add_co_ci_u32_e32 v2, vcc_lo, s5, v2, vcc_lo
	s_waitcnt vmcnt(0)
	global_store_b16 v[1:2], v6, off
	s_or_b32 exec_lo, exec_lo, s0
	s_mov_b32 s0, exec_lo
	v_cmpx_gt_i32_e64 s8, v0
	s_cbranch_execz .LBB339_55
.LBB339_67:
	v_dual_mov_b32 v2, 0 :: v_dual_add_nc_u32 v1, s2, v0
	v_add_nc_u32_e32 v0, 0x100, v0
	s_delay_alu instid0(VALU_DEP_2) | instskip(NEXT) | instid1(VALU_DEP_1)
	v_lshlrev_b64 v[1:2], 1, v[1:2]
	v_add_co_u32 v1, vcc_lo, s4, v1
	s_delay_alu instid0(VALU_DEP_2) | instskip(SKIP_3) | instid1(SALU_CYCLE_1)
	v_add_co_ci_u32_e32 v2, vcc_lo, s5, v2, vcc_lo
	s_waitcnt vmcnt(0)
	global_store_b16 v[1:2], v11, off
	s_or_b32 exec_lo, exec_lo, s0
	s_mov_b32 s0, exec_lo
	v_cmpx_gt_i32_e64 s8, v0
	s_cbranch_execnz .LBB339_56
	s_branch .LBB339_57
	.section	.rodata,"a",@progbits
	.p2align	6, 0x0
	.amdhsa_kernel _ZN2at6native29vectorized_elementwise_kernelILi8EZZZNS0_17clamp_kernel_cudaERNS_18TensorIteratorBaseERKN3c106ScalarES7_ENKUlvE_clEvENKUlvE7_clEvEUlNS4_8BFloat16EE_St5arrayIPcLm2EEEEviT0_T1_
		.amdhsa_group_segment_fixed_size 0
		.amdhsa_private_segment_fixed_size 0
		.amdhsa_kernarg_size 24
		.amdhsa_user_sgpr_count 15
		.amdhsa_user_sgpr_dispatch_ptr 0
		.amdhsa_user_sgpr_queue_ptr 0
		.amdhsa_user_sgpr_kernarg_segment_ptr 1
		.amdhsa_user_sgpr_dispatch_id 0
		.amdhsa_user_sgpr_private_segment_size 0
		.amdhsa_wavefront_size32 1
		.amdhsa_uses_dynamic_stack 0
		.amdhsa_enable_private_segment 0
		.amdhsa_system_sgpr_workgroup_id_x 1
		.amdhsa_system_sgpr_workgroup_id_y 0
		.amdhsa_system_sgpr_workgroup_id_z 0
		.amdhsa_system_sgpr_workgroup_info 0
		.amdhsa_system_vgpr_workitem_id 0
		.amdhsa_next_free_vgpr 34
		.amdhsa_next_free_sgpr 16
		.amdhsa_reserve_vcc 1
		.amdhsa_float_round_mode_32 0
		.amdhsa_float_round_mode_16_64 0
		.amdhsa_float_denorm_mode_32 3
		.amdhsa_float_denorm_mode_16_64 3
		.amdhsa_dx10_clamp 1
		.amdhsa_ieee_mode 1
		.amdhsa_fp16_overflow 0
		.amdhsa_workgroup_processor_mode 1
		.amdhsa_memory_ordered 1
		.amdhsa_forward_progress 0
		.amdhsa_shared_vgpr_count 0
		.amdhsa_exception_fp_ieee_invalid_op 0
		.amdhsa_exception_fp_denorm_src 0
		.amdhsa_exception_fp_ieee_div_zero 0
		.amdhsa_exception_fp_ieee_overflow 0
		.amdhsa_exception_fp_ieee_underflow 0
		.amdhsa_exception_fp_ieee_inexact 0
		.amdhsa_exception_int_div_zero 0
	.end_amdhsa_kernel
	.section	.text._ZN2at6native29vectorized_elementwise_kernelILi8EZZZNS0_17clamp_kernel_cudaERNS_18TensorIteratorBaseERKN3c106ScalarES7_ENKUlvE_clEvENKUlvE7_clEvEUlNS4_8BFloat16EE_St5arrayIPcLm2EEEEviT0_T1_,"axG",@progbits,_ZN2at6native29vectorized_elementwise_kernelILi8EZZZNS0_17clamp_kernel_cudaERNS_18TensorIteratorBaseERKN3c106ScalarES7_ENKUlvE_clEvENKUlvE7_clEvEUlNS4_8BFloat16EE_St5arrayIPcLm2EEEEviT0_T1_,comdat
.Lfunc_end339:
	.size	_ZN2at6native29vectorized_elementwise_kernelILi8EZZZNS0_17clamp_kernel_cudaERNS_18TensorIteratorBaseERKN3c106ScalarES7_ENKUlvE_clEvENKUlvE7_clEvEUlNS4_8BFloat16EE_St5arrayIPcLm2EEEEviT0_T1_, .Lfunc_end339-_ZN2at6native29vectorized_elementwise_kernelILi8EZZZNS0_17clamp_kernel_cudaERNS_18TensorIteratorBaseERKN3c106ScalarES7_ENKUlvE_clEvENKUlvE7_clEvEUlNS4_8BFloat16EE_St5arrayIPcLm2EEEEviT0_T1_
                                        ; -- End function
	.section	.AMDGPU.csdata,"",@progbits
; Kernel info:
; codeLenInByte = 2728
; NumSgprs: 18
; NumVgprs: 34
; ScratchSize: 0
; MemoryBound: 0
; FloatMode: 240
; IeeeMode: 1
; LDSByteSize: 0 bytes/workgroup (compile time only)
; SGPRBlocks: 2
; VGPRBlocks: 4
; NumSGPRsForWavesPerEU: 18
; NumVGPRsForWavesPerEU: 34
; Occupancy: 16
; WaveLimiterHint : 0
; COMPUTE_PGM_RSRC2:SCRATCH_EN: 0
; COMPUTE_PGM_RSRC2:USER_SGPR: 15
; COMPUTE_PGM_RSRC2:TRAP_HANDLER: 0
; COMPUTE_PGM_RSRC2:TGID_X_EN: 1
; COMPUTE_PGM_RSRC2:TGID_Y_EN: 0
; COMPUTE_PGM_RSRC2:TGID_Z_EN: 0
; COMPUTE_PGM_RSRC2:TIDIG_COMP_CNT: 0
	.section	.text._ZN2at6native29vectorized_elementwise_kernelILi4EZZZNS0_17clamp_kernel_cudaERNS_18TensorIteratorBaseERKN3c106ScalarES7_ENKUlvE_clEvENKUlvE7_clEvEUlNS4_8BFloat16EE_St5arrayIPcLm2EEEEviT0_T1_,"axG",@progbits,_ZN2at6native29vectorized_elementwise_kernelILi4EZZZNS0_17clamp_kernel_cudaERNS_18TensorIteratorBaseERKN3c106ScalarES7_ENKUlvE_clEvENKUlvE7_clEvEUlNS4_8BFloat16EE_St5arrayIPcLm2EEEEviT0_T1_,comdat
	.globl	_ZN2at6native29vectorized_elementwise_kernelILi4EZZZNS0_17clamp_kernel_cudaERNS_18TensorIteratorBaseERKN3c106ScalarES7_ENKUlvE_clEvENKUlvE7_clEvEUlNS4_8BFloat16EE_St5arrayIPcLm2EEEEviT0_T1_ ; -- Begin function _ZN2at6native29vectorized_elementwise_kernelILi4EZZZNS0_17clamp_kernel_cudaERNS_18TensorIteratorBaseERKN3c106ScalarES7_ENKUlvE_clEvENKUlvE7_clEvEUlNS4_8BFloat16EE_St5arrayIPcLm2EEEEviT0_T1_
	.p2align	8
	.type	_ZN2at6native29vectorized_elementwise_kernelILi4EZZZNS0_17clamp_kernel_cudaERNS_18TensorIteratorBaseERKN3c106ScalarES7_ENKUlvE_clEvENKUlvE7_clEvEUlNS4_8BFloat16EE_St5arrayIPcLm2EEEEviT0_T1_,@function
_ZN2at6native29vectorized_elementwise_kernelILi4EZZZNS0_17clamp_kernel_cudaERNS_18TensorIteratorBaseERKN3c106ScalarES7_ENKUlvE_clEvENKUlvE7_clEvEUlNS4_8BFloat16EE_St5arrayIPcLm2EEEEviT0_T1_: ; @_ZN2at6native29vectorized_elementwise_kernelILi4EZZZNS0_17clamp_kernel_cudaERNS_18TensorIteratorBaseERKN3c106ScalarES7_ENKUlvE_clEvENKUlvE7_clEvEUlNS4_8BFloat16EE_St5arrayIPcLm2EEEEviT0_T1_
; %bb.0:
	s_clause 0x1
	s_load_b64 s[8:9], s[0:1], 0x0
	s_load_b128 s[4:7], s[0:1], 0x8
	s_lshl_b32 s2, s15, 11
	s_mov_b32 s0, -1
	s_waitcnt lgkmcnt(0)
	s_sub_i32 s8, s8, s2
	s_delay_alu instid0(SALU_CYCLE_1)
	s_cmpk_gt_i32 s8, 0x7ff
	s_cbranch_scc0 .LBB340_2
; %bb.1:
	s_ashr_i32 s3, s2, 31
	v_lshlrev_b32_e32 v5, 3, v0
	s_lshl_b64 s[0:1], s[2:3], 1
	s_lshr_b32 s3, s9, 16
	s_add_u32 s10, s6, s0
	s_addc_u32 s11, s7, s1
	s_clause 0x1
	global_load_b64 v[1:2], v5, s[10:11]
	global_load_b64 v[3:4], v5, s[10:11] offset:2048
	s_lshl_b32 s10, s9, 16
	s_and_b32 s11, s9, 0xffff0000
	s_waitcnt vmcnt(1)
	v_lshrrev_b32_e32 v6, 16, v1
	v_lshlrev_b32_e32 v10, 16, v1
	v_and_b32_e32 v11, 0xffff0000, v1
	v_lshrrev_b32_e32 v7, 16, v2
	v_lshlrev_b32_e32 v12, 16, v2
	s_waitcnt vmcnt(0)
	v_lshrrev_b32_e32 v8, 16, v3
	v_cmp_lt_f32_e32 vcc_lo, s10, v10
	v_and_b32_e32 v13, 0xffff0000, v2
	v_lshlrev_b32_e32 v14, 16, v3
	v_and_b32_e32 v15, 0xffff0000, v3
	v_lshrrev_b32_e32 v9, 16, v4
	v_cndmask_b32_e32 v18, s9, v1, vcc_lo
	v_cmp_lt_f32_e32 vcc_lo, s10, v11
	v_lshlrev_b32_e32 v16, 16, v4
	v_and_b32_e32 v17, 0xffff0000, v4
	v_cndmask_b32_e32 v19, s9, v6, vcc_lo
	v_cmp_lt_f32_e32 vcc_lo, s10, v12
	v_lshlrev_b32_e32 v26, 16, v18
	s_delay_alu instid0(VALU_DEP_3) | instskip(SKIP_3) | instid1(VALU_DEP_4)
	v_dual_cndmask_b32 v20, s9, v2 :: v_dual_lshlrev_b32 v27, 16, v19
	v_cmp_lt_f32_e32 vcc_lo, s10, v13
	v_cndmask_b32_e32 v21, s9, v7, vcc_lo
	v_cmp_lt_f32_e32 vcc_lo, s10, v14
	v_lshlrev_b32_e32 v28, 16, v20
	s_delay_alu instid0(VALU_DEP_3) | instskip(SKIP_3) | instid1(VALU_DEP_4)
	v_dual_cndmask_b32 v22, s9, v3 :: v_dual_lshlrev_b32 v29, 16, v21
	v_cmp_lt_f32_e32 vcc_lo, s10, v15
	v_cndmask_b32_e32 v23, s9, v8, vcc_lo
	v_cmp_lt_f32_e32 vcc_lo, s10, v16
	v_lshlrev_b32_e32 v30, 16, v22
	s_delay_alu instid0(VALU_DEP_3)
	v_dual_cndmask_b32 v24, s9, v4 :: v_dual_lshlrev_b32 v31, 16, v23
	v_cmp_lt_f32_e32 vcc_lo, s10, v17
	s_add_u32 s10, s4, s0
	s_mov_b32 s0, 0
	v_cndmask_b32_e32 v25, s9, v9, vcc_lo
	v_cmp_gt_f32_e32 vcc_lo, s11, v26
	v_lshlrev_b32_e32 v32, 16, v24
	s_delay_alu instid0(VALU_DEP_3)
	v_dual_cndmask_b32 v18, s3, v18 :: v_dual_lshlrev_b32 v33, 16, v25
	v_cmp_gt_f32_e32 vcc_lo, s11, v27
	v_cndmask_b32_e32 v19, s3, v19, vcc_lo
	v_cmp_gt_f32_e32 vcc_lo, s11, v28
	v_cndmask_b32_e32 v20, s3, v20, vcc_lo
	;; [unrolled: 2-line block ×6, first 2 shown]
	v_cmp_gt_f32_e32 vcc_lo, s11, v33
	s_addc_u32 s11, s5, s1
	v_cndmask_b32_e32 v25, s3, v25, vcc_lo
	v_cmp_u_f32_e32 vcc_lo, v10, v10
	v_cndmask_b32_e32 v1, v18, v1, vcc_lo
	v_cmp_u_f32_e32 vcc_lo, v11, v11
	;; [unrolled: 2-line block ×3, first 2 shown]
	s_delay_alu instid0(VALU_DEP_2) | instskip(SKIP_2) | instid1(VALU_DEP_2)
	v_lshlrev_b32_e32 v6, 16, v6
	v_cndmask_b32_e32 v2, v20, v2, vcc_lo
	v_cmp_u_f32_e32 vcc_lo, v13, v13
	v_dual_cndmask_b32 v7, v21, v7 :: v_dual_and_b32 v2, 0xffff, v2
	v_cmp_u_f32_e32 vcc_lo, v14, v14
	s_delay_alu instid0(VALU_DEP_2) | instskip(SKIP_2) | instid1(VALU_DEP_3)
	v_lshlrev_b32_e32 v7, 16, v7
	v_cndmask_b32_e32 v3, v22, v3, vcc_lo
	v_cmp_u_f32_e32 vcc_lo, v15, v15
	v_or3_b32 v2, 0, v2, v7
	v_cndmask_b32_e32 v8, v23, v8, vcc_lo
	v_cmp_u_f32_e32 vcc_lo, v16, v16
	s_delay_alu instid0(VALU_DEP_2) | instskip(SKIP_4) | instid1(VALU_DEP_4)
	v_lshlrev_b32_e32 v8, 16, v8
	v_cndmask_b32_e32 v4, v24, v4, vcc_lo
	v_cmp_u_f32_e32 vcc_lo, v17, v17
	v_and_b32_e32 v1, 0xffff, v1
	v_and_b32_e32 v3, 0xffff, v3
	v_dual_cndmask_b32 v9, v25, v9 :: v_dual_and_b32 v4, 0xffff, v4
	s_delay_alu instid0(VALU_DEP_3) | instskip(NEXT) | instid1(VALU_DEP_3)
	v_or_b32_e32 v1, v6, v1
	v_or_b32_e32 v3, v8, v3
	s_delay_alu instid0(VALU_DEP_3) | instskip(NEXT) | instid1(VALU_DEP_3)
	v_lshlrev_b32_e32 v9, 16, v9
	v_or3_b32 v1, v1, 0, 0
	s_delay_alu instid0(VALU_DEP_3) | instskip(NEXT) | instid1(VALU_DEP_3)
	v_or3_b32 v3, v3, 0, 0
	v_or3_b32 v4, 0, v4, v9
	s_clause 0x1
	global_store_b64 v5, v[1:2], s[10:11]
	global_store_b64 v5, v[3:4], s[10:11] offset:2048
.LBB340_2:
	s_and_not1_b32 vcc_lo, exec_lo, s0
	s_cbranch_vccnz .LBB340_57
; %bb.3:
	v_cmp_gt_i32_e32 vcc_lo, s8, v0
	v_dual_mov_b32 v3, 0 :: v_dual_mov_b32 v2, v0
	v_or_b32_e32 v1, s2, v0
	v_or_b32_e32 v4, 0x100, v0
	v_mov_b32_e32 v7, 0
	s_and_saveexec_b32 s1, vcc_lo
	s_cbranch_execz .LBB340_5
; %bb.4:
	v_mov_b32_e32 v2, 0
	s_delay_alu instid0(VALU_DEP_1) | instskip(SKIP_1) | instid1(VALU_DEP_2)
	v_lshlrev_b64 v[5:6], 1, v[1:2]
	v_or_b32_e32 v2, 0x100, v0
	v_add_co_u32 v5, s0, s6, v5
	s_delay_alu instid0(VALU_DEP_1)
	v_add_co_ci_u32_e64 v6, s0, s7, v6, s0
	global_load_u16 v7, v[5:6], off
.LBB340_5:
	s_or_b32 exec_lo, exec_lo, s1
	s_delay_alu instid0(SALU_CYCLE_1)
	s_mov_b32 s1, exec_lo
	v_cmpx_gt_i32_e64 s8, v2
	s_cbranch_execz .LBB340_7
; %bb.6:
	v_dual_mov_b32 v6, 0 :: v_dual_add_nc_u32 v5, s2, v2
	v_add_nc_u32_e32 v2, 0x100, v2
	s_delay_alu instid0(VALU_DEP_2) | instskip(NEXT) | instid1(VALU_DEP_1)
	v_lshlrev_b64 v[5:6], 1, v[5:6]
	v_add_co_u32 v5, s0, s6, v5
	s_delay_alu instid0(VALU_DEP_1)
	v_add_co_ci_u32_e64 v6, s0, s7, v6, s0
	global_load_u16 v3, v[5:6], off
.LBB340_7:
	s_or_b32 exec_lo, exec_lo, s1
	v_mov_b32_e32 v5, 0
	v_mov_b32_e32 v9, 0
	s_mov_b32 s1, exec_lo
	v_cmpx_gt_i32_e64 s8, v2
	s_cbranch_execz .LBB340_9
; %bb.8:
	v_dual_mov_b32 v9, 0 :: v_dual_add_nc_u32 v8, s2, v2
	v_add_nc_u32_e32 v2, 0x100, v2
	s_delay_alu instid0(VALU_DEP_2) | instskip(NEXT) | instid1(VALU_DEP_1)
	v_lshlrev_b64 v[8:9], 1, v[8:9]
	v_add_co_u32 v8, s0, s6, v8
	s_delay_alu instid0(VALU_DEP_1)
	v_add_co_ci_u32_e64 v9, s0, s7, v9, s0
	global_load_u16 v9, v[8:9], off
.LBB340_9:
	s_or_b32 exec_lo, exec_lo, s1
	s_delay_alu instid0(SALU_CYCLE_1)
	s_mov_b32 s1, exec_lo
	v_cmpx_gt_i32_e64 s8, v2
	s_cbranch_execz .LBB340_11
; %bb.10:
	v_dual_mov_b32 v6, 0 :: v_dual_add_nc_u32 v5, s2, v2
	v_add_nc_u32_e32 v2, 0x100, v2
	s_delay_alu instid0(VALU_DEP_2) | instskip(NEXT) | instid1(VALU_DEP_1)
	v_lshlrev_b64 v[5:6], 1, v[5:6]
	v_add_co_u32 v5, s0, s6, v5
	s_delay_alu instid0(VALU_DEP_1)
	v_add_co_ci_u32_e64 v6, s0, s7, v6, s0
	global_load_u16 v5, v[5:6], off
.LBB340_11:
	s_or_b32 exec_lo, exec_lo, s1
	v_mov_b32_e32 v6, 0
	v_mov_b32_e32 v10, 0
	s_mov_b32 s1, exec_lo
	v_cmpx_gt_i32_e64 s8, v2
	s_cbranch_execz .LBB340_13
; %bb.12:
	v_dual_mov_b32 v11, 0 :: v_dual_add_nc_u32 v10, s2, v2
	v_add_nc_u32_e32 v2, 0x100, v2
	s_delay_alu instid0(VALU_DEP_2) | instskip(NEXT) | instid1(VALU_DEP_1)
	v_lshlrev_b64 v[10:11], 1, v[10:11]
	v_add_co_u32 v10, s0, s6, v10
	s_delay_alu instid0(VALU_DEP_1)
	v_add_co_ci_u32_e64 v11, s0, s7, v11, s0
	global_load_u16 v10, v[10:11], off
.LBB340_13:
	s_or_b32 exec_lo, exec_lo, s1
	s_delay_alu instid0(SALU_CYCLE_1)
	s_mov_b32 s1, exec_lo
	v_cmpx_gt_i32_e64 s8, v2
	s_cbranch_execz .LBB340_15
; %bb.14:
	v_dual_mov_b32 v12, 0 :: v_dual_add_nc_u32 v11, s2, v2
	v_add_nc_u32_e32 v2, 0x100, v2
	s_delay_alu instid0(VALU_DEP_2) | instskip(NEXT) | instid1(VALU_DEP_1)
	v_lshlrev_b64 v[11:12], 1, v[11:12]
	v_add_co_u32 v11, s0, s6, v11
	s_delay_alu instid0(VALU_DEP_1)
	v_add_co_ci_u32_e64 v12, s0, s7, v12, s0
	global_load_u16 v6, v[11:12], off
.LBB340_15:
	s_or_b32 exec_lo, exec_lo, s1
	v_dual_mov_b32 v8, 0 :: v_dual_mov_b32 v11, 0
	s_mov_b32 s1, exec_lo
	v_cmpx_gt_i32_e64 s8, v2
	s_cbranch_execz .LBB340_17
; %bb.16:
	v_dual_mov_b32 v12, 0 :: v_dual_add_nc_u32 v11, s2, v2
	v_add_nc_u32_e32 v2, 0x100, v2
	s_delay_alu instid0(VALU_DEP_2) | instskip(NEXT) | instid1(VALU_DEP_1)
	v_lshlrev_b64 v[11:12], 1, v[11:12]
	v_add_co_u32 v11, s0, s6, v11
	s_delay_alu instid0(VALU_DEP_1)
	v_add_co_ci_u32_e64 v12, s0, s7, v12, s0
	global_load_u16 v11, v[11:12], off
.LBB340_17:
	s_or_b32 exec_lo, exec_lo, s1
	s_delay_alu instid0(SALU_CYCLE_1)
	s_mov_b32 s1, exec_lo
	v_cmpx_gt_i32_e64 s8, v2
	s_cbranch_execz .LBB340_19
; %bb.18:
	v_dual_mov_b32 v13, 0 :: v_dual_add_nc_u32 v12, s2, v2
	s_delay_alu instid0(VALU_DEP_1) | instskip(NEXT) | instid1(VALU_DEP_1)
	v_lshlrev_b64 v[12:13], 1, v[12:13]
	v_add_co_u32 v12, s0, s6, v12
	s_delay_alu instid0(VALU_DEP_1)
	v_add_co_ci_u32_e64 v13, s0, s7, v13, s0
	global_load_u16 v8, v[12:13], off
.LBB340_19:
	s_or_b32 exec_lo, exec_lo, s1
	s_lshr_b32 s1, s9, 16
	s_lshl_b32 s6, s9, 16
	s_and_b32 s3, s9, 0xffff0000
	s_and_saveexec_b32 s7, vcc_lo
	s_cbranch_execz .LBB340_23
; %bb.20:
	s_waitcnt vmcnt(0)
	v_lshlrev_b32_e32 v2, 16, v7
	s_mov_b32 s10, exec_lo
	s_delay_alu instid0(VALU_DEP_1)
	v_cmpx_o_f32_e32 v2, v2
; %bb.21:
	v_cmp_lt_f32_e64 s0, s6, v2
	s_delay_alu instid0(VALU_DEP_1) | instskip(NEXT) | instid1(VALU_DEP_1)
	v_cndmask_b32_e64 v2, s9, v7, s0
	v_lshlrev_b32_e32 v7, 16, v2
	s_delay_alu instid0(VALU_DEP_1) | instskip(NEXT) | instid1(VALU_DEP_1)
	v_cmp_gt_f32_e64 s0, s3, v7
	v_cndmask_b32_e64 v7, s1, v2, s0
; %bb.22:
	s_or_b32 exec_lo, exec_lo, s10
.LBB340_23:
	s_delay_alu instid0(SALU_CYCLE_1) | instskip(NEXT) | instid1(SALU_CYCLE_1)
	s_or_b32 exec_lo, exec_lo, s7
	s_mov_b32 s7, exec_lo
	v_cmpx_gt_i32_e64 s8, v4
	s_cbranch_execz .LBB340_27
; %bb.24:
	s_waitcnt vmcnt(0)
	v_lshlrev_b32_e32 v2, 16, v3
	s_mov_b32 s10, exec_lo
	s_delay_alu instid0(VALU_DEP_1)
	v_cmpx_o_f32_e32 v2, v2
; %bb.25:
	v_cmp_lt_f32_e64 s0, s6, v2
	s_delay_alu instid0(VALU_DEP_1) | instskip(NEXT) | instid1(VALU_DEP_1)
	v_cndmask_b32_e64 v2, s9, v3, s0
	v_lshlrev_b32_e32 v3, 16, v2
	s_delay_alu instid0(VALU_DEP_1) | instskip(NEXT) | instid1(VALU_DEP_1)
	v_cmp_gt_f32_e64 s0, s3, v3
	v_cndmask_b32_e64 v3, s1, v2, s0
; %bb.26:
	s_or_b32 exec_lo, exec_lo, s10
.LBB340_27:
	s_delay_alu instid0(SALU_CYCLE_1) | instskip(SKIP_2) | instid1(VALU_DEP_1)
	s_or_b32 exec_lo, exec_lo, s7
	v_or_b32_e32 v2, 0x200, v0
	s_mov_b32 s7, exec_lo
	v_cmpx_gt_i32_e64 s8, v2
	s_cbranch_execz .LBB340_31
; %bb.28:
	s_waitcnt vmcnt(0)
	v_lshlrev_b32_e32 v2, 16, v9
	s_mov_b32 s10, exec_lo
	s_delay_alu instid0(VALU_DEP_1)
	v_cmpx_o_f32_e32 v2, v2
; %bb.29:
	v_cmp_lt_f32_e64 s0, s6, v2
	s_delay_alu instid0(VALU_DEP_1) | instskip(NEXT) | instid1(VALU_DEP_1)
	v_cndmask_b32_e64 v2, s9, v9, s0
	v_lshlrev_b32_e32 v9, 16, v2
	s_delay_alu instid0(VALU_DEP_1) | instskip(NEXT) | instid1(VALU_DEP_1)
	v_cmp_gt_f32_e64 s0, s3, v9
	v_cndmask_b32_e64 v9, s1, v2, s0
; %bb.30:
	s_or_b32 exec_lo, exec_lo, s10
.LBB340_31:
	s_delay_alu instid0(SALU_CYCLE_1) | instskip(SKIP_2) | instid1(VALU_DEP_1)
	s_or_b32 exec_lo, exec_lo, s7
	v_or_b32_e32 v2, 0x300, v0
	s_mov_b32 s7, exec_lo
	v_cmpx_gt_i32_e64 s8, v2
	s_cbranch_execz .LBB340_35
; %bb.32:
	s_waitcnt vmcnt(0)
	v_lshlrev_b32_e32 v2, 16, v5
	s_mov_b32 s10, exec_lo
	s_delay_alu instid0(VALU_DEP_1)
	v_cmpx_o_f32_e32 v2, v2
; %bb.33:
	v_cmp_lt_f32_e64 s0, s6, v2
	s_delay_alu instid0(VALU_DEP_1) | instskip(NEXT) | instid1(VALU_DEP_1)
	v_cndmask_b32_e64 v2, s9, v5, s0
	v_lshlrev_b32_e32 v5, 16, v2
	s_delay_alu instid0(VALU_DEP_1) | instskip(NEXT) | instid1(VALU_DEP_1)
	v_cmp_gt_f32_e64 s0, s3, v5
	v_cndmask_b32_e64 v5, s1, v2, s0
; %bb.34:
	s_or_b32 exec_lo, exec_lo, s10
.LBB340_35:
	s_delay_alu instid0(SALU_CYCLE_1) | instskip(SKIP_2) | instid1(VALU_DEP_1)
	s_or_b32 exec_lo, exec_lo, s7
	v_or_b32_e32 v2, 0x400, v0
	s_mov_b32 s7, exec_lo
	v_cmpx_gt_i32_e64 s8, v2
	s_cbranch_execz .LBB340_39
; %bb.36:
	s_waitcnt vmcnt(0)
	v_lshlrev_b32_e32 v2, 16, v10
	s_mov_b32 s10, exec_lo
	s_delay_alu instid0(VALU_DEP_1)
	v_cmpx_o_f32_e32 v2, v2
; %bb.37:
	v_cmp_lt_f32_e64 s0, s6, v2
	s_delay_alu instid0(VALU_DEP_1) | instskip(NEXT) | instid1(VALU_DEP_1)
	v_cndmask_b32_e64 v2, s9, v10, s0
	v_lshlrev_b32_e32 v10, 16, v2
	s_delay_alu instid0(VALU_DEP_1) | instskip(NEXT) | instid1(VALU_DEP_1)
	v_cmp_gt_f32_e64 s0, s3, v10
	v_cndmask_b32_e64 v10, s1, v2, s0
; %bb.38:
	s_or_b32 exec_lo, exec_lo, s10
.LBB340_39:
	s_delay_alu instid0(SALU_CYCLE_1) | instskip(SKIP_2) | instid1(VALU_DEP_1)
	s_or_b32 exec_lo, exec_lo, s7
	v_or_b32_e32 v2, 0x500, v0
	s_mov_b32 s7, exec_lo
	v_cmpx_gt_i32_e64 s8, v2
	s_cbranch_execz .LBB340_43
; %bb.40:
	s_waitcnt vmcnt(0)
	v_lshlrev_b32_e32 v2, 16, v6
	s_mov_b32 s10, exec_lo
	s_delay_alu instid0(VALU_DEP_1)
	v_cmpx_o_f32_e32 v2, v2
; %bb.41:
	v_cmp_lt_f32_e64 s0, s6, v2
	s_delay_alu instid0(VALU_DEP_1) | instskip(NEXT) | instid1(VALU_DEP_1)
	v_cndmask_b32_e64 v2, s9, v6, s0
	v_lshlrev_b32_e32 v6, 16, v2
	s_delay_alu instid0(VALU_DEP_1) | instskip(NEXT) | instid1(VALU_DEP_1)
	v_cmp_gt_f32_e64 s0, s3, v6
	v_cndmask_b32_e64 v6, s1, v2, s0
; %bb.42:
	s_or_b32 exec_lo, exec_lo, s10
.LBB340_43:
	s_delay_alu instid0(SALU_CYCLE_1) | instskip(SKIP_2) | instid1(VALU_DEP_1)
	s_or_b32 exec_lo, exec_lo, s7
	v_or_b32_e32 v2, 0x600, v0
	s_mov_b32 s7, exec_lo
	v_cmpx_gt_i32_e64 s8, v2
	s_cbranch_execz .LBB340_47
; %bb.44:
	s_waitcnt vmcnt(0)
	v_lshlrev_b32_e32 v2, 16, v11
	s_mov_b32 s10, exec_lo
	s_delay_alu instid0(VALU_DEP_1)
	v_cmpx_o_f32_e32 v2, v2
; %bb.45:
	v_cmp_lt_f32_e64 s0, s6, v2
	s_delay_alu instid0(VALU_DEP_1) | instskip(NEXT) | instid1(VALU_DEP_1)
	v_cndmask_b32_e64 v2, s9, v11, s0
	v_lshlrev_b32_e32 v11, 16, v2
	s_delay_alu instid0(VALU_DEP_1) | instskip(NEXT) | instid1(VALU_DEP_1)
	v_cmp_gt_f32_e64 s0, s3, v11
	v_cndmask_b32_e64 v11, s1, v2, s0
; %bb.46:
	s_or_b32 exec_lo, exec_lo, s10
.LBB340_47:
	s_delay_alu instid0(SALU_CYCLE_1) | instskip(SKIP_2) | instid1(VALU_DEP_1)
	s_or_b32 exec_lo, exec_lo, s7
	v_or_b32_e32 v2, 0x700, v0
	s_mov_b32 s7, exec_lo
	v_cmpx_gt_i32_e64 s8, v2
	s_cbranch_execnz .LBB340_58
; %bb.48:
	s_or_b32 exec_lo, exec_lo, s7
	s_and_saveexec_b32 s0, vcc_lo
	s_delay_alu instid0(SALU_CYCLE_1)
	s_xor_b32 s0, exec_lo, s0
	s_cbranch_execnz .LBB340_61
.LBB340_49:
	s_or_b32 exec_lo, exec_lo, s0
	s_delay_alu instid0(SALU_CYCLE_1)
	s_mov_b32 s0, exec_lo
	v_cmpx_gt_i32_e64 s8, v0
	s_cbranch_execnz .LBB340_62
.LBB340_50:
	s_or_b32 exec_lo, exec_lo, s0
	s_delay_alu instid0(SALU_CYCLE_1)
	s_mov_b32 s0, exec_lo
	v_cmpx_gt_i32_e64 s8, v0
	s_cbranch_execnz .LBB340_63
.LBB340_51:
	s_or_b32 exec_lo, exec_lo, s0
	s_delay_alu instid0(SALU_CYCLE_1)
	s_mov_b32 s0, exec_lo
	v_cmpx_gt_i32_e64 s8, v0
	s_cbranch_execnz .LBB340_64
.LBB340_52:
	s_or_b32 exec_lo, exec_lo, s0
	s_delay_alu instid0(SALU_CYCLE_1)
	s_mov_b32 s0, exec_lo
	v_cmpx_gt_i32_e64 s8, v0
	s_cbranch_execnz .LBB340_65
.LBB340_53:
	s_or_b32 exec_lo, exec_lo, s0
	s_delay_alu instid0(SALU_CYCLE_1)
	s_mov_b32 s0, exec_lo
	v_cmpx_gt_i32_e64 s8, v0
	s_cbranch_execnz .LBB340_66
.LBB340_54:
	s_or_b32 exec_lo, exec_lo, s0
	s_delay_alu instid0(SALU_CYCLE_1)
	s_mov_b32 s0, exec_lo
	v_cmpx_gt_i32_e64 s8, v0
	s_cbranch_execnz .LBB340_67
.LBB340_55:
	s_or_b32 exec_lo, exec_lo, s0
	s_delay_alu instid0(SALU_CYCLE_1)
	s_mov_b32 s0, exec_lo
	v_cmpx_gt_i32_e64 s8, v0
	s_cbranch_execz .LBB340_57
.LBB340_56:
	v_dual_mov_b32 v1, 0 :: v_dual_add_nc_u32 v0, s2, v0
	s_delay_alu instid0(VALU_DEP_1) | instskip(NEXT) | instid1(VALU_DEP_1)
	v_lshlrev_b64 v[0:1], 1, v[0:1]
	v_add_co_u32 v0, vcc_lo, s4, v0
	s_delay_alu instid0(VALU_DEP_2)
	v_add_co_ci_u32_e32 v1, vcc_lo, s5, v1, vcc_lo
	s_waitcnt vmcnt(0)
	global_store_b16 v[0:1], v8, off
.LBB340_57:
	s_nop 0
	s_sendmsg sendmsg(MSG_DEALLOC_VGPRS)
	s_endpgm
.LBB340_58:
	s_waitcnt vmcnt(0)
	v_lshlrev_b32_e32 v2, 16, v8
	s_mov_b32 s10, exec_lo
	s_delay_alu instid0(VALU_DEP_1)
	v_cmpx_o_f32_e32 v2, v2
; %bb.59:
	v_cmp_lt_f32_e64 s0, s6, v2
	s_delay_alu instid0(VALU_DEP_1) | instskip(NEXT) | instid1(VALU_DEP_1)
	v_cndmask_b32_e64 v2, s9, v8, s0
	v_lshlrev_b32_e32 v8, 16, v2
	s_delay_alu instid0(VALU_DEP_1) | instskip(NEXT) | instid1(VALU_DEP_1)
	v_cmp_gt_f32_e64 s0, s3, v8
	v_cndmask_b32_e64 v8, s1, v2, s0
; %bb.60:
	s_or_b32 exec_lo, exec_lo, s10
	s_delay_alu instid0(SALU_CYCLE_1) | instskip(SKIP_1) | instid1(SALU_CYCLE_1)
	s_or_b32 exec_lo, exec_lo, s7
	s_and_saveexec_b32 s0, vcc_lo
	s_xor_b32 s0, exec_lo, s0
	s_cbranch_execz .LBB340_49
.LBB340_61:
	v_mov_b32_e32 v2, 0
	s_delay_alu instid0(VALU_DEP_1) | instskip(NEXT) | instid1(VALU_DEP_1)
	v_lshlrev_b64 v[0:1], 1, v[1:2]
	v_add_co_u32 v12, vcc_lo, s4, v0
	s_delay_alu instid0(VALU_DEP_2) | instskip(SKIP_4) | instid1(SALU_CYCLE_1)
	v_add_co_ci_u32_e32 v13, vcc_lo, s5, v1, vcc_lo
	v_mov_b32_e32 v0, v4
	s_waitcnt vmcnt(0)
	global_store_b16 v[12:13], v7, off
	s_or_b32 exec_lo, exec_lo, s0
	s_mov_b32 s0, exec_lo
	v_cmpx_gt_i32_e64 s8, v0
	s_cbranch_execz .LBB340_50
.LBB340_62:
	v_dual_mov_b32 v2, 0 :: v_dual_add_nc_u32 v1, s2, v0
	v_add_nc_u32_e32 v0, 0x100, v0
	s_delay_alu instid0(VALU_DEP_2) | instskip(NEXT) | instid1(VALU_DEP_1)
	v_lshlrev_b64 v[1:2], 1, v[1:2]
	v_add_co_u32 v1, vcc_lo, s4, v1
	s_delay_alu instid0(VALU_DEP_2) | instskip(SKIP_3) | instid1(SALU_CYCLE_1)
	v_add_co_ci_u32_e32 v2, vcc_lo, s5, v2, vcc_lo
	s_waitcnt vmcnt(0)
	global_store_b16 v[1:2], v3, off
	s_or_b32 exec_lo, exec_lo, s0
	s_mov_b32 s0, exec_lo
	v_cmpx_gt_i32_e64 s8, v0
	s_cbranch_execz .LBB340_51
.LBB340_63:
	v_dual_mov_b32 v2, 0 :: v_dual_add_nc_u32 v1, s2, v0
	v_add_nc_u32_e32 v0, 0x100, v0
	s_delay_alu instid0(VALU_DEP_2) | instskip(NEXT) | instid1(VALU_DEP_1)
	v_lshlrev_b64 v[1:2], 1, v[1:2]
	v_add_co_u32 v1, vcc_lo, s4, v1
	s_delay_alu instid0(VALU_DEP_2) | instskip(SKIP_3) | instid1(SALU_CYCLE_1)
	v_add_co_ci_u32_e32 v2, vcc_lo, s5, v2, vcc_lo
	s_waitcnt vmcnt(0)
	global_store_b16 v[1:2], v9, off
	s_or_b32 exec_lo, exec_lo, s0
	s_mov_b32 s0, exec_lo
	v_cmpx_gt_i32_e64 s8, v0
	s_cbranch_execz .LBB340_52
.LBB340_64:
	v_dual_mov_b32 v2, 0 :: v_dual_add_nc_u32 v1, s2, v0
	v_add_nc_u32_e32 v0, 0x100, v0
	s_delay_alu instid0(VALU_DEP_2) | instskip(NEXT) | instid1(VALU_DEP_1)
	v_lshlrev_b64 v[1:2], 1, v[1:2]
	v_add_co_u32 v1, vcc_lo, s4, v1
	s_delay_alu instid0(VALU_DEP_2) | instskip(SKIP_3) | instid1(SALU_CYCLE_1)
	v_add_co_ci_u32_e32 v2, vcc_lo, s5, v2, vcc_lo
	s_waitcnt vmcnt(0)
	global_store_b16 v[1:2], v5, off
	s_or_b32 exec_lo, exec_lo, s0
	s_mov_b32 s0, exec_lo
	v_cmpx_gt_i32_e64 s8, v0
	s_cbranch_execz .LBB340_53
.LBB340_65:
	v_dual_mov_b32 v2, 0 :: v_dual_add_nc_u32 v1, s2, v0
	v_add_nc_u32_e32 v0, 0x100, v0
	s_delay_alu instid0(VALU_DEP_2) | instskip(NEXT) | instid1(VALU_DEP_1)
	v_lshlrev_b64 v[1:2], 1, v[1:2]
	v_add_co_u32 v1, vcc_lo, s4, v1
	s_delay_alu instid0(VALU_DEP_2) | instskip(SKIP_3) | instid1(SALU_CYCLE_1)
	v_add_co_ci_u32_e32 v2, vcc_lo, s5, v2, vcc_lo
	s_waitcnt vmcnt(0)
	global_store_b16 v[1:2], v10, off
	s_or_b32 exec_lo, exec_lo, s0
	s_mov_b32 s0, exec_lo
	v_cmpx_gt_i32_e64 s8, v0
	s_cbranch_execz .LBB340_54
.LBB340_66:
	v_dual_mov_b32 v2, 0 :: v_dual_add_nc_u32 v1, s2, v0
	v_add_nc_u32_e32 v0, 0x100, v0
	s_delay_alu instid0(VALU_DEP_2) | instskip(NEXT) | instid1(VALU_DEP_1)
	v_lshlrev_b64 v[1:2], 1, v[1:2]
	v_add_co_u32 v1, vcc_lo, s4, v1
	s_delay_alu instid0(VALU_DEP_2) | instskip(SKIP_3) | instid1(SALU_CYCLE_1)
	v_add_co_ci_u32_e32 v2, vcc_lo, s5, v2, vcc_lo
	s_waitcnt vmcnt(0)
	global_store_b16 v[1:2], v6, off
	s_or_b32 exec_lo, exec_lo, s0
	s_mov_b32 s0, exec_lo
	v_cmpx_gt_i32_e64 s8, v0
	s_cbranch_execz .LBB340_55
.LBB340_67:
	v_dual_mov_b32 v2, 0 :: v_dual_add_nc_u32 v1, s2, v0
	v_add_nc_u32_e32 v0, 0x100, v0
	s_delay_alu instid0(VALU_DEP_2) | instskip(NEXT) | instid1(VALU_DEP_1)
	v_lshlrev_b64 v[1:2], 1, v[1:2]
	v_add_co_u32 v1, vcc_lo, s4, v1
	s_delay_alu instid0(VALU_DEP_2) | instskip(SKIP_3) | instid1(SALU_CYCLE_1)
	v_add_co_ci_u32_e32 v2, vcc_lo, s5, v2, vcc_lo
	s_waitcnt vmcnt(0)
	global_store_b16 v[1:2], v11, off
	s_or_b32 exec_lo, exec_lo, s0
	s_mov_b32 s0, exec_lo
	v_cmpx_gt_i32_e64 s8, v0
	s_cbranch_execnz .LBB340_56
	s_branch .LBB340_57
	.section	.rodata,"a",@progbits
	.p2align	6, 0x0
	.amdhsa_kernel _ZN2at6native29vectorized_elementwise_kernelILi4EZZZNS0_17clamp_kernel_cudaERNS_18TensorIteratorBaseERKN3c106ScalarES7_ENKUlvE_clEvENKUlvE7_clEvEUlNS4_8BFloat16EE_St5arrayIPcLm2EEEEviT0_T1_
		.amdhsa_group_segment_fixed_size 0
		.amdhsa_private_segment_fixed_size 0
		.amdhsa_kernarg_size 24
		.amdhsa_user_sgpr_count 15
		.amdhsa_user_sgpr_dispatch_ptr 0
		.amdhsa_user_sgpr_queue_ptr 0
		.amdhsa_user_sgpr_kernarg_segment_ptr 1
		.amdhsa_user_sgpr_dispatch_id 0
		.amdhsa_user_sgpr_private_segment_size 0
		.amdhsa_wavefront_size32 1
		.amdhsa_uses_dynamic_stack 0
		.amdhsa_enable_private_segment 0
		.amdhsa_system_sgpr_workgroup_id_x 1
		.amdhsa_system_sgpr_workgroup_id_y 0
		.amdhsa_system_sgpr_workgroup_id_z 0
		.amdhsa_system_sgpr_workgroup_info 0
		.amdhsa_system_vgpr_workitem_id 0
		.amdhsa_next_free_vgpr 34
		.amdhsa_next_free_sgpr 16
		.amdhsa_reserve_vcc 1
		.amdhsa_float_round_mode_32 0
		.amdhsa_float_round_mode_16_64 0
		.amdhsa_float_denorm_mode_32 3
		.amdhsa_float_denorm_mode_16_64 3
		.amdhsa_dx10_clamp 1
		.amdhsa_ieee_mode 1
		.amdhsa_fp16_overflow 0
		.amdhsa_workgroup_processor_mode 1
		.amdhsa_memory_ordered 1
		.amdhsa_forward_progress 0
		.amdhsa_shared_vgpr_count 0
		.amdhsa_exception_fp_ieee_invalid_op 0
		.amdhsa_exception_fp_denorm_src 0
		.amdhsa_exception_fp_ieee_div_zero 0
		.amdhsa_exception_fp_ieee_overflow 0
		.amdhsa_exception_fp_ieee_underflow 0
		.amdhsa_exception_fp_ieee_inexact 0
		.amdhsa_exception_int_div_zero 0
	.end_amdhsa_kernel
	.section	.text._ZN2at6native29vectorized_elementwise_kernelILi4EZZZNS0_17clamp_kernel_cudaERNS_18TensorIteratorBaseERKN3c106ScalarES7_ENKUlvE_clEvENKUlvE7_clEvEUlNS4_8BFloat16EE_St5arrayIPcLm2EEEEviT0_T1_,"axG",@progbits,_ZN2at6native29vectorized_elementwise_kernelILi4EZZZNS0_17clamp_kernel_cudaERNS_18TensorIteratorBaseERKN3c106ScalarES7_ENKUlvE_clEvENKUlvE7_clEvEUlNS4_8BFloat16EE_St5arrayIPcLm2EEEEviT0_T1_,comdat
.Lfunc_end340:
	.size	_ZN2at6native29vectorized_elementwise_kernelILi4EZZZNS0_17clamp_kernel_cudaERNS_18TensorIteratorBaseERKN3c106ScalarES7_ENKUlvE_clEvENKUlvE7_clEvEUlNS4_8BFloat16EE_St5arrayIPcLm2EEEEviT0_T1_, .Lfunc_end340-_ZN2at6native29vectorized_elementwise_kernelILi4EZZZNS0_17clamp_kernel_cudaERNS_18TensorIteratorBaseERKN3c106ScalarES7_ENKUlvE_clEvENKUlvE7_clEvEUlNS4_8BFloat16EE_St5arrayIPcLm2EEEEviT0_T1_
                                        ; -- End function
	.section	.AMDGPU.csdata,"",@progbits
; Kernel info:
; codeLenInByte = 2804
; NumSgprs: 18
; NumVgprs: 34
; ScratchSize: 0
; MemoryBound: 0
; FloatMode: 240
; IeeeMode: 1
; LDSByteSize: 0 bytes/workgroup (compile time only)
; SGPRBlocks: 2
; VGPRBlocks: 4
; NumSGPRsForWavesPerEU: 18
; NumVGPRsForWavesPerEU: 34
; Occupancy: 16
; WaveLimiterHint : 1
; COMPUTE_PGM_RSRC2:SCRATCH_EN: 0
; COMPUTE_PGM_RSRC2:USER_SGPR: 15
; COMPUTE_PGM_RSRC2:TRAP_HANDLER: 0
; COMPUTE_PGM_RSRC2:TGID_X_EN: 1
; COMPUTE_PGM_RSRC2:TGID_Y_EN: 0
; COMPUTE_PGM_RSRC2:TGID_Z_EN: 0
; COMPUTE_PGM_RSRC2:TIDIG_COMP_CNT: 0
	.section	.text._ZN2at6native29vectorized_elementwise_kernelILi2EZZZNS0_17clamp_kernel_cudaERNS_18TensorIteratorBaseERKN3c106ScalarES7_ENKUlvE_clEvENKUlvE7_clEvEUlNS4_8BFloat16EE_St5arrayIPcLm2EEEEviT0_T1_,"axG",@progbits,_ZN2at6native29vectorized_elementwise_kernelILi2EZZZNS0_17clamp_kernel_cudaERNS_18TensorIteratorBaseERKN3c106ScalarES7_ENKUlvE_clEvENKUlvE7_clEvEUlNS4_8BFloat16EE_St5arrayIPcLm2EEEEviT0_T1_,comdat
	.globl	_ZN2at6native29vectorized_elementwise_kernelILi2EZZZNS0_17clamp_kernel_cudaERNS_18TensorIteratorBaseERKN3c106ScalarES7_ENKUlvE_clEvENKUlvE7_clEvEUlNS4_8BFloat16EE_St5arrayIPcLm2EEEEviT0_T1_ ; -- Begin function _ZN2at6native29vectorized_elementwise_kernelILi2EZZZNS0_17clamp_kernel_cudaERNS_18TensorIteratorBaseERKN3c106ScalarES7_ENKUlvE_clEvENKUlvE7_clEvEUlNS4_8BFloat16EE_St5arrayIPcLm2EEEEviT0_T1_
	.p2align	8
	.type	_ZN2at6native29vectorized_elementwise_kernelILi2EZZZNS0_17clamp_kernel_cudaERNS_18TensorIteratorBaseERKN3c106ScalarES7_ENKUlvE_clEvENKUlvE7_clEvEUlNS4_8BFloat16EE_St5arrayIPcLm2EEEEviT0_T1_,@function
_ZN2at6native29vectorized_elementwise_kernelILi2EZZZNS0_17clamp_kernel_cudaERNS_18TensorIteratorBaseERKN3c106ScalarES7_ENKUlvE_clEvENKUlvE7_clEvEUlNS4_8BFloat16EE_St5arrayIPcLm2EEEEviT0_T1_: ; @_ZN2at6native29vectorized_elementwise_kernelILi2EZZZNS0_17clamp_kernel_cudaERNS_18TensorIteratorBaseERKN3c106ScalarES7_ENKUlvE_clEvENKUlvE7_clEvEUlNS4_8BFloat16EE_St5arrayIPcLm2EEEEviT0_T1_
; %bb.0:
	s_clause 0x1
	s_load_b64 s[8:9], s[0:1], 0x0
	s_load_b128 s[4:7], s[0:1], 0x8
	s_lshl_b32 s2, s15, 11
	s_mov_b32 s0, -1
	s_waitcnt lgkmcnt(0)
	s_sub_i32 s8, s8, s2
	s_delay_alu instid0(SALU_CYCLE_1)
	s_cmpk_gt_i32 s8, 0x7ff
	s_cbranch_scc0 .LBB341_2
; %bb.1:
	s_ashr_i32 s3, s2, 31
	v_lshlrev_b32_e32 v1, 2, v0
	s_lshl_b64 s[0:1], s[2:3], 1
	s_lshr_b32 s3, s9, 16
	s_add_u32 s10, s6, s0
	s_addc_u32 s11, s7, s1
	s_and_b32 s12, s9, 0xffff0000
	s_clause 0x3
	global_load_b32 v2, v1, s[10:11]
	global_load_b32 v3, v1, s[10:11] offset:1024
	global_load_b32 v4, v1, s[10:11] offset:2048
	;; [unrolled: 1-line block ×3, first 2 shown]
	s_lshl_b32 s11, s9, 16
	s_add_u32 s10, s4, s0
	s_mov_b32 s0, 0
	s_waitcnt vmcnt(3)
	v_and_b32_e32 v11, 0xffff0000, v2
	s_waitcnt vmcnt(2)
	v_lshrrev_b32_e32 v7, 16, v3
	v_lshlrev_b32_e32 v10, 16, v2
	v_lshrrev_b32_e32 v6, 16, v2
	v_and_b32_e32 v13, 0xffff0000, v3
	s_waitcnt vmcnt(0)
	v_lshrrev_b32_e32 v9, 16, v5
	v_lshlrev_b32_e32 v14, 16, v4
	v_cmp_lt_f32_e32 vcc_lo, s11, v10
	v_and_b32_e32 v15, 0xffff0000, v4
	v_lshrrev_b32_e32 v8, 16, v4
	v_and_b32_e32 v17, 0xffff0000, v5
	v_cndmask_b32_e32 v18, s9, v2, vcc_lo
	v_cmp_lt_f32_e32 vcc_lo, s11, v11
	v_lshlrev_b32_e32 v12, 16, v3
	s_delay_alu instid0(VALU_DEP_3) | instskip(SKIP_1) | instid1(VALU_DEP_3)
	v_lshlrev_b32_e32 v25, 16, v18
	v_cndmask_b32_e32 v19, s9, v6, vcc_lo
	v_cmp_lt_f32_e32 vcc_lo, s11, v12
	v_cndmask_b32_e32 v20, s9, v3, vcc_lo
	v_cmp_lt_f32_e32 vcc_lo, s11, v13
	s_delay_alu instid0(VALU_DEP_2)
	v_lshlrev_b32_e32 v27, 16, v20
	v_cndmask_b32_e32 v21, s9, v7, vcc_lo
	v_cmp_lt_f32_e32 vcc_lo, s11, v14
	v_lshlrev_b32_e32 v26, 16, v19
	v_cndmask_b32_e32 v22, s9, v4, vcc_lo
	v_cmp_lt_f32_e32 vcc_lo, s11, v15
	v_dual_cndmask_b32 v23, s9, v8 :: v_dual_lshlrev_b32 v16, 16, v5
	s_delay_alu instid0(VALU_DEP_1)
	v_cmp_lt_f32_e32 vcc_lo, s11, v16
	v_cndmask_b32_e32 v24, s9, v5, vcc_lo
	v_cmp_lt_f32_e32 vcc_lo, s11, v17
	s_addc_u32 s11, s5, s1
	v_cndmask_b32_e32 v9, s9, v9, vcc_lo
	v_cmp_gt_f32_e32 vcc_lo, s12, v25
	v_lshlrev_b32_e32 v31, 16, v24
	v_lshlrev_b32_e32 v30, 16, v23
	v_cndmask_b32_e32 v18, s3, v18, vcc_lo
	v_cmp_gt_f32_e32 vcc_lo, s12, v26
	v_dual_cndmask_b32 v19, s3, v19 :: v_dual_lshlrev_b32 v28, 16, v21
	v_cmp_gt_f32_e32 vcc_lo, s12, v27
	v_dual_cndmask_b32 v20, s3, v20 :: v_dual_lshlrev_b32 v29, 16, v22
	s_delay_alu instid0(VALU_DEP_3) | instskip(SKIP_1) | instid1(VALU_DEP_3)
	v_cmp_gt_f32_e32 vcc_lo, s12, v28
	v_cndmask_b32_e32 v21, s3, v21, vcc_lo
	v_cmp_gt_f32_e32 vcc_lo, s12, v29
	v_cndmask_b32_e32 v22, s3, v22, vcc_lo
	v_cmp_gt_f32_e32 vcc_lo, s12, v30
	v_dual_cndmask_b32 v23, s3, v23 :: v_dual_lshlrev_b32 v32, 16, v9
	v_cmp_gt_f32_e32 vcc_lo, s12, v31
	v_cndmask_b32_e32 v24, s3, v24, vcc_lo
	s_delay_alu instid0(VALU_DEP_3) | instskip(SKIP_2) | instid1(VALU_DEP_2)
	v_cmp_gt_f32_e32 vcc_lo, s12, v32
	v_cndmask_b32_e32 v9, s3, v9, vcc_lo
	v_cmp_u_f32_e32 vcc_lo, v10, v10
	v_dual_cndmask_b32 v2, v18, v2 :: v_dual_lshlrev_b32 v9, 16, v9
	v_cmp_u_f32_e32 vcc_lo, v11, v11
	s_delay_alu instid0(VALU_DEP_2) | instskip(SKIP_2) | instid1(VALU_DEP_2)
	v_and_b32_e32 v2, 0xffff, v2
	v_cndmask_b32_e32 v6, v19, v6, vcc_lo
	v_cmp_u_f32_e32 vcc_lo, v12, v12
	v_dual_cndmask_b32 v3, v20, v3 :: v_dual_lshlrev_b32 v6, 16, v6
	v_cmp_u_f32_e32 vcc_lo, v13, v13
	s_delay_alu instid0(VALU_DEP_2) | instskip(NEXT) | instid1(VALU_DEP_3)
	v_or_b32_e32 v2, v6, v2
	v_and_b32_e32 v3, 0xffff, v3
	v_cndmask_b32_e32 v7, v21, v7, vcc_lo
	v_cmp_u_f32_e32 vcc_lo, v14, v14
	s_delay_alu instid0(VALU_DEP_2) | instskip(SKIP_1) | instid1(VALU_DEP_2)
	v_dual_cndmask_b32 v4, v22, v4 :: v_dual_lshlrev_b32 v7, 16, v7
	v_cmp_u_f32_e32 vcc_lo, v15, v15
	v_or_b32_e32 v3, v7, v3
	s_delay_alu instid0(VALU_DEP_3) | instskip(SKIP_2) | instid1(VALU_DEP_2)
	v_and_b32_e32 v4, 0xffff, v4
	v_cndmask_b32_e32 v8, v23, v8, vcc_lo
	v_cmp_u_f32_e32 vcc_lo, v16, v16
	v_dual_cndmask_b32 v5, v24, v5 :: v_dual_lshlrev_b32 v8, 16, v8
	v_cmp_u_f32_e32 vcc_lo, v17, v17
	s_delay_alu instid0(VALU_DEP_2) | instskip(NEXT) | instid1(VALU_DEP_3)
	v_or_b32_e32 v4, v8, v4
	v_and_b32_e32 v5, 0xffff, v5
	v_cndmask_b32_e32 v9, v9, v17, vcc_lo
	s_delay_alu instid0(VALU_DEP_1)
	v_or_b32_e32 v5, v9, v5
	s_clause 0x3
	global_store_b32 v1, v2, s[10:11]
	global_store_b32 v1, v3, s[10:11] offset:1024
	global_store_b32 v1, v4, s[10:11] offset:2048
	;; [unrolled: 1-line block ×3, first 2 shown]
.LBB341_2:
	s_and_not1_b32 vcc_lo, exec_lo, s0
	s_cbranch_vccnz .LBB341_57
; %bb.3:
	v_cmp_gt_i32_e32 vcc_lo, s8, v0
	v_dual_mov_b32 v3, 0 :: v_dual_mov_b32 v2, v0
	v_or_b32_e32 v1, s2, v0
	v_or_b32_e32 v4, 0x100, v0
	v_mov_b32_e32 v7, 0
	s_and_saveexec_b32 s1, vcc_lo
	s_cbranch_execz .LBB341_5
; %bb.4:
	v_mov_b32_e32 v2, 0
	s_delay_alu instid0(VALU_DEP_1) | instskip(SKIP_1) | instid1(VALU_DEP_2)
	v_lshlrev_b64 v[5:6], 1, v[1:2]
	v_or_b32_e32 v2, 0x100, v0
	v_add_co_u32 v5, s0, s6, v5
	s_delay_alu instid0(VALU_DEP_1)
	v_add_co_ci_u32_e64 v6, s0, s7, v6, s0
	global_load_u16 v7, v[5:6], off
.LBB341_5:
	s_or_b32 exec_lo, exec_lo, s1
	s_delay_alu instid0(SALU_CYCLE_1)
	s_mov_b32 s1, exec_lo
	v_cmpx_gt_i32_e64 s8, v2
	s_cbranch_execz .LBB341_7
; %bb.6:
	v_dual_mov_b32 v6, 0 :: v_dual_add_nc_u32 v5, s2, v2
	v_add_nc_u32_e32 v2, 0x100, v2
	s_delay_alu instid0(VALU_DEP_2) | instskip(NEXT) | instid1(VALU_DEP_1)
	v_lshlrev_b64 v[5:6], 1, v[5:6]
	v_add_co_u32 v5, s0, s6, v5
	s_delay_alu instid0(VALU_DEP_1)
	v_add_co_ci_u32_e64 v6, s0, s7, v6, s0
	global_load_u16 v3, v[5:6], off
.LBB341_7:
	s_or_b32 exec_lo, exec_lo, s1
	v_mov_b32_e32 v5, 0
	v_mov_b32_e32 v9, 0
	s_mov_b32 s1, exec_lo
	v_cmpx_gt_i32_e64 s8, v2
	s_cbranch_execz .LBB341_9
; %bb.8:
	v_dual_mov_b32 v9, 0 :: v_dual_add_nc_u32 v8, s2, v2
	v_add_nc_u32_e32 v2, 0x100, v2
	s_delay_alu instid0(VALU_DEP_2) | instskip(NEXT) | instid1(VALU_DEP_1)
	v_lshlrev_b64 v[8:9], 1, v[8:9]
	v_add_co_u32 v8, s0, s6, v8
	s_delay_alu instid0(VALU_DEP_1)
	v_add_co_ci_u32_e64 v9, s0, s7, v9, s0
	global_load_u16 v9, v[8:9], off
.LBB341_9:
	s_or_b32 exec_lo, exec_lo, s1
	s_delay_alu instid0(SALU_CYCLE_1)
	s_mov_b32 s1, exec_lo
	v_cmpx_gt_i32_e64 s8, v2
	s_cbranch_execz .LBB341_11
; %bb.10:
	v_dual_mov_b32 v6, 0 :: v_dual_add_nc_u32 v5, s2, v2
	v_add_nc_u32_e32 v2, 0x100, v2
	s_delay_alu instid0(VALU_DEP_2) | instskip(NEXT) | instid1(VALU_DEP_1)
	v_lshlrev_b64 v[5:6], 1, v[5:6]
	v_add_co_u32 v5, s0, s6, v5
	s_delay_alu instid0(VALU_DEP_1)
	v_add_co_ci_u32_e64 v6, s0, s7, v6, s0
	global_load_u16 v5, v[5:6], off
.LBB341_11:
	s_or_b32 exec_lo, exec_lo, s1
	v_mov_b32_e32 v6, 0
	v_mov_b32_e32 v10, 0
	s_mov_b32 s1, exec_lo
	v_cmpx_gt_i32_e64 s8, v2
	s_cbranch_execz .LBB341_13
; %bb.12:
	v_dual_mov_b32 v11, 0 :: v_dual_add_nc_u32 v10, s2, v2
	v_add_nc_u32_e32 v2, 0x100, v2
	s_delay_alu instid0(VALU_DEP_2) | instskip(NEXT) | instid1(VALU_DEP_1)
	v_lshlrev_b64 v[10:11], 1, v[10:11]
	v_add_co_u32 v10, s0, s6, v10
	s_delay_alu instid0(VALU_DEP_1)
	v_add_co_ci_u32_e64 v11, s0, s7, v11, s0
	global_load_u16 v10, v[10:11], off
.LBB341_13:
	s_or_b32 exec_lo, exec_lo, s1
	s_delay_alu instid0(SALU_CYCLE_1)
	s_mov_b32 s1, exec_lo
	v_cmpx_gt_i32_e64 s8, v2
	s_cbranch_execz .LBB341_15
; %bb.14:
	v_dual_mov_b32 v12, 0 :: v_dual_add_nc_u32 v11, s2, v2
	v_add_nc_u32_e32 v2, 0x100, v2
	s_delay_alu instid0(VALU_DEP_2) | instskip(NEXT) | instid1(VALU_DEP_1)
	v_lshlrev_b64 v[11:12], 1, v[11:12]
	v_add_co_u32 v11, s0, s6, v11
	s_delay_alu instid0(VALU_DEP_1)
	v_add_co_ci_u32_e64 v12, s0, s7, v12, s0
	global_load_u16 v6, v[11:12], off
.LBB341_15:
	s_or_b32 exec_lo, exec_lo, s1
	v_dual_mov_b32 v8, 0 :: v_dual_mov_b32 v11, 0
	s_mov_b32 s1, exec_lo
	v_cmpx_gt_i32_e64 s8, v2
	s_cbranch_execz .LBB341_17
; %bb.16:
	v_dual_mov_b32 v12, 0 :: v_dual_add_nc_u32 v11, s2, v2
	v_add_nc_u32_e32 v2, 0x100, v2
	s_delay_alu instid0(VALU_DEP_2) | instskip(NEXT) | instid1(VALU_DEP_1)
	v_lshlrev_b64 v[11:12], 1, v[11:12]
	v_add_co_u32 v11, s0, s6, v11
	s_delay_alu instid0(VALU_DEP_1)
	v_add_co_ci_u32_e64 v12, s0, s7, v12, s0
	global_load_u16 v11, v[11:12], off
.LBB341_17:
	s_or_b32 exec_lo, exec_lo, s1
	s_delay_alu instid0(SALU_CYCLE_1)
	s_mov_b32 s1, exec_lo
	v_cmpx_gt_i32_e64 s8, v2
	s_cbranch_execz .LBB341_19
; %bb.18:
	v_dual_mov_b32 v13, 0 :: v_dual_add_nc_u32 v12, s2, v2
	s_delay_alu instid0(VALU_DEP_1) | instskip(NEXT) | instid1(VALU_DEP_1)
	v_lshlrev_b64 v[12:13], 1, v[12:13]
	v_add_co_u32 v12, s0, s6, v12
	s_delay_alu instid0(VALU_DEP_1)
	v_add_co_ci_u32_e64 v13, s0, s7, v13, s0
	global_load_u16 v8, v[12:13], off
.LBB341_19:
	s_or_b32 exec_lo, exec_lo, s1
	s_lshr_b32 s1, s9, 16
	s_lshl_b32 s6, s9, 16
	s_and_b32 s3, s9, 0xffff0000
	s_and_saveexec_b32 s7, vcc_lo
	s_cbranch_execz .LBB341_23
; %bb.20:
	s_waitcnt vmcnt(0)
	v_lshlrev_b32_e32 v2, 16, v7
	s_mov_b32 s10, exec_lo
	s_delay_alu instid0(VALU_DEP_1)
	v_cmpx_o_f32_e32 v2, v2
; %bb.21:
	v_cmp_lt_f32_e64 s0, s6, v2
	s_delay_alu instid0(VALU_DEP_1) | instskip(NEXT) | instid1(VALU_DEP_1)
	v_cndmask_b32_e64 v2, s9, v7, s0
	v_lshlrev_b32_e32 v7, 16, v2
	s_delay_alu instid0(VALU_DEP_1) | instskip(NEXT) | instid1(VALU_DEP_1)
	v_cmp_gt_f32_e64 s0, s3, v7
	v_cndmask_b32_e64 v7, s1, v2, s0
; %bb.22:
	s_or_b32 exec_lo, exec_lo, s10
.LBB341_23:
	s_delay_alu instid0(SALU_CYCLE_1) | instskip(NEXT) | instid1(SALU_CYCLE_1)
	s_or_b32 exec_lo, exec_lo, s7
	s_mov_b32 s7, exec_lo
	v_cmpx_gt_i32_e64 s8, v4
	s_cbranch_execz .LBB341_27
; %bb.24:
	s_waitcnt vmcnt(0)
	v_lshlrev_b32_e32 v2, 16, v3
	s_mov_b32 s10, exec_lo
	s_delay_alu instid0(VALU_DEP_1)
	v_cmpx_o_f32_e32 v2, v2
; %bb.25:
	v_cmp_lt_f32_e64 s0, s6, v2
	s_delay_alu instid0(VALU_DEP_1) | instskip(NEXT) | instid1(VALU_DEP_1)
	v_cndmask_b32_e64 v2, s9, v3, s0
	v_lshlrev_b32_e32 v3, 16, v2
	s_delay_alu instid0(VALU_DEP_1) | instskip(NEXT) | instid1(VALU_DEP_1)
	v_cmp_gt_f32_e64 s0, s3, v3
	v_cndmask_b32_e64 v3, s1, v2, s0
; %bb.26:
	s_or_b32 exec_lo, exec_lo, s10
.LBB341_27:
	s_delay_alu instid0(SALU_CYCLE_1) | instskip(SKIP_2) | instid1(VALU_DEP_1)
	s_or_b32 exec_lo, exec_lo, s7
	v_or_b32_e32 v2, 0x200, v0
	s_mov_b32 s7, exec_lo
	v_cmpx_gt_i32_e64 s8, v2
	s_cbranch_execz .LBB341_31
; %bb.28:
	s_waitcnt vmcnt(0)
	v_lshlrev_b32_e32 v2, 16, v9
	s_mov_b32 s10, exec_lo
	s_delay_alu instid0(VALU_DEP_1)
	v_cmpx_o_f32_e32 v2, v2
; %bb.29:
	v_cmp_lt_f32_e64 s0, s6, v2
	s_delay_alu instid0(VALU_DEP_1) | instskip(NEXT) | instid1(VALU_DEP_1)
	v_cndmask_b32_e64 v2, s9, v9, s0
	v_lshlrev_b32_e32 v9, 16, v2
	s_delay_alu instid0(VALU_DEP_1) | instskip(NEXT) | instid1(VALU_DEP_1)
	v_cmp_gt_f32_e64 s0, s3, v9
	v_cndmask_b32_e64 v9, s1, v2, s0
; %bb.30:
	s_or_b32 exec_lo, exec_lo, s10
.LBB341_31:
	s_delay_alu instid0(SALU_CYCLE_1) | instskip(SKIP_2) | instid1(VALU_DEP_1)
	s_or_b32 exec_lo, exec_lo, s7
	v_or_b32_e32 v2, 0x300, v0
	;; [unrolled: 23-line block ×6, first 2 shown]
	s_mov_b32 s7, exec_lo
	v_cmpx_gt_i32_e64 s8, v2
	s_cbranch_execnz .LBB341_58
; %bb.48:
	s_or_b32 exec_lo, exec_lo, s7
	s_and_saveexec_b32 s0, vcc_lo
	s_delay_alu instid0(SALU_CYCLE_1)
	s_xor_b32 s0, exec_lo, s0
	s_cbranch_execnz .LBB341_61
.LBB341_49:
	s_or_b32 exec_lo, exec_lo, s0
	s_delay_alu instid0(SALU_CYCLE_1)
	s_mov_b32 s0, exec_lo
	v_cmpx_gt_i32_e64 s8, v0
	s_cbranch_execnz .LBB341_62
.LBB341_50:
	s_or_b32 exec_lo, exec_lo, s0
	s_delay_alu instid0(SALU_CYCLE_1)
	s_mov_b32 s0, exec_lo
	v_cmpx_gt_i32_e64 s8, v0
	s_cbranch_execnz .LBB341_63
.LBB341_51:
	s_or_b32 exec_lo, exec_lo, s0
	s_delay_alu instid0(SALU_CYCLE_1)
	s_mov_b32 s0, exec_lo
	v_cmpx_gt_i32_e64 s8, v0
	s_cbranch_execnz .LBB341_64
.LBB341_52:
	s_or_b32 exec_lo, exec_lo, s0
	s_delay_alu instid0(SALU_CYCLE_1)
	s_mov_b32 s0, exec_lo
	v_cmpx_gt_i32_e64 s8, v0
	s_cbranch_execnz .LBB341_65
.LBB341_53:
	s_or_b32 exec_lo, exec_lo, s0
	s_delay_alu instid0(SALU_CYCLE_1)
	s_mov_b32 s0, exec_lo
	v_cmpx_gt_i32_e64 s8, v0
	s_cbranch_execnz .LBB341_66
.LBB341_54:
	s_or_b32 exec_lo, exec_lo, s0
	s_delay_alu instid0(SALU_CYCLE_1)
	s_mov_b32 s0, exec_lo
	v_cmpx_gt_i32_e64 s8, v0
	s_cbranch_execnz .LBB341_67
.LBB341_55:
	s_or_b32 exec_lo, exec_lo, s0
	s_delay_alu instid0(SALU_CYCLE_1)
	s_mov_b32 s0, exec_lo
	v_cmpx_gt_i32_e64 s8, v0
	s_cbranch_execz .LBB341_57
.LBB341_56:
	v_dual_mov_b32 v1, 0 :: v_dual_add_nc_u32 v0, s2, v0
	s_delay_alu instid0(VALU_DEP_1) | instskip(NEXT) | instid1(VALU_DEP_1)
	v_lshlrev_b64 v[0:1], 1, v[0:1]
	v_add_co_u32 v0, vcc_lo, s4, v0
	s_delay_alu instid0(VALU_DEP_2)
	v_add_co_ci_u32_e32 v1, vcc_lo, s5, v1, vcc_lo
	s_waitcnt vmcnt(0)
	global_store_b16 v[0:1], v8, off
.LBB341_57:
	s_nop 0
	s_sendmsg sendmsg(MSG_DEALLOC_VGPRS)
	s_endpgm
.LBB341_58:
	s_waitcnt vmcnt(0)
	v_lshlrev_b32_e32 v2, 16, v8
	s_mov_b32 s10, exec_lo
	s_delay_alu instid0(VALU_DEP_1)
	v_cmpx_o_f32_e32 v2, v2
; %bb.59:
	v_cmp_lt_f32_e64 s0, s6, v2
	s_delay_alu instid0(VALU_DEP_1) | instskip(NEXT) | instid1(VALU_DEP_1)
	v_cndmask_b32_e64 v2, s9, v8, s0
	v_lshlrev_b32_e32 v8, 16, v2
	s_delay_alu instid0(VALU_DEP_1) | instskip(NEXT) | instid1(VALU_DEP_1)
	v_cmp_gt_f32_e64 s0, s3, v8
	v_cndmask_b32_e64 v8, s1, v2, s0
; %bb.60:
	s_or_b32 exec_lo, exec_lo, s10
	s_delay_alu instid0(SALU_CYCLE_1) | instskip(SKIP_1) | instid1(SALU_CYCLE_1)
	s_or_b32 exec_lo, exec_lo, s7
	s_and_saveexec_b32 s0, vcc_lo
	s_xor_b32 s0, exec_lo, s0
	s_cbranch_execz .LBB341_49
.LBB341_61:
	v_mov_b32_e32 v2, 0
	s_delay_alu instid0(VALU_DEP_1) | instskip(NEXT) | instid1(VALU_DEP_1)
	v_lshlrev_b64 v[0:1], 1, v[1:2]
	v_add_co_u32 v12, vcc_lo, s4, v0
	s_delay_alu instid0(VALU_DEP_2) | instskip(SKIP_4) | instid1(SALU_CYCLE_1)
	v_add_co_ci_u32_e32 v13, vcc_lo, s5, v1, vcc_lo
	v_mov_b32_e32 v0, v4
	s_waitcnt vmcnt(0)
	global_store_b16 v[12:13], v7, off
	s_or_b32 exec_lo, exec_lo, s0
	s_mov_b32 s0, exec_lo
	v_cmpx_gt_i32_e64 s8, v0
	s_cbranch_execz .LBB341_50
.LBB341_62:
	v_dual_mov_b32 v2, 0 :: v_dual_add_nc_u32 v1, s2, v0
	v_add_nc_u32_e32 v0, 0x100, v0
	s_delay_alu instid0(VALU_DEP_2) | instskip(NEXT) | instid1(VALU_DEP_1)
	v_lshlrev_b64 v[1:2], 1, v[1:2]
	v_add_co_u32 v1, vcc_lo, s4, v1
	s_delay_alu instid0(VALU_DEP_2) | instskip(SKIP_3) | instid1(SALU_CYCLE_1)
	v_add_co_ci_u32_e32 v2, vcc_lo, s5, v2, vcc_lo
	s_waitcnt vmcnt(0)
	global_store_b16 v[1:2], v3, off
	s_or_b32 exec_lo, exec_lo, s0
	s_mov_b32 s0, exec_lo
	v_cmpx_gt_i32_e64 s8, v0
	s_cbranch_execz .LBB341_51
.LBB341_63:
	v_dual_mov_b32 v2, 0 :: v_dual_add_nc_u32 v1, s2, v0
	v_add_nc_u32_e32 v0, 0x100, v0
	s_delay_alu instid0(VALU_DEP_2) | instskip(NEXT) | instid1(VALU_DEP_1)
	v_lshlrev_b64 v[1:2], 1, v[1:2]
	v_add_co_u32 v1, vcc_lo, s4, v1
	s_delay_alu instid0(VALU_DEP_2) | instskip(SKIP_3) | instid1(SALU_CYCLE_1)
	v_add_co_ci_u32_e32 v2, vcc_lo, s5, v2, vcc_lo
	s_waitcnt vmcnt(0)
	global_store_b16 v[1:2], v9, off
	s_or_b32 exec_lo, exec_lo, s0
	s_mov_b32 s0, exec_lo
	v_cmpx_gt_i32_e64 s8, v0
	s_cbranch_execz .LBB341_52
.LBB341_64:
	v_dual_mov_b32 v2, 0 :: v_dual_add_nc_u32 v1, s2, v0
	v_add_nc_u32_e32 v0, 0x100, v0
	s_delay_alu instid0(VALU_DEP_2) | instskip(NEXT) | instid1(VALU_DEP_1)
	v_lshlrev_b64 v[1:2], 1, v[1:2]
	v_add_co_u32 v1, vcc_lo, s4, v1
	s_delay_alu instid0(VALU_DEP_2) | instskip(SKIP_3) | instid1(SALU_CYCLE_1)
	v_add_co_ci_u32_e32 v2, vcc_lo, s5, v2, vcc_lo
	s_waitcnt vmcnt(0)
	global_store_b16 v[1:2], v5, off
	s_or_b32 exec_lo, exec_lo, s0
	s_mov_b32 s0, exec_lo
	v_cmpx_gt_i32_e64 s8, v0
	s_cbranch_execz .LBB341_53
.LBB341_65:
	v_dual_mov_b32 v2, 0 :: v_dual_add_nc_u32 v1, s2, v0
	v_add_nc_u32_e32 v0, 0x100, v0
	s_delay_alu instid0(VALU_DEP_2) | instskip(NEXT) | instid1(VALU_DEP_1)
	v_lshlrev_b64 v[1:2], 1, v[1:2]
	v_add_co_u32 v1, vcc_lo, s4, v1
	s_delay_alu instid0(VALU_DEP_2) | instskip(SKIP_3) | instid1(SALU_CYCLE_1)
	v_add_co_ci_u32_e32 v2, vcc_lo, s5, v2, vcc_lo
	s_waitcnt vmcnt(0)
	global_store_b16 v[1:2], v10, off
	s_or_b32 exec_lo, exec_lo, s0
	s_mov_b32 s0, exec_lo
	v_cmpx_gt_i32_e64 s8, v0
	s_cbranch_execz .LBB341_54
.LBB341_66:
	v_dual_mov_b32 v2, 0 :: v_dual_add_nc_u32 v1, s2, v0
	v_add_nc_u32_e32 v0, 0x100, v0
	s_delay_alu instid0(VALU_DEP_2) | instskip(NEXT) | instid1(VALU_DEP_1)
	v_lshlrev_b64 v[1:2], 1, v[1:2]
	v_add_co_u32 v1, vcc_lo, s4, v1
	s_delay_alu instid0(VALU_DEP_2) | instskip(SKIP_3) | instid1(SALU_CYCLE_1)
	v_add_co_ci_u32_e32 v2, vcc_lo, s5, v2, vcc_lo
	s_waitcnt vmcnt(0)
	global_store_b16 v[1:2], v6, off
	s_or_b32 exec_lo, exec_lo, s0
	s_mov_b32 s0, exec_lo
	v_cmpx_gt_i32_e64 s8, v0
	s_cbranch_execz .LBB341_55
.LBB341_67:
	v_dual_mov_b32 v2, 0 :: v_dual_add_nc_u32 v1, s2, v0
	v_add_nc_u32_e32 v0, 0x100, v0
	s_delay_alu instid0(VALU_DEP_2) | instskip(NEXT) | instid1(VALU_DEP_1)
	v_lshlrev_b64 v[1:2], 1, v[1:2]
	v_add_co_u32 v1, vcc_lo, s4, v1
	s_delay_alu instid0(VALU_DEP_2) | instskip(SKIP_3) | instid1(SALU_CYCLE_1)
	v_add_co_ci_u32_e32 v2, vcc_lo, s5, v2, vcc_lo
	s_waitcnt vmcnt(0)
	global_store_b16 v[1:2], v11, off
	s_or_b32 exec_lo, exec_lo, s0
	s_mov_b32 s0, exec_lo
	v_cmpx_gt_i32_e64 s8, v0
	s_cbranch_execnz .LBB341_56
	s_branch .LBB341_57
	.section	.rodata,"a",@progbits
	.p2align	6, 0x0
	.amdhsa_kernel _ZN2at6native29vectorized_elementwise_kernelILi2EZZZNS0_17clamp_kernel_cudaERNS_18TensorIteratorBaseERKN3c106ScalarES7_ENKUlvE_clEvENKUlvE7_clEvEUlNS4_8BFloat16EE_St5arrayIPcLm2EEEEviT0_T1_
		.amdhsa_group_segment_fixed_size 0
		.amdhsa_private_segment_fixed_size 0
		.amdhsa_kernarg_size 24
		.amdhsa_user_sgpr_count 15
		.amdhsa_user_sgpr_dispatch_ptr 0
		.amdhsa_user_sgpr_queue_ptr 0
		.amdhsa_user_sgpr_kernarg_segment_ptr 1
		.amdhsa_user_sgpr_dispatch_id 0
		.amdhsa_user_sgpr_private_segment_size 0
		.amdhsa_wavefront_size32 1
		.amdhsa_uses_dynamic_stack 0
		.amdhsa_enable_private_segment 0
		.amdhsa_system_sgpr_workgroup_id_x 1
		.amdhsa_system_sgpr_workgroup_id_y 0
		.amdhsa_system_sgpr_workgroup_id_z 0
		.amdhsa_system_sgpr_workgroup_info 0
		.amdhsa_system_vgpr_workitem_id 0
		.amdhsa_next_free_vgpr 33
		.amdhsa_next_free_sgpr 16
		.amdhsa_reserve_vcc 1
		.amdhsa_float_round_mode_32 0
		.amdhsa_float_round_mode_16_64 0
		.amdhsa_float_denorm_mode_32 3
		.amdhsa_float_denorm_mode_16_64 3
		.amdhsa_dx10_clamp 1
		.amdhsa_ieee_mode 1
		.amdhsa_fp16_overflow 0
		.amdhsa_workgroup_processor_mode 1
		.amdhsa_memory_ordered 1
		.amdhsa_forward_progress 0
		.amdhsa_shared_vgpr_count 0
		.amdhsa_exception_fp_ieee_invalid_op 0
		.amdhsa_exception_fp_denorm_src 0
		.amdhsa_exception_fp_ieee_div_zero 0
		.amdhsa_exception_fp_ieee_overflow 0
		.amdhsa_exception_fp_ieee_underflow 0
		.amdhsa_exception_fp_ieee_inexact 0
		.amdhsa_exception_int_div_zero 0
	.end_amdhsa_kernel
	.section	.text._ZN2at6native29vectorized_elementwise_kernelILi2EZZZNS0_17clamp_kernel_cudaERNS_18TensorIteratorBaseERKN3c106ScalarES7_ENKUlvE_clEvENKUlvE7_clEvEUlNS4_8BFloat16EE_St5arrayIPcLm2EEEEviT0_T1_,"axG",@progbits,_ZN2at6native29vectorized_elementwise_kernelILi2EZZZNS0_17clamp_kernel_cudaERNS_18TensorIteratorBaseERKN3c106ScalarES7_ENKUlvE_clEvENKUlvE7_clEvEUlNS4_8BFloat16EE_St5arrayIPcLm2EEEEviT0_T1_,comdat
.Lfunc_end341:
	.size	_ZN2at6native29vectorized_elementwise_kernelILi2EZZZNS0_17clamp_kernel_cudaERNS_18TensorIteratorBaseERKN3c106ScalarES7_ENKUlvE_clEvENKUlvE7_clEvEUlNS4_8BFloat16EE_St5arrayIPcLm2EEEEviT0_T1_, .Lfunc_end341-_ZN2at6native29vectorized_elementwise_kernelILi2EZZZNS0_17clamp_kernel_cudaERNS_18TensorIteratorBaseERKN3c106ScalarES7_ENKUlvE_clEvENKUlvE7_clEvEUlNS4_8BFloat16EE_St5arrayIPcLm2EEEEviT0_T1_
                                        ; -- End function
	.section	.AMDGPU.csdata,"",@progbits
; Kernel info:
; codeLenInByte = 2820
; NumSgprs: 18
; NumVgprs: 33
; ScratchSize: 0
; MemoryBound: 0
; FloatMode: 240
; IeeeMode: 1
; LDSByteSize: 0 bytes/workgroup (compile time only)
; SGPRBlocks: 2
; VGPRBlocks: 4
; NumSGPRsForWavesPerEU: 18
; NumVGPRsForWavesPerEU: 33
; Occupancy: 16
; WaveLimiterHint : 1
; COMPUTE_PGM_RSRC2:SCRATCH_EN: 0
; COMPUTE_PGM_RSRC2:USER_SGPR: 15
; COMPUTE_PGM_RSRC2:TRAP_HANDLER: 0
; COMPUTE_PGM_RSRC2:TGID_X_EN: 1
; COMPUTE_PGM_RSRC2:TGID_Y_EN: 0
; COMPUTE_PGM_RSRC2:TGID_Z_EN: 0
; COMPUTE_PGM_RSRC2:TIDIG_COMP_CNT: 0
	.section	.text._ZN2at6native27unrolled_elementwise_kernelIZZZNS0_17clamp_kernel_cudaERNS_18TensorIteratorBaseERKN3c106ScalarES7_ENKUlvE_clEvENKUlvE7_clEvEUlNS4_8BFloat16EE_St5arrayIPcLm2EELi4E23TrivialOffsetCalculatorILi1EjESG_NS0_6memory15LoadWithoutCastENSH_16StoreWithoutCastEEEviT_T0_T2_T3_T4_T5_,"axG",@progbits,_ZN2at6native27unrolled_elementwise_kernelIZZZNS0_17clamp_kernel_cudaERNS_18TensorIteratorBaseERKN3c106ScalarES7_ENKUlvE_clEvENKUlvE7_clEvEUlNS4_8BFloat16EE_St5arrayIPcLm2EELi4E23TrivialOffsetCalculatorILi1EjESG_NS0_6memory15LoadWithoutCastENSH_16StoreWithoutCastEEEviT_T0_T2_T3_T4_T5_,comdat
	.globl	_ZN2at6native27unrolled_elementwise_kernelIZZZNS0_17clamp_kernel_cudaERNS_18TensorIteratorBaseERKN3c106ScalarES7_ENKUlvE_clEvENKUlvE7_clEvEUlNS4_8BFloat16EE_St5arrayIPcLm2EELi4E23TrivialOffsetCalculatorILi1EjESG_NS0_6memory15LoadWithoutCastENSH_16StoreWithoutCastEEEviT_T0_T2_T3_T4_T5_ ; -- Begin function _ZN2at6native27unrolled_elementwise_kernelIZZZNS0_17clamp_kernel_cudaERNS_18TensorIteratorBaseERKN3c106ScalarES7_ENKUlvE_clEvENKUlvE7_clEvEUlNS4_8BFloat16EE_St5arrayIPcLm2EELi4E23TrivialOffsetCalculatorILi1EjESG_NS0_6memory15LoadWithoutCastENSH_16StoreWithoutCastEEEviT_T0_T2_T3_T4_T5_
	.p2align	8
	.type	_ZN2at6native27unrolled_elementwise_kernelIZZZNS0_17clamp_kernel_cudaERNS_18TensorIteratorBaseERKN3c106ScalarES7_ENKUlvE_clEvENKUlvE7_clEvEUlNS4_8BFloat16EE_St5arrayIPcLm2EELi4E23TrivialOffsetCalculatorILi1EjESG_NS0_6memory15LoadWithoutCastENSH_16StoreWithoutCastEEEviT_T0_T2_T3_T4_T5_,@function
_ZN2at6native27unrolled_elementwise_kernelIZZZNS0_17clamp_kernel_cudaERNS_18TensorIteratorBaseERKN3c106ScalarES7_ENKUlvE_clEvENKUlvE7_clEvEUlNS4_8BFloat16EE_St5arrayIPcLm2EELi4E23TrivialOffsetCalculatorILi1EjESG_NS0_6memory15LoadWithoutCastENSH_16StoreWithoutCastEEEviT_T0_T2_T3_T4_T5_: ; @_ZN2at6native27unrolled_elementwise_kernelIZZZNS0_17clamp_kernel_cudaERNS_18TensorIteratorBaseERKN3c106ScalarES7_ENKUlvE_clEvENKUlvE7_clEvEUlNS4_8BFloat16EE_St5arrayIPcLm2EELi4E23TrivialOffsetCalculatorILi1EjESG_NS0_6memory15LoadWithoutCastENSH_16StoreWithoutCastEEEviT_T0_T2_T3_T4_T5_
; %bb.0:
	s_clause 0x1
	s_load_b64 s[2:3], s[0:1], 0x0
	s_load_b128 s[4:7], s[0:1], 0x8
	s_lshl_b32 s1, s15, 10
	v_dual_mov_b32 v3, 0 :: v_dual_mov_b32 v6, 0
	v_or_b32_e32 v1, s1, v0
	v_or_b32_e32 v5, 0x100, v0
	v_mov_b32_e32 v2, v0
	s_waitcnt lgkmcnt(0)
	s_sub_i32 s2, s2, s1
	s_delay_alu instid0(SALU_CYCLE_1)
	v_cmp_gt_i32_e32 vcc_lo, s2, v0
	s_and_saveexec_b32 s8, vcc_lo
	s_cbranch_execz .LBB342_2
; %bb.1:
	v_mov_b32_e32 v2, 0
	s_delay_alu instid0(VALU_DEP_1) | instskip(SKIP_1) | instid1(VALU_DEP_2)
	v_lshlrev_b64 v[6:7], 1, v[1:2]
	v_or_b32_e32 v2, 0x100, v0
	v_add_co_u32 v6, s0, s6, v6
	s_delay_alu instid0(VALU_DEP_1)
	v_add_co_ci_u32_e64 v7, s0, s7, v7, s0
	global_load_u16 v6, v[6:7], off
.LBB342_2:
	s_or_b32 exec_lo, exec_lo, s8
	s_delay_alu instid0(SALU_CYCLE_1)
	s_mov_b32 s8, exec_lo
	v_cmpx_gt_i32_e64 s2, v2
	s_cbranch_execz .LBB342_4
; %bb.3:
	v_dual_mov_b32 v4, 0 :: v_dual_add_nc_u32 v3, s1, v2
	v_add_nc_u32_e32 v2, 0x100, v2
	s_delay_alu instid0(VALU_DEP_2) | instskip(NEXT) | instid1(VALU_DEP_1)
	v_lshlrev_b64 v[3:4], 1, v[3:4]
	v_add_co_u32 v3, s0, s6, v3
	s_delay_alu instid0(VALU_DEP_1)
	v_add_co_ci_u32_e64 v4, s0, s7, v4, s0
	global_load_u16 v3, v[3:4], off
.LBB342_4:
	s_or_b32 exec_lo, exec_lo, s8
	v_dual_mov_b32 v4, 0 :: v_dual_mov_b32 v7, 0
	s_mov_b32 s8, exec_lo
	v_cmpx_gt_i32_e64 s2, v2
	s_cbranch_execz .LBB342_6
; %bb.5:
	v_dual_mov_b32 v8, 0 :: v_dual_add_nc_u32 v7, s1, v2
	v_add_nc_u32_e32 v2, 0x100, v2
	s_delay_alu instid0(VALU_DEP_2) | instskip(NEXT) | instid1(VALU_DEP_1)
	v_lshlrev_b64 v[7:8], 1, v[7:8]
	v_add_co_u32 v7, s0, s6, v7
	s_delay_alu instid0(VALU_DEP_1)
	v_add_co_ci_u32_e64 v8, s0, s7, v8, s0
	global_load_u16 v7, v[7:8], off
.LBB342_6:
	s_or_b32 exec_lo, exec_lo, s8
	s_delay_alu instid0(SALU_CYCLE_1)
	s_mov_b32 s8, exec_lo
	v_cmpx_gt_i32_e64 s2, v2
	s_cbranch_execz .LBB342_8
; %bb.7:
	v_dual_mov_b32 v9, 0 :: v_dual_add_nc_u32 v8, s1, v2
	s_delay_alu instid0(VALU_DEP_1) | instskip(NEXT) | instid1(VALU_DEP_1)
	v_lshlrev_b64 v[8:9], 1, v[8:9]
	v_add_co_u32 v8, s0, s6, v8
	s_delay_alu instid0(VALU_DEP_1)
	v_add_co_ci_u32_e64 v9, s0, s7, v9, s0
	global_load_u16 v4, v[8:9], off
.LBB342_8:
	s_or_b32 exec_lo, exec_lo, s8
	s_lshr_b32 s6, s3, 16
	s_lshl_b32 s8, s3, 16
	s_and_b32 s7, s3, 0xffff0000
	s_and_saveexec_b32 s9, vcc_lo
	s_cbranch_execz .LBB342_12
; %bb.9:
	s_waitcnt vmcnt(0)
	v_lshlrev_b32_e32 v2, 16, v6
	s_mov_b32 s10, exec_lo
	s_delay_alu instid0(VALU_DEP_1)
	v_cmpx_o_f32_e32 v2, v2
; %bb.10:
	v_cmp_lt_f32_e64 s0, s8, v2
	s_delay_alu instid0(VALU_DEP_1) | instskip(NEXT) | instid1(VALU_DEP_1)
	v_cndmask_b32_e64 v2, s3, v6, s0
	v_lshlrev_b32_e32 v6, 16, v2
	s_delay_alu instid0(VALU_DEP_1) | instskip(NEXT) | instid1(VALU_DEP_1)
	v_cmp_gt_f32_e64 s0, s7, v6
	v_cndmask_b32_e64 v6, s6, v2, s0
; %bb.11:
	s_or_b32 exec_lo, exec_lo, s10
.LBB342_12:
	s_delay_alu instid0(SALU_CYCLE_1) | instskip(NEXT) | instid1(SALU_CYCLE_1)
	s_or_b32 exec_lo, exec_lo, s9
	s_mov_b32 s9, exec_lo
	v_cmpx_gt_i32_e64 s2, v5
	s_cbranch_execz .LBB342_16
; %bb.13:
	s_waitcnt vmcnt(0)
	v_lshlrev_b32_e32 v2, 16, v3
	s_mov_b32 s10, exec_lo
	s_delay_alu instid0(VALU_DEP_1)
	v_cmpx_o_f32_e32 v2, v2
; %bb.14:
	v_cmp_lt_f32_e64 s0, s8, v2
	s_delay_alu instid0(VALU_DEP_1) | instskip(NEXT) | instid1(VALU_DEP_1)
	v_cndmask_b32_e64 v2, s3, v3, s0
	v_lshlrev_b32_e32 v3, 16, v2
	s_delay_alu instid0(VALU_DEP_1) | instskip(NEXT) | instid1(VALU_DEP_1)
	v_cmp_gt_f32_e64 s0, s7, v3
	v_cndmask_b32_e64 v3, s6, v2, s0
; %bb.15:
	s_or_b32 exec_lo, exec_lo, s10
.LBB342_16:
	s_delay_alu instid0(SALU_CYCLE_1) | instskip(SKIP_2) | instid1(VALU_DEP_1)
	s_or_b32 exec_lo, exec_lo, s9
	v_or_b32_e32 v2, 0x200, v0
	s_mov_b32 s9, exec_lo
	v_cmpx_gt_i32_e64 s2, v2
	s_cbranch_execz .LBB342_20
; %bb.17:
	s_waitcnt vmcnt(0)
	v_lshlrev_b32_e32 v2, 16, v7
	s_mov_b32 s10, exec_lo
	s_delay_alu instid0(VALU_DEP_1)
	v_cmpx_o_f32_e32 v2, v2
; %bb.18:
	v_cmp_lt_f32_e64 s0, s8, v2
	s_delay_alu instid0(VALU_DEP_1) | instskip(NEXT) | instid1(VALU_DEP_1)
	v_cndmask_b32_e64 v2, s3, v7, s0
	v_lshlrev_b32_e32 v7, 16, v2
	s_delay_alu instid0(VALU_DEP_1) | instskip(NEXT) | instid1(VALU_DEP_1)
	v_cmp_gt_f32_e64 s0, s7, v7
	v_cndmask_b32_e64 v7, s6, v2, s0
; %bb.19:
	s_or_b32 exec_lo, exec_lo, s10
.LBB342_20:
	s_delay_alu instid0(SALU_CYCLE_1) | instskip(SKIP_2) | instid1(VALU_DEP_1)
	s_or_b32 exec_lo, exec_lo, s9
	v_or_b32_e32 v2, 0x300, v0
	s_mov_b32 s9, exec_lo
	v_cmpx_gt_i32_e64 s2, v2
	s_cbranch_execnz .LBB342_26
; %bb.21:
	s_or_b32 exec_lo, exec_lo, s9
	s_and_saveexec_b32 s0, vcc_lo
	s_delay_alu instid0(SALU_CYCLE_1)
	s_xor_b32 s0, exec_lo, s0
	s_cbranch_execnz .LBB342_29
.LBB342_22:
	s_or_b32 exec_lo, exec_lo, s0
	s_delay_alu instid0(SALU_CYCLE_1)
	s_mov_b32 s0, exec_lo
	v_cmpx_gt_i32_e64 s2, v0
	s_cbranch_execnz .LBB342_30
.LBB342_23:
	s_or_b32 exec_lo, exec_lo, s0
	s_delay_alu instid0(SALU_CYCLE_1)
	s_mov_b32 s0, exec_lo
	v_cmpx_gt_i32_e64 s2, v0
	s_cbranch_execnz .LBB342_31
.LBB342_24:
	s_or_b32 exec_lo, exec_lo, s0
	s_delay_alu instid0(SALU_CYCLE_1)
	s_mov_b32 s0, exec_lo
	v_cmpx_gt_i32_e64 s2, v0
	s_cbranch_execnz .LBB342_32
.LBB342_25:
	s_nop 0
	s_sendmsg sendmsg(MSG_DEALLOC_VGPRS)
	s_endpgm
.LBB342_26:
	s_waitcnt vmcnt(0)
	v_lshlrev_b32_e32 v2, 16, v4
	s_mov_b32 s10, exec_lo
	s_delay_alu instid0(VALU_DEP_1)
	v_cmpx_o_f32_e32 v2, v2
; %bb.27:
	v_cmp_lt_f32_e64 s0, s8, v2
	s_delay_alu instid0(VALU_DEP_1) | instskip(NEXT) | instid1(VALU_DEP_1)
	v_cndmask_b32_e64 v2, s3, v4, s0
	v_lshlrev_b32_e32 v4, 16, v2
	s_delay_alu instid0(VALU_DEP_1) | instskip(NEXT) | instid1(VALU_DEP_1)
	v_cmp_gt_f32_e64 s0, s7, v4
	v_cndmask_b32_e64 v4, s6, v2, s0
; %bb.28:
	s_or_b32 exec_lo, exec_lo, s10
	s_delay_alu instid0(SALU_CYCLE_1) | instskip(SKIP_1) | instid1(SALU_CYCLE_1)
	s_or_b32 exec_lo, exec_lo, s9
	s_and_saveexec_b32 s0, vcc_lo
	s_xor_b32 s0, exec_lo, s0
	s_cbranch_execz .LBB342_22
.LBB342_29:
	v_mov_b32_e32 v2, 0
	s_delay_alu instid0(VALU_DEP_1) | instskip(NEXT) | instid1(VALU_DEP_1)
	v_lshlrev_b64 v[0:1], 1, v[1:2]
	v_add_co_u32 v8, vcc_lo, s4, v0
	s_delay_alu instid0(VALU_DEP_2) | instskip(SKIP_4) | instid1(SALU_CYCLE_1)
	v_add_co_ci_u32_e32 v9, vcc_lo, s5, v1, vcc_lo
	v_mov_b32_e32 v0, v5
	s_waitcnt vmcnt(0)
	global_store_b16 v[8:9], v6, off
	s_or_b32 exec_lo, exec_lo, s0
	s_mov_b32 s0, exec_lo
	v_cmpx_gt_i32_e64 s2, v0
	s_cbranch_execz .LBB342_23
.LBB342_30:
	v_dual_mov_b32 v2, 0 :: v_dual_add_nc_u32 v1, s1, v0
	v_add_nc_u32_e32 v0, 0x100, v0
	s_delay_alu instid0(VALU_DEP_2) | instskip(NEXT) | instid1(VALU_DEP_1)
	v_lshlrev_b64 v[1:2], 1, v[1:2]
	v_add_co_u32 v1, vcc_lo, s4, v1
	s_delay_alu instid0(VALU_DEP_2) | instskip(SKIP_3) | instid1(SALU_CYCLE_1)
	v_add_co_ci_u32_e32 v2, vcc_lo, s5, v2, vcc_lo
	s_waitcnt vmcnt(0)
	global_store_b16 v[1:2], v3, off
	s_or_b32 exec_lo, exec_lo, s0
	s_mov_b32 s0, exec_lo
	v_cmpx_gt_i32_e64 s2, v0
	s_cbranch_execz .LBB342_24
.LBB342_31:
	v_dual_mov_b32 v2, 0 :: v_dual_add_nc_u32 v1, s1, v0
	v_add_nc_u32_e32 v0, 0x100, v0
	s_delay_alu instid0(VALU_DEP_2) | instskip(NEXT) | instid1(VALU_DEP_1)
	v_lshlrev_b64 v[1:2], 1, v[1:2]
	v_add_co_u32 v1, vcc_lo, s4, v1
	s_delay_alu instid0(VALU_DEP_2) | instskip(SKIP_3) | instid1(SALU_CYCLE_1)
	v_add_co_ci_u32_e32 v2, vcc_lo, s5, v2, vcc_lo
	s_waitcnt vmcnt(0)
	global_store_b16 v[1:2], v7, off
	s_or_b32 exec_lo, exec_lo, s0
	s_mov_b32 s0, exec_lo
	v_cmpx_gt_i32_e64 s2, v0
	s_cbranch_execz .LBB342_25
.LBB342_32:
	v_dual_mov_b32 v1, 0 :: v_dual_add_nc_u32 v0, s1, v0
	s_delay_alu instid0(VALU_DEP_1) | instskip(NEXT) | instid1(VALU_DEP_1)
	v_lshlrev_b64 v[0:1], 1, v[0:1]
	v_add_co_u32 v0, vcc_lo, s4, v0
	s_delay_alu instid0(VALU_DEP_2)
	v_add_co_ci_u32_e32 v1, vcc_lo, s5, v1, vcc_lo
	s_waitcnt vmcnt(0)
	global_store_b16 v[0:1], v4, off
	s_nop 0
	s_sendmsg sendmsg(MSG_DEALLOC_VGPRS)
	s_endpgm
	.section	.rodata,"a",@progbits
	.p2align	6, 0x0
	.amdhsa_kernel _ZN2at6native27unrolled_elementwise_kernelIZZZNS0_17clamp_kernel_cudaERNS_18TensorIteratorBaseERKN3c106ScalarES7_ENKUlvE_clEvENKUlvE7_clEvEUlNS4_8BFloat16EE_St5arrayIPcLm2EELi4E23TrivialOffsetCalculatorILi1EjESG_NS0_6memory15LoadWithoutCastENSH_16StoreWithoutCastEEEviT_T0_T2_T3_T4_T5_
		.amdhsa_group_segment_fixed_size 0
		.amdhsa_private_segment_fixed_size 0
		.amdhsa_kernarg_size 28
		.amdhsa_user_sgpr_count 15
		.amdhsa_user_sgpr_dispatch_ptr 0
		.amdhsa_user_sgpr_queue_ptr 0
		.amdhsa_user_sgpr_kernarg_segment_ptr 1
		.amdhsa_user_sgpr_dispatch_id 0
		.amdhsa_user_sgpr_private_segment_size 0
		.amdhsa_wavefront_size32 1
		.amdhsa_uses_dynamic_stack 0
		.amdhsa_enable_private_segment 0
		.amdhsa_system_sgpr_workgroup_id_x 1
		.amdhsa_system_sgpr_workgroup_id_y 0
		.amdhsa_system_sgpr_workgroup_id_z 0
		.amdhsa_system_sgpr_workgroup_info 0
		.amdhsa_system_vgpr_workitem_id 0
		.amdhsa_next_free_vgpr 10
		.amdhsa_next_free_sgpr 16
		.amdhsa_reserve_vcc 1
		.amdhsa_float_round_mode_32 0
		.amdhsa_float_round_mode_16_64 0
		.amdhsa_float_denorm_mode_32 3
		.amdhsa_float_denorm_mode_16_64 3
		.amdhsa_dx10_clamp 1
		.amdhsa_ieee_mode 1
		.amdhsa_fp16_overflow 0
		.amdhsa_workgroup_processor_mode 1
		.amdhsa_memory_ordered 1
		.amdhsa_forward_progress 0
		.amdhsa_shared_vgpr_count 0
		.amdhsa_exception_fp_ieee_invalid_op 0
		.amdhsa_exception_fp_denorm_src 0
		.amdhsa_exception_fp_ieee_div_zero 0
		.amdhsa_exception_fp_ieee_overflow 0
		.amdhsa_exception_fp_ieee_underflow 0
		.amdhsa_exception_fp_ieee_inexact 0
		.amdhsa_exception_int_div_zero 0
	.end_amdhsa_kernel
	.section	.text._ZN2at6native27unrolled_elementwise_kernelIZZZNS0_17clamp_kernel_cudaERNS_18TensorIteratorBaseERKN3c106ScalarES7_ENKUlvE_clEvENKUlvE7_clEvEUlNS4_8BFloat16EE_St5arrayIPcLm2EELi4E23TrivialOffsetCalculatorILi1EjESG_NS0_6memory15LoadWithoutCastENSH_16StoreWithoutCastEEEviT_T0_T2_T3_T4_T5_,"axG",@progbits,_ZN2at6native27unrolled_elementwise_kernelIZZZNS0_17clamp_kernel_cudaERNS_18TensorIteratorBaseERKN3c106ScalarES7_ENKUlvE_clEvENKUlvE7_clEvEUlNS4_8BFloat16EE_St5arrayIPcLm2EELi4E23TrivialOffsetCalculatorILi1EjESG_NS0_6memory15LoadWithoutCastENSH_16StoreWithoutCastEEEviT_T0_T2_T3_T4_T5_,comdat
.Lfunc_end342:
	.size	_ZN2at6native27unrolled_elementwise_kernelIZZZNS0_17clamp_kernel_cudaERNS_18TensorIteratorBaseERKN3c106ScalarES7_ENKUlvE_clEvENKUlvE7_clEvEUlNS4_8BFloat16EE_St5arrayIPcLm2EELi4E23TrivialOffsetCalculatorILi1EjESG_NS0_6memory15LoadWithoutCastENSH_16StoreWithoutCastEEEviT_T0_T2_T3_T4_T5_, .Lfunc_end342-_ZN2at6native27unrolled_elementwise_kernelIZZZNS0_17clamp_kernel_cudaERNS_18TensorIteratorBaseERKN3c106ScalarES7_ENKUlvE_clEvENKUlvE7_clEvEUlNS4_8BFloat16EE_St5arrayIPcLm2EELi4E23TrivialOffsetCalculatorILi1EjESG_NS0_6memory15LoadWithoutCastENSH_16StoreWithoutCastEEEviT_T0_T2_T3_T4_T5_
                                        ; -- End function
	.section	.AMDGPU.csdata,"",@progbits
; Kernel info:
; codeLenInByte = 1152
; NumSgprs: 18
; NumVgprs: 10
; ScratchSize: 0
; MemoryBound: 0
; FloatMode: 240
; IeeeMode: 1
; LDSByteSize: 0 bytes/workgroup (compile time only)
; SGPRBlocks: 2
; VGPRBlocks: 1
; NumSGPRsForWavesPerEU: 18
; NumVGPRsForWavesPerEU: 10
; Occupancy: 16
; WaveLimiterHint : 0
; COMPUTE_PGM_RSRC2:SCRATCH_EN: 0
; COMPUTE_PGM_RSRC2:USER_SGPR: 15
; COMPUTE_PGM_RSRC2:TRAP_HANDLER: 0
; COMPUTE_PGM_RSRC2:TGID_X_EN: 1
; COMPUTE_PGM_RSRC2:TGID_Y_EN: 0
; COMPUTE_PGM_RSRC2:TGID_Z_EN: 0
; COMPUTE_PGM_RSRC2:TIDIG_COMP_CNT: 0
	.section	.text._ZN2at6native32elementwise_kernel_manual_unrollILi128ELi8EZNS0_22gpu_kernel_impl_nocastIZZZNS0_17clamp_kernel_cudaERNS_18TensorIteratorBaseERKN3c106ScalarES8_ENKUlvE_clEvENKUlvE7_clEvEUlNS5_8BFloat16EE_EEvS4_RKT_EUlibE_EEviT1_,"axG",@progbits,_ZN2at6native32elementwise_kernel_manual_unrollILi128ELi8EZNS0_22gpu_kernel_impl_nocastIZZZNS0_17clamp_kernel_cudaERNS_18TensorIteratorBaseERKN3c106ScalarES8_ENKUlvE_clEvENKUlvE7_clEvEUlNS5_8BFloat16EE_EEvS4_RKT_EUlibE_EEviT1_,comdat
	.globl	_ZN2at6native32elementwise_kernel_manual_unrollILi128ELi8EZNS0_22gpu_kernel_impl_nocastIZZZNS0_17clamp_kernel_cudaERNS_18TensorIteratorBaseERKN3c106ScalarES8_ENKUlvE_clEvENKUlvE7_clEvEUlNS5_8BFloat16EE_EEvS4_RKT_EUlibE_EEviT1_ ; -- Begin function _ZN2at6native32elementwise_kernel_manual_unrollILi128ELi8EZNS0_22gpu_kernel_impl_nocastIZZZNS0_17clamp_kernel_cudaERNS_18TensorIteratorBaseERKN3c106ScalarES8_ENKUlvE_clEvENKUlvE7_clEvEUlNS5_8BFloat16EE_EEvS4_RKT_EUlibE_EEviT1_
	.p2align	8
	.type	_ZN2at6native32elementwise_kernel_manual_unrollILi128ELi8EZNS0_22gpu_kernel_impl_nocastIZZZNS0_17clamp_kernel_cudaERNS_18TensorIteratorBaseERKN3c106ScalarES8_ENKUlvE_clEvENKUlvE7_clEvEUlNS5_8BFloat16EE_EEvS4_RKT_EUlibE_EEviT1_,@function
_ZN2at6native32elementwise_kernel_manual_unrollILi128ELi8EZNS0_22gpu_kernel_impl_nocastIZZZNS0_17clamp_kernel_cudaERNS_18TensorIteratorBaseERKN3c106ScalarES8_ENKUlvE_clEvENKUlvE7_clEvEUlNS5_8BFloat16EE_EEvS4_RKT_EUlibE_EEviT1_: ; @_ZN2at6native32elementwise_kernel_manual_unrollILi128ELi8EZNS0_22gpu_kernel_impl_nocastIZZZNS0_17clamp_kernel_cudaERNS_18TensorIteratorBaseERKN3c106ScalarES8_ENKUlvE_clEvENKUlvE7_clEvEUlNS5_8BFloat16EE_EEvS4_RKT_EUlibE_EEviT1_
; %bb.0:
	s_clause 0x1
	s_load_b32 s22, s[0:1], 0x8
	s_load_b32 s31, s[0:1], 0x0
	v_lshl_or_b32 v12, s15, 10, v0
	s_or_b32 s0, s0, 8
	s_mov_b32 s2, exec_lo
	s_delay_alu instid0(VALU_DEP_1) | instskip(SKIP_2) | instid1(SALU_CYCLE_1)
	v_or_b32_e32 v16, 0x380, v12
	s_waitcnt lgkmcnt(0)
	s_add_i32 s23, s22, -1
	s_cmp_gt_u32 s23, 1
	s_cselect_b32 s24, -1, 0
	v_cmpx_le_i32_e64 s31, v16
	s_xor_b32 s25, exec_lo, s2
	s_cbranch_execz .LBB343_7
; %bb.1:
	s_clause 0x4
	s_load_b32 s26, s[0:1], 0x158
	s_load_b128 s[12:15], s[0:1], 0x4
	s_load_b64 s[2:3], s[0:1], 0x14
	s_load_b128 s[8:11], s[0:1], 0xc4
	s_load_b128 s[4:7], s[0:1], 0x148
	s_cmp_lg_u32 s22, 0
	s_mov_b32 s35, exec_lo
	s_cselect_b32 s34, -1, 0
	s_add_u32 s16, s0, 0xc4
	s_addc_u32 s17, s1, 0
	s_min_u32 s33, s23, 15
	s_cmp_gt_u32 s22, 1
	s_cselect_b32 s30, -1, 0
	s_waitcnt lgkmcnt(0)
	s_lshr_b32 s27, s26, 16
	s_lshl_b32 s29, s26, 16
	s_pack_lh_b32_b16 s28, 0, s26
	v_cmpx_gt_i32_e64 s31, v12
	s_cbranch_execz .LBB343_14
; %bb.2:
	s_and_not1_b32 vcc_lo, exec_lo, s24
	s_cbranch_vccnz .LBB343_21
; %bb.3:
	v_dual_mov_b32 v0, 0 :: v_dual_mov_b32 v1, 0
	s_and_not1_b32 vcc_lo, exec_lo, s34
	s_mov_b32 s36, 0
	s_cbranch_vccnz .LBB343_141
; %bb.4:
	v_mov_b32_e32 v0, 0
	s_add_i32 s38, s33, 1
	s_cmp_eq_u32 s23, 2
	s_mov_b32 s37, 0
	s_cbranch_scc1 .LBB343_137
; %bb.5:
	v_dual_mov_b32 v1, 0 :: v_dual_mov_b32 v0, 0
	v_mov_b32_e32 v2, v12
	s_and_b32 s37, s38, 28
	s_mov_b32 s39, 0
	s_mov_b64 s[18:19], s[16:17]
	s_mov_b64 s[20:21], s[0:1]
.LBB343_6:                              ; =>This Inner Loop Header: Depth=1
	s_clause 0x1
	s_load_b256 s[40:47], s[20:21], 0x4
	s_load_b128 s[56:59], s[20:21], 0x24
	s_load_b256 s[48:55], s[18:19], 0x0
	s_add_u32 s20, s20, 48
	s_addc_u32 s21, s21, 0
	s_add_i32 s39, s39, 4
	s_add_u32 s18, s18, 32
	s_addc_u32 s19, s19, 0
	s_cmp_lg_u32 s37, s39
	s_waitcnt lgkmcnt(0)
	v_mul_hi_u32 v3, s41, v2
	s_delay_alu instid0(VALU_DEP_1) | instskip(NEXT) | instid1(VALU_DEP_1)
	v_add_nc_u32_e32 v3, v2, v3
	v_lshrrev_b32_e32 v3, s42, v3
	s_delay_alu instid0(VALU_DEP_1) | instskip(SKIP_1) | instid1(VALU_DEP_2)
	v_mul_hi_u32 v4, s44, v3
	v_mul_lo_u32 v6, v3, s40
	v_add_nc_u32_e32 v4, v3, v4
	s_delay_alu instid0(VALU_DEP_2) | instskip(NEXT) | instid1(VALU_DEP_2)
	v_sub_nc_u32_e32 v2, v2, v6
	v_lshrrev_b32_e32 v4, s45, v4
	s_delay_alu instid0(VALU_DEP_2) | instskip(SKIP_1) | instid1(VALU_DEP_3)
	v_mul_lo_u32 v6, v2, s48
	v_mul_lo_u32 v8, v2, s49
	v_mul_hi_u32 v5, s47, v4
	s_delay_alu instid0(VALU_DEP_1) | instskip(NEXT) | instid1(VALU_DEP_1)
	v_add_nc_u32_e32 v5, v4, v5
	v_lshrrev_b32_e32 v5, s56, v5
	s_delay_alu instid0(VALU_DEP_1) | instskip(SKIP_1) | instid1(VALU_DEP_2)
	v_mul_hi_u32 v7, s58, v5
	v_mul_lo_u32 v9, v5, s46
	v_add_nc_u32_e32 v2, v5, v7
	v_mul_lo_u32 v7, v4, s43
	s_delay_alu instid0(VALU_DEP_3) | instskip(NEXT) | instid1(VALU_DEP_3)
	v_sub_nc_u32_e32 v4, v4, v9
	v_lshrrev_b32_e32 v2, s59, v2
	s_delay_alu instid0(VALU_DEP_2) | instskip(SKIP_2) | instid1(VALU_DEP_4)
	v_mul_lo_u32 v9, v4, s52
	v_mul_lo_u32 v4, v4, s53
	v_sub_nc_u32_e32 v3, v3, v7
	v_mul_lo_u32 v10, v2, s57
	s_delay_alu instid0(VALU_DEP_2) | instskip(SKIP_1) | instid1(VALU_DEP_3)
	v_mul_lo_u32 v7, v3, s50
	v_mul_lo_u32 v3, v3, s51
	v_sub_nc_u32_e32 v5, v5, v10
	s_delay_alu instid0(VALU_DEP_3) | instskip(NEXT) | instid1(VALU_DEP_2)
	v_add3_u32 v0, v6, v0, v7
	v_mul_lo_u32 v10, v5, s54
	v_mul_lo_u32 v5, v5, s55
	v_add3_u32 v1, v8, v1, v3
	s_delay_alu instid0(VALU_DEP_3) | instskip(NEXT) | instid1(VALU_DEP_2)
	v_add3_u32 v0, v9, v0, v10
	v_add3_u32 v1, v4, v1, v5
	s_cbranch_scc1 .LBB343_6
	s_branch .LBB343_138
.LBB343_7:
	s_and_not1_saveexec_b32 s2, s25
	s_cbranch_execz .LBB343_234
.LBB343_8:
	v_cndmask_b32_e64 v14, 0, 1, s24
	s_and_not1_b32 vcc_lo, exec_lo, s24
	s_cbranch_vccnz .LBB343_20
; %bb.9:
	v_dual_mov_b32 v0, 0 :: v_dual_mov_b32 v1, 0
	s_cmp_lg_u32 s22, 0
	s_mov_b32 s6, 0
	s_cbranch_scc0 .LBB343_26
; %bb.10:
	s_min_u32 s7, s23, 15
	v_mov_b32_e32 v0, 0
	s_add_i32 s7, s7, 1
	s_cmp_eq_u32 s23, 2
	s_mov_b32 s8, 0
	s_cbranch_scc1 .LBB343_23
; %bb.11:
	v_dual_mov_b32 v1, 0 :: v_dual_mov_b32 v0, 0
	v_mov_b32_e32 v2, v12
	s_add_u32 s2, s0, 0xc4
	s_addc_u32 s3, s1, 0
	s_and_b32 s8, s7, 28
	s_mov_b32 s9, 0
	s_mov_b64 s[4:5], s[0:1]
.LBB343_12:                             ; =>This Inner Loop Header: Depth=1
	s_clause 0x1
	s_load_b256 s[12:19], s[4:5], 0x4
	s_load_b128 s[36:39], s[4:5], 0x24
	s_load_b256 s[24:31], s[2:3], 0x0
	s_add_u32 s4, s4, 48
	s_addc_u32 s5, s5, 0
	s_add_i32 s9, s9, 4
	s_add_u32 s2, s2, 32
	s_addc_u32 s3, s3, 0
	s_cmp_lg_u32 s8, s9
	s_waitcnt lgkmcnt(0)
	v_mul_hi_u32 v3, s13, v2
	s_delay_alu instid0(VALU_DEP_1) | instskip(NEXT) | instid1(VALU_DEP_1)
	v_add_nc_u32_e32 v3, v2, v3
	v_lshrrev_b32_e32 v3, s14, v3
	s_delay_alu instid0(VALU_DEP_1) | instskip(SKIP_1) | instid1(VALU_DEP_2)
	v_mul_hi_u32 v4, s16, v3
	v_mul_lo_u32 v6, v3, s12
	v_add_nc_u32_e32 v4, v3, v4
	s_delay_alu instid0(VALU_DEP_2) | instskip(NEXT) | instid1(VALU_DEP_2)
	v_sub_nc_u32_e32 v2, v2, v6
	v_lshrrev_b32_e32 v4, s17, v4
	s_delay_alu instid0(VALU_DEP_2) | instskip(SKIP_1) | instid1(VALU_DEP_3)
	v_mul_lo_u32 v6, v2, s24
	v_mul_lo_u32 v8, v2, s25
	v_mul_hi_u32 v5, s19, v4
	s_delay_alu instid0(VALU_DEP_1) | instskip(NEXT) | instid1(VALU_DEP_1)
	v_add_nc_u32_e32 v5, v4, v5
	v_lshrrev_b32_e32 v5, s36, v5
	s_delay_alu instid0(VALU_DEP_1) | instskip(SKIP_1) | instid1(VALU_DEP_2)
	v_mul_hi_u32 v7, s38, v5
	v_mul_lo_u32 v9, v5, s18
	v_add_nc_u32_e32 v2, v5, v7
	v_mul_lo_u32 v7, v4, s15
	s_delay_alu instid0(VALU_DEP_3) | instskip(NEXT) | instid1(VALU_DEP_3)
	v_sub_nc_u32_e32 v4, v4, v9
	v_lshrrev_b32_e32 v2, s39, v2
	s_delay_alu instid0(VALU_DEP_2) | instskip(SKIP_2) | instid1(VALU_DEP_4)
	v_mul_lo_u32 v9, v4, s28
	v_mul_lo_u32 v4, v4, s29
	v_sub_nc_u32_e32 v3, v3, v7
	v_mul_lo_u32 v10, v2, s37
	s_delay_alu instid0(VALU_DEP_2) | instskip(SKIP_1) | instid1(VALU_DEP_3)
	v_mul_lo_u32 v7, v3, s26
	v_mul_lo_u32 v3, v3, s27
	v_sub_nc_u32_e32 v5, v5, v10
	s_delay_alu instid0(VALU_DEP_3) | instskip(NEXT) | instid1(VALU_DEP_2)
	v_add3_u32 v0, v6, v0, v7
	v_mul_lo_u32 v10, v5, s30
	v_mul_lo_u32 v5, v5, s31
	v_add3_u32 v1, v8, v1, v3
	s_delay_alu instid0(VALU_DEP_3) | instskip(NEXT) | instid1(VALU_DEP_2)
	v_add3_u32 v0, v9, v0, v10
	v_add3_u32 v1, v4, v1, v5
	s_cbranch_scc1 .LBB343_12
; %bb.13:
	s_and_b32 s7, s7, 3
	s_delay_alu instid0(SALU_CYCLE_1)
	s_cmp_eq_u32 s7, 0
	s_cbranch_scc0 .LBB343_24
	s_branch .LBB343_26
.LBB343_14:
	s_or_b32 exec_lo, exec_lo, s35
	s_delay_alu instid0(SALU_CYCLE_1)
	s_mov_b32 s35, exec_lo
	v_cmpx_gt_i32_e64 s31, v12
	s_cbranch_execz .LBB343_147
.LBB343_15:
	s_and_not1_b32 vcc_lo, exec_lo, s24
	s_cbranch_vccnz .LBB343_22
; %bb.16:
	v_dual_mov_b32 v0, 0 :: v_dual_mov_b32 v1, 0
	s_and_not1_b32 vcc_lo, exec_lo, s34
	s_mov_b32 s36, 0
	s_cbranch_vccnz .LBB343_158
; %bb.17:
	v_mov_b32_e32 v0, 0
	s_add_i32 s38, s33, 1
	s_cmp_eq_u32 s23, 2
	s_mov_b32 s37, 0
	s_cbranch_scc1 .LBB343_154
; %bb.18:
	v_dual_mov_b32 v1, 0 :: v_dual_mov_b32 v0, 0
	v_mov_b32_e32 v2, v12
	s_and_b32 s37, s38, 28
	s_mov_b32 s39, 0
	s_mov_b64 s[18:19], s[16:17]
	s_mov_b64 s[20:21], s[0:1]
.LBB343_19:                             ; =>This Inner Loop Header: Depth=1
	s_clause 0x1
	s_load_b256 s[40:47], s[20:21], 0x4
	s_load_b128 s[56:59], s[20:21], 0x24
	s_load_b256 s[48:55], s[18:19], 0x0
	s_add_u32 s20, s20, 48
	s_addc_u32 s21, s21, 0
	s_add_i32 s39, s39, 4
	s_add_u32 s18, s18, 32
	s_addc_u32 s19, s19, 0
	s_cmp_eq_u32 s37, s39
	s_waitcnt lgkmcnt(0)
	v_mul_hi_u32 v3, s41, v2
	s_delay_alu instid0(VALU_DEP_1) | instskip(NEXT) | instid1(VALU_DEP_1)
	v_add_nc_u32_e32 v3, v2, v3
	v_lshrrev_b32_e32 v3, s42, v3
	s_delay_alu instid0(VALU_DEP_1) | instskip(SKIP_1) | instid1(VALU_DEP_2)
	v_mul_hi_u32 v4, s44, v3
	v_mul_lo_u32 v6, v3, s40
	v_add_nc_u32_e32 v4, v3, v4
	s_delay_alu instid0(VALU_DEP_2) | instskip(NEXT) | instid1(VALU_DEP_2)
	v_sub_nc_u32_e32 v2, v2, v6
	v_lshrrev_b32_e32 v4, s45, v4
	s_delay_alu instid0(VALU_DEP_2) | instskip(SKIP_1) | instid1(VALU_DEP_3)
	v_mul_lo_u32 v6, v2, s48
	v_mul_lo_u32 v8, v2, s49
	v_mul_hi_u32 v5, s47, v4
	s_delay_alu instid0(VALU_DEP_1) | instskip(NEXT) | instid1(VALU_DEP_1)
	v_add_nc_u32_e32 v5, v4, v5
	v_lshrrev_b32_e32 v5, s56, v5
	s_delay_alu instid0(VALU_DEP_1) | instskip(SKIP_1) | instid1(VALU_DEP_2)
	v_mul_hi_u32 v7, s58, v5
	v_mul_lo_u32 v9, v5, s46
	v_add_nc_u32_e32 v2, v5, v7
	v_mul_lo_u32 v7, v4, s43
	s_delay_alu instid0(VALU_DEP_3) | instskip(NEXT) | instid1(VALU_DEP_3)
	v_sub_nc_u32_e32 v4, v4, v9
	v_lshrrev_b32_e32 v2, s59, v2
	s_delay_alu instid0(VALU_DEP_2) | instskip(SKIP_2) | instid1(VALU_DEP_4)
	v_mul_lo_u32 v9, v4, s52
	v_mul_lo_u32 v4, v4, s53
	v_sub_nc_u32_e32 v3, v3, v7
	v_mul_lo_u32 v10, v2, s57
	s_delay_alu instid0(VALU_DEP_2) | instskip(SKIP_1) | instid1(VALU_DEP_3)
	v_mul_lo_u32 v7, v3, s50
	v_mul_lo_u32 v3, v3, s51
	v_sub_nc_u32_e32 v5, v5, v10
	s_delay_alu instid0(VALU_DEP_3) | instskip(NEXT) | instid1(VALU_DEP_2)
	v_add3_u32 v0, v6, v0, v7
	v_mul_lo_u32 v10, v5, s54
	v_mul_lo_u32 v5, v5, s55
	v_add3_u32 v1, v8, v1, v3
	s_delay_alu instid0(VALU_DEP_3) | instskip(NEXT) | instid1(VALU_DEP_2)
	v_add3_u32 v0, v9, v0, v10
	v_add3_u32 v1, v4, v1, v5
	s_cbranch_scc0 .LBB343_19
	s_branch .LBB343_155
.LBB343_20:
	s_mov_b32 s6, -1
                                        ; implicit-def: $vgpr0
                                        ; implicit-def: $vgpr1
	s_branch .LBB343_26
.LBB343_21:
	s_mov_b32 s36, -1
                                        ; implicit-def: $vgpr0
                                        ; implicit-def: $vgpr1
	s_branch .LBB343_141
.LBB343_22:
	s_mov_b32 s36, -1
                                        ; implicit-def: $vgpr0
                                        ; implicit-def: $vgpr1
	s_branch .LBB343_158
.LBB343_23:
	v_dual_mov_b32 v2, v12 :: v_dual_mov_b32 v1, 0
	s_and_b32 s7, s7, 3
	s_delay_alu instid0(SALU_CYCLE_1)
	s_cmp_eq_u32 s7, 0
	s_cbranch_scc1 .LBB343_26
.LBB343_24:
	s_lshl_b32 s2, s8, 3
	s_mul_i32 s4, s8, 12
	s_add_u32 s2, s2, s0
	s_addc_u32 s3, 0, s1
	s_add_u32 s2, s2, 0xc4
	s_addc_u32 s3, s3, 0
	;; [unrolled: 2-line block ×3, first 2 shown]
	.p2align	6
.LBB343_25:                             ; =>This Inner Loop Header: Depth=1
	s_clause 0x1
	s_load_b64 s[8:9], s[4:5], 0x4
	s_load_b32 s12, s[4:5], 0xc
	s_load_b64 s[10:11], s[2:3], 0x0
	s_add_u32 s4, s4, 12
	s_addc_u32 s5, s5, 0
	s_add_u32 s2, s2, 8
	s_addc_u32 s3, s3, 0
	s_add_i32 s7, s7, -1
	s_delay_alu instid0(SALU_CYCLE_1) | instskip(SKIP_2) | instid1(VALU_DEP_1)
	s_cmp_lg_u32 s7, 0
	s_waitcnt lgkmcnt(0)
	v_mul_hi_u32 v3, s9, v2
	v_add_nc_u32_e32 v3, v2, v3
	s_delay_alu instid0(VALU_DEP_1) | instskip(NEXT) | instid1(VALU_DEP_1)
	v_lshrrev_b32_e32 v6, s12, v3
	v_mul_lo_u32 v3, v6, s8
	s_delay_alu instid0(VALU_DEP_1) | instskip(NEXT) | instid1(VALU_DEP_1)
	v_sub_nc_u32_e32 v2, v2, v3
	v_mad_u64_u32 v[3:4], null, v2, s10, v[0:1]
	v_mad_u64_u32 v[4:5], null, v2, s11, v[1:2]
	v_mov_b32_e32 v2, v6
	s_delay_alu instid0(VALU_DEP_2)
	v_dual_mov_b32 v0, v3 :: v_dual_mov_b32 v1, v4
	s_cbranch_scc1 .LBB343_25
.LBB343_26:
	s_and_not1_b32 vcc_lo, exec_lo, s6
	s_cbranch_vccnz .LBB343_29
; %bb.27:
	s_clause 0x1
	s_load_b128 s[4:7], s[0:1], 0x4
	s_load_b64 s[2:3], s[0:1], 0xc4
	s_cmp_lt_u32 s22, 2
	s_waitcnt lgkmcnt(0)
	v_mul_hi_u32 v0, s5, v12
	s_delay_alu instid0(VALU_DEP_1) | instskip(NEXT) | instid1(VALU_DEP_1)
	v_add_nc_u32_e32 v0, v12, v0
	v_lshrrev_b32_e32 v2, s6, v0
	s_delay_alu instid0(VALU_DEP_1) | instskip(NEXT) | instid1(VALU_DEP_1)
	v_mul_lo_u32 v0, v2, s4
	v_sub_nc_u32_e32 v1, v12, v0
	s_delay_alu instid0(VALU_DEP_1)
	v_mul_lo_u32 v0, v1, s2
	v_mul_lo_u32 v1, v1, s3
	s_cbranch_scc1 .LBB343_29
; %bb.28:
	s_clause 0x1
	s_load_b128 s[4:7], s[0:1], 0x10
	s_load_b64 s[2:3], s[0:1], 0xcc
	s_waitcnt lgkmcnt(0)
	v_mul_hi_u32 v3, s5, v2
	s_delay_alu instid0(VALU_DEP_1) | instskip(NEXT) | instid1(VALU_DEP_1)
	v_add_nc_u32_e32 v3, v2, v3
	v_lshrrev_b32_e32 v3, s6, v3
	s_delay_alu instid0(VALU_DEP_1) | instskip(NEXT) | instid1(VALU_DEP_1)
	v_mul_lo_u32 v3, v3, s4
	v_sub_nc_u32_e32 v5, v2, v3
	s_delay_alu instid0(VALU_DEP_1) | instskip(NEXT) | instid1(VALU_DEP_1)
	v_mad_u64_u32 v[2:3], null, v5, s2, v[0:1]
	v_mad_u64_u32 v[3:4], null, v5, s3, v[1:2]
	s_delay_alu instid0(VALU_DEP_1)
	v_dual_mov_b32 v0, v2 :: v_dual_mov_b32 v1, v3
.LBB343_29:
	v_cmp_ne_u32_e32 vcc_lo, 1, v14
	v_add_nc_u32_e32 v4, 0x80, v12
	s_cbranch_vccnz .LBB343_35
; %bb.30:
	v_dual_mov_b32 v2, 0 :: v_dual_mov_b32 v3, 0
	s_cmp_lg_u32 s22, 0
	s_mov_b32 s6, 0
	s_cbranch_scc0 .LBB343_39
; %bb.31:
	s_min_u32 s7, s23, 15
	v_mov_b32_e32 v2, 0
	s_add_i32 s7, s7, 1
	s_cmp_eq_u32 s23, 2
	s_mov_b32 s8, 0
	s_cbranch_scc1 .LBB343_36
; %bb.32:
	v_dual_mov_b32 v3, 0 :: v_dual_mov_b32 v2, 0
	v_mov_b32_e32 v5, v4
	s_add_u32 s2, s0, 0xc4
	s_addc_u32 s3, s1, 0
	s_and_b32 s8, s7, 28
	s_mov_b32 s9, 0
	s_mov_b64 s[4:5], s[0:1]
.LBB343_33:                             ; =>This Inner Loop Header: Depth=1
	s_clause 0x1
	s_load_b256 s[12:19], s[4:5], 0x4
	s_load_b128 s[36:39], s[4:5], 0x24
	s_load_b256 s[24:31], s[2:3], 0x0
	s_add_u32 s4, s4, 48
	s_addc_u32 s5, s5, 0
	s_add_i32 s9, s9, 4
	s_add_u32 s2, s2, 32
	s_addc_u32 s3, s3, 0
	s_cmp_lg_u32 s8, s9
	s_waitcnt lgkmcnt(0)
	v_mul_hi_u32 v6, s13, v5
	s_delay_alu instid0(VALU_DEP_1) | instskip(NEXT) | instid1(VALU_DEP_1)
	v_add_nc_u32_e32 v6, v5, v6
	v_lshrrev_b32_e32 v6, s14, v6
	s_delay_alu instid0(VALU_DEP_1) | instskip(SKIP_1) | instid1(VALU_DEP_2)
	v_mul_hi_u32 v7, s16, v6
	v_mul_lo_u32 v9, v6, s12
	v_add_nc_u32_e32 v7, v6, v7
	s_delay_alu instid0(VALU_DEP_2) | instskip(NEXT) | instid1(VALU_DEP_2)
	v_sub_nc_u32_e32 v5, v5, v9
	v_lshrrev_b32_e32 v7, s17, v7
	s_delay_alu instid0(VALU_DEP_2) | instskip(SKIP_1) | instid1(VALU_DEP_3)
	v_mul_lo_u32 v9, v5, s24
	v_mul_lo_u32 v11, v5, s25
	v_mul_hi_u32 v8, s19, v7
	s_delay_alu instid0(VALU_DEP_1) | instskip(NEXT) | instid1(VALU_DEP_1)
	v_add_nc_u32_e32 v8, v7, v8
	v_lshrrev_b32_e32 v8, s36, v8
	s_delay_alu instid0(VALU_DEP_1) | instskip(SKIP_1) | instid1(VALU_DEP_2)
	v_mul_hi_u32 v10, s38, v8
	v_mul_lo_u32 v13, v8, s18
	v_add_nc_u32_e32 v5, v8, v10
	v_mul_lo_u32 v10, v7, s15
	s_delay_alu instid0(VALU_DEP_3) | instskip(NEXT) | instid1(VALU_DEP_3)
	v_sub_nc_u32_e32 v7, v7, v13
	v_lshrrev_b32_e32 v5, s39, v5
	s_delay_alu instid0(VALU_DEP_2) | instskip(SKIP_2) | instid1(VALU_DEP_4)
	v_mul_lo_u32 v13, v7, s28
	v_mul_lo_u32 v7, v7, s29
	v_sub_nc_u32_e32 v6, v6, v10
	v_mul_lo_u32 v15, v5, s37
	s_delay_alu instid0(VALU_DEP_2) | instskip(SKIP_1) | instid1(VALU_DEP_3)
	v_mul_lo_u32 v10, v6, s26
	v_mul_lo_u32 v6, v6, s27
	v_sub_nc_u32_e32 v8, v8, v15
	s_delay_alu instid0(VALU_DEP_3) | instskip(NEXT) | instid1(VALU_DEP_2)
	v_add3_u32 v2, v9, v2, v10
	v_mul_lo_u32 v15, v8, s30
	v_mul_lo_u32 v8, v8, s31
	v_add3_u32 v3, v11, v3, v6
	s_delay_alu instid0(VALU_DEP_3) | instskip(NEXT) | instid1(VALU_DEP_2)
	v_add3_u32 v2, v13, v2, v15
	v_add3_u32 v3, v7, v3, v8
	s_cbranch_scc1 .LBB343_33
; %bb.34:
	s_and_b32 s7, s7, 3
	s_delay_alu instid0(SALU_CYCLE_1)
	s_cmp_eq_u32 s7, 0
	s_cbranch_scc0 .LBB343_37
	s_branch .LBB343_39
.LBB343_35:
	s_mov_b32 s6, -1
                                        ; implicit-def: $vgpr2
                                        ; implicit-def: $vgpr3
	s_branch .LBB343_39
.LBB343_36:
	v_mov_b32_e32 v5, v4
	v_mov_b32_e32 v3, 0
	s_and_b32 s7, s7, 3
	s_delay_alu instid0(SALU_CYCLE_1)
	s_cmp_eq_u32 s7, 0
	s_cbranch_scc1 .LBB343_39
.LBB343_37:
	s_lshl_b32 s2, s8, 3
	s_mul_i32 s4, s8, 12
	s_add_u32 s2, s2, s0
	s_addc_u32 s3, 0, s1
	s_add_u32 s2, s2, 0xc4
	s_addc_u32 s3, s3, 0
	;; [unrolled: 2-line block ×3, first 2 shown]
	.p2align	6
.LBB343_38:                             ; =>This Inner Loop Header: Depth=1
	s_clause 0x1
	s_load_b64 s[8:9], s[4:5], 0x4
	s_load_b32 s12, s[4:5], 0xc
	s_load_b64 s[10:11], s[2:3], 0x0
	s_add_u32 s4, s4, 12
	s_addc_u32 s5, s5, 0
	s_add_u32 s2, s2, 8
	s_addc_u32 s3, s3, 0
	s_add_i32 s7, s7, -1
	s_delay_alu instid0(SALU_CYCLE_1) | instskip(SKIP_2) | instid1(VALU_DEP_1)
	s_cmp_lg_u32 s7, 0
	s_waitcnt lgkmcnt(0)
	v_mul_hi_u32 v6, s9, v5
	v_add_nc_u32_e32 v6, v5, v6
	s_delay_alu instid0(VALU_DEP_1) | instskip(NEXT) | instid1(VALU_DEP_1)
	v_lshrrev_b32_e32 v9, s12, v6
	v_mul_lo_u32 v6, v9, s8
	s_delay_alu instid0(VALU_DEP_1) | instskip(NEXT) | instid1(VALU_DEP_1)
	v_sub_nc_u32_e32 v5, v5, v6
	v_mad_u64_u32 v[6:7], null, v5, s10, v[2:3]
	v_mad_u64_u32 v[7:8], null, v5, s11, v[3:4]
	s_delay_alu instid0(VALU_DEP_2) | instskip(NEXT) | instid1(VALU_DEP_2)
	v_dual_mov_b32 v5, v9 :: v_dual_mov_b32 v2, v6
	v_mov_b32_e32 v3, v7
	s_cbranch_scc1 .LBB343_38
.LBB343_39:
	s_and_not1_b32 vcc_lo, exec_lo, s6
	s_cbranch_vccnz .LBB343_42
; %bb.40:
	s_clause 0x1
	s_load_b128 s[4:7], s[0:1], 0x4
	s_load_b64 s[2:3], s[0:1], 0xc4
	s_cmp_lt_u32 s22, 2
	s_waitcnt lgkmcnt(0)
	v_mul_hi_u32 v2, s5, v4
	s_delay_alu instid0(VALU_DEP_1) | instskip(NEXT) | instid1(VALU_DEP_1)
	v_add_nc_u32_e32 v2, v4, v2
	v_lshrrev_b32_e32 v5, s6, v2
	s_delay_alu instid0(VALU_DEP_1) | instskip(NEXT) | instid1(VALU_DEP_1)
	v_mul_lo_u32 v2, v5, s4
	v_sub_nc_u32_e32 v3, v4, v2
	s_delay_alu instid0(VALU_DEP_1)
	v_mul_lo_u32 v2, v3, s2
	v_mul_lo_u32 v3, v3, s3
	s_cbranch_scc1 .LBB343_42
; %bb.41:
	s_clause 0x1
	s_load_b128 s[4:7], s[0:1], 0x10
	s_load_b64 s[2:3], s[0:1], 0xcc
	s_waitcnt lgkmcnt(0)
	v_mul_hi_u32 v4, s5, v5
	s_delay_alu instid0(VALU_DEP_1) | instskip(NEXT) | instid1(VALU_DEP_1)
	v_add_nc_u32_e32 v4, v5, v4
	v_lshrrev_b32_e32 v4, s6, v4
	s_delay_alu instid0(VALU_DEP_1) | instskip(NEXT) | instid1(VALU_DEP_1)
	v_mul_lo_u32 v4, v4, s4
	v_sub_nc_u32_e32 v7, v5, v4
	s_delay_alu instid0(VALU_DEP_1) | instskip(NEXT) | instid1(VALU_DEP_1)
	v_mad_u64_u32 v[4:5], null, v7, s2, v[2:3]
	v_mad_u64_u32 v[5:6], null, v7, s3, v[3:4]
	s_delay_alu instid0(VALU_DEP_1)
	v_dual_mov_b32 v2, v4 :: v_dual_mov_b32 v3, v5
.LBB343_42:
	v_cmp_ne_u32_e32 vcc_lo, 1, v14
	v_add_nc_u32_e32 v6, 0x100, v12
	s_cbranch_vccnz .LBB343_48
; %bb.43:
	v_dual_mov_b32 v4, 0 :: v_dual_mov_b32 v5, 0
	s_cmp_lg_u32 s22, 0
	s_mov_b32 s6, 0
	s_cbranch_scc0 .LBB343_52
; %bb.44:
	s_min_u32 s7, s23, 15
	v_mov_b32_e32 v4, 0
	s_add_i32 s7, s7, 1
	s_cmp_eq_u32 s23, 2
	s_mov_b32 s8, 0
	s_cbranch_scc1 .LBB343_49
; %bb.45:
	v_dual_mov_b32 v5, 0 :: v_dual_mov_b32 v4, 0
	v_mov_b32_e32 v7, v6
	s_add_u32 s2, s0, 0xc4
	s_addc_u32 s3, s1, 0
	s_and_b32 s8, s7, 28
	s_mov_b32 s9, 0
	s_mov_b64 s[4:5], s[0:1]
.LBB343_46:                             ; =>This Inner Loop Header: Depth=1
	s_clause 0x1
	s_load_b256 s[12:19], s[4:5], 0x4
	s_load_b128 s[36:39], s[4:5], 0x24
	s_load_b256 s[24:31], s[2:3], 0x0
	s_add_u32 s4, s4, 48
	s_addc_u32 s5, s5, 0
	s_add_i32 s9, s9, 4
	s_add_u32 s2, s2, 32
	s_addc_u32 s3, s3, 0
	s_cmp_lg_u32 s8, s9
	s_waitcnt lgkmcnt(0)
	v_mul_hi_u32 v8, s13, v7
	s_delay_alu instid0(VALU_DEP_1) | instskip(NEXT) | instid1(VALU_DEP_1)
	v_add_nc_u32_e32 v8, v7, v8
	v_lshrrev_b32_e32 v8, s14, v8
	s_delay_alu instid0(VALU_DEP_1) | instskip(SKIP_1) | instid1(VALU_DEP_2)
	v_mul_hi_u32 v9, s16, v8
	v_mul_lo_u32 v11, v8, s12
	v_add_nc_u32_e32 v9, v8, v9
	s_delay_alu instid0(VALU_DEP_2) | instskip(NEXT) | instid1(VALU_DEP_2)
	v_sub_nc_u32_e32 v7, v7, v11
	v_lshrrev_b32_e32 v9, s17, v9
	s_delay_alu instid0(VALU_DEP_2) | instskip(SKIP_1) | instid1(VALU_DEP_3)
	v_mul_lo_u32 v11, v7, s24
	v_mul_lo_u32 v15, v7, s25
	v_mul_hi_u32 v10, s19, v9
	s_delay_alu instid0(VALU_DEP_1) | instskip(NEXT) | instid1(VALU_DEP_1)
	v_add_nc_u32_e32 v10, v9, v10
	v_lshrrev_b32_e32 v10, s36, v10
	s_delay_alu instid0(VALU_DEP_1) | instskip(SKIP_1) | instid1(VALU_DEP_2)
	v_mul_hi_u32 v13, s38, v10
	v_mul_lo_u32 v17, v10, s18
	v_add_nc_u32_e32 v7, v10, v13
	v_mul_lo_u32 v13, v9, s15
	s_delay_alu instid0(VALU_DEP_3) | instskip(NEXT) | instid1(VALU_DEP_3)
	v_sub_nc_u32_e32 v9, v9, v17
	v_lshrrev_b32_e32 v7, s39, v7
	s_delay_alu instid0(VALU_DEP_2) | instskip(SKIP_2) | instid1(VALU_DEP_4)
	v_mul_lo_u32 v17, v9, s28
	v_mul_lo_u32 v9, v9, s29
	v_sub_nc_u32_e32 v8, v8, v13
	v_mul_lo_u32 v18, v7, s37
	s_delay_alu instid0(VALU_DEP_2) | instskip(SKIP_1) | instid1(VALU_DEP_3)
	v_mul_lo_u32 v13, v8, s26
	v_mul_lo_u32 v8, v8, s27
	v_sub_nc_u32_e32 v10, v10, v18
	s_delay_alu instid0(VALU_DEP_3) | instskip(NEXT) | instid1(VALU_DEP_2)
	v_add3_u32 v4, v11, v4, v13
	v_mul_lo_u32 v18, v10, s30
	v_mul_lo_u32 v10, v10, s31
	v_add3_u32 v5, v15, v5, v8
	s_delay_alu instid0(VALU_DEP_3) | instskip(NEXT) | instid1(VALU_DEP_2)
	v_add3_u32 v4, v17, v4, v18
	v_add3_u32 v5, v9, v5, v10
	s_cbranch_scc1 .LBB343_46
; %bb.47:
	s_and_b32 s7, s7, 3
	s_delay_alu instid0(SALU_CYCLE_1)
	s_cmp_eq_u32 s7, 0
	s_cbranch_scc0 .LBB343_50
	s_branch .LBB343_52
.LBB343_48:
	s_mov_b32 s6, -1
                                        ; implicit-def: $vgpr4
                                        ; implicit-def: $vgpr5
	s_branch .LBB343_52
.LBB343_49:
	v_mov_b32_e32 v7, v6
	v_mov_b32_e32 v5, 0
	s_and_b32 s7, s7, 3
	s_delay_alu instid0(SALU_CYCLE_1)
	s_cmp_eq_u32 s7, 0
	s_cbranch_scc1 .LBB343_52
.LBB343_50:
	s_lshl_b32 s2, s8, 3
	s_mul_i32 s4, s8, 12
	s_add_u32 s2, s2, s0
	s_addc_u32 s3, 0, s1
	s_add_u32 s2, s2, 0xc4
	s_addc_u32 s3, s3, 0
	;; [unrolled: 2-line block ×3, first 2 shown]
	.p2align	6
.LBB343_51:                             ; =>This Inner Loop Header: Depth=1
	s_clause 0x1
	s_load_b64 s[8:9], s[4:5], 0x4
	s_load_b32 s12, s[4:5], 0xc
	s_load_b64 s[10:11], s[2:3], 0x0
	s_add_u32 s4, s4, 12
	s_addc_u32 s5, s5, 0
	s_add_u32 s2, s2, 8
	s_addc_u32 s3, s3, 0
	s_add_i32 s7, s7, -1
	s_delay_alu instid0(SALU_CYCLE_1) | instskip(SKIP_2) | instid1(VALU_DEP_1)
	s_cmp_lg_u32 s7, 0
	s_waitcnt lgkmcnt(0)
	v_mul_hi_u32 v8, s9, v7
	v_add_nc_u32_e32 v8, v7, v8
	s_delay_alu instid0(VALU_DEP_1) | instskip(NEXT) | instid1(VALU_DEP_1)
	v_lshrrev_b32_e32 v11, s12, v8
	v_mul_lo_u32 v8, v11, s8
	s_delay_alu instid0(VALU_DEP_1) | instskip(NEXT) | instid1(VALU_DEP_1)
	v_sub_nc_u32_e32 v7, v7, v8
	v_mad_u64_u32 v[8:9], null, v7, s10, v[4:5]
	v_mad_u64_u32 v[9:10], null, v7, s11, v[5:6]
	s_delay_alu instid0(VALU_DEP_2) | instskip(NEXT) | instid1(VALU_DEP_2)
	v_dual_mov_b32 v7, v11 :: v_dual_mov_b32 v4, v8
	v_mov_b32_e32 v5, v9
	s_cbranch_scc1 .LBB343_51
.LBB343_52:
	s_and_not1_b32 vcc_lo, exec_lo, s6
	s_cbranch_vccnz .LBB343_55
; %bb.53:
	s_clause 0x1
	s_load_b128 s[4:7], s[0:1], 0x4
	s_load_b64 s[2:3], s[0:1], 0xc4
	s_cmp_lt_u32 s22, 2
	s_waitcnt lgkmcnt(0)
	v_mul_hi_u32 v4, s5, v6
	s_delay_alu instid0(VALU_DEP_1) | instskip(NEXT) | instid1(VALU_DEP_1)
	v_add_nc_u32_e32 v4, v6, v4
	v_lshrrev_b32_e32 v7, s6, v4
	s_delay_alu instid0(VALU_DEP_1) | instskip(NEXT) | instid1(VALU_DEP_1)
	v_mul_lo_u32 v4, v7, s4
	v_sub_nc_u32_e32 v5, v6, v4
	s_delay_alu instid0(VALU_DEP_1)
	v_mul_lo_u32 v4, v5, s2
	v_mul_lo_u32 v5, v5, s3
	s_cbranch_scc1 .LBB343_55
; %bb.54:
	s_clause 0x1
	s_load_b128 s[4:7], s[0:1], 0x10
	s_load_b64 s[2:3], s[0:1], 0xcc
	s_waitcnt lgkmcnt(0)
	v_mul_hi_u32 v6, s5, v7
	s_delay_alu instid0(VALU_DEP_1) | instskip(NEXT) | instid1(VALU_DEP_1)
	v_add_nc_u32_e32 v6, v7, v6
	v_lshrrev_b32_e32 v6, s6, v6
	s_delay_alu instid0(VALU_DEP_1) | instskip(NEXT) | instid1(VALU_DEP_1)
	v_mul_lo_u32 v6, v6, s4
	v_sub_nc_u32_e32 v9, v7, v6
	s_delay_alu instid0(VALU_DEP_1) | instskip(NEXT) | instid1(VALU_DEP_1)
	v_mad_u64_u32 v[6:7], null, v9, s2, v[4:5]
	v_mad_u64_u32 v[7:8], null, v9, s3, v[5:6]
	s_delay_alu instid0(VALU_DEP_1)
	v_dual_mov_b32 v4, v6 :: v_dual_mov_b32 v5, v7
.LBB343_55:
	v_cmp_ne_u32_e32 vcc_lo, 1, v14
	v_add_nc_u32_e32 v8, 0x180, v12
	s_cbranch_vccnz .LBB343_61
; %bb.56:
	v_dual_mov_b32 v6, 0 :: v_dual_mov_b32 v7, 0
	s_cmp_lg_u32 s22, 0
	s_mov_b32 s6, 0
	s_cbranch_scc0 .LBB343_65
; %bb.57:
	s_min_u32 s7, s23, 15
	v_mov_b32_e32 v6, 0
	s_add_i32 s7, s7, 1
	s_cmp_eq_u32 s23, 2
	s_mov_b32 s8, 0
	s_cbranch_scc1 .LBB343_62
; %bb.58:
	v_dual_mov_b32 v7, 0 :: v_dual_mov_b32 v6, 0
	v_mov_b32_e32 v9, v8
	s_add_u32 s2, s0, 0xc4
	s_addc_u32 s3, s1, 0
	s_and_b32 s8, s7, 28
	s_mov_b32 s9, 0
	s_mov_b64 s[4:5], s[0:1]
.LBB343_59:                             ; =>This Inner Loop Header: Depth=1
	s_clause 0x1
	s_load_b256 s[12:19], s[4:5], 0x4
	s_load_b128 s[36:39], s[4:5], 0x24
	s_load_b256 s[24:31], s[2:3], 0x0
	s_add_u32 s4, s4, 48
	s_addc_u32 s5, s5, 0
	s_add_i32 s9, s9, 4
	s_add_u32 s2, s2, 32
	s_addc_u32 s3, s3, 0
	s_cmp_lg_u32 s8, s9
	s_waitcnt lgkmcnt(0)
	v_mul_hi_u32 v10, s13, v9
	s_delay_alu instid0(VALU_DEP_1) | instskip(NEXT) | instid1(VALU_DEP_1)
	v_add_nc_u32_e32 v10, v9, v10
	v_lshrrev_b32_e32 v10, s14, v10
	s_delay_alu instid0(VALU_DEP_1) | instskip(SKIP_1) | instid1(VALU_DEP_2)
	v_mul_hi_u32 v11, s16, v10
	v_mul_lo_u32 v15, v10, s12
	v_add_nc_u32_e32 v11, v10, v11
	s_delay_alu instid0(VALU_DEP_2) | instskip(NEXT) | instid1(VALU_DEP_2)
	v_sub_nc_u32_e32 v9, v9, v15
	v_lshrrev_b32_e32 v11, s17, v11
	s_delay_alu instid0(VALU_DEP_2) | instskip(SKIP_1) | instid1(VALU_DEP_3)
	v_mul_lo_u32 v15, v9, s24
	v_mul_lo_u32 v18, v9, s25
	v_mul_hi_u32 v13, s19, v11
	s_delay_alu instid0(VALU_DEP_1) | instskip(NEXT) | instid1(VALU_DEP_1)
	v_add_nc_u32_e32 v13, v11, v13
	v_lshrrev_b32_e32 v13, s36, v13
	s_delay_alu instid0(VALU_DEP_1) | instskip(SKIP_1) | instid1(VALU_DEP_2)
	v_mul_hi_u32 v17, s38, v13
	v_mul_lo_u32 v19, v13, s18
	v_add_nc_u32_e32 v9, v13, v17
	v_mul_lo_u32 v17, v11, s15
	s_delay_alu instid0(VALU_DEP_3) | instskip(NEXT) | instid1(VALU_DEP_3)
	v_sub_nc_u32_e32 v11, v11, v19
	v_lshrrev_b32_e32 v9, s39, v9
	s_delay_alu instid0(VALU_DEP_2) | instskip(SKIP_2) | instid1(VALU_DEP_4)
	v_mul_lo_u32 v19, v11, s28
	v_mul_lo_u32 v11, v11, s29
	v_sub_nc_u32_e32 v10, v10, v17
	v_mul_lo_u32 v20, v9, s37
	s_delay_alu instid0(VALU_DEP_2) | instskip(SKIP_1) | instid1(VALU_DEP_3)
	v_mul_lo_u32 v17, v10, s26
	v_mul_lo_u32 v10, v10, s27
	v_sub_nc_u32_e32 v13, v13, v20
	s_delay_alu instid0(VALU_DEP_3) | instskip(NEXT) | instid1(VALU_DEP_2)
	v_add3_u32 v6, v15, v6, v17
	v_mul_lo_u32 v20, v13, s30
	v_mul_lo_u32 v13, v13, s31
	v_add3_u32 v7, v18, v7, v10
	s_delay_alu instid0(VALU_DEP_3) | instskip(NEXT) | instid1(VALU_DEP_2)
	v_add3_u32 v6, v19, v6, v20
	v_add3_u32 v7, v11, v7, v13
	s_cbranch_scc1 .LBB343_59
; %bb.60:
	s_and_b32 s7, s7, 3
	s_delay_alu instid0(SALU_CYCLE_1)
	s_cmp_eq_u32 s7, 0
	s_cbranch_scc0 .LBB343_63
	s_branch .LBB343_65
.LBB343_61:
	s_mov_b32 s6, -1
                                        ; implicit-def: $vgpr6
                                        ; implicit-def: $vgpr7
	s_branch .LBB343_65
.LBB343_62:
	v_mov_b32_e32 v9, v8
	v_mov_b32_e32 v7, 0
	s_and_b32 s7, s7, 3
	s_delay_alu instid0(SALU_CYCLE_1)
	s_cmp_eq_u32 s7, 0
	s_cbranch_scc1 .LBB343_65
.LBB343_63:
	s_lshl_b32 s2, s8, 3
	s_mul_i32 s4, s8, 12
	s_add_u32 s2, s2, s0
	s_addc_u32 s3, 0, s1
	s_add_u32 s2, s2, 0xc4
	s_addc_u32 s3, s3, 0
	;; [unrolled: 2-line block ×3, first 2 shown]
	.p2align	6
.LBB343_64:                             ; =>This Inner Loop Header: Depth=1
	s_clause 0x1
	s_load_b64 s[8:9], s[4:5], 0x4
	s_load_b32 s12, s[4:5], 0xc
	s_load_b64 s[10:11], s[2:3], 0x0
	s_add_u32 s4, s4, 12
	s_addc_u32 s5, s5, 0
	s_add_u32 s2, s2, 8
	s_addc_u32 s3, s3, 0
	s_add_i32 s7, s7, -1
	s_delay_alu instid0(SALU_CYCLE_1) | instskip(SKIP_2) | instid1(VALU_DEP_1)
	s_cmp_lg_u32 s7, 0
	s_waitcnt lgkmcnt(0)
	v_mul_hi_u32 v10, s9, v9
	v_add_nc_u32_e32 v10, v9, v10
	s_delay_alu instid0(VALU_DEP_1) | instskip(NEXT) | instid1(VALU_DEP_1)
	v_lshrrev_b32_e32 v13, s12, v10
	v_mul_lo_u32 v10, v13, s8
	s_delay_alu instid0(VALU_DEP_1) | instskip(NEXT) | instid1(VALU_DEP_1)
	v_sub_nc_u32_e32 v9, v9, v10
	v_mad_u64_u32 v[10:11], null, v9, s10, v[6:7]
	v_mad_u64_u32 v[17:18], null, v9, s11, v[7:8]
	s_delay_alu instid0(VALU_DEP_2) | instskip(NEXT) | instid1(VALU_DEP_2)
	v_dual_mov_b32 v9, v13 :: v_dual_mov_b32 v6, v10
	v_mov_b32_e32 v7, v17
	s_cbranch_scc1 .LBB343_64
.LBB343_65:
	s_and_not1_b32 vcc_lo, exec_lo, s6
	s_cbranch_vccnz .LBB343_68
; %bb.66:
	s_clause 0x1
	s_load_b128 s[4:7], s[0:1], 0x4
	s_load_b64 s[2:3], s[0:1], 0xc4
	s_cmp_lt_u32 s22, 2
	s_waitcnt lgkmcnt(0)
	v_mul_hi_u32 v6, s5, v8
	s_delay_alu instid0(VALU_DEP_1) | instskip(NEXT) | instid1(VALU_DEP_1)
	v_add_nc_u32_e32 v6, v8, v6
	v_lshrrev_b32_e32 v9, s6, v6
	s_delay_alu instid0(VALU_DEP_1) | instskip(NEXT) | instid1(VALU_DEP_1)
	v_mul_lo_u32 v6, v9, s4
	v_sub_nc_u32_e32 v7, v8, v6
	s_delay_alu instid0(VALU_DEP_1)
	v_mul_lo_u32 v6, v7, s2
	v_mul_lo_u32 v7, v7, s3
	s_cbranch_scc1 .LBB343_68
; %bb.67:
	s_clause 0x1
	s_load_b128 s[4:7], s[0:1], 0x10
	s_load_b64 s[2:3], s[0:1], 0xcc
	s_waitcnt lgkmcnt(0)
	v_mul_hi_u32 v8, s5, v9
	s_delay_alu instid0(VALU_DEP_1) | instskip(NEXT) | instid1(VALU_DEP_1)
	v_add_nc_u32_e32 v8, v9, v8
	v_lshrrev_b32_e32 v8, s6, v8
	s_delay_alu instid0(VALU_DEP_1) | instskip(NEXT) | instid1(VALU_DEP_1)
	v_mul_lo_u32 v8, v8, s4
	v_sub_nc_u32_e32 v11, v9, v8
	s_delay_alu instid0(VALU_DEP_1) | instskip(NEXT) | instid1(VALU_DEP_1)
	v_mad_u64_u32 v[8:9], null, v11, s2, v[6:7]
	v_mad_u64_u32 v[9:10], null, v11, s3, v[7:8]
	s_delay_alu instid0(VALU_DEP_1)
	v_dual_mov_b32 v6, v8 :: v_dual_mov_b32 v7, v9
.LBB343_68:
	v_cmp_ne_u32_e32 vcc_lo, 1, v14
	v_add_nc_u32_e32 v10, 0x200, v12
	s_cbranch_vccnz .LBB343_74
; %bb.69:
	v_dual_mov_b32 v8, 0 :: v_dual_mov_b32 v9, 0
	s_cmp_lg_u32 s22, 0
	s_mov_b32 s6, 0
	s_cbranch_scc0 .LBB343_78
; %bb.70:
	s_min_u32 s7, s23, 15
	v_mov_b32_e32 v8, 0
	s_add_i32 s7, s7, 1
	s_cmp_eq_u32 s23, 2
	s_mov_b32 s8, 0
	s_cbranch_scc1 .LBB343_75
; %bb.71:
	v_dual_mov_b32 v9, 0 :: v_dual_mov_b32 v8, 0
	v_mov_b32_e32 v11, v10
	s_add_u32 s2, s0, 0xc4
	s_addc_u32 s3, s1, 0
	s_and_b32 s8, s7, 28
	s_mov_b32 s9, 0
	s_mov_b64 s[4:5], s[0:1]
.LBB343_72:                             ; =>This Inner Loop Header: Depth=1
	s_clause 0x1
	s_load_b256 s[12:19], s[4:5], 0x4
	s_load_b128 s[36:39], s[4:5], 0x24
	s_load_b256 s[24:31], s[2:3], 0x0
	s_add_u32 s4, s4, 48
	s_addc_u32 s5, s5, 0
	s_add_i32 s9, s9, 4
	s_add_u32 s2, s2, 32
	s_addc_u32 s3, s3, 0
	s_cmp_lg_u32 s8, s9
	s_waitcnt lgkmcnt(0)
	v_mul_hi_u32 v13, s13, v11
	s_delay_alu instid0(VALU_DEP_1) | instskip(NEXT) | instid1(VALU_DEP_1)
	v_add_nc_u32_e32 v13, v11, v13
	v_lshrrev_b32_e32 v13, s14, v13
	s_delay_alu instid0(VALU_DEP_1) | instskip(SKIP_1) | instid1(VALU_DEP_2)
	v_mul_hi_u32 v15, s16, v13
	v_mul_lo_u32 v18, v13, s12
	v_add_nc_u32_e32 v15, v13, v15
	s_delay_alu instid0(VALU_DEP_2) | instskip(NEXT) | instid1(VALU_DEP_2)
	v_sub_nc_u32_e32 v11, v11, v18
	v_lshrrev_b32_e32 v15, s17, v15
	s_delay_alu instid0(VALU_DEP_2) | instskip(SKIP_1) | instid1(VALU_DEP_3)
	v_mul_lo_u32 v18, v11, s24
	v_mul_lo_u32 v20, v11, s25
	v_mul_hi_u32 v17, s19, v15
	s_delay_alu instid0(VALU_DEP_1) | instskip(NEXT) | instid1(VALU_DEP_1)
	v_add_nc_u32_e32 v17, v15, v17
	v_lshrrev_b32_e32 v17, s36, v17
	s_delay_alu instid0(VALU_DEP_1) | instskip(SKIP_1) | instid1(VALU_DEP_2)
	v_mul_hi_u32 v19, s38, v17
	v_mul_lo_u32 v21, v17, s18
	v_add_nc_u32_e32 v11, v17, v19
	v_mul_lo_u32 v19, v15, s15
	s_delay_alu instid0(VALU_DEP_3) | instskip(NEXT) | instid1(VALU_DEP_3)
	v_sub_nc_u32_e32 v15, v15, v21
	v_lshrrev_b32_e32 v11, s39, v11
	s_delay_alu instid0(VALU_DEP_2) | instskip(SKIP_2) | instid1(VALU_DEP_4)
	v_mul_lo_u32 v21, v15, s28
	v_mul_lo_u32 v15, v15, s29
	v_sub_nc_u32_e32 v13, v13, v19
	v_mul_lo_u32 v22, v11, s37
	s_delay_alu instid0(VALU_DEP_2) | instskip(SKIP_1) | instid1(VALU_DEP_3)
	v_mul_lo_u32 v19, v13, s26
	v_mul_lo_u32 v13, v13, s27
	v_sub_nc_u32_e32 v17, v17, v22
	s_delay_alu instid0(VALU_DEP_3) | instskip(NEXT) | instid1(VALU_DEP_2)
	v_add3_u32 v8, v18, v8, v19
	v_mul_lo_u32 v22, v17, s30
	v_mul_lo_u32 v17, v17, s31
	v_add3_u32 v9, v20, v9, v13
	s_delay_alu instid0(VALU_DEP_3) | instskip(NEXT) | instid1(VALU_DEP_2)
	v_add3_u32 v8, v21, v8, v22
	v_add3_u32 v9, v15, v9, v17
	s_cbranch_scc1 .LBB343_72
; %bb.73:
	s_and_b32 s7, s7, 3
	s_delay_alu instid0(SALU_CYCLE_1)
	s_cmp_eq_u32 s7, 0
	s_cbranch_scc0 .LBB343_76
	s_branch .LBB343_78
.LBB343_74:
	s_mov_b32 s6, -1
                                        ; implicit-def: $vgpr8
                                        ; implicit-def: $vgpr9
	s_branch .LBB343_78
.LBB343_75:
	v_mov_b32_e32 v11, v10
	v_mov_b32_e32 v9, 0
	s_and_b32 s7, s7, 3
	s_delay_alu instid0(SALU_CYCLE_1)
	s_cmp_eq_u32 s7, 0
	s_cbranch_scc1 .LBB343_78
.LBB343_76:
	s_lshl_b32 s2, s8, 3
	s_mul_i32 s4, s8, 12
	s_add_u32 s2, s2, s0
	s_addc_u32 s3, 0, s1
	s_add_u32 s2, s2, 0xc4
	s_addc_u32 s3, s3, 0
	;; [unrolled: 2-line block ×3, first 2 shown]
	.p2align	6
.LBB343_77:                             ; =>This Inner Loop Header: Depth=1
	s_clause 0x1
	s_load_b64 s[8:9], s[4:5], 0x4
	s_load_b32 s12, s[4:5], 0xc
	s_load_b64 s[10:11], s[2:3], 0x0
	s_add_u32 s4, s4, 12
	s_addc_u32 s5, s5, 0
	s_add_u32 s2, s2, 8
	s_addc_u32 s3, s3, 0
	s_add_i32 s7, s7, -1
	s_delay_alu instid0(SALU_CYCLE_1) | instskip(SKIP_2) | instid1(VALU_DEP_1)
	s_cmp_lg_u32 s7, 0
	s_waitcnt lgkmcnt(0)
	v_mul_hi_u32 v13, s9, v11
	v_add_nc_u32_e32 v13, v11, v13
	s_delay_alu instid0(VALU_DEP_1) | instskip(NEXT) | instid1(VALU_DEP_1)
	v_lshrrev_b32_e32 v13, s12, v13
	v_mul_lo_u32 v15, v13, s8
	s_delay_alu instid0(VALU_DEP_1) | instskip(NEXT) | instid1(VALU_DEP_1)
	v_sub_nc_u32_e32 v11, v11, v15
	v_mad_u64_u32 v[17:18], null, v11, s10, v[8:9]
	v_mad_u64_u32 v[18:19], null, v11, s11, v[9:10]
	v_mov_b32_e32 v11, v13
	s_delay_alu instid0(VALU_DEP_2)
	v_dual_mov_b32 v8, v17 :: v_dual_mov_b32 v9, v18
	s_cbranch_scc1 .LBB343_77
.LBB343_78:
	s_and_not1_b32 vcc_lo, exec_lo, s6
	s_cbranch_vccnz .LBB343_81
; %bb.79:
	s_clause 0x1
	s_load_b128 s[4:7], s[0:1], 0x4
	s_load_b64 s[2:3], s[0:1], 0xc4
	s_cmp_lt_u32 s22, 2
	s_waitcnt lgkmcnt(0)
	v_mul_hi_u32 v8, s5, v10
	s_delay_alu instid0(VALU_DEP_1) | instskip(NEXT) | instid1(VALU_DEP_1)
	v_add_nc_u32_e32 v8, v10, v8
	v_lshrrev_b32_e32 v11, s6, v8
	s_delay_alu instid0(VALU_DEP_1) | instskip(NEXT) | instid1(VALU_DEP_1)
	v_mul_lo_u32 v8, v11, s4
	v_sub_nc_u32_e32 v9, v10, v8
	s_delay_alu instid0(VALU_DEP_1)
	v_mul_lo_u32 v8, v9, s2
	v_mul_lo_u32 v9, v9, s3
	s_cbranch_scc1 .LBB343_81
; %bb.80:
	s_clause 0x1
	s_load_b128 s[4:7], s[0:1], 0x10
	s_load_b64 s[2:3], s[0:1], 0xcc
	s_waitcnt lgkmcnt(0)
	v_mul_hi_u32 v10, s5, v11
	s_delay_alu instid0(VALU_DEP_1) | instskip(NEXT) | instid1(VALU_DEP_1)
	v_add_nc_u32_e32 v10, v11, v10
	v_lshrrev_b32_e32 v10, s6, v10
	s_delay_alu instid0(VALU_DEP_1) | instskip(NEXT) | instid1(VALU_DEP_1)
	v_mul_lo_u32 v10, v10, s4
	v_sub_nc_u32_e32 v13, v11, v10
	s_delay_alu instid0(VALU_DEP_1) | instskip(NEXT) | instid1(VALU_DEP_1)
	v_mad_u64_u32 v[10:11], null, v13, s2, v[8:9]
	v_mad_u64_u32 v[17:18], null, v13, s3, v[9:10]
	s_delay_alu instid0(VALU_DEP_1)
	v_dual_mov_b32 v8, v10 :: v_dual_mov_b32 v9, v17
.LBB343_81:
	v_cmp_ne_u32_e32 vcc_lo, 1, v14
	v_add_nc_u32_e32 v13, 0x280, v12
	s_cbranch_vccnz .LBB343_87
; %bb.82:
	v_dual_mov_b32 v10, 0 :: v_dual_mov_b32 v11, 0
	s_cmp_lg_u32 s22, 0
	s_mov_b32 s6, 0
	s_cbranch_scc0 .LBB343_91
; %bb.83:
	s_min_u32 s7, s23, 15
	v_mov_b32_e32 v10, 0
	s_add_i32 s7, s7, 1
	s_cmp_eq_u32 s23, 2
	s_mov_b32 s8, 0
	s_cbranch_scc1 .LBB343_88
; %bb.84:
	v_dual_mov_b32 v11, 0 :: v_dual_mov_b32 v10, 0
	v_mov_b32_e32 v15, v13
	s_add_u32 s2, s0, 0xc4
	s_addc_u32 s3, s1, 0
	s_and_b32 s8, s7, 28
	s_mov_b32 s9, 0
	s_mov_b64 s[4:5], s[0:1]
.LBB343_85:                             ; =>This Inner Loop Header: Depth=1
	s_clause 0x1
	s_load_b256 s[12:19], s[4:5], 0x4
	s_load_b128 s[36:39], s[4:5], 0x24
	s_load_b256 s[24:31], s[2:3], 0x0
	s_add_u32 s4, s4, 48
	s_addc_u32 s5, s5, 0
	s_add_i32 s9, s9, 4
	s_add_u32 s2, s2, 32
	s_addc_u32 s3, s3, 0
	s_cmp_lg_u32 s8, s9
	s_waitcnt lgkmcnt(0)
	v_mul_hi_u32 v17, s13, v15
	s_delay_alu instid0(VALU_DEP_1) | instskip(NEXT) | instid1(VALU_DEP_1)
	v_add_nc_u32_e32 v17, v15, v17
	v_lshrrev_b32_e32 v17, s14, v17
	s_delay_alu instid0(VALU_DEP_1) | instskip(SKIP_1) | instid1(VALU_DEP_2)
	v_mul_hi_u32 v18, s16, v17
	v_mul_lo_u32 v20, v17, s12
	v_add_nc_u32_e32 v18, v17, v18
	s_delay_alu instid0(VALU_DEP_2) | instskip(NEXT) | instid1(VALU_DEP_2)
	v_sub_nc_u32_e32 v15, v15, v20
	v_lshrrev_b32_e32 v18, s17, v18
	s_delay_alu instid0(VALU_DEP_2) | instskip(SKIP_1) | instid1(VALU_DEP_3)
	v_mul_lo_u32 v20, v15, s24
	v_mul_lo_u32 v22, v15, s25
	v_mul_hi_u32 v19, s19, v18
	s_delay_alu instid0(VALU_DEP_1) | instskip(NEXT) | instid1(VALU_DEP_1)
	v_add_nc_u32_e32 v19, v18, v19
	v_lshrrev_b32_e32 v19, s36, v19
	s_delay_alu instid0(VALU_DEP_1) | instskip(SKIP_1) | instid1(VALU_DEP_2)
	v_mul_hi_u32 v21, s38, v19
	v_mul_lo_u32 v23, v19, s18
	v_add_nc_u32_e32 v15, v19, v21
	v_mul_lo_u32 v21, v18, s15
	s_delay_alu instid0(VALU_DEP_3) | instskip(NEXT) | instid1(VALU_DEP_3)
	v_sub_nc_u32_e32 v18, v18, v23
	v_lshrrev_b32_e32 v15, s39, v15
	s_delay_alu instid0(VALU_DEP_2) | instskip(SKIP_2) | instid1(VALU_DEP_4)
	v_mul_lo_u32 v23, v18, s28
	v_mul_lo_u32 v18, v18, s29
	v_sub_nc_u32_e32 v17, v17, v21
	v_mul_lo_u32 v24, v15, s37
	s_delay_alu instid0(VALU_DEP_2) | instskip(SKIP_1) | instid1(VALU_DEP_3)
	v_mul_lo_u32 v21, v17, s26
	v_mul_lo_u32 v17, v17, s27
	v_sub_nc_u32_e32 v19, v19, v24
	s_delay_alu instid0(VALU_DEP_3) | instskip(NEXT) | instid1(VALU_DEP_2)
	v_add3_u32 v10, v20, v10, v21
	v_mul_lo_u32 v24, v19, s30
	v_mul_lo_u32 v19, v19, s31
	v_add3_u32 v11, v22, v11, v17
	s_delay_alu instid0(VALU_DEP_3) | instskip(NEXT) | instid1(VALU_DEP_2)
	v_add3_u32 v10, v23, v10, v24
	v_add3_u32 v11, v18, v11, v19
	s_cbranch_scc1 .LBB343_85
; %bb.86:
	s_and_b32 s7, s7, 3
	s_delay_alu instid0(SALU_CYCLE_1)
	s_cmp_eq_u32 s7, 0
	s_cbranch_scc0 .LBB343_89
	s_branch .LBB343_91
.LBB343_87:
	s_mov_b32 s6, -1
                                        ; implicit-def: $vgpr10
                                        ; implicit-def: $vgpr11
	s_branch .LBB343_91
.LBB343_88:
	v_mov_b32_e32 v15, v13
	v_mov_b32_e32 v11, 0
	s_and_b32 s7, s7, 3
	s_delay_alu instid0(SALU_CYCLE_1)
	s_cmp_eq_u32 s7, 0
	s_cbranch_scc1 .LBB343_91
.LBB343_89:
	s_lshl_b32 s2, s8, 3
	s_mul_i32 s4, s8, 12
	s_add_u32 s2, s2, s0
	s_addc_u32 s3, 0, s1
	s_add_u32 s2, s2, 0xc4
	s_addc_u32 s3, s3, 0
	;; [unrolled: 2-line block ×3, first 2 shown]
	.p2align	6
.LBB343_90:                             ; =>This Inner Loop Header: Depth=1
	s_clause 0x1
	s_load_b64 s[8:9], s[4:5], 0x4
	s_load_b32 s12, s[4:5], 0xc
	s_load_b64 s[10:11], s[2:3], 0x0
	s_add_u32 s4, s4, 12
	s_addc_u32 s5, s5, 0
	s_add_u32 s2, s2, 8
	s_addc_u32 s3, s3, 0
	s_add_i32 s7, s7, -1
	s_delay_alu instid0(SALU_CYCLE_1) | instskip(SKIP_2) | instid1(VALU_DEP_1)
	s_cmp_lg_u32 s7, 0
	s_waitcnt lgkmcnt(0)
	v_mul_hi_u32 v17, s9, v15
	v_add_nc_u32_e32 v17, v15, v17
	s_delay_alu instid0(VALU_DEP_1) | instskip(NEXT) | instid1(VALU_DEP_1)
	v_lshrrev_b32_e32 v20, s12, v17
	v_mul_lo_u32 v17, v20, s8
	s_delay_alu instid0(VALU_DEP_1) | instskip(NEXT) | instid1(VALU_DEP_1)
	v_sub_nc_u32_e32 v15, v15, v17
	v_mad_u64_u32 v[17:18], null, v15, s10, v[10:11]
	v_mad_u64_u32 v[18:19], null, v15, s11, v[11:12]
	s_delay_alu instid0(VALU_DEP_2) | instskip(NEXT) | instid1(VALU_DEP_2)
	v_dual_mov_b32 v15, v20 :: v_dual_mov_b32 v10, v17
	v_mov_b32_e32 v11, v18
	s_cbranch_scc1 .LBB343_90
.LBB343_91:
	s_and_not1_b32 vcc_lo, exec_lo, s6
	s_cbranch_vccnz .LBB343_94
; %bb.92:
	s_clause 0x1
	s_load_b128 s[4:7], s[0:1], 0x4
	s_load_b64 s[2:3], s[0:1], 0xc4
	s_cmp_lt_u32 s22, 2
	s_waitcnt lgkmcnt(0)
	v_mul_hi_u32 v10, s5, v13
	s_delay_alu instid0(VALU_DEP_1) | instskip(NEXT) | instid1(VALU_DEP_1)
	v_add_nc_u32_e32 v10, v13, v10
	v_lshrrev_b32_e32 v15, s6, v10
	s_delay_alu instid0(VALU_DEP_1) | instskip(NEXT) | instid1(VALU_DEP_1)
	v_mul_lo_u32 v10, v15, s4
	v_sub_nc_u32_e32 v11, v13, v10
	s_delay_alu instid0(VALU_DEP_1)
	v_mul_lo_u32 v10, v11, s2
	v_mul_lo_u32 v11, v11, s3
	s_cbranch_scc1 .LBB343_94
; %bb.93:
	s_clause 0x1
	s_load_b128 s[4:7], s[0:1], 0x10
	s_load_b64 s[2:3], s[0:1], 0xcc
	s_waitcnt lgkmcnt(0)
	v_mul_hi_u32 v13, s5, v15
	s_delay_alu instid0(VALU_DEP_1) | instskip(NEXT) | instid1(VALU_DEP_1)
	v_add_nc_u32_e32 v13, v15, v13
	v_lshrrev_b32_e32 v13, s6, v13
	s_delay_alu instid0(VALU_DEP_1) | instskip(NEXT) | instid1(VALU_DEP_1)
	v_mul_lo_u32 v13, v13, s4
	v_sub_nc_u32_e32 v13, v15, v13
	s_delay_alu instid0(VALU_DEP_1) | instskip(SKIP_1) | instid1(VALU_DEP_1)
	v_mad_u64_u32 v[17:18], null, v13, s2, v[10:11]
	v_mad_u64_u32 v[18:19], null, v13, s3, v[11:12]
	v_dual_mov_b32 v10, v17 :: v_dual_mov_b32 v11, v18
.LBB343_94:
	v_cmp_ne_u32_e32 vcc_lo, 1, v14
	v_add_nc_u32_e32 v15, 0x300, v12
	s_cbranch_vccnz .LBB343_100
; %bb.95:
	v_dual_mov_b32 v12, 0 :: v_dual_mov_b32 v13, 0
	s_cmp_lg_u32 s22, 0
	s_mov_b32 s6, 0
	s_cbranch_scc0 .LBB343_104
; %bb.96:
	s_min_u32 s7, s23, 15
	v_mov_b32_e32 v12, 0
	s_add_i32 s7, s7, 1
	s_cmp_eq_u32 s23, 2
	s_mov_b32 s8, 0
	s_cbranch_scc1 .LBB343_101
; %bb.97:
	v_dual_mov_b32 v13, 0 :: v_dual_mov_b32 v12, 0
	v_mov_b32_e32 v17, v15
	s_add_u32 s2, s0, 0xc4
	s_addc_u32 s3, s1, 0
	s_and_b32 s8, s7, 28
	s_mov_b32 s9, 0
	s_mov_b64 s[4:5], s[0:1]
.LBB343_98:                             ; =>This Inner Loop Header: Depth=1
	s_clause 0x1
	s_load_b256 s[12:19], s[4:5], 0x4
	s_load_b128 s[36:39], s[4:5], 0x24
	s_load_b256 s[24:31], s[2:3], 0x0
	s_add_u32 s4, s4, 48
	s_addc_u32 s5, s5, 0
	s_add_i32 s9, s9, 4
	s_add_u32 s2, s2, 32
	s_addc_u32 s3, s3, 0
	s_cmp_lg_u32 s8, s9
	s_waitcnt lgkmcnt(0)
	v_mul_hi_u32 v18, s13, v17
	s_delay_alu instid0(VALU_DEP_1) | instskip(NEXT) | instid1(VALU_DEP_1)
	v_add_nc_u32_e32 v18, v17, v18
	v_lshrrev_b32_e32 v18, s14, v18
	s_delay_alu instid0(VALU_DEP_1) | instskip(SKIP_1) | instid1(VALU_DEP_2)
	v_mul_hi_u32 v19, s16, v18
	v_mul_lo_u32 v21, v18, s12
	v_add_nc_u32_e32 v19, v18, v19
	s_delay_alu instid0(VALU_DEP_2) | instskip(NEXT) | instid1(VALU_DEP_2)
	v_sub_nc_u32_e32 v17, v17, v21
	v_lshrrev_b32_e32 v19, s17, v19
	s_delay_alu instid0(VALU_DEP_2) | instskip(SKIP_1) | instid1(VALU_DEP_3)
	v_mul_lo_u32 v21, v17, s24
	v_mul_lo_u32 v23, v17, s25
	v_mul_hi_u32 v20, s19, v19
	s_delay_alu instid0(VALU_DEP_1) | instskip(NEXT) | instid1(VALU_DEP_1)
	v_add_nc_u32_e32 v20, v19, v20
	v_lshrrev_b32_e32 v20, s36, v20
	s_delay_alu instid0(VALU_DEP_1) | instskip(SKIP_1) | instid1(VALU_DEP_2)
	v_mul_hi_u32 v22, s38, v20
	v_mul_lo_u32 v24, v20, s18
	v_add_nc_u32_e32 v17, v20, v22
	v_mul_lo_u32 v22, v19, s15
	s_delay_alu instid0(VALU_DEP_3) | instskip(NEXT) | instid1(VALU_DEP_3)
	v_sub_nc_u32_e32 v19, v19, v24
	v_lshrrev_b32_e32 v17, s39, v17
	s_delay_alu instid0(VALU_DEP_2) | instskip(SKIP_2) | instid1(VALU_DEP_4)
	v_mul_lo_u32 v24, v19, s28
	v_mul_lo_u32 v19, v19, s29
	v_sub_nc_u32_e32 v18, v18, v22
	v_mul_lo_u32 v25, v17, s37
	s_delay_alu instid0(VALU_DEP_2) | instskip(SKIP_1) | instid1(VALU_DEP_3)
	v_mul_lo_u32 v22, v18, s26
	v_mul_lo_u32 v18, v18, s27
	v_sub_nc_u32_e32 v20, v20, v25
	s_delay_alu instid0(VALU_DEP_3) | instskip(NEXT) | instid1(VALU_DEP_2)
	v_add3_u32 v12, v21, v12, v22
	v_mul_lo_u32 v25, v20, s30
	v_mul_lo_u32 v20, v20, s31
	v_add3_u32 v13, v23, v13, v18
	s_delay_alu instid0(VALU_DEP_3) | instskip(NEXT) | instid1(VALU_DEP_2)
	v_add3_u32 v12, v24, v12, v25
	v_add3_u32 v13, v19, v13, v20
	s_cbranch_scc1 .LBB343_98
; %bb.99:
	s_and_b32 s7, s7, 3
	s_delay_alu instid0(SALU_CYCLE_1)
	s_cmp_eq_u32 s7, 0
	s_cbranch_scc0 .LBB343_102
	s_branch .LBB343_104
.LBB343_100:
	s_mov_b32 s6, -1
                                        ; implicit-def: $vgpr12
                                        ; implicit-def: $vgpr13
	s_branch .LBB343_104
.LBB343_101:
	v_mov_b32_e32 v17, v15
	v_mov_b32_e32 v13, 0
	s_and_b32 s7, s7, 3
	s_delay_alu instid0(SALU_CYCLE_1)
	s_cmp_eq_u32 s7, 0
	s_cbranch_scc1 .LBB343_104
.LBB343_102:
	s_lshl_b32 s2, s8, 3
	s_mul_i32 s4, s8, 12
	s_add_u32 s2, s2, s0
	s_addc_u32 s3, 0, s1
	s_add_u32 s2, s2, 0xc4
	s_addc_u32 s3, s3, 0
	;; [unrolled: 2-line block ×3, first 2 shown]
	.p2align	6
.LBB343_103:                            ; =>This Inner Loop Header: Depth=1
	s_clause 0x1
	s_load_b64 s[8:9], s[4:5], 0x4
	s_load_b32 s12, s[4:5], 0xc
	s_load_b64 s[10:11], s[2:3], 0x0
	s_add_u32 s4, s4, 12
	s_addc_u32 s5, s5, 0
	s_add_u32 s2, s2, 8
	s_addc_u32 s3, s3, 0
	s_add_i32 s7, s7, -1
	s_delay_alu instid0(SALU_CYCLE_1) | instskip(SKIP_2) | instid1(VALU_DEP_1)
	s_cmp_lg_u32 s7, 0
	s_waitcnt lgkmcnt(0)
	v_mul_hi_u32 v18, s9, v17
	v_add_nc_u32_e32 v18, v17, v18
	s_delay_alu instid0(VALU_DEP_1) | instskip(NEXT) | instid1(VALU_DEP_1)
	v_lshrrev_b32_e32 v21, s12, v18
	v_mul_lo_u32 v18, v21, s8
	s_delay_alu instid0(VALU_DEP_1) | instskip(NEXT) | instid1(VALU_DEP_1)
	v_sub_nc_u32_e32 v17, v17, v18
	v_mad_u64_u32 v[18:19], null, v17, s10, v[12:13]
	v_mad_u64_u32 v[19:20], null, v17, s11, v[13:14]
	s_delay_alu instid0(VALU_DEP_2) | instskip(NEXT) | instid1(VALU_DEP_2)
	v_dual_mov_b32 v17, v21 :: v_dual_mov_b32 v12, v18
	v_mov_b32_e32 v13, v19
	s_cbranch_scc1 .LBB343_103
.LBB343_104:
	s_and_not1_b32 vcc_lo, exec_lo, s6
	s_cbranch_vccnz .LBB343_107
; %bb.105:
	s_clause 0x1
	s_load_b128 s[4:7], s[0:1], 0x4
	s_load_b64 s[2:3], s[0:1], 0xc4
	s_cmp_lt_u32 s22, 2
	s_waitcnt lgkmcnt(0)
	v_mul_hi_u32 v12, s5, v15
	s_delay_alu instid0(VALU_DEP_1) | instskip(NEXT) | instid1(VALU_DEP_1)
	v_add_nc_u32_e32 v12, v15, v12
	v_lshrrev_b32_e32 v17, s6, v12
	s_delay_alu instid0(VALU_DEP_1) | instskip(NEXT) | instid1(VALU_DEP_1)
	v_mul_lo_u32 v12, v17, s4
	v_sub_nc_u32_e32 v13, v15, v12
	s_delay_alu instid0(VALU_DEP_1)
	v_mul_lo_u32 v12, v13, s2
	v_mul_lo_u32 v13, v13, s3
	s_cbranch_scc1 .LBB343_107
; %bb.106:
	s_clause 0x1
	s_load_b128 s[4:7], s[0:1], 0x10
	s_load_b64 s[2:3], s[0:1], 0xcc
	s_waitcnt lgkmcnt(0)
	v_mul_hi_u32 v15, s5, v17
	s_delay_alu instid0(VALU_DEP_1) | instskip(NEXT) | instid1(VALU_DEP_1)
	v_add_nc_u32_e32 v15, v17, v15
	v_lshrrev_b32_e32 v15, s6, v15
	s_delay_alu instid0(VALU_DEP_1) | instskip(NEXT) | instid1(VALU_DEP_1)
	v_mul_lo_u32 v15, v15, s4
	v_sub_nc_u32_e32 v15, v17, v15
	s_delay_alu instid0(VALU_DEP_1) | instskip(SKIP_1) | instid1(VALU_DEP_1)
	v_mad_u64_u32 v[17:18], null, v15, s2, v[12:13]
	v_mad_u64_u32 v[18:19], null, v15, s3, v[13:14]
	v_dual_mov_b32 v12, v17 :: v_dual_mov_b32 v13, v18
.LBB343_107:
	v_cmp_ne_u32_e32 vcc_lo, 1, v14
	s_cbranch_vccnz .LBB343_113
; %bb.108:
	v_dual_mov_b32 v14, 0 :: v_dual_mov_b32 v15, 0
	s_cmp_lg_u32 s22, 0
	s_mov_b32 s6, 0
	s_cbranch_scc0 .LBB343_117
; %bb.109:
	s_min_u32 s7, s23, 15
	v_mov_b32_e32 v14, 0
	s_add_i32 s7, s7, 1
	s_cmp_eq_u32 s23, 2
	s_mov_b32 s8, 0
	s_cbranch_scc1 .LBB343_114
; %bb.110:
	v_dual_mov_b32 v15, 0 :: v_dual_mov_b32 v14, 0
	v_mov_b32_e32 v17, v16
	s_add_u32 s2, s0, 0xc4
	s_addc_u32 s3, s1, 0
	s_and_b32 s8, s7, 28
	s_mov_b32 s9, 0
	s_mov_b64 s[4:5], s[0:1]
.LBB343_111:                            ; =>This Inner Loop Header: Depth=1
	s_clause 0x1
	s_load_b256 s[12:19], s[4:5], 0x4
	s_load_b128 s[36:39], s[4:5], 0x24
	s_load_b256 s[24:31], s[2:3], 0x0
	s_add_u32 s4, s4, 48
	s_addc_u32 s5, s5, 0
	s_add_i32 s9, s9, 4
	s_add_u32 s2, s2, 32
	s_addc_u32 s3, s3, 0
	s_cmp_lg_u32 s8, s9
	s_waitcnt lgkmcnt(0)
	v_mul_hi_u32 v18, s13, v17
	s_delay_alu instid0(VALU_DEP_1) | instskip(NEXT) | instid1(VALU_DEP_1)
	v_add_nc_u32_e32 v18, v17, v18
	v_lshrrev_b32_e32 v18, s14, v18
	s_delay_alu instid0(VALU_DEP_1) | instskip(SKIP_1) | instid1(VALU_DEP_2)
	v_mul_hi_u32 v19, s16, v18
	v_mul_lo_u32 v21, v18, s12
	v_add_nc_u32_e32 v19, v18, v19
	s_delay_alu instid0(VALU_DEP_2) | instskip(NEXT) | instid1(VALU_DEP_2)
	v_sub_nc_u32_e32 v17, v17, v21
	v_lshrrev_b32_e32 v19, s17, v19
	s_delay_alu instid0(VALU_DEP_2) | instskip(SKIP_1) | instid1(VALU_DEP_3)
	v_mul_lo_u32 v21, v17, s24
	v_mul_lo_u32 v23, v17, s25
	v_mul_hi_u32 v20, s19, v19
	s_delay_alu instid0(VALU_DEP_1) | instskip(NEXT) | instid1(VALU_DEP_1)
	v_add_nc_u32_e32 v20, v19, v20
	v_lshrrev_b32_e32 v20, s36, v20
	s_delay_alu instid0(VALU_DEP_1) | instskip(SKIP_1) | instid1(VALU_DEP_2)
	v_mul_hi_u32 v22, s38, v20
	v_mul_lo_u32 v24, v20, s18
	v_add_nc_u32_e32 v17, v20, v22
	v_mul_lo_u32 v22, v19, s15
	s_delay_alu instid0(VALU_DEP_3) | instskip(NEXT) | instid1(VALU_DEP_3)
	v_sub_nc_u32_e32 v19, v19, v24
	v_lshrrev_b32_e32 v17, s39, v17
	s_delay_alu instid0(VALU_DEP_2) | instskip(SKIP_2) | instid1(VALU_DEP_4)
	v_mul_lo_u32 v24, v19, s28
	v_mul_lo_u32 v19, v19, s29
	v_sub_nc_u32_e32 v18, v18, v22
	v_mul_lo_u32 v25, v17, s37
	s_delay_alu instid0(VALU_DEP_2) | instskip(SKIP_1) | instid1(VALU_DEP_3)
	v_mul_lo_u32 v22, v18, s26
	v_mul_lo_u32 v18, v18, s27
	v_sub_nc_u32_e32 v20, v20, v25
	s_delay_alu instid0(VALU_DEP_3) | instskip(NEXT) | instid1(VALU_DEP_2)
	v_add3_u32 v14, v21, v14, v22
	v_mul_lo_u32 v25, v20, s30
	v_mul_lo_u32 v20, v20, s31
	v_add3_u32 v15, v23, v15, v18
	s_delay_alu instid0(VALU_DEP_3) | instskip(NEXT) | instid1(VALU_DEP_2)
	v_add3_u32 v14, v24, v14, v25
	v_add3_u32 v15, v19, v15, v20
	s_cbranch_scc1 .LBB343_111
; %bb.112:
	s_and_b32 s7, s7, 3
	s_delay_alu instid0(SALU_CYCLE_1)
	s_cmp_eq_u32 s7, 0
	s_cbranch_scc0 .LBB343_115
	s_branch .LBB343_117
.LBB343_113:
	s_mov_b32 s6, -1
                                        ; implicit-def: $vgpr14
                                        ; implicit-def: $vgpr15
	s_branch .LBB343_117
.LBB343_114:
	v_mov_b32_e32 v17, v16
	v_mov_b32_e32 v15, 0
	s_and_b32 s7, s7, 3
	s_delay_alu instid0(SALU_CYCLE_1)
	s_cmp_eq_u32 s7, 0
	s_cbranch_scc1 .LBB343_117
.LBB343_115:
	s_lshl_b32 s2, s8, 3
	s_mul_i32 s4, s8, 12
	s_add_u32 s2, s2, s0
	s_addc_u32 s3, 0, s1
	s_add_u32 s2, s2, 0xc4
	s_addc_u32 s3, s3, 0
	;; [unrolled: 2-line block ×3, first 2 shown]
	.p2align	6
.LBB343_116:                            ; =>This Inner Loop Header: Depth=1
	s_clause 0x1
	s_load_b64 s[8:9], s[4:5], 0x4
	s_load_b32 s12, s[4:5], 0xc
	s_load_b64 s[10:11], s[2:3], 0x0
	s_add_u32 s4, s4, 12
	s_addc_u32 s5, s5, 0
	s_add_u32 s2, s2, 8
	s_addc_u32 s3, s3, 0
	s_add_i32 s7, s7, -1
	s_delay_alu instid0(SALU_CYCLE_1) | instskip(SKIP_2) | instid1(VALU_DEP_1)
	s_cmp_lg_u32 s7, 0
	s_waitcnt lgkmcnt(0)
	v_mul_hi_u32 v18, s9, v17
	v_add_nc_u32_e32 v18, v17, v18
	s_delay_alu instid0(VALU_DEP_1) | instskip(NEXT) | instid1(VALU_DEP_1)
	v_lshrrev_b32_e32 v21, s12, v18
	v_mul_lo_u32 v18, v21, s8
	s_delay_alu instid0(VALU_DEP_1) | instskip(NEXT) | instid1(VALU_DEP_1)
	v_sub_nc_u32_e32 v17, v17, v18
	v_mad_u64_u32 v[18:19], null, v17, s10, v[14:15]
	v_mad_u64_u32 v[19:20], null, v17, s11, v[15:16]
	s_delay_alu instid0(VALU_DEP_2) | instskip(NEXT) | instid1(VALU_DEP_2)
	v_dual_mov_b32 v17, v21 :: v_dual_mov_b32 v14, v18
	v_mov_b32_e32 v15, v19
	s_cbranch_scc1 .LBB343_116
.LBB343_117:
	s_and_not1_b32 vcc_lo, exec_lo, s6
	s_cbranch_vccnz .LBB343_120
; %bb.118:
	s_clause 0x1
	s_load_b128 s[4:7], s[0:1], 0x4
	s_load_b64 s[2:3], s[0:1], 0xc4
	s_cmp_lt_u32 s22, 2
	s_waitcnt lgkmcnt(0)
	v_mul_hi_u32 v14, s5, v16
	s_delay_alu instid0(VALU_DEP_1) | instskip(NEXT) | instid1(VALU_DEP_1)
	v_add_nc_u32_e32 v14, v16, v14
	v_lshrrev_b32_e32 v17, s6, v14
	s_delay_alu instid0(VALU_DEP_1) | instskip(NEXT) | instid1(VALU_DEP_1)
	v_mul_lo_u32 v14, v17, s4
	v_sub_nc_u32_e32 v15, v16, v14
	s_delay_alu instid0(VALU_DEP_1)
	v_mul_lo_u32 v14, v15, s2
	v_mul_lo_u32 v15, v15, s3
	s_cbranch_scc1 .LBB343_120
; %bb.119:
	s_clause 0x1
	s_load_b128 s[4:7], s[0:1], 0x10
	s_load_b64 s[2:3], s[0:1], 0xcc
	s_waitcnt lgkmcnt(0)
	v_mul_hi_u32 v16, s5, v17
	s_delay_alu instid0(VALU_DEP_1) | instskip(NEXT) | instid1(VALU_DEP_1)
	v_add_nc_u32_e32 v16, v17, v16
	v_lshrrev_b32_e32 v16, s6, v16
	s_delay_alu instid0(VALU_DEP_1) | instskip(NEXT) | instid1(VALU_DEP_1)
	v_mul_lo_u32 v16, v16, s4
	v_sub_nc_u32_e32 v19, v17, v16
	s_delay_alu instid0(VALU_DEP_1) | instskip(NEXT) | instid1(VALU_DEP_1)
	v_mad_u64_u32 v[16:17], null, v19, s2, v[14:15]
	v_mad_u64_u32 v[17:18], null, v19, s3, v[15:16]
	s_delay_alu instid0(VALU_DEP_1)
	v_dual_mov_b32 v14, v16 :: v_dual_mov_b32 v15, v17
.LBB343_120:
	s_clause 0x1
	s_load_b128 s[4:7], s[0:1], 0x148
	s_load_b32 s0, s[0:1], 0x158
	s_mov_b32 s2, exec_lo
	s_waitcnt lgkmcnt(0)
	global_load_u16 v1, v1, s[6:7]
	s_lshr_b32 s1, s0, 16
	s_waitcnt vmcnt(0)
	v_lshlrev_b32_e32 v16, 16, v1
	s_delay_alu instid0(VALU_DEP_1)
	v_cmpx_o_f32_e32 v16, v16
; %bb.121:
	s_lshl_b32 s3, s0, 16
	s_delay_alu instid0(SALU_CYCLE_1) | instskip(SKIP_2) | instid1(VALU_DEP_1)
	v_cmp_lt_f32_e32 vcc_lo, s3, v16
	s_lshl_b32 s3, s1, 16
	v_cndmask_b32_e32 v1, s0, v1, vcc_lo
	v_lshlrev_b32_e32 v16, 16, v1
	s_delay_alu instid0(VALU_DEP_1)
	v_cmp_gt_f32_e32 vcc_lo, s3, v16
	v_cndmask_b32_e32 v1, s1, v1, vcc_lo
; %bb.122:
	s_or_b32 exec_lo, exec_lo, s2
	global_load_u16 v3, v3, s[6:7]
	s_mov_b32 s2, exec_lo
	s_waitcnt vmcnt(0)
	v_lshlrev_b32_e32 v16, 16, v3
	s_delay_alu instid0(VALU_DEP_1)
	v_cmpx_o_f32_e32 v16, v16
; %bb.123:
	s_lshl_b32 s3, s0, 16
	s_delay_alu instid0(SALU_CYCLE_1) | instskip(SKIP_2) | instid1(VALU_DEP_1)
	v_cmp_lt_f32_e32 vcc_lo, s3, v16
	s_lshl_b32 s3, s1, 16
	v_cndmask_b32_e32 v3, s0, v3, vcc_lo
	v_lshlrev_b32_e32 v16, 16, v3
	s_delay_alu instid0(VALU_DEP_1)
	v_cmp_gt_f32_e32 vcc_lo, s3, v16
	v_cndmask_b32_e32 v3, s1, v3, vcc_lo
; %bb.124:
	s_or_b32 exec_lo, exec_lo, s2
	global_load_u16 v5, v5, s[6:7]
	s_mov_b32 s2, exec_lo
	;; [unrolled: 18-line block ×7, first 2 shown]
	s_waitcnt vmcnt(0)
	v_lshlrev_b32_e32 v16, 16, v15
	s_delay_alu instid0(VALU_DEP_1)
	v_cmpx_o_f32_e32 v16, v16
; %bb.135:
	s_lshl_b32 s3, s0, 16
	s_delay_alu instid0(SALU_CYCLE_1) | instskip(SKIP_2) | instid1(VALU_DEP_1)
	v_cmp_lt_f32_e32 vcc_lo, s3, v16
	v_cndmask_b32_e32 v15, s0, v15, vcc_lo
	s_lshl_b32 s0, s1, 16
	v_lshlrev_b32_e32 v16, 16, v15
	s_delay_alu instid0(VALU_DEP_1)
	v_cmp_gt_f32_e32 vcc_lo, s0, v16
	v_cndmask_b32_e32 v15, s1, v15, vcc_lo
; %bb.136:
	s_or_b32 exec_lo, exec_lo, s2
	s_clause 0x7
	global_store_b16 v0, v1, s[4:5]
	global_store_b16 v2, v3, s[4:5]
	;; [unrolled: 1-line block ×8, first 2 shown]
	s_nop 0
	s_sendmsg sendmsg(MSG_DEALLOC_VGPRS)
	s_endpgm
.LBB343_137:
	v_dual_mov_b32 v2, v12 :: v_dual_mov_b32 v1, 0
.LBB343_138:
	s_and_b32 s38, s38, 3
	s_delay_alu instid0(SALU_CYCLE_1)
	s_cmp_eq_u32 s38, 0
	s_cbranch_scc1 .LBB343_141
; %bb.139:
	s_lshl_b32 s18, s37, 3
	s_mul_i32 s20, s37, 12
	s_add_u32 s18, s18, s0
	s_addc_u32 s19, s1, 0
	s_add_u32 s18, s18, 0xc4
	s_addc_u32 s19, s19, 0
	;; [unrolled: 2-line block ×3, first 2 shown]
	.p2align	6
.LBB343_140:                            ; =>This Inner Loop Header: Depth=1
	s_clause 0x1
	s_load_b64 s[40:41], s[20:21], 0x4
	s_load_b32 s37, s[20:21], 0xc
	s_load_b64 s[42:43], s[18:19], 0x0
	s_add_u32 s20, s20, 12
	s_addc_u32 s21, s21, 0
	s_add_u32 s18, s18, 8
	s_addc_u32 s19, s19, 0
	s_add_i32 s38, s38, -1
	s_delay_alu instid0(SALU_CYCLE_1) | instskip(SKIP_2) | instid1(VALU_DEP_1)
	s_cmp_lg_u32 s38, 0
	s_waitcnt lgkmcnt(0)
	v_mul_hi_u32 v3, s41, v2
	v_add_nc_u32_e32 v3, v2, v3
	s_delay_alu instid0(VALU_DEP_1) | instskip(NEXT) | instid1(VALU_DEP_1)
	v_lshrrev_b32_e32 v6, s37, v3
	v_mul_lo_u32 v3, v6, s40
	s_delay_alu instid0(VALU_DEP_1) | instskip(NEXT) | instid1(VALU_DEP_1)
	v_sub_nc_u32_e32 v2, v2, v3
	v_mad_u64_u32 v[3:4], null, v2, s42, v[0:1]
	v_mad_u64_u32 v[4:5], null, v2, s43, v[1:2]
	v_mov_b32_e32 v2, v6
	s_delay_alu instid0(VALU_DEP_2)
	v_dual_mov_b32 v0, v3 :: v_dual_mov_b32 v1, v4
	s_cbranch_scc1 .LBB343_140
.LBB343_141:
	s_and_not1_b32 vcc_lo, exec_lo, s36
	s_cbranch_vccnz .LBB343_144
; %bb.142:
	v_mul_hi_u32 v0, s13, v12
	s_and_not1_b32 vcc_lo, exec_lo, s30
	s_delay_alu instid0(VALU_DEP_1) | instskip(NEXT) | instid1(VALU_DEP_1)
	v_add_nc_u32_e32 v0, v12, v0
	v_lshrrev_b32_e32 v2, s14, v0
	s_delay_alu instid0(VALU_DEP_1) | instskip(NEXT) | instid1(VALU_DEP_1)
	v_mul_lo_u32 v0, v2, s12
	v_sub_nc_u32_e32 v1, v12, v0
	s_delay_alu instid0(VALU_DEP_1)
	v_mul_lo_u32 v0, v1, s8
	v_mul_lo_u32 v1, v1, s9
	s_cbranch_vccnz .LBB343_144
; %bb.143:
	v_mul_hi_u32 v3, s2, v2
	s_delay_alu instid0(VALU_DEP_1) | instskip(NEXT) | instid1(VALU_DEP_1)
	v_add_nc_u32_e32 v3, v2, v3
	v_lshrrev_b32_e32 v3, s3, v3
	s_delay_alu instid0(VALU_DEP_1) | instskip(NEXT) | instid1(VALU_DEP_1)
	v_mul_lo_u32 v3, v3, s15
	v_sub_nc_u32_e32 v5, v2, v3
	s_delay_alu instid0(VALU_DEP_1) | instskip(NEXT) | instid1(VALU_DEP_1)
	v_mad_u64_u32 v[2:3], null, v5, s10, v[0:1]
	v_mad_u64_u32 v[3:4], null, v5, s11, v[1:2]
	s_delay_alu instid0(VALU_DEP_1)
	v_dual_mov_b32 v0, v2 :: v_dual_mov_b32 v1, v3
.LBB343_144:
	global_load_u16 v1, v1, s[6:7]
	s_mov_b32 s18, exec_lo
	s_waitcnt vmcnt(0)
	v_lshlrev_b32_e32 v2, 16, v1
	s_delay_alu instid0(VALU_DEP_1)
	v_cmpx_o_f32_e32 v2, v2
; %bb.145:
	v_cmp_lt_f32_e32 vcc_lo, s29, v2
	v_cndmask_b32_e32 v1, s26, v1, vcc_lo
	s_delay_alu instid0(VALU_DEP_1) | instskip(NEXT) | instid1(VALU_DEP_1)
	v_lshlrev_b32_e32 v2, 16, v1
	v_cmp_gt_f32_e32 vcc_lo, s28, v2
	v_cndmask_b32_e32 v1, s27, v1, vcc_lo
; %bb.146:
	s_or_b32 exec_lo, exec_lo, s18
	v_add_nc_u32_e32 v12, 0x80, v12
	global_store_b16 v0, v1, s[4:5]
	s_or_b32 exec_lo, exec_lo, s35
	s_delay_alu instid0(SALU_CYCLE_1)
	s_mov_b32 s35, exec_lo
	v_cmpx_gt_i32_e64 s31, v12
	s_cbranch_execnz .LBB343_15
.LBB343_147:
	s_or_b32 exec_lo, exec_lo, s35
	s_delay_alu instid0(SALU_CYCLE_1)
	s_mov_b32 s35, exec_lo
	v_cmpx_gt_i32_e64 s31, v12
	s_cbranch_execz .LBB343_164
.LBB343_148:
	s_and_not1_b32 vcc_lo, exec_lo, s24
	s_cbranch_vccnz .LBB343_153
; %bb.149:
	v_dual_mov_b32 v0, 0 :: v_dual_mov_b32 v1, 0
	s_and_not1_b32 vcc_lo, exec_lo, s34
	s_mov_b32 s36, 0
	s_cbranch_vccnz .LBB343_175
; %bb.150:
	v_mov_b32_e32 v0, 0
	s_add_i32 s38, s33, 1
	s_cmp_eq_u32 s23, 2
	s_mov_b32 s37, 0
	s_cbranch_scc1 .LBB343_171
; %bb.151:
	v_dual_mov_b32 v1, 0 :: v_dual_mov_b32 v0, 0
	v_mov_b32_e32 v2, v12
	s_and_b32 s37, s38, 28
	s_mov_b32 s39, 0
	s_mov_b64 s[18:19], s[16:17]
	s_mov_b64 s[20:21], s[0:1]
.LBB343_152:                            ; =>This Inner Loop Header: Depth=1
	s_clause 0x1
	s_load_b256 s[40:47], s[20:21], 0x4
	s_load_b128 s[56:59], s[20:21], 0x24
	s_load_b256 s[48:55], s[18:19], 0x0
	s_add_u32 s20, s20, 48
	s_addc_u32 s21, s21, 0
	s_add_i32 s39, s39, 4
	s_add_u32 s18, s18, 32
	s_addc_u32 s19, s19, 0
	s_cmp_eq_u32 s37, s39
	s_waitcnt lgkmcnt(0)
	v_mul_hi_u32 v3, s41, v2
	s_delay_alu instid0(VALU_DEP_1) | instskip(NEXT) | instid1(VALU_DEP_1)
	v_add_nc_u32_e32 v3, v2, v3
	v_lshrrev_b32_e32 v3, s42, v3
	s_delay_alu instid0(VALU_DEP_1) | instskip(SKIP_1) | instid1(VALU_DEP_2)
	v_mul_hi_u32 v4, s44, v3
	v_mul_lo_u32 v6, v3, s40
	v_add_nc_u32_e32 v4, v3, v4
	s_delay_alu instid0(VALU_DEP_2) | instskip(NEXT) | instid1(VALU_DEP_2)
	v_sub_nc_u32_e32 v2, v2, v6
	v_lshrrev_b32_e32 v4, s45, v4
	s_delay_alu instid0(VALU_DEP_2) | instskip(SKIP_1) | instid1(VALU_DEP_3)
	v_mul_lo_u32 v6, v2, s48
	v_mul_lo_u32 v8, v2, s49
	v_mul_hi_u32 v5, s47, v4
	s_delay_alu instid0(VALU_DEP_1) | instskip(NEXT) | instid1(VALU_DEP_1)
	v_add_nc_u32_e32 v5, v4, v5
	v_lshrrev_b32_e32 v5, s56, v5
	s_delay_alu instid0(VALU_DEP_1) | instskip(SKIP_1) | instid1(VALU_DEP_2)
	v_mul_hi_u32 v7, s58, v5
	v_mul_lo_u32 v9, v5, s46
	v_add_nc_u32_e32 v2, v5, v7
	v_mul_lo_u32 v7, v4, s43
	s_delay_alu instid0(VALU_DEP_3) | instskip(NEXT) | instid1(VALU_DEP_3)
	v_sub_nc_u32_e32 v4, v4, v9
	v_lshrrev_b32_e32 v2, s59, v2
	s_delay_alu instid0(VALU_DEP_2) | instskip(SKIP_2) | instid1(VALU_DEP_4)
	v_mul_lo_u32 v9, v4, s52
	v_mul_lo_u32 v4, v4, s53
	v_sub_nc_u32_e32 v3, v3, v7
	v_mul_lo_u32 v10, v2, s57
	s_delay_alu instid0(VALU_DEP_2) | instskip(SKIP_1) | instid1(VALU_DEP_3)
	v_mul_lo_u32 v7, v3, s50
	v_mul_lo_u32 v3, v3, s51
	v_sub_nc_u32_e32 v5, v5, v10
	s_delay_alu instid0(VALU_DEP_3) | instskip(NEXT) | instid1(VALU_DEP_2)
	v_add3_u32 v0, v6, v0, v7
	v_mul_lo_u32 v10, v5, s54
	v_mul_lo_u32 v5, v5, s55
	v_add3_u32 v1, v8, v1, v3
	s_delay_alu instid0(VALU_DEP_3) | instskip(NEXT) | instid1(VALU_DEP_2)
	v_add3_u32 v0, v9, v0, v10
	v_add3_u32 v1, v4, v1, v5
	s_cbranch_scc0 .LBB343_152
	s_branch .LBB343_172
.LBB343_153:
	s_mov_b32 s36, -1
                                        ; implicit-def: $vgpr0
                                        ; implicit-def: $vgpr1
	s_branch .LBB343_175
.LBB343_154:
	v_dual_mov_b32 v2, v12 :: v_dual_mov_b32 v1, 0
.LBB343_155:
	s_and_b32 s38, s38, 3
	s_delay_alu instid0(SALU_CYCLE_1)
	s_cmp_eq_u32 s38, 0
	s_cbranch_scc1 .LBB343_158
; %bb.156:
	s_lshl_b32 s18, s37, 3
	s_mul_i32 s20, s37, 12
	s_add_u32 s18, s18, s0
	s_addc_u32 s19, s1, 0
	s_add_u32 s18, s18, 0xc4
	s_addc_u32 s19, s19, 0
	;; [unrolled: 2-line block ×3, first 2 shown]
	.p2align	6
.LBB343_157:                            ; =>This Inner Loop Header: Depth=1
	s_clause 0x1
	s_load_b64 s[40:41], s[20:21], 0x4
	s_load_b32 s37, s[20:21], 0xc
	s_load_b64 s[42:43], s[18:19], 0x0
	s_add_u32 s20, s20, 12
	s_addc_u32 s21, s21, 0
	s_add_u32 s18, s18, 8
	s_addc_u32 s19, s19, 0
	s_add_i32 s38, s38, -1
	s_delay_alu instid0(SALU_CYCLE_1) | instskip(SKIP_2) | instid1(VALU_DEP_1)
	s_cmp_lg_u32 s38, 0
	s_waitcnt lgkmcnt(0)
	v_mul_hi_u32 v3, s41, v2
	v_add_nc_u32_e32 v3, v2, v3
	s_delay_alu instid0(VALU_DEP_1) | instskip(NEXT) | instid1(VALU_DEP_1)
	v_lshrrev_b32_e32 v6, s37, v3
	v_mul_lo_u32 v3, v6, s40
	s_delay_alu instid0(VALU_DEP_1) | instskip(NEXT) | instid1(VALU_DEP_1)
	v_sub_nc_u32_e32 v2, v2, v3
	v_mad_u64_u32 v[3:4], null, v2, s42, v[0:1]
	v_mad_u64_u32 v[4:5], null, v2, s43, v[1:2]
	v_mov_b32_e32 v2, v6
	s_delay_alu instid0(VALU_DEP_2)
	v_dual_mov_b32 v0, v3 :: v_dual_mov_b32 v1, v4
	s_cbranch_scc1 .LBB343_157
.LBB343_158:
	s_and_not1_b32 vcc_lo, exec_lo, s36
	s_cbranch_vccnz .LBB343_161
; %bb.159:
	v_mul_hi_u32 v0, s13, v12
	s_and_not1_b32 vcc_lo, exec_lo, s30
	s_delay_alu instid0(VALU_DEP_1) | instskip(NEXT) | instid1(VALU_DEP_1)
	v_add_nc_u32_e32 v0, v12, v0
	v_lshrrev_b32_e32 v2, s14, v0
	s_delay_alu instid0(VALU_DEP_1) | instskip(NEXT) | instid1(VALU_DEP_1)
	v_mul_lo_u32 v0, v2, s12
	v_sub_nc_u32_e32 v1, v12, v0
	s_delay_alu instid0(VALU_DEP_1)
	v_mul_lo_u32 v0, v1, s8
	v_mul_lo_u32 v1, v1, s9
	s_cbranch_vccnz .LBB343_161
; %bb.160:
	v_mul_hi_u32 v3, s2, v2
	s_delay_alu instid0(VALU_DEP_1) | instskip(NEXT) | instid1(VALU_DEP_1)
	v_add_nc_u32_e32 v3, v2, v3
	v_lshrrev_b32_e32 v3, s3, v3
	s_delay_alu instid0(VALU_DEP_1) | instskip(NEXT) | instid1(VALU_DEP_1)
	v_mul_lo_u32 v3, v3, s15
	v_sub_nc_u32_e32 v5, v2, v3
	s_delay_alu instid0(VALU_DEP_1) | instskip(NEXT) | instid1(VALU_DEP_1)
	v_mad_u64_u32 v[2:3], null, v5, s10, v[0:1]
	v_mad_u64_u32 v[3:4], null, v5, s11, v[1:2]
	s_delay_alu instid0(VALU_DEP_1)
	v_dual_mov_b32 v0, v2 :: v_dual_mov_b32 v1, v3
.LBB343_161:
	global_load_u16 v1, v1, s[6:7]
	s_mov_b32 s18, exec_lo
	s_waitcnt vmcnt(0)
	v_lshlrev_b32_e32 v2, 16, v1
	s_delay_alu instid0(VALU_DEP_1)
	v_cmpx_o_f32_e32 v2, v2
; %bb.162:
	v_cmp_lt_f32_e32 vcc_lo, s29, v2
	v_cndmask_b32_e32 v1, s26, v1, vcc_lo
	s_delay_alu instid0(VALU_DEP_1) | instskip(NEXT) | instid1(VALU_DEP_1)
	v_lshlrev_b32_e32 v2, 16, v1
	v_cmp_gt_f32_e32 vcc_lo, s28, v2
	v_cndmask_b32_e32 v1, s27, v1, vcc_lo
; %bb.163:
	s_or_b32 exec_lo, exec_lo, s18
	v_add_nc_u32_e32 v12, 0x80, v12
	global_store_b16 v0, v1, s[4:5]
	s_or_b32 exec_lo, exec_lo, s35
	s_delay_alu instid0(SALU_CYCLE_1)
	s_mov_b32 s35, exec_lo
	v_cmpx_gt_i32_e64 s31, v12
	s_cbranch_execnz .LBB343_148
.LBB343_164:
	s_or_b32 exec_lo, exec_lo, s35
	s_delay_alu instid0(SALU_CYCLE_1)
	s_mov_b32 s35, exec_lo
	v_cmpx_gt_i32_e64 s31, v12
	s_cbranch_execz .LBB343_181
.LBB343_165:
	s_and_not1_b32 vcc_lo, exec_lo, s24
	s_cbranch_vccnz .LBB343_170
; %bb.166:
	v_dual_mov_b32 v0, 0 :: v_dual_mov_b32 v1, 0
	s_and_not1_b32 vcc_lo, exec_lo, s34
	s_mov_b32 s36, 0
	s_cbranch_vccnz .LBB343_192
; %bb.167:
	v_mov_b32_e32 v0, 0
	s_add_i32 s38, s33, 1
	s_cmp_eq_u32 s23, 2
	s_mov_b32 s37, 0
	s_cbranch_scc1 .LBB343_188
; %bb.168:
	v_dual_mov_b32 v1, 0 :: v_dual_mov_b32 v0, 0
	v_mov_b32_e32 v2, v12
	s_and_b32 s37, s38, 28
	s_mov_b32 s39, 0
	s_mov_b64 s[18:19], s[16:17]
	s_mov_b64 s[20:21], s[0:1]
.LBB343_169:                            ; =>This Inner Loop Header: Depth=1
	s_clause 0x1
	s_load_b256 s[40:47], s[20:21], 0x4
	s_load_b128 s[56:59], s[20:21], 0x24
	s_load_b256 s[48:55], s[18:19], 0x0
	s_add_u32 s20, s20, 48
	s_addc_u32 s21, s21, 0
	s_add_i32 s39, s39, 4
	s_add_u32 s18, s18, 32
	s_addc_u32 s19, s19, 0
	s_cmp_eq_u32 s37, s39
	s_waitcnt lgkmcnt(0)
	v_mul_hi_u32 v3, s41, v2
	s_delay_alu instid0(VALU_DEP_1) | instskip(NEXT) | instid1(VALU_DEP_1)
	v_add_nc_u32_e32 v3, v2, v3
	v_lshrrev_b32_e32 v3, s42, v3
	s_delay_alu instid0(VALU_DEP_1) | instskip(SKIP_1) | instid1(VALU_DEP_2)
	v_mul_hi_u32 v4, s44, v3
	v_mul_lo_u32 v6, v3, s40
	v_add_nc_u32_e32 v4, v3, v4
	s_delay_alu instid0(VALU_DEP_2) | instskip(NEXT) | instid1(VALU_DEP_2)
	v_sub_nc_u32_e32 v2, v2, v6
	v_lshrrev_b32_e32 v4, s45, v4
	s_delay_alu instid0(VALU_DEP_2) | instskip(SKIP_1) | instid1(VALU_DEP_3)
	v_mul_lo_u32 v6, v2, s48
	v_mul_lo_u32 v8, v2, s49
	v_mul_hi_u32 v5, s47, v4
	s_delay_alu instid0(VALU_DEP_1) | instskip(NEXT) | instid1(VALU_DEP_1)
	v_add_nc_u32_e32 v5, v4, v5
	v_lshrrev_b32_e32 v5, s56, v5
	s_delay_alu instid0(VALU_DEP_1) | instskip(SKIP_1) | instid1(VALU_DEP_2)
	v_mul_hi_u32 v7, s58, v5
	v_mul_lo_u32 v9, v5, s46
	v_add_nc_u32_e32 v2, v5, v7
	v_mul_lo_u32 v7, v4, s43
	s_delay_alu instid0(VALU_DEP_3) | instskip(NEXT) | instid1(VALU_DEP_3)
	v_sub_nc_u32_e32 v4, v4, v9
	v_lshrrev_b32_e32 v2, s59, v2
	s_delay_alu instid0(VALU_DEP_2) | instskip(SKIP_2) | instid1(VALU_DEP_4)
	v_mul_lo_u32 v9, v4, s52
	v_mul_lo_u32 v4, v4, s53
	v_sub_nc_u32_e32 v3, v3, v7
	v_mul_lo_u32 v10, v2, s57
	s_delay_alu instid0(VALU_DEP_2) | instskip(SKIP_1) | instid1(VALU_DEP_3)
	v_mul_lo_u32 v7, v3, s50
	v_mul_lo_u32 v3, v3, s51
	v_sub_nc_u32_e32 v5, v5, v10
	s_delay_alu instid0(VALU_DEP_3) | instskip(NEXT) | instid1(VALU_DEP_2)
	v_add3_u32 v0, v6, v0, v7
	v_mul_lo_u32 v10, v5, s54
	v_mul_lo_u32 v5, v5, s55
	v_add3_u32 v1, v8, v1, v3
	s_delay_alu instid0(VALU_DEP_3) | instskip(NEXT) | instid1(VALU_DEP_2)
	v_add3_u32 v0, v9, v0, v10
	v_add3_u32 v1, v4, v1, v5
	s_cbranch_scc0 .LBB343_169
	s_branch .LBB343_189
.LBB343_170:
	s_mov_b32 s36, -1
                                        ; implicit-def: $vgpr0
                                        ; implicit-def: $vgpr1
	s_branch .LBB343_192
.LBB343_171:
	v_dual_mov_b32 v2, v12 :: v_dual_mov_b32 v1, 0
.LBB343_172:
	s_and_b32 s38, s38, 3
	s_delay_alu instid0(SALU_CYCLE_1)
	s_cmp_eq_u32 s38, 0
	s_cbranch_scc1 .LBB343_175
; %bb.173:
	s_lshl_b32 s18, s37, 3
	s_mul_i32 s20, s37, 12
	s_add_u32 s18, s18, s0
	s_addc_u32 s19, s1, 0
	s_add_u32 s18, s18, 0xc4
	s_addc_u32 s19, s19, 0
	;; [unrolled: 2-line block ×3, first 2 shown]
	.p2align	6
.LBB343_174:                            ; =>This Inner Loop Header: Depth=1
	s_clause 0x1
	s_load_b64 s[40:41], s[20:21], 0x4
	s_load_b32 s37, s[20:21], 0xc
	s_load_b64 s[42:43], s[18:19], 0x0
	s_add_u32 s20, s20, 12
	s_addc_u32 s21, s21, 0
	s_add_u32 s18, s18, 8
	s_addc_u32 s19, s19, 0
	s_add_i32 s38, s38, -1
	s_delay_alu instid0(SALU_CYCLE_1) | instskip(SKIP_2) | instid1(VALU_DEP_1)
	s_cmp_lg_u32 s38, 0
	s_waitcnt lgkmcnt(0)
	v_mul_hi_u32 v3, s41, v2
	v_add_nc_u32_e32 v3, v2, v3
	s_delay_alu instid0(VALU_DEP_1) | instskip(NEXT) | instid1(VALU_DEP_1)
	v_lshrrev_b32_e32 v6, s37, v3
	v_mul_lo_u32 v3, v6, s40
	s_delay_alu instid0(VALU_DEP_1) | instskip(NEXT) | instid1(VALU_DEP_1)
	v_sub_nc_u32_e32 v2, v2, v3
	v_mad_u64_u32 v[3:4], null, v2, s42, v[0:1]
	v_mad_u64_u32 v[4:5], null, v2, s43, v[1:2]
	v_mov_b32_e32 v2, v6
	s_delay_alu instid0(VALU_DEP_2)
	v_dual_mov_b32 v0, v3 :: v_dual_mov_b32 v1, v4
	s_cbranch_scc1 .LBB343_174
.LBB343_175:
	s_and_not1_b32 vcc_lo, exec_lo, s36
	s_cbranch_vccnz .LBB343_178
; %bb.176:
	v_mul_hi_u32 v0, s13, v12
	s_and_not1_b32 vcc_lo, exec_lo, s30
	s_delay_alu instid0(VALU_DEP_1) | instskip(NEXT) | instid1(VALU_DEP_1)
	v_add_nc_u32_e32 v0, v12, v0
	v_lshrrev_b32_e32 v2, s14, v0
	s_delay_alu instid0(VALU_DEP_1) | instskip(NEXT) | instid1(VALU_DEP_1)
	v_mul_lo_u32 v0, v2, s12
	v_sub_nc_u32_e32 v1, v12, v0
	s_delay_alu instid0(VALU_DEP_1)
	v_mul_lo_u32 v0, v1, s8
	v_mul_lo_u32 v1, v1, s9
	s_cbranch_vccnz .LBB343_178
; %bb.177:
	v_mul_hi_u32 v3, s2, v2
	s_delay_alu instid0(VALU_DEP_1) | instskip(NEXT) | instid1(VALU_DEP_1)
	v_add_nc_u32_e32 v3, v2, v3
	v_lshrrev_b32_e32 v3, s3, v3
	s_delay_alu instid0(VALU_DEP_1) | instskip(NEXT) | instid1(VALU_DEP_1)
	v_mul_lo_u32 v3, v3, s15
	v_sub_nc_u32_e32 v5, v2, v3
	s_delay_alu instid0(VALU_DEP_1) | instskip(NEXT) | instid1(VALU_DEP_1)
	v_mad_u64_u32 v[2:3], null, v5, s10, v[0:1]
	v_mad_u64_u32 v[3:4], null, v5, s11, v[1:2]
	s_delay_alu instid0(VALU_DEP_1)
	v_dual_mov_b32 v0, v2 :: v_dual_mov_b32 v1, v3
.LBB343_178:
	global_load_u16 v1, v1, s[6:7]
	s_mov_b32 s18, exec_lo
	s_waitcnt vmcnt(0)
	v_lshlrev_b32_e32 v2, 16, v1
	s_delay_alu instid0(VALU_DEP_1)
	v_cmpx_o_f32_e32 v2, v2
; %bb.179:
	v_cmp_lt_f32_e32 vcc_lo, s29, v2
	v_cndmask_b32_e32 v1, s26, v1, vcc_lo
	s_delay_alu instid0(VALU_DEP_1) | instskip(NEXT) | instid1(VALU_DEP_1)
	v_lshlrev_b32_e32 v2, 16, v1
	v_cmp_gt_f32_e32 vcc_lo, s28, v2
	v_cndmask_b32_e32 v1, s27, v1, vcc_lo
; %bb.180:
	s_or_b32 exec_lo, exec_lo, s18
	v_add_nc_u32_e32 v12, 0x80, v12
	global_store_b16 v0, v1, s[4:5]
	s_or_b32 exec_lo, exec_lo, s35
	s_delay_alu instid0(SALU_CYCLE_1)
	s_mov_b32 s35, exec_lo
	v_cmpx_gt_i32_e64 s31, v12
	s_cbranch_execnz .LBB343_165
.LBB343_181:
	s_or_b32 exec_lo, exec_lo, s35
	s_delay_alu instid0(SALU_CYCLE_1)
	s_mov_b32 s35, exec_lo
	v_cmpx_gt_i32_e64 s31, v12
	s_cbranch_execz .LBB343_198
.LBB343_182:
	s_and_not1_b32 vcc_lo, exec_lo, s24
	s_cbranch_vccnz .LBB343_187
; %bb.183:
	v_dual_mov_b32 v0, 0 :: v_dual_mov_b32 v1, 0
	s_and_not1_b32 vcc_lo, exec_lo, s34
	s_mov_b32 s36, 0
	s_cbranch_vccnz .LBB343_209
; %bb.184:
	v_mov_b32_e32 v0, 0
	s_add_i32 s38, s33, 1
	s_cmp_eq_u32 s23, 2
	s_mov_b32 s37, 0
	s_cbranch_scc1 .LBB343_205
; %bb.185:
	v_dual_mov_b32 v1, 0 :: v_dual_mov_b32 v0, 0
	v_mov_b32_e32 v2, v12
	s_and_b32 s37, s38, 28
	s_mov_b32 s39, 0
	s_mov_b64 s[18:19], s[16:17]
	s_mov_b64 s[20:21], s[0:1]
.LBB343_186:                            ; =>This Inner Loop Header: Depth=1
	s_clause 0x1
	s_load_b256 s[40:47], s[20:21], 0x4
	s_load_b128 s[56:59], s[20:21], 0x24
	s_load_b256 s[48:55], s[18:19], 0x0
	s_add_u32 s20, s20, 48
	s_addc_u32 s21, s21, 0
	s_add_i32 s39, s39, 4
	s_add_u32 s18, s18, 32
	s_addc_u32 s19, s19, 0
	s_cmp_eq_u32 s37, s39
	s_waitcnt lgkmcnt(0)
	v_mul_hi_u32 v3, s41, v2
	s_delay_alu instid0(VALU_DEP_1) | instskip(NEXT) | instid1(VALU_DEP_1)
	v_add_nc_u32_e32 v3, v2, v3
	v_lshrrev_b32_e32 v3, s42, v3
	s_delay_alu instid0(VALU_DEP_1) | instskip(SKIP_1) | instid1(VALU_DEP_2)
	v_mul_hi_u32 v4, s44, v3
	v_mul_lo_u32 v6, v3, s40
	v_add_nc_u32_e32 v4, v3, v4
	s_delay_alu instid0(VALU_DEP_2) | instskip(NEXT) | instid1(VALU_DEP_2)
	v_sub_nc_u32_e32 v2, v2, v6
	v_lshrrev_b32_e32 v4, s45, v4
	s_delay_alu instid0(VALU_DEP_2) | instskip(SKIP_1) | instid1(VALU_DEP_3)
	v_mul_lo_u32 v6, v2, s48
	v_mul_lo_u32 v8, v2, s49
	v_mul_hi_u32 v5, s47, v4
	s_delay_alu instid0(VALU_DEP_1) | instskip(NEXT) | instid1(VALU_DEP_1)
	v_add_nc_u32_e32 v5, v4, v5
	v_lshrrev_b32_e32 v5, s56, v5
	s_delay_alu instid0(VALU_DEP_1) | instskip(SKIP_1) | instid1(VALU_DEP_2)
	v_mul_hi_u32 v7, s58, v5
	v_mul_lo_u32 v9, v5, s46
	v_add_nc_u32_e32 v2, v5, v7
	v_mul_lo_u32 v7, v4, s43
	s_delay_alu instid0(VALU_DEP_3) | instskip(NEXT) | instid1(VALU_DEP_3)
	v_sub_nc_u32_e32 v4, v4, v9
	v_lshrrev_b32_e32 v2, s59, v2
	s_delay_alu instid0(VALU_DEP_2) | instskip(SKIP_2) | instid1(VALU_DEP_4)
	v_mul_lo_u32 v9, v4, s52
	v_mul_lo_u32 v4, v4, s53
	v_sub_nc_u32_e32 v3, v3, v7
	v_mul_lo_u32 v10, v2, s57
	s_delay_alu instid0(VALU_DEP_2) | instskip(SKIP_1) | instid1(VALU_DEP_3)
	v_mul_lo_u32 v7, v3, s50
	v_mul_lo_u32 v3, v3, s51
	v_sub_nc_u32_e32 v5, v5, v10
	s_delay_alu instid0(VALU_DEP_3) | instskip(NEXT) | instid1(VALU_DEP_2)
	v_add3_u32 v0, v6, v0, v7
	v_mul_lo_u32 v10, v5, s54
	v_mul_lo_u32 v5, v5, s55
	v_add3_u32 v1, v8, v1, v3
	s_delay_alu instid0(VALU_DEP_3) | instskip(NEXT) | instid1(VALU_DEP_2)
	v_add3_u32 v0, v9, v0, v10
	v_add3_u32 v1, v4, v1, v5
	s_cbranch_scc0 .LBB343_186
	s_branch .LBB343_206
.LBB343_187:
	s_mov_b32 s36, -1
                                        ; implicit-def: $vgpr0
                                        ; implicit-def: $vgpr1
	s_branch .LBB343_209
.LBB343_188:
	v_dual_mov_b32 v2, v12 :: v_dual_mov_b32 v1, 0
.LBB343_189:
	s_and_b32 s38, s38, 3
	s_delay_alu instid0(SALU_CYCLE_1)
	s_cmp_eq_u32 s38, 0
	s_cbranch_scc1 .LBB343_192
; %bb.190:
	s_lshl_b32 s18, s37, 3
	s_mul_i32 s20, s37, 12
	s_add_u32 s18, s18, s0
	s_addc_u32 s19, s1, 0
	s_add_u32 s18, s18, 0xc4
	s_addc_u32 s19, s19, 0
	;; [unrolled: 2-line block ×3, first 2 shown]
	.p2align	6
.LBB343_191:                            ; =>This Inner Loop Header: Depth=1
	s_clause 0x1
	s_load_b64 s[40:41], s[20:21], 0x4
	s_load_b32 s37, s[20:21], 0xc
	s_load_b64 s[42:43], s[18:19], 0x0
	s_add_u32 s20, s20, 12
	s_addc_u32 s21, s21, 0
	s_add_u32 s18, s18, 8
	s_addc_u32 s19, s19, 0
	s_add_i32 s38, s38, -1
	s_delay_alu instid0(SALU_CYCLE_1) | instskip(SKIP_2) | instid1(VALU_DEP_1)
	s_cmp_lg_u32 s38, 0
	s_waitcnt lgkmcnt(0)
	v_mul_hi_u32 v3, s41, v2
	v_add_nc_u32_e32 v3, v2, v3
	s_delay_alu instid0(VALU_DEP_1) | instskip(NEXT) | instid1(VALU_DEP_1)
	v_lshrrev_b32_e32 v6, s37, v3
	v_mul_lo_u32 v3, v6, s40
	s_delay_alu instid0(VALU_DEP_1) | instskip(NEXT) | instid1(VALU_DEP_1)
	v_sub_nc_u32_e32 v2, v2, v3
	v_mad_u64_u32 v[3:4], null, v2, s42, v[0:1]
	v_mad_u64_u32 v[4:5], null, v2, s43, v[1:2]
	v_mov_b32_e32 v2, v6
	s_delay_alu instid0(VALU_DEP_2)
	v_dual_mov_b32 v0, v3 :: v_dual_mov_b32 v1, v4
	s_cbranch_scc1 .LBB343_191
.LBB343_192:
	s_and_not1_b32 vcc_lo, exec_lo, s36
	s_cbranch_vccnz .LBB343_195
; %bb.193:
	v_mul_hi_u32 v0, s13, v12
	s_and_not1_b32 vcc_lo, exec_lo, s30
	s_delay_alu instid0(VALU_DEP_1) | instskip(NEXT) | instid1(VALU_DEP_1)
	v_add_nc_u32_e32 v0, v12, v0
	v_lshrrev_b32_e32 v2, s14, v0
	s_delay_alu instid0(VALU_DEP_1) | instskip(NEXT) | instid1(VALU_DEP_1)
	v_mul_lo_u32 v0, v2, s12
	v_sub_nc_u32_e32 v1, v12, v0
	s_delay_alu instid0(VALU_DEP_1)
	v_mul_lo_u32 v0, v1, s8
	v_mul_lo_u32 v1, v1, s9
	s_cbranch_vccnz .LBB343_195
; %bb.194:
	v_mul_hi_u32 v3, s2, v2
	s_delay_alu instid0(VALU_DEP_1) | instskip(NEXT) | instid1(VALU_DEP_1)
	v_add_nc_u32_e32 v3, v2, v3
	v_lshrrev_b32_e32 v3, s3, v3
	s_delay_alu instid0(VALU_DEP_1) | instskip(NEXT) | instid1(VALU_DEP_1)
	v_mul_lo_u32 v3, v3, s15
	v_sub_nc_u32_e32 v5, v2, v3
	s_delay_alu instid0(VALU_DEP_1) | instskip(NEXT) | instid1(VALU_DEP_1)
	v_mad_u64_u32 v[2:3], null, v5, s10, v[0:1]
	v_mad_u64_u32 v[3:4], null, v5, s11, v[1:2]
	s_delay_alu instid0(VALU_DEP_1)
	v_dual_mov_b32 v0, v2 :: v_dual_mov_b32 v1, v3
.LBB343_195:
	global_load_u16 v1, v1, s[6:7]
	s_mov_b32 s18, exec_lo
	s_waitcnt vmcnt(0)
	v_lshlrev_b32_e32 v2, 16, v1
	s_delay_alu instid0(VALU_DEP_1)
	v_cmpx_o_f32_e32 v2, v2
; %bb.196:
	v_cmp_lt_f32_e32 vcc_lo, s29, v2
	v_cndmask_b32_e32 v1, s26, v1, vcc_lo
	s_delay_alu instid0(VALU_DEP_1) | instskip(NEXT) | instid1(VALU_DEP_1)
	v_lshlrev_b32_e32 v2, 16, v1
	v_cmp_gt_f32_e32 vcc_lo, s28, v2
	v_cndmask_b32_e32 v1, s27, v1, vcc_lo
; %bb.197:
	s_or_b32 exec_lo, exec_lo, s18
	v_add_nc_u32_e32 v12, 0x80, v12
	global_store_b16 v0, v1, s[4:5]
	s_or_b32 exec_lo, exec_lo, s35
	s_delay_alu instid0(SALU_CYCLE_1)
	s_mov_b32 s35, exec_lo
	v_cmpx_gt_i32_e64 s31, v12
	s_cbranch_execnz .LBB343_182
.LBB343_198:
	s_or_b32 exec_lo, exec_lo, s35
	s_delay_alu instid0(SALU_CYCLE_1)
	s_mov_b32 s35, exec_lo
	v_cmpx_gt_i32_e64 s31, v12
	s_cbranch_execz .LBB343_215
.LBB343_199:
	s_and_not1_b32 vcc_lo, exec_lo, s24
	s_cbranch_vccnz .LBB343_204
; %bb.200:
	v_dual_mov_b32 v0, 0 :: v_dual_mov_b32 v1, 0
	s_and_not1_b32 vcc_lo, exec_lo, s34
	s_mov_b32 s36, 0
	s_cbranch_vccnz .LBB343_226
; %bb.201:
	v_mov_b32_e32 v0, 0
	s_add_i32 s38, s33, 1
	s_cmp_eq_u32 s23, 2
	s_mov_b32 s37, 0
	s_cbranch_scc1 .LBB343_222
; %bb.202:
	v_dual_mov_b32 v1, 0 :: v_dual_mov_b32 v0, 0
	v_mov_b32_e32 v2, v12
	s_and_b32 s37, s38, 28
	s_mov_b32 s39, 0
	s_mov_b64 s[18:19], s[16:17]
	s_mov_b64 s[20:21], s[0:1]
.LBB343_203:                            ; =>This Inner Loop Header: Depth=1
	s_clause 0x1
	s_load_b256 s[40:47], s[20:21], 0x4
	s_load_b128 s[56:59], s[20:21], 0x24
	s_load_b256 s[48:55], s[18:19], 0x0
	s_add_u32 s20, s20, 48
	s_addc_u32 s21, s21, 0
	s_add_i32 s39, s39, 4
	s_add_u32 s18, s18, 32
	s_addc_u32 s19, s19, 0
	s_cmp_eq_u32 s37, s39
	s_waitcnt lgkmcnt(0)
	v_mul_hi_u32 v3, s41, v2
	s_delay_alu instid0(VALU_DEP_1) | instskip(NEXT) | instid1(VALU_DEP_1)
	v_add_nc_u32_e32 v3, v2, v3
	v_lshrrev_b32_e32 v3, s42, v3
	s_delay_alu instid0(VALU_DEP_1) | instskip(SKIP_1) | instid1(VALU_DEP_2)
	v_mul_hi_u32 v4, s44, v3
	v_mul_lo_u32 v6, v3, s40
	v_add_nc_u32_e32 v4, v3, v4
	s_delay_alu instid0(VALU_DEP_2) | instskip(NEXT) | instid1(VALU_DEP_2)
	v_sub_nc_u32_e32 v2, v2, v6
	v_lshrrev_b32_e32 v4, s45, v4
	s_delay_alu instid0(VALU_DEP_2) | instskip(SKIP_1) | instid1(VALU_DEP_3)
	v_mul_lo_u32 v6, v2, s48
	v_mul_lo_u32 v8, v2, s49
	v_mul_hi_u32 v5, s47, v4
	s_delay_alu instid0(VALU_DEP_1) | instskip(NEXT) | instid1(VALU_DEP_1)
	v_add_nc_u32_e32 v5, v4, v5
	v_lshrrev_b32_e32 v5, s56, v5
	s_delay_alu instid0(VALU_DEP_1) | instskip(SKIP_1) | instid1(VALU_DEP_2)
	v_mul_hi_u32 v7, s58, v5
	v_mul_lo_u32 v9, v5, s46
	v_add_nc_u32_e32 v2, v5, v7
	v_mul_lo_u32 v7, v4, s43
	s_delay_alu instid0(VALU_DEP_3) | instskip(NEXT) | instid1(VALU_DEP_3)
	v_sub_nc_u32_e32 v4, v4, v9
	v_lshrrev_b32_e32 v2, s59, v2
	s_delay_alu instid0(VALU_DEP_2) | instskip(SKIP_2) | instid1(VALU_DEP_4)
	v_mul_lo_u32 v9, v4, s52
	v_mul_lo_u32 v4, v4, s53
	v_sub_nc_u32_e32 v3, v3, v7
	v_mul_lo_u32 v10, v2, s57
	s_delay_alu instid0(VALU_DEP_2) | instskip(SKIP_1) | instid1(VALU_DEP_3)
	v_mul_lo_u32 v7, v3, s50
	v_mul_lo_u32 v3, v3, s51
	v_sub_nc_u32_e32 v5, v5, v10
	s_delay_alu instid0(VALU_DEP_3) | instskip(NEXT) | instid1(VALU_DEP_2)
	v_add3_u32 v0, v6, v0, v7
	v_mul_lo_u32 v10, v5, s54
	v_mul_lo_u32 v5, v5, s55
	v_add3_u32 v1, v8, v1, v3
	s_delay_alu instid0(VALU_DEP_3) | instskip(NEXT) | instid1(VALU_DEP_2)
	v_add3_u32 v0, v9, v0, v10
	v_add3_u32 v1, v4, v1, v5
	s_cbranch_scc0 .LBB343_203
	s_branch .LBB343_223
.LBB343_204:
	s_mov_b32 s36, -1
                                        ; implicit-def: $vgpr0
                                        ; implicit-def: $vgpr1
	s_branch .LBB343_226
.LBB343_205:
	v_dual_mov_b32 v2, v12 :: v_dual_mov_b32 v1, 0
.LBB343_206:
	s_and_b32 s38, s38, 3
	s_delay_alu instid0(SALU_CYCLE_1)
	s_cmp_eq_u32 s38, 0
	s_cbranch_scc1 .LBB343_209
; %bb.207:
	s_lshl_b32 s18, s37, 3
	s_mul_i32 s20, s37, 12
	s_add_u32 s18, s18, s0
	s_addc_u32 s19, s1, 0
	s_add_u32 s18, s18, 0xc4
	s_addc_u32 s19, s19, 0
	;; [unrolled: 2-line block ×3, first 2 shown]
	.p2align	6
.LBB343_208:                            ; =>This Inner Loop Header: Depth=1
	s_clause 0x1
	s_load_b64 s[40:41], s[20:21], 0x4
	s_load_b32 s37, s[20:21], 0xc
	s_load_b64 s[42:43], s[18:19], 0x0
	s_add_u32 s20, s20, 12
	s_addc_u32 s21, s21, 0
	s_add_u32 s18, s18, 8
	s_addc_u32 s19, s19, 0
	s_add_i32 s38, s38, -1
	s_delay_alu instid0(SALU_CYCLE_1) | instskip(SKIP_2) | instid1(VALU_DEP_1)
	s_cmp_lg_u32 s38, 0
	s_waitcnt lgkmcnt(0)
	v_mul_hi_u32 v3, s41, v2
	v_add_nc_u32_e32 v3, v2, v3
	s_delay_alu instid0(VALU_DEP_1) | instskip(NEXT) | instid1(VALU_DEP_1)
	v_lshrrev_b32_e32 v6, s37, v3
	v_mul_lo_u32 v3, v6, s40
	s_delay_alu instid0(VALU_DEP_1) | instskip(NEXT) | instid1(VALU_DEP_1)
	v_sub_nc_u32_e32 v2, v2, v3
	v_mad_u64_u32 v[3:4], null, v2, s42, v[0:1]
	v_mad_u64_u32 v[4:5], null, v2, s43, v[1:2]
	v_mov_b32_e32 v2, v6
	s_delay_alu instid0(VALU_DEP_2)
	v_dual_mov_b32 v0, v3 :: v_dual_mov_b32 v1, v4
	s_cbranch_scc1 .LBB343_208
.LBB343_209:
	s_and_not1_b32 vcc_lo, exec_lo, s36
	s_cbranch_vccnz .LBB343_212
; %bb.210:
	v_mul_hi_u32 v0, s13, v12
	s_and_not1_b32 vcc_lo, exec_lo, s30
	s_delay_alu instid0(VALU_DEP_1) | instskip(NEXT) | instid1(VALU_DEP_1)
	v_add_nc_u32_e32 v0, v12, v0
	v_lshrrev_b32_e32 v2, s14, v0
	s_delay_alu instid0(VALU_DEP_1) | instskip(NEXT) | instid1(VALU_DEP_1)
	v_mul_lo_u32 v0, v2, s12
	v_sub_nc_u32_e32 v1, v12, v0
	s_delay_alu instid0(VALU_DEP_1)
	v_mul_lo_u32 v0, v1, s8
	v_mul_lo_u32 v1, v1, s9
	s_cbranch_vccnz .LBB343_212
; %bb.211:
	v_mul_hi_u32 v3, s2, v2
	s_delay_alu instid0(VALU_DEP_1) | instskip(NEXT) | instid1(VALU_DEP_1)
	v_add_nc_u32_e32 v3, v2, v3
	v_lshrrev_b32_e32 v3, s3, v3
	s_delay_alu instid0(VALU_DEP_1) | instskip(NEXT) | instid1(VALU_DEP_1)
	v_mul_lo_u32 v3, v3, s15
	v_sub_nc_u32_e32 v5, v2, v3
	s_delay_alu instid0(VALU_DEP_1) | instskip(NEXT) | instid1(VALU_DEP_1)
	v_mad_u64_u32 v[2:3], null, v5, s10, v[0:1]
	v_mad_u64_u32 v[3:4], null, v5, s11, v[1:2]
	s_delay_alu instid0(VALU_DEP_1)
	v_dual_mov_b32 v0, v2 :: v_dual_mov_b32 v1, v3
.LBB343_212:
	global_load_u16 v1, v1, s[6:7]
	s_mov_b32 s18, exec_lo
	s_waitcnt vmcnt(0)
	v_lshlrev_b32_e32 v2, 16, v1
	s_delay_alu instid0(VALU_DEP_1)
	v_cmpx_o_f32_e32 v2, v2
; %bb.213:
	v_cmp_lt_f32_e32 vcc_lo, s29, v2
	v_cndmask_b32_e32 v1, s26, v1, vcc_lo
	s_delay_alu instid0(VALU_DEP_1) | instskip(NEXT) | instid1(VALU_DEP_1)
	v_lshlrev_b32_e32 v2, 16, v1
	v_cmp_gt_f32_e32 vcc_lo, s28, v2
	v_cndmask_b32_e32 v1, s27, v1, vcc_lo
; %bb.214:
	s_or_b32 exec_lo, exec_lo, s18
	v_add_nc_u32_e32 v12, 0x80, v12
	global_store_b16 v0, v1, s[4:5]
	s_or_b32 exec_lo, exec_lo, s35
	s_delay_alu instid0(SALU_CYCLE_1)
	s_mov_b32 s35, exec_lo
	v_cmpx_gt_i32_e64 s31, v12
	s_cbranch_execnz .LBB343_199
.LBB343_215:
	s_or_b32 exec_lo, exec_lo, s35
	s_delay_alu instid0(SALU_CYCLE_1)
	s_mov_b32 s35, exec_lo
	v_cmpx_gt_i32_e64 s31, v12
	s_cbranch_execz .LBB343_232
.LBB343_216:
	s_and_not1_b32 vcc_lo, exec_lo, s24
	s_cbranch_vccnz .LBB343_221
; %bb.217:
	v_dual_mov_b32 v0, 0 :: v_dual_mov_b32 v1, 0
	s_and_not1_b32 vcc_lo, exec_lo, s34
	s_mov_b32 s36, 0
	s_cbranch_vccnz .LBB343_239
; %bb.218:
	v_mov_b32_e32 v0, 0
	s_add_i32 s38, s33, 1
	s_cmp_eq_u32 s23, 2
	s_mov_b32 s37, 0
	s_cbranch_scc1 .LBB343_235
; %bb.219:
	v_dual_mov_b32 v1, 0 :: v_dual_mov_b32 v0, 0
	v_mov_b32_e32 v2, v12
	s_and_b32 s37, s38, 28
	s_mov_b32 s39, 0
	s_mov_b64 s[18:19], s[16:17]
	s_mov_b64 s[20:21], s[0:1]
.LBB343_220:                            ; =>This Inner Loop Header: Depth=1
	s_clause 0x1
	s_load_b256 s[40:47], s[20:21], 0x4
	s_load_b128 s[56:59], s[20:21], 0x24
	s_load_b256 s[48:55], s[18:19], 0x0
	s_add_u32 s20, s20, 48
	s_addc_u32 s21, s21, 0
	s_add_i32 s39, s39, 4
	s_add_u32 s18, s18, 32
	s_addc_u32 s19, s19, 0
	s_cmp_eq_u32 s37, s39
	s_waitcnt lgkmcnt(0)
	v_mul_hi_u32 v3, s41, v2
	s_delay_alu instid0(VALU_DEP_1) | instskip(NEXT) | instid1(VALU_DEP_1)
	v_add_nc_u32_e32 v3, v2, v3
	v_lshrrev_b32_e32 v3, s42, v3
	s_delay_alu instid0(VALU_DEP_1) | instskip(SKIP_1) | instid1(VALU_DEP_2)
	v_mul_hi_u32 v4, s44, v3
	v_mul_lo_u32 v6, v3, s40
	v_add_nc_u32_e32 v4, v3, v4
	s_delay_alu instid0(VALU_DEP_2) | instskip(NEXT) | instid1(VALU_DEP_2)
	v_sub_nc_u32_e32 v2, v2, v6
	v_lshrrev_b32_e32 v4, s45, v4
	s_delay_alu instid0(VALU_DEP_2) | instskip(SKIP_1) | instid1(VALU_DEP_3)
	v_mul_lo_u32 v6, v2, s48
	v_mul_lo_u32 v8, v2, s49
	v_mul_hi_u32 v5, s47, v4
	s_delay_alu instid0(VALU_DEP_1) | instskip(NEXT) | instid1(VALU_DEP_1)
	v_add_nc_u32_e32 v5, v4, v5
	v_lshrrev_b32_e32 v5, s56, v5
	s_delay_alu instid0(VALU_DEP_1) | instskip(SKIP_1) | instid1(VALU_DEP_2)
	v_mul_hi_u32 v7, s58, v5
	v_mul_lo_u32 v9, v5, s46
	v_add_nc_u32_e32 v2, v5, v7
	v_mul_lo_u32 v7, v4, s43
	s_delay_alu instid0(VALU_DEP_3) | instskip(NEXT) | instid1(VALU_DEP_3)
	v_sub_nc_u32_e32 v4, v4, v9
	v_lshrrev_b32_e32 v2, s59, v2
	s_delay_alu instid0(VALU_DEP_2) | instskip(SKIP_2) | instid1(VALU_DEP_4)
	v_mul_lo_u32 v9, v4, s52
	v_mul_lo_u32 v4, v4, s53
	v_sub_nc_u32_e32 v3, v3, v7
	v_mul_lo_u32 v10, v2, s57
	s_delay_alu instid0(VALU_DEP_2) | instskip(SKIP_1) | instid1(VALU_DEP_3)
	v_mul_lo_u32 v7, v3, s50
	v_mul_lo_u32 v3, v3, s51
	v_sub_nc_u32_e32 v5, v5, v10
	s_delay_alu instid0(VALU_DEP_3) | instskip(NEXT) | instid1(VALU_DEP_2)
	v_add3_u32 v0, v6, v0, v7
	v_mul_lo_u32 v10, v5, s54
	v_mul_lo_u32 v5, v5, s55
	v_add3_u32 v1, v8, v1, v3
	s_delay_alu instid0(VALU_DEP_3) | instskip(NEXT) | instid1(VALU_DEP_2)
	v_add3_u32 v0, v9, v0, v10
	v_add3_u32 v1, v4, v1, v5
	s_cbranch_scc0 .LBB343_220
	s_branch .LBB343_236
.LBB343_221:
	s_mov_b32 s36, -1
                                        ; implicit-def: $vgpr0
                                        ; implicit-def: $vgpr1
	s_branch .LBB343_239
.LBB343_222:
	v_dual_mov_b32 v2, v12 :: v_dual_mov_b32 v1, 0
.LBB343_223:
	s_and_b32 s38, s38, 3
	s_delay_alu instid0(SALU_CYCLE_1)
	s_cmp_eq_u32 s38, 0
	s_cbranch_scc1 .LBB343_226
; %bb.224:
	s_lshl_b32 s18, s37, 3
	s_mul_i32 s20, s37, 12
	s_add_u32 s18, s18, s0
	s_addc_u32 s19, s1, 0
	s_add_u32 s18, s18, 0xc4
	s_addc_u32 s19, s19, 0
	;; [unrolled: 2-line block ×3, first 2 shown]
	.p2align	6
.LBB343_225:                            ; =>This Inner Loop Header: Depth=1
	s_clause 0x1
	s_load_b64 s[40:41], s[20:21], 0x4
	s_load_b32 s37, s[20:21], 0xc
	s_load_b64 s[42:43], s[18:19], 0x0
	s_add_u32 s20, s20, 12
	s_addc_u32 s21, s21, 0
	s_add_u32 s18, s18, 8
	s_addc_u32 s19, s19, 0
	s_add_i32 s38, s38, -1
	s_delay_alu instid0(SALU_CYCLE_1) | instskip(SKIP_2) | instid1(VALU_DEP_1)
	s_cmp_lg_u32 s38, 0
	s_waitcnt lgkmcnt(0)
	v_mul_hi_u32 v3, s41, v2
	v_add_nc_u32_e32 v3, v2, v3
	s_delay_alu instid0(VALU_DEP_1) | instskip(NEXT) | instid1(VALU_DEP_1)
	v_lshrrev_b32_e32 v6, s37, v3
	v_mul_lo_u32 v3, v6, s40
	s_delay_alu instid0(VALU_DEP_1) | instskip(NEXT) | instid1(VALU_DEP_1)
	v_sub_nc_u32_e32 v2, v2, v3
	v_mad_u64_u32 v[3:4], null, v2, s42, v[0:1]
	v_mad_u64_u32 v[4:5], null, v2, s43, v[1:2]
	v_mov_b32_e32 v2, v6
	s_delay_alu instid0(VALU_DEP_2)
	v_dual_mov_b32 v0, v3 :: v_dual_mov_b32 v1, v4
	s_cbranch_scc1 .LBB343_225
.LBB343_226:
	s_and_not1_b32 vcc_lo, exec_lo, s36
	s_cbranch_vccnz .LBB343_229
; %bb.227:
	v_mul_hi_u32 v0, s13, v12
	s_and_not1_b32 vcc_lo, exec_lo, s30
	s_delay_alu instid0(VALU_DEP_1) | instskip(NEXT) | instid1(VALU_DEP_1)
	v_add_nc_u32_e32 v0, v12, v0
	v_lshrrev_b32_e32 v2, s14, v0
	s_delay_alu instid0(VALU_DEP_1) | instskip(NEXT) | instid1(VALU_DEP_1)
	v_mul_lo_u32 v0, v2, s12
	v_sub_nc_u32_e32 v1, v12, v0
	s_delay_alu instid0(VALU_DEP_1)
	v_mul_lo_u32 v0, v1, s8
	v_mul_lo_u32 v1, v1, s9
	s_cbranch_vccnz .LBB343_229
; %bb.228:
	v_mul_hi_u32 v3, s2, v2
	s_delay_alu instid0(VALU_DEP_1) | instskip(NEXT) | instid1(VALU_DEP_1)
	v_add_nc_u32_e32 v3, v2, v3
	v_lshrrev_b32_e32 v3, s3, v3
	s_delay_alu instid0(VALU_DEP_1) | instskip(NEXT) | instid1(VALU_DEP_1)
	v_mul_lo_u32 v3, v3, s15
	v_sub_nc_u32_e32 v5, v2, v3
	s_delay_alu instid0(VALU_DEP_1) | instskip(NEXT) | instid1(VALU_DEP_1)
	v_mad_u64_u32 v[2:3], null, v5, s10, v[0:1]
	v_mad_u64_u32 v[3:4], null, v5, s11, v[1:2]
	s_delay_alu instid0(VALU_DEP_1)
	v_dual_mov_b32 v0, v2 :: v_dual_mov_b32 v1, v3
.LBB343_229:
	global_load_u16 v1, v1, s[6:7]
	s_mov_b32 s18, exec_lo
	s_waitcnt vmcnt(0)
	v_lshlrev_b32_e32 v2, 16, v1
	s_delay_alu instid0(VALU_DEP_1)
	v_cmpx_o_f32_e32 v2, v2
; %bb.230:
	v_cmp_lt_f32_e32 vcc_lo, s29, v2
	v_cndmask_b32_e32 v1, s26, v1, vcc_lo
	s_delay_alu instid0(VALU_DEP_1) | instskip(NEXT) | instid1(VALU_DEP_1)
	v_lshlrev_b32_e32 v2, 16, v1
	v_cmp_gt_f32_e32 vcc_lo, s28, v2
	v_cndmask_b32_e32 v1, s27, v1, vcc_lo
; %bb.231:
	s_or_b32 exec_lo, exec_lo, s18
	v_add_nc_u32_e32 v12, 0x80, v12
	global_store_b16 v0, v1, s[4:5]
	s_or_b32 exec_lo, exec_lo, s35
	s_delay_alu instid0(SALU_CYCLE_1)
	s_mov_b32 s35, exec_lo
	v_cmpx_gt_i32_e64 s31, v12
	s_cbranch_execnz .LBB343_216
.LBB343_232:
	s_or_b32 exec_lo, exec_lo, s35
	s_delay_alu instid0(SALU_CYCLE_1)
	s_mov_b32 s20, exec_lo
	v_cmpx_gt_i32_e64 s31, v12
	s_cbranch_execnz .LBB343_245
.LBB343_233:
	s_or_b32 exec_lo, exec_lo, s20
                                        ; implicit-def: $vgpr16
                                        ; implicit-def: $vgpr12
	s_and_not1_saveexec_b32 s2, s25
	s_cbranch_execnz .LBB343_8
.LBB343_234:
	s_nop 0
	s_sendmsg sendmsg(MSG_DEALLOC_VGPRS)
	s_endpgm
.LBB343_235:
	v_dual_mov_b32 v2, v12 :: v_dual_mov_b32 v1, 0
.LBB343_236:
	s_and_b32 s38, s38, 3
	s_delay_alu instid0(SALU_CYCLE_1)
	s_cmp_eq_u32 s38, 0
	s_cbranch_scc1 .LBB343_239
; %bb.237:
	s_lshl_b32 s18, s37, 3
	s_mul_i32 s20, s37, 12
	s_add_u32 s18, s18, s0
	s_addc_u32 s19, s1, 0
	s_add_u32 s18, s18, 0xc4
	s_addc_u32 s19, s19, 0
	;; [unrolled: 2-line block ×3, first 2 shown]
	.p2align	6
.LBB343_238:                            ; =>This Inner Loop Header: Depth=1
	s_clause 0x1
	s_load_b64 s[40:41], s[20:21], 0x4
	s_load_b32 s37, s[20:21], 0xc
	s_load_b64 s[42:43], s[18:19], 0x0
	s_add_u32 s20, s20, 12
	s_addc_u32 s21, s21, 0
	s_add_u32 s18, s18, 8
	s_addc_u32 s19, s19, 0
	s_add_i32 s38, s38, -1
	s_delay_alu instid0(SALU_CYCLE_1) | instskip(SKIP_2) | instid1(VALU_DEP_1)
	s_cmp_lg_u32 s38, 0
	s_waitcnt lgkmcnt(0)
	v_mul_hi_u32 v3, s41, v2
	v_add_nc_u32_e32 v3, v2, v3
	s_delay_alu instid0(VALU_DEP_1) | instskip(NEXT) | instid1(VALU_DEP_1)
	v_lshrrev_b32_e32 v6, s37, v3
	v_mul_lo_u32 v3, v6, s40
	s_delay_alu instid0(VALU_DEP_1) | instskip(NEXT) | instid1(VALU_DEP_1)
	v_sub_nc_u32_e32 v2, v2, v3
	v_mad_u64_u32 v[3:4], null, v2, s42, v[0:1]
	v_mad_u64_u32 v[4:5], null, v2, s43, v[1:2]
	v_mov_b32_e32 v2, v6
	s_delay_alu instid0(VALU_DEP_2)
	v_dual_mov_b32 v0, v3 :: v_dual_mov_b32 v1, v4
	s_cbranch_scc1 .LBB343_238
.LBB343_239:
	s_and_not1_b32 vcc_lo, exec_lo, s36
	s_cbranch_vccnz .LBB343_242
; %bb.240:
	v_mul_hi_u32 v0, s13, v12
	s_and_not1_b32 vcc_lo, exec_lo, s30
	s_delay_alu instid0(VALU_DEP_1) | instskip(NEXT) | instid1(VALU_DEP_1)
	v_add_nc_u32_e32 v0, v12, v0
	v_lshrrev_b32_e32 v2, s14, v0
	s_delay_alu instid0(VALU_DEP_1) | instskip(NEXT) | instid1(VALU_DEP_1)
	v_mul_lo_u32 v0, v2, s12
	v_sub_nc_u32_e32 v1, v12, v0
	s_delay_alu instid0(VALU_DEP_1)
	v_mul_lo_u32 v0, v1, s8
	v_mul_lo_u32 v1, v1, s9
	s_cbranch_vccnz .LBB343_242
; %bb.241:
	v_mul_hi_u32 v3, s2, v2
	s_delay_alu instid0(VALU_DEP_1) | instskip(NEXT) | instid1(VALU_DEP_1)
	v_add_nc_u32_e32 v3, v2, v3
	v_lshrrev_b32_e32 v3, s3, v3
	s_delay_alu instid0(VALU_DEP_1) | instskip(NEXT) | instid1(VALU_DEP_1)
	v_mul_lo_u32 v3, v3, s15
	v_sub_nc_u32_e32 v5, v2, v3
	s_delay_alu instid0(VALU_DEP_1) | instskip(NEXT) | instid1(VALU_DEP_1)
	v_mad_u64_u32 v[2:3], null, v5, s10, v[0:1]
	v_mad_u64_u32 v[3:4], null, v5, s11, v[1:2]
	s_delay_alu instid0(VALU_DEP_1)
	v_dual_mov_b32 v0, v2 :: v_dual_mov_b32 v1, v3
.LBB343_242:
	global_load_u16 v1, v1, s[6:7]
	s_mov_b32 s18, exec_lo
	s_waitcnt vmcnt(0)
	v_lshlrev_b32_e32 v2, 16, v1
	s_delay_alu instid0(VALU_DEP_1)
	v_cmpx_o_f32_e32 v2, v2
; %bb.243:
	v_cmp_lt_f32_e32 vcc_lo, s29, v2
	v_cndmask_b32_e32 v1, s26, v1, vcc_lo
	s_delay_alu instid0(VALU_DEP_1) | instskip(NEXT) | instid1(VALU_DEP_1)
	v_lshlrev_b32_e32 v2, 16, v1
	v_cmp_gt_f32_e32 vcc_lo, s28, v2
	v_cndmask_b32_e32 v1, s27, v1, vcc_lo
; %bb.244:
	s_or_b32 exec_lo, exec_lo, s18
	v_add_nc_u32_e32 v12, 0x80, v12
	global_store_b16 v0, v1, s[4:5]
	s_or_b32 exec_lo, exec_lo, s35
	s_delay_alu instid0(SALU_CYCLE_1)
	s_mov_b32 s20, exec_lo
	v_cmpx_gt_i32_e64 s31, v12
	s_cbranch_execz .LBB343_233
.LBB343_245:
	s_and_not1_b32 vcc_lo, exec_lo, s24
	s_cbranch_vccnz .LBB343_250
; %bb.246:
	v_dual_mov_b32 v0, 0 :: v_dual_mov_b32 v1, 0
	s_and_not1_b32 vcc_lo, exec_lo, s34
	s_mov_b32 s21, 0
	s_cbranch_vccnz .LBB343_255
; %bb.247:
	v_mov_b32_e32 v0, 0
	s_add_i32 s33, s33, 1
	s_cmp_eq_u32 s23, 2
	s_mov_b32 s31, 0
	s_cbranch_scc1 .LBB343_251
; %bb.248:
	v_dual_mov_b32 v1, 0 :: v_dual_mov_b32 v0, 0
	v_mov_b32_e32 v2, v12
	s_and_b32 s31, s33, 28
	s_mov_b32 s34, 0
	s_mov_b64 s[18:19], s[0:1]
.LBB343_249:                            ; =>This Inner Loop Header: Depth=1
	s_clause 0x1
	s_load_b256 s[36:43], s[18:19], 0x4
	s_load_b128 s[52:55], s[18:19], 0x24
	s_load_b256 s[44:51], s[16:17], 0x0
	s_add_u32 s18, s18, 48
	s_addc_u32 s19, s19, 0
	s_add_i32 s34, s34, 4
	s_add_u32 s16, s16, 32
	s_addc_u32 s17, s17, 0
	s_cmp_eq_u32 s31, s34
	s_waitcnt lgkmcnt(0)
	v_mul_hi_u32 v3, s37, v2
	s_delay_alu instid0(VALU_DEP_1) | instskip(NEXT) | instid1(VALU_DEP_1)
	v_add_nc_u32_e32 v3, v2, v3
	v_lshrrev_b32_e32 v3, s38, v3
	s_delay_alu instid0(VALU_DEP_1) | instskip(SKIP_1) | instid1(VALU_DEP_2)
	v_mul_hi_u32 v4, s40, v3
	v_mul_lo_u32 v6, v3, s36
	v_add_nc_u32_e32 v4, v3, v4
	s_delay_alu instid0(VALU_DEP_2) | instskip(NEXT) | instid1(VALU_DEP_2)
	v_sub_nc_u32_e32 v2, v2, v6
	v_lshrrev_b32_e32 v4, s41, v4
	s_delay_alu instid0(VALU_DEP_2) | instskip(SKIP_1) | instid1(VALU_DEP_3)
	v_mul_lo_u32 v6, v2, s44
	v_mul_lo_u32 v8, v2, s45
	v_mul_hi_u32 v5, s43, v4
	s_delay_alu instid0(VALU_DEP_1) | instskip(NEXT) | instid1(VALU_DEP_1)
	v_add_nc_u32_e32 v5, v4, v5
	v_lshrrev_b32_e32 v5, s52, v5
	s_delay_alu instid0(VALU_DEP_1) | instskip(SKIP_1) | instid1(VALU_DEP_2)
	v_mul_hi_u32 v7, s54, v5
	v_mul_lo_u32 v9, v5, s42
	v_add_nc_u32_e32 v2, v5, v7
	v_mul_lo_u32 v7, v4, s39
	s_delay_alu instid0(VALU_DEP_3) | instskip(NEXT) | instid1(VALU_DEP_3)
	v_sub_nc_u32_e32 v4, v4, v9
	v_lshrrev_b32_e32 v2, s55, v2
	s_delay_alu instid0(VALU_DEP_2) | instskip(SKIP_2) | instid1(VALU_DEP_4)
	v_mul_lo_u32 v9, v4, s48
	v_mul_lo_u32 v4, v4, s49
	v_sub_nc_u32_e32 v3, v3, v7
	v_mul_lo_u32 v10, v2, s53
	s_delay_alu instid0(VALU_DEP_2) | instskip(SKIP_1) | instid1(VALU_DEP_3)
	v_mul_lo_u32 v7, v3, s46
	v_mul_lo_u32 v3, v3, s47
	v_sub_nc_u32_e32 v5, v5, v10
	s_delay_alu instid0(VALU_DEP_3) | instskip(NEXT) | instid1(VALU_DEP_2)
	v_add3_u32 v0, v6, v0, v7
	v_mul_lo_u32 v10, v5, s50
	v_mul_lo_u32 v5, v5, s51
	v_add3_u32 v1, v8, v1, v3
	s_delay_alu instid0(VALU_DEP_3) | instskip(NEXT) | instid1(VALU_DEP_2)
	v_add3_u32 v0, v9, v0, v10
	v_add3_u32 v1, v4, v1, v5
	s_cbranch_scc0 .LBB343_249
	s_branch .LBB343_252
.LBB343_250:
	s_mov_b32 s21, -1
                                        ; implicit-def: $vgpr0
                                        ; implicit-def: $vgpr1
	s_branch .LBB343_255
.LBB343_251:
	v_dual_mov_b32 v2, v12 :: v_dual_mov_b32 v1, 0
.LBB343_252:
	s_and_b32 s33, s33, 3
	s_delay_alu instid0(SALU_CYCLE_1)
	s_cmp_eq_u32 s33, 0
	s_cbranch_scc1 .LBB343_255
; %bb.253:
	s_lshl_b32 s16, s31, 3
	s_mul_i32 s18, s31, 12
	s_add_u32 s16, s16, s0
	s_addc_u32 s17, s1, 0
	s_add_u32 s16, s16, 0xc4
	s_addc_u32 s17, s17, 0
	;; [unrolled: 2-line block ×3, first 2 shown]
	.p2align	6
.LBB343_254:                            ; =>This Inner Loop Header: Depth=1
	s_clause 0x1
	s_load_b64 s[34:35], s[18:19], 0x4
	s_load_b32 s31, s[18:19], 0xc
	s_load_b64 s[36:37], s[16:17], 0x0
	s_add_u32 s18, s18, 12
	s_addc_u32 s19, s19, 0
	s_add_u32 s16, s16, 8
	s_addc_u32 s17, s17, 0
	s_add_i32 s33, s33, -1
	s_delay_alu instid0(SALU_CYCLE_1) | instskip(SKIP_2) | instid1(VALU_DEP_1)
	s_cmp_lg_u32 s33, 0
	s_waitcnt lgkmcnt(0)
	v_mul_hi_u32 v3, s35, v2
	v_add_nc_u32_e32 v3, v2, v3
	s_delay_alu instid0(VALU_DEP_1) | instskip(NEXT) | instid1(VALU_DEP_1)
	v_lshrrev_b32_e32 v6, s31, v3
	v_mul_lo_u32 v3, v6, s34
	s_delay_alu instid0(VALU_DEP_1) | instskip(NEXT) | instid1(VALU_DEP_1)
	v_sub_nc_u32_e32 v2, v2, v3
	v_mad_u64_u32 v[3:4], null, v2, s36, v[0:1]
	v_mad_u64_u32 v[4:5], null, v2, s37, v[1:2]
	v_mov_b32_e32 v2, v6
	s_delay_alu instid0(VALU_DEP_2)
	v_dual_mov_b32 v0, v3 :: v_dual_mov_b32 v1, v4
	s_cbranch_scc1 .LBB343_254
.LBB343_255:
	s_and_not1_b32 vcc_lo, exec_lo, s21
	s_cbranch_vccnz .LBB343_258
; %bb.256:
	v_mul_hi_u32 v0, s13, v12
	s_and_not1_b32 vcc_lo, exec_lo, s30
	s_delay_alu instid0(VALU_DEP_1) | instskip(NEXT) | instid1(VALU_DEP_1)
	v_add_nc_u32_e32 v0, v12, v0
	v_lshrrev_b32_e32 v2, s14, v0
	s_delay_alu instid0(VALU_DEP_1) | instskip(NEXT) | instid1(VALU_DEP_1)
	v_mul_lo_u32 v0, v2, s12
	v_sub_nc_u32_e32 v1, v12, v0
	s_delay_alu instid0(VALU_DEP_1)
	v_mul_lo_u32 v0, v1, s8
	v_mul_lo_u32 v1, v1, s9
	s_cbranch_vccnz .LBB343_258
; %bb.257:
	v_mul_hi_u32 v3, s2, v2
	s_delay_alu instid0(VALU_DEP_1) | instskip(NEXT) | instid1(VALU_DEP_1)
	v_add_nc_u32_e32 v3, v2, v3
	v_lshrrev_b32_e32 v3, s3, v3
	s_delay_alu instid0(VALU_DEP_1) | instskip(NEXT) | instid1(VALU_DEP_1)
	v_mul_lo_u32 v3, v3, s15
	v_sub_nc_u32_e32 v5, v2, v3
	s_delay_alu instid0(VALU_DEP_1) | instskip(NEXT) | instid1(VALU_DEP_1)
	v_mad_u64_u32 v[2:3], null, v5, s10, v[0:1]
	v_mad_u64_u32 v[3:4], null, v5, s11, v[1:2]
	s_delay_alu instid0(VALU_DEP_1)
	v_dual_mov_b32 v0, v2 :: v_dual_mov_b32 v1, v3
.LBB343_258:
	global_load_u16 v1, v1, s[6:7]
	s_mov_b32 s2, exec_lo
	s_waitcnt vmcnt(0)
	v_lshlrev_b32_e32 v2, 16, v1
	s_delay_alu instid0(VALU_DEP_1)
	v_cmpx_o_f32_e32 v2, v2
; %bb.259:
	v_cmp_lt_f32_e32 vcc_lo, s29, v2
	v_cndmask_b32_e32 v1, s26, v1, vcc_lo
	s_delay_alu instid0(VALU_DEP_1) | instskip(NEXT) | instid1(VALU_DEP_1)
	v_lshlrev_b32_e32 v2, 16, v1
	v_cmp_gt_f32_e32 vcc_lo, s28, v2
	v_cndmask_b32_e32 v1, s27, v1, vcc_lo
; %bb.260:
	s_or_b32 exec_lo, exec_lo, s2
	global_store_b16 v0, v1, s[4:5]
	s_or_b32 exec_lo, exec_lo, s20
                                        ; implicit-def: $vgpr16
                                        ; implicit-def: $vgpr12
	s_and_not1_saveexec_b32 s2, s25
	s_cbranch_execz .LBB343_234
	s_branch .LBB343_8
	.section	.rodata,"a",@progbits
	.p2align	6, 0x0
	.amdhsa_kernel _ZN2at6native32elementwise_kernel_manual_unrollILi128ELi8EZNS0_22gpu_kernel_impl_nocastIZZZNS0_17clamp_kernel_cudaERNS_18TensorIteratorBaseERKN3c106ScalarES8_ENKUlvE_clEvENKUlvE7_clEvEUlNS5_8BFloat16EE_EEvS4_RKT_EUlibE_EEviT1_
		.amdhsa_group_segment_fixed_size 0
		.amdhsa_private_segment_fixed_size 0
		.amdhsa_kernarg_size 360
		.amdhsa_user_sgpr_count 15
		.amdhsa_user_sgpr_dispatch_ptr 0
		.amdhsa_user_sgpr_queue_ptr 0
		.amdhsa_user_sgpr_kernarg_segment_ptr 1
		.amdhsa_user_sgpr_dispatch_id 0
		.amdhsa_user_sgpr_private_segment_size 0
		.amdhsa_wavefront_size32 1
		.amdhsa_uses_dynamic_stack 0
		.amdhsa_enable_private_segment 0
		.amdhsa_system_sgpr_workgroup_id_x 1
		.amdhsa_system_sgpr_workgroup_id_y 0
		.amdhsa_system_sgpr_workgroup_id_z 0
		.amdhsa_system_sgpr_workgroup_info 0
		.amdhsa_system_vgpr_workitem_id 0
		.amdhsa_next_free_vgpr 26
		.amdhsa_next_free_sgpr 60
		.amdhsa_reserve_vcc 1
		.amdhsa_float_round_mode_32 0
		.amdhsa_float_round_mode_16_64 0
		.amdhsa_float_denorm_mode_32 3
		.amdhsa_float_denorm_mode_16_64 3
		.amdhsa_dx10_clamp 1
		.amdhsa_ieee_mode 1
		.amdhsa_fp16_overflow 0
		.amdhsa_workgroup_processor_mode 1
		.amdhsa_memory_ordered 1
		.amdhsa_forward_progress 0
		.amdhsa_shared_vgpr_count 0
		.amdhsa_exception_fp_ieee_invalid_op 0
		.amdhsa_exception_fp_denorm_src 0
		.amdhsa_exception_fp_ieee_div_zero 0
		.amdhsa_exception_fp_ieee_overflow 0
		.amdhsa_exception_fp_ieee_underflow 0
		.amdhsa_exception_fp_ieee_inexact 0
		.amdhsa_exception_int_div_zero 0
	.end_amdhsa_kernel
	.section	.text._ZN2at6native32elementwise_kernel_manual_unrollILi128ELi8EZNS0_22gpu_kernel_impl_nocastIZZZNS0_17clamp_kernel_cudaERNS_18TensorIteratorBaseERKN3c106ScalarES8_ENKUlvE_clEvENKUlvE7_clEvEUlNS5_8BFloat16EE_EEvS4_RKT_EUlibE_EEviT1_,"axG",@progbits,_ZN2at6native32elementwise_kernel_manual_unrollILi128ELi8EZNS0_22gpu_kernel_impl_nocastIZZZNS0_17clamp_kernel_cudaERNS_18TensorIteratorBaseERKN3c106ScalarES8_ENKUlvE_clEvENKUlvE7_clEvEUlNS5_8BFloat16EE_EEvS4_RKT_EUlibE_EEviT1_,comdat
.Lfunc_end343:
	.size	_ZN2at6native32elementwise_kernel_manual_unrollILi128ELi8EZNS0_22gpu_kernel_impl_nocastIZZZNS0_17clamp_kernel_cudaERNS_18TensorIteratorBaseERKN3c106ScalarES8_ENKUlvE_clEvENKUlvE7_clEvEUlNS5_8BFloat16EE_EEvS4_RKT_EUlibE_EEviT1_, .Lfunc_end343-_ZN2at6native32elementwise_kernel_manual_unrollILi128ELi8EZNS0_22gpu_kernel_impl_nocastIZZZNS0_17clamp_kernel_cudaERNS_18TensorIteratorBaseERKN3c106ScalarES8_ENKUlvE_clEvENKUlvE7_clEvEUlNS5_8BFloat16EE_EEvS4_RKT_EUlibE_EEviT1_
                                        ; -- End function
	.section	.AMDGPU.csdata,"",@progbits
; Kernel info:
; codeLenInByte = 14156
; NumSgprs: 62
; NumVgprs: 26
; ScratchSize: 0
; MemoryBound: 0
; FloatMode: 240
; IeeeMode: 1
; LDSByteSize: 0 bytes/workgroup (compile time only)
; SGPRBlocks: 7
; VGPRBlocks: 3
; NumSGPRsForWavesPerEU: 62
; NumVGPRsForWavesPerEU: 26
; Occupancy: 16
; WaveLimiterHint : 1
; COMPUTE_PGM_RSRC2:SCRATCH_EN: 0
; COMPUTE_PGM_RSRC2:USER_SGPR: 15
; COMPUTE_PGM_RSRC2:TRAP_HANDLER: 0
; COMPUTE_PGM_RSRC2:TGID_X_EN: 1
; COMPUTE_PGM_RSRC2:TGID_Y_EN: 0
; COMPUTE_PGM_RSRC2:TGID_Z_EN: 0
; COMPUTE_PGM_RSRC2:TIDIG_COMP_CNT: 0
	.section	.text._ZN2at6native32elementwise_kernel_manual_unrollILi128ELi4EZNS0_15gpu_kernel_implIZZZNS0_17clamp_kernel_cudaERNS_18TensorIteratorBaseERKN3c106ScalarES8_ENKUlvE_clEvENKUlvE7_clEvEUlNS5_8BFloat16EE_EEvS4_RKT_EUlibE_EEviT1_,"axG",@progbits,_ZN2at6native32elementwise_kernel_manual_unrollILi128ELi4EZNS0_15gpu_kernel_implIZZZNS0_17clamp_kernel_cudaERNS_18TensorIteratorBaseERKN3c106ScalarES8_ENKUlvE_clEvENKUlvE7_clEvEUlNS5_8BFloat16EE_EEvS4_RKT_EUlibE_EEviT1_,comdat
	.globl	_ZN2at6native32elementwise_kernel_manual_unrollILi128ELi4EZNS0_15gpu_kernel_implIZZZNS0_17clamp_kernel_cudaERNS_18TensorIteratorBaseERKN3c106ScalarES8_ENKUlvE_clEvENKUlvE7_clEvEUlNS5_8BFloat16EE_EEvS4_RKT_EUlibE_EEviT1_ ; -- Begin function _ZN2at6native32elementwise_kernel_manual_unrollILi128ELi4EZNS0_15gpu_kernel_implIZZZNS0_17clamp_kernel_cudaERNS_18TensorIteratorBaseERKN3c106ScalarES8_ENKUlvE_clEvENKUlvE7_clEvEUlNS5_8BFloat16EE_EEvS4_RKT_EUlibE_EEviT1_
	.p2align	8
	.type	_ZN2at6native32elementwise_kernel_manual_unrollILi128ELi4EZNS0_15gpu_kernel_implIZZZNS0_17clamp_kernel_cudaERNS_18TensorIteratorBaseERKN3c106ScalarES8_ENKUlvE_clEvENKUlvE7_clEvEUlNS5_8BFloat16EE_EEvS4_RKT_EUlibE_EEviT1_,@function
_ZN2at6native32elementwise_kernel_manual_unrollILi128ELi4EZNS0_15gpu_kernel_implIZZZNS0_17clamp_kernel_cudaERNS_18TensorIteratorBaseERKN3c106ScalarES8_ENKUlvE_clEvENKUlvE7_clEvEUlNS5_8BFloat16EE_EEvS4_RKT_EUlibE_EEviT1_: ; @_ZN2at6native32elementwise_kernel_manual_unrollILi128ELi4EZNS0_15gpu_kernel_implIZZZNS0_17clamp_kernel_cudaERNS_18TensorIteratorBaseERKN3c106ScalarES8_ENKUlvE_clEvENKUlvE7_clEvEUlNS5_8BFloat16EE_EEvS4_RKT_EUlibE_EEviT1_
; %bb.0:
	s_clause 0x1
	s_load_b256 s[4:11], s[0:1], 0x8
	s_load_b32 s14, s[0:1], 0x0
	v_lshl_or_b32 v2, s15, 9, v0
	s_mov_b32 s3, 0
	s_mov_b32 s13, 0
	s_mov_b32 s0, exec_lo
	s_delay_alu instid0(VALU_DEP_1)
	v_or_b32_e32 v0, 0x180, v2
	s_waitcnt lgkmcnt(0)
	v_lshrrev_b16 v3, 8, s11
	s_lshr_b32 s2, s10, 16
	s_and_b32 s1, s10, 0xffff
	v_cmpx_le_i32_e64 s14, v0
	s_xor_b32 s12, exec_lo, s0
	s_cbranch_execz .LBB344_1041
; %bb.1:
	s_lshl_b32 s13, s10, 16
	s_lshl_b32 s10, s2, 16
	s_mov_b32 s20, -1
	s_mov_b32 s18, 0
	s_mov_b32 s16, 0
	;; [unrolled: 1-line block ×3, first 2 shown]
	s_mov_b32 s17, exec_lo
	v_cmpx_gt_i32_e64 s14, v2
	s_cbranch_execz .LBB344_254
; %bb.2:
	v_mul_lo_u32 v0, v2, s9
	v_cmp_gt_i16_e32 vcc_lo, 11, v3
	s_delay_alu instid0(VALU_DEP_2) | instskip(SKIP_1) | instid1(VALU_DEP_1)
	v_ashrrev_i32_e32 v1, 31, v0
	v_add_co_u32 v0, s0, s6, v0
	v_add_co_ci_u32_e64 v1, s0, s7, v1, s0
	s_cbranch_vccnz .LBB344_9
; %bb.3:
	v_cmp_lt_i16_e32 vcc_lo, 25, v3
	s_cbranch_vccz .LBB344_20
; %bb.4:
	v_cmp_lt_i16_e32 vcc_lo, 28, v3
	s_cbranch_vccz .LBB344_23
	;; [unrolled: 3-line block ×4, first 2 shown]
; %bb.7:
	v_cmp_eq_u16_e32 vcc_lo, 46, v3
	s_cbranch_vccz .LBB344_29
; %bb.8:
	global_load_b32 v4, v[0:1], off
	s_mov_b32 s0, -1
	s_branch .LBB344_31
.LBB344_9:
	s_mov_b32 s0, 0
                                        ; implicit-def: $vgpr4
	s_cbranch_execnz .LBB344_204
.LBB344_10:
	s_and_not1_b32 vcc_lo, exec_lo, s0
	s_cbranch_vccnz .LBB344_251
.LBB344_11:
	s_waitcnt vmcnt(0)
	s_delay_alu instid0(VALU_DEP_1) | instskip(SKIP_1) | instid1(VALU_DEP_1)
	v_lshlrev_b32_e32 v0, 16, v4
	s_mov_b32 s0, exec_lo
	v_cmpx_o_f32_e32 v0, v0
; %bb.12:
	v_cmp_lt_f32_e32 vcc_lo, s13, v0
	v_cndmask_b32_e32 v0, s1, v4, vcc_lo
	s_delay_alu instid0(VALU_DEP_1) | instskip(NEXT) | instid1(VALU_DEP_1)
	v_lshlrev_b32_e32 v1, 16, v0
	v_cmp_gt_f32_e32 vcc_lo, s10, v1
	v_cndmask_b32_e32 v4, s2, v0, vcc_lo
; %bb.13:
	s_or_b32 exec_lo, exec_lo, s0
	v_mul_lo_u32 v0, v2, s8
	v_and_b32_e64 v5, 0xff, s11
	s_delay_alu instid0(VALU_DEP_1) | instskip(NEXT) | instid1(VALU_DEP_3)
	v_cmp_gt_i16_e32 vcc_lo, 11, v5
	v_ashrrev_i32_e32 v1, 31, v0
	v_add_co_u32 v0, s0, s4, v0
	s_delay_alu instid0(VALU_DEP_1)
	v_add_co_ci_u32_e64 v1, s0, s5, v1, s0
	s_cbranch_vccnz .LBB344_21
; %bb.14:
	v_cmp_lt_i16_e32 vcc_lo, 25, v5
	s_cbranch_vccz .LBB344_24
; %bb.15:
	v_cmp_lt_i16_e32 vcc_lo, 28, v5
	s_cbranch_vccz .LBB344_26
	;; [unrolled: 3-line block ×4, first 2 shown]
; %bb.18:
	v_cmp_eq_u16_e32 vcc_lo, 46, v5
	s_mov_b32 s19, 0
	s_mov_b32 s0, -1
	s_mov_b32 s15, 0
	s_cbranch_vccz .LBB344_35
; %bb.19:
	v_and_b32_e32 v6, 0xffff, v4
	s_mov_b32 s15, -1
	s_mov_b32 s0, 0
	global_store_b32 v[0:1], v6, off
	s_branch .LBB344_35
.LBB344_20:
	s_mov_b32 s0, 0
                                        ; implicit-def: $vgpr4
	s_cbranch_execnz .LBB344_169
	s_branch .LBB344_203
.LBB344_21:
	s_mov_b32 s0, 0
	s_mov_b32 s15, 0
	s_cbranch_execnz .LBB344_104
.LBB344_22:
	s_and_not1_b32 vcc_lo, exec_lo, s15
	s_cbranch_vccnz .LBB344_252
	s_branch .LBB344_142
.LBB344_23:
	s_mov_b32 s15, -1
	s_mov_b32 s0, 0
                                        ; implicit-def: $vgpr4
	s_branch .LBB344_150
.LBB344_24:
	s_mov_b32 s19, -1
	s_mov_b32 s0, 0
	s_mov_b32 s15, 0
	s_branch .LBB344_62
.LBB344_25:
	s_mov_b32 s15, -1
	s_mov_b32 s0, 0
                                        ; implicit-def: $vgpr4
	s_branch .LBB344_145
.LBB344_26:
	s_mov_b32 s19, -1
	s_mov_b32 s0, 0
	s_mov_b32 s15, 0
	s_branch .LBB344_45
.LBB344_27:
	s_mov_b32 s15, -1
	s_branch .LBB344_30
.LBB344_28:
	s_mov_b32 s19, -1
	s_mov_b32 s0, 0
	s_mov_b32 s15, 0
	s_branch .LBB344_41
.LBB344_29:
	s_mov_b32 s16, -1
.LBB344_30:
	s_mov_b32 s0, 0
                                        ; implicit-def: $vgpr4
.LBB344_31:
	s_and_b32 vcc_lo, exec_lo, s15
	s_cbranch_vccz .LBB344_144
; %bb.32:
	v_cmp_eq_u16_e32 vcc_lo, 44, v3
	s_cbranch_vccz .LBB344_143
; %bb.33:
	global_load_u8 v4, v[0:1], off
	s_mov_b32 s16, 0
	s_mov_b32 s0, -1
	s_waitcnt vmcnt(0)
	v_lshlrev_b32_e32 v5, 23, v4
	v_cmp_ne_u32_e32 vcc_lo, 0xff, v4
	s_delay_alu instid0(VALU_DEP_2) | instskip(SKIP_1) | instid1(VALU_DEP_2)
	v_cndmask_b32_e32 v5, 0x7f800001, v5, vcc_lo
	v_cmp_ne_u32_e32 vcc_lo, 0, v4
	v_cndmask_b32_e32 v4, 0x400000, v5, vcc_lo
	s_delay_alu instid0(VALU_DEP_1) | instskip(SKIP_1) | instid1(VALU_DEP_2)
	v_add_nc_u32_e32 v5, 0x7fff, v4
	v_cmp_o_f32_e32 vcc_lo, v4, v4
	v_lshrrev_b32_e32 v5, 16, v5
	s_delay_alu instid0(VALU_DEP_1)
	v_cndmask_b32_e32 v4, 0x7fc0, v5, vcc_lo
	s_branch .LBB344_144
.LBB344_34:
	s_mov_b32 s19, -1
	s_mov_b32 s0, 0
	s_mov_b32 s15, 0
.LBB344_35:
	s_and_b32 vcc_lo, exec_lo, s19
	s_cbranch_vccz .LBB344_40
; %bb.36:
	v_cmp_eq_u16_e32 vcc_lo, 44, v5
	s_mov_b32 s0, -1
	s_cbranch_vccz .LBB344_40
; %bb.37:
	v_and_b32_e32 v6, 0xffff, v4
	v_mov_b32_e32 v7, 0xff
	s_mov_b32 s15, exec_lo
	s_delay_alu instid0(VALU_DEP_2) | instskip(NEXT) | instid1(VALU_DEP_1)
	v_bfe_u32 v8, v6, 7, 8
	v_cmpx_ne_u32_e32 0xff, v8
; %bb.38:
	v_lshlrev_b32_e32 v7, 16, v6
	v_and_b32_e32 v9, 64, v6
	v_lshrrev_b32_e32 v6, 7, v6
	s_delay_alu instid0(VALU_DEP_3) | instskip(NEXT) | instid1(VALU_DEP_3)
	v_and_or_b32 v7, 0x3f0000, v7, v8
	v_cmp_ne_u32_e32 vcc_lo, 0, v9
	s_delay_alu instid0(VALU_DEP_2) | instskip(NEXT) | instid1(VALU_DEP_1)
	v_cmp_ne_u32_e64 s0, 0, v7
	s_and_b32 s0, vcc_lo, s0
	s_delay_alu instid0(SALU_CYCLE_1) | instskip(NEXT) | instid1(VALU_DEP_1)
	v_cndmask_b32_e64 v7, 0, 1, s0
	v_add_nc_u32_e32 v7, v6, v7
; %bb.39:
	s_or_b32 exec_lo, exec_lo, s15
	s_mov_b32 s15, -1
	s_mov_b32 s0, 0
	global_store_b8 v[0:1], v7, off
.LBB344_40:
	s_mov_b32 s19, 0
.LBB344_41:
	s_delay_alu instid0(SALU_CYCLE_1)
	s_and_b32 vcc_lo, exec_lo, s19
	s_cbranch_vccz .LBB344_44
; %bb.42:
	v_cmp_eq_u16_e32 vcc_lo, 29, v5
	s_mov_b32 s0, -1
	s_cbranch_vccz .LBB344_44
; %bb.43:
	v_lshlrev_b32_e32 v6, 16, v4
	s_mov_b32 s15, -1
	s_mov_b32 s0, 0
	s_mov_b32 s19, 0
	s_delay_alu instid0(VALU_DEP_1) | instskip(NEXT) | instid1(VALU_DEP_1)
	v_trunc_f32_e32 v6, v6
	v_mul_f32_e32 v7, 0x2f800000, v6
	s_delay_alu instid0(VALU_DEP_1) | instskip(NEXT) | instid1(VALU_DEP_1)
	v_floor_f32_e32 v7, v7
	v_fmamk_f32 v6, v7, 0xcf800000, v6
	v_cvt_u32_f32_e32 v7, v7
	s_delay_alu instid0(VALU_DEP_2)
	v_cvt_u32_f32_e32 v6, v6
	global_store_b64 v[0:1], v[6:7], off
	s_branch .LBB344_45
.LBB344_44:
	s_mov_b32 s19, 0
.LBB344_45:
	s_delay_alu instid0(SALU_CYCLE_1)
	s_and_b32 vcc_lo, exec_lo, s19
	s_cbranch_vccz .LBB344_61
; %bb.46:
	v_cmp_gt_i16_e32 vcc_lo, 27, v5
	s_mov_b32 s15, -1
	s_cbranch_vccnz .LBB344_52
; %bb.47:
	v_cmp_lt_i16_e32 vcc_lo, 27, v5
	s_cbranch_vccz .LBB344_49
; %bb.48:
	v_lshlrev_b32_e32 v6, 16, v4
	s_mov_b32 s15, 0
	s_delay_alu instid0(VALU_DEP_1)
	v_cvt_u32_f32_e32 v6, v6
	global_store_b32 v[0:1], v6, off
.LBB344_49:
	s_and_not1_b32 vcc_lo, exec_lo, s15
	s_cbranch_vccnz .LBB344_51
; %bb.50:
	v_lshlrev_b32_e32 v6, 16, v4
	s_delay_alu instid0(VALU_DEP_1)
	v_cvt_u32_f32_e32 v6, v6
	global_store_b16 v[0:1], v6, off
.LBB344_51:
	s_mov_b32 s15, 0
.LBB344_52:
	s_delay_alu instid0(SALU_CYCLE_1)
	s_and_not1_b32 vcc_lo, exec_lo, s15
	s_cbranch_vccnz .LBB344_60
; %bb.53:
	v_dual_mov_b32 v9, 0x80 :: v_dual_lshlrev_b32 v8, 16, v4
	s_mov_b32 s15, exec_lo
	s_delay_alu instid0(VALU_DEP_1) | instskip(NEXT) | instid1(VALU_DEP_1)
	v_and_b32_e32 v7, 0x7fffffff, v8
	v_cmpx_gt_u32_e32 0x43800000, v7
	s_cbranch_execz .LBB344_59
; %bb.54:
	v_and_b32_e32 v6, 0xffff, v4
	v_cmp_lt_u32_e32 vcc_lo, 0x3bffffff, v7
	s_mov_b32 s19, 0
                                        ; implicit-def: $vgpr7
	s_and_saveexec_b32 s20, vcc_lo
	s_delay_alu instid0(SALU_CYCLE_1)
	s_xor_b32 s20, exec_lo, s20
	s_cbranch_execz .LBB344_280
; %bb.55:
	v_bfe_u32 v7, v6, 4, 1
	s_mov_b32 s19, exec_lo
	s_delay_alu instid0(VALU_DEP_1) | instskip(NEXT) | instid1(VALU_DEP_1)
	v_add3_u32 v7, v8, v7, 0x487ffff
                                        ; implicit-def: $vgpr8
	v_lshrrev_b32_e32 v7, 20, v7
	s_or_saveexec_b32 s20, s20
                                        ; implicit-def: $sgpr21
	s_delay_alu instid0(SALU_CYCLE_1)
	s_xor_b32 exec_lo, exec_lo, s20
	s_cbranch_execnz .LBB344_281
.LBB344_56:
	s_or_b32 exec_lo, exec_lo, s20
	v_mov_b32_e32 v9, s21
	s_and_saveexec_b32 s20, s19
.LBB344_57:
	v_lshrrev_b32_e32 v6, 8, v6
	s_delay_alu instid0(VALU_DEP_1)
	v_and_or_b32 v9, 0x80, v6, v7
.LBB344_58:
	s_or_b32 exec_lo, exec_lo, s20
.LBB344_59:
	s_delay_alu instid0(SALU_CYCLE_1)
	s_or_b32 exec_lo, exec_lo, s15
	global_store_b8 v[0:1], v9, off
.LBB344_60:
	s_mov_b32 s15, -1
.LBB344_61:
	s_mov_b32 s19, 0
.LBB344_62:
	s_delay_alu instid0(SALU_CYCLE_1)
	s_and_b32 vcc_lo, exec_lo, s19
	s_cbranch_vccz .LBB344_103
; %bb.63:
	v_cmp_lt_i16_e32 vcc_lo, 22, v5
	s_mov_b32 s19, -1
	s_cbranch_vccz .LBB344_95
; %bb.64:
	v_cmp_gt_i16_e32 vcc_lo, 24, v5
	s_mov_b32 s15, -1
	s_cbranch_vccnz .LBB344_84
; %bb.65:
	v_cmp_lt_i16_e32 vcc_lo, 24, v5
	s_cbranch_vccz .LBB344_73
; %bb.66:
	v_dual_mov_b32 v9, 0x80 :: v_dual_lshlrev_b32 v8, 16, v4
	s_mov_b32 s15, exec_lo
	s_delay_alu instid0(VALU_DEP_1) | instskip(NEXT) | instid1(VALU_DEP_1)
	v_and_b32_e32 v7, 0x7fffffff, v8
	v_cmpx_gt_u32_e32 0x47800000, v7
	s_cbranch_execz .LBB344_72
; %bb.67:
	v_and_b32_e32 v6, 0xffff, v4
	v_cmp_lt_u32_e32 vcc_lo, 0x37ffffff, v7
	s_mov_b32 s19, 0
                                        ; implicit-def: $vgpr7
	s_and_saveexec_b32 s20, vcc_lo
	s_delay_alu instid0(SALU_CYCLE_1)
	s_xor_b32 s20, exec_lo, s20
	s_cbranch_execz .LBB344_284
; %bb.68:
	v_bfe_u32 v7, v6, 5, 1
	s_mov_b32 s19, exec_lo
	s_delay_alu instid0(VALU_DEP_1) | instskip(NEXT) | instid1(VALU_DEP_1)
	v_add3_u32 v7, v8, v7, 0x88fffff
                                        ; implicit-def: $vgpr8
	v_lshrrev_b32_e32 v7, 21, v7
	s_or_saveexec_b32 s20, s20
                                        ; implicit-def: $sgpr21
	s_delay_alu instid0(SALU_CYCLE_1)
	s_xor_b32 exec_lo, exec_lo, s20
	s_cbranch_execnz .LBB344_285
.LBB344_69:
	s_or_b32 exec_lo, exec_lo, s20
	v_mov_b32_e32 v9, s21
	s_and_saveexec_b32 s20, s19
.LBB344_70:
	v_lshrrev_b32_e32 v6, 8, v6
	s_delay_alu instid0(VALU_DEP_1)
	v_and_or_b32 v9, 0x80, v6, v7
.LBB344_71:
	s_or_b32 exec_lo, exec_lo, s20
.LBB344_72:
	s_delay_alu instid0(SALU_CYCLE_1)
	s_or_b32 exec_lo, exec_lo, s15
	s_mov_b32 s15, 0
	global_store_b8 v[0:1], v9, off
.LBB344_73:
	s_and_b32 vcc_lo, exec_lo, s15
	s_cbranch_vccz .LBB344_83
; %bb.74:
	v_lshlrev_b32_e32 v8, 16, v4
	v_and_b32_e32 v6, 0xffff, v4
	s_mov_b32 s15, exec_lo
                                        ; implicit-def: $vgpr7
	s_delay_alu instid0(VALU_DEP_2) | instskip(NEXT) | instid1(VALU_DEP_1)
	v_and_b32_e32 v9, 0x7fffffff, v8
	v_cmpx_gt_u32_e32 0x43f00000, v9
	s_xor_b32 s15, exec_lo, s15
	s_cbranch_execz .LBB344_80
; %bb.75:
	s_mov_b32 s19, exec_lo
                                        ; implicit-def: $vgpr7
	v_cmpx_lt_u32_e32 0x3c7fffff, v9
	s_xor_b32 s19, exec_lo, s19
; %bb.76:
	v_bfe_u32 v7, v6, 4, 1
	s_delay_alu instid0(VALU_DEP_1) | instskip(NEXT) | instid1(VALU_DEP_1)
	v_add3_u32 v7, v8, v7, 0x407ffff
	v_and_b32_e32 v8, 0xff00000, v7
	v_lshrrev_b32_e32 v7, 20, v7
	s_delay_alu instid0(VALU_DEP_2) | instskip(NEXT) | instid1(VALU_DEP_2)
	v_cmp_ne_u32_e32 vcc_lo, 0x7f00000, v8
                                        ; implicit-def: $vgpr8
	v_cndmask_b32_e32 v7, 0x7e, v7, vcc_lo
; %bb.77:
	s_and_not1_saveexec_b32 s19, s19
; %bb.78:
	v_add_f32_e64 v7, 0x46800000, |v8|
; %bb.79:
	s_or_b32 exec_lo, exec_lo, s19
                                        ; implicit-def: $vgpr9
.LBB344_80:
	s_and_not1_saveexec_b32 s15, s15
; %bb.81:
	v_mov_b32_e32 v7, 0x7f
	v_cmp_lt_u32_e32 vcc_lo, 0x7f800000, v9
	s_delay_alu instid0(VALU_DEP_2)
	v_cndmask_b32_e32 v7, 0x7e, v7, vcc_lo
; %bb.82:
	s_or_b32 exec_lo, exec_lo, s15
	v_lshrrev_b32_e32 v6, 8, v6
	s_delay_alu instid0(VALU_DEP_1)
	v_and_or_b32 v6, 0x80, v6, v7
	global_store_b8 v[0:1], v6, off
.LBB344_83:
	s_mov_b32 s15, 0
.LBB344_84:
	s_delay_alu instid0(SALU_CYCLE_1)
	s_and_not1_b32 vcc_lo, exec_lo, s15
	s_cbranch_vccnz .LBB344_94
; %bb.85:
	v_lshlrev_b32_e32 v8, 16, v4
	v_and_b32_e32 v6, 0xffff, v4
	s_mov_b32 s15, exec_lo
                                        ; implicit-def: $vgpr7
	s_delay_alu instid0(VALU_DEP_2) | instskip(NEXT) | instid1(VALU_DEP_1)
	v_and_b32_e32 v9, 0x7fffffff, v8
	v_cmpx_gt_u32_e32 0x47800000, v9
	s_xor_b32 s15, exec_lo, s15
	s_cbranch_execz .LBB344_91
; %bb.86:
	s_mov_b32 s19, exec_lo
                                        ; implicit-def: $vgpr7
	v_cmpx_lt_u32_e32 0x387fffff, v9
	s_xor_b32 s19, exec_lo, s19
; %bb.87:
	v_bfe_u32 v7, v6, 5, 1
	s_delay_alu instid0(VALU_DEP_1) | instskip(NEXT) | instid1(VALU_DEP_1)
	v_add3_u32 v7, v8, v7, 0x80fffff
                                        ; implicit-def: $vgpr8
	v_lshrrev_b32_e32 v7, 21, v7
; %bb.88:
	s_and_not1_saveexec_b32 s19, s19
; %bb.89:
	v_add_f32_e64 v7, 0x43000000, |v8|
; %bb.90:
	s_or_b32 exec_lo, exec_lo, s19
                                        ; implicit-def: $vgpr9
.LBB344_91:
	s_and_not1_saveexec_b32 s15, s15
; %bb.92:
	v_mov_b32_e32 v7, 0x7f
	v_cmp_lt_u32_e32 vcc_lo, 0x7f800000, v9
	s_delay_alu instid0(VALU_DEP_2)
	v_cndmask_b32_e32 v7, 0x7c, v7, vcc_lo
; %bb.93:
	s_or_b32 exec_lo, exec_lo, s15
	v_lshrrev_b32_e32 v6, 8, v6
	s_delay_alu instid0(VALU_DEP_1)
	v_and_or_b32 v6, 0x80, v6, v7
	global_store_b8 v[0:1], v6, off
.LBB344_94:
	s_mov_b32 s19, 0
	s_mov_b32 s15, -1
.LBB344_95:
	s_and_not1_b32 vcc_lo, exec_lo, s19
	s_cbranch_vccnz .LBB344_103
; %bb.96:
	v_cmp_lt_i16_e32 vcc_lo, 14, v5
	s_mov_b32 s19, -1
	s_cbranch_vccz .LBB344_100
; %bb.97:
	v_cmp_eq_u16_e32 vcc_lo, 15, v5
	s_mov_b32 s0, -1
	s_cbranch_vccz .LBB344_99
; %bb.98:
	s_mov_b32 s15, -1
	s_mov_b32 s0, 0
	global_store_b16 v[0:1], v4, off
.LBB344_99:
	s_mov_b32 s19, 0
.LBB344_100:
	s_delay_alu instid0(SALU_CYCLE_1)
	s_and_b32 vcc_lo, exec_lo, s19
	s_cbranch_vccz .LBB344_103
; %bb.101:
	v_cmp_eq_u16_e32 vcc_lo, 11, v5
	s_mov_b32 s0, -1
	s_cbranch_vccz .LBB344_103
; %bb.102:
	v_and_b32_e32 v6, 0x7fff, v4
	s_mov_b32 s0, 0
	s_mov_b32 s15, -1
	s_delay_alu instid0(VALU_DEP_1)
	v_cmp_ne_u16_e32 vcc_lo, 0, v6
	v_cndmask_b32_e64 v6, 0, 1, vcc_lo
	global_store_b8 v[0:1], v6, off
.LBB344_103:
	s_branch .LBB344_22
.LBB344_104:
	v_cmp_gt_i16_e32 vcc_lo, 5, v5
	s_mov_b32 s15, -1
	s_cbranch_vccnz .LBB344_125
; %bb.105:
	v_cmp_gt_i16_e32 vcc_lo, 8, v5
	s_cbranch_vccnz .LBB344_115
; %bb.106:
	v_cmp_gt_i16_e32 vcc_lo, 9, v5
	s_cbranch_vccnz .LBB344_112
; %bb.107:
	v_cmp_lt_i16_e32 vcc_lo, 9, v5
	s_cbranch_vccz .LBB344_109
; %bb.108:
	v_mov_b32_e32 v8, 0
	v_lshlrev_b32_e32 v6, 16, v4
	s_mov_b32 s15, 0
	s_delay_alu instid0(VALU_DEP_2) | instskip(NEXT) | instid1(VALU_DEP_2)
	v_mov_b32_e32 v9, v8
	v_cvt_f64_f32_e32 v[6:7], v6
	global_store_b128 v[0:1], v[6:9], off
.LBB344_109:
	s_and_not1_b32 vcc_lo, exec_lo, s15
	s_cbranch_vccnz .LBB344_111
; %bb.110:
	v_dual_mov_b32 v7, 0 :: v_dual_lshlrev_b32 v6, 16, v4
	global_store_b64 v[0:1], v[6:7], off
.LBB344_111:
	s_mov_b32 s15, 0
.LBB344_112:
	s_delay_alu instid0(SALU_CYCLE_1)
	s_and_not1_b32 vcc_lo, exec_lo, s15
	s_cbranch_vccnz .LBB344_114
; %bb.113:
	v_lshlrev_b32_e32 v6, 16, v4
	s_delay_alu instid0(VALU_DEP_1) | instskip(NEXT) | instid1(VALU_DEP_1)
	v_cvt_f16_f32_e32 v6, v6
	v_and_b32_e32 v6, 0xffff, v6
	global_store_b32 v[0:1], v6, off
.LBB344_114:
	s_mov_b32 s15, 0
.LBB344_115:
	s_delay_alu instid0(SALU_CYCLE_1)
	s_and_not1_b32 vcc_lo, exec_lo, s15
	s_cbranch_vccnz .LBB344_124
; %bb.116:
	v_cmp_gt_i16_e32 vcc_lo, 6, v5
	s_mov_b32 s15, -1
	s_cbranch_vccnz .LBB344_122
; %bb.117:
	v_cmp_lt_i16_e32 vcc_lo, 6, v5
	s_cbranch_vccz .LBB344_119
; %bb.118:
	v_lshlrev_b32_e32 v6, 16, v4
	s_mov_b32 s15, 0
	s_delay_alu instid0(VALU_DEP_1)
	v_cvt_f64_f32_e32 v[6:7], v6
	global_store_b64 v[0:1], v[6:7], off
.LBB344_119:
	s_and_not1_b32 vcc_lo, exec_lo, s15
	s_cbranch_vccnz .LBB344_121
; %bb.120:
	v_lshlrev_b32_e32 v6, 16, v4
	global_store_b32 v[0:1], v6, off
.LBB344_121:
	s_mov_b32 s15, 0
.LBB344_122:
	s_delay_alu instid0(SALU_CYCLE_1)
	s_and_not1_b32 vcc_lo, exec_lo, s15
	s_cbranch_vccnz .LBB344_124
; %bb.123:
	v_lshlrev_b32_e32 v6, 16, v4
	s_delay_alu instid0(VALU_DEP_1)
	v_cvt_f16_f32_e32 v6, v6
	global_store_b16 v[0:1], v6, off
.LBB344_124:
	s_mov_b32 s15, 0
.LBB344_125:
	s_delay_alu instid0(SALU_CYCLE_1)
	s_and_not1_b32 vcc_lo, exec_lo, s15
	s_cbranch_vccnz .LBB344_141
; %bb.126:
	v_cmp_gt_i16_e32 vcc_lo, 2, v5
	s_mov_b32 s15, -1
	s_cbranch_vccnz .LBB344_136
; %bb.127:
	v_cmp_gt_i16_e32 vcc_lo, 3, v5
	s_cbranch_vccnz .LBB344_133
; %bb.128:
	v_cmp_lt_i16_e32 vcc_lo, 3, v5
	s_cbranch_vccz .LBB344_130
; %bb.129:
	v_lshlrev_b32_e32 v6, 16, v4
	s_mov_b32 s15, 0
	s_delay_alu instid0(VALU_DEP_1) | instskip(NEXT) | instid1(VALU_DEP_1)
	v_trunc_f32_e32 v6, v6
	v_mul_f32_e64 v7, 0x2f800000, |v6|
	v_ashrrev_i32_e32 v9, 31, v6
	s_delay_alu instid0(VALU_DEP_2) | instskip(NEXT) | instid1(VALU_DEP_1)
	v_floor_f32_e32 v7, v7
	v_fma_f32 v8, 0xcf800000, v7, |v6|
	v_cvt_u32_f32_e32 v7, v7
	s_delay_alu instid0(VALU_DEP_2) | instskip(NEXT) | instid1(VALU_DEP_2)
	v_cvt_u32_f32_e32 v6, v8
	v_xor_b32_e32 v7, v7, v9
	s_delay_alu instid0(VALU_DEP_2) | instskip(NEXT) | instid1(VALU_DEP_1)
	v_xor_b32_e32 v6, v6, v9
	v_sub_co_u32 v6, vcc_lo, v6, v9
	s_delay_alu instid0(VALU_DEP_3)
	v_sub_co_ci_u32_e32 v7, vcc_lo, v7, v9, vcc_lo
	global_store_b64 v[0:1], v[6:7], off
.LBB344_130:
	s_and_not1_b32 vcc_lo, exec_lo, s15
	s_cbranch_vccnz .LBB344_132
; %bb.131:
	v_lshlrev_b32_e32 v6, 16, v4
	s_delay_alu instid0(VALU_DEP_1)
	v_cvt_i32_f32_e32 v6, v6
	global_store_b32 v[0:1], v6, off
.LBB344_132:
	s_mov_b32 s15, 0
.LBB344_133:
	s_delay_alu instid0(SALU_CYCLE_1)
	s_and_not1_b32 vcc_lo, exec_lo, s15
	s_cbranch_vccnz .LBB344_135
; %bb.134:
	v_lshlrev_b32_e32 v6, 16, v4
	s_delay_alu instid0(VALU_DEP_1)
	v_cvt_i32_f32_e32 v6, v6
	global_store_b16 v[0:1], v6, off
.LBB344_135:
	s_mov_b32 s15, 0
.LBB344_136:
	s_delay_alu instid0(SALU_CYCLE_1)
	s_and_not1_b32 vcc_lo, exec_lo, s15
	s_cbranch_vccnz .LBB344_141
; %bb.137:
	v_cmp_lt_i16_e32 vcc_lo, 0, v5
	v_lshlrev_b32_e32 v4, 16, v4
	s_mov_b32 s15, -1
	s_cbranch_vccz .LBB344_139
; %bb.138:
	s_delay_alu instid0(VALU_DEP_1)
	v_cvt_i32_f32_e32 v5, v4
	s_mov_b32 s15, 0
	global_store_b8 v[0:1], v5, off
.LBB344_139:
	s_and_not1_b32 vcc_lo, exec_lo, s15
	s_cbranch_vccnz .LBB344_141
; %bb.140:
	v_trunc_f32_e32 v4, v4
	s_delay_alu instid0(VALU_DEP_1) | instskip(NEXT) | instid1(VALU_DEP_1)
	v_mul_f32_e64 v5, 0x2f800000, |v4|
	v_floor_f32_e32 v5, v5
	s_delay_alu instid0(VALU_DEP_1) | instskip(SKIP_1) | instid1(VALU_DEP_2)
	v_fma_f32 v5, 0xcf800000, v5, |v4|
	v_ashrrev_i32_e32 v4, 31, v4
	v_cvt_u32_f32_e32 v5, v5
	s_delay_alu instid0(VALU_DEP_1) | instskip(NEXT) | instid1(VALU_DEP_1)
	v_xor_b32_e32 v5, v5, v4
	v_sub_nc_u32_e32 v4, v5, v4
	global_store_b8 v[0:1], v4, off
.LBB344_141:
.LBB344_142:
	v_add_nc_u32_e32 v2, 0x80, v2
	s_mov_b32 s19, -1
	s_branch .LBB344_253
.LBB344_143:
	s_mov_b32 s16, -1
                                        ; implicit-def: $vgpr4
.LBB344_144:
	s_mov_b32 s15, 0
.LBB344_145:
	s_delay_alu instid0(SALU_CYCLE_1)
	s_and_b32 vcc_lo, exec_lo, s15
	s_cbranch_vccz .LBB344_149
; %bb.146:
	v_cmp_eq_u16_e32 vcc_lo, 29, v3
	s_cbranch_vccz .LBB344_148
; %bb.147:
	global_load_b64 v[4:5], v[0:1], off
	s_mov_b32 s0, -1
	s_mov_b32 s16, 0
	s_mov_b32 s15, 0
	s_waitcnt vmcnt(0)
	v_clz_i32_u32_e32 v6, v5
	s_delay_alu instid0(VALU_DEP_1) | instskip(NEXT) | instid1(VALU_DEP_1)
	v_min_u32_e32 v6, 32, v6
	v_lshlrev_b64 v[4:5], v6, v[4:5]
	s_delay_alu instid0(VALU_DEP_1) | instskip(NEXT) | instid1(VALU_DEP_1)
	v_min_u32_e32 v4, 1, v4
	v_or_b32_e32 v4, v5, v4
	v_sub_nc_u32_e32 v5, 32, v6
	s_delay_alu instid0(VALU_DEP_2) | instskip(NEXT) | instid1(VALU_DEP_1)
	v_cvt_f32_u32_e32 v4, v4
	v_ldexp_f32 v4, v4, v5
	s_delay_alu instid0(VALU_DEP_1) | instskip(NEXT) | instid1(VALU_DEP_1)
	v_bfe_u32 v5, v4, 16, 1
	v_add3_u32 v4, v4, v5, 0x7fff
	s_delay_alu instid0(VALU_DEP_1)
	v_lshrrev_b32_e32 v4, 16, v4
	s_branch .LBB344_150
.LBB344_148:
	s_mov_b32 s16, -1
                                        ; implicit-def: $vgpr4
.LBB344_149:
	s_mov_b32 s15, 0
.LBB344_150:
	s_delay_alu instid0(SALU_CYCLE_1)
	s_and_b32 vcc_lo, exec_lo, s15
	s_cbranch_vccz .LBB344_168
; %bb.151:
	v_cmp_gt_i16_e32 vcc_lo, 27, v3
	s_cbranch_vccnz .LBB344_154
; %bb.152:
	v_cmp_lt_i16_e32 vcc_lo, 27, v3
	s_cbranch_vccz .LBB344_155
; %bb.153:
	global_load_b32 v4, v[0:1], off
	s_mov_b32 s0, 0
	s_waitcnt vmcnt(0)
	v_cvt_f32_u32_e32 v4, v4
	s_delay_alu instid0(VALU_DEP_1) | instskip(NEXT) | instid1(VALU_DEP_1)
	v_bfe_u32 v5, v4, 16, 1
	v_add3_u32 v4, v4, v5, 0x7fff
	s_delay_alu instid0(VALU_DEP_1)
	v_lshrrev_b32_e32 v4, 16, v4
	s_branch .LBB344_156
.LBB344_154:
	s_mov_b32 s0, -1
                                        ; implicit-def: $vgpr4
	s_branch .LBB344_159
.LBB344_155:
	s_mov_b32 s0, -1
                                        ; implicit-def: $vgpr4
.LBB344_156:
	s_delay_alu instid0(SALU_CYCLE_1)
	s_and_not1_b32 vcc_lo, exec_lo, s0
	s_cbranch_vccnz .LBB344_158
; %bb.157:
	global_load_u16 v4, v[0:1], off
	s_waitcnt vmcnt(0)
	v_cvt_f32_u32_e32 v4, v4
	s_delay_alu instid0(VALU_DEP_1) | instskip(NEXT) | instid1(VALU_DEP_1)
	v_bfe_u32 v5, v4, 16, 1
	v_add3_u32 v4, v4, v5, 0x7fff
	s_delay_alu instid0(VALU_DEP_1)
	v_lshrrev_b32_e32 v4, 16, v4
.LBB344_158:
	s_mov_b32 s0, 0
.LBB344_159:
	s_delay_alu instid0(SALU_CYCLE_1)
	s_and_not1_b32 vcc_lo, exec_lo, s0
	s_cbranch_vccnz .LBB344_167
; %bb.160:
	global_load_u8 v4, v[0:1], off
	s_mov_b32 s0, 0
	s_mov_b32 s19, exec_lo
                                        ; implicit-def: $sgpr15
	s_waitcnt vmcnt(0)
	v_cmpx_lt_i16_e32 0x7f, v4
	s_xor_b32 s19, exec_lo, s19
	s_cbranch_execz .LBB344_180
; %bb.161:
	s_mov_b32 s0, -1
	s_mov_b32 s20, exec_lo
                                        ; implicit-def: $sgpr15
	v_cmpx_eq_u16_e32 0x80, v4
; %bb.162:
	s_mov_b32 s15, 0x7f800001
	s_xor_b32 s0, exec_lo, -1
; %bb.163:
	s_or_b32 exec_lo, exec_lo, s20
	s_delay_alu instid0(SALU_CYCLE_1)
	s_and_b32 s0, s0, exec_lo
	s_or_saveexec_b32 s19, s19
	v_mov_b32_e32 v5, s15
	s_xor_b32 exec_lo, exec_lo, s19
	s_cbranch_execnz .LBB344_181
.LBB344_164:
	s_or_b32 exec_lo, exec_lo, s19
	s_and_saveexec_b32 s15, s0
	s_cbranch_execz .LBB344_166
.LBB344_165:
	v_and_b32_e32 v5, 0xffff, v4
	v_lshlrev_b32_e32 v4, 24, v4
	s_delay_alu instid0(VALU_DEP_2) | instskip(NEXT) | instid1(VALU_DEP_2)
	v_and_b32_e32 v6, 7, v5
	v_and_b32_e32 v4, 0x80000000, v4
	s_delay_alu instid0(VALU_DEP_2) | instskip(NEXT) | instid1(VALU_DEP_1)
	v_clz_i32_u32_e32 v7, v6
	v_min_u32_e32 v7, 32, v7
	s_delay_alu instid0(VALU_DEP_1) | instskip(SKIP_1) | instid1(VALU_DEP_2)
	v_subrev_nc_u32_e32 v8, 28, v7
	v_sub_nc_u32_e32 v7, 29, v7
	v_lshlrev_b32_e32 v8, v8, v5
	v_bfe_u32 v5, v5, 3, 4
	s_delay_alu instid0(VALU_DEP_2) | instskip(NEXT) | instid1(VALU_DEP_2)
	v_and_b32_e32 v8, 7, v8
	v_cmp_eq_u32_e32 vcc_lo, 0, v5
	s_delay_alu instid0(VALU_DEP_2) | instskip(NEXT) | instid1(VALU_DEP_1)
	v_dual_cndmask_b32 v5, v5, v7 :: v_dual_cndmask_b32 v6, v6, v8
	v_lshl_add_u32 v5, v5, 23, 0x3b800000
	s_delay_alu instid0(VALU_DEP_2) | instskip(NEXT) | instid1(VALU_DEP_1)
	v_lshlrev_b32_e32 v6, 20, v6
	v_or3_b32 v5, v4, v5, v6
.LBB344_166:
	s_or_b32 exec_lo, exec_lo, s15
	s_delay_alu instid0(VALU_DEP_1) | instskip(SKIP_1) | instid1(VALU_DEP_2)
	v_bfe_u32 v4, v5, 16, 1
	v_cmp_o_f32_e32 vcc_lo, v5, v5
	v_add3_u32 v4, v5, v4, 0x7fff
	s_delay_alu instid0(VALU_DEP_1) | instskip(NEXT) | instid1(VALU_DEP_1)
	v_lshrrev_b32_e32 v4, 16, v4
	v_cndmask_b32_e32 v4, 0x7fc0, v4, vcc_lo
.LBB344_167:
	s_mov_b32 s0, -1
.LBB344_168:
	s_branch .LBB344_203
.LBB344_169:
	v_cmp_lt_i16_e32 vcc_lo, 22, v3
	s_cbranch_vccz .LBB344_179
; %bb.170:
	v_cmp_gt_i16_e32 vcc_lo, 24, v3
	s_cbranch_vccnz .LBB344_182
; %bb.171:
	v_cmp_lt_i16_e32 vcc_lo, 24, v3
	s_cbranch_vccz .LBB344_183
; %bb.172:
	global_load_u8 v4, v[0:1], off
	s_mov_b32 s0, 0
	s_mov_b32 s19, exec_lo
                                        ; implicit-def: $sgpr15
	s_waitcnt vmcnt(0)
	v_cmpx_lt_i16_e32 0x7f, v4
	s_xor_b32 s19, exec_lo, s19
	s_cbranch_execz .LBB344_195
; %bb.173:
	s_mov_b32 s0, -1
	s_mov_b32 s20, exec_lo
                                        ; implicit-def: $sgpr15
	v_cmpx_eq_u16_e32 0x80, v4
; %bb.174:
	s_mov_b32 s15, 0x7f800001
	s_xor_b32 s0, exec_lo, -1
; %bb.175:
	s_or_b32 exec_lo, exec_lo, s20
	s_delay_alu instid0(SALU_CYCLE_1)
	s_and_b32 s0, s0, exec_lo
	s_or_saveexec_b32 s19, s19
	v_mov_b32_e32 v5, s15
	s_xor_b32 exec_lo, exec_lo, s19
	s_cbranch_execnz .LBB344_196
.LBB344_176:
	s_or_b32 exec_lo, exec_lo, s19
	s_and_saveexec_b32 s15, s0
	s_cbranch_execz .LBB344_178
.LBB344_177:
	v_and_b32_e32 v5, 0xffff, v4
	v_lshlrev_b32_e32 v4, 24, v4
	s_delay_alu instid0(VALU_DEP_2) | instskip(NEXT) | instid1(VALU_DEP_2)
	v_and_b32_e32 v6, 3, v5
	v_and_b32_e32 v4, 0x80000000, v4
	s_delay_alu instid0(VALU_DEP_2) | instskip(NEXT) | instid1(VALU_DEP_1)
	v_clz_i32_u32_e32 v7, v6
	v_min_u32_e32 v7, 32, v7
	s_delay_alu instid0(VALU_DEP_1) | instskip(SKIP_1) | instid1(VALU_DEP_2)
	v_subrev_nc_u32_e32 v8, 29, v7
	v_sub_nc_u32_e32 v7, 30, v7
	v_lshlrev_b32_e32 v8, v8, v5
	v_bfe_u32 v5, v5, 2, 5
	s_delay_alu instid0(VALU_DEP_2) | instskip(NEXT) | instid1(VALU_DEP_2)
	v_and_b32_e32 v8, 3, v8
	v_cmp_eq_u32_e32 vcc_lo, 0, v5
	s_delay_alu instid0(VALU_DEP_2) | instskip(NEXT) | instid1(VALU_DEP_1)
	v_dual_cndmask_b32 v5, v5, v7 :: v_dual_cndmask_b32 v6, v6, v8
	v_lshl_add_u32 v5, v5, 23, 0x37800000
	s_delay_alu instid0(VALU_DEP_2) | instskip(NEXT) | instid1(VALU_DEP_1)
	v_lshlrev_b32_e32 v6, 21, v6
	v_or3_b32 v5, v4, v5, v6
.LBB344_178:
	s_or_b32 exec_lo, exec_lo, s15
	s_delay_alu instid0(VALU_DEP_1) | instskip(SKIP_2) | instid1(VALU_DEP_2)
	v_bfe_u32 v4, v5, 16, 1
	v_cmp_o_f32_e32 vcc_lo, v5, v5
	s_mov_b32 s0, 0
	v_add3_u32 v4, v5, v4, 0x7fff
	s_delay_alu instid0(VALU_DEP_1) | instskip(NEXT) | instid1(VALU_DEP_1)
	v_lshrrev_b32_e32 v4, 16, v4
	v_cndmask_b32_e32 v4, 0x7fc0, v4, vcc_lo
	s_branch .LBB344_184
.LBB344_179:
	s_mov_b32 s15, -1
                                        ; implicit-def: $vgpr4
	s_branch .LBB344_190
.LBB344_180:
	s_or_saveexec_b32 s19, s19
	v_mov_b32_e32 v5, s15
	s_xor_b32 exec_lo, exec_lo, s19
	s_cbranch_execz .LBB344_164
.LBB344_181:
	v_cmp_ne_u16_e32 vcc_lo, 0, v4
	v_mov_b32_e32 v5, 0
	s_and_not1_b32 s0, s0, exec_lo
	s_and_b32 s15, vcc_lo, exec_lo
	s_delay_alu instid0(SALU_CYCLE_1)
	s_or_b32 s0, s0, s15
	s_or_b32 exec_lo, exec_lo, s19
	s_and_saveexec_b32 s15, s0
	s_cbranch_execnz .LBB344_165
	s_branch .LBB344_166
.LBB344_182:
	s_mov_b32 s0, -1
                                        ; implicit-def: $vgpr4
	s_branch .LBB344_187
.LBB344_183:
	s_mov_b32 s0, -1
                                        ; implicit-def: $vgpr4
.LBB344_184:
	s_delay_alu instid0(SALU_CYCLE_1)
	s_and_b32 vcc_lo, exec_lo, s0
	s_cbranch_vccz .LBB344_186
; %bb.185:
	global_load_u8 v4, v[0:1], off
	s_waitcnt vmcnt(0)
	v_lshlrev_b32_e32 v4, 24, v4
	s_delay_alu instid0(VALU_DEP_1) | instskip(NEXT) | instid1(VALU_DEP_1)
	v_and_b32_e32 v5, 0x7f000000, v4
	v_clz_i32_u32_e32 v6, v5
	v_add_nc_u32_e32 v8, 0x1000000, v5
	v_cmp_ne_u32_e32 vcc_lo, 0, v5
	s_delay_alu instid0(VALU_DEP_3) | instskip(NEXT) | instid1(VALU_DEP_1)
	v_min_u32_e32 v6, 32, v6
	v_sub_nc_u32_e64 v6, v6, 4 clamp
	s_delay_alu instid0(VALU_DEP_1) | instskip(SKIP_1) | instid1(VALU_DEP_2)
	v_lshlrev_b32_e32 v7, v6, v5
	v_lshlrev_b32_e32 v6, 23, v6
	v_lshrrev_b32_e32 v7, 4, v7
	s_delay_alu instid0(VALU_DEP_1) | instskip(SKIP_1) | instid1(VALU_DEP_2)
	v_sub_nc_u32_e32 v6, v7, v6
	v_ashrrev_i32_e32 v7, 8, v8
	v_add_nc_u32_e32 v6, 0x3c000000, v6
	s_delay_alu instid0(VALU_DEP_1) | instskip(NEXT) | instid1(VALU_DEP_1)
	v_and_or_b32 v6, 0x7f800000, v7, v6
	v_cndmask_b32_e32 v5, 0, v6, vcc_lo
	s_delay_alu instid0(VALU_DEP_1) | instskip(SKIP_1) | instid1(VALU_DEP_2)
	v_and_or_b32 v4, 0x80000000, v4, v5
	v_bfe_u32 v5, v5, 16, 1
	v_cmp_o_f32_e32 vcc_lo, v4, v4
	s_delay_alu instid0(VALU_DEP_2) | instskip(NEXT) | instid1(VALU_DEP_1)
	v_add3_u32 v5, v4, v5, 0x7fff
	v_lshrrev_b32_e32 v5, 16, v5
	s_delay_alu instid0(VALU_DEP_1)
	v_cndmask_b32_e32 v4, 0x7fc0, v5, vcc_lo
.LBB344_186:
	s_mov_b32 s0, 0
.LBB344_187:
	s_delay_alu instid0(SALU_CYCLE_1)
	s_and_not1_b32 vcc_lo, exec_lo, s0
	s_cbranch_vccnz .LBB344_189
; %bb.188:
	global_load_u8 v4, v[0:1], off
	s_waitcnt vmcnt(0)
	v_lshlrev_b32_e32 v5, 25, v4
	v_lshlrev_b16 v4, 8, v4
	s_delay_alu instid0(VALU_DEP_2) | instskip(NEXT) | instid1(VALU_DEP_2)
	v_lshrrev_b32_e32 v6, 4, v5
	v_and_or_b32 v7, 0x7f00, v4, 0.5
	v_bfe_i32 v4, v4, 0, 16
	s_delay_alu instid0(VALU_DEP_3) | instskip(NEXT) | instid1(VALU_DEP_1)
	v_or_b32_e32 v6, 0x70000000, v6
	v_dual_add_f32 v7, -0.5, v7 :: v_dual_mul_f32 v6, 0x7800000, v6
	v_cmp_gt_u32_e32 vcc_lo, 0x8000000, v5
	s_delay_alu instid0(VALU_DEP_2) | instskip(NEXT) | instid1(VALU_DEP_1)
	v_cndmask_b32_e32 v5, v6, v7, vcc_lo
	v_and_or_b32 v4, 0x80000000, v4, v5
	v_bfe_u32 v5, v5, 16, 1
	s_delay_alu instid0(VALU_DEP_2) | instskip(NEXT) | instid1(VALU_DEP_2)
	v_cmp_o_f32_e32 vcc_lo, v4, v4
	v_add3_u32 v5, v4, v5, 0x7fff
	s_delay_alu instid0(VALU_DEP_1) | instskip(NEXT) | instid1(VALU_DEP_1)
	v_lshrrev_b32_e32 v5, 16, v5
	v_cndmask_b32_e32 v4, 0x7fc0, v5, vcc_lo
.LBB344_189:
	s_mov_b32 s15, 0
	s_mov_b32 s0, -1
.LBB344_190:
	s_and_not1_b32 vcc_lo, exec_lo, s15
	s_cbranch_vccnz .LBB344_203
; %bb.191:
	v_cmp_lt_i16_e32 vcc_lo, 14, v3
	s_cbranch_vccz .LBB344_194
; %bb.192:
	v_cmp_eq_u16_e32 vcc_lo, 15, v3
	s_cbranch_vccz .LBB344_197
; %bb.193:
	global_load_u16 v4, v[0:1], off
	s_mov_b32 s0, -1
	s_mov_b32 s16, 0
	s_branch .LBB344_198
.LBB344_194:
	s_mov_b32 s15, -1
                                        ; implicit-def: $vgpr4
	s_branch .LBB344_199
.LBB344_195:
	s_or_saveexec_b32 s19, s19
	v_mov_b32_e32 v5, s15
	s_xor_b32 exec_lo, exec_lo, s19
	s_cbranch_execz .LBB344_176
.LBB344_196:
	v_cmp_ne_u16_e32 vcc_lo, 0, v4
	v_mov_b32_e32 v5, 0
	s_and_not1_b32 s0, s0, exec_lo
	s_and_b32 s15, vcc_lo, exec_lo
	s_delay_alu instid0(SALU_CYCLE_1)
	s_or_b32 s0, s0, s15
	s_or_b32 exec_lo, exec_lo, s19
	s_and_saveexec_b32 s15, s0
	s_cbranch_execnz .LBB344_177
	s_branch .LBB344_178
.LBB344_197:
	s_mov_b32 s16, -1
                                        ; implicit-def: $vgpr4
.LBB344_198:
	s_mov_b32 s15, 0
.LBB344_199:
	s_delay_alu instid0(SALU_CYCLE_1)
	s_and_b32 vcc_lo, exec_lo, s15
	s_cbranch_vccz .LBB344_203
; %bb.200:
	v_cmp_eq_u16_e32 vcc_lo, 11, v3
	s_cbranch_vccz .LBB344_202
; %bb.201:
	global_load_u8 v4, v[0:1], off
	s_mov_b32 s16, 0
	s_mov_b32 s0, -1
	s_waitcnt vmcnt(0)
	v_cmp_ne_u16_e32 vcc_lo, 0, v4
	v_cndmask_b32_e64 v4, 0, 1.0, vcc_lo
	s_delay_alu instid0(VALU_DEP_1)
	v_lshrrev_b32_e32 v4, 16, v4
	s_branch .LBB344_203
.LBB344_202:
	s_mov_b32 s16, -1
                                        ; implicit-def: $vgpr4
.LBB344_203:
	s_branch .LBB344_10
.LBB344_204:
	v_cmp_gt_i16_e32 vcc_lo, 5, v3
	s_cbranch_vccnz .LBB344_209
; %bb.205:
	v_cmp_gt_i16_e32 vcc_lo, 8, v3
	s_cbranch_vccnz .LBB344_210
; %bb.206:
	v_cmp_gt_i16_e32 vcc_lo, 9, v3
	s_cbranch_vccnz .LBB344_211
; %bb.207:
	v_cmp_lt_i16_e32 vcc_lo, 9, v3
	s_cbranch_vccz .LBB344_212
; %bb.208:
	global_load_b64 v[4:5], v[0:1], off
	s_mov_b32 s0, 0
	s_waitcnt vmcnt(0)
	v_cvt_f32_f64_e32 v4, v[4:5]
	s_delay_alu instid0(VALU_DEP_1) | instskip(SKIP_1) | instid1(VALU_DEP_2)
	v_bfe_u32 v5, v4, 16, 1
	v_cmp_o_f32_e32 vcc_lo, v4, v4
	v_add3_u32 v5, v4, v5, 0x7fff
	s_delay_alu instid0(VALU_DEP_1) | instskip(NEXT) | instid1(VALU_DEP_1)
	v_lshrrev_b32_e32 v5, 16, v5
	v_cndmask_b32_e32 v4, 0x7fc0, v5, vcc_lo
	s_branch .LBB344_213
.LBB344_209:
                                        ; implicit-def: $vgpr4
	s_branch .LBB344_231
.LBB344_210:
	s_mov_b32 s0, -1
                                        ; implicit-def: $vgpr4
	s_branch .LBB344_219
.LBB344_211:
	s_mov_b32 s0, -1
                                        ; implicit-def: $vgpr4
	s_branch .LBB344_216
.LBB344_212:
	s_mov_b32 s0, -1
                                        ; implicit-def: $vgpr4
.LBB344_213:
	s_delay_alu instid0(SALU_CYCLE_1)
	s_and_not1_b32 vcc_lo, exec_lo, s0
	s_cbranch_vccnz .LBB344_215
; %bb.214:
	global_load_b32 v4, v[0:1], off
	s_waitcnt vmcnt(0)
	v_bfe_u32 v5, v4, 16, 1
	v_cmp_o_f32_e32 vcc_lo, v4, v4
	s_delay_alu instid0(VALU_DEP_2) | instskip(NEXT) | instid1(VALU_DEP_1)
	v_add3_u32 v5, v4, v5, 0x7fff
	v_lshrrev_b32_e32 v5, 16, v5
	s_delay_alu instid0(VALU_DEP_1)
	v_cndmask_b32_e32 v4, 0x7fc0, v5, vcc_lo
.LBB344_215:
	s_mov_b32 s0, 0
.LBB344_216:
	s_delay_alu instid0(SALU_CYCLE_1)
	s_and_not1_b32 vcc_lo, exec_lo, s0
	s_cbranch_vccnz .LBB344_218
; %bb.217:
	global_load_b32 v4, v[0:1], off
	s_waitcnt vmcnt(0)
	v_cvt_f32_f16_e32 v5, v4
	v_cmp_o_f16_e32 vcc_lo, v4, v4
	s_delay_alu instid0(VALU_DEP_2) | instskip(NEXT) | instid1(VALU_DEP_1)
	v_bfe_u32 v6, v5, 16, 1
	v_add3_u32 v5, v5, v6, 0x7fff
	s_delay_alu instid0(VALU_DEP_1) | instskip(NEXT) | instid1(VALU_DEP_1)
	v_lshrrev_b32_e32 v5, 16, v5
	v_cndmask_b32_e32 v4, 0x7fc0, v5, vcc_lo
.LBB344_218:
	s_mov_b32 s0, 0
.LBB344_219:
	s_delay_alu instid0(SALU_CYCLE_1)
	s_and_not1_b32 vcc_lo, exec_lo, s0
	s_cbranch_vccnz .LBB344_230
; %bb.220:
	v_cmp_gt_i16_e32 vcc_lo, 6, v3
	s_cbranch_vccnz .LBB344_223
; %bb.221:
	v_cmp_lt_i16_e32 vcc_lo, 6, v3
	s_cbranch_vccz .LBB344_224
; %bb.222:
	global_load_b64 v[4:5], v[0:1], off
	s_mov_b32 s0, 0
	s_waitcnt vmcnt(0)
	v_cvt_f32_f64_e32 v4, v[4:5]
	s_delay_alu instid0(VALU_DEP_1) | instskip(SKIP_1) | instid1(VALU_DEP_2)
	v_bfe_u32 v5, v4, 16, 1
	v_cmp_o_f32_e32 vcc_lo, v4, v4
	v_add3_u32 v5, v4, v5, 0x7fff
	s_delay_alu instid0(VALU_DEP_1) | instskip(NEXT) | instid1(VALU_DEP_1)
	v_lshrrev_b32_e32 v5, 16, v5
	v_cndmask_b32_e32 v4, 0x7fc0, v5, vcc_lo
	s_branch .LBB344_225
.LBB344_223:
	s_mov_b32 s0, -1
                                        ; implicit-def: $vgpr4
	s_branch .LBB344_228
.LBB344_224:
	s_mov_b32 s0, -1
                                        ; implicit-def: $vgpr4
.LBB344_225:
	s_delay_alu instid0(SALU_CYCLE_1)
	s_and_not1_b32 vcc_lo, exec_lo, s0
	s_cbranch_vccnz .LBB344_227
; %bb.226:
	global_load_b32 v4, v[0:1], off
	s_waitcnt vmcnt(0)
	v_bfe_u32 v5, v4, 16, 1
	v_cmp_o_f32_e32 vcc_lo, v4, v4
	s_delay_alu instid0(VALU_DEP_2) | instskip(NEXT) | instid1(VALU_DEP_1)
	v_add3_u32 v5, v4, v5, 0x7fff
	v_lshrrev_b32_e32 v5, 16, v5
	s_delay_alu instid0(VALU_DEP_1)
	v_cndmask_b32_e32 v4, 0x7fc0, v5, vcc_lo
.LBB344_227:
	s_mov_b32 s0, 0
.LBB344_228:
	s_delay_alu instid0(SALU_CYCLE_1)
	s_and_not1_b32 vcc_lo, exec_lo, s0
	s_cbranch_vccnz .LBB344_230
; %bb.229:
	global_load_u16 v4, v[0:1], off
	s_waitcnt vmcnt(0)
	v_cvt_f32_f16_e32 v5, v4
	v_cmp_o_f16_e32 vcc_lo, v4, v4
	s_delay_alu instid0(VALU_DEP_2) | instskip(NEXT) | instid1(VALU_DEP_1)
	v_bfe_u32 v6, v5, 16, 1
	v_add3_u32 v5, v5, v6, 0x7fff
	s_delay_alu instid0(VALU_DEP_1) | instskip(NEXT) | instid1(VALU_DEP_1)
	v_lshrrev_b32_e32 v5, 16, v5
	v_cndmask_b32_e32 v4, 0x7fc0, v5, vcc_lo
.LBB344_230:
	s_cbranch_execnz .LBB344_250
.LBB344_231:
	v_cmp_gt_i16_e32 vcc_lo, 2, v3
	s_cbranch_vccnz .LBB344_235
; %bb.232:
	v_cmp_gt_i16_e32 vcc_lo, 3, v3
	s_cbranch_vccnz .LBB344_236
; %bb.233:
	v_cmp_lt_i16_e32 vcc_lo, 3, v3
	s_cbranch_vccz .LBB344_237
; %bb.234:
	global_load_b64 v[4:5], v[0:1], off
	s_mov_b32 s0, 0
	s_waitcnt vmcnt(0)
	v_xor_b32_e32 v6, v4, v5
	v_cls_i32_e32 v7, v5
	s_delay_alu instid0(VALU_DEP_2) | instskip(NEXT) | instid1(VALU_DEP_2)
	v_ashrrev_i32_e32 v6, 31, v6
	v_add_nc_u32_e32 v7, -1, v7
	s_delay_alu instid0(VALU_DEP_2) | instskip(NEXT) | instid1(VALU_DEP_1)
	v_add_nc_u32_e32 v6, 32, v6
	v_min_u32_e32 v6, v7, v6
	s_delay_alu instid0(VALU_DEP_1) | instskip(NEXT) | instid1(VALU_DEP_1)
	v_lshlrev_b64 v[4:5], v6, v[4:5]
	v_min_u32_e32 v4, 1, v4
	s_delay_alu instid0(VALU_DEP_1) | instskip(SKIP_1) | instid1(VALU_DEP_2)
	v_or_b32_e32 v4, v5, v4
	v_sub_nc_u32_e32 v5, 32, v6
	v_cvt_f32_i32_e32 v4, v4
	s_delay_alu instid0(VALU_DEP_1) | instskip(NEXT) | instid1(VALU_DEP_1)
	v_ldexp_f32 v4, v4, v5
	v_bfe_u32 v5, v4, 16, 1
	s_delay_alu instid0(VALU_DEP_1) | instskip(NEXT) | instid1(VALU_DEP_1)
	v_add3_u32 v4, v4, v5, 0x7fff
	v_lshrrev_b32_e32 v4, 16, v4
	s_branch .LBB344_238
.LBB344_235:
	s_mov_b32 s0, -1
                                        ; implicit-def: $vgpr4
	s_branch .LBB344_244
.LBB344_236:
	s_mov_b32 s0, -1
                                        ; implicit-def: $vgpr4
	s_branch .LBB344_241
.LBB344_237:
	s_mov_b32 s0, -1
                                        ; implicit-def: $vgpr4
.LBB344_238:
	s_delay_alu instid0(SALU_CYCLE_1)
	s_and_not1_b32 vcc_lo, exec_lo, s0
	s_cbranch_vccnz .LBB344_240
; %bb.239:
	global_load_b32 v4, v[0:1], off
	s_waitcnt vmcnt(0)
	v_cvt_f32_i32_e32 v4, v4
	s_delay_alu instid0(VALU_DEP_1) | instskip(NEXT) | instid1(VALU_DEP_1)
	v_bfe_u32 v5, v4, 16, 1
	v_add3_u32 v4, v4, v5, 0x7fff
	s_delay_alu instid0(VALU_DEP_1)
	v_lshrrev_b32_e32 v4, 16, v4
.LBB344_240:
	s_mov_b32 s0, 0
.LBB344_241:
	s_delay_alu instid0(SALU_CYCLE_1)
	s_and_not1_b32 vcc_lo, exec_lo, s0
	s_cbranch_vccnz .LBB344_243
; %bb.242:
	global_load_i16 v4, v[0:1], off
	s_waitcnt vmcnt(0)
	v_cvt_f32_i32_e32 v4, v4
	s_delay_alu instid0(VALU_DEP_1) | instskip(NEXT) | instid1(VALU_DEP_1)
	v_bfe_u32 v5, v4, 16, 1
	v_add3_u32 v4, v4, v5, 0x7fff
	s_delay_alu instid0(VALU_DEP_1)
	v_lshrrev_b32_e32 v4, 16, v4
.LBB344_243:
	s_mov_b32 s0, 0
.LBB344_244:
	s_delay_alu instid0(SALU_CYCLE_1)
	s_and_not1_b32 vcc_lo, exec_lo, s0
	s_cbranch_vccnz .LBB344_250
; %bb.245:
	v_cmp_lt_i16_e32 vcc_lo, 0, v3
	s_mov_b32 s0, 0
	s_cbranch_vccz .LBB344_247
; %bb.246:
	global_load_i8 v4, v[0:1], off
	s_waitcnt vmcnt(0)
	v_cvt_f32_i32_e32 v4, v4
	s_delay_alu instid0(VALU_DEP_1) | instskip(NEXT) | instid1(VALU_DEP_1)
	v_bfe_u32 v5, v4, 16, 1
	v_add3_u32 v4, v4, v5, 0x7fff
	s_delay_alu instid0(VALU_DEP_1)
	v_lshrrev_b32_e32 v4, 16, v4
	s_branch .LBB344_248
.LBB344_247:
	s_mov_b32 s0, -1
                                        ; implicit-def: $vgpr4
.LBB344_248:
	s_delay_alu instid0(SALU_CYCLE_1)
	s_and_not1_b32 vcc_lo, exec_lo, s0
	s_cbranch_vccnz .LBB344_250
; %bb.249:
	global_load_u8 v0, v[0:1], off
	s_waitcnt vmcnt(0)
	v_cvt_f32_ubyte0_e32 v0, v0
	s_delay_alu instid0(VALU_DEP_1) | instskip(NEXT) | instid1(VALU_DEP_1)
	v_bfe_u32 v1, v0, 16, 1
	v_add3_u32 v0, v0, v1, 0x7fff
	s_delay_alu instid0(VALU_DEP_1)
	v_lshrrev_b32_e32 v4, 16, v0
.LBB344_250:
	s_branch .LBB344_11
.LBB344_251:
	s_mov_b32 s0, 0
.LBB344_252:
	s_mov_b32 s19, 0
                                        ; implicit-def: $vgpr2
.LBB344_253:
	s_and_b32 s15, s0, exec_lo
	s_and_b32 s16, s16, exec_lo
	s_or_not1_b32 s20, s19, exec_lo
.LBB344_254:
	s_or_b32 exec_lo, exec_lo, s17
	s_mov_b32 s19, 0
	s_mov_b32 s0, 0
                                        ; implicit-def: $vgpr0_vgpr1
                                        ; implicit-def: $vgpr4
	s_and_saveexec_b32 s17, s20
	s_cbranch_execz .LBB344_866
; %bb.255:
	s_mov_b32 s22, -1
	s_mov_b32 s18, s16
	s_mov_b32 s19, s15
	s_mov_b32 s20, exec_lo
	v_cmpx_gt_i32_e64 s14, v2
	s_cbranch_execz .LBB344_516
; %bb.256:
	v_mul_lo_u32 v0, v2, s9
	v_cmp_gt_i16_e32 vcc_lo, 11, v3
	s_delay_alu instid0(VALU_DEP_2) | instskip(SKIP_1) | instid1(VALU_DEP_1)
	v_ashrrev_i32_e32 v1, 31, v0
	v_add_co_u32 v0, s0, s6, v0
	v_add_co_ci_u32_e64 v1, s0, s7, v1, s0
	s_cbranch_vccnz .LBB344_263
; %bb.257:
	v_cmp_lt_i16_e32 vcc_lo, 25, v3
	s_cbranch_vccz .LBB344_274
; %bb.258:
	v_cmp_lt_i16_e32 vcc_lo, 28, v3
	s_cbranch_vccz .LBB344_276
	;; [unrolled: 3-line block ×4, first 2 shown]
; %bb.261:
	v_cmp_eq_u16_e32 vcc_lo, 46, v3
	s_mov_b32 s19, 0
	s_cbranch_vccz .LBB344_286
; %bb.262:
	global_load_b32 v4, v[0:1], off
	s_mov_b32 s0, -1
	s_mov_b32 s18, 0
	s_branch .LBB344_288
.LBB344_263:
	s_mov_b32 s0, 0
	s_mov_b32 s18, s16
                                        ; implicit-def: $vgpr4
	s_cbranch_execnz .LBB344_465
.LBB344_264:
	s_and_not1_b32 vcc_lo, exec_lo, s0
	s_cbranch_vccnz .LBB344_513
.LBB344_265:
	s_waitcnt vmcnt(0)
	s_delay_alu instid0(VALU_DEP_1) | instskip(SKIP_1) | instid1(VALU_DEP_1)
	v_lshlrev_b32_e32 v0, 16, v4
	s_mov_b32 s0, exec_lo
	v_cmpx_o_f32_e32 v0, v0
; %bb.266:
	v_cmp_lt_f32_e32 vcc_lo, s13, v0
	v_cndmask_b32_e32 v0, s1, v4, vcc_lo
	s_delay_alu instid0(VALU_DEP_1) | instskip(NEXT) | instid1(VALU_DEP_1)
	v_lshlrev_b32_e32 v1, 16, v0
	v_cmp_gt_f32_e32 vcc_lo, s10, v1
	v_cndmask_b32_e32 v4, s2, v0, vcc_lo
; %bb.267:
	s_or_b32 exec_lo, exec_lo, s0
	v_mul_lo_u32 v0, v2, s8
	v_and_b32_e64 v5, 0xff, s11
	s_delay_alu instid0(VALU_DEP_1) | instskip(NEXT) | instid1(VALU_DEP_3)
	v_cmp_gt_i16_e32 vcc_lo, 11, v5
	v_ashrrev_i32_e32 v1, 31, v0
	v_add_co_u32 v0, s0, s4, v0
	s_delay_alu instid0(VALU_DEP_1)
	v_add_co_ci_u32_e64 v1, s0, s5, v1, s0
	s_cbranch_vccnz .LBB344_275
; %bb.268:
	v_cmp_lt_i16_e32 vcc_lo, 25, v5
	s_cbranch_vccz .LBB344_277
; %bb.269:
	v_cmp_lt_i16_e32 vcc_lo, 28, v5
	s_cbranch_vccz .LBB344_279
	;; [unrolled: 3-line block ×4, first 2 shown]
; %bb.272:
	v_cmp_eq_u16_e32 vcc_lo, 46, v5
	s_mov_b32 s21, 0
	s_mov_b32 s0, -1
	s_mov_b32 s19, 0
	s_cbranch_vccz .LBB344_292
; %bb.273:
	v_and_b32_e32 v6, 0xffff, v4
	s_mov_b32 s19, -1
	s_mov_b32 s0, 0
	global_store_b32 v[0:1], v6, off
	s_branch .LBB344_292
.LBB344_274:
	s_mov_b32 s19, -1
	s_mov_b32 s0, 0
	s_mov_b32 s18, s16
                                        ; implicit-def: $vgpr4
	s_branch .LBB344_429
.LBB344_275:
	s_mov_b32 s21, -1
	s_mov_b32 s19, 0
	s_mov_b32 s0, s15
	s_branch .LBB344_361
.LBB344_276:
	s_mov_b32 s19, -1
	s_mov_b32 s0, 0
	s_mov_b32 s18, s16
                                        ; implicit-def: $vgpr4
	s_branch .LBB344_410
.LBB344_277:
	s_mov_b32 s21, -1
	s_mov_b32 s19, 0
	s_mov_b32 s0, s15
	s_branch .LBB344_319
.LBB344_278:
	s_mov_b32 s19, -1
	s_mov_b32 s0, 0
	s_mov_b32 s18, s16
                                        ; implicit-def: $vgpr4
	s_branch .LBB344_405
.LBB344_279:
	s_mov_b32 s21, -1
	s_mov_b32 s19, 0
	s_mov_b32 s0, s15
	s_branch .LBB344_302
.LBB344_280:
	s_or_saveexec_b32 s20, s20
                                        ; implicit-def: $sgpr21
	s_delay_alu instid0(SALU_CYCLE_1)
	s_xor_b32 exec_lo, exec_lo, s20
	s_cbranch_execz .LBB344_56
.LBB344_281:
	v_add_f32_e64 v7, 0x46000000, |v8|
	s_and_not1_b32 s19, s19, exec_lo
	s_mov_b32 s21, 0
	s_delay_alu instid0(VALU_DEP_1) | instskip(NEXT) | instid1(VALU_DEP_1)
	v_and_b32_e32 v7, 0xff, v7
	v_cmp_ne_u32_e32 vcc_lo, 0, v7
	s_and_b32 s22, vcc_lo, exec_lo
	s_delay_alu instid0(SALU_CYCLE_1)
	s_or_b32 s19, s19, s22
	s_or_b32 exec_lo, exec_lo, s20
	v_mov_b32_e32 v9, s21
	s_and_saveexec_b32 s20, s19
	s_cbranch_execnz .LBB344_57
	s_branch .LBB344_58
.LBB344_282:
	s_mov_b32 s19, -1
	s_mov_b32 s0, 0
	s_mov_b32 s18, s16
	s_branch .LBB344_287
.LBB344_283:
	s_mov_b32 s21, -1
	s_mov_b32 s19, 0
	s_mov_b32 s0, s15
	s_branch .LBB344_298
.LBB344_284:
	s_or_saveexec_b32 s20, s20
                                        ; implicit-def: $sgpr21
	s_delay_alu instid0(SALU_CYCLE_1)
	s_xor_b32 exec_lo, exec_lo, s20
	s_cbranch_execz .LBB344_69
.LBB344_285:
	v_add_f32_e64 v7, 0x42800000, |v8|
	s_and_not1_b32 s19, s19, exec_lo
	s_mov_b32 s21, 0
	s_delay_alu instid0(VALU_DEP_1) | instskip(NEXT) | instid1(VALU_DEP_1)
	v_and_b32_e32 v7, 0xff, v7
	v_cmp_ne_u32_e32 vcc_lo, 0, v7
	s_and_b32 s22, vcc_lo, exec_lo
	s_delay_alu instid0(SALU_CYCLE_1)
	s_or_b32 s19, s19, s22
	s_or_b32 exec_lo, exec_lo, s20
	v_mov_b32_e32 v9, s21
	s_and_saveexec_b32 s20, s19
	s_cbranch_execnz .LBB344_70
	s_branch .LBB344_71
.LBB344_286:
	s_mov_b32 s18, -1
	s_mov_b32 s0, 0
.LBB344_287:
                                        ; implicit-def: $vgpr4
.LBB344_288:
	s_and_b32 vcc_lo, exec_lo, s19
	s_cbranch_vccz .LBB344_404
; %bb.289:
	v_cmp_eq_u16_e32 vcc_lo, 44, v3
	s_cbranch_vccz .LBB344_403
; %bb.290:
	global_load_u8 v4, v[0:1], off
	s_mov_b32 s18, 0
	s_mov_b32 s0, -1
	s_waitcnt vmcnt(0)
	v_lshlrev_b32_e32 v5, 23, v4
	v_cmp_ne_u32_e32 vcc_lo, 0xff, v4
	s_delay_alu instid0(VALU_DEP_2) | instskip(SKIP_1) | instid1(VALU_DEP_2)
	v_cndmask_b32_e32 v5, 0x7f800001, v5, vcc_lo
	v_cmp_ne_u32_e32 vcc_lo, 0, v4
	v_cndmask_b32_e32 v4, 0x400000, v5, vcc_lo
	s_delay_alu instid0(VALU_DEP_1) | instskip(SKIP_1) | instid1(VALU_DEP_2)
	v_add_nc_u32_e32 v5, 0x7fff, v4
	v_cmp_o_f32_e32 vcc_lo, v4, v4
	v_lshrrev_b32_e32 v5, 16, v5
	s_delay_alu instid0(VALU_DEP_1)
	v_cndmask_b32_e32 v4, 0x7fc0, v5, vcc_lo
	s_branch .LBB344_404
.LBB344_291:
	s_mov_b32 s21, -1
	s_mov_b32 s19, 0
	s_mov_b32 s0, s15
.LBB344_292:
	s_and_b32 vcc_lo, exec_lo, s21
	s_cbranch_vccz .LBB344_297
; %bb.293:
	v_cmp_eq_u16_e32 vcc_lo, 44, v5
	s_mov_b32 s0, -1
	s_cbranch_vccz .LBB344_297
; %bb.294:
	v_and_b32_e32 v6, 0xffff, v4
	v_mov_b32_e32 v7, 0xff
	s_mov_b32 s19, exec_lo
	s_delay_alu instid0(VALU_DEP_2) | instskip(NEXT) | instid1(VALU_DEP_1)
	v_bfe_u32 v8, v6, 7, 8
	v_cmpx_ne_u32_e32 0xff, v8
; %bb.295:
	v_lshlrev_b32_e32 v7, 16, v6
	v_and_b32_e32 v9, 64, v6
	v_lshrrev_b32_e32 v6, 7, v6
	s_delay_alu instid0(VALU_DEP_3) | instskip(NEXT) | instid1(VALU_DEP_3)
	v_and_or_b32 v7, 0x3f0000, v7, v8
	v_cmp_ne_u32_e32 vcc_lo, 0, v9
	s_delay_alu instid0(VALU_DEP_2) | instskip(NEXT) | instid1(VALU_DEP_1)
	v_cmp_ne_u32_e64 s0, 0, v7
	s_and_b32 s0, vcc_lo, s0
	s_delay_alu instid0(SALU_CYCLE_1) | instskip(NEXT) | instid1(VALU_DEP_1)
	v_cndmask_b32_e64 v7, 0, 1, s0
	v_add_nc_u32_e32 v7, v6, v7
; %bb.296:
	s_or_b32 exec_lo, exec_lo, s19
	s_mov_b32 s19, -1
	s_mov_b32 s0, 0
	global_store_b8 v[0:1], v7, off
.LBB344_297:
	s_mov_b32 s21, 0
.LBB344_298:
	s_delay_alu instid0(SALU_CYCLE_1)
	s_and_b32 vcc_lo, exec_lo, s21
	s_cbranch_vccz .LBB344_301
; %bb.299:
	v_cmp_eq_u16_e32 vcc_lo, 29, v5
	s_mov_b32 s0, -1
	s_cbranch_vccz .LBB344_301
; %bb.300:
	v_lshlrev_b32_e32 v6, 16, v4
	s_mov_b32 s19, -1
	s_mov_b32 s0, 0
	s_mov_b32 s21, 0
	s_delay_alu instid0(VALU_DEP_1) | instskip(NEXT) | instid1(VALU_DEP_1)
	v_trunc_f32_e32 v6, v6
	v_mul_f32_e32 v7, 0x2f800000, v6
	s_delay_alu instid0(VALU_DEP_1) | instskip(NEXT) | instid1(VALU_DEP_1)
	v_floor_f32_e32 v7, v7
	v_fmamk_f32 v6, v7, 0xcf800000, v6
	v_cvt_u32_f32_e32 v7, v7
	s_delay_alu instid0(VALU_DEP_2)
	v_cvt_u32_f32_e32 v6, v6
	global_store_b64 v[0:1], v[6:7], off
	s_branch .LBB344_302
.LBB344_301:
	s_mov_b32 s21, 0
.LBB344_302:
	s_delay_alu instid0(SALU_CYCLE_1)
	s_and_b32 vcc_lo, exec_lo, s21
	s_cbranch_vccz .LBB344_318
; %bb.303:
	v_cmp_gt_i16_e32 vcc_lo, 27, v5
	s_mov_b32 s19, -1
	s_cbranch_vccnz .LBB344_309
; %bb.304:
	v_cmp_lt_i16_e32 vcc_lo, 27, v5
	s_cbranch_vccz .LBB344_306
; %bb.305:
	v_lshlrev_b32_e32 v6, 16, v4
	s_mov_b32 s19, 0
	s_delay_alu instid0(VALU_DEP_1)
	v_cvt_u32_f32_e32 v6, v6
	global_store_b32 v[0:1], v6, off
.LBB344_306:
	s_and_not1_b32 vcc_lo, exec_lo, s19
	s_cbranch_vccnz .LBB344_308
; %bb.307:
	v_lshlrev_b32_e32 v6, 16, v4
	s_delay_alu instid0(VALU_DEP_1)
	v_cvt_u32_f32_e32 v6, v6
	global_store_b16 v[0:1], v6, off
.LBB344_308:
	s_mov_b32 s19, 0
.LBB344_309:
	s_delay_alu instid0(SALU_CYCLE_1)
	s_and_not1_b32 vcc_lo, exec_lo, s19
	s_cbranch_vccnz .LBB344_317
; %bb.310:
	v_dual_mov_b32 v9, 0x80 :: v_dual_lshlrev_b32 v8, 16, v4
	s_mov_b32 s19, exec_lo
	s_delay_alu instid0(VALU_DEP_1) | instskip(NEXT) | instid1(VALU_DEP_1)
	v_and_b32_e32 v7, 0x7fffffff, v8
	v_cmpx_gt_u32_e32 0x43800000, v7
	s_cbranch_execz .LBB344_316
; %bb.311:
	v_and_b32_e32 v6, 0xffff, v4
	v_cmp_lt_u32_e32 vcc_lo, 0x3bffffff, v7
	s_mov_b32 s21, 0
                                        ; implicit-def: $vgpr7
	s_and_saveexec_b32 s22, vcc_lo
	s_delay_alu instid0(SALU_CYCLE_1)
	s_xor_b32 s22, exec_lo, s22
	s_cbranch_execz .LBB344_529
; %bb.312:
	v_bfe_u32 v7, v6, 4, 1
	s_mov_b32 s21, exec_lo
	s_delay_alu instid0(VALU_DEP_1) | instskip(NEXT) | instid1(VALU_DEP_1)
	v_add3_u32 v7, v8, v7, 0x487ffff
                                        ; implicit-def: $vgpr8
	v_lshrrev_b32_e32 v7, 20, v7
	s_or_saveexec_b32 s22, s22
                                        ; implicit-def: $sgpr23
	s_delay_alu instid0(SALU_CYCLE_1)
	s_xor_b32 exec_lo, exec_lo, s22
	s_cbranch_execnz .LBB344_530
.LBB344_313:
	s_or_b32 exec_lo, exec_lo, s22
	v_mov_b32_e32 v9, s23
	s_and_saveexec_b32 s22, s21
.LBB344_314:
	v_lshrrev_b32_e32 v6, 8, v6
	s_delay_alu instid0(VALU_DEP_1)
	v_and_or_b32 v9, 0x80, v6, v7
.LBB344_315:
	s_or_b32 exec_lo, exec_lo, s22
.LBB344_316:
	s_delay_alu instid0(SALU_CYCLE_1)
	s_or_b32 exec_lo, exec_lo, s19
	global_store_b8 v[0:1], v9, off
.LBB344_317:
	s_mov_b32 s19, -1
.LBB344_318:
	s_mov_b32 s21, 0
.LBB344_319:
	s_delay_alu instid0(SALU_CYCLE_1)
	s_and_b32 vcc_lo, exec_lo, s21
	s_cbranch_vccz .LBB344_360
; %bb.320:
	v_cmp_lt_i16_e32 vcc_lo, 22, v5
	s_mov_b32 s21, -1
	s_cbranch_vccz .LBB344_352
; %bb.321:
	v_cmp_gt_i16_e32 vcc_lo, 24, v5
	s_mov_b32 s19, -1
	s_cbranch_vccnz .LBB344_341
; %bb.322:
	v_cmp_lt_i16_e32 vcc_lo, 24, v5
	s_cbranch_vccz .LBB344_330
; %bb.323:
	v_dual_mov_b32 v9, 0x80 :: v_dual_lshlrev_b32 v8, 16, v4
	s_mov_b32 s19, exec_lo
	s_delay_alu instid0(VALU_DEP_1) | instskip(NEXT) | instid1(VALU_DEP_1)
	v_and_b32_e32 v7, 0x7fffffff, v8
	v_cmpx_gt_u32_e32 0x47800000, v7
	s_cbranch_execz .LBB344_329
; %bb.324:
	v_and_b32_e32 v6, 0xffff, v4
	v_cmp_lt_u32_e32 vcc_lo, 0x37ffffff, v7
	s_mov_b32 s21, 0
                                        ; implicit-def: $vgpr7
	s_and_saveexec_b32 s22, vcc_lo
	s_delay_alu instid0(SALU_CYCLE_1)
	s_xor_b32 s22, exec_lo, s22
	s_cbranch_execz .LBB344_532
; %bb.325:
	v_bfe_u32 v7, v6, 5, 1
	s_mov_b32 s21, exec_lo
	s_delay_alu instid0(VALU_DEP_1) | instskip(NEXT) | instid1(VALU_DEP_1)
	v_add3_u32 v7, v8, v7, 0x88fffff
                                        ; implicit-def: $vgpr8
	v_lshrrev_b32_e32 v7, 21, v7
	s_or_saveexec_b32 s22, s22
                                        ; implicit-def: $sgpr23
	s_delay_alu instid0(SALU_CYCLE_1)
	s_xor_b32 exec_lo, exec_lo, s22
	s_cbranch_execnz .LBB344_533
.LBB344_326:
	s_or_b32 exec_lo, exec_lo, s22
	v_mov_b32_e32 v9, s23
	s_and_saveexec_b32 s22, s21
.LBB344_327:
	v_lshrrev_b32_e32 v6, 8, v6
	s_delay_alu instid0(VALU_DEP_1)
	v_and_or_b32 v9, 0x80, v6, v7
.LBB344_328:
	s_or_b32 exec_lo, exec_lo, s22
.LBB344_329:
	s_delay_alu instid0(SALU_CYCLE_1)
	s_or_b32 exec_lo, exec_lo, s19
	s_mov_b32 s19, 0
	global_store_b8 v[0:1], v9, off
.LBB344_330:
	s_and_b32 vcc_lo, exec_lo, s19
	s_cbranch_vccz .LBB344_340
; %bb.331:
	v_lshlrev_b32_e32 v8, 16, v4
	v_and_b32_e32 v6, 0xffff, v4
	s_mov_b32 s19, exec_lo
                                        ; implicit-def: $vgpr7
	s_delay_alu instid0(VALU_DEP_2) | instskip(NEXT) | instid1(VALU_DEP_1)
	v_and_b32_e32 v9, 0x7fffffff, v8
	v_cmpx_gt_u32_e32 0x43f00000, v9
	s_xor_b32 s19, exec_lo, s19
	s_cbranch_execz .LBB344_337
; %bb.332:
	s_mov_b32 s21, exec_lo
                                        ; implicit-def: $vgpr7
	v_cmpx_lt_u32_e32 0x3c7fffff, v9
	s_xor_b32 s21, exec_lo, s21
; %bb.333:
	v_bfe_u32 v7, v6, 4, 1
	s_delay_alu instid0(VALU_DEP_1) | instskip(NEXT) | instid1(VALU_DEP_1)
	v_add3_u32 v7, v8, v7, 0x407ffff
	v_and_b32_e32 v8, 0xff00000, v7
	v_lshrrev_b32_e32 v7, 20, v7
	s_delay_alu instid0(VALU_DEP_2) | instskip(NEXT) | instid1(VALU_DEP_2)
	v_cmp_ne_u32_e32 vcc_lo, 0x7f00000, v8
                                        ; implicit-def: $vgpr8
	v_cndmask_b32_e32 v7, 0x7e, v7, vcc_lo
; %bb.334:
	s_and_not1_saveexec_b32 s21, s21
; %bb.335:
	v_add_f32_e64 v7, 0x46800000, |v8|
; %bb.336:
	s_or_b32 exec_lo, exec_lo, s21
                                        ; implicit-def: $vgpr9
.LBB344_337:
	s_and_not1_saveexec_b32 s19, s19
; %bb.338:
	v_mov_b32_e32 v7, 0x7f
	v_cmp_lt_u32_e32 vcc_lo, 0x7f800000, v9
	s_delay_alu instid0(VALU_DEP_2)
	v_cndmask_b32_e32 v7, 0x7e, v7, vcc_lo
; %bb.339:
	s_or_b32 exec_lo, exec_lo, s19
	v_lshrrev_b32_e32 v6, 8, v6
	s_delay_alu instid0(VALU_DEP_1)
	v_and_or_b32 v6, 0x80, v6, v7
	global_store_b8 v[0:1], v6, off
.LBB344_340:
	s_mov_b32 s19, 0
.LBB344_341:
	s_delay_alu instid0(SALU_CYCLE_1)
	s_and_not1_b32 vcc_lo, exec_lo, s19
	s_cbranch_vccnz .LBB344_351
; %bb.342:
	v_lshlrev_b32_e32 v8, 16, v4
	v_and_b32_e32 v6, 0xffff, v4
	s_mov_b32 s19, exec_lo
                                        ; implicit-def: $vgpr7
	s_delay_alu instid0(VALU_DEP_2) | instskip(NEXT) | instid1(VALU_DEP_1)
	v_and_b32_e32 v9, 0x7fffffff, v8
	v_cmpx_gt_u32_e32 0x47800000, v9
	s_xor_b32 s19, exec_lo, s19
	s_cbranch_execz .LBB344_348
; %bb.343:
	s_mov_b32 s21, exec_lo
                                        ; implicit-def: $vgpr7
	v_cmpx_lt_u32_e32 0x387fffff, v9
	s_xor_b32 s21, exec_lo, s21
; %bb.344:
	v_bfe_u32 v7, v6, 5, 1
	s_delay_alu instid0(VALU_DEP_1) | instskip(NEXT) | instid1(VALU_DEP_1)
	v_add3_u32 v7, v8, v7, 0x80fffff
                                        ; implicit-def: $vgpr8
	v_lshrrev_b32_e32 v7, 21, v7
; %bb.345:
	s_and_not1_saveexec_b32 s21, s21
; %bb.346:
	v_add_f32_e64 v7, 0x43000000, |v8|
; %bb.347:
	s_or_b32 exec_lo, exec_lo, s21
                                        ; implicit-def: $vgpr9
.LBB344_348:
	s_and_not1_saveexec_b32 s19, s19
; %bb.349:
	v_mov_b32_e32 v7, 0x7f
	v_cmp_lt_u32_e32 vcc_lo, 0x7f800000, v9
	s_delay_alu instid0(VALU_DEP_2)
	v_cndmask_b32_e32 v7, 0x7c, v7, vcc_lo
; %bb.350:
	s_or_b32 exec_lo, exec_lo, s19
	v_lshrrev_b32_e32 v6, 8, v6
	s_delay_alu instid0(VALU_DEP_1)
	v_and_or_b32 v6, 0x80, v6, v7
	global_store_b8 v[0:1], v6, off
.LBB344_351:
	s_mov_b32 s21, 0
	s_mov_b32 s19, -1
.LBB344_352:
	s_and_not1_b32 vcc_lo, exec_lo, s21
	s_cbranch_vccnz .LBB344_360
; %bb.353:
	v_cmp_lt_i16_e32 vcc_lo, 14, v5
	s_mov_b32 s21, -1
	s_cbranch_vccz .LBB344_357
; %bb.354:
	v_cmp_eq_u16_e32 vcc_lo, 15, v5
	s_mov_b32 s0, -1
	s_cbranch_vccz .LBB344_356
; %bb.355:
	s_mov_b32 s19, -1
	s_mov_b32 s0, 0
	global_store_b16 v[0:1], v4, off
.LBB344_356:
	s_mov_b32 s21, 0
.LBB344_357:
	s_delay_alu instid0(SALU_CYCLE_1)
	s_and_b32 vcc_lo, exec_lo, s21
	s_cbranch_vccz .LBB344_360
; %bb.358:
	v_cmp_eq_u16_e32 vcc_lo, 11, v5
	s_mov_b32 s0, -1
	s_cbranch_vccz .LBB344_360
; %bb.359:
	v_and_b32_e32 v6, 0x7fff, v4
	s_mov_b32 s0, 0
	s_mov_b32 s19, -1
	s_delay_alu instid0(VALU_DEP_1)
	v_cmp_ne_u16_e32 vcc_lo, 0, v6
	v_cndmask_b32_e64 v6, 0, 1, vcc_lo
	global_store_b8 v[0:1], v6, off
.LBB344_360:
	s_mov_b32 s21, 0
.LBB344_361:
	s_delay_alu instid0(SALU_CYCLE_1)
	s_and_b32 vcc_lo, exec_lo, s21
	s_cbranch_vccz .LBB344_400
; %bb.362:
	v_cmp_gt_i16_e32 vcc_lo, 5, v5
	s_mov_b32 s19, -1
	s_cbranch_vccnz .LBB344_383
; %bb.363:
	v_cmp_gt_i16_e32 vcc_lo, 8, v5
	s_cbranch_vccnz .LBB344_373
; %bb.364:
	v_cmp_gt_i16_e32 vcc_lo, 9, v5
	s_cbranch_vccnz .LBB344_370
; %bb.365:
	v_cmp_lt_i16_e32 vcc_lo, 9, v5
	s_cbranch_vccz .LBB344_367
; %bb.366:
	v_mov_b32_e32 v8, 0
	v_lshlrev_b32_e32 v6, 16, v4
	s_mov_b32 s19, 0
	s_delay_alu instid0(VALU_DEP_2) | instskip(NEXT) | instid1(VALU_DEP_2)
	v_mov_b32_e32 v9, v8
	v_cvt_f64_f32_e32 v[6:7], v6
	global_store_b128 v[0:1], v[6:9], off
.LBB344_367:
	s_and_not1_b32 vcc_lo, exec_lo, s19
	s_cbranch_vccnz .LBB344_369
; %bb.368:
	v_dual_mov_b32 v7, 0 :: v_dual_lshlrev_b32 v6, 16, v4
	global_store_b64 v[0:1], v[6:7], off
.LBB344_369:
	s_mov_b32 s19, 0
.LBB344_370:
	s_delay_alu instid0(SALU_CYCLE_1)
	s_and_not1_b32 vcc_lo, exec_lo, s19
	s_cbranch_vccnz .LBB344_372
; %bb.371:
	v_lshlrev_b32_e32 v6, 16, v4
	s_delay_alu instid0(VALU_DEP_1) | instskip(NEXT) | instid1(VALU_DEP_1)
	v_cvt_f16_f32_e32 v6, v6
	v_and_b32_e32 v6, 0xffff, v6
	global_store_b32 v[0:1], v6, off
.LBB344_372:
	s_mov_b32 s19, 0
.LBB344_373:
	s_delay_alu instid0(SALU_CYCLE_1)
	s_and_not1_b32 vcc_lo, exec_lo, s19
	s_cbranch_vccnz .LBB344_382
; %bb.374:
	v_cmp_gt_i16_e32 vcc_lo, 6, v5
	s_mov_b32 s19, -1
	s_cbranch_vccnz .LBB344_380
; %bb.375:
	v_cmp_lt_i16_e32 vcc_lo, 6, v5
	s_cbranch_vccz .LBB344_377
; %bb.376:
	v_lshlrev_b32_e32 v6, 16, v4
	s_mov_b32 s19, 0
	s_delay_alu instid0(VALU_DEP_1)
	v_cvt_f64_f32_e32 v[6:7], v6
	global_store_b64 v[0:1], v[6:7], off
.LBB344_377:
	s_and_not1_b32 vcc_lo, exec_lo, s19
	s_cbranch_vccnz .LBB344_379
; %bb.378:
	v_lshlrev_b32_e32 v6, 16, v4
	global_store_b32 v[0:1], v6, off
.LBB344_379:
	s_mov_b32 s19, 0
.LBB344_380:
	s_delay_alu instid0(SALU_CYCLE_1)
	s_and_not1_b32 vcc_lo, exec_lo, s19
	s_cbranch_vccnz .LBB344_382
; %bb.381:
	v_lshlrev_b32_e32 v6, 16, v4
	s_delay_alu instid0(VALU_DEP_1)
	v_cvt_f16_f32_e32 v6, v6
	global_store_b16 v[0:1], v6, off
.LBB344_382:
	s_mov_b32 s19, 0
.LBB344_383:
	s_delay_alu instid0(SALU_CYCLE_1)
	s_and_not1_b32 vcc_lo, exec_lo, s19
	s_cbranch_vccnz .LBB344_399
; %bb.384:
	v_cmp_gt_i16_e32 vcc_lo, 2, v5
	s_mov_b32 s19, -1
	s_cbranch_vccnz .LBB344_394
; %bb.385:
	v_cmp_gt_i16_e32 vcc_lo, 3, v5
	s_cbranch_vccnz .LBB344_391
; %bb.386:
	v_cmp_lt_i16_e32 vcc_lo, 3, v5
	s_cbranch_vccz .LBB344_388
; %bb.387:
	v_lshlrev_b32_e32 v6, 16, v4
	s_mov_b32 s19, 0
	s_delay_alu instid0(VALU_DEP_1) | instskip(NEXT) | instid1(VALU_DEP_1)
	v_trunc_f32_e32 v6, v6
	v_mul_f32_e64 v7, 0x2f800000, |v6|
	v_ashrrev_i32_e32 v9, 31, v6
	s_delay_alu instid0(VALU_DEP_2) | instskip(NEXT) | instid1(VALU_DEP_1)
	v_floor_f32_e32 v7, v7
	v_fma_f32 v8, 0xcf800000, v7, |v6|
	v_cvt_u32_f32_e32 v7, v7
	s_delay_alu instid0(VALU_DEP_2) | instskip(NEXT) | instid1(VALU_DEP_2)
	v_cvt_u32_f32_e32 v6, v8
	v_xor_b32_e32 v7, v7, v9
	s_delay_alu instid0(VALU_DEP_2) | instskip(NEXT) | instid1(VALU_DEP_1)
	v_xor_b32_e32 v6, v6, v9
	v_sub_co_u32 v6, vcc_lo, v6, v9
	s_delay_alu instid0(VALU_DEP_3)
	v_sub_co_ci_u32_e32 v7, vcc_lo, v7, v9, vcc_lo
	global_store_b64 v[0:1], v[6:7], off
.LBB344_388:
	s_and_not1_b32 vcc_lo, exec_lo, s19
	s_cbranch_vccnz .LBB344_390
; %bb.389:
	v_lshlrev_b32_e32 v6, 16, v4
	s_delay_alu instid0(VALU_DEP_1)
	v_cvt_i32_f32_e32 v6, v6
	global_store_b32 v[0:1], v6, off
.LBB344_390:
	s_mov_b32 s19, 0
.LBB344_391:
	s_delay_alu instid0(SALU_CYCLE_1)
	s_and_not1_b32 vcc_lo, exec_lo, s19
	s_cbranch_vccnz .LBB344_393
; %bb.392:
	v_lshlrev_b32_e32 v6, 16, v4
	s_delay_alu instid0(VALU_DEP_1)
	v_cvt_i32_f32_e32 v6, v6
	global_store_b16 v[0:1], v6, off
.LBB344_393:
	s_mov_b32 s19, 0
.LBB344_394:
	s_delay_alu instid0(SALU_CYCLE_1)
	s_and_not1_b32 vcc_lo, exec_lo, s19
	s_cbranch_vccnz .LBB344_399
; %bb.395:
	v_cmp_lt_i16_e32 vcc_lo, 0, v5
	s_mov_b32 s19, -1
	s_cbranch_vccz .LBB344_397
; %bb.396:
	v_lshlrev_b32_e32 v5, 16, v4
	s_mov_b32 s19, 0
	s_delay_alu instid0(VALU_DEP_1)
	v_cvt_i32_f32_e32 v5, v5
	global_store_b8 v[0:1], v5, off
.LBB344_397:
	s_and_not1_b32 vcc_lo, exec_lo, s19
	s_cbranch_vccnz .LBB344_399
; %bb.398:
	v_lshlrev_b32_e32 v4, 16, v4
	s_delay_alu instid0(VALU_DEP_1) | instskip(NEXT) | instid1(VALU_DEP_1)
	v_trunc_f32_e32 v4, v4
	v_mul_f32_e64 v5, 0x2f800000, |v4|
	s_delay_alu instid0(VALU_DEP_1) | instskip(NEXT) | instid1(VALU_DEP_1)
	v_floor_f32_e32 v5, v5
	v_fma_f32 v5, 0xcf800000, v5, |v4|
	v_ashrrev_i32_e32 v4, 31, v4
	s_delay_alu instid0(VALU_DEP_2) | instskip(NEXT) | instid1(VALU_DEP_1)
	v_cvt_u32_f32_e32 v5, v5
	v_xor_b32_e32 v5, v5, v4
	s_delay_alu instid0(VALU_DEP_1)
	v_sub_nc_u32_e32 v4, v5, v4
	global_store_b8 v[0:1], v4, off
.LBB344_399:
	s_mov_b32 s19, -1
.LBB344_400:
	s_delay_alu instid0(SALU_CYCLE_1)
	s_and_not1_b32 vcc_lo, exec_lo, s19
	s_cbranch_vccnz .LBB344_402
; %bb.401:
	v_add_nc_u32_e32 v2, 0x80, v2
	s_mov_b32 s21, -1
	s_branch .LBB344_515
.LBB344_402:
	s_mov_b32 s21, 0
	s_branch .LBB344_514
.LBB344_403:
	s_mov_b32 s18, -1
                                        ; implicit-def: $vgpr4
.LBB344_404:
	s_mov_b32 s19, 0
.LBB344_405:
	s_delay_alu instid0(SALU_CYCLE_1)
	s_and_b32 vcc_lo, exec_lo, s19
	s_cbranch_vccz .LBB344_409
; %bb.406:
	v_cmp_eq_u16_e32 vcc_lo, 29, v3
	s_cbranch_vccz .LBB344_408
; %bb.407:
	global_load_b64 v[4:5], v[0:1], off
	s_mov_b32 s0, -1
	s_mov_b32 s18, 0
	s_mov_b32 s19, 0
	s_waitcnt vmcnt(0)
	v_clz_i32_u32_e32 v6, v5
	s_delay_alu instid0(VALU_DEP_1) | instskip(NEXT) | instid1(VALU_DEP_1)
	v_min_u32_e32 v6, 32, v6
	v_lshlrev_b64 v[4:5], v6, v[4:5]
	s_delay_alu instid0(VALU_DEP_1) | instskip(NEXT) | instid1(VALU_DEP_1)
	v_min_u32_e32 v4, 1, v4
	v_or_b32_e32 v4, v5, v4
	v_sub_nc_u32_e32 v5, 32, v6
	s_delay_alu instid0(VALU_DEP_2) | instskip(NEXT) | instid1(VALU_DEP_1)
	v_cvt_f32_u32_e32 v4, v4
	v_ldexp_f32 v4, v4, v5
	s_delay_alu instid0(VALU_DEP_1) | instskip(NEXT) | instid1(VALU_DEP_1)
	v_bfe_u32 v5, v4, 16, 1
	v_add3_u32 v4, v4, v5, 0x7fff
	s_delay_alu instid0(VALU_DEP_1)
	v_lshrrev_b32_e32 v4, 16, v4
	s_branch .LBB344_410
.LBB344_408:
	s_mov_b32 s18, -1
                                        ; implicit-def: $vgpr4
.LBB344_409:
	s_mov_b32 s19, 0
.LBB344_410:
	s_delay_alu instid0(SALU_CYCLE_1)
	s_and_b32 vcc_lo, exec_lo, s19
	s_cbranch_vccz .LBB344_428
; %bb.411:
	v_cmp_gt_i16_e32 vcc_lo, 27, v3
	s_cbranch_vccnz .LBB344_414
; %bb.412:
	v_cmp_lt_i16_e32 vcc_lo, 27, v3
	s_cbranch_vccz .LBB344_415
; %bb.413:
	global_load_b32 v4, v[0:1], off
	s_mov_b32 s0, 0
	s_waitcnt vmcnt(0)
	v_cvt_f32_u32_e32 v4, v4
	s_delay_alu instid0(VALU_DEP_1) | instskip(NEXT) | instid1(VALU_DEP_1)
	v_bfe_u32 v5, v4, 16, 1
	v_add3_u32 v4, v4, v5, 0x7fff
	s_delay_alu instid0(VALU_DEP_1)
	v_lshrrev_b32_e32 v4, 16, v4
	s_branch .LBB344_416
.LBB344_414:
	s_mov_b32 s0, -1
                                        ; implicit-def: $vgpr4
	s_branch .LBB344_419
.LBB344_415:
	s_mov_b32 s0, -1
                                        ; implicit-def: $vgpr4
.LBB344_416:
	s_delay_alu instid0(SALU_CYCLE_1)
	s_and_not1_b32 vcc_lo, exec_lo, s0
	s_cbranch_vccnz .LBB344_418
; %bb.417:
	global_load_u16 v4, v[0:1], off
	s_waitcnt vmcnt(0)
	v_cvt_f32_u32_e32 v4, v4
	s_delay_alu instid0(VALU_DEP_1) | instskip(NEXT) | instid1(VALU_DEP_1)
	v_bfe_u32 v5, v4, 16, 1
	v_add3_u32 v4, v4, v5, 0x7fff
	s_delay_alu instid0(VALU_DEP_1)
	v_lshrrev_b32_e32 v4, 16, v4
.LBB344_418:
	s_mov_b32 s0, 0
.LBB344_419:
	s_delay_alu instid0(SALU_CYCLE_1)
	s_and_not1_b32 vcc_lo, exec_lo, s0
	s_cbranch_vccnz .LBB344_427
; %bb.420:
	global_load_u8 v4, v[0:1], off
	s_mov_b32 s0, 0
	s_mov_b32 s21, exec_lo
                                        ; implicit-def: $sgpr19
	s_waitcnt vmcnt(0)
	v_cmpx_lt_i16_e32 0x7f, v4
	s_xor_b32 s21, exec_lo, s21
	s_cbranch_execz .LBB344_441
; %bb.421:
	s_mov_b32 s0, -1
	s_mov_b32 s22, exec_lo
                                        ; implicit-def: $sgpr19
	v_cmpx_eq_u16_e32 0x80, v4
; %bb.422:
	s_mov_b32 s19, 0x7f800001
	s_xor_b32 s0, exec_lo, -1
; %bb.423:
	s_or_b32 exec_lo, exec_lo, s22
	s_delay_alu instid0(SALU_CYCLE_1)
	s_and_b32 s0, s0, exec_lo
	s_or_saveexec_b32 s21, s21
	v_mov_b32_e32 v5, s19
	s_xor_b32 exec_lo, exec_lo, s21
	s_cbranch_execnz .LBB344_442
.LBB344_424:
	s_or_b32 exec_lo, exec_lo, s21
	s_and_saveexec_b32 s19, s0
	s_cbranch_execz .LBB344_426
.LBB344_425:
	v_and_b32_e32 v5, 0xffff, v4
	v_lshlrev_b32_e32 v4, 24, v4
	s_delay_alu instid0(VALU_DEP_2) | instskip(NEXT) | instid1(VALU_DEP_2)
	v_and_b32_e32 v6, 7, v5
	v_and_b32_e32 v4, 0x80000000, v4
	s_delay_alu instid0(VALU_DEP_2) | instskip(NEXT) | instid1(VALU_DEP_1)
	v_clz_i32_u32_e32 v7, v6
	v_min_u32_e32 v7, 32, v7
	s_delay_alu instid0(VALU_DEP_1) | instskip(SKIP_1) | instid1(VALU_DEP_2)
	v_subrev_nc_u32_e32 v8, 28, v7
	v_sub_nc_u32_e32 v7, 29, v7
	v_lshlrev_b32_e32 v8, v8, v5
	v_bfe_u32 v5, v5, 3, 4
	s_delay_alu instid0(VALU_DEP_2) | instskip(NEXT) | instid1(VALU_DEP_2)
	v_and_b32_e32 v8, 7, v8
	v_cmp_eq_u32_e32 vcc_lo, 0, v5
	s_delay_alu instid0(VALU_DEP_2) | instskip(NEXT) | instid1(VALU_DEP_1)
	v_dual_cndmask_b32 v5, v5, v7 :: v_dual_cndmask_b32 v6, v6, v8
	v_lshl_add_u32 v5, v5, 23, 0x3b800000
	s_delay_alu instid0(VALU_DEP_2) | instskip(NEXT) | instid1(VALU_DEP_1)
	v_lshlrev_b32_e32 v6, 20, v6
	v_or3_b32 v5, v4, v5, v6
.LBB344_426:
	s_or_b32 exec_lo, exec_lo, s19
	s_delay_alu instid0(VALU_DEP_1) | instskip(SKIP_1) | instid1(VALU_DEP_2)
	v_bfe_u32 v4, v5, 16, 1
	v_cmp_o_f32_e32 vcc_lo, v5, v5
	v_add3_u32 v4, v5, v4, 0x7fff
	s_delay_alu instid0(VALU_DEP_1) | instskip(NEXT) | instid1(VALU_DEP_1)
	v_lshrrev_b32_e32 v4, 16, v4
	v_cndmask_b32_e32 v4, 0x7fc0, v4, vcc_lo
.LBB344_427:
	s_mov_b32 s0, -1
.LBB344_428:
	s_mov_b32 s19, 0
.LBB344_429:
	s_delay_alu instid0(SALU_CYCLE_1)
	s_and_b32 vcc_lo, exec_lo, s19
	s_cbranch_vccz .LBB344_464
; %bb.430:
	v_cmp_lt_i16_e32 vcc_lo, 22, v3
	s_cbranch_vccz .LBB344_440
; %bb.431:
	v_cmp_gt_i16_e32 vcc_lo, 24, v3
	s_cbranch_vccnz .LBB344_443
; %bb.432:
	v_cmp_lt_i16_e32 vcc_lo, 24, v3
	s_cbranch_vccz .LBB344_444
; %bb.433:
	global_load_u8 v4, v[0:1], off
	s_mov_b32 s0, 0
	s_mov_b32 s21, exec_lo
                                        ; implicit-def: $sgpr19
	s_waitcnt vmcnt(0)
	v_cmpx_lt_i16_e32 0x7f, v4
	s_xor_b32 s21, exec_lo, s21
	s_cbranch_execz .LBB344_456
; %bb.434:
	s_mov_b32 s0, -1
	s_mov_b32 s22, exec_lo
                                        ; implicit-def: $sgpr19
	v_cmpx_eq_u16_e32 0x80, v4
; %bb.435:
	s_mov_b32 s19, 0x7f800001
	s_xor_b32 s0, exec_lo, -1
; %bb.436:
	s_or_b32 exec_lo, exec_lo, s22
	s_delay_alu instid0(SALU_CYCLE_1)
	s_and_b32 s0, s0, exec_lo
	s_or_saveexec_b32 s21, s21
	v_mov_b32_e32 v5, s19
	s_xor_b32 exec_lo, exec_lo, s21
	s_cbranch_execnz .LBB344_457
.LBB344_437:
	s_or_b32 exec_lo, exec_lo, s21
	s_and_saveexec_b32 s19, s0
	s_cbranch_execz .LBB344_439
.LBB344_438:
	v_and_b32_e32 v5, 0xffff, v4
	v_lshlrev_b32_e32 v4, 24, v4
	s_delay_alu instid0(VALU_DEP_2) | instskip(NEXT) | instid1(VALU_DEP_2)
	v_and_b32_e32 v6, 3, v5
	v_and_b32_e32 v4, 0x80000000, v4
	s_delay_alu instid0(VALU_DEP_2) | instskip(NEXT) | instid1(VALU_DEP_1)
	v_clz_i32_u32_e32 v7, v6
	v_min_u32_e32 v7, 32, v7
	s_delay_alu instid0(VALU_DEP_1) | instskip(SKIP_1) | instid1(VALU_DEP_2)
	v_subrev_nc_u32_e32 v8, 29, v7
	v_sub_nc_u32_e32 v7, 30, v7
	v_lshlrev_b32_e32 v8, v8, v5
	v_bfe_u32 v5, v5, 2, 5
	s_delay_alu instid0(VALU_DEP_2) | instskip(NEXT) | instid1(VALU_DEP_2)
	v_and_b32_e32 v8, 3, v8
	v_cmp_eq_u32_e32 vcc_lo, 0, v5
	s_delay_alu instid0(VALU_DEP_2) | instskip(NEXT) | instid1(VALU_DEP_1)
	v_dual_cndmask_b32 v5, v5, v7 :: v_dual_cndmask_b32 v6, v6, v8
	v_lshl_add_u32 v5, v5, 23, 0x37800000
	s_delay_alu instid0(VALU_DEP_2) | instskip(NEXT) | instid1(VALU_DEP_1)
	v_lshlrev_b32_e32 v6, 21, v6
	v_or3_b32 v5, v4, v5, v6
.LBB344_439:
	s_or_b32 exec_lo, exec_lo, s19
	s_delay_alu instid0(VALU_DEP_1) | instskip(SKIP_2) | instid1(VALU_DEP_2)
	v_bfe_u32 v4, v5, 16, 1
	v_cmp_o_f32_e32 vcc_lo, v5, v5
	s_mov_b32 s0, 0
	v_add3_u32 v4, v5, v4, 0x7fff
	s_delay_alu instid0(VALU_DEP_1) | instskip(NEXT) | instid1(VALU_DEP_1)
	v_lshrrev_b32_e32 v4, 16, v4
	v_cndmask_b32_e32 v4, 0x7fc0, v4, vcc_lo
	s_branch .LBB344_445
.LBB344_440:
	s_mov_b32 s19, -1
                                        ; implicit-def: $vgpr4
	s_branch .LBB344_451
.LBB344_441:
	s_or_saveexec_b32 s21, s21
	v_mov_b32_e32 v5, s19
	s_xor_b32 exec_lo, exec_lo, s21
	s_cbranch_execz .LBB344_424
.LBB344_442:
	v_cmp_ne_u16_e32 vcc_lo, 0, v4
	v_mov_b32_e32 v5, 0
	s_and_not1_b32 s0, s0, exec_lo
	s_and_b32 s19, vcc_lo, exec_lo
	s_delay_alu instid0(SALU_CYCLE_1)
	s_or_b32 s0, s0, s19
	s_or_b32 exec_lo, exec_lo, s21
	s_and_saveexec_b32 s19, s0
	s_cbranch_execnz .LBB344_425
	s_branch .LBB344_426
.LBB344_443:
	s_mov_b32 s0, -1
                                        ; implicit-def: $vgpr4
	s_branch .LBB344_448
.LBB344_444:
	s_mov_b32 s0, -1
                                        ; implicit-def: $vgpr4
.LBB344_445:
	s_delay_alu instid0(SALU_CYCLE_1)
	s_and_b32 vcc_lo, exec_lo, s0
	s_cbranch_vccz .LBB344_447
; %bb.446:
	global_load_u8 v4, v[0:1], off
	s_waitcnt vmcnt(0)
	v_lshlrev_b32_e32 v4, 24, v4
	s_delay_alu instid0(VALU_DEP_1) | instskip(NEXT) | instid1(VALU_DEP_1)
	v_and_b32_e32 v5, 0x7f000000, v4
	v_clz_i32_u32_e32 v6, v5
	v_add_nc_u32_e32 v8, 0x1000000, v5
	v_cmp_ne_u32_e32 vcc_lo, 0, v5
	s_delay_alu instid0(VALU_DEP_3) | instskip(NEXT) | instid1(VALU_DEP_1)
	v_min_u32_e32 v6, 32, v6
	v_sub_nc_u32_e64 v6, v6, 4 clamp
	s_delay_alu instid0(VALU_DEP_1) | instskip(SKIP_1) | instid1(VALU_DEP_2)
	v_lshlrev_b32_e32 v7, v6, v5
	v_lshlrev_b32_e32 v6, 23, v6
	v_lshrrev_b32_e32 v7, 4, v7
	s_delay_alu instid0(VALU_DEP_1) | instskip(SKIP_1) | instid1(VALU_DEP_2)
	v_sub_nc_u32_e32 v6, v7, v6
	v_ashrrev_i32_e32 v7, 8, v8
	v_add_nc_u32_e32 v6, 0x3c000000, v6
	s_delay_alu instid0(VALU_DEP_1) | instskip(NEXT) | instid1(VALU_DEP_1)
	v_and_or_b32 v6, 0x7f800000, v7, v6
	v_cndmask_b32_e32 v5, 0, v6, vcc_lo
	s_delay_alu instid0(VALU_DEP_1) | instskip(SKIP_1) | instid1(VALU_DEP_2)
	v_and_or_b32 v4, 0x80000000, v4, v5
	v_bfe_u32 v5, v5, 16, 1
	v_cmp_o_f32_e32 vcc_lo, v4, v4
	s_delay_alu instid0(VALU_DEP_2) | instskip(NEXT) | instid1(VALU_DEP_1)
	v_add3_u32 v5, v4, v5, 0x7fff
	v_lshrrev_b32_e32 v5, 16, v5
	s_delay_alu instid0(VALU_DEP_1)
	v_cndmask_b32_e32 v4, 0x7fc0, v5, vcc_lo
.LBB344_447:
	s_mov_b32 s0, 0
.LBB344_448:
	s_delay_alu instid0(SALU_CYCLE_1)
	s_and_not1_b32 vcc_lo, exec_lo, s0
	s_cbranch_vccnz .LBB344_450
; %bb.449:
	global_load_u8 v4, v[0:1], off
	s_waitcnt vmcnt(0)
	v_lshlrev_b32_e32 v5, 25, v4
	v_lshlrev_b16 v4, 8, v4
	s_delay_alu instid0(VALU_DEP_2) | instskip(NEXT) | instid1(VALU_DEP_2)
	v_lshrrev_b32_e32 v6, 4, v5
	v_and_or_b32 v7, 0x7f00, v4, 0.5
	v_bfe_i32 v4, v4, 0, 16
	s_delay_alu instid0(VALU_DEP_3) | instskip(NEXT) | instid1(VALU_DEP_1)
	v_or_b32_e32 v6, 0x70000000, v6
	v_dual_add_f32 v7, -0.5, v7 :: v_dual_mul_f32 v6, 0x7800000, v6
	v_cmp_gt_u32_e32 vcc_lo, 0x8000000, v5
	s_delay_alu instid0(VALU_DEP_2) | instskip(NEXT) | instid1(VALU_DEP_1)
	v_cndmask_b32_e32 v5, v6, v7, vcc_lo
	v_and_or_b32 v4, 0x80000000, v4, v5
	v_bfe_u32 v5, v5, 16, 1
	s_delay_alu instid0(VALU_DEP_2) | instskip(NEXT) | instid1(VALU_DEP_2)
	v_cmp_o_f32_e32 vcc_lo, v4, v4
	v_add3_u32 v5, v4, v5, 0x7fff
	s_delay_alu instid0(VALU_DEP_1) | instskip(NEXT) | instid1(VALU_DEP_1)
	v_lshrrev_b32_e32 v5, 16, v5
	v_cndmask_b32_e32 v4, 0x7fc0, v5, vcc_lo
.LBB344_450:
	s_mov_b32 s19, 0
	s_mov_b32 s0, -1
.LBB344_451:
	s_and_not1_b32 vcc_lo, exec_lo, s19
	s_cbranch_vccnz .LBB344_464
; %bb.452:
	v_cmp_lt_i16_e32 vcc_lo, 14, v3
	s_cbranch_vccz .LBB344_455
; %bb.453:
	v_cmp_eq_u16_e32 vcc_lo, 15, v3
	s_cbranch_vccz .LBB344_458
; %bb.454:
	global_load_u16 v4, v[0:1], off
	s_mov_b32 s0, -1
	s_mov_b32 s18, 0
	s_branch .LBB344_459
.LBB344_455:
	s_mov_b32 s19, -1
                                        ; implicit-def: $vgpr4
	s_branch .LBB344_460
.LBB344_456:
	s_or_saveexec_b32 s21, s21
	v_mov_b32_e32 v5, s19
	s_xor_b32 exec_lo, exec_lo, s21
	s_cbranch_execz .LBB344_437
.LBB344_457:
	v_cmp_ne_u16_e32 vcc_lo, 0, v4
	v_mov_b32_e32 v5, 0
	s_and_not1_b32 s0, s0, exec_lo
	s_and_b32 s19, vcc_lo, exec_lo
	s_delay_alu instid0(SALU_CYCLE_1)
	s_or_b32 s0, s0, s19
	s_or_b32 exec_lo, exec_lo, s21
	s_and_saveexec_b32 s19, s0
	s_cbranch_execnz .LBB344_438
	s_branch .LBB344_439
.LBB344_458:
	s_mov_b32 s18, -1
                                        ; implicit-def: $vgpr4
.LBB344_459:
	s_mov_b32 s19, 0
.LBB344_460:
	s_delay_alu instid0(SALU_CYCLE_1)
	s_and_b32 vcc_lo, exec_lo, s19
	s_cbranch_vccz .LBB344_464
; %bb.461:
	v_cmp_eq_u16_e32 vcc_lo, 11, v3
	s_cbranch_vccz .LBB344_463
; %bb.462:
	global_load_u8 v4, v[0:1], off
	s_mov_b32 s18, 0
	s_mov_b32 s0, -1
	s_waitcnt vmcnt(0)
	v_cmp_ne_u16_e32 vcc_lo, 0, v4
	v_cndmask_b32_e64 v4, 0, 1.0, vcc_lo
	s_delay_alu instid0(VALU_DEP_1)
	v_lshrrev_b32_e32 v4, 16, v4
	s_branch .LBB344_464
.LBB344_463:
	s_mov_b32 s18, -1
                                        ; implicit-def: $vgpr4
.LBB344_464:
	s_branch .LBB344_264
.LBB344_465:
	v_cmp_gt_i16_e32 vcc_lo, 5, v3
	s_cbranch_vccnz .LBB344_470
; %bb.466:
	v_cmp_gt_i16_e32 vcc_lo, 8, v3
	s_cbranch_vccnz .LBB344_471
; %bb.467:
	;; [unrolled: 3-line block ×3, first 2 shown]
	v_cmp_lt_i16_e32 vcc_lo, 9, v3
	s_cbranch_vccz .LBB344_473
; %bb.469:
	global_load_b64 v[4:5], v[0:1], off
	s_mov_b32 s0, 0
	s_waitcnt vmcnt(0)
	v_cvt_f32_f64_e32 v4, v[4:5]
	s_delay_alu instid0(VALU_DEP_1) | instskip(SKIP_1) | instid1(VALU_DEP_2)
	v_bfe_u32 v5, v4, 16, 1
	v_cmp_o_f32_e32 vcc_lo, v4, v4
	v_add3_u32 v5, v4, v5, 0x7fff
	s_delay_alu instid0(VALU_DEP_1) | instskip(NEXT) | instid1(VALU_DEP_1)
	v_lshrrev_b32_e32 v5, 16, v5
	v_cndmask_b32_e32 v4, 0x7fc0, v5, vcc_lo
	s_branch .LBB344_474
.LBB344_470:
	s_mov_b32 s0, -1
                                        ; implicit-def: $vgpr4
	s_branch .LBB344_492
.LBB344_471:
	s_mov_b32 s0, -1
                                        ; implicit-def: $vgpr4
	s_branch .LBB344_480
.LBB344_472:
	s_mov_b32 s0, -1
                                        ; implicit-def: $vgpr4
	s_branch .LBB344_477
.LBB344_473:
	s_mov_b32 s0, -1
                                        ; implicit-def: $vgpr4
.LBB344_474:
	s_delay_alu instid0(SALU_CYCLE_1)
	s_and_not1_b32 vcc_lo, exec_lo, s0
	s_cbranch_vccnz .LBB344_476
; %bb.475:
	global_load_b32 v4, v[0:1], off
	s_waitcnt vmcnt(0)
	v_bfe_u32 v5, v4, 16, 1
	v_cmp_o_f32_e32 vcc_lo, v4, v4
	s_delay_alu instid0(VALU_DEP_2) | instskip(NEXT) | instid1(VALU_DEP_1)
	v_add3_u32 v5, v4, v5, 0x7fff
	v_lshrrev_b32_e32 v5, 16, v5
	s_delay_alu instid0(VALU_DEP_1)
	v_cndmask_b32_e32 v4, 0x7fc0, v5, vcc_lo
.LBB344_476:
	s_mov_b32 s0, 0
.LBB344_477:
	s_delay_alu instid0(SALU_CYCLE_1)
	s_and_not1_b32 vcc_lo, exec_lo, s0
	s_cbranch_vccnz .LBB344_479
; %bb.478:
	global_load_b32 v4, v[0:1], off
	s_waitcnt vmcnt(0)
	v_cvt_f32_f16_e32 v5, v4
	v_cmp_o_f16_e32 vcc_lo, v4, v4
	s_delay_alu instid0(VALU_DEP_2) | instskip(NEXT) | instid1(VALU_DEP_1)
	v_bfe_u32 v6, v5, 16, 1
	v_add3_u32 v5, v5, v6, 0x7fff
	s_delay_alu instid0(VALU_DEP_1) | instskip(NEXT) | instid1(VALU_DEP_1)
	v_lshrrev_b32_e32 v5, 16, v5
	v_cndmask_b32_e32 v4, 0x7fc0, v5, vcc_lo
.LBB344_479:
	s_mov_b32 s0, 0
.LBB344_480:
	s_delay_alu instid0(SALU_CYCLE_1)
	s_and_not1_b32 vcc_lo, exec_lo, s0
	s_cbranch_vccnz .LBB344_491
; %bb.481:
	v_cmp_gt_i16_e32 vcc_lo, 6, v3
	s_cbranch_vccnz .LBB344_484
; %bb.482:
	v_cmp_lt_i16_e32 vcc_lo, 6, v3
	s_cbranch_vccz .LBB344_485
; %bb.483:
	global_load_b64 v[4:5], v[0:1], off
	s_mov_b32 s0, 0
	s_waitcnt vmcnt(0)
	v_cvt_f32_f64_e32 v4, v[4:5]
	s_delay_alu instid0(VALU_DEP_1) | instskip(SKIP_1) | instid1(VALU_DEP_2)
	v_bfe_u32 v5, v4, 16, 1
	v_cmp_o_f32_e32 vcc_lo, v4, v4
	v_add3_u32 v5, v4, v5, 0x7fff
	s_delay_alu instid0(VALU_DEP_1) | instskip(NEXT) | instid1(VALU_DEP_1)
	v_lshrrev_b32_e32 v5, 16, v5
	v_cndmask_b32_e32 v4, 0x7fc0, v5, vcc_lo
	s_branch .LBB344_486
.LBB344_484:
	s_mov_b32 s0, -1
                                        ; implicit-def: $vgpr4
	s_branch .LBB344_489
.LBB344_485:
	s_mov_b32 s0, -1
                                        ; implicit-def: $vgpr4
.LBB344_486:
	s_delay_alu instid0(SALU_CYCLE_1)
	s_and_not1_b32 vcc_lo, exec_lo, s0
	s_cbranch_vccnz .LBB344_488
; %bb.487:
	global_load_b32 v4, v[0:1], off
	s_waitcnt vmcnt(0)
	v_bfe_u32 v5, v4, 16, 1
	v_cmp_o_f32_e32 vcc_lo, v4, v4
	s_delay_alu instid0(VALU_DEP_2) | instskip(NEXT) | instid1(VALU_DEP_1)
	v_add3_u32 v5, v4, v5, 0x7fff
	v_lshrrev_b32_e32 v5, 16, v5
	s_delay_alu instid0(VALU_DEP_1)
	v_cndmask_b32_e32 v4, 0x7fc0, v5, vcc_lo
.LBB344_488:
	s_mov_b32 s0, 0
.LBB344_489:
	s_delay_alu instid0(SALU_CYCLE_1)
	s_and_not1_b32 vcc_lo, exec_lo, s0
	s_cbranch_vccnz .LBB344_491
; %bb.490:
	global_load_u16 v4, v[0:1], off
	s_waitcnt vmcnt(0)
	v_cvt_f32_f16_e32 v5, v4
	v_cmp_o_f16_e32 vcc_lo, v4, v4
	s_delay_alu instid0(VALU_DEP_2) | instskip(NEXT) | instid1(VALU_DEP_1)
	v_bfe_u32 v6, v5, 16, 1
	v_add3_u32 v5, v5, v6, 0x7fff
	s_delay_alu instid0(VALU_DEP_1) | instskip(NEXT) | instid1(VALU_DEP_1)
	v_lshrrev_b32_e32 v5, 16, v5
	v_cndmask_b32_e32 v4, 0x7fc0, v5, vcc_lo
.LBB344_491:
	s_mov_b32 s0, 0
.LBB344_492:
	s_delay_alu instid0(SALU_CYCLE_1)
	s_and_not1_b32 vcc_lo, exec_lo, s0
	s_cbranch_vccnz .LBB344_512
; %bb.493:
	v_cmp_gt_i16_e32 vcc_lo, 2, v3
	s_cbranch_vccnz .LBB344_497
; %bb.494:
	v_cmp_gt_i16_e32 vcc_lo, 3, v3
	s_cbranch_vccnz .LBB344_498
; %bb.495:
	v_cmp_lt_i16_e32 vcc_lo, 3, v3
	s_cbranch_vccz .LBB344_499
; %bb.496:
	global_load_b64 v[4:5], v[0:1], off
	s_mov_b32 s0, 0
	s_waitcnt vmcnt(0)
	v_xor_b32_e32 v6, v4, v5
	v_cls_i32_e32 v7, v5
	s_delay_alu instid0(VALU_DEP_2) | instskip(NEXT) | instid1(VALU_DEP_2)
	v_ashrrev_i32_e32 v6, 31, v6
	v_add_nc_u32_e32 v7, -1, v7
	s_delay_alu instid0(VALU_DEP_2) | instskip(NEXT) | instid1(VALU_DEP_1)
	v_add_nc_u32_e32 v6, 32, v6
	v_min_u32_e32 v6, v7, v6
	s_delay_alu instid0(VALU_DEP_1) | instskip(NEXT) | instid1(VALU_DEP_1)
	v_lshlrev_b64 v[4:5], v6, v[4:5]
	v_min_u32_e32 v4, 1, v4
	s_delay_alu instid0(VALU_DEP_1) | instskip(SKIP_1) | instid1(VALU_DEP_2)
	v_or_b32_e32 v4, v5, v4
	v_sub_nc_u32_e32 v5, 32, v6
	v_cvt_f32_i32_e32 v4, v4
	s_delay_alu instid0(VALU_DEP_1) | instskip(NEXT) | instid1(VALU_DEP_1)
	v_ldexp_f32 v4, v4, v5
	v_bfe_u32 v5, v4, 16, 1
	s_delay_alu instid0(VALU_DEP_1) | instskip(NEXT) | instid1(VALU_DEP_1)
	v_add3_u32 v4, v4, v5, 0x7fff
	v_lshrrev_b32_e32 v4, 16, v4
	s_branch .LBB344_500
.LBB344_497:
	s_mov_b32 s0, -1
                                        ; implicit-def: $vgpr4
	s_branch .LBB344_506
.LBB344_498:
	s_mov_b32 s0, -1
                                        ; implicit-def: $vgpr4
	s_branch .LBB344_503
.LBB344_499:
	s_mov_b32 s0, -1
                                        ; implicit-def: $vgpr4
.LBB344_500:
	s_delay_alu instid0(SALU_CYCLE_1)
	s_and_not1_b32 vcc_lo, exec_lo, s0
	s_cbranch_vccnz .LBB344_502
; %bb.501:
	global_load_b32 v4, v[0:1], off
	s_waitcnt vmcnt(0)
	v_cvt_f32_i32_e32 v4, v4
	s_delay_alu instid0(VALU_DEP_1) | instskip(NEXT) | instid1(VALU_DEP_1)
	v_bfe_u32 v5, v4, 16, 1
	v_add3_u32 v4, v4, v5, 0x7fff
	s_delay_alu instid0(VALU_DEP_1)
	v_lshrrev_b32_e32 v4, 16, v4
.LBB344_502:
	s_mov_b32 s0, 0
.LBB344_503:
	s_delay_alu instid0(SALU_CYCLE_1)
	s_and_not1_b32 vcc_lo, exec_lo, s0
	s_cbranch_vccnz .LBB344_505
; %bb.504:
	global_load_i16 v4, v[0:1], off
	s_waitcnt vmcnt(0)
	v_cvt_f32_i32_e32 v4, v4
	s_delay_alu instid0(VALU_DEP_1) | instskip(NEXT) | instid1(VALU_DEP_1)
	v_bfe_u32 v5, v4, 16, 1
	v_add3_u32 v4, v4, v5, 0x7fff
	s_delay_alu instid0(VALU_DEP_1)
	v_lshrrev_b32_e32 v4, 16, v4
.LBB344_505:
	s_mov_b32 s0, 0
.LBB344_506:
	s_delay_alu instid0(SALU_CYCLE_1)
	s_and_not1_b32 vcc_lo, exec_lo, s0
	s_cbranch_vccnz .LBB344_512
; %bb.507:
	v_cmp_lt_i16_e32 vcc_lo, 0, v3
	s_mov_b32 s0, 0
	s_cbranch_vccz .LBB344_509
; %bb.508:
	global_load_i8 v4, v[0:1], off
	s_waitcnt vmcnt(0)
	v_cvt_f32_i32_e32 v4, v4
	s_delay_alu instid0(VALU_DEP_1) | instskip(NEXT) | instid1(VALU_DEP_1)
	v_bfe_u32 v5, v4, 16, 1
	v_add3_u32 v4, v4, v5, 0x7fff
	s_delay_alu instid0(VALU_DEP_1)
	v_lshrrev_b32_e32 v4, 16, v4
	s_branch .LBB344_510
.LBB344_509:
	s_mov_b32 s0, -1
                                        ; implicit-def: $vgpr4
.LBB344_510:
	s_delay_alu instid0(SALU_CYCLE_1)
	s_and_not1_b32 vcc_lo, exec_lo, s0
	s_cbranch_vccnz .LBB344_512
; %bb.511:
	global_load_u8 v0, v[0:1], off
	s_waitcnt vmcnt(0)
	v_cvt_f32_ubyte0_e32 v0, v0
	s_delay_alu instid0(VALU_DEP_1) | instskip(NEXT) | instid1(VALU_DEP_1)
	v_bfe_u32 v1, v0, 16, 1
	v_add3_u32 v0, v0, v1, 0x7fff
	s_delay_alu instid0(VALU_DEP_1)
	v_lshrrev_b32_e32 v4, 16, v0
.LBB344_512:
	s_branch .LBB344_265
.LBB344_513:
	s_mov_b32 s21, 0
	s_mov_b32 s0, s15
.LBB344_514:
                                        ; implicit-def: $vgpr2
.LBB344_515:
	s_and_not1_b32 s19, s15, exec_lo
	s_and_b32 s0, s0, exec_lo
	s_and_not1_b32 s22, s16, exec_lo
	s_and_b32 s18, s18, exec_lo
	s_or_b32 s19, s19, s0
	s_or_b32 s18, s22, s18
	s_or_not1_b32 s22, s21, exec_lo
.LBB344_516:
	s_or_b32 exec_lo, exec_lo, s20
	s_mov_b32 s21, 0
	s_mov_b32 s23, 0
	;; [unrolled: 1-line block ×3, first 2 shown]
                                        ; implicit-def: $vgpr0_vgpr1
                                        ; implicit-def: $vgpr4
	s_and_saveexec_b32 s20, s22
	s_cbranch_execz .LBB344_865
; %bb.517:
	s_mov_b32 s0, -1
	s_mov_b32 s22, s18
	s_mov_b32 s23, s19
	s_mov_b32 s21, exec_lo
	v_cmpx_gt_i32_e64 s14, v2
	s_cbranch_execz .LBB344_779
; %bb.518:
	v_mul_lo_u32 v0, v2, s9
	v_cmp_gt_i16_e32 vcc_lo, 11, v3
	s_delay_alu instid0(VALU_DEP_2) | instskip(SKIP_1) | instid1(VALU_DEP_1)
	v_ashrrev_i32_e32 v1, 31, v0
	v_add_co_u32 v0, s0, s6, v0
	v_add_co_ci_u32_e64 v1, s0, s7, v1, s0
	s_cbranch_vccnz .LBB344_525
; %bb.519:
	v_cmp_lt_i16_e32 vcc_lo, 25, v3
	s_cbranch_vccz .LBB344_526
; %bb.520:
	v_cmp_lt_i16_e32 vcc_lo, 28, v3
	s_cbranch_vccz .LBB344_527
; %bb.521:
	v_cmp_lt_i16_e32 vcc_lo, 43, v3
	s_cbranch_vccz .LBB344_528
; %bb.522:
	v_cmp_lt_i16_e32 vcc_lo, 45, v3
	s_cbranch_vccz .LBB344_531
; %bb.523:
	v_cmp_eq_u16_e32 vcc_lo, 46, v3
	s_mov_b32 s23, 0
	s_cbranch_vccz .LBB344_534
; %bb.524:
	global_load_b32 v4, v[0:1], off
	s_mov_b32 s0, -1
	s_mov_b32 s22, 0
	s_branch .LBB344_536
.LBB344_525:
	s_mov_b32 s23, -1
	s_mov_b32 s0, 0
	s_mov_b32 s22, s18
                                        ; implicit-def: $vgpr4
	s_branch .LBB344_601
.LBB344_526:
	s_mov_b32 s23, -1
	s_mov_b32 s0, 0
	s_mov_b32 s22, s18
                                        ; implicit-def: $vgpr4
	s_branch .LBB344_565
.LBB344_527:
	s_mov_b32 s23, -1
	s_mov_b32 s0, 0
	s_mov_b32 s22, s18
                                        ; implicit-def: $vgpr4
	s_branch .LBB344_546
.LBB344_528:
	s_mov_b32 s23, -1
	s_mov_b32 s0, 0
	s_mov_b32 s22, s18
                                        ; implicit-def: $vgpr4
	s_branch .LBB344_541
.LBB344_529:
	s_or_saveexec_b32 s22, s22
                                        ; implicit-def: $sgpr23
	s_delay_alu instid0(SALU_CYCLE_1)
	s_xor_b32 exec_lo, exec_lo, s22
	s_cbranch_execz .LBB344_313
.LBB344_530:
	v_add_f32_e64 v7, 0x46000000, |v8|
	s_and_not1_b32 s21, s21, exec_lo
	s_mov_b32 s23, 0
	s_delay_alu instid0(VALU_DEP_1) | instskip(NEXT) | instid1(VALU_DEP_1)
	v_and_b32_e32 v7, 0xff, v7
	v_cmp_ne_u32_e32 vcc_lo, 0, v7
	s_and_b32 s24, vcc_lo, exec_lo
	s_delay_alu instid0(SALU_CYCLE_1)
	s_or_b32 s21, s21, s24
	s_or_b32 exec_lo, exec_lo, s22
	v_mov_b32_e32 v9, s23
	s_and_saveexec_b32 s22, s21
	s_cbranch_execnz .LBB344_314
	s_branch .LBB344_315
.LBB344_531:
	s_mov_b32 s23, -1
	s_mov_b32 s0, 0
	s_mov_b32 s22, s18
	s_branch .LBB344_535
.LBB344_532:
	s_or_saveexec_b32 s22, s22
                                        ; implicit-def: $sgpr23
	s_delay_alu instid0(SALU_CYCLE_1)
	s_xor_b32 exec_lo, exec_lo, s22
	s_cbranch_execz .LBB344_326
.LBB344_533:
	v_add_f32_e64 v7, 0x42800000, |v8|
	s_and_not1_b32 s21, s21, exec_lo
	s_mov_b32 s23, 0
	s_delay_alu instid0(VALU_DEP_1) | instskip(NEXT) | instid1(VALU_DEP_1)
	v_and_b32_e32 v7, 0xff, v7
	v_cmp_ne_u32_e32 vcc_lo, 0, v7
	s_and_b32 s24, vcc_lo, exec_lo
	s_delay_alu instid0(SALU_CYCLE_1)
	s_or_b32 s21, s21, s24
	s_or_b32 exec_lo, exec_lo, s22
	v_mov_b32_e32 v9, s23
	s_and_saveexec_b32 s22, s21
	s_cbranch_execnz .LBB344_327
	s_branch .LBB344_328
.LBB344_534:
	s_mov_b32 s22, -1
	s_mov_b32 s0, 0
.LBB344_535:
                                        ; implicit-def: $vgpr4
.LBB344_536:
	s_and_b32 vcc_lo, exec_lo, s23
	s_cbranch_vccz .LBB344_540
; %bb.537:
	v_cmp_eq_u16_e32 vcc_lo, 44, v3
	s_cbranch_vccz .LBB344_539
; %bb.538:
	global_load_u8 v4, v[0:1], off
	s_mov_b32 s22, 0
	s_mov_b32 s0, -1
	s_waitcnt vmcnt(0)
	v_lshlrev_b32_e32 v5, 23, v4
	v_cmp_ne_u32_e32 vcc_lo, 0xff, v4
	s_delay_alu instid0(VALU_DEP_2) | instskip(SKIP_1) | instid1(VALU_DEP_2)
	v_cndmask_b32_e32 v5, 0x7f800001, v5, vcc_lo
	v_cmp_ne_u32_e32 vcc_lo, 0, v4
	v_cndmask_b32_e32 v4, 0x400000, v5, vcc_lo
	s_delay_alu instid0(VALU_DEP_1) | instskip(SKIP_1) | instid1(VALU_DEP_2)
	v_add_nc_u32_e32 v5, 0x7fff, v4
	v_cmp_o_f32_e32 vcc_lo, v4, v4
	v_lshrrev_b32_e32 v5, 16, v5
	s_delay_alu instid0(VALU_DEP_1)
	v_cndmask_b32_e32 v4, 0x7fc0, v5, vcc_lo
	s_branch .LBB344_540
.LBB344_539:
	s_mov_b32 s22, -1
                                        ; implicit-def: $vgpr4
.LBB344_540:
	s_mov_b32 s23, 0
.LBB344_541:
	s_delay_alu instid0(SALU_CYCLE_1)
	s_and_b32 vcc_lo, exec_lo, s23
	s_cbranch_vccz .LBB344_545
; %bb.542:
	v_cmp_eq_u16_e32 vcc_lo, 29, v3
	s_cbranch_vccz .LBB344_544
; %bb.543:
	global_load_b64 v[4:5], v[0:1], off
	s_mov_b32 s0, -1
	s_mov_b32 s22, 0
	s_mov_b32 s23, 0
	s_waitcnt vmcnt(0)
	v_clz_i32_u32_e32 v6, v5
	s_delay_alu instid0(VALU_DEP_1) | instskip(NEXT) | instid1(VALU_DEP_1)
	v_min_u32_e32 v6, 32, v6
	v_lshlrev_b64 v[4:5], v6, v[4:5]
	s_delay_alu instid0(VALU_DEP_1) | instskip(NEXT) | instid1(VALU_DEP_1)
	v_min_u32_e32 v4, 1, v4
	v_or_b32_e32 v4, v5, v4
	v_sub_nc_u32_e32 v5, 32, v6
	s_delay_alu instid0(VALU_DEP_2) | instskip(NEXT) | instid1(VALU_DEP_1)
	v_cvt_f32_u32_e32 v4, v4
	v_ldexp_f32 v4, v4, v5
	s_delay_alu instid0(VALU_DEP_1) | instskip(NEXT) | instid1(VALU_DEP_1)
	v_bfe_u32 v5, v4, 16, 1
	v_add3_u32 v4, v4, v5, 0x7fff
	s_delay_alu instid0(VALU_DEP_1)
	v_lshrrev_b32_e32 v4, 16, v4
	s_branch .LBB344_546
.LBB344_544:
	s_mov_b32 s22, -1
                                        ; implicit-def: $vgpr4
.LBB344_545:
	s_mov_b32 s23, 0
.LBB344_546:
	s_delay_alu instid0(SALU_CYCLE_1)
	s_and_b32 vcc_lo, exec_lo, s23
	s_cbranch_vccz .LBB344_564
; %bb.547:
	v_cmp_gt_i16_e32 vcc_lo, 27, v3
	s_cbranch_vccnz .LBB344_550
; %bb.548:
	v_cmp_lt_i16_e32 vcc_lo, 27, v3
	s_cbranch_vccz .LBB344_551
; %bb.549:
	global_load_b32 v4, v[0:1], off
	s_mov_b32 s0, 0
	s_waitcnt vmcnt(0)
	v_cvt_f32_u32_e32 v4, v4
	s_delay_alu instid0(VALU_DEP_1) | instskip(NEXT) | instid1(VALU_DEP_1)
	v_bfe_u32 v5, v4, 16, 1
	v_add3_u32 v4, v4, v5, 0x7fff
	s_delay_alu instid0(VALU_DEP_1)
	v_lshrrev_b32_e32 v4, 16, v4
	s_branch .LBB344_552
.LBB344_550:
	s_mov_b32 s0, -1
                                        ; implicit-def: $vgpr4
	s_branch .LBB344_555
.LBB344_551:
	s_mov_b32 s0, -1
                                        ; implicit-def: $vgpr4
.LBB344_552:
	s_delay_alu instid0(SALU_CYCLE_1)
	s_and_not1_b32 vcc_lo, exec_lo, s0
	s_cbranch_vccnz .LBB344_554
; %bb.553:
	global_load_u16 v4, v[0:1], off
	s_waitcnt vmcnt(0)
	v_cvt_f32_u32_e32 v4, v4
	s_delay_alu instid0(VALU_DEP_1) | instskip(NEXT) | instid1(VALU_DEP_1)
	v_bfe_u32 v5, v4, 16, 1
	v_add3_u32 v4, v4, v5, 0x7fff
	s_delay_alu instid0(VALU_DEP_1)
	v_lshrrev_b32_e32 v4, 16, v4
.LBB344_554:
	s_mov_b32 s0, 0
.LBB344_555:
	s_delay_alu instid0(SALU_CYCLE_1)
	s_and_not1_b32 vcc_lo, exec_lo, s0
	s_cbranch_vccnz .LBB344_563
; %bb.556:
	global_load_u8 v4, v[0:1], off
	s_mov_b32 s0, 0
	s_mov_b32 s24, exec_lo
                                        ; implicit-def: $sgpr23
	s_waitcnt vmcnt(0)
	v_cmpx_lt_i16_e32 0x7f, v4
	s_xor_b32 s24, exec_lo, s24
	s_cbranch_execz .LBB344_577
; %bb.557:
	s_mov_b32 s0, -1
	s_mov_b32 s25, exec_lo
                                        ; implicit-def: $sgpr23
	v_cmpx_eq_u16_e32 0x80, v4
; %bb.558:
	s_mov_b32 s23, 0x7f800001
	s_xor_b32 s0, exec_lo, -1
; %bb.559:
	s_or_b32 exec_lo, exec_lo, s25
	s_delay_alu instid0(SALU_CYCLE_1)
	s_and_b32 s0, s0, exec_lo
	s_or_saveexec_b32 s24, s24
	v_mov_b32_e32 v5, s23
	s_xor_b32 exec_lo, exec_lo, s24
	s_cbranch_execnz .LBB344_578
.LBB344_560:
	s_or_b32 exec_lo, exec_lo, s24
	s_and_saveexec_b32 s23, s0
	s_cbranch_execz .LBB344_562
.LBB344_561:
	v_and_b32_e32 v5, 0xffff, v4
	v_lshlrev_b32_e32 v4, 24, v4
	s_delay_alu instid0(VALU_DEP_2) | instskip(NEXT) | instid1(VALU_DEP_2)
	v_and_b32_e32 v6, 7, v5
	v_and_b32_e32 v4, 0x80000000, v4
	s_delay_alu instid0(VALU_DEP_2) | instskip(NEXT) | instid1(VALU_DEP_1)
	v_clz_i32_u32_e32 v7, v6
	v_min_u32_e32 v7, 32, v7
	s_delay_alu instid0(VALU_DEP_1) | instskip(SKIP_1) | instid1(VALU_DEP_2)
	v_subrev_nc_u32_e32 v8, 28, v7
	v_sub_nc_u32_e32 v7, 29, v7
	v_lshlrev_b32_e32 v8, v8, v5
	v_bfe_u32 v5, v5, 3, 4
	s_delay_alu instid0(VALU_DEP_2) | instskip(NEXT) | instid1(VALU_DEP_2)
	v_and_b32_e32 v8, 7, v8
	v_cmp_eq_u32_e32 vcc_lo, 0, v5
	s_delay_alu instid0(VALU_DEP_2) | instskip(NEXT) | instid1(VALU_DEP_1)
	v_dual_cndmask_b32 v5, v5, v7 :: v_dual_cndmask_b32 v6, v6, v8
	v_lshl_add_u32 v5, v5, 23, 0x3b800000
	s_delay_alu instid0(VALU_DEP_2) | instskip(NEXT) | instid1(VALU_DEP_1)
	v_lshlrev_b32_e32 v6, 20, v6
	v_or3_b32 v5, v4, v5, v6
.LBB344_562:
	s_or_b32 exec_lo, exec_lo, s23
	s_delay_alu instid0(VALU_DEP_1) | instskip(SKIP_1) | instid1(VALU_DEP_2)
	v_bfe_u32 v4, v5, 16, 1
	v_cmp_o_f32_e32 vcc_lo, v5, v5
	v_add3_u32 v4, v5, v4, 0x7fff
	s_delay_alu instid0(VALU_DEP_1) | instskip(NEXT) | instid1(VALU_DEP_1)
	v_lshrrev_b32_e32 v4, 16, v4
	v_cndmask_b32_e32 v4, 0x7fc0, v4, vcc_lo
.LBB344_563:
	s_mov_b32 s0, -1
.LBB344_564:
	s_mov_b32 s23, 0
.LBB344_565:
	s_delay_alu instid0(SALU_CYCLE_1)
	s_and_b32 vcc_lo, exec_lo, s23
	s_cbranch_vccz .LBB344_600
; %bb.566:
	v_cmp_lt_i16_e32 vcc_lo, 22, v3
	s_cbranch_vccz .LBB344_576
; %bb.567:
	v_cmp_gt_i16_e32 vcc_lo, 24, v3
	s_cbranch_vccnz .LBB344_579
; %bb.568:
	v_cmp_lt_i16_e32 vcc_lo, 24, v3
	s_cbranch_vccz .LBB344_580
; %bb.569:
	global_load_u8 v4, v[0:1], off
	s_mov_b32 s0, 0
	s_mov_b32 s24, exec_lo
                                        ; implicit-def: $sgpr23
	s_waitcnt vmcnt(0)
	v_cmpx_lt_i16_e32 0x7f, v4
	s_xor_b32 s24, exec_lo, s24
	s_cbranch_execz .LBB344_592
; %bb.570:
	s_mov_b32 s0, -1
	s_mov_b32 s25, exec_lo
                                        ; implicit-def: $sgpr23
	v_cmpx_eq_u16_e32 0x80, v4
; %bb.571:
	s_mov_b32 s23, 0x7f800001
	s_xor_b32 s0, exec_lo, -1
; %bb.572:
	s_or_b32 exec_lo, exec_lo, s25
	s_delay_alu instid0(SALU_CYCLE_1)
	s_and_b32 s0, s0, exec_lo
	s_or_saveexec_b32 s24, s24
	v_mov_b32_e32 v5, s23
	s_xor_b32 exec_lo, exec_lo, s24
	s_cbranch_execnz .LBB344_593
.LBB344_573:
	s_or_b32 exec_lo, exec_lo, s24
	s_and_saveexec_b32 s23, s0
	s_cbranch_execz .LBB344_575
.LBB344_574:
	v_and_b32_e32 v5, 0xffff, v4
	v_lshlrev_b32_e32 v4, 24, v4
	s_delay_alu instid0(VALU_DEP_2) | instskip(NEXT) | instid1(VALU_DEP_2)
	v_and_b32_e32 v6, 3, v5
	v_and_b32_e32 v4, 0x80000000, v4
	s_delay_alu instid0(VALU_DEP_2) | instskip(NEXT) | instid1(VALU_DEP_1)
	v_clz_i32_u32_e32 v7, v6
	v_min_u32_e32 v7, 32, v7
	s_delay_alu instid0(VALU_DEP_1) | instskip(SKIP_1) | instid1(VALU_DEP_2)
	v_subrev_nc_u32_e32 v8, 29, v7
	v_sub_nc_u32_e32 v7, 30, v7
	v_lshlrev_b32_e32 v8, v8, v5
	v_bfe_u32 v5, v5, 2, 5
	s_delay_alu instid0(VALU_DEP_2) | instskip(NEXT) | instid1(VALU_DEP_2)
	v_and_b32_e32 v8, 3, v8
	v_cmp_eq_u32_e32 vcc_lo, 0, v5
	s_delay_alu instid0(VALU_DEP_2) | instskip(NEXT) | instid1(VALU_DEP_1)
	v_dual_cndmask_b32 v5, v5, v7 :: v_dual_cndmask_b32 v6, v6, v8
	v_lshl_add_u32 v5, v5, 23, 0x37800000
	s_delay_alu instid0(VALU_DEP_2) | instskip(NEXT) | instid1(VALU_DEP_1)
	v_lshlrev_b32_e32 v6, 21, v6
	v_or3_b32 v5, v4, v5, v6
.LBB344_575:
	s_or_b32 exec_lo, exec_lo, s23
	s_delay_alu instid0(VALU_DEP_1) | instskip(SKIP_2) | instid1(VALU_DEP_2)
	v_bfe_u32 v4, v5, 16, 1
	v_cmp_o_f32_e32 vcc_lo, v5, v5
	s_mov_b32 s0, 0
	v_add3_u32 v4, v5, v4, 0x7fff
	s_delay_alu instid0(VALU_DEP_1) | instskip(NEXT) | instid1(VALU_DEP_1)
	v_lshrrev_b32_e32 v4, 16, v4
	v_cndmask_b32_e32 v4, 0x7fc0, v4, vcc_lo
	s_branch .LBB344_581
.LBB344_576:
	s_mov_b32 s23, -1
                                        ; implicit-def: $vgpr4
	s_branch .LBB344_587
.LBB344_577:
	s_or_saveexec_b32 s24, s24
	v_mov_b32_e32 v5, s23
	s_xor_b32 exec_lo, exec_lo, s24
	s_cbranch_execz .LBB344_560
.LBB344_578:
	v_cmp_ne_u16_e32 vcc_lo, 0, v4
	v_mov_b32_e32 v5, 0
	s_and_not1_b32 s0, s0, exec_lo
	s_and_b32 s23, vcc_lo, exec_lo
	s_delay_alu instid0(SALU_CYCLE_1)
	s_or_b32 s0, s0, s23
	s_or_b32 exec_lo, exec_lo, s24
	s_and_saveexec_b32 s23, s0
	s_cbranch_execnz .LBB344_561
	s_branch .LBB344_562
.LBB344_579:
	s_mov_b32 s0, -1
                                        ; implicit-def: $vgpr4
	s_branch .LBB344_584
.LBB344_580:
	s_mov_b32 s0, -1
                                        ; implicit-def: $vgpr4
.LBB344_581:
	s_delay_alu instid0(SALU_CYCLE_1)
	s_and_b32 vcc_lo, exec_lo, s0
	s_cbranch_vccz .LBB344_583
; %bb.582:
	global_load_u8 v4, v[0:1], off
	s_waitcnt vmcnt(0)
	v_lshlrev_b32_e32 v4, 24, v4
	s_delay_alu instid0(VALU_DEP_1) | instskip(NEXT) | instid1(VALU_DEP_1)
	v_and_b32_e32 v5, 0x7f000000, v4
	v_clz_i32_u32_e32 v6, v5
	v_add_nc_u32_e32 v8, 0x1000000, v5
	v_cmp_ne_u32_e32 vcc_lo, 0, v5
	s_delay_alu instid0(VALU_DEP_3) | instskip(NEXT) | instid1(VALU_DEP_1)
	v_min_u32_e32 v6, 32, v6
	v_sub_nc_u32_e64 v6, v6, 4 clamp
	s_delay_alu instid0(VALU_DEP_1) | instskip(SKIP_1) | instid1(VALU_DEP_2)
	v_lshlrev_b32_e32 v7, v6, v5
	v_lshlrev_b32_e32 v6, 23, v6
	v_lshrrev_b32_e32 v7, 4, v7
	s_delay_alu instid0(VALU_DEP_1) | instskip(SKIP_1) | instid1(VALU_DEP_2)
	v_sub_nc_u32_e32 v6, v7, v6
	v_ashrrev_i32_e32 v7, 8, v8
	v_add_nc_u32_e32 v6, 0x3c000000, v6
	s_delay_alu instid0(VALU_DEP_1) | instskip(NEXT) | instid1(VALU_DEP_1)
	v_and_or_b32 v6, 0x7f800000, v7, v6
	v_cndmask_b32_e32 v5, 0, v6, vcc_lo
	s_delay_alu instid0(VALU_DEP_1) | instskip(SKIP_1) | instid1(VALU_DEP_2)
	v_and_or_b32 v4, 0x80000000, v4, v5
	v_bfe_u32 v5, v5, 16, 1
	v_cmp_o_f32_e32 vcc_lo, v4, v4
	s_delay_alu instid0(VALU_DEP_2) | instskip(NEXT) | instid1(VALU_DEP_1)
	v_add3_u32 v5, v4, v5, 0x7fff
	v_lshrrev_b32_e32 v5, 16, v5
	s_delay_alu instid0(VALU_DEP_1)
	v_cndmask_b32_e32 v4, 0x7fc0, v5, vcc_lo
.LBB344_583:
	s_mov_b32 s0, 0
.LBB344_584:
	s_delay_alu instid0(SALU_CYCLE_1)
	s_and_not1_b32 vcc_lo, exec_lo, s0
	s_cbranch_vccnz .LBB344_586
; %bb.585:
	global_load_u8 v4, v[0:1], off
	s_waitcnt vmcnt(0)
	v_lshlrev_b32_e32 v5, 25, v4
	v_lshlrev_b16 v4, 8, v4
	s_delay_alu instid0(VALU_DEP_2) | instskip(NEXT) | instid1(VALU_DEP_2)
	v_lshrrev_b32_e32 v6, 4, v5
	v_and_or_b32 v7, 0x7f00, v4, 0.5
	v_bfe_i32 v4, v4, 0, 16
	s_delay_alu instid0(VALU_DEP_3) | instskip(NEXT) | instid1(VALU_DEP_1)
	v_or_b32_e32 v6, 0x70000000, v6
	v_dual_add_f32 v7, -0.5, v7 :: v_dual_mul_f32 v6, 0x7800000, v6
	v_cmp_gt_u32_e32 vcc_lo, 0x8000000, v5
	s_delay_alu instid0(VALU_DEP_2) | instskip(NEXT) | instid1(VALU_DEP_1)
	v_cndmask_b32_e32 v5, v6, v7, vcc_lo
	v_and_or_b32 v4, 0x80000000, v4, v5
	v_bfe_u32 v5, v5, 16, 1
	s_delay_alu instid0(VALU_DEP_2) | instskip(NEXT) | instid1(VALU_DEP_2)
	v_cmp_o_f32_e32 vcc_lo, v4, v4
	v_add3_u32 v5, v4, v5, 0x7fff
	s_delay_alu instid0(VALU_DEP_1) | instskip(NEXT) | instid1(VALU_DEP_1)
	v_lshrrev_b32_e32 v5, 16, v5
	v_cndmask_b32_e32 v4, 0x7fc0, v5, vcc_lo
.LBB344_586:
	s_mov_b32 s23, 0
	s_mov_b32 s0, -1
.LBB344_587:
	s_and_not1_b32 vcc_lo, exec_lo, s23
	s_cbranch_vccnz .LBB344_600
; %bb.588:
	v_cmp_lt_i16_e32 vcc_lo, 14, v3
	s_cbranch_vccz .LBB344_591
; %bb.589:
	v_cmp_eq_u16_e32 vcc_lo, 15, v3
	s_cbranch_vccz .LBB344_594
; %bb.590:
	global_load_u16 v4, v[0:1], off
	s_mov_b32 s0, -1
	s_mov_b32 s22, 0
	s_branch .LBB344_595
.LBB344_591:
	s_mov_b32 s23, -1
                                        ; implicit-def: $vgpr4
	s_branch .LBB344_596
.LBB344_592:
	s_or_saveexec_b32 s24, s24
	v_mov_b32_e32 v5, s23
	s_xor_b32 exec_lo, exec_lo, s24
	s_cbranch_execz .LBB344_573
.LBB344_593:
	v_cmp_ne_u16_e32 vcc_lo, 0, v4
	v_mov_b32_e32 v5, 0
	s_and_not1_b32 s0, s0, exec_lo
	s_and_b32 s23, vcc_lo, exec_lo
	s_delay_alu instid0(SALU_CYCLE_1)
	s_or_b32 s0, s0, s23
	s_or_b32 exec_lo, exec_lo, s24
	s_and_saveexec_b32 s23, s0
	s_cbranch_execnz .LBB344_574
	s_branch .LBB344_575
.LBB344_594:
	s_mov_b32 s22, -1
                                        ; implicit-def: $vgpr4
.LBB344_595:
	s_mov_b32 s23, 0
.LBB344_596:
	s_delay_alu instid0(SALU_CYCLE_1)
	s_and_b32 vcc_lo, exec_lo, s23
	s_cbranch_vccz .LBB344_600
; %bb.597:
	v_cmp_eq_u16_e32 vcc_lo, 11, v3
	s_cbranch_vccz .LBB344_599
; %bb.598:
	global_load_u8 v4, v[0:1], off
	s_mov_b32 s22, 0
	s_mov_b32 s0, -1
	s_waitcnt vmcnt(0)
	v_cmp_ne_u16_e32 vcc_lo, 0, v4
	v_cndmask_b32_e64 v4, 0, 1.0, vcc_lo
	s_delay_alu instid0(VALU_DEP_1)
	v_lshrrev_b32_e32 v4, 16, v4
	s_branch .LBB344_600
.LBB344_599:
	s_mov_b32 s22, -1
                                        ; implicit-def: $vgpr4
.LBB344_600:
	s_mov_b32 s23, 0
.LBB344_601:
	s_delay_alu instid0(SALU_CYCLE_1)
	s_and_b32 vcc_lo, exec_lo, s23
	s_cbranch_vccz .LBB344_650
; %bb.602:
	v_cmp_gt_i16_e32 vcc_lo, 5, v3
	s_cbranch_vccnz .LBB344_607
; %bb.603:
	v_cmp_gt_i16_e32 vcc_lo, 8, v3
	s_cbranch_vccnz .LBB344_608
; %bb.604:
	v_cmp_gt_i16_e32 vcc_lo, 9, v3
	s_cbranch_vccnz .LBB344_609
; %bb.605:
	v_cmp_lt_i16_e32 vcc_lo, 9, v3
	s_cbranch_vccz .LBB344_610
; %bb.606:
	global_load_b64 v[4:5], v[0:1], off
	s_mov_b32 s0, 0
	s_waitcnt vmcnt(0)
	v_cvt_f32_f64_e32 v4, v[4:5]
	s_delay_alu instid0(VALU_DEP_1) | instskip(SKIP_1) | instid1(VALU_DEP_2)
	v_bfe_u32 v5, v4, 16, 1
	v_cmp_o_f32_e32 vcc_lo, v4, v4
	v_add3_u32 v5, v4, v5, 0x7fff
	s_delay_alu instid0(VALU_DEP_1) | instskip(NEXT) | instid1(VALU_DEP_1)
	v_lshrrev_b32_e32 v5, 16, v5
	v_cndmask_b32_e32 v4, 0x7fc0, v5, vcc_lo
	s_branch .LBB344_611
.LBB344_607:
	s_mov_b32 s0, -1
                                        ; implicit-def: $vgpr4
	s_branch .LBB344_629
.LBB344_608:
	s_mov_b32 s0, -1
                                        ; implicit-def: $vgpr4
	s_branch .LBB344_617
.LBB344_609:
	s_mov_b32 s0, -1
                                        ; implicit-def: $vgpr4
	s_branch .LBB344_614
.LBB344_610:
	s_mov_b32 s0, -1
                                        ; implicit-def: $vgpr4
.LBB344_611:
	s_delay_alu instid0(SALU_CYCLE_1)
	s_and_not1_b32 vcc_lo, exec_lo, s0
	s_cbranch_vccnz .LBB344_613
; %bb.612:
	global_load_b32 v4, v[0:1], off
	s_waitcnt vmcnt(0)
	v_bfe_u32 v5, v4, 16, 1
	v_cmp_o_f32_e32 vcc_lo, v4, v4
	s_delay_alu instid0(VALU_DEP_2) | instskip(NEXT) | instid1(VALU_DEP_1)
	v_add3_u32 v5, v4, v5, 0x7fff
	v_lshrrev_b32_e32 v5, 16, v5
	s_delay_alu instid0(VALU_DEP_1)
	v_cndmask_b32_e32 v4, 0x7fc0, v5, vcc_lo
.LBB344_613:
	s_mov_b32 s0, 0
.LBB344_614:
	s_delay_alu instid0(SALU_CYCLE_1)
	s_and_not1_b32 vcc_lo, exec_lo, s0
	s_cbranch_vccnz .LBB344_616
; %bb.615:
	global_load_b32 v4, v[0:1], off
	s_waitcnt vmcnt(0)
	v_cvt_f32_f16_e32 v5, v4
	v_cmp_o_f16_e32 vcc_lo, v4, v4
	s_delay_alu instid0(VALU_DEP_2) | instskip(NEXT) | instid1(VALU_DEP_1)
	v_bfe_u32 v6, v5, 16, 1
	v_add3_u32 v5, v5, v6, 0x7fff
	s_delay_alu instid0(VALU_DEP_1) | instskip(NEXT) | instid1(VALU_DEP_1)
	v_lshrrev_b32_e32 v5, 16, v5
	v_cndmask_b32_e32 v4, 0x7fc0, v5, vcc_lo
.LBB344_616:
	s_mov_b32 s0, 0
.LBB344_617:
	s_delay_alu instid0(SALU_CYCLE_1)
	s_and_not1_b32 vcc_lo, exec_lo, s0
	s_cbranch_vccnz .LBB344_628
; %bb.618:
	v_cmp_gt_i16_e32 vcc_lo, 6, v3
	s_cbranch_vccnz .LBB344_621
; %bb.619:
	v_cmp_lt_i16_e32 vcc_lo, 6, v3
	s_cbranch_vccz .LBB344_622
; %bb.620:
	global_load_b64 v[4:5], v[0:1], off
	s_mov_b32 s0, 0
	s_waitcnt vmcnt(0)
	v_cvt_f32_f64_e32 v4, v[4:5]
	s_delay_alu instid0(VALU_DEP_1) | instskip(SKIP_1) | instid1(VALU_DEP_2)
	v_bfe_u32 v5, v4, 16, 1
	v_cmp_o_f32_e32 vcc_lo, v4, v4
	v_add3_u32 v5, v4, v5, 0x7fff
	s_delay_alu instid0(VALU_DEP_1) | instskip(NEXT) | instid1(VALU_DEP_1)
	v_lshrrev_b32_e32 v5, 16, v5
	v_cndmask_b32_e32 v4, 0x7fc0, v5, vcc_lo
	s_branch .LBB344_623
.LBB344_621:
	s_mov_b32 s0, -1
                                        ; implicit-def: $vgpr4
	s_branch .LBB344_626
.LBB344_622:
	s_mov_b32 s0, -1
                                        ; implicit-def: $vgpr4
.LBB344_623:
	s_delay_alu instid0(SALU_CYCLE_1)
	s_and_not1_b32 vcc_lo, exec_lo, s0
	s_cbranch_vccnz .LBB344_625
; %bb.624:
	global_load_b32 v4, v[0:1], off
	s_waitcnt vmcnt(0)
	v_bfe_u32 v5, v4, 16, 1
	v_cmp_o_f32_e32 vcc_lo, v4, v4
	s_delay_alu instid0(VALU_DEP_2) | instskip(NEXT) | instid1(VALU_DEP_1)
	v_add3_u32 v5, v4, v5, 0x7fff
	v_lshrrev_b32_e32 v5, 16, v5
	s_delay_alu instid0(VALU_DEP_1)
	v_cndmask_b32_e32 v4, 0x7fc0, v5, vcc_lo
.LBB344_625:
	s_mov_b32 s0, 0
.LBB344_626:
	s_delay_alu instid0(SALU_CYCLE_1)
	s_and_not1_b32 vcc_lo, exec_lo, s0
	s_cbranch_vccnz .LBB344_628
; %bb.627:
	global_load_u16 v4, v[0:1], off
	s_waitcnt vmcnt(0)
	v_cvt_f32_f16_e32 v5, v4
	v_cmp_o_f16_e32 vcc_lo, v4, v4
	s_delay_alu instid0(VALU_DEP_2) | instskip(NEXT) | instid1(VALU_DEP_1)
	v_bfe_u32 v6, v5, 16, 1
	v_add3_u32 v5, v5, v6, 0x7fff
	s_delay_alu instid0(VALU_DEP_1) | instskip(NEXT) | instid1(VALU_DEP_1)
	v_lshrrev_b32_e32 v5, 16, v5
	v_cndmask_b32_e32 v4, 0x7fc0, v5, vcc_lo
.LBB344_628:
	s_mov_b32 s0, 0
.LBB344_629:
	s_delay_alu instid0(SALU_CYCLE_1)
	s_and_not1_b32 vcc_lo, exec_lo, s0
	s_cbranch_vccnz .LBB344_649
; %bb.630:
	v_cmp_gt_i16_e32 vcc_lo, 2, v3
	s_cbranch_vccnz .LBB344_634
; %bb.631:
	v_cmp_gt_i16_e32 vcc_lo, 3, v3
	s_cbranch_vccnz .LBB344_635
; %bb.632:
	v_cmp_lt_i16_e32 vcc_lo, 3, v3
	s_cbranch_vccz .LBB344_636
; %bb.633:
	global_load_b64 v[4:5], v[0:1], off
	s_mov_b32 s0, 0
	s_waitcnt vmcnt(0)
	v_xor_b32_e32 v6, v4, v5
	v_cls_i32_e32 v7, v5
	s_delay_alu instid0(VALU_DEP_2) | instskip(NEXT) | instid1(VALU_DEP_2)
	v_ashrrev_i32_e32 v6, 31, v6
	v_add_nc_u32_e32 v7, -1, v7
	s_delay_alu instid0(VALU_DEP_2) | instskip(NEXT) | instid1(VALU_DEP_1)
	v_add_nc_u32_e32 v6, 32, v6
	v_min_u32_e32 v6, v7, v6
	s_delay_alu instid0(VALU_DEP_1) | instskip(NEXT) | instid1(VALU_DEP_1)
	v_lshlrev_b64 v[4:5], v6, v[4:5]
	v_min_u32_e32 v4, 1, v4
	s_delay_alu instid0(VALU_DEP_1) | instskip(SKIP_1) | instid1(VALU_DEP_2)
	v_or_b32_e32 v4, v5, v4
	v_sub_nc_u32_e32 v5, 32, v6
	v_cvt_f32_i32_e32 v4, v4
	s_delay_alu instid0(VALU_DEP_1) | instskip(NEXT) | instid1(VALU_DEP_1)
	v_ldexp_f32 v4, v4, v5
	v_bfe_u32 v5, v4, 16, 1
	s_delay_alu instid0(VALU_DEP_1) | instskip(NEXT) | instid1(VALU_DEP_1)
	v_add3_u32 v4, v4, v5, 0x7fff
	v_lshrrev_b32_e32 v4, 16, v4
	s_branch .LBB344_637
.LBB344_634:
	s_mov_b32 s0, -1
                                        ; implicit-def: $vgpr4
	s_branch .LBB344_643
.LBB344_635:
	s_mov_b32 s0, -1
                                        ; implicit-def: $vgpr4
	s_branch .LBB344_640
.LBB344_636:
	s_mov_b32 s0, -1
                                        ; implicit-def: $vgpr4
.LBB344_637:
	s_delay_alu instid0(SALU_CYCLE_1)
	s_and_not1_b32 vcc_lo, exec_lo, s0
	s_cbranch_vccnz .LBB344_639
; %bb.638:
	global_load_b32 v4, v[0:1], off
	s_waitcnt vmcnt(0)
	v_cvt_f32_i32_e32 v4, v4
	s_delay_alu instid0(VALU_DEP_1) | instskip(NEXT) | instid1(VALU_DEP_1)
	v_bfe_u32 v5, v4, 16, 1
	v_add3_u32 v4, v4, v5, 0x7fff
	s_delay_alu instid0(VALU_DEP_1)
	v_lshrrev_b32_e32 v4, 16, v4
.LBB344_639:
	s_mov_b32 s0, 0
.LBB344_640:
	s_delay_alu instid0(SALU_CYCLE_1)
	s_and_not1_b32 vcc_lo, exec_lo, s0
	s_cbranch_vccnz .LBB344_642
; %bb.641:
	global_load_i16 v4, v[0:1], off
	s_waitcnt vmcnt(0)
	v_cvt_f32_i32_e32 v4, v4
	s_delay_alu instid0(VALU_DEP_1) | instskip(NEXT) | instid1(VALU_DEP_1)
	v_bfe_u32 v5, v4, 16, 1
	v_add3_u32 v4, v4, v5, 0x7fff
	s_delay_alu instid0(VALU_DEP_1)
	v_lshrrev_b32_e32 v4, 16, v4
.LBB344_642:
	s_mov_b32 s0, 0
.LBB344_643:
	s_delay_alu instid0(SALU_CYCLE_1)
	s_and_not1_b32 vcc_lo, exec_lo, s0
	s_cbranch_vccnz .LBB344_649
; %bb.644:
	v_cmp_lt_i16_e32 vcc_lo, 0, v3
	s_mov_b32 s0, 0
	s_cbranch_vccz .LBB344_646
; %bb.645:
	global_load_i8 v4, v[0:1], off
	s_waitcnt vmcnt(0)
	v_cvt_f32_i32_e32 v4, v4
	s_delay_alu instid0(VALU_DEP_1) | instskip(NEXT) | instid1(VALU_DEP_1)
	v_bfe_u32 v5, v4, 16, 1
	v_add3_u32 v4, v4, v5, 0x7fff
	s_delay_alu instid0(VALU_DEP_1)
	v_lshrrev_b32_e32 v4, 16, v4
	s_branch .LBB344_647
.LBB344_646:
	s_mov_b32 s0, -1
                                        ; implicit-def: $vgpr4
.LBB344_647:
	s_delay_alu instid0(SALU_CYCLE_1)
	s_and_not1_b32 vcc_lo, exec_lo, s0
	s_cbranch_vccnz .LBB344_649
; %bb.648:
	global_load_u8 v0, v[0:1], off
	s_waitcnt vmcnt(0)
	v_cvt_f32_ubyte0_e32 v0, v0
	s_delay_alu instid0(VALU_DEP_1) | instskip(NEXT) | instid1(VALU_DEP_1)
	v_bfe_u32 v1, v0, 16, 1
	v_add3_u32 v0, v0, v1, 0x7fff
	s_delay_alu instid0(VALU_DEP_1)
	v_lshrrev_b32_e32 v4, 16, v0
.LBB344_649:
	s_mov_b32 s0, -1
.LBB344_650:
	s_delay_alu instid0(SALU_CYCLE_1)
	s_and_not1_b32 vcc_lo, exec_lo, s0
	s_cbranch_vccnz .LBB344_660
; %bb.651:
	s_waitcnt vmcnt(0)
	v_lshlrev_b32_e32 v0, 16, v4
	s_mov_b32 s0, exec_lo
	s_delay_alu instid0(VALU_DEP_1)
	v_cmpx_o_f32_e32 v0, v0
; %bb.652:
	v_cmp_lt_f32_e32 vcc_lo, s13, v0
	v_cndmask_b32_e32 v0, s1, v4, vcc_lo
	s_delay_alu instid0(VALU_DEP_1) | instskip(NEXT) | instid1(VALU_DEP_1)
	v_lshlrev_b32_e32 v1, 16, v0
	v_cmp_gt_f32_e32 vcc_lo, s10, v1
	v_cndmask_b32_e32 v4, s2, v0, vcc_lo
; %bb.653:
	s_or_b32 exec_lo, exec_lo, s0
	v_mul_lo_u32 v0, v2, s8
	v_and_b32_e64 v5, 0xff, s11
	s_delay_alu instid0(VALU_DEP_1) | instskip(NEXT) | instid1(VALU_DEP_3)
	v_cmp_gt_i16_e32 vcc_lo, 11, v5
	v_ashrrev_i32_e32 v1, 31, v0
	v_add_co_u32 v0, s0, s4, v0
	s_delay_alu instid0(VALU_DEP_1)
	v_add_co_ci_u32_e64 v1, s0, s5, v1, s0
	s_cbranch_vccnz .LBB344_661
; %bb.654:
	v_cmp_lt_i16_e32 vcc_lo, 25, v5
	s_cbranch_vccz .LBB344_662
; %bb.655:
	v_cmp_lt_i16_e32 vcc_lo, 28, v5
	s_cbranch_vccz .LBB344_663
	;; [unrolled: 3-line block ×4, first 2 shown]
; %bb.658:
	v_cmp_eq_u16_e32 vcc_lo, 46, v5
	s_mov_b32 s24, 0
	s_mov_b32 s0, -1
	s_mov_b32 s23, 0
	s_cbranch_vccz .LBB344_666
; %bb.659:
	v_and_b32_e32 v6, 0xffff, v4
	s_mov_b32 s23, -1
	s_mov_b32 s0, 0
	global_store_b32 v[0:1], v6, off
	s_branch .LBB344_666
.LBB344_660:
	s_mov_b32 s24, 0
	s_mov_b32 s0, s19
	s_branch .LBB344_777
.LBB344_661:
	s_mov_b32 s24, -1
	s_mov_b32 s23, 0
	s_mov_b32 s0, s19
	s_branch .LBB344_735
.LBB344_662:
	s_mov_b32 s24, -1
	s_mov_b32 s23, 0
	s_mov_b32 s0, s19
	s_branch .LBB344_693
.LBB344_663:
	s_mov_b32 s24, -1
	s_mov_b32 s23, 0
	s_mov_b32 s0, s19
	s_branch .LBB344_676
.LBB344_664:
	s_mov_b32 s24, -1
	s_mov_b32 s23, 0
	s_mov_b32 s0, s19
	s_branch .LBB344_672
.LBB344_665:
	s_mov_b32 s24, -1
	s_mov_b32 s23, 0
	s_mov_b32 s0, s19
.LBB344_666:
	s_and_b32 vcc_lo, exec_lo, s24
	s_cbranch_vccz .LBB344_671
; %bb.667:
	v_cmp_eq_u16_e32 vcc_lo, 44, v5
	s_mov_b32 s0, -1
	s_cbranch_vccz .LBB344_671
; %bb.668:
	v_and_b32_e32 v6, 0xffff, v4
	v_mov_b32_e32 v7, 0xff
	s_mov_b32 s23, exec_lo
	s_delay_alu instid0(VALU_DEP_2) | instskip(NEXT) | instid1(VALU_DEP_1)
	v_bfe_u32 v8, v6, 7, 8
	v_cmpx_ne_u32_e32 0xff, v8
; %bb.669:
	v_lshlrev_b32_e32 v7, 16, v6
	v_and_b32_e32 v9, 64, v6
	v_lshrrev_b32_e32 v6, 7, v6
	s_delay_alu instid0(VALU_DEP_3) | instskip(NEXT) | instid1(VALU_DEP_3)
	v_and_or_b32 v7, 0x3f0000, v7, v8
	v_cmp_ne_u32_e32 vcc_lo, 0, v9
	s_delay_alu instid0(VALU_DEP_2) | instskip(NEXT) | instid1(VALU_DEP_1)
	v_cmp_ne_u32_e64 s0, 0, v7
	s_and_b32 s0, vcc_lo, s0
	s_delay_alu instid0(SALU_CYCLE_1) | instskip(NEXT) | instid1(VALU_DEP_1)
	v_cndmask_b32_e64 v7, 0, 1, s0
	v_add_nc_u32_e32 v7, v6, v7
; %bb.670:
	s_or_b32 exec_lo, exec_lo, s23
	s_mov_b32 s23, -1
	s_mov_b32 s0, 0
	global_store_b8 v[0:1], v7, off
.LBB344_671:
	s_mov_b32 s24, 0
.LBB344_672:
	s_delay_alu instid0(SALU_CYCLE_1)
	s_and_b32 vcc_lo, exec_lo, s24
	s_cbranch_vccz .LBB344_675
; %bb.673:
	v_cmp_eq_u16_e32 vcc_lo, 29, v5
	s_mov_b32 s0, -1
	s_cbranch_vccz .LBB344_675
; %bb.674:
	v_lshlrev_b32_e32 v6, 16, v4
	s_mov_b32 s23, -1
	s_mov_b32 s0, 0
	s_mov_b32 s24, 0
	s_delay_alu instid0(VALU_DEP_1) | instskip(NEXT) | instid1(VALU_DEP_1)
	v_trunc_f32_e32 v6, v6
	v_mul_f32_e32 v7, 0x2f800000, v6
	s_delay_alu instid0(VALU_DEP_1) | instskip(NEXT) | instid1(VALU_DEP_1)
	v_floor_f32_e32 v7, v7
	v_fmamk_f32 v6, v7, 0xcf800000, v6
	v_cvt_u32_f32_e32 v7, v7
	s_delay_alu instid0(VALU_DEP_2)
	v_cvt_u32_f32_e32 v6, v6
	global_store_b64 v[0:1], v[6:7], off
	s_branch .LBB344_676
.LBB344_675:
	s_mov_b32 s24, 0
.LBB344_676:
	s_delay_alu instid0(SALU_CYCLE_1)
	s_and_b32 vcc_lo, exec_lo, s24
	s_cbranch_vccz .LBB344_692
; %bb.677:
	v_cmp_gt_i16_e32 vcc_lo, 27, v5
	s_mov_b32 s23, -1
	s_cbranch_vccnz .LBB344_683
; %bb.678:
	v_cmp_lt_i16_e32 vcc_lo, 27, v5
	s_cbranch_vccz .LBB344_680
; %bb.679:
	v_lshlrev_b32_e32 v6, 16, v4
	s_mov_b32 s23, 0
	s_delay_alu instid0(VALU_DEP_1)
	v_cvt_u32_f32_e32 v6, v6
	global_store_b32 v[0:1], v6, off
.LBB344_680:
	s_and_not1_b32 vcc_lo, exec_lo, s23
	s_cbranch_vccnz .LBB344_682
; %bb.681:
	v_lshlrev_b32_e32 v6, 16, v4
	s_delay_alu instid0(VALU_DEP_1)
	v_cvt_u32_f32_e32 v6, v6
	global_store_b16 v[0:1], v6, off
.LBB344_682:
	s_mov_b32 s23, 0
.LBB344_683:
	s_delay_alu instid0(SALU_CYCLE_1)
	s_and_not1_b32 vcc_lo, exec_lo, s23
	s_cbranch_vccnz .LBB344_691
; %bb.684:
	v_dual_mov_b32 v9, 0x80 :: v_dual_lshlrev_b32 v8, 16, v4
	s_mov_b32 s23, exec_lo
	s_delay_alu instid0(VALU_DEP_1) | instskip(NEXT) | instid1(VALU_DEP_1)
	v_and_b32_e32 v7, 0x7fffffff, v8
	v_cmpx_gt_u32_e32 0x43800000, v7
	s_cbranch_execz .LBB344_690
; %bb.685:
	v_and_b32_e32 v6, 0xffff, v4
	v_cmp_lt_u32_e32 vcc_lo, 0x3bffffff, v7
	s_mov_b32 s24, 0
                                        ; implicit-def: $vgpr7
	s_and_saveexec_b32 s25, vcc_lo
	s_delay_alu instid0(SALU_CYCLE_1)
	s_xor_b32 s25, exec_lo, s25
	s_cbranch_execz .LBB344_792
; %bb.686:
	v_bfe_u32 v7, v6, 4, 1
	s_mov_b32 s24, exec_lo
	s_delay_alu instid0(VALU_DEP_1) | instskip(NEXT) | instid1(VALU_DEP_1)
	v_add3_u32 v7, v8, v7, 0x487ffff
                                        ; implicit-def: $vgpr8
	v_lshrrev_b32_e32 v7, 20, v7
	s_or_saveexec_b32 s25, s25
                                        ; implicit-def: $sgpr26
	s_delay_alu instid0(SALU_CYCLE_1)
	s_xor_b32 exec_lo, exec_lo, s25
	s_cbranch_execnz .LBB344_793
.LBB344_687:
	s_or_b32 exec_lo, exec_lo, s25
	v_mov_b32_e32 v9, s26
	s_and_saveexec_b32 s25, s24
.LBB344_688:
	v_lshrrev_b32_e32 v6, 8, v6
	s_delay_alu instid0(VALU_DEP_1)
	v_and_or_b32 v9, 0x80, v6, v7
.LBB344_689:
	s_or_b32 exec_lo, exec_lo, s25
.LBB344_690:
	s_delay_alu instid0(SALU_CYCLE_1)
	s_or_b32 exec_lo, exec_lo, s23
	global_store_b8 v[0:1], v9, off
.LBB344_691:
	s_mov_b32 s23, -1
.LBB344_692:
	s_mov_b32 s24, 0
.LBB344_693:
	s_delay_alu instid0(SALU_CYCLE_1)
	s_and_b32 vcc_lo, exec_lo, s24
	s_cbranch_vccz .LBB344_734
; %bb.694:
	v_cmp_lt_i16_e32 vcc_lo, 22, v5
	s_mov_b32 s24, -1
	s_cbranch_vccz .LBB344_726
; %bb.695:
	v_cmp_gt_i16_e32 vcc_lo, 24, v5
	s_mov_b32 s23, -1
	s_cbranch_vccnz .LBB344_715
; %bb.696:
	v_cmp_lt_i16_e32 vcc_lo, 24, v5
	s_cbranch_vccz .LBB344_704
; %bb.697:
	v_dual_mov_b32 v9, 0x80 :: v_dual_lshlrev_b32 v8, 16, v4
	s_mov_b32 s23, exec_lo
	s_delay_alu instid0(VALU_DEP_1) | instskip(NEXT) | instid1(VALU_DEP_1)
	v_and_b32_e32 v7, 0x7fffffff, v8
	v_cmpx_gt_u32_e32 0x47800000, v7
	s_cbranch_execz .LBB344_703
; %bb.698:
	v_and_b32_e32 v6, 0xffff, v4
	v_cmp_lt_u32_e32 vcc_lo, 0x37ffffff, v7
	s_mov_b32 s24, 0
                                        ; implicit-def: $vgpr7
	s_and_saveexec_b32 s25, vcc_lo
	s_delay_alu instid0(SALU_CYCLE_1)
	s_xor_b32 s25, exec_lo, s25
	s_cbranch_execz .LBB344_795
; %bb.699:
	v_bfe_u32 v7, v6, 5, 1
	s_mov_b32 s24, exec_lo
	s_delay_alu instid0(VALU_DEP_1) | instskip(NEXT) | instid1(VALU_DEP_1)
	v_add3_u32 v7, v8, v7, 0x88fffff
                                        ; implicit-def: $vgpr8
	v_lshrrev_b32_e32 v7, 21, v7
	s_or_saveexec_b32 s25, s25
                                        ; implicit-def: $sgpr26
	s_delay_alu instid0(SALU_CYCLE_1)
	s_xor_b32 exec_lo, exec_lo, s25
	s_cbranch_execnz .LBB344_796
.LBB344_700:
	s_or_b32 exec_lo, exec_lo, s25
	v_mov_b32_e32 v9, s26
	s_and_saveexec_b32 s25, s24
.LBB344_701:
	v_lshrrev_b32_e32 v6, 8, v6
	s_delay_alu instid0(VALU_DEP_1)
	v_and_or_b32 v9, 0x80, v6, v7
.LBB344_702:
	s_or_b32 exec_lo, exec_lo, s25
.LBB344_703:
	s_delay_alu instid0(SALU_CYCLE_1)
	s_or_b32 exec_lo, exec_lo, s23
	s_mov_b32 s23, 0
	global_store_b8 v[0:1], v9, off
.LBB344_704:
	s_and_b32 vcc_lo, exec_lo, s23
	s_cbranch_vccz .LBB344_714
; %bb.705:
	v_lshlrev_b32_e32 v8, 16, v4
	v_and_b32_e32 v6, 0xffff, v4
	s_mov_b32 s23, exec_lo
                                        ; implicit-def: $vgpr7
	s_delay_alu instid0(VALU_DEP_2) | instskip(NEXT) | instid1(VALU_DEP_1)
	v_and_b32_e32 v9, 0x7fffffff, v8
	v_cmpx_gt_u32_e32 0x43f00000, v9
	s_xor_b32 s23, exec_lo, s23
	s_cbranch_execz .LBB344_711
; %bb.706:
	s_mov_b32 s24, exec_lo
                                        ; implicit-def: $vgpr7
	v_cmpx_lt_u32_e32 0x3c7fffff, v9
	s_xor_b32 s24, exec_lo, s24
; %bb.707:
	v_bfe_u32 v7, v6, 4, 1
	s_delay_alu instid0(VALU_DEP_1) | instskip(NEXT) | instid1(VALU_DEP_1)
	v_add3_u32 v7, v8, v7, 0x407ffff
	v_and_b32_e32 v8, 0xff00000, v7
	v_lshrrev_b32_e32 v7, 20, v7
	s_delay_alu instid0(VALU_DEP_2) | instskip(NEXT) | instid1(VALU_DEP_2)
	v_cmp_ne_u32_e32 vcc_lo, 0x7f00000, v8
                                        ; implicit-def: $vgpr8
	v_cndmask_b32_e32 v7, 0x7e, v7, vcc_lo
; %bb.708:
	s_and_not1_saveexec_b32 s24, s24
; %bb.709:
	v_add_f32_e64 v7, 0x46800000, |v8|
; %bb.710:
	s_or_b32 exec_lo, exec_lo, s24
                                        ; implicit-def: $vgpr9
.LBB344_711:
	s_and_not1_saveexec_b32 s23, s23
; %bb.712:
	v_mov_b32_e32 v7, 0x7f
	v_cmp_lt_u32_e32 vcc_lo, 0x7f800000, v9
	s_delay_alu instid0(VALU_DEP_2)
	v_cndmask_b32_e32 v7, 0x7e, v7, vcc_lo
; %bb.713:
	s_or_b32 exec_lo, exec_lo, s23
	v_lshrrev_b32_e32 v6, 8, v6
	s_delay_alu instid0(VALU_DEP_1)
	v_and_or_b32 v6, 0x80, v6, v7
	global_store_b8 v[0:1], v6, off
.LBB344_714:
	s_mov_b32 s23, 0
.LBB344_715:
	s_delay_alu instid0(SALU_CYCLE_1)
	s_and_not1_b32 vcc_lo, exec_lo, s23
	s_cbranch_vccnz .LBB344_725
; %bb.716:
	v_lshlrev_b32_e32 v8, 16, v4
	v_and_b32_e32 v6, 0xffff, v4
	s_mov_b32 s23, exec_lo
                                        ; implicit-def: $vgpr7
	s_delay_alu instid0(VALU_DEP_2) | instskip(NEXT) | instid1(VALU_DEP_1)
	v_and_b32_e32 v9, 0x7fffffff, v8
	v_cmpx_gt_u32_e32 0x47800000, v9
	s_xor_b32 s23, exec_lo, s23
	s_cbranch_execz .LBB344_722
; %bb.717:
	s_mov_b32 s24, exec_lo
                                        ; implicit-def: $vgpr7
	v_cmpx_lt_u32_e32 0x387fffff, v9
	s_xor_b32 s24, exec_lo, s24
; %bb.718:
	v_bfe_u32 v7, v6, 5, 1
	s_delay_alu instid0(VALU_DEP_1) | instskip(NEXT) | instid1(VALU_DEP_1)
	v_add3_u32 v7, v8, v7, 0x80fffff
                                        ; implicit-def: $vgpr8
	v_lshrrev_b32_e32 v7, 21, v7
; %bb.719:
	s_and_not1_saveexec_b32 s24, s24
; %bb.720:
	v_add_f32_e64 v7, 0x43000000, |v8|
; %bb.721:
	s_or_b32 exec_lo, exec_lo, s24
                                        ; implicit-def: $vgpr9
.LBB344_722:
	s_and_not1_saveexec_b32 s23, s23
; %bb.723:
	v_mov_b32_e32 v7, 0x7f
	v_cmp_lt_u32_e32 vcc_lo, 0x7f800000, v9
	s_delay_alu instid0(VALU_DEP_2)
	v_cndmask_b32_e32 v7, 0x7c, v7, vcc_lo
; %bb.724:
	s_or_b32 exec_lo, exec_lo, s23
	v_lshrrev_b32_e32 v6, 8, v6
	s_delay_alu instid0(VALU_DEP_1)
	v_and_or_b32 v6, 0x80, v6, v7
	global_store_b8 v[0:1], v6, off
.LBB344_725:
	s_mov_b32 s24, 0
	s_mov_b32 s23, -1
.LBB344_726:
	s_and_not1_b32 vcc_lo, exec_lo, s24
	s_cbranch_vccnz .LBB344_734
; %bb.727:
	v_cmp_lt_i16_e32 vcc_lo, 14, v5
	s_mov_b32 s24, -1
	s_cbranch_vccz .LBB344_731
; %bb.728:
	v_cmp_eq_u16_e32 vcc_lo, 15, v5
	s_mov_b32 s0, -1
	s_cbranch_vccz .LBB344_730
; %bb.729:
	s_mov_b32 s23, -1
	s_mov_b32 s0, 0
	global_store_b16 v[0:1], v4, off
.LBB344_730:
	s_mov_b32 s24, 0
.LBB344_731:
	s_delay_alu instid0(SALU_CYCLE_1)
	s_and_b32 vcc_lo, exec_lo, s24
	s_cbranch_vccz .LBB344_734
; %bb.732:
	v_cmp_eq_u16_e32 vcc_lo, 11, v5
	s_mov_b32 s0, -1
	s_cbranch_vccz .LBB344_734
; %bb.733:
	v_and_b32_e32 v6, 0x7fff, v4
	s_mov_b32 s0, 0
	s_mov_b32 s23, -1
	s_delay_alu instid0(VALU_DEP_1)
	v_cmp_ne_u16_e32 vcc_lo, 0, v6
	v_cndmask_b32_e64 v6, 0, 1, vcc_lo
	global_store_b8 v[0:1], v6, off
.LBB344_734:
	s_mov_b32 s24, 0
.LBB344_735:
	s_delay_alu instid0(SALU_CYCLE_1)
	s_and_b32 vcc_lo, exec_lo, s24
	s_cbranch_vccz .LBB344_774
; %bb.736:
	v_cmp_gt_i16_e32 vcc_lo, 5, v5
	s_mov_b32 s23, -1
	s_cbranch_vccnz .LBB344_757
; %bb.737:
	v_cmp_gt_i16_e32 vcc_lo, 8, v5
	s_cbranch_vccnz .LBB344_747
; %bb.738:
	v_cmp_gt_i16_e32 vcc_lo, 9, v5
	s_cbranch_vccnz .LBB344_744
; %bb.739:
	v_cmp_lt_i16_e32 vcc_lo, 9, v5
	s_cbranch_vccz .LBB344_741
; %bb.740:
	v_mov_b32_e32 v8, 0
	v_lshlrev_b32_e32 v6, 16, v4
	s_mov_b32 s23, 0
	s_delay_alu instid0(VALU_DEP_2) | instskip(NEXT) | instid1(VALU_DEP_2)
	v_mov_b32_e32 v9, v8
	v_cvt_f64_f32_e32 v[6:7], v6
	global_store_b128 v[0:1], v[6:9], off
.LBB344_741:
	s_and_not1_b32 vcc_lo, exec_lo, s23
	s_cbranch_vccnz .LBB344_743
; %bb.742:
	v_dual_mov_b32 v7, 0 :: v_dual_lshlrev_b32 v6, 16, v4
	global_store_b64 v[0:1], v[6:7], off
.LBB344_743:
	s_mov_b32 s23, 0
.LBB344_744:
	s_delay_alu instid0(SALU_CYCLE_1)
	s_and_not1_b32 vcc_lo, exec_lo, s23
	s_cbranch_vccnz .LBB344_746
; %bb.745:
	v_lshlrev_b32_e32 v6, 16, v4
	s_delay_alu instid0(VALU_DEP_1) | instskip(NEXT) | instid1(VALU_DEP_1)
	v_cvt_f16_f32_e32 v6, v6
	v_and_b32_e32 v6, 0xffff, v6
	global_store_b32 v[0:1], v6, off
.LBB344_746:
	s_mov_b32 s23, 0
.LBB344_747:
	s_delay_alu instid0(SALU_CYCLE_1)
	s_and_not1_b32 vcc_lo, exec_lo, s23
	s_cbranch_vccnz .LBB344_756
; %bb.748:
	v_cmp_gt_i16_e32 vcc_lo, 6, v5
	s_mov_b32 s23, -1
	s_cbranch_vccnz .LBB344_754
; %bb.749:
	v_cmp_lt_i16_e32 vcc_lo, 6, v5
	s_cbranch_vccz .LBB344_751
; %bb.750:
	v_lshlrev_b32_e32 v6, 16, v4
	s_mov_b32 s23, 0
	s_delay_alu instid0(VALU_DEP_1)
	v_cvt_f64_f32_e32 v[6:7], v6
	global_store_b64 v[0:1], v[6:7], off
.LBB344_751:
	s_and_not1_b32 vcc_lo, exec_lo, s23
	s_cbranch_vccnz .LBB344_753
; %bb.752:
	v_lshlrev_b32_e32 v6, 16, v4
	global_store_b32 v[0:1], v6, off
.LBB344_753:
	s_mov_b32 s23, 0
.LBB344_754:
	s_delay_alu instid0(SALU_CYCLE_1)
	s_and_not1_b32 vcc_lo, exec_lo, s23
	s_cbranch_vccnz .LBB344_756
; %bb.755:
	v_lshlrev_b32_e32 v6, 16, v4
	s_delay_alu instid0(VALU_DEP_1)
	v_cvt_f16_f32_e32 v6, v6
	global_store_b16 v[0:1], v6, off
.LBB344_756:
	s_mov_b32 s23, 0
.LBB344_757:
	s_delay_alu instid0(SALU_CYCLE_1)
	s_and_not1_b32 vcc_lo, exec_lo, s23
	s_cbranch_vccnz .LBB344_773
; %bb.758:
	v_cmp_gt_i16_e32 vcc_lo, 2, v5
	s_mov_b32 s23, -1
	s_cbranch_vccnz .LBB344_768
; %bb.759:
	v_cmp_gt_i16_e32 vcc_lo, 3, v5
	s_cbranch_vccnz .LBB344_765
; %bb.760:
	v_cmp_lt_i16_e32 vcc_lo, 3, v5
	s_cbranch_vccz .LBB344_762
; %bb.761:
	v_lshlrev_b32_e32 v6, 16, v4
	s_mov_b32 s23, 0
	s_delay_alu instid0(VALU_DEP_1) | instskip(NEXT) | instid1(VALU_DEP_1)
	v_trunc_f32_e32 v6, v6
	v_mul_f32_e64 v7, 0x2f800000, |v6|
	v_ashrrev_i32_e32 v9, 31, v6
	s_delay_alu instid0(VALU_DEP_2) | instskip(NEXT) | instid1(VALU_DEP_1)
	v_floor_f32_e32 v7, v7
	v_fma_f32 v8, 0xcf800000, v7, |v6|
	v_cvt_u32_f32_e32 v7, v7
	s_delay_alu instid0(VALU_DEP_2) | instskip(NEXT) | instid1(VALU_DEP_2)
	v_cvt_u32_f32_e32 v6, v8
	v_xor_b32_e32 v7, v7, v9
	s_delay_alu instid0(VALU_DEP_2) | instskip(NEXT) | instid1(VALU_DEP_1)
	v_xor_b32_e32 v6, v6, v9
	v_sub_co_u32 v6, vcc_lo, v6, v9
	s_delay_alu instid0(VALU_DEP_3)
	v_sub_co_ci_u32_e32 v7, vcc_lo, v7, v9, vcc_lo
	global_store_b64 v[0:1], v[6:7], off
.LBB344_762:
	s_and_not1_b32 vcc_lo, exec_lo, s23
	s_cbranch_vccnz .LBB344_764
; %bb.763:
	v_lshlrev_b32_e32 v6, 16, v4
	s_delay_alu instid0(VALU_DEP_1)
	v_cvt_i32_f32_e32 v6, v6
	global_store_b32 v[0:1], v6, off
.LBB344_764:
	s_mov_b32 s23, 0
.LBB344_765:
	s_delay_alu instid0(SALU_CYCLE_1)
	s_and_not1_b32 vcc_lo, exec_lo, s23
	s_cbranch_vccnz .LBB344_767
; %bb.766:
	v_lshlrev_b32_e32 v6, 16, v4
	s_delay_alu instid0(VALU_DEP_1)
	v_cvt_i32_f32_e32 v6, v6
	global_store_b16 v[0:1], v6, off
.LBB344_767:
	s_mov_b32 s23, 0
.LBB344_768:
	s_delay_alu instid0(SALU_CYCLE_1)
	s_and_not1_b32 vcc_lo, exec_lo, s23
	s_cbranch_vccnz .LBB344_773
; %bb.769:
	v_cmp_lt_i16_e32 vcc_lo, 0, v5
	s_mov_b32 s23, -1
	s_cbranch_vccz .LBB344_771
; %bb.770:
	v_lshlrev_b32_e32 v5, 16, v4
	s_mov_b32 s23, 0
	s_delay_alu instid0(VALU_DEP_1)
	v_cvt_i32_f32_e32 v5, v5
	global_store_b8 v[0:1], v5, off
.LBB344_771:
	s_and_not1_b32 vcc_lo, exec_lo, s23
	s_cbranch_vccnz .LBB344_773
; %bb.772:
	v_lshlrev_b32_e32 v4, 16, v4
	s_delay_alu instid0(VALU_DEP_1) | instskip(NEXT) | instid1(VALU_DEP_1)
	v_trunc_f32_e32 v4, v4
	v_mul_f32_e64 v5, 0x2f800000, |v4|
	s_delay_alu instid0(VALU_DEP_1) | instskip(NEXT) | instid1(VALU_DEP_1)
	v_floor_f32_e32 v5, v5
	v_fma_f32 v5, 0xcf800000, v5, |v4|
	v_ashrrev_i32_e32 v4, 31, v4
	s_delay_alu instid0(VALU_DEP_2) | instskip(NEXT) | instid1(VALU_DEP_1)
	v_cvt_u32_f32_e32 v5, v5
	v_xor_b32_e32 v5, v5, v4
	s_delay_alu instid0(VALU_DEP_1)
	v_sub_nc_u32_e32 v4, v5, v4
	global_store_b8 v[0:1], v4, off
.LBB344_773:
	s_mov_b32 s23, -1
.LBB344_774:
	s_delay_alu instid0(SALU_CYCLE_1)
	s_and_not1_b32 vcc_lo, exec_lo, s23
	s_cbranch_vccnz .LBB344_776
; %bb.775:
	v_add_nc_u32_e32 v2, 0x80, v2
	s_mov_b32 s24, -1
	s_branch .LBB344_778
.LBB344_776:
	s_mov_b32 s24, 0
.LBB344_777:
                                        ; implicit-def: $vgpr2
.LBB344_778:
	s_and_not1_b32 s23, s19, exec_lo
	s_and_b32 s0, s0, exec_lo
	s_and_not1_b32 s25, s18, exec_lo
	s_and_b32 s22, s22, exec_lo
	s_or_b32 s23, s23, s0
	s_or_b32 s22, s25, s22
	s_or_not1_b32 s0, s24, exec_lo
.LBB344_779:
	s_or_b32 exec_lo, exec_lo, s21
	s_mov_b32 s24, 0
	s_mov_b32 s25, 0
	;; [unrolled: 1-line block ×3, first 2 shown]
                                        ; implicit-def: $vgpr0_vgpr1
                                        ; implicit-def: $vgpr4
	s_and_saveexec_b32 s21, s0
	s_cbranch_execz .LBB344_864
; %bb.780:
	v_cmp_gt_i32_e32 vcc_lo, s14, v2
	s_mov_b32 s0, 0
	s_mov_b32 s24, s22
                                        ; implicit-def: $vgpr0_vgpr1
                                        ; implicit-def: $vgpr4
	s_and_saveexec_b32 s14, vcc_lo
	s_cbranch_execz .LBB344_863
; %bb.781:
	v_mul_lo_u32 v0, v2, s9
	v_cmp_gt_i16_e32 vcc_lo, 11, v3
	s_delay_alu instid0(VALU_DEP_2) | instskip(SKIP_1) | instid1(VALU_DEP_1)
	v_ashrrev_i32_e32 v1, 31, v0
	v_add_co_u32 v0, s0, s6, v0
	v_add_co_ci_u32_e64 v1, s0, s7, v1, s0
	s_cbranch_vccnz .LBB344_788
; %bb.782:
	v_cmp_lt_i16_e32 vcc_lo, 25, v3
	s_mov_b32 s24, 0
	s_cbranch_vccz .LBB344_789
; %bb.783:
	v_cmp_lt_i16_e32 vcc_lo, 28, v3
	s_cbranch_vccz .LBB344_790
; %bb.784:
	v_cmp_lt_i16_e32 vcc_lo, 43, v3
	s_cbranch_vccz .LBB344_791
; %bb.785:
	v_cmp_lt_i16_e32 vcc_lo, 45, v3
	s_cbranch_vccz .LBB344_794
; %bb.786:
	v_cmp_eq_u16_e32 vcc_lo, 46, v3
	s_cbranch_vccz .LBB344_797
; %bb.787:
	global_load_b32 v4, v[0:1], off
	s_mov_b32 s0, 0
	s_mov_b32 s25, -1
	s_branch .LBB344_799
.LBB344_788:
	s_mov_b32 s27, -1
	s_mov_b32 s24, 0
	s_mov_b32 s0, s22
                                        ; implicit-def: $vgpr4
	s_branch .LBB344_862
.LBB344_789:
	s_mov_b32 s26, -1
	s_mov_b32 s0, s22
                                        ; implicit-def: $vgpr4
	s_branch .LBB344_828
.LBB344_790:
	s_mov_b32 s26, -1
	s_mov_b32 s0, s22
                                        ; implicit-def: $vgpr4
	s_branch .LBB344_809
.LBB344_791:
	s_mov_b32 s26, -1
	s_mov_b32 s0, s22
                                        ; implicit-def: $vgpr4
	s_branch .LBB344_804
.LBB344_792:
	s_or_saveexec_b32 s25, s25
                                        ; implicit-def: $sgpr26
	s_delay_alu instid0(SALU_CYCLE_1)
	s_xor_b32 exec_lo, exec_lo, s25
	s_cbranch_execz .LBB344_687
.LBB344_793:
	v_add_f32_e64 v7, 0x46000000, |v8|
	s_and_not1_b32 s24, s24, exec_lo
	s_mov_b32 s26, 0
	s_delay_alu instid0(VALU_DEP_1) | instskip(NEXT) | instid1(VALU_DEP_1)
	v_and_b32_e32 v7, 0xff, v7
	v_cmp_ne_u32_e32 vcc_lo, 0, v7
	s_and_b32 s27, vcc_lo, exec_lo
	s_delay_alu instid0(SALU_CYCLE_1)
	s_or_b32 s24, s24, s27
	s_or_b32 exec_lo, exec_lo, s25
	v_mov_b32_e32 v9, s26
	s_and_saveexec_b32 s25, s24
	s_cbranch_execnz .LBB344_688
	s_branch .LBB344_689
.LBB344_794:
	s_mov_b32 s26, -1
	s_mov_b32 s0, s22
	s_branch .LBB344_798
.LBB344_795:
	s_or_saveexec_b32 s25, s25
                                        ; implicit-def: $sgpr26
	s_delay_alu instid0(SALU_CYCLE_1)
	s_xor_b32 exec_lo, exec_lo, s25
	s_cbranch_execz .LBB344_700
.LBB344_796:
	v_add_f32_e64 v7, 0x42800000, |v8|
	s_and_not1_b32 s24, s24, exec_lo
	s_mov_b32 s26, 0
	s_delay_alu instid0(VALU_DEP_1) | instskip(NEXT) | instid1(VALU_DEP_1)
	v_and_b32_e32 v7, 0xff, v7
	v_cmp_ne_u32_e32 vcc_lo, 0, v7
	s_and_b32 s27, vcc_lo, exec_lo
	s_delay_alu instid0(SALU_CYCLE_1)
	s_or_b32 s24, s24, s27
	s_or_b32 exec_lo, exec_lo, s25
	v_mov_b32_e32 v9, s26
	s_and_saveexec_b32 s25, s24
	s_cbranch_execnz .LBB344_701
	s_branch .LBB344_702
.LBB344_797:
	s_mov_b32 s0, -1
.LBB344_798:
                                        ; implicit-def: $vgpr4
.LBB344_799:
	s_and_b32 vcc_lo, exec_lo, s26
	s_cbranch_vccz .LBB344_803
; %bb.800:
	v_cmp_eq_u16_e32 vcc_lo, 44, v3
	s_cbranch_vccz .LBB344_802
; %bb.801:
	global_load_u8 v4, v[0:1], off
	s_mov_b32 s0, 0
	s_mov_b32 s25, -1
	s_waitcnt vmcnt(0)
	v_lshlrev_b32_e32 v5, 23, v4
	v_cmp_ne_u32_e32 vcc_lo, 0xff, v4
	s_delay_alu instid0(VALU_DEP_2) | instskip(SKIP_1) | instid1(VALU_DEP_2)
	v_cndmask_b32_e32 v5, 0x7f800001, v5, vcc_lo
	v_cmp_ne_u32_e32 vcc_lo, 0, v4
	v_cndmask_b32_e32 v4, 0x400000, v5, vcc_lo
	s_delay_alu instid0(VALU_DEP_1) | instskip(SKIP_1) | instid1(VALU_DEP_2)
	v_add_nc_u32_e32 v5, 0x7fff, v4
	v_cmp_o_f32_e32 vcc_lo, v4, v4
	v_lshrrev_b32_e32 v5, 16, v5
	s_delay_alu instid0(VALU_DEP_1)
	v_cndmask_b32_e32 v4, 0x7fc0, v5, vcc_lo
	s_branch .LBB344_803
.LBB344_802:
	s_mov_b32 s0, -1
                                        ; implicit-def: $vgpr4
.LBB344_803:
	s_mov_b32 s26, 0
.LBB344_804:
	s_delay_alu instid0(SALU_CYCLE_1)
	s_and_b32 vcc_lo, exec_lo, s26
	s_cbranch_vccz .LBB344_808
; %bb.805:
	v_cmp_eq_u16_e32 vcc_lo, 29, v3
	s_cbranch_vccz .LBB344_807
; %bb.806:
	global_load_b64 v[4:5], v[0:1], off
	s_mov_b32 s0, 0
	s_mov_b32 s25, -1
	s_mov_b32 s26, 0
	s_waitcnt vmcnt(0)
	v_clz_i32_u32_e32 v6, v5
	s_delay_alu instid0(VALU_DEP_1) | instskip(NEXT) | instid1(VALU_DEP_1)
	v_min_u32_e32 v6, 32, v6
	v_lshlrev_b64 v[4:5], v6, v[4:5]
	s_delay_alu instid0(VALU_DEP_1) | instskip(NEXT) | instid1(VALU_DEP_1)
	v_min_u32_e32 v4, 1, v4
	v_or_b32_e32 v4, v5, v4
	v_sub_nc_u32_e32 v5, 32, v6
	s_delay_alu instid0(VALU_DEP_2) | instskip(NEXT) | instid1(VALU_DEP_1)
	v_cvt_f32_u32_e32 v4, v4
	v_ldexp_f32 v4, v4, v5
	s_delay_alu instid0(VALU_DEP_1) | instskip(NEXT) | instid1(VALU_DEP_1)
	v_bfe_u32 v5, v4, 16, 1
	v_add3_u32 v4, v4, v5, 0x7fff
	s_delay_alu instid0(VALU_DEP_1)
	v_lshrrev_b32_e32 v4, 16, v4
	s_branch .LBB344_809
.LBB344_807:
	s_mov_b32 s0, -1
                                        ; implicit-def: $vgpr4
.LBB344_808:
	s_mov_b32 s26, 0
.LBB344_809:
	s_delay_alu instid0(SALU_CYCLE_1)
	s_and_b32 vcc_lo, exec_lo, s26
	s_cbranch_vccz .LBB344_827
; %bb.810:
	v_cmp_gt_i16_e32 vcc_lo, 27, v3
	s_cbranch_vccnz .LBB344_813
; %bb.811:
	v_cmp_lt_i16_e32 vcc_lo, 27, v3
	s_cbranch_vccz .LBB344_814
; %bb.812:
	global_load_b32 v4, v[0:1], off
	s_mov_b32 s25, 0
	s_waitcnt vmcnt(0)
	v_cvt_f32_u32_e32 v4, v4
	s_delay_alu instid0(VALU_DEP_1) | instskip(NEXT) | instid1(VALU_DEP_1)
	v_bfe_u32 v5, v4, 16, 1
	v_add3_u32 v4, v4, v5, 0x7fff
	s_delay_alu instid0(VALU_DEP_1)
	v_lshrrev_b32_e32 v4, 16, v4
	s_branch .LBB344_815
.LBB344_813:
	s_mov_b32 s25, -1
                                        ; implicit-def: $vgpr4
	s_branch .LBB344_818
.LBB344_814:
	s_mov_b32 s25, -1
                                        ; implicit-def: $vgpr4
.LBB344_815:
	s_delay_alu instid0(SALU_CYCLE_1)
	s_and_not1_b32 vcc_lo, exec_lo, s25
	s_cbranch_vccnz .LBB344_817
; %bb.816:
	global_load_u16 v4, v[0:1], off
	s_waitcnt vmcnt(0)
	v_cvt_f32_u32_e32 v4, v4
	s_delay_alu instid0(VALU_DEP_1) | instskip(NEXT) | instid1(VALU_DEP_1)
	v_bfe_u32 v5, v4, 16, 1
	v_add3_u32 v4, v4, v5, 0x7fff
	s_delay_alu instid0(VALU_DEP_1)
	v_lshrrev_b32_e32 v4, 16, v4
.LBB344_817:
	s_mov_b32 s25, 0
.LBB344_818:
	s_delay_alu instid0(SALU_CYCLE_1)
	s_and_not1_b32 vcc_lo, exec_lo, s25
	s_cbranch_vccnz .LBB344_826
; %bb.819:
	global_load_u8 v4, v[0:1], off
	s_mov_b32 s25, 0
	s_mov_b32 s27, exec_lo
                                        ; implicit-def: $sgpr26
	s_waitcnt vmcnt(0)
	v_cmpx_lt_i16_e32 0x7f, v4
	s_xor_b32 s27, exec_lo, s27
	s_cbranch_execz .LBB344_840
; %bb.820:
	s_mov_b32 s25, -1
	s_mov_b32 s28, exec_lo
                                        ; implicit-def: $sgpr26
	v_cmpx_eq_u16_e32 0x80, v4
; %bb.821:
	s_mov_b32 s26, 0x7f800001
	s_xor_b32 s25, exec_lo, -1
; %bb.822:
	s_or_b32 exec_lo, exec_lo, s28
	s_delay_alu instid0(SALU_CYCLE_1)
	s_and_b32 s25, s25, exec_lo
	s_or_saveexec_b32 s27, s27
	v_mov_b32_e32 v5, s26
	s_xor_b32 exec_lo, exec_lo, s27
	s_cbranch_execnz .LBB344_841
.LBB344_823:
	s_or_b32 exec_lo, exec_lo, s27
	s_and_saveexec_b32 s26, s25
	s_cbranch_execz .LBB344_825
.LBB344_824:
	v_and_b32_e32 v5, 0xffff, v4
	v_lshlrev_b32_e32 v4, 24, v4
	s_delay_alu instid0(VALU_DEP_2) | instskip(NEXT) | instid1(VALU_DEP_2)
	v_and_b32_e32 v6, 7, v5
	v_and_b32_e32 v4, 0x80000000, v4
	s_delay_alu instid0(VALU_DEP_2) | instskip(NEXT) | instid1(VALU_DEP_1)
	v_clz_i32_u32_e32 v7, v6
	v_min_u32_e32 v7, 32, v7
	s_delay_alu instid0(VALU_DEP_1) | instskip(SKIP_1) | instid1(VALU_DEP_2)
	v_subrev_nc_u32_e32 v8, 28, v7
	v_sub_nc_u32_e32 v7, 29, v7
	v_lshlrev_b32_e32 v8, v8, v5
	v_bfe_u32 v5, v5, 3, 4
	s_delay_alu instid0(VALU_DEP_2) | instskip(NEXT) | instid1(VALU_DEP_2)
	v_and_b32_e32 v8, 7, v8
	v_cmp_eq_u32_e32 vcc_lo, 0, v5
	s_delay_alu instid0(VALU_DEP_2) | instskip(NEXT) | instid1(VALU_DEP_1)
	v_dual_cndmask_b32 v5, v5, v7 :: v_dual_cndmask_b32 v6, v6, v8
	v_lshl_add_u32 v5, v5, 23, 0x3b800000
	s_delay_alu instid0(VALU_DEP_2) | instskip(NEXT) | instid1(VALU_DEP_1)
	v_lshlrev_b32_e32 v6, 20, v6
	v_or3_b32 v5, v4, v5, v6
.LBB344_825:
	s_or_b32 exec_lo, exec_lo, s26
	s_delay_alu instid0(VALU_DEP_1) | instskip(SKIP_1) | instid1(VALU_DEP_2)
	v_bfe_u32 v4, v5, 16, 1
	v_cmp_o_f32_e32 vcc_lo, v5, v5
	v_add3_u32 v4, v5, v4, 0x7fff
	s_delay_alu instid0(VALU_DEP_1) | instskip(NEXT) | instid1(VALU_DEP_1)
	v_lshrrev_b32_e32 v4, 16, v4
	v_cndmask_b32_e32 v4, 0x7fc0, v4, vcc_lo
.LBB344_826:
	s_mov_b32 s25, -1
.LBB344_827:
	s_mov_b32 s26, 0
.LBB344_828:
	s_delay_alu instid0(SALU_CYCLE_1)
	s_and_b32 vcc_lo, exec_lo, s26
	s_cbranch_vccz .LBB344_861
; %bb.829:
	v_cmp_lt_i16_e32 vcc_lo, 22, v3
	s_cbranch_vccz .LBB344_839
; %bb.830:
	v_cmp_gt_i16_e32 vcc_lo, 24, v3
	s_cbranch_vccnz .LBB344_842
; %bb.831:
	v_cmp_lt_i16_e32 vcc_lo, 24, v3
	s_cbranch_vccz .LBB344_843
; %bb.832:
	global_load_u8 v4, v[0:1], off
	s_mov_b32 s26, exec_lo
                                        ; implicit-def: $sgpr25
	s_waitcnt vmcnt(0)
	v_cmpx_lt_i16_e32 0x7f, v4
	s_xor_b32 s26, exec_lo, s26
	s_cbranch_execz .LBB344_855
; %bb.833:
	s_mov_b32 s24, -1
	s_mov_b32 s27, exec_lo
                                        ; implicit-def: $sgpr25
	v_cmpx_eq_u16_e32 0x80, v4
; %bb.834:
	s_mov_b32 s25, 0x7f800001
	s_xor_b32 s24, exec_lo, -1
; %bb.835:
	s_or_b32 exec_lo, exec_lo, s27
	s_delay_alu instid0(SALU_CYCLE_1)
	s_and_b32 s24, s24, exec_lo
	s_or_saveexec_b32 s26, s26
	v_mov_b32_e32 v5, s25
	s_xor_b32 exec_lo, exec_lo, s26
	s_cbranch_execnz .LBB344_856
.LBB344_836:
	s_or_b32 exec_lo, exec_lo, s26
	s_and_saveexec_b32 s25, s24
	s_cbranch_execz .LBB344_838
.LBB344_837:
	v_and_b32_e32 v5, 0xffff, v4
	v_lshlrev_b32_e32 v4, 24, v4
	s_delay_alu instid0(VALU_DEP_2) | instskip(NEXT) | instid1(VALU_DEP_2)
	v_and_b32_e32 v6, 3, v5
	v_and_b32_e32 v4, 0x80000000, v4
	s_delay_alu instid0(VALU_DEP_2) | instskip(NEXT) | instid1(VALU_DEP_1)
	v_clz_i32_u32_e32 v7, v6
	v_min_u32_e32 v7, 32, v7
	s_delay_alu instid0(VALU_DEP_1) | instskip(SKIP_1) | instid1(VALU_DEP_2)
	v_subrev_nc_u32_e32 v8, 29, v7
	v_sub_nc_u32_e32 v7, 30, v7
	v_lshlrev_b32_e32 v8, v8, v5
	v_bfe_u32 v5, v5, 2, 5
	s_delay_alu instid0(VALU_DEP_2) | instskip(NEXT) | instid1(VALU_DEP_2)
	v_and_b32_e32 v8, 3, v8
	v_cmp_eq_u32_e32 vcc_lo, 0, v5
	s_delay_alu instid0(VALU_DEP_2) | instskip(NEXT) | instid1(VALU_DEP_1)
	v_dual_cndmask_b32 v5, v5, v7 :: v_dual_cndmask_b32 v6, v6, v8
	v_lshl_add_u32 v5, v5, 23, 0x37800000
	s_delay_alu instid0(VALU_DEP_2) | instskip(NEXT) | instid1(VALU_DEP_1)
	v_lshlrev_b32_e32 v6, 21, v6
	v_or3_b32 v5, v4, v5, v6
.LBB344_838:
	s_or_b32 exec_lo, exec_lo, s25
	s_delay_alu instid0(VALU_DEP_1) | instskip(SKIP_2) | instid1(VALU_DEP_2)
	v_bfe_u32 v4, v5, 16, 1
	v_cmp_o_f32_e32 vcc_lo, v5, v5
	s_mov_b32 s24, 0
	v_add3_u32 v4, v5, v4, 0x7fff
	s_delay_alu instid0(VALU_DEP_1) | instskip(NEXT) | instid1(VALU_DEP_1)
	v_lshrrev_b32_e32 v4, 16, v4
	v_cndmask_b32_e32 v4, 0x7fc0, v4, vcc_lo
	s_branch .LBB344_844
.LBB344_839:
	s_mov_b32 s24, -1
                                        ; implicit-def: $vgpr4
	s_branch .LBB344_850
.LBB344_840:
	s_or_saveexec_b32 s27, s27
	v_mov_b32_e32 v5, s26
	s_xor_b32 exec_lo, exec_lo, s27
	s_cbranch_execz .LBB344_823
.LBB344_841:
	v_cmp_ne_u16_e32 vcc_lo, 0, v4
	v_mov_b32_e32 v5, 0
	s_and_not1_b32 s25, s25, exec_lo
	s_and_b32 s26, vcc_lo, exec_lo
	s_delay_alu instid0(SALU_CYCLE_1)
	s_or_b32 s25, s25, s26
	s_or_b32 exec_lo, exec_lo, s27
	s_and_saveexec_b32 s26, s25
	s_cbranch_execnz .LBB344_824
	s_branch .LBB344_825
.LBB344_842:
	s_mov_b32 s24, -1
                                        ; implicit-def: $vgpr4
	s_branch .LBB344_847
.LBB344_843:
	s_mov_b32 s24, -1
                                        ; implicit-def: $vgpr4
.LBB344_844:
	s_delay_alu instid0(SALU_CYCLE_1)
	s_and_b32 vcc_lo, exec_lo, s24
	s_cbranch_vccz .LBB344_846
; %bb.845:
	global_load_u8 v4, v[0:1], off
	s_waitcnt vmcnt(0)
	v_lshlrev_b32_e32 v4, 24, v4
	s_delay_alu instid0(VALU_DEP_1) | instskip(NEXT) | instid1(VALU_DEP_1)
	v_and_b32_e32 v5, 0x7f000000, v4
	v_clz_i32_u32_e32 v6, v5
	v_add_nc_u32_e32 v8, 0x1000000, v5
	v_cmp_ne_u32_e32 vcc_lo, 0, v5
	s_delay_alu instid0(VALU_DEP_3) | instskip(NEXT) | instid1(VALU_DEP_1)
	v_min_u32_e32 v6, 32, v6
	v_sub_nc_u32_e64 v6, v6, 4 clamp
	s_delay_alu instid0(VALU_DEP_1) | instskip(SKIP_1) | instid1(VALU_DEP_2)
	v_lshlrev_b32_e32 v7, v6, v5
	v_lshlrev_b32_e32 v6, 23, v6
	v_lshrrev_b32_e32 v7, 4, v7
	s_delay_alu instid0(VALU_DEP_1) | instskip(SKIP_1) | instid1(VALU_DEP_2)
	v_sub_nc_u32_e32 v6, v7, v6
	v_ashrrev_i32_e32 v7, 8, v8
	v_add_nc_u32_e32 v6, 0x3c000000, v6
	s_delay_alu instid0(VALU_DEP_1) | instskip(NEXT) | instid1(VALU_DEP_1)
	v_and_or_b32 v6, 0x7f800000, v7, v6
	v_cndmask_b32_e32 v5, 0, v6, vcc_lo
	s_delay_alu instid0(VALU_DEP_1) | instskip(SKIP_1) | instid1(VALU_DEP_2)
	v_and_or_b32 v4, 0x80000000, v4, v5
	v_bfe_u32 v5, v5, 16, 1
	v_cmp_o_f32_e32 vcc_lo, v4, v4
	s_delay_alu instid0(VALU_DEP_2) | instskip(NEXT) | instid1(VALU_DEP_1)
	v_add3_u32 v5, v4, v5, 0x7fff
	v_lshrrev_b32_e32 v5, 16, v5
	s_delay_alu instid0(VALU_DEP_1)
	v_cndmask_b32_e32 v4, 0x7fc0, v5, vcc_lo
.LBB344_846:
	s_mov_b32 s24, 0
.LBB344_847:
	s_delay_alu instid0(SALU_CYCLE_1)
	s_and_not1_b32 vcc_lo, exec_lo, s24
	s_cbranch_vccnz .LBB344_849
; %bb.848:
	global_load_u8 v4, v[0:1], off
	s_waitcnt vmcnt(0)
	v_lshlrev_b32_e32 v5, 25, v4
	v_lshlrev_b16 v4, 8, v4
	s_delay_alu instid0(VALU_DEP_2) | instskip(NEXT) | instid1(VALU_DEP_2)
	v_lshrrev_b32_e32 v6, 4, v5
	v_and_or_b32 v7, 0x7f00, v4, 0.5
	v_bfe_i32 v4, v4, 0, 16
	s_delay_alu instid0(VALU_DEP_3) | instskip(NEXT) | instid1(VALU_DEP_1)
	v_or_b32_e32 v6, 0x70000000, v6
	v_dual_add_f32 v7, -0.5, v7 :: v_dual_mul_f32 v6, 0x7800000, v6
	v_cmp_gt_u32_e32 vcc_lo, 0x8000000, v5
	s_delay_alu instid0(VALU_DEP_2) | instskip(NEXT) | instid1(VALU_DEP_1)
	v_cndmask_b32_e32 v5, v6, v7, vcc_lo
	v_and_or_b32 v4, 0x80000000, v4, v5
	v_bfe_u32 v5, v5, 16, 1
	s_delay_alu instid0(VALU_DEP_2) | instskip(NEXT) | instid1(VALU_DEP_2)
	v_cmp_o_f32_e32 vcc_lo, v4, v4
	v_add3_u32 v5, v4, v5, 0x7fff
	s_delay_alu instid0(VALU_DEP_1) | instskip(NEXT) | instid1(VALU_DEP_1)
	v_lshrrev_b32_e32 v5, 16, v5
	v_cndmask_b32_e32 v4, 0x7fc0, v5, vcc_lo
.LBB344_849:
	s_mov_b32 s24, 0
	s_mov_b32 s25, -1
.LBB344_850:
	s_and_not1_b32 vcc_lo, exec_lo, s24
	s_mov_b32 s24, 0
	s_cbranch_vccnz .LBB344_861
; %bb.851:
	v_cmp_lt_i16_e32 vcc_lo, 14, v3
	s_cbranch_vccz .LBB344_854
; %bb.852:
	v_cmp_eq_u16_e32 vcc_lo, 15, v3
	s_cbranch_vccz .LBB344_857
; %bb.853:
	global_load_u16 v4, v[0:1], off
	s_mov_b32 s0, 0
	s_mov_b32 s25, -1
	s_branch .LBB344_859
.LBB344_854:
	s_mov_b32 s24, -1
	s_branch .LBB344_858
.LBB344_855:
	s_or_saveexec_b32 s26, s26
	v_mov_b32_e32 v5, s25
	s_xor_b32 exec_lo, exec_lo, s26
	s_cbranch_execz .LBB344_836
.LBB344_856:
	v_cmp_ne_u16_e32 vcc_lo, 0, v4
	v_mov_b32_e32 v5, 0
	s_and_not1_b32 s24, s24, exec_lo
	s_and_b32 s25, vcc_lo, exec_lo
	s_delay_alu instid0(SALU_CYCLE_1)
	s_or_b32 s24, s24, s25
	s_or_b32 exec_lo, exec_lo, s26
	s_and_saveexec_b32 s25, s24
	s_cbranch_execnz .LBB344_837
	s_branch .LBB344_838
.LBB344_857:
	s_mov_b32 s0, -1
.LBB344_858:
                                        ; implicit-def: $vgpr4
.LBB344_859:
	s_and_b32 vcc_lo, exec_lo, s24
	s_mov_b32 s24, 0
	s_cbranch_vccz .LBB344_861
; %bb.860:
	v_cmp_ne_u16_e32 vcc_lo, 11, v3
	s_and_not1_b32 s0, s0, exec_lo
	s_mov_b32 s24, -1
                                        ; implicit-def: $vgpr4
	s_and_b32 s26, vcc_lo, exec_lo
	s_delay_alu instid0(SALU_CYCLE_1)
	s_or_b32 s0, s0, s26
.LBB344_861:
	s_mov_b32 s27, 0
.LBB344_862:
	s_and_b32 s26, s25, exec_lo
	s_and_b32 s25, s27, exec_lo
	s_and_not1_b32 s27, s22, exec_lo
	s_and_b32 s28, s0, exec_lo
	s_and_b32 s0, s24, exec_lo
	s_or_b32 s24, s27, s28
.LBB344_863:
	s_or_b32 exec_lo, exec_lo, s14
	s_delay_alu instid0(SALU_CYCLE_1)
	s_and_not1_b32 s14, s22, exec_lo
	s_and_b32 s22, s24, exec_lo
	s_and_b32 s26, s26, exec_lo
	;; [unrolled: 1-line block ×4, first 2 shown]
	s_or_b32 s22, s14, s22
.LBB344_864:
	s_or_b32 exec_lo, exec_lo, s21
	s_delay_alu instid0(SALU_CYCLE_1)
	s_and_not1_b32 s0, s19, exec_lo
	s_and_b32 s14, s23, exec_lo
	s_and_b32 s23, s25, exec_lo
	s_or_b32 s19, s0, s14
	s_and_not1_b32 s14, s18, exec_lo
	s_and_b32 s18, s22, exec_lo
	s_and_b32 s0, s26, exec_lo
	;; [unrolled: 1-line block ×3, first 2 shown]
	s_or_b32 s18, s14, s18
.LBB344_865:
	s_or_b32 exec_lo, exec_lo, s20
	s_delay_alu instid0(SALU_CYCLE_1)
	s_and_not1_b32 s14, s15, exec_lo
	s_and_b32 s15, s19, exec_lo
	s_and_b32 s0, s0, exec_lo
	s_or_b32 s15, s14, s15
	s_and_not1_b32 s14, s16, exec_lo
	s_and_b32 s16, s18, exec_lo
	s_and_b32 s19, s23, exec_lo
	;; [unrolled: 1-line block ×3, first 2 shown]
	s_or_b32 s16, s14, s16
.LBB344_866:
	s_or_b32 exec_lo, exec_lo, s17
	s_mov_b32 s14, 0
	s_and_saveexec_b32 s17, s16
	s_cbranch_execnz .LBB344_878
; %bb.867:
	s_or_b32 exec_lo, exec_lo, s17
	s_and_saveexec_b32 s16, s18
	s_delay_alu instid0(SALU_CYCLE_1)
	s_xor_b32 s16, exec_lo, s16
	s_cbranch_execz .LBB344_869
.LBB344_868:
	global_load_u8 v4, v[0:1], off
	s_or_b32 s0, s0, exec_lo
	s_waitcnt vmcnt(0)
	v_cmp_ne_u16_e32 vcc_lo, 0, v4
	v_cndmask_b32_e64 v4, 0, 1.0, vcc_lo
	s_delay_alu instid0(VALU_DEP_1)
	v_lshrrev_b32_e32 v4, 16, v4
.LBB344_869:
	s_or_b32 exec_lo, exec_lo, s16
	s_and_saveexec_b32 s16, s19
	s_cbranch_execz .LBB344_917
; %bb.870:
	v_cmp_gt_i16_e32 vcc_lo, 5, v3
	s_cbranch_vccnz .LBB344_875
; %bb.871:
	v_cmp_gt_i16_e32 vcc_lo, 8, v3
	s_cbranch_vccnz .LBB344_876
	;; [unrolled: 3-line block ×3, first 2 shown]
; %bb.873:
	v_cmp_lt_i16_e32 vcc_lo, 9, v3
	s_cbranch_vccz .LBB344_880
; %bb.874:
	global_load_b64 v[4:5], v[0:1], off
	s_mov_b32 s17, 0
	s_waitcnt vmcnt(0)
	v_cvt_f32_f64_e32 v4, v[4:5]
	s_delay_alu instid0(VALU_DEP_1) | instskip(SKIP_1) | instid1(VALU_DEP_2)
	v_bfe_u32 v5, v4, 16, 1
	v_cmp_o_f32_e32 vcc_lo, v4, v4
	v_add3_u32 v5, v4, v5, 0x7fff
	s_delay_alu instid0(VALU_DEP_1) | instskip(NEXT) | instid1(VALU_DEP_1)
	v_lshrrev_b32_e32 v5, 16, v5
	v_cndmask_b32_e32 v4, 0x7fc0, v5, vcc_lo
	s_branch .LBB344_881
.LBB344_875:
                                        ; implicit-def: $vgpr4
	s_branch .LBB344_898
.LBB344_876:
                                        ; implicit-def: $vgpr4
	s_branch .LBB344_887
.LBB344_877:
	s_mov_b32 s17, -1
                                        ; implicit-def: $vgpr4
	s_branch .LBB344_884
.LBB344_878:
	s_cbranch_execnz .LBB344_928
; %bb.879:
	s_mov_b32 s14, exec_lo
	s_and_not1_b32 s18, s18, exec_lo
                                        ; implicit-def: $vgpr4
	s_or_b32 exec_lo, exec_lo, s17
	s_and_saveexec_b32 s16, s18
	s_delay_alu instid0(SALU_CYCLE_1)
	s_xor_b32 s16, exec_lo, s16
	s_cbranch_execnz .LBB344_868
	s_branch .LBB344_869
.LBB344_880:
	s_mov_b32 s17, -1
                                        ; implicit-def: $vgpr4
.LBB344_881:
	s_delay_alu instid0(SALU_CYCLE_1)
	s_and_not1_b32 vcc_lo, exec_lo, s17
	s_cbranch_vccnz .LBB344_883
; %bb.882:
	global_load_b32 v4, v[0:1], off
	s_waitcnt vmcnt(0)
	v_bfe_u32 v5, v4, 16, 1
	v_cmp_o_f32_e32 vcc_lo, v4, v4
	s_delay_alu instid0(VALU_DEP_2) | instskip(NEXT) | instid1(VALU_DEP_1)
	v_add3_u32 v5, v4, v5, 0x7fff
	v_lshrrev_b32_e32 v5, 16, v5
	s_delay_alu instid0(VALU_DEP_1)
	v_cndmask_b32_e32 v4, 0x7fc0, v5, vcc_lo
.LBB344_883:
	s_mov_b32 s17, 0
.LBB344_884:
	s_delay_alu instid0(SALU_CYCLE_1)
	s_and_not1_b32 vcc_lo, exec_lo, s17
	s_cbranch_vccnz .LBB344_886
; %bb.885:
	global_load_b32 v4, v[0:1], off
	s_waitcnt vmcnt(0)
	v_cvt_f32_f16_e32 v5, v4
	v_cmp_o_f16_e32 vcc_lo, v4, v4
	s_delay_alu instid0(VALU_DEP_2) | instskip(NEXT) | instid1(VALU_DEP_1)
	v_bfe_u32 v6, v5, 16, 1
	v_add3_u32 v5, v5, v6, 0x7fff
	s_delay_alu instid0(VALU_DEP_1) | instskip(NEXT) | instid1(VALU_DEP_1)
	v_lshrrev_b32_e32 v5, 16, v5
	v_cndmask_b32_e32 v4, 0x7fc0, v5, vcc_lo
.LBB344_886:
	s_cbranch_execnz .LBB344_897
.LBB344_887:
	v_cmp_gt_i16_e32 vcc_lo, 6, v3
	s_cbranch_vccnz .LBB344_890
; %bb.888:
	v_cmp_lt_i16_e32 vcc_lo, 6, v3
	s_cbranch_vccz .LBB344_891
; %bb.889:
	global_load_b64 v[4:5], v[0:1], off
	s_mov_b32 s17, 0
	s_waitcnt vmcnt(0)
	v_cvt_f32_f64_e32 v4, v[4:5]
	s_delay_alu instid0(VALU_DEP_1) | instskip(SKIP_1) | instid1(VALU_DEP_2)
	v_bfe_u32 v5, v4, 16, 1
	v_cmp_o_f32_e32 vcc_lo, v4, v4
	v_add3_u32 v5, v4, v5, 0x7fff
	s_delay_alu instid0(VALU_DEP_1) | instskip(NEXT) | instid1(VALU_DEP_1)
	v_lshrrev_b32_e32 v5, 16, v5
	v_cndmask_b32_e32 v4, 0x7fc0, v5, vcc_lo
	s_branch .LBB344_892
.LBB344_890:
	s_mov_b32 s17, -1
                                        ; implicit-def: $vgpr4
	s_branch .LBB344_895
.LBB344_891:
	s_mov_b32 s17, -1
                                        ; implicit-def: $vgpr4
.LBB344_892:
	s_delay_alu instid0(SALU_CYCLE_1)
	s_and_not1_b32 vcc_lo, exec_lo, s17
	s_cbranch_vccnz .LBB344_894
; %bb.893:
	global_load_b32 v4, v[0:1], off
	s_waitcnt vmcnt(0)
	v_bfe_u32 v5, v4, 16, 1
	v_cmp_o_f32_e32 vcc_lo, v4, v4
	s_delay_alu instid0(VALU_DEP_2) | instskip(NEXT) | instid1(VALU_DEP_1)
	v_add3_u32 v5, v4, v5, 0x7fff
	v_lshrrev_b32_e32 v5, 16, v5
	s_delay_alu instid0(VALU_DEP_1)
	v_cndmask_b32_e32 v4, 0x7fc0, v5, vcc_lo
.LBB344_894:
	s_mov_b32 s17, 0
.LBB344_895:
	s_delay_alu instid0(SALU_CYCLE_1)
	s_and_not1_b32 vcc_lo, exec_lo, s17
	s_cbranch_vccnz .LBB344_897
; %bb.896:
	global_load_u16 v4, v[0:1], off
	s_waitcnt vmcnt(0)
	v_cvt_f32_f16_e32 v5, v4
	v_cmp_o_f16_e32 vcc_lo, v4, v4
	s_delay_alu instid0(VALU_DEP_2) | instskip(NEXT) | instid1(VALU_DEP_1)
	v_bfe_u32 v6, v5, 16, 1
	v_add3_u32 v5, v5, v6, 0x7fff
	s_delay_alu instid0(VALU_DEP_1) | instskip(NEXT) | instid1(VALU_DEP_1)
	v_lshrrev_b32_e32 v5, 16, v5
	v_cndmask_b32_e32 v4, 0x7fc0, v5, vcc_lo
.LBB344_897:
	s_cbranch_execnz .LBB344_916
.LBB344_898:
	v_cmp_gt_i16_e32 vcc_lo, 2, v3
	s_cbranch_vccnz .LBB344_902
; %bb.899:
	v_cmp_gt_i16_e32 vcc_lo, 3, v3
	s_cbranch_vccnz .LBB344_903
; %bb.900:
	v_cmp_lt_i16_e32 vcc_lo, 3, v3
	s_cbranch_vccz .LBB344_904
; %bb.901:
	global_load_b64 v[4:5], v[0:1], off
	s_mov_b32 s17, 0
	s_waitcnt vmcnt(0)
	v_xor_b32_e32 v6, v4, v5
	v_cls_i32_e32 v7, v5
	s_delay_alu instid0(VALU_DEP_2) | instskip(NEXT) | instid1(VALU_DEP_2)
	v_ashrrev_i32_e32 v6, 31, v6
	v_add_nc_u32_e32 v7, -1, v7
	s_delay_alu instid0(VALU_DEP_2) | instskip(NEXT) | instid1(VALU_DEP_1)
	v_add_nc_u32_e32 v6, 32, v6
	v_min_u32_e32 v6, v7, v6
	s_delay_alu instid0(VALU_DEP_1) | instskip(NEXT) | instid1(VALU_DEP_1)
	v_lshlrev_b64 v[4:5], v6, v[4:5]
	v_min_u32_e32 v4, 1, v4
	s_delay_alu instid0(VALU_DEP_1) | instskip(SKIP_1) | instid1(VALU_DEP_2)
	v_or_b32_e32 v4, v5, v4
	v_sub_nc_u32_e32 v5, 32, v6
	v_cvt_f32_i32_e32 v4, v4
	s_delay_alu instid0(VALU_DEP_1) | instskip(NEXT) | instid1(VALU_DEP_1)
	v_ldexp_f32 v4, v4, v5
	v_bfe_u32 v5, v4, 16, 1
	s_delay_alu instid0(VALU_DEP_1) | instskip(NEXT) | instid1(VALU_DEP_1)
	v_add3_u32 v4, v4, v5, 0x7fff
	v_lshrrev_b32_e32 v4, 16, v4
	s_branch .LBB344_905
.LBB344_902:
                                        ; implicit-def: $vgpr4
	s_branch .LBB344_911
.LBB344_903:
	s_mov_b32 s17, -1
                                        ; implicit-def: $vgpr4
	s_branch .LBB344_908
.LBB344_904:
	s_mov_b32 s17, -1
                                        ; implicit-def: $vgpr4
.LBB344_905:
	s_delay_alu instid0(SALU_CYCLE_1)
	s_and_not1_b32 vcc_lo, exec_lo, s17
	s_cbranch_vccnz .LBB344_907
; %bb.906:
	global_load_b32 v4, v[0:1], off
	s_waitcnt vmcnt(0)
	v_cvt_f32_i32_e32 v4, v4
	s_delay_alu instid0(VALU_DEP_1) | instskip(NEXT) | instid1(VALU_DEP_1)
	v_bfe_u32 v5, v4, 16, 1
	v_add3_u32 v4, v4, v5, 0x7fff
	s_delay_alu instid0(VALU_DEP_1)
	v_lshrrev_b32_e32 v4, 16, v4
.LBB344_907:
	s_mov_b32 s17, 0
.LBB344_908:
	s_delay_alu instid0(SALU_CYCLE_1)
	s_and_not1_b32 vcc_lo, exec_lo, s17
	s_cbranch_vccnz .LBB344_910
; %bb.909:
	global_load_i16 v4, v[0:1], off
	s_waitcnt vmcnt(0)
	v_cvt_f32_i32_e32 v4, v4
	s_delay_alu instid0(VALU_DEP_1) | instskip(NEXT) | instid1(VALU_DEP_1)
	v_bfe_u32 v5, v4, 16, 1
	v_add3_u32 v4, v4, v5, 0x7fff
	s_delay_alu instid0(VALU_DEP_1)
	v_lshrrev_b32_e32 v4, 16, v4
.LBB344_910:
	s_cbranch_execnz .LBB344_916
.LBB344_911:
	v_cmp_lt_i16_e32 vcc_lo, 0, v3
	s_mov_b32 s17, 0
	s_cbranch_vccz .LBB344_913
; %bb.912:
	global_load_i8 v3, v[0:1], off
	s_waitcnt vmcnt(0)
	v_cvt_f32_i32_e32 v3, v3
	s_delay_alu instid0(VALU_DEP_1) | instskip(NEXT) | instid1(VALU_DEP_1)
	v_bfe_u32 v4, v3, 16, 1
	v_add3_u32 v3, v3, v4, 0x7fff
	s_delay_alu instid0(VALU_DEP_1)
	v_lshrrev_b32_e32 v4, 16, v3
	s_branch .LBB344_914
.LBB344_913:
	s_mov_b32 s17, -1
                                        ; implicit-def: $vgpr4
.LBB344_914:
	s_delay_alu instid0(SALU_CYCLE_1)
	s_and_not1_b32 vcc_lo, exec_lo, s17
	s_cbranch_vccnz .LBB344_916
; %bb.915:
	global_load_u8 v0, v[0:1], off
	s_waitcnt vmcnt(0)
	v_cvt_f32_ubyte0_e32 v0, v0
	s_delay_alu instid0(VALU_DEP_1) | instskip(NEXT) | instid1(VALU_DEP_1)
	v_bfe_u32 v1, v0, 16, 1
	v_add3_u32 v0, v0, v1, 0x7fff
	s_delay_alu instid0(VALU_DEP_1)
	v_lshrrev_b32_e32 v4, 16, v0
.LBB344_916:
	s_or_b32 s0, s0, exec_lo
.LBB344_917:
	s_or_b32 exec_lo, exec_lo, s16
	s_mov_b32 s18, 0
	s_mov_b32 s17, 0
                                        ; implicit-def: $vgpr3
                                        ; implicit-def: $vgpr0_vgpr1
	s_and_saveexec_b32 s16, s0
	s_cbranch_execz .LBB344_999
; %bb.918:
	s_waitcnt vmcnt(0)
	v_lshlrev_b32_e32 v0, 16, v4
	s_mov_b32 s0, exec_lo
	s_delay_alu instid0(VALU_DEP_1)
	v_cmpx_o_f32_e32 v0, v0
; %bb.919:
	v_cmp_lt_f32_e32 vcc_lo, s13, v0
	s_and_b32 s13, 0xffff, s2
	v_cndmask_b32_e32 v0, s1, v4, vcc_lo
	s_delay_alu instid0(VALU_DEP_1) | instskip(NEXT) | instid1(VALU_DEP_1)
	v_lshlrev_b32_e32 v1, 16, v0
	v_cmp_gt_f32_e32 vcc_lo, s10, v1
	v_cndmask_b32_e32 v4, s13, v0, vcc_lo
; %bb.920:
	s_or_b32 exec_lo, exec_lo, s0
	v_mul_lo_u32 v0, v2, s8
	v_and_b32_e64 v3, 0xff, s11
	s_delay_alu instid0(VALU_DEP_1) | instskip(NEXT) | instid1(VALU_DEP_3)
	v_cmp_gt_i16_e32 vcc_lo, 11, v3
	v_ashrrev_i32_e32 v1, 31, v0
	v_add_co_u32 v0, s0, s4, v0
	s_delay_alu instid0(VALU_DEP_1)
	v_add_co_ci_u32_e64 v1, s0, s5, v1, s0
	s_cbranch_vccnz .LBB344_927
; %bb.921:
	v_cmp_lt_i16_e32 vcc_lo, 25, v3
	s_mov_b32 s10, -1
	s_mov_b32 s0, s15
	s_cbranch_vccz .LBB344_957
; %bb.922:
	v_cmp_lt_i16_e32 vcc_lo, 28, v3
	s_mov_b32 s0, s15
	s_cbranch_vccz .LBB344_941
; %bb.923:
	v_cmp_lt_i16_e32 vcc_lo, 43, v3
	;; [unrolled: 4-line block ×3, first 2 shown]
	s_mov_b32 s0, s15
	s_cbranch_vccz .LBB344_931
; %bb.925:
	v_cmp_eq_u16_e32 vcc_lo, 46, v3
	s_mov_b32 s0, -1
	s_cbranch_vccz .LBB344_930
; %bb.926:
	v_and_b32_e32 v2, 0xffff, v4
	s_mov_b32 s0, 0
	s_mov_b32 s10, 0
	global_store_b32 v[0:1], v2, off
	s_branch .LBB344_931
.LBB344_927:
	s_mov_b32 s13, 0
	s_mov_b32 s10, -1
	s_mov_b32 s0, s15
	s_branch .LBB344_998
.LBB344_928:
	s_trap 2
	s_sendmsg_rtn_b32 s0, sendmsg(MSG_RTN_GET_DOORBELL)
	s_mov_b32 ttmp2, m0
	s_waitcnt lgkmcnt(0)
	s_and_b32 s0, s0, 0x3ff
	s_delay_alu instid0(SALU_CYCLE_1) | instskip(NEXT) | instid1(SALU_CYCLE_1)
	s_bitset1_b32 s0, 10
	s_mov_b32 m0, s0
	s_sendmsg sendmsg(MSG_INTERRUPT)
	s_mov_b32 m0, ttmp2
.LBB344_929:                            ; =>This Inner Loop Header: Depth=1
	s_sethalt 5
	s_branch .LBB344_929
.LBB344_930:
	s_mov_b32 s10, 0
.LBB344_931:
	s_delay_alu instid0(SALU_CYCLE_1)
	s_and_b32 vcc_lo, exec_lo, s10
	s_cbranch_vccz .LBB344_936
; %bb.932:
	v_cmp_eq_u16_e32 vcc_lo, 44, v3
	s_mov_b32 s0, -1
	s_cbranch_vccz .LBB344_936
; %bb.933:
	v_and_b32_e32 v2, 0xffff, v4
	v_mov_b32_e32 v5, 0xff
	s_mov_b32 s10, exec_lo
	s_delay_alu instid0(VALU_DEP_2) | instskip(NEXT) | instid1(VALU_DEP_1)
	v_bfe_u32 v6, v2, 7, 8
	v_cmpx_ne_u32_e32 0xff, v6
; %bb.934:
	v_lshlrev_b32_e32 v5, 16, v2
	v_and_b32_e32 v7, 64, v2
	v_lshrrev_b32_e32 v2, 7, v2
	s_delay_alu instid0(VALU_DEP_3) | instskip(NEXT) | instid1(VALU_DEP_3)
	v_and_or_b32 v5, 0x3f0000, v5, v6
	v_cmp_ne_u32_e32 vcc_lo, 0, v7
	s_delay_alu instid0(VALU_DEP_2) | instskip(NEXT) | instid1(VALU_DEP_1)
	v_cmp_ne_u32_e64 s0, 0, v5
	s_and_b32 s0, vcc_lo, s0
	s_delay_alu instid0(SALU_CYCLE_1) | instskip(NEXT) | instid1(VALU_DEP_1)
	v_cndmask_b32_e64 v5, 0, 1, s0
	v_add_nc_u32_e32 v5, v2, v5
; %bb.935:
	s_or_b32 exec_lo, exec_lo, s10
	s_mov_b32 s0, 0
	global_store_b8 v[0:1], v5, off
.LBB344_936:
	s_mov_b32 s10, 0
.LBB344_937:
	s_delay_alu instid0(SALU_CYCLE_1)
	s_and_b32 vcc_lo, exec_lo, s10
	s_cbranch_vccz .LBB344_940
; %bb.938:
	v_cmp_eq_u16_e32 vcc_lo, 29, v3
	s_mov_b32 s0, -1
	s_cbranch_vccz .LBB344_940
; %bb.939:
	v_lshlrev_b32_e32 v2, 16, v4
	s_mov_b32 s0, 0
	s_mov_b32 s10, 0
	s_delay_alu instid0(VALU_DEP_1) | instskip(NEXT) | instid1(VALU_DEP_1)
	v_trunc_f32_e32 v2, v2
	v_mul_f32_e32 v5, 0x2f800000, v2
	s_delay_alu instid0(VALU_DEP_1) | instskip(NEXT) | instid1(VALU_DEP_1)
	v_floor_f32_e32 v5, v5
	v_fmamk_f32 v2, v5, 0xcf800000, v2
	v_cvt_u32_f32_e32 v6, v5
	s_delay_alu instid0(VALU_DEP_2)
	v_cvt_u32_f32_e32 v5, v2
	global_store_b64 v[0:1], v[5:6], off
	s_branch .LBB344_941
.LBB344_940:
	s_mov_b32 s10, 0
.LBB344_941:
	s_delay_alu instid0(SALU_CYCLE_1)
	s_and_b32 vcc_lo, exec_lo, s10
	s_cbranch_vccz .LBB344_956
; %bb.942:
	v_cmp_gt_i16_e32 vcc_lo, 27, v3
	s_mov_b32 s10, -1
	s_cbranch_vccnz .LBB344_948
; %bb.943:
	v_cmp_lt_i16_e32 vcc_lo, 27, v3
	s_cbranch_vccz .LBB344_945
; %bb.944:
	v_lshlrev_b32_e32 v2, 16, v4
	s_mov_b32 s10, 0
	s_delay_alu instid0(VALU_DEP_1)
	v_cvt_u32_f32_e32 v2, v2
	global_store_b32 v[0:1], v2, off
.LBB344_945:
	s_and_not1_b32 vcc_lo, exec_lo, s10
	s_cbranch_vccnz .LBB344_947
; %bb.946:
	v_lshlrev_b32_e32 v2, 16, v4
	s_delay_alu instid0(VALU_DEP_1)
	v_cvt_u32_f32_e32 v2, v2
	global_store_b16 v[0:1], v2, off
.LBB344_947:
	s_mov_b32 s10, 0
.LBB344_948:
	s_delay_alu instid0(SALU_CYCLE_1)
	s_and_not1_b32 vcc_lo, exec_lo, s10
	s_cbranch_vccnz .LBB344_956
; %bb.949:
	v_dual_mov_b32 v7, 0x80 :: v_dual_lshlrev_b32 v6, 16, v4
	s_mov_b32 s10, exec_lo
	s_delay_alu instid0(VALU_DEP_1) | instskip(NEXT) | instid1(VALU_DEP_1)
	v_and_b32_e32 v5, 0x7fffffff, v6
	v_cmpx_gt_u32_e32 0x43800000, v5
	s_cbranch_execz .LBB344_955
; %bb.950:
	v_and_b32_e32 v2, 0xffff, v4
	v_cmp_lt_u32_e32 vcc_lo, 0x3bffffff, v5
	s_mov_b32 s13, 0
                                        ; implicit-def: $vgpr5
	s_and_saveexec_b32 s17, vcc_lo
	s_delay_alu instid0(SALU_CYCLE_1)
	s_xor_b32 s17, exec_lo, s17
	s_cbranch_execz .LBB344_1192
; %bb.951:
	v_bfe_u32 v5, v2, 4, 1
	s_mov_b32 s13, exec_lo
	s_delay_alu instid0(VALU_DEP_1) | instskip(NEXT) | instid1(VALU_DEP_1)
	v_add3_u32 v5, v6, v5, 0x487ffff
                                        ; implicit-def: $vgpr6
	v_lshrrev_b32_e32 v5, 20, v5
	s_or_saveexec_b32 s17, s17
                                        ; implicit-def: $sgpr18
	s_delay_alu instid0(SALU_CYCLE_1)
	s_xor_b32 exec_lo, exec_lo, s17
	s_cbranch_execnz .LBB344_1193
.LBB344_952:
	s_or_b32 exec_lo, exec_lo, s17
	v_mov_b32_e32 v7, s18
	s_and_saveexec_b32 s17, s13
.LBB344_953:
	v_lshrrev_b32_e32 v2, 8, v2
	s_delay_alu instid0(VALU_DEP_1)
	v_and_or_b32 v7, 0x80, v2, v5
.LBB344_954:
	s_or_b32 exec_lo, exec_lo, s17
.LBB344_955:
	s_delay_alu instid0(SALU_CYCLE_1)
	s_or_b32 exec_lo, exec_lo, s10
	global_store_b8 v[0:1], v7, off
.LBB344_956:
	s_mov_b32 s10, 0
.LBB344_957:
	s_delay_alu instid0(SALU_CYCLE_1)
	s_and_b32 vcc_lo, exec_lo, s10
	s_mov_b32 s10, 0
	s_cbranch_vccz .LBB344_997
; %bb.958:
	v_cmp_lt_i16_e32 vcc_lo, 22, v3
	s_mov_b32 s13, -1
	s_cbranch_vccz .LBB344_990
; %bb.959:
	v_cmp_gt_i16_e32 vcc_lo, 24, v3
	s_cbranch_vccnz .LBB344_979
; %bb.960:
	v_cmp_lt_i16_e32 vcc_lo, 24, v3
	s_cbranch_vccz .LBB344_968
; %bb.961:
	v_dual_mov_b32 v7, 0x80 :: v_dual_lshlrev_b32 v6, 16, v4
	s_mov_b32 s13, exec_lo
	s_delay_alu instid0(VALU_DEP_1) | instskip(NEXT) | instid1(VALU_DEP_1)
	v_and_b32_e32 v5, 0x7fffffff, v6
	v_cmpx_gt_u32_e32 0x47800000, v5
	s_cbranch_execz .LBB344_967
; %bb.962:
	v_and_b32_e32 v2, 0xffff, v4
	v_cmp_lt_u32_e32 vcc_lo, 0x37ffffff, v5
	s_mov_b32 s17, 0
                                        ; implicit-def: $vgpr5
	s_and_saveexec_b32 s18, vcc_lo
	s_delay_alu instid0(SALU_CYCLE_1)
	s_xor_b32 s18, exec_lo, s18
	s_cbranch_execz .LBB344_1236
; %bb.963:
	v_bfe_u32 v5, v2, 5, 1
	s_mov_b32 s17, exec_lo
	s_delay_alu instid0(VALU_DEP_1) | instskip(NEXT) | instid1(VALU_DEP_1)
	v_add3_u32 v5, v6, v5, 0x88fffff
                                        ; implicit-def: $vgpr6
	v_lshrrev_b32_e32 v5, 21, v5
	s_or_saveexec_b32 s18, s18
                                        ; implicit-def: $sgpr19
	s_delay_alu instid0(SALU_CYCLE_1)
	s_xor_b32 exec_lo, exec_lo, s18
	s_cbranch_execnz .LBB344_1237
.LBB344_964:
	s_or_b32 exec_lo, exec_lo, s18
	v_mov_b32_e32 v7, s19
	s_and_saveexec_b32 s18, s17
.LBB344_965:
	v_lshrrev_b32_e32 v2, 8, v2
	s_delay_alu instid0(VALU_DEP_1)
	v_and_or_b32 v7, 0x80, v2, v5
.LBB344_966:
	s_or_b32 exec_lo, exec_lo, s18
.LBB344_967:
	s_delay_alu instid0(SALU_CYCLE_1)
	s_or_b32 exec_lo, exec_lo, s13
	s_mov_b32 s13, 0
	global_store_b8 v[0:1], v7, off
.LBB344_968:
	s_and_b32 vcc_lo, exec_lo, s13
	s_cbranch_vccz .LBB344_978
; %bb.969:
	v_lshlrev_b32_e32 v6, 16, v4
	v_and_b32_e32 v2, 0xffff, v4
	s_mov_b32 s13, exec_lo
                                        ; implicit-def: $vgpr5
	s_delay_alu instid0(VALU_DEP_2) | instskip(NEXT) | instid1(VALU_DEP_1)
	v_and_b32_e32 v7, 0x7fffffff, v6
	v_cmpx_gt_u32_e32 0x43f00000, v7
	s_xor_b32 s13, exec_lo, s13
	s_cbranch_execz .LBB344_975
; %bb.970:
	s_mov_b32 s17, exec_lo
                                        ; implicit-def: $vgpr5
	v_cmpx_lt_u32_e32 0x3c7fffff, v7
	s_xor_b32 s17, exec_lo, s17
; %bb.971:
	v_bfe_u32 v5, v2, 4, 1
	s_delay_alu instid0(VALU_DEP_1) | instskip(NEXT) | instid1(VALU_DEP_1)
	v_add3_u32 v5, v6, v5, 0x407ffff
	v_and_b32_e32 v6, 0xff00000, v5
	v_lshrrev_b32_e32 v5, 20, v5
	s_delay_alu instid0(VALU_DEP_2) | instskip(NEXT) | instid1(VALU_DEP_2)
	v_cmp_ne_u32_e32 vcc_lo, 0x7f00000, v6
                                        ; implicit-def: $vgpr6
	v_cndmask_b32_e32 v5, 0x7e, v5, vcc_lo
; %bb.972:
	s_and_not1_saveexec_b32 s17, s17
; %bb.973:
	v_add_f32_e64 v5, 0x46800000, |v6|
; %bb.974:
	s_or_b32 exec_lo, exec_lo, s17
                                        ; implicit-def: $vgpr7
.LBB344_975:
	s_and_not1_saveexec_b32 s13, s13
; %bb.976:
	v_mov_b32_e32 v5, 0x7f
	v_cmp_lt_u32_e32 vcc_lo, 0x7f800000, v7
	s_delay_alu instid0(VALU_DEP_2)
	v_cndmask_b32_e32 v5, 0x7e, v5, vcc_lo
; %bb.977:
	s_or_b32 exec_lo, exec_lo, s13
	v_lshrrev_b32_e32 v2, 8, v2
	s_delay_alu instid0(VALU_DEP_1)
	v_and_or_b32 v2, 0x80, v2, v5
	global_store_b8 v[0:1], v2, off
.LBB344_978:
	s_mov_b32 s13, 0
.LBB344_979:
	s_delay_alu instid0(SALU_CYCLE_1)
	s_and_not1_b32 vcc_lo, exec_lo, s13
	s_cbranch_vccnz .LBB344_989
; %bb.980:
	v_lshlrev_b32_e32 v6, 16, v4
	v_and_b32_e32 v2, 0xffff, v4
	s_mov_b32 s13, exec_lo
                                        ; implicit-def: $vgpr5
	s_delay_alu instid0(VALU_DEP_2) | instskip(NEXT) | instid1(VALU_DEP_1)
	v_and_b32_e32 v7, 0x7fffffff, v6
	v_cmpx_gt_u32_e32 0x47800000, v7
	s_xor_b32 s13, exec_lo, s13
	s_cbranch_execz .LBB344_986
; %bb.981:
	s_mov_b32 s17, exec_lo
                                        ; implicit-def: $vgpr5
	v_cmpx_lt_u32_e32 0x387fffff, v7
	s_xor_b32 s17, exec_lo, s17
; %bb.982:
	v_bfe_u32 v5, v2, 5, 1
	s_delay_alu instid0(VALU_DEP_1) | instskip(NEXT) | instid1(VALU_DEP_1)
	v_add3_u32 v5, v6, v5, 0x80fffff
                                        ; implicit-def: $vgpr6
	v_lshrrev_b32_e32 v5, 21, v5
; %bb.983:
	s_and_not1_saveexec_b32 s17, s17
; %bb.984:
	v_add_f32_e64 v5, 0x43000000, |v6|
; %bb.985:
	s_or_b32 exec_lo, exec_lo, s17
                                        ; implicit-def: $vgpr7
.LBB344_986:
	s_and_not1_saveexec_b32 s13, s13
; %bb.987:
	v_mov_b32_e32 v5, 0x7f
	v_cmp_lt_u32_e32 vcc_lo, 0x7f800000, v7
	s_delay_alu instid0(VALU_DEP_2)
	v_cndmask_b32_e32 v5, 0x7c, v5, vcc_lo
; %bb.988:
	s_or_b32 exec_lo, exec_lo, s13
	v_lshrrev_b32_e32 v2, 8, v2
	s_delay_alu instid0(VALU_DEP_1)
	v_and_or_b32 v2, 0x80, v2, v5
	global_store_b8 v[0:1], v2, off
.LBB344_989:
	s_mov_b32 s13, 0
.LBB344_990:
	s_delay_alu instid0(SALU_CYCLE_1)
	s_and_not1_b32 vcc_lo, exec_lo, s13
	s_mov_b32 s13, 0
	s_cbranch_vccnz .LBB344_998
; %bb.991:
	v_cmp_lt_i16_e32 vcc_lo, 14, v3
	s_mov_b32 s13, -1
	s_cbranch_vccz .LBB344_995
; %bb.992:
	v_cmp_eq_u16_e32 vcc_lo, 15, v3
	s_mov_b32 s0, -1
	s_cbranch_vccz .LBB344_994
; %bb.993:
	s_mov_b32 s0, 0
	global_store_b16 v[0:1], v4, off
.LBB344_994:
	s_mov_b32 s13, 0
.LBB344_995:
	s_delay_alu instid0(SALU_CYCLE_1)
	s_and_b32 vcc_lo, exec_lo, s13
	s_mov_b32 s13, 0
	s_cbranch_vccz .LBB344_998
; %bb.996:
	v_cmp_ne_u16_e32 vcc_lo, 11, v3
	s_and_not1_b32 s0, s0, exec_lo
	s_mov_b32 s13, -1
	s_and_b32 s17, vcc_lo, exec_lo
	s_delay_alu instid0(SALU_CYCLE_1)
	s_or_b32 s0, s0, s17
	s_branch .LBB344_998
.LBB344_997:
	s_mov_b32 s13, 0
.LBB344_998:
	s_and_b32 s17, s10, exec_lo
	s_and_not1_b32 s10, s15, exec_lo
	s_and_b32 s0, s0, exec_lo
	s_and_b32 s18, s13, exec_lo
	s_or_b32 s15, s10, s0
.LBB344_999:
	s_or_b32 exec_lo, exec_lo, s16
	s_and_saveexec_b32 s0, s15
	s_cbranch_execnz .LBB344_1061
; %bb.1000:
	s_or_b32 exec_lo, exec_lo, s0
	s_and_saveexec_b32 s0, s18
	s_delay_alu instid0(SALU_CYCLE_1)
	s_xor_b32 s0, exec_lo, s0
	s_cbranch_execz .LBB344_1002
.LBB344_1001:
	s_waitcnt vmcnt(0)
	v_and_b32_e32 v2, 0x7fff, v4
	s_delay_alu instid0(VALU_DEP_1)
	v_cmp_ne_u16_e32 vcc_lo, 0, v2
	v_cndmask_b32_e64 v2, 0, 1, vcc_lo
	global_store_b8 v[0:1], v2, off
.LBB344_1002:
	s_or_b32 exec_lo, exec_lo, s0
	s_and_saveexec_b32 s0, s17
	s_delay_alu instid0(SALU_CYCLE_1)
	s_xor_b32 s0, exec_lo, s0
	s_cbranch_execz .LBB344_1040
; %bb.1003:
	v_cmp_gt_i16_e32 vcc_lo, 5, v3
	s_mov_b32 s10, -1
	s_cbranch_vccnz .LBB344_1024
; %bb.1004:
	v_cmp_gt_i16_e32 vcc_lo, 8, v3
	s_cbranch_vccnz .LBB344_1014
; %bb.1005:
	v_cmp_gt_i16_e32 vcc_lo, 9, v3
	s_cbranch_vccnz .LBB344_1011
; %bb.1006:
	v_cmp_lt_i16_e32 vcc_lo, 9, v3
	s_cbranch_vccz .LBB344_1008
; %bb.1007:
	s_waitcnt vmcnt(0)
	v_dual_mov_b32 v7, 0 :: v_dual_lshlrev_b32 v2, 16, v4
	s_mov_b32 s10, 0
	s_delay_alu instid0(VALU_DEP_1) | instskip(NEXT) | instid1(VALU_DEP_2)
	v_cvt_f64_f32_e32 v[5:6], v2
	v_mov_b32_e32 v8, v7
	global_store_b128 v[0:1], v[5:8], off
.LBB344_1008:
	s_and_not1_b32 vcc_lo, exec_lo, s10
	s_cbranch_vccnz .LBB344_1010
; %bb.1009:
	s_waitcnt vmcnt(0)
	v_dual_mov_b32 v6, 0 :: v_dual_lshlrev_b32 v5, 16, v4
	global_store_b64 v[0:1], v[5:6], off
.LBB344_1010:
	s_mov_b32 s10, 0
.LBB344_1011:
	s_delay_alu instid0(SALU_CYCLE_1)
	s_and_not1_b32 vcc_lo, exec_lo, s10
	s_cbranch_vccnz .LBB344_1013
; %bb.1012:
	s_waitcnt vmcnt(0)
	v_lshlrev_b32_e32 v2, 16, v4
	s_delay_alu instid0(VALU_DEP_1) | instskip(NEXT) | instid1(VALU_DEP_1)
	v_cvt_f16_f32_e32 v2, v2
	v_and_b32_e32 v2, 0xffff, v2
	global_store_b32 v[0:1], v2, off
.LBB344_1013:
	s_mov_b32 s10, 0
.LBB344_1014:
	s_delay_alu instid0(SALU_CYCLE_1)
	s_and_not1_b32 vcc_lo, exec_lo, s10
	s_cbranch_vccnz .LBB344_1023
; %bb.1015:
	v_cmp_gt_i16_e32 vcc_lo, 6, v3
	s_mov_b32 s10, -1
	s_cbranch_vccnz .LBB344_1021
; %bb.1016:
	v_cmp_lt_i16_e32 vcc_lo, 6, v3
	s_cbranch_vccz .LBB344_1018
; %bb.1017:
	s_waitcnt vmcnt(0)
	v_lshlrev_b32_e32 v2, 16, v4
	s_mov_b32 s10, 0
	s_delay_alu instid0(VALU_DEP_1)
	v_cvt_f64_f32_e32 v[5:6], v2
	global_store_b64 v[0:1], v[5:6], off
.LBB344_1018:
	s_and_not1_b32 vcc_lo, exec_lo, s10
	s_cbranch_vccnz .LBB344_1020
; %bb.1019:
	s_waitcnt vmcnt(0)
	v_lshlrev_b32_e32 v2, 16, v4
	global_store_b32 v[0:1], v2, off
.LBB344_1020:
	s_mov_b32 s10, 0
.LBB344_1021:
	s_delay_alu instid0(SALU_CYCLE_1)
	s_and_not1_b32 vcc_lo, exec_lo, s10
	s_cbranch_vccnz .LBB344_1023
; %bb.1022:
	s_waitcnt vmcnt(0)
	v_lshlrev_b32_e32 v2, 16, v4
	s_delay_alu instid0(VALU_DEP_1)
	v_cvt_f16_f32_e32 v2, v2
	global_store_b16 v[0:1], v2, off
.LBB344_1023:
	s_mov_b32 s10, 0
.LBB344_1024:
	s_delay_alu instid0(SALU_CYCLE_1)
	s_and_not1_b32 vcc_lo, exec_lo, s10
	s_cbranch_vccnz .LBB344_1040
; %bb.1025:
	v_cmp_gt_i16_e32 vcc_lo, 2, v3
	s_mov_b32 s10, -1
	s_cbranch_vccnz .LBB344_1035
; %bb.1026:
	v_cmp_gt_i16_e32 vcc_lo, 3, v3
	s_cbranch_vccnz .LBB344_1032
; %bb.1027:
	v_cmp_lt_i16_e32 vcc_lo, 3, v3
	s_cbranch_vccz .LBB344_1029
; %bb.1028:
	s_waitcnt vmcnt(0)
	v_lshlrev_b32_e32 v2, 16, v4
	s_mov_b32 s10, 0
	s_delay_alu instid0(VALU_DEP_1) | instskip(NEXT) | instid1(VALU_DEP_1)
	v_trunc_f32_e32 v2, v2
	v_mul_f32_e64 v5, 0x2f800000, |v2|
	s_delay_alu instid0(VALU_DEP_1) | instskip(NEXT) | instid1(VALU_DEP_1)
	v_floor_f32_e32 v5, v5
	v_fma_f32 v6, 0xcf800000, v5, |v2|
	v_ashrrev_i32_e32 v2, 31, v2
	v_cvt_u32_f32_e32 v5, v5
	s_delay_alu instid0(VALU_DEP_3) | instskip(NEXT) | instid1(VALU_DEP_2)
	v_cvt_u32_f32_e32 v6, v6
	v_xor_b32_e32 v7, v5, v2
	s_delay_alu instid0(VALU_DEP_2) | instskip(NEXT) | instid1(VALU_DEP_1)
	v_xor_b32_e32 v6, v6, v2
	v_sub_co_u32 v5, vcc_lo, v6, v2
	s_delay_alu instid0(VALU_DEP_3)
	v_sub_co_ci_u32_e32 v6, vcc_lo, v7, v2, vcc_lo
	global_store_b64 v[0:1], v[5:6], off
.LBB344_1029:
	s_and_not1_b32 vcc_lo, exec_lo, s10
	s_cbranch_vccnz .LBB344_1031
; %bb.1030:
	s_waitcnt vmcnt(0)
	v_lshlrev_b32_e32 v2, 16, v4
	s_delay_alu instid0(VALU_DEP_1)
	v_cvt_i32_f32_e32 v2, v2
	global_store_b32 v[0:1], v2, off
.LBB344_1031:
	s_mov_b32 s10, 0
.LBB344_1032:
	s_delay_alu instid0(SALU_CYCLE_1)
	s_and_not1_b32 vcc_lo, exec_lo, s10
	s_cbranch_vccnz .LBB344_1034
; %bb.1033:
	s_waitcnt vmcnt(0)
	v_lshlrev_b32_e32 v2, 16, v4
	s_delay_alu instid0(VALU_DEP_1)
	v_cvt_i32_f32_e32 v2, v2
	global_store_b16 v[0:1], v2, off
.LBB344_1034:
	s_mov_b32 s10, 0
.LBB344_1035:
	s_delay_alu instid0(SALU_CYCLE_1)
	s_and_not1_b32 vcc_lo, exec_lo, s10
	s_cbranch_vccnz .LBB344_1040
; %bb.1036:
	v_cmp_lt_i16_e32 vcc_lo, 0, v3
	s_mov_b32 s10, -1
	s_cbranch_vccz .LBB344_1038
; %bb.1037:
	s_waitcnt vmcnt(0)
	v_lshlrev_b32_e32 v2, 16, v4
	s_mov_b32 s10, 0
	s_delay_alu instid0(VALU_DEP_1)
	v_cvt_i32_f32_e32 v2, v2
	global_store_b8 v[0:1], v2, off
.LBB344_1038:
	s_and_not1_b32 vcc_lo, exec_lo, s10
	s_cbranch_vccnz .LBB344_1040
; %bb.1039:
	s_waitcnt vmcnt(0)
	v_lshlrev_b32_e32 v2, 16, v4
	s_delay_alu instid0(VALU_DEP_1) | instskip(NEXT) | instid1(VALU_DEP_1)
	v_trunc_f32_e32 v2, v2
	v_mul_f32_e64 v3, 0x2f800000, |v2|
	s_delay_alu instid0(VALU_DEP_1) | instskip(NEXT) | instid1(VALU_DEP_1)
	v_floor_f32_e32 v3, v3
	v_fma_f32 v3, 0xcf800000, v3, |v2|
	v_ashrrev_i32_e32 v2, 31, v2
	s_delay_alu instid0(VALU_DEP_2) | instskip(NEXT) | instid1(VALU_DEP_1)
	v_cvt_u32_f32_e32 v3, v3
	v_xor_b32_e32 v3, v3, v2
	s_delay_alu instid0(VALU_DEP_1)
	v_sub_nc_u32_e32 v2, v3, v2
	global_store_b8 v[0:1], v2, off
.LBB344_1040:
	s_or_b32 exec_lo, exec_lo, s0
	s_delay_alu instid0(SALU_CYCLE_1)
	s_and_b32 s13, s14, exec_lo
                                        ; implicit-def: $vgpr2
                                        ; implicit-def: $vgpr3
.LBB344_1041:
	s_or_saveexec_b32 s10, s12
	s_mov_b32 s0, 0
                                        ; implicit-def: $vgpr8
                                        ; implicit-def: $vgpr0_vgpr1
                                        ; implicit-def: $vgpr6
	s_xor_b32 exec_lo, exec_lo, s10
	s_cbranch_execz .LBB344_1659
; %bb.1042:
	v_mul_lo_u32 v5, s9, v2
	v_cmp_gt_i16_e32 vcc_lo, 11, v3
	s_delay_alu instid0(VALU_DEP_2) | instskip(SKIP_1) | instid1(VALU_DEP_1)
	v_ashrrev_i32_e32 v1, 31, v5
	v_add_co_u32 v0, s0, s6, v5
	v_add_co_ci_u32_e64 v1, s0, s7, v1, s0
	s_cbranch_vccnz .LBB344_1049
; %bb.1043:
	v_cmp_lt_i16_e32 vcc_lo, 25, v3
	s_mov_b32 s12, 0
	s_cbranch_vccz .LBB344_1055
; %bb.1044:
	v_cmp_lt_i16_e32 vcc_lo, 28, v3
	s_cbranch_vccz .LBB344_1057
; %bb.1045:
	v_cmp_lt_i16_e32 vcc_lo, 43, v3
	s_cbranch_vccz .LBB344_1059
; %bb.1046:
	v_cmp_lt_i16_e32 vcc_lo, 45, v3
	s_cbranch_vccz .LBB344_1063
; %bb.1047:
	v_cmp_eq_u16_e32 vcc_lo, 46, v3
	s_cbranch_vccz .LBB344_1103
; %bb.1048:
	global_load_b32 v4, v[0:1], off
	s_mov_b32 s0, 0
	s_mov_b32 s14, -1
	s_branch .LBB344_1105
.LBB344_1049:
	s_mov_b32 s14, 0
	s_mov_b32 s3, s13
                                        ; implicit-def: $vgpr4
	s_cbranch_execz .LBB344_1168
; %bb.1050:
	v_cmp_gt_i16_e32 vcc_lo, 5, v3
	s_cbranch_vccnz .LBB344_1056
; %bb.1051:
	v_cmp_gt_i16_e32 vcc_lo, 8, v3
	s_cbranch_vccnz .LBB344_1058
	;; [unrolled: 3-line block ×3, first 2 shown]
; %bb.1053:
	v_cmp_lt_i16_e32 vcc_lo, 9, v3
	s_cbranch_vccz .LBB344_1064
; %bb.1054:
	global_load_b64 v[6:7], v[0:1], off
	s_mov_b32 s0, 0
	s_waitcnt vmcnt(0)
	v_cvt_f32_f64_e32 v4, v[6:7]
	s_delay_alu instid0(VALU_DEP_1) | instskip(SKIP_1) | instid1(VALU_DEP_2)
	v_bfe_u32 v6, v4, 16, 1
	v_cmp_o_f32_e32 vcc_lo, v4, v4
	v_add3_u32 v6, v4, v6, 0x7fff
	s_delay_alu instid0(VALU_DEP_1) | instskip(NEXT) | instid1(VALU_DEP_1)
	v_lshrrev_b32_e32 v6, 16, v6
	v_cndmask_b32_e32 v4, 0x7fc0, v6, vcc_lo
	s_branch .LBB344_1065
.LBB344_1055:
	s_mov_b32 s14, 0
	s_mov_b32 s0, 0
                                        ; implicit-def: $vgpr4
	s_cbranch_execnz .LBB344_1133
	s_branch .LBB344_1164
.LBB344_1056:
                                        ; implicit-def: $vgpr4
	s_branch .LBB344_1082
.LBB344_1057:
	s_mov_b32 s3, -1
	s_mov_b32 s14, 0
	s_mov_b32 s0, 0
                                        ; implicit-def: $vgpr4
	s_branch .LBB344_1114
.LBB344_1058:
                                        ; implicit-def: $vgpr4
	s_branch .LBB344_1071
.LBB344_1059:
	s_mov_b32 s14, 0
	s_mov_b32 s0, 0
                                        ; implicit-def: $vgpr4
	s_cbranch_execnz .LBB344_1110
	s_branch .LBB344_1113
.LBB344_1060:
	s_mov_b32 s0, -1
                                        ; implicit-def: $vgpr4
	s_branch .LBB344_1068
.LBB344_1061:
	s_cbranch_execnz .LBB344_1101
; %bb.1062:
	s_or_b32 s14, s14, exec_lo
	s_and_not1_b32 s18, s18, exec_lo
	s_or_b32 exec_lo, exec_lo, s0
	s_and_saveexec_b32 s0, s18
	s_delay_alu instid0(SALU_CYCLE_1)
	s_xor_b32 s0, exec_lo, s0
	s_cbranch_execnz .LBB344_1001
	s_branch .LBB344_1002
.LBB344_1063:
	s_mov_b32 s3, -1
	s_mov_b32 s14, 0
	s_mov_b32 s0, 0
	s_branch .LBB344_1104
.LBB344_1064:
	s_mov_b32 s0, -1
                                        ; implicit-def: $vgpr4
.LBB344_1065:
	s_delay_alu instid0(SALU_CYCLE_1)
	s_and_not1_b32 vcc_lo, exec_lo, s0
	s_cbranch_vccnz .LBB344_1067
; %bb.1066:
	global_load_b32 v4, v[0:1], off
	s_waitcnt vmcnt(0)
	v_bfe_u32 v6, v4, 16, 1
	v_cmp_o_f32_e32 vcc_lo, v4, v4
	s_delay_alu instid0(VALU_DEP_2) | instskip(NEXT) | instid1(VALU_DEP_1)
	v_add3_u32 v6, v4, v6, 0x7fff
	v_lshrrev_b32_e32 v6, 16, v6
	s_delay_alu instid0(VALU_DEP_1)
	v_cndmask_b32_e32 v4, 0x7fc0, v6, vcc_lo
.LBB344_1067:
	s_mov_b32 s0, 0
.LBB344_1068:
	s_delay_alu instid0(SALU_CYCLE_1)
	s_and_not1_b32 vcc_lo, exec_lo, s0
	s_cbranch_vccnz .LBB344_1070
; %bb.1069:
	global_load_b32 v4, v[0:1], off
	s_waitcnt vmcnt(0)
	v_cvt_f32_f16_e32 v6, v4
	v_cmp_o_f16_e32 vcc_lo, v4, v4
	s_delay_alu instid0(VALU_DEP_2) | instskip(NEXT) | instid1(VALU_DEP_1)
	v_bfe_u32 v7, v6, 16, 1
	v_add3_u32 v6, v6, v7, 0x7fff
	s_delay_alu instid0(VALU_DEP_1) | instskip(NEXT) | instid1(VALU_DEP_1)
	v_lshrrev_b32_e32 v6, 16, v6
	v_cndmask_b32_e32 v4, 0x7fc0, v6, vcc_lo
.LBB344_1070:
	s_cbranch_execnz .LBB344_1081
.LBB344_1071:
	v_cmp_gt_i16_e32 vcc_lo, 6, v3
	s_cbranch_vccnz .LBB344_1074
; %bb.1072:
	v_cmp_lt_i16_e32 vcc_lo, 6, v3
	s_cbranch_vccz .LBB344_1075
; %bb.1073:
	global_load_b64 v[6:7], v[0:1], off
	s_mov_b32 s0, 0
	s_waitcnt vmcnt(0)
	v_cvt_f32_f64_e32 v4, v[6:7]
	s_delay_alu instid0(VALU_DEP_1) | instskip(SKIP_1) | instid1(VALU_DEP_2)
	v_bfe_u32 v6, v4, 16, 1
	v_cmp_o_f32_e32 vcc_lo, v4, v4
	v_add3_u32 v6, v4, v6, 0x7fff
	s_delay_alu instid0(VALU_DEP_1) | instskip(NEXT) | instid1(VALU_DEP_1)
	v_lshrrev_b32_e32 v6, 16, v6
	v_cndmask_b32_e32 v4, 0x7fc0, v6, vcc_lo
	s_branch .LBB344_1076
.LBB344_1074:
	s_mov_b32 s0, -1
                                        ; implicit-def: $vgpr4
	s_branch .LBB344_1079
.LBB344_1075:
	s_mov_b32 s0, -1
                                        ; implicit-def: $vgpr4
.LBB344_1076:
	s_delay_alu instid0(SALU_CYCLE_1)
	s_and_not1_b32 vcc_lo, exec_lo, s0
	s_cbranch_vccnz .LBB344_1078
; %bb.1077:
	global_load_b32 v4, v[0:1], off
	s_waitcnt vmcnt(0)
	v_bfe_u32 v6, v4, 16, 1
	v_cmp_o_f32_e32 vcc_lo, v4, v4
	s_delay_alu instid0(VALU_DEP_2) | instskip(NEXT) | instid1(VALU_DEP_1)
	v_add3_u32 v6, v4, v6, 0x7fff
	v_lshrrev_b32_e32 v6, 16, v6
	s_delay_alu instid0(VALU_DEP_1)
	v_cndmask_b32_e32 v4, 0x7fc0, v6, vcc_lo
.LBB344_1078:
	s_mov_b32 s0, 0
.LBB344_1079:
	s_delay_alu instid0(SALU_CYCLE_1)
	s_and_not1_b32 vcc_lo, exec_lo, s0
	s_cbranch_vccnz .LBB344_1081
; %bb.1080:
	global_load_u16 v4, v[0:1], off
	s_waitcnt vmcnt(0)
	v_cvt_f32_f16_e32 v6, v4
	v_cmp_o_f16_e32 vcc_lo, v4, v4
	s_delay_alu instid0(VALU_DEP_2) | instskip(NEXT) | instid1(VALU_DEP_1)
	v_bfe_u32 v7, v6, 16, 1
	v_add3_u32 v6, v6, v7, 0x7fff
	s_delay_alu instid0(VALU_DEP_1) | instskip(NEXT) | instid1(VALU_DEP_1)
	v_lshrrev_b32_e32 v6, 16, v6
	v_cndmask_b32_e32 v4, 0x7fc0, v6, vcc_lo
.LBB344_1081:
	s_cbranch_execnz .LBB344_1100
.LBB344_1082:
	v_cmp_gt_i16_e32 vcc_lo, 2, v3
	s_cbranch_vccnz .LBB344_1086
; %bb.1083:
	v_cmp_gt_i16_e32 vcc_lo, 3, v3
	s_cbranch_vccnz .LBB344_1087
; %bb.1084:
	v_cmp_lt_i16_e32 vcc_lo, 3, v3
	s_cbranch_vccz .LBB344_1088
; %bb.1085:
	global_load_b64 v[6:7], v[0:1], off
	s_mov_b32 s0, 0
	s_waitcnt vmcnt(0)
	v_xor_b32_e32 v4, v6, v7
	v_cls_i32_e32 v8, v7
	s_delay_alu instid0(VALU_DEP_2) | instskip(NEXT) | instid1(VALU_DEP_2)
	v_ashrrev_i32_e32 v4, 31, v4
	v_add_nc_u32_e32 v8, -1, v8
	s_delay_alu instid0(VALU_DEP_2) | instskip(NEXT) | instid1(VALU_DEP_1)
	v_add_nc_u32_e32 v4, 32, v4
	v_min_u32_e32 v4, v8, v4
	s_delay_alu instid0(VALU_DEP_1) | instskip(SKIP_1) | instid1(VALU_DEP_2)
	v_lshlrev_b64 v[6:7], v4, v[6:7]
	v_sub_nc_u32_e32 v4, 32, v4
	v_min_u32_e32 v6, 1, v6
	s_delay_alu instid0(VALU_DEP_1) | instskip(NEXT) | instid1(VALU_DEP_1)
	v_or_b32_e32 v6, v7, v6
	v_cvt_f32_i32_e32 v6, v6
	s_delay_alu instid0(VALU_DEP_1) | instskip(NEXT) | instid1(VALU_DEP_1)
	v_ldexp_f32 v4, v6, v4
	v_bfe_u32 v6, v4, 16, 1
	s_delay_alu instid0(VALU_DEP_1) | instskip(NEXT) | instid1(VALU_DEP_1)
	v_add3_u32 v4, v4, v6, 0x7fff
	v_lshrrev_b32_e32 v4, 16, v4
	s_branch .LBB344_1089
.LBB344_1086:
                                        ; implicit-def: $vgpr4
	s_branch .LBB344_1095
.LBB344_1087:
	s_mov_b32 s0, -1
                                        ; implicit-def: $vgpr4
	s_branch .LBB344_1092
.LBB344_1088:
	s_mov_b32 s0, -1
                                        ; implicit-def: $vgpr4
.LBB344_1089:
	s_delay_alu instid0(SALU_CYCLE_1)
	s_and_not1_b32 vcc_lo, exec_lo, s0
	s_cbranch_vccnz .LBB344_1091
; %bb.1090:
	global_load_b32 v4, v[0:1], off
	s_waitcnt vmcnt(0)
	v_cvt_f32_i32_e32 v4, v4
	s_delay_alu instid0(VALU_DEP_1) | instskip(NEXT) | instid1(VALU_DEP_1)
	v_bfe_u32 v6, v4, 16, 1
	v_add3_u32 v4, v4, v6, 0x7fff
	s_delay_alu instid0(VALU_DEP_1)
	v_lshrrev_b32_e32 v4, 16, v4
.LBB344_1091:
	s_mov_b32 s0, 0
.LBB344_1092:
	s_delay_alu instid0(SALU_CYCLE_1)
	s_and_not1_b32 vcc_lo, exec_lo, s0
	s_cbranch_vccnz .LBB344_1094
; %bb.1093:
	global_load_i16 v4, v[0:1], off
	s_waitcnt vmcnt(0)
	v_cvt_f32_i32_e32 v4, v4
	s_delay_alu instid0(VALU_DEP_1) | instskip(NEXT) | instid1(VALU_DEP_1)
	v_bfe_u32 v6, v4, 16, 1
	v_add3_u32 v4, v4, v6, 0x7fff
	s_delay_alu instid0(VALU_DEP_1)
	v_lshrrev_b32_e32 v4, 16, v4
.LBB344_1094:
	s_cbranch_execnz .LBB344_1100
.LBB344_1095:
	v_cmp_lt_i16_e32 vcc_lo, 0, v3
	s_mov_b32 s0, 0
	s_cbranch_vccz .LBB344_1097
; %bb.1096:
	global_load_i8 v4, v[0:1], off
	s_waitcnt vmcnt(0)
	v_cvt_f32_i32_e32 v4, v4
	s_delay_alu instid0(VALU_DEP_1) | instskip(NEXT) | instid1(VALU_DEP_1)
	v_bfe_u32 v6, v4, 16, 1
	v_add3_u32 v4, v4, v6, 0x7fff
	s_delay_alu instid0(VALU_DEP_1)
	v_lshrrev_b32_e32 v4, 16, v4
	s_branch .LBB344_1098
.LBB344_1097:
	s_mov_b32 s0, -1
                                        ; implicit-def: $vgpr4
.LBB344_1098:
	s_delay_alu instid0(SALU_CYCLE_1)
	s_and_not1_b32 vcc_lo, exec_lo, s0
	s_cbranch_vccnz .LBB344_1100
; %bb.1099:
	global_load_u8 v0, v[0:1], off
	s_waitcnt vmcnt(0)
	v_cvt_f32_ubyte0_e32 v0, v0
	s_delay_alu instid0(VALU_DEP_1) | instskip(NEXT) | instid1(VALU_DEP_1)
	v_bfe_u32 v1, v0, 16, 1
	v_add3_u32 v0, v0, v1, 0x7fff
	s_delay_alu instid0(VALU_DEP_1)
	v_lshrrev_b32_e32 v4, 16, v0
.LBB344_1100:
	s_branch .LBB344_1169
.LBB344_1101:
	s_trap 2
	s_sendmsg_rtn_b32 s0, sendmsg(MSG_RTN_GET_DOORBELL)
	s_mov_b32 ttmp2, m0
	s_waitcnt lgkmcnt(0)
	s_and_b32 s0, s0, 0x3ff
	s_delay_alu instid0(SALU_CYCLE_1) | instskip(NEXT) | instid1(SALU_CYCLE_1)
	s_bitset1_b32 s0, 10
	s_mov_b32 m0, s0
	s_sendmsg sendmsg(MSG_INTERRUPT)
	s_mov_b32 m0, ttmp2
.LBB344_1102:                           ; =>This Inner Loop Header: Depth=1
	s_sethalt 5
	s_branch .LBB344_1102
.LBB344_1103:
	s_mov_b32 s0, -1
	s_mov_b32 s14, 0
.LBB344_1104:
                                        ; implicit-def: $vgpr4
.LBB344_1105:
	s_and_b32 vcc_lo, exec_lo, s3
	s_cbranch_vccz .LBB344_1108
; %bb.1106:
	v_cmp_eq_u16_e32 vcc_lo, 44, v3
	s_cbranch_vccz .LBB344_1109
; %bb.1107:
	global_load_u8 v4, v[0:1], off
	s_mov_b32 s0, 0
	s_mov_b32 s14, -1
	s_waitcnt vmcnt(0)
	v_lshlrev_b32_e32 v6, 23, v4
	v_cmp_ne_u32_e32 vcc_lo, 0xff, v4
	s_delay_alu instid0(VALU_DEP_2) | instskip(SKIP_1) | instid1(VALU_DEP_2)
	v_cndmask_b32_e32 v6, 0x7f800001, v6, vcc_lo
	v_cmp_ne_u32_e32 vcc_lo, 0, v4
	v_cndmask_b32_e32 v4, 0x400000, v6, vcc_lo
	s_delay_alu instid0(VALU_DEP_1) | instskip(SKIP_1) | instid1(VALU_DEP_2)
	v_add_nc_u32_e32 v6, 0x7fff, v4
	v_cmp_o_f32_e32 vcc_lo, v4, v4
	v_lshrrev_b32_e32 v6, 16, v6
	s_delay_alu instid0(VALU_DEP_1)
	v_cndmask_b32_e32 v4, 0x7fc0, v6, vcc_lo
.LBB344_1108:
	s_branch .LBB344_1113
.LBB344_1109:
	s_mov_b32 s0, -1
                                        ; implicit-def: $vgpr4
	s_branch .LBB344_1113
.LBB344_1110:
	v_cmp_eq_u16_e32 vcc_lo, 29, v3
	s_cbranch_vccz .LBB344_1112
; %bb.1111:
	global_load_b64 v[6:7], v[0:1], off
	s_mov_b32 s0, 0
	s_mov_b32 s14, -1
	s_mov_b32 s3, 0
	s_waitcnt vmcnt(0)
	v_clz_i32_u32_e32 v4, v7
	s_delay_alu instid0(VALU_DEP_1) | instskip(NEXT) | instid1(VALU_DEP_1)
	v_min_u32_e32 v4, 32, v4
	v_lshlrev_b64 v[6:7], v4, v[6:7]
	v_sub_nc_u32_e32 v4, 32, v4
	s_delay_alu instid0(VALU_DEP_2) | instskip(NEXT) | instid1(VALU_DEP_1)
	v_min_u32_e32 v6, 1, v6
	v_or_b32_e32 v6, v7, v6
	s_delay_alu instid0(VALU_DEP_1) | instskip(NEXT) | instid1(VALU_DEP_1)
	v_cvt_f32_u32_e32 v6, v6
	v_ldexp_f32 v4, v6, v4
	s_delay_alu instid0(VALU_DEP_1) | instskip(NEXT) | instid1(VALU_DEP_1)
	v_bfe_u32 v6, v4, 16, 1
	v_add3_u32 v4, v4, v6, 0x7fff
	s_delay_alu instid0(VALU_DEP_1)
	v_lshrrev_b32_e32 v4, 16, v4
	s_branch .LBB344_1114
.LBB344_1112:
	s_mov_b32 s0, -1
                                        ; implicit-def: $vgpr4
.LBB344_1113:
	s_mov_b32 s3, 0
.LBB344_1114:
	s_delay_alu instid0(SALU_CYCLE_1)
	s_and_b32 vcc_lo, exec_lo, s3
	s_cbranch_vccz .LBB344_1132
; %bb.1115:
	v_cmp_gt_i16_e32 vcc_lo, 27, v3
	s_cbranch_vccnz .LBB344_1118
; %bb.1116:
	v_cmp_lt_i16_e32 vcc_lo, 27, v3
	s_cbranch_vccz .LBB344_1119
; %bb.1117:
	global_load_b32 v4, v[0:1], off
	s_mov_b32 s3, 0
	s_waitcnt vmcnt(0)
	v_cvt_f32_u32_e32 v4, v4
	s_delay_alu instid0(VALU_DEP_1) | instskip(NEXT) | instid1(VALU_DEP_1)
	v_bfe_u32 v6, v4, 16, 1
	v_add3_u32 v4, v4, v6, 0x7fff
	s_delay_alu instid0(VALU_DEP_1)
	v_lshrrev_b32_e32 v4, 16, v4
	s_branch .LBB344_1120
.LBB344_1118:
	s_mov_b32 s3, -1
                                        ; implicit-def: $vgpr4
	s_branch .LBB344_1123
.LBB344_1119:
	s_mov_b32 s3, -1
                                        ; implicit-def: $vgpr4
.LBB344_1120:
	s_delay_alu instid0(SALU_CYCLE_1)
	s_and_not1_b32 vcc_lo, exec_lo, s3
	s_cbranch_vccnz .LBB344_1122
; %bb.1121:
	global_load_u16 v4, v[0:1], off
	s_waitcnt vmcnt(0)
	v_cvt_f32_u32_e32 v4, v4
	s_delay_alu instid0(VALU_DEP_1) | instskip(NEXT) | instid1(VALU_DEP_1)
	v_bfe_u32 v6, v4, 16, 1
	v_add3_u32 v4, v4, v6, 0x7fff
	s_delay_alu instid0(VALU_DEP_1)
	v_lshrrev_b32_e32 v4, 16, v4
.LBB344_1122:
	s_mov_b32 s3, 0
.LBB344_1123:
	s_delay_alu instid0(SALU_CYCLE_1)
	s_and_not1_b32 vcc_lo, exec_lo, s3
	s_cbranch_vccnz .LBB344_1131
; %bb.1124:
	global_load_u8 v4, v[0:1], off
	s_mov_b32 s3, 0
	s_mov_b32 s15, exec_lo
                                        ; implicit-def: $sgpr14
	s_waitcnt vmcnt(0)
	v_cmpx_lt_i16_e32 0x7f, v4
	s_xor_b32 s15, exec_lo, s15
	s_cbranch_execz .LBB344_1144
; %bb.1125:
	s_mov_b32 s3, -1
	s_mov_b32 s16, exec_lo
                                        ; implicit-def: $sgpr14
	v_cmpx_eq_u16_e32 0x80, v4
; %bb.1126:
	s_mov_b32 s14, 0x7f800001
	s_xor_b32 s3, exec_lo, -1
; %bb.1127:
	s_or_b32 exec_lo, exec_lo, s16
	s_delay_alu instid0(SALU_CYCLE_1)
	s_and_b32 s3, s3, exec_lo
	s_or_saveexec_b32 s15, s15
	v_mov_b32_e32 v6, s14
	s_xor_b32 exec_lo, exec_lo, s15
	s_cbranch_execnz .LBB344_1145
.LBB344_1128:
	s_or_b32 exec_lo, exec_lo, s15
	s_and_saveexec_b32 s14, s3
	s_cbranch_execz .LBB344_1130
.LBB344_1129:
	v_and_b32_e32 v6, 0xffff, v4
	v_lshlrev_b32_e32 v4, 24, v4
	s_delay_alu instid0(VALU_DEP_2) | instskip(NEXT) | instid1(VALU_DEP_2)
	v_and_b32_e32 v7, 7, v6
	v_and_b32_e32 v4, 0x80000000, v4
	s_delay_alu instid0(VALU_DEP_2) | instskip(NEXT) | instid1(VALU_DEP_1)
	v_clz_i32_u32_e32 v8, v7
	v_min_u32_e32 v8, 32, v8
	s_delay_alu instid0(VALU_DEP_1) | instskip(SKIP_1) | instid1(VALU_DEP_2)
	v_subrev_nc_u32_e32 v9, 28, v8
	v_sub_nc_u32_e32 v8, 29, v8
	v_lshlrev_b32_e32 v9, v9, v6
	v_bfe_u32 v6, v6, 3, 4
	s_delay_alu instid0(VALU_DEP_2) | instskip(NEXT) | instid1(VALU_DEP_2)
	v_and_b32_e32 v9, 7, v9
	v_cmp_eq_u32_e32 vcc_lo, 0, v6
	s_delay_alu instid0(VALU_DEP_2) | instskip(NEXT) | instid1(VALU_DEP_1)
	v_dual_cndmask_b32 v6, v6, v8 :: v_dual_cndmask_b32 v7, v7, v9
	v_lshl_add_u32 v6, v6, 23, 0x3b800000
	s_delay_alu instid0(VALU_DEP_2) | instskip(NEXT) | instid1(VALU_DEP_1)
	v_lshlrev_b32_e32 v7, 20, v7
	v_or3_b32 v6, v4, v6, v7
.LBB344_1130:
	s_or_b32 exec_lo, exec_lo, s14
	s_delay_alu instid0(VALU_DEP_1) | instskip(SKIP_1) | instid1(VALU_DEP_2)
	v_bfe_u32 v4, v6, 16, 1
	v_cmp_o_f32_e32 vcc_lo, v6, v6
	v_add3_u32 v4, v6, v4, 0x7fff
	s_delay_alu instid0(VALU_DEP_1) | instskip(NEXT) | instid1(VALU_DEP_1)
	v_lshrrev_b32_e32 v4, 16, v4
	v_cndmask_b32_e32 v4, 0x7fc0, v4, vcc_lo
.LBB344_1131:
	s_mov_b32 s14, -1
.LBB344_1132:
	s_branch .LBB344_1164
.LBB344_1133:
	v_cmp_lt_i16_e32 vcc_lo, 22, v3
	s_cbranch_vccz .LBB344_1143
; %bb.1134:
	v_cmp_gt_i16_e32 vcc_lo, 24, v3
	s_cbranch_vccnz .LBB344_1146
; %bb.1135:
	v_cmp_lt_i16_e32 vcc_lo, 24, v3
	s_cbranch_vccz .LBB344_1147
; %bb.1136:
	global_load_u8 v4, v[0:1], off
	s_mov_b32 s3, 0
	s_mov_b32 s14, exec_lo
                                        ; implicit-def: $sgpr12
	s_waitcnt vmcnt(0)
	v_cmpx_lt_i16_e32 0x7f, v4
	s_xor_b32 s14, exec_lo, s14
	s_cbranch_execz .LBB344_1158
; %bb.1137:
	s_mov_b32 s3, -1
	s_mov_b32 s15, exec_lo
                                        ; implicit-def: $sgpr12
	v_cmpx_eq_u16_e32 0x80, v4
; %bb.1138:
	s_mov_b32 s12, 0x7f800001
	s_xor_b32 s3, exec_lo, -1
; %bb.1139:
	s_or_b32 exec_lo, exec_lo, s15
	s_delay_alu instid0(SALU_CYCLE_1)
	s_and_b32 s3, s3, exec_lo
	s_or_saveexec_b32 s14, s14
	v_mov_b32_e32 v6, s12
	s_xor_b32 exec_lo, exec_lo, s14
	s_cbranch_execnz .LBB344_1159
.LBB344_1140:
	s_or_b32 exec_lo, exec_lo, s14
	s_and_saveexec_b32 s12, s3
	s_cbranch_execz .LBB344_1142
.LBB344_1141:
	v_and_b32_e32 v6, 0xffff, v4
	v_lshlrev_b32_e32 v4, 24, v4
	s_delay_alu instid0(VALU_DEP_2) | instskip(NEXT) | instid1(VALU_DEP_2)
	v_and_b32_e32 v7, 3, v6
	v_and_b32_e32 v4, 0x80000000, v4
	s_delay_alu instid0(VALU_DEP_2) | instskip(NEXT) | instid1(VALU_DEP_1)
	v_clz_i32_u32_e32 v8, v7
	v_min_u32_e32 v8, 32, v8
	s_delay_alu instid0(VALU_DEP_1) | instskip(SKIP_1) | instid1(VALU_DEP_2)
	v_subrev_nc_u32_e32 v9, 29, v8
	v_sub_nc_u32_e32 v8, 30, v8
	v_lshlrev_b32_e32 v9, v9, v6
	v_bfe_u32 v6, v6, 2, 5
	s_delay_alu instid0(VALU_DEP_2) | instskip(NEXT) | instid1(VALU_DEP_2)
	v_and_b32_e32 v9, 3, v9
	v_cmp_eq_u32_e32 vcc_lo, 0, v6
	s_delay_alu instid0(VALU_DEP_2) | instskip(NEXT) | instid1(VALU_DEP_1)
	v_dual_cndmask_b32 v6, v6, v8 :: v_dual_cndmask_b32 v7, v7, v9
	v_lshl_add_u32 v6, v6, 23, 0x37800000
	s_delay_alu instid0(VALU_DEP_2) | instskip(NEXT) | instid1(VALU_DEP_1)
	v_lshlrev_b32_e32 v7, 21, v7
	v_or3_b32 v6, v4, v6, v7
.LBB344_1142:
	s_or_b32 exec_lo, exec_lo, s12
	s_delay_alu instid0(VALU_DEP_1) | instskip(SKIP_2) | instid1(VALU_DEP_2)
	v_bfe_u32 v4, v6, 16, 1
	v_cmp_o_f32_e32 vcc_lo, v6, v6
	s_mov_b32 s3, 0
	v_add3_u32 v4, v6, v4, 0x7fff
	s_delay_alu instid0(VALU_DEP_1) | instskip(NEXT) | instid1(VALU_DEP_1)
	v_lshrrev_b32_e32 v4, 16, v4
	v_cndmask_b32_e32 v4, 0x7fc0, v4, vcc_lo
	s_branch .LBB344_1148
.LBB344_1143:
                                        ; implicit-def: $vgpr4
	s_mov_b32 s12, 0
	s_branch .LBB344_1154
.LBB344_1144:
	s_or_saveexec_b32 s15, s15
	v_mov_b32_e32 v6, s14
	s_xor_b32 exec_lo, exec_lo, s15
	s_cbranch_execz .LBB344_1128
.LBB344_1145:
	v_cmp_ne_u16_e32 vcc_lo, 0, v4
	v_mov_b32_e32 v6, 0
	s_and_not1_b32 s3, s3, exec_lo
	s_and_b32 s14, vcc_lo, exec_lo
	s_delay_alu instid0(SALU_CYCLE_1)
	s_or_b32 s3, s3, s14
	s_or_b32 exec_lo, exec_lo, s15
	s_and_saveexec_b32 s14, s3
	s_cbranch_execnz .LBB344_1129
	s_branch .LBB344_1130
.LBB344_1146:
	s_mov_b32 s3, -1
                                        ; implicit-def: $vgpr4
	s_branch .LBB344_1151
.LBB344_1147:
	s_mov_b32 s3, -1
                                        ; implicit-def: $vgpr4
.LBB344_1148:
	s_delay_alu instid0(SALU_CYCLE_1)
	s_and_b32 vcc_lo, exec_lo, s3
	s_cbranch_vccz .LBB344_1150
; %bb.1149:
	global_load_u8 v4, v[0:1], off
	s_waitcnt vmcnt(0)
	v_lshlrev_b32_e32 v4, 24, v4
	s_delay_alu instid0(VALU_DEP_1) | instskip(NEXT) | instid1(VALU_DEP_1)
	v_and_b32_e32 v6, 0x7f000000, v4
	v_clz_i32_u32_e32 v7, v6
	v_cmp_ne_u32_e32 vcc_lo, 0, v6
	v_add_nc_u32_e32 v9, 0x1000000, v6
	s_delay_alu instid0(VALU_DEP_3) | instskip(NEXT) | instid1(VALU_DEP_1)
	v_min_u32_e32 v7, 32, v7
	v_sub_nc_u32_e64 v7, v7, 4 clamp
	s_delay_alu instid0(VALU_DEP_1) | instskip(SKIP_1) | instid1(VALU_DEP_2)
	v_lshlrev_b32_e32 v8, v7, v6
	v_lshlrev_b32_e32 v7, 23, v7
	v_lshrrev_b32_e32 v8, 4, v8
	s_delay_alu instid0(VALU_DEP_1) | instskip(SKIP_1) | instid1(VALU_DEP_2)
	v_sub_nc_u32_e32 v7, v8, v7
	v_ashrrev_i32_e32 v8, 8, v9
	v_add_nc_u32_e32 v7, 0x3c000000, v7
	s_delay_alu instid0(VALU_DEP_1) | instskip(NEXT) | instid1(VALU_DEP_1)
	v_and_or_b32 v7, 0x7f800000, v8, v7
	v_cndmask_b32_e32 v6, 0, v7, vcc_lo
	s_delay_alu instid0(VALU_DEP_1) | instskip(SKIP_1) | instid1(VALU_DEP_2)
	v_and_or_b32 v4, 0x80000000, v4, v6
	v_bfe_u32 v6, v6, 16, 1
	v_cmp_o_f32_e32 vcc_lo, v4, v4
	s_delay_alu instid0(VALU_DEP_2) | instskip(NEXT) | instid1(VALU_DEP_1)
	v_add3_u32 v6, v4, v6, 0x7fff
	v_lshrrev_b32_e32 v6, 16, v6
	s_delay_alu instid0(VALU_DEP_1)
	v_cndmask_b32_e32 v4, 0x7fc0, v6, vcc_lo
.LBB344_1150:
	s_mov_b32 s3, 0
.LBB344_1151:
	s_delay_alu instid0(SALU_CYCLE_1)
	s_and_not1_b32 vcc_lo, exec_lo, s3
	s_cbranch_vccnz .LBB344_1153
; %bb.1152:
	global_load_u8 v4, v[0:1], off
	s_waitcnt vmcnt(0)
	v_lshlrev_b32_e32 v6, 25, v4
	v_lshlrev_b16 v4, 8, v4
	s_delay_alu instid0(VALU_DEP_2) | instskip(NEXT) | instid1(VALU_DEP_2)
	v_lshrrev_b32_e32 v7, 4, v6
	v_and_or_b32 v8, 0x7f00, v4, 0.5
	v_bfe_i32 v4, v4, 0, 16
	s_delay_alu instid0(VALU_DEP_3) | instskip(NEXT) | instid1(VALU_DEP_1)
	v_or_b32_e32 v7, 0x70000000, v7
	v_dual_add_f32 v8, -0.5, v8 :: v_dual_mul_f32 v7, 0x7800000, v7
	v_cmp_gt_u32_e32 vcc_lo, 0x8000000, v6
	s_delay_alu instid0(VALU_DEP_2) | instskip(NEXT) | instid1(VALU_DEP_1)
	v_cndmask_b32_e32 v6, v7, v8, vcc_lo
	v_and_or_b32 v4, 0x80000000, v4, v6
	v_bfe_u32 v6, v6, 16, 1
	s_delay_alu instid0(VALU_DEP_2) | instskip(NEXT) | instid1(VALU_DEP_2)
	v_cmp_o_f32_e32 vcc_lo, v4, v4
	v_add3_u32 v6, v4, v6, 0x7fff
	s_delay_alu instid0(VALU_DEP_1) | instskip(NEXT) | instid1(VALU_DEP_1)
	v_lshrrev_b32_e32 v6, 16, v6
	v_cndmask_b32_e32 v4, 0x7fc0, v6, vcc_lo
.LBB344_1153:
	s_mov_b32 s14, -1
	s_mov_b32 s12, 0
	s_cbranch_execnz .LBB344_1164
.LBB344_1154:
	v_cmp_lt_i16_e32 vcc_lo, 14, v3
	s_cbranch_vccz .LBB344_1157
; %bb.1155:
	v_cmp_eq_u16_e32 vcc_lo, 15, v3
	s_cbranch_vccz .LBB344_1160
; %bb.1156:
	global_load_u16 v4, v[0:1], off
	s_mov_b32 s0, 0
	s_mov_b32 s14, -1
	s_branch .LBB344_1161
.LBB344_1157:
	s_mov_b32 s3, -1
                                        ; implicit-def: $vgpr4
	s_branch .LBB344_1162
.LBB344_1158:
	s_or_saveexec_b32 s14, s14
	v_mov_b32_e32 v6, s12
	s_xor_b32 exec_lo, exec_lo, s14
	s_cbranch_execz .LBB344_1140
.LBB344_1159:
	v_cmp_ne_u16_e32 vcc_lo, 0, v4
	v_mov_b32_e32 v6, 0
	s_and_not1_b32 s3, s3, exec_lo
	s_and_b32 s12, vcc_lo, exec_lo
	s_delay_alu instid0(SALU_CYCLE_1)
	s_or_b32 s3, s3, s12
	s_or_b32 exec_lo, exec_lo, s14
	s_and_saveexec_b32 s12, s3
	s_cbranch_execnz .LBB344_1141
	s_branch .LBB344_1142
.LBB344_1160:
	s_mov_b32 s0, -1
                                        ; implicit-def: $vgpr4
.LBB344_1161:
	s_mov_b32 s3, 0
.LBB344_1162:
	s_delay_alu instid0(SALU_CYCLE_1)
	s_and_b32 vcc_lo, exec_lo, s3
	s_cbranch_vccz .LBB344_1164
; %bb.1163:
	v_cmp_ne_u16_e64 s0, 11, v3
	s_mov_b32 s12, -1
                                        ; implicit-def: $vgpr4
.LBB344_1164:
	s_delay_alu instid0(VALU_DEP_1)
	s_and_b32 vcc_lo, exec_lo, s0
	s_mov_b32 s3, s13
	s_cbranch_vccnz .LBB344_1190
; %bb.1165:
	s_and_not1_b32 vcc_lo, exec_lo, s12
	s_cbranch_vccnz .LBB344_1167
.LBB344_1166:
	global_load_u8 v4, v[0:1], off
	s_mov_b32 s14, -1
	s_waitcnt vmcnt(0)
	v_cmp_ne_u16_e32 vcc_lo, 0, v4
	v_cndmask_b32_e64 v4, 0, 1.0, vcc_lo
	s_delay_alu instid0(VALU_DEP_1)
	v_lshrrev_b32_e32 v4, 16, v4
.LBB344_1167:
.LBB344_1168:
	s_and_not1_b32 vcc_lo, exec_lo, s14
	s_cbranch_vccnz .LBB344_1657
.LBB344_1169:
	s_waitcnt vmcnt(0)
	s_delay_alu instid0(VALU_DEP_1) | instskip(SKIP_1) | instid1(VALU_DEP_1)
	v_lshlrev_b32_e32 v0, 16, v4
	s_mov_b32 s0, exec_lo
	v_cmpx_o_f32_e32 v0, v0
; %bb.1170:
	s_lshl_b32 s12, s1, 16
	s_delay_alu instid0(SALU_CYCLE_1) | instskip(SKIP_2) | instid1(VALU_DEP_1)
	v_cmp_lt_f32_e32 vcc_lo, s12, v0
	s_lshl_b32 s12, s2, 16
	v_cndmask_b32_e32 v0, s1, v4, vcc_lo
	v_lshlrev_b32_e32 v1, 16, v0
	s_delay_alu instid0(VALU_DEP_1)
	v_cmp_gt_f32_e32 vcc_lo, s12, v1
	v_cndmask_b32_e32 v4, s2, v0, vcc_lo
; %bb.1171:
	s_or_b32 exec_lo, exec_lo, s0
	s_lshl_b32 s9, s9, 7
	v_cmp_gt_i16_e32 vcc_lo, 11, v3
	v_add_nc_u32_e32 v6, s9, v5
	s_delay_alu instid0(VALU_DEP_1) | instskip(SKIP_1) | instid1(VALU_DEP_1)
	v_ashrrev_i32_e32 v1, 31, v6
	v_add_co_u32 v0, s0, s6, v6
	v_add_co_ci_u32_e64 v1, s0, s7, v1, s0
	s_cbranch_vccnz .LBB344_1178
; %bb.1172:
	v_cmp_lt_i16_e32 vcc_lo, 25, v3
	s_mov_b32 s12, 0
	s_cbranch_vccz .LBB344_1184
; %bb.1173:
	v_cmp_lt_i16_e32 vcc_lo, 28, v3
	s_cbranch_vccz .LBB344_1186
; %bb.1174:
	v_cmp_lt_i16_e32 vcc_lo, 43, v3
	;; [unrolled: 3-line block ×3, first 2 shown]
	s_cbranch_vccz .LBB344_1194
; %bb.1176:
	v_cmp_eq_u16_e32 vcc_lo, 46, v3
	s_mov_b32 s15, 0
	s_cbranch_vccz .LBB344_1238
; %bb.1177:
	global_load_b32 v5, v[0:1], off
	s_mov_b32 s0, 0
	s_mov_b32 s14, -1
	s_branch .LBB344_1240
.LBB344_1178:
	s_mov_b32 s14, 0
                                        ; implicit-def: $vgpr5
	s_cbranch_execz .LBB344_1305
; %bb.1179:
	v_cmp_gt_i16_e32 vcc_lo, 5, v3
	s_cbranch_vccnz .LBB344_1185
; %bb.1180:
	v_cmp_gt_i16_e32 vcc_lo, 8, v3
	s_cbranch_vccnz .LBB344_1187
	;; [unrolled: 3-line block ×3, first 2 shown]
; %bb.1182:
	v_cmp_lt_i16_e32 vcc_lo, 9, v3
	s_cbranch_vccz .LBB344_1195
; %bb.1183:
	global_load_b64 v[7:8], v[0:1], off
	s_mov_b32 s0, 0
	s_waitcnt vmcnt(0)
	v_cvt_f32_f64_e32 v5, v[7:8]
	s_delay_alu instid0(VALU_DEP_1) | instskip(SKIP_1) | instid1(VALU_DEP_2)
	v_bfe_u32 v7, v5, 16, 1
	v_cmp_o_f32_e32 vcc_lo, v5, v5
	v_add3_u32 v7, v5, v7, 0x7fff
	s_delay_alu instid0(VALU_DEP_1) | instskip(NEXT) | instid1(VALU_DEP_1)
	v_lshrrev_b32_e32 v7, 16, v7
	v_cndmask_b32_e32 v5, 0x7fc0, v7, vcc_lo
	s_branch .LBB344_1196
.LBB344_1184:
	s_mov_b32 s14, 0
	s_mov_b32 s0, 0
                                        ; implicit-def: $vgpr5
	s_cbranch_execnz .LBB344_1269
	s_branch .LBB344_1301
.LBB344_1185:
                                        ; implicit-def: $vgpr5
	s_branch .LBB344_1214
.LBB344_1186:
	s_mov_b32 s15, -1
	s_mov_b32 s14, 0
	s_mov_b32 s0, 0
                                        ; implicit-def: $vgpr5
	s_branch .LBB344_1250
.LBB344_1187:
	s_mov_b32 s0, -1
                                        ; implicit-def: $vgpr5
	s_branch .LBB344_1202
.LBB344_1188:
	s_mov_b32 s15, -1
	s_mov_b32 s14, 0
	s_mov_b32 s0, 0
                                        ; implicit-def: $vgpr5
	s_branch .LBB344_1245
.LBB344_1189:
	s_mov_b32 s0, -1
                                        ; implicit-def: $vgpr5
	s_branch .LBB344_1199
.LBB344_1190:
	s_cbranch_execnz .LBB344_1234
; %bb.1191:
	s_or_b32 s3, s13, exec_lo
                                        ; implicit-def: $vgpr4
	s_cbranch_execz .LBB344_1166
	s_branch .LBB344_1167
.LBB344_1192:
	s_or_saveexec_b32 s17, s17
                                        ; implicit-def: $sgpr18
	s_delay_alu instid0(SALU_CYCLE_1)
	s_xor_b32 exec_lo, exec_lo, s17
	s_cbranch_execz .LBB344_952
.LBB344_1193:
	v_add_f32_e64 v5, 0x46000000, |v6|
	s_and_not1_b32 s13, s13, exec_lo
	s_mov_b32 s18, 0
	s_delay_alu instid0(VALU_DEP_1) | instskip(NEXT) | instid1(VALU_DEP_1)
	v_and_b32_e32 v5, 0xff, v5
	v_cmp_ne_u32_e32 vcc_lo, 0, v5
	s_and_b32 s19, vcc_lo, exec_lo
	s_delay_alu instid0(SALU_CYCLE_1)
	s_or_b32 s13, s13, s19
	s_or_b32 exec_lo, exec_lo, s17
	v_mov_b32_e32 v7, s18
	s_and_saveexec_b32 s17, s13
	s_cbranch_execnz .LBB344_953
	s_branch .LBB344_954
.LBB344_1194:
	s_mov_b32 s15, -1
	s_mov_b32 s14, 0
	s_mov_b32 s0, 0
	s_branch .LBB344_1239
.LBB344_1195:
	s_mov_b32 s0, -1
                                        ; implicit-def: $vgpr5
.LBB344_1196:
	s_delay_alu instid0(SALU_CYCLE_1)
	s_and_not1_b32 vcc_lo, exec_lo, s0
	s_cbranch_vccnz .LBB344_1198
; %bb.1197:
	global_load_b32 v5, v[0:1], off
	s_waitcnt vmcnt(0)
	v_bfe_u32 v7, v5, 16, 1
	v_cmp_o_f32_e32 vcc_lo, v5, v5
	s_delay_alu instid0(VALU_DEP_2) | instskip(NEXT) | instid1(VALU_DEP_1)
	v_add3_u32 v7, v5, v7, 0x7fff
	v_lshrrev_b32_e32 v7, 16, v7
	s_delay_alu instid0(VALU_DEP_1)
	v_cndmask_b32_e32 v5, 0x7fc0, v7, vcc_lo
.LBB344_1198:
	s_mov_b32 s0, 0
.LBB344_1199:
	s_delay_alu instid0(SALU_CYCLE_1)
	s_and_not1_b32 vcc_lo, exec_lo, s0
	s_cbranch_vccnz .LBB344_1201
; %bb.1200:
	global_load_b32 v5, v[0:1], off
	s_waitcnt vmcnt(0)
	v_cvt_f32_f16_e32 v7, v5
	v_cmp_o_f16_e32 vcc_lo, v5, v5
	s_delay_alu instid0(VALU_DEP_2) | instskip(NEXT) | instid1(VALU_DEP_1)
	v_bfe_u32 v8, v7, 16, 1
	v_add3_u32 v7, v7, v8, 0x7fff
	s_delay_alu instid0(VALU_DEP_1) | instskip(NEXT) | instid1(VALU_DEP_1)
	v_lshrrev_b32_e32 v7, 16, v7
	v_cndmask_b32_e32 v5, 0x7fc0, v7, vcc_lo
.LBB344_1201:
	s_mov_b32 s0, 0
.LBB344_1202:
	s_delay_alu instid0(SALU_CYCLE_1)
	s_and_not1_b32 vcc_lo, exec_lo, s0
	s_cbranch_vccnz .LBB344_1213
; %bb.1203:
	v_cmp_gt_i16_e32 vcc_lo, 6, v3
	s_cbranch_vccnz .LBB344_1206
; %bb.1204:
	v_cmp_lt_i16_e32 vcc_lo, 6, v3
	s_cbranch_vccz .LBB344_1207
; %bb.1205:
	global_load_b64 v[7:8], v[0:1], off
	s_mov_b32 s0, 0
	s_waitcnt vmcnt(0)
	v_cvt_f32_f64_e32 v5, v[7:8]
	s_delay_alu instid0(VALU_DEP_1) | instskip(SKIP_1) | instid1(VALU_DEP_2)
	v_bfe_u32 v7, v5, 16, 1
	v_cmp_o_f32_e32 vcc_lo, v5, v5
	v_add3_u32 v7, v5, v7, 0x7fff
	s_delay_alu instid0(VALU_DEP_1) | instskip(NEXT) | instid1(VALU_DEP_1)
	v_lshrrev_b32_e32 v7, 16, v7
	v_cndmask_b32_e32 v5, 0x7fc0, v7, vcc_lo
	s_branch .LBB344_1208
.LBB344_1206:
	s_mov_b32 s0, -1
                                        ; implicit-def: $vgpr5
	s_branch .LBB344_1211
.LBB344_1207:
	s_mov_b32 s0, -1
                                        ; implicit-def: $vgpr5
.LBB344_1208:
	s_delay_alu instid0(SALU_CYCLE_1)
	s_and_not1_b32 vcc_lo, exec_lo, s0
	s_cbranch_vccnz .LBB344_1210
; %bb.1209:
	global_load_b32 v5, v[0:1], off
	s_waitcnt vmcnt(0)
	v_bfe_u32 v7, v5, 16, 1
	v_cmp_o_f32_e32 vcc_lo, v5, v5
	s_delay_alu instid0(VALU_DEP_2) | instskip(NEXT) | instid1(VALU_DEP_1)
	v_add3_u32 v7, v5, v7, 0x7fff
	v_lshrrev_b32_e32 v7, 16, v7
	s_delay_alu instid0(VALU_DEP_1)
	v_cndmask_b32_e32 v5, 0x7fc0, v7, vcc_lo
.LBB344_1210:
	s_mov_b32 s0, 0
.LBB344_1211:
	s_delay_alu instid0(SALU_CYCLE_1)
	s_and_not1_b32 vcc_lo, exec_lo, s0
	s_cbranch_vccnz .LBB344_1213
; %bb.1212:
	global_load_u16 v5, v[0:1], off
	s_waitcnt vmcnt(0)
	v_cvt_f32_f16_e32 v7, v5
	v_cmp_o_f16_e32 vcc_lo, v5, v5
	s_delay_alu instid0(VALU_DEP_2) | instskip(NEXT) | instid1(VALU_DEP_1)
	v_bfe_u32 v8, v7, 16, 1
	v_add3_u32 v7, v7, v8, 0x7fff
	s_delay_alu instid0(VALU_DEP_1) | instskip(NEXT) | instid1(VALU_DEP_1)
	v_lshrrev_b32_e32 v7, 16, v7
	v_cndmask_b32_e32 v5, 0x7fc0, v7, vcc_lo
.LBB344_1213:
	s_cbranch_execnz .LBB344_1233
.LBB344_1214:
	v_cmp_gt_i16_e32 vcc_lo, 2, v3
	s_cbranch_vccnz .LBB344_1218
; %bb.1215:
	v_cmp_gt_i16_e32 vcc_lo, 3, v3
	s_cbranch_vccnz .LBB344_1219
; %bb.1216:
	v_cmp_lt_i16_e32 vcc_lo, 3, v3
	s_cbranch_vccz .LBB344_1220
; %bb.1217:
	global_load_b64 v[7:8], v[0:1], off
	s_mov_b32 s0, 0
	s_waitcnt vmcnt(0)
	v_xor_b32_e32 v5, v7, v8
	v_cls_i32_e32 v9, v8
	s_delay_alu instid0(VALU_DEP_2) | instskip(NEXT) | instid1(VALU_DEP_2)
	v_ashrrev_i32_e32 v5, 31, v5
	v_add_nc_u32_e32 v9, -1, v9
	s_delay_alu instid0(VALU_DEP_2) | instskip(NEXT) | instid1(VALU_DEP_1)
	v_add_nc_u32_e32 v5, 32, v5
	v_min_u32_e32 v5, v9, v5
	s_delay_alu instid0(VALU_DEP_1) | instskip(SKIP_1) | instid1(VALU_DEP_2)
	v_lshlrev_b64 v[7:8], v5, v[7:8]
	v_sub_nc_u32_e32 v5, 32, v5
	v_min_u32_e32 v7, 1, v7
	s_delay_alu instid0(VALU_DEP_1) | instskip(NEXT) | instid1(VALU_DEP_1)
	v_or_b32_e32 v7, v8, v7
	v_cvt_f32_i32_e32 v7, v7
	s_delay_alu instid0(VALU_DEP_1) | instskip(NEXT) | instid1(VALU_DEP_1)
	v_ldexp_f32 v5, v7, v5
	v_bfe_u32 v7, v5, 16, 1
	s_delay_alu instid0(VALU_DEP_1) | instskip(NEXT) | instid1(VALU_DEP_1)
	v_add3_u32 v5, v5, v7, 0x7fff
	v_lshrrev_b32_e32 v5, 16, v5
	s_branch .LBB344_1221
.LBB344_1218:
	s_mov_b32 s0, -1
                                        ; implicit-def: $vgpr5
	s_branch .LBB344_1227
.LBB344_1219:
	s_mov_b32 s0, -1
                                        ; implicit-def: $vgpr5
	s_branch .LBB344_1224
.LBB344_1220:
	s_mov_b32 s0, -1
                                        ; implicit-def: $vgpr5
.LBB344_1221:
	s_delay_alu instid0(SALU_CYCLE_1)
	s_and_not1_b32 vcc_lo, exec_lo, s0
	s_cbranch_vccnz .LBB344_1223
; %bb.1222:
	global_load_b32 v5, v[0:1], off
	s_waitcnt vmcnt(0)
	v_cvt_f32_i32_e32 v5, v5
	s_delay_alu instid0(VALU_DEP_1) | instskip(NEXT) | instid1(VALU_DEP_1)
	v_bfe_u32 v7, v5, 16, 1
	v_add3_u32 v5, v5, v7, 0x7fff
	s_delay_alu instid0(VALU_DEP_1)
	v_lshrrev_b32_e32 v5, 16, v5
.LBB344_1223:
	s_mov_b32 s0, 0
.LBB344_1224:
	s_delay_alu instid0(SALU_CYCLE_1)
	s_and_not1_b32 vcc_lo, exec_lo, s0
	s_cbranch_vccnz .LBB344_1226
; %bb.1225:
	global_load_i16 v5, v[0:1], off
	s_waitcnt vmcnt(0)
	v_cvt_f32_i32_e32 v5, v5
	s_delay_alu instid0(VALU_DEP_1) | instskip(NEXT) | instid1(VALU_DEP_1)
	v_bfe_u32 v7, v5, 16, 1
	v_add3_u32 v5, v5, v7, 0x7fff
	s_delay_alu instid0(VALU_DEP_1)
	v_lshrrev_b32_e32 v5, 16, v5
.LBB344_1226:
	s_mov_b32 s0, 0
.LBB344_1227:
	s_delay_alu instid0(SALU_CYCLE_1)
	s_and_not1_b32 vcc_lo, exec_lo, s0
	s_cbranch_vccnz .LBB344_1233
; %bb.1228:
	v_cmp_lt_i16_e32 vcc_lo, 0, v3
	s_mov_b32 s0, 0
	s_cbranch_vccz .LBB344_1230
; %bb.1229:
	global_load_i8 v5, v[0:1], off
	s_waitcnt vmcnt(0)
	v_cvt_f32_i32_e32 v5, v5
	s_delay_alu instid0(VALU_DEP_1) | instskip(NEXT) | instid1(VALU_DEP_1)
	v_bfe_u32 v7, v5, 16, 1
	v_add3_u32 v5, v5, v7, 0x7fff
	s_delay_alu instid0(VALU_DEP_1)
	v_lshrrev_b32_e32 v5, 16, v5
	s_branch .LBB344_1231
.LBB344_1230:
	s_mov_b32 s0, -1
                                        ; implicit-def: $vgpr5
.LBB344_1231:
	s_delay_alu instid0(SALU_CYCLE_1)
	s_and_not1_b32 vcc_lo, exec_lo, s0
	s_cbranch_vccnz .LBB344_1233
; %bb.1232:
	global_load_u8 v0, v[0:1], off
	s_waitcnt vmcnt(0)
	v_cvt_f32_ubyte0_e32 v0, v0
	s_delay_alu instid0(VALU_DEP_1) | instskip(NEXT) | instid1(VALU_DEP_1)
	v_bfe_u32 v1, v0, 16, 1
	v_add3_u32 v0, v0, v1, 0x7fff
	s_delay_alu instid0(VALU_DEP_1)
	v_lshrrev_b32_e32 v5, 16, v0
.LBB344_1233:
	s_branch .LBB344_1306
.LBB344_1234:
	s_trap 2
	s_sendmsg_rtn_b32 s0, sendmsg(MSG_RTN_GET_DOORBELL)
	s_mov_b32 ttmp2, m0
	s_waitcnt lgkmcnt(0)
	s_and_b32 s0, s0, 0x3ff
	s_delay_alu instid0(SALU_CYCLE_1) | instskip(NEXT) | instid1(SALU_CYCLE_1)
	s_bitset1_b32 s0, 10
	s_mov_b32 m0, s0
	s_sendmsg sendmsg(MSG_INTERRUPT)
	s_mov_b32 m0, ttmp2
.LBB344_1235:                           ; =>This Inner Loop Header: Depth=1
	s_sethalt 5
	s_branch .LBB344_1235
.LBB344_1236:
	s_or_saveexec_b32 s18, s18
                                        ; implicit-def: $sgpr19
	s_delay_alu instid0(SALU_CYCLE_1)
	s_xor_b32 exec_lo, exec_lo, s18
	s_cbranch_execz .LBB344_964
.LBB344_1237:
	v_add_f32_e64 v5, 0x42800000, |v6|
	s_and_not1_b32 s17, s17, exec_lo
	s_mov_b32 s19, 0
	s_delay_alu instid0(VALU_DEP_1) | instskip(NEXT) | instid1(VALU_DEP_1)
	v_and_b32_e32 v5, 0xff, v5
	v_cmp_ne_u32_e32 vcc_lo, 0, v5
	s_and_b32 s20, vcc_lo, exec_lo
	s_delay_alu instid0(SALU_CYCLE_1)
	s_or_b32 s17, s17, s20
	s_or_b32 exec_lo, exec_lo, s18
	v_mov_b32_e32 v7, s19
	s_and_saveexec_b32 s18, s17
	s_cbranch_execnz .LBB344_965
	s_branch .LBB344_966
.LBB344_1238:
	s_mov_b32 s0, -1
	s_mov_b32 s14, 0
.LBB344_1239:
                                        ; implicit-def: $vgpr5
.LBB344_1240:
	s_and_b32 vcc_lo, exec_lo, s15
	s_cbranch_vccz .LBB344_1244
; %bb.1241:
	v_cmp_eq_u16_e32 vcc_lo, 44, v3
	s_cbranch_vccz .LBB344_1243
; %bb.1242:
	global_load_u8 v5, v[0:1], off
	s_mov_b32 s0, 0
	s_mov_b32 s14, -1
	s_waitcnt vmcnt(0)
	v_lshlrev_b32_e32 v7, 23, v5
	v_cmp_ne_u32_e32 vcc_lo, 0xff, v5
	s_delay_alu instid0(VALU_DEP_2) | instskip(SKIP_1) | instid1(VALU_DEP_2)
	v_cndmask_b32_e32 v7, 0x7f800001, v7, vcc_lo
	v_cmp_ne_u32_e32 vcc_lo, 0, v5
	v_cndmask_b32_e32 v5, 0x400000, v7, vcc_lo
	s_delay_alu instid0(VALU_DEP_1) | instskip(SKIP_1) | instid1(VALU_DEP_2)
	v_add_nc_u32_e32 v7, 0x7fff, v5
	v_cmp_o_f32_e32 vcc_lo, v5, v5
	v_lshrrev_b32_e32 v7, 16, v7
	s_delay_alu instid0(VALU_DEP_1)
	v_cndmask_b32_e32 v5, 0x7fc0, v7, vcc_lo
	s_branch .LBB344_1244
.LBB344_1243:
	s_mov_b32 s0, -1
                                        ; implicit-def: $vgpr5
.LBB344_1244:
	s_mov_b32 s15, 0
.LBB344_1245:
	s_delay_alu instid0(SALU_CYCLE_1)
	s_and_b32 vcc_lo, exec_lo, s15
	s_cbranch_vccz .LBB344_1249
; %bb.1246:
	v_cmp_eq_u16_e32 vcc_lo, 29, v3
	s_cbranch_vccz .LBB344_1248
; %bb.1247:
	global_load_b64 v[7:8], v[0:1], off
	s_mov_b32 s0, 0
	s_mov_b32 s14, -1
	s_mov_b32 s15, 0
	s_waitcnt vmcnt(0)
	v_clz_i32_u32_e32 v5, v8
	s_delay_alu instid0(VALU_DEP_1) | instskip(NEXT) | instid1(VALU_DEP_1)
	v_min_u32_e32 v5, 32, v5
	v_lshlrev_b64 v[7:8], v5, v[7:8]
	v_sub_nc_u32_e32 v5, 32, v5
	s_delay_alu instid0(VALU_DEP_2) | instskip(NEXT) | instid1(VALU_DEP_1)
	v_min_u32_e32 v7, 1, v7
	v_or_b32_e32 v7, v8, v7
	s_delay_alu instid0(VALU_DEP_1) | instskip(NEXT) | instid1(VALU_DEP_1)
	v_cvt_f32_u32_e32 v7, v7
	v_ldexp_f32 v5, v7, v5
	s_delay_alu instid0(VALU_DEP_1) | instskip(NEXT) | instid1(VALU_DEP_1)
	v_bfe_u32 v7, v5, 16, 1
	v_add3_u32 v5, v5, v7, 0x7fff
	s_delay_alu instid0(VALU_DEP_1)
	v_lshrrev_b32_e32 v5, 16, v5
	s_branch .LBB344_1250
.LBB344_1248:
	s_mov_b32 s0, -1
                                        ; implicit-def: $vgpr5
.LBB344_1249:
	s_mov_b32 s15, 0
.LBB344_1250:
	s_delay_alu instid0(SALU_CYCLE_1)
	s_and_b32 vcc_lo, exec_lo, s15
	s_cbranch_vccz .LBB344_1268
; %bb.1251:
	v_cmp_gt_i16_e32 vcc_lo, 27, v3
	s_cbranch_vccnz .LBB344_1254
; %bb.1252:
	v_cmp_lt_i16_e32 vcc_lo, 27, v3
	s_cbranch_vccz .LBB344_1255
; %bb.1253:
	global_load_b32 v5, v[0:1], off
	s_mov_b32 s14, 0
	s_waitcnt vmcnt(0)
	v_cvt_f32_u32_e32 v5, v5
	s_delay_alu instid0(VALU_DEP_1) | instskip(NEXT) | instid1(VALU_DEP_1)
	v_bfe_u32 v7, v5, 16, 1
	v_add3_u32 v5, v5, v7, 0x7fff
	s_delay_alu instid0(VALU_DEP_1)
	v_lshrrev_b32_e32 v5, 16, v5
	s_branch .LBB344_1256
.LBB344_1254:
	s_mov_b32 s14, -1
                                        ; implicit-def: $vgpr5
	s_branch .LBB344_1259
.LBB344_1255:
	s_mov_b32 s14, -1
                                        ; implicit-def: $vgpr5
.LBB344_1256:
	s_delay_alu instid0(SALU_CYCLE_1)
	s_and_not1_b32 vcc_lo, exec_lo, s14
	s_cbranch_vccnz .LBB344_1258
; %bb.1257:
	global_load_u16 v5, v[0:1], off
	s_waitcnt vmcnt(0)
	v_cvt_f32_u32_e32 v5, v5
	s_delay_alu instid0(VALU_DEP_1) | instskip(NEXT) | instid1(VALU_DEP_1)
	v_bfe_u32 v7, v5, 16, 1
	v_add3_u32 v5, v5, v7, 0x7fff
	s_delay_alu instid0(VALU_DEP_1)
	v_lshrrev_b32_e32 v5, 16, v5
.LBB344_1258:
	s_mov_b32 s14, 0
.LBB344_1259:
	s_delay_alu instid0(SALU_CYCLE_1)
	s_and_not1_b32 vcc_lo, exec_lo, s14
	s_cbranch_vccnz .LBB344_1267
; %bb.1260:
	global_load_u8 v5, v[0:1], off
	s_mov_b32 s14, 0
	s_mov_b32 s16, exec_lo
                                        ; implicit-def: $sgpr15
	s_waitcnt vmcnt(0)
	v_cmpx_lt_i16_e32 0x7f, v5
	s_xor_b32 s16, exec_lo, s16
	s_cbranch_execz .LBB344_1280
; %bb.1261:
	s_mov_b32 s14, -1
	s_mov_b32 s17, exec_lo
                                        ; implicit-def: $sgpr15
	v_cmpx_eq_u16_e32 0x80, v5
; %bb.1262:
	s_mov_b32 s15, 0x7f800001
	s_xor_b32 s14, exec_lo, -1
; %bb.1263:
	s_or_b32 exec_lo, exec_lo, s17
	s_delay_alu instid0(SALU_CYCLE_1)
	s_and_b32 s14, s14, exec_lo
	s_or_saveexec_b32 s16, s16
	v_mov_b32_e32 v7, s15
	s_xor_b32 exec_lo, exec_lo, s16
	s_cbranch_execnz .LBB344_1281
.LBB344_1264:
	s_or_b32 exec_lo, exec_lo, s16
	s_and_saveexec_b32 s15, s14
	s_cbranch_execz .LBB344_1266
.LBB344_1265:
	v_and_b32_e32 v7, 0xffff, v5
	v_lshlrev_b32_e32 v5, 24, v5
	s_delay_alu instid0(VALU_DEP_2) | instskip(NEXT) | instid1(VALU_DEP_2)
	v_and_b32_e32 v8, 7, v7
	v_and_b32_e32 v5, 0x80000000, v5
	s_delay_alu instid0(VALU_DEP_2) | instskip(NEXT) | instid1(VALU_DEP_1)
	v_clz_i32_u32_e32 v9, v8
	v_min_u32_e32 v9, 32, v9
	s_delay_alu instid0(VALU_DEP_1) | instskip(SKIP_1) | instid1(VALU_DEP_2)
	v_subrev_nc_u32_e32 v10, 28, v9
	v_sub_nc_u32_e32 v9, 29, v9
	v_lshlrev_b32_e32 v10, v10, v7
	v_bfe_u32 v7, v7, 3, 4
	s_delay_alu instid0(VALU_DEP_2) | instskip(NEXT) | instid1(VALU_DEP_2)
	v_and_b32_e32 v10, 7, v10
	v_cmp_eq_u32_e32 vcc_lo, 0, v7
	s_delay_alu instid0(VALU_DEP_2) | instskip(NEXT) | instid1(VALU_DEP_1)
	v_dual_cndmask_b32 v7, v7, v9 :: v_dual_cndmask_b32 v8, v8, v10
	v_lshl_add_u32 v7, v7, 23, 0x3b800000
	s_delay_alu instid0(VALU_DEP_2) | instskip(NEXT) | instid1(VALU_DEP_1)
	v_lshlrev_b32_e32 v8, 20, v8
	v_or3_b32 v7, v5, v7, v8
.LBB344_1266:
	s_or_b32 exec_lo, exec_lo, s15
	s_delay_alu instid0(VALU_DEP_1) | instskip(SKIP_1) | instid1(VALU_DEP_2)
	v_bfe_u32 v5, v7, 16, 1
	v_cmp_o_f32_e32 vcc_lo, v7, v7
	v_add3_u32 v5, v7, v5, 0x7fff
	s_delay_alu instid0(VALU_DEP_1) | instskip(NEXT) | instid1(VALU_DEP_1)
	v_lshrrev_b32_e32 v5, 16, v5
	v_cndmask_b32_e32 v5, 0x7fc0, v5, vcc_lo
.LBB344_1267:
	s_mov_b32 s14, -1
.LBB344_1268:
	s_branch .LBB344_1301
.LBB344_1269:
	v_cmp_lt_i16_e32 vcc_lo, 22, v3
	s_cbranch_vccz .LBB344_1279
; %bb.1270:
	v_cmp_gt_i16_e32 vcc_lo, 24, v3
	s_cbranch_vccnz .LBB344_1282
; %bb.1271:
	v_cmp_lt_i16_e32 vcc_lo, 24, v3
	s_cbranch_vccz .LBB344_1283
; %bb.1272:
	global_load_u8 v5, v[0:1], off
	s_mov_b32 s15, exec_lo
                                        ; implicit-def: $sgpr14
	s_waitcnt vmcnt(0)
	v_cmpx_lt_i16_e32 0x7f, v5
	s_xor_b32 s15, exec_lo, s15
	s_cbranch_execz .LBB344_1295
; %bb.1273:
	s_mov_b32 s12, -1
	s_mov_b32 s16, exec_lo
                                        ; implicit-def: $sgpr14
	v_cmpx_eq_u16_e32 0x80, v5
; %bb.1274:
	s_mov_b32 s14, 0x7f800001
	s_xor_b32 s12, exec_lo, -1
; %bb.1275:
	s_or_b32 exec_lo, exec_lo, s16
	s_delay_alu instid0(SALU_CYCLE_1)
	s_and_b32 s12, s12, exec_lo
	s_or_saveexec_b32 s15, s15
	v_mov_b32_e32 v7, s14
	s_xor_b32 exec_lo, exec_lo, s15
	s_cbranch_execnz .LBB344_1296
.LBB344_1276:
	s_or_b32 exec_lo, exec_lo, s15
	s_and_saveexec_b32 s14, s12
	s_cbranch_execz .LBB344_1278
.LBB344_1277:
	v_and_b32_e32 v7, 0xffff, v5
	v_lshlrev_b32_e32 v5, 24, v5
	s_delay_alu instid0(VALU_DEP_2) | instskip(NEXT) | instid1(VALU_DEP_2)
	v_and_b32_e32 v8, 3, v7
	v_and_b32_e32 v5, 0x80000000, v5
	s_delay_alu instid0(VALU_DEP_2) | instskip(NEXT) | instid1(VALU_DEP_1)
	v_clz_i32_u32_e32 v9, v8
	v_min_u32_e32 v9, 32, v9
	s_delay_alu instid0(VALU_DEP_1) | instskip(SKIP_1) | instid1(VALU_DEP_2)
	v_subrev_nc_u32_e32 v10, 29, v9
	v_sub_nc_u32_e32 v9, 30, v9
	v_lshlrev_b32_e32 v10, v10, v7
	v_bfe_u32 v7, v7, 2, 5
	s_delay_alu instid0(VALU_DEP_2) | instskip(NEXT) | instid1(VALU_DEP_2)
	v_and_b32_e32 v10, 3, v10
	v_cmp_eq_u32_e32 vcc_lo, 0, v7
	s_delay_alu instid0(VALU_DEP_2) | instskip(NEXT) | instid1(VALU_DEP_1)
	v_dual_cndmask_b32 v7, v7, v9 :: v_dual_cndmask_b32 v8, v8, v10
	v_lshl_add_u32 v7, v7, 23, 0x37800000
	s_delay_alu instid0(VALU_DEP_2) | instskip(NEXT) | instid1(VALU_DEP_1)
	v_lshlrev_b32_e32 v8, 21, v8
	v_or3_b32 v7, v5, v7, v8
.LBB344_1278:
	s_or_b32 exec_lo, exec_lo, s14
	s_delay_alu instid0(VALU_DEP_1) | instskip(SKIP_2) | instid1(VALU_DEP_2)
	v_bfe_u32 v5, v7, 16, 1
	v_cmp_o_f32_e32 vcc_lo, v7, v7
	s_mov_b32 s12, 0
	v_add3_u32 v5, v7, v5, 0x7fff
	s_delay_alu instid0(VALU_DEP_1) | instskip(NEXT) | instid1(VALU_DEP_1)
	v_lshrrev_b32_e32 v5, 16, v5
	v_cndmask_b32_e32 v5, 0x7fc0, v5, vcc_lo
	s_branch .LBB344_1284
.LBB344_1279:
	s_mov_b32 s12, -1
                                        ; implicit-def: $vgpr5
	s_branch .LBB344_1290
.LBB344_1280:
	s_or_saveexec_b32 s16, s16
	v_mov_b32_e32 v7, s15
	s_xor_b32 exec_lo, exec_lo, s16
	s_cbranch_execz .LBB344_1264
.LBB344_1281:
	v_cmp_ne_u16_e32 vcc_lo, 0, v5
	v_mov_b32_e32 v7, 0
	s_and_not1_b32 s14, s14, exec_lo
	s_and_b32 s15, vcc_lo, exec_lo
	s_delay_alu instid0(SALU_CYCLE_1)
	s_or_b32 s14, s14, s15
	s_or_b32 exec_lo, exec_lo, s16
	s_and_saveexec_b32 s15, s14
	s_cbranch_execnz .LBB344_1265
	s_branch .LBB344_1266
.LBB344_1282:
	s_mov_b32 s12, -1
                                        ; implicit-def: $vgpr5
	s_branch .LBB344_1287
.LBB344_1283:
	s_mov_b32 s12, -1
                                        ; implicit-def: $vgpr5
.LBB344_1284:
	s_delay_alu instid0(SALU_CYCLE_1)
	s_and_b32 vcc_lo, exec_lo, s12
	s_cbranch_vccz .LBB344_1286
; %bb.1285:
	global_load_u8 v5, v[0:1], off
	s_waitcnt vmcnt(0)
	v_lshlrev_b32_e32 v5, 24, v5
	s_delay_alu instid0(VALU_DEP_1) | instskip(NEXT) | instid1(VALU_DEP_1)
	v_and_b32_e32 v7, 0x7f000000, v5
	v_clz_i32_u32_e32 v8, v7
	v_cmp_ne_u32_e32 vcc_lo, 0, v7
	v_add_nc_u32_e32 v10, 0x1000000, v7
	s_delay_alu instid0(VALU_DEP_3) | instskip(NEXT) | instid1(VALU_DEP_1)
	v_min_u32_e32 v8, 32, v8
	v_sub_nc_u32_e64 v8, v8, 4 clamp
	s_delay_alu instid0(VALU_DEP_1) | instskip(SKIP_1) | instid1(VALU_DEP_2)
	v_lshlrev_b32_e32 v9, v8, v7
	v_lshlrev_b32_e32 v8, 23, v8
	v_lshrrev_b32_e32 v9, 4, v9
	s_delay_alu instid0(VALU_DEP_1) | instskip(SKIP_1) | instid1(VALU_DEP_2)
	v_sub_nc_u32_e32 v8, v9, v8
	v_ashrrev_i32_e32 v9, 8, v10
	v_add_nc_u32_e32 v8, 0x3c000000, v8
	s_delay_alu instid0(VALU_DEP_1) | instskip(NEXT) | instid1(VALU_DEP_1)
	v_and_or_b32 v8, 0x7f800000, v9, v8
	v_cndmask_b32_e32 v7, 0, v8, vcc_lo
	s_delay_alu instid0(VALU_DEP_1) | instskip(SKIP_1) | instid1(VALU_DEP_2)
	v_and_or_b32 v5, 0x80000000, v5, v7
	v_bfe_u32 v7, v7, 16, 1
	v_cmp_o_f32_e32 vcc_lo, v5, v5
	s_delay_alu instid0(VALU_DEP_2) | instskip(NEXT) | instid1(VALU_DEP_1)
	v_add3_u32 v7, v5, v7, 0x7fff
	v_lshrrev_b32_e32 v7, 16, v7
	s_delay_alu instid0(VALU_DEP_1)
	v_cndmask_b32_e32 v5, 0x7fc0, v7, vcc_lo
.LBB344_1286:
	s_mov_b32 s12, 0
.LBB344_1287:
	s_delay_alu instid0(SALU_CYCLE_1)
	s_and_not1_b32 vcc_lo, exec_lo, s12
	s_cbranch_vccnz .LBB344_1289
; %bb.1288:
	global_load_u8 v5, v[0:1], off
	s_waitcnt vmcnt(0)
	v_lshlrev_b32_e32 v7, 25, v5
	v_lshlrev_b16 v5, 8, v5
	s_delay_alu instid0(VALU_DEP_2) | instskip(NEXT) | instid1(VALU_DEP_2)
	v_lshrrev_b32_e32 v8, 4, v7
	v_and_or_b32 v9, 0x7f00, v5, 0.5
	v_bfe_i32 v5, v5, 0, 16
	s_delay_alu instid0(VALU_DEP_3) | instskip(NEXT) | instid1(VALU_DEP_1)
	v_or_b32_e32 v8, 0x70000000, v8
	v_dual_add_f32 v9, -0.5, v9 :: v_dual_mul_f32 v8, 0x7800000, v8
	v_cmp_gt_u32_e32 vcc_lo, 0x8000000, v7
	s_delay_alu instid0(VALU_DEP_2) | instskip(NEXT) | instid1(VALU_DEP_1)
	v_cndmask_b32_e32 v7, v8, v9, vcc_lo
	v_and_or_b32 v5, 0x80000000, v5, v7
	v_bfe_u32 v7, v7, 16, 1
	s_delay_alu instid0(VALU_DEP_2) | instskip(NEXT) | instid1(VALU_DEP_2)
	v_cmp_o_f32_e32 vcc_lo, v5, v5
	v_add3_u32 v7, v5, v7, 0x7fff
	s_delay_alu instid0(VALU_DEP_1) | instskip(NEXT) | instid1(VALU_DEP_1)
	v_lshrrev_b32_e32 v7, 16, v7
	v_cndmask_b32_e32 v5, 0x7fc0, v7, vcc_lo
.LBB344_1289:
	s_mov_b32 s12, 0
	s_mov_b32 s14, -1
.LBB344_1290:
	s_and_not1_b32 vcc_lo, exec_lo, s12
	s_mov_b32 s12, 0
	s_cbranch_vccnz .LBB344_1301
; %bb.1291:
	v_cmp_lt_i16_e32 vcc_lo, 14, v3
	s_cbranch_vccz .LBB344_1294
; %bb.1292:
	v_cmp_eq_u16_e32 vcc_lo, 15, v3
	s_cbranch_vccz .LBB344_1297
; %bb.1293:
	global_load_u16 v5, v[0:1], off
	s_mov_b32 s0, 0
	s_mov_b32 s14, -1
	s_branch .LBB344_1299
.LBB344_1294:
	s_mov_b32 s12, -1
	s_branch .LBB344_1298
.LBB344_1295:
	s_or_saveexec_b32 s15, s15
	v_mov_b32_e32 v7, s14
	s_xor_b32 exec_lo, exec_lo, s15
	s_cbranch_execz .LBB344_1276
.LBB344_1296:
	v_cmp_ne_u16_e32 vcc_lo, 0, v5
	v_mov_b32_e32 v7, 0
	s_and_not1_b32 s12, s12, exec_lo
	s_and_b32 s14, vcc_lo, exec_lo
	s_delay_alu instid0(SALU_CYCLE_1)
	s_or_b32 s12, s12, s14
	s_or_b32 exec_lo, exec_lo, s15
	s_and_saveexec_b32 s14, s12
	s_cbranch_execnz .LBB344_1277
	s_branch .LBB344_1278
.LBB344_1297:
	s_mov_b32 s0, -1
.LBB344_1298:
                                        ; implicit-def: $vgpr5
.LBB344_1299:
	s_and_b32 vcc_lo, exec_lo, s12
	s_mov_b32 s12, 0
	s_cbranch_vccz .LBB344_1301
; %bb.1300:
	v_cmp_ne_u16_e64 s0, 11, v3
	s_mov_b32 s12, -1
                                        ; implicit-def: $vgpr5
.LBB344_1301:
	s_delay_alu instid0(VALU_DEP_1)
	s_and_b32 vcc_lo, exec_lo, s0
	s_cbranch_vccnz .LBB344_1327
; %bb.1302:
	s_and_not1_b32 vcc_lo, exec_lo, s12
	s_cbranch_vccnz .LBB344_1304
.LBB344_1303:
	global_load_u8 v5, v[0:1], off
	s_mov_b32 s14, -1
	s_waitcnt vmcnt(0)
	v_cmp_ne_u16_e32 vcc_lo, 0, v5
	v_cndmask_b32_e64 v5, 0, 1.0, vcc_lo
	s_delay_alu instid0(VALU_DEP_1)
	v_lshrrev_b32_e32 v5, 16, v5
.LBB344_1304:
.LBB344_1305:
	s_and_not1_b32 vcc_lo, exec_lo, s14
	s_cbranch_vccnz .LBB344_1657
.LBB344_1306:
	s_waitcnt vmcnt(0)
	s_delay_alu instid0(VALU_DEP_1) | instskip(SKIP_1) | instid1(VALU_DEP_1)
	v_lshlrev_b32_e32 v0, 16, v5
	s_mov_b32 s0, exec_lo
	v_cmpx_o_f32_e32 v0, v0
; %bb.1307:
	s_lshl_b32 s12, s1, 16
	s_delay_alu instid0(SALU_CYCLE_1) | instskip(SKIP_2) | instid1(VALU_DEP_1)
	v_cmp_lt_f32_e32 vcc_lo, s12, v0
	s_lshl_b32 s12, s2, 16
	v_cndmask_b32_e32 v0, s1, v5, vcc_lo
	v_lshlrev_b32_e32 v1, 16, v0
	s_delay_alu instid0(VALU_DEP_1)
	v_cmp_gt_f32_e32 vcc_lo, s12, v1
	v_cndmask_b32_e32 v5, s2, v0, vcc_lo
; %bb.1308:
	s_or_b32 exec_lo, exec_lo, s0
	v_add_nc_u32_e32 v6, s9, v6
	v_cmp_gt_i16_e32 vcc_lo, 11, v3
	s_delay_alu instid0(VALU_DEP_2) | instskip(SKIP_1) | instid1(VALU_DEP_1)
	v_ashrrev_i32_e32 v1, 31, v6
	v_add_co_u32 v0, s0, s6, v6
	v_add_co_ci_u32_e64 v1, s0, s7, v1, s0
	s_cbranch_vccnz .LBB344_1315
; %bb.1309:
	v_cmp_lt_i16_e32 vcc_lo, 25, v3
	s_mov_b32 s12, 0
	s_cbranch_vccz .LBB344_1321
; %bb.1310:
	v_cmp_lt_i16_e32 vcc_lo, 28, v3
	s_cbranch_vccz .LBB344_1323
; %bb.1311:
	v_cmp_lt_i16_e32 vcc_lo, 43, v3
	;; [unrolled: 3-line block ×3, first 2 shown]
	s_cbranch_vccz .LBB344_1329
; %bb.1313:
	v_cmp_eq_u16_e32 vcc_lo, 46, v3
	s_mov_b32 s15, 0
	s_cbranch_vccz .LBB344_1372
; %bb.1314:
	global_load_b32 v7, v[0:1], off
	s_mov_b32 s0, 0
	s_mov_b32 s14, -1
	s_branch .LBB344_1374
.LBB344_1315:
	s_mov_b32 s14, 0
                                        ; implicit-def: $vgpr7
	s_cbranch_execz .LBB344_1440
; %bb.1316:
	v_cmp_gt_i16_e32 vcc_lo, 5, v3
	s_cbranch_vccnz .LBB344_1322
; %bb.1317:
	v_cmp_gt_i16_e32 vcc_lo, 8, v3
	s_cbranch_vccnz .LBB344_1324
	;; [unrolled: 3-line block ×3, first 2 shown]
; %bb.1319:
	v_cmp_lt_i16_e32 vcc_lo, 9, v3
	s_cbranch_vccz .LBB344_1330
; %bb.1320:
	global_load_b64 v[7:8], v[0:1], off
	s_mov_b32 s0, 0
	s_waitcnt vmcnt(0)
	v_cvt_f32_f64_e32 v7, v[7:8]
	s_delay_alu instid0(VALU_DEP_1) | instskip(SKIP_1) | instid1(VALU_DEP_2)
	v_bfe_u32 v8, v7, 16, 1
	v_cmp_o_f32_e32 vcc_lo, v7, v7
	v_add3_u32 v8, v7, v8, 0x7fff
	s_delay_alu instid0(VALU_DEP_1) | instskip(NEXT) | instid1(VALU_DEP_1)
	v_lshrrev_b32_e32 v8, 16, v8
	v_cndmask_b32_e32 v7, 0x7fc0, v8, vcc_lo
	s_branch .LBB344_1331
.LBB344_1321:
	s_mov_b32 s15, -1
	s_mov_b32 s14, 0
	s_mov_b32 s0, 0
                                        ; implicit-def: $vgpr7
	s_branch .LBB344_1403
.LBB344_1322:
	s_mov_b32 s0, -1
                                        ; implicit-def: $vgpr7
	s_branch .LBB344_1349
.LBB344_1323:
	s_mov_b32 s15, -1
	s_mov_b32 s14, 0
	s_mov_b32 s0, 0
                                        ; implicit-def: $vgpr7
	s_branch .LBB344_1384
.LBB344_1324:
	s_mov_b32 s0, -1
                                        ; implicit-def: $vgpr7
	s_branch .LBB344_1337
.LBB344_1325:
	s_mov_b32 s15, -1
	s_mov_b32 s14, 0
	s_mov_b32 s0, 0
                                        ; implicit-def: $vgpr7
	s_branch .LBB344_1379
.LBB344_1326:
	s_mov_b32 s0, -1
                                        ; implicit-def: $vgpr7
	s_branch .LBB344_1334
.LBB344_1327:
	s_cbranch_execnz .LBB344_1370
; %bb.1328:
	s_or_b32 s3, s3, exec_lo
                                        ; implicit-def: $vgpr5
	s_cbranch_execz .LBB344_1303
	s_branch .LBB344_1304
.LBB344_1329:
	s_mov_b32 s15, -1
	s_mov_b32 s14, 0
	s_mov_b32 s0, 0
	s_branch .LBB344_1373
.LBB344_1330:
	s_mov_b32 s0, -1
                                        ; implicit-def: $vgpr7
.LBB344_1331:
	s_delay_alu instid0(SALU_CYCLE_1)
	s_and_not1_b32 vcc_lo, exec_lo, s0
	s_cbranch_vccnz .LBB344_1333
; %bb.1332:
	global_load_b32 v7, v[0:1], off
	s_waitcnt vmcnt(0)
	v_bfe_u32 v8, v7, 16, 1
	v_cmp_o_f32_e32 vcc_lo, v7, v7
	s_delay_alu instid0(VALU_DEP_2) | instskip(NEXT) | instid1(VALU_DEP_1)
	v_add3_u32 v8, v7, v8, 0x7fff
	v_lshrrev_b32_e32 v8, 16, v8
	s_delay_alu instid0(VALU_DEP_1)
	v_cndmask_b32_e32 v7, 0x7fc0, v8, vcc_lo
.LBB344_1333:
	s_mov_b32 s0, 0
.LBB344_1334:
	s_delay_alu instid0(SALU_CYCLE_1)
	s_and_not1_b32 vcc_lo, exec_lo, s0
	s_cbranch_vccnz .LBB344_1336
; %bb.1335:
	global_load_b32 v7, v[0:1], off
	s_waitcnt vmcnt(0)
	v_cvt_f32_f16_e32 v8, v7
	v_cmp_o_f16_e32 vcc_lo, v7, v7
	s_delay_alu instid0(VALU_DEP_2) | instskip(NEXT) | instid1(VALU_DEP_1)
	v_bfe_u32 v9, v8, 16, 1
	v_add3_u32 v8, v8, v9, 0x7fff
	s_delay_alu instid0(VALU_DEP_1) | instskip(NEXT) | instid1(VALU_DEP_1)
	v_lshrrev_b32_e32 v8, 16, v8
	v_cndmask_b32_e32 v7, 0x7fc0, v8, vcc_lo
.LBB344_1336:
	s_mov_b32 s0, 0
.LBB344_1337:
	s_delay_alu instid0(SALU_CYCLE_1)
	s_and_not1_b32 vcc_lo, exec_lo, s0
	s_cbranch_vccnz .LBB344_1348
; %bb.1338:
	v_cmp_gt_i16_e32 vcc_lo, 6, v3
	s_cbranch_vccnz .LBB344_1341
; %bb.1339:
	v_cmp_lt_i16_e32 vcc_lo, 6, v3
	s_cbranch_vccz .LBB344_1342
; %bb.1340:
	global_load_b64 v[7:8], v[0:1], off
	s_mov_b32 s0, 0
	s_waitcnt vmcnt(0)
	v_cvt_f32_f64_e32 v7, v[7:8]
	s_delay_alu instid0(VALU_DEP_1) | instskip(SKIP_1) | instid1(VALU_DEP_2)
	v_bfe_u32 v8, v7, 16, 1
	v_cmp_o_f32_e32 vcc_lo, v7, v7
	v_add3_u32 v8, v7, v8, 0x7fff
	s_delay_alu instid0(VALU_DEP_1) | instskip(NEXT) | instid1(VALU_DEP_1)
	v_lshrrev_b32_e32 v8, 16, v8
	v_cndmask_b32_e32 v7, 0x7fc0, v8, vcc_lo
	s_branch .LBB344_1343
.LBB344_1341:
	s_mov_b32 s0, -1
                                        ; implicit-def: $vgpr7
	s_branch .LBB344_1346
.LBB344_1342:
	s_mov_b32 s0, -1
                                        ; implicit-def: $vgpr7
.LBB344_1343:
	s_delay_alu instid0(SALU_CYCLE_1)
	s_and_not1_b32 vcc_lo, exec_lo, s0
	s_cbranch_vccnz .LBB344_1345
; %bb.1344:
	global_load_b32 v7, v[0:1], off
	s_waitcnt vmcnt(0)
	v_bfe_u32 v8, v7, 16, 1
	v_cmp_o_f32_e32 vcc_lo, v7, v7
	s_delay_alu instid0(VALU_DEP_2) | instskip(NEXT) | instid1(VALU_DEP_1)
	v_add3_u32 v8, v7, v8, 0x7fff
	v_lshrrev_b32_e32 v8, 16, v8
	s_delay_alu instid0(VALU_DEP_1)
	v_cndmask_b32_e32 v7, 0x7fc0, v8, vcc_lo
.LBB344_1345:
	s_mov_b32 s0, 0
.LBB344_1346:
	s_delay_alu instid0(SALU_CYCLE_1)
	s_and_not1_b32 vcc_lo, exec_lo, s0
	s_cbranch_vccnz .LBB344_1348
; %bb.1347:
	global_load_u16 v7, v[0:1], off
	s_waitcnt vmcnt(0)
	v_cvt_f32_f16_e32 v8, v7
	v_cmp_o_f16_e32 vcc_lo, v7, v7
	s_delay_alu instid0(VALU_DEP_2) | instskip(NEXT) | instid1(VALU_DEP_1)
	v_bfe_u32 v9, v8, 16, 1
	v_add3_u32 v8, v8, v9, 0x7fff
	s_delay_alu instid0(VALU_DEP_1) | instskip(NEXT) | instid1(VALU_DEP_1)
	v_lshrrev_b32_e32 v8, 16, v8
	v_cndmask_b32_e32 v7, 0x7fc0, v8, vcc_lo
.LBB344_1348:
	s_mov_b32 s0, 0
.LBB344_1349:
	s_delay_alu instid0(SALU_CYCLE_1)
	s_and_not1_b32 vcc_lo, exec_lo, s0
	s_cbranch_vccnz .LBB344_1369
; %bb.1350:
	v_cmp_gt_i16_e32 vcc_lo, 2, v3
	s_cbranch_vccnz .LBB344_1354
; %bb.1351:
	v_cmp_gt_i16_e32 vcc_lo, 3, v3
	s_cbranch_vccnz .LBB344_1355
; %bb.1352:
	v_cmp_lt_i16_e32 vcc_lo, 3, v3
	s_cbranch_vccz .LBB344_1356
; %bb.1353:
	global_load_b64 v[7:8], v[0:1], off
	s_mov_b32 s0, 0
	s_waitcnt vmcnt(0)
	v_xor_b32_e32 v9, v7, v8
	v_cls_i32_e32 v10, v8
	s_delay_alu instid0(VALU_DEP_2) | instskip(NEXT) | instid1(VALU_DEP_2)
	v_ashrrev_i32_e32 v9, 31, v9
	v_add_nc_u32_e32 v10, -1, v10
	s_delay_alu instid0(VALU_DEP_2) | instskip(NEXT) | instid1(VALU_DEP_1)
	v_add_nc_u32_e32 v9, 32, v9
	v_min_u32_e32 v9, v10, v9
	s_delay_alu instid0(VALU_DEP_1) | instskip(NEXT) | instid1(VALU_DEP_1)
	v_lshlrev_b64 v[7:8], v9, v[7:8]
	v_min_u32_e32 v7, 1, v7
	s_delay_alu instid0(VALU_DEP_1) | instskip(SKIP_1) | instid1(VALU_DEP_2)
	v_or_b32_e32 v7, v8, v7
	v_sub_nc_u32_e32 v8, 32, v9
	v_cvt_f32_i32_e32 v7, v7
	s_delay_alu instid0(VALU_DEP_1) | instskip(NEXT) | instid1(VALU_DEP_1)
	v_ldexp_f32 v7, v7, v8
	v_bfe_u32 v8, v7, 16, 1
	s_delay_alu instid0(VALU_DEP_1) | instskip(NEXT) | instid1(VALU_DEP_1)
	v_add3_u32 v7, v7, v8, 0x7fff
	v_lshrrev_b32_e32 v7, 16, v7
	s_branch .LBB344_1357
.LBB344_1354:
	s_mov_b32 s0, -1
                                        ; implicit-def: $vgpr7
	s_branch .LBB344_1363
.LBB344_1355:
	s_mov_b32 s0, -1
                                        ; implicit-def: $vgpr7
	s_branch .LBB344_1360
.LBB344_1356:
	s_mov_b32 s0, -1
                                        ; implicit-def: $vgpr7
.LBB344_1357:
	s_delay_alu instid0(SALU_CYCLE_1)
	s_and_not1_b32 vcc_lo, exec_lo, s0
	s_cbranch_vccnz .LBB344_1359
; %bb.1358:
	global_load_b32 v7, v[0:1], off
	s_waitcnt vmcnt(0)
	v_cvt_f32_i32_e32 v7, v7
	s_delay_alu instid0(VALU_DEP_1) | instskip(NEXT) | instid1(VALU_DEP_1)
	v_bfe_u32 v8, v7, 16, 1
	v_add3_u32 v7, v7, v8, 0x7fff
	s_delay_alu instid0(VALU_DEP_1)
	v_lshrrev_b32_e32 v7, 16, v7
.LBB344_1359:
	s_mov_b32 s0, 0
.LBB344_1360:
	s_delay_alu instid0(SALU_CYCLE_1)
	s_and_not1_b32 vcc_lo, exec_lo, s0
	s_cbranch_vccnz .LBB344_1362
; %bb.1361:
	global_load_i16 v7, v[0:1], off
	s_waitcnt vmcnt(0)
	v_cvt_f32_i32_e32 v7, v7
	s_delay_alu instid0(VALU_DEP_1) | instskip(NEXT) | instid1(VALU_DEP_1)
	v_bfe_u32 v8, v7, 16, 1
	v_add3_u32 v7, v7, v8, 0x7fff
	s_delay_alu instid0(VALU_DEP_1)
	v_lshrrev_b32_e32 v7, 16, v7
.LBB344_1362:
	s_mov_b32 s0, 0
.LBB344_1363:
	s_delay_alu instid0(SALU_CYCLE_1)
	s_and_not1_b32 vcc_lo, exec_lo, s0
	s_cbranch_vccnz .LBB344_1369
; %bb.1364:
	v_cmp_lt_i16_e32 vcc_lo, 0, v3
	s_mov_b32 s0, 0
	s_cbranch_vccz .LBB344_1366
; %bb.1365:
	global_load_i8 v7, v[0:1], off
	s_waitcnt vmcnt(0)
	v_cvt_f32_i32_e32 v7, v7
	s_delay_alu instid0(VALU_DEP_1) | instskip(NEXT) | instid1(VALU_DEP_1)
	v_bfe_u32 v8, v7, 16, 1
	v_add3_u32 v7, v7, v8, 0x7fff
	s_delay_alu instid0(VALU_DEP_1)
	v_lshrrev_b32_e32 v7, 16, v7
	s_branch .LBB344_1367
.LBB344_1366:
	s_mov_b32 s0, -1
                                        ; implicit-def: $vgpr7
.LBB344_1367:
	s_delay_alu instid0(SALU_CYCLE_1)
	s_and_not1_b32 vcc_lo, exec_lo, s0
	s_cbranch_vccnz .LBB344_1369
; %bb.1368:
	global_load_u8 v0, v[0:1], off
	s_waitcnt vmcnt(0)
	v_cvt_f32_ubyte0_e32 v0, v0
	s_delay_alu instid0(VALU_DEP_1) | instskip(NEXT) | instid1(VALU_DEP_1)
	v_bfe_u32 v1, v0, 16, 1
	v_add3_u32 v0, v0, v1, 0x7fff
	s_delay_alu instid0(VALU_DEP_1)
	v_lshrrev_b32_e32 v7, 16, v0
.LBB344_1369:
	s_branch .LBB344_1441
.LBB344_1370:
	s_trap 2
	s_sendmsg_rtn_b32 s0, sendmsg(MSG_RTN_GET_DOORBELL)
	s_mov_b32 ttmp2, m0
	s_waitcnt lgkmcnt(0)
	s_and_b32 s0, s0, 0x3ff
	s_delay_alu instid0(SALU_CYCLE_1) | instskip(NEXT) | instid1(SALU_CYCLE_1)
	s_bitset1_b32 s0, 10
	s_mov_b32 m0, s0
	s_sendmsg sendmsg(MSG_INTERRUPT)
	s_mov_b32 m0, ttmp2
.LBB344_1371:                           ; =>This Inner Loop Header: Depth=1
	s_sethalt 5
	s_branch .LBB344_1371
.LBB344_1372:
	s_mov_b32 s0, -1
	s_mov_b32 s14, 0
.LBB344_1373:
                                        ; implicit-def: $vgpr7
.LBB344_1374:
	s_and_b32 vcc_lo, exec_lo, s15
	s_cbranch_vccz .LBB344_1378
; %bb.1375:
	v_cmp_eq_u16_e32 vcc_lo, 44, v3
	s_cbranch_vccz .LBB344_1377
; %bb.1376:
	global_load_u8 v7, v[0:1], off
	s_mov_b32 s0, 0
	s_mov_b32 s14, -1
	s_waitcnt vmcnt(0)
	v_lshlrev_b32_e32 v8, 23, v7
	v_cmp_ne_u32_e32 vcc_lo, 0xff, v7
	s_delay_alu instid0(VALU_DEP_2) | instskip(SKIP_1) | instid1(VALU_DEP_2)
	v_cndmask_b32_e32 v8, 0x7f800001, v8, vcc_lo
	v_cmp_ne_u32_e32 vcc_lo, 0, v7
	v_cndmask_b32_e32 v7, 0x400000, v8, vcc_lo
	s_delay_alu instid0(VALU_DEP_1) | instskip(SKIP_1) | instid1(VALU_DEP_2)
	v_add_nc_u32_e32 v8, 0x7fff, v7
	v_cmp_o_f32_e32 vcc_lo, v7, v7
	v_lshrrev_b32_e32 v8, 16, v8
	s_delay_alu instid0(VALU_DEP_1)
	v_cndmask_b32_e32 v7, 0x7fc0, v8, vcc_lo
	s_branch .LBB344_1378
.LBB344_1377:
	s_mov_b32 s0, -1
                                        ; implicit-def: $vgpr7
.LBB344_1378:
	s_mov_b32 s15, 0
.LBB344_1379:
	s_delay_alu instid0(SALU_CYCLE_1)
	s_and_b32 vcc_lo, exec_lo, s15
	s_cbranch_vccz .LBB344_1383
; %bb.1380:
	v_cmp_eq_u16_e32 vcc_lo, 29, v3
	s_cbranch_vccz .LBB344_1382
; %bb.1381:
	global_load_b64 v[7:8], v[0:1], off
	s_mov_b32 s0, 0
	s_mov_b32 s14, -1
	s_mov_b32 s15, 0
	s_waitcnt vmcnt(0)
	v_clz_i32_u32_e32 v9, v8
	s_delay_alu instid0(VALU_DEP_1) | instskip(NEXT) | instid1(VALU_DEP_1)
	v_min_u32_e32 v9, 32, v9
	v_lshlrev_b64 v[7:8], v9, v[7:8]
	s_delay_alu instid0(VALU_DEP_1) | instskip(NEXT) | instid1(VALU_DEP_1)
	v_min_u32_e32 v7, 1, v7
	v_or_b32_e32 v7, v8, v7
	v_sub_nc_u32_e32 v8, 32, v9
	s_delay_alu instid0(VALU_DEP_2) | instskip(NEXT) | instid1(VALU_DEP_1)
	v_cvt_f32_u32_e32 v7, v7
	v_ldexp_f32 v7, v7, v8
	s_delay_alu instid0(VALU_DEP_1) | instskip(NEXT) | instid1(VALU_DEP_1)
	v_bfe_u32 v8, v7, 16, 1
	v_add3_u32 v7, v7, v8, 0x7fff
	s_delay_alu instid0(VALU_DEP_1)
	v_lshrrev_b32_e32 v7, 16, v7
	s_branch .LBB344_1384
.LBB344_1382:
	s_mov_b32 s0, -1
                                        ; implicit-def: $vgpr7
.LBB344_1383:
	s_mov_b32 s15, 0
.LBB344_1384:
	s_delay_alu instid0(SALU_CYCLE_1)
	s_and_b32 vcc_lo, exec_lo, s15
	s_cbranch_vccz .LBB344_1402
; %bb.1385:
	v_cmp_gt_i16_e32 vcc_lo, 27, v3
	s_cbranch_vccnz .LBB344_1388
; %bb.1386:
	v_cmp_lt_i16_e32 vcc_lo, 27, v3
	s_cbranch_vccz .LBB344_1389
; %bb.1387:
	global_load_b32 v7, v[0:1], off
	s_mov_b32 s14, 0
	s_waitcnt vmcnt(0)
	v_cvt_f32_u32_e32 v7, v7
	s_delay_alu instid0(VALU_DEP_1) | instskip(NEXT) | instid1(VALU_DEP_1)
	v_bfe_u32 v8, v7, 16, 1
	v_add3_u32 v7, v7, v8, 0x7fff
	s_delay_alu instid0(VALU_DEP_1)
	v_lshrrev_b32_e32 v7, 16, v7
	s_branch .LBB344_1390
.LBB344_1388:
	s_mov_b32 s14, -1
                                        ; implicit-def: $vgpr7
	s_branch .LBB344_1393
.LBB344_1389:
	s_mov_b32 s14, -1
                                        ; implicit-def: $vgpr7
.LBB344_1390:
	s_delay_alu instid0(SALU_CYCLE_1)
	s_and_not1_b32 vcc_lo, exec_lo, s14
	s_cbranch_vccnz .LBB344_1392
; %bb.1391:
	global_load_u16 v7, v[0:1], off
	s_waitcnt vmcnt(0)
	v_cvt_f32_u32_e32 v7, v7
	s_delay_alu instid0(VALU_DEP_1) | instskip(NEXT) | instid1(VALU_DEP_1)
	v_bfe_u32 v8, v7, 16, 1
	v_add3_u32 v7, v7, v8, 0x7fff
	s_delay_alu instid0(VALU_DEP_1)
	v_lshrrev_b32_e32 v7, 16, v7
.LBB344_1392:
	s_mov_b32 s14, 0
.LBB344_1393:
	s_delay_alu instid0(SALU_CYCLE_1)
	s_and_not1_b32 vcc_lo, exec_lo, s14
	s_cbranch_vccnz .LBB344_1401
; %bb.1394:
	global_load_u8 v7, v[0:1], off
	s_mov_b32 s14, 0
	s_mov_b32 s16, exec_lo
                                        ; implicit-def: $sgpr15
	s_waitcnt vmcnt(0)
	v_cmpx_lt_i16_e32 0x7f, v7
	s_xor_b32 s16, exec_lo, s16
	s_cbranch_execz .LBB344_1415
; %bb.1395:
	s_mov_b32 s14, -1
	s_mov_b32 s17, exec_lo
                                        ; implicit-def: $sgpr15
	v_cmpx_eq_u16_e32 0x80, v7
; %bb.1396:
	s_mov_b32 s15, 0x7f800001
	s_xor_b32 s14, exec_lo, -1
; %bb.1397:
	s_or_b32 exec_lo, exec_lo, s17
	s_delay_alu instid0(SALU_CYCLE_1)
	s_and_b32 s14, s14, exec_lo
	s_or_saveexec_b32 s16, s16
	v_mov_b32_e32 v8, s15
	s_xor_b32 exec_lo, exec_lo, s16
	s_cbranch_execnz .LBB344_1416
.LBB344_1398:
	s_or_b32 exec_lo, exec_lo, s16
	s_and_saveexec_b32 s15, s14
	s_cbranch_execz .LBB344_1400
.LBB344_1399:
	v_and_b32_e32 v8, 0xffff, v7
	v_lshlrev_b32_e32 v7, 24, v7
	s_delay_alu instid0(VALU_DEP_2) | instskip(NEXT) | instid1(VALU_DEP_2)
	v_and_b32_e32 v9, 7, v8
	v_and_b32_e32 v7, 0x80000000, v7
	s_delay_alu instid0(VALU_DEP_2) | instskip(NEXT) | instid1(VALU_DEP_1)
	v_clz_i32_u32_e32 v10, v9
	v_min_u32_e32 v10, 32, v10
	s_delay_alu instid0(VALU_DEP_1) | instskip(SKIP_1) | instid1(VALU_DEP_2)
	v_subrev_nc_u32_e32 v11, 28, v10
	v_sub_nc_u32_e32 v10, 29, v10
	v_lshlrev_b32_e32 v11, v11, v8
	v_bfe_u32 v8, v8, 3, 4
	s_delay_alu instid0(VALU_DEP_2) | instskip(NEXT) | instid1(VALU_DEP_2)
	v_and_b32_e32 v11, 7, v11
	v_cmp_eq_u32_e32 vcc_lo, 0, v8
	s_delay_alu instid0(VALU_DEP_2) | instskip(NEXT) | instid1(VALU_DEP_1)
	v_dual_cndmask_b32 v8, v8, v10 :: v_dual_cndmask_b32 v9, v9, v11
	v_lshl_add_u32 v8, v8, 23, 0x3b800000
	s_delay_alu instid0(VALU_DEP_2) | instskip(NEXT) | instid1(VALU_DEP_1)
	v_lshlrev_b32_e32 v9, 20, v9
	v_or3_b32 v8, v7, v8, v9
.LBB344_1400:
	s_or_b32 exec_lo, exec_lo, s15
	s_delay_alu instid0(VALU_DEP_1) | instskip(SKIP_1) | instid1(VALU_DEP_2)
	v_bfe_u32 v7, v8, 16, 1
	v_cmp_o_f32_e32 vcc_lo, v8, v8
	v_add3_u32 v7, v8, v7, 0x7fff
	s_delay_alu instid0(VALU_DEP_1) | instskip(NEXT) | instid1(VALU_DEP_1)
	v_lshrrev_b32_e32 v7, 16, v7
	v_cndmask_b32_e32 v7, 0x7fc0, v7, vcc_lo
.LBB344_1401:
	s_mov_b32 s14, -1
.LBB344_1402:
	s_mov_b32 s15, 0
.LBB344_1403:
	s_delay_alu instid0(SALU_CYCLE_1)
	s_and_b32 vcc_lo, exec_lo, s15
	s_cbranch_vccz .LBB344_1436
; %bb.1404:
	v_cmp_lt_i16_e32 vcc_lo, 22, v3
	s_cbranch_vccz .LBB344_1414
; %bb.1405:
	v_cmp_gt_i16_e32 vcc_lo, 24, v3
	s_cbranch_vccnz .LBB344_1417
; %bb.1406:
	v_cmp_lt_i16_e32 vcc_lo, 24, v3
	s_cbranch_vccz .LBB344_1418
; %bb.1407:
	global_load_u8 v7, v[0:1], off
	s_mov_b32 s15, exec_lo
                                        ; implicit-def: $sgpr14
	s_waitcnt vmcnt(0)
	v_cmpx_lt_i16_e32 0x7f, v7
	s_xor_b32 s15, exec_lo, s15
	s_cbranch_execz .LBB344_1430
; %bb.1408:
	s_mov_b32 s12, -1
	s_mov_b32 s16, exec_lo
                                        ; implicit-def: $sgpr14
	v_cmpx_eq_u16_e32 0x80, v7
; %bb.1409:
	s_mov_b32 s14, 0x7f800001
	s_xor_b32 s12, exec_lo, -1
; %bb.1410:
	s_or_b32 exec_lo, exec_lo, s16
	s_delay_alu instid0(SALU_CYCLE_1)
	s_and_b32 s12, s12, exec_lo
	s_or_saveexec_b32 s15, s15
	v_mov_b32_e32 v8, s14
	s_xor_b32 exec_lo, exec_lo, s15
	s_cbranch_execnz .LBB344_1431
.LBB344_1411:
	s_or_b32 exec_lo, exec_lo, s15
	s_and_saveexec_b32 s14, s12
	s_cbranch_execz .LBB344_1413
.LBB344_1412:
	v_and_b32_e32 v8, 0xffff, v7
	v_lshlrev_b32_e32 v7, 24, v7
	s_delay_alu instid0(VALU_DEP_2) | instskip(NEXT) | instid1(VALU_DEP_2)
	v_and_b32_e32 v9, 3, v8
	v_and_b32_e32 v7, 0x80000000, v7
	s_delay_alu instid0(VALU_DEP_2) | instskip(NEXT) | instid1(VALU_DEP_1)
	v_clz_i32_u32_e32 v10, v9
	v_min_u32_e32 v10, 32, v10
	s_delay_alu instid0(VALU_DEP_1) | instskip(SKIP_1) | instid1(VALU_DEP_2)
	v_subrev_nc_u32_e32 v11, 29, v10
	v_sub_nc_u32_e32 v10, 30, v10
	v_lshlrev_b32_e32 v11, v11, v8
	v_bfe_u32 v8, v8, 2, 5
	s_delay_alu instid0(VALU_DEP_2) | instskip(NEXT) | instid1(VALU_DEP_2)
	v_and_b32_e32 v11, 3, v11
	v_cmp_eq_u32_e32 vcc_lo, 0, v8
	s_delay_alu instid0(VALU_DEP_2) | instskip(NEXT) | instid1(VALU_DEP_1)
	v_dual_cndmask_b32 v8, v8, v10 :: v_dual_cndmask_b32 v9, v9, v11
	v_lshl_add_u32 v8, v8, 23, 0x37800000
	s_delay_alu instid0(VALU_DEP_2) | instskip(NEXT) | instid1(VALU_DEP_1)
	v_lshlrev_b32_e32 v9, 21, v9
	v_or3_b32 v8, v7, v8, v9
.LBB344_1413:
	s_or_b32 exec_lo, exec_lo, s14
	s_delay_alu instid0(VALU_DEP_1) | instskip(SKIP_2) | instid1(VALU_DEP_2)
	v_bfe_u32 v7, v8, 16, 1
	v_cmp_o_f32_e32 vcc_lo, v8, v8
	s_mov_b32 s12, 0
	v_add3_u32 v7, v8, v7, 0x7fff
	s_delay_alu instid0(VALU_DEP_1) | instskip(NEXT) | instid1(VALU_DEP_1)
	v_lshrrev_b32_e32 v7, 16, v7
	v_cndmask_b32_e32 v7, 0x7fc0, v7, vcc_lo
	s_branch .LBB344_1419
.LBB344_1414:
	s_mov_b32 s12, -1
                                        ; implicit-def: $vgpr7
	s_branch .LBB344_1425
.LBB344_1415:
	s_or_saveexec_b32 s16, s16
	v_mov_b32_e32 v8, s15
	s_xor_b32 exec_lo, exec_lo, s16
	s_cbranch_execz .LBB344_1398
.LBB344_1416:
	v_cmp_ne_u16_e32 vcc_lo, 0, v7
	v_mov_b32_e32 v8, 0
	s_and_not1_b32 s14, s14, exec_lo
	s_and_b32 s15, vcc_lo, exec_lo
	s_delay_alu instid0(SALU_CYCLE_1)
	s_or_b32 s14, s14, s15
	s_or_b32 exec_lo, exec_lo, s16
	s_and_saveexec_b32 s15, s14
	s_cbranch_execnz .LBB344_1399
	s_branch .LBB344_1400
.LBB344_1417:
	s_mov_b32 s12, -1
                                        ; implicit-def: $vgpr7
	s_branch .LBB344_1422
.LBB344_1418:
	s_mov_b32 s12, -1
                                        ; implicit-def: $vgpr7
.LBB344_1419:
	s_delay_alu instid0(SALU_CYCLE_1)
	s_and_b32 vcc_lo, exec_lo, s12
	s_cbranch_vccz .LBB344_1421
; %bb.1420:
	global_load_u8 v7, v[0:1], off
	s_waitcnt vmcnt(0)
	v_lshlrev_b32_e32 v7, 24, v7
	s_delay_alu instid0(VALU_DEP_1) | instskip(NEXT) | instid1(VALU_DEP_1)
	v_and_b32_e32 v8, 0x7f000000, v7
	v_clz_i32_u32_e32 v9, v8
	v_add_nc_u32_e32 v11, 0x1000000, v8
	v_cmp_ne_u32_e32 vcc_lo, 0, v8
	s_delay_alu instid0(VALU_DEP_3) | instskip(NEXT) | instid1(VALU_DEP_1)
	v_min_u32_e32 v9, 32, v9
	v_sub_nc_u32_e64 v9, v9, 4 clamp
	s_delay_alu instid0(VALU_DEP_1) | instskip(SKIP_1) | instid1(VALU_DEP_2)
	v_lshlrev_b32_e32 v10, v9, v8
	v_lshlrev_b32_e32 v9, 23, v9
	v_lshrrev_b32_e32 v10, 4, v10
	s_delay_alu instid0(VALU_DEP_1) | instskip(SKIP_1) | instid1(VALU_DEP_2)
	v_sub_nc_u32_e32 v9, v10, v9
	v_ashrrev_i32_e32 v10, 8, v11
	v_add_nc_u32_e32 v9, 0x3c000000, v9
	s_delay_alu instid0(VALU_DEP_1) | instskip(NEXT) | instid1(VALU_DEP_1)
	v_and_or_b32 v9, 0x7f800000, v10, v9
	v_cndmask_b32_e32 v8, 0, v9, vcc_lo
	s_delay_alu instid0(VALU_DEP_1) | instskip(SKIP_1) | instid1(VALU_DEP_2)
	v_and_or_b32 v7, 0x80000000, v7, v8
	v_bfe_u32 v8, v8, 16, 1
	v_cmp_o_f32_e32 vcc_lo, v7, v7
	s_delay_alu instid0(VALU_DEP_2) | instskip(NEXT) | instid1(VALU_DEP_1)
	v_add3_u32 v8, v7, v8, 0x7fff
	v_lshrrev_b32_e32 v8, 16, v8
	s_delay_alu instid0(VALU_DEP_1)
	v_cndmask_b32_e32 v7, 0x7fc0, v8, vcc_lo
.LBB344_1421:
	s_mov_b32 s12, 0
.LBB344_1422:
	s_delay_alu instid0(SALU_CYCLE_1)
	s_and_not1_b32 vcc_lo, exec_lo, s12
	s_cbranch_vccnz .LBB344_1424
; %bb.1423:
	global_load_u8 v7, v[0:1], off
	s_waitcnt vmcnt(0)
	v_lshlrev_b32_e32 v8, 25, v7
	v_lshlrev_b16 v7, 8, v7
	s_delay_alu instid0(VALU_DEP_2) | instskip(NEXT) | instid1(VALU_DEP_2)
	v_lshrrev_b32_e32 v9, 4, v8
	v_and_or_b32 v10, 0x7f00, v7, 0.5
	v_bfe_i32 v7, v7, 0, 16
	s_delay_alu instid0(VALU_DEP_3) | instskip(NEXT) | instid1(VALU_DEP_1)
	v_or_b32_e32 v9, 0x70000000, v9
	v_dual_add_f32 v10, -0.5, v10 :: v_dual_mul_f32 v9, 0x7800000, v9
	v_cmp_gt_u32_e32 vcc_lo, 0x8000000, v8
	s_delay_alu instid0(VALU_DEP_2) | instskip(NEXT) | instid1(VALU_DEP_1)
	v_cndmask_b32_e32 v8, v9, v10, vcc_lo
	v_and_or_b32 v7, 0x80000000, v7, v8
	v_bfe_u32 v8, v8, 16, 1
	s_delay_alu instid0(VALU_DEP_2) | instskip(NEXT) | instid1(VALU_DEP_2)
	v_cmp_o_f32_e32 vcc_lo, v7, v7
	v_add3_u32 v8, v7, v8, 0x7fff
	s_delay_alu instid0(VALU_DEP_1) | instskip(NEXT) | instid1(VALU_DEP_1)
	v_lshrrev_b32_e32 v8, 16, v8
	v_cndmask_b32_e32 v7, 0x7fc0, v8, vcc_lo
.LBB344_1424:
	s_mov_b32 s12, 0
	s_mov_b32 s14, -1
.LBB344_1425:
	s_and_not1_b32 vcc_lo, exec_lo, s12
	s_mov_b32 s12, 0
	s_cbranch_vccnz .LBB344_1436
; %bb.1426:
	v_cmp_lt_i16_e32 vcc_lo, 14, v3
	s_cbranch_vccz .LBB344_1429
; %bb.1427:
	v_cmp_eq_u16_e32 vcc_lo, 15, v3
	s_cbranch_vccz .LBB344_1432
; %bb.1428:
	global_load_u16 v7, v[0:1], off
	s_mov_b32 s0, 0
	s_mov_b32 s14, -1
	s_branch .LBB344_1434
.LBB344_1429:
	s_mov_b32 s12, -1
	s_branch .LBB344_1433
.LBB344_1430:
	s_or_saveexec_b32 s15, s15
	v_mov_b32_e32 v8, s14
	s_xor_b32 exec_lo, exec_lo, s15
	s_cbranch_execz .LBB344_1411
.LBB344_1431:
	v_cmp_ne_u16_e32 vcc_lo, 0, v7
	v_mov_b32_e32 v8, 0
	s_and_not1_b32 s12, s12, exec_lo
	s_and_b32 s14, vcc_lo, exec_lo
	s_delay_alu instid0(SALU_CYCLE_1)
	s_or_b32 s12, s12, s14
	s_or_b32 exec_lo, exec_lo, s15
	s_and_saveexec_b32 s14, s12
	s_cbranch_execnz .LBB344_1412
	s_branch .LBB344_1413
.LBB344_1432:
	s_mov_b32 s0, -1
.LBB344_1433:
                                        ; implicit-def: $vgpr7
.LBB344_1434:
	s_and_b32 vcc_lo, exec_lo, s12
	s_mov_b32 s12, 0
	s_cbranch_vccz .LBB344_1436
; %bb.1435:
	v_cmp_ne_u16_e64 s0, 11, v3
	s_mov_b32 s12, -1
                                        ; implicit-def: $vgpr7
.LBB344_1436:
	s_delay_alu instid0(VALU_DEP_1)
	s_and_b32 vcc_lo, exec_lo, s0
	s_cbranch_vccnz .LBB344_1454
; %bb.1437:
	s_and_not1_b32 vcc_lo, exec_lo, s12
	s_cbranch_vccnz .LBB344_1439
.LBB344_1438:
	global_load_u8 v7, v[0:1], off
	s_mov_b32 s14, -1
	s_waitcnt vmcnt(0)
	v_cmp_ne_u16_e32 vcc_lo, 0, v7
	v_cndmask_b32_e64 v7, 0, 1.0, vcc_lo
	s_delay_alu instid0(VALU_DEP_1)
	v_lshrrev_b32_e32 v7, 16, v7
.LBB344_1439:
.LBB344_1440:
	s_and_not1_b32 vcc_lo, exec_lo, s14
	s_cbranch_vccnz .LBB344_1657
.LBB344_1441:
	s_waitcnt vmcnt(0)
	s_delay_alu instid0(VALU_DEP_1) | instskip(SKIP_2) | instid1(VALU_DEP_1)
	v_lshlrev_b32_e32 v0, 16, v7
	s_and_b32 s12, 0xffff, s2
	s_mov_b32 s0, exec_lo
	v_cmpx_o_f32_e32 v0, v0
; %bb.1442:
	s_lshl_b32 s14, s1, 16
	s_lshl_b32 s2, s2, 16
	v_cmp_lt_f32_e32 vcc_lo, s14, v0
	v_cndmask_b32_e32 v0, s1, v7, vcc_lo
	s_delay_alu instid0(VALU_DEP_1) | instskip(NEXT) | instid1(VALU_DEP_1)
	v_lshlrev_b32_e32 v1, 16, v0
	v_cmp_gt_f32_e32 vcc_lo, s2, v1
	v_cndmask_b32_e32 v7, s12, v0, vcc_lo
; %bb.1443:
	s_or_b32 exec_lo, exec_lo, s0
	v_add_nc_u32_e32 v0, s9, v6
	v_cmp_gt_i16_e32 vcc_lo, 11, v3
	s_delay_alu instid0(VALU_DEP_2) | instskip(SKIP_1) | instid1(VALU_DEP_1)
	v_ashrrev_i32_e32 v1, 31, v0
	v_add_co_u32 v0, s0, s6, v0
	v_add_co_ci_u32_e64 v1, s0, s7, v1, s0
	s_cbranch_vccnz .LBB344_1450
; %bb.1444:
	v_cmp_lt_i16_e32 vcc_lo, 25, v3
	s_mov_b32 s2, 0
	s_cbranch_vccz .LBB344_1451
; %bb.1445:
	v_cmp_lt_i16_e32 vcc_lo, 28, v3
	s_cbranch_vccz .LBB344_1452
; %bb.1446:
	v_cmp_lt_i16_e32 vcc_lo, 43, v3
	;; [unrolled: 3-line block ×3, first 2 shown]
	s_cbranch_vccz .LBB344_1456
; %bb.1448:
	v_cmp_eq_u16_e32 vcc_lo, 46, v3
	s_mov_b32 s7, 0
	s_cbranch_vccz .LBB344_1459
; %bb.1449:
	global_load_b32 v6, v[0:1], off
	s_mov_b32 s0, 0
	s_mov_b32 s6, -1
	s_branch .LBB344_1461
.LBB344_1450:
	s_mov_b32 s0, -1
	s_mov_b32 s6, 0
                                        ; implicit-def: $vgpr6
	s_branch .LBB344_1527
.LBB344_1451:
	s_mov_b32 s7, -1
	s_mov_b32 s6, 0
	s_mov_b32 s0, 0
                                        ; implicit-def: $vgpr6
	s_branch .LBB344_1490
.LBB344_1452:
	s_mov_b32 s7, -1
	s_mov_b32 s6, 0
	s_mov_b32 s0, 0
                                        ; implicit-def: $vgpr6
	s_branch .LBB344_1471
.LBB344_1453:
	s_mov_b32 s7, -1
	s_mov_b32 s6, 0
	s_mov_b32 s0, 0
                                        ; implicit-def: $vgpr6
	s_branch .LBB344_1466
.LBB344_1454:
	s_cbranch_execnz .LBB344_1457
; %bb.1455:
	s_or_b32 s3, s3, exec_lo
                                        ; implicit-def: $vgpr7
	s_cbranch_execz .LBB344_1438
	s_branch .LBB344_1439
.LBB344_1456:
	s_mov_b32 s7, -1
	s_mov_b32 s6, 0
	s_mov_b32 s0, 0
	s_branch .LBB344_1460
.LBB344_1457:
	s_trap 2
	s_sendmsg_rtn_b32 s0, sendmsg(MSG_RTN_GET_DOORBELL)
	s_mov_b32 ttmp2, m0
	s_waitcnt lgkmcnt(0)
	s_and_b32 s0, s0, 0x3ff
	s_delay_alu instid0(SALU_CYCLE_1) | instskip(NEXT) | instid1(SALU_CYCLE_1)
	s_bitset1_b32 s0, 10
	s_mov_b32 m0, s0
	s_sendmsg sendmsg(MSG_INTERRUPT)
	s_mov_b32 m0, ttmp2
.LBB344_1458:                           ; =>This Inner Loop Header: Depth=1
	s_sethalt 5
	s_branch .LBB344_1458
.LBB344_1459:
	s_mov_b32 s0, -1
	s_mov_b32 s6, 0
.LBB344_1460:
                                        ; implicit-def: $vgpr6
.LBB344_1461:
	s_and_b32 vcc_lo, exec_lo, s7
	s_cbranch_vccz .LBB344_1465
; %bb.1462:
	v_cmp_eq_u16_e32 vcc_lo, 44, v3
	s_cbranch_vccz .LBB344_1464
; %bb.1463:
	global_load_u8 v6, v[0:1], off
	s_mov_b32 s0, 0
	s_mov_b32 s6, -1
	s_waitcnt vmcnt(0)
	v_lshlrev_b32_e32 v8, 23, v6
	v_cmp_ne_u32_e32 vcc_lo, 0xff, v6
	s_delay_alu instid0(VALU_DEP_2) | instskip(SKIP_1) | instid1(VALU_DEP_2)
	v_cndmask_b32_e32 v8, 0x7f800001, v8, vcc_lo
	v_cmp_ne_u32_e32 vcc_lo, 0, v6
	v_cndmask_b32_e32 v6, 0x400000, v8, vcc_lo
	s_delay_alu instid0(VALU_DEP_1) | instskip(SKIP_1) | instid1(VALU_DEP_2)
	v_add_nc_u32_e32 v8, 0x7fff, v6
	v_cmp_o_f32_e32 vcc_lo, v6, v6
	v_lshrrev_b32_e32 v8, 16, v8
	s_delay_alu instid0(VALU_DEP_1)
	v_cndmask_b32_e32 v6, 0x7fc0, v8, vcc_lo
	s_branch .LBB344_1465
.LBB344_1464:
	s_mov_b32 s0, -1
                                        ; implicit-def: $vgpr6
.LBB344_1465:
	s_mov_b32 s7, 0
.LBB344_1466:
	s_delay_alu instid0(SALU_CYCLE_1)
	s_and_b32 vcc_lo, exec_lo, s7
	s_cbranch_vccz .LBB344_1470
; %bb.1467:
	v_cmp_eq_u16_e32 vcc_lo, 29, v3
	s_cbranch_vccz .LBB344_1469
; %bb.1468:
	global_load_b64 v[8:9], v[0:1], off
	s_mov_b32 s0, 0
	s_mov_b32 s6, -1
	s_mov_b32 s7, 0
	s_waitcnt vmcnt(0)
	v_clz_i32_u32_e32 v6, v9
	s_delay_alu instid0(VALU_DEP_1) | instskip(NEXT) | instid1(VALU_DEP_1)
	v_min_u32_e32 v6, 32, v6
	v_lshlrev_b64 v[8:9], v6, v[8:9]
	v_sub_nc_u32_e32 v6, 32, v6
	s_delay_alu instid0(VALU_DEP_2) | instskip(NEXT) | instid1(VALU_DEP_1)
	v_min_u32_e32 v8, 1, v8
	v_or_b32_e32 v8, v9, v8
	s_delay_alu instid0(VALU_DEP_1) | instskip(NEXT) | instid1(VALU_DEP_1)
	v_cvt_f32_u32_e32 v8, v8
	v_ldexp_f32 v6, v8, v6
	s_delay_alu instid0(VALU_DEP_1) | instskip(NEXT) | instid1(VALU_DEP_1)
	v_bfe_u32 v8, v6, 16, 1
	v_add3_u32 v6, v6, v8, 0x7fff
	s_delay_alu instid0(VALU_DEP_1)
	v_lshrrev_b32_e32 v6, 16, v6
	s_branch .LBB344_1471
.LBB344_1469:
	s_mov_b32 s0, -1
                                        ; implicit-def: $vgpr6
.LBB344_1470:
	s_mov_b32 s7, 0
.LBB344_1471:
	s_delay_alu instid0(SALU_CYCLE_1)
	s_and_b32 vcc_lo, exec_lo, s7
	s_cbranch_vccz .LBB344_1489
; %bb.1472:
	v_cmp_gt_i16_e32 vcc_lo, 27, v3
	s_cbranch_vccnz .LBB344_1475
; %bb.1473:
	v_cmp_lt_i16_e32 vcc_lo, 27, v3
	s_cbranch_vccz .LBB344_1476
; %bb.1474:
	global_load_b32 v6, v[0:1], off
	s_mov_b32 s6, 0
	s_waitcnt vmcnt(0)
	v_cvt_f32_u32_e32 v6, v6
	s_delay_alu instid0(VALU_DEP_1) | instskip(NEXT) | instid1(VALU_DEP_1)
	v_bfe_u32 v8, v6, 16, 1
	v_add3_u32 v6, v6, v8, 0x7fff
	s_delay_alu instid0(VALU_DEP_1)
	v_lshrrev_b32_e32 v6, 16, v6
	s_branch .LBB344_1477
.LBB344_1475:
	s_mov_b32 s6, -1
                                        ; implicit-def: $vgpr6
	s_branch .LBB344_1480
.LBB344_1476:
	s_mov_b32 s6, -1
                                        ; implicit-def: $vgpr6
.LBB344_1477:
	s_delay_alu instid0(SALU_CYCLE_1)
	s_and_not1_b32 vcc_lo, exec_lo, s6
	s_cbranch_vccnz .LBB344_1479
; %bb.1478:
	global_load_u16 v6, v[0:1], off
	s_waitcnt vmcnt(0)
	v_cvt_f32_u32_e32 v6, v6
	s_delay_alu instid0(VALU_DEP_1) | instskip(NEXT) | instid1(VALU_DEP_1)
	v_bfe_u32 v8, v6, 16, 1
	v_add3_u32 v6, v6, v8, 0x7fff
	s_delay_alu instid0(VALU_DEP_1)
	v_lshrrev_b32_e32 v6, 16, v6
.LBB344_1479:
	s_mov_b32 s6, 0
.LBB344_1480:
	s_delay_alu instid0(SALU_CYCLE_1)
	s_and_not1_b32 vcc_lo, exec_lo, s6
	s_cbranch_vccnz .LBB344_1488
; %bb.1481:
	global_load_u8 v6, v[0:1], off
	s_mov_b32 s6, 0
	s_mov_b32 s9, exec_lo
                                        ; implicit-def: $sgpr7
	s_waitcnt vmcnt(0)
	v_cmpx_lt_i16_e32 0x7f, v6
	s_xor_b32 s9, exec_lo, s9
	s_cbranch_execz .LBB344_1502
; %bb.1482:
	s_mov_b32 s6, -1
	s_mov_b32 s14, exec_lo
                                        ; implicit-def: $sgpr7
	v_cmpx_eq_u16_e32 0x80, v6
; %bb.1483:
	s_mov_b32 s7, 0x7f800001
	s_xor_b32 s6, exec_lo, -1
; %bb.1484:
	s_or_b32 exec_lo, exec_lo, s14
	s_delay_alu instid0(SALU_CYCLE_1)
	s_and_b32 s6, s6, exec_lo
	s_or_saveexec_b32 s9, s9
	v_mov_b32_e32 v8, s7
	s_xor_b32 exec_lo, exec_lo, s9
	s_cbranch_execnz .LBB344_1503
.LBB344_1485:
	s_or_b32 exec_lo, exec_lo, s9
	s_and_saveexec_b32 s7, s6
	s_cbranch_execz .LBB344_1487
.LBB344_1486:
	v_and_b32_e32 v8, 0xffff, v6
	v_lshlrev_b32_e32 v6, 24, v6
	s_delay_alu instid0(VALU_DEP_2) | instskip(NEXT) | instid1(VALU_DEP_2)
	v_and_b32_e32 v9, 7, v8
	v_and_b32_e32 v6, 0x80000000, v6
	s_delay_alu instid0(VALU_DEP_2) | instskip(NEXT) | instid1(VALU_DEP_1)
	v_clz_i32_u32_e32 v10, v9
	v_min_u32_e32 v10, 32, v10
	s_delay_alu instid0(VALU_DEP_1) | instskip(SKIP_1) | instid1(VALU_DEP_2)
	v_subrev_nc_u32_e32 v11, 28, v10
	v_sub_nc_u32_e32 v10, 29, v10
	v_lshlrev_b32_e32 v11, v11, v8
	v_bfe_u32 v8, v8, 3, 4
	s_delay_alu instid0(VALU_DEP_2) | instskip(NEXT) | instid1(VALU_DEP_2)
	v_and_b32_e32 v11, 7, v11
	v_cmp_eq_u32_e32 vcc_lo, 0, v8
	s_delay_alu instid0(VALU_DEP_2) | instskip(NEXT) | instid1(VALU_DEP_1)
	v_dual_cndmask_b32 v8, v8, v10 :: v_dual_cndmask_b32 v9, v9, v11
	v_lshl_add_u32 v8, v8, 23, 0x3b800000
	s_delay_alu instid0(VALU_DEP_2) | instskip(NEXT) | instid1(VALU_DEP_1)
	v_lshlrev_b32_e32 v9, 20, v9
	v_or3_b32 v8, v6, v8, v9
.LBB344_1487:
	s_or_b32 exec_lo, exec_lo, s7
	s_delay_alu instid0(VALU_DEP_1) | instskip(SKIP_1) | instid1(VALU_DEP_2)
	v_bfe_u32 v6, v8, 16, 1
	v_cmp_o_f32_e32 vcc_lo, v8, v8
	v_add3_u32 v6, v8, v6, 0x7fff
	s_delay_alu instid0(VALU_DEP_1) | instskip(NEXT) | instid1(VALU_DEP_1)
	v_lshrrev_b32_e32 v6, 16, v6
	v_cndmask_b32_e32 v6, 0x7fc0, v6, vcc_lo
.LBB344_1488:
	s_mov_b32 s6, -1
.LBB344_1489:
	s_mov_b32 s7, 0
.LBB344_1490:
	s_delay_alu instid0(SALU_CYCLE_1)
	s_and_b32 vcc_lo, exec_lo, s7
	s_cbranch_vccz .LBB344_1523
; %bb.1491:
	v_cmp_lt_i16_e32 vcc_lo, 22, v3
	s_cbranch_vccz .LBB344_1501
; %bb.1492:
	v_cmp_gt_i16_e32 vcc_lo, 24, v3
	s_cbranch_vccnz .LBB344_1504
; %bb.1493:
	v_cmp_lt_i16_e32 vcc_lo, 24, v3
	s_cbranch_vccz .LBB344_1505
; %bb.1494:
	global_load_u8 v6, v[0:1], off
	s_mov_b32 s7, exec_lo
                                        ; implicit-def: $sgpr6
	s_waitcnt vmcnt(0)
	v_cmpx_lt_i16_e32 0x7f, v6
	s_xor_b32 s7, exec_lo, s7
	s_cbranch_execz .LBB344_1517
; %bb.1495:
	s_mov_b32 s2, -1
	s_mov_b32 s9, exec_lo
                                        ; implicit-def: $sgpr6
	v_cmpx_eq_u16_e32 0x80, v6
; %bb.1496:
	s_mov_b32 s6, 0x7f800001
	s_xor_b32 s2, exec_lo, -1
; %bb.1497:
	s_or_b32 exec_lo, exec_lo, s9
	s_delay_alu instid0(SALU_CYCLE_1)
	s_and_b32 s2, s2, exec_lo
	s_or_saveexec_b32 s7, s7
	v_mov_b32_e32 v8, s6
	s_xor_b32 exec_lo, exec_lo, s7
	s_cbranch_execnz .LBB344_1518
.LBB344_1498:
	s_or_b32 exec_lo, exec_lo, s7
	s_and_saveexec_b32 s6, s2
	s_cbranch_execz .LBB344_1500
.LBB344_1499:
	v_and_b32_e32 v8, 0xffff, v6
	v_lshlrev_b32_e32 v6, 24, v6
	s_delay_alu instid0(VALU_DEP_2) | instskip(NEXT) | instid1(VALU_DEP_2)
	v_and_b32_e32 v9, 3, v8
	v_and_b32_e32 v6, 0x80000000, v6
	s_delay_alu instid0(VALU_DEP_2) | instskip(NEXT) | instid1(VALU_DEP_1)
	v_clz_i32_u32_e32 v10, v9
	v_min_u32_e32 v10, 32, v10
	s_delay_alu instid0(VALU_DEP_1) | instskip(SKIP_1) | instid1(VALU_DEP_2)
	v_subrev_nc_u32_e32 v11, 29, v10
	v_sub_nc_u32_e32 v10, 30, v10
	v_lshlrev_b32_e32 v11, v11, v8
	v_bfe_u32 v8, v8, 2, 5
	s_delay_alu instid0(VALU_DEP_2) | instskip(NEXT) | instid1(VALU_DEP_2)
	v_and_b32_e32 v11, 3, v11
	v_cmp_eq_u32_e32 vcc_lo, 0, v8
	s_delay_alu instid0(VALU_DEP_2) | instskip(NEXT) | instid1(VALU_DEP_1)
	v_dual_cndmask_b32 v8, v8, v10 :: v_dual_cndmask_b32 v9, v9, v11
	v_lshl_add_u32 v8, v8, 23, 0x37800000
	s_delay_alu instid0(VALU_DEP_2) | instskip(NEXT) | instid1(VALU_DEP_1)
	v_lshlrev_b32_e32 v9, 21, v9
	v_or3_b32 v8, v6, v8, v9
.LBB344_1500:
	s_or_b32 exec_lo, exec_lo, s6
	s_delay_alu instid0(VALU_DEP_1) | instskip(SKIP_2) | instid1(VALU_DEP_2)
	v_bfe_u32 v6, v8, 16, 1
	v_cmp_o_f32_e32 vcc_lo, v8, v8
	s_mov_b32 s2, 0
	v_add3_u32 v6, v8, v6, 0x7fff
	s_delay_alu instid0(VALU_DEP_1) | instskip(NEXT) | instid1(VALU_DEP_1)
	v_lshrrev_b32_e32 v6, 16, v6
	v_cndmask_b32_e32 v6, 0x7fc0, v6, vcc_lo
	s_branch .LBB344_1506
.LBB344_1501:
	s_mov_b32 s2, -1
                                        ; implicit-def: $vgpr6
	s_branch .LBB344_1512
.LBB344_1502:
	s_or_saveexec_b32 s9, s9
	v_mov_b32_e32 v8, s7
	s_xor_b32 exec_lo, exec_lo, s9
	s_cbranch_execz .LBB344_1485
.LBB344_1503:
	v_cmp_ne_u16_e32 vcc_lo, 0, v6
	v_mov_b32_e32 v8, 0
	s_and_not1_b32 s6, s6, exec_lo
	s_and_b32 s7, vcc_lo, exec_lo
	s_delay_alu instid0(SALU_CYCLE_1)
	s_or_b32 s6, s6, s7
	s_or_b32 exec_lo, exec_lo, s9
	s_and_saveexec_b32 s7, s6
	s_cbranch_execnz .LBB344_1486
	s_branch .LBB344_1487
.LBB344_1504:
	s_mov_b32 s2, -1
                                        ; implicit-def: $vgpr6
	s_branch .LBB344_1509
.LBB344_1505:
	s_mov_b32 s2, -1
                                        ; implicit-def: $vgpr6
.LBB344_1506:
	s_delay_alu instid0(SALU_CYCLE_1)
	s_and_b32 vcc_lo, exec_lo, s2
	s_cbranch_vccz .LBB344_1508
; %bb.1507:
	global_load_u8 v6, v[0:1], off
	s_waitcnt vmcnt(0)
	v_lshlrev_b32_e32 v6, 24, v6
	s_delay_alu instid0(VALU_DEP_1) | instskip(NEXT) | instid1(VALU_DEP_1)
	v_and_b32_e32 v8, 0x7f000000, v6
	v_clz_i32_u32_e32 v9, v8
	v_cmp_ne_u32_e32 vcc_lo, 0, v8
	v_add_nc_u32_e32 v11, 0x1000000, v8
	s_delay_alu instid0(VALU_DEP_3) | instskip(NEXT) | instid1(VALU_DEP_1)
	v_min_u32_e32 v9, 32, v9
	v_sub_nc_u32_e64 v9, v9, 4 clamp
	s_delay_alu instid0(VALU_DEP_1) | instskip(SKIP_1) | instid1(VALU_DEP_2)
	v_lshlrev_b32_e32 v10, v9, v8
	v_lshlrev_b32_e32 v9, 23, v9
	v_lshrrev_b32_e32 v10, 4, v10
	s_delay_alu instid0(VALU_DEP_1) | instskip(SKIP_1) | instid1(VALU_DEP_2)
	v_sub_nc_u32_e32 v9, v10, v9
	v_ashrrev_i32_e32 v10, 8, v11
	v_add_nc_u32_e32 v9, 0x3c000000, v9
	s_delay_alu instid0(VALU_DEP_1) | instskip(NEXT) | instid1(VALU_DEP_1)
	v_and_or_b32 v9, 0x7f800000, v10, v9
	v_cndmask_b32_e32 v8, 0, v9, vcc_lo
	s_delay_alu instid0(VALU_DEP_1) | instskip(SKIP_1) | instid1(VALU_DEP_2)
	v_and_or_b32 v6, 0x80000000, v6, v8
	v_bfe_u32 v8, v8, 16, 1
	v_cmp_o_f32_e32 vcc_lo, v6, v6
	s_delay_alu instid0(VALU_DEP_2) | instskip(NEXT) | instid1(VALU_DEP_1)
	v_add3_u32 v8, v6, v8, 0x7fff
	v_lshrrev_b32_e32 v8, 16, v8
	s_delay_alu instid0(VALU_DEP_1)
	v_cndmask_b32_e32 v6, 0x7fc0, v8, vcc_lo
.LBB344_1508:
	s_mov_b32 s2, 0
.LBB344_1509:
	s_delay_alu instid0(SALU_CYCLE_1)
	s_and_not1_b32 vcc_lo, exec_lo, s2
	s_cbranch_vccnz .LBB344_1511
; %bb.1510:
	global_load_u8 v6, v[0:1], off
	s_waitcnt vmcnt(0)
	v_lshlrev_b32_e32 v8, 25, v6
	v_lshlrev_b16 v6, 8, v6
	s_delay_alu instid0(VALU_DEP_2) | instskip(NEXT) | instid1(VALU_DEP_2)
	v_lshrrev_b32_e32 v9, 4, v8
	v_and_or_b32 v10, 0x7f00, v6, 0.5
	v_bfe_i32 v6, v6, 0, 16
	s_delay_alu instid0(VALU_DEP_3) | instskip(NEXT) | instid1(VALU_DEP_1)
	v_or_b32_e32 v9, 0x70000000, v9
	v_dual_add_f32 v10, -0.5, v10 :: v_dual_mul_f32 v9, 0x7800000, v9
	v_cmp_gt_u32_e32 vcc_lo, 0x8000000, v8
	s_delay_alu instid0(VALU_DEP_2) | instskip(NEXT) | instid1(VALU_DEP_1)
	v_cndmask_b32_e32 v8, v9, v10, vcc_lo
	v_and_or_b32 v6, 0x80000000, v6, v8
	v_bfe_u32 v8, v8, 16, 1
	s_delay_alu instid0(VALU_DEP_2) | instskip(NEXT) | instid1(VALU_DEP_2)
	v_cmp_o_f32_e32 vcc_lo, v6, v6
	v_add3_u32 v8, v6, v8, 0x7fff
	s_delay_alu instid0(VALU_DEP_1) | instskip(NEXT) | instid1(VALU_DEP_1)
	v_lshrrev_b32_e32 v8, 16, v8
	v_cndmask_b32_e32 v6, 0x7fc0, v8, vcc_lo
.LBB344_1511:
	s_mov_b32 s2, 0
	s_mov_b32 s6, -1
.LBB344_1512:
	s_and_not1_b32 vcc_lo, exec_lo, s2
	s_mov_b32 s2, 0
	s_cbranch_vccnz .LBB344_1523
; %bb.1513:
	v_cmp_lt_i16_e32 vcc_lo, 14, v3
	s_cbranch_vccz .LBB344_1516
; %bb.1514:
	v_cmp_eq_u16_e32 vcc_lo, 15, v3
	s_cbranch_vccz .LBB344_1519
; %bb.1515:
	global_load_u16 v6, v[0:1], off
	s_mov_b32 s0, 0
	s_mov_b32 s6, -1
	s_branch .LBB344_1521
.LBB344_1516:
	s_mov_b32 s2, -1
	s_branch .LBB344_1520
.LBB344_1517:
	s_or_saveexec_b32 s7, s7
	v_mov_b32_e32 v8, s6
	s_xor_b32 exec_lo, exec_lo, s7
	s_cbranch_execz .LBB344_1498
.LBB344_1518:
	v_cmp_ne_u16_e32 vcc_lo, 0, v6
	v_mov_b32_e32 v8, 0
	s_and_not1_b32 s2, s2, exec_lo
	s_and_b32 s6, vcc_lo, exec_lo
	s_delay_alu instid0(SALU_CYCLE_1)
	s_or_b32 s2, s2, s6
	s_or_b32 exec_lo, exec_lo, s7
	s_and_saveexec_b32 s6, s2
	s_cbranch_execnz .LBB344_1499
	s_branch .LBB344_1500
.LBB344_1519:
	s_mov_b32 s0, -1
.LBB344_1520:
                                        ; implicit-def: $vgpr6
.LBB344_1521:
	s_and_b32 vcc_lo, exec_lo, s2
	s_mov_b32 s2, 0
	s_cbranch_vccz .LBB344_1523
; %bb.1522:
	v_cmp_ne_u16_e64 s0, 11, v3
	s_mov_b32 s2, -1
                                        ; implicit-def: $vgpr6
.LBB344_1523:
	s_delay_alu instid0(VALU_DEP_1)
	s_and_b32 vcc_lo, exec_lo, s0
	s_cbranch_vccnz .LBB344_2059
; %bb.1524:
	s_and_not1_b32 vcc_lo, exec_lo, s2
	s_cbranch_vccnz .LBB344_1526
.LBB344_1525:
	global_load_u8 v6, v[0:1], off
	s_mov_b32 s6, -1
	s_waitcnt vmcnt(0)
	v_cmp_ne_u16_e32 vcc_lo, 0, v6
	v_cndmask_b32_e64 v6, 0, 1.0, vcc_lo
	s_delay_alu instid0(VALU_DEP_1)
	v_lshrrev_b32_e32 v6, 16, v6
.LBB344_1526:
	s_mov_b32 s0, 0
.LBB344_1527:
	s_delay_alu instid0(SALU_CYCLE_1)
	s_and_b32 vcc_lo, exec_lo, s0
	s_cbranch_vccz .LBB344_1576
; %bb.1528:
	v_cmp_gt_i16_e32 vcc_lo, 5, v3
	s_cbranch_vccnz .LBB344_1533
; %bb.1529:
	v_cmp_gt_i16_e32 vcc_lo, 8, v3
	s_cbranch_vccnz .LBB344_1534
	;; [unrolled: 3-line block ×3, first 2 shown]
; %bb.1531:
	v_cmp_lt_i16_e32 vcc_lo, 9, v3
	s_cbranch_vccz .LBB344_1536
; %bb.1532:
	global_load_b64 v[8:9], v[0:1], off
	s_mov_b32 s0, 0
	s_waitcnt vmcnt(0)
	v_cvt_f32_f64_e32 v6, v[8:9]
	s_delay_alu instid0(VALU_DEP_1) | instskip(SKIP_1) | instid1(VALU_DEP_2)
	v_bfe_u32 v8, v6, 16, 1
	v_cmp_o_f32_e32 vcc_lo, v6, v6
	v_add3_u32 v8, v6, v8, 0x7fff
	s_delay_alu instid0(VALU_DEP_1) | instskip(NEXT) | instid1(VALU_DEP_1)
	v_lshrrev_b32_e32 v8, 16, v8
	v_cndmask_b32_e32 v6, 0x7fc0, v8, vcc_lo
	s_branch .LBB344_1537
.LBB344_1533:
	s_mov_b32 s0, -1
                                        ; implicit-def: $vgpr6
	s_branch .LBB344_1555
.LBB344_1534:
	s_mov_b32 s0, -1
                                        ; implicit-def: $vgpr6
	s_branch .LBB344_1543
.LBB344_1535:
	s_mov_b32 s0, -1
                                        ; implicit-def: $vgpr6
	s_branch .LBB344_1540
.LBB344_1536:
	s_mov_b32 s0, -1
                                        ; implicit-def: $vgpr6
.LBB344_1537:
	s_delay_alu instid0(SALU_CYCLE_1)
	s_and_not1_b32 vcc_lo, exec_lo, s0
	s_cbranch_vccnz .LBB344_1539
; %bb.1538:
	global_load_b32 v6, v[0:1], off
	s_waitcnt vmcnt(0)
	v_bfe_u32 v8, v6, 16, 1
	v_cmp_o_f32_e32 vcc_lo, v6, v6
	s_delay_alu instid0(VALU_DEP_2) | instskip(NEXT) | instid1(VALU_DEP_1)
	v_add3_u32 v8, v6, v8, 0x7fff
	v_lshrrev_b32_e32 v8, 16, v8
	s_delay_alu instid0(VALU_DEP_1)
	v_cndmask_b32_e32 v6, 0x7fc0, v8, vcc_lo
.LBB344_1539:
	s_mov_b32 s0, 0
.LBB344_1540:
	s_delay_alu instid0(SALU_CYCLE_1)
	s_and_not1_b32 vcc_lo, exec_lo, s0
	s_cbranch_vccnz .LBB344_1542
; %bb.1541:
	global_load_b32 v6, v[0:1], off
	s_waitcnt vmcnt(0)
	v_cvt_f32_f16_e32 v8, v6
	v_cmp_o_f16_e32 vcc_lo, v6, v6
	s_delay_alu instid0(VALU_DEP_2) | instskip(NEXT) | instid1(VALU_DEP_1)
	v_bfe_u32 v9, v8, 16, 1
	v_add3_u32 v8, v8, v9, 0x7fff
	s_delay_alu instid0(VALU_DEP_1) | instskip(NEXT) | instid1(VALU_DEP_1)
	v_lshrrev_b32_e32 v8, 16, v8
	v_cndmask_b32_e32 v6, 0x7fc0, v8, vcc_lo
.LBB344_1542:
	s_mov_b32 s0, 0
.LBB344_1543:
	s_delay_alu instid0(SALU_CYCLE_1)
	s_and_not1_b32 vcc_lo, exec_lo, s0
	s_cbranch_vccnz .LBB344_1554
; %bb.1544:
	v_cmp_gt_i16_e32 vcc_lo, 6, v3
	s_cbranch_vccnz .LBB344_1547
; %bb.1545:
	v_cmp_lt_i16_e32 vcc_lo, 6, v3
	s_cbranch_vccz .LBB344_1548
; %bb.1546:
	global_load_b64 v[8:9], v[0:1], off
	s_mov_b32 s0, 0
	s_waitcnt vmcnt(0)
	v_cvt_f32_f64_e32 v6, v[8:9]
	s_delay_alu instid0(VALU_DEP_1) | instskip(SKIP_1) | instid1(VALU_DEP_2)
	v_bfe_u32 v8, v6, 16, 1
	v_cmp_o_f32_e32 vcc_lo, v6, v6
	v_add3_u32 v8, v6, v8, 0x7fff
	s_delay_alu instid0(VALU_DEP_1) | instskip(NEXT) | instid1(VALU_DEP_1)
	v_lshrrev_b32_e32 v8, 16, v8
	v_cndmask_b32_e32 v6, 0x7fc0, v8, vcc_lo
	s_branch .LBB344_1549
.LBB344_1547:
	s_mov_b32 s0, -1
                                        ; implicit-def: $vgpr6
	s_branch .LBB344_1552
.LBB344_1548:
	s_mov_b32 s0, -1
                                        ; implicit-def: $vgpr6
.LBB344_1549:
	s_delay_alu instid0(SALU_CYCLE_1)
	s_and_not1_b32 vcc_lo, exec_lo, s0
	s_cbranch_vccnz .LBB344_1551
; %bb.1550:
	global_load_b32 v6, v[0:1], off
	s_waitcnt vmcnt(0)
	v_bfe_u32 v8, v6, 16, 1
	v_cmp_o_f32_e32 vcc_lo, v6, v6
	s_delay_alu instid0(VALU_DEP_2) | instskip(NEXT) | instid1(VALU_DEP_1)
	v_add3_u32 v8, v6, v8, 0x7fff
	v_lshrrev_b32_e32 v8, 16, v8
	s_delay_alu instid0(VALU_DEP_1)
	v_cndmask_b32_e32 v6, 0x7fc0, v8, vcc_lo
.LBB344_1551:
	s_mov_b32 s0, 0
.LBB344_1552:
	s_delay_alu instid0(SALU_CYCLE_1)
	s_and_not1_b32 vcc_lo, exec_lo, s0
	s_cbranch_vccnz .LBB344_1554
; %bb.1553:
	global_load_u16 v6, v[0:1], off
	s_waitcnt vmcnt(0)
	v_cvt_f32_f16_e32 v8, v6
	v_cmp_o_f16_e32 vcc_lo, v6, v6
	s_delay_alu instid0(VALU_DEP_2) | instskip(NEXT) | instid1(VALU_DEP_1)
	v_bfe_u32 v9, v8, 16, 1
	v_add3_u32 v8, v8, v9, 0x7fff
	s_delay_alu instid0(VALU_DEP_1) | instskip(NEXT) | instid1(VALU_DEP_1)
	v_lshrrev_b32_e32 v8, 16, v8
	v_cndmask_b32_e32 v6, 0x7fc0, v8, vcc_lo
.LBB344_1554:
	s_mov_b32 s0, 0
.LBB344_1555:
	s_delay_alu instid0(SALU_CYCLE_1)
	s_and_not1_b32 vcc_lo, exec_lo, s0
	s_cbranch_vccnz .LBB344_1575
; %bb.1556:
	v_cmp_gt_i16_e32 vcc_lo, 2, v3
	s_cbranch_vccnz .LBB344_1560
; %bb.1557:
	v_cmp_gt_i16_e32 vcc_lo, 3, v3
	s_cbranch_vccnz .LBB344_1561
; %bb.1558:
	v_cmp_lt_i16_e32 vcc_lo, 3, v3
	s_cbranch_vccz .LBB344_1562
; %bb.1559:
	global_load_b64 v[8:9], v[0:1], off
	s_mov_b32 s0, 0
	s_waitcnt vmcnt(0)
	v_xor_b32_e32 v6, v8, v9
	v_cls_i32_e32 v10, v9
	s_delay_alu instid0(VALU_DEP_2) | instskip(NEXT) | instid1(VALU_DEP_2)
	v_ashrrev_i32_e32 v6, 31, v6
	v_add_nc_u32_e32 v10, -1, v10
	s_delay_alu instid0(VALU_DEP_2) | instskip(NEXT) | instid1(VALU_DEP_1)
	v_add_nc_u32_e32 v6, 32, v6
	v_min_u32_e32 v6, v10, v6
	s_delay_alu instid0(VALU_DEP_1) | instskip(SKIP_1) | instid1(VALU_DEP_2)
	v_lshlrev_b64 v[8:9], v6, v[8:9]
	v_sub_nc_u32_e32 v6, 32, v6
	v_min_u32_e32 v8, 1, v8
	s_delay_alu instid0(VALU_DEP_1) | instskip(NEXT) | instid1(VALU_DEP_1)
	v_or_b32_e32 v8, v9, v8
	v_cvt_f32_i32_e32 v8, v8
	s_delay_alu instid0(VALU_DEP_1) | instskip(NEXT) | instid1(VALU_DEP_1)
	v_ldexp_f32 v6, v8, v6
	v_bfe_u32 v8, v6, 16, 1
	s_delay_alu instid0(VALU_DEP_1) | instskip(NEXT) | instid1(VALU_DEP_1)
	v_add3_u32 v6, v6, v8, 0x7fff
	v_lshrrev_b32_e32 v6, 16, v6
	s_branch .LBB344_1563
.LBB344_1560:
	s_mov_b32 s0, -1
                                        ; implicit-def: $vgpr6
	s_branch .LBB344_1569
.LBB344_1561:
	s_mov_b32 s0, -1
                                        ; implicit-def: $vgpr6
	s_branch .LBB344_1566
.LBB344_1562:
	s_mov_b32 s0, -1
                                        ; implicit-def: $vgpr6
.LBB344_1563:
	s_delay_alu instid0(SALU_CYCLE_1)
	s_and_not1_b32 vcc_lo, exec_lo, s0
	s_cbranch_vccnz .LBB344_1565
; %bb.1564:
	global_load_b32 v6, v[0:1], off
	s_waitcnt vmcnt(0)
	v_cvt_f32_i32_e32 v6, v6
	s_delay_alu instid0(VALU_DEP_1) | instskip(NEXT) | instid1(VALU_DEP_1)
	v_bfe_u32 v8, v6, 16, 1
	v_add3_u32 v6, v6, v8, 0x7fff
	s_delay_alu instid0(VALU_DEP_1)
	v_lshrrev_b32_e32 v6, 16, v6
.LBB344_1565:
	s_mov_b32 s0, 0
.LBB344_1566:
	s_delay_alu instid0(SALU_CYCLE_1)
	s_and_not1_b32 vcc_lo, exec_lo, s0
	s_cbranch_vccnz .LBB344_1568
; %bb.1567:
	global_load_i16 v6, v[0:1], off
	s_waitcnt vmcnt(0)
	v_cvt_f32_i32_e32 v6, v6
	s_delay_alu instid0(VALU_DEP_1) | instskip(NEXT) | instid1(VALU_DEP_1)
	v_bfe_u32 v8, v6, 16, 1
	v_add3_u32 v6, v6, v8, 0x7fff
	s_delay_alu instid0(VALU_DEP_1)
	v_lshrrev_b32_e32 v6, 16, v6
.LBB344_1568:
	s_mov_b32 s0, 0
.LBB344_1569:
	s_delay_alu instid0(SALU_CYCLE_1)
	s_and_not1_b32 vcc_lo, exec_lo, s0
	s_cbranch_vccnz .LBB344_1575
; %bb.1570:
	v_cmp_lt_i16_e32 vcc_lo, 0, v3
	s_mov_b32 s0, 0
	s_cbranch_vccz .LBB344_1572
; %bb.1571:
	global_load_i8 v3, v[0:1], off
	s_waitcnt vmcnt(0)
	v_cvt_f32_i32_e32 v3, v3
	s_delay_alu instid0(VALU_DEP_1) | instskip(NEXT) | instid1(VALU_DEP_1)
	v_bfe_u32 v6, v3, 16, 1
	v_add3_u32 v3, v3, v6, 0x7fff
	s_delay_alu instid0(VALU_DEP_1)
	v_lshrrev_b32_e32 v6, 16, v3
	s_branch .LBB344_1573
.LBB344_1572:
	s_mov_b32 s0, -1
                                        ; implicit-def: $vgpr6
.LBB344_1573:
	s_delay_alu instid0(SALU_CYCLE_1)
	s_and_not1_b32 vcc_lo, exec_lo, s0
	s_cbranch_vccnz .LBB344_1575
; %bb.1574:
	global_load_u8 v0, v[0:1], off
	s_waitcnt vmcnt(0)
	v_cvt_f32_ubyte0_e32 v0, v0
	s_delay_alu instid0(VALU_DEP_1) | instskip(NEXT) | instid1(VALU_DEP_1)
	v_bfe_u32 v1, v0, 16, 1
	v_add3_u32 v0, v0, v1, 0x7fff
	s_delay_alu instid0(VALU_DEP_1)
	v_lshrrev_b32_e32 v6, 16, v0
.LBB344_1575:
	s_mov_b32 s6, -1
.LBB344_1576:
	s_delay_alu instid0(SALU_CYCLE_1)
	s_and_not1_b32 vcc_lo, exec_lo, s6
	s_cbranch_vccnz .LBB344_1657
; %bb.1577:
	s_waitcnt vmcnt(0)
	v_lshlrev_b32_e32 v0, 16, v6
	s_mov_b32 s0, exec_lo
	s_delay_alu instid0(VALU_DEP_1)
	v_cmpx_o_f32_e32 v0, v0
; %bb.1578:
	s_lshl_b32 s2, s1, 16
	s_delay_alu instid0(SALU_CYCLE_1) | instskip(SKIP_2) | instid1(VALU_DEP_1)
	v_cmp_lt_f32_e32 vcc_lo, s2, v0
	v_cndmask_b32_e32 v0, s1, v6, vcc_lo
	s_lshl_b32 s1, s12, 16
	v_lshlrev_b32_e32 v1, 16, v0
	s_delay_alu instid0(VALU_DEP_1)
	v_cmp_gt_f32_e32 vcc_lo, s1, v1
	v_cndmask_b32_e32 v6, s12, v0, vcc_lo
; %bb.1579:
	s_or_b32 exec_lo, exec_lo, s0
	v_mul_lo_u32 v2, s8, v2
	v_and_b32_e64 v8, 0xff, s11
	s_delay_alu instid0(VALU_DEP_1) | instskip(NEXT) | instid1(VALU_DEP_3)
	v_cmp_gt_i16_e32 vcc_lo, 11, v8
	v_ashrrev_i32_e32 v1, 31, v2
	v_add_co_u32 v0, s0, s4, v2
	s_delay_alu instid0(VALU_DEP_1)
	v_add_co_ci_u32_e64 v1, s0, s5, v1, s0
	s_cbranch_vccnz .LBB344_1702
; %bb.1580:
	v_cmp_lt_i16_e32 vcc_lo, 25, v8
	s_mov_b32 s6, -1
	s_mov_b32 s1, 0
	s_mov_b32 s2, 0
	;; [unrolled: 1-line block ×3, first 2 shown]
	s_cbranch_vccz .LBB344_1613
; %bb.1581:
	v_cmp_lt_i16_e32 vcc_lo, 28, v8
	s_cbranch_vccz .LBB344_1596
; %bb.1582:
	v_cmp_lt_i16_e32 vcc_lo, 43, v8
	;; [unrolled: 3-line block ×3, first 2 shown]
	s_cbranch_vccz .LBB344_1586
; %bb.1584:
	v_cmp_eq_u16_e32 vcc_lo, 46, v8
	s_mov_b32 s0, -1
	s_mov_b32 s6, 0
	s_cbranch_vccz .LBB344_1586
; %bb.1585:
	v_and_b32_e32 v3, 0xffff, v4
	s_mov_b32 s0, 0
	s_mov_b32 s2, -1
	global_store_b32 v[0:1], v3, off
.LBB344_1586:
	s_and_b32 vcc_lo, exec_lo, s6
	s_cbranch_vccz .LBB344_1591
; %bb.1587:
	v_cmp_eq_u16_e32 vcc_lo, 44, v8
	s_mov_b32 s0, -1
	s_cbranch_vccz .LBB344_1591
; %bb.1588:
	v_and_b32_e32 v3, 0xffff, v4
	v_mov_b32_e32 v9, 0xff
	s_mov_b32 s2, exec_lo
	s_delay_alu instid0(VALU_DEP_2) | instskip(NEXT) | instid1(VALU_DEP_1)
	v_bfe_u32 v10, v3, 7, 8
	v_cmpx_ne_u32_e32 0xff, v10
; %bb.1589:
	v_lshlrev_b32_e32 v9, 16, v3
	v_and_b32_e32 v11, 64, v3
	v_lshrrev_b32_e32 v3, 7, v3
	s_delay_alu instid0(VALU_DEP_3) | instskip(NEXT) | instid1(VALU_DEP_3)
	v_and_or_b32 v9, 0x3f0000, v9, v10
	v_cmp_ne_u32_e32 vcc_lo, 0, v11
	s_delay_alu instid0(VALU_DEP_2) | instskip(NEXT) | instid1(VALU_DEP_1)
	v_cmp_ne_u32_e64 s0, 0, v9
	s_and_b32 s0, vcc_lo, s0
	s_delay_alu instid0(SALU_CYCLE_1) | instskip(NEXT) | instid1(VALU_DEP_1)
	v_cndmask_b32_e64 v9, 0, 1, s0
	v_add_nc_u32_e32 v9, v3, v9
; %bb.1590:
	s_or_b32 exec_lo, exec_lo, s2
	s_mov_b32 s0, 0
	s_mov_b32 s2, -1
	global_store_b8 v[0:1], v9, off
.LBB344_1591:
	s_mov_b32 s6, 0
.LBB344_1592:
	s_delay_alu instid0(SALU_CYCLE_1)
	s_and_b32 vcc_lo, exec_lo, s6
	s_cbranch_vccz .LBB344_1595
; %bb.1593:
	v_cmp_eq_u16_e32 vcc_lo, 29, v8
	s_mov_b32 s0, -1
	s_cbranch_vccz .LBB344_1595
; %bb.1594:
	v_lshlrev_b32_e32 v3, 16, v4
	s_mov_b32 s0, 0
	s_mov_b32 s2, -1
	s_delay_alu instid0(VALU_DEP_1) | instskip(NEXT) | instid1(VALU_DEP_1)
	v_trunc_f32_e32 v3, v3
	v_mul_f32_e32 v9, 0x2f800000, v3
	s_delay_alu instid0(VALU_DEP_1) | instskip(NEXT) | instid1(VALU_DEP_1)
	v_floor_f32_e32 v9, v9
	v_fmamk_f32 v3, v9, 0xcf800000, v3
	v_cvt_u32_f32_e32 v10, v9
	s_delay_alu instid0(VALU_DEP_2)
	v_cvt_u32_f32_e32 v9, v3
	global_store_b64 v[0:1], v[9:10], off
.LBB344_1595:
	s_mov_b32 s6, 0
.LBB344_1596:
	s_delay_alu instid0(SALU_CYCLE_1)
	s_and_b32 vcc_lo, exec_lo, s6
	s_cbranch_vccz .LBB344_1612
; %bb.1597:
	v_cmp_gt_i16_e32 vcc_lo, 27, v8
	s_mov_b32 s2, -1
	s_cbranch_vccnz .LBB344_1603
; %bb.1598:
	v_cmp_lt_i16_e32 vcc_lo, 27, v8
	s_cbranch_vccz .LBB344_1600
; %bb.1599:
	v_lshlrev_b32_e32 v3, 16, v4
	s_mov_b32 s2, 0
	s_delay_alu instid0(VALU_DEP_1)
	v_cvt_u32_f32_e32 v3, v3
	global_store_b32 v[0:1], v3, off
.LBB344_1600:
	s_and_not1_b32 vcc_lo, exec_lo, s2
	s_cbranch_vccnz .LBB344_1602
; %bb.1601:
	v_lshlrev_b32_e32 v3, 16, v4
	s_delay_alu instid0(VALU_DEP_1)
	v_cvt_u32_f32_e32 v3, v3
	global_store_b16 v[0:1], v3, off
.LBB344_1602:
	s_mov_b32 s2, 0
.LBB344_1603:
	s_delay_alu instid0(SALU_CYCLE_1)
	s_and_not1_b32 vcc_lo, exec_lo, s2
	s_cbranch_vccnz .LBB344_1611
; %bb.1604:
	v_dual_mov_b32 v11, 0x80 :: v_dual_lshlrev_b32 v10, 16, v4
	s_mov_b32 s2, exec_lo
	s_delay_alu instid0(VALU_DEP_1) | instskip(NEXT) | instid1(VALU_DEP_1)
	v_and_b32_e32 v9, 0x7fffffff, v10
	v_cmpx_gt_u32_e32 0x43800000, v9
	s_cbranch_execz .LBB344_1610
; %bb.1605:
	v_and_b32_e32 v3, 0xffff, v4
	v_cmp_lt_u32_e32 vcc_lo, 0x3bffffff, v9
	s_mov_b32 s6, 0
                                        ; implicit-def: $vgpr9
	s_and_saveexec_b32 s7, vcc_lo
	s_delay_alu instid0(SALU_CYCLE_1)
	s_xor_b32 s7, exec_lo, s7
	s_cbranch_execz .LBB344_2061
; %bb.1606:
	v_bfe_u32 v9, v3, 4, 1
	s_mov_b32 s6, exec_lo
	s_delay_alu instid0(VALU_DEP_1) | instskip(NEXT) | instid1(VALU_DEP_1)
	v_add3_u32 v9, v10, v9, 0x487ffff
                                        ; implicit-def: $vgpr10
	v_lshrrev_b32_e32 v9, 20, v9
	s_or_saveexec_b32 s7, s7
                                        ; implicit-def: $sgpr9
	s_delay_alu instid0(SALU_CYCLE_1)
	s_xor_b32 exec_lo, exec_lo, s7
	s_cbranch_execnz .LBB344_2062
.LBB344_1607:
	s_or_b32 exec_lo, exec_lo, s7
	v_mov_b32_e32 v11, s9
	s_and_saveexec_b32 s7, s6
.LBB344_1608:
	v_lshrrev_b32_e32 v3, 8, v3
	s_delay_alu instid0(VALU_DEP_1)
	v_and_or_b32 v11, 0x80, v3, v9
.LBB344_1609:
	s_or_b32 exec_lo, exec_lo, s7
.LBB344_1610:
	s_delay_alu instid0(SALU_CYCLE_1)
	s_or_b32 exec_lo, exec_lo, s2
	global_store_b8 v[0:1], v11, off
.LBB344_1611:
	s_mov_b32 s2, -1
.LBB344_1612:
	s_mov_b32 s6, 0
.LBB344_1613:
	s_delay_alu instid0(SALU_CYCLE_1)
	s_and_b32 vcc_lo, exec_lo, s6
	s_cbranch_vccz .LBB344_1653
; %bb.1614:
	v_cmp_lt_i16_e32 vcc_lo, 22, v8
	s_mov_b32 s1, -1
	s_cbranch_vccz .LBB344_1646
; %bb.1615:
	v_cmp_gt_i16_e32 vcc_lo, 24, v8
	s_cbranch_vccnz .LBB344_1635
; %bb.1616:
	v_cmp_lt_i16_e32 vcc_lo, 24, v8
	s_cbranch_vccz .LBB344_1624
; %bb.1617:
	v_dual_mov_b32 v11, 0x80 :: v_dual_lshlrev_b32 v10, 16, v4
	s_mov_b32 s1, exec_lo
	s_delay_alu instid0(VALU_DEP_1) | instskip(NEXT) | instid1(VALU_DEP_1)
	v_and_b32_e32 v9, 0x7fffffff, v10
	v_cmpx_gt_u32_e32 0x47800000, v9
	s_cbranch_execz .LBB344_1623
; %bb.1618:
	v_and_b32_e32 v3, 0xffff, v4
	v_cmp_lt_u32_e32 vcc_lo, 0x37ffffff, v9
	s_mov_b32 s2, 0
                                        ; implicit-def: $vgpr9
	s_and_saveexec_b32 s6, vcc_lo
	s_delay_alu instid0(SALU_CYCLE_1)
	s_xor_b32 s6, exec_lo, s6
	s_cbranch_execz .LBB344_2067
; %bb.1619:
	v_bfe_u32 v9, v3, 5, 1
	s_mov_b32 s2, exec_lo
	s_delay_alu instid0(VALU_DEP_1) | instskip(NEXT) | instid1(VALU_DEP_1)
	v_add3_u32 v9, v10, v9, 0x88fffff
                                        ; implicit-def: $vgpr10
	v_lshrrev_b32_e32 v9, 21, v9
	s_or_saveexec_b32 s6, s6
                                        ; implicit-def: $sgpr7
	s_delay_alu instid0(SALU_CYCLE_1)
	s_xor_b32 exec_lo, exec_lo, s6
	s_cbranch_execnz .LBB344_2068
.LBB344_1620:
	s_or_b32 exec_lo, exec_lo, s6
	v_mov_b32_e32 v11, s7
	s_and_saveexec_b32 s6, s2
.LBB344_1621:
	v_lshrrev_b32_e32 v3, 8, v3
	s_delay_alu instid0(VALU_DEP_1)
	v_and_or_b32 v11, 0x80, v3, v9
.LBB344_1622:
	s_or_b32 exec_lo, exec_lo, s6
.LBB344_1623:
	s_delay_alu instid0(SALU_CYCLE_1)
	s_or_b32 exec_lo, exec_lo, s1
	s_mov_b32 s1, 0
	global_store_b8 v[0:1], v11, off
.LBB344_1624:
	s_and_b32 vcc_lo, exec_lo, s1
	s_cbranch_vccz .LBB344_1634
; %bb.1625:
	v_lshlrev_b32_e32 v10, 16, v4
	v_and_b32_e32 v3, 0xffff, v4
	s_mov_b32 s1, exec_lo
                                        ; implicit-def: $vgpr9
	s_delay_alu instid0(VALU_DEP_2) | instskip(NEXT) | instid1(VALU_DEP_1)
	v_and_b32_e32 v11, 0x7fffffff, v10
	v_cmpx_gt_u32_e32 0x43f00000, v11
	s_xor_b32 s1, exec_lo, s1
	s_cbranch_execz .LBB344_1631
; %bb.1626:
	s_mov_b32 s2, exec_lo
                                        ; implicit-def: $vgpr9
	v_cmpx_lt_u32_e32 0x3c7fffff, v11
	s_xor_b32 s2, exec_lo, s2
; %bb.1627:
	v_bfe_u32 v9, v3, 4, 1
	s_delay_alu instid0(VALU_DEP_1) | instskip(NEXT) | instid1(VALU_DEP_1)
	v_add3_u32 v9, v10, v9, 0x407ffff
	v_and_b32_e32 v10, 0xff00000, v9
	v_lshrrev_b32_e32 v9, 20, v9
	s_delay_alu instid0(VALU_DEP_2) | instskip(NEXT) | instid1(VALU_DEP_2)
	v_cmp_ne_u32_e32 vcc_lo, 0x7f00000, v10
                                        ; implicit-def: $vgpr10
	v_cndmask_b32_e32 v9, 0x7e, v9, vcc_lo
; %bb.1628:
	s_and_not1_saveexec_b32 s2, s2
; %bb.1629:
	v_add_f32_e64 v9, 0x46800000, |v10|
; %bb.1630:
	s_or_b32 exec_lo, exec_lo, s2
                                        ; implicit-def: $vgpr11
.LBB344_1631:
	s_and_not1_saveexec_b32 s1, s1
; %bb.1632:
	v_mov_b32_e32 v9, 0x7f
	v_cmp_lt_u32_e32 vcc_lo, 0x7f800000, v11
	s_delay_alu instid0(VALU_DEP_2)
	v_cndmask_b32_e32 v9, 0x7e, v9, vcc_lo
; %bb.1633:
	s_or_b32 exec_lo, exec_lo, s1
	v_lshrrev_b32_e32 v3, 8, v3
	s_delay_alu instid0(VALU_DEP_1)
	v_and_or_b32 v3, 0x80, v3, v9
	global_store_b8 v[0:1], v3, off
.LBB344_1634:
	s_mov_b32 s1, 0
.LBB344_1635:
	s_delay_alu instid0(SALU_CYCLE_1)
	s_and_not1_b32 vcc_lo, exec_lo, s1
	s_cbranch_vccnz .LBB344_1645
; %bb.1636:
	v_lshlrev_b32_e32 v10, 16, v4
	v_and_b32_e32 v3, 0xffff, v4
	s_mov_b32 s1, exec_lo
                                        ; implicit-def: $vgpr9
	s_delay_alu instid0(VALU_DEP_2) | instskip(NEXT) | instid1(VALU_DEP_1)
	v_and_b32_e32 v11, 0x7fffffff, v10
	v_cmpx_gt_u32_e32 0x47800000, v11
	s_xor_b32 s1, exec_lo, s1
	s_cbranch_execz .LBB344_1642
; %bb.1637:
	s_mov_b32 s2, exec_lo
                                        ; implicit-def: $vgpr9
	v_cmpx_lt_u32_e32 0x387fffff, v11
	s_xor_b32 s2, exec_lo, s2
; %bb.1638:
	v_bfe_u32 v9, v3, 5, 1
	s_delay_alu instid0(VALU_DEP_1) | instskip(NEXT) | instid1(VALU_DEP_1)
	v_add3_u32 v9, v10, v9, 0x80fffff
                                        ; implicit-def: $vgpr10
	v_lshrrev_b32_e32 v9, 21, v9
; %bb.1639:
	s_and_not1_saveexec_b32 s2, s2
; %bb.1640:
	v_add_f32_e64 v9, 0x43000000, |v10|
; %bb.1641:
	s_or_b32 exec_lo, exec_lo, s2
                                        ; implicit-def: $vgpr11
.LBB344_1642:
	s_and_not1_saveexec_b32 s1, s1
; %bb.1643:
	v_mov_b32_e32 v9, 0x7f
	v_cmp_lt_u32_e32 vcc_lo, 0x7f800000, v11
	s_delay_alu instid0(VALU_DEP_2)
	v_cndmask_b32_e32 v9, 0x7c, v9, vcc_lo
; %bb.1644:
	s_or_b32 exec_lo, exec_lo, s1
	v_lshrrev_b32_e32 v3, 8, v3
	s_delay_alu instid0(VALU_DEP_1)
	v_and_or_b32 v3, 0x80, v3, v9
	global_store_b8 v[0:1], v3, off
.LBB344_1645:
	s_mov_b32 s1, 0
	s_mov_b32 s2, -1
.LBB344_1646:
	s_and_not1_b32 vcc_lo, exec_lo, s1
	s_mov_b32 s1, 0
	s_cbranch_vccnz .LBB344_1653
; %bb.1647:
	v_cmp_lt_i16_e32 vcc_lo, 14, v8
	s_mov_b32 s1, -1
	s_cbranch_vccz .LBB344_1651
; %bb.1648:
	v_cmp_eq_u16_e32 vcc_lo, 15, v8
	s_mov_b32 s0, -1
	s_cbranch_vccz .LBB344_1650
; %bb.1649:
	s_mov_b32 s0, 0
	s_mov_b32 s2, -1
	global_store_b16 v[0:1], v4, off
.LBB344_1650:
	s_mov_b32 s1, 0
.LBB344_1651:
	s_delay_alu instid0(SALU_CYCLE_1)
	s_and_b32 vcc_lo, exec_lo, s1
	s_mov_b32 s1, 0
	s_cbranch_vccz .LBB344_1653
; %bb.1652:
	v_cmp_ne_u16_e64 s0, 11, v8
	s_mov_b32 s1, -1
.LBB344_1653:
	s_delay_alu instid0(VALU_DEP_1)
	s_and_b32 vcc_lo, exec_lo, s0
	s_cbranch_vccnz .LBB344_2065
; %bb.1654:
	s_and_not1_b32 vcc_lo, exec_lo, s1
	s_cbranch_vccnz .LBB344_1656
.LBB344_1655:
	v_and_b32_e32 v3, 0x7fff, v4
	s_mov_b32 s2, -1
	s_delay_alu instid0(VALU_DEP_1)
	v_cmp_ne_u16_e32 vcc_lo, 0, v3
	v_cndmask_b32_e64 v3, 0, 1, vcc_lo
	global_store_b8 v[0:1], v3, off
.LBB344_1656:
	s_mov_b32 s0, 0
	s_branch .LBB344_1703
.LBB344_1657:
	s_mov_b32 s0, 0
	s_mov_b32 s1, 0
                                        ; implicit-def: $vgpr8
                                        ; implicit-def: $vgpr0_vgpr1
                                        ; implicit-def: $vgpr6
.LBB344_1658:
	s_and_not1_b32 s2, s13, exec_lo
	s_and_b32 s4, s3, exec_lo
	s_and_b32 s0, s0, exec_lo
	;; [unrolled: 1-line block ×3, first 2 shown]
	s_or_b32 s13, s2, s4
.LBB344_1659:
	s_or_b32 exec_lo, exec_lo, s10
	s_and_saveexec_b32 s1, s13
	s_cbranch_execz .LBB344_1662
; %bb.1660:
	; divergent unreachable
	s_or_b32 exec_lo, exec_lo, s1
	s_and_saveexec_b32 s1, s3
	s_delay_alu instid0(SALU_CYCLE_1)
	s_xor_b32 s1, exec_lo, s1
	s_cbranch_execnz .LBB344_1663
.LBB344_1661:
	s_or_b32 exec_lo, exec_lo, s1
	s_and_saveexec_b32 s1, s0
	s_cbranch_execnz .LBB344_1664
	s_branch .LBB344_1701
.LBB344_1662:
	s_or_b32 exec_lo, exec_lo, s1
	s_and_saveexec_b32 s1, s3
	s_delay_alu instid0(SALU_CYCLE_1)
	s_xor_b32 s1, exec_lo, s1
	s_cbranch_execz .LBB344_1661
.LBB344_1663:
	s_waitcnt vmcnt(0)
	v_and_b32_e32 v2, 0x7fff, v6
	s_delay_alu instid0(VALU_DEP_1)
	v_cmp_ne_u16_e32 vcc_lo, 0, v2
	v_cndmask_b32_e64 v2, 0, 1, vcc_lo
	global_store_b8 v[0:1], v2, off
	s_or_b32 exec_lo, exec_lo, s1
	s_and_saveexec_b32 s1, s0
	s_cbranch_execz .LBB344_1701
.LBB344_1664:
	v_cmp_gt_i16_e32 vcc_lo, 5, v8
	s_mov_b32 s0, -1
	s_cbranch_vccnz .LBB344_1685
; %bb.1665:
	v_cmp_gt_i16_e32 vcc_lo, 8, v8
	s_cbranch_vccnz .LBB344_1675
; %bb.1666:
	v_cmp_gt_i16_e32 vcc_lo, 9, v8
	s_cbranch_vccnz .LBB344_1672
; %bb.1667:
	v_cmp_lt_i16_e32 vcc_lo, 9, v8
	s_cbranch_vccz .LBB344_1669
; %bb.1668:
	s_waitcnt vmcnt(0)
	v_mov_b32_e32 v4, 0
	v_lshlrev_b32_e32 v2, 16, v6
	s_mov_b32 s0, 0
	s_delay_alu instid0(VALU_DEP_2) | instskip(NEXT) | instid1(VALU_DEP_2)
	v_mov_b32_e32 v5, v4
	v_cvt_f64_f32_e32 v[2:3], v2
	global_store_b128 v[0:1], v[2:5], off
.LBB344_1669:
	s_and_not1_b32 vcc_lo, exec_lo, s0
	s_cbranch_vccnz .LBB344_1671
; %bb.1670:
	s_waitcnt vmcnt(0)
	v_dual_mov_b32 v3, 0 :: v_dual_lshlrev_b32 v2, 16, v6
	global_store_b64 v[0:1], v[2:3], off
.LBB344_1671:
	s_mov_b32 s0, 0
.LBB344_1672:
	s_delay_alu instid0(SALU_CYCLE_1)
	s_and_not1_b32 vcc_lo, exec_lo, s0
	s_cbranch_vccnz .LBB344_1674
; %bb.1673:
	s_waitcnt vmcnt(0)
	v_lshlrev_b32_e32 v2, 16, v6
	s_delay_alu instid0(VALU_DEP_1) | instskip(NEXT) | instid1(VALU_DEP_1)
	v_cvt_f16_f32_e32 v2, v2
	v_and_b32_e32 v2, 0xffff, v2
	global_store_b32 v[0:1], v2, off
.LBB344_1674:
	s_mov_b32 s0, 0
.LBB344_1675:
	s_delay_alu instid0(SALU_CYCLE_1)
	s_and_not1_b32 vcc_lo, exec_lo, s0
	s_cbranch_vccnz .LBB344_1684
; %bb.1676:
	v_cmp_gt_i16_e32 vcc_lo, 6, v8
	s_mov_b32 s0, -1
	s_cbranch_vccnz .LBB344_1682
; %bb.1677:
	v_cmp_lt_i16_e32 vcc_lo, 6, v8
	s_cbranch_vccz .LBB344_1679
; %bb.1678:
	s_waitcnt vmcnt(0)
	v_lshlrev_b32_e32 v2, 16, v6
	s_mov_b32 s0, 0
	s_delay_alu instid0(VALU_DEP_1)
	v_cvt_f64_f32_e32 v[2:3], v2
	global_store_b64 v[0:1], v[2:3], off
.LBB344_1679:
	s_and_not1_b32 vcc_lo, exec_lo, s0
	s_cbranch_vccnz .LBB344_1681
; %bb.1680:
	s_waitcnt vmcnt(0)
	v_lshlrev_b32_e32 v2, 16, v6
	global_store_b32 v[0:1], v2, off
.LBB344_1681:
	s_mov_b32 s0, 0
.LBB344_1682:
	s_delay_alu instid0(SALU_CYCLE_1)
	s_and_not1_b32 vcc_lo, exec_lo, s0
	s_cbranch_vccnz .LBB344_1684
; %bb.1683:
	s_waitcnt vmcnt(0)
	v_lshlrev_b32_e32 v2, 16, v6
	s_delay_alu instid0(VALU_DEP_1)
	v_cvt_f16_f32_e32 v2, v2
	global_store_b16 v[0:1], v2, off
.LBB344_1684:
	s_mov_b32 s0, 0
.LBB344_1685:
	s_delay_alu instid0(SALU_CYCLE_1)
	s_and_not1_b32 vcc_lo, exec_lo, s0
	s_cbranch_vccnz .LBB344_1701
; %bb.1686:
	v_cmp_gt_i16_e32 vcc_lo, 2, v8
	s_mov_b32 s0, -1
	s_cbranch_vccnz .LBB344_1696
; %bb.1687:
	v_cmp_gt_i16_e32 vcc_lo, 3, v8
	s_cbranch_vccnz .LBB344_1693
; %bb.1688:
	v_cmp_lt_i16_e32 vcc_lo, 3, v8
	s_cbranch_vccz .LBB344_1690
; %bb.1689:
	s_waitcnt vmcnt(0)
	v_lshlrev_b32_e32 v2, 16, v6
	s_mov_b32 s0, 0
	s_delay_alu instid0(VALU_DEP_1) | instskip(NEXT) | instid1(VALU_DEP_1)
	v_trunc_f32_e32 v2, v2
	v_mul_f32_e64 v3, 0x2f800000, |v2|
	v_ashrrev_i32_e32 v5, 31, v2
	s_delay_alu instid0(VALU_DEP_2) | instskip(NEXT) | instid1(VALU_DEP_1)
	v_floor_f32_e32 v3, v3
	v_fma_f32 v4, 0xcf800000, v3, |v2|
	v_cvt_u32_f32_e32 v3, v3
	s_delay_alu instid0(VALU_DEP_2) | instskip(NEXT) | instid1(VALU_DEP_2)
	v_cvt_u32_f32_e32 v2, v4
	v_xor_b32_e32 v3, v3, v5
	s_delay_alu instid0(VALU_DEP_2) | instskip(NEXT) | instid1(VALU_DEP_1)
	v_xor_b32_e32 v2, v2, v5
	v_sub_co_u32 v2, vcc_lo, v2, v5
	s_delay_alu instid0(VALU_DEP_3)
	v_sub_co_ci_u32_e32 v3, vcc_lo, v3, v5, vcc_lo
	global_store_b64 v[0:1], v[2:3], off
.LBB344_1690:
	s_and_not1_b32 vcc_lo, exec_lo, s0
	s_cbranch_vccnz .LBB344_1692
; %bb.1691:
	s_waitcnt vmcnt(0)
	v_lshlrev_b32_e32 v2, 16, v6
	s_delay_alu instid0(VALU_DEP_1)
	v_cvt_i32_f32_e32 v2, v2
	global_store_b32 v[0:1], v2, off
.LBB344_1692:
	s_mov_b32 s0, 0
.LBB344_1693:
	s_delay_alu instid0(SALU_CYCLE_1)
	s_and_not1_b32 vcc_lo, exec_lo, s0
	s_cbranch_vccnz .LBB344_1695
; %bb.1694:
	s_waitcnt vmcnt(0)
	v_lshlrev_b32_e32 v2, 16, v6
	s_delay_alu instid0(VALU_DEP_1)
	v_cvt_i32_f32_e32 v2, v2
	global_store_b16 v[0:1], v2, off
.LBB344_1695:
	s_mov_b32 s0, 0
.LBB344_1696:
	s_delay_alu instid0(SALU_CYCLE_1)
	s_and_not1_b32 vcc_lo, exec_lo, s0
	s_cbranch_vccnz .LBB344_1701
; %bb.1697:
	v_cmp_lt_i16_e32 vcc_lo, 0, v8
	s_waitcnt vmcnt(0)
	v_lshlrev_b32_e32 v2, 16, v6
	s_mov_b32 s0, -1
	s_cbranch_vccz .LBB344_1699
; %bb.1698:
	s_delay_alu instid0(VALU_DEP_1)
	v_cvt_i32_f32_e32 v3, v2
	s_mov_b32 s0, 0
	global_store_b8 v[0:1], v3, off
.LBB344_1699:
	s_and_not1_b32 vcc_lo, exec_lo, s0
	s_cbranch_vccnz .LBB344_1701
; %bb.1700:
	v_trunc_f32_e32 v2, v2
	s_delay_alu instid0(VALU_DEP_1) | instskip(NEXT) | instid1(VALU_DEP_1)
	v_mul_f32_e64 v3, 0x2f800000, |v2|
	v_floor_f32_e32 v3, v3
	s_delay_alu instid0(VALU_DEP_1) | instskip(SKIP_1) | instid1(VALU_DEP_2)
	v_fma_f32 v3, 0xcf800000, v3, |v2|
	v_ashrrev_i32_e32 v2, 31, v2
	v_cvt_u32_f32_e32 v3, v3
	s_delay_alu instid0(VALU_DEP_1) | instskip(NEXT) | instid1(VALU_DEP_1)
	v_xor_b32_e32 v3, v3, v2
	v_sub_nc_u32_e32 v2, v3, v2
	global_store_b8 v[0:1], v2, off
	s_nop 0
	s_sendmsg sendmsg(MSG_DEALLOC_VGPRS)
	s_endpgm
.LBB344_1701:
	s_nop 0
	s_sendmsg sendmsg(MSG_DEALLOC_VGPRS)
	s_endpgm
.LBB344_1702:
	s_mov_b32 s0, -1
	s_mov_b32 s2, 0
.LBB344_1703:
	s_and_b32 vcc_lo, exec_lo, s0
	s_cbranch_vccz .LBB344_1742
; %bb.1704:
	v_cmp_gt_i16_e32 vcc_lo, 5, v8
	s_mov_b32 s0, -1
	s_cbranch_vccnz .LBB344_1725
; %bb.1705:
	v_cmp_gt_i16_e32 vcc_lo, 8, v8
	s_cbranch_vccnz .LBB344_1715
; %bb.1706:
	v_cmp_gt_i16_e32 vcc_lo, 9, v8
	s_cbranch_vccnz .LBB344_1712
; %bb.1707:
	v_cmp_lt_i16_e32 vcc_lo, 9, v8
	s_cbranch_vccz .LBB344_1709
; %bb.1708:
	v_mov_b32_e32 v11, 0
	v_lshlrev_b32_e32 v3, 16, v4
	s_mov_b32 s0, 0
	s_delay_alu instid0(VALU_DEP_2) | instskip(NEXT) | instid1(VALU_DEP_2)
	v_mov_b32_e32 v12, v11
	v_cvt_f64_f32_e32 v[9:10], v3
	global_store_b128 v[0:1], v[9:12], off
.LBB344_1709:
	s_and_not1_b32 vcc_lo, exec_lo, s0
	s_cbranch_vccnz .LBB344_1711
; %bb.1710:
	v_dual_mov_b32 v10, 0 :: v_dual_lshlrev_b32 v9, 16, v4
	global_store_b64 v[0:1], v[9:10], off
.LBB344_1711:
	s_mov_b32 s0, 0
.LBB344_1712:
	s_delay_alu instid0(SALU_CYCLE_1)
	s_and_not1_b32 vcc_lo, exec_lo, s0
	s_cbranch_vccnz .LBB344_1714
; %bb.1713:
	v_lshlrev_b32_e32 v3, 16, v4
	s_delay_alu instid0(VALU_DEP_1) | instskip(NEXT) | instid1(VALU_DEP_1)
	v_cvt_f16_f32_e32 v3, v3
	v_and_b32_e32 v3, 0xffff, v3
	global_store_b32 v[0:1], v3, off
.LBB344_1714:
	s_mov_b32 s0, 0
.LBB344_1715:
	s_delay_alu instid0(SALU_CYCLE_1)
	s_and_not1_b32 vcc_lo, exec_lo, s0
	s_cbranch_vccnz .LBB344_1724
; %bb.1716:
	v_cmp_gt_i16_e32 vcc_lo, 6, v8
	s_mov_b32 s0, -1
	s_cbranch_vccnz .LBB344_1722
; %bb.1717:
	v_cmp_lt_i16_e32 vcc_lo, 6, v8
	s_cbranch_vccz .LBB344_1719
; %bb.1718:
	v_lshlrev_b32_e32 v3, 16, v4
	s_mov_b32 s0, 0
	s_delay_alu instid0(VALU_DEP_1)
	v_cvt_f64_f32_e32 v[9:10], v3
	global_store_b64 v[0:1], v[9:10], off
.LBB344_1719:
	s_and_not1_b32 vcc_lo, exec_lo, s0
	s_cbranch_vccnz .LBB344_1721
; %bb.1720:
	v_lshlrev_b32_e32 v3, 16, v4
	global_store_b32 v[0:1], v3, off
.LBB344_1721:
	s_mov_b32 s0, 0
.LBB344_1722:
	s_delay_alu instid0(SALU_CYCLE_1)
	s_and_not1_b32 vcc_lo, exec_lo, s0
	s_cbranch_vccnz .LBB344_1724
; %bb.1723:
	v_lshlrev_b32_e32 v3, 16, v4
	s_delay_alu instid0(VALU_DEP_1)
	v_cvt_f16_f32_e32 v3, v3
	global_store_b16 v[0:1], v3, off
.LBB344_1724:
	s_mov_b32 s0, 0
.LBB344_1725:
	s_delay_alu instid0(SALU_CYCLE_1)
	s_and_not1_b32 vcc_lo, exec_lo, s0
	s_cbranch_vccnz .LBB344_1741
; %bb.1726:
	v_cmp_gt_i16_e32 vcc_lo, 2, v8
	s_mov_b32 s0, -1
	s_cbranch_vccnz .LBB344_1736
; %bb.1727:
	v_cmp_gt_i16_e32 vcc_lo, 3, v8
	s_cbranch_vccnz .LBB344_1733
; %bb.1728:
	v_cmp_lt_i16_e32 vcc_lo, 3, v8
	s_cbranch_vccz .LBB344_1730
; %bb.1729:
	v_lshlrev_b32_e32 v3, 16, v4
	s_mov_b32 s0, 0
	s_delay_alu instid0(VALU_DEP_1) | instskip(NEXT) | instid1(VALU_DEP_1)
	v_trunc_f32_e32 v3, v3
	v_mul_f32_e64 v9, 0x2f800000, |v3|
	s_delay_alu instid0(VALU_DEP_1) | instskip(NEXT) | instid1(VALU_DEP_1)
	v_floor_f32_e32 v9, v9
	v_fma_f32 v10, 0xcf800000, v9, |v3|
	v_ashrrev_i32_e32 v3, 31, v3
	v_cvt_u32_f32_e32 v9, v9
	s_delay_alu instid0(VALU_DEP_3) | instskip(NEXT) | instid1(VALU_DEP_2)
	v_cvt_u32_f32_e32 v10, v10
	v_xor_b32_e32 v11, v9, v3
	s_delay_alu instid0(VALU_DEP_2) | instskip(NEXT) | instid1(VALU_DEP_1)
	v_xor_b32_e32 v10, v10, v3
	v_sub_co_u32 v9, vcc_lo, v10, v3
	s_delay_alu instid0(VALU_DEP_3)
	v_sub_co_ci_u32_e32 v10, vcc_lo, v11, v3, vcc_lo
	global_store_b64 v[0:1], v[9:10], off
.LBB344_1730:
	s_and_not1_b32 vcc_lo, exec_lo, s0
	s_cbranch_vccnz .LBB344_1732
; %bb.1731:
	v_lshlrev_b32_e32 v3, 16, v4
	s_delay_alu instid0(VALU_DEP_1)
	v_cvt_i32_f32_e32 v3, v3
	global_store_b32 v[0:1], v3, off
.LBB344_1732:
	s_mov_b32 s0, 0
.LBB344_1733:
	s_delay_alu instid0(SALU_CYCLE_1)
	s_and_not1_b32 vcc_lo, exec_lo, s0
	s_cbranch_vccnz .LBB344_1735
; %bb.1734:
	v_lshlrev_b32_e32 v3, 16, v4
	s_delay_alu instid0(VALU_DEP_1)
	v_cvt_i32_f32_e32 v3, v3
	global_store_b16 v[0:1], v3, off
.LBB344_1735:
	s_mov_b32 s0, 0
.LBB344_1736:
	s_delay_alu instid0(SALU_CYCLE_1)
	s_and_not1_b32 vcc_lo, exec_lo, s0
	s_cbranch_vccnz .LBB344_1741
; %bb.1737:
	v_cmp_lt_i16_e32 vcc_lo, 0, v8
	s_mov_b32 s0, -1
	s_cbranch_vccz .LBB344_1739
; %bb.1738:
	v_lshlrev_b32_e32 v3, 16, v4
	s_mov_b32 s0, 0
	s_delay_alu instid0(VALU_DEP_1)
	v_cvt_i32_f32_e32 v3, v3
	global_store_b8 v[0:1], v3, off
.LBB344_1739:
	s_and_not1_b32 vcc_lo, exec_lo, s0
	s_cbranch_vccnz .LBB344_1741
; %bb.1740:
	v_lshlrev_b32_e32 v3, 16, v4
	s_delay_alu instid0(VALU_DEP_1) | instskip(NEXT) | instid1(VALU_DEP_1)
	v_trunc_f32_e32 v3, v3
	v_mul_f32_e64 v4, 0x2f800000, |v3|
	s_delay_alu instid0(VALU_DEP_1) | instskip(NEXT) | instid1(VALU_DEP_1)
	v_floor_f32_e32 v4, v4
	v_fma_f32 v4, 0xcf800000, v4, |v3|
	v_ashrrev_i32_e32 v3, 31, v3
	s_delay_alu instid0(VALU_DEP_2) | instskip(NEXT) | instid1(VALU_DEP_1)
	v_cvt_u32_f32_e32 v4, v4
	v_xor_b32_e32 v4, v4, v3
	s_delay_alu instid0(VALU_DEP_1)
	v_sub_nc_u32_e32 v3, v4, v3
	global_store_b8 v[0:1], v3, off
.LBB344_1741:
	s_mov_b32 s2, -1
.LBB344_1742:
	s_delay_alu instid0(SALU_CYCLE_1)
	s_and_not1_b32 vcc_lo, exec_lo, s2
	s_cbranch_vccnz .LBB344_2057
; %bb.1743:
	s_lshl_b32 s1, s8, 7
	v_cmp_gt_i16_e32 vcc_lo, 11, v8
	v_add_nc_u32_e32 v2, s1, v2
	s_delay_alu instid0(VALU_DEP_1) | instskip(SKIP_1) | instid1(VALU_DEP_1)
	v_ashrrev_i32_e32 v1, 31, v2
	v_add_co_u32 v0, s0, s4, v2
	v_add_co_ci_u32_e64 v1, s0, s5, v1, s0
	s_cbranch_vccnz .LBB344_1821
; %bb.1744:
	v_cmp_lt_i16_e32 vcc_lo, 25, v8
	s_mov_b32 s7, -1
	s_mov_b32 s2, 0
	s_mov_b32 s6, 0
	;; [unrolled: 1-line block ×3, first 2 shown]
	s_cbranch_vccz .LBB344_1777
; %bb.1745:
	v_cmp_lt_i16_e32 vcc_lo, 28, v8
	s_cbranch_vccz .LBB344_1760
; %bb.1746:
	v_cmp_lt_i16_e32 vcc_lo, 43, v8
	;; [unrolled: 3-line block ×3, first 2 shown]
	s_cbranch_vccz .LBB344_1750
; %bb.1748:
	v_cmp_eq_u16_e32 vcc_lo, 46, v8
	s_mov_b32 s0, -1
	s_mov_b32 s7, 0
	s_cbranch_vccz .LBB344_1750
; %bb.1749:
	v_and_b32_e32 v3, 0xffff, v5
	s_mov_b32 s0, 0
	s_mov_b32 s6, -1
	global_store_b32 v[0:1], v3, off
.LBB344_1750:
	s_and_b32 vcc_lo, exec_lo, s7
	s_cbranch_vccz .LBB344_1755
; %bb.1751:
	v_cmp_eq_u16_e32 vcc_lo, 44, v8
	s_mov_b32 s0, -1
	s_cbranch_vccz .LBB344_1755
; %bb.1752:
	v_and_b32_e32 v3, 0xffff, v5
	v_mov_b32_e32 v4, 0xff
	s_mov_b32 s6, exec_lo
	s_delay_alu instid0(VALU_DEP_2) | instskip(NEXT) | instid1(VALU_DEP_1)
	v_bfe_u32 v9, v3, 7, 8
	v_cmpx_ne_u32_e32 0xff, v9
; %bb.1753:
	v_lshlrev_b32_e32 v4, 16, v3
	v_and_b32_e32 v10, 64, v3
	v_lshrrev_b32_e32 v3, 7, v3
	s_delay_alu instid0(VALU_DEP_3) | instskip(NEXT) | instid1(VALU_DEP_3)
	v_and_or_b32 v4, 0x3f0000, v4, v9
	v_cmp_ne_u32_e32 vcc_lo, 0, v10
	s_delay_alu instid0(VALU_DEP_2) | instskip(NEXT) | instid1(VALU_DEP_1)
	v_cmp_ne_u32_e64 s0, 0, v4
	s_and_b32 s0, vcc_lo, s0
	s_delay_alu instid0(SALU_CYCLE_1) | instskip(NEXT) | instid1(VALU_DEP_1)
	v_cndmask_b32_e64 v4, 0, 1, s0
	v_add_nc_u32_e32 v4, v3, v4
; %bb.1754:
	s_or_b32 exec_lo, exec_lo, s6
	s_mov_b32 s0, 0
	s_mov_b32 s6, -1
	global_store_b8 v[0:1], v4, off
.LBB344_1755:
	s_mov_b32 s7, 0
.LBB344_1756:
	s_delay_alu instid0(SALU_CYCLE_1)
	s_and_b32 vcc_lo, exec_lo, s7
	s_cbranch_vccz .LBB344_1759
; %bb.1757:
	v_cmp_eq_u16_e32 vcc_lo, 29, v8
	s_mov_b32 s0, -1
	s_cbranch_vccz .LBB344_1759
; %bb.1758:
	v_lshlrev_b32_e32 v3, 16, v5
	s_mov_b32 s0, 0
	s_mov_b32 s6, -1
	s_delay_alu instid0(VALU_DEP_1) | instskip(NEXT) | instid1(VALU_DEP_1)
	v_trunc_f32_e32 v3, v3
	v_mul_f32_e32 v4, 0x2f800000, v3
	s_delay_alu instid0(VALU_DEP_1) | instskip(NEXT) | instid1(VALU_DEP_1)
	v_floor_f32_e32 v4, v4
	v_fmamk_f32 v3, v4, 0xcf800000, v3
	v_cvt_u32_f32_e32 v4, v4
	s_delay_alu instid0(VALU_DEP_2)
	v_cvt_u32_f32_e32 v3, v3
	global_store_b64 v[0:1], v[3:4], off
.LBB344_1759:
	s_mov_b32 s7, 0
.LBB344_1760:
	s_delay_alu instid0(SALU_CYCLE_1)
	s_and_b32 vcc_lo, exec_lo, s7
	s_cbranch_vccz .LBB344_1776
; %bb.1761:
	v_cmp_gt_i16_e32 vcc_lo, 27, v8
	s_mov_b32 s6, -1
	s_cbranch_vccnz .LBB344_1767
; %bb.1762:
	v_cmp_lt_i16_e32 vcc_lo, 27, v8
	s_cbranch_vccz .LBB344_1764
; %bb.1763:
	v_lshlrev_b32_e32 v3, 16, v5
	s_mov_b32 s6, 0
	s_delay_alu instid0(VALU_DEP_1)
	v_cvt_u32_f32_e32 v3, v3
	global_store_b32 v[0:1], v3, off
.LBB344_1764:
	s_and_not1_b32 vcc_lo, exec_lo, s6
	s_cbranch_vccnz .LBB344_1766
; %bb.1765:
	v_lshlrev_b32_e32 v3, 16, v5
	s_delay_alu instid0(VALU_DEP_1)
	v_cvt_u32_f32_e32 v3, v3
	global_store_b16 v[0:1], v3, off
.LBB344_1766:
	s_mov_b32 s6, 0
.LBB344_1767:
	s_delay_alu instid0(SALU_CYCLE_1)
	s_and_not1_b32 vcc_lo, exec_lo, s6
	s_cbranch_vccnz .LBB344_1775
; %bb.1768:
	v_dual_mov_b32 v10, 0x80 :: v_dual_lshlrev_b32 v9, 16, v5
	s_mov_b32 s6, exec_lo
	s_delay_alu instid0(VALU_DEP_1) | instskip(NEXT) | instid1(VALU_DEP_1)
	v_and_b32_e32 v4, 0x7fffffff, v9
	v_cmpx_gt_u32_e32 0x43800000, v4
	s_cbranch_execz .LBB344_1774
; %bb.1769:
	v_and_b32_e32 v3, 0xffff, v5
	v_cmp_lt_u32_e32 vcc_lo, 0x3bffffff, v4
	s_mov_b32 s7, 0
                                        ; implicit-def: $vgpr4
	s_and_saveexec_b32 s8, vcc_lo
	s_delay_alu instid0(SALU_CYCLE_1)
	s_xor_b32 s8, exec_lo, s8
	s_cbranch_execz .LBB344_2069
; %bb.1770:
	v_bfe_u32 v4, v3, 4, 1
	s_mov_b32 s7, exec_lo
	s_delay_alu instid0(VALU_DEP_1) | instskip(NEXT) | instid1(VALU_DEP_1)
	v_add3_u32 v4, v9, v4, 0x487ffff
                                        ; implicit-def: $vgpr9
	v_lshrrev_b32_e32 v4, 20, v4
	s_or_saveexec_b32 s8, s8
                                        ; implicit-def: $sgpr9
	s_delay_alu instid0(SALU_CYCLE_1)
	s_xor_b32 exec_lo, exec_lo, s8
	s_cbranch_execnz .LBB344_2070
.LBB344_1771:
	s_or_b32 exec_lo, exec_lo, s8
	v_mov_b32_e32 v10, s9
	s_and_saveexec_b32 s8, s7
.LBB344_1772:
	v_lshrrev_b32_e32 v3, 8, v3
	s_delay_alu instid0(VALU_DEP_1)
	v_and_or_b32 v10, 0x80, v3, v4
.LBB344_1773:
	s_or_b32 exec_lo, exec_lo, s8
.LBB344_1774:
	s_delay_alu instid0(SALU_CYCLE_1)
	s_or_b32 exec_lo, exec_lo, s6
	global_store_b8 v[0:1], v10, off
.LBB344_1775:
	s_mov_b32 s6, -1
.LBB344_1776:
	s_mov_b32 s7, 0
.LBB344_1777:
	s_delay_alu instid0(SALU_CYCLE_1)
	s_and_b32 vcc_lo, exec_lo, s7
	s_cbranch_vccz .LBB344_1817
; %bb.1778:
	v_cmp_lt_i16_e32 vcc_lo, 22, v8
	s_mov_b32 s2, -1
	s_cbranch_vccz .LBB344_1810
; %bb.1779:
	v_cmp_gt_i16_e32 vcc_lo, 24, v8
	s_cbranch_vccnz .LBB344_1799
; %bb.1780:
	v_cmp_lt_i16_e32 vcc_lo, 24, v8
	s_cbranch_vccz .LBB344_1788
; %bb.1781:
	v_dual_mov_b32 v10, 0x80 :: v_dual_lshlrev_b32 v9, 16, v5
	s_mov_b32 s2, exec_lo
	s_delay_alu instid0(VALU_DEP_1) | instskip(NEXT) | instid1(VALU_DEP_1)
	v_and_b32_e32 v4, 0x7fffffff, v9
	v_cmpx_gt_u32_e32 0x47800000, v4
	s_cbranch_execz .LBB344_1787
; %bb.1782:
	v_and_b32_e32 v3, 0xffff, v5
	v_cmp_lt_u32_e32 vcc_lo, 0x37ffffff, v4
	s_mov_b32 s6, 0
                                        ; implicit-def: $vgpr4
	s_and_saveexec_b32 s7, vcc_lo
	s_delay_alu instid0(SALU_CYCLE_1)
	s_xor_b32 s7, exec_lo, s7
	s_cbranch_execz .LBB344_2075
; %bb.1783:
	v_bfe_u32 v4, v3, 5, 1
	s_mov_b32 s6, exec_lo
	s_delay_alu instid0(VALU_DEP_1) | instskip(NEXT) | instid1(VALU_DEP_1)
	v_add3_u32 v4, v9, v4, 0x88fffff
                                        ; implicit-def: $vgpr9
	v_lshrrev_b32_e32 v4, 21, v4
	s_or_saveexec_b32 s7, s7
                                        ; implicit-def: $sgpr8
	s_delay_alu instid0(SALU_CYCLE_1)
	s_xor_b32 exec_lo, exec_lo, s7
	s_cbranch_execnz .LBB344_2076
.LBB344_1784:
	s_or_b32 exec_lo, exec_lo, s7
	v_mov_b32_e32 v10, s8
	s_and_saveexec_b32 s7, s6
.LBB344_1785:
	v_lshrrev_b32_e32 v3, 8, v3
	s_delay_alu instid0(VALU_DEP_1)
	v_and_or_b32 v10, 0x80, v3, v4
.LBB344_1786:
	s_or_b32 exec_lo, exec_lo, s7
.LBB344_1787:
	s_delay_alu instid0(SALU_CYCLE_1)
	s_or_b32 exec_lo, exec_lo, s2
	s_mov_b32 s2, 0
	global_store_b8 v[0:1], v10, off
.LBB344_1788:
	s_and_b32 vcc_lo, exec_lo, s2
	s_cbranch_vccz .LBB344_1798
; %bb.1789:
	v_lshlrev_b32_e32 v9, 16, v5
	v_and_b32_e32 v3, 0xffff, v5
	s_mov_b32 s2, exec_lo
                                        ; implicit-def: $vgpr4
	s_delay_alu instid0(VALU_DEP_2) | instskip(NEXT) | instid1(VALU_DEP_1)
	v_and_b32_e32 v10, 0x7fffffff, v9
	v_cmpx_gt_u32_e32 0x43f00000, v10
	s_xor_b32 s2, exec_lo, s2
	s_cbranch_execz .LBB344_1795
; %bb.1790:
	s_mov_b32 s6, exec_lo
                                        ; implicit-def: $vgpr4
	v_cmpx_lt_u32_e32 0x3c7fffff, v10
	s_xor_b32 s6, exec_lo, s6
; %bb.1791:
	v_bfe_u32 v4, v3, 4, 1
	s_delay_alu instid0(VALU_DEP_1) | instskip(NEXT) | instid1(VALU_DEP_1)
	v_add3_u32 v4, v9, v4, 0x407ffff
	v_and_b32_e32 v9, 0xff00000, v4
	v_lshrrev_b32_e32 v4, 20, v4
	s_delay_alu instid0(VALU_DEP_2) | instskip(NEXT) | instid1(VALU_DEP_2)
	v_cmp_ne_u32_e32 vcc_lo, 0x7f00000, v9
                                        ; implicit-def: $vgpr9
	v_cndmask_b32_e32 v4, 0x7e, v4, vcc_lo
; %bb.1792:
	s_and_not1_saveexec_b32 s6, s6
; %bb.1793:
	v_add_f32_e64 v4, 0x46800000, |v9|
; %bb.1794:
	s_or_b32 exec_lo, exec_lo, s6
                                        ; implicit-def: $vgpr10
.LBB344_1795:
	s_and_not1_saveexec_b32 s2, s2
; %bb.1796:
	v_mov_b32_e32 v4, 0x7f
	v_cmp_lt_u32_e32 vcc_lo, 0x7f800000, v10
	s_delay_alu instid0(VALU_DEP_2)
	v_cndmask_b32_e32 v4, 0x7e, v4, vcc_lo
; %bb.1797:
	s_or_b32 exec_lo, exec_lo, s2
	v_lshrrev_b32_e32 v3, 8, v3
	s_delay_alu instid0(VALU_DEP_1)
	v_and_or_b32 v3, 0x80, v3, v4
	global_store_b8 v[0:1], v3, off
.LBB344_1798:
	s_mov_b32 s2, 0
.LBB344_1799:
	s_delay_alu instid0(SALU_CYCLE_1)
	s_and_not1_b32 vcc_lo, exec_lo, s2
	s_cbranch_vccnz .LBB344_1809
; %bb.1800:
	v_lshlrev_b32_e32 v9, 16, v5
	v_and_b32_e32 v3, 0xffff, v5
	s_mov_b32 s2, exec_lo
                                        ; implicit-def: $vgpr4
	s_delay_alu instid0(VALU_DEP_2) | instskip(NEXT) | instid1(VALU_DEP_1)
	v_and_b32_e32 v10, 0x7fffffff, v9
	v_cmpx_gt_u32_e32 0x47800000, v10
	s_xor_b32 s2, exec_lo, s2
	s_cbranch_execz .LBB344_1806
; %bb.1801:
	s_mov_b32 s6, exec_lo
                                        ; implicit-def: $vgpr4
	v_cmpx_lt_u32_e32 0x387fffff, v10
	s_xor_b32 s6, exec_lo, s6
; %bb.1802:
	v_bfe_u32 v4, v3, 5, 1
	s_delay_alu instid0(VALU_DEP_1) | instskip(NEXT) | instid1(VALU_DEP_1)
	v_add3_u32 v4, v9, v4, 0x80fffff
                                        ; implicit-def: $vgpr9
	v_lshrrev_b32_e32 v4, 21, v4
; %bb.1803:
	s_and_not1_saveexec_b32 s6, s6
; %bb.1804:
	v_add_f32_e64 v4, 0x43000000, |v9|
; %bb.1805:
	s_or_b32 exec_lo, exec_lo, s6
                                        ; implicit-def: $vgpr10
.LBB344_1806:
	s_and_not1_saveexec_b32 s2, s2
; %bb.1807:
	v_mov_b32_e32 v4, 0x7f
	v_cmp_lt_u32_e32 vcc_lo, 0x7f800000, v10
	s_delay_alu instid0(VALU_DEP_2)
	v_cndmask_b32_e32 v4, 0x7c, v4, vcc_lo
; %bb.1808:
	s_or_b32 exec_lo, exec_lo, s2
	v_lshrrev_b32_e32 v3, 8, v3
	s_delay_alu instid0(VALU_DEP_1)
	v_and_or_b32 v3, 0x80, v3, v4
	global_store_b8 v[0:1], v3, off
.LBB344_1809:
	s_mov_b32 s2, 0
	s_mov_b32 s6, -1
.LBB344_1810:
	s_and_not1_b32 vcc_lo, exec_lo, s2
	s_mov_b32 s2, 0
	s_cbranch_vccnz .LBB344_1817
; %bb.1811:
	v_cmp_lt_i16_e32 vcc_lo, 14, v8
	s_mov_b32 s2, -1
	s_cbranch_vccz .LBB344_1815
; %bb.1812:
	v_cmp_eq_u16_e32 vcc_lo, 15, v8
	s_mov_b32 s0, -1
	s_cbranch_vccz .LBB344_1814
; %bb.1813:
	s_mov_b32 s0, 0
	s_mov_b32 s6, -1
	global_store_b16 v[0:1], v5, off
.LBB344_1814:
	s_mov_b32 s2, 0
.LBB344_1815:
	s_delay_alu instid0(SALU_CYCLE_1)
	s_and_b32 vcc_lo, exec_lo, s2
	s_mov_b32 s2, 0
	s_cbranch_vccz .LBB344_1817
; %bb.1816:
	v_cmp_ne_u16_e64 s0, 11, v8
	s_mov_b32 s2, -1
.LBB344_1817:
	s_delay_alu instid0(VALU_DEP_1)
	s_and_b32 vcc_lo, exec_lo, s0
	s_cbranch_vccnz .LBB344_2073
; %bb.1818:
	s_and_not1_b32 vcc_lo, exec_lo, s2
	s_cbranch_vccnz .LBB344_1820
.LBB344_1819:
	v_and_b32_e32 v3, 0x7fff, v5
	s_mov_b32 s6, -1
	s_delay_alu instid0(VALU_DEP_1)
	v_cmp_ne_u16_e32 vcc_lo, 0, v3
	v_cndmask_b32_e64 v3, 0, 1, vcc_lo
	global_store_b8 v[0:1], v3, off
.LBB344_1820:
	s_mov_b32 s0, 0
	s_branch .LBB344_1822
.LBB344_1821:
	s_mov_b32 s0, -1
	s_mov_b32 s6, 0
.LBB344_1822:
	s_and_b32 vcc_lo, exec_lo, s0
	s_cbranch_vccz .LBB344_1861
; %bb.1823:
	v_cmp_gt_i16_e32 vcc_lo, 5, v8
	s_mov_b32 s0, -1
	s_cbranch_vccnz .LBB344_1844
; %bb.1824:
	v_cmp_gt_i16_e32 vcc_lo, 8, v8
	s_cbranch_vccnz .LBB344_1834
; %bb.1825:
	v_cmp_gt_i16_e32 vcc_lo, 9, v8
	s_cbranch_vccnz .LBB344_1831
; %bb.1826:
	v_cmp_lt_i16_e32 vcc_lo, 9, v8
	s_cbranch_vccz .LBB344_1828
; %bb.1827:
	v_mov_b32_e32 v11, 0
	v_lshlrev_b32_e32 v3, 16, v5
	s_mov_b32 s0, 0
	s_delay_alu instid0(VALU_DEP_2) | instskip(NEXT) | instid1(VALU_DEP_2)
	v_mov_b32_e32 v12, v11
	v_cvt_f64_f32_e32 v[9:10], v3
	global_store_b128 v[0:1], v[9:12], off
.LBB344_1828:
	s_and_not1_b32 vcc_lo, exec_lo, s0
	s_cbranch_vccnz .LBB344_1830
; %bb.1829:
	v_dual_mov_b32 v4, 0 :: v_dual_lshlrev_b32 v3, 16, v5
	global_store_b64 v[0:1], v[3:4], off
.LBB344_1830:
	s_mov_b32 s0, 0
.LBB344_1831:
	s_delay_alu instid0(SALU_CYCLE_1)
	s_and_not1_b32 vcc_lo, exec_lo, s0
	s_cbranch_vccnz .LBB344_1833
; %bb.1832:
	v_lshlrev_b32_e32 v3, 16, v5
	s_delay_alu instid0(VALU_DEP_1) | instskip(NEXT) | instid1(VALU_DEP_1)
	v_cvt_f16_f32_e32 v3, v3
	v_and_b32_e32 v3, 0xffff, v3
	global_store_b32 v[0:1], v3, off
.LBB344_1833:
	s_mov_b32 s0, 0
.LBB344_1834:
	s_delay_alu instid0(SALU_CYCLE_1)
	s_and_not1_b32 vcc_lo, exec_lo, s0
	s_cbranch_vccnz .LBB344_1843
; %bb.1835:
	v_cmp_gt_i16_e32 vcc_lo, 6, v8
	s_mov_b32 s0, -1
	s_cbranch_vccnz .LBB344_1841
; %bb.1836:
	v_cmp_lt_i16_e32 vcc_lo, 6, v8
	s_cbranch_vccz .LBB344_1838
; %bb.1837:
	v_lshlrev_b32_e32 v3, 16, v5
	s_mov_b32 s0, 0
	s_delay_alu instid0(VALU_DEP_1)
	v_cvt_f64_f32_e32 v[3:4], v3
	global_store_b64 v[0:1], v[3:4], off
.LBB344_1838:
	s_and_not1_b32 vcc_lo, exec_lo, s0
	s_cbranch_vccnz .LBB344_1840
; %bb.1839:
	v_lshlrev_b32_e32 v3, 16, v5
	global_store_b32 v[0:1], v3, off
.LBB344_1840:
	s_mov_b32 s0, 0
.LBB344_1841:
	s_delay_alu instid0(SALU_CYCLE_1)
	s_and_not1_b32 vcc_lo, exec_lo, s0
	s_cbranch_vccnz .LBB344_1843
; %bb.1842:
	v_lshlrev_b32_e32 v3, 16, v5
	s_delay_alu instid0(VALU_DEP_1)
	v_cvt_f16_f32_e32 v3, v3
	global_store_b16 v[0:1], v3, off
.LBB344_1843:
	s_mov_b32 s0, 0
.LBB344_1844:
	s_delay_alu instid0(SALU_CYCLE_1)
	s_and_not1_b32 vcc_lo, exec_lo, s0
	s_cbranch_vccnz .LBB344_1860
; %bb.1845:
	v_cmp_gt_i16_e32 vcc_lo, 2, v8
	s_mov_b32 s0, -1
	s_cbranch_vccnz .LBB344_1855
; %bb.1846:
	v_cmp_gt_i16_e32 vcc_lo, 3, v8
	s_cbranch_vccnz .LBB344_1852
; %bb.1847:
	v_cmp_lt_i16_e32 vcc_lo, 3, v8
	s_cbranch_vccz .LBB344_1849
; %bb.1848:
	v_lshlrev_b32_e32 v3, 16, v5
	s_mov_b32 s0, 0
	s_delay_alu instid0(VALU_DEP_1) | instskip(NEXT) | instid1(VALU_DEP_1)
	v_trunc_f32_e32 v3, v3
	v_mul_f32_e64 v4, 0x2f800000, |v3|
	v_ashrrev_i32_e32 v10, 31, v3
	s_delay_alu instid0(VALU_DEP_2) | instskip(NEXT) | instid1(VALU_DEP_1)
	v_floor_f32_e32 v4, v4
	v_fma_f32 v9, 0xcf800000, v4, |v3|
	v_cvt_u32_f32_e32 v4, v4
	s_delay_alu instid0(VALU_DEP_2) | instskip(NEXT) | instid1(VALU_DEP_2)
	v_cvt_u32_f32_e32 v3, v9
	v_xor_b32_e32 v4, v4, v10
	s_delay_alu instid0(VALU_DEP_2) | instskip(NEXT) | instid1(VALU_DEP_1)
	v_xor_b32_e32 v3, v3, v10
	v_sub_co_u32 v3, vcc_lo, v3, v10
	s_delay_alu instid0(VALU_DEP_3)
	v_sub_co_ci_u32_e32 v4, vcc_lo, v4, v10, vcc_lo
	global_store_b64 v[0:1], v[3:4], off
.LBB344_1849:
	s_and_not1_b32 vcc_lo, exec_lo, s0
	s_cbranch_vccnz .LBB344_1851
; %bb.1850:
	v_lshlrev_b32_e32 v3, 16, v5
	s_delay_alu instid0(VALU_DEP_1)
	v_cvt_i32_f32_e32 v3, v3
	global_store_b32 v[0:1], v3, off
.LBB344_1851:
	s_mov_b32 s0, 0
.LBB344_1852:
	s_delay_alu instid0(SALU_CYCLE_1)
	s_and_not1_b32 vcc_lo, exec_lo, s0
	s_cbranch_vccnz .LBB344_1854
; %bb.1853:
	v_lshlrev_b32_e32 v3, 16, v5
	s_delay_alu instid0(VALU_DEP_1)
	v_cvt_i32_f32_e32 v3, v3
	global_store_b16 v[0:1], v3, off
.LBB344_1854:
	s_mov_b32 s0, 0
.LBB344_1855:
	s_delay_alu instid0(SALU_CYCLE_1)
	s_and_not1_b32 vcc_lo, exec_lo, s0
	s_cbranch_vccnz .LBB344_1860
; %bb.1856:
	v_cmp_lt_i16_e32 vcc_lo, 0, v8
	v_lshlrev_b32_e32 v3, 16, v5
	s_mov_b32 s0, -1
	s_cbranch_vccz .LBB344_1858
; %bb.1857:
	s_delay_alu instid0(VALU_DEP_1)
	v_cvt_i32_f32_e32 v4, v3
	s_mov_b32 s0, 0
	global_store_b8 v[0:1], v4, off
.LBB344_1858:
	s_and_not1_b32 vcc_lo, exec_lo, s0
	s_cbranch_vccnz .LBB344_1860
; %bb.1859:
	v_trunc_f32_e32 v3, v3
	s_delay_alu instid0(VALU_DEP_1) | instskip(NEXT) | instid1(VALU_DEP_1)
	v_mul_f32_e64 v4, 0x2f800000, |v3|
	v_floor_f32_e32 v4, v4
	s_delay_alu instid0(VALU_DEP_1) | instskip(SKIP_1) | instid1(VALU_DEP_2)
	v_fma_f32 v4, 0xcf800000, v4, |v3|
	v_ashrrev_i32_e32 v3, 31, v3
	v_cvt_u32_f32_e32 v4, v4
	s_delay_alu instid0(VALU_DEP_1) | instskip(NEXT) | instid1(VALU_DEP_1)
	v_xor_b32_e32 v4, v4, v3
	v_sub_nc_u32_e32 v3, v4, v3
	global_store_b8 v[0:1], v3, off
.LBB344_1860:
	s_mov_b32 s6, -1
.LBB344_1861:
	s_delay_alu instid0(SALU_CYCLE_1)
	s_and_not1_b32 vcc_lo, exec_lo, s6
	s_cbranch_vccnz .LBB344_2057
; %bb.1862:
	v_add_nc_u32_e32 v2, s1, v2
	v_cmp_gt_i16_e32 vcc_lo, 11, v8
	s_delay_alu instid0(VALU_DEP_2) | instskip(SKIP_1) | instid1(VALU_DEP_1)
	v_ashrrev_i32_e32 v1, 31, v2
	v_add_co_u32 v0, s0, s4, v2
	v_add_co_ci_u32_e64 v1, s0, s5, v1, s0
	s_cbranch_vccnz .LBB344_1940
; %bb.1863:
	v_cmp_lt_i16_e32 vcc_lo, 25, v8
	s_mov_b32 s7, -1
	s_mov_b32 s2, 0
	s_mov_b32 s6, 0
	;; [unrolled: 1-line block ×3, first 2 shown]
	s_cbranch_vccz .LBB344_1896
; %bb.1864:
	v_cmp_lt_i16_e32 vcc_lo, 28, v8
	s_cbranch_vccz .LBB344_1879
; %bb.1865:
	v_cmp_lt_i16_e32 vcc_lo, 43, v8
	;; [unrolled: 3-line block ×3, first 2 shown]
	s_cbranch_vccz .LBB344_1869
; %bb.1867:
	v_cmp_eq_u16_e32 vcc_lo, 46, v8
	s_mov_b32 s0, -1
	s_mov_b32 s7, 0
	s_cbranch_vccz .LBB344_1869
; %bb.1868:
	v_and_b32_e32 v3, 0xffff, v7
	s_mov_b32 s0, 0
	s_mov_b32 s6, -1
	global_store_b32 v[0:1], v3, off
.LBB344_1869:
	s_and_b32 vcc_lo, exec_lo, s7
	s_cbranch_vccz .LBB344_1874
; %bb.1870:
	v_cmp_eq_u16_e32 vcc_lo, 44, v8
	s_mov_b32 s0, -1
	s_cbranch_vccz .LBB344_1874
; %bb.1871:
	v_and_b32_e32 v3, 0xffff, v7
	v_mov_b32_e32 v4, 0xff
	s_mov_b32 s6, exec_lo
	s_delay_alu instid0(VALU_DEP_2) | instskip(NEXT) | instid1(VALU_DEP_1)
	v_bfe_u32 v5, v3, 7, 8
	v_cmpx_ne_u32_e32 0xff, v5
; %bb.1872:
	v_lshlrev_b32_e32 v4, 16, v3
	v_and_b32_e32 v9, 64, v3
	v_lshrrev_b32_e32 v3, 7, v3
	s_delay_alu instid0(VALU_DEP_3) | instskip(NEXT) | instid1(VALU_DEP_3)
	v_and_or_b32 v4, 0x3f0000, v4, v5
	v_cmp_ne_u32_e32 vcc_lo, 0, v9
	s_delay_alu instid0(VALU_DEP_2) | instskip(NEXT) | instid1(VALU_DEP_1)
	v_cmp_ne_u32_e64 s0, 0, v4
	s_and_b32 s0, vcc_lo, s0
	s_delay_alu instid0(SALU_CYCLE_1) | instskip(NEXT) | instid1(VALU_DEP_1)
	v_cndmask_b32_e64 v4, 0, 1, s0
	v_add_nc_u32_e32 v4, v3, v4
; %bb.1873:
	s_or_b32 exec_lo, exec_lo, s6
	s_mov_b32 s0, 0
	s_mov_b32 s6, -1
	global_store_b8 v[0:1], v4, off
.LBB344_1874:
	s_mov_b32 s7, 0
.LBB344_1875:
	s_delay_alu instid0(SALU_CYCLE_1)
	s_and_b32 vcc_lo, exec_lo, s7
	s_cbranch_vccz .LBB344_1878
; %bb.1876:
	v_cmp_eq_u16_e32 vcc_lo, 29, v8
	s_mov_b32 s0, -1
	s_cbranch_vccz .LBB344_1878
; %bb.1877:
	v_lshlrev_b32_e32 v3, 16, v7
	s_mov_b32 s0, 0
	s_mov_b32 s6, -1
	s_delay_alu instid0(VALU_DEP_1) | instskip(NEXT) | instid1(VALU_DEP_1)
	v_trunc_f32_e32 v3, v3
	v_mul_f32_e32 v4, 0x2f800000, v3
	s_delay_alu instid0(VALU_DEP_1) | instskip(NEXT) | instid1(VALU_DEP_1)
	v_floor_f32_e32 v4, v4
	v_fmamk_f32 v3, v4, 0xcf800000, v3
	v_cvt_u32_f32_e32 v4, v4
	s_delay_alu instid0(VALU_DEP_2)
	v_cvt_u32_f32_e32 v3, v3
	global_store_b64 v[0:1], v[3:4], off
.LBB344_1878:
	s_mov_b32 s7, 0
.LBB344_1879:
	s_delay_alu instid0(SALU_CYCLE_1)
	s_and_b32 vcc_lo, exec_lo, s7
	s_cbranch_vccz .LBB344_1895
; %bb.1880:
	v_cmp_gt_i16_e32 vcc_lo, 27, v8
	s_mov_b32 s6, -1
	s_cbranch_vccnz .LBB344_1886
; %bb.1881:
	v_cmp_lt_i16_e32 vcc_lo, 27, v8
	s_cbranch_vccz .LBB344_1883
; %bb.1882:
	v_lshlrev_b32_e32 v3, 16, v7
	s_mov_b32 s6, 0
	s_delay_alu instid0(VALU_DEP_1)
	v_cvt_u32_f32_e32 v3, v3
	global_store_b32 v[0:1], v3, off
.LBB344_1883:
	s_and_not1_b32 vcc_lo, exec_lo, s6
	s_cbranch_vccnz .LBB344_1885
; %bb.1884:
	v_lshlrev_b32_e32 v3, 16, v7
	s_delay_alu instid0(VALU_DEP_1)
	v_cvt_u32_f32_e32 v3, v3
	global_store_b16 v[0:1], v3, off
.LBB344_1885:
	s_mov_b32 s6, 0
.LBB344_1886:
	s_delay_alu instid0(SALU_CYCLE_1)
	s_and_not1_b32 vcc_lo, exec_lo, s6
	s_cbranch_vccnz .LBB344_1894
; %bb.1887:
	v_lshlrev_b32_e32 v5, 16, v7
	v_mov_b32_e32 v9, 0x80
	s_mov_b32 s6, exec_lo
	s_delay_alu instid0(VALU_DEP_2) | instskip(NEXT) | instid1(VALU_DEP_1)
	v_and_b32_e32 v4, 0x7fffffff, v5
	v_cmpx_gt_u32_e32 0x43800000, v4
	s_cbranch_execz .LBB344_1893
; %bb.1888:
	v_and_b32_e32 v3, 0xffff, v7
	v_cmp_lt_u32_e32 vcc_lo, 0x3bffffff, v4
	s_mov_b32 s7, 0
                                        ; implicit-def: $vgpr4
	s_and_saveexec_b32 s8, vcc_lo
	s_delay_alu instid0(SALU_CYCLE_1)
	s_xor_b32 s8, exec_lo, s8
	s_cbranch_execz .LBB344_2077
; %bb.1889:
	v_bfe_u32 v4, v3, 4, 1
	s_mov_b32 s7, exec_lo
	s_delay_alu instid0(VALU_DEP_1) | instskip(NEXT) | instid1(VALU_DEP_1)
	v_add3_u32 v4, v5, v4, 0x487ffff
                                        ; implicit-def: $vgpr5
	v_lshrrev_b32_e32 v4, 20, v4
	s_or_saveexec_b32 s8, s8
                                        ; implicit-def: $sgpr9
	s_delay_alu instid0(SALU_CYCLE_1)
	s_xor_b32 exec_lo, exec_lo, s8
	s_cbranch_execnz .LBB344_2078
.LBB344_1890:
	s_or_b32 exec_lo, exec_lo, s8
	v_mov_b32_e32 v9, s9
	s_and_saveexec_b32 s8, s7
.LBB344_1891:
	v_lshrrev_b32_e32 v3, 8, v3
	s_delay_alu instid0(VALU_DEP_1)
	v_and_or_b32 v9, 0x80, v3, v4
.LBB344_1892:
	s_or_b32 exec_lo, exec_lo, s8
.LBB344_1893:
	s_delay_alu instid0(SALU_CYCLE_1)
	s_or_b32 exec_lo, exec_lo, s6
	global_store_b8 v[0:1], v9, off
.LBB344_1894:
	s_mov_b32 s6, -1
.LBB344_1895:
	s_mov_b32 s7, 0
.LBB344_1896:
	s_delay_alu instid0(SALU_CYCLE_1)
	s_and_b32 vcc_lo, exec_lo, s7
	s_cbranch_vccz .LBB344_1936
; %bb.1897:
	v_cmp_lt_i16_e32 vcc_lo, 22, v8
	s_mov_b32 s2, -1
	s_cbranch_vccz .LBB344_1929
; %bb.1898:
	v_cmp_gt_i16_e32 vcc_lo, 24, v8
	s_cbranch_vccnz .LBB344_1918
; %bb.1899:
	v_cmp_lt_i16_e32 vcc_lo, 24, v8
	s_cbranch_vccz .LBB344_1907
; %bb.1900:
	v_lshlrev_b32_e32 v5, 16, v7
	v_mov_b32_e32 v9, 0x80
	s_mov_b32 s2, exec_lo
	s_delay_alu instid0(VALU_DEP_2) | instskip(NEXT) | instid1(VALU_DEP_1)
	v_and_b32_e32 v4, 0x7fffffff, v5
	v_cmpx_gt_u32_e32 0x47800000, v4
	s_cbranch_execz .LBB344_1906
; %bb.1901:
	v_and_b32_e32 v3, 0xffff, v7
	v_cmp_lt_u32_e32 vcc_lo, 0x37ffffff, v4
	s_mov_b32 s6, 0
                                        ; implicit-def: $vgpr4
	s_and_saveexec_b32 s7, vcc_lo
	s_delay_alu instid0(SALU_CYCLE_1)
	s_xor_b32 s7, exec_lo, s7
	s_cbranch_execz .LBB344_2083
; %bb.1902:
	v_bfe_u32 v4, v3, 5, 1
	s_mov_b32 s6, exec_lo
	s_delay_alu instid0(VALU_DEP_1) | instskip(NEXT) | instid1(VALU_DEP_1)
	v_add3_u32 v4, v5, v4, 0x88fffff
                                        ; implicit-def: $vgpr5
	v_lshrrev_b32_e32 v4, 21, v4
	s_or_saveexec_b32 s7, s7
                                        ; implicit-def: $sgpr8
	s_delay_alu instid0(SALU_CYCLE_1)
	s_xor_b32 exec_lo, exec_lo, s7
	s_cbranch_execnz .LBB344_2084
.LBB344_1903:
	s_or_b32 exec_lo, exec_lo, s7
	v_mov_b32_e32 v9, s8
	s_and_saveexec_b32 s7, s6
.LBB344_1904:
	v_lshrrev_b32_e32 v3, 8, v3
	s_delay_alu instid0(VALU_DEP_1)
	v_and_or_b32 v9, 0x80, v3, v4
.LBB344_1905:
	s_or_b32 exec_lo, exec_lo, s7
.LBB344_1906:
	s_delay_alu instid0(SALU_CYCLE_1)
	s_or_b32 exec_lo, exec_lo, s2
	s_mov_b32 s2, 0
	global_store_b8 v[0:1], v9, off
.LBB344_1907:
	s_and_b32 vcc_lo, exec_lo, s2
	s_cbranch_vccz .LBB344_1917
; %bb.1908:
	v_lshlrev_b32_e32 v5, 16, v7
	v_and_b32_e32 v3, 0xffff, v7
	s_mov_b32 s2, exec_lo
                                        ; implicit-def: $vgpr4
	s_delay_alu instid0(VALU_DEP_2) | instskip(NEXT) | instid1(VALU_DEP_1)
	v_and_b32_e32 v9, 0x7fffffff, v5
	v_cmpx_gt_u32_e32 0x43f00000, v9
	s_xor_b32 s2, exec_lo, s2
	s_cbranch_execz .LBB344_1914
; %bb.1909:
	s_mov_b32 s6, exec_lo
                                        ; implicit-def: $vgpr4
	v_cmpx_lt_u32_e32 0x3c7fffff, v9
	s_xor_b32 s6, exec_lo, s6
; %bb.1910:
	v_bfe_u32 v4, v3, 4, 1
	s_delay_alu instid0(VALU_DEP_1) | instskip(NEXT) | instid1(VALU_DEP_1)
	v_add3_u32 v4, v5, v4, 0x407ffff
	v_and_b32_e32 v5, 0xff00000, v4
	v_lshrrev_b32_e32 v4, 20, v4
	s_delay_alu instid0(VALU_DEP_2) | instskip(NEXT) | instid1(VALU_DEP_2)
	v_cmp_ne_u32_e32 vcc_lo, 0x7f00000, v5
                                        ; implicit-def: $vgpr5
	v_cndmask_b32_e32 v4, 0x7e, v4, vcc_lo
; %bb.1911:
	s_and_not1_saveexec_b32 s6, s6
; %bb.1912:
	v_add_f32_e64 v4, 0x46800000, |v5|
; %bb.1913:
	s_or_b32 exec_lo, exec_lo, s6
                                        ; implicit-def: $vgpr9
.LBB344_1914:
	s_and_not1_saveexec_b32 s2, s2
; %bb.1915:
	v_mov_b32_e32 v4, 0x7f
	v_cmp_lt_u32_e32 vcc_lo, 0x7f800000, v9
	s_delay_alu instid0(VALU_DEP_2)
	v_cndmask_b32_e32 v4, 0x7e, v4, vcc_lo
; %bb.1916:
	s_or_b32 exec_lo, exec_lo, s2
	v_lshrrev_b32_e32 v3, 8, v3
	s_delay_alu instid0(VALU_DEP_1)
	v_and_or_b32 v3, 0x80, v3, v4
	global_store_b8 v[0:1], v3, off
.LBB344_1917:
	s_mov_b32 s2, 0
.LBB344_1918:
	s_delay_alu instid0(SALU_CYCLE_1)
	s_and_not1_b32 vcc_lo, exec_lo, s2
	s_cbranch_vccnz .LBB344_1928
; %bb.1919:
	v_lshlrev_b32_e32 v5, 16, v7
	v_and_b32_e32 v3, 0xffff, v7
	s_mov_b32 s2, exec_lo
                                        ; implicit-def: $vgpr4
	s_delay_alu instid0(VALU_DEP_2) | instskip(NEXT) | instid1(VALU_DEP_1)
	v_and_b32_e32 v9, 0x7fffffff, v5
	v_cmpx_gt_u32_e32 0x47800000, v9
	s_xor_b32 s2, exec_lo, s2
	s_cbranch_execz .LBB344_1925
; %bb.1920:
	s_mov_b32 s6, exec_lo
                                        ; implicit-def: $vgpr4
	v_cmpx_lt_u32_e32 0x387fffff, v9
	s_xor_b32 s6, exec_lo, s6
; %bb.1921:
	v_bfe_u32 v4, v3, 5, 1
	s_delay_alu instid0(VALU_DEP_1) | instskip(NEXT) | instid1(VALU_DEP_1)
	v_add3_u32 v4, v5, v4, 0x80fffff
                                        ; implicit-def: $vgpr5
	v_lshrrev_b32_e32 v4, 21, v4
; %bb.1922:
	s_and_not1_saveexec_b32 s6, s6
; %bb.1923:
	v_add_f32_e64 v4, 0x43000000, |v5|
; %bb.1924:
	s_or_b32 exec_lo, exec_lo, s6
                                        ; implicit-def: $vgpr9
.LBB344_1925:
	s_and_not1_saveexec_b32 s2, s2
; %bb.1926:
	v_mov_b32_e32 v4, 0x7f
	v_cmp_lt_u32_e32 vcc_lo, 0x7f800000, v9
	s_delay_alu instid0(VALU_DEP_2)
	v_cndmask_b32_e32 v4, 0x7c, v4, vcc_lo
; %bb.1927:
	s_or_b32 exec_lo, exec_lo, s2
	v_lshrrev_b32_e32 v3, 8, v3
	s_delay_alu instid0(VALU_DEP_1)
	v_and_or_b32 v3, 0x80, v3, v4
	global_store_b8 v[0:1], v3, off
.LBB344_1928:
	s_mov_b32 s2, 0
	s_mov_b32 s6, -1
.LBB344_1929:
	s_and_not1_b32 vcc_lo, exec_lo, s2
	s_mov_b32 s2, 0
	s_cbranch_vccnz .LBB344_1936
; %bb.1930:
	v_cmp_lt_i16_e32 vcc_lo, 14, v8
	s_mov_b32 s2, -1
	s_cbranch_vccz .LBB344_1934
; %bb.1931:
	v_cmp_eq_u16_e32 vcc_lo, 15, v8
	s_mov_b32 s0, -1
	s_cbranch_vccz .LBB344_1933
; %bb.1932:
	s_mov_b32 s0, 0
	s_mov_b32 s6, -1
	global_store_b16 v[0:1], v7, off
.LBB344_1933:
	s_mov_b32 s2, 0
.LBB344_1934:
	s_delay_alu instid0(SALU_CYCLE_1)
	s_and_b32 vcc_lo, exec_lo, s2
	s_mov_b32 s2, 0
	s_cbranch_vccz .LBB344_1936
; %bb.1935:
	v_cmp_ne_u16_e64 s0, 11, v8
	s_mov_b32 s2, -1
.LBB344_1936:
	s_delay_alu instid0(VALU_DEP_1)
	s_and_b32 vcc_lo, exec_lo, s0
	s_cbranch_vccnz .LBB344_2081
; %bb.1937:
	s_and_not1_b32 vcc_lo, exec_lo, s2
	s_cbranch_vccnz .LBB344_1939
.LBB344_1938:
	v_and_b32_e32 v3, 0x7fff, v7
	s_mov_b32 s6, -1
	s_delay_alu instid0(VALU_DEP_1)
	v_cmp_ne_u16_e32 vcc_lo, 0, v3
	v_cndmask_b32_e64 v3, 0, 1, vcc_lo
	global_store_b8 v[0:1], v3, off
.LBB344_1939:
	s_mov_b32 s0, 0
	s_branch .LBB344_1941
.LBB344_1940:
	s_mov_b32 s0, -1
	s_mov_b32 s6, 0
.LBB344_1941:
	s_and_b32 vcc_lo, exec_lo, s0
	s_cbranch_vccz .LBB344_1980
; %bb.1942:
	v_cmp_gt_i16_e32 vcc_lo, 5, v8
	s_mov_b32 s0, -1
	s_cbranch_vccnz .LBB344_1963
; %bb.1943:
	v_cmp_gt_i16_e32 vcc_lo, 8, v8
	s_cbranch_vccnz .LBB344_1953
; %bb.1944:
	v_cmp_gt_i16_e32 vcc_lo, 9, v8
	s_cbranch_vccnz .LBB344_1950
; %bb.1945:
	v_cmp_lt_i16_e32 vcc_lo, 9, v8
	s_cbranch_vccz .LBB344_1947
; %bb.1946:
	v_mov_b32_e32 v11, 0
	v_lshlrev_b32_e32 v3, 16, v7
	s_mov_b32 s0, 0
	s_delay_alu instid0(VALU_DEP_2) | instskip(NEXT) | instid1(VALU_DEP_2)
	v_mov_b32_e32 v12, v11
	v_cvt_f64_f32_e32 v[9:10], v3
	global_store_b128 v[0:1], v[9:12], off
.LBB344_1947:
	s_and_not1_b32 vcc_lo, exec_lo, s0
	s_cbranch_vccnz .LBB344_1949
; %bb.1948:
	v_dual_mov_b32 v4, 0 :: v_dual_lshlrev_b32 v3, 16, v7
	global_store_b64 v[0:1], v[3:4], off
.LBB344_1949:
	s_mov_b32 s0, 0
.LBB344_1950:
	s_delay_alu instid0(SALU_CYCLE_1)
	s_and_not1_b32 vcc_lo, exec_lo, s0
	s_cbranch_vccnz .LBB344_1952
; %bb.1951:
	v_lshlrev_b32_e32 v3, 16, v7
	s_delay_alu instid0(VALU_DEP_1) | instskip(NEXT) | instid1(VALU_DEP_1)
	v_cvt_f16_f32_e32 v3, v3
	v_and_b32_e32 v3, 0xffff, v3
	global_store_b32 v[0:1], v3, off
.LBB344_1952:
	s_mov_b32 s0, 0
.LBB344_1953:
	s_delay_alu instid0(SALU_CYCLE_1)
	s_and_not1_b32 vcc_lo, exec_lo, s0
	s_cbranch_vccnz .LBB344_1962
; %bb.1954:
	v_cmp_gt_i16_e32 vcc_lo, 6, v8
	s_mov_b32 s0, -1
	s_cbranch_vccnz .LBB344_1960
; %bb.1955:
	v_cmp_lt_i16_e32 vcc_lo, 6, v8
	s_cbranch_vccz .LBB344_1957
; %bb.1956:
	v_lshlrev_b32_e32 v3, 16, v7
	s_mov_b32 s0, 0
	s_delay_alu instid0(VALU_DEP_1)
	v_cvt_f64_f32_e32 v[3:4], v3
	global_store_b64 v[0:1], v[3:4], off
.LBB344_1957:
	s_and_not1_b32 vcc_lo, exec_lo, s0
	s_cbranch_vccnz .LBB344_1959
; %bb.1958:
	v_lshlrev_b32_e32 v3, 16, v7
	global_store_b32 v[0:1], v3, off
.LBB344_1959:
	s_mov_b32 s0, 0
.LBB344_1960:
	s_delay_alu instid0(SALU_CYCLE_1)
	s_and_not1_b32 vcc_lo, exec_lo, s0
	s_cbranch_vccnz .LBB344_1962
; %bb.1961:
	v_lshlrev_b32_e32 v3, 16, v7
	s_delay_alu instid0(VALU_DEP_1)
	v_cvt_f16_f32_e32 v3, v3
	global_store_b16 v[0:1], v3, off
.LBB344_1962:
	s_mov_b32 s0, 0
.LBB344_1963:
	s_delay_alu instid0(SALU_CYCLE_1)
	s_and_not1_b32 vcc_lo, exec_lo, s0
	s_cbranch_vccnz .LBB344_1979
; %bb.1964:
	v_cmp_gt_i16_e32 vcc_lo, 2, v8
	s_mov_b32 s0, -1
	s_cbranch_vccnz .LBB344_1974
; %bb.1965:
	v_cmp_gt_i16_e32 vcc_lo, 3, v8
	s_cbranch_vccnz .LBB344_1971
; %bb.1966:
	v_cmp_lt_i16_e32 vcc_lo, 3, v8
	s_cbranch_vccz .LBB344_1968
; %bb.1967:
	v_lshlrev_b32_e32 v3, 16, v7
	s_mov_b32 s0, 0
	s_delay_alu instid0(VALU_DEP_1) | instskip(NEXT) | instid1(VALU_DEP_1)
	v_trunc_f32_e32 v3, v3
	v_mul_f32_e64 v4, 0x2f800000, |v3|
	v_ashrrev_i32_e32 v9, 31, v3
	s_delay_alu instid0(VALU_DEP_2) | instskip(NEXT) | instid1(VALU_DEP_1)
	v_floor_f32_e32 v4, v4
	v_fma_f32 v5, 0xcf800000, v4, |v3|
	v_cvt_u32_f32_e32 v4, v4
	s_delay_alu instid0(VALU_DEP_2) | instskip(NEXT) | instid1(VALU_DEP_2)
	v_cvt_u32_f32_e32 v3, v5
	v_xor_b32_e32 v4, v4, v9
	s_delay_alu instid0(VALU_DEP_2) | instskip(NEXT) | instid1(VALU_DEP_1)
	v_xor_b32_e32 v3, v3, v9
	v_sub_co_u32 v3, vcc_lo, v3, v9
	s_delay_alu instid0(VALU_DEP_3)
	v_sub_co_ci_u32_e32 v4, vcc_lo, v4, v9, vcc_lo
	global_store_b64 v[0:1], v[3:4], off
.LBB344_1968:
	s_and_not1_b32 vcc_lo, exec_lo, s0
	s_cbranch_vccnz .LBB344_1970
; %bb.1969:
	v_lshlrev_b32_e32 v3, 16, v7
	s_delay_alu instid0(VALU_DEP_1)
	v_cvt_i32_f32_e32 v3, v3
	global_store_b32 v[0:1], v3, off
.LBB344_1970:
	s_mov_b32 s0, 0
.LBB344_1971:
	s_delay_alu instid0(SALU_CYCLE_1)
	s_and_not1_b32 vcc_lo, exec_lo, s0
	s_cbranch_vccnz .LBB344_1973
; %bb.1972:
	v_lshlrev_b32_e32 v3, 16, v7
	s_delay_alu instid0(VALU_DEP_1)
	v_cvt_i32_f32_e32 v3, v3
	global_store_b16 v[0:1], v3, off
.LBB344_1973:
	s_mov_b32 s0, 0
.LBB344_1974:
	s_delay_alu instid0(SALU_CYCLE_1)
	s_and_not1_b32 vcc_lo, exec_lo, s0
	s_cbranch_vccnz .LBB344_1979
; %bb.1975:
	v_cmp_lt_i16_e32 vcc_lo, 0, v8
	v_lshlrev_b32_e32 v3, 16, v7
	s_mov_b32 s0, -1
	s_cbranch_vccz .LBB344_1977
; %bb.1976:
	s_delay_alu instid0(VALU_DEP_1)
	v_cvt_i32_f32_e32 v4, v3
	s_mov_b32 s0, 0
	global_store_b8 v[0:1], v4, off
.LBB344_1977:
	s_and_not1_b32 vcc_lo, exec_lo, s0
	s_cbranch_vccnz .LBB344_1979
; %bb.1978:
	v_trunc_f32_e32 v3, v3
	s_delay_alu instid0(VALU_DEP_1) | instskip(NEXT) | instid1(VALU_DEP_1)
	v_mul_f32_e64 v4, 0x2f800000, |v3|
	v_floor_f32_e32 v4, v4
	s_delay_alu instid0(VALU_DEP_1) | instskip(SKIP_1) | instid1(VALU_DEP_2)
	v_fma_f32 v4, 0xcf800000, v4, |v3|
	v_ashrrev_i32_e32 v3, 31, v3
	v_cvt_u32_f32_e32 v4, v4
	s_delay_alu instid0(VALU_DEP_1) | instskip(NEXT) | instid1(VALU_DEP_1)
	v_xor_b32_e32 v4, v4, v3
	v_sub_nc_u32_e32 v3, v4, v3
	global_store_b8 v[0:1], v3, off
.LBB344_1979:
	s_mov_b32 s6, -1
.LBB344_1980:
	s_delay_alu instid0(SALU_CYCLE_1)
	s_and_not1_b32 vcc_lo, exec_lo, s6
	s_cbranch_vccnz .LBB344_2057
; %bb.1981:
	v_add_nc_u32_e32 v0, s1, v2
	v_cmp_gt_i16_e32 vcc_lo, 11, v8
	s_delay_alu instid0(VALU_DEP_2) | instskip(SKIP_1) | instid1(VALU_DEP_1)
	v_ashrrev_i32_e32 v1, 31, v0
	v_add_co_u32 v0, s0, s4, v0
	v_add_co_ci_u32_e64 v1, s0, s5, v1, s0
	s_cbranch_vccnz .LBB344_2058
; %bb.1982:
	v_cmp_lt_i16_e32 vcc_lo, 25, v8
	s_mov_b32 s2, -1
	s_mov_b32 s1, 0
	s_mov_b32 s0, 0
	s_cbranch_vccz .LBB344_2015
; %bb.1983:
	v_cmp_lt_i16_e32 vcc_lo, 28, v8
	s_cbranch_vccz .LBB344_1999
; %bb.1984:
	v_cmp_lt_i16_e32 vcc_lo, 43, v8
	;; [unrolled: 3-line block ×3, first 2 shown]
	s_cbranch_vccz .LBB344_1989
; %bb.1986:
	v_cmp_eq_u16_e32 vcc_lo, 46, v8
	s_mov_b32 s0, -1
	s_cbranch_vccz .LBB344_1988
; %bb.1987:
	v_and_b32_e32 v2, 0xffff, v6
	s_mov_b32 s0, 0
	global_store_b32 v[0:1], v2, off
.LBB344_1988:
	s_mov_b32 s2, 0
.LBB344_1989:
	s_delay_alu instid0(SALU_CYCLE_1)
	s_and_b32 vcc_lo, exec_lo, s2
	s_cbranch_vccz .LBB344_1994
; %bb.1990:
	v_cmp_eq_u16_e32 vcc_lo, 44, v8
	s_mov_b32 s0, -1
	s_cbranch_vccz .LBB344_1994
; %bb.1991:
	v_and_b32_e32 v2, 0xffff, v6
	v_mov_b32_e32 v3, 0xff
	s_mov_b32 s2, exec_lo
	s_delay_alu instid0(VALU_DEP_2) | instskip(NEXT) | instid1(VALU_DEP_1)
	v_bfe_u32 v4, v2, 7, 8
	v_cmpx_ne_u32_e32 0xff, v4
; %bb.1992:
	v_lshlrev_b32_e32 v3, 16, v2
	v_and_b32_e32 v5, 64, v2
	v_lshrrev_b32_e32 v2, 7, v2
	s_delay_alu instid0(VALU_DEP_3) | instskip(NEXT) | instid1(VALU_DEP_3)
	v_and_or_b32 v3, 0x3f0000, v3, v4
	v_cmp_ne_u32_e32 vcc_lo, 0, v5
	s_delay_alu instid0(VALU_DEP_2) | instskip(NEXT) | instid1(VALU_DEP_1)
	v_cmp_ne_u32_e64 s0, 0, v3
	s_and_b32 s0, vcc_lo, s0
	s_delay_alu instid0(SALU_CYCLE_1) | instskip(NEXT) | instid1(VALU_DEP_1)
	v_cndmask_b32_e64 v3, 0, 1, s0
	v_add_nc_u32_e32 v3, v2, v3
; %bb.1993:
	s_or_b32 exec_lo, exec_lo, s2
	s_mov_b32 s0, 0
	global_store_b8 v[0:1], v3, off
.LBB344_1994:
	s_mov_b32 s2, 0
.LBB344_1995:
	s_delay_alu instid0(SALU_CYCLE_1)
	s_and_b32 vcc_lo, exec_lo, s2
	s_cbranch_vccz .LBB344_1998
; %bb.1996:
	v_cmp_eq_u16_e32 vcc_lo, 29, v8
	s_mov_b32 s0, -1
	s_cbranch_vccz .LBB344_1998
; %bb.1997:
	v_lshlrev_b32_e32 v2, 16, v6
	s_mov_b32 s0, 0
	s_delay_alu instid0(VALU_DEP_1) | instskip(NEXT) | instid1(VALU_DEP_1)
	v_trunc_f32_e32 v2, v2
	v_mul_f32_e32 v3, 0x2f800000, v2
	s_delay_alu instid0(VALU_DEP_1) | instskip(NEXT) | instid1(VALU_DEP_1)
	v_floor_f32_e32 v3, v3
	v_fmamk_f32 v2, v3, 0xcf800000, v2
	v_cvt_u32_f32_e32 v3, v3
	s_delay_alu instid0(VALU_DEP_2)
	v_cvt_u32_f32_e32 v2, v2
	global_store_b64 v[0:1], v[2:3], off
.LBB344_1998:
	s_mov_b32 s2, 0
.LBB344_1999:
	s_delay_alu instid0(SALU_CYCLE_1)
	s_and_b32 vcc_lo, exec_lo, s2
	s_cbranch_vccz .LBB344_2014
; %bb.2000:
	v_cmp_gt_i16_e32 vcc_lo, 27, v8
	s_mov_b32 s2, -1
	s_cbranch_vccnz .LBB344_2006
; %bb.2001:
	v_cmp_lt_i16_e32 vcc_lo, 27, v8
	s_cbranch_vccz .LBB344_2003
; %bb.2002:
	v_lshlrev_b32_e32 v2, 16, v6
	s_mov_b32 s2, 0
	s_delay_alu instid0(VALU_DEP_1)
	v_cvt_u32_f32_e32 v2, v2
	global_store_b32 v[0:1], v2, off
.LBB344_2003:
	s_and_not1_b32 vcc_lo, exec_lo, s2
	s_cbranch_vccnz .LBB344_2005
; %bb.2004:
	v_lshlrev_b32_e32 v2, 16, v6
	s_delay_alu instid0(VALU_DEP_1)
	v_cvt_u32_f32_e32 v2, v2
	global_store_b16 v[0:1], v2, off
.LBB344_2005:
	s_mov_b32 s2, 0
.LBB344_2006:
	s_delay_alu instid0(SALU_CYCLE_1)
	s_and_not1_b32 vcc_lo, exec_lo, s2
	s_cbranch_vccnz .LBB344_2014
; %bb.2007:
	v_dual_mov_b32 v5, 0x80 :: v_dual_lshlrev_b32 v4, 16, v6
	s_mov_b32 s2, exec_lo
	s_delay_alu instid0(VALU_DEP_1) | instskip(NEXT) | instid1(VALU_DEP_1)
	v_and_b32_e32 v3, 0x7fffffff, v4
	v_cmpx_gt_u32_e32 0x43800000, v3
	s_cbranch_execz .LBB344_2013
; %bb.2008:
	v_and_b32_e32 v2, 0xffff, v6
	v_cmp_lt_u32_e32 vcc_lo, 0x3bffffff, v3
	s_mov_b32 s4, 0
                                        ; implicit-def: $vgpr3
	s_and_saveexec_b32 s5, vcc_lo
	s_delay_alu instid0(SALU_CYCLE_1)
	s_xor_b32 s5, exec_lo, s5
	s_cbranch_execz .LBB344_2085
; %bb.2009:
	v_bfe_u32 v3, v2, 4, 1
	s_mov_b32 s4, exec_lo
	s_delay_alu instid0(VALU_DEP_1) | instskip(NEXT) | instid1(VALU_DEP_1)
	v_add3_u32 v3, v4, v3, 0x487ffff
                                        ; implicit-def: $vgpr4
	v_lshrrev_b32_e32 v3, 20, v3
	s_or_saveexec_b32 s5, s5
                                        ; implicit-def: $sgpr6
	s_delay_alu instid0(SALU_CYCLE_1)
	s_xor_b32 exec_lo, exec_lo, s5
	s_cbranch_execnz .LBB344_2086
.LBB344_2010:
	s_or_b32 exec_lo, exec_lo, s5
	v_mov_b32_e32 v5, s6
	s_and_saveexec_b32 s5, s4
.LBB344_2011:
	v_lshrrev_b32_e32 v2, 8, v2
	s_delay_alu instid0(VALU_DEP_1)
	v_and_or_b32 v5, 0x80, v2, v3
.LBB344_2012:
	s_or_b32 exec_lo, exec_lo, s5
.LBB344_2013:
	s_delay_alu instid0(SALU_CYCLE_1)
	s_or_b32 exec_lo, exec_lo, s2
	global_store_b8 v[0:1], v5, off
.LBB344_2014:
	s_mov_b32 s2, 0
.LBB344_2015:
	s_delay_alu instid0(SALU_CYCLE_1)
	s_and_b32 vcc_lo, exec_lo, s2
	s_cbranch_vccz .LBB344_2055
; %bb.2016:
	v_cmp_lt_i16_e32 vcc_lo, 22, v8
	s_mov_b32 s1, -1
	s_cbranch_vccz .LBB344_2048
; %bb.2017:
	v_cmp_gt_i16_e32 vcc_lo, 24, v8
	s_cbranch_vccnz .LBB344_2037
; %bb.2018:
	v_cmp_lt_i16_e32 vcc_lo, 24, v8
	s_cbranch_vccz .LBB344_2026
; %bb.2019:
	v_dual_mov_b32 v5, 0x80 :: v_dual_lshlrev_b32 v4, 16, v6
	s_mov_b32 s1, exec_lo
	s_delay_alu instid0(VALU_DEP_1) | instskip(NEXT) | instid1(VALU_DEP_1)
	v_and_b32_e32 v3, 0x7fffffff, v4
	v_cmpx_gt_u32_e32 0x47800000, v3
	s_cbranch_execz .LBB344_2025
; %bb.2020:
	v_and_b32_e32 v2, 0xffff, v6
	v_cmp_lt_u32_e32 vcc_lo, 0x37ffffff, v3
	s_mov_b32 s2, 0
                                        ; implicit-def: $vgpr3
	s_and_saveexec_b32 s4, vcc_lo
	s_delay_alu instid0(SALU_CYCLE_1)
	s_xor_b32 s4, exec_lo, s4
	s_cbranch_execz .LBB344_2091
; %bb.2021:
	v_bfe_u32 v3, v2, 5, 1
	s_mov_b32 s2, exec_lo
	s_delay_alu instid0(VALU_DEP_1) | instskip(NEXT) | instid1(VALU_DEP_1)
	v_add3_u32 v3, v4, v3, 0x88fffff
                                        ; implicit-def: $vgpr4
	v_lshrrev_b32_e32 v3, 21, v3
	s_or_saveexec_b32 s4, s4
                                        ; implicit-def: $sgpr5
	s_delay_alu instid0(SALU_CYCLE_1)
	s_xor_b32 exec_lo, exec_lo, s4
	s_cbranch_execnz .LBB344_2092
.LBB344_2022:
	s_or_b32 exec_lo, exec_lo, s4
	v_mov_b32_e32 v5, s5
	s_and_saveexec_b32 s4, s2
.LBB344_2023:
	v_lshrrev_b32_e32 v2, 8, v2
	s_delay_alu instid0(VALU_DEP_1)
	v_and_or_b32 v5, 0x80, v2, v3
.LBB344_2024:
	s_or_b32 exec_lo, exec_lo, s4
.LBB344_2025:
	s_delay_alu instid0(SALU_CYCLE_1)
	s_or_b32 exec_lo, exec_lo, s1
	s_mov_b32 s1, 0
	global_store_b8 v[0:1], v5, off
.LBB344_2026:
	s_and_b32 vcc_lo, exec_lo, s1
	s_cbranch_vccz .LBB344_2036
; %bb.2027:
	v_lshlrev_b32_e32 v4, 16, v6
	v_and_b32_e32 v2, 0xffff, v6
	s_mov_b32 s1, exec_lo
                                        ; implicit-def: $vgpr3
	s_delay_alu instid0(VALU_DEP_2) | instskip(NEXT) | instid1(VALU_DEP_1)
	v_and_b32_e32 v5, 0x7fffffff, v4
	v_cmpx_gt_u32_e32 0x43f00000, v5
	s_xor_b32 s1, exec_lo, s1
	s_cbranch_execz .LBB344_2033
; %bb.2028:
	s_mov_b32 s2, exec_lo
                                        ; implicit-def: $vgpr3
	v_cmpx_lt_u32_e32 0x3c7fffff, v5
	s_xor_b32 s2, exec_lo, s2
; %bb.2029:
	v_bfe_u32 v3, v2, 4, 1
	s_delay_alu instid0(VALU_DEP_1) | instskip(NEXT) | instid1(VALU_DEP_1)
	v_add3_u32 v3, v4, v3, 0x407ffff
	v_and_b32_e32 v4, 0xff00000, v3
	v_lshrrev_b32_e32 v3, 20, v3
	s_delay_alu instid0(VALU_DEP_2) | instskip(NEXT) | instid1(VALU_DEP_2)
	v_cmp_ne_u32_e32 vcc_lo, 0x7f00000, v4
                                        ; implicit-def: $vgpr4
	v_cndmask_b32_e32 v3, 0x7e, v3, vcc_lo
; %bb.2030:
	s_and_not1_saveexec_b32 s2, s2
; %bb.2031:
	v_add_f32_e64 v3, 0x46800000, |v4|
; %bb.2032:
	s_or_b32 exec_lo, exec_lo, s2
                                        ; implicit-def: $vgpr5
.LBB344_2033:
	s_and_not1_saveexec_b32 s1, s1
; %bb.2034:
	v_mov_b32_e32 v3, 0x7f
	v_cmp_lt_u32_e32 vcc_lo, 0x7f800000, v5
	s_delay_alu instid0(VALU_DEP_2)
	v_cndmask_b32_e32 v3, 0x7e, v3, vcc_lo
; %bb.2035:
	s_or_b32 exec_lo, exec_lo, s1
	v_lshrrev_b32_e32 v2, 8, v2
	s_delay_alu instid0(VALU_DEP_1)
	v_and_or_b32 v2, 0x80, v2, v3
	global_store_b8 v[0:1], v2, off
.LBB344_2036:
	s_mov_b32 s1, 0
.LBB344_2037:
	s_delay_alu instid0(SALU_CYCLE_1)
	s_and_not1_b32 vcc_lo, exec_lo, s1
	s_cbranch_vccnz .LBB344_2047
; %bb.2038:
	v_lshlrev_b32_e32 v4, 16, v6
	v_and_b32_e32 v2, 0xffff, v6
	s_mov_b32 s1, exec_lo
                                        ; implicit-def: $vgpr3
	s_delay_alu instid0(VALU_DEP_2) | instskip(NEXT) | instid1(VALU_DEP_1)
	v_and_b32_e32 v5, 0x7fffffff, v4
	v_cmpx_gt_u32_e32 0x47800000, v5
	s_xor_b32 s1, exec_lo, s1
	s_cbranch_execz .LBB344_2044
; %bb.2039:
	s_mov_b32 s2, exec_lo
                                        ; implicit-def: $vgpr3
	v_cmpx_lt_u32_e32 0x387fffff, v5
	s_xor_b32 s2, exec_lo, s2
; %bb.2040:
	v_bfe_u32 v3, v2, 5, 1
	s_delay_alu instid0(VALU_DEP_1) | instskip(NEXT) | instid1(VALU_DEP_1)
	v_add3_u32 v3, v4, v3, 0x80fffff
                                        ; implicit-def: $vgpr4
	v_lshrrev_b32_e32 v3, 21, v3
; %bb.2041:
	s_and_not1_saveexec_b32 s2, s2
; %bb.2042:
	v_add_f32_e64 v3, 0x43000000, |v4|
; %bb.2043:
	s_or_b32 exec_lo, exec_lo, s2
                                        ; implicit-def: $vgpr5
.LBB344_2044:
	s_and_not1_saveexec_b32 s1, s1
; %bb.2045:
	v_mov_b32_e32 v3, 0x7f
	v_cmp_lt_u32_e32 vcc_lo, 0x7f800000, v5
	s_delay_alu instid0(VALU_DEP_2)
	v_cndmask_b32_e32 v3, 0x7c, v3, vcc_lo
; %bb.2046:
	s_or_b32 exec_lo, exec_lo, s1
	v_lshrrev_b32_e32 v2, 8, v2
	s_delay_alu instid0(VALU_DEP_1)
	v_and_or_b32 v2, 0x80, v2, v3
	global_store_b8 v[0:1], v2, off
.LBB344_2047:
	s_mov_b32 s1, 0
.LBB344_2048:
	s_delay_alu instid0(SALU_CYCLE_1)
	s_and_not1_b32 vcc_lo, exec_lo, s1
	s_mov_b32 s1, 0
	s_cbranch_vccnz .LBB344_2055
; %bb.2049:
	v_cmp_lt_i16_e32 vcc_lo, 14, v8
	s_mov_b32 s1, -1
	s_cbranch_vccz .LBB344_2053
; %bb.2050:
	v_cmp_eq_u16_e32 vcc_lo, 15, v8
	s_mov_b32 s0, -1
	s_cbranch_vccz .LBB344_2052
; %bb.2051:
	s_mov_b32 s0, 0
	global_store_b16 v[0:1], v6, off
.LBB344_2052:
	s_mov_b32 s1, 0
.LBB344_2053:
	s_delay_alu instid0(SALU_CYCLE_1)
	s_and_b32 vcc_lo, exec_lo, s1
	s_mov_b32 s1, 0
	s_cbranch_vccz .LBB344_2055
; %bb.2054:
	v_cmp_ne_u16_e64 s0, 11, v8
	s_mov_b32 s1, -1
.LBB344_2055:
	s_delay_alu instid0(VALU_DEP_1)
	s_and_b32 vcc_lo, exec_lo, s0
	s_cbranch_vccnz .LBB344_2089
.LBB344_2056:
	s_mov_b32 s0, 0
	s_branch .LBB344_1658
.LBB344_2057:
	s_mov_b32 s0, 0
	s_mov_b32 s1, 0
                                        ; implicit-def: $vgpr8
                                        ; implicit-def: $vgpr0_vgpr1
	s_branch .LBB344_1658
.LBB344_2058:
	s_mov_b32 s1, 0
	s_mov_b32 s0, -1
	s_branch .LBB344_1658
.LBB344_2059:
	s_cbranch_execnz .LBB344_2063
; %bb.2060:
	s_or_b32 s3, s3, exec_lo
                                        ; implicit-def: $vgpr6
	s_cbranch_execz .LBB344_1525
	s_branch .LBB344_1526
.LBB344_2061:
	s_or_saveexec_b32 s7, s7
                                        ; implicit-def: $sgpr9
	s_delay_alu instid0(SALU_CYCLE_1)
	s_xor_b32 exec_lo, exec_lo, s7
	s_cbranch_execz .LBB344_1607
.LBB344_2062:
	v_add_f32_e64 v9, 0x46000000, |v10|
	s_and_not1_b32 s6, s6, exec_lo
	s_mov_b32 s9, 0
	s_delay_alu instid0(VALU_DEP_1) | instskip(NEXT) | instid1(VALU_DEP_1)
	v_and_b32_e32 v9, 0xff, v9
	v_cmp_ne_u32_e32 vcc_lo, 0, v9
	s_and_b32 s11, vcc_lo, exec_lo
	s_delay_alu instid0(SALU_CYCLE_1)
	s_or_b32 s6, s6, s11
	s_or_b32 exec_lo, exec_lo, s7
	v_mov_b32_e32 v11, s9
	s_and_saveexec_b32 s7, s6
	s_cbranch_execnz .LBB344_1608
	s_branch .LBB344_1609
.LBB344_2063:
	s_trap 2
	s_sendmsg_rtn_b32 s0, sendmsg(MSG_RTN_GET_DOORBELL)
	s_mov_b32 ttmp2, m0
	s_waitcnt lgkmcnt(0)
	s_and_b32 s0, s0, 0x3ff
	s_delay_alu instid0(SALU_CYCLE_1) | instskip(NEXT) | instid1(SALU_CYCLE_1)
	s_bitset1_b32 s0, 10
	s_mov_b32 m0, s0
	s_sendmsg sendmsg(MSG_INTERRUPT)
	s_mov_b32 m0, ttmp2
.LBB344_2064:                           ; =>This Inner Loop Header: Depth=1
	s_sethalt 5
	s_branch .LBB344_2064
.LBB344_2065:
	s_cbranch_execnz .LBB344_2071
; %bb.2066:
	s_or_b32 s3, s3, exec_lo
	s_cbranch_execz .LBB344_1655
	s_branch .LBB344_1656
.LBB344_2067:
	s_or_saveexec_b32 s6, s6
                                        ; implicit-def: $sgpr7
	s_delay_alu instid0(SALU_CYCLE_1)
	s_xor_b32 exec_lo, exec_lo, s6
	s_cbranch_execz .LBB344_1620
.LBB344_2068:
	v_add_f32_e64 v9, 0x42800000, |v10|
	s_and_not1_b32 s2, s2, exec_lo
	s_mov_b32 s7, 0
	s_delay_alu instid0(VALU_DEP_1) | instskip(NEXT) | instid1(VALU_DEP_1)
	v_and_b32_e32 v9, 0xff, v9
	v_cmp_ne_u32_e32 vcc_lo, 0, v9
	s_and_b32 s9, vcc_lo, exec_lo
	s_delay_alu instid0(SALU_CYCLE_1)
	s_or_b32 s2, s2, s9
	s_or_b32 exec_lo, exec_lo, s6
	v_mov_b32_e32 v11, s7
	s_and_saveexec_b32 s6, s2
	s_cbranch_execnz .LBB344_1621
	s_branch .LBB344_1622
.LBB344_2069:
	s_or_saveexec_b32 s8, s8
                                        ; implicit-def: $sgpr9
	s_delay_alu instid0(SALU_CYCLE_1)
	s_xor_b32 exec_lo, exec_lo, s8
	s_cbranch_execz .LBB344_1771
.LBB344_2070:
	v_add_f32_e64 v4, 0x46000000, |v9|
	s_and_not1_b32 s7, s7, exec_lo
	s_mov_b32 s9, 0
	s_delay_alu instid0(VALU_DEP_1) | instskip(NEXT) | instid1(VALU_DEP_1)
	v_and_b32_e32 v4, 0xff, v4
	v_cmp_ne_u32_e32 vcc_lo, 0, v4
	s_and_b32 s11, vcc_lo, exec_lo
	s_delay_alu instid0(SALU_CYCLE_1)
	s_or_b32 s7, s7, s11
	s_or_b32 exec_lo, exec_lo, s8
	v_mov_b32_e32 v10, s9
	s_and_saveexec_b32 s8, s7
	s_cbranch_execnz .LBB344_1772
	s_branch .LBB344_1773
.LBB344_2071:
	s_trap 2
	s_sendmsg_rtn_b32 s0, sendmsg(MSG_RTN_GET_DOORBELL)
	s_mov_b32 ttmp2, m0
	s_waitcnt lgkmcnt(0)
	s_and_b32 s0, s0, 0x3ff
	s_delay_alu instid0(SALU_CYCLE_1) | instskip(NEXT) | instid1(SALU_CYCLE_1)
	s_bitset1_b32 s0, 10
	s_mov_b32 m0, s0
	s_sendmsg sendmsg(MSG_INTERRUPT)
	s_mov_b32 m0, ttmp2
.LBB344_2072:                           ; =>This Inner Loop Header: Depth=1
	s_sethalt 5
	s_branch .LBB344_2072
.LBB344_2073:
	s_cbranch_execnz .LBB344_2079
; %bb.2074:
	s_or_b32 s3, s3, exec_lo
	s_cbranch_execz .LBB344_1819
	s_branch .LBB344_1820
.LBB344_2075:
	s_or_saveexec_b32 s7, s7
                                        ; implicit-def: $sgpr8
	s_delay_alu instid0(SALU_CYCLE_1)
	s_xor_b32 exec_lo, exec_lo, s7
	s_cbranch_execz .LBB344_1784
.LBB344_2076:
	v_add_f32_e64 v4, 0x42800000, |v9|
	s_and_not1_b32 s6, s6, exec_lo
	s_mov_b32 s8, 0
	s_delay_alu instid0(VALU_DEP_1) | instskip(NEXT) | instid1(VALU_DEP_1)
	v_and_b32_e32 v4, 0xff, v4
	v_cmp_ne_u32_e32 vcc_lo, 0, v4
	s_and_b32 s9, vcc_lo, exec_lo
	s_delay_alu instid0(SALU_CYCLE_1)
	s_or_b32 s6, s6, s9
	s_or_b32 exec_lo, exec_lo, s7
	v_mov_b32_e32 v10, s8
	s_and_saveexec_b32 s7, s6
	s_cbranch_execnz .LBB344_1785
	s_branch .LBB344_1786
.LBB344_2077:
	s_or_saveexec_b32 s8, s8
                                        ; implicit-def: $sgpr9
	s_delay_alu instid0(SALU_CYCLE_1)
	s_xor_b32 exec_lo, exec_lo, s8
	s_cbranch_execz .LBB344_1890
.LBB344_2078:
	v_add_f32_e64 v4, 0x46000000, |v5|
	s_and_not1_b32 s7, s7, exec_lo
	s_mov_b32 s9, 0
	s_delay_alu instid0(VALU_DEP_1) | instskip(NEXT) | instid1(VALU_DEP_1)
	v_and_b32_e32 v4, 0xff, v4
	v_cmp_ne_u32_e32 vcc_lo, 0, v4
	s_and_b32 s11, vcc_lo, exec_lo
	s_delay_alu instid0(SALU_CYCLE_1)
	s_or_b32 s7, s7, s11
	s_or_b32 exec_lo, exec_lo, s8
	v_mov_b32_e32 v9, s9
	s_and_saveexec_b32 s8, s7
	s_cbranch_execnz .LBB344_1891
	s_branch .LBB344_1892
.LBB344_2079:
	s_trap 2
	s_sendmsg_rtn_b32 s0, sendmsg(MSG_RTN_GET_DOORBELL)
	s_mov_b32 ttmp2, m0
	s_waitcnt lgkmcnt(0)
	s_and_b32 s0, s0, 0x3ff
	s_delay_alu instid0(SALU_CYCLE_1) | instskip(NEXT) | instid1(SALU_CYCLE_1)
	s_bitset1_b32 s0, 10
	s_mov_b32 m0, s0
	s_sendmsg sendmsg(MSG_INTERRUPT)
	s_mov_b32 m0, ttmp2
.LBB344_2080:                           ; =>This Inner Loop Header: Depth=1
	s_sethalt 5
	s_branch .LBB344_2080
.LBB344_2081:
	s_cbranch_execnz .LBB344_2087
; %bb.2082:
	s_or_b32 s3, s3, exec_lo
	s_cbranch_execz .LBB344_1938
	s_branch .LBB344_1939
.LBB344_2083:
	s_or_saveexec_b32 s7, s7
                                        ; implicit-def: $sgpr8
	s_delay_alu instid0(SALU_CYCLE_1)
	s_xor_b32 exec_lo, exec_lo, s7
	s_cbranch_execz .LBB344_1903
.LBB344_2084:
	v_add_f32_e64 v4, 0x42800000, |v5|
	s_and_not1_b32 s6, s6, exec_lo
	s_mov_b32 s8, 0
	s_delay_alu instid0(VALU_DEP_1) | instskip(NEXT) | instid1(VALU_DEP_1)
	v_and_b32_e32 v4, 0xff, v4
	v_cmp_ne_u32_e32 vcc_lo, 0, v4
	s_and_b32 s9, vcc_lo, exec_lo
	s_delay_alu instid0(SALU_CYCLE_1)
	s_or_b32 s6, s6, s9
	s_or_b32 exec_lo, exec_lo, s7
	v_mov_b32_e32 v9, s8
	s_and_saveexec_b32 s7, s6
	s_cbranch_execnz .LBB344_1904
	s_branch .LBB344_1905
.LBB344_2085:
	s_or_saveexec_b32 s5, s5
                                        ; implicit-def: $sgpr6
	s_delay_alu instid0(SALU_CYCLE_1)
	s_xor_b32 exec_lo, exec_lo, s5
	s_cbranch_execz .LBB344_2010
.LBB344_2086:
	v_add_f32_e64 v3, 0x46000000, |v4|
	s_and_not1_b32 s4, s4, exec_lo
	s_mov_b32 s6, 0
	s_delay_alu instid0(VALU_DEP_1) | instskip(NEXT) | instid1(VALU_DEP_1)
	v_and_b32_e32 v3, 0xff, v3
	v_cmp_ne_u32_e32 vcc_lo, 0, v3
	s_and_b32 s7, vcc_lo, exec_lo
	s_delay_alu instid0(SALU_CYCLE_1)
	s_or_b32 s4, s4, s7
	s_or_b32 exec_lo, exec_lo, s5
	v_mov_b32_e32 v5, s6
	s_and_saveexec_b32 s5, s4
	s_cbranch_execnz .LBB344_2011
	s_branch .LBB344_2012
.LBB344_2087:
	s_trap 2
	s_sendmsg_rtn_b32 s0, sendmsg(MSG_RTN_GET_DOORBELL)
	s_mov_b32 ttmp2, m0
	s_waitcnt lgkmcnt(0)
	s_and_b32 s0, s0, 0x3ff
	s_delay_alu instid0(SALU_CYCLE_1) | instskip(NEXT) | instid1(SALU_CYCLE_1)
	s_bitset1_b32 s0, 10
	s_mov_b32 m0, s0
	s_sendmsg sendmsg(MSG_INTERRUPT)
	s_mov_b32 m0, ttmp2
.LBB344_2088:                           ; =>This Inner Loop Header: Depth=1
	s_sethalt 5
	s_branch .LBB344_2088
.LBB344_2089:
	s_cbranch_execnz .LBB344_2093
; %bb.2090:
	s_mov_b32 s1, 0
	s_or_b32 s3, s3, exec_lo
	s_branch .LBB344_2056
.LBB344_2091:
	s_or_saveexec_b32 s4, s4
                                        ; implicit-def: $sgpr5
	s_delay_alu instid0(SALU_CYCLE_1)
	s_xor_b32 exec_lo, exec_lo, s4
	s_cbranch_execz .LBB344_2022
.LBB344_2092:
	v_add_f32_e64 v3, 0x42800000, |v4|
	s_and_not1_b32 s2, s2, exec_lo
	s_mov_b32 s5, 0
	s_delay_alu instid0(VALU_DEP_1) | instskip(NEXT) | instid1(VALU_DEP_1)
	v_and_b32_e32 v3, 0xff, v3
	v_cmp_ne_u32_e32 vcc_lo, 0, v3
	s_and_b32 s6, vcc_lo, exec_lo
	s_delay_alu instid0(SALU_CYCLE_1)
	s_or_b32 s2, s2, s6
	s_or_b32 exec_lo, exec_lo, s4
	v_mov_b32_e32 v5, s5
	s_and_saveexec_b32 s4, s2
	s_cbranch_execnz .LBB344_2023
	s_branch .LBB344_2024
.LBB344_2093:
	s_trap 2
	s_sendmsg_rtn_b32 s0, sendmsg(MSG_RTN_GET_DOORBELL)
	s_mov_b32 ttmp2, m0
	s_waitcnt lgkmcnt(0)
	s_and_b32 s0, s0, 0x3ff
	s_delay_alu instid0(SALU_CYCLE_1) | instskip(NEXT) | instid1(SALU_CYCLE_1)
	s_bitset1_b32 s0, 10
	s_mov_b32 m0, s0
	s_sendmsg sendmsg(MSG_INTERRUPT)
	s_mov_b32 m0, ttmp2
.LBB344_2094:                           ; =>This Inner Loop Header: Depth=1
	s_sethalt 5
	s_branch .LBB344_2094
	.section	.rodata,"a",@progbits
	.p2align	6, 0x0
	.amdhsa_kernel _ZN2at6native32elementwise_kernel_manual_unrollILi128ELi4EZNS0_15gpu_kernel_implIZZZNS0_17clamp_kernel_cudaERNS_18TensorIteratorBaseERKN3c106ScalarES8_ENKUlvE_clEvENKUlvE7_clEvEUlNS5_8BFloat16EE_EEvS4_RKT_EUlibE_EEviT1_
		.amdhsa_group_segment_fixed_size 0
		.amdhsa_private_segment_fixed_size 0
		.amdhsa_kernarg_size 40
		.amdhsa_user_sgpr_count 15
		.amdhsa_user_sgpr_dispatch_ptr 0
		.amdhsa_user_sgpr_queue_ptr 0
		.amdhsa_user_sgpr_kernarg_segment_ptr 1
		.amdhsa_user_sgpr_dispatch_id 0
		.amdhsa_user_sgpr_private_segment_size 0
		.amdhsa_wavefront_size32 1
		.amdhsa_uses_dynamic_stack 0
		.amdhsa_enable_private_segment 0
		.amdhsa_system_sgpr_workgroup_id_x 1
		.amdhsa_system_sgpr_workgroup_id_y 0
		.amdhsa_system_sgpr_workgroup_id_z 0
		.amdhsa_system_sgpr_workgroup_info 0
		.amdhsa_system_vgpr_workitem_id 0
		.amdhsa_next_free_vgpr 13
		.amdhsa_next_free_sgpr 29
		.amdhsa_reserve_vcc 1
		.amdhsa_float_round_mode_32 0
		.amdhsa_float_round_mode_16_64 0
		.amdhsa_float_denorm_mode_32 3
		.amdhsa_float_denorm_mode_16_64 3
		.amdhsa_dx10_clamp 1
		.amdhsa_ieee_mode 1
		.amdhsa_fp16_overflow 0
		.amdhsa_workgroup_processor_mode 1
		.amdhsa_memory_ordered 1
		.amdhsa_forward_progress 0
		.amdhsa_shared_vgpr_count 0
		.amdhsa_exception_fp_ieee_invalid_op 0
		.amdhsa_exception_fp_denorm_src 0
		.amdhsa_exception_fp_ieee_div_zero 0
		.amdhsa_exception_fp_ieee_overflow 0
		.amdhsa_exception_fp_ieee_underflow 0
		.amdhsa_exception_fp_ieee_inexact 0
		.amdhsa_exception_int_div_zero 0
	.end_amdhsa_kernel
	.section	.text._ZN2at6native32elementwise_kernel_manual_unrollILi128ELi4EZNS0_15gpu_kernel_implIZZZNS0_17clamp_kernel_cudaERNS_18TensorIteratorBaseERKN3c106ScalarES8_ENKUlvE_clEvENKUlvE7_clEvEUlNS5_8BFloat16EE_EEvS4_RKT_EUlibE_EEviT1_,"axG",@progbits,_ZN2at6native32elementwise_kernel_manual_unrollILi128ELi4EZNS0_15gpu_kernel_implIZZZNS0_17clamp_kernel_cudaERNS_18TensorIteratorBaseERKN3c106ScalarES8_ENKUlvE_clEvENKUlvE7_clEvEUlNS5_8BFloat16EE_EEvS4_RKT_EUlibE_EEviT1_,comdat
.Lfunc_end344:
	.size	_ZN2at6native32elementwise_kernel_manual_unrollILi128ELi4EZNS0_15gpu_kernel_implIZZZNS0_17clamp_kernel_cudaERNS_18TensorIteratorBaseERKN3c106ScalarES8_ENKUlvE_clEvENKUlvE7_clEvEUlNS5_8BFloat16EE_EEvS4_RKT_EUlibE_EEviT1_, .Lfunc_end344-_ZN2at6native32elementwise_kernel_manual_unrollILi128ELi4EZNS0_15gpu_kernel_implIZZZNS0_17clamp_kernel_cudaERNS_18TensorIteratorBaseERKN3c106ScalarES8_ENKUlvE_clEvENKUlvE7_clEvEUlNS5_8BFloat16EE_EEvS4_RKT_EUlibE_EEviT1_
                                        ; -- End function
	.section	.AMDGPU.csdata,"",@progbits
; Kernel info:
; codeLenInByte = 42380
; NumSgprs: 31
; NumVgprs: 13
; ScratchSize: 0
; MemoryBound: 0
; FloatMode: 240
; IeeeMode: 1
; LDSByteSize: 0 bytes/workgroup (compile time only)
; SGPRBlocks: 3
; VGPRBlocks: 1
; NumSGPRsForWavesPerEU: 31
; NumVGPRsForWavesPerEU: 13
; Occupancy: 16
; WaveLimiterHint : 0
; COMPUTE_PGM_RSRC2:SCRATCH_EN: 0
; COMPUTE_PGM_RSRC2:USER_SGPR: 15
; COMPUTE_PGM_RSRC2:TRAP_HANDLER: 0
; COMPUTE_PGM_RSRC2:TGID_X_EN: 1
; COMPUTE_PGM_RSRC2:TGID_Y_EN: 0
; COMPUTE_PGM_RSRC2:TGID_Z_EN: 0
; COMPUTE_PGM_RSRC2:TIDIG_COMP_CNT: 0
	.section	.text._ZN2at6native32elementwise_kernel_manual_unrollILi128ELi4EZNS0_15gpu_kernel_implIZZZNS0_17clamp_kernel_cudaERNS_18TensorIteratorBaseERKN3c106ScalarES8_ENKUlvE_clEvENKUlvE7_clEvEUlNS5_8BFloat16EE_EEvS4_RKT_EUlibE0_EEviT1_,"axG",@progbits,_ZN2at6native32elementwise_kernel_manual_unrollILi128ELi4EZNS0_15gpu_kernel_implIZZZNS0_17clamp_kernel_cudaERNS_18TensorIteratorBaseERKN3c106ScalarES8_ENKUlvE_clEvENKUlvE7_clEvEUlNS5_8BFloat16EE_EEvS4_RKT_EUlibE0_EEviT1_,comdat
	.globl	_ZN2at6native32elementwise_kernel_manual_unrollILi128ELi4EZNS0_15gpu_kernel_implIZZZNS0_17clamp_kernel_cudaERNS_18TensorIteratorBaseERKN3c106ScalarES8_ENKUlvE_clEvENKUlvE7_clEvEUlNS5_8BFloat16EE_EEvS4_RKT_EUlibE0_EEviT1_ ; -- Begin function _ZN2at6native32elementwise_kernel_manual_unrollILi128ELi4EZNS0_15gpu_kernel_implIZZZNS0_17clamp_kernel_cudaERNS_18TensorIteratorBaseERKN3c106ScalarES8_ENKUlvE_clEvENKUlvE7_clEvEUlNS5_8BFloat16EE_EEvS4_RKT_EUlibE0_EEviT1_
	.p2align	8
	.type	_ZN2at6native32elementwise_kernel_manual_unrollILi128ELi4EZNS0_15gpu_kernel_implIZZZNS0_17clamp_kernel_cudaERNS_18TensorIteratorBaseERKN3c106ScalarES8_ENKUlvE_clEvENKUlvE7_clEvEUlNS5_8BFloat16EE_EEvS4_RKT_EUlibE0_EEviT1_,@function
_ZN2at6native32elementwise_kernel_manual_unrollILi128ELi4EZNS0_15gpu_kernel_implIZZZNS0_17clamp_kernel_cudaERNS_18TensorIteratorBaseERKN3c106ScalarES8_ENKUlvE_clEvENKUlvE7_clEvEUlNS5_8BFloat16EE_EEvS4_RKT_EUlibE0_EEviT1_: ; @_ZN2at6native32elementwise_kernel_manual_unrollILi128ELi4EZNS0_15gpu_kernel_implIZZZNS0_17clamp_kernel_cudaERNS_18TensorIteratorBaseERKN3c106ScalarES8_ENKUlvE_clEvENKUlvE7_clEvEUlNS5_8BFloat16EE_EEvS4_RKT_EUlibE0_EEviT1_
; %bb.0:
	s_clause 0x1
	s_load_b32 s26, s[0:1], 0x8
	s_load_b32 s36, s[0:1], 0x0
	v_lshl_or_b32 v4, s15, 9, v0
	s_or_b32 s16, s0, 8
	s_mov_b32 s3, -1
	s_mov_b32 s28, 0
	s_mov_b32 s17, s1
	v_or_b32_e32 v8, 0x180, v4
	s_mov_b32 s8, 0
	s_mov_b32 s2, exec_lo
	s_waitcnt lgkmcnt(0)
	s_add_i32 s27, s26, -1
	s_delay_alu instid0(SALU_CYCLE_1)
	s_cmp_gt_u32 s27, 1
	s_cselect_b32 s29, -1, 0
	v_cmpx_le_i32_e64 s36, v8
	s_xor_b32 s30, exec_lo, s2
	s_cbranch_execz .LBB345_1084
; %bb.1:
	s_clause 0x4
	s_load_b64 s[18:19], s[16:17], 0x158
	s_load_b128 s[12:15], s[16:17], 0x4
	s_load_b64 s[20:21], s[16:17], 0x14
	s_load_b128 s[8:11], s[16:17], 0xc4
	s_load_b128 s[4:7], s[16:17], 0x148
	s_cmp_lg_u32 s26, 0
	s_mov_b32 s42, 0
	s_cselect_b32 s38, -1, 0
	s_add_u32 s22, s16, 0xc4
	s_addc_u32 s23, s17, 0
	s_min_u32 s37, s27, 15
	s_cmp_gt_u32 s26, 1
	s_mov_b32 s40, 0
	s_cselect_b32 s35, -1, 0
	s_mov_b32 s39, 0
	s_mov_b32 s41, exec_lo
	s_waitcnt lgkmcnt(0)
	v_lshrrev_b16 v3, 8, s19
	s_lshr_b32 s31, s18, 16
	s_lshl_b32 s33, s18, 16
	s_pack_lh_b32_b16 s34, 0, s18
	v_cmpx_gt_i32_e64 s36, v4
	s_cbranch_execz .LBB345_265
; %bb.2:
	s_and_not1_b32 vcc_lo, exec_lo, s29
	s_cbranch_vccnz .LBB345_7
; %bb.3:
	v_dual_mov_b32 v0, 0 :: v_dual_mov_b32 v1, 0
	s_and_not1_b32 vcc_lo, exec_lo, s38
	s_cbranch_vccnz .LBB345_12
; %bb.4:
	v_mov_b32_e32 v0, 0
	s_add_i32 s43, s37, 1
	s_cmp_eq_u32 s27, 2
	s_cbranch_scc1 .LBB345_8
; %bb.5:
	v_dual_mov_b32 v1, 0 :: v_dual_mov_b32 v0, 0
	v_mov_b32_e32 v2, v4
	s_and_b32 s40, s43, 28
	s_mov_b32 s44, 0
	s_mov_b64 s[2:3], s[22:23]
	s_mov_b64 s[24:25], s[16:17]
.LBB345_6:                              ; =>This Inner Loop Header: Depth=1
	s_clause 0x1
	s_load_b256 s[48:55], s[24:25], 0x4
	s_load_b128 s[64:67], s[24:25], 0x24
	s_load_b256 s[56:63], s[2:3], 0x0
	s_add_u32 s24, s24, 48
	s_addc_u32 s25, s25, 0
	s_add_i32 s44, s44, 4
	s_add_u32 s2, s2, 32
	s_addc_u32 s3, s3, 0
	s_cmp_lg_u32 s40, s44
	s_waitcnt lgkmcnt(0)
	v_mul_hi_u32 v5, s49, v2
	s_delay_alu instid0(VALU_DEP_1) | instskip(NEXT) | instid1(VALU_DEP_1)
	v_add_nc_u32_e32 v5, v2, v5
	v_lshrrev_b32_e32 v5, s50, v5
	s_delay_alu instid0(VALU_DEP_1) | instskip(SKIP_1) | instid1(VALU_DEP_2)
	v_mul_hi_u32 v6, s52, v5
	v_mul_lo_u32 v8, v5, s48
	v_add_nc_u32_e32 v6, v5, v6
	s_delay_alu instid0(VALU_DEP_2) | instskip(NEXT) | instid1(VALU_DEP_2)
	v_sub_nc_u32_e32 v2, v2, v8
	v_lshrrev_b32_e32 v6, s53, v6
	s_delay_alu instid0(VALU_DEP_2) | instskip(SKIP_1) | instid1(VALU_DEP_3)
	v_mul_lo_u32 v8, v2, s56
	v_mul_lo_u32 v10, v2, s57
	v_mul_hi_u32 v7, s55, v6
	s_delay_alu instid0(VALU_DEP_1) | instskip(NEXT) | instid1(VALU_DEP_1)
	v_add_nc_u32_e32 v7, v6, v7
	v_lshrrev_b32_e32 v7, s64, v7
	s_delay_alu instid0(VALU_DEP_1) | instskip(SKIP_1) | instid1(VALU_DEP_2)
	v_mul_hi_u32 v9, s66, v7
	v_mul_lo_u32 v11, v7, s54
	v_add_nc_u32_e32 v2, v7, v9
	v_mul_lo_u32 v9, v6, s51
	s_delay_alu instid0(VALU_DEP_3) | instskip(NEXT) | instid1(VALU_DEP_3)
	v_sub_nc_u32_e32 v6, v6, v11
	v_lshrrev_b32_e32 v2, s67, v2
	s_delay_alu instid0(VALU_DEP_2) | instskip(SKIP_2) | instid1(VALU_DEP_4)
	v_mul_lo_u32 v11, v6, s60
	v_mul_lo_u32 v6, v6, s61
	v_sub_nc_u32_e32 v5, v5, v9
	v_mul_lo_u32 v12, v2, s65
	s_delay_alu instid0(VALU_DEP_2) | instskip(SKIP_1) | instid1(VALU_DEP_3)
	v_mul_lo_u32 v9, v5, s58
	v_mul_lo_u32 v5, v5, s59
	v_sub_nc_u32_e32 v7, v7, v12
	s_delay_alu instid0(VALU_DEP_3) | instskip(NEXT) | instid1(VALU_DEP_2)
	v_add3_u32 v0, v8, v0, v9
	v_mul_lo_u32 v12, v7, s62
	v_mul_lo_u32 v7, v7, s63
	v_add3_u32 v1, v10, v1, v5
	s_delay_alu instid0(VALU_DEP_3) | instskip(NEXT) | instid1(VALU_DEP_2)
	v_add3_u32 v0, v11, v0, v12
	v_add3_u32 v1, v6, v1, v7
	s_cbranch_scc1 .LBB345_6
	s_branch .LBB345_9
.LBB345_7:
	s_mov_b32 s39, -1
                                        ; implicit-def: $vgpr0
                                        ; implicit-def: $vgpr1
	s_branch .LBB345_12
.LBB345_8:
	v_dual_mov_b32 v2, v4 :: v_dual_mov_b32 v1, 0
.LBB345_9:
	s_and_b32 s43, s43, 3
	s_delay_alu instid0(SALU_CYCLE_1)
	s_cmp_eq_u32 s43, 0
	s_cbranch_scc1 .LBB345_12
; %bb.10:
	s_lshl_b32 s2, s40, 3
	s_mul_i32 s24, s40, 12
	s_add_u32 s2, s2, s16
	s_addc_u32 s3, s17, 0
	s_add_u32 s2, s2, 0xc4
	s_addc_u32 s3, s3, 0
	;; [unrolled: 2-line block ×3, first 2 shown]
	.p2align	6
.LBB345_11:                             ; =>This Inner Loop Header: Depth=1
	s_clause 0x1
	s_load_b64 s[44:45], s[24:25], 0x4
	s_load_b32 s40, s[24:25], 0xc
	s_load_b64 s[46:47], s[2:3], 0x0
	s_add_u32 s24, s24, 12
	s_addc_u32 s25, s25, 0
	s_add_u32 s2, s2, 8
	s_addc_u32 s3, s3, 0
	s_add_i32 s43, s43, -1
	s_delay_alu instid0(SALU_CYCLE_1) | instskip(SKIP_2) | instid1(VALU_DEP_1)
	s_cmp_lg_u32 s43, 0
	s_waitcnt lgkmcnt(0)
	v_mul_hi_u32 v5, s45, v2
	v_add_nc_u32_e32 v5, v2, v5
	s_delay_alu instid0(VALU_DEP_1) | instskip(NEXT) | instid1(VALU_DEP_1)
	v_lshrrev_b32_e32 v8, s40, v5
	v_mul_lo_u32 v5, v8, s44
	s_delay_alu instid0(VALU_DEP_1) | instskip(NEXT) | instid1(VALU_DEP_1)
	v_sub_nc_u32_e32 v2, v2, v5
	v_mad_u64_u32 v[5:6], null, v2, s46, v[0:1]
	v_mad_u64_u32 v[6:7], null, v2, s47, v[1:2]
	v_mov_b32_e32 v2, v8
	s_delay_alu instid0(VALU_DEP_2)
	v_dual_mov_b32 v0, v5 :: v_dual_mov_b32 v1, v6
	s_cbranch_scc1 .LBB345_11
.LBB345_12:
	s_and_not1_b32 vcc_lo, exec_lo, s39
	s_cbranch_vccnz .LBB345_15
; %bb.13:
	v_mul_hi_u32 v0, s13, v4
	s_and_not1_b32 vcc_lo, exec_lo, s35
	s_delay_alu instid0(VALU_DEP_1) | instskip(NEXT) | instid1(VALU_DEP_1)
	v_add_nc_u32_e32 v0, v4, v0
	v_lshrrev_b32_e32 v2, s14, v0
	s_delay_alu instid0(VALU_DEP_1) | instskip(NEXT) | instid1(VALU_DEP_1)
	v_mul_lo_u32 v0, v2, s12
	v_sub_nc_u32_e32 v1, v4, v0
	s_delay_alu instid0(VALU_DEP_1)
	v_mul_lo_u32 v0, v1, s8
	v_mul_lo_u32 v1, v1, s9
	s_cbranch_vccnz .LBB345_15
; %bb.14:
	v_mul_hi_u32 v5, s20, v2
	s_delay_alu instid0(VALU_DEP_1) | instskip(NEXT) | instid1(VALU_DEP_1)
	v_add_nc_u32_e32 v5, v2, v5
	v_lshrrev_b32_e32 v5, s21, v5
	s_delay_alu instid0(VALU_DEP_1) | instskip(NEXT) | instid1(VALU_DEP_1)
	v_mul_lo_u32 v5, v5, s15
	v_sub_nc_u32_e32 v2, v2, v5
	s_delay_alu instid0(VALU_DEP_1) | instskip(SKIP_1) | instid1(VALU_DEP_1)
	v_mad_u64_u32 v[5:6], null, v2, s10, v[0:1]
	v_mad_u64_u32 v[6:7], null, v2, s11, v[1:2]
	v_dual_mov_b32 v0, v5 :: v_dual_mov_b32 v1, v6
.LBB345_15:
	v_cmp_gt_i16_e32 vcc_lo, 11, v3
	s_delay_alu instid0(VALU_DEP_2) | instskip(NEXT) | instid1(VALU_DEP_1)
	v_add_co_u32 v1, s2, s6, v1
	v_add_co_ci_u32_e64 v2, null, s7, 0, s2
	s_mov_b32 s3, 0
	s_cbranch_vccnz .LBB345_22
; %bb.16:
	v_cmp_lt_i16_e32 vcc_lo, 25, v3
	s_cbranch_vccz .LBB345_143
; %bb.17:
	v_cmp_lt_i16_e32 vcc_lo, 28, v3
	s_cbranch_vccz .LBB345_144
	;; [unrolled: 3-line block ×4, first 2 shown]
; %bb.20:
	v_cmp_eq_u16_e32 vcc_lo, 46, v3
	s_mov_b32 s24, 0
	s_cbranch_vccz .LBB345_147
; %bb.21:
	global_load_b32 v5, v[1:2], off
	s_mov_b32 s2, -1
	s_branch .LBB345_149
.LBB345_22:
	s_mov_b32 s2, 0
                                        ; implicit-def: $vgpr5
	s_cbranch_execnz .LBB345_215
.LBB345_23:
	s_and_not1_b32 vcc_lo, exec_lo, s2
	s_cbranch_vccnz .LBB345_262
.LBB345_24:
	s_waitcnt vmcnt(0)
	s_delay_alu instid0(VALU_DEP_1) | instskip(SKIP_1) | instid1(VALU_DEP_1)
	v_lshlrev_b32_e32 v1, 16, v5
	s_mov_b32 s2, exec_lo
	v_cmpx_o_f32_e32 v1, v1
; %bb.25:
	v_cmp_lt_f32_e32 vcc_lo, s33, v1
	v_cndmask_b32_e32 v1, s18, v5, vcc_lo
	s_delay_alu instid0(VALU_DEP_1) | instskip(NEXT) | instid1(VALU_DEP_1)
	v_lshlrev_b32_e32 v2, 16, v1
	v_cmp_gt_f32_e32 vcc_lo, s34, v2
	v_cndmask_b32_e32 v5, s31, v1, vcc_lo
; %bb.26:
	s_or_b32 exec_lo, exec_lo, s2
	v_and_b32_e64 v2, 0xff, s19
	v_add_co_u32 v0, s24, s4, v0
	s_delay_alu instid0(VALU_DEP_1) | instskip(NEXT) | instid1(VALU_DEP_3)
	v_add_co_ci_u32_e64 v1, null, s5, 0, s24
	v_cmp_gt_i16_e32 vcc_lo, 11, v2
	s_mov_b32 s2, 0
	s_mov_b32 s25, -1
	s_mov_b32 s24, 0
	s_cbranch_vccnz .LBB345_103
; %bb.27:
	v_cmp_lt_i16_e32 vcc_lo, 25, v2
	s_cbranch_vccz .LBB345_60
; %bb.28:
	v_cmp_lt_i16_e32 vcc_lo, 28, v2
	s_cbranch_vccz .LBB345_43
	;; [unrolled: 3-line block ×4, first 2 shown]
; %bb.31:
	v_cmp_eq_u16_e32 vcc_lo, 46, v2
	s_mov_b32 s25, 0
	s_mov_b32 s2, -1
	s_cbranch_vccz .LBB345_33
; %bb.32:
	v_and_b32_e32 v6, 0xffff, v5
	s_mov_b32 s24, -1
	s_mov_b32 s2, 0
	global_store_b32 v[0:1], v6, off
.LBB345_33:
	s_and_b32 vcc_lo, exec_lo, s25
	s_cbranch_vccz .LBB345_38
; %bb.34:
	v_cmp_eq_u16_e32 vcc_lo, 44, v2
	s_mov_b32 s2, -1
	s_cbranch_vccz .LBB345_38
; %bb.35:
	v_and_b32_e32 v6, 0xffff, v5
	v_mov_b32_e32 v7, 0xff
	s_mov_b32 s24, exec_lo
	s_delay_alu instid0(VALU_DEP_2) | instskip(NEXT) | instid1(VALU_DEP_1)
	v_bfe_u32 v8, v6, 7, 8
	v_cmpx_ne_u32_e32 0xff, v8
; %bb.36:
	v_lshlrev_b32_e32 v7, 16, v6
	v_and_b32_e32 v9, 64, v6
	v_lshrrev_b32_e32 v6, 7, v6
	s_delay_alu instid0(VALU_DEP_3) | instskip(NEXT) | instid1(VALU_DEP_3)
	v_and_or_b32 v7, 0x3f0000, v7, v8
	v_cmp_ne_u32_e32 vcc_lo, 0, v9
	s_delay_alu instid0(VALU_DEP_2) | instskip(NEXT) | instid1(VALU_DEP_1)
	v_cmp_ne_u32_e64 s2, 0, v7
	s_and_b32 s2, vcc_lo, s2
	s_delay_alu instid0(SALU_CYCLE_1) | instskip(NEXT) | instid1(VALU_DEP_1)
	v_cndmask_b32_e64 v7, 0, 1, s2
	v_add_nc_u32_e32 v7, v6, v7
; %bb.37:
	s_or_b32 exec_lo, exec_lo, s24
	s_mov_b32 s24, -1
	s_mov_b32 s2, 0
	global_store_b8 v[0:1], v7, off
.LBB345_38:
	s_mov_b32 s25, 0
.LBB345_39:
	s_delay_alu instid0(SALU_CYCLE_1)
	s_and_b32 vcc_lo, exec_lo, s25
	s_cbranch_vccz .LBB345_42
; %bb.40:
	v_cmp_eq_u16_e32 vcc_lo, 29, v2
	s_mov_b32 s2, -1
	s_cbranch_vccz .LBB345_42
; %bb.41:
	v_lshlrev_b32_e32 v6, 16, v5
	s_mov_b32 s24, -1
	s_mov_b32 s2, 0
	s_delay_alu instid0(VALU_DEP_1) | instskip(NEXT) | instid1(VALU_DEP_1)
	v_trunc_f32_e32 v6, v6
	v_mul_f32_e32 v7, 0x2f800000, v6
	s_delay_alu instid0(VALU_DEP_1) | instskip(NEXT) | instid1(VALU_DEP_1)
	v_floor_f32_e32 v7, v7
	v_fmamk_f32 v6, v7, 0xcf800000, v6
	v_cvt_u32_f32_e32 v7, v7
	s_delay_alu instid0(VALU_DEP_2)
	v_cvt_u32_f32_e32 v6, v6
	global_store_b64 v[0:1], v[6:7], off
.LBB345_42:
	s_mov_b32 s25, 0
.LBB345_43:
	s_delay_alu instid0(SALU_CYCLE_1)
	s_and_b32 vcc_lo, exec_lo, s25
	s_cbranch_vccz .LBB345_59
; %bb.44:
	v_cmp_gt_i16_e32 vcc_lo, 27, v2
	s_mov_b32 s24, -1
	s_cbranch_vccnz .LBB345_50
; %bb.45:
	v_cmp_lt_i16_e32 vcc_lo, 27, v2
	s_cbranch_vccz .LBB345_47
; %bb.46:
	v_lshlrev_b32_e32 v6, 16, v5
	s_mov_b32 s24, 0
	s_delay_alu instid0(VALU_DEP_1)
	v_cvt_u32_f32_e32 v6, v6
	global_store_b32 v[0:1], v6, off
.LBB345_47:
	s_and_not1_b32 vcc_lo, exec_lo, s24
	s_cbranch_vccnz .LBB345_49
; %bb.48:
	v_lshlrev_b32_e32 v6, 16, v5
	s_delay_alu instid0(VALU_DEP_1)
	v_cvt_u32_f32_e32 v6, v6
	global_store_b16 v[0:1], v6, off
.LBB345_49:
	s_mov_b32 s24, 0
.LBB345_50:
	s_delay_alu instid0(SALU_CYCLE_1)
	s_and_not1_b32 vcc_lo, exec_lo, s24
	s_cbranch_vccnz .LBB345_58
; %bb.51:
	v_dual_mov_b32 v9, 0x80 :: v_dual_lshlrev_b32 v8, 16, v5
	s_mov_b32 s24, exec_lo
	s_delay_alu instid0(VALU_DEP_1) | instskip(NEXT) | instid1(VALU_DEP_1)
	v_and_b32_e32 v7, 0x7fffffff, v8
	v_cmpx_gt_u32_e32 0x43800000, v7
	s_cbranch_execz .LBB345_57
; %bb.52:
	v_and_b32_e32 v6, 0xffff, v5
	v_cmp_lt_u32_e32 vcc_lo, 0x3bffffff, v7
	s_mov_b32 s25, 0
                                        ; implicit-def: $vgpr7
	s_and_saveexec_b32 s39, vcc_lo
	s_delay_alu instid0(SALU_CYCLE_1)
	s_xor_b32 s39, exec_lo, s39
	s_cbranch_execz .LBB345_152
; %bb.53:
	v_bfe_u32 v7, v6, 4, 1
	s_mov_b32 s25, exec_lo
	s_delay_alu instid0(VALU_DEP_1) | instskip(NEXT) | instid1(VALU_DEP_1)
	v_add3_u32 v7, v8, v7, 0x487ffff
                                        ; implicit-def: $vgpr8
	v_lshrrev_b32_e32 v7, 20, v7
	s_or_saveexec_b32 s39, s39
                                        ; implicit-def: $sgpr40
	s_delay_alu instid0(SALU_CYCLE_1)
	s_xor_b32 exec_lo, exec_lo, s39
	s_cbranch_execnz .LBB345_153
.LBB345_54:
	s_or_b32 exec_lo, exec_lo, s39
	v_mov_b32_e32 v9, s40
	s_and_saveexec_b32 s39, s25
.LBB345_55:
	v_lshrrev_b32_e32 v6, 8, v6
	s_delay_alu instid0(VALU_DEP_1)
	v_and_or_b32 v9, 0x80, v6, v7
.LBB345_56:
	s_or_b32 exec_lo, exec_lo, s39
.LBB345_57:
	s_delay_alu instid0(SALU_CYCLE_1)
	s_or_b32 exec_lo, exec_lo, s24
	global_store_b8 v[0:1], v9, off
.LBB345_58:
	s_mov_b32 s24, -1
.LBB345_59:
	s_mov_b32 s25, 0
.LBB345_60:
	s_delay_alu instid0(SALU_CYCLE_1)
	s_and_b32 vcc_lo, exec_lo, s25
	s_cbranch_vccz .LBB345_101
; %bb.61:
	v_cmp_lt_i16_e32 vcc_lo, 22, v2
	s_mov_b32 s25, -1
	s_cbranch_vccz .LBB345_93
; %bb.62:
	v_cmp_gt_i16_e32 vcc_lo, 24, v2
	s_mov_b32 s24, -1
	s_cbranch_vccnz .LBB345_82
; %bb.63:
	v_cmp_lt_i16_e32 vcc_lo, 24, v2
	s_cbranch_vccz .LBB345_71
; %bb.64:
	v_dual_mov_b32 v9, 0x80 :: v_dual_lshlrev_b32 v8, 16, v5
	s_mov_b32 s24, exec_lo
	s_delay_alu instid0(VALU_DEP_1) | instskip(NEXT) | instid1(VALU_DEP_1)
	v_and_b32_e32 v7, 0x7fffffff, v8
	v_cmpx_gt_u32_e32 0x47800000, v7
	s_cbranch_execz .LBB345_70
; %bb.65:
	v_and_b32_e32 v6, 0xffff, v5
	v_cmp_lt_u32_e32 vcc_lo, 0x37ffffff, v7
	s_mov_b32 s25, 0
                                        ; implicit-def: $vgpr7
	s_and_saveexec_b32 s39, vcc_lo
	s_delay_alu instid0(SALU_CYCLE_1)
	s_xor_b32 s39, exec_lo, s39
	s_cbranch_execz .LBB345_345
; %bb.66:
	v_bfe_u32 v7, v6, 5, 1
	s_mov_b32 s25, exec_lo
	s_delay_alu instid0(VALU_DEP_1) | instskip(NEXT) | instid1(VALU_DEP_1)
	v_add3_u32 v7, v8, v7, 0x88fffff
                                        ; implicit-def: $vgpr8
	v_lshrrev_b32_e32 v7, 21, v7
	s_or_saveexec_b32 s39, s39
                                        ; implicit-def: $sgpr40
	s_delay_alu instid0(SALU_CYCLE_1)
	s_xor_b32 exec_lo, exec_lo, s39
	s_cbranch_execnz .LBB345_346
.LBB345_67:
	s_or_b32 exec_lo, exec_lo, s39
	v_mov_b32_e32 v9, s40
	s_and_saveexec_b32 s39, s25
.LBB345_68:
	v_lshrrev_b32_e32 v6, 8, v6
	s_delay_alu instid0(VALU_DEP_1)
	v_and_or_b32 v9, 0x80, v6, v7
.LBB345_69:
	s_or_b32 exec_lo, exec_lo, s39
.LBB345_70:
	s_delay_alu instid0(SALU_CYCLE_1)
	s_or_b32 exec_lo, exec_lo, s24
	s_mov_b32 s24, 0
	global_store_b8 v[0:1], v9, off
.LBB345_71:
	s_and_b32 vcc_lo, exec_lo, s24
	s_cbranch_vccz .LBB345_81
; %bb.72:
	v_lshlrev_b32_e32 v8, 16, v5
	v_and_b32_e32 v6, 0xffff, v5
	s_mov_b32 s24, exec_lo
                                        ; implicit-def: $vgpr7
	s_delay_alu instid0(VALU_DEP_2) | instskip(NEXT) | instid1(VALU_DEP_1)
	v_and_b32_e32 v9, 0x7fffffff, v8
	v_cmpx_gt_u32_e32 0x43f00000, v9
	s_xor_b32 s24, exec_lo, s24
	s_cbranch_execz .LBB345_78
; %bb.73:
	s_mov_b32 s25, exec_lo
                                        ; implicit-def: $vgpr7
	v_cmpx_lt_u32_e32 0x3c7fffff, v9
	s_xor_b32 s25, exec_lo, s25
; %bb.74:
	v_bfe_u32 v7, v6, 4, 1
	s_delay_alu instid0(VALU_DEP_1) | instskip(NEXT) | instid1(VALU_DEP_1)
	v_add3_u32 v7, v8, v7, 0x407ffff
	v_and_b32_e32 v8, 0xff00000, v7
	v_lshrrev_b32_e32 v7, 20, v7
	s_delay_alu instid0(VALU_DEP_2) | instskip(NEXT) | instid1(VALU_DEP_2)
	v_cmp_ne_u32_e32 vcc_lo, 0x7f00000, v8
                                        ; implicit-def: $vgpr8
	v_cndmask_b32_e32 v7, 0x7e, v7, vcc_lo
; %bb.75:
	s_and_not1_saveexec_b32 s25, s25
; %bb.76:
	v_add_f32_e64 v7, 0x46800000, |v8|
; %bb.77:
	s_or_b32 exec_lo, exec_lo, s25
                                        ; implicit-def: $vgpr9
.LBB345_78:
	s_and_not1_saveexec_b32 s24, s24
; %bb.79:
	v_mov_b32_e32 v7, 0x7f
	v_cmp_lt_u32_e32 vcc_lo, 0x7f800000, v9
	s_delay_alu instid0(VALU_DEP_2)
	v_cndmask_b32_e32 v7, 0x7e, v7, vcc_lo
; %bb.80:
	s_or_b32 exec_lo, exec_lo, s24
	v_lshrrev_b32_e32 v6, 8, v6
	s_delay_alu instid0(VALU_DEP_1)
	v_and_or_b32 v6, 0x80, v6, v7
	global_store_b8 v[0:1], v6, off
.LBB345_81:
	s_mov_b32 s24, 0
.LBB345_82:
	s_delay_alu instid0(SALU_CYCLE_1)
	s_and_not1_b32 vcc_lo, exec_lo, s24
	s_cbranch_vccnz .LBB345_92
; %bb.83:
	v_lshlrev_b32_e32 v8, 16, v5
	v_and_b32_e32 v6, 0xffff, v5
	s_mov_b32 s24, exec_lo
                                        ; implicit-def: $vgpr7
	s_delay_alu instid0(VALU_DEP_2) | instskip(NEXT) | instid1(VALU_DEP_1)
	v_and_b32_e32 v9, 0x7fffffff, v8
	v_cmpx_gt_u32_e32 0x47800000, v9
	s_xor_b32 s24, exec_lo, s24
	s_cbranch_execz .LBB345_89
; %bb.84:
	s_mov_b32 s25, exec_lo
                                        ; implicit-def: $vgpr7
	v_cmpx_lt_u32_e32 0x387fffff, v9
	s_xor_b32 s25, exec_lo, s25
; %bb.85:
	v_bfe_u32 v7, v6, 5, 1
	s_delay_alu instid0(VALU_DEP_1) | instskip(NEXT) | instid1(VALU_DEP_1)
	v_add3_u32 v7, v8, v7, 0x80fffff
                                        ; implicit-def: $vgpr8
	v_lshrrev_b32_e32 v7, 21, v7
; %bb.86:
	s_and_not1_saveexec_b32 s25, s25
; %bb.87:
	v_add_f32_e64 v7, 0x43000000, |v8|
; %bb.88:
	s_or_b32 exec_lo, exec_lo, s25
                                        ; implicit-def: $vgpr9
.LBB345_89:
	s_and_not1_saveexec_b32 s24, s24
; %bb.90:
	v_mov_b32_e32 v7, 0x7f
	v_cmp_lt_u32_e32 vcc_lo, 0x7f800000, v9
	s_delay_alu instid0(VALU_DEP_2)
	v_cndmask_b32_e32 v7, 0x7c, v7, vcc_lo
; %bb.91:
	s_or_b32 exec_lo, exec_lo, s24
	v_lshrrev_b32_e32 v6, 8, v6
	s_delay_alu instid0(VALU_DEP_1)
	v_and_or_b32 v6, 0x80, v6, v7
	global_store_b8 v[0:1], v6, off
.LBB345_92:
	s_mov_b32 s25, 0
	s_mov_b32 s24, -1
.LBB345_93:
	s_and_not1_b32 vcc_lo, exec_lo, s25
	s_cbranch_vccnz .LBB345_101
; %bb.94:
	v_cmp_lt_i16_e32 vcc_lo, 14, v2
	s_mov_b32 s25, -1
	s_cbranch_vccz .LBB345_98
; %bb.95:
	v_cmp_eq_u16_e32 vcc_lo, 15, v2
	s_mov_b32 s2, -1
	s_cbranch_vccz .LBB345_97
; %bb.96:
	s_mov_b32 s24, -1
	s_mov_b32 s2, 0
	global_store_b16 v[0:1], v5, off
.LBB345_97:
	s_mov_b32 s25, 0
.LBB345_98:
	s_delay_alu instid0(SALU_CYCLE_1)
	s_and_b32 vcc_lo, exec_lo, s25
	s_cbranch_vccz .LBB345_101
; %bb.99:
	v_cmp_eq_u16_e32 vcc_lo, 11, v2
	s_mov_b32 s2, -1
	s_cbranch_vccz .LBB345_101
; %bb.100:
	v_and_b32_e32 v6, 0x7fff, v5
	s_mov_b32 s2, 0
	s_mov_b32 s24, -1
	s_delay_alu instid0(VALU_DEP_1)
	v_cmp_ne_u16_e32 vcc_lo, 0, v6
	v_cndmask_b32_e64 v6, 0, 1, vcc_lo
	global_store_b8 v[0:1], v6, off
.LBB345_101:
.LBB345_102:
	s_and_not1_b32 vcc_lo, exec_lo, s24
	s_cbranch_vccz .LBB345_142
	s_branch .LBB345_263
.LBB345_103:
	s_and_b32 vcc_lo, exec_lo, s25
	s_cbranch_vccz .LBB345_102
; %bb.104:
	v_cmp_gt_i16_e32 vcc_lo, 5, v2
	s_mov_b32 s24, -1
	s_cbranch_vccnz .LBB345_125
; %bb.105:
	v_cmp_gt_i16_e32 vcc_lo, 8, v2
	s_cbranch_vccnz .LBB345_115
; %bb.106:
	v_cmp_gt_i16_e32 vcc_lo, 9, v2
	s_cbranch_vccnz .LBB345_112
; %bb.107:
	v_cmp_lt_i16_e32 vcc_lo, 9, v2
	s_cbranch_vccz .LBB345_109
; %bb.108:
	v_mov_b32_e32 v8, 0
	v_lshlrev_b32_e32 v6, 16, v5
	s_mov_b32 s24, 0
	s_delay_alu instid0(VALU_DEP_2) | instskip(NEXT) | instid1(VALU_DEP_2)
	v_mov_b32_e32 v9, v8
	v_cvt_f64_f32_e32 v[6:7], v6
	global_store_b128 v[0:1], v[6:9], off
.LBB345_109:
	s_and_not1_b32 vcc_lo, exec_lo, s24
	s_cbranch_vccnz .LBB345_111
; %bb.110:
	v_dual_mov_b32 v7, 0 :: v_dual_lshlrev_b32 v6, 16, v5
	global_store_b64 v[0:1], v[6:7], off
.LBB345_111:
	s_mov_b32 s24, 0
.LBB345_112:
	s_delay_alu instid0(SALU_CYCLE_1)
	s_and_not1_b32 vcc_lo, exec_lo, s24
	s_cbranch_vccnz .LBB345_114
; %bb.113:
	v_lshlrev_b32_e32 v6, 16, v5
	s_delay_alu instid0(VALU_DEP_1) | instskip(NEXT) | instid1(VALU_DEP_1)
	v_cvt_f16_f32_e32 v6, v6
	v_and_b32_e32 v6, 0xffff, v6
	global_store_b32 v[0:1], v6, off
.LBB345_114:
	s_mov_b32 s24, 0
.LBB345_115:
	s_delay_alu instid0(SALU_CYCLE_1)
	s_and_not1_b32 vcc_lo, exec_lo, s24
	s_cbranch_vccnz .LBB345_124
; %bb.116:
	v_cmp_gt_i16_e32 vcc_lo, 6, v2
	s_mov_b32 s24, -1
	s_cbranch_vccnz .LBB345_122
; %bb.117:
	v_cmp_lt_i16_e32 vcc_lo, 6, v2
	s_cbranch_vccz .LBB345_119
; %bb.118:
	v_lshlrev_b32_e32 v6, 16, v5
	s_mov_b32 s24, 0
	s_delay_alu instid0(VALU_DEP_1)
	v_cvt_f64_f32_e32 v[6:7], v6
	global_store_b64 v[0:1], v[6:7], off
.LBB345_119:
	s_and_not1_b32 vcc_lo, exec_lo, s24
	s_cbranch_vccnz .LBB345_121
; %bb.120:
	v_lshlrev_b32_e32 v6, 16, v5
	global_store_b32 v[0:1], v6, off
.LBB345_121:
	s_mov_b32 s24, 0
.LBB345_122:
	s_delay_alu instid0(SALU_CYCLE_1)
	s_and_not1_b32 vcc_lo, exec_lo, s24
	s_cbranch_vccnz .LBB345_124
; %bb.123:
	v_lshlrev_b32_e32 v6, 16, v5
	s_delay_alu instid0(VALU_DEP_1)
	v_cvt_f16_f32_e32 v6, v6
	global_store_b16 v[0:1], v6, off
.LBB345_124:
	s_mov_b32 s24, 0
.LBB345_125:
	s_delay_alu instid0(SALU_CYCLE_1)
	s_and_not1_b32 vcc_lo, exec_lo, s24
	s_cbranch_vccnz .LBB345_141
; %bb.126:
	v_cmp_gt_i16_e32 vcc_lo, 2, v2
	s_mov_b32 s24, -1
	s_cbranch_vccnz .LBB345_136
; %bb.127:
	v_cmp_gt_i16_e32 vcc_lo, 3, v2
	s_cbranch_vccnz .LBB345_133
; %bb.128:
	v_cmp_lt_i16_e32 vcc_lo, 3, v2
	s_cbranch_vccz .LBB345_130
; %bb.129:
	v_lshlrev_b32_e32 v6, 16, v5
	s_mov_b32 s24, 0
	s_delay_alu instid0(VALU_DEP_1) | instskip(NEXT) | instid1(VALU_DEP_1)
	v_trunc_f32_e32 v6, v6
	v_mul_f32_e64 v7, 0x2f800000, |v6|
	v_ashrrev_i32_e32 v9, 31, v6
	s_delay_alu instid0(VALU_DEP_2) | instskip(NEXT) | instid1(VALU_DEP_1)
	v_floor_f32_e32 v7, v7
	v_fma_f32 v8, 0xcf800000, v7, |v6|
	v_cvt_u32_f32_e32 v7, v7
	s_delay_alu instid0(VALU_DEP_2) | instskip(NEXT) | instid1(VALU_DEP_2)
	v_cvt_u32_f32_e32 v6, v8
	v_xor_b32_e32 v7, v7, v9
	s_delay_alu instid0(VALU_DEP_2) | instskip(NEXT) | instid1(VALU_DEP_1)
	v_xor_b32_e32 v6, v6, v9
	v_sub_co_u32 v6, vcc_lo, v6, v9
	s_delay_alu instid0(VALU_DEP_3)
	v_sub_co_ci_u32_e32 v7, vcc_lo, v7, v9, vcc_lo
	global_store_b64 v[0:1], v[6:7], off
.LBB345_130:
	s_and_not1_b32 vcc_lo, exec_lo, s24
	s_cbranch_vccnz .LBB345_132
; %bb.131:
	v_lshlrev_b32_e32 v6, 16, v5
	s_delay_alu instid0(VALU_DEP_1)
	v_cvt_i32_f32_e32 v6, v6
	global_store_b32 v[0:1], v6, off
.LBB345_132:
	s_mov_b32 s24, 0
.LBB345_133:
	s_delay_alu instid0(SALU_CYCLE_1)
	s_and_not1_b32 vcc_lo, exec_lo, s24
	s_cbranch_vccnz .LBB345_135
; %bb.134:
	v_lshlrev_b32_e32 v6, 16, v5
	s_delay_alu instid0(VALU_DEP_1)
	v_cvt_i32_f32_e32 v6, v6
	global_store_b16 v[0:1], v6, off
.LBB345_135:
	s_mov_b32 s24, 0
.LBB345_136:
	s_delay_alu instid0(SALU_CYCLE_1)
	s_and_not1_b32 vcc_lo, exec_lo, s24
	s_cbranch_vccnz .LBB345_141
; %bb.137:
	v_cmp_lt_i16_e32 vcc_lo, 0, v2
	v_lshlrev_b32_e32 v2, 16, v5
	s_mov_b32 s24, -1
	s_cbranch_vccz .LBB345_139
; %bb.138:
	s_delay_alu instid0(VALU_DEP_1)
	v_cvt_i32_f32_e32 v5, v2
	s_mov_b32 s24, 0
	global_store_b8 v[0:1], v5, off
.LBB345_139:
	s_and_not1_b32 vcc_lo, exec_lo, s24
	s_cbranch_vccnz .LBB345_141
; %bb.140:
	v_trunc_f32_e32 v2, v2
	s_delay_alu instid0(VALU_DEP_1) | instskip(NEXT) | instid1(VALU_DEP_1)
	v_mul_f32_e64 v5, 0x2f800000, |v2|
	v_floor_f32_e32 v5, v5
	s_delay_alu instid0(VALU_DEP_1) | instskip(SKIP_1) | instid1(VALU_DEP_2)
	v_fma_f32 v5, 0xcf800000, v5, |v2|
	v_ashrrev_i32_e32 v2, 31, v2
	v_cvt_u32_f32_e32 v5, v5
	s_delay_alu instid0(VALU_DEP_1) | instskip(NEXT) | instid1(VALU_DEP_1)
	v_xor_b32_e32 v5, v5, v2
	v_sub_nc_u32_e32 v2, v5, v2
	global_store_b8 v[0:1], v2, off
.LBB345_141:
.LBB345_142:
	v_add_nc_u32_e32 v4, 0x80, v4
	s_mov_b32 s24, -1
	s_branch .LBB345_264
.LBB345_143:
	s_mov_b32 s2, 0
                                        ; implicit-def: $vgpr5
	s_cbranch_execnz .LBB345_180
	s_branch .LBB345_214
.LBB345_144:
	s_mov_b32 s24, -1
	s_mov_b32 s2, 0
                                        ; implicit-def: $vgpr5
	s_branch .LBB345_161
.LBB345_145:
	s_mov_b32 s24, -1
	s_mov_b32 s2, 0
                                        ; implicit-def: $vgpr5
	s_branch .LBB345_156
.LBB345_146:
	s_mov_b32 s24, -1
	s_branch .LBB345_148
.LBB345_147:
	s_mov_b32 s3, -1
.LBB345_148:
	s_mov_b32 s2, 0
                                        ; implicit-def: $vgpr5
.LBB345_149:
	s_and_b32 vcc_lo, exec_lo, s24
	s_cbranch_vccz .LBB345_155
; %bb.150:
	v_cmp_eq_u16_e32 vcc_lo, 44, v3
	s_cbranch_vccz .LBB345_154
; %bb.151:
	global_load_u8 v5, v[1:2], off
	s_mov_b32 s3, 0
	s_mov_b32 s2, -1
	s_waitcnt vmcnt(0)
	v_lshlrev_b32_e32 v6, 23, v5
	v_cmp_ne_u32_e32 vcc_lo, 0xff, v5
	s_delay_alu instid0(VALU_DEP_2) | instskip(SKIP_1) | instid1(VALU_DEP_2)
	v_cndmask_b32_e32 v6, 0x7f800001, v6, vcc_lo
	v_cmp_ne_u32_e32 vcc_lo, 0, v5
	v_cndmask_b32_e32 v5, 0x400000, v6, vcc_lo
	s_delay_alu instid0(VALU_DEP_1) | instskip(SKIP_1) | instid1(VALU_DEP_2)
	v_add_nc_u32_e32 v6, 0x7fff, v5
	v_cmp_o_f32_e32 vcc_lo, v5, v5
	v_lshrrev_b32_e32 v6, 16, v6
	s_delay_alu instid0(VALU_DEP_1)
	v_cndmask_b32_e32 v5, 0x7fc0, v6, vcc_lo
	s_branch .LBB345_155
.LBB345_152:
	s_or_saveexec_b32 s39, s39
                                        ; implicit-def: $sgpr40
	s_delay_alu instid0(SALU_CYCLE_1)
	s_xor_b32 exec_lo, exec_lo, s39
	s_cbranch_execz .LBB345_54
.LBB345_153:
	v_add_f32_e64 v7, 0x46000000, |v8|
	s_and_not1_b32 s25, s25, exec_lo
	s_mov_b32 s40, 0
	s_delay_alu instid0(VALU_DEP_1) | instskip(NEXT) | instid1(VALU_DEP_1)
	v_and_b32_e32 v7, 0xff, v7
	v_cmp_ne_u32_e32 vcc_lo, 0, v7
	s_and_b32 s43, vcc_lo, exec_lo
	s_delay_alu instid0(SALU_CYCLE_1)
	s_or_b32 s25, s25, s43
	s_or_b32 exec_lo, exec_lo, s39
	v_mov_b32_e32 v9, s40
	s_and_saveexec_b32 s39, s25
	s_cbranch_execnz .LBB345_55
	s_branch .LBB345_56
.LBB345_154:
	s_mov_b32 s3, -1
                                        ; implicit-def: $vgpr5
.LBB345_155:
	s_mov_b32 s24, 0
.LBB345_156:
	s_delay_alu instid0(SALU_CYCLE_1)
	s_and_b32 vcc_lo, exec_lo, s24
	s_cbranch_vccz .LBB345_160
; %bb.157:
	v_cmp_eq_u16_e32 vcc_lo, 29, v3
	s_cbranch_vccz .LBB345_159
; %bb.158:
	global_load_b64 v[5:6], v[1:2], off
	s_mov_b32 s2, -1
	s_mov_b32 s3, 0
	s_mov_b32 s24, 0
	s_waitcnt vmcnt(0)
	v_clz_i32_u32_e32 v7, v6
	s_delay_alu instid0(VALU_DEP_1) | instskip(NEXT) | instid1(VALU_DEP_1)
	v_min_u32_e32 v7, 32, v7
	v_lshlrev_b64 v[5:6], v7, v[5:6]
	s_delay_alu instid0(VALU_DEP_1) | instskip(NEXT) | instid1(VALU_DEP_1)
	v_min_u32_e32 v5, 1, v5
	v_or_b32_e32 v5, v6, v5
	v_sub_nc_u32_e32 v6, 32, v7
	s_delay_alu instid0(VALU_DEP_2) | instskip(NEXT) | instid1(VALU_DEP_1)
	v_cvt_f32_u32_e32 v5, v5
	v_ldexp_f32 v5, v5, v6
	s_delay_alu instid0(VALU_DEP_1) | instskip(NEXT) | instid1(VALU_DEP_1)
	v_bfe_u32 v6, v5, 16, 1
	v_add3_u32 v5, v5, v6, 0x7fff
	s_delay_alu instid0(VALU_DEP_1)
	v_lshrrev_b32_e32 v5, 16, v5
	s_branch .LBB345_161
.LBB345_159:
	s_mov_b32 s3, -1
                                        ; implicit-def: $vgpr5
.LBB345_160:
	s_mov_b32 s24, 0
.LBB345_161:
	s_delay_alu instid0(SALU_CYCLE_1)
	s_and_b32 vcc_lo, exec_lo, s24
	s_cbranch_vccz .LBB345_179
; %bb.162:
	v_cmp_gt_i16_e32 vcc_lo, 27, v3
	s_cbranch_vccnz .LBB345_165
; %bb.163:
	v_cmp_lt_i16_e32 vcc_lo, 27, v3
	s_cbranch_vccz .LBB345_166
; %bb.164:
	global_load_b32 v5, v[1:2], off
	s_mov_b32 s2, 0
	s_waitcnt vmcnt(0)
	v_cvt_f32_u32_e32 v5, v5
	s_delay_alu instid0(VALU_DEP_1) | instskip(NEXT) | instid1(VALU_DEP_1)
	v_bfe_u32 v6, v5, 16, 1
	v_add3_u32 v5, v5, v6, 0x7fff
	s_delay_alu instid0(VALU_DEP_1)
	v_lshrrev_b32_e32 v5, 16, v5
	s_branch .LBB345_167
.LBB345_165:
	s_mov_b32 s2, -1
                                        ; implicit-def: $vgpr5
	s_branch .LBB345_170
.LBB345_166:
	s_mov_b32 s2, -1
                                        ; implicit-def: $vgpr5
.LBB345_167:
	s_delay_alu instid0(SALU_CYCLE_1)
	s_and_not1_b32 vcc_lo, exec_lo, s2
	s_cbranch_vccnz .LBB345_169
; %bb.168:
	global_load_u16 v5, v[1:2], off
	s_waitcnt vmcnt(0)
	v_cvt_f32_u32_e32 v5, v5
	s_delay_alu instid0(VALU_DEP_1) | instskip(NEXT) | instid1(VALU_DEP_1)
	v_bfe_u32 v6, v5, 16, 1
	v_add3_u32 v5, v5, v6, 0x7fff
	s_delay_alu instid0(VALU_DEP_1)
	v_lshrrev_b32_e32 v5, 16, v5
.LBB345_169:
	s_mov_b32 s2, 0
.LBB345_170:
	s_delay_alu instid0(SALU_CYCLE_1)
	s_and_not1_b32 vcc_lo, exec_lo, s2
	s_cbranch_vccnz .LBB345_178
; %bb.171:
	global_load_u8 v5, v[1:2], off
	s_mov_b32 s2, 0
	s_mov_b32 s25, exec_lo
                                        ; implicit-def: $sgpr24
	s_waitcnt vmcnt(0)
	v_cmpx_lt_i16_e32 0x7f, v5
	s_xor_b32 s25, exec_lo, s25
	s_cbranch_execz .LBB345_191
; %bb.172:
	s_mov_b32 s2, -1
	s_mov_b32 s39, exec_lo
                                        ; implicit-def: $sgpr24
	v_cmpx_eq_u16_e32 0x80, v5
; %bb.173:
	s_mov_b32 s24, 0x7f800001
	s_xor_b32 s2, exec_lo, -1
; %bb.174:
	s_or_b32 exec_lo, exec_lo, s39
	s_delay_alu instid0(SALU_CYCLE_1)
	s_and_b32 s2, s2, exec_lo
	s_or_saveexec_b32 s25, s25
	v_mov_b32_e32 v6, s24
	s_xor_b32 exec_lo, exec_lo, s25
	s_cbranch_execnz .LBB345_192
.LBB345_175:
	s_or_b32 exec_lo, exec_lo, s25
	s_and_saveexec_b32 s24, s2
	s_cbranch_execz .LBB345_177
.LBB345_176:
	v_and_b32_e32 v6, 0xffff, v5
	v_lshlrev_b32_e32 v5, 24, v5
	s_delay_alu instid0(VALU_DEP_2) | instskip(NEXT) | instid1(VALU_DEP_2)
	v_and_b32_e32 v7, 7, v6
	v_and_b32_e32 v5, 0x80000000, v5
	s_delay_alu instid0(VALU_DEP_2) | instskip(NEXT) | instid1(VALU_DEP_1)
	v_clz_i32_u32_e32 v8, v7
	v_min_u32_e32 v8, 32, v8
	s_delay_alu instid0(VALU_DEP_1) | instskip(SKIP_1) | instid1(VALU_DEP_2)
	v_subrev_nc_u32_e32 v9, 28, v8
	v_sub_nc_u32_e32 v8, 29, v8
	v_lshlrev_b32_e32 v9, v9, v6
	v_bfe_u32 v6, v6, 3, 4
	s_delay_alu instid0(VALU_DEP_2) | instskip(NEXT) | instid1(VALU_DEP_2)
	v_and_b32_e32 v9, 7, v9
	v_cmp_eq_u32_e32 vcc_lo, 0, v6
	s_delay_alu instid0(VALU_DEP_2) | instskip(NEXT) | instid1(VALU_DEP_1)
	v_dual_cndmask_b32 v6, v6, v8 :: v_dual_cndmask_b32 v7, v7, v9
	v_lshl_add_u32 v6, v6, 23, 0x3b800000
	s_delay_alu instid0(VALU_DEP_2) | instskip(NEXT) | instid1(VALU_DEP_1)
	v_lshlrev_b32_e32 v7, 20, v7
	v_or3_b32 v6, v5, v6, v7
.LBB345_177:
	s_or_b32 exec_lo, exec_lo, s24
	s_delay_alu instid0(VALU_DEP_1) | instskip(SKIP_1) | instid1(VALU_DEP_2)
	v_bfe_u32 v5, v6, 16, 1
	v_cmp_o_f32_e32 vcc_lo, v6, v6
	v_add3_u32 v5, v6, v5, 0x7fff
	s_delay_alu instid0(VALU_DEP_1) | instskip(NEXT) | instid1(VALU_DEP_1)
	v_lshrrev_b32_e32 v5, 16, v5
	v_cndmask_b32_e32 v5, 0x7fc0, v5, vcc_lo
.LBB345_178:
	s_mov_b32 s2, -1
.LBB345_179:
	s_branch .LBB345_214
.LBB345_180:
	v_cmp_lt_i16_e32 vcc_lo, 22, v3
	s_cbranch_vccz .LBB345_190
; %bb.181:
	v_cmp_gt_i16_e32 vcc_lo, 24, v3
	s_cbranch_vccnz .LBB345_193
; %bb.182:
	v_cmp_lt_i16_e32 vcc_lo, 24, v3
	s_cbranch_vccz .LBB345_194
; %bb.183:
	global_load_u8 v5, v[1:2], off
	s_mov_b32 s2, 0
	s_mov_b32 s25, exec_lo
                                        ; implicit-def: $sgpr24
	s_waitcnt vmcnt(0)
	v_cmpx_lt_i16_e32 0x7f, v5
	s_xor_b32 s25, exec_lo, s25
	s_cbranch_execz .LBB345_206
; %bb.184:
	s_mov_b32 s2, -1
	s_mov_b32 s39, exec_lo
                                        ; implicit-def: $sgpr24
	v_cmpx_eq_u16_e32 0x80, v5
; %bb.185:
	s_mov_b32 s24, 0x7f800001
	s_xor_b32 s2, exec_lo, -1
; %bb.186:
	s_or_b32 exec_lo, exec_lo, s39
	s_delay_alu instid0(SALU_CYCLE_1)
	s_and_b32 s2, s2, exec_lo
	s_or_saveexec_b32 s25, s25
	v_mov_b32_e32 v6, s24
	s_xor_b32 exec_lo, exec_lo, s25
	s_cbranch_execnz .LBB345_207
.LBB345_187:
	s_or_b32 exec_lo, exec_lo, s25
	s_and_saveexec_b32 s24, s2
	s_cbranch_execz .LBB345_189
.LBB345_188:
	v_and_b32_e32 v6, 0xffff, v5
	v_lshlrev_b32_e32 v5, 24, v5
	s_delay_alu instid0(VALU_DEP_2) | instskip(NEXT) | instid1(VALU_DEP_2)
	v_and_b32_e32 v7, 3, v6
	v_and_b32_e32 v5, 0x80000000, v5
	s_delay_alu instid0(VALU_DEP_2) | instskip(NEXT) | instid1(VALU_DEP_1)
	v_clz_i32_u32_e32 v8, v7
	v_min_u32_e32 v8, 32, v8
	s_delay_alu instid0(VALU_DEP_1) | instskip(SKIP_1) | instid1(VALU_DEP_2)
	v_subrev_nc_u32_e32 v9, 29, v8
	v_sub_nc_u32_e32 v8, 30, v8
	v_lshlrev_b32_e32 v9, v9, v6
	v_bfe_u32 v6, v6, 2, 5
	s_delay_alu instid0(VALU_DEP_2) | instskip(NEXT) | instid1(VALU_DEP_2)
	v_and_b32_e32 v9, 3, v9
	v_cmp_eq_u32_e32 vcc_lo, 0, v6
	s_delay_alu instid0(VALU_DEP_2) | instskip(NEXT) | instid1(VALU_DEP_1)
	v_dual_cndmask_b32 v6, v6, v8 :: v_dual_cndmask_b32 v7, v7, v9
	v_lshl_add_u32 v6, v6, 23, 0x37800000
	s_delay_alu instid0(VALU_DEP_2) | instskip(NEXT) | instid1(VALU_DEP_1)
	v_lshlrev_b32_e32 v7, 21, v7
	v_or3_b32 v6, v5, v6, v7
.LBB345_189:
	s_or_b32 exec_lo, exec_lo, s24
	s_delay_alu instid0(VALU_DEP_1) | instskip(SKIP_2) | instid1(VALU_DEP_2)
	v_bfe_u32 v5, v6, 16, 1
	v_cmp_o_f32_e32 vcc_lo, v6, v6
	s_mov_b32 s2, 0
	v_add3_u32 v5, v6, v5, 0x7fff
	s_delay_alu instid0(VALU_DEP_1) | instskip(NEXT) | instid1(VALU_DEP_1)
	v_lshrrev_b32_e32 v5, 16, v5
	v_cndmask_b32_e32 v5, 0x7fc0, v5, vcc_lo
	s_branch .LBB345_195
.LBB345_190:
	s_mov_b32 s24, -1
                                        ; implicit-def: $vgpr5
	s_branch .LBB345_201
.LBB345_191:
	s_or_saveexec_b32 s25, s25
	v_mov_b32_e32 v6, s24
	s_xor_b32 exec_lo, exec_lo, s25
	s_cbranch_execz .LBB345_175
.LBB345_192:
	v_cmp_ne_u16_e32 vcc_lo, 0, v5
	v_mov_b32_e32 v6, 0
	s_and_not1_b32 s2, s2, exec_lo
	s_and_b32 s24, vcc_lo, exec_lo
	s_delay_alu instid0(SALU_CYCLE_1)
	s_or_b32 s2, s2, s24
	s_or_b32 exec_lo, exec_lo, s25
	s_and_saveexec_b32 s24, s2
	s_cbranch_execnz .LBB345_176
	s_branch .LBB345_177
.LBB345_193:
	s_mov_b32 s2, -1
                                        ; implicit-def: $vgpr5
	s_branch .LBB345_198
.LBB345_194:
	s_mov_b32 s2, -1
                                        ; implicit-def: $vgpr5
.LBB345_195:
	s_delay_alu instid0(SALU_CYCLE_1)
	s_and_b32 vcc_lo, exec_lo, s2
	s_cbranch_vccz .LBB345_197
; %bb.196:
	global_load_u8 v5, v[1:2], off
	s_waitcnt vmcnt(0)
	v_lshlrev_b32_e32 v5, 24, v5
	s_delay_alu instid0(VALU_DEP_1) | instskip(NEXT) | instid1(VALU_DEP_1)
	v_and_b32_e32 v6, 0x7f000000, v5
	v_clz_i32_u32_e32 v7, v6
	v_add_nc_u32_e32 v9, 0x1000000, v6
	v_cmp_ne_u32_e32 vcc_lo, 0, v6
	s_delay_alu instid0(VALU_DEP_3) | instskip(NEXT) | instid1(VALU_DEP_1)
	v_min_u32_e32 v7, 32, v7
	v_sub_nc_u32_e64 v7, v7, 4 clamp
	s_delay_alu instid0(VALU_DEP_1) | instskip(SKIP_1) | instid1(VALU_DEP_2)
	v_lshlrev_b32_e32 v8, v7, v6
	v_lshlrev_b32_e32 v7, 23, v7
	v_lshrrev_b32_e32 v8, 4, v8
	s_delay_alu instid0(VALU_DEP_1) | instskip(SKIP_1) | instid1(VALU_DEP_2)
	v_sub_nc_u32_e32 v7, v8, v7
	v_ashrrev_i32_e32 v8, 8, v9
	v_add_nc_u32_e32 v7, 0x3c000000, v7
	s_delay_alu instid0(VALU_DEP_1) | instskip(NEXT) | instid1(VALU_DEP_1)
	v_and_or_b32 v7, 0x7f800000, v8, v7
	v_cndmask_b32_e32 v6, 0, v7, vcc_lo
	s_delay_alu instid0(VALU_DEP_1) | instskip(SKIP_1) | instid1(VALU_DEP_2)
	v_and_or_b32 v5, 0x80000000, v5, v6
	v_bfe_u32 v6, v6, 16, 1
	v_cmp_o_f32_e32 vcc_lo, v5, v5
	s_delay_alu instid0(VALU_DEP_2) | instskip(NEXT) | instid1(VALU_DEP_1)
	v_add3_u32 v6, v5, v6, 0x7fff
	v_lshrrev_b32_e32 v6, 16, v6
	s_delay_alu instid0(VALU_DEP_1)
	v_cndmask_b32_e32 v5, 0x7fc0, v6, vcc_lo
.LBB345_197:
	s_mov_b32 s2, 0
.LBB345_198:
	s_delay_alu instid0(SALU_CYCLE_1)
	s_and_not1_b32 vcc_lo, exec_lo, s2
	s_cbranch_vccnz .LBB345_200
; %bb.199:
	global_load_u8 v5, v[1:2], off
	s_waitcnt vmcnt(0)
	v_lshlrev_b32_e32 v6, 25, v5
	v_lshlrev_b16 v5, 8, v5
	s_delay_alu instid0(VALU_DEP_2) | instskip(NEXT) | instid1(VALU_DEP_2)
	v_lshrrev_b32_e32 v7, 4, v6
	v_and_or_b32 v8, 0x7f00, v5, 0.5
	v_bfe_i32 v5, v5, 0, 16
	s_delay_alu instid0(VALU_DEP_3) | instskip(NEXT) | instid1(VALU_DEP_1)
	v_or_b32_e32 v7, 0x70000000, v7
	v_dual_add_f32 v8, -0.5, v8 :: v_dual_mul_f32 v7, 0x7800000, v7
	v_cmp_gt_u32_e32 vcc_lo, 0x8000000, v6
	s_delay_alu instid0(VALU_DEP_2) | instskip(NEXT) | instid1(VALU_DEP_1)
	v_cndmask_b32_e32 v6, v7, v8, vcc_lo
	v_and_or_b32 v5, 0x80000000, v5, v6
	v_bfe_u32 v6, v6, 16, 1
	s_delay_alu instid0(VALU_DEP_2) | instskip(NEXT) | instid1(VALU_DEP_2)
	v_cmp_o_f32_e32 vcc_lo, v5, v5
	v_add3_u32 v6, v5, v6, 0x7fff
	s_delay_alu instid0(VALU_DEP_1) | instskip(NEXT) | instid1(VALU_DEP_1)
	v_lshrrev_b32_e32 v6, 16, v6
	v_cndmask_b32_e32 v5, 0x7fc0, v6, vcc_lo
.LBB345_200:
	s_mov_b32 s24, 0
	s_mov_b32 s2, -1
.LBB345_201:
	s_and_not1_b32 vcc_lo, exec_lo, s24
	s_cbranch_vccnz .LBB345_214
; %bb.202:
	v_cmp_lt_i16_e32 vcc_lo, 14, v3
	s_cbranch_vccz .LBB345_205
; %bb.203:
	v_cmp_eq_u16_e32 vcc_lo, 15, v3
	s_cbranch_vccz .LBB345_208
; %bb.204:
	global_load_u16 v5, v[1:2], off
	s_mov_b32 s2, -1
	s_mov_b32 s3, 0
	s_branch .LBB345_209
.LBB345_205:
	s_mov_b32 s24, -1
                                        ; implicit-def: $vgpr5
	s_branch .LBB345_210
.LBB345_206:
	s_or_saveexec_b32 s25, s25
	v_mov_b32_e32 v6, s24
	s_xor_b32 exec_lo, exec_lo, s25
	s_cbranch_execz .LBB345_187
.LBB345_207:
	v_cmp_ne_u16_e32 vcc_lo, 0, v5
	v_mov_b32_e32 v6, 0
	s_and_not1_b32 s2, s2, exec_lo
	s_and_b32 s24, vcc_lo, exec_lo
	s_delay_alu instid0(SALU_CYCLE_1)
	s_or_b32 s2, s2, s24
	s_or_b32 exec_lo, exec_lo, s25
	s_and_saveexec_b32 s24, s2
	s_cbranch_execnz .LBB345_188
	s_branch .LBB345_189
.LBB345_208:
	s_mov_b32 s3, -1
                                        ; implicit-def: $vgpr5
.LBB345_209:
	s_mov_b32 s24, 0
.LBB345_210:
	s_delay_alu instid0(SALU_CYCLE_1)
	s_and_b32 vcc_lo, exec_lo, s24
	s_cbranch_vccz .LBB345_214
; %bb.211:
	v_cmp_eq_u16_e32 vcc_lo, 11, v3
	s_cbranch_vccz .LBB345_213
; %bb.212:
	global_load_u8 v5, v[1:2], off
	s_mov_b32 s3, 0
	s_mov_b32 s2, -1
	s_waitcnt vmcnt(0)
	v_cmp_ne_u16_e32 vcc_lo, 0, v5
	v_cndmask_b32_e64 v5, 0, 1.0, vcc_lo
	s_delay_alu instid0(VALU_DEP_1)
	v_lshrrev_b32_e32 v5, 16, v5
	s_branch .LBB345_214
.LBB345_213:
	s_mov_b32 s3, -1
                                        ; implicit-def: $vgpr5
.LBB345_214:
	s_branch .LBB345_23
.LBB345_215:
	v_cmp_gt_i16_e32 vcc_lo, 5, v3
	s_cbranch_vccnz .LBB345_220
; %bb.216:
	v_cmp_gt_i16_e32 vcc_lo, 8, v3
	s_cbranch_vccnz .LBB345_221
; %bb.217:
	v_cmp_gt_i16_e32 vcc_lo, 9, v3
	s_cbranch_vccnz .LBB345_222
; %bb.218:
	v_cmp_lt_i16_e32 vcc_lo, 9, v3
	s_cbranch_vccz .LBB345_223
; %bb.219:
	global_load_b64 v[5:6], v[1:2], off
	s_mov_b32 s2, 0
	s_waitcnt vmcnt(0)
	v_cvt_f32_f64_e32 v5, v[5:6]
	s_delay_alu instid0(VALU_DEP_1) | instskip(SKIP_1) | instid1(VALU_DEP_2)
	v_bfe_u32 v6, v5, 16, 1
	v_cmp_o_f32_e32 vcc_lo, v5, v5
	v_add3_u32 v6, v5, v6, 0x7fff
	s_delay_alu instid0(VALU_DEP_1) | instskip(NEXT) | instid1(VALU_DEP_1)
	v_lshrrev_b32_e32 v6, 16, v6
	v_cndmask_b32_e32 v5, 0x7fc0, v6, vcc_lo
	s_branch .LBB345_224
.LBB345_220:
                                        ; implicit-def: $vgpr5
	s_branch .LBB345_242
.LBB345_221:
	s_mov_b32 s2, -1
                                        ; implicit-def: $vgpr5
	s_branch .LBB345_230
.LBB345_222:
	s_mov_b32 s2, -1
                                        ; implicit-def: $vgpr5
	s_branch .LBB345_227
.LBB345_223:
	s_mov_b32 s2, -1
                                        ; implicit-def: $vgpr5
.LBB345_224:
	s_delay_alu instid0(SALU_CYCLE_1)
	s_and_not1_b32 vcc_lo, exec_lo, s2
	s_cbranch_vccnz .LBB345_226
; %bb.225:
	global_load_b32 v5, v[1:2], off
	s_waitcnt vmcnt(0)
	v_bfe_u32 v6, v5, 16, 1
	v_cmp_o_f32_e32 vcc_lo, v5, v5
	s_delay_alu instid0(VALU_DEP_2) | instskip(NEXT) | instid1(VALU_DEP_1)
	v_add3_u32 v6, v5, v6, 0x7fff
	v_lshrrev_b32_e32 v6, 16, v6
	s_delay_alu instid0(VALU_DEP_1)
	v_cndmask_b32_e32 v5, 0x7fc0, v6, vcc_lo
.LBB345_226:
	s_mov_b32 s2, 0
.LBB345_227:
	s_delay_alu instid0(SALU_CYCLE_1)
	s_and_not1_b32 vcc_lo, exec_lo, s2
	s_cbranch_vccnz .LBB345_229
; %bb.228:
	global_load_b32 v5, v[1:2], off
	s_waitcnt vmcnt(0)
	v_cvt_f32_f16_e32 v6, v5
	v_cmp_o_f16_e32 vcc_lo, v5, v5
	s_delay_alu instid0(VALU_DEP_2) | instskip(NEXT) | instid1(VALU_DEP_1)
	v_bfe_u32 v7, v6, 16, 1
	v_add3_u32 v6, v6, v7, 0x7fff
	s_delay_alu instid0(VALU_DEP_1) | instskip(NEXT) | instid1(VALU_DEP_1)
	v_lshrrev_b32_e32 v6, 16, v6
	v_cndmask_b32_e32 v5, 0x7fc0, v6, vcc_lo
.LBB345_229:
	s_mov_b32 s2, 0
.LBB345_230:
	s_delay_alu instid0(SALU_CYCLE_1)
	s_and_not1_b32 vcc_lo, exec_lo, s2
	s_cbranch_vccnz .LBB345_241
; %bb.231:
	v_cmp_gt_i16_e32 vcc_lo, 6, v3
	s_cbranch_vccnz .LBB345_234
; %bb.232:
	v_cmp_lt_i16_e32 vcc_lo, 6, v3
	s_cbranch_vccz .LBB345_235
; %bb.233:
	global_load_b64 v[5:6], v[1:2], off
	s_mov_b32 s2, 0
	s_waitcnt vmcnt(0)
	v_cvt_f32_f64_e32 v5, v[5:6]
	s_delay_alu instid0(VALU_DEP_1) | instskip(SKIP_1) | instid1(VALU_DEP_2)
	v_bfe_u32 v6, v5, 16, 1
	v_cmp_o_f32_e32 vcc_lo, v5, v5
	v_add3_u32 v6, v5, v6, 0x7fff
	s_delay_alu instid0(VALU_DEP_1) | instskip(NEXT) | instid1(VALU_DEP_1)
	v_lshrrev_b32_e32 v6, 16, v6
	v_cndmask_b32_e32 v5, 0x7fc0, v6, vcc_lo
	s_branch .LBB345_236
.LBB345_234:
	s_mov_b32 s2, -1
                                        ; implicit-def: $vgpr5
	s_branch .LBB345_239
.LBB345_235:
	s_mov_b32 s2, -1
                                        ; implicit-def: $vgpr5
.LBB345_236:
	s_delay_alu instid0(SALU_CYCLE_1)
	s_and_not1_b32 vcc_lo, exec_lo, s2
	s_cbranch_vccnz .LBB345_238
; %bb.237:
	global_load_b32 v5, v[1:2], off
	s_waitcnt vmcnt(0)
	v_bfe_u32 v6, v5, 16, 1
	v_cmp_o_f32_e32 vcc_lo, v5, v5
	s_delay_alu instid0(VALU_DEP_2) | instskip(NEXT) | instid1(VALU_DEP_1)
	v_add3_u32 v6, v5, v6, 0x7fff
	v_lshrrev_b32_e32 v6, 16, v6
	s_delay_alu instid0(VALU_DEP_1)
	v_cndmask_b32_e32 v5, 0x7fc0, v6, vcc_lo
.LBB345_238:
	s_mov_b32 s2, 0
.LBB345_239:
	s_delay_alu instid0(SALU_CYCLE_1)
	s_and_not1_b32 vcc_lo, exec_lo, s2
	s_cbranch_vccnz .LBB345_241
; %bb.240:
	global_load_u16 v5, v[1:2], off
	s_waitcnt vmcnt(0)
	v_cvt_f32_f16_e32 v6, v5
	v_cmp_o_f16_e32 vcc_lo, v5, v5
	s_delay_alu instid0(VALU_DEP_2) | instskip(NEXT) | instid1(VALU_DEP_1)
	v_bfe_u32 v7, v6, 16, 1
	v_add3_u32 v6, v6, v7, 0x7fff
	s_delay_alu instid0(VALU_DEP_1) | instskip(NEXT) | instid1(VALU_DEP_1)
	v_lshrrev_b32_e32 v6, 16, v6
	v_cndmask_b32_e32 v5, 0x7fc0, v6, vcc_lo
.LBB345_241:
	s_cbranch_execnz .LBB345_261
.LBB345_242:
	v_cmp_gt_i16_e32 vcc_lo, 2, v3
	s_cbranch_vccnz .LBB345_246
; %bb.243:
	v_cmp_gt_i16_e32 vcc_lo, 3, v3
	s_cbranch_vccnz .LBB345_247
; %bb.244:
	v_cmp_lt_i16_e32 vcc_lo, 3, v3
	s_cbranch_vccz .LBB345_248
; %bb.245:
	global_load_b64 v[5:6], v[1:2], off
	s_mov_b32 s2, 0
	s_waitcnt vmcnt(0)
	v_xor_b32_e32 v7, v5, v6
	v_cls_i32_e32 v8, v6
	s_delay_alu instid0(VALU_DEP_2) | instskip(NEXT) | instid1(VALU_DEP_2)
	v_ashrrev_i32_e32 v7, 31, v7
	v_add_nc_u32_e32 v8, -1, v8
	s_delay_alu instid0(VALU_DEP_2) | instskip(NEXT) | instid1(VALU_DEP_1)
	v_add_nc_u32_e32 v7, 32, v7
	v_min_u32_e32 v7, v8, v7
	s_delay_alu instid0(VALU_DEP_1) | instskip(NEXT) | instid1(VALU_DEP_1)
	v_lshlrev_b64 v[5:6], v7, v[5:6]
	v_min_u32_e32 v5, 1, v5
	s_delay_alu instid0(VALU_DEP_1) | instskip(SKIP_1) | instid1(VALU_DEP_2)
	v_or_b32_e32 v5, v6, v5
	v_sub_nc_u32_e32 v6, 32, v7
	v_cvt_f32_i32_e32 v5, v5
	s_delay_alu instid0(VALU_DEP_1) | instskip(NEXT) | instid1(VALU_DEP_1)
	v_ldexp_f32 v5, v5, v6
	v_bfe_u32 v6, v5, 16, 1
	s_delay_alu instid0(VALU_DEP_1) | instskip(NEXT) | instid1(VALU_DEP_1)
	v_add3_u32 v5, v5, v6, 0x7fff
	v_lshrrev_b32_e32 v5, 16, v5
	s_branch .LBB345_249
.LBB345_246:
	s_mov_b32 s2, -1
                                        ; implicit-def: $vgpr5
	s_branch .LBB345_255
.LBB345_247:
	s_mov_b32 s2, -1
                                        ; implicit-def: $vgpr5
	s_branch .LBB345_252
.LBB345_248:
	s_mov_b32 s2, -1
                                        ; implicit-def: $vgpr5
.LBB345_249:
	s_delay_alu instid0(SALU_CYCLE_1)
	s_and_not1_b32 vcc_lo, exec_lo, s2
	s_cbranch_vccnz .LBB345_251
; %bb.250:
	global_load_b32 v5, v[1:2], off
	s_waitcnt vmcnt(0)
	v_cvt_f32_i32_e32 v5, v5
	s_delay_alu instid0(VALU_DEP_1) | instskip(NEXT) | instid1(VALU_DEP_1)
	v_bfe_u32 v6, v5, 16, 1
	v_add3_u32 v5, v5, v6, 0x7fff
	s_delay_alu instid0(VALU_DEP_1)
	v_lshrrev_b32_e32 v5, 16, v5
.LBB345_251:
	s_mov_b32 s2, 0
.LBB345_252:
	s_delay_alu instid0(SALU_CYCLE_1)
	s_and_not1_b32 vcc_lo, exec_lo, s2
	s_cbranch_vccnz .LBB345_254
; %bb.253:
	global_load_i16 v5, v[1:2], off
	s_waitcnt vmcnt(0)
	v_cvt_f32_i32_e32 v5, v5
	s_delay_alu instid0(VALU_DEP_1) | instskip(NEXT) | instid1(VALU_DEP_1)
	v_bfe_u32 v6, v5, 16, 1
	v_add3_u32 v5, v5, v6, 0x7fff
	s_delay_alu instid0(VALU_DEP_1)
	v_lshrrev_b32_e32 v5, 16, v5
.LBB345_254:
	s_mov_b32 s2, 0
.LBB345_255:
	s_delay_alu instid0(SALU_CYCLE_1)
	s_and_not1_b32 vcc_lo, exec_lo, s2
	s_cbranch_vccnz .LBB345_261
; %bb.256:
	v_cmp_lt_i16_e32 vcc_lo, 0, v3
	s_mov_b32 s2, 0
	s_cbranch_vccz .LBB345_258
; %bb.257:
	global_load_i8 v5, v[1:2], off
	s_waitcnt vmcnt(0)
	v_cvt_f32_i32_e32 v5, v5
	s_delay_alu instid0(VALU_DEP_1) | instskip(NEXT) | instid1(VALU_DEP_1)
	v_bfe_u32 v6, v5, 16, 1
	v_add3_u32 v5, v5, v6, 0x7fff
	s_delay_alu instid0(VALU_DEP_1)
	v_lshrrev_b32_e32 v5, 16, v5
	s_branch .LBB345_259
.LBB345_258:
	s_mov_b32 s2, -1
                                        ; implicit-def: $vgpr5
.LBB345_259:
	s_delay_alu instid0(SALU_CYCLE_1)
	s_and_not1_b32 vcc_lo, exec_lo, s2
	s_cbranch_vccnz .LBB345_261
; %bb.260:
	global_load_u8 v1, v[1:2], off
	s_waitcnt vmcnt(0)
	v_cvt_f32_ubyte0_e32 v1, v1
	s_delay_alu instid0(VALU_DEP_1) | instskip(NEXT) | instid1(VALU_DEP_1)
	v_bfe_u32 v2, v1, 16, 1
	v_add3_u32 v1, v1, v2, 0x7fff
	s_delay_alu instid0(VALU_DEP_1)
	v_lshrrev_b32_e32 v5, 16, v1
.LBB345_261:
	s_branch .LBB345_24
.LBB345_262:
	s_mov_b32 s2, 0
.LBB345_263:
	s_mov_b32 s24, 0
                                        ; implicit-def: $vgpr4
.LBB345_264:
	s_and_b32 s39, s2, exec_lo
	s_and_b32 s40, s3, exec_lo
	s_or_not1_b32 s3, s24, exec_lo
.LBB345_265:
	s_or_b32 exec_lo, exec_lo, s41
	s_mov_b32 s24, 0
	s_mov_b32 s2, 0
                                        ; implicit-def: $vgpr1_vgpr2
                                        ; implicit-def: $vgpr0
                                        ; implicit-def: $vgpr5
	s_and_saveexec_b32 s41, s3
	s_cbranch_execz .LBB345_912
; %bb.266:
	s_mov_b32 s2, -1
	s_mov_b32 s42, s40
	s_mov_b32 s43, s39
	s_mov_b32 s44, exec_lo
	v_cmpx_gt_i32_e64 s36, v4
	s_cbranch_execz .LBB345_537
; %bb.267:
	s_and_not1_b32 vcc_lo, exec_lo, s29
	s_cbranch_vccnz .LBB345_272
; %bb.268:
	v_dual_mov_b32 v0, 0 :: v_dual_mov_b32 v1, 0
	s_and_not1_b32 vcc_lo, exec_lo, s38
	s_mov_b32 s42, 0
	s_cbranch_vccnz .LBB345_277
; %bb.269:
	v_mov_b32_e32 v0, 0
	s_add_i32 s45, s37, 1
	s_cmp_eq_u32 s27, 2
	s_mov_b32 s43, 0
	s_cbranch_scc1 .LBB345_273
; %bb.270:
	v_dual_mov_b32 v1, 0 :: v_dual_mov_b32 v0, 0
	v_mov_b32_e32 v2, v4
	s_and_b32 s43, s45, 28
	s_mov_b32 s46, 0
	s_mov_b64 s[2:3], s[22:23]
	s_mov_b64 s[24:25], s[16:17]
.LBB345_271:                            ; =>This Inner Loop Header: Depth=1
	s_clause 0x1
	s_load_b256 s[48:55], s[24:25], 0x4
	s_load_b128 s[64:67], s[24:25], 0x24
	s_load_b256 s[56:63], s[2:3], 0x0
	s_add_u32 s24, s24, 48
	s_addc_u32 s25, s25, 0
	s_add_i32 s46, s46, 4
	s_add_u32 s2, s2, 32
	s_addc_u32 s3, s3, 0
	s_cmp_eq_u32 s43, s46
	s_waitcnt vmcnt(0) lgkmcnt(0)
	v_mul_hi_u32 v5, s49, v2
	s_delay_alu instid0(VALU_DEP_1) | instskip(NEXT) | instid1(VALU_DEP_1)
	v_add_nc_u32_e32 v5, v2, v5
	v_lshrrev_b32_e32 v5, s50, v5
	s_delay_alu instid0(VALU_DEP_1) | instskip(SKIP_1) | instid1(VALU_DEP_2)
	v_mul_hi_u32 v6, s52, v5
	v_mul_lo_u32 v8, v5, s48
	v_add_nc_u32_e32 v6, v5, v6
	s_delay_alu instid0(VALU_DEP_2) | instskip(NEXT) | instid1(VALU_DEP_2)
	v_sub_nc_u32_e32 v2, v2, v8
	v_lshrrev_b32_e32 v6, s53, v6
	s_delay_alu instid0(VALU_DEP_2) | instskip(SKIP_1) | instid1(VALU_DEP_3)
	v_mul_lo_u32 v8, v2, s56
	v_mul_lo_u32 v10, v2, s57
	v_mul_hi_u32 v7, s55, v6
	s_delay_alu instid0(VALU_DEP_1) | instskip(NEXT) | instid1(VALU_DEP_1)
	v_add_nc_u32_e32 v7, v6, v7
	v_lshrrev_b32_e32 v7, s64, v7
	s_delay_alu instid0(VALU_DEP_1) | instskip(SKIP_1) | instid1(VALU_DEP_2)
	v_mul_hi_u32 v9, s66, v7
	v_mul_lo_u32 v11, v7, s54
	v_add_nc_u32_e32 v2, v7, v9
	v_mul_lo_u32 v9, v6, s51
	s_delay_alu instid0(VALU_DEP_3) | instskip(NEXT) | instid1(VALU_DEP_3)
	v_sub_nc_u32_e32 v6, v6, v11
	v_lshrrev_b32_e32 v2, s67, v2
	s_delay_alu instid0(VALU_DEP_2) | instskip(SKIP_2) | instid1(VALU_DEP_4)
	v_mul_lo_u32 v11, v6, s60
	v_mul_lo_u32 v6, v6, s61
	v_sub_nc_u32_e32 v5, v5, v9
	v_mul_lo_u32 v12, v2, s65
	s_delay_alu instid0(VALU_DEP_2) | instskip(SKIP_1) | instid1(VALU_DEP_3)
	v_mul_lo_u32 v9, v5, s58
	v_mul_lo_u32 v5, v5, s59
	v_sub_nc_u32_e32 v7, v7, v12
	s_delay_alu instid0(VALU_DEP_3) | instskip(NEXT) | instid1(VALU_DEP_2)
	v_add3_u32 v0, v8, v0, v9
	v_mul_lo_u32 v12, v7, s62
	v_mul_lo_u32 v7, v7, s63
	v_add3_u32 v1, v10, v1, v5
	s_delay_alu instid0(VALU_DEP_3) | instskip(NEXT) | instid1(VALU_DEP_2)
	v_add3_u32 v0, v11, v0, v12
	v_add3_u32 v1, v6, v1, v7
	s_cbranch_scc0 .LBB345_271
	s_branch .LBB345_274
.LBB345_272:
	s_mov_b32 s42, -1
                                        ; implicit-def: $vgpr0
                                        ; implicit-def: $vgpr1
	s_branch .LBB345_277
.LBB345_273:
	v_dual_mov_b32 v2, v4 :: v_dual_mov_b32 v1, 0
.LBB345_274:
	s_and_b32 s45, s45, 3
	s_delay_alu instid0(SALU_CYCLE_1)
	s_cmp_eq_u32 s45, 0
	s_cbranch_scc1 .LBB345_277
; %bb.275:
	s_lshl_b32 s2, s43, 3
	s_mul_i32 s24, s43, 12
	s_add_u32 s2, s2, s16
	s_addc_u32 s3, s17, 0
	s_add_u32 s2, s2, 0xc4
	s_addc_u32 s3, s3, 0
	;; [unrolled: 2-line block ×3, first 2 shown]
	.p2align	6
.LBB345_276:                            ; =>This Inner Loop Header: Depth=1
	s_clause 0x1
	s_load_b64 s[46:47], s[24:25], 0x4
	s_load_b32 s43, s[24:25], 0xc
	s_load_b64 s[48:49], s[2:3], 0x0
	s_add_u32 s24, s24, 12
	s_addc_u32 s25, s25, 0
	s_add_u32 s2, s2, 8
	s_addc_u32 s3, s3, 0
	s_add_i32 s45, s45, -1
	s_delay_alu instid0(SALU_CYCLE_1) | instskip(SKIP_2) | instid1(VALU_DEP_1)
	s_cmp_lg_u32 s45, 0
	s_waitcnt vmcnt(0) lgkmcnt(0)
	v_mul_hi_u32 v5, s47, v2
	v_add_nc_u32_e32 v5, v2, v5
	s_delay_alu instid0(VALU_DEP_1) | instskip(NEXT) | instid1(VALU_DEP_1)
	v_lshrrev_b32_e32 v8, s43, v5
	v_mul_lo_u32 v5, v8, s46
	s_delay_alu instid0(VALU_DEP_1) | instskip(NEXT) | instid1(VALU_DEP_1)
	v_sub_nc_u32_e32 v2, v2, v5
	v_mad_u64_u32 v[5:6], null, v2, s48, v[0:1]
	v_mad_u64_u32 v[6:7], null, v2, s49, v[1:2]
	v_mov_b32_e32 v2, v8
	s_delay_alu instid0(VALU_DEP_2)
	v_dual_mov_b32 v0, v5 :: v_dual_mov_b32 v1, v6
	s_cbranch_scc1 .LBB345_276
.LBB345_277:
	s_and_not1_b32 vcc_lo, exec_lo, s42
	s_cbranch_vccnz .LBB345_280
; %bb.278:
	v_mul_hi_u32 v0, s13, v4
	s_and_not1_b32 vcc_lo, exec_lo, s35
	s_delay_alu instid0(VALU_DEP_1) | instskip(NEXT) | instid1(VALU_DEP_1)
	v_add_nc_u32_e32 v0, v4, v0
	v_lshrrev_b32_e32 v2, s14, v0
	s_delay_alu instid0(VALU_DEP_1) | instskip(NEXT) | instid1(VALU_DEP_1)
	v_mul_lo_u32 v0, v2, s12
	v_sub_nc_u32_e32 v1, v4, v0
	s_delay_alu instid0(VALU_DEP_1)
	v_mul_lo_u32 v0, v1, s8
	v_mul_lo_u32 v1, v1, s9
	s_cbranch_vccnz .LBB345_280
; %bb.279:
	s_waitcnt vmcnt(0)
	v_mul_hi_u32 v5, s20, v2
	s_delay_alu instid0(VALU_DEP_1) | instskip(NEXT) | instid1(VALU_DEP_1)
	v_add_nc_u32_e32 v5, v2, v5
	v_lshrrev_b32_e32 v5, s21, v5
	s_delay_alu instid0(VALU_DEP_1) | instskip(NEXT) | instid1(VALU_DEP_1)
	v_mul_lo_u32 v5, v5, s15
	v_sub_nc_u32_e32 v2, v2, v5
	s_delay_alu instid0(VALU_DEP_1) | instskip(SKIP_1) | instid1(VALU_DEP_1)
	v_mad_u64_u32 v[5:6], null, v2, s10, v[0:1]
	v_mad_u64_u32 v[6:7], null, v2, s11, v[1:2]
	v_dual_mov_b32 v0, v5 :: v_dual_mov_b32 v1, v6
.LBB345_280:
	v_cmp_gt_i16_e32 vcc_lo, 11, v3
	s_delay_alu instid0(VALU_DEP_2) | instskip(NEXT) | instid1(VALU_DEP_1)
	v_add_co_u32 v1, s2, s6, v1
	v_add_co_ci_u32_e64 v2, null, s7, 0, s2
	s_mov_b32 s2, 0
	s_cbranch_vccnz .LBB345_287
; %bb.281:
	v_cmp_lt_i16_e32 vcc_lo, 25, v3
	s_cbranch_vccz .LBB345_338
; %bb.282:
	v_cmp_lt_i16_e32 vcc_lo, 28, v3
	s_cbranch_vccz .LBB345_339
	;; [unrolled: 3-line block ×4, first 2 shown]
; %bb.285:
	v_cmp_eq_u16_e32 vcc_lo, 46, v3
	s_mov_b32 s24, 0
	s_cbranch_vccz .LBB345_347
; %bb.286:
	global_load_b32 v5, v[1:2], off
	s_mov_b32 s2, -1
	s_mov_b32 s3, 0
	s_branch .LBB345_349
.LBB345_287:
	s_mov_b32 s3, s40
                                        ; implicit-def: $vgpr5
	s_cbranch_execnz .LBB345_486
.LBB345_288:
	s_and_not1_b32 vcc_lo, exec_lo, s2
	s_cbranch_vccnz .LBB345_534
.LBB345_289:
	s_waitcnt vmcnt(0)
	s_delay_alu instid0(VALU_DEP_1) | instskip(SKIP_1) | instid1(VALU_DEP_1)
	v_lshlrev_b32_e32 v1, 16, v5
	s_mov_b32 s2, exec_lo
	v_cmpx_o_f32_e32 v1, v1
; %bb.290:
	v_cmp_lt_f32_e32 vcc_lo, s33, v1
	v_cndmask_b32_e32 v1, s18, v5, vcc_lo
	s_delay_alu instid0(VALU_DEP_1) | instskip(NEXT) | instid1(VALU_DEP_1)
	v_lshlrev_b32_e32 v2, 16, v1
	v_cmp_gt_f32_e32 vcc_lo, s34, v2
	v_cndmask_b32_e32 v5, s31, v1, vcc_lo
; %bb.291:
	s_or_b32 exec_lo, exec_lo, s2
	v_and_b32_e64 v2, 0xff, s19
	v_add_co_u32 v0, s2, s4, v0
	s_delay_alu instid0(VALU_DEP_1) | instskip(NEXT) | instid1(VALU_DEP_3)
	v_add_co_ci_u32_e64 v1, null, s5, 0, s2
	v_cmp_gt_i16_e32 vcc_lo, 11, v2
	s_mov_b32 s24, 0
	s_mov_b32 s25, -1
	s_mov_b32 s2, s39
	s_cbranch_vccnz .LBB345_298
; %bb.292:
	v_cmp_lt_i16_e32 vcc_lo, 25, v2
	s_cbranch_vccz .LBB345_340
; %bb.293:
	v_cmp_lt_i16_e32 vcc_lo, 28, v2
	s_cbranch_vccz .LBB345_342
; %bb.294:
	v_cmp_lt_i16_e32 vcc_lo, 43, v2
	s_cbranch_vccz .LBB345_344
; %bb.295:
	v_cmp_lt_i16_e32 vcc_lo, 45, v2
	s_cbranch_vccz .LBB345_352
; %bb.296:
	v_cmp_eq_u16_e32 vcc_lo, 46, v2
	s_mov_b32 s25, 0
	s_mov_b32 s2, -1
	s_cbranch_vccz .LBB345_353
; %bb.297:
	v_and_b32_e32 v6, 0xffff, v5
	s_mov_b32 s24, -1
	s_mov_b32 s2, 0
	global_store_b32 v[0:1], v6, off
	s_branch .LBB345_353
.LBB345_298:
	s_and_b32 vcc_lo, exec_lo, s25
	s_cbranch_vccz .LBB345_422
; %bb.299:
	v_cmp_gt_i16_e32 vcc_lo, 5, v2
	s_mov_b32 s24, -1
	s_cbranch_vccnz .LBB345_320
; %bb.300:
	v_cmp_gt_i16_e32 vcc_lo, 8, v2
	s_cbranch_vccnz .LBB345_310
; %bb.301:
	v_cmp_gt_i16_e32 vcc_lo, 9, v2
	s_cbranch_vccnz .LBB345_307
; %bb.302:
	v_cmp_lt_i16_e32 vcc_lo, 9, v2
	s_cbranch_vccz .LBB345_304
; %bb.303:
	v_mov_b32_e32 v8, 0
	v_lshlrev_b32_e32 v6, 16, v5
	s_mov_b32 s24, 0
	s_delay_alu instid0(VALU_DEP_2) | instskip(NEXT) | instid1(VALU_DEP_2)
	v_mov_b32_e32 v9, v8
	v_cvt_f64_f32_e32 v[6:7], v6
	global_store_b128 v[0:1], v[6:9], off
.LBB345_304:
	s_and_not1_b32 vcc_lo, exec_lo, s24
	s_cbranch_vccnz .LBB345_306
; %bb.305:
	v_dual_mov_b32 v7, 0 :: v_dual_lshlrev_b32 v6, 16, v5
	global_store_b64 v[0:1], v[6:7], off
.LBB345_306:
	s_mov_b32 s24, 0
.LBB345_307:
	s_delay_alu instid0(SALU_CYCLE_1)
	s_and_not1_b32 vcc_lo, exec_lo, s24
	s_cbranch_vccnz .LBB345_309
; %bb.308:
	v_lshlrev_b32_e32 v6, 16, v5
	s_delay_alu instid0(VALU_DEP_1) | instskip(NEXT) | instid1(VALU_DEP_1)
	v_cvt_f16_f32_e32 v6, v6
	v_and_b32_e32 v6, 0xffff, v6
	global_store_b32 v[0:1], v6, off
.LBB345_309:
	s_mov_b32 s24, 0
.LBB345_310:
	s_delay_alu instid0(SALU_CYCLE_1)
	s_and_not1_b32 vcc_lo, exec_lo, s24
	s_cbranch_vccnz .LBB345_319
; %bb.311:
	v_cmp_gt_i16_e32 vcc_lo, 6, v2
	s_mov_b32 s24, -1
	s_cbranch_vccnz .LBB345_317
; %bb.312:
	v_cmp_lt_i16_e32 vcc_lo, 6, v2
	s_cbranch_vccz .LBB345_314
; %bb.313:
	v_lshlrev_b32_e32 v6, 16, v5
	s_mov_b32 s24, 0
	s_delay_alu instid0(VALU_DEP_1)
	v_cvt_f64_f32_e32 v[6:7], v6
	global_store_b64 v[0:1], v[6:7], off
.LBB345_314:
	s_and_not1_b32 vcc_lo, exec_lo, s24
	s_cbranch_vccnz .LBB345_316
; %bb.315:
	v_lshlrev_b32_e32 v6, 16, v5
	global_store_b32 v[0:1], v6, off
.LBB345_316:
	s_mov_b32 s24, 0
.LBB345_317:
	s_delay_alu instid0(SALU_CYCLE_1)
	s_and_not1_b32 vcc_lo, exec_lo, s24
	s_cbranch_vccnz .LBB345_319
; %bb.318:
	v_lshlrev_b32_e32 v6, 16, v5
	s_delay_alu instid0(VALU_DEP_1)
	v_cvt_f16_f32_e32 v6, v6
	global_store_b16 v[0:1], v6, off
.LBB345_319:
	s_mov_b32 s24, 0
.LBB345_320:
	s_delay_alu instid0(SALU_CYCLE_1)
	s_and_not1_b32 vcc_lo, exec_lo, s24
	s_cbranch_vccnz .LBB345_336
; %bb.321:
	v_cmp_gt_i16_e32 vcc_lo, 2, v2
	s_mov_b32 s24, -1
	s_cbranch_vccnz .LBB345_331
; %bb.322:
	v_cmp_gt_i16_e32 vcc_lo, 3, v2
	s_cbranch_vccnz .LBB345_328
; %bb.323:
	v_cmp_lt_i16_e32 vcc_lo, 3, v2
	s_cbranch_vccz .LBB345_325
; %bb.324:
	v_lshlrev_b32_e32 v6, 16, v5
	s_mov_b32 s24, 0
	s_delay_alu instid0(VALU_DEP_1) | instskip(NEXT) | instid1(VALU_DEP_1)
	v_trunc_f32_e32 v6, v6
	v_mul_f32_e64 v7, 0x2f800000, |v6|
	v_ashrrev_i32_e32 v9, 31, v6
	s_delay_alu instid0(VALU_DEP_2) | instskip(NEXT) | instid1(VALU_DEP_1)
	v_floor_f32_e32 v7, v7
	v_fma_f32 v8, 0xcf800000, v7, |v6|
	v_cvt_u32_f32_e32 v7, v7
	s_delay_alu instid0(VALU_DEP_2) | instskip(NEXT) | instid1(VALU_DEP_2)
	v_cvt_u32_f32_e32 v6, v8
	v_xor_b32_e32 v7, v7, v9
	s_delay_alu instid0(VALU_DEP_2) | instskip(NEXT) | instid1(VALU_DEP_1)
	v_xor_b32_e32 v6, v6, v9
	v_sub_co_u32 v6, vcc_lo, v6, v9
	s_delay_alu instid0(VALU_DEP_3)
	v_sub_co_ci_u32_e32 v7, vcc_lo, v7, v9, vcc_lo
	global_store_b64 v[0:1], v[6:7], off
.LBB345_325:
	s_and_not1_b32 vcc_lo, exec_lo, s24
	s_cbranch_vccnz .LBB345_327
; %bb.326:
	v_lshlrev_b32_e32 v6, 16, v5
	s_delay_alu instid0(VALU_DEP_1)
	v_cvt_i32_f32_e32 v6, v6
	global_store_b32 v[0:1], v6, off
.LBB345_327:
	s_mov_b32 s24, 0
.LBB345_328:
	s_delay_alu instid0(SALU_CYCLE_1)
	s_and_not1_b32 vcc_lo, exec_lo, s24
	s_cbranch_vccnz .LBB345_330
; %bb.329:
	v_lshlrev_b32_e32 v6, 16, v5
	s_delay_alu instid0(VALU_DEP_1)
	v_cvt_i32_f32_e32 v6, v6
	global_store_b16 v[0:1], v6, off
.LBB345_330:
	s_mov_b32 s24, 0
.LBB345_331:
	s_delay_alu instid0(SALU_CYCLE_1)
	s_and_not1_b32 vcc_lo, exec_lo, s24
	s_cbranch_vccnz .LBB345_336
; %bb.332:
	v_cmp_lt_i16_e32 vcc_lo, 0, v2
	s_mov_b32 s24, -1
	s_cbranch_vccz .LBB345_334
; %bb.333:
	v_lshlrev_b32_e32 v2, 16, v5
	s_mov_b32 s24, 0
	s_delay_alu instid0(VALU_DEP_1)
	v_cvt_i32_f32_e32 v2, v2
	global_store_b8 v[0:1], v2, off
.LBB345_334:
	s_and_not1_b32 vcc_lo, exec_lo, s24
	s_cbranch_vccnz .LBB345_336
; %bb.335:
	v_lshlrev_b32_e32 v2, 16, v5
	s_delay_alu instid0(VALU_DEP_1) | instskip(NEXT) | instid1(VALU_DEP_1)
	v_trunc_f32_e32 v2, v2
	v_mul_f32_e64 v5, 0x2f800000, |v2|
	s_delay_alu instid0(VALU_DEP_1) | instskip(NEXT) | instid1(VALU_DEP_1)
	v_floor_f32_e32 v5, v5
	v_fma_f32 v5, 0xcf800000, v5, |v2|
	v_ashrrev_i32_e32 v2, 31, v2
	s_delay_alu instid0(VALU_DEP_2) | instskip(NEXT) | instid1(VALU_DEP_1)
	v_cvt_u32_f32_e32 v5, v5
	v_xor_b32_e32 v5, v5, v2
	s_delay_alu instid0(VALU_DEP_1)
	v_sub_nc_u32_e32 v2, v5, v2
	global_store_b8 v[0:1], v2, off
.LBB345_336:
	s_branch .LBB345_423
.LBB345_337:
	s_mov_b32 s24, 0
	s_branch .LBB345_535
.LBB345_338:
	s_mov_b32 s24, -1
	s_mov_b32 s3, s40
                                        ; implicit-def: $vgpr5
	s_branch .LBB345_450
.LBB345_339:
	s_mov_b32 s24, -1
	s_mov_b32 s3, s40
                                        ; implicit-def: $vgpr5
	s_branch .LBB345_431
.LBB345_340:
	s_mov_b32 s2, s39
	s_branch .LBB345_380
.LBB345_341:
	s_mov_b32 s24, -1
	s_mov_b32 s3, s40
                                        ; implicit-def: $vgpr5
	s_branch .LBB345_426
.LBB345_342:
	s_mov_b32 s2, s39
	s_branch .LBB345_363
.LBB345_343:
	s_mov_b32 s24, -1
	s_mov_b32 s3, s40
	s_branch .LBB345_348
.LBB345_344:
	s_mov_b32 s2, s39
	s_branch .LBB345_359
.LBB345_345:
	s_or_saveexec_b32 s39, s39
                                        ; implicit-def: $sgpr40
	s_delay_alu instid0(SALU_CYCLE_1)
	s_xor_b32 exec_lo, exec_lo, s39
	s_cbranch_execz .LBB345_67
.LBB345_346:
	v_add_f32_e64 v7, 0x42800000, |v8|
	s_and_not1_b32 s25, s25, exec_lo
	s_mov_b32 s40, 0
	s_delay_alu instid0(VALU_DEP_1) | instskip(NEXT) | instid1(VALU_DEP_1)
	v_and_b32_e32 v7, 0xff, v7
	v_cmp_ne_u32_e32 vcc_lo, 0, v7
	s_and_b32 s43, vcc_lo, exec_lo
	s_delay_alu instid0(SALU_CYCLE_1)
	s_or_b32 s25, s25, s43
	s_or_b32 exec_lo, exec_lo, s39
	v_mov_b32_e32 v9, s40
	s_and_saveexec_b32 s39, s25
	s_cbranch_execnz .LBB345_68
	s_branch .LBB345_69
.LBB345_347:
	s_mov_b32 s3, -1
.LBB345_348:
                                        ; implicit-def: $vgpr5
.LBB345_349:
	s_and_b32 vcc_lo, exec_lo, s24
	s_cbranch_vccz .LBB345_425
; %bb.350:
	v_cmp_eq_u16_e32 vcc_lo, 44, v3
	s_cbranch_vccz .LBB345_424
; %bb.351:
	global_load_u8 v5, v[1:2], off
	s_mov_b32 s3, 0
	s_mov_b32 s2, -1
	s_waitcnt vmcnt(0)
	v_lshlrev_b32_e32 v6, 23, v5
	v_cmp_ne_u32_e32 vcc_lo, 0xff, v5
	s_delay_alu instid0(VALU_DEP_2) | instskip(SKIP_1) | instid1(VALU_DEP_2)
	v_cndmask_b32_e32 v6, 0x7f800001, v6, vcc_lo
	v_cmp_ne_u32_e32 vcc_lo, 0, v5
	v_cndmask_b32_e32 v5, 0x400000, v6, vcc_lo
	s_delay_alu instid0(VALU_DEP_1) | instskip(SKIP_1) | instid1(VALU_DEP_2)
	v_add_nc_u32_e32 v6, 0x7fff, v5
	v_cmp_o_f32_e32 vcc_lo, v5, v5
	v_lshrrev_b32_e32 v6, 16, v6
	s_delay_alu instid0(VALU_DEP_1)
	v_cndmask_b32_e32 v5, 0x7fc0, v6, vcc_lo
	s_branch .LBB345_425
.LBB345_352:
	s_mov_b32 s2, s39
.LBB345_353:
	s_and_b32 vcc_lo, exec_lo, s25
	s_cbranch_vccz .LBB345_358
; %bb.354:
	v_cmp_eq_u16_e32 vcc_lo, 44, v2
	s_mov_b32 s2, -1
	s_cbranch_vccz .LBB345_358
; %bb.355:
	v_and_b32_e32 v6, 0xffff, v5
	v_mov_b32_e32 v7, 0xff
	s_mov_b32 s24, exec_lo
	s_delay_alu instid0(VALU_DEP_2) | instskip(NEXT) | instid1(VALU_DEP_1)
	v_bfe_u32 v8, v6, 7, 8
	v_cmpx_ne_u32_e32 0xff, v8
; %bb.356:
	v_lshlrev_b32_e32 v7, 16, v6
	v_and_b32_e32 v9, 64, v6
	v_lshrrev_b32_e32 v6, 7, v6
	s_delay_alu instid0(VALU_DEP_3) | instskip(NEXT) | instid1(VALU_DEP_3)
	v_and_or_b32 v7, 0x3f0000, v7, v8
	v_cmp_ne_u32_e32 vcc_lo, 0, v9
	s_delay_alu instid0(VALU_DEP_2) | instskip(NEXT) | instid1(VALU_DEP_1)
	v_cmp_ne_u32_e64 s2, 0, v7
	s_and_b32 s2, vcc_lo, s2
	s_delay_alu instid0(SALU_CYCLE_1) | instskip(NEXT) | instid1(VALU_DEP_1)
	v_cndmask_b32_e64 v7, 0, 1, s2
	v_add_nc_u32_e32 v7, v6, v7
; %bb.357:
	s_or_b32 exec_lo, exec_lo, s24
	s_mov_b32 s24, -1
	s_mov_b32 s2, 0
	global_store_b8 v[0:1], v7, off
.LBB345_358:
	s_mov_b32 s25, 0
.LBB345_359:
	s_delay_alu instid0(SALU_CYCLE_1)
	s_and_b32 vcc_lo, exec_lo, s25
	s_cbranch_vccz .LBB345_362
; %bb.360:
	v_cmp_eq_u16_e32 vcc_lo, 29, v2
	s_mov_b32 s2, -1
	s_cbranch_vccz .LBB345_362
; %bb.361:
	v_lshlrev_b32_e32 v6, 16, v5
	s_mov_b32 s24, -1
	s_mov_b32 s2, 0
	s_mov_b32 s25, 0
	s_delay_alu instid0(VALU_DEP_1) | instskip(NEXT) | instid1(VALU_DEP_1)
	v_trunc_f32_e32 v6, v6
	v_mul_f32_e32 v7, 0x2f800000, v6
	s_delay_alu instid0(VALU_DEP_1) | instskip(NEXT) | instid1(VALU_DEP_1)
	v_floor_f32_e32 v7, v7
	v_fmamk_f32 v6, v7, 0xcf800000, v6
	v_cvt_u32_f32_e32 v7, v7
	s_delay_alu instid0(VALU_DEP_2)
	v_cvt_u32_f32_e32 v6, v6
	global_store_b64 v[0:1], v[6:7], off
	s_branch .LBB345_363
.LBB345_362:
	s_mov_b32 s25, 0
.LBB345_363:
	s_delay_alu instid0(SALU_CYCLE_1)
	s_and_b32 vcc_lo, exec_lo, s25
	s_cbranch_vccz .LBB345_379
; %bb.364:
	v_cmp_gt_i16_e32 vcc_lo, 27, v2
	s_mov_b32 s24, -1
	s_cbranch_vccnz .LBB345_370
; %bb.365:
	v_cmp_lt_i16_e32 vcc_lo, 27, v2
	s_cbranch_vccz .LBB345_367
; %bb.366:
	v_lshlrev_b32_e32 v6, 16, v5
	s_mov_b32 s24, 0
	s_delay_alu instid0(VALU_DEP_1)
	v_cvt_u32_f32_e32 v6, v6
	global_store_b32 v[0:1], v6, off
.LBB345_367:
	s_and_not1_b32 vcc_lo, exec_lo, s24
	s_cbranch_vccnz .LBB345_369
; %bb.368:
	v_lshlrev_b32_e32 v6, 16, v5
	s_delay_alu instid0(VALU_DEP_1)
	v_cvt_u32_f32_e32 v6, v6
	global_store_b16 v[0:1], v6, off
.LBB345_369:
	s_mov_b32 s24, 0
.LBB345_370:
	s_delay_alu instid0(SALU_CYCLE_1)
	s_and_not1_b32 vcc_lo, exec_lo, s24
	s_cbranch_vccnz .LBB345_378
; %bb.371:
	v_dual_mov_b32 v9, 0x80 :: v_dual_lshlrev_b32 v8, 16, v5
	s_mov_b32 s24, exec_lo
	s_delay_alu instid0(VALU_DEP_1) | instskip(NEXT) | instid1(VALU_DEP_1)
	v_and_b32_e32 v7, 0x7fffffff, v8
	v_cmpx_gt_u32_e32 0x43800000, v7
	s_cbranch_execz .LBB345_377
; %bb.372:
	v_and_b32_e32 v6, 0xffff, v5
	v_cmp_lt_u32_e32 vcc_lo, 0x3bffffff, v7
	s_mov_b32 s25, 0
                                        ; implicit-def: $vgpr7
	s_and_saveexec_b32 s42, vcc_lo
	s_delay_alu instid0(SALU_CYCLE_1)
	s_xor_b32 s42, exec_lo, s42
	s_cbranch_execz .LBB345_563
; %bb.373:
	v_bfe_u32 v7, v6, 4, 1
	s_mov_b32 s25, exec_lo
	s_delay_alu instid0(VALU_DEP_1) | instskip(NEXT) | instid1(VALU_DEP_1)
	v_add3_u32 v7, v8, v7, 0x487ffff
                                        ; implicit-def: $vgpr8
	v_lshrrev_b32_e32 v7, 20, v7
	s_or_saveexec_b32 s42, s42
                                        ; implicit-def: $sgpr43
	s_delay_alu instid0(SALU_CYCLE_1)
	s_xor_b32 exec_lo, exec_lo, s42
	s_cbranch_execnz .LBB345_564
.LBB345_374:
	s_or_b32 exec_lo, exec_lo, s42
	v_mov_b32_e32 v9, s43
	s_and_saveexec_b32 s42, s25
.LBB345_375:
	v_lshrrev_b32_e32 v6, 8, v6
	s_delay_alu instid0(VALU_DEP_1)
	v_and_or_b32 v9, 0x80, v6, v7
.LBB345_376:
	s_or_b32 exec_lo, exec_lo, s42
.LBB345_377:
	s_delay_alu instid0(SALU_CYCLE_1)
	s_or_b32 exec_lo, exec_lo, s24
	global_store_b8 v[0:1], v9, off
.LBB345_378:
	s_mov_b32 s24, -1
.LBB345_379:
	s_mov_b32 s25, 0
.LBB345_380:
	s_delay_alu instid0(SALU_CYCLE_1)
	s_and_b32 vcc_lo, exec_lo, s25
	s_cbranch_vccz .LBB345_421
; %bb.381:
	v_cmp_lt_i16_e32 vcc_lo, 22, v2
	s_mov_b32 s25, -1
	s_cbranch_vccz .LBB345_413
; %bb.382:
	v_cmp_gt_i16_e32 vcc_lo, 24, v2
	s_mov_b32 s24, -1
	s_cbranch_vccnz .LBB345_402
; %bb.383:
	v_cmp_lt_i16_e32 vcc_lo, 24, v2
	s_cbranch_vccz .LBB345_391
; %bb.384:
	v_dual_mov_b32 v9, 0x80 :: v_dual_lshlrev_b32 v8, 16, v5
	s_mov_b32 s24, exec_lo
	s_delay_alu instid0(VALU_DEP_1) | instskip(NEXT) | instid1(VALU_DEP_1)
	v_and_b32_e32 v7, 0x7fffffff, v8
	v_cmpx_gt_u32_e32 0x47800000, v7
	s_cbranch_execz .LBB345_390
; %bb.385:
	v_and_b32_e32 v6, 0xffff, v5
	v_cmp_lt_u32_e32 vcc_lo, 0x37ffffff, v7
	s_mov_b32 s25, 0
                                        ; implicit-def: $vgpr7
	s_and_saveexec_b32 s42, vcc_lo
	s_delay_alu instid0(SALU_CYCLE_1)
	s_xor_b32 s42, exec_lo, s42
	s_cbranch_execz .LBB345_566
; %bb.386:
	v_bfe_u32 v7, v6, 5, 1
	s_mov_b32 s25, exec_lo
	s_delay_alu instid0(VALU_DEP_1) | instskip(NEXT) | instid1(VALU_DEP_1)
	v_add3_u32 v7, v8, v7, 0x88fffff
                                        ; implicit-def: $vgpr8
	v_lshrrev_b32_e32 v7, 21, v7
	s_or_saveexec_b32 s42, s42
                                        ; implicit-def: $sgpr43
	s_delay_alu instid0(SALU_CYCLE_1)
	s_xor_b32 exec_lo, exec_lo, s42
	s_cbranch_execnz .LBB345_567
.LBB345_387:
	s_or_b32 exec_lo, exec_lo, s42
	v_mov_b32_e32 v9, s43
	s_and_saveexec_b32 s42, s25
.LBB345_388:
	v_lshrrev_b32_e32 v6, 8, v6
	s_delay_alu instid0(VALU_DEP_1)
	v_and_or_b32 v9, 0x80, v6, v7
.LBB345_389:
	s_or_b32 exec_lo, exec_lo, s42
.LBB345_390:
	s_delay_alu instid0(SALU_CYCLE_1)
	s_or_b32 exec_lo, exec_lo, s24
	s_mov_b32 s24, 0
	global_store_b8 v[0:1], v9, off
.LBB345_391:
	s_and_b32 vcc_lo, exec_lo, s24
	s_cbranch_vccz .LBB345_401
; %bb.392:
	v_lshlrev_b32_e32 v8, 16, v5
	v_and_b32_e32 v6, 0xffff, v5
	s_mov_b32 s24, exec_lo
                                        ; implicit-def: $vgpr7
	s_delay_alu instid0(VALU_DEP_2) | instskip(NEXT) | instid1(VALU_DEP_1)
	v_and_b32_e32 v9, 0x7fffffff, v8
	v_cmpx_gt_u32_e32 0x43f00000, v9
	s_xor_b32 s24, exec_lo, s24
	s_cbranch_execz .LBB345_398
; %bb.393:
	s_mov_b32 s25, exec_lo
                                        ; implicit-def: $vgpr7
	v_cmpx_lt_u32_e32 0x3c7fffff, v9
	s_xor_b32 s25, exec_lo, s25
; %bb.394:
	v_bfe_u32 v7, v6, 4, 1
	s_delay_alu instid0(VALU_DEP_1) | instskip(NEXT) | instid1(VALU_DEP_1)
	v_add3_u32 v7, v8, v7, 0x407ffff
	v_and_b32_e32 v8, 0xff00000, v7
	v_lshrrev_b32_e32 v7, 20, v7
	s_delay_alu instid0(VALU_DEP_2) | instskip(NEXT) | instid1(VALU_DEP_2)
	v_cmp_ne_u32_e32 vcc_lo, 0x7f00000, v8
                                        ; implicit-def: $vgpr8
	v_cndmask_b32_e32 v7, 0x7e, v7, vcc_lo
; %bb.395:
	s_and_not1_saveexec_b32 s25, s25
; %bb.396:
	v_add_f32_e64 v7, 0x46800000, |v8|
; %bb.397:
	s_or_b32 exec_lo, exec_lo, s25
                                        ; implicit-def: $vgpr9
.LBB345_398:
	s_and_not1_saveexec_b32 s24, s24
; %bb.399:
	v_mov_b32_e32 v7, 0x7f
	v_cmp_lt_u32_e32 vcc_lo, 0x7f800000, v9
	s_delay_alu instid0(VALU_DEP_2)
	v_cndmask_b32_e32 v7, 0x7e, v7, vcc_lo
; %bb.400:
	s_or_b32 exec_lo, exec_lo, s24
	v_lshrrev_b32_e32 v6, 8, v6
	s_delay_alu instid0(VALU_DEP_1)
	v_and_or_b32 v6, 0x80, v6, v7
	global_store_b8 v[0:1], v6, off
.LBB345_401:
	s_mov_b32 s24, 0
.LBB345_402:
	s_delay_alu instid0(SALU_CYCLE_1)
	s_and_not1_b32 vcc_lo, exec_lo, s24
	s_cbranch_vccnz .LBB345_412
; %bb.403:
	v_lshlrev_b32_e32 v8, 16, v5
	v_and_b32_e32 v6, 0xffff, v5
	s_mov_b32 s24, exec_lo
                                        ; implicit-def: $vgpr7
	s_delay_alu instid0(VALU_DEP_2) | instskip(NEXT) | instid1(VALU_DEP_1)
	v_and_b32_e32 v9, 0x7fffffff, v8
	v_cmpx_gt_u32_e32 0x47800000, v9
	s_xor_b32 s24, exec_lo, s24
	s_cbranch_execz .LBB345_409
; %bb.404:
	s_mov_b32 s25, exec_lo
                                        ; implicit-def: $vgpr7
	v_cmpx_lt_u32_e32 0x387fffff, v9
	s_xor_b32 s25, exec_lo, s25
; %bb.405:
	v_bfe_u32 v7, v6, 5, 1
	s_delay_alu instid0(VALU_DEP_1) | instskip(NEXT) | instid1(VALU_DEP_1)
	v_add3_u32 v7, v8, v7, 0x80fffff
                                        ; implicit-def: $vgpr8
	v_lshrrev_b32_e32 v7, 21, v7
; %bb.406:
	s_and_not1_saveexec_b32 s25, s25
; %bb.407:
	v_add_f32_e64 v7, 0x43000000, |v8|
; %bb.408:
	s_or_b32 exec_lo, exec_lo, s25
                                        ; implicit-def: $vgpr9
.LBB345_409:
	s_and_not1_saveexec_b32 s24, s24
; %bb.410:
	v_mov_b32_e32 v7, 0x7f
	v_cmp_lt_u32_e32 vcc_lo, 0x7f800000, v9
	s_delay_alu instid0(VALU_DEP_2)
	v_cndmask_b32_e32 v7, 0x7c, v7, vcc_lo
; %bb.411:
	s_or_b32 exec_lo, exec_lo, s24
	v_lshrrev_b32_e32 v6, 8, v6
	s_delay_alu instid0(VALU_DEP_1)
	v_and_or_b32 v6, 0x80, v6, v7
	global_store_b8 v[0:1], v6, off
.LBB345_412:
	s_mov_b32 s25, 0
	s_mov_b32 s24, -1
.LBB345_413:
	s_and_not1_b32 vcc_lo, exec_lo, s25
	s_cbranch_vccnz .LBB345_421
; %bb.414:
	v_cmp_lt_i16_e32 vcc_lo, 14, v2
	s_mov_b32 s25, -1
	s_cbranch_vccz .LBB345_418
; %bb.415:
	v_cmp_eq_u16_e32 vcc_lo, 15, v2
	s_mov_b32 s2, -1
	s_cbranch_vccz .LBB345_417
; %bb.416:
	s_mov_b32 s24, -1
	s_mov_b32 s2, 0
	global_store_b16 v[0:1], v5, off
.LBB345_417:
	s_mov_b32 s25, 0
.LBB345_418:
	s_delay_alu instid0(SALU_CYCLE_1)
	s_and_b32 vcc_lo, exec_lo, s25
	s_cbranch_vccz .LBB345_421
; %bb.419:
	v_cmp_eq_u16_e32 vcc_lo, 11, v2
	s_mov_b32 s2, -1
	s_cbranch_vccz .LBB345_421
; %bb.420:
	v_and_b32_e32 v6, 0x7fff, v5
	s_mov_b32 s2, 0
	s_mov_b32 s24, -1
	s_delay_alu instid0(VALU_DEP_1)
	v_cmp_ne_u16_e32 vcc_lo, 0, v6
	v_cndmask_b32_e64 v6, 0, 1, vcc_lo
	global_store_b8 v[0:1], v6, off
.LBB345_421:
.LBB345_422:
	s_and_not1_b32 vcc_lo, exec_lo, s24
	s_cbranch_vccnz .LBB345_337
.LBB345_423:
	v_add_nc_u32_e32 v4, 0x80, v4
	s_mov_b32 s24, -1
	s_branch .LBB345_536
.LBB345_424:
	s_mov_b32 s3, -1
                                        ; implicit-def: $vgpr5
.LBB345_425:
	s_mov_b32 s24, 0
.LBB345_426:
	s_delay_alu instid0(SALU_CYCLE_1)
	s_and_b32 vcc_lo, exec_lo, s24
	s_cbranch_vccz .LBB345_430
; %bb.427:
	v_cmp_eq_u16_e32 vcc_lo, 29, v3
	s_cbranch_vccz .LBB345_429
; %bb.428:
	global_load_b64 v[5:6], v[1:2], off
	s_mov_b32 s2, -1
	s_mov_b32 s3, 0
	s_mov_b32 s24, 0
	s_waitcnt vmcnt(0)
	v_clz_i32_u32_e32 v7, v6
	s_delay_alu instid0(VALU_DEP_1) | instskip(NEXT) | instid1(VALU_DEP_1)
	v_min_u32_e32 v7, 32, v7
	v_lshlrev_b64 v[5:6], v7, v[5:6]
	s_delay_alu instid0(VALU_DEP_1) | instskip(NEXT) | instid1(VALU_DEP_1)
	v_min_u32_e32 v5, 1, v5
	v_or_b32_e32 v5, v6, v5
	v_sub_nc_u32_e32 v6, 32, v7
	s_delay_alu instid0(VALU_DEP_2) | instskip(NEXT) | instid1(VALU_DEP_1)
	v_cvt_f32_u32_e32 v5, v5
	v_ldexp_f32 v5, v5, v6
	s_delay_alu instid0(VALU_DEP_1) | instskip(NEXT) | instid1(VALU_DEP_1)
	v_bfe_u32 v6, v5, 16, 1
	v_add3_u32 v5, v5, v6, 0x7fff
	s_delay_alu instid0(VALU_DEP_1)
	v_lshrrev_b32_e32 v5, 16, v5
	s_branch .LBB345_431
.LBB345_429:
	s_mov_b32 s3, -1
                                        ; implicit-def: $vgpr5
.LBB345_430:
	s_mov_b32 s24, 0
.LBB345_431:
	s_delay_alu instid0(SALU_CYCLE_1)
	s_and_b32 vcc_lo, exec_lo, s24
	s_cbranch_vccz .LBB345_449
; %bb.432:
	v_cmp_gt_i16_e32 vcc_lo, 27, v3
	s_cbranch_vccnz .LBB345_435
; %bb.433:
	v_cmp_lt_i16_e32 vcc_lo, 27, v3
	s_cbranch_vccz .LBB345_436
; %bb.434:
	global_load_b32 v5, v[1:2], off
	s_mov_b32 s2, 0
	s_waitcnt vmcnt(0)
	v_cvt_f32_u32_e32 v5, v5
	s_delay_alu instid0(VALU_DEP_1) | instskip(NEXT) | instid1(VALU_DEP_1)
	v_bfe_u32 v6, v5, 16, 1
	v_add3_u32 v5, v5, v6, 0x7fff
	s_delay_alu instid0(VALU_DEP_1)
	v_lshrrev_b32_e32 v5, 16, v5
	s_branch .LBB345_437
.LBB345_435:
	s_mov_b32 s2, -1
                                        ; implicit-def: $vgpr5
	s_branch .LBB345_440
.LBB345_436:
	s_mov_b32 s2, -1
                                        ; implicit-def: $vgpr5
.LBB345_437:
	s_delay_alu instid0(SALU_CYCLE_1)
	s_and_not1_b32 vcc_lo, exec_lo, s2
	s_cbranch_vccnz .LBB345_439
; %bb.438:
	global_load_u16 v5, v[1:2], off
	s_waitcnt vmcnt(0)
	v_cvt_f32_u32_e32 v5, v5
	s_delay_alu instid0(VALU_DEP_1) | instskip(NEXT) | instid1(VALU_DEP_1)
	v_bfe_u32 v6, v5, 16, 1
	v_add3_u32 v5, v5, v6, 0x7fff
	s_delay_alu instid0(VALU_DEP_1)
	v_lshrrev_b32_e32 v5, 16, v5
.LBB345_439:
	s_mov_b32 s2, 0
.LBB345_440:
	s_delay_alu instid0(SALU_CYCLE_1)
	s_and_not1_b32 vcc_lo, exec_lo, s2
	s_cbranch_vccnz .LBB345_448
; %bb.441:
	global_load_u8 v5, v[1:2], off
	s_mov_b32 s2, 0
	s_mov_b32 s25, exec_lo
                                        ; implicit-def: $sgpr24
	s_waitcnt vmcnt(0)
	v_cmpx_lt_i16_e32 0x7f, v5
	s_xor_b32 s25, exec_lo, s25
	s_cbranch_execz .LBB345_462
; %bb.442:
	s_mov_b32 s2, -1
	s_mov_b32 s42, exec_lo
                                        ; implicit-def: $sgpr24
	v_cmpx_eq_u16_e32 0x80, v5
; %bb.443:
	s_mov_b32 s24, 0x7f800001
	s_xor_b32 s2, exec_lo, -1
; %bb.444:
	s_or_b32 exec_lo, exec_lo, s42
	s_delay_alu instid0(SALU_CYCLE_1)
	s_and_b32 s2, s2, exec_lo
	s_or_saveexec_b32 s25, s25
	v_mov_b32_e32 v6, s24
	s_xor_b32 exec_lo, exec_lo, s25
	s_cbranch_execnz .LBB345_463
.LBB345_445:
	s_or_b32 exec_lo, exec_lo, s25
	s_and_saveexec_b32 s24, s2
	s_cbranch_execz .LBB345_447
.LBB345_446:
	v_and_b32_e32 v6, 0xffff, v5
	v_lshlrev_b32_e32 v5, 24, v5
	s_delay_alu instid0(VALU_DEP_2) | instskip(NEXT) | instid1(VALU_DEP_2)
	v_and_b32_e32 v7, 7, v6
	v_and_b32_e32 v5, 0x80000000, v5
	s_delay_alu instid0(VALU_DEP_2) | instskip(NEXT) | instid1(VALU_DEP_1)
	v_clz_i32_u32_e32 v8, v7
	v_min_u32_e32 v8, 32, v8
	s_delay_alu instid0(VALU_DEP_1) | instskip(SKIP_1) | instid1(VALU_DEP_2)
	v_subrev_nc_u32_e32 v9, 28, v8
	v_sub_nc_u32_e32 v8, 29, v8
	v_lshlrev_b32_e32 v9, v9, v6
	v_bfe_u32 v6, v6, 3, 4
	s_delay_alu instid0(VALU_DEP_2) | instskip(NEXT) | instid1(VALU_DEP_2)
	v_and_b32_e32 v9, 7, v9
	v_cmp_eq_u32_e32 vcc_lo, 0, v6
	s_delay_alu instid0(VALU_DEP_2) | instskip(NEXT) | instid1(VALU_DEP_1)
	v_dual_cndmask_b32 v6, v6, v8 :: v_dual_cndmask_b32 v7, v7, v9
	v_lshl_add_u32 v6, v6, 23, 0x3b800000
	s_delay_alu instid0(VALU_DEP_2) | instskip(NEXT) | instid1(VALU_DEP_1)
	v_lshlrev_b32_e32 v7, 20, v7
	v_or3_b32 v6, v5, v6, v7
.LBB345_447:
	s_or_b32 exec_lo, exec_lo, s24
	s_delay_alu instid0(VALU_DEP_1) | instskip(SKIP_1) | instid1(VALU_DEP_2)
	v_bfe_u32 v5, v6, 16, 1
	v_cmp_o_f32_e32 vcc_lo, v6, v6
	v_add3_u32 v5, v6, v5, 0x7fff
	s_delay_alu instid0(VALU_DEP_1) | instskip(NEXT) | instid1(VALU_DEP_1)
	v_lshrrev_b32_e32 v5, 16, v5
	v_cndmask_b32_e32 v5, 0x7fc0, v5, vcc_lo
.LBB345_448:
	s_mov_b32 s2, -1
.LBB345_449:
	s_mov_b32 s24, 0
.LBB345_450:
	s_delay_alu instid0(SALU_CYCLE_1)
	s_and_b32 vcc_lo, exec_lo, s24
	s_cbranch_vccz .LBB345_485
; %bb.451:
	v_cmp_lt_i16_e32 vcc_lo, 22, v3
	s_cbranch_vccz .LBB345_461
; %bb.452:
	v_cmp_gt_i16_e32 vcc_lo, 24, v3
	s_cbranch_vccnz .LBB345_464
; %bb.453:
	v_cmp_lt_i16_e32 vcc_lo, 24, v3
	s_cbranch_vccz .LBB345_465
; %bb.454:
	global_load_u8 v5, v[1:2], off
	s_mov_b32 s2, 0
	s_mov_b32 s25, exec_lo
                                        ; implicit-def: $sgpr24
	s_waitcnt vmcnt(0)
	v_cmpx_lt_i16_e32 0x7f, v5
	s_xor_b32 s25, exec_lo, s25
	s_cbranch_execz .LBB345_477
; %bb.455:
	s_mov_b32 s2, -1
	s_mov_b32 s42, exec_lo
                                        ; implicit-def: $sgpr24
	v_cmpx_eq_u16_e32 0x80, v5
; %bb.456:
	s_mov_b32 s24, 0x7f800001
	s_xor_b32 s2, exec_lo, -1
; %bb.457:
	s_or_b32 exec_lo, exec_lo, s42
	s_delay_alu instid0(SALU_CYCLE_1)
	s_and_b32 s2, s2, exec_lo
	s_or_saveexec_b32 s25, s25
	v_mov_b32_e32 v6, s24
	s_xor_b32 exec_lo, exec_lo, s25
	s_cbranch_execnz .LBB345_478
.LBB345_458:
	s_or_b32 exec_lo, exec_lo, s25
	s_and_saveexec_b32 s24, s2
	s_cbranch_execz .LBB345_460
.LBB345_459:
	v_and_b32_e32 v6, 0xffff, v5
	v_lshlrev_b32_e32 v5, 24, v5
	s_delay_alu instid0(VALU_DEP_2) | instskip(NEXT) | instid1(VALU_DEP_2)
	v_and_b32_e32 v7, 3, v6
	v_and_b32_e32 v5, 0x80000000, v5
	s_delay_alu instid0(VALU_DEP_2) | instskip(NEXT) | instid1(VALU_DEP_1)
	v_clz_i32_u32_e32 v8, v7
	v_min_u32_e32 v8, 32, v8
	s_delay_alu instid0(VALU_DEP_1) | instskip(SKIP_1) | instid1(VALU_DEP_2)
	v_subrev_nc_u32_e32 v9, 29, v8
	v_sub_nc_u32_e32 v8, 30, v8
	v_lshlrev_b32_e32 v9, v9, v6
	v_bfe_u32 v6, v6, 2, 5
	s_delay_alu instid0(VALU_DEP_2) | instskip(NEXT) | instid1(VALU_DEP_2)
	v_and_b32_e32 v9, 3, v9
	v_cmp_eq_u32_e32 vcc_lo, 0, v6
	s_delay_alu instid0(VALU_DEP_2) | instskip(NEXT) | instid1(VALU_DEP_1)
	v_dual_cndmask_b32 v6, v6, v8 :: v_dual_cndmask_b32 v7, v7, v9
	v_lshl_add_u32 v6, v6, 23, 0x37800000
	s_delay_alu instid0(VALU_DEP_2) | instskip(NEXT) | instid1(VALU_DEP_1)
	v_lshlrev_b32_e32 v7, 21, v7
	v_or3_b32 v6, v5, v6, v7
.LBB345_460:
	s_or_b32 exec_lo, exec_lo, s24
	s_delay_alu instid0(VALU_DEP_1) | instskip(SKIP_2) | instid1(VALU_DEP_2)
	v_bfe_u32 v5, v6, 16, 1
	v_cmp_o_f32_e32 vcc_lo, v6, v6
	s_mov_b32 s2, 0
	v_add3_u32 v5, v6, v5, 0x7fff
	s_delay_alu instid0(VALU_DEP_1) | instskip(NEXT) | instid1(VALU_DEP_1)
	v_lshrrev_b32_e32 v5, 16, v5
	v_cndmask_b32_e32 v5, 0x7fc0, v5, vcc_lo
	s_branch .LBB345_466
.LBB345_461:
	s_mov_b32 s24, -1
                                        ; implicit-def: $vgpr5
	s_branch .LBB345_472
.LBB345_462:
	s_or_saveexec_b32 s25, s25
	v_mov_b32_e32 v6, s24
	s_xor_b32 exec_lo, exec_lo, s25
	s_cbranch_execz .LBB345_445
.LBB345_463:
	v_cmp_ne_u16_e32 vcc_lo, 0, v5
	v_mov_b32_e32 v6, 0
	s_and_not1_b32 s2, s2, exec_lo
	s_and_b32 s24, vcc_lo, exec_lo
	s_delay_alu instid0(SALU_CYCLE_1)
	s_or_b32 s2, s2, s24
	s_or_b32 exec_lo, exec_lo, s25
	s_and_saveexec_b32 s24, s2
	s_cbranch_execnz .LBB345_446
	s_branch .LBB345_447
.LBB345_464:
	s_mov_b32 s2, -1
                                        ; implicit-def: $vgpr5
	s_branch .LBB345_469
.LBB345_465:
	s_mov_b32 s2, -1
                                        ; implicit-def: $vgpr5
.LBB345_466:
	s_delay_alu instid0(SALU_CYCLE_1)
	s_and_b32 vcc_lo, exec_lo, s2
	s_cbranch_vccz .LBB345_468
; %bb.467:
	global_load_u8 v5, v[1:2], off
	s_waitcnt vmcnt(0)
	v_lshlrev_b32_e32 v5, 24, v5
	s_delay_alu instid0(VALU_DEP_1) | instskip(NEXT) | instid1(VALU_DEP_1)
	v_and_b32_e32 v6, 0x7f000000, v5
	v_clz_i32_u32_e32 v7, v6
	v_add_nc_u32_e32 v9, 0x1000000, v6
	v_cmp_ne_u32_e32 vcc_lo, 0, v6
	s_delay_alu instid0(VALU_DEP_3) | instskip(NEXT) | instid1(VALU_DEP_1)
	v_min_u32_e32 v7, 32, v7
	v_sub_nc_u32_e64 v7, v7, 4 clamp
	s_delay_alu instid0(VALU_DEP_1) | instskip(SKIP_1) | instid1(VALU_DEP_2)
	v_lshlrev_b32_e32 v8, v7, v6
	v_lshlrev_b32_e32 v7, 23, v7
	v_lshrrev_b32_e32 v8, 4, v8
	s_delay_alu instid0(VALU_DEP_1) | instskip(SKIP_1) | instid1(VALU_DEP_2)
	v_sub_nc_u32_e32 v7, v8, v7
	v_ashrrev_i32_e32 v8, 8, v9
	v_add_nc_u32_e32 v7, 0x3c000000, v7
	s_delay_alu instid0(VALU_DEP_1) | instskip(NEXT) | instid1(VALU_DEP_1)
	v_and_or_b32 v7, 0x7f800000, v8, v7
	v_cndmask_b32_e32 v6, 0, v7, vcc_lo
	s_delay_alu instid0(VALU_DEP_1) | instskip(SKIP_1) | instid1(VALU_DEP_2)
	v_and_or_b32 v5, 0x80000000, v5, v6
	v_bfe_u32 v6, v6, 16, 1
	v_cmp_o_f32_e32 vcc_lo, v5, v5
	s_delay_alu instid0(VALU_DEP_2) | instskip(NEXT) | instid1(VALU_DEP_1)
	v_add3_u32 v6, v5, v6, 0x7fff
	v_lshrrev_b32_e32 v6, 16, v6
	s_delay_alu instid0(VALU_DEP_1)
	v_cndmask_b32_e32 v5, 0x7fc0, v6, vcc_lo
.LBB345_468:
	s_mov_b32 s2, 0
.LBB345_469:
	s_delay_alu instid0(SALU_CYCLE_1)
	s_and_not1_b32 vcc_lo, exec_lo, s2
	s_cbranch_vccnz .LBB345_471
; %bb.470:
	global_load_u8 v5, v[1:2], off
	s_waitcnt vmcnt(0)
	v_lshlrev_b32_e32 v6, 25, v5
	v_lshlrev_b16 v5, 8, v5
	s_delay_alu instid0(VALU_DEP_2) | instskip(NEXT) | instid1(VALU_DEP_2)
	v_lshrrev_b32_e32 v7, 4, v6
	v_and_or_b32 v8, 0x7f00, v5, 0.5
	v_bfe_i32 v5, v5, 0, 16
	s_delay_alu instid0(VALU_DEP_3) | instskip(NEXT) | instid1(VALU_DEP_1)
	v_or_b32_e32 v7, 0x70000000, v7
	v_dual_add_f32 v8, -0.5, v8 :: v_dual_mul_f32 v7, 0x7800000, v7
	v_cmp_gt_u32_e32 vcc_lo, 0x8000000, v6
	s_delay_alu instid0(VALU_DEP_2) | instskip(NEXT) | instid1(VALU_DEP_1)
	v_cndmask_b32_e32 v6, v7, v8, vcc_lo
	v_and_or_b32 v5, 0x80000000, v5, v6
	v_bfe_u32 v6, v6, 16, 1
	s_delay_alu instid0(VALU_DEP_2) | instskip(NEXT) | instid1(VALU_DEP_2)
	v_cmp_o_f32_e32 vcc_lo, v5, v5
	v_add3_u32 v6, v5, v6, 0x7fff
	s_delay_alu instid0(VALU_DEP_1) | instskip(NEXT) | instid1(VALU_DEP_1)
	v_lshrrev_b32_e32 v6, 16, v6
	v_cndmask_b32_e32 v5, 0x7fc0, v6, vcc_lo
.LBB345_471:
	s_mov_b32 s24, 0
	s_mov_b32 s2, -1
.LBB345_472:
	s_and_not1_b32 vcc_lo, exec_lo, s24
	s_cbranch_vccnz .LBB345_485
; %bb.473:
	v_cmp_lt_i16_e32 vcc_lo, 14, v3
	s_cbranch_vccz .LBB345_476
; %bb.474:
	v_cmp_eq_u16_e32 vcc_lo, 15, v3
	s_cbranch_vccz .LBB345_479
; %bb.475:
	global_load_u16 v5, v[1:2], off
	s_mov_b32 s2, -1
	s_mov_b32 s3, 0
	s_branch .LBB345_480
.LBB345_476:
	s_mov_b32 s24, -1
                                        ; implicit-def: $vgpr5
	s_branch .LBB345_481
.LBB345_477:
	s_or_saveexec_b32 s25, s25
	v_mov_b32_e32 v6, s24
	s_xor_b32 exec_lo, exec_lo, s25
	s_cbranch_execz .LBB345_458
.LBB345_478:
	v_cmp_ne_u16_e32 vcc_lo, 0, v5
	v_mov_b32_e32 v6, 0
	s_and_not1_b32 s2, s2, exec_lo
	s_and_b32 s24, vcc_lo, exec_lo
	s_delay_alu instid0(SALU_CYCLE_1)
	s_or_b32 s2, s2, s24
	s_or_b32 exec_lo, exec_lo, s25
	s_and_saveexec_b32 s24, s2
	s_cbranch_execnz .LBB345_459
	s_branch .LBB345_460
.LBB345_479:
	s_mov_b32 s3, -1
                                        ; implicit-def: $vgpr5
.LBB345_480:
	s_mov_b32 s24, 0
.LBB345_481:
	s_delay_alu instid0(SALU_CYCLE_1)
	s_and_b32 vcc_lo, exec_lo, s24
	s_cbranch_vccz .LBB345_485
; %bb.482:
	v_cmp_eq_u16_e32 vcc_lo, 11, v3
	s_cbranch_vccz .LBB345_484
; %bb.483:
	global_load_u8 v5, v[1:2], off
	s_mov_b32 s3, 0
	s_mov_b32 s2, -1
	s_waitcnt vmcnt(0)
	v_cmp_ne_u16_e32 vcc_lo, 0, v5
	v_cndmask_b32_e64 v5, 0, 1.0, vcc_lo
	s_delay_alu instid0(VALU_DEP_1)
	v_lshrrev_b32_e32 v5, 16, v5
	s_branch .LBB345_485
.LBB345_484:
	s_mov_b32 s3, -1
                                        ; implicit-def: $vgpr5
.LBB345_485:
	s_branch .LBB345_288
.LBB345_486:
	v_cmp_gt_i16_e32 vcc_lo, 5, v3
	s_cbranch_vccnz .LBB345_491
; %bb.487:
	v_cmp_gt_i16_e32 vcc_lo, 8, v3
	s_cbranch_vccnz .LBB345_492
; %bb.488:
	;; [unrolled: 3-line block ×3, first 2 shown]
	v_cmp_lt_i16_e32 vcc_lo, 9, v3
	s_cbranch_vccz .LBB345_494
; %bb.490:
	global_load_b64 v[5:6], v[1:2], off
	s_mov_b32 s2, 0
	s_waitcnt vmcnt(0)
	v_cvt_f32_f64_e32 v5, v[5:6]
	s_delay_alu instid0(VALU_DEP_1) | instskip(SKIP_1) | instid1(VALU_DEP_2)
	v_bfe_u32 v6, v5, 16, 1
	v_cmp_o_f32_e32 vcc_lo, v5, v5
	v_add3_u32 v6, v5, v6, 0x7fff
	s_delay_alu instid0(VALU_DEP_1) | instskip(NEXT) | instid1(VALU_DEP_1)
	v_lshrrev_b32_e32 v6, 16, v6
	v_cndmask_b32_e32 v5, 0x7fc0, v6, vcc_lo
	s_branch .LBB345_495
.LBB345_491:
	s_mov_b32 s2, -1
                                        ; implicit-def: $vgpr5
	s_branch .LBB345_513
.LBB345_492:
	s_mov_b32 s2, -1
                                        ; implicit-def: $vgpr5
	s_branch .LBB345_501
.LBB345_493:
	s_mov_b32 s2, -1
                                        ; implicit-def: $vgpr5
	s_branch .LBB345_498
.LBB345_494:
	s_mov_b32 s2, -1
                                        ; implicit-def: $vgpr5
.LBB345_495:
	s_delay_alu instid0(SALU_CYCLE_1)
	s_and_not1_b32 vcc_lo, exec_lo, s2
	s_cbranch_vccnz .LBB345_497
; %bb.496:
	global_load_b32 v5, v[1:2], off
	s_waitcnt vmcnt(0)
	v_bfe_u32 v6, v5, 16, 1
	v_cmp_o_f32_e32 vcc_lo, v5, v5
	s_delay_alu instid0(VALU_DEP_2) | instskip(NEXT) | instid1(VALU_DEP_1)
	v_add3_u32 v6, v5, v6, 0x7fff
	v_lshrrev_b32_e32 v6, 16, v6
	s_delay_alu instid0(VALU_DEP_1)
	v_cndmask_b32_e32 v5, 0x7fc0, v6, vcc_lo
.LBB345_497:
	s_mov_b32 s2, 0
.LBB345_498:
	s_delay_alu instid0(SALU_CYCLE_1)
	s_and_not1_b32 vcc_lo, exec_lo, s2
	s_cbranch_vccnz .LBB345_500
; %bb.499:
	global_load_b32 v5, v[1:2], off
	s_waitcnt vmcnt(0)
	v_cvt_f32_f16_e32 v6, v5
	v_cmp_o_f16_e32 vcc_lo, v5, v5
	s_delay_alu instid0(VALU_DEP_2) | instskip(NEXT) | instid1(VALU_DEP_1)
	v_bfe_u32 v7, v6, 16, 1
	v_add3_u32 v6, v6, v7, 0x7fff
	s_delay_alu instid0(VALU_DEP_1) | instskip(NEXT) | instid1(VALU_DEP_1)
	v_lshrrev_b32_e32 v6, 16, v6
	v_cndmask_b32_e32 v5, 0x7fc0, v6, vcc_lo
.LBB345_500:
	s_mov_b32 s2, 0
.LBB345_501:
	s_delay_alu instid0(SALU_CYCLE_1)
	s_and_not1_b32 vcc_lo, exec_lo, s2
	s_cbranch_vccnz .LBB345_512
; %bb.502:
	v_cmp_gt_i16_e32 vcc_lo, 6, v3
	s_cbranch_vccnz .LBB345_505
; %bb.503:
	v_cmp_lt_i16_e32 vcc_lo, 6, v3
	s_cbranch_vccz .LBB345_506
; %bb.504:
	global_load_b64 v[5:6], v[1:2], off
	s_mov_b32 s2, 0
	s_waitcnt vmcnt(0)
	v_cvt_f32_f64_e32 v5, v[5:6]
	s_delay_alu instid0(VALU_DEP_1) | instskip(SKIP_1) | instid1(VALU_DEP_2)
	v_bfe_u32 v6, v5, 16, 1
	v_cmp_o_f32_e32 vcc_lo, v5, v5
	v_add3_u32 v6, v5, v6, 0x7fff
	s_delay_alu instid0(VALU_DEP_1) | instskip(NEXT) | instid1(VALU_DEP_1)
	v_lshrrev_b32_e32 v6, 16, v6
	v_cndmask_b32_e32 v5, 0x7fc0, v6, vcc_lo
	s_branch .LBB345_507
.LBB345_505:
	s_mov_b32 s2, -1
                                        ; implicit-def: $vgpr5
	s_branch .LBB345_510
.LBB345_506:
	s_mov_b32 s2, -1
                                        ; implicit-def: $vgpr5
.LBB345_507:
	s_delay_alu instid0(SALU_CYCLE_1)
	s_and_not1_b32 vcc_lo, exec_lo, s2
	s_cbranch_vccnz .LBB345_509
; %bb.508:
	global_load_b32 v5, v[1:2], off
	s_waitcnt vmcnt(0)
	v_bfe_u32 v6, v5, 16, 1
	v_cmp_o_f32_e32 vcc_lo, v5, v5
	s_delay_alu instid0(VALU_DEP_2) | instskip(NEXT) | instid1(VALU_DEP_1)
	v_add3_u32 v6, v5, v6, 0x7fff
	v_lshrrev_b32_e32 v6, 16, v6
	s_delay_alu instid0(VALU_DEP_1)
	v_cndmask_b32_e32 v5, 0x7fc0, v6, vcc_lo
.LBB345_509:
	s_mov_b32 s2, 0
.LBB345_510:
	s_delay_alu instid0(SALU_CYCLE_1)
	s_and_not1_b32 vcc_lo, exec_lo, s2
	s_cbranch_vccnz .LBB345_512
; %bb.511:
	global_load_u16 v5, v[1:2], off
	s_waitcnt vmcnt(0)
	v_cvt_f32_f16_e32 v6, v5
	v_cmp_o_f16_e32 vcc_lo, v5, v5
	s_delay_alu instid0(VALU_DEP_2) | instskip(NEXT) | instid1(VALU_DEP_1)
	v_bfe_u32 v7, v6, 16, 1
	v_add3_u32 v6, v6, v7, 0x7fff
	s_delay_alu instid0(VALU_DEP_1) | instskip(NEXT) | instid1(VALU_DEP_1)
	v_lshrrev_b32_e32 v6, 16, v6
	v_cndmask_b32_e32 v5, 0x7fc0, v6, vcc_lo
.LBB345_512:
	s_mov_b32 s2, 0
.LBB345_513:
	s_delay_alu instid0(SALU_CYCLE_1)
	s_and_not1_b32 vcc_lo, exec_lo, s2
	s_cbranch_vccnz .LBB345_533
; %bb.514:
	v_cmp_gt_i16_e32 vcc_lo, 2, v3
	s_cbranch_vccnz .LBB345_518
; %bb.515:
	v_cmp_gt_i16_e32 vcc_lo, 3, v3
	s_cbranch_vccnz .LBB345_519
; %bb.516:
	v_cmp_lt_i16_e32 vcc_lo, 3, v3
	s_cbranch_vccz .LBB345_520
; %bb.517:
	global_load_b64 v[5:6], v[1:2], off
	s_mov_b32 s2, 0
	s_waitcnt vmcnt(0)
	v_xor_b32_e32 v7, v5, v6
	v_cls_i32_e32 v8, v6
	s_delay_alu instid0(VALU_DEP_2) | instskip(NEXT) | instid1(VALU_DEP_2)
	v_ashrrev_i32_e32 v7, 31, v7
	v_add_nc_u32_e32 v8, -1, v8
	s_delay_alu instid0(VALU_DEP_2) | instskip(NEXT) | instid1(VALU_DEP_1)
	v_add_nc_u32_e32 v7, 32, v7
	v_min_u32_e32 v7, v8, v7
	s_delay_alu instid0(VALU_DEP_1) | instskip(NEXT) | instid1(VALU_DEP_1)
	v_lshlrev_b64 v[5:6], v7, v[5:6]
	v_min_u32_e32 v5, 1, v5
	s_delay_alu instid0(VALU_DEP_1) | instskip(SKIP_1) | instid1(VALU_DEP_2)
	v_or_b32_e32 v5, v6, v5
	v_sub_nc_u32_e32 v6, 32, v7
	v_cvt_f32_i32_e32 v5, v5
	s_delay_alu instid0(VALU_DEP_1) | instskip(NEXT) | instid1(VALU_DEP_1)
	v_ldexp_f32 v5, v5, v6
	v_bfe_u32 v6, v5, 16, 1
	s_delay_alu instid0(VALU_DEP_1) | instskip(NEXT) | instid1(VALU_DEP_1)
	v_add3_u32 v5, v5, v6, 0x7fff
	v_lshrrev_b32_e32 v5, 16, v5
	s_branch .LBB345_521
.LBB345_518:
	s_mov_b32 s2, -1
                                        ; implicit-def: $vgpr5
	s_branch .LBB345_527
.LBB345_519:
	s_mov_b32 s2, -1
                                        ; implicit-def: $vgpr5
	s_branch .LBB345_524
.LBB345_520:
	s_mov_b32 s2, -1
                                        ; implicit-def: $vgpr5
.LBB345_521:
	s_delay_alu instid0(SALU_CYCLE_1)
	s_and_not1_b32 vcc_lo, exec_lo, s2
	s_cbranch_vccnz .LBB345_523
; %bb.522:
	global_load_b32 v5, v[1:2], off
	s_waitcnt vmcnt(0)
	v_cvt_f32_i32_e32 v5, v5
	s_delay_alu instid0(VALU_DEP_1) | instskip(NEXT) | instid1(VALU_DEP_1)
	v_bfe_u32 v6, v5, 16, 1
	v_add3_u32 v5, v5, v6, 0x7fff
	s_delay_alu instid0(VALU_DEP_1)
	v_lshrrev_b32_e32 v5, 16, v5
.LBB345_523:
	s_mov_b32 s2, 0
.LBB345_524:
	s_delay_alu instid0(SALU_CYCLE_1)
	s_and_not1_b32 vcc_lo, exec_lo, s2
	s_cbranch_vccnz .LBB345_526
; %bb.525:
	global_load_i16 v5, v[1:2], off
	s_waitcnt vmcnt(0)
	v_cvt_f32_i32_e32 v5, v5
	s_delay_alu instid0(VALU_DEP_1) | instskip(NEXT) | instid1(VALU_DEP_1)
	v_bfe_u32 v6, v5, 16, 1
	v_add3_u32 v5, v5, v6, 0x7fff
	s_delay_alu instid0(VALU_DEP_1)
	v_lshrrev_b32_e32 v5, 16, v5
.LBB345_526:
	s_mov_b32 s2, 0
.LBB345_527:
	s_delay_alu instid0(SALU_CYCLE_1)
	s_and_not1_b32 vcc_lo, exec_lo, s2
	s_cbranch_vccnz .LBB345_533
; %bb.528:
	v_cmp_lt_i16_e32 vcc_lo, 0, v3
	s_mov_b32 s2, 0
	s_cbranch_vccz .LBB345_530
; %bb.529:
	global_load_i8 v5, v[1:2], off
	s_waitcnt vmcnt(0)
	v_cvt_f32_i32_e32 v5, v5
	s_delay_alu instid0(VALU_DEP_1) | instskip(NEXT) | instid1(VALU_DEP_1)
	v_bfe_u32 v6, v5, 16, 1
	v_add3_u32 v5, v5, v6, 0x7fff
	s_delay_alu instid0(VALU_DEP_1)
	v_lshrrev_b32_e32 v5, 16, v5
	s_branch .LBB345_531
.LBB345_530:
	s_mov_b32 s2, -1
                                        ; implicit-def: $vgpr5
.LBB345_531:
	s_delay_alu instid0(SALU_CYCLE_1)
	s_and_not1_b32 vcc_lo, exec_lo, s2
	s_cbranch_vccnz .LBB345_533
; %bb.532:
	global_load_u8 v1, v[1:2], off
	s_waitcnt vmcnt(0)
	v_cvt_f32_ubyte0_e32 v1, v1
	s_delay_alu instid0(VALU_DEP_1) | instskip(NEXT) | instid1(VALU_DEP_1)
	v_bfe_u32 v2, v1, 16, 1
	v_add3_u32 v1, v1, v2, 0x7fff
	s_delay_alu instid0(VALU_DEP_1)
	v_lshrrev_b32_e32 v5, 16, v1
.LBB345_533:
	s_branch .LBB345_289
.LBB345_534:
	s_mov_b32 s24, 0
	s_mov_b32 s2, s39
.LBB345_535:
                                        ; implicit-def: $vgpr4
.LBB345_536:
	s_and_not1_b32 s25, s39, exec_lo
	s_and_b32 s2, s2, exec_lo
	s_and_not1_b32 s42, s40, exec_lo
	s_and_b32 s3, s3, exec_lo
	s_or_b32 s43, s25, s2
	s_or_b32 s42, s42, s3
	s_or_not1_b32 s2, s24, exec_lo
.LBB345_537:
	s_or_b32 exec_lo, exec_lo, s44
	s_mov_b32 s3, 0
	s_mov_b32 s25, 0
	;; [unrolled: 1-line block ×3, first 2 shown]
                                        ; implicit-def: $vgpr1_vgpr2
                                        ; implicit-def: $vgpr0
                                        ; implicit-def: $vgpr5
	s_and_saveexec_b32 s44, s2
	s_cbranch_execz .LBB345_911
; %bb.538:
	s_mov_b32 s47, -1
	s_mov_b32 s24, s42
	s_mov_b32 s25, s43
	s_mov_b32 s45, exec_lo
	v_cmpx_gt_i32_e64 s36, v4
	s_cbranch_execz .LBB345_812
; %bb.539:
	s_and_not1_b32 vcc_lo, exec_lo, s29
	s_cbranch_vccnz .LBB345_544
; %bb.540:
	v_dual_mov_b32 v0, 0 :: v_dual_mov_b32 v1, 0
	s_and_not1_b32 vcc_lo, exec_lo, s38
	s_mov_b32 s46, 0
	s_cbranch_vccnz .LBB345_549
; %bb.541:
	v_mov_b32_e32 v0, 0
	s_add_i32 s48, s37, 1
	s_cmp_eq_u32 s27, 2
	s_mov_b32 s47, 0
	s_cbranch_scc1 .LBB345_545
; %bb.542:
	v_dual_mov_b32 v1, 0 :: v_dual_mov_b32 v0, 0
	v_mov_b32_e32 v2, v4
	s_and_b32 s47, s48, 28
	s_mov_b32 s49, 0
	s_mov_b64 s[2:3], s[22:23]
	s_mov_b64 s[24:25], s[16:17]
.LBB345_543:                            ; =>This Inner Loop Header: Depth=1
	s_clause 0x1
	s_load_b256 s[52:59], s[24:25], 0x4
	s_load_b128 s[68:71], s[24:25], 0x24
	s_load_b256 s[60:67], s[2:3], 0x0
	s_add_u32 s24, s24, 48
	s_addc_u32 s25, s25, 0
	s_add_i32 s49, s49, 4
	s_add_u32 s2, s2, 32
	s_addc_u32 s3, s3, 0
	s_cmp_eq_u32 s47, s49
	s_waitcnt vmcnt(0) lgkmcnt(0)
	v_mul_hi_u32 v5, s53, v2
	s_delay_alu instid0(VALU_DEP_1) | instskip(NEXT) | instid1(VALU_DEP_1)
	v_add_nc_u32_e32 v5, v2, v5
	v_lshrrev_b32_e32 v5, s54, v5
	s_delay_alu instid0(VALU_DEP_1) | instskip(SKIP_1) | instid1(VALU_DEP_2)
	v_mul_hi_u32 v6, s56, v5
	v_mul_lo_u32 v8, v5, s52
	v_add_nc_u32_e32 v6, v5, v6
	s_delay_alu instid0(VALU_DEP_2) | instskip(NEXT) | instid1(VALU_DEP_2)
	v_sub_nc_u32_e32 v2, v2, v8
	v_lshrrev_b32_e32 v6, s57, v6
	s_delay_alu instid0(VALU_DEP_2) | instskip(SKIP_1) | instid1(VALU_DEP_3)
	v_mul_lo_u32 v8, v2, s60
	v_mul_lo_u32 v10, v2, s61
	v_mul_hi_u32 v7, s59, v6
	s_delay_alu instid0(VALU_DEP_1) | instskip(NEXT) | instid1(VALU_DEP_1)
	v_add_nc_u32_e32 v7, v6, v7
	v_lshrrev_b32_e32 v7, s68, v7
	s_delay_alu instid0(VALU_DEP_1) | instskip(SKIP_1) | instid1(VALU_DEP_2)
	v_mul_hi_u32 v9, s70, v7
	v_mul_lo_u32 v11, v7, s58
	v_add_nc_u32_e32 v2, v7, v9
	v_mul_lo_u32 v9, v6, s55
	s_delay_alu instid0(VALU_DEP_3) | instskip(NEXT) | instid1(VALU_DEP_3)
	v_sub_nc_u32_e32 v6, v6, v11
	v_lshrrev_b32_e32 v2, s71, v2
	s_delay_alu instid0(VALU_DEP_2) | instskip(SKIP_2) | instid1(VALU_DEP_4)
	v_mul_lo_u32 v11, v6, s64
	v_mul_lo_u32 v6, v6, s65
	v_sub_nc_u32_e32 v5, v5, v9
	v_mul_lo_u32 v12, v2, s69
	s_delay_alu instid0(VALU_DEP_2) | instskip(SKIP_1) | instid1(VALU_DEP_3)
	v_mul_lo_u32 v9, v5, s62
	v_mul_lo_u32 v5, v5, s63
	v_sub_nc_u32_e32 v7, v7, v12
	s_delay_alu instid0(VALU_DEP_3) | instskip(NEXT) | instid1(VALU_DEP_2)
	v_add3_u32 v0, v8, v0, v9
	v_mul_lo_u32 v12, v7, s66
	v_mul_lo_u32 v7, v7, s67
	v_add3_u32 v1, v10, v1, v5
	s_delay_alu instid0(VALU_DEP_3) | instskip(NEXT) | instid1(VALU_DEP_2)
	v_add3_u32 v0, v11, v0, v12
	v_add3_u32 v1, v6, v1, v7
	s_cbranch_scc0 .LBB345_543
	s_branch .LBB345_546
.LBB345_544:
	s_mov_b32 s46, -1
                                        ; implicit-def: $vgpr0
                                        ; implicit-def: $vgpr1
	s_branch .LBB345_549
.LBB345_545:
	v_dual_mov_b32 v2, v4 :: v_dual_mov_b32 v1, 0
.LBB345_546:
	s_and_b32 s48, s48, 3
	s_delay_alu instid0(SALU_CYCLE_1)
	s_cmp_eq_u32 s48, 0
	s_cbranch_scc1 .LBB345_549
; %bb.547:
	s_lshl_b32 s2, s47, 3
	s_mul_i32 s24, s47, 12
	s_add_u32 s2, s2, s16
	s_addc_u32 s3, s17, 0
	s_add_u32 s2, s2, 0xc4
	s_addc_u32 s3, s3, 0
	;; [unrolled: 2-line block ×3, first 2 shown]
	.p2align	6
.LBB345_548:                            ; =>This Inner Loop Header: Depth=1
	s_clause 0x1
	s_load_b64 s[50:51], s[24:25], 0x4
	s_load_b32 s47, s[24:25], 0xc
	s_load_b64 s[52:53], s[2:3], 0x0
	s_add_u32 s24, s24, 12
	s_addc_u32 s25, s25, 0
	s_add_u32 s2, s2, 8
	s_addc_u32 s3, s3, 0
	s_add_i32 s48, s48, -1
	s_delay_alu instid0(SALU_CYCLE_1) | instskip(SKIP_2) | instid1(VALU_DEP_1)
	s_cmp_lg_u32 s48, 0
	s_waitcnt vmcnt(0) lgkmcnt(0)
	v_mul_hi_u32 v5, s51, v2
	v_add_nc_u32_e32 v5, v2, v5
	s_delay_alu instid0(VALU_DEP_1) | instskip(NEXT) | instid1(VALU_DEP_1)
	v_lshrrev_b32_e32 v8, s47, v5
	v_mul_lo_u32 v5, v8, s50
	s_delay_alu instid0(VALU_DEP_1) | instskip(NEXT) | instid1(VALU_DEP_1)
	v_sub_nc_u32_e32 v2, v2, v5
	v_mad_u64_u32 v[5:6], null, v2, s52, v[0:1]
	v_mad_u64_u32 v[6:7], null, v2, s53, v[1:2]
	v_mov_b32_e32 v2, v8
	s_delay_alu instid0(VALU_DEP_2)
	v_dual_mov_b32 v0, v5 :: v_dual_mov_b32 v1, v6
	s_cbranch_scc1 .LBB345_548
.LBB345_549:
	s_and_not1_b32 vcc_lo, exec_lo, s46
	s_cbranch_vccnz .LBB345_552
; %bb.550:
	v_mul_hi_u32 v0, s13, v4
	s_and_not1_b32 vcc_lo, exec_lo, s35
	s_delay_alu instid0(VALU_DEP_1) | instskip(NEXT) | instid1(VALU_DEP_1)
	v_add_nc_u32_e32 v0, v4, v0
	v_lshrrev_b32_e32 v2, s14, v0
	s_delay_alu instid0(VALU_DEP_1) | instskip(NEXT) | instid1(VALU_DEP_1)
	v_mul_lo_u32 v0, v2, s12
	v_sub_nc_u32_e32 v1, v4, v0
	s_delay_alu instid0(VALU_DEP_1)
	v_mul_lo_u32 v0, v1, s8
	v_mul_lo_u32 v1, v1, s9
	s_cbranch_vccnz .LBB345_552
; %bb.551:
	s_waitcnt vmcnt(0)
	v_mul_hi_u32 v5, s20, v2
	s_delay_alu instid0(VALU_DEP_1) | instskip(NEXT) | instid1(VALU_DEP_1)
	v_add_nc_u32_e32 v5, v2, v5
	v_lshrrev_b32_e32 v5, s21, v5
	s_delay_alu instid0(VALU_DEP_1) | instskip(NEXT) | instid1(VALU_DEP_1)
	v_mul_lo_u32 v5, v5, s15
	v_sub_nc_u32_e32 v2, v2, v5
	s_delay_alu instid0(VALU_DEP_1) | instskip(SKIP_1) | instid1(VALU_DEP_1)
	v_mad_u64_u32 v[5:6], null, v2, s10, v[0:1]
	v_mad_u64_u32 v[6:7], null, v2, s11, v[1:2]
	v_dual_mov_b32 v0, v5 :: v_dual_mov_b32 v1, v6
.LBB345_552:
	v_cmp_gt_i16_e32 vcc_lo, 11, v3
	s_delay_alu instid0(VALU_DEP_2) | instskip(NEXT) | instid1(VALU_DEP_1)
	v_add_co_u32 v1, s2, s6, v1
	v_add_co_ci_u32_e64 v2, null, s7, 0, s2
	s_mov_b32 s2, 0
	s_cbranch_vccnz .LBB345_559
; %bb.553:
	v_cmp_lt_i16_e32 vcc_lo, 25, v3
	s_cbranch_vccz .LBB345_560
; %bb.554:
	v_cmp_lt_i16_e32 vcc_lo, 28, v3
	s_cbranch_vccz .LBB345_561
; %bb.555:
	v_cmp_lt_i16_e32 vcc_lo, 43, v3
	s_cbranch_vccz .LBB345_562
; %bb.556:
	v_cmp_lt_i16_e32 vcc_lo, 45, v3
	s_cbranch_vccz .LBB345_565
; %bb.557:
	v_cmp_eq_u16_e32 vcc_lo, 46, v3
	s_mov_b32 s24, 0
	s_cbranch_vccz .LBB345_568
; %bb.558:
	global_load_b32 v5, v[1:2], off
	s_mov_b32 s2, -1
	s_mov_b32 s3, 0
	s_branch .LBB345_570
.LBB345_559:
	s_mov_b32 s24, -1
	s_mov_b32 s3, s42
                                        ; implicit-def: $vgpr5
	s_branch .LBB345_635
.LBB345_560:
	s_mov_b32 s24, -1
	s_mov_b32 s3, s42
                                        ; implicit-def: $vgpr5
	s_branch .LBB345_599
.LBB345_561:
	s_mov_b32 s24, -1
	s_mov_b32 s3, s42
                                        ; implicit-def: $vgpr5
	s_branch .LBB345_580
.LBB345_562:
	s_mov_b32 s24, -1
	s_mov_b32 s3, s42
                                        ; implicit-def: $vgpr5
	s_branch .LBB345_575
.LBB345_563:
	s_or_saveexec_b32 s42, s42
                                        ; implicit-def: $sgpr43
	s_delay_alu instid0(SALU_CYCLE_1)
	s_xor_b32 exec_lo, exec_lo, s42
	s_cbranch_execz .LBB345_374
.LBB345_564:
	v_add_f32_e64 v7, 0x46000000, |v8|
	s_and_not1_b32 s25, s25, exec_lo
	s_mov_b32 s43, 0
	s_delay_alu instid0(VALU_DEP_1) | instskip(NEXT) | instid1(VALU_DEP_1)
	v_and_b32_e32 v7, 0xff, v7
	v_cmp_ne_u32_e32 vcc_lo, 0, v7
	s_and_b32 s45, vcc_lo, exec_lo
	s_delay_alu instid0(SALU_CYCLE_1)
	s_or_b32 s25, s25, s45
	s_or_b32 exec_lo, exec_lo, s42
	v_mov_b32_e32 v9, s43
	s_and_saveexec_b32 s42, s25
	s_cbranch_execnz .LBB345_375
	s_branch .LBB345_376
.LBB345_565:
	s_mov_b32 s24, -1
	s_mov_b32 s3, s42
	s_branch .LBB345_569
.LBB345_566:
	s_or_saveexec_b32 s42, s42
                                        ; implicit-def: $sgpr43
	s_delay_alu instid0(SALU_CYCLE_1)
	s_xor_b32 exec_lo, exec_lo, s42
	s_cbranch_execz .LBB345_387
.LBB345_567:
	v_add_f32_e64 v7, 0x42800000, |v8|
	s_and_not1_b32 s25, s25, exec_lo
	s_mov_b32 s43, 0
	s_delay_alu instid0(VALU_DEP_1) | instskip(NEXT) | instid1(VALU_DEP_1)
	v_and_b32_e32 v7, 0xff, v7
	v_cmp_ne_u32_e32 vcc_lo, 0, v7
	s_and_b32 s45, vcc_lo, exec_lo
	s_delay_alu instid0(SALU_CYCLE_1)
	s_or_b32 s25, s25, s45
	s_or_b32 exec_lo, exec_lo, s42
	v_mov_b32_e32 v9, s43
	s_and_saveexec_b32 s42, s25
	s_cbranch_execnz .LBB345_388
	s_branch .LBB345_389
.LBB345_568:
	s_mov_b32 s3, -1
.LBB345_569:
                                        ; implicit-def: $vgpr5
.LBB345_570:
	s_and_b32 vcc_lo, exec_lo, s24
	s_cbranch_vccz .LBB345_574
; %bb.571:
	v_cmp_eq_u16_e32 vcc_lo, 44, v3
	s_cbranch_vccz .LBB345_573
; %bb.572:
	global_load_u8 v5, v[1:2], off
	s_mov_b32 s3, 0
	s_mov_b32 s2, -1
	s_waitcnt vmcnt(0)
	v_lshlrev_b32_e32 v6, 23, v5
	v_cmp_ne_u32_e32 vcc_lo, 0xff, v5
	s_delay_alu instid0(VALU_DEP_2) | instskip(SKIP_1) | instid1(VALU_DEP_2)
	v_cndmask_b32_e32 v6, 0x7f800001, v6, vcc_lo
	v_cmp_ne_u32_e32 vcc_lo, 0, v5
	v_cndmask_b32_e32 v5, 0x400000, v6, vcc_lo
	s_delay_alu instid0(VALU_DEP_1) | instskip(SKIP_1) | instid1(VALU_DEP_2)
	v_add_nc_u32_e32 v6, 0x7fff, v5
	v_cmp_o_f32_e32 vcc_lo, v5, v5
	v_lshrrev_b32_e32 v6, 16, v6
	s_delay_alu instid0(VALU_DEP_1)
	v_cndmask_b32_e32 v5, 0x7fc0, v6, vcc_lo
	s_branch .LBB345_574
.LBB345_573:
	s_mov_b32 s3, -1
                                        ; implicit-def: $vgpr5
.LBB345_574:
	s_mov_b32 s24, 0
.LBB345_575:
	s_delay_alu instid0(SALU_CYCLE_1)
	s_and_b32 vcc_lo, exec_lo, s24
	s_cbranch_vccz .LBB345_579
; %bb.576:
	v_cmp_eq_u16_e32 vcc_lo, 29, v3
	s_cbranch_vccz .LBB345_578
; %bb.577:
	global_load_b64 v[5:6], v[1:2], off
	s_mov_b32 s2, -1
	s_mov_b32 s3, 0
	s_mov_b32 s24, 0
	s_waitcnt vmcnt(0)
	v_clz_i32_u32_e32 v7, v6
	s_delay_alu instid0(VALU_DEP_1) | instskip(NEXT) | instid1(VALU_DEP_1)
	v_min_u32_e32 v7, 32, v7
	v_lshlrev_b64 v[5:6], v7, v[5:6]
	s_delay_alu instid0(VALU_DEP_1) | instskip(NEXT) | instid1(VALU_DEP_1)
	v_min_u32_e32 v5, 1, v5
	v_or_b32_e32 v5, v6, v5
	v_sub_nc_u32_e32 v6, 32, v7
	s_delay_alu instid0(VALU_DEP_2) | instskip(NEXT) | instid1(VALU_DEP_1)
	v_cvt_f32_u32_e32 v5, v5
	v_ldexp_f32 v5, v5, v6
	s_delay_alu instid0(VALU_DEP_1) | instskip(NEXT) | instid1(VALU_DEP_1)
	v_bfe_u32 v6, v5, 16, 1
	v_add3_u32 v5, v5, v6, 0x7fff
	s_delay_alu instid0(VALU_DEP_1)
	v_lshrrev_b32_e32 v5, 16, v5
	s_branch .LBB345_580
.LBB345_578:
	s_mov_b32 s3, -1
                                        ; implicit-def: $vgpr5
.LBB345_579:
	s_mov_b32 s24, 0
.LBB345_580:
	s_delay_alu instid0(SALU_CYCLE_1)
	s_and_b32 vcc_lo, exec_lo, s24
	s_cbranch_vccz .LBB345_598
; %bb.581:
	v_cmp_gt_i16_e32 vcc_lo, 27, v3
	s_cbranch_vccnz .LBB345_584
; %bb.582:
	v_cmp_lt_i16_e32 vcc_lo, 27, v3
	s_cbranch_vccz .LBB345_585
; %bb.583:
	global_load_b32 v5, v[1:2], off
	s_mov_b32 s2, 0
	s_waitcnt vmcnt(0)
	v_cvt_f32_u32_e32 v5, v5
	s_delay_alu instid0(VALU_DEP_1) | instskip(NEXT) | instid1(VALU_DEP_1)
	v_bfe_u32 v6, v5, 16, 1
	v_add3_u32 v5, v5, v6, 0x7fff
	s_delay_alu instid0(VALU_DEP_1)
	v_lshrrev_b32_e32 v5, 16, v5
	s_branch .LBB345_586
.LBB345_584:
	s_mov_b32 s2, -1
                                        ; implicit-def: $vgpr5
	s_branch .LBB345_589
.LBB345_585:
	s_mov_b32 s2, -1
                                        ; implicit-def: $vgpr5
.LBB345_586:
	s_delay_alu instid0(SALU_CYCLE_1)
	s_and_not1_b32 vcc_lo, exec_lo, s2
	s_cbranch_vccnz .LBB345_588
; %bb.587:
	global_load_u16 v5, v[1:2], off
	s_waitcnt vmcnt(0)
	v_cvt_f32_u32_e32 v5, v5
	s_delay_alu instid0(VALU_DEP_1) | instskip(NEXT) | instid1(VALU_DEP_1)
	v_bfe_u32 v6, v5, 16, 1
	v_add3_u32 v5, v5, v6, 0x7fff
	s_delay_alu instid0(VALU_DEP_1)
	v_lshrrev_b32_e32 v5, 16, v5
.LBB345_588:
	s_mov_b32 s2, 0
.LBB345_589:
	s_delay_alu instid0(SALU_CYCLE_1)
	s_and_not1_b32 vcc_lo, exec_lo, s2
	s_cbranch_vccnz .LBB345_597
; %bb.590:
	global_load_u8 v5, v[1:2], off
	s_mov_b32 s2, 0
	s_mov_b32 s25, exec_lo
                                        ; implicit-def: $sgpr24
	s_waitcnt vmcnt(0)
	v_cmpx_lt_i16_e32 0x7f, v5
	s_xor_b32 s25, exec_lo, s25
	s_cbranch_execz .LBB345_611
; %bb.591:
	s_mov_b32 s2, -1
	s_mov_b32 s46, exec_lo
                                        ; implicit-def: $sgpr24
	v_cmpx_eq_u16_e32 0x80, v5
; %bb.592:
	s_mov_b32 s24, 0x7f800001
	s_xor_b32 s2, exec_lo, -1
; %bb.593:
	s_or_b32 exec_lo, exec_lo, s46
	s_delay_alu instid0(SALU_CYCLE_1)
	s_and_b32 s2, s2, exec_lo
	s_or_saveexec_b32 s25, s25
	v_mov_b32_e32 v6, s24
	s_xor_b32 exec_lo, exec_lo, s25
	s_cbranch_execnz .LBB345_612
.LBB345_594:
	s_or_b32 exec_lo, exec_lo, s25
	s_and_saveexec_b32 s24, s2
	s_cbranch_execz .LBB345_596
.LBB345_595:
	v_and_b32_e32 v6, 0xffff, v5
	v_lshlrev_b32_e32 v5, 24, v5
	s_delay_alu instid0(VALU_DEP_2) | instskip(NEXT) | instid1(VALU_DEP_2)
	v_and_b32_e32 v7, 7, v6
	v_and_b32_e32 v5, 0x80000000, v5
	s_delay_alu instid0(VALU_DEP_2) | instskip(NEXT) | instid1(VALU_DEP_1)
	v_clz_i32_u32_e32 v8, v7
	v_min_u32_e32 v8, 32, v8
	s_delay_alu instid0(VALU_DEP_1) | instskip(SKIP_1) | instid1(VALU_DEP_2)
	v_subrev_nc_u32_e32 v9, 28, v8
	v_sub_nc_u32_e32 v8, 29, v8
	v_lshlrev_b32_e32 v9, v9, v6
	v_bfe_u32 v6, v6, 3, 4
	s_delay_alu instid0(VALU_DEP_2) | instskip(NEXT) | instid1(VALU_DEP_2)
	v_and_b32_e32 v9, 7, v9
	v_cmp_eq_u32_e32 vcc_lo, 0, v6
	s_delay_alu instid0(VALU_DEP_2) | instskip(NEXT) | instid1(VALU_DEP_1)
	v_dual_cndmask_b32 v6, v6, v8 :: v_dual_cndmask_b32 v7, v7, v9
	v_lshl_add_u32 v6, v6, 23, 0x3b800000
	s_delay_alu instid0(VALU_DEP_2) | instskip(NEXT) | instid1(VALU_DEP_1)
	v_lshlrev_b32_e32 v7, 20, v7
	v_or3_b32 v6, v5, v6, v7
.LBB345_596:
	s_or_b32 exec_lo, exec_lo, s24
	s_delay_alu instid0(VALU_DEP_1) | instskip(SKIP_1) | instid1(VALU_DEP_2)
	v_bfe_u32 v5, v6, 16, 1
	v_cmp_o_f32_e32 vcc_lo, v6, v6
	v_add3_u32 v5, v6, v5, 0x7fff
	s_delay_alu instid0(VALU_DEP_1) | instskip(NEXT) | instid1(VALU_DEP_1)
	v_lshrrev_b32_e32 v5, 16, v5
	v_cndmask_b32_e32 v5, 0x7fc0, v5, vcc_lo
.LBB345_597:
	s_mov_b32 s2, -1
.LBB345_598:
	s_mov_b32 s24, 0
.LBB345_599:
	s_delay_alu instid0(SALU_CYCLE_1)
	s_and_b32 vcc_lo, exec_lo, s24
	s_cbranch_vccz .LBB345_634
; %bb.600:
	v_cmp_lt_i16_e32 vcc_lo, 22, v3
	s_cbranch_vccz .LBB345_610
; %bb.601:
	v_cmp_gt_i16_e32 vcc_lo, 24, v3
	s_cbranch_vccnz .LBB345_613
; %bb.602:
	v_cmp_lt_i16_e32 vcc_lo, 24, v3
	s_cbranch_vccz .LBB345_614
; %bb.603:
	global_load_u8 v5, v[1:2], off
	s_mov_b32 s2, 0
	s_mov_b32 s25, exec_lo
                                        ; implicit-def: $sgpr24
	s_waitcnt vmcnt(0)
	v_cmpx_lt_i16_e32 0x7f, v5
	s_xor_b32 s25, exec_lo, s25
	s_cbranch_execz .LBB345_626
; %bb.604:
	s_mov_b32 s2, -1
	s_mov_b32 s46, exec_lo
                                        ; implicit-def: $sgpr24
	v_cmpx_eq_u16_e32 0x80, v5
; %bb.605:
	s_mov_b32 s24, 0x7f800001
	s_xor_b32 s2, exec_lo, -1
; %bb.606:
	s_or_b32 exec_lo, exec_lo, s46
	s_delay_alu instid0(SALU_CYCLE_1)
	s_and_b32 s2, s2, exec_lo
	s_or_saveexec_b32 s25, s25
	v_mov_b32_e32 v6, s24
	s_xor_b32 exec_lo, exec_lo, s25
	s_cbranch_execnz .LBB345_627
.LBB345_607:
	s_or_b32 exec_lo, exec_lo, s25
	s_and_saveexec_b32 s24, s2
	s_cbranch_execz .LBB345_609
.LBB345_608:
	v_and_b32_e32 v6, 0xffff, v5
	v_lshlrev_b32_e32 v5, 24, v5
	s_delay_alu instid0(VALU_DEP_2) | instskip(NEXT) | instid1(VALU_DEP_2)
	v_and_b32_e32 v7, 3, v6
	v_and_b32_e32 v5, 0x80000000, v5
	s_delay_alu instid0(VALU_DEP_2) | instskip(NEXT) | instid1(VALU_DEP_1)
	v_clz_i32_u32_e32 v8, v7
	v_min_u32_e32 v8, 32, v8
	s_delay_alu instid0(VALU_DEP_1) | instskip(SKIP_1) | instid1(VALU_DEP_2)
	v_subrev_nc_u32_e32 v9, 29, v8
	v_sub_nc_u32_e32 v8, 30, v8
	v_lshlrev_b32_e32 v9, v9, v6
	v_bfe_u32 v6, v6, 2, 5
	s_delay_alu instid0(VALU_DEP_2) | instskip(NEXT) | instid1(VALU_DEP_2)
	v_and_b32_e32 v9, 3, v9
	v_cmp_eq_u32_e32 vcc_lo, 0, v6
	s_delay_alu instid0(VALU_DEP_2) | instskip(NEXT) | instid1(VALU_DEP_1)
	v_dual_cndmask_b32 v6, v6, v8 :: v_dual_cndmask_b32 v7, v7, v9
	v_lshl_add_u32 v6, v6, 23, 0x37800000
	s_delay_alu instid0(VALU_DEP_2) | instskip(NEXT) | instid1(VALU_DEP_1)
	v_lshlrev_b32_e32 v7, 21, v7
	v_or3_b32 v6, v5, v6, v7
.LBB345_609:
	s_or_b32 exec_lo, exec_lo, s24
	s_delay_alu instid0(VALU_DEP_1) | instskip(SKIP_2) | instid1(VALU_DEP_2)
	v_bfe_u32 v5, v6, 16, 1
	v_cmp_o_f32_e32 vcc_lo, v6, v6
	s_mov_b32 s2, 0
	v_add3_u32 v5, v6, v5, 0x7fff
	s_delay_alu instid0(VALU_DEP_1) | instskip(NEXT) | instid1(VALU_DEP_1)
	v_lshrrev_b32_e32 v5, 16, v5
	v_cndmask_b32_e32 v5, 0x7fc0, v5, vcc_lo
	s_branch .LBB345_615
.LBB345_610:
	s_mov_b32 s24, -1
                                        ; implicit-def: $vgpr5
	s_branch .LBB345_621
.LBB345_611:
	s_or_saveexec_b32 s25, s25
	v_mov_b32_e32 v6, s24
	s_xor_b32 exec_lo, exec_lo, s25
	s_cbranch_execz .LBB345_594
.LBB345_612:
	v_cmp_ne_u16_e32 vcc_lo, 0, v5
	v_mov_b32_e32 v6, 0
	s_and_not1_b32 s2, s2, exec_lo
	s_and_b32 s24, vcc_lo, exec_lo
	s_delay_alu instid0(SALU_CYCLE_1)
	s_or_b32 s2, s2, s24
	s_or_b32 exec_lo, exec_lo, s25
	s_and_saveexec_b32 s24, s2
	s_cbranch_execnz .LBB345_595
	s_branch .LBB345_596
.LBB345_613:
	s_mov_b32 s2, -1
                                        ; implicit-def: $vgpr5
	s_branch .LBB345_618
.LBB345_614:
	s_mov_b32 s2, -1
                                        ; implicit-def: $vgpr5
.LBB345_615:
	s_delay_alu instid0(SALU_CYCLE_1)
	s_and_b32 vcc_lo, exec_lo, s2
	s_cbranch_vccz .LBB345_617
; %bb.616:
	global_load_u8 v5, v[1:2], off
	s_waitcnt vmcnt(0)
	v_lshlrev_b32_e32 v5, 24, v5
	s_delay_alu instid0(VALU_DEP_1) | instskip(NEXT) | instid1(VALU_DEP_1)
	v_and_b32_e32 v6, 0x7f000000, v5
	v_clz_i32_u32_e32 v7, v6
	v_add_nc_u32_e32 v9, 0x1000000, v6
	v_cmp_ne_u32_e32 vcc_lo, 0, v6
	s_delay_alu instid0(VALU_DEP_3) | instskip(NEXT) | instid1(VALU_DEP_1)
	v_min_u32_e32 v7, 32, v7
	v_sub_nc_u32_e64 v7, v7, 4 clamp
	s_delay_alu instid0(VALU_DEP_1) | instskip(SKIP_1) | instid1(VALU_DEP_2)
	v_lshlrev_b32_e32 v8, v7, v6
	v_lshlrev_b32_e32 v7, 23, v7
	v_lshrrev_b32_e32 v8, 4, v8
	s_delay_alu instid0(VALU_DEP_1) | instskip(SKIP_1) | instid1(VALU_DEP_2)
	v_sub_nc_u32_e32 v7, v8, v7
	v_ashrrev_i32_e32 v8, 8, v9
	v_add_nc_u32_e32 v7, 0x3c000000, v7
	s_delay_alu instid0(VALU_DEP_1) | instskip(NEXT) | instid1(VALU_DEP_1)
	v_and_or_b32 v7, 0x7f800000, v8, v7
	v_cndmask_b32_e32 v6, 0, v7, vcc_lo
	s_delay_alu instid0(VALU_DEP_1) | instskip(SKIP_1) | instid1(VALU_DEP_2)
	v_and_or_b32 v5, 0x80000000, v5, v6
	v_bfe_u32 v6, v6, 16, 1
	v_cmp_o_f32_e32 vcc_lo, v5, v5
	s_delay_alu instid0(VALU_DEP_2) | instskip(NEXT) | instid1(VALU_DEP_1)
	v_add3_u32 v6, v5, v6, 0x7fff
	v_lshrrev_b32_e32 v6, 16, v6
	s_delay_alu instid0(VALU_DEP_1)
	v_cndmask_b32_e32 v5, 0x7fc0, v6, vcc_lo
.LBB345_617:
	s_mov_b32 s2, 0
.LBB345_618:
	s_delay_alu instid0(SALU_CYCLE_1)
	s_and_not1_b32 vcc_lo, exec_lo, s2
	s_cbranch_vccnz .LBB345_620
; %bb.619:
	global_load_u8 v5, v[1:2], off
	s_waitcnt vmcnt(0)
	v_lshlrev_b32_e32 v6, 25, v5
	v_lshlrev_b16 v5, 8, v5
	s_delay_alu instid0(VALU_DEP_2) | instskip(NEXT) | instid1(VALU_DEP_2)
	v_lshrrev_b32_e32 v7, 4, v6
	v_and_or_b32 v8, 0x7f00, v5, 0.5
	v_bfe_i32 v5, v5, 0, 16
	s_delay_alu instid0(VALU_DEP_3) | instskip(NEXT) | instid1(VALU_DEP_1)
	v_or_b32_e32 v7, 0x70000000, v7
	v_dual_add_f32 v8, -0.5, v8 :: v_dual_mul_f32 v7, 0x7800000, v7
	v_cmp_gt_u32_e32 vcc_lo, 0x8000000, v6
	s_delay_alu instid0(VALU_DEP_2) | instskip(NEXT) | instid1(VALU_DEP_1)
	v_cndmask_b32_e32 v6, v7, v8, vcc_lo
	v_and_or_b32 v5, 0x80000000, v5, v6
	v_bfe_u32 v6, v6, 16, 1
	s_delay_alu instid0(VALU_DEP_2) | instskip(NEXT) | instid1(VALU_DEP_2)
	v_cmp_o_f32_e32 vcc_lo, v5, v5
	v_add3_u32 v6, v5, v6, 0x7fff
	s_delay_alu instid0(VALU_DEP_1) | instskip(NEXT) | instid1(VALU_DEP_1)
	v_lshrrev_b32_e32 v6, 16, v6
	v_cndmask_b32_e32 v5, 0x7fc0, v6, vcc_lo
.LBB345_620:
	s_mov_b32 s24, 0
	s_mov_b32 s2, -1
.LBB345_621:
	s_and_not1_b32 vcc_lo, exec_lo, s24
	s_cbranch_vccnz .LBB345_634
; %bb.622:
	v_cmp_lt_i16_e32 vcc_lo, 14, v3
	s_cbranch_vccz .LBB345_625
; %bb.623:
	v_cmp_eq_u16_e32 vcc_lo, 15, v3
	s_cbranch_vccz .LBB345_628
; %bb.624:
	global_load_u16 v5, v[1:2], off
	s_mov_b32 s2, -1
	s_mov_b32 s3, 0
	s_branch .LBB345_629
.LBB345_625:
	s_mov_b32 s24, -1
                                        ; implicit-def: $vgpr5
	s_branch .LBB345_630
.LBB345_626:
	s_or_saveexec_b32 s25, s25
	v_mov_b32_e32 v6, s24
	s_xor_b32 exec_lo, exec_lo, s25
	s_cbranch_execz .LBB345_607
.LBB345_627:
	v_cmp_ne_u16_e32 vcc_lo, 0, v5
	v_mov_b32_e32 v6, 0
	s_and_not1_b32 s2, s2, exec_lo
	s_and_b32 s24, vcc_lo, exec_lo
	s_delay_alu instid0(SALU_CYCLE_1)
	s_or_b32 s2, s2, s24
	s_or_b32 exec_lo, exec_lo, s25
	s_and_saveexec_b32 s24, s2
	s_cbranch_execnz .LBB345_608
	s_branch .LBB345_609
.LBB345_628:
	s_mov_b32 s3, -1
                                        ; implicit-def: $vgpr5
.LBB345_629:
	s_mov_b32 s24, 0
.LBB345_630:
	s_delay_alu instid0(SALU_CYCLE_1)
	s_and_b32 vcc_lo, exec_lo, s24
	s_cbranch_vccz .LBB345_634
; %bb.631:
	v_cmp_eq_u16_e32 vcc_lo, 11, v3
	s_cbranch_vccz .LBB345_633
; %bb.632:
	global_load_u8 v5, v[1:2], off
	s_mov_b32 s3, 0
	s_mov_b32 s2, -1
	s_waitcnt vmcnt(0)
	v_cmp_ne_u16_e32 vcc_lo, 0, v5
	v_cndmask_b32_e64 v5, 0, 1.0, vcc_lo
	s_delay_alu instid0(VALU_DEP_1)
	v_lshrrev_b32_e32 v5, 16, v5
	s_branch .LBB345_634
.LBB345_633:
	s_mov_b32 s3, -1
                                        ; implicit-def: $vgpr5
.LBB345_634:
	s_mov_b32 s24, 0
.LBB345_635:
	s_delay_alu instid0(SALU_CYCLE_1)
	s_and_b32 vcc_lo, exec_lo, s24
	s_cbranch_vccz .LBB345_684
; %bb.636:
	v_cmp_gt_i16_e32 vcc_lo, 5, v3
	s_cbranch_vccnz .LBB345_641
; %bb.637:
	v_cmp_gt_i16_e32 vcc_lo, 8, v3
	s_cbranch_vccnz .LBB345_642
; %bb.638:
	v_cmp_gt_i16_e32 vcc_lo, 9, v3
	s_cbranch_vccnz .LBB345_643
; %bb.639:
	v_cmp_lt_i16_e32 vcc_lo, 9, v3
	s_cbranch_vccz .LBB345_644
; %bb.640:
	global_load_b64 v[5:6], v[1:2], off
	s_mov_b32 s2, 0
	s_waitcnt vmcnt(0)
	v_cvt_f32_f64_e32 v5, v[5:6]
	s_delay_alu instid0(VALU_DEP_1) | instskip(SKIP_1) | instid1(VALU_DEP_2)
	v_bfe_u32 v6, v5, 16, 1
	v_cmp_o_f32_e32 vcc_lo, v5, v5
	v_add3_u32 v6, v5, v6, 0x7fff
	s_delay_alu instid0(VALU_DEP_1) | instskip(NEXT) | instid1(VALU_DEP_1)
	v_lshrrev_b32_e32 v6, 16, v6
	v_cndmask_b32_e32 v5, 0x7fc0, v6, vcc_lo
	s_branch .LBB345_645
.LBB345_641:
	s_mov_b32 s2, -1
                                        ; implicit-def: $vgpr5
	s_branch .LBB345_663
.LBB345_642:
	s_mov_b32 s2, -1
                                        ; implicit-def: $vgpr5
	s_branch .LBB345_651
.LBB345_643:
	s_mov_b32 s2, -1
                                        ; implicit-def: $vgpr5
	s_branch .LBB345_648
.LBB345_644:
	s_mov_b32 s2, -1
                                        ; implicit-def: $vgpr5
.LBB345_645:
	s_delay_alu instid0(SALU_CYCLE_1)
	s_and_not1_b32 vcc_lo, exec_lo, s2
	s_cbranch_vccnz .LBB345_647
; %bb.646:
	global_load_b32 v5, v[1:2], off
	s_waitcnt vmcnt(0)
	v_bfe_u32 v6, v5, 16, 1
	v_cmp_o_f32_e32 vcc_lo, v5, v5
	s_delay_alu instid0(VALU_DEP_2) | instskip(NEXT) | instid1(VALU_DEP_1)
	v_add3_u32 v6, v5, v6, 0x7fff
	v_lshrrev_b32_e32 v6, 16, v6
	s_delay_alu instid0(VALU_DEP_1)
	v_cndmask_b32_e32 v5, 0x7fc0, v6, vcc_lo
.LBB345_647:
	s_mov_b32 s2, 0
.LBB345_648:
	s_delay_alu instid0(SALU_CYCLE_1)
	s_and_not1_b32 vcc_lo, exec_lo, s2
	s_cbranch_vccnz .LBB345_650
; %bb.649:
	global_load_b32 v5, v[1:2], off
	s_waitcnt vmcnt(0)
	v_cvt_f32_f16_e32 v6, v5
	v_cmp_o_f16_e32 vcc_lo, v5, v5
	s_delay_alu instid0(VALU_DEP_2) | instskip(NEXT) | instid1(VALU_DEP_1)
	v_bfe_u32 v7, v6, 16, 1
	v_add3_u32 v6, v6, v7, 0x7fff
	s_delay_alu instid0(VALU_DEP_1) | instskip(NEXT) | instid1(VALU_DEP_1)
	v_lshrrev_b32_e32 v6, 16, v6
	v_cndmask_b32_e32 v5, 0x7fc0, v6, vcc_lo
.LBB345_650:
	s_mov_b32 s2, 0
.LBB345_651:
	s_delay_alu instid0(SALU_CYCLE_1)
	s_and_not1_b32 vcc_lo, exec_lo, s2
	s_cbranch_vccnz .LBB345_662
; %bb.652:
	v_cmp_gt_i16_e32 vcc_lo, 6, v3
	s_cbranch_vccnz .LBB345_655
; %bb.653:
	v_cmp_lt_i16_e32 vcc_lo, 6, v3
	s_cbranch_vccz .LBB345_656
; %bb.654:
	global_load_b64 v[5:6], v[1:2], off
	s_mov_b32 s2, 0
	s_waitcnt vmcnt(0)
	v_cvt_f32_f64_e32 v5, v[5:6]
	s_delay_alu instid0(VALU_DEP_1) | instskip(SKIP_1) | instid1(VALU_DEP_2)
	v_bfe_u32 v6, v5, 16, 1
	v_cmp_o_f32_e32 vcc_lo, v5, v5
	v_add3_u32 v6, v5, v6, 0x7fff
	s_delay_alu instid0(VALU_DEP_1) | instskip(NEXT) | instid1(VALU_DEP_1)
	v_lshrrev_b32_e32 v6, 16, v6
	v_cndmask_b32_e32 v5, 0x7fc0, v6, vcc_lo
	s_branch .LBB345_657
.LBB345_655:
	s_mov_b32 s2, -1
                                        ; implicit-def: $vgpr5
	s_branch .LBB345_660
.LBB345_656:
	s_mov_b32 s2, -1
                                        ; implicit-def: $vgpr5
.LBB345_657:
	s_delay_alu instid0(SALU_CYCLE_1)
	s_and_not1_b32 vcc_lo, exec_lo, s2
	s_cbranch_vccnz .LBB345_659
; %bb.658:
	global_load_b32 v5, v[1:2], off
	s_waitcnt vmcnt(0)
	v_bfe_u32 v6, v5, 16, 1
	v_cmp_o_f32_e32 vcc_lo, v5, v5
	s_delay_alu instid0(VALU_DEP_2) | instskip(NEXT) | instid1(VALU_DEP_1)
	v_add3_u32 v6, v5, v6, 0x7fff
	v_lshrrev_b32_e32 v6, 16, v6
	s_delay_alu instid0(VALU_DEP_1)
	v_cndmask_b32_e32 v5, 0x7fc0, v6, vcc_lo
.LBB345_659:
	s_mov_b32 s2, 0
.LBB345_660:
	s_delay_alu instid0(SALU_CYCLE_1)
	s_and_not1_b32 vcc_lo, exec_lo, s2
	s_cbranch_vccnz .LBB345_662
; %bb.661:
	global_load_u16 v5, v[1:2], off
	s_waitcnt vmcnt(0)
	v_cvt_f32_f16_e32 v6, v5
	v_cmp_o_f16_e32 vcc_lo, v5, v5
	s_delay_alu instid0(VALU_DEP_2) | instskip(NEXT) | instid1(VALU_DEP_1)
	v_bfe_u32 v7, v6, 16, 1
	v_add3_u32 v6, v6, v7, 0x7fff
	s_delay_alu instid0(VALU_DEP_1) | instskip(NEXT) | instid1(VALU_DEP_1)
	v_lshrrev_b32_e32 v6, 16, v6
	v_cndmask_b32_e32 v5, 0x7fc0, v6, vcc_lo
.LBB345_662:
	s_mov_b32 s2, 0
.LBB345_663:
	s_delay_alu instid0(SALU_CYCLE_1)
	s_and_not1_b32 vcc_lo, exec_lo, s2
	s_cbranch_vccnz .LBB345_683
; %bb.664:
	v_cmp_gt_i16_e32 vcc_lo, 2, v3
	s_cbranch_vccnz .LBB345_668
; %bb.665:
	v_cmp_gt_i16_e32 vcc_lo, 3, v3
	s_cbranch_vccnz .LBB345_669
; %bb.666:
	v_cmp_lt_i16_e32 vcc_lo, 3, v3
	s_cbranch_vccz .LBB345_670
; %bb.667:
	global_load_b64 v[5:6], v[1:2], off
	s_mov_b32 s2, 0
	s_waitcnt vmcnt(0)
	v_xor_b32_e32 v7, v5, v6
	v_cls_i32_e32 v8, v6
	s_delay_alu instid0(VALU_DEP_2) | instskip(NEXT) | instid1(VALU_DEP_2)
	v_ashrrev_i32_e32 v7, 31, v7
	v_add_nc_u32_e32 v8, -1, v8
	s_delay_alu instid0(VALU_DEP_2) | instskip(NEXT) | instid1(VALU_DEP_1)
	v_add_nc_u32_e32 v7, 32, v7
	v_min_u32_e32 v7, v8, v7
	s_delay_alu instid0(VALU_DEP_1) | instskip(NEXT) | instid1(VALU_DEP_1)
	v_lshlrev_b64 v[5:6], v7, v[5:6]
	v_min_u32_e32 v5, 1, v5
	s_delay_alu instid0(VALU_DEP_1) | instskip(SKIP_1) | instid1(VALU_DEP_2)
	v_or_b32_e32 v5, v6, v5
	v_sub_nc_u32_e32 v6, 32, v7
	v_cvt_f32_i32_e32 v5, v5
	s_delay_alu instid0(VALU_DEP_1) | instskip(NEXT) | instid1(VALU_DEP_1)
	v_ldexp_f32 v5, v5, v6
	v_bfe_u32 v6, v5, 16, 1
	s_delay_alu instid0(VALU_DEP_1) | instskip(NEXT) | instid1(VALU_DEP_1)
	v_add3_u32 v5, v5, v6, 0x7fff
	v_lshrrev_b32_e32 v5, 16, v5
	s_branch .LBB345_671
.LBB345_668:
	s_mov_b32 s2, -1
                                        ; implicit-def: $vgpr5
	s_branch .LBB345_677
.LBB345_669:
	s_mov_b32 s2, -1
                                        ; implicit-def: $vgpr5
	s_branch .LBB345_674
.LBB345_670:
	s_mov_b32 s2, -1
                                        ; implicit-def: $vgpr5
.LBB345_671:
	s_delay_alu instid0(SALU_CYCLE_1)
	s_and_not1_b32 vcc_lo, exec_lo, s2
	s_cbranch_vccnz .LBB345_673
; %bb.672:
	global_load_b32 v5, v[1:2], off
	s_waitcnt vmcnt(0)
	v_cvt_f32_i32_e32 v5, v5
	s_delay_alu instid0(VALU_DEP_1) | instskip(NEXT) | instid1(VALU_DEP_1)
	v_bfe_u32 v6, v5, 16, 1
	v_add3_u32 v5, v5, v6, 0x7fff
	s_delay_alu instid0(VALU_DEP_1)
	v_lshrrev_b32_e32 v5, 16, v5
.LBB345_673:
	s_mov_b32 s2, 0
.LBB345_674:
	s_delay_alu instid0(SALU_CYCLE_1)
	s_and_not1_b32 vcc_lo, exec_lo, s2
	s_cbranch_vccnz .LBB345_676
; %bb.675:
	global_load_i16 v5, v[1:2], off
	s_waitcnt vmcnt(0)
	v_cvt_f32_i32_e32 v5, v5
	s_delay_alu instid0(VALU_DEP_1) | instskip(NEXT) | instid1(VALU_DEP_1)
	v_bfe_u32 v6, v5, 16, 1
	v_add3_u32 v5, v5, v6, 0x7fff
	s_delay_alu instid0(VALU_DEP_1)
	v_lshrrev_b32_e32 v5, 16, v5
.LBB345_676:
	s_mov_b32 s2, 0
.LBB345_677:
	s_delay_alu instid0(SALU_CYCLE_1)
	s_and_not1_b32 vcc_lo, exec_lo, s2
	s_cbranch_vccnz .LBB345_683
; %bb.678:
	v_cmp_lt_i16_e32 vcc_lo, 0, v3
	s_mov_b32 s2, 0
	s_cbranch_vccz .LBB345_680
; %bb.679:
	global_load_i8 v5, v[1:2], off
	s_waitcnt vmcnt(0)
	v_cvt_f32_i32_e32 v5, v5
	s_delay_alu instid0(VALU_DEP_1) | instskip(NEXT) | instid1(VALU_DEP_1)
	v_bfe_u32 v6, v5, 16, 1
	v_add3_u32 v5, v5, v6, 0x7fff
	s_delay_alu instid0(VALU_DEP_1)
	v_lshrrev_b32_e32 v5, 16, v5
	s_branch .LBB345_681
.LBB345_680:
	s_mov_b32 s2, -1
                                        ; implicit-def: $vgpr5
.LBB345_681:
	s_delay_alu instid0(SALU_CYCLE_1)
	s_and_not1_b32 vcc_lo, exec_lo, s2
	s_cbranch_vccnz .LBB345_683
; %bb.682:
	global_load_u8 v1, v[1:2], off
	s_waitcnt vmcnt(0)
	v_cvt_f32_ubyte0_e32 v1, v1
	s_delay_alu instid0(VALU_DEP_1) | instskip(NEXT) | instid1(VALU_DEP_1)
	v_bfe_u32 v2, v1, 16, 1
	v_add3_u32 v1, v1, v2, 0x7fff
	s_delay_alu instid0(VALU_DEP_1)
	v_lshrrev_b32_e32 v5, 16, v1
.LBB345_683:
	s_mov_b32 s2, -1
.LBB345_684:
	s_delay_alu instid0(SALU_CYCLE_1)
	s_and_not1_b32 vcc_lo, exec_lo, s2
	s_cbranch_vccnz .LBB345_694
; %bb.685:
	s_waitcnt vmcnt(0)
	v_lshlrev_b32_e32 v1, 16, v5
	s_mov_b32 s2, exec_lo
	s_delay_alu instid0(VALU_DEP_1)
	v_cmpx_o_f32_e32 v1, v1
; %bb.686:
	v_cmp_lt_f32_e32 vcc_lo, s33, v1
	v_cndmask_b32_e32 v1, s18, v5, vcc_lo
	s_delay_alu instid0(VALU_DEP_1) | instskip(NEXT) | instid1(VALU_DEP_1)
	v_lshlrev_b32_e32 v2, 16, v1
	v_cmp_gt_f32_e32 vcc_lo, s34, v2
	v_cndmask_b32_e32 v5, s31, v1, vcc_lo
; %bb.687:
	s_or_b32 exec_lo, exec_lo, s2
	v_and_b32_e64 v2, 0xff, s19
	v_add_co_u32 v0, s2, s4, v0
	s_delay_alu instid0(VALU_DEP_1) | instskip(NEXT) | instid1(VALU_DEP_3)
	v_add_co_ci_u32_e64 v1, null, s5, 0, s2
	v_cmp_gt_i16_e32 vcc_lo, 11, v2
	s_mov_b32 s24, 0
	s_mov_b32 s25, -1
	s_mov_b32 s2, s43
	s_cbranch_vccnz .LBB345_695
; %bb.688:
	v_cmp_lt_i16_e32 vcc_lo, 25, v2
	s_cbranch_vccz .LBB345_736
; %bb.689:
	v_cmp_lt_i16_e32 vcc_lo, 28, v2
	s_cbranch_vccz .LBB345_737
; %bb.690:
	v_cmp_lt_i16_e32 vcc_lo, 43, v2
	s_cbranch_vccz .LBB345_738
; %bb.691:
	v_cmp_lt_i16_e32 vcc_lo, 45, v2
	s_cbranch_vccz .LBB345_739
; %bb.692:
	v_cmp_eq_u16_e32 vcc_lo, 46, v2
	s_mov_b32 s25, 0
	s_mov_b32 s2, -1
	s_cbranch_vccz .LBB345_740
; %bb.693:
	v_and_b32_e32 v6, 0xffff, v5
	s_mov_b32 s24, -1
	s_mov_b32 s2, 0
	global_store_b32 v[0:1], v6, off
	s_branch .LBB345_740
.LBB345_694:
	s_mov_b32 s46, 0
	s_mov_b32 s2, s43
	s_branch .LBB345_735
.LBB345_695:
	s_and_b32 vcc_lo, exec_lo, s25
	s_cbranch_vccz .LBB345_809
; %bb.696:
	v_cmp_gt_i16_e32 vcc_lo, 5, v2
	s_mov_b32 s24, -1
	s_cbranch_vccnz .LBB345_717
; %bb.697:
	v_cmp_gt_i16_e32 vcc_lo, 8, v2
	s_cbranch_vccnz .LBB345_707
; %bb.698:
	v_cmp_gt_i16_e32 vcc_lo, 9, v2
	s_cbranch_vccnz .LBB345_704
; %bb.699:
	v_cmp_lt_i16_e32 vcc_lo, 9, v2
	s_cbranch_vccz .LBB345_701
; %bb.700:
	v_mov_b32_e32 v8, 0
	v_lshlrev_b32_e32 v6, 16, v5
	s_mov_b32 s24, 0
	s_delay_alu instid0(VALU_DEP_2) | instskip(NEXT) | instid1(VALU_DEP_2)
	v_mov_b32_e32 v9, v8
	v_cvt_f64_f32_e32 v[6:7], v6
	global_store_b128 v[0:1], v[6:9], off
.LBB345_701:
	s_and_not1_b32 vcc_lo, exec_lo, s24
	s_cbranch_vccnz .LBB345_703
; %bb.702:
	v_dual_mov_b32 v7, 0 :: v_dual_lshlrev_b32 v6, 16, v5
	global_store_b64 v[0:1], v[6:7], off
.LBB345_703:
	s_mov_b32 s24, 0
.LBB345_704:
	s_delay_alu instid0(SALU_CYCLE_1)
	s_and_not1_b32 vcc_lo, exec_lo, s24
	s_cbranch_vccnz .LBB345_706
; %bb.705:
	v_lshlrev_b32_e32 v6, 16, v5
	s_delay_alu instid0(VALU_DEP_1) | instskip(NEXT) | instid1(VALU_DEP_1)
	v_cvt_f16_f32_e32 v6, v6
	v_and_b32_e32 v6, 0xffff, v6
	global_store_b32 v[0:1], v6, off
.LBB345_706:
	s_mov_b32 s24, 0
.LBB345_707:
	s_delay_alu instid0(SALU_CYCLE_1)
	s_and_not1_b32 vcc_lo, exec_lo, s24
	s_cbranch_vccnz .LBB345_716
; %bb.708:
	v_cmp_gt_i16_e32 vcc_lo, 6, v2
	s_mov_b32 s24, -1
	s_cbranch_vccnz .LBB345_714
; %bb.709:
	v_cmp_lt_i16_e32 vcc_lo, 6, v2
	s_cbranch_vccz .LBB345_711
; %bb.710:
	v_lshlrev_b32_e32 v6, 16, v5
	s_mov_b32 s24, 0
	s_delay_alu instid0(VALU_DEP_1)
	v_cvt_f64_f32_e32 v[6:7], v6
	global_store_b64 v[0:1], v[6:7], off
.LBB345_711:
	s_and_not1_b32 vcc_lo, exec_lo, s24
	s_cbranch_vccnz .LBB345_713
; %bb.712:
	v_lshlrev_b32_e32 v6, 16, v5
	global_store_b32 v[0:1], v6, off
.LBB345_713:
	s_mov_b32 s24, 0
.LBB345_714:
	s_delay_alu instid0(SALU_CYCLE_1)
	s_and_not1_b32 vcc_lo, exec_lo, s24
	s_cbranch_vccnz .LBB345_716
; %bb.715:
	v_lshlrev_b32_e32 v6, 16, v5
	s_delay_alu instid0(VALU_DEP_1)
	v_cvt_f16_f32_e32 v6, v6
	global_store_b16 v[0:1], v6, off
.LBB345_716:
	s_mov_b32 s24, 0
.LBB345_717:
	s_delay_alu instid0(SALU_CYCLE_1)
	s_and_not1_b32 vcc_lo, exec_lo, s24
	s_cbranch_vccnz .LBB345_733
; %bb.718:
	v_cmp_gt_i16_e32 vcc_lo, 2, v2
	s_mov_b32 s24, -1
	s_cbranch_vccnz .LBB345_728
; %bb.719:
	v_cmp_gt_i16_e32 vcc_lo, 3, v2
	s_cbranch_vccnz .LBB345_725
; %bb.720:
	v_cmp_lt_i16_e32 vcc_lo, 3, v2
	s_cbranch_vccz .LBB345_722
; %bb.721:
	v_lshlrev_b32_e32 v6, 16, v5
	s_mov_b32 s24, 0
	s_delay_alu instid0(VALU_DEP_1) | instskip(NEXT) | instid1(VALU_DEP_1)
	v_trunc_f32_e32 v6, v6
	v_mul_f32_e64 v7, 0x2f800000, |v6|
	v_ashrrev_i32_e32 v9, 31, v6
	s_delay_alu instid0(VALU_DEP_2) | instskip(NEXT) | instid1(VALU_DEP_1)
	v_floor_f32_e32 v7, v7
	v_fma_f32 v8, 0xcf800000, v7, |v6|
	v_cvt_u32_f32_e32 v7, v7
	s_delay_alu instid0(VALU_DEP_2) | instskip(NEXT) | instid1(VALU_DEP_2)
	v_cvt_u32_f32_e32 v6, v8
	v_xor_b32_e32 v7, v7, v9
	s_delay_alu instid0(VALU_DEP_2) | instskip(NEXT) | instid1(VALU_DEP_1)
	v_xor_b32_e32 v6, v6, v9
	v_sub_co_u32 v6, vcc_lo, v6, v9
	s_delay_alu instid0(VALU_DEP_3)
	v_sub_co_ci_u32_e32 v7, vcc_lo, v7, v9, vcc_lo
	global_store_b64 v[0:1], v[6:7], off
.LBB345_722:
	s_and_not1_b32 vcc_lo, exec_lo, s24
	s_cbranch_vccnz .LBB345_724
; %bb.723:
	v_lshlrev_b32_e32 v6, 16, v5
	s_delay_alu instid0(VALU_DEP_1)
	v_cvt_i32_f32_e32 v6, v6
	global_store_b32 v[0:1], v6, off
.LBB345_724:
	s_mov_b32 s24, 0
.LBB345_725:
	s_delay_alu instid0(SALU_CYCLE_1)
	s_and_not1_b32 vcc_lo, exec_lo, s24
	s_cbranch_vccnz .LBB345_727
; %bb.726:
	v_lshlrev_b32_e32 v6, 16, v5
	s_delay_alu instid0(VALU_DEP_1)
	v_cvt_i32_f32_e32 v6, v6
	global_store_b16 v[0:1], v6, off
.LBB345_727:
	s_mov_b32 s24, 0
.LBB345_728:
	s_delay_alu instid0(SALU_CYCLE_1)
	s_and_not1_b32 vcc_lo, exec_lo, s24
	s_cbranch_vccnz .LBB345_733
; %bb.729:
	v_cmp_lt_i16_e32 vcc_lo, 0, v2
	s_mov_b32 s24, -1
	s_cbranch_vccz .LBB345_731
; %bb.730:
	v_lshlrev_b32_e32 v2, 16, v5
	s_mov_b32 s24, 0
	s_delay_alu instid0(VALU_DEP_1)
	v_cvt_i32_f32_e32 v2, v2
	global_store_b8 v[0:1], v2, off
.LBB345_731:
	s_and_not1_b32 vcc_lo, exec_lo, s24
	s_cbranch_vccnz .LBB345_733
; %bb.732:
	v_lshlrev_b32_e32 v2, 16, v5
	s_delay_alu instid0(VALU_DEP_1) | instskip(NEXT) | instid1(VALU_DEP_1)
	v_trunc_f32_e32 v2, v2
	v_mul_f32_e64 v5, 0x2f800000, |v2|
	s_delay_alu instid0(VALU_DEP_1) | instskip(NEXT) | instid1(VALU_DEP_1)
	v_floor_f32_e32 v5, v5
	v_fma_f32 v5, 0xcf800000, v5, |v2|
	v_ashrrev_i32_e32 v2, 31, v2
	s_delay_alu instid0(VALU_DEP_2) | instskip(NEXT) | instid1(VALU_DEP_1)
	v_cvt_u32_f32_e32 v5, v5
	v_xor_b32_e32 v5, v5, v2
	s_delay_alu instid0(VALU_DEP_1)
	v_sub_nc_u32_e32 v2, v5, v2
	global_store_b8 v[0:1], v2, off
.LBB345_733:
	s_branch .LBB345_810
.LBB345_734:
	s_mov_b32 s46, 0
.LBB345_735:
                                        ; implicit-def: $vgpr4
	s_branch .LBB345_811
.LBB345_736:
	s_mov_b32 s2, s43
	s_branch .LBB345_767
.LBB345_737:
	s_mov_b32 s2, s43
	s_branch .LBB345_750
.LBB345_738:
	s_mov_b32 s2, s43
	s_branch .LBB345_746
.LBB345_739:
	s_mov_b32 s2, s43
.LBB345_740:
	s_and_b32 vcc_lo, exec_lo, s25
	s_cbranch_vccz .LBB345_745
; %bb.741:
	v_cmp_eq_u16_e32 vcc_lo, 44, v2
	s_mov_b32 s2, -1
	s_cbranch_vccz .LBB345_745
; %bb.742:
	v_and_b32_e32 v6, 0xffff, v5
	v_mov_b32_e32 v7, 0xff
	s_mov_b32 s24, exec_lo
	s_delay_alu instid0(VALU_DEP_2) | instskip(NEXT) | instid1(VALU_DEP_1)
	v_bfe_u32 v8, v6, 7, 8
	v_cmpx_ne_u32_e32 0xff, v8
; %bb.743:
	v_lshlrev_b32_e32 v7, 16, v6
	v_and_b32_e32 v9, 64, v6
	v_lshrrev_b32_e32 v6, 7, v6
	s_delay_alu instid0(VALU_DEP_3) | instskip(NEXT) | instid1(VALU_DEP_3)
	v_and_or_b32 v7, 0x3f0000, v7, v8
	v_cmp_ne_u32_e32 vcc_lo, 0, v9
	s_delay_alu instid0(VALU_DEP_2) | instskip(NEXT) | instid1(VALU_DEP_1)
	v_cmp_ne_u32_e64 s2, 0, v7
	s_and_b32 s2, vcc_lo, s2
	s_delay_alu instid0(SALU_CYCLE_1) | instskip(NEXT) | instid1(VALU_DEP_1)
	v_cndmask_b32_e64 v7, 0, 1, s2
	v_add_nc_u32_e32 v7, v6, v7
; %bb.744:
	s_or_b32 exec_lo, exec_lo, s24
	s_mov_b32 s24, -1
	s_mov_b32 s2, 0
	global_store_b8 v[0:1], v7, off
.LBB345_745:
	s_mov_b32 s25, 0
.LBB345_746:
	s_delay_alu instid0(SALU_CYCLE_1)
	s_and_b32 vcc_lo, exec_lo, s25
	s_cbranch_vccz .LBB345_749
; %bb.747:
	v_cmp_eq_u16_e32 vcc_lo, 29, v2
	s_mov_b32 s2, -1
	s_cbranch_vccz .LBB345_749
; %bb.748:
	v_lshlrev_b32_e32 v6, 16, v5
	s_mov_b32 s24, -1
	s_mov_b32 s2, 0
	s_mov_b32 s25, 0
	s_delay_alu instid0(VALU_DEP_1) | instskip(NEXT) | instid1(VALU_DEP_1)
	v_trunc_f32_e32 v6, v6
	v_mul_f32_e32 v7, 0x2f800000, v6
	s_delay_alu instid0(VALU_DEP_1) | instskip(NEXT) | instid1(VALU_DEP_1)
	v_floor_f32_e32 v7, v7
	v_fmamk_f32 v6, v7, 0xcf800000, v6
	v_cvt_u32_f32_e32 v7, v7
	s_delay_alu instid0(VALU_DEP_2)
	v_cvt_u32_f32_e32 v6, v6
	global_store_b64 v[0:1], v[6:7], off
	s_branch .LBB345_750
.LBB345_749:
	s_mov_b32 s25, 0
.LBB345_750:
	s_delay_alu instid0(SALU_CYCLE_1)
	s_and_b32 vcc_lo, exec_lo, s25
	s_cbranch_vccz .LBB345_766
; %bb.751:
	v_cmp_gt_i16_e32 vcc_lo, 27, v2
	s_mov_b32 s24, -1
	s_cbranch_vccnz .LBB345_757
; %bb.752:
	v_cmp_lt_i16_e32 vcc_lo, 27, v2
	s_cbranch_vccz .LBB345_754
; %bb.753:
	v_lshlrev_b32_e32 v6, 16, v5
	s_mov_b32 s24, 0
	s_delay_alu instid0(VALU_DEP_1)
	v_cvt_u32_f32_e32 v6, v6
	global_store_b32 v[0:1], v6, off
.LBB345_754:
	s_and_not1_b32 vcc_lo, exec_lo, s24
	s_cbranch_vccnz .LBB345_756
; %bb.755:
	v_lshlrev_b32_e32 v6, 16, v5
	s_delay_alu instid0(VALU_DEP_1)
	v_cvt_u32_f32_e32 v6, v6
	global_store_b16 v[0:1], v6, off
.LBB345_756:
	s_mov_b32 s24, 0
.LBB345_757:
	s_delay_alu instid0(SALU_CYCLE_1)
	s_and_not1_b32 vcc_lo, exec_lo, s24
	s_cbranch_vccnz .LBB345_765
; %bb.758:
	v_dual_mov_b32 v9, 0x80 :: v_dual_lshlrev_b32 v8, 16, v5
	s_mov_b32 s24, exec_lo
	s_delay_alu instid0(VALU_DEP_1) | instskip(NEXT) | instid1(VALU_DEP_1)
	v_and_b32_e32 v7, 0x7fffffff, v8
	v_cmpx_gt_u32_e32 0x43800000, v7
	s_cbranch_execz .LBB345_764
; %bb.759:
	v_and_b32_e32 v6, 0xffff, v5
	v_cmp_lt_u32_e32 vcc_lo, 0x3bffffff, v7
	s_mov_b32 s25, 0
                                        ; implicit-def: $vgpr7
	s_and_saveexec_b32 s46, vcc_lo
	s_delay_alu instid0(SALU_CYCLE_1)
	s_xor_b32 s46, exec_lo, s46
	s_cbranch_execz .LBB345_838
; %bb.760:
	v_bfe_u32 v7, v6, 4, 1
	s_mov_b32 s25, exec_lo
	s_delay_alu instid0(VALU_DEP_1) | instskip(NEXT) | instid1(VALU_DEP_1)
	v_add3_u32 v7, v8, v7, 0x487ffff
                                        ; implicit-def: $vgpr8
	v_lshrrev_b32_e32 v7, 20, v7
	s_or_saveexec_b32 s46, s46
                                        ; implicit-def: $sgpr47
	s_delay_alu instid0(SALU_CYCLE_1)
	s_xor_b32 exec_lo, exec_lo, s46
	s_cbranch_execnz .LBB345_839
.LBB345_761:
	s_or_b32 exec_lo, exec_lo, s46
	v_mov_b32_e32 v9, s47
	s_and_saveexec_b32 s46, s25
.LBB345_762:
	v_lshrrev_b32_e32 v6, 8, v6
	s_delay_alu instid0(VALU_DEP_1)
	v_and_or_b32 v9, 0x80, v6, v7
.LBB345_763:
	s_or_b32 exec_lo, exec_lo, s46
.LBB345_764:
	s_delay_alu instid0(SALU_CYCLE_1)
	s_or_b32 exec_lo, exec_lo, s24
	global_store_b8 v[0:1], v9, off
.LBB345_765:
	s_mov_b32 s24, -1
.LBB345_766:
	s_mov_b32 s25, 0
.LBB345_767:
	s_delay_alu instid0(SALU_CYCLE_1)
	s_and_b32 vcc_lo, exec_lo, s25
	s_cbranch_vccz .LBB345_808
; %bb.768:
	v_cmp_lt_i16_e32 vcc_lo, 22, v2
	s_mov_b32 s25, -1
	s_cbranch_vccz .LBB345_800
; %bb.769:
	v_cmp_gt_i16_e32 vcc_lo, 24, v2
	s_mov_b32 s24, -1
	s_cbranch_vccnz .LBB345_789
; %bb.770:
	v_cmp_lt_i16_e32 vcc_lo, 24, v2
	s_cbranch_vccz .LBB345_778
; %bb.771:
	v_dual_mov_b32 v9, 0x80 :: v_dual_lshlrev_b32 v8, 16, v5
	s_mov_b32 s24, exec_lo
	s_delay_alu instid0(VALU_DEP_1) | instskip(NEXT) | instid1(VALU_DEP_1)
	v_and_b32_e32 v7, 0x7fffffff, v8
	v_cmpx_gt_u32_e32 0x47800000, v7
	s_cbranch_execz .LBB345_777
; %bb.772:
	v_and_b32_e32 v6, 0xffff, v5
	v_cmp_lt_u32_e32 vcc_lo, 0x37ffffff, v7
	s_mov_b32 s25, 0
                                        ; implicit-def: $vgpr7
	s_and_saveexec_b32 s46, vcc_lo
	s_delay_alu instid0(SALU_CYCLE_1)
	s_xor_b32 s46, exec_lo, s46
	s_cbranch_execz .LBB345_841
; %bb.773:
	v_bfe_u32 v7, v6, 5, 1
	s_mov_b32 s25, exec_lo
	s_delay_alu instid0(VALU_DEP_1) | instskip(NEXT) | instid1(VALU_DEP_1)
	v_add3_u32 v7, v8, v7, 0x88fffff
                                        ; implicit-def: $vgpr8
	v_lshrrev_b32_e32 v7, 21, v7
	s_or_saveexec_b32 s46, s46
                                        ; implicit-def: $sgpr47
	s_delay_alu instid0(SALU_CYCLE_1)
	s_xor_b32 exec_lo, exec_lo, s46
	s_cbranch_execnz .LBB345_842
.LBB345_774:
	s_or_b32 exec_lo, exec_lo, s46
	v_mov_b32_e32 v9, s47
	s_and_saveexec_b32 s46, s25
.LBB345_775:
	v_lshrrev_b32_e32 v6, 8, v6
	s_delay_alu instid0(VALU_DEP_1)
	v_and_or_b32 v9, 0x80, v6, v7
.LBB345_776:
	s_or_b32 exec_lo, exec_lo, s46
.LBB345_777:
	s_delay_alu instid0(SALU_CYCLE_1)
	s_or_b32 exec_lo, exec_lo, s24
	s_mov_b32 s24, 0
	global_store_b8 v[0:1], v9, off
.LBB345_778:
	s_and_b32 vcc_lo, exec_lo, s24
	s_cbranch_vccz .LBB345_788
; %bb.779:
	v_lshlrev_b32_e32 v8, 16, v5
	v_and_b32_e32 v6, 0xffff, v5
	s_mov_b32 s24, exec_lo
                                        ; implicit-def: $vgpr7
	s_delay_alu instid0(VALU_DEP_2) | instskip(NEXT) | instid1(VALU_DEP_1)
	v_and_b32_e32 v9, 0x7fffffff, v8
	v_cmpx_gt_u32_e32 0x43f00000, v9
	s_xor_b32 s24, exec_lo, s24
	s_cbranch_execz .LBB345_785
; %bb.780:
	s_mov_b32 s25, exec_lo
                                        ; implicit-def: $vgpr7
	v_cmpx_lt_u32_e32 0x3c7fffff, v9
	s_xor_b32 s25, exec_lo, s25
; %bb.781:
	v_bfe_u32 v7, v6, 4, 1
	s_delay_alu instid0(VALU_DEP_1) | instskip(NEXT) | instid1(VALU_DEP_1)
	v_add3_u32 v7, v8, v7, 0x407ffff
	v_and_b32_e32 v8, 0xff00000, v7
	v_lshrrev_b32_e32 v7, 20, v7
	s_delay_alu instid0(VALU_DEP_2) | instskip(NEXT) | instid1(VALU_DEP_2)
	v_cmp_ne_u32_e32 vcc_lo, 0x7f00000, v8
                                        ; implicit-def: $vgpr8
	v_cndmask_b32_e32 v7, 0x7e, v7, vcc_lo
; %bb.782:
	s_and_not1_saveexec_b32 s25, s25
; %bb.783:
	v_add_f32_e64 v7, 0x46800000, |v8|
; %bb.784:
	s_or_b32 exec_lo, exec_lo, s25
                                        ; implicit-def: $vgpr9
.LBB345_785:
	s_and_not1_saveexec_b32 s24, s24
; %bb.786:
	v_mov_b32_e32 v7, 0x7f
	v_cmp_lt_u32_e32 vcc_lo, 0x7f800000, v9
	s_delay_alu instid0(VALU_DEP_2)
	v_cndmask_b32_e32 v7, 0x7e, v7, vcc_lo
; %bb.787:
	s_or_b32 exec_lo, exec_lo, s24
	v_lshrrev_b32_e32 v6, 8, v6
	s_delay_alu instid0(VALU_DEP_1)
	v_and_or_b32 v6, 0x80, v6, v7
	global_store_b8 v[0:1], v6, off
.LBB345_788:
	s_mov_b32 s24, 0
.LBB345_789:
	s_delay_alu instid0(SALU_CYCLE_1)
	s_and_not1_b32 vcc_lo, exec_lo, s24
	s_cbranch_vccnz .LBB345_799
; %bb.790:
	v_lshlrev_b32_e32 v8, 16, v5
	v_and_b32_e32 v6, 0xffff, v5
	s_mov_b32 s24, exec_lo
                                        ; implicit-def: $vgpr7
	s_delay_alu instid0(VALU_DEP_2) | instskip(NEXT) | instid1(VALU_DEP_1)
	v_and_b32_e32 v9, 0x7fffffff, v8
	v_cmpx_gt_u32_e32 0x47800000, v9
	s_xor_b32 s24, exec_lo, s24
	s_cbranch_execz .LBB345_796
; %bb.791:
	s_mov_b32 s25, exec_lo
                                        ; implicit-def: $vgpr7
	v_cmpx_lt_u32_e32 0x387fffff, v9
	s_xor_b32 s25, exec_lo, s25
; %bb.792:
	v_bfe_u32 v7, v6, 5, 1
	s_delay_alu instid0(VALU_DEP_1) | instskip(NEXT) | instid1(VALU_DEP_1)
	v_add3_u32 v7, v8, v7, 0x80fffff
                                        ; implicit-def: $vgpr8
	v_lshrrev_b32_e32 v7, 21, v7
; %bb.793:
	s_and_not1_saveexec_b32 s25, s25
; %bb.794:
	v_add_f32_e64 v7, 0x43000000, |v8|
; %bb.795:
	s_or_b32 exec_lo, exec_lo, s25
                                        ; implicit-def: $vgpr9
.LBB345_796:
	s_and_not1_saveexec_b32 s24, s24
; %bb.797:
	v_mov_b32_e32 v7, 0x7f
	v_cmp_lt_u32_e32 vcc_lo, 0x7f800000, v9
	s_delay_alu instid0(VALU_DEP_2)
	v_cndmask_b32_e32 v7, 0x7c, v7, vcc_lo
; %bb.798:
	s_or_b32 exec_lo, exec_lo, s24
	v_lshrrev_b32_e32 v6, 8, v6
	s_delay_alu instid0(VALU_DEP_1)
	v_and_or_b32 v6, 0x80, v6, v7
	global_store_b8 v[0:1], v6, off
.LBB345_799:
	s_mov_b32 s25, 0
	s_mov_b32 s24, -1
.LBB345_800:
	s_and_not1_b32 vcc_lo, exec_lo, s25
	s_cbranch_vccnz .LBB345_808
; %bb.801:
	v_cmp_lt_i16_e32 vcc_lo, 14, v2
	s_mov_b32 s25, -1
	s_cbranch_vccz .LBB345_805
; %bb.802:
	v_cmp_eq_u16_e32 vcc_lo, 15, v2
	s_mov_b32 s2, -1
	s_cbranch_vccz .LBB345_804
; %bb.803:
	s_mov_b32 s24, -1
	s_mov_b32 s2, 0
	global_store_b16 v[0:1], v5, off
.LBB345_804:
	s_mov_b32 s25, 0
.LBB345_805:
	s_delay_alu instid0(SALU_CYCLE_1)
	s_and_b32 vcc_lo, exec_lo, s25
	s_cbranch_vccz .LBB345_808
; %bb.806:
	v_cmp_eq_u16_e32 vcc_lo, 11, v2
	s_mov_b32 s2, -1
	s_cbranch_vccz .LBB345_808
; %bb.807:
	v_and_b32_e32 v6, 0x7fff, v5
	s_mov_b32 s2, 0
	s_mov_b32 s24, -1
	s_delay_alu instid0(VALU_DEP_1)
	v_cmp_ne_u16_e32 vcc_lo, 0, v6
	v_cndmask_b32_e64 v6, 0, 1, vcc_lo
	global_store_b8 v[0:1], v6, off
.LBB345_808:
.LBB345_809:
	s_and_not1_b32 vcc_lo, exec_lo, s24
	s_cbranch_vccnz .LBB345_734
.LBB345_810:
	v_add_nc_u32_e32 v4, 0x80, v4
	s_mov_b32 s46, -1
.LBB345_811:
	s_and_not1_b32 s24, s43, exec_lo
	s_and_b32 s2, s2, exec_lo
	s_and_not1_b32 s47, s42, exec_lo
	s_and_b32 s3, s3, exec_lo
	s_or_b32 s25, s24, s2
	s_or_b32 s24, s47, s3
	s_or_not1_b32 s47, s46, exec_lo
.LBB345_812:
	s_or_b32 exec_lo, exec_lo, s45
	s_mov_b32 s2, 0
	s_mov_b32 s3, 0
	;; [unrolled: 1-line block ×3, first 2 shown]
                                        ; implicit-def: $vgpr1_vgpr2
                                        ; implicit-def: $vgpr0
                                        ; implicit-def: $vgpr5
	s_and_saveexec_b32 s45, s47
	s_cbranch_execz .LBB345_910
; %bb.813:
	v_cmp_gt_i32_e32 vcc_lo, s36, v4
	s_mov_b32 s48, s24
	s_mov_b32 s47, 0
                                        ; implicit-def: $vgpr1_vgpr2
                                        ; implicit-def: $vgpr0
                                        ; implicit-def: $vgpr5
	s_and_saveexec_b32 s36, vcc_lo
	s_cbranch_execz .LBB345_909
; %bb.814:
	s_and_not1_b32 vcc_lo, exec_lo, s29
	s_cbranch_vccnz .LBB345_819
; %bb.815:
	v_dual_mov_b32 v0, 0 :: v_dual_mov_b32 v1, 0
	s_and_not1_b32 vcc_lo, exec_lo, s38
	s_mov_b32 s38, 0
	s_cbranch_vccnz .LBB345_824
; %bb.816:
	v_mov_b32_e32 v0, 0
	s_add_i32 s46, s37, 1
	s_cmp_eq_u32 s27, 2
	s_mov_b32 s37, 0
	s_cbranch_scc1 .LBB345_820
; %bb.817:
	v_dual_mov_b32 v1, 0 :: v_dual_mov_b32 v0, 0
	v_mov_b32_e32 v2, v4
	s_and_b32 s37, s46, 28
	s_mov_b64 s[2:3], s[16:17]
.LBB345_818:                            ; =>This Inner Loop Header: Depth=1
	s_clause 0x1
	s_load_b256 s[48:55], s[2:3], 0x4
	s_load_b128 s[64:67], s[2:3], 0x24
	s_load_b256 s[56:63], s[22:23], 0x0
	s_add_u32 s2, s2, 48
	s_addc_u32 s3, s3, 0
	s_add_i32 s47, s47, 4
	s_add_u32 s22, s22, 32
	s_addc_u32 s23, s23, 0
	s_cmp_eq_u32 s37, s47
	s_waitcnt vmcnt(0) lgkmcnt(0)
	v_mul_hi_u32 v5, s49, v2
	s_delay_alu instid0(VALU_DEP_1) | instskip(NEXT) | instid1(VALU_DEP_1)
	v_add_nc_u32_e32 v5, v2, v5
	v_lshrrev_b32_e32 v5, s50, v5
	s_delay_alu instid0(VALU_DEP_1) | instskip(SKIP_1) | instid1(VALU_DEP_2)
	v_mul_hi_u32 v6, s52, v5
	v_mul_lo_u32 v8, v5, s48
	v_add_nc_u32_e32 v6, v5, v6
	s_delay_alu instid0(VALU_DEP_2) | instskip(NEXT) | instid1(VALU_DEP_2)
	v_sub_nc_u32_e32 v2, v2, v8
	v_lshrrev_b32_e32 v6, s53, v6
	s_delay_alu instid0(VALU_DEP_2) | instskip(SKIP_1) | instid1(VALU_DEP_3)
	v_mul_lo_u32 v8, v2, s56
	v_mul_lo_u32 v10, v2, s57
	v_mul_hi_u32 v7, s55, v6
	s_delay_alu instid0(VALU_DEP_1) | instskip(NEXT) | instid1(VALU_DEP_1)
	v_add_nc_u32_e32 v7, v6, v7
	v_lshrrev_b32_e32 v7, s64, v7
	s_delay_alu instid0(VALU_DEP_1) | instskip(SKIP_1) | instid1(VALU_DEP_2)
	v_mul_hi_u32 v9, s66, v7
	v_mul_lo_u32 v11, v7, s54
	v_add_nc_u32_e32 v2, v7, v9
	v_mul_lo_u32 v9, v6, s51
	s_delay_alu instid0(VALU_DEP_3) | instskip(NEXT) | instid1(VALU_DEP_3)
	v_sub_nc_u32_e32 v6, v6, v11
	v_lshrrev_b32_e32 v2, s67, v2
	s_delay_alu instid0(VALU_DEP_2) | instskip(SKIP_2) | instid1(VALU_DEP_4)
	v_mul_lo_u32 v11, v6, s60
	v_mul_lo_u32 v6, v6, s61
	v_sub_nc_u32_e32 v5, v5, v9
	v_mul_lo_u32 v12, v2, s65
	s_delay_alu instid0(VALU_DEP_2) | instskip(SKIP_1) | instid1(VALU_DEP_3)
	v_mul_lo_u32 v9, v5, s58
	v_mul_lo_u32 v5, v5, s59
	v_sub_nc_u32_e32 v7, v7, v12
	s_delay_alu instid0(VALU_DEP_3) | instskip(NEXT) | instid1(VALU_DEP_2)
	v_add3_u32 v0, v8, v0, v9
	v_mul_lo_u32 v12, v7, s62
	v_mul_lo_u32 v7, v7, s63
	v_add3_u32 v1, v10, v1, v5
	s_delay_alu instid0(VALU_DEP_3) | instskip(NEXT) | instid1(VALU_DEP_2)
	v_add3_u32 v0, v11, v0, v12
	v_add3_u32 v1, v6, v1, v7
	s_cbranch_scc0 .LBB345_818
	s_branch .LBB345_821
.LBB345_819:
	s_mov_b32 s38, -1
                                        ; implicit-def: $vgpr0
                                        ; implicit-def: $vgpr1
	s_branch .LBB345_824
.LBB345_820:
	v_dual_mov_b32 v2, v4 :: v_dual_mov_b32 v1, 0
.LBB345_821:
	s_and_b32 s46, s46, 3
	s_delay_alu instid0(SALU_CYCLE_1)
	s_cmp_eq_u32 s46, 0
	s_cbranch_scc1 .LBB345_824
; %bb.822:
	s_lshl_b32 s2, s37, 3
	s_mul_i32 s22, s37, 12
	s_add_u32 s2, s2, s16
	s_addc_u32 s3, s17, 0
	s_add_u32 s2, s2, 0xc4
	s_addc_u32 s3, s3, 0
	;; [unrolled: 2-line block ×3, first 2 shown]
.LBB345_823:                            ; =>This Inner Loop Header: Depth=1
	s_clause 0x1
	s_load_b64 s[48:49], s[22:23], 0x4
	s_load_b32 s37, s[22:23], 0xc
	s_load_b64 s[50:51], s[2:3], 0x0
	s_add_u32 s22, s22, 12
	s_addc_u32 s23, s23, 0
	s_add_u32 s2, s2, 8
	s_addc_u32 s3, s3, 0
	s_add_i32 s46, s46, -1
	s_delay_alu instid0(SALU_CYCLE_1) | instskip(SKIP_2) | instid1(VALU_DEP_1)
	s_cmp_lg_u32 s46, 0
	s_waitcnt vmcnt(0) lgkmcnt(0)
	v_mul_hi_u32 v5, s49, v2
	v_add_nc_u32_e32 v5, v2, v5
	s_delay_alu instid0(VALU_DEP_1) | instskip(NEXT) | instid1(VALU_DEP_1)
	v_lshrrev_b32_e32 v8, s37, v5
	v_mul_lo_u32 v5, v8, s48
	s_delay_alu instid0(VALU_DEP_1) | instskip(NEXT) | instid1(VALU_DEP_1)
	v_sub_nc_u32_e32 v2, v2, v5
	v_mad_u64_u32 v[5:6], null, v2, s50, v[0:1]
	v_mad_u64_u32 v[6:7], null, v2, s51, v[1:2]
	v_mov_b32_e32 v2, v8
	s_delay_alu instid0(VALU_DEP_2)
	v_dual_mov_b32 v0, v5 :: v_dual_mov_b32 v1, v6
	s_cbranch_scc1 .LBB345_823
.LBB345_824:
	s_and_not1_b32 vcc_lo, exec_lo, s38
	s_cbranch_vccnz .LBB345_827
; %bb.825:
	v_mul_hi_u32 v0, s13, v4
	s_and_not1_b32 vcc_lo, exec_lo, s35
	s_delay_alu instid0(VALU_DEP_1) | instskip(NEXT) | instid1(VALU_DEP_1)
	v_add_nc_u32_e32 v0, v4, v0
	v_lshrrev_b32_e32 v2, s14, v0
	s_delay_alu instid0(VALU_DEP_1) | instskip(NEXT) | instid1(VALU_DEP_1)
	v_mul_lo_u32 v0, v2, s12
	v_sub_nc_u32_e32 v1, v4, v0
	s_delay_alu instid0(VALU_DEP_1)
	v_mul_lo_u32 v0, v1, s8
	v_mul_lo_u32 v1, v1, s9
	s_cbranch_vccnz .LBB345_827
; %bb.826:
	v_mul_hi_u32 v4, s20, v2
	s_delay_alu instid0(VALU_DEP_1) | instskip(NEXT) | instid1(VALU_DEP_1)
	v_add_nc_u32_e32 v4, v2, v4
	v_lshrrev_b32_e32 v4, s21, v4
	s_delay_alu instid0(VALU_DEP_1) | instskip(NEXT) | instid1(VALU_DEP_1)
	v_mul_lo_u32 v4, v4, s15
	v_sub_nc_u32_e32 v2, v2, v4
	s_waitcnt vmcnt(0)
	s_delay_alu instid0(VALU_DEP_1) | instskip(SKIP_1) | instid1(VALU_DEP_1)
	v_mad_u64_u32 v[4:5], null, v2, s10, v[0:1]
	v_mad_u64_u32 v[5:6], null, v2, s11, v[1:2]
	v_dual_mov_b32 v0, v4 :: v_dual_mov_b32 v1, v5
.LBB345_827:
	v_cmp_gt_i16_e32 vcc_lo, 11, v3
	s_delay_alu instid0(VALU_DEP_2) | instskip(NEXT) | instid1(VALU_DEP_1)
	v_add_co_u32 v1, s2, s6, v1
	v_add_co_ci_u32_e64 v2, null, s7, 0, s2
	s_mov_b32 s6, 0
	s_cbranch_vccnz .LBB345_834
; %bb.828:
	v_cmp_lt_i16_e32 vcc_lo, 25, v3
	s_mov_b32 s3, 0
	s_cbranch_vccz .LBB345_835
; %bb.829:
	v_cmp_lt_i16_e32 vcc_lo, 28, v3
	s_cbranch_vccz .LBB345_836
; %bb.830:
	v_cmp_lt_i16_e32 vcc_lo, 43, v3
	;; [unrolled: 3-line block ×3, first 2 shown]
	s_cbranch_vccz .LBB345_840
; %bb.832:
	v_cmp_eq_u16_e32 vcc_lo, 46, v3
	s_mov_b32 s7, 0
	s_cbranch_vccz .LBB345_843
; %bb.833:
	global_load_b32 v5, v[1:2], off
	s_mov_b32 s2, 0
	s_mov_b32 s6, -1
	s_branch .LBB345_845
.LBB345_834:
	s_mov_b32 s7, -1
	s_mov_b32 s3, 0
	s_mov_b32 s2, s24
                                        ; implicit-def: $vgpr5
	s_branch .LBB345_908
.LBB345_835:
	s_mov_b32 s7, -1
	s_mov_b32 s2, s24
                                        ; implicit-def: $vgpr5
	s_branch .LBB345_874
.LBB345_836:
	s_mov_b32 s7, -1
	s_mov_b32 s2, s24
                                        ; implicit-def: $vgpr5
	s_branch .LBB345_855
.LBB345_837:
	s_mov_b32 s7, -1
	s_mov_b32 s2, s24
                                        ; implicit-def: $vgpr5
	s_branch .LBB345_850
.LBB345_838:
	s_or_saveexec_b32 s46, s46
                                        ; implicit-def: $sgpr47
	s_delay_alu instid0(SALU_CYCLE_1)
	s_xor_b32 exec_lo, exec_lo, s46
	s_cbranch_execz .LBB345_761
.LBB345_839:
	v_add_f32_e64 v7, 0x46000000, |v8|
	s_and_not1_b32 s25, s25, exec_lo
	s_mov_b32 s47, 0
	s_delay_alu instid0(VALU_DEP_1) | instskip(NEXT) | instid1(VALU_DEP_1)
	v_and_b32_e32 v7, 0xff, v7
	v_cmp_ne_u32_e32 vcc_lo, 0, v7
	s_and_b32 s48, vcc_lo, exec_lo
	s_delay_alu instid0(SALU_CYCLE_1)
	s_or_b32 s25, s25, s48
	s_or_b32 exec_lo, exec_lo, s46
	v_mov_b32_e32 v9, s47
	s_and_saveexec_b32 s46, s25
	s_cbranch_execnz .LBB345_762
	s_branch .LBB345_763
.LBB345_840:
	s_mov_b32 s7, -1
	s_mov_b32 s2, s24
	s_branch .LBB345_844
.LBB345_841:
	s_or_saveexec_b32 s46, s46
                                        ; implicit-def: $sgpr47
	s_delay_alu instid0(SALU_CYCLE_1)
	s_xor_b32 exec_lo, exec_lo, s46
	s_cbranch_execz .LBB345_774
.LBB345_842:
	v_add_f32_e64 v7, 0x42800000, |v8|
	s_and_not1_b32 s25, s25, exec_lo
	s_mov_b32 s47, 0
	s_delay_alu instid0(VALU_DEP_1) | instskip(NEXT) | instid1(VALU_DEP_1)
	v_and_b32_e32 v7, 0xff, v7
	v_cmp_ne_u32_e32 vcc_lo, 0, v7
	s_and_b32 s48, vcc_lo, exec_lo
	s_delay_alu instid0(SALU_CYCLE_1)
	s_or_b32 s25, s25, s48
	s_or_b32 exec_lo, exec_lo, s46
	v_mov_b32_e32 v9, s47
	s_and_saveexec_b32 s46, s25
	s_cbranch_execnz .LBB345_775
	s_branch .LBB345_776
.LBB345_843:
	s_mov_b32 s2, -1
.LBB345_844:
                                        ; implicit-def: $vgpr5
.LBB345_845:
	s_and_b32 vcc_lo, exec_lo, s7
	s_cbranch_vccz .LBB345_849
; %bb.846:
	v_cmp_eq_u16_e32 vcc_lo, 44, v3
	s_cbranch_vccz .LBB345_848
; %bb.847:
	global_load_u8 v4, v[1:2], off
	s_mov_b32 s2, 0
	s_mov_b32 s6, -1
	s_waitcnt vmcnt(0)
	v_lshlrev_b32_e32 v5, 23, v4
	v_cmp_ne_u32_e32 vcc_lo, 0xff, v4
	s_delay_alu instid0(VALU_DEP_2) | instskip(SKIP_1) | instid1(VALU_DEP_2)
	v_cndmask_b32_e32 v5, 0x7f800001, v5, vcc_lo
	v_cmp_ne_u32_e32 vcc_lo, 0, v4
	v_cndmask_b32_e32 v4, 0x400000, v5, vcc_lo
	s_delay_alu instid0(VALU_DEP_1) | instskip(SKIP_1) | instid1(VALU_DEP_2)
	v_add_nc_u32_e32 v5, 0x7fff, v4
	v_cmp_o_f32_e32 vcc_lo, v4, v4
	v_lshrrev_b32_e32 v5, 16, v5
	s_delay_alu instid0(VALU_DEP_1)
	v_cndmask_b32_e32 v5, 0x7fc0, v5, vcc_lo
	s_branch .LBB345_849
.LBB345_848:
	s_mov_b32 s2, -1
                                        ; implicit-def: $vgpr5
.LBB345_849:
	s_mov_b32 s7, 0
.LBB345_850:
	s_delay_alu instid0(SALU_CYCLE_1)
	s_and_b32 vcc_lo, exec_lo, s7
	s_cbranch_vccz .LBB345_854
; %bb.851:
	v_cmp_eq_u16_e32 vcc_lo, 29, v3
	s_cbranch_vccz .LBB345_853
; %bb.852:
	global_load_b64 v[4:5], v[1:2], off
	s_mov_b32 s2, 0
	s_mov_b32 s6, -1
	s_mov_b32 s7, 0
	s_waitcnt vmcnt(0)
	v_clz_i32_u32_e32 v6, v5
	s_delay_alu instid0(VALU_DEP_1) | instskip(NEXT) | instid1(VALU_DEP_1)
	v_min_u32_e32 v6, 32, v6
	v_lshlrev_b64 v[4:5], v6, v[4:5]
	s_delay_alu instid0(VALU_DEP_1) | instskip(NEXT) | instid1(VALU_DEP_1)
	v_min_u32_e32 v4, 1, v4
	v_or_b32_e32 v4, v5, v4
	v_sub_nc_u32_e32 v5, 32, v6
	s_delay_alu instid0(VALU_DEP_2) | instskip(NEXT) | instid1(VALU_DEP_1)
	v_cvt_f32_u32_e32 v4, v4
	v_ldexp_f32 v4, v4, v5
	s_delay_alu instid0(VALU_DEP_1) | instskip(NEXT) | instid1(VALU_DEP_1)
	v_bfe_u32 v5, v4, 16, 1
	v_add3_u32 v4, v4, v5, 0x7fff
	s_delay_alu instid0(VALU_DEP_1)
	v_lshrrev_b32_e32 v5, 16, v4
	s_branch .LBB345_855
.LBB345_853:
	s_mov_b32 s2, -1
                                        ; implicit-def: $vgpr5
.LBB345_854:
	s_mov_b32 s7, 0
.LBB345_855:
	s_delay_alu instid0(SALU_CYCLE_1)
	s_and_b32 vcc_lo, exec_lo, s7
	s_cbranch_vccz .LBB345_873
; %bb.856:
	v_cmp_gt_i16_e32 vcc_lo, 27, v3
	s_cbranch_vccnz .LBB345_859
; %bb.857:
	v_cmp_lt_i16_e32 vcc_lo, 27, v3
	s_cbranch_vccz .LBB345_860
; %bb.858:
	global_load_b32 v4, v[1:2], off
	s_mov_b32 s6, 0
	s_waitcnt vmcnt(0)
	v_cvt_f32_u32_e32 v4, v4
	s_delay_alu instid0(VALU_DEP_1) | instskip(NEXT) | instid1(VALU_DEP_1)
	v_bfe_u32 v5, v4, 16, 1
	v_add3_u32 v4, v4, v5, 0x7fff
	s_delay_alu instid0(VALU_DEP_1)
	v_lshrrev_b32_e32 v5, 16, v4
	s_branch .LBB345_861
.LBB345_859:
	s_mov_b32 s6, -1
                                        ; implicit-def: $vgpr5
	s_branch .LBB345_864
.LBB345_860:
	s_mov_b32 s6, -1
                                        ; implicit-def: $vgpr5
.LBB345_861:
	s_delay_alu instid0(SALU_CYCLE_1)
	s_and_not1_b32 vcc_lo, exec_lo, s6
	s_cbranch_vccnz .LBB345_863
; %bb.862:
	global_load_u16 v4, v[1:2], off
	s_waitcnt vmcnt(0)
	v_cvt_f32_u32_e32 v4, v4
	s_delay_alu instid0(VALU_DEP_1) | instskip(NEXT) | instid1(VALU_DEP_1)
	v_bfe_u32 v5, v4, 16, 1
	v_add3_u32 v4, v4, v5, 0x7fff
	s_delay_alu instid0(VALU_DEP_1)
	v_lshrrev_b32_e32 v5, 16, v4
.LBB345_863:
	s_mov_b32 s6, 0
.LBB345_864:
	s_delay_alu instid0(SALU_CYCLE_1)
	s_and_not1_b32 vcc_lo, exec_lo, s6
	s_cbranch_vccnz .LBB345_872
; %bb.865:
	global_load_u8 v4, v[1:2], off
	s_mov_b32 s6, 0
	s_mov_b32 s8, exec_lo
                                        ; implicit-def: $sgpr7
	s_waitcnt vmcnt(0)
	v_cmpx_lt_i16_e32 0x7f, v4
	s_xor_b32 s8, exec_lo, s8
	s_cbranch_execz .LBB345_886
; %bb.866:
	s_mov_b32 s6, -1
	s_mov_b32 s9, exec_lo
                                        ; implicit-def: $sgpr7
	v_cmpx_eq_u16_e32 0x80, v4
; %bb.867:
	s_mov_b32 s7, 0x7f800001
	s_xor_b32 s6, exec_lo, -1
; %bb.868:
	s_or_b32 exec_lo, exec_lo, s9
	s_delay_alu instid0(SALU_CYCLE_1)
	s_and_b32 s6, s6, exec_lo
	s_or_saveexec_b32 s8, s8
	v_mov_b32_e32 v5, s7
	s_xor_b32 exec_lo, exec_lo, s8
	s_cbranch_execnz .LBB345_887
.LBB345_869:
	s_or_b32 exec_lo, exec_lo, s8
	s_and_saveexec_b32 s7, s6
	s_cbranch_execz .LBB345_871
.LBB345_870:
	v_and_b32_e32 v5, 0xffff, v4
	v_lshlrev_b32_e32 v4, 24, v4
	s_delay_alu instid0(VALU_DEP_2) | instskip(NEXT) | instid1(VALU_DEP_2)
	v_and_b32_e32 v6, 7, v5
	v_and_b32_e32 v4, 0x80000000, v4
	s_delay_alu instid0(VALU_DEP_2) | instskip(NEXT) | instid1(VALU_DEP_1)
	v_clz_i32_u32_e32 v7, v6
	v_min_u32_e32 v7, 32, v7
	s_delay_alu instid0(VALU_DEP_1) | instskip(SKIP_1) | instid1(VALU_DEP_2)
	v_subrev_nc_u32_e32 v8, 28, v7
	v_sub_nc_u32_e32 v7, 29, v7
	v_lshlrev_b32_e32 v8, v8, v5
	v_bfe_u32 v5, v5, 3, 4
	s_delay_alu instid0(VALU_DEP_2) | instskip(NEXT) | instid1(VALU_DEP_2)
	v_and_b32_e32 v8, 7, v8
	v_cmp_eq_u32_e32 vcc_lo, 0, v5
	s_delay_alu instid0(VALU_DEP_2) | instskip(NEXT) | instid1(VALU_DEP_1)
	v_dual_cndmask_b32 v5, v5, v7 :: v_dual_cndmask_b32 v6, v6, v8
	v_lshl_add_u32 v5, v5, 23, 0x3b800000
	s_delay_alu instid0(VALU_DEP_2) | instskip(NEXT) | instid1(VALU_DEP_1)
	v_lshlrev_b32_e32 v6, 20, v6
	v_or3_b32 v5, v4, v5, v6
.LBB345_871:
	s_or_b32 exec_lo, exec_lo, s7
	s_delay_alu instid0(VALU_DEP_1) | instskip(SKIP_1) | instid1(VALU_DEP_2)
	v_bfe_u32 v4, v5, 16, 1
	v_cmp_o_f32_e32 vcc_lo, v5, v5
	v_add3_u32 v4, v5, v4, 0x7fff
	s_delay_alu instid0(VALU_DEP_1) | instskip(NEXT) | instid1(VALU_DEP_1)
	v_lshrrev_b32_e32 v4, 16, v4
	v_cndmask_b32_e32 v5, 0x7fc0, v4, vcc_lo
.LBB345_872:
	s_mov_b32 s6, -1
.LBB345_873:
	s_mov_b32 s7, 0
.LBB345_874:
	s_delay_alu instid0(SALU_CYCLE_1)
	s_and_b32 vcc_lo, exec_lo, s7
	s_cbranch_vccz .LBB345_907
; %bb.875:
	v_cmp_lt_i16_e32 vcc_lo, 22, v3
	s_cbranch_vccz .LBB345_885
; %bb.876:
	v_cmp_gt_i16_e32 vcc_lo, 24, v3
	s_cbranch_vccnz .LBB345_888
; %bb.877:
	v_cmp_lt_i16_e32 vcc_lo, 24, v3
	s_cbranch_vccz .LBB345_889
; %bb.878:
	global_load_u8 v4, v[1:2], off
	s_mov_b32 s7, exec_lo
                                        ; implicit-def: $sgpr6
	s_waitcnt vmcnt(0)
	v_cmpx_lt_i16_e32 0x7f, v4
	s_xor_b32 s7, exec_lo, s7
	s_cbranch_execz .LBB345_901
; %bb.879:
	s_mov_b32 s3, -1
	s_mov_b32 s8, exec_lo
                                        ; implicit-def: $sgpr6
	v_cmpx_eq_u16_e32 0x80, v4
; %bb.880:
	s_mov_b32 s6, 0x7f800001
	s_xor_b32 s3, exec_lo, -1
; %bb.881:
	s_or_b32 exec_lo, exec_lo, s8
	s_delay_alu instid0(SALU_CYCLE_1)
	s_and_b32 s3, s3, exec_lo
	s_or_saveexec_b32 s7, s7
	v_mov_b32_e32 v5, s6
	s_xor_b32 exec_lo, exec_lo, s7
	s_cbranch_execnz .LBB345_902
.LBB345_882:
	s_or_b32 exec_lo, exec_lo, s7
	s_and_saveexec_b32 s6, s3
	s_cbranch_execz .LBB345_884
.LBB345_883:
	v_and_b32_e32 v5, 0xffff, v4
	v_lshlrev_b32_e32 v4, 24, v4
	s_delay_alu instid0(VALU_DEP_2) | instskip(NEXT) | instid1(VALU_DEP_2)
	v_and_b32_e32 v6, 3, v5
	v_and_b32_e32 v4, 0x80000000, v4
	s_delay_alu instid0(VALU_DEP_2) | instskip(NEXT) | instid1(VALU_DEP_1)
	v_clz_i32_u32_e32 v7, v6
	v_min_u32_e32 v7, 32, v7
	s_delay_alu instid0(VALU_DEP_1) | instskip(SKIP_1) | instid1(VALU_DEP_2)
	v_subrev_nc_u32_e32 v8, 29, v7
	v_sub_nc_u32_e32 v7, 30, v7
	v_lshlrev_b32_e32 v8, v8, v5
	v_bfe_u32 v5, v5, 2, 5
	s_delay_alu instid0(VALU_DEP_2) | instskip(NEXT) | instid1(VALU_DEP_2)
	v_and_b32_e32 v8, 3, v8
	v_cmp_eq_u32_e32 vcc_lo, 0, v5
	s_delay_alu instid0(VALU_DEP_2) | instskip(NEXT) | instid1(VALU_DEP_1)
	v_dual_cndmask_b32 v5, v5, v7 :: v_dual_cndmask_b32 v6, v6, v8
	v_lshl_add_u32 v5, v5, 23, 0x37800000
	s_delay_alu instid0(VALU_DEP_2) | instskip(NEXT) | instid1(VALU_DEP_1)
	v_lshlrev_b32_e32 v6, 21, v6
	v_or3_b32 v5, v4, v5, v6
.LBB345_884:
	s_or_b32 exec_lo, exec_lo, s6
	s_delay_alu instid0(VALU_DEP_1) | instskip(SKIP_2) | instid1(VALU_DEP_2)
	v_bfe_u32 v4, v5, 16, 1
	v_cmp_o_f32_e32 vcc_lo, v5, v5
	s_mov_b32 s3, 0
	v_add3_u32 v4, v5, v4, 0x7fff
	s_delay_alu instid0(VALU_DEP_1) | instskip(NEXT) | instid1(VALU_DEP_1)
	v_lshrrev_b32_e32 v4, 16, v4
	v_cndmask_b32_e32 v5, 0x7fc0, v4, vcc_lo
	s_branch .LBB345_890
.LBB345_885:
	s_mov_b32 s3, -1
                                        ; implicit-def: $vgpr5
	s_branch .LBB345_896
.LBB345_886:
	s_or_saveexec_b32 s8, s8
	v_mov_b32_e32 v5, s7
	s_xor_b32 exec_lo, exec_lo, s8
	s_cbranch_execz .LBB345_869
.LBB345_887:
	v_cmp_ne_u16_e32 vcc_lo, 0, v4
	v_mov_b32_e32 v5, 0
	s_and_not1_b32 s6, s6, exec_lo
	s_and_b32 s7, vcc_lo, exec_lo
	s_delay_alu instid0(SALU_CYCLE_1)
	s_or_b32 s6, s6, s7
	s_or_b32 exec_lo, exec_lo, s8
	s_and_saveexec_b32 s7, s6
	s_cbranch_execnz .LBB345_870
	s_branch .LBB345_871
.LBB345_888:
	s_mov_b32 s3, -1
                                        ; implicit-def: $vgpr5
	s_branch .LBB345_893
.LBB345_889:
	s_mov_b32 s3, -1
                                        ; implicit-def: $vgpr5
.LBB345_890:
	s_delay_alu instid0(SALU_CYCLE_1)
	s_and_b32 vcc_lo, exec_lo, s3
	s_cbranch_vccz .LBB345_892
; %bb.891:
	global_load_u8 v4, v[1:2], off
	s_waitcnt vmcnt(0)
	v_lshlrev_b32_e32 v4, 24, v4
	s_delay_alu instid0(VALU_DEP_1) | instskip(NEXT) | instid1(VALU_DEP_1)
	v_and_b32_e32 v5, 0x7f000000, v4
	v_clz_i32_u32_e32 v6, v5
	v_add_nc_u32_e32 v8, 0x1000000, v5
	v_cmp_ne_u32_e32 vcc_lo, 0, v5
	s_delay_alu instid0(VALU_DEP_3) | instskip(NEXT) | instid1(VALU_DEP_1)
	v_min_u32_e32 v6, 32, v6
	v_sub_nc_u32_e64 v6, v6, 4 clamp
	s_delay_alu instid0(VALU_DEP_1) | instskip(SKIP_1) | instid1(VALU_DEP_2)
	v_lshlrev_b32_e32 v7, v6, v5
	v_lshlrev_b32_e32 v6, 23, v6
	v_lshrrev_b32_e32 v7, 4, v7
	s_delay_alu instid0(VALU_DEP_1) | instskip(SKIP_1) | instid1(VALU_DEP_2)
	v_sub_nc_u32_e32 v6, v7, v6
	v_ashrrev_i32_e32 v7, 8, v8
	v_add_nc_u32_e32 v6, 0x3c000000, v6
	s_delay_alu instid0(VALU_DEP_1) | instskip(NEXT) | instid1(VALU_DEP_1)
	v_and_or_b32 v6, 0x7f800000, v7, v6
	v_cndmask_b32_e32 v5, 0, v6, vcc_lo
	s_delay_alu instid0(VALU_DEP_1) | instskip(SKIP_1) | instid1(VALU_DEP_2)
	v_and_or_b32 v4, 0x80000000, v4, v5
	v_bfe_u32 v5, v5, 16, 1
	v_cmp_o_f32_e32 vcc_lo, v4, v4
	s_delay_alu instid0(VALU_DEP_2) | instskip(NEXT) | instid1(VALU_DEP_1)
	v_add3_u32 v5, v4, v5, 0x7fff
	v_lshrrev_b32_e32 v5, 16, v5
	s_delay_alu instid0(VALU_DEP_1)
	v_cndmask_b32_e32 v5, 0x7fc0, v5, vcc_lo
.LBB345_892:
	s_mov_b32 s3, 0
.LBB345_893:
	s_delay_alu instid0(SALU_CYCLE_1)
	s_and_not1_b32 vcc_lo, exec_lo, s3
	s_cbranch_vccnz .LBB345_895
; %bb.894:
	global_load_u8 v4, v[1:2], off
	s_waitcnt vmcnt(0)
	v_lshlrev_b32_e32 v5, 25, v4
	v_lshlrev_b16 v4, 8, v4
	s_delay_alu instid0(VALU_DEP_2) | instskip(NEXT) | instid1(VALU_DEP_2)
	v_lshrrev_b32_e32 v6, 4, v5
	v_and_or_b32 v7, 0x7f00, v4, 0.5
	v_bfe_i32 v4, v4, 0, 16
	s_delay_alu instid0(VALU_DEP_3) | instskip(NEXT) | instid1(VALU_DEP_1)
	v_or_b32_e32 v6, 0x70000000, v6
	v_dual_add_f32 v7, -0.5, v7 :: v_dual_mul_f32 v6, 0x7800000, v6
	v_cmp_gt_u32_e32 vcc_lo, 0x8000000, v5
	s_delay_alu instid0(VALU_DEP_2) | instskip(NEXT) | instid1(VALU_DEP_1)
	v_cndmask_b32_e32 v5, v6, v7, vcc_lo
	v_and_or_b32 v4, 0x80000000, v4, v5
	v_bfe_u32 v5, v5, 16, 1
	s_delay_alu instid0(VALU_DEP_2) | instskip(NEXT) | instid1(VALU_DEP_2)
	v_cmp_o_f32_e32 vcc_lo, v4, v4
	v_add3_u32 v5, v4, v5, 0x7fff
	s_delay_alu instid0(VALU_DEP_1) | instskip(NEXT) | instid1(VALU_DEP_1)
	v_lshrrev_b32_e32 v5, 16, v5
	v_cndmask_b32_e32 v5, 0x7fc0, v5, vcc_lo
.LBB345_895:
	s_mov_b32 s3, 0
	s_mov_b32 s6, -1
.LBB345_896:
	s_and_not1_b32 vcc_lo, exec_lo, s3
	s_mov_b32 s3, 0
	s_cbranch_vccnz .LBB345_907
; %bb.897:
	v_cmp_lt_i16_e32 vcc_lo, 14, v3
	s_cbranch_vccz .LBB345_900
; %bb.898:
	v_cmp_eq_u16_e32 vcc_lo, 15, v3
	s_cbranch_vccz .LBB345_903
; %bb.899:
	global_load_u16 v5, v[1:2], off
	s_mov_b32 s2, 0
	s_mov_b32 s6, -1
	s_branch .LBB345_905
.LBB345_900:
	s_mov_b32 s3, -1
	s_branch .LBB345_904
.LBB345_901:
	s_or_saveexec_b32 s7, s7
	v_mov_b32_e32 v5, s6
	s_xor_b32 exec_lo, exec_lo, s7
	s_cbranch_execz .LBB345_882
.LBB345_902:
	v_cmp_ne_u16_e32 vcc_lo, 0, v4
	v_mov_b32_e32 v5, 0
	s_and_not1_b32 s3, s3, exec_lo
	s_and_b32 s6, vcc_lo, exec_lo
	s_delay_alu instid0(SALU_CYCLE_1)
	s_or_b32 s3, s3, s6
	s_or_b32 exec_lo, exec_lo, s7
	s_and_saveexec_b32 s6, s3
	s_cbranch_execnz .LBB345_883
	s_branch .LBB345_884
.LBB345_903:
	s_mov_b32 s2, -1
.LBB345_904:
                                        ; implicit-def: $vgpr5
.LBB345_905:
	s_and_b32 vcc_lo, exec_lo, s3
	s_mov_b32 s3, 0
	s_cbranch_vccz .LBB345_907
; %bb.906:
	v_cmp_ne_u16_e32 vcc_lo, 11, v3
	s_and_not1_b32 s2, s2, exec_lo
	s_mov_b32 s3, -1
                                        ; implicit-def: $vgpr5
	s_and_b32 s7, vcc_lo, exec_lo
	s_delay_alu instid0(SALU_CYCLE_1)
	s_or_b32 s2, s2, s7
.LBB345_907:
	s_mov_b32 s7, 0
.LBB345_908:
	s_and_b32 s46, s6, exec_lo
	s_and_b32 s47, s7, exec_lo
	s_and_not1_b32 s6, s24, exec_lo
	s_and_b32 s7, s2, exec_lo
	s_and_b32 s2, s3, exec_lo
	s_or_b32 s48, s6, s7
.LBB345_909:
	s_or_b32 exec_lo, exec_lo, s36
	s_delay_alu instid0(SALU_CYCLE_1)
	s_and_not1_b32 s6, s24, exec_lo
	s_and_b32 s7, s48, exec_lo
	s_and_b32 s46, s46, exec_lo
	;; [unrolled: 1-line block ×4, first 2 shown]
	s_or_b32 s24, s6, s7
.LBB345_910:
	s_or_b32 exec_lo, exec_lo, s45
	s_delay_alu instid0(SALU_CYCLE_1)
	s_and_not1_b32 s6, s43, exec_lo
	s_and_b32 s7, s25, exec_lo
	s_and_b32 s45, s46, exec_lo
	s_or_b32 s43, s6, s7
	s_and_not1_b32 s6, s42, exec_lo
	s_and_b32 s7, s24, exec_lo
	s_and_b32 s25, s3, exec_lo
	;; [unrolled: 1-line block ×3, first 2 shown]
	s_or_b32 s42, s6, s7
.LBB345_911:
	s_or_b32 exec_lo, exec_lo, s44
	s_delay_alu instid0(SALU_CYCLE_1)
	s_and_not1_b32 s2, s39, exec_lo
	s_and_b32 s6, s43, exec_lo
	s_and_b32 s7, s42, exec_lo
	s_or_b32 s39, s2, s6
	s_and_not1_b32 s6, s40, exec_lo
	s_and_b32 s2, s45, exec_lo
	s_and_b32 s24, s25, exec_lo
	;; [unrolled: 1-line block ×3, first 2 shown]
	s_or_b32 s40, s6, s7
.LBB345_912:
	s_or_b32 exec_lo, exec_lo, s41
	s_mov_b32 s3, 0
	s_and_saveexec_b32 s6, s40
	s_cbranch_execnz .LBB345_924
; %bb.913:
	s_or_b32 exec_lo, exec_lo, s6
	s_and_saveexec_b32 s6, s42
	s_delay_alu instid0(SALU_CYCLE_1)
	s_xor_b32 s6, exec_lo, s6
	s_cbranch_execz .LBB345_915
.LBB345_914:
	global_load_u8 v4, v[1:2], off
	s_or_b32 s2, s2, exec_lo
	s_waitcnt vmcnt(0)
	v_cmp_ne_u16_e32 vcc_lo, 0, v4
	v_cndmask_b32_e64 v4, 0, 1.0, vcc_lo
	s_delay_alu instid0(VALU_DEP_1)
	v_lshrrev_b32_e32 v5, 16, v4
.LBB345_915:
	s_or_b32 exec_lo, exec_lo, s6
	s_and_saveexec_b32 s6, s24
	s_cbranch_execz .LBB345_963
; %bb.916:
	v_cmp_gt_i16_e32 vcc_lo, 5, v3
	s_cbranch_vccnz .LBB345_921
; %bb.917:
	v_cmp_gt_i16_e32 vcc_lo, 8, v3
	s_cbranch_vccnz .LBB345_922
	;; [unrolled: 3-line block ×3, first 2 shown]
; %bb.919:
	v_cmp_lt_i16_e32 vcc_lo, 9, v3
	s_cbranch_vccz .LBB345_926
; %bb.920:
	global_load_b64 v[4:5], v[1:2], off
	s_mov_b32 s7, 0
	s_waitcnt vmcnt(0)
	v_cvt_f32_f64_e32 v4, v[4:5]
	s_delay_alu instid0(VALU_DEP_1) | instskip(SKIP_1) | instid1(VALU_DEP_2)
	v_bfe_u32 v5, v4, 16, 1
	v_cmp_o_f32_e32 vcc_lo, v4, v4
	v_add3_u32 v5, v4, v5, 0x7fff
	s_delay_alu instid0(VALU_DEP_1) | instskip(NEXT) | instid1(VALU_DEP_1)
	v_lshrrev_b32_e32 v5, 16, v5
	v_cndmask_b32_e32 v5, 0x7fc0, v5, vcc_lo
	s_branch .LBB345_927
.LBB345_921:
                                        ; implicit-def: $vgpr5
	s_branch .LBB345_944
.LBB345_922:
                                        ; implicit-def: $vgpr5
	s_branch .LBB345_933
.LBB345_923:
	s_mov_b32 s7, -1
                                        ; implicit-def: $vgpr5
	s_branch .LBB345_930
.LBB345_924:
	s_cbranch_execnz .LBB345_1196
; %bb.925:
	s_mov_b32 s3, exec_lo
	s_and_not1_b32 s42, s42, exec_lo
                                        ; implicit-def: $vgpr5
	s_or_b32 exec_lo, exec_lo, s6
	s_and_saveexec_b32 s6, s42
	s_delay_alu instid0(SALU_CYCLE_1)
	s_xor_b32 s6, exec_lo, s6
	s_cbranch_execnz .LBB345_914
	s_branch .LBB345_915
.LBB345_926:
	s_mov_b32 s7, -1
                                        ; implicit-def: $vgpr5
.LBB345_927:
	s_delay_alu instid0(SALU_CYCLE_1)
	s_and_not1_b32 vcc_lo, exec_lo, s7
	s_cbranch_vccnz .LBB345_929
; %bb.928:
	global_load_b32 v4, v[1:2], off
	s_waitcnt vmcnt(0)
	v_bfe_u32 v5, v4, 16, 1
	v_cmp_o_f32_e32 vcc_lo, v4, v4
	s_delay_alu instid0(VALU_DEP_2) | instskip(NEXT) | instid1(VALU_DEP_1)
	v_add3_u32 v5, v4, v5, 0x7fff
	v_lshrrev_b32_e32 v5, 16, v5
	s_delay_alu instid0(VALU_DEP_1)
	v_cndmask_b32_e32 v5, 0x7fc0, v5, vcc_lo
.LBB345_929:
	s_mov_b32 s7, 0
.LBB345_930:
	s_delay_alu instid0(SALU_CYCLE_1)
	s_and_not1_b32 vcc_lo, exec_lo, s7
	s_cbranch_vccnz .LBB345_932
; %bb.931:
	global_load_b32 v4, v[1:2], off
	s_waitcnt vmcnt(0)
	v_cvt_f32_f16_e32 v5, v4
	v_cmp_o_f16_e32 vcc_lo, v4, v4
	s_delay_alu instid0(VALU_DEP_2) | instskip(NEXT) | instid1(VALU_DEP_1)
	v_bfe_u32 v6, v5, 16, 1
	v_add3_u32 v5, v5, v6, 0x7fff
	s_delay_alu instid0(VALU_DEP_1) | instskip(NEXT) | instid1(VALU_DEP_1)
	v_lshrrev_b32_e32 v5, 16, v5
	v_cndmask_b32_e32 v5, 0x7fc0, v5, vcc_lo
.LBB345_932:
	s_cbranch_execnz .LBB345_943
.LBB345_933:
	v_cmp_gt_i16_e32 vcc_lo, 6, v3
	s_cbranch_vccnz .LBB345_936
; %bb.934:
	v_cmp_lt_i16_e32 vcc_lo, 6, v3
	s_cbranch_vccz .LBB345_937
; %bb.935:
	global_load_b64 v[4:5], v[1:2], off
	s_mov_b32 s7, 0
	s_waitcnt vmcnt(0)
	v_cvt_f32_f64_e32 v4, v[4:5]
	s_delay_alu instid0(VALU_DEP_1) | instskip(SKIP_1) | instid1(VALU_DEP_2)
	v_bfe_u32 v5, v4, 16, 1
	v_cmp_o_f32_e32 vcc_lo, v4, v4
	v_add3_u32 v5, v4, v5, 0x7fff
	s_delay_alu instid0(VALU_DEP_1) | instskip(NEXT) | instid1(VALU_DEP_1)
	v_lshrrev_b32_e32 v5, 16, v5
	v_cndmask_b32_e32 v5, 0x7fc0, v5, vcc_lo
	s_branch .LBB345_938
.LBB345_936:
	s_mov_b32 s7, -1
                                        ; implicit-def: $vgpr5
	s_branch .LBB345_941
.LBB345_937:
	s_mov_b32 s7, -1
                                        ; implicit-def: $vgpr5
.LBB345_938:
	s_delay_alu instid0(SALU_CYCLE_1)
	s_and_not1_b32 vcc_lo, exec_lo, s7
	s_cbranch_vccnz .LBB345_940
; %bb.939:
	global_load_b32 v4, v[1:2], off
	s_waitcnt vmcnt(0)
	v_bfe_u32 v5, v4, 16, 1
	v_cmp_o_f32_e32 vcc_lo, v4, v4
	s_delay_alu instid0(VALU_DEP_2) | instskip(NEXT) | instid1(VALU_DEP_1)
	v_add3_u32 v5, v4, v5, 0x7fff
	v_lshrrev_b32_e32 v5, 16, v5
	s_delay_alu instid0(VALU_DEP_1)
	v_cndmask_b32_e32 v5, 0x7fc0, v5, vcc_lo
.LBB345_940:
	s_mov_b32 s7, 0
.LBB345_941:
	s_delay_alu instid0(SALU_CYCLE_1)
	s_and_not1_b32 vcc_lo, exec_lo, s7
	s_cbranch_vccnz .LBB345_943
; %bb.942:
	global_load_u16 v4, v[1:2], off
	s_waitcnt vmcnt(0)
	v_cvt_f32_f16_e32 v5, v4
	v_cmp_o_f16_e32 vcc_lo, v4, v4
	s_delay_alu instid0(VALU_DEP_2) | instskip(NEXT) | instid1(VALU_DEP_1)
	v_bfe_u32 v6, v5, 16, 1
	v_add3_u32 v5, v5, v6, 0x7fff
	s_delay_alu instid0(VALU_DEP_1) | instskip(NEXT) | instid1(VALU_DEP_1)
	v_lshrrev_b32_e32 v5, 16, v5
	v_cndmask_b32_e32 v5, 0x7fc0, v5, vcc_lo
.LBB345_943:
	s_cbranch_execnz .LBB345_962
.LBB345_944:
	v_cmp_gt_i16_e32 vcc_lo, 2, v3
	s_cbranch_vccnz .LBB345_948
; %bb.945:
	v_cmp_gt_i16_e32 vcc_lo, 3, v3
	s_cbranch_vccnz .LBB345_949
; %bb.946:
	v_cmp_lt_i16_e32 vcc_lo, 3, v3
	s_cbranch_vccz .LBB345_950
; %bb.947:
	global_load_b64 v[4:5], v[1:2], off
	s_mov_b32 s7, 0
	s_waitcnt vmcnt(0)
	v_xor_b32_e32 v6, v4, v5
	v_cls_i32_e32 v7, v5
	s_delay_alu instid0(VALU_DEP_2) | instskip(NEXT) | instid1(VALU_DEP_2)
	v_ashrrev_i32_e32 v6, 31, v6
	v_add_nc_u32_e32 v7, -1, v7
	s_delay_alu instid0(VALU_DEP_2) | instskip(NEXT) | instid1(VALU_DEP_1)
	v_add_nc_u32_e32 v6, 32, v6
	v_min_u32_e32 v6, v7, v6
	s_delay_alu instid0(VALU_DEP_1) | instskip(NEXT) | instid1(VALU_DEP_1)
	v_lshlrev_b64 v[4:5], v6, v[4:5]
	v_min_u32_e32 v4, 1, v4
	s_delay_alu instid0(VALU_DEP_1) | instskip(SKIP_1) | instid1(VALU_DEP_2)
	v_or_b32_e32 v4, v5, v4
	v_sub_nc_u32_e32 v5, 32, v6
	v_cvt_f32_i32_e32 v4, v4
	s_delay_alu instid0(VALU_DEP_1) | instskip(NEXT) | instid1(VALU_DEP_1)
	v_ldexp_f32 v4, v4, v5
	v_bfe_u32 v5, v4, 16, 1
	s_delay_alu instid0(VALU_DEP_1) | instskip(NEXT) | instid1(VALU_DEP_1)
	v_add3_u32 v4, v4, v5, 0x7fff
	v_lshrrev_b32_e32 v5, 16, v4
	s_branch .LBB345_951
.LBB345_948:
                                        ; implicit-def: $vgpr5
	s_branch .LBB345_957
.LBB345_949:
	s_mov_b32 s7, -1
                                        ; implicit-def: $vgpr5
	s_branch .LBB345_954
.LBB345_950:
	s_mov_b32 s7, -1
                                        ; implicit-def: $vgpr5
.LBB345_951:
	s_delay_alu instid0(SALU_CYCLE_1)
	s_and_not1_b32 vcc_lo, exec_lo, s7
	s_cbranch_vccnz .LBB345_953
; %bb.952:
	global_load_b32 v4, v[1:2], off
	s_waitcnt vmcnt(0)
	v_cvt_f32_i32_e32 v4, v4
	s_delay_alu instid0(VALU_DEP_1) | instskip(NEXT) | instid1(VALU_DEP_1)
	v_bfe_u32 v5, v4, 16, 1
	v_add3_u32 v4, v4, v5, 0x7fff
	s_delay_alu instid0(VALU_DEP_1)
	v_lshrrev_b32_e32 v5, 16, v4
.LBB345_953:
	s_mov_b32 s7, 0
.LBB345_954:
	s_delay_alu instid0(SALU_CYCLE_1)
	s_and_not1_b32 vcc_lo, exec_lo, s7
	s_cbranch_vccnz .LBB345_956
; %bb.955:
	global_load_i16 v4, v[1:2], off
	s_waitcnt vmcnt(0)
	v_cvt_f32_i32_e32 v4, v4
	s_delay_alu instid0(VALU_DEP_1) | instskip(NEXT) | instid1(VALU_DEP_1)
	v_bfe_u32 v5, v4, 16, 1
	v_add3_u32 v4, v4, v5, 0x7fff
	s_delay_alu instid0(VALU_DEP_1)
	v_lshrrev_b32_e32 v5, 16, v4
.LBB345_956:
	s_cbranch_execnz .LBB345_962
.LBB345_957:
	v_cmp_lt_i16_e32 vcc_lo, 0, v3
	s_mov_b32 s7, 0
	s_cbranch_vccz .LBB345_959
; %bb.958:
	global_load_i8 v3, v[1:2], off
	s_waitcnt vmcnt(0)
	v_cvt_f32_i32_e32 v3, v3
	s_delay_alu instid0(VALU_DEP_1) | instskip(NEXT) | instid1(VALU_DEP_1)
	v_bfe_u32 v4, v3, 16, 1
	v_add3_u32 v3, v3, v4, 0x7fff
	s_delay_alu instid0(VALU_DEP_1)
	v_lshrrev_b32_e32 v5, 16, v3
	s_branch .LBB345_960
.LBB345_959:
	s_mov_b32 s7, -1
                                        ; implicit-def: $vgpr5
.LBB345_960:
	s_delay_alu instid0(SALU_CYCLE_1)
	s_and_not1_b32 vcc_lo, exec_lo, s7
	s_cbranch_vccnz .LBB345_962
; %bb.961:
	global_load_u8 v1, v[1:2], off
	s_waitcnt vmcnt(0)
	v_cvt_f32_ubyte0_e32 v1, v1
	s_delay_alu instid0(VALU_DEP_1) | instskip(NEXT) | instid1(VALU_DEP_1)
	v_bfe_u32 v2, v1, 16, 1
	v_add3_u32 v1, v1, v2, 0x7fff
	s_delay_alu instid0(VALU_DEP_1)
	v_lshrrev_b32_e32 v5, 16, v1
.LBB345_962:
	s_or_b32 s2, s2, exec_lo
.LBB345_963:
	s_or_b32 exec_lo, exec_lo, s6
	s_mov_b32 s8, 0
	s_mov_b32 s7, 0
                                        ; implicit-def: $vgpr3
                                        ; implicit-def: $vgpr1_vgpr2
	s_and_saveexec_b32 s6, s2
	s_cbranch_execz .LBB345_1042
; %bb.964:
	s_waitcnt vmcnt(0)
	v_lshlrev_b32_e32 v1, 16, v5
	s_mov_b32 s2, exec_lo
	s_delay_alu instid0(VALU_DEP_1)
	v_cmpx_o_f32_e32 v1, v1
; %bb.965:
	v_cmp_lt_f32_e32 vcc_lo, s33, v1
	v_cndmask_b32_e32 v1, s18, v5, vcc_lo
	s_delay_alu instid0(VALU_DEP_1) | instskip(NEXT) | instid1(VALU_DEP_1)
	v_lshlrev_b32_e32 v2, 16, v1
	v_cmp_gt_f32_e32 vcc_lo, s34, v2
	v_cndmask_b32_e32 v5, s31, v1, vcc_lo
; %bb.966:
	s_or_b32 exec_lo, exec_lo, s2
	v_and_b32_e64 v3, 0xff, s19
	v_add_co_u32 v1, s2, s4, v0
	s_delay_alu instid0(VALU_DEP_1) | instskip(NEXT) | instid1(VALU_DEP_3)
	v_add_co_ci_u32_e64 v2, null, s5, 0, s2
	v_cmp_gt_i16_e32 vcc_lo, 11, v3
	s_mov_b32 s4, -1
	s_mov_b32 s2, s39
	s_cbranch_vccnz .LBB345_1041
; %bb.967:
	v_cmp_lt_i16_e32 vcc_lo, 25, v3
	s_mov_b32 s2, s39
	s_cbranch_vccz .LBB345_1000
; %bb.968:
	v_cmp_lt_i16_e32 vcc_lo, 28, v3
	s_mov_b32 s2, s39
	s_cbranch_vccz .LBB345_984
	;; [unrolled: 4-line block ×4, first 2 shown]
; %bb.971:
	v_cmp_eq_u16_e32 vcc_lo, 46, v3
	s_mov_b32 s2, -1
	s_cbranch_vccz .LBB345_973
; %bb.972:
	v_and_b32_e32 v0, 0xffff, v5
	s_mov_b32 s2, 0
	global_store_b32 v[1:2], v0, off
.LBB345_973:
	s_mov_b32 s4, 0
.LBB345_974:
	s_delay_alu instid0(SALU_CYCLE_1)
	s_and_b32 vcc_lo, exec_lo, s4
	s_cbranch_vccz .LBB345_979
; %bb.975:
	v_cmp_eq_u16_e32 vcc_lo, 44, v3
	s_mov_b32 s2, -1
	s_cbranch_vccz .LBB345_979
; %bb.976:
	v_and_b32_e32 v0, 0xffff, v5
	v_mov_b32_e32 v4, 0xff
	s_mov_b32 s4, exec_lo
	s_delay_alu instid0(VALU_DEP_2) | instskip(NEXT) | instid1(VALU_DEP_1)
	v_bfe_u32 v6, v0, 7, 8
	v_cmpx_ne_u32_e32 0xff, v6
; %bb.977:
	v_lshlrev_b32_e32 v4, 16, v0
	v_and_b32_e32 v7, 64, v0
	v_lshrrev_b32_e32 v0, 7, v0
	s_delay_alu instid0(VALU_DEP_3) | instskip(NEXT) | instid1(VALU_DEP_3)
	v_and_or_b32 v4, 0x3f0000, v4, v6
	v_cmp_ne_u32_e32 vcc_lo, 0, v7
	s_delay_alu instid0(VALU_DEP_2) | instskip(NEXT) | instid1(VALU_DEP_1)
	v_cmp_ne_u32_e64 s2, 0, v4
	s_and_b32 s2, vcc_lo, s2
	s_delay_alu instid0(SALU_CYCLE_1) | instskip(NEXT) | instid1(VALU_DEP_1)
	v_cndmask_b32_e64 v4, 0, 1, s2
	v_add_nc_u32_e32 v4, v0, v4
; %bb.978:
	s_or_b32 exec_lo, exec_lo, s4
	s_mov_b32 s2, 0
	global_store_b8 v[1:2], v4, off
.LBB345_979:
	s_mov_b32 s4, 0
.LBB345_980:
	s_delay_alu instid0(SALU_CYCLE_1)
	s_and_b32 vcc_lo, exec_lo, s4
	s_cbranch_vccz .LBB345_983
; %bb.981:
	v_cmp_eq_u16_e32 vcc_lo, 29, v3
	s_mov_b32 s2, -1
	s_cbranch_vccz .LBB345_983
; %bb.982:
	v_lshlrev_b32_e32 v0, 16, v5
	s_mov_b32 s2, 0
	s_delay_alu instid0(VALU_DEP_1) | instskip(NEXT) | instid1(VALU_DEP_1)
	v_trunc_f32_e32 v0, v0
	v_mul_f32_e32 v4, 0x2f800000, v0
	s_delay_alu instid0(VALU_DEP_1) | instskip(NEXT) | instid1(VALU_DEP_1)
	v_floor_f32_e32 v4, v4
	v_fmamk_f32 v0, v4, 0xcf800000, v0
	v_cvt_u32_f32_e32 v7, v4
	s_delay_alu instid0(VALU_DEP_2)
	v_cvt_u32_f32_e32 v6, v0
	global_store_b64 v[1:2], v[6:7], off
.LBB345_983:
	s_mov_b32 s4, 0
.LBB345_984:
	s_delay_alu instid0(SALU_CYCLE_1)
	s_and_b32 vcc_lo, exec_lo, s4
	s_cbranch_vccz .LBB345_999
; %bb.985:
	v_cmp_gt_i16_e32 vcc_lo, 27, v3
	s_mov_b32 s4, -1
	s_cbranch_vccnz .LBB345_991
; %bb.986:
	v_cmp_lt_i16_e32 vcc_lo, 27, v3
	s_cbranch_vccz .LBB345_988
; %bb.987:
	v_lshlrev_b32_e32 v0, 16, v5
	s_mov_b32 s4, 0
	s_delay_alu instid0(VALU_DEP_1)
	v_cvt_u32_f32_e32 v0, v0
	global_store_b32 v[1:2], v0, off
.LBB345_988:
	s_and_not1_b32 vcc_lo, exec_lo, s4
	s_cbranch_vccnz .LBB345_990
; %bb.989:
	v_lshlrev_b32_e32 v0, 16, v5
	s_delay_alu instid0(VALU_DEP_1)
	v_cvt_u32_f32_e32 v0, v0
	global_store_b16 v[1:2], v0, off
.LBB345_990:
	s_mov_b32 s4, 0
.LBB345_991:
	s_delay_alu instid0(SALU_CYCLE_1)
	s_and_not1_b32 vcc_lo, exec_lo, s4
	s_cbranch_vccnz .LBB345_999
; %bb.992:
	v_dual_mov_b32 v7, 0x80 :: v_dual_lshlrev_b32 v6, 16, v5
	s_mov_b32 s4, exec_lo
	s_delay_alu instid0(VALU_DEP_1) | instskip(NEXT) | instid1(VALU_DEP_1)
	v_and_b32_e32 v4, 0x7fffffff, v6
	v_cmpx_gt_u32_e32 0x43800000, v4
	s_cbranch_execz .LBB345_998
; %bb.993:
	v_and_b32_e32 v0, 0xffff, v5
	v_cmp_lt_u32_e32 vcc_lo, 0x3bffffff, v4
	s_mov_b32 s5, 0
                                        ; implicit-def: $vgpr4
	s_and_saveexec_b32 s7, vcc_lo
	s_delay_alu instid0(SALU_CYCLE_1)
	s_xor_b32 s7, exec_lo, s7
	s_cbranch_execz .LBB345_1289
; %bb.994:
	v_bfe_u32 v4, v0, 4, 1
	s_mov_b32 s5, exec_lo
	s_delay_alu instid0(VALU_DEP_1) | instskip(NEXT) | instid1(VALU_DEP_1)
	v_add3_u32 v4, v6, v4, 0x487ffff
                                        ; implicit-def: $vgpr6
	v_lshrrev_b32_e32 v4, 20, v4
	s_or_saveexec_b32 s7, s7
                                        ; implicit-def: $sgpr8
	s_delay_alu instid0(SALU_CYCLE_1)
	s_xor_b32 exec_lo, exec_lo, s7
	s_cbranch_execnz .LBB345_1290
.LBB345_995:
	s_or_b32 exec_lo, exec_lo, s7
	v_mov_b32_e32 v7, s8
	s_and_saveexec_b32 s7, s5
.LBB345_996:
	v_lshrrev_b32_e32 v0, 8, v0
	s_delay_alu instid0(VALU_DEP_1)
	v_and_or_b32 v7, 0x80, v0, v4
.LBB345_997:
	s_or_b32 exec_lo, exec_lo, s7
.LBB345_998:
	s_delay_alu instid0(SALU_CYCLE_1)
	s_or_b32 exec_lo, exec_lo, s4
	global_store_b8 v[1:2], v7, off
.LBB345_999:
	s_mov_b32 s4, 0
.LBB345_1000:
	s_delay_alu instid0(SALU_CYCLE_1)
	s_and_b32 vcc_lo, exec_lo, s4
	s_mov_b32 s4, 0
	s_cbranch_vccz .LBB345_1040
; %bb.1001:
	v_cmp_lt_i16_e32 vcc_lo, 22, v3
	s_mov_b32 s5, -1
	s_cbranch_vccz .LBB345_1033
; %bb.1002:
	v_cmp_gt_i16_e32 vcc_lo, 24, v3
	s_cbranch_vccnz .LBB345_1022
; %bb.1003:
	v_cmp_lt_i16_e32 vcc_lo, 24, v3
	s_cbranch_vccz .LBB345_1011
; %bb.1004:
	v_dual_mov_b32 v7, 0x80 :: v_dual_lshlrev_b32 v6, 16, v5
	s_mov_b32 s5, exec_lo
	s_delay_alu instid0(VALU_DEP_1) | instskip(NEXT) | instid1(VALU_DEP_1)
	v_and_b32_e32 v4, 0x7fffffff, v6
	v_cmpx_gt_u32_e32 0x47800000, v4
	s_cbranch_execz .LBB345_1010
; %bb.1005:
	v_and_b32_e32 v0, 0xffff, v5
	v_cmp_lt_u32_e32 vcc_lo, 0x37ffffff, v4
	s_mov_b32 s7, 0
                                        ; implicit-def: $vgpr4
	s_and_saveexec_b32 s8, vcc_lo
	s_delay_alu instid0(SALU_CYCLE_1)
	s_xor_b32 s8, exec_lo, s8
	s_cbranch_execz .LBB345_1333
; %bb.1006:
	v_bfe_u32 v4, v0, 5, 1
	s_mov_b32 s7, exec_lo
	s_delay_alu instid0(VALU_DEP_1) | instskip(NEXT) | instid1(VALU_DEP_1)
	v_add3_u32 v4, v6, v4, 0x88fffff
                                        ; implicit-def: $vgpr6
	v_lshrrev_b32_e32 v4, 21, v4
	s_or_saveexec_b32 s8, s8
                                        ; implicit-def: $sgpr9
	s_delay_alu instid0(SALU_CYCLE_1)
	s_xor_b32 exec_lo, exec_lo, s8
	s_cbranch_execnz .LBB345_1334
.LBB345_1007:
	s_or_b32 exec_lo, exec_lo, s8
	v_mov_b32_e32 v7, s9
	s_and_saveexec_b32 s8, s7
.LBB345_1008:
	v_lshrrev_b32_e32 v0, 8, v0
	s_delay_alu instid0(VALU_DEP_1)
	v_and_or_b32 v7, 0x80, v0, v4
.LBB345_1009:
	s_or_b32 exec_lo, exec_lo, s8
.LBB345_1010:
	s_delay_alu instid0(SALU_CYCLE_1)
	s_or_b32 exec_lo, exec_lo, s5
	s_mov_b32 s5, 0
	global_store_b8 v[1:2], v7, off
.LBB345_1011:
	s_and_b32 vcc_lo, exec_lo, s5
	s_cbranch_vccz .LBB345_1021
; %bb.1012:
	v_lshlrev_b32_e32 v6, 16, v5
	v_and_b32_e32 v0, 0xffff, v5
	s_mov_b32 s5, exec_lo
                                        ; implicit-def: $vgpr4
	s_delay_alu instid0(VALU_DEP_2) | instskip(NEXT) | instid1(VALU_DEP_1)
	v_and_b32_e32 v7, 0x7fffffff, v6
	v_cmpx_gt_u32_e32 0x43f00000, v7
	s_xor_b32 s5, exec_lo, s5
	s_cbranch_execz .LBB345_1018
; %bb.1013:
	s_mov_b32 s7, exec_lo
                                        ; implicit-def: $vgpr4
	v_cmpx_lt_u32_e32 0x3c7fffff, v7
	s_xor_b32 s7, exec_lo, s7
; %bb.1014:
	v_bfe_u32 v4, v0, 4, 1
	s_delay_alu instid0(VALU_DEP_1) | instskip(NEXT) | instid1(VALU_DEP_1)
	v_add3_u32 v4, v6, v4, 0x407ffff
	v_and_b32_e32 v6, 0xff00000, v4
	v_lshrrev_b32_e32 v4, 20, v4
	s_delay_alu instid0(VALU_DEP_2) | instskip(NEXT) | instid1(VALU_DEP_2)
	v_cmp_ne_u32_e32 vcc_lo, 0x7f00000, v6
                                        ; implicit-def: $vgpr6
	v_cndmask_b32_e32 v4, 0x7e, v4, vcc_lo
; %bb.1015:
	s_and_not1_saveexec_b32 s7, s7
; %bb.1016:
	v_add_f32_e64 v4, 0x46800000, |v6|
; %bb.1017:
	s_or_b32 exec_lo, exec_lo, s7
                                        ; implicit-def: $vgpr7
.LBB345_1018:
	s_and_not1_saveexec_b32 s5, s5
; %bb.1019:
	v_mov_b32_e32 v4, 0x7f
	v_cmp_lt_u32_e32 vcc_lo, 0x7f800000, v7
	s_delay_alu instid0(VALU_DEP_2)
	v_cndmask_b32_e32 v4, 0x7e, v4, vcc_lo
; %bb.1020:
	s_or_b32 exec_lo, exec_lo, s5
	v_lshrrev_b32_e32 v0, 8, v0
	s_delay_alu instid0(VALU_DEP_1)
	v_and_or_b32 v0, 0x80, v0, v4
	global_store_b8 v[1:2], v0, off
.LBB345_1021:
	s_mov_b32 s5, 0
.LBB345_1022:
	s_delay_alu instid0(SALU_CYCLE_1)
	s_and_not1_b32 vcc_lo, exec_lo, s5
	s_cbranch_vccnz .LBB345_1032
; %bb.1023:
	v_lshlrev_b32_e32 v6, 16, v5
	v_and_b32_e32 v0, 0xffff, v5
	s_mov_b32 s5, exec_lo
                                        ; implicit-def: $vgpr4
	s_delay_alu instid0(VALU_DEP_2) | instskip(NEXT) | instid1(VALU_DEP_1)
	v_and_b32_e32 v7, 0x7fffffff, v6
	v_cmpx_gt_u32_e32 0x47800000, v7
	s_xor_b32 s5, exec_lo, s5
	s_cbranch_execz .LBB345_1029
; %bb.1024:
	s_mov_b32 s7, exec_lo
                                        ; implicit-def: $vgpr4
	v_cmpx_lt_u32_e32 0x387fffff, v7
	s_xor_b32 s7, exec_lo, s7
; %bb.1025:
	v_bfe_u32 v4, v0, 5, 1
	s_delay_alu instid0(VALU_DEP_1) | instskip(NEXT) | instid1(VALU_DEP_1)
	v_add3_u32 v4, v6, v4, 0x80fffff
                                        ; implicit-def: $vgpr6
	v_lshrrev_b32_e32 v4, 21, v4
; %bb.1026:
	s_and_not1_saveexec_b32 s7, s7
; %bb.1027:
	v_add_f32_e64 v4, 0x43000000, |v6|
; %bb.1028:
	s_or_b32 exec_lo, exec_lo, s7
                                        ; implicit-def: $vgpr7
.LBB345_1029:
	s_and_not1_saveexec_b32 s5, s5
; %bb.1030:
	v_mov_b32_e32 v4, 0x7f
	v_cmp_lt_u32_e32 vcc_lo, 0x7f800000, v7
	s_delay_alu instid0(VALU_DEP_2)
	v_cndmask_b32_e32 v4, 0x7c, v4, vcc_lo
; %bb.1031:
	s_or_b32 exec_lo, exec_lo, s5
	v_lshrrev_b32_e32 v0, 8, v0
	s_delay_alu instid0(VALU_DEP_1)
	v_and_or_b32 v0, 0x80, v0, v4
	global_store_b8 v[1:2], v0, off
.LBB345_1032:
	s_mov_b32 s5, 0
.LBB345_1033:
	s_delay_alu instid0(SALU_CYCLE_1)
	s_and_not1_b32 vcc_lo, exec_lo, s5
	s_mov_b32 s8, 0
	s_cbranch_vccnz .LBB345_1041
; %bb.1034:
	v_cmp_lt_i16_e32 vcc_lo, 14, v3
	s_mov_b32 s5, -1
	s_cbranch_vccz .LBB345_1038
; %bb.1035:
	v_cmp_eq_u16_e32 vcc_lo, 15, v3
	s_mov_b32 s2, -1
	s_cbranch_vccz .LBB345_1037
; %bb.1036:
	s_mov_b32 s2, 0
	global_store_b16 v[1:2], v5, off
.LBB345_1037:
	s_mov_b32 s5, 0
.LBB345_1038:
	s_delay_alu instid0(SALU_CYCLE_1)
	s_and_b32 vcc_lo, exec_lo, s5
	s_cbranch_vccz .LBB345_1041
; %bb.1039:
	v_cmp_ne_u16_e32 vcc_lo, 11, v3
	s_and_not1_b32 s2, s2, exec_lo
	s_mov_b32 s8, -1
	s_and_b32 s5, vcc_lo, exec_lo
	s_delay_alu instid0(SALU_CYCLE_1)
	s_or_b32 s2, s2, s5
	s_branch .LBB345_1041
.LBB345_1040:
	s_mov_b32 s8, 0
.LBB345_1041:
	s_and_b32 s7, s4, exec_lo
	s_and_not1_b32 s4, s39, exec_lo
	s_and_b32 s2, s2, exec_lo
	s_and_b32 s8, s8, exec_lo
	s_or_b32 s39, s4, s2
.LBB345_1042:
	s_or_b32 exec_lo, exec_lo, s6
	s_and_saveexec_b32 s2, s39
	s_cbranch_execnz .LBB345_1156
; %bb.1043:
	s_or_b32 exec_lo, exec_lo, s2
	s_and_saveexec_b32 s2, s8
	s_delay_alu instid0(SALU_CYCLE_1)
	s_xor_b32 s2, exec_lo, s2
	s_cbranch_execz .LBB345_1045
.LBB345_1044:
	s_waitcnt vmcnt(0)
	v_and_b32_e32 v0, 0x7fff, v5
	s_delay_alu instid0(VALU_DEP_1)
	v_cmp_ne_u16_e32 vcc_lo, 0, v0
	v_cndmask_b32_e64 v0, 0, 1, vcc_lo
	global_store_b8 v[1:2], v0, off
.LBB345_1045:
	s_or_b32 exec_lo, exec_lo, s2
	s_and_saveexec_b32 s2, s7
	s_delay_alu instid0(SALU_CYCLE_1)
	s_xor_b32 s2, exec_lo, s2
	s_cbranch_execz .LBB345_1083
; %bb.1046:
	v_cmp_gt_i16_e32 vcc_lo, 5, v3
	s_mov_b32 s4, -1
	s_cbranch_vccnz .LBB345_1067
; %bb.1047:
	v_cmp_gt_i16_e32 vcc_lo, 8, v3
	s_cbranch_vccnz .LBB345_1057
; %bb.1048:
	v_cmp_gt_i16_e32 vcc_lo, 9, v3
	s_cbranch_vccnz .LBB345_1054
; %bb.1049:
	v_cmp_lt_i16_e32 vcc_lo, 9, v3
	s_cbranch_vccz .LBB345_1051
; %bb.1050:
	v_mov_b32_e32 v8, 0
	s_waitcnt vmcnt(0)
	v_lshlrev_b32_e32 v0, 16, v5
	s_mov_b32 s4, 0
	s_delay_alu instid0(VALU_DEP_2) | instskip(NEXT) | instid1(VALU_DEP_2)
	v_mov_b32_e32 v9, v8
	v_cvt_f64_f32_e32 v[6:7], v0
	global_store_b128 v[1:2], v[6:9], off
.LBB345_1051:
	s_and_not1_b32 vcc_lo, exec_lo, s4
	s_cbranch_vccnz .LBB345_1053
; %bb.1052:
	s_waitcnt vmcnt(0)
	v_dual_mov_b32 v7, 0 :: v_dual_lshlrev_b32 v6, 16, v5
	global_store_b64 v[1:2], v[6:7], off
.LBB345_1053:
	s_mov_b32 s4, 0
.LBB345_1054:
	s_delay_alu instid0(SALU_CYCLE_1)
	s_and_not1_b32 vcc_lo, exec_lo, s4
	s_cbranch_vccnz .LBB345_1056
; %bb.1055:
	s_waitcnt vmcnt(0)
	v_lshlrev_b32_e32 v0, 16, v5
	s_delay_alu instid0(VALU_DEP_1) | instskip(NEXT) | instid1(VALU_DEP_1)
	v_cvt_f16_f32_e32 v0, v0
	v_and_b32_e32 v0, 0xffff, v0
	global_store_b32 v[1:2], v0, off
.LBB345_1056:
	s_mov_b32 s4, 0
.LBB345_1057:
	s_delay_alu instid0(SALU_CYCLE_1)
	s_and_not1_b32 vcc_lo, exec_lo, s4
	s_cbranch_vccnz .LBB345_1066
; %bb.1058:
	v_cmp_gt_i16_e32 vcc_lo, 6, v3
	s_mov_b32 s4, -1
	s_cbranch_vccnz .LBB345_1064
; %bb.1059:
	v_cmp_lt_i16_e32 vcc_lo, 6, v3
	s_cbranch_vccz .LBB345_1061
; %bb.1060:
	s_waitcnt vmcnt(0)
	v_lshlrev_b32_e32 v0, 16, v5
	s_mov_b32 s4, 0
	s_delay_alu instid0(VALU_DEP_1)
	v_cvt_f64_f32_e32 v[6:7], v0
	global_store_b64 v[1:2], v[6:7], off
.LBB345_1061:
	s_and_not1_b32 vcc_lo, exec_lo, s4
	s_cbranch_vccnz .LBB345_1063
; %bb.1062:
	s_waitcnt vmcnt(0)
	v_lshlrev_b32_e32 v0, 16, v5
	global_store_b32 v[1:2], v0, off
.LBB345_1063:
	s_mov_b32 s4, 0
.LBB345_1064:
	s_delay_alu instid0(SALU_CYCLE_1)
	s_and_not1_b32 vcc_lo, exec_lo, s4
	s_cbranch_vccnz .LBB345_1066
; %bb.1065:
	s_waitcnt vmcnt(0)
	v_lshlrev_b32_e32 v0, 16, v5
	s_delay_alu instid0(VALU_DEP_1)
	v_cvt_f16_f32_e32 v0, v0
	global_store_b16 v[1:2], v0, off
.LBB345_1066:
	s_mov_b32 s4, 0
.LBB345_1067:
	s_delay_alu instid0(SALU_CYCLE_1)
	s_and_not1_b32 vcc_lo, exec_lo, s4
	s_cbranch_vccnz .LBB345_1083
; %bb.1068:
	v_cmp_gt_i16_e32 vcc_lo, 2, v3
	s_mov_b32 s4, -1
	s_cbranch_vccnz .LBB345_1078
; %bb.1069:
	v_cmp_gt_i16_e32 vcc_lo, 3, v3
	s_cbranch_vccnz .LBB345_1075
; %bb.1070:
	v_cmp_lt_i16_e32 vcc_lo, 3, v3
	s_cbranch_vccz .LBB345_1072
; %bb.1071:
	s_waitcnt vmcnt(0)
	v_lshlrev_b32_e32 v0, 16, v5
	s_mov_b32 s4, 0
	s_delay_alu instid0(VALU_DEP_1) | instskip(NEXT) | instid1(VALU_DEP_1)
	v_trunc_f32_e32 v0, v0
	v_mul_f32_e64 v4, 0x2f800000, |v0|
	s_delay_alu instid0(VALU_DEP_1) | instskip(NEXT) | instid1(VALU_DEP_1)
	v_floor_f32_e32 v4, v4
	v_fma_f32 v6, 0xcf800000, v4, |v0|
	v_ashrrev_i32_e32 v0, 31, v0
	v_cvt_u32_f32_e32 v4, v4
	s_delay_alu instid0(VALU_DEP_3) | instskip(NEXT) | instid1(VALU_DEP_2)
	v_cvt_u32_f32_e32 v6, v6
	v_xor_b32_e32 v4, v4, v0
	s_delay_alu instid0(VALU_DEP_2) | instskip(NEXT) | instid1(VALU_DEP_1)
	v_xor_b32_e32 v6, v6, v0
	v_sub_co_u32 v6, vcc_lo, v6, v0
	s_delay_alu instid0(VALU_DEP_3)
	v_sub_co_ci_u32_e32 v7, vcc_lo, v4, v0, vcc_lo
	global_store_b64 v[1:2], v[6:7], off
.LBB345_1072:
	s_and_not1_b32 vcc_lo, exec_lo, s4
	s_cbranch_vccnz .LBB345_1074
; %bb.1073:
	s_waitcnt vmcnt(0)
	v_lshlrev_b32_e32 v0, 16, v5
	s_delay_alu instid0(VALU_DEP_1)
	v_cvt_i32_f32_e32 v0, v0
	global_store_b32 v[1:2], v0, off
.LBB345_1074:
	s_mov_b32 s4, 0
.LBB345_1075:
	s_delay_alu instid0(SALU_CYCLE_1)
	s_and_not1_b32 vcc_lo, exec_lo, s4
	s_cbranch_vccnz .LBB345_1077
; %bb.1076:
	s_waitcnt vmcnt(0)
	v_lshlrev_b32_e32 v0, 16, v5
	s_delay_alu instid0(VALU_DEP_1)
	v_cvt_i32_f32_e32 v0, v0
	global_store_b16 v[1:2], v0, off
.LBB345_1077:
	s_mov_b32 s4, 0
.LBB345_1078:
	s_delay_alu instid0(SALU_CYCLE_1)
	s_and_not1_b32 vcc_lo, exec_lo, s4
	s_cbranch_vccnz .LBB345_1083
; %bb.1079:
	v_cmp_lt_i16_e32 vcc_lo, 0, v3
	s_mov_b32 s4, -1
	s_cbranch_vccz .LBB345_1081
; %bb.1080:
	s_waitcnt vmcnt(0)
	v_lshlrev_b32_e32 v0, 16, v5
	s_mov_b32 s4, 0
	s_delay_alu instid0(VALU_DEP_1)
	v_cvt_i32_f32_e32 v0, v0
	global_store_b8 v[1:2], v0, off
.LBB345_1081:
	s_and_not1_b32 vcc_lo, exec_lo, s4
	s_cbranch_vccnz .LBB345_1083
; %bb.1082:
	s_waitcnt vmcnt(0)
	v_lshlrev_b32_e32 v0, 16, v5
	s_delay_alu instid0(VALU_DEP_1) | instskip(NEXT) | instid1(VALU_DEP_1)
	v_trunc_f32_e32 v0, v0
	v_mul_f32_e64 v3, 0x2f800000, |v0|
	s_delay_alu instid0(VALU_DEP_1) | instskip(NEXT) | instid1(VALU_DEP_1)
	v_floor_f32_e32 v3, v3
	v_fma_f32 v3, 0xcf800000, v3, |v0|
	v_ashrrev_i32_e32 v0, 31, v0
	s_delay_alu instid0(VALU_DEP_2) | instskip(NEXT) | instid1(VALU_DEP_1)
	v_cvt_u32_f32_e32 v3, v3
	v_xor_b32_e32 v3, v3, v0
	s_delay_alu instid0(VALU_DEP_1)
	v_sub_nc_u32_e32 v0, v3, v0
	global_store_b8 v[1:2], v0, off
.LBB345_1083:
	s_or_b32 exec_lo, exec_lo, s2
	s_delay_alu instid0(SALU_CYCLE_1)
	s_and_b32 s8, s3, exec_lo
                                        ; implicit-def: $vgpr8
                                        ; implicit-def: $vgpr4
.LBB345_1084:
	s_or_saveexec_b32 s9, s30
	s_mov_b32 s4, 0
                                        ; implicit-def: $vgpr0_vgpr1
                                        ; implicit-def: $sgpr2
                                        ; implicit-def: $vgpr6
	s_xor_b32 exec_lo, exec_lo, s9
	s_cbranch_execz .LBB345_1685
; %bb.1085:
	v_cndmask_b32_e64 v0, 0, 1, s29
	s_and_not1_b32 vcc_lo, exec_lo, s29
	s_cbranch_vccnz .LBB345_1091
; %bb.1086:
	v_mov_b32_e32 v3, 0
	v_mov_b32_e32 v7, 0
	s_cmp_lg_u32 s26, 0
	s_mov_b32 s6, 0
	s_cbranch_scc0 .LBB345_1095
; %bb.1087:
	s_min_u32 s7, s27, 15
	v_mov_b32_e32 v3, 0
	s_add_i32 s7, s7, 1
	s_cmp_eq_u32 s27, 2
	s_mov_b32 s10, 0
	s_cbranch_scc1 .LBB345_1092
; %bb.1088:
	v_mov_b32_e32 v7, 0
	v_mov_b32_e32 v3, 0
	;; [unrolled: 1-line block ×3, first 2 shown]
	s_add_u32 s2, s16, 0xc4
	s_addc_u32 s3, s17, 0
	s_and_b32 s10, s7, 28
	s_mov_b32 s11, 0
	s_mov_b64 s[4:5], s[16:17]
.LBB345_1089:                           ; =>This Inner Loop Header: Depth=1
	s_clause 0x1
	s_load_b256 s[36:43], s[4:5], 0x4
	s_load_b128 s[12:15], s[4:5], 0x24
	s_load_b256 s[44:51], s[2:3], 0x0
	s_add_u32 s4, s4, 48
	s_addc_u32 s5, s5, 0
	s_add_i32 s11, s11, 4
	s_add_u32 s2, s2, 32
	s_addc_u32 s3, s3, 0
	s_cmp_lg_u32 s10, s11
	s_waitcnt lgkmcnt(0)
	v_mul_hi_u32 v2, s37, v1
	s_delay_alu instid0(VALU_DEP_1) | instskip(NEXT) | instid1(VALU_DEP_1)
	v_add_nc_u32_e32 v2, v1, v2
	v_lshrrev_b32_e32 v2, s38, v2
	s_waitcnt vmcnt(0)
	s_delay_alu instid0(VALU_DEP_1) | instskip(SKIP_1) | instid1(VALU_DEP_2)
	v_mul_hi_u32 v5, s40, v2
	v_mul_lo_u32 v9, v2, s36
	v_add_nc_u32_e32 v5, v2, v5
	s_delay_alu instid0(VALU_DEP_2) | instskip(NEXT) | instid1(VALU_DEP_2)
	v_sub_nc_u32_e32 v1, v1, v9
	v_lshrrev_b32_e32 v5, s41, v5
	s_delay_alu instid0(VALU_DEP_2) | instskip(SKIP_1) | instid1(VALU_DEP_3)
	v_mul_lo_u32 v9, v1, s44
	v_mul_lo_u32 v11, v1, s45
	v_mul_hi_u32 v6, s43, v5
	s_delay_alu instid0(VALU_DEP_1) | instskip(NEXT) | instid1(VALU_DEP_1)
	v_add_nc_u32_e32 v6, v5, v6
	v_lshrrev_b32_e32 v6, s12, v6
	s_delay_alu instid0(VALU_DEP_1) | instskip(SKIP_1) | instid1(VALU_DEP_2)
	v_mul_hi_u32 v10, s14, v6
	v_mul_lo_u32 v12, v6, s42
	v_add_nc_u32_e32 v1, v6, v10
	v_mul_lo_u32 v10, v5, s39
	s_delay_alu instid0(VALU_DEP_3) | instskip(NEXT) | instid1(VALU_DEP_3)
	v_sub_nc_u32_e32 v5, v5, v12
	v_lshrrev_b32_e32 v1, s15, v1
	s_delay_alu instid0(VALU_DEP_2) | instskip(SKIP_2) | instid1(VALU_DEP_4)
	v_mul_lo_u32 v12, v5, s48
	v_mul_lo_u32 v5, v5, s49
	v_sub_nc_u32_e32 v2, v2, v10
	v_mul_lo_u32 v13, v1, s13
	s_delay_alu instid0(VALU_DEP_2) | instskip(SKIP_1) | instid1(VALU_DEP_3)
	v_mul_lo_u32 v10, v2, s46
	v_mul_lo_u32 v2, v2, s47
	v_sub_nc_u32_e32 v6, v6, v13
	s_delay_alu instid0(VALU_DEP_3) | instskip(NEXT) | instid1(VALU_DEP_2)
	v_add3_u32 v3, v9, v3, v10
	v_mul_lo_u32 v13, v6, s50
	v_mul_lo_u32 v6, v6, s51
	v_add3_u32 v2, v11, v7, v2
	s_delay_alu instid0(VALU_DEP_3) | instskip(NEXT) | instid1(VALU_DEP_2)
	v_add3_u32 v3, v12, v3, v13
	v_add3_u32 v7, v5, v2, v6
	s_cbranch_scc1 .LBB345_1089
; %bb.1090:
	s_and_b32 s7, s7, 3
	s_delay_alu instid0(SALU_CYCLE_1)
	s_cmp_eq_u32 s7, 0
	s_cbranch_scc0 .LBB345_1093
	s_branch .LBB345_1095
.LBB345_1091:
	s_mov_b32 s6, -1
                                        ; implicit-def: $vgpr3
                                        ; implicit-def: $vgpr7
	s_branch .LBB345_1095
.LBB345_1092:
	v_mov_b32_e32 v1, v4
	v_mov_b32_e32 v7, 0
	s_and_b32 s7, s7, 3
	s_delay_alu instid0(SALU_CYCLE_1)
	s_cmp_eq_u32 s7, 0
	s_cbranch_scc1 .LBB345_1095
.LBB345_1093:
	s_lshl_b32 s2, s10, 3
	s_mul_i32 s4, s10, 12
	s_add_u32 s2, s2, s16
	s_addc_u32 s3, 0, s17
	s_add_u32 s2, s2, 0xc4
	s_addc_u32 s3, s3, 0
	;; [unrolled: 2-line block ×3, first 2 shown]
	.p2align	6
.LBB345_1094:                           ; =>This Inner Loop Header: Depth=1
	s_clause 0x1
	s_load_b64 s[10:11], s[4:5], 0x4
	s_load_b32 s14, s[4:5], 0xc
	s_load_b64 s[12:13], s[2:3], 0x0
	s_add_u32 s4, s4, 12
	s_addc_u32 s5, s5, 0
	s_add_u32 s2, s2, 8
	s_addc_u32 s3, s3, 0
	s_add_i32 s7, s7, -1
	s_delay_alu instid0(SALU_CYCLE_1) | instskip(SKIP_2) | instid1(VALU_DEP_1)
	s_cmp_lg_u32 s7, 0
	s_waitcnt lgkmcnt(0)
	v_mul_hi_u32 v2, s11, v1
	v_add_nc_u32_e32 v2, v1, v2
	s_delay_alu instid0(VALU_DEP_1) | instskip(NEXT) | instid1(VALU_DEP_1)
	v_lshrrev_b32_e32 v9, s14, v2
	v_mul_lo_u32 v2, v9, s10
	s_delay_alu instid0(VALU_DEP_1) | instskip(SKIP_1) | instid1(VALU_DEP_1)
	v_sub_nc_u32_e32 v1, v1, v2
	s_waitcnt vmcnt(0)
	v_mad_u64_u32 v[5:6], null, v1, s12, v[3:4]
	v_mad_u64_u32 v[2:3], null, v1, s13, v[7:8]
	v_mov_b32_e32 v1, v9
	s_delay_alu instid0(VALU_DEP_3) | instskip(NEXT) | instid1(VALU_DEP_3)
	v_mov_b32_e32 v3, v5
	v_mov_b32_e32 v7, v2
	s_cbranch_scc1 .LBB345_1094
.LBB345_1095:
	s_and_not1_b32 vcc_lo, exec_lo, s6
	s_cbranch_vccnz .LBB345_1098
; %bb.1096:
	s_clause 0x1
	s_load_b128 s[4:7], s[16:17], 0x4
	s_load_b64 s[2:3], s[16:17], 0xc4
	s_cmp_lt_u32 s26, 2
	s_waitcnt lgkmcnt(0)
	v_mul_hi_u32 v1, s5, v4
	s_delay_alu instid0(VALU_DEP_1) | instskip(NEXT) | instid1(VALU_DEP_1)
	v_add_nc_u32_e32 v1, v4, v1
	v_lshrrev_b32_e32 v1, s6, v1
	s_delay_alu instid0(VALU_DEP_1) | instskip(NEXT) | instid1(VALU_DEP_1)
	v_mul_lo_u32 v2, v1, s4
	v_sub_nc_u32_e32 v2, v4, v2
	s_delay_alu instid0(VALU_DEP_1)
	v_mul_lo_u32 v3, v2, s2
	v_mul_lo_u32 v7, v2, s3
	s_cbranch_scc1 .LBB345_1098
; %bb.1097:
	s_clause 0x1
	s_load_b128 s[4:7], s[16:17], 0x10
	s_load_b64 s[2:3], s[16:17], 0xcc
	s_waitcnt lgkmcnt(0)
	v_mul_hi_u32 v2, s5, v1
	s_delay_alu instid0(VALU_DEP_1) | instskip(NEXT) | instid1(VALU_DEP_1)
	v_add_nc_u32_e32 v2, v1, v2
	v_lshrrev_b32_e32 v2, s6, v2
	s_delay_alu instid0(VALU_DEP_1) | instskip(SKIP_1) | instid1(VALU_DEP_1)
	v_mul_lo_u32 v2, v2, s4
	s_waitcnt vmcnt(0)
	v_sub_nc_u32_e32 v5, v1, v2
	s_delay_alu instid0(VALU_DEP_1) | instskip(SKIP_1) | instid1(VALU_DEP_2)
	v_mad_u64_u32 v[1:2], null, v5, s2, v[3:4]
	v_mad_u64_u32 v[2:3], null, v5, s3, v[7:8]
	v_mov_b32_e32 v3, v1
	s_delay_alu instid0(VALU_DEP_2)
	v_mov_b32_e32 v7, v2
.LBB345_1098:
	v_cmp_ne_u32_e32 vcc_lo, 1, v0
	v_add_nc_u32_e32 v1, 0x80, v4
	s_cbranch_vccnz .LBB345_1104
; %bb.1099:
	v_mov_b32_e32 v2, 0
	v_mov_b32_e32 v6, 0
	s_cmp_lg_u32 s26, 0
	s_mov_b32 s6, 0
	s_cbranch_scc0 .LBB345_1108
; %bb.1100:
	s_min_u32 s7, s27, 15
	v_mov_b32_e32 v2, 0
	s_add_i32 s7, s7, 1
	s_cmp_eq_u32 s27, 2
	s_mov_b32 s10, 0
	s_cbranch_scc1 .LBB345_1105
; %bb.1101:
	s_waitcnt vmcnt(0)
	v_dual_mov_b32 v6, 0 :: v_dual_mov_b32 v5, v1
	v_mov_b32_e32 v2, 0
	s_add_u32 s2, s16, 0xc4
	s_addc_u32 s3, s17, 0
	s_and_b32 s10, s7, 28
	s_mov_b32 s11, 0
	s_mov_b64 s[4:5], s[16:17]
.LBB345_1102:                           ; =>This Inner Loop Header: Depth=1
	s_clause 0x1
	s_load_b256 s[36:43], s[4:5], 0x4
	s_load_b128 s[12:15], s[4:5], 0x24
	s_load_b256 s[44:51], s[2:3], 0x0
	s_add_u32 s4, s4, 48
	s_addc_u32 s5, s5, 0
	s_add_i32 s11, s11, 4
	s_add_u32 s2, s2, 32
	s_addc_u32 s3, s3, 0
	s_cmp_lg_u32 s10, s11
	s_waitcnt lgkmcnt(0)
	v_mul_hi_u32 v9, s37, v5
	s_delay_alu instid0(VALU_DEP_1) | instskip(NEXT) | instid1(VALU_DEP_1)
	v_add_nc_u32_e32 v9, v5, v9
	v_lshrrev_b32_e32 v9, s38, v9
	s_delay_alu instid0(VALU_DEP_1) | instskip(SKIP_1) | instid1(VALU_DEP_2)
	v_mul_hi_u32 v10, s40, v9
	v_mul_lo_u32 v12, v9, s36
	v_add_nc_u32_e32 v10, v9, v10
	s_delay_alu instid0(VALU_DEP_2) | instskip(NEXT) | instid1(VALU_DEP_2)
	v_sub_nc_u32_e32 v5, v5, v12
	v_lshrrev_b32_e32 v10, s41, v10
	s_delay_alu instid0(VALU_DEP_2) | instskip(SKIP_1) | instid1(VALU_DEP_3)
	v_mul_lo_u32 v12, v5, s44
	v_mul_lo_u32 v14, v5, s45
	v_mul_hi_u32 v11, s43, v10
	s_delay_alu instid0(VALU_DEP_1) | instskip(NEXT) | instid1(VALU_DEP_1)
	v_add_nc_u32_e32 v11, v10, v11
	v_lshrrev_b32_e32 v11, s12, v11
	s_delay_alu instid0(VALU_DEP_1) | instskip(SKIP_1) | instid1(VALU_DEP_2)
	v_mul_hi_u32 v13, s14, v11
	v_mul_lo_u32 v15, v11, s42
	v_add_nc_u32_e32 v5, v11, v13
	v_mul_lo_u32 v13, v10, s39
	s_delay_alu instid0(VALU_DEP_3) | instskip(NEXT) | instid1(VALU_DEP_3)
	v_sub_nc_u32_e32 v10, v10, v15
	v_lshrrev_b32_e32 v5, s15, v5
	s_delay_alu instid0(VALU_DEP_2) | instskip(SKIP_2) | instid1(VALU_DEP_4)
	v_mul_lo_u32 v15, v10, s48
	v_mul_lo_u32 v10, v10, s49
	v_sub_nc_u32_e32 v9, v9, v13
	v_mul_lo_u32 v16, v5, s13
	s_delay_alu instid0(VALU_DEP_2) | instskip(SKIP_1) | instid1(VALU_DEP_3)
	v_mul_lo_u32 v13, v9, s46
	v_mul_lo_u32 v9, v9, s47
	v_sub_nc_u32_e32 v11, v11, v16
	s_delay_alu instid0(VALU_DEP_3) | instskip(NEXT) | instid1(VALU_DEP_2)
	v_add3_u32 v2, v12, v2, v13
	v_mul_lo_u32 v16, v11, s50
	v_mul_lo_u32 v11, v11, s51
	v_add3_u32 v6, v14, v6, v9
	s_delay_alu instid0(VALU_DEP_3) | instskip(NEXT) | instid1(VALU_DEP_2)
	v_add3_u32 v2, v15, v2, v16
	v_add3_u32 v6, v10, v6, v11
	s_cbranch_scc1 .LBB345_1102
; %bb.1103:
	s_and_b32 s7, s7, 3
	s_delay_alu instid0(SALU_CYCLE_1)
	s_cmp_eq_u32 s7, 0
	s_cbranch_scc0 .LBB345_1106
	s_branch .LBB345_1108
.LBB345_1104:
	s_mov_b32 s6, -1
                                        ; implicit-def: $vgpr2
                                        ; implicit-def: $vgpr6
	s_branch .LBB345_1108
.LBB345_1105:
	s_waitcnt vmcnt(0)
	v_dual_mov_b32 v5, v1 :: v_dual_mov_b32 v6, 0
	s_and_b32 s7, s7, 3
	s_delay_alu instid0(SALU_CYCLE_1)
	s_cmp_eq_u32 s7, 0
	s_cbranch_scc1 .LBB345_1108
.LBB345_1106:
	s_lshl_b32 s2, s10, 3
	s_mul_i32 s4, s10, 12
	s_add_u32 s2, s2, s16
	s_addc_u32 s3, 0, s17
	s_add_u32 s2, s2, 0xc4
	s_addc_u32 s3, s3, 0
	;; [unrolled: 2-line block ×3, first 2 shown]
	.p2align	6
.LBB345_1107:                           ; =>This Inner Loop Header: Depth=1
	s_clause 0x1
	s_load_b64 s[10:11], s[4:5], 0x4
	s_load_b32 s14, s[4:5], 0xc
	s_load_b64 s[12:13], s[2:3], 0x0
	s_add_u32 s4, s4, 12
	s_addc_u32 s5, s5, 0
	s_add_u32 s2, s2, 8
	s_addc_u32 s3, s3, 0
	s_add_i32 s7, s7, -1
	s_delay_alu instid0(SALU_CYCLE_1) | instskip(SKIP_2) | instid1(VALU_DEP_1)
	s_cmp_lg_u32 s7, 0
	s_waitcnt lgkmcnt(0)
	v_mul_hi_u32 v9, s11, v5
	v_add_nc_u32_e32 v9, v5, v9
	s_delay_alu instid0(VALU_DEP_1) | instskip(NEXT) | instid1(VALU_DEP_1)
	v_lshrrev_b32_e32 v12, s14, v9
	v_mul_lo_u32 v9, v12, s10
	s_delay_alu instid0(VALU_DEP_1) | instskip(NEXT) | instid1(VALU_DEP_1)
	v_sub_nc_u32_e32 v5, v5, v9
	v_mad_u64_u32 v[9:10], null, v5, s12, v[2:3]
	v_mad_u64_u32 v[10:11], null, v5, s13, v[6:7]
	s_delay_alu instid0(VALU_DEP_2) | instskip(NEXT) | instid1(VALU_DEP_2)
	v_dual_mov_b32 v5, v12 :: v_dual_mov_b32 v2, v9
	v_mov_b32_e32 v6, v10
	s_cbranch_scc1 .LBB345_1107
.LBB345_1108:
	s_and_not1_b32 vcc_lo, exec_lo, s6
	s_cbranch_vccnz .LBB345_1111
; %bb.1109:
	s_clause 0x1
	s_load_b128 s[4:7], s[16:17], 0x4
	s_load_b64 s[2:3], s[16:17], 0xc4
	s_cmp_lt_u32 s26, 2
	s_waitcnt lgkmcnt(0)
	v_mul_hi_u32 v2, s5, v1
	s_delay_alu instid0(VALU_DEP_1) | instskip(SKIP_1) | instid1(VALU_DEP_1)
	v_add_nc_u32_e32 v2, v1, v2
	s_waitcnt vmcnt(0)
	v_lshrrev_b32_e32 v5, s6, v2
	s_delay_alu instid0(VALU_DEP_1) | instskip(NEXT) | instid1(VALU_DEP_1)
	v_mul_lo_u32 v2, v5, s4
	v_sub_nc_u32_e32 v1, v1, v2
	s_delay_alu instid0(VALU_DEP_1)
	v_mul_lo_u32 v2, v1, s2
	v_mul_lo_u32 v6, v1, s3
	s_cbranch_scc1 .LBB345_1111
; %bb.1110:
	s_clause 0x1
	s_load_b128 s[4:7], s[16:17], 0x10
	s_load_b64 s[2:3], s[16:17], 0xcc
	s_waitcnt lgkmcnt(0)
	v_mul_hi_u32 v1, s5, v5
	s_delay_alu instid0(VALU_DEP_1) | instskip(NEXT) | instid1(VALU_DEP_1)
	v_add_nc_u32_e32 v1, v5, v1
	v_lshrrev_b32_e32 v1, s6, v1
	s_delay_alu instid0(VALU_DEP_1) | instskip(NEXT) | instid1(VALU_DEP_1)
	v_mul_lo_u32 v1, v1, s4
	v_sub_nc_u32_e32 v5, v5, v1
	s_delay_alu instid0(VALU_DEP_1) | instskip(SKIP_1) | instid1(VALU_DEP_2)
	v_mad_u64_u32 v[9:10], null, v5, s2, v[2:3]
	v_mad_u64_u32 v[1:2], null, v5, s3, v[6:7]
	v_mov_b32_e32 v2, v9
	s_delay_alu instid0(VALU_DEP_2)
	v_mov_b32_e32 v6, v1
.LBB345_1111:
	v_cmp_ne_u32_e32 vcc_lo, 1, v0
	v_add_nc_u32_e32 v4, 0x100, v4
	s_cbranch_vccnz .LBB345_1117
; %bb.1112:
	v_mov_b32_e32 v1, 0
	s_waitcnt vmcnt(0)
	v_mov_b32_e32 v5, 0
	s_cmp_lg_u32 s26, 0
	s_mov_b32 s6, 0
	s_cbranch_scc0 .LBB345_1121
; %bb.1113:
	s_min_u32 s7, s27, 15
	v_mov_b32_e32 v1, 0
	s_add_i32 s7, s7, 1
	s_cmp_eq_u32 s27, 2
	s_mov_b32 s10, 0
	s_cbranch_scc1 .LBB345_1118
; %bb.1114:
	v_mov_b32_e32 v5, 0
	v_mov_b32_e32 v1, 0
	v_mov_b32_e32 v9, v4
	s_add_u32 s2, s16, 0xc4
	s_addc_u32 s3, s17, 0
	s_and_b32 s10, s7, 28
	s_mov_b32 s11, 0
	s_mov_b64 s[4:5], s[16:17]
.LBB345_1115:                           ; =>This Inner Loop Header: Depth=1
	s_clause 0x1
	s_load_b256 s[36:43], s[4:5], 0x4
	s_load_b128 s[12:15], s[4:5], 0x24
	s_load_b256 s[44:51], s[2:3], 0x0
	s_add_u32 s4, s4, 48
	s_addc_u32 s5, s5, 0
	s_add_i32 s11, s11, 4
	s_add_u32 s2, s2, 32
	s_addc_u32 s3, s3, 0
	s_cmp_lg_u32 s10, s11
	s_waitcnt lgkmcnt(0)
	v_mul_hi_u32 v10, s37, v9
	s_delay_alu instid0(VALU_DEP_1) | instskip(NEXT) | instid1(VALU_DEP_1)
	v_add_nc_u32_e32 v10, v9, v10
	v_lshrrev_b32_e32 v10, s38, v10
	s_delay_alu instid0(VALU_DEP_1) | instskip(SKIP_1) | instid1(VALU_DEP_2)
	v_mul_hi_u32 v11, s40, v10
	v_mul_lo_u32 v13, v10, s36
	v_add_nc_u32_e32 v11, v10, v11
	s_delay_alu instid0(VALU_DEP_2) | instskip(NEXT) | instid1(VALU_DEP_2)
	v_sub_nc_u32_e32 v9, v9, v13
	v_lshrrev_b32_e32 v11, s41, v11
	s_delay_alu instid0(VALU_DEP_2) | instskip(SKIP_1) | instid1(VALU_DEP_3)
	v_mul_lo_u32 v13, v9, s44
	v_mul_lo_u32 v15, v9, s45
	v_mul_hi_u32 v12, s43, v11
	s_delay_alu instid0(VALU_DEP_1) | instskip(NEXT) | instid1(VALU_DEP_1)
	v_add_nc_u32_e32 v12, v11, v12
	v_lshrrev_b32_e32 v12, s12, v12
	s_delay_alu instid0(VALU_DEP_1) | instskip(SKIP_1) | instid1(VALU_DEP_2)
	v_mul_hi_u32 v14, s14, v12
	v_mul_lo_u32 v16, v12, s42
	v_add_nc_u32_e32 v9, v12, v14
	v_mul_lo_u32 v14, v11, s39
	s_delay_alu instid0(VALU_DEP_3) | instskip(NEXT) | instid1(VALU_DEP_3)
	v_sub_nc_u32_e32 v11, v11, v16
	v_lshrrev_b32_e32 v9, s15, v9
	s_delay_alu instid0(VALU_DEP_2) | instskip(SKIP_2) | instid1(VALU_DEP_4)
	v_mul_lo_u32 v16, v11, s48
	v_mul_lo_u32 v11, v11, s49
	v_sub_nc_u32_e32 v10, v10, v14
	v_mul_lo_u32 v17, v9, s13
	s_delay_alu instid0(VALU_DEP_2) | instskip(SKIP_1) | instid1(VALU_DEP_3)
	v_mul_lo_u32 v14, v10, s46
	v_mul_lo_u32 v10, v10, s47
	v_sub_nc_u32_e32 v12, v12, v17
	s_delay_alu instid0(VALU_DEP_3) | instskip(NEXT) | instid1(VALU_DEP_2)
	v_add3_u32 v1, v13, v1, v14
	v_mul_lo_u32 v17, v12, s50
	v_mul_lo_u32 v12, v12, s51
	v_add3_u32 v5, v15, v5, v10
	s_delay_alu instid0(VALU_DEP_3) | instskip(NEXT) | instid1(VALU_DEP_2)
	v_add3_u32 v1, v16, v1, v17
	v_add3_u32 v5, v11, v5, v12
	s_cbranch_scc1 .LBB345_1115
; %bb.1116:
	s_and_b32 s7, s7, 3
	s_delay_alu instid0(SALU_CYCLE_1)
	s_cmp_eq_u32 s7, 0
	s_cbranch_scc0 .LBB345_1119
	s_branch .LBB345_1121
.LBB345_1117:
	s_mov_b32 s6, -1
                                        ; implicit-def: $vgpr1
                                        ; implicit-def: $vgpr5
	s_branch .LBB345_1121
.LBB345_1118:
	v_mov_b32_e32 v9, v4
	v_mov_b32_e32 v5, 0
	s_and_b32 s7, s7, 3
	s_delay_alu instid0(SALU_CYCLE_1)
	s_cmp_eq_u32 s7, 0
	s_cbranch_scc1 .LBB345_1121
.LBB345_1119:
	s_lshl_b32 s2, s10, 3
	s_mul_i32 s4, s10, 12
	s_add_u32 s2, s2, s16
	s_addc_u32 s3, 0, s17
	s_add_u32 s2, s2, 0xc4
	s_addc_u32 s3, s3, 0
	;; [unrolled: 2-line block ×3, first 2 shown]
	.p2align	6
.LBB345_1120:                           ; =>This Inner Loop Header: Depth=1
	s_clause 0x1
	s_load_b64 s[10:11], s[4:5], 0x4
	s_load_b32 s14, s[4:5], 0xc
	s_load_b64 s[12:13], s[2:3], 0x0
	s_add_u32 s4, s4, 12
	s_addc_u32 s5, s5, 0
	s_add_u32 s2, s2, 8
	s_addc_u32 s3, s3, 0
	s_add_i32 s7, s7, -1
	s_delay_alu instid0(SALU_CYCLE_1) | instskip(SKIP_2) | instid1(VALU_DEP_1)
	s_cmp_lg_u32 s7, 0
	s_waitcnt lgkmcnt(0)
	v_mul_hi_u32 v10, s11, v9
	v_add_nc_u32_e32 v10, v9, v10
	s_delay_alu instid0(VALU_DEP_1) | instskip(NEXT) | instid1(VALU_DEP_1)
	v_lshrrev_b32_e32 v13, s14, v10
	v_mul_lo_u32 v10, v13, s10
	s_delay_alu instid0(VALU_DEP_1) | instskip(NEXT) | instid1(VALU_DEP_1)
	v_sub_nc_u32_e32 v9, v9, v10
	v_mad_u64_u32 v[10:11], null, v9, s12, v[1:2]
	v_mad_u64_u32 v[11:12], null, v9, s13, v[5:6]
	v_mov_b32_e32 v9, v13
	s_delay_alu instid0(VALU_DEP_3) | instskip(NEXT) | instid1(VALU_DEP_3)
	v_mov_b32_e32 v1, v10
	v_mov_b32_e32 v5, v11
	s_cbranch_scc1 .LBB345_1120
.LBB345_1121:
	s_and_not1_b32 vcc_lo, exec_lo, s6
	s_cbranch_vccnz .LBB345_1124
; %bb.1122:
	s_clause 0x1
	s_load_b128 s[4:7], s[16:17], 0x4
	s_load_b64 s[2:3], s[16:17], 0xc4
	s_cmp_lt_u32 s26, 2
	s_waitcnt lgkmcnt(0)
	v_mul_hi_u32 v1, s5, v4
	s_delay_alu instid0(VALU_DEP_1) | instskip(NEXT) | instid1(VALU_DEP_1)
	v_add_nc_u32_e32 v1, v4, v1
	v_lshrrev_b32_e32 v9, s6, v1
	s_delay_alu instid0(VALU_DEP_1) | instskip(NEXT) | instid1(VALU_DEP_1)
	v_mul_lo_u32 v1, v9, s4
	v_sub_nc_u32_e32 v4, v4, v1
	s_delay_alu instid0(VALU_DEP_1)
	v_mul_lo_u32 v1, v4, s2
	s_waitcnt vmcnt(0)
	v_mul_lo_u32 v5, v4, s3
	s_cbranch_scc1 .LBB345_1124
; %bb.1123:
	s_clause 0x1
	s_load_b128 s[4:7], s[16:17], 0x10
	s_load_b64 s[2:3], s[16:17], 0xcc
	s_waitcnt lgkmcnt(0)
	v_mul_hi_u32 v4, s5, v9
	s_delay_alu instid0(VALU_DEP_1) | instskip(NEXT) | instid1(VALU_DEP_1)
	v_add_nc_u32_e32 v4, v9, v4
	v_lshrrev_b32_e32 v4, s6, v4
	s_delay_alu instid0(VALU_DEP_1) | instskip(NEXT) | instid1(VALU_DEP_1)
	v_mul_lo_u32 v4, v4, s4
	v_sub_nc_u32_e32 v4, v9, v4
	s_delay_alu instid0(VALU_DEP_1) | instskip(SKIP_1) | instid1(VALU_DEP_2)
	v_mad_u64_u32 v[9:10], null, v4, s2, v[1:2]
	v_mad_u64_u32 v[10:11], null, v4, s3, v[5:6]
	v_mov_b32_e32 v1, v9
	s_delay_alu instid0(VALU_DEP_2)
	v_mov_b32_e32 v5, v10
.LBB345_1124:
	v_cmp_ne_u32_e32 vcc_lo, 1, v0
	s_cbranch_vccnz .LBB345_1130
; %bb.1125:
	v_mov_b32_e32 v0, 0
	v_mov_b32_e32 v4, 0
	s_cmp_lg_u32 s26, 0
	s_mov_b32 s6, 0
	s_cbranch_scc0 .LBB345_1134
; %bb.1126:
	s_min_u32 s7, s27, 15
	v_mov_b32_e32 v0, 0
	s_add_i32 s7, s7, 1
	s_cmp_eq_u32 s27, 2
	s_mov_b32 s10, 0
	s_cbranch_scc1 .LBB345_1131
; %bb.1127:
	v_dual_mov_b32 v4, 0 :: v_dual_mov_b32 v9, v8
	v_mov_b32_e32 v0, 0
	s_add_u32 s2, s16, 0xc4
	s_addc_u32 s3, s17, 0
	s_and_b32 s10, s7, 28
	s_mov_b32 s11, 0
	s_mov_b64 s[4:5], s[16:17]
.LBB345_1128:                           ; =>This Inner Loop Header: Depth=1
	s_clause 0x1
	s_load_b256 s[36:43], s[4:5], 0x4
	s_load_b128 s[12:15], s[4:5], 0x24
	s_load_b256 s[44:51], s[2:3], 0x0
	s_add_u32 s4, s4, 48
	s_addc_u32 s5, s5, 0
	s_add_i32 s11, s11, 4
	s_add_u32 s2, s2, 32
	s_addc_u32 s3, s3, 0
	s_cmp_lg_u32 s10, s11
	s_waitcnt lgkmcnt(0)
	v_mul_hi_u32 v10, s37, v9
	s_delay_alu instid0(VALU_DEP_1) | instskip(NEXT) | instid1(VALU_DEP_1)
	v_add_nc_u32_e32 v10, v9, v10
	v_lshrrev_b32_e32 v10, s38, v10
	s_delay_alu instid0(VALU_DEP_1) | instskip(SKIP_1) | instid1(VALU_DEP_2)
	v_mul_hi_u32 v11, s40, v10
	v_mul_lo_u32 v13, v10, s36
	v_add_nc_u32_e32 v11, v10, v11
	s_delay_alu instid0(VALU_DEP_2) | instskip(NEXT) | instid1(VALU_DEP_2)
	v_sub_nc_u32_e32 v9, v9, v13
	v_lshrrev_b32_e32 v11, s41, v11
	s_delay_alu instid0(VALU_DEP_2) | instskip(SKIP_1) | instid1(VALU_DEP_3)
	v_mul_lo_u32 v13, v9, s44
	v_mul_lo_u32 v15, v9, s45
	v_mul_hi_u32 v12, s43, v11
	s_delay_alu instid0(VALU_DEP_1) | instskip(NEXT) | instid1(VALU_DEP_1)
	v_add_nc_u32_e32 v12, v11, v12
	v_lshrrev_b32_e32 v12, s12, v12
	s_delay_alu instid0(VALU_DEP_1) | instskip(SKIP_1) | instid1(VALU_DEP_2)
	v_mul_hi_u32 v14, s14, v12
	v_mul_lo_u32 v16, v12, s42
	v_add_nc_u32_e32 v9, v12, v14
	v_mul_lo_u32 v14, v11, s39
	s_delay_alu instid0(VALU_DEP_3) | instskip(NEXT) | instid1(VALU_DEP_3)
	v_sub_nc_u32_e32 v11, v11, v16
	v_lshrrev_b32_e32 v9, s15, v9
	s_delay_alu instid0(VALU_DEP_2) | instskip(SKIP_2) | instid1(VALU_DEP_4)
	v_mul_lo_u32 v16, v11, s48
	v_mul_lo_u32 v11, v11, s49
	v_sub_nc_u32_e32 v10, v10, v14
	v_mul_lo_u32 v17, v9, s13
	s_delay_alu instid0(VALU_DEP_2) | instskip(SKIP_1) | instid1(VALU_DEP_3)
	v_mul_lo_u32 v14, v10, s46
	v_mul_lo_u32 v10, v10, s47
	v_sub_nc_u32_e32 v12, v12, v17
	s_delay_alu instid0(VALU_DEP_3) | instskip(NEXT) | instid1(VALU_DEP_2)
	v_add3_u32 v0, v13, v0, v14
	v_mul_lo_u32 v17, v12, s50
	v_mul_lo_u32 v12, v12, s51
	v_add3_u32 v4, v15, v4, v10
	s_delay_alu instid0(VALU_DEP_3) | instskip(NEXT) | instid1(VALU_DEP_2)
	v_add3_u32 v0, v16, v0, v17
	v_add3_u32 v4, v11, v4, v12
	s_cbranch_scc1 .LBB345_1128
; %bb.1129:
	s_and_b32 s7, s7, 3
	s_delay_alu instid0(SALU_CYCLE_1)
	s_cmp_eq_u32 s7, 0
	s_cbranch_scc0 .LBB345_1132
	s_branch .LBB345_1134
.LBB345_1130:
	s_mov_b32 s6, -1
                                        ; implicit-def: $vgpr0
                                        ; implicit-def: $vgpr4
	s_branch .LBB345_1134
.LBB345_1131:
	v_dual_mov_b32 v9, v8 :: v_dual_mov_b32 v4, 0
	s_and_b32 s7, s7, 3
	s_delay_alu instid0(SALU_CYCLE_1)
	s_cmp_eq_u32 s7, 0
	s_cbranch_scc1 .LBB345_1134
.LBB345_1132:
	s_lshl_b32 s2, s10, 3
	s_mul_i32 s4, s10, 12
	s_add_u32 s2, s2, s16
	s_addc_u32 s3, 0, s17
	s_add_u32 s2, s2, 0xc4
	s_addc_u32 s3, s3, 0
	;; [unrolled: 2-line block ×3, first 2 shown]
	.p2align	6
.LBB345_1133:                           ; =>This Inner Loop Header: Depth=1
	s_clause 0x1
	s_load_b64 s[10:11], s[4:5], 0x4
	s_load_b32 s14, s[4:5], 0xc
	s_load_b64 s[12:13], s[2:3], 0x0
	s_add_u32 s4, s4, 12
	s_addc_u32 s5, s5, 0
	s_add_u32 s2, s2, 8
	s_addc_u32 s3, s3, 0
	s_add_i32 s7, s7, -1
	s_delay_alu instid0(SALU_CYCLE_1) | instskip(SKIP_2) | instid1(VALU_DEP_1)
	s_cmp_lg_u32 s7, 0
	s_waitcnt lgkmcnt(0)
	v_mul_hi_u32 v10, s11, v9
	v_add_nc_u32_e32 v10, v9, v10
	s_delay_alu instid0(VALU_DEP_1) | instskip(NEXT) | instid1(VALU_DEP_1)
	v_lshrrev_b32_e32 v13, s14, v10
	v_mul_lo_u32 v10, v13, s10
	s_delay_alu instid0(VALU_DEP_1) | instskip(NEXT) | instid1(VALU_DEP_1)
	v_sub_nc_u32_e32 v9, v9, v10
	v_mad_u64_u32 v[10:11], null, v9, s12, v[0:1]
	s_waitcnt vmcnt(0)
	v_mad_u64_u32 v[11:12], null, v9, s13, v[4:5]
	s_delay_alu instid0(VALU_DEP_2) | instskip(NEXT) | instid1(VALU_DEP_2)
	v_dual_mov_b32 v9, v13 :: v_dual_mov_b32 v0, v10
	v_mov_b32_e32 v4, v11
	s_cbranch_scc1 .LBB345_1133
.LBB345_1134:
	s_and_not1_b32 vcc_lo, exec_lo, s6
	s_cbranch_vccnz .LBB345_1137
; %bb.1135:
	s_clause 0x1
	s_load_b128 s[4:7], s[16:17], 0x4
	s_load_b64 s[2:3], s[16:17], 0xc4
	s_cmp_lt_u32 s26, 2
	s_waitcnt lgkmcnt(0)
	v_mul_hi_u32 v0, s5, v8
	s_delay_alu instid0(VALU_DEP_1) | instskip(NEXT) | instid1(VALU_DEP_1)
	v_add_nc_u32_e32 v0, v8, v0
	v_lshrrev_b32_e32 v9, s6, v0
	s_delay_alu instid0(VALU_DEP_1) | instskip(NEXT) | instid1(VALU_DEP_1)
	v_mul_lo_u32 v0, v9, s4
	v_sub_nc_u32_e32 v4, v8, v0
	s_delay_alu instid0(VALU_DEP_1)
	v_mul_lo_u32 v0, v4, s2
	v_mul_lo_u32 v4, v4, s3
	s_cbranch_scc1 .LBB345_1137
; %bb.1136:
	s_clause 0x1
	s_load_b128 s[4:7], s[16:17], 0x10
	s_load_b64 s[2:3], s[16:17], 0xcc
	s_waitcnt lgkmcnt(0)
	v_mul_hi_u32 v8, s5, v9
	s_delay_alu instid0(VALU_DEP_1) | instskip(NEXT) | instid1(VALU_DEP_1)
	v_add_nc_u32_e32 v8, v9, v8
	v_lshrrev_b32_e32 v8, s6, v8
	s_delay_alu instid0(VALU_DEP_1) | instskip(NEXT) | instid1(VALU_DEP_1)
	v_mul_lo_u32 v8, v8, s4
	v_sub_nc_u32_e32 v11, v9, v8
	s_delay_alu instid0(VALU_DEP_1) | instskip(SKIP_2) | instid1(VALU_DEP_2)
	v_mad_u64_u32 v[8:9], null, v11, s2, v[0:1]
	s_waitcnt vmcnt(0)
	v_mad_u64_u32 v[9:10], null, v11, s3, v[4:5]
	v_mov_b32_e32 v0, v8
	s_delay_alu instid0(VALU_DEP_2)
	v_mov_b32_e32 v4, v9
.LBB345_1137:
	s_clause 0x1
	s_load_b32 s0, s[0:1], 0x164
	s_load_b128 s[4:7], s[16:17], 0x148
	s_mov_b32 s3, 0
	s_waitcnt lgkmcnt(0)
	s_lshr_b32 s0, s0, 8
	s_delay_alu instid0(SALU_CYCLE_1) | instskip(SKIP_1) | instid1(VALU_DEP_1)
	v_and_b32_e64 v10, 0xff, s0
	v_add_co_u32 v7, s0, s6, v7
	v_add_co_ci_u32_e64 v8, null, s7, 0, s0
	s_delay_alu instid0(VALU_DEP_3)
	v_cmp_gt_i16_e32 vcc_lo, 11, v10
	s_cbranch_vccnz .LBB345_1144
; %bb.1138:
	v_cmp_lt_i16_e32 vcc_lo, 25, v10
	s_mov_b32 s2, 0
	s_cbranch_vccz .LBB345_1150
; %bb.1139:
	v_cmp_lt_i16_e32 vcc_lo, 28, v10
	s_cbranch_vccz .LBB345_1152
; %bb.1140:
	v_cmp_lt_i16_e32 vcc_lo, 43, v10
	s_cbranch_vccz .LBB345_1154
; %bb.1141:
	v_cmp_lt_i16_e32 vcc_lo, 45, v10
	s_cbranch_vccz .LBB345_1158
; %bb.1142:
	v_cmp_eq_u16_e32 vcc_lo, 46, v10
	s_mov_b32 s1, 0
	s_cbranch_vccz .LBB345_1200
; %bb.1143:
	global_load_b32 v9, v[7:8], off
	s_mov_b32 s0, 0
	s_mov_b32 s3, -1
	s_branch .LBB345_1202
.LBB345_1144:
	s_mov_b32 s1, s8
                                        ; implicit-def: $vgpr9
	s_cbranch_execz .LBB345_1265
; %bb.1145:
	v_cmp_gt_i16_e32 vcc_lo, 5, v10
	s_cbranch_vccnz .LBB345_1151
; %bb.1146:
	v_cmp_gt_i16_e32 vcc_lo, 8, v10
	s_cbranch_vccnz .LBB345_1153
	;; [unrolled: 3-line block ×3, first 2 shown]
; %bb.1148:
	v_cmp_lt_i16_e32 vcc_lo, 9, v10
	s_cbranch_vccz .LBB345_1159
; %bb.1149:
	global_load_b64 v[11:12], v[7:8], off
	s_mov_b32 s0, 0
	s_waitcnt vmcnt(0)
	v_cvt_f32_f64_e32 v9, v[11:12]
	s_delay_alu instid0(VALU_DEP_1) | instskip(SKIP_1) | instid1(VALU_DEP_2)
	v_bfe_u32 v11, v9, 16, 1
	v_cmp_o_f32_e32 vcc_lo, v9, v9
	v_add3_u32 v11, v9, v11, 0x7fff
	s_delay_alu instid0(VALU_DEP_1) | instskip(NEXT) | instid1(VALU_DEP_1)
	v_lshrrev_b32_e32 v11, 16, v11
	v_cndmask_b32_e32 v9, 0x7fc0, v11, vcc_lo
	s_branch .LBB345_1160
.LBB345_1150:
	s_mov_b32 s0, 0
                                        ; implicit-def: $vgpr9
	s_cbranch_execnz .LBB345_1230
	s_branch .LBB345_1261
.LBB345_1151:
                                        ; implicit-def: $vgpr9
	s_branch .LBB345_1177
.LBB345_1152:
	s_mov_b32 s1, -1
	s_mov_b32 s0, 0
                                        ; implicit-def: $vgpr9
	s_branch .LBB345_1211
.LBB345_1153:
                                        ; implicit-def: $vgpr9
	s_branch .LBB345_1166
.LBB345_1154:
	s_mov_b32 s0, 0
                                        ; implicit-def: $vgpr9
	s_cbranch_execnz .LBB345_1207
	s_branch .LBB345_1210
.LBB345_1155:
	s_mov_b32 s0, -1
                                        ; implicit-def: $vgpr9
	s_branch .LBB345_1163
.LBB345_1156:
	s_cbranch_execnz .LBB345_1198
; %bb.1157:
	s_or_b32 s3, s3, exec_lo
	s_and_not1_b32 s8, s8, exec_lo
	s_or_b32 exec_lo, exec_lo, s2
	s_and_saveexec_b32 s2, s8
	s_delay_alu instid0(SALU_CYCLE_1)
	s_xor_b32 s2, exec_lo, s2
	s_cbranch_execnz .LBB345_1044
	s_branch .LBB345_1045
.LBB345_1158:
	s_mov_b32 s1, -1
	s_mov_b32 s0, 0
	s_branch .LBB345_1201
.LBB345_1159:
	s_mov_b32 s0, -1
                                        ; implicit-def: $vgpr9
.LBB345_1160:
	s_delay_alu instid0(SALU_CYCLE_1)
	s_and_not1_b32 vcc_lo, exec_lo, s0
	s_cbranch_vccnz .LBB345_1162
; %bb.1161:
	global_load_b32 v9, v[7:8], off
	s_waitcnt vmcnt(0)
	v_bfe_u32 v11, v9, 16, 1
	v_cmp_o_f32_e32 vcc_lo, v9, v9
	s_delay_alu instid0(VALU_DEP_2) | instskip(NEXT) | instid1(VALU_DEP_1)
	v_add3_u32 v11, v9, v11, 0x7fff
	v_lshrrev_b32_e32 v11, 16, v11
	s_delay_alu instid0(VALU_DEP_1)
	v_cndmask_b32_e32 v9, 0x7fc0, v11, vcc_lo
.LBB345_1162:
	s_mov_b32 s0, 0
.LBB345_1163:
	s_delay_alu instid0(SALU_CYCLE_1)
	s_and_not1_b32 vcc_lo, exec_lo, s0
	s_cbranch_vccnz .LBB345_1165
; %bb.1164:
	global_load_b32 v9, v[7:8], off
	s_waitcnt vmcnt(0)
	v_cvt_f32_f16_e32 v11, v9
	v_cmp_o_f16_e32 vcc_lo, v9, v9
	s_delay_alu instid0(VALU_DEP_2) | instskip(NEXT) | instid1(VALU_DEP_1)
	v_bfe_u32 v12, v11, 16, 1
	v_add3_u32 v11, v11, v12, 0x7fff
	s_delay_alu instid0(VALU_DEP_1) | instskip(NEXT) | instid1(VALU_DEP_1)
	v_lshrrev_b32_e32 v11, 16, v11
	v_cndmask_b32_e32 v9, 0x7fc0, v11, vcc_lo
.LBB345_1165:
	s_cbranch_execnz .LBB345_1176
.LBB345_1166:
	v_cmp_gt_i16_e32 vcc_lo, 6, v10
	s_cbranch_vccnz .LBB345_1169
; %bb.1167:
	v_cmp_lt_i16_e32 vcc_lo, 6, v10
	s_cbranch_vccz .LBB345_1170
; %bb.1168:
	global_load_b64 v[11:12], v[7:8], off
	s_mov_b32 s0, 0
	s_waitcnt vmcnt(0)
	v_cvt_f32_f64_e32 v9, v[11:12]
	s_delay_alu instid0(VALU_DEP_1) | instskip(SKIP_1) | instid1(VALU_DEP_2)
	v_bfe_u32 v11, v9, 16, 1
	v_cmp_o_f32_e32 vcc_lo, v9, v9
	v_add3_u32 v11, v9, v11, 0x7fff
	s_delay_alu instid0(VALU_DEP_1) | instskip(NEXT) | instid1(VALU_DEP_1)
	v_lshrrev_b32_e32 v11, 16, v11
	v_cndmask_b32_e32 v9, 0x7fc0, v11, vcc_lo
	s_branch .LBB345_1171
.LBB345_1169:
	s_mov_b32 s0, -1
                                        ; implicit-def: $vgpr9
	s_branch .LBB345_1174
.LBB345_1170:
	s_mov_b32 s0, -1
                                        ; implicit-def: $vgpr9
.LBB345_1171:
	s_delay_alu instid0(SALU_CYCLE_1)
	s_and_not1_b32 vcc_lo, exec_lo, s0
	s_cbranch_vccnz .LBB345_1173
; %bb.1172:
	global_load_b32 v9, v[7:8], off
	s_waitcnt vmcnt(0)
	v_bfe_u32 v11, v9, 16, 1
	v_cmp_o_f32_e32 vcc_lo, v9, v9
	s_delay_alu instid0(VALU_DEP_2) | instskip(NEXT) | instid1(VALU_DEP_1)
	v_add3_u32 v11, v9, v11, 0x7fff
	v_lshrrev_b32_e32 v11, 16, v11
	s_delay_alu instid0(VALU_DEP_1)
	v_cndmask_b32_e32 v9, 0x7fc0, v11, vcc_lo
.LBB345_1173:
	s_mov_b32 s0, 0
.LBB345_1174:
	s_delay_alu instid0(SALU_CYCLE_1)
	s_and_not1_b32 vcc_lo, exec_lo, s0
	s_cbranch_vccnz .LBB345_1176
; %bb.1175:
	global_load_u16 v9, v[7:8], off
	s_waitcnt vmcnt(0)
	v_cvt_f32_f16_e32 v11, v9
	v_cmp_o_f16_e32 vcc_lo, v9, v9
	s_delay_alu instid0(VALU_DEP_2) | instskip(NEXT) | instid1(VALU_DEP_1)
	v_bfe_u32 v12, v11, 16, 1
	v_add3_u32 v11, v11, v12, 0x7fff
	s_delay_alu instid0(VALU_DEP_1) | instskip(NEXT) | instid1(VALU_DEP_1)
	v_lshrrev_b32_e32 v11, 16, v11
	v_cndmask_b32_e32 v9, 0x7fc0, v11, vcc_lo
.LBB345_1176:
	s_cbranch_execnz .LBB345_1195
.LBB345_1177:
	v_cmp_gt_i16_e32 vcc_lo, 2, v10
	s_cbranch_vccnz .LBB345_1181
; %bb.1178:
	v_cmp_gt_i16_e32 vcc_lo, 3, v10
	s_cbranch_vccnz .LBB345_1182
; %bb.1179:
	v_cmp_lt_i16_e32 vcc_lo, 3, v10
	s_cbranch_vccz .LBB345_1183
; %bb.1180:
	global_load_b64 v[11:12], v[7:8], off
	s_mov_b32 s0, 0
	s_waitcnt vmcnt(0)
	v_xor_b32_e32 v9, v11, v12
	v_cls_i32_e32 v13, v12
	s_delay_alu instid0(VALU_DEP_2) | instskip(NEXT) | instid1(VALU_DEP_2)
	v_ashrrev_i32_e32 v9, 31, v9
	v_add_nc_u32_e32 v13, -1, v13
	s_delay_alu instid0(VALU_DEP_2) | instskip(NEXT) | instid1(VALU_DEP_1)
	v_add_nc_u32_e32 v9, 32, v9
	v_min_u32_e32 v9, v13, v9
	s_delay_alu instid0(VALU_DEP_1) | instskip(SKIP_1) | instid1(VALU_DEP_2)
	v_lshlrev_b64 v[11:12], v9, v[11:12]
	v_sub_nc_u32_e32 v9, 32, v9
	v_min_u32_e32 v11, 1, v11
	s_delay_alu instid0(VALU_DEP_1) | instskip(NEXT) | instid1(VALU_DEP_1)
	v_or_b32_e32 v11, v12, v11
	v_cvt_f32_i32_e32 v11, v11
	s_delay_alu instid0(VALU_DEP_1) | instskip(NEXT) | instid1(VALU_DEP_1)
	v_ldexp_f32 v9, v11, v9
	v_bfe_u32 v11, v9, 16, 1
	s_delay_alu instid0(VALU_DEP_1) | instskip(NEXT) | instid1(VALU_DEP_1)
	v_add3_u32 v9, v9, v11, 0x7fff
	v_lshrrev_b32_e32 v9, 16, v9
	s_branch .LBB345_1184
.LBB345_1181:
                                        ; implicit-def: $vgpr9
	s_branch .LBB345_1190
.LBB345_1182:
	s_mov_b32 s0, -1
                                        ; implicit-def: $vgpr9
	s_branch .LBB345_1187
.LBB345_1183:
	s_mov_b32 s0, -1
                                        ; implicit-def: $vgpr9
.LBB345_1184:
	s_delay_alu instid0(SALU_CYCLE_1)
	s_and_not1_b32 vcc_lo, exec_lo, s0
	s_cbranch_vccnz .LBB345_1186
; %bb.1185:
	global_load_b32 v9, v[7:8], off
	s_waitcnt vmcnt(0)
	v_cvt_f32_i32_e32 v9, v9
	s_delay_alu instid0(VALU_DEP_1) | instskip(NEXT) | instid1(VALU_DEP_1)
	v_bfe_u32 v11, v9, 16, 1
	v_add3_u32 v9, v9, v11, 0x7fff
	s_delay_alu instid0(VALU_DEP_1)
	v_lshrrev_b32_e32 v9, 16, v9
.LBB345_1186:
	s_mov_b32 s0, 0
.LBB345_1187:
	s_delay_alu instid0(SALU_CYCLE_1)
	s_and_not1_b32 vcc_lo, exec_lo, s0
	s_cbranch_vccnz .LBB345_1189
; %bb.1188:
	global_load_i16 v9, v[7:8], off
	s_waitcnt vmcnt(0)
	v_cvt_f32_i32_e32 v9, v9
	s_delay_alu instid0(VALU_DEP_1) | instskip(NEXT) | instid1(VALU_DEP_1)
	v_bfe_u32 v11, v9, 16, 1
	v_add3_u32 v9, v9, v11, 0x7fff
	s_delay_alu instid0(VALU_DEP_1)
	v_lshrrev_b32_e32 v9, 16, v9
.LBB345_1189:
	s_cbranch_execnz .LBB345_1195
.LBB345_1190:
	v_cmp_lt_i16_e32 vcc_lo, 0, v10
	s_mov_b32 s0, 0
	s_cbranch_vccz .LBB345_1192
; %bb.1191:
	global_load_i8 v9, v[7:8], off
	s_waitcnt vmcnt(0)
	v_cvt_f32_i32_e32 v9, v9
	s_delay_alu instid0(VALU_DEP_1) | instskip(NEXT) | instid1(VALU_DEP_1)
	v_bfe_u32 v11, v9, 16, 1
	v_add3_u32 v9, v9, v11, 0x7fff
	s_delay_alu instid0(VALU_DEP_1)
	v_lshrrev_b32_e32 v9, 16, v9
	s_branch .LBB345_1193
.LBB345_1192:
	s_mov_b32 s0, -1
                                        ; implicit-def: $vgpr9
.LBB345_1193:
	s_delay_alu instid0(SALU_CYCLE_1)
	s_and_not1_b32 vcc_lo, exec_lo, s0
	s_cbranch_vccnz .LBB345_1195
; %bb.1194:
	global_load_u8 v7, v[7:8], off
	s_waitcnt vmcnt(0)
	v_cvt_f32_ubyte0_e32 v7, v7
	s_delay_alu instid0(VALU_DEP_1) | instskip(NEXT) | instid1(VALU_DEP_1)
	v_bfe_u32 v8, v7, 16, 1
	v_add3_u32 v7, v7, v8, 0x7fff
	s_delay_alu instid0(VALU_DEP_1)
	v_lshrrev_b32_e32 v9, 16, v7
.LBB345_1195:
	s_branch .LBB345_1266
.LBB345_1196:
	s_trap 2
	s_sendmsg_rtn_b32 s0, sendmsg(MSG_RTN_GET_DOORBELL)
	s_mov_b32 ttmp2, m0
	s_waitcnt lgkmcnt(0)
	s_and_b32 s0, s0, 0x3ff
	s_delay_alu instid0(SALU_CYCLE_1) | instskip(NEXT) | instid1(SALU_CYCLE_1)
	s_bitset1_b32 s0, 10
	s_mov_b32 m0, s0
	s_sendmsg sendmsg(MSG_INTERRUPT)
	s_mov_b32 m0, ttmp2
.LBB345_1197:                           ; =>This Inner Loop Header: Depth=1
	s_sethalt 5
	s_branch .LBB345_1197
.LBB345_1198:
	s_trap 2
	s_sendmsg_rtn_b32 s0, sendmsg(MSG_RTN_GET_DOORBELL)
	s_mov_b32 ttmp2, m0
	s_waitcnt lgkmcnt(0)
	s_and_b32 s0, s0, 0x3ff
	s_delay_alu instid0(SALU_CYCLE_1) | instskip(NEXT) | instid1(SALU_CYCLE_1)
	s_bitset1_b32 s0, 10
	s_mov_b32 m0, s0
	s_sendmsg sendmsg(MSG_INTERRUPT)
	s_mov_b32 m0, ttmp2
.LBB345_1199:                           ; =>This Inner Loop Header: Depth=1
	s_sethalt 5
	s_branch .LBB345_1199
.LBB345_1200:
	s_mov_b32 s0, -1
.LBB345_1201:
                                        ; implicit-def: $vgpr9
.LBB345_1202:
	s_and_b32 vcc_lo, exec_lo, s1
	s_cbranch_vccz .LBB345_1205
; %bb.1203:
	v_cmp_eq_u16_e32 vcc_lo, 44, v10
	s_cbranch_vccz .LBB345_1206
; %bb.1204:
	global_load_u8 v9, v[7:8], off
	s_mov_b32 s0, 0
	s_mov_b32 s3, -1
	s_waitcnt vmcnt(0)
	v_lshlrev_b32_e32 v11, 23, v9
	v_cmp_ne_u32_e32 vcc_lo, 0xff, v9
	s_delay_alu instid0(VALU_DEP_2) | instskip(SKIP_1) | instid1(VALU_DEP_2)
	v_cndmask_b32_e32 v11, 0x7f800001, v11, vcc_lo
	v_cmp_ne_u32_e32 vcc_lo, 0, v9
	v_cndmask_b32_e32 v9, 0x400000, v11, vcc_lo
	s_delay_alu instid0(VALU_DEP_1) | instskip(SKIP_1) | instid1(VALU_DEP_2)
	v_add_nc_u32_e32 v11, 0x7fff, v9
	v_cmp_o_f32_e32 vcc_lo, v9, v9
	v_lshrrev_b32_e32 v11, 16, v11
	s_delay_alu instid0(VALU_DEP_1)
	v_cndmask_b32_e32 v9, 0x7fc0, v11, vcc_lo
.LBB345_1205:
	s_branch .LBB345_1210
.LBB345_1206:
	s_mov_b32 s0, -1
                                        ; implicit-def: $vgpr9
	s_branch .LBB345_1210
.LBB345_1207:
	v_cmp_eq_u16_e32 vcc_lo, 29, v10
	s_cbranch_vccz .LBB345_1209
; %bb.1208:
	global_load_b64 v[11:12], v[7:8], off
	s_mov_b32 s0, 0
	s_mov_b32 s3, -1
	s_mov_b32 s1, 0
	s_waitcnt vmcnt(0)
	v_clz_i32_u32_e32 v9, v12
	s_delay_alu instid0(VALU_DEP_1) | instskip(NEXT) | instid1(VALU_DEP_1)
	v_min_u32_e32 v9, 32, v9
	v_lshlrev_b64 v[11:12], v9, v[11:12]
	v_sub_nc_u32_e32 v9, 32, v9
	s_delay_alu instid0(VALU_DEP_2) | instskip(NEXT) | instid1(VALU_DEP_1)
	v_min_u32_e32 v11, 1, v11
	v_or_b32_e32 v11, v12, v11
	s_delay_alu instid0(VALU_DEP_1) | instskip(NEXT) | instid1(VALU_DEP_1)
	v_cvt_f32_u32_e32 v11, v11
	v_ldexp_f32 v9, v11, v9
	s_delay_alu instid0(VALU_DEP_1) | instskip(NEXT) | instid1(VALU_DEP_1)
	v_bfe_u32 v11, v9, 16, 1
	v_add3_u32 v9, v9, v11, 0x7fff
	s_delay_alu instid0(VALU_DEP_1)
	v_lshrrev_b32_e32 v9, 16, v9
	s_branch .LBB345_1211
.LBB345_1209:
	s_mov_b32 s0, -1
                                        ; implicit-def: $vgpr9
.LBB345_1210:
	s_mov_b32 s1, 0
.LBB345_1211:
	s_delay_alu instid0(SALU_CYCLE_1)
	s_and_b32 vcc_lo, exec_lo, s1
	s_cbranch_vccz .LBB345_1229
; %bb.1212:
	v_cmp_gt_i16_e32 vcc_lo, 27, v10
	s_cbranch_vccnz .LBB345_1215
; %bb.1213:
	v_cmp_lt_i16_e32 vcc_lo, 27, v10
	s_cbranch_vccz .LBB345_1216
; %bb.1214:
	global_load_b32 v9, v[7:8], off
	s_mov_b32 s1, 0
	s_waitcnt vmcnt(0)
	v_cvt_f32_u32_e32 v9, v9
	s_delay_alu instid0(VALU_DEP_1) | instskip(NEXT) | instid1(VALU_DEP_1)
	v_bfe_u32 v11, v9, 16, 1
	v_add3_u32 v9, v9, v11, 0x7fff
	s_delay_alu instid0(VALU_DEP_1)
	v_lshrrev_b32_e32 v9, 16, v9
	s_branch .LBB345_1217
.LBB345_1215:
	s_mov_b32 s1, -1
                                        ; implicit-def: $vgpr9
	s_branch .LBB345_1220
.LBB345_1216:
	s_mov_b32 s1, -1
                                        ; implicit-def: $vgpr9
.LBB345_1217:
	s_delay_alu instid0(SALU_CYCLE_1)
	s_and_not1_b32 vcc_lo, exec_lo, s1
	s_cbranch_vccnz .LBB345_1219
; %bb.1218:
	global_load_u16 v9, v[7:8], off
	s_waitcnt vmcnt(0)
	v_cvt_f32_u32_e32 v9, v9
	s_delay_alu instid0(VALU_DEP_1) | instskip(NEXT) | instid1(VALU_DEP_1)
	v_bfe_u32 v11, v9, 16, 1
	v_add3_u32 v9, v9, v11, 0x7fff
	s_delay_alu instid0(VALU_DEP_1)
	v_lshrrev_b32_e32 v9, 16, v9
.LBB345_1219:
	s_mov_b32 s1, 0
.LBB345_1220:
	s_delay_alu instid0(SALU_CYCLE_1)
	s_and_not1_b32 vcc_lo, exec_lo, s1
	s_cbranch_vccnz .LBB345_1228
; %bb.1221:
	global_load_u8 v9, v[7:8], off
	s_mov_b32 s1, 0
	s_mov_b32 s10, exec_lo
                                        ; implicit-def: $sgpr3
	s_waitcnt vmcnt(0)
	v_cmpx_lt_i16_e32 0x7f, v9
	s_xor_b32 s10, exec_lo, s10
	s_cbranch_execz .LBB345_1241
; %bb.1222:
	s_mov_b32 s1, -1
	s_mov_b32 s11, exec_lo
                                        ; implicit-def: $sgpr3
	v_cmpx_eq_u16_e32 0x80, v9
; %bb.1223:
	s_mov_b32 s3, 0x7f800001
	s_xor_b32 s1, exec_lo, -1
; %bb.1224:
	s_or_b32 exec_lo, exec_lo, s11
	s_delay_alu instid0(SALU_CYCLE_1)
	s_and_b32 s1, s1, exec_lo
	s_or_saveexec_b32 s10, s10
	v_mov_b32_e32 v11, s3
	s_xor_b32 exec_lo, exec_lo, s10
	s_cbranch_execnz .LBB345_1242
.LBB345_1225:
	s_or_b32 exec_lo, exec_lo, s10
	s_and_saveexec_b32 s3, s1
	s_cbranch_execz .LBB345_1227
.LBB345_1226:
	v_and_b32_e32 v11, 0xffff, v9
	v_lshlrev_b32_e32 v9, 24, v9
	s_delay_alu instid0(VALU_DEP_2) | instskip(NEXT) | instid1(VALU_DEP_2)
	v_and_b32_e32 v12, 7, v11
	v_and_b32_e32 v9, 0x80000000, v9
	s_delay_alu instid0(VALU_DEP_2) | instskip(NEXT) | instid1(VALU_DEP_1)
	v_clz_i32_u32_e32 v13, v12
	v_min_u32_e32 v13, 32, v13
	s_delay_alu instid0(VALU_DEP_1) | instskip(SKIP_1) | instid1(VALU_DEP_2)
	v_subrev_nc_u32_e32 v14, 28, v13
	v_sub_nc_u32_e32 v13, 29, v13
	v_lshlrev_b32_e32 v14, v14, v11
	v_bfe_u32 v11, v11, 3, 4
	s_delay_alu instid0(VALU_DEP_2) | instskip(NEXT) | instid1(VALU_DEP_2)
	v_and_b32_e32 v14, 7, v14
	v_cmp_eq_u32_e32 vcc_lo, 0, v11
	s_delay_alu instid0(VALU_DEP_2) | instskip(NEXT) | instid1(VALU_DEP_1)
	v_dual_cndmask_b32 v11, v11, v13 :: v_dual_cndmask_b32 v12, v12, v14
	v_lshl_add_u32 v11, v11, 23, 0x3b800000
	s_delay_alu instid0(VALU_DEP_2) | instskip(NEXT) | instid1(VALU_DEP_1)
	v_lshlrev_b32_e32 v12, 20, v12
	v_or3_b32 v11, v9, v11, v12
.LBB345_1227:
	s_or_b32 exec_lo, exec_lo, s3
	s_delay_alu instid0(VALU_DEP_1) | instskip(SKIP_1) | instid1(VALU_DEP_2)
	v_bfe_u32 v9, v11, 16, 1
	v_cmp_o_f32_e32 vcc_lo, v11, v11
	v_add3_u32 v9, v11, v9, 0x7fff
	s_delay_alu instid0(VALU_DEP_1) | instskip(NEXT) | instid1(VALU_DEP_1)
	v_lshrrev_b32_e32 v9, 16, v9
	v_cndmask_b32_e32 v9, 0x7fc0, v9, vcc_lo
.LBB345_1228:
	s_mov_b32 s3, -1
.LBB345_1229:
	s_branch .LBB345_1261
.LBB345_1230:
	v_cmp_lt_i16_e32 vcc_lo, 22, v10
	s_cbranch_vccz .LBB345_1240
; %bb.1231:
	v_cmp_gt_i16_e32 vcc_lo, 24, v10
	s_cbranch_vccnz .LBB345_1243
; %bb.1232:
	v_cmp_lt_i16_e32 vcc_lo, 24, v10
	s_cbranch_vccz .LBB345_1244
; %bb.1233:
	global_load_u8 v9, v[7:8], off
	s_mov_b32 s1, 0
	s_mov_b32 s3, exec_lo
                                        ; implicit-def: $sgpr2
	s_waitcnt vmcnt(0)
	v_cmpx_lt_i16_e32 0x7f, v9
	s_xor_b32 s3, exec_lo, s3
	s_cbranch_execz .LBB345_1255
; %bb.1234:
	s_mov_b32 s1, -1
	s_mov_b32 s10, exec_lo
                                        ; implicit-def: $sgpr2
	v_cmpx_eq_u16_e32 0x80, v9
; %bb.1235:
	s_mov_b32 s2, 0x7f800001
	s_xor_b32 s1, exec_lo, -1
; %bb.1236:
	s_or_b32 exec_lo, exec_lo, s10
	s_delay_alu instid0(SALU_CYCLE_1)
	s_and_b32 s1, s1, exec_lo
	s_or_saveexec_b32 s3, s3
	v_mov_b32_e32 v11, s2
	s_xor_b32 exec_lo, exec_lo, s3
	s_cbranch_execnz .LBB345_1256
.LBB345_1237:
	s_or_b32 exec_lo, exec_lo, s3
	s_and_saveexec_b32 s2, s1
	s_cbranch_execz .LBB345_1239
.LBB345_1238:
	v_and_b32_e32 v11, 0xffff, v9
	v_lshlrev_b32_e32 v9, 24, v9
	s_delay_alu instid0(VALU_DEP_2) | instskip(NEXT) | instid1(VALU_DEP_2)
	v_and_b32_e32 v12, 3, v11
	v_and_b32_e32 v9, 0x80000000, v9
	s_delay_alu instid0(VALU_DEP_2) | instskip(NEXT) | instid1(VALU_DEP_1)
	v_clz_i32_u32_e32 v13, v12
	v_min_u32_e32 v13, 32, v13
	s_delay_alu instid0(VALU_DEP_1) | instskip(SKIP_1) | instid1(VALU_DEP_2)
	v_subrev_nc_u32_e32 v14, 29, v13
	v_sub_nc_u32_e32 v13, 30, v13
	v_lshlrev_b32_e32 v14, v14, v11
	v_bfe_u32 v11, v11, 2, 5
	s_delay_alu instid0(VALU_DEP_2) | instskip(NEXT) | instid1(VALU_DEP_2)
	v_and_b32_e32 v14, 3, v14
	v_cmp_eq_u32_e32 vcc_lo, 0, v11
	s_delay_alu instid0(VALU_DEP_2) | instskip(NEXT) | instid1(VALU_DEP_1)
	v_dual_cndmask_b32 v11, v11, v13 :: v_dual_cndmask_b32 v12, v12, v14
	v_lshl_add_u32 v11, v11, 23, 0x37800000
	s_delay_alu instid0(VALU_DEP_2) | instskip(NEXT) | instid1(VALU_DEP_1)
	v_lshlrev_b32_e32 v12, 21, v12
	v_or3_b32 v11, v9, v11, v12
.LBB345_1239:
	s_or_b32 exec_lo, exec_lo, s2
	s_delay_alu instid0(VALU_DEP_1) | instskip(SKIP_2) | instid1(VALU_DEP_2)
	v_bfe_u32 v9, v11, 16, 1
	v_cmp_o_f32_e32 vcc_lo, v11, v11
	s_mov_b32 s1, 0
	v_add3_u32 v9, v11, v9, 0x7fff
	s_delay_alu instid0(VALU_DEP_1) | instskip(NEXT) | instid1(VALU_DEP_1)
	v_lshrrev_b32_e32 v9, 16, v9
	v_cndmask_b32_e32 v9, 0x7fc0, v9, vcc_lo
	s_branch .LBB345_1245
.LBB345_1240:
                                        ; implicit-def: $vgpr9
	s_mov_b32 s2, 0
	s_branch .LBB345_1251
.LBB345_1241:
	s_or_saveexec_b32 s10, s10
	v_mov_b32_e32 v11, s3
	s_xor_b32 exec_lo, exec_lo, s10
	s_cbranch_execz .LBB345_1225
.LBB345_1242:
	v_cmp_ne_u16_e32 vcc_lo, 0, v9
	v_mov_b32_e32 v11, 0
	s_and_not1_b32 s1, s1, exec_lo
	s_and_b32 s3, vcc_lo, exec_lo
	s_delay_alu instid0(SALU_CYCLE_1)
	s_or_b32 s1, s1, s3
	s_or_b32 exec_lo, exec_lo, s10
	s_and_saveexec_b32 s3, s1
	s_cbranch_execnz .LBB345_1226
	s_branch .LBB345_1227
.LBB345_1243:
	s_mov_b32 s1, -1
                                        ; implicit-def: $vgpr9
	s_branch .LBB345_1248
.LBB345_1244:
	s_mov_b32 s1, -1
                                        ; implicit-def: $vgpr9
.LBB345_1245:
	s_delay_alu instid0(SALU_CYCLE_1)
	s_and_b32 vcc_lo, exec_lo, s1
	s_cbranch_vccz .LBB345_1247
; %bb.1246:
	global_load_u8 v9, v[7:8], off
	s_waitcnt vmcnt(0)
	v_lshlrev_b32_e32 v9, 24, v9
	s_delay_alu instid0(VALU_DEP_1) | instskip(NEXT) | instid1(VALU_DEP_1)
	v_and_b32_e32 v11, 0x7f000000, v9
	v_clz_i32_u32_e32 v12, v11
	v_cmp_ne_u32_e32 vcc_lo, 0, v11
	v_add_nc_u32_e32 v14, 0x1000000, v11
	s_delay_alu instid0(VALU_DEP_3) | instskip(NEXT) | instid1(VALU_DEP_1)
	v_min_u32_e32 v12, 32, v12
	v_sub_nc_u32_e64 v12, v12, 4 clamp
	s_delay_alu instid0(VALU_DEP_1) | instskip(SKIP_1) | instid1(VALU_DEP_2)
	v_lshlrev_b32_e32 v13, v12, v11
	v_lshlrev_b32_e32 v12, 23, v12
	v_lshrrev_b32_e32 v13, 4, v13
	s_delay_alu instid0(VALU_DEP_1) | instskip(SKIP_1) | instid1(VALU_DEP_2)
	v_sub_nc_u32_e32 v12, v13, v12
	v_ashrrev_i32_e32 v13, 8, v14
	v_add_nc_u32_e32 v12, 0x3c000000, v12
	s_delay_alu instid0(VALU_DEP_1) | instskip(NEXT) | instid1(VALU_DEP_1)
	v_and_or_b32 v12, 0x7f800000, v13, v12
	v_cndmask_b32_e32 v11, 0, v12, vcc_lo
	s_delay_alu instid0(VALU_DEP_1) | instskip(SKIP_1) | instid1(VALU_DEP_2)
	v_and_or_b32 v9, 0x80000000, v9, v11
	v_bfe_u32 v11, v11, 16, 1
	v_cmp_o_f32_e32 vcc_lo, v9, v9
	s_delay_alu instid0(VALU_DEP_2) | instskip(NEXT) | instid1(VALU_DEP_1)
	v_add3_u32 v11, v9, v11, 0x7fff
	v_lshrrev_b32_e32 v11, 16, v11
	s_delay_alu instid0(VALU_DEP_1)
	v_cndmask_b32_e32 v9, 0x7fc0, v11, vcc_lo
.LBB345_1247:
	s_mov_b32 s1, 0
.LBB345_1248:
	s_delay_alu instid0(SALU_CYCLE_1)
	s_and_not1_b32 vcc_lo, exec_lo, s1
	s_cbranch_vccnz .LBB345_1250
; %bb.1249:
	global_load_u8 v9, v[7:8], off
	s_waitcnt vmcnt(0)
	v_lshlrev_b32_e32 v11, 25, v9
	v_lshlrev_b16 v9, 8, v9
	s_delay_alu instid0(VALU_DEP_2) | instskip(NEXT) | instid1(VALU_DEP_2)
	v_lshrrev_b32_e32 v12, 4, v11
	v_and_or_b32 v13, 0x7f00, v9, 0.5
	v_bfe_i32 v9, v9, 0, 16
	s_delay_alu instid0(VALU_DEP_3) | instskip(NEXT) | instid1(VALU_DEP_1)
	v_or_b32_e32 v12, 0x70000000, v12
	v_dual_add_f32 v13, -0.5, v13 :: v_dual_mul_f32 v12, 0x7800000, v12
	v_cmp_gt_u32_e32 vcc_lo, 0x8000000, v11
	s_delay_alu instid0(VALU_DEP_2) | instskip(NEXT) | instid1(VALU_DEP_1)
	v_cndmask_b32_e32 v11, v12, v13, vcc_lo
	v_and_or_b32 v9, 0x80000000, v9, v11
	v_bfe_u32 v11, v11, 16, 1
	s_delay_alu instid0(VALU_DEP_2) | instskip(NEXT) | instid1(VALU_DEP_2)
	v_cmp_o_f32_e32 vcc_lo, v9, v9
	v_add3_u32 v11, v9, v11, 0x7fff
	s_delay_alu instid0(VALU_DEP_1) | instskip(NEXT) | instid1(VALU_DEP_1)
	v_lshrrev_b32_e32 v11, 16, v11
	v_cndmask_b32_e32 v9, 0x7fc0, v11, vcc_lo
.LBB345_1250:
	s_mov_b32 s3, -1
	s_mov_b32 s2, 0
	s_cbranch_execnz .LBB345_1261
.LBB345_1251:
	v_cmp_lt_i16_e32 vcc_lo, 14, v10
	s_cbranch_vccz .LBB345_1254
; %bb.1252:
	v_cmp_eq_u16_e32 vcc_lo, 15, v10
	s_cbranch_vccz .LBB345_1257
; %bb.1253:
	global_load_u16 v9, v[7:8], off
	s_mov_b32 s0, 0
	s_mov_b32 s3, -1
	s_branch .LBB345_1258
.LBB345_1254:
	s_mov_b32 s1, -1
                                        ; implicit-def: $vgpr9
	s_branch .LBB345_1259
.LBB345_1255:
	s_or_saveexec_b32 s3, s3
	v_mov_b32_e32 v11, s2
	s_xor_b32 exec_lo, exec_lo, s3
	s_cbranch_execz .LBB345_1237
.LBB345_1256:
	v_cmp_ne_u16_e32 vcc_lo, 0, v9
	v_mov_b32_e32 v11, 0
	s_and_not1_b32 s1, s1, exec_lo
	s_and_b32 s2, vcc_lo, exec_lo
	s_delay_alu instid0(SALU_CYCLE_1)
	s_or_b32 s1, s1, s2
	s_or_b32 exec_lo, exec_lo, s3
	s_and_saveexec_b32 s2, s1
	s_cbranch_execnz .LBB345_1238
	s_branch .LBB345_1239
.LBB345_1257:
	s_mov_b32 s0, -1
                                        ; implicit-def: $vgpr9
.LBB345_1258:
	s_mov_b32 s1, 0
.LBB345_1259:
	s_delay_alu instid0(SALU_CYCLE_1)
	s_and_b32 vcc_lo, exec_lo, s1
	s_cbranch_vccz .LBB345_1261
; %bb.1260:
	v_cmp_ne_u16_e64 s0, 11, v10
	s_mov_b32 s2, -1
                                        ; implicit-def: $vgpr9
.LBB345_1261:
	s_delay_alu instid0(VALU_DEP_1)
	s_and_b32 vcc_lo, exec_lo, s0
	s_mov_b32 s1, s8
	s_cbranch_vccnz .LBB345_1287
; %bb.1262:
	s_and_not1_b32 vcc_lo, exec_lo, s2
	s_cbranch_vccnz .LBB345_1264
.LBB345_1263:
	global_load_u8 v9, v[7:8], off
	s_mov_b32 s3, -1
	s_waitcnt vmcnt(0)
	v_cmp_ne_u16_e32 vcc_lo, 0, v9
	v_cndmask_b32_e64 v9, 0, 1.0, vcc_lo
	s_delay_alu instid0(VALU_DEP_1)
	v_lshrrev_b32_e32 v9, 16, v9
.LBB345_1264:
.LBB345_1265:
	s_and_not1_b32 vcc_lo, exec_lo, s3
	s_cbranch_vccnz .LBB345_1683
.LBB345_1266:
	s_load_b32 s0, s[16:17], 0x158
	s_waitcnt vmcnt(0)
	s_delay_alu instid0(VALU_DEP_1) | instskip(SKIP_3) | instid1(VALU_DEP_1)
	v_lshlrev_b32_e32 v7, 16, v9
	s_mov_b32 s3, exec_lo
	s_waitcnt lgkmcnt(0)
	s_lshr_b32 s2, s0, 16
	v_cmpx_o_f32_e32 v7, v7
; %bb.1267:
	s_lshl_b32 s10, s0, 16
	s_delay_alu instid0(SALU_CYCLE_1) | instskip(SKIP_2) | instid1(VALU_DEP_1)
	v_cmp_lt_f32_e32 vcc_lo, s10, v7
	s_lshl_b32 s10, s2, 16
	v_cndmask_b32_e32 v7, s0, v9, vcc_lo
	v_lshlrev_b32_e32 v8, 16, v7
	s_delay_alu instid0(VALU_DEP_1)
	v_cmp_gt_f32_e32 vcc_lo, s10, v8
	v_cndmask_b32_e32 v9, s2, v7, vcc_lo
; %bb.1268:
	s_or_b32 exec_lo, exec_lo, s3
	v_cmp_gt_i16_e32 vcc_lo, 11, v10
	v_add_co_u32 v6, s3, s6, v6
	s_delay_alu instid0(VALU_DEP_1)
	v_add_co_ci_u32_e64 v7, null, s7, 0, s3
	s_mov_b32 s11, 0
	s_cbranch_vccnz .LBB345_1275
; %bb.1269:
	v_cmp_lt_i16_e32 vcc_lo, 25, v10
	s_mov_b32 s10, 0
	s_cbranch_vccz .LBB345_1281
; %bb.1270:
	v_cmp_lt_i16_e32 vcc_lo, 28, v10
	s_cbranch_vccz .LBB345_1283
; %bb.1271:
	v_cmp_lt_i16_e32 vcc_lo, 43, v10
	;; [unrolled: 3-line block ×3, first 2 shown]
	s_cbranch_vccz .LBB345_1291
; %bb.1273:
	v_cmp_eq_u16_e32 vcc_lo, 46, v10
	s_mov_b32 s12, 0
	s_cbranch_vccz .LBB345_1335
; %bb.1274:
	global_load_b32 v8, v[6:7], off
	s_mov_b32 s3, 0
	s_mov_b32 s11, -1
	s_branch .LBB345_1337
.LBB345_1275:
                                        ; implicit-def: $vgpr8
	s_cbranch_execz .LBB345_1402
; %bb.1276:
	v_cmp_gt_i16_e32 vcc_lo, 5, v10
	s_cbranch_vccnz .LBB345_1282
; %bb.1277:
	v_cmp_gt_i16_e32 vcc_lo, 8, v10
	s_cbranch_vccnz .LBB345_1284
	;; [unrolled: 3-line block ×3, first 2 shown]
; %bb.1279:
	v_cmp_lt_i16_e32 vcc_lo, 9, v10
	s_cbranch_vccz .LBB345_1292
; %bb.1280:
	global_load_b64 v[11:12], v[6:7], off
	s_mov_b32 s3, 0
	s_waitcnt vmcnt(0)
	v_cvt_f32_f64_e32 v8, v[11:12]
	s_delay_alu instid0(VALU_DEP_1) | instskip(SKIP_1) | instid1(VALU_DEP_2)
	v_bfe_u32 v11, v8, 16, 1
	v_cmp_o_f32_e32 vcc_lo, v8, v8
	v_add3_u32 v11, v8, v11, 0x7fff
	s_delay_alu instid0(VALU_DEP_1) | instskip(NEXT) | instid1(VALU_DEP_1)
	v_lshrrev_b32_e32 v11, 16, v11
	v_cndmask_b32_e32 v8, 0x7fc0, v11, vcc_lo
	s_branch .LBB345_1293
.LBB345_1281:
	s_mov_b32 s3, 0
                                        ; implicit-def: $vgpr8
	s_cbranch_execnz .LBB345_1366
	s_branch .LBB345_1398
.LBB345_1282:
                                        ; implicit-def: $vgpr8
	s_branch .LBB345_1311
.LBB345_1283:
	s_mov_b32 s12, -1
	s_mov_b32 s3, 0
                                        ; implicit-def: $vgpr8
	s_branch .LBB345_1347
.LBB345_1284:
	s_mov_b32 s3, -1
                                        ; implicit-def: $vgpr8
	s_branch .LBB345_1299
.LBB345_1285:
	s_mov_b32 s12, -1
	s_mov_b32 s3, 0
                                        ; implicit-def: $vgpr8
	s_branch .LBB345_1342
.LBB345_1286:
	s_mov_b32 s3, -1
                                        ; implicit-def: $vgpr8
	s_branch .LBB345_1296
.LBB345_1287:
	s_cbranch_execnz .LBB345_1331
; %bb.1288:
	s_or_b32 s1, s8, exec_lo
                                        ; implicit-def: $vgpr9
	s_cbranch_execz .LBB345_1263
	s_branch .LBB345_1264
.LBB345_1289:
	s_or_saveexec_b32 s7, s7
                                        ; implicit-def: $sgpr8
	s_delay_alu instid0(SALU_CYCLE_1)
	s_xor_b32 exec_lo, exec_lo, s7
	s_cbranch_execz .LBB345_995
.LBB345_1290:
	v_add_f32_e64 v4, 0x46000000, |v6|
	s_and_not1_b32 s5, s5, exec_lo
	s_mov_b32 s8, 0
	s_delay_alu instid0(VALU_DEP_1) | instskip(NEXT) | instid1(VALU_DEP_1)
	v_and_b32_e32 v4, 0xff, v4
	v_cmp_ne_u32_e32 vcc_lo, 0, v4
	s_and_b32 s9, vcc_lo, exec_lo
	s_delay_alu instid0(SALU_CYCLE_1)
	s_or_b32 s5, s5, s9
	s_or_b32 exec_lo, exec_lo, s7
	v_mov_b32_e32 v7, s8
	s_and_saveexec_b32 s7, s5
	s_cbranch_execnz .LBB345_996
	s_branch .LBB345_997
.LBB345_1291:
	s_mov_b32 s12, -1
	s_mov_b32 s3, 0
	s_branch .LBB345_1336
.LBB345_1292:
	s_mov_b32 s3, -1
                                        ; implicit-def: $vgpr8
.LBB345_1293:
	s_delay_alu instid0(SALU_CYCLE_1)
	s_and_not1_b32 vcc_lo, exec_lo, s3
	s_cbranch_vccnz .LBB345_1295
; %bb.1294:
	global_load_b32 v8, v[6:7], off
	s_waitcnt vmcnt(0)
	v_bfe_u32 v11, v8, 16, 1
	v_cmp_o_f32_e32 vcc_lo, v8, v8
	s_delay_alu instid0(VALU_DEP_2) | instskip(NEXT) | instid1(VALU_DEP_1)
	v_add3_u32 v11, v8, v11, 0x7fff
	v_lshrrev_b32_e32 v11, 16, v11
	s_delay_alu instid0(VALU_DEP_1)
	v_cndmask_b32_e32 v8, 0x7fc0, v11, vcc_lo
.LBB345_1295:
	s_mov_b32 s3, 0
.LBB345_1296:
	s_delay_alu instid0(SALU_CYCLE_1)
	s_and_not1_b32 vcc_lo, exec_lo, s3
	s_cbranch_vccnz .LBB345_1298
; %bb.1297:
	global_load_b32 v8, v[6:7], off
	s_waitcnt vmcnt(0)
	v_cvt_f32_f16_e32 v11, v8
	v_cmp_o_f16_e32 vcc_lo, v8, v8
	s_delay_alu instid0(VALU_DEP_2) | instskip(NEXT) | instid1(VALU_DEP_1)
	v_bfe_u32 v12, v11, 16, 1
	v_add3_u32 v11, v11, v12, 0x7fff
	s_delay_alu instid0(VALU_DEP_1) | instskip(NEXT) | instid1(VALU_DEP_1)
	v_lshrrev_b32_e32 v11, 16, v11
	v_cndmask_b32_e32 v8, 0x7fc0, v11, vcc_lo
.LBB345_1298:
	s_mov_b32 s3, 0
.LBB345_1299:
	s_delay_alu instid0(SALU_CYCLE_1)
	s_and_not1_b32 vcc_lo, exec_lo, s3
	s_cbranch_vccnz .LBB345_1310
; %bb.1300:
	v_cmp_gt_i16_e32 vcc_lo, 6, v10
	s_cbranch_vccnz .LBB345_1303
; %bb.1301:
	v_cmp_lt_i16_e32 vcc_lo, 6, v10
	s_cbranch_vccz .LBB345_1304
; %bb.1302:
	global_load_b64 v[11:12], v[6:7], off
	s_mov_b32 s3, 0
	s_waitcnt vmcnt(0)
	v_cvt_f32_f64_e32 v8, v[11:12]
	s_delay_alu instid0(VALU_DEP_1) | instskip(SKIP_1) | instid1(VALU_DEP_2)
	v_bfe_u32 v11, v8, 16, 1
	v_cmp_o_f32_e32 vcc_lo, v8, v8
	v_add3_u32 v11, v8, v11, 0x7fff
	s_delay_alu instid0(VALU_DEP_1) | instskip(NEXT) | instid1(VALU_DEP_1)
	v_lshrrev_b32_e32 v11, 16, v11
	v_cndmask_b32_e32 v8, 0x7fc0, v11, vcc_lo
	s_branch .LBB345_1305
.LBB345_1303:
	s_mov_b32 s3, -1
                                        ; implicit-def: $vgpr8
	s_branch .LBB345_1308
.LBB345_1304:
	s_mov_b32 s3, -1
                                        ; implicit-def: $vgpr8
.LBB345_1305:
	s_delay_alu instid0(SALU_CYCLE_1)
	s_and_not1_b32 vcc_lo, exec_lo, s3
	s_cbranch_vccnz .LBB345_1307
; %bb.1306:
	global_load_b32 v8, v[6:7], off
	s_waitcnt vmcnt(0)
	v_bfe_u32 v11, v8, 16, 1
	v_cmp_o_f32_e32 vcc_lo, v8, v8
	s_delay_alu instid0(VALU_DEP_2) | instskip(NEXT) | instid1(VALU_DEP_1)
	v_add3_u32 v11, v8, v11, 0x7fff
	v_lshrrev_b32_e32 v11, 16, v11
	s_delay_alu instid0(VALU_DEP_1)
	v_cndmask_b32_e32 v8, 0x7fc0, v11, vcc_lo
.LBB345_1307:
	s_mov_b32 s3, 0
.LBB345_1308:
	s_delay_alu instid0(SALU_CYCLE_1)
	s_and_not1_b32 vcc_lo, exec_lo, s3
	s_cbranch_vccnz .LBB345_1310
; %bb.1309:
	global_load_u16 v8, v[6:7], off
	s_waitcnt vmcnt(0)
	v_cvt_f32_f16_e32 v11, v8
	v_cmp_o_f16_e32 vcc_lo, v8, v8
	s_delay_alu instid0(VALU_DEP_2) | instskip(NEXT) | instid1(VALU_DEP_1)
	v_bfe_u32 v12, v11, 16, 1
	v_add3_u32 v11, v11, v12, 0x7fff
	s_delay_alu instid0(VALU_DEP_1) | instskip(NEXT) | instid1(VALU_DEP_1)
	v_lshrrev_b32_e32 v11, 16, v11
	v_cndmask_b32_e32 v8, 0x7fc0, v11, vcc_lo
.LBB345_1310:
	s_cbranch_execnz .LBB345_1330
.LBB345_1311:
	v_cmp_gt_i16_e32 vcc_lo, 2, v10
	s_cbranch_vccnz .LBB345_1315
; %bb.1312:
	v_cmp_gt_i16_e32 vcc_lo, 3, v10
	s_cbranch_vccnz .LBB345_1316
; %bb.1313:
	v_cmp_lt_i16_e32 vcc_lo, 3, v10
	s_cbranch_vccz .LBB345_1317
; %bb.1314:
	global_load_b64 v[11:12], v[6:7], off
	s_mov_b32 s3, 0
	s_waitcnt vmcnt(0)
	v_xor_b32_e32 v8, v11, v12
	v_cls_i32_e32 v13, v12
	s_delay_alu instid0(VALU_DEP_2) | instskip(NEXT) | instid1(VALU_DEP_2)
	v_ashrrev_i32_e32 v8, 31, v8
	v_add_nc_u32_e32 v13, -1, v13
	s_delay_alu instid0(VALU_DEP_2) | instskip(NEXT) | instid1(VALU_DEP_1)
	v_add_nc_u32_e32 v8, 32, v8
	v_min_u32_e32 v8, v13, v8
	s_delay_alu instid0(VALU_DEP_1) | instskip(SKIP_1) | instid1(VALU_DEP_2)
	v_lshlrev_b64 v[11:12], v8, v[11:12]
	v_sub_nc_u32_e32 v8, 32, v8
	v_min_u32_e32 v11, 1, v11
	s_delay_alu instid0(VALU_DEP_1) | instskip(NEXT) | instid1(VALU_DEP_1)
	v_or_b32_e32 v11, v12, v11
	v_cvt_f32_i32_e32 v11, v11
	s_delay_alu instid0(VALU_DEP_1) | instskip(NEXT) | instid1(VALU_DEP_1)
	v_ldexp_f32 v8, v11, v8
	v_bfe_u32 v11, v8, 16, 1
	s_delay_alu instid0(VALU_DEP_1) | instskip(NEXT) | instid1(VALU_DEP_1)
	v_add3_u32 v8, v8, v11, 0x7fff
	v_lshrrev_b32_e32 v8, 16, v8
	s_branch .LBB345_1318
.LBB345_1315:
	s_mov_b32 s3, -1
                                        ; implicit-def: $vgpr8
	s_branch .LBB345_1324
.LBB345_1316:
	s_mov_b32 s3, -1
                                        ; implicit-def: $vgpr8
	s_branch .LBB345_1321
.LBB345_1317:
	s_mov_b32 s3, -1
                                        ; implicit-def: $vgpr8
.LBB345_1318:
	s_delay_alu instid0(SALU_CYCLE_1)
	s_and_not1_b32 vcc_lo, exec_lo, s3
	s_cbranch_vccnz .LBB345_1320
; %bb.1319:
	global_load_b32 v8, v[6:7], off
	s_waitcnt vmcnt(0)
	v_cvt_f32_i32_e32 v8, v8
	s_delay_alu instid0(VALU_DEP_1) | instskip(NEXT) | instid1(VALU_DEP_1)
	v_bfe_u32 v11, v8, 16, 1
	v_add3_u32 v8, v8, v11, 0x7fff
	s_delay_alu instid0(VALU_DEP_1)
	v_lshrrev_b32_e32 v8, 16, v8
.LBB345_1320:
	s_mov_b32 s3, 0
.LBB345_1321:
	s_delay_alu instid0(SALU_CYCLE_1)
	s_and_not1_b32 vcc_lo, exec_lo, s3
	s_cbranch_vccnz .LBB345_1323
; %bb.1322:
	global_load_i16 v8, v[6:7], off
	s_waitcnt vmcnt(0)
	v_cvt_f32_i32_e32 v8, v8
	s_delay_alu instid0(VALU_DEP_1) | instskip(NEXT) | instid1(VALU_DEP_1)
	v_bfe_u32 v11, v8, 16, 1
	v_add3_u32 v8, v8, v11, 0x7fff
	s_delay_alu instid0(VALU_DEP_1)
	v_lshrrev_b32_e32 v8, 16, v8
.LBB345_1323:
	s_mov_b32 s3, 0
.LBB345_1324:
	s_delay_alu instid0(SALU_CYCLE_1)
	s_and_not1_b32 vcc_lo, exec_lo, s3
	s_cbranch_vccnz .LBB345_1330
; %bb.1325:
	v_cmp_lt_i16_e32 vcc_lo, 0, v10
	s_mov_b32 s3, 0
	s_cbranch_vccz .LBB345_1327
; %bb.1326:
	global_load_i8 v8, v[6:7], off
	s_waitcnt vmcnt(0)
	v_cvt_f32_i32_e32 v8, v8
	s_delay_alu instid0(VALU_DEP_1) | instskip(NEXT) | instid1(VALU_DEP_1)
	v_bfe_u32 v11, v8, 16, 1
	v_add3_u32 v8, v8, v11, 0x7fff
	s_delay_alu instid0(VALU_DEP_1)
	v_lshrrev_b32_e32 v8, 16, v8
	s_branch .LBB345_1328
.LBB345_1327:
	s_mov_b32 s3, -1
                                        ; implicit-def: $vgpr8
.LBB345_1328:
	s_delay_alu instid0(SALU_CYCLE_1)
	s_and_not1_b32 vcc_lo, exec_lo, s3
	s_cbranch_vccnz .LBB345_1330
; %bb.1329:
	global_load_u8 v6, v[6:7], off
	s_waitcnt vmcnt(0)
	v_cvt_f32_ubyte0_e32 v6, v6
	s_delay_alu instid0(VALU_DEP_1) | instskip(NEXT) | instid1(VALU_DEP_1)
	v_bfe_u32 v7, v6, 16, 1
	v_add3_u32 v6, v6, v7, 0x7fff
	s_delay_alu instid0(VALU_DEP_1)
	v_lshrrev_b32_e32 v8, 16, v6
.LBB345_1330:
	s_branch .LBB345_1403
.LBB345_1331:
	s_trap 2
	s_sendmsg_rtn_b32 s0, sendmsg(MSG_RTN_GET_DOORBELL)
	s_mov_b32 ttmp2, m0
	s_waitcnt lgkmcnt(0)
	s_and_b32 s0, s0, 0x3ff
	s_delay_alu instid0(SALU_CYCLE_1) | instskip(NEXT) | instid1(SALU_CYCLE_1)
	s_bitset1_b32 s0, 10
	s_mov_b32 m0, s0
	s_sendmsg sendmsg(MSG_INTERRUPT)
	s_mov_b32 m0, ttmp2
.LBB345_1332:                           ; =>This Inner Loop Header: Depth=1
	s_sethalt 5
	s_branch .LBB345_1332
.LBB345_1333:
	s_or_saveexec_b32 s8, s8
                                        ; implicit-def: $sgpr9
	s_delay_alu instid0(SALU_CYCLE_1)
	s_xor_b32 exec_lo, exec_lo, s8
	s_cbranch_execz .LBB345_1007
.LBB345_1334:
	v_add_f32_e64 v4, 0x42800000, |v6|
	s_and_not1_b32 s7, s7, exec_lo
	s_mov_b32 s9, 0
	s_delay_alu instid0(VALU_DEP_1) | instskip(NEXT) | instid1(VALU_DEP_1)
	v_and_b32_e32 v4, 0xff, v4
	v_cmp_ne_u32_e32 vcc_lo, 0, v4
	s_and_b32 s10, vcc_lo, exec_lo
	s_delay_alu instid0(SALU_CYCLE_1)
	s_or_b32 s7, s7, s10
	s_or_b32 exec_lo, exec_lo, s8
	v_mov_b32_e32 v7, s9
	s_and_saveexec_b32 s8, s7
	s_cbranch_execnz .LBB345_1008
	s_branch .LBB345_1009
.LBB345_1335:
	s_mov_b32 s3, -1
.LBB345_1336:
                                        ; implicit-def: $vgpr8
.LBB345_1337:
	s_and_b32 vcc_lo, exec_lo, s12
	s_cbranch_vccz .LBB345_1341
; %bb.1338:
	v_cmp_eq_u16_e32 vcc_lo, 44, v10
	s_cbranch_vccz .LBB345_1340
; %bb.1339:
	global_load_u8 v8, v[6:7], off
	s_mov_b32 s3, 0
	s_mov_b32 s11, -1
	s_waitcnt vmcnt(0)
	v_lshlrev_b32_e32 v11, 23, v8
	v_cmp_ne_u32_e32 vcc_lo, 0xff, v8
	s_delay_alu instid0(VALU_DEP_2) | instskip(SKIP_1) | instid1(VALU_DEP_2)
	v_cndmask_b32_e32 v11, 0x7f800001, v11, vcc_lo
	v_cmp_ne_u32_e32 vcc_lo, 0, v8
	v_cndmask_b32_e32 v8, 0x400000, v11, vcc_lo
	s_delay_alu instid0(VALU_DEP_1) | instskip(SKIP_1) | instid1(VALU_DEP_2)
	v_add_nc_u32_e32 v11, 0x7fff, v8
	v_cmp_o_f32_e32 vcc_lo, v8, v8
	v_lshrrev_b32_e32 v11, 16, v11
	s_delay_alu instid0(VALU_DEP_1)
	v_cndmask_b32_e32 v8, 0x7fc0, v11, vcc_lo
	s_branch .LBB345_1341
.LBB345_1340:
	s_mov_b32 s3, -1
                                        ; implicit-def: $vgpr8
.LBB345_1341:
	s_mov_b32 s12, 0
.LBB345_1342:
	s_delay_alu instid0(SALU_CYCLE_1)
	s_and_b32 vcc_lo, exec_lo, s12
	s_cbranch_vccz .LBB345_1346
; %bb.1343:
	v_cmp_eq_u16_e32 vcc_lo, 29, v10
	s_cbranch_vccz .LBB345_1345
; %bb.1344:
	global_load_b64 v[11:12], v[6:7], off
	s_mov_b32 s3, 0
	s_mov_b32 s11, -1
	s_mov_b32 s12, 0
	s_waitcnt vmcnt(0)
	v_clz_i32_u32_e32 v8, v12
	s_delay_alu instid0(VALU_DEP_1) | instskip(NEXT) | instid1(VALU_DEP_1)
	v_min_u32_e32 v8, 32, v8
	v_lshlrev_b64 v[11:12], v8, v[11:12]
	v_sub_nc_u32_e32 v8, 32, v8
	s_delay_alu instid0(VALU_DEP_2) | instskip(NEXT) | instid1(VALU_DEP_1)
	v_min_u32_e32 v11, 1, v11
	v_or_b32_e32 v11, v12, v11
	s_delay_alu instid0(VALU_DEP_1) | instskip(NEXT) | instid1(VALU_DEP_1)
	v_cvt_f32_u32_e32 v11, v11
	v_ldexp_f32 v8, v11, v8
	s_delay_alu instid0(VALU_DEP_1) | instskip(NEXT) | instid1(VALU_DEP_1)
	v_bfe_u32 v11, v8, 16, 1
	v_add3_u32 v8, v8, v11, 0x7fff
	s_delay_alu instid0(VALU_DEP_1)
	v_lshrrev_b32_e32 v8, 16, v8
	s_branch .LBB345_1347
.LBB345_1345:
	s_mov_b32 s3, -1
                                        ; implicit-def: $vgpr8
.LBB345_1346:
	s_mov_b32 s12, 0
.LBB345_1347:
	s_delay_alu instid0(SALU_CYCLE_1)
	s_and_b32 vcc_lo, exec_lo, s12
	s_cbranch_vccz .LBB345_1365
; %bb.1348:
	v_cmp_gt_i16_e32 vcc_lo, 27, v10
	s_cbranch_vccnz .LBB345_1351
; %bb.1349:
	v_cmp_lt_i16_e32 vcc_lo, 27, v10
	s_cbranch_vccz .LBB345_1352
; %bb.1350:
	global_load_b32 v8, v[6:7], off
	s_mov_b32 s11, 0
	s_waitcnt vmcnt(0)
	v_cvt_f32_u32_e32 v8, v8
	s_delay_alu instid0(VALU_DEP_1) | instskip(NEXT) | instid1(VALU_DEP_1)
	v_bfe_u32 v11, v8, 16, 1
	v_add3_u32 v8, v8, v11, 0x7fff
	s_delay_alu instid0(VALU_DEP_1)
	v_lshrrev_b32_e32 v8, 16, v8
	s_branch .LBB345_1353
.LBB345_1351:
	s_mov_b32 s11, -1
                                        ; implicit-def: $vgpr8
	s_branch .LBB345_1356
.LBB345_1352:
	s_mov_b32 s11, -1
                                        ; implicit-def: $vgpr8
.LBB345_1353:
	s_delay_alu instid0(SALU_CYCLE_1)
	s_and_not1_b32 vcc_lo, exec_lo, s11
	s_cbranch_vccnz .LBB345_1355
; %bb.1354:
	global_load_u16 v8, v[6:7], off
	s_waitcnt vmcnt(0)
	v_cvt_f32_u32_e32 v8, v8
	s_delay_alu instid0(VALU_DEP_1) | instskip(NEXT) | instid1(VALU_DEP_1)
	v_bfe_u32 v11, v8, 16, 1
	v_add3_u32 v8, v8, v11, 0x7fff
	s_delay_alu instid0(VALU_DEP_1)
	v_lshrrev_b32_e32 v8, 16, v8
.LBB345_1355:
	s_mov_b32 s11, 0
.LBB345_1356:
	s_delay_alu instid0(SALU_CYCLE_1)
	s_and_not1_b32 vcc_lo, exec_lo, s11
	s_cbranch_vccnz .LBB345_1364
; %bb.1357:
	global_load_u8 v8, v[6:7], off
	s_mov_b32 s11, 0
	s_mov_b32 s13, exec_lo
                                        ; implicit-def: $sgpr12
	s_waitcnt vmcnt(0)
	v_cmpx_lt_i16_e32 0x7f, v8
	s_xor_b32 s13, exec_lo, s13
	s_cbranch_execz .LBB345_1377
; %bb.1358:
	s_mov_b32 s11, -1
	s_mov_b32 s14, exec_lo
                                        ; implicit-def: $sgpr12
	v_cmpx_eq_u16_e32 0x80, v8
; %bb.1359:
	s_mov_b32 s12, 0x7f800001
	s_xor_b32 s11, exec_lo, -1
; %bb.1360:
	s_or_b32 exec_lo, exec_lo, s14
	s_delay_alu instid0(SALU_CYCLE_1)
	s_and_b32 s11, s11, exec_lo
	s_or_saveexec_b32 s13, s13
	v_mov_b32_e32 v11, s12
	s_xor_b32 exec_lo, exec_lo, s13
	s_cbranch_execnz .LBB345_1378
.LBB345_1361:
	s_or_b32 exec_lo, exec_lo, s13
	s_and_saveexec_b32 s12, s11
	s_cbranch_execz .LBB345_1363
.LBB345_1362:
	v_and_b32_e32 v11, 0xffff, v8
	v_lshlrev_b32_e32 v8, 24, v8
	s_delay_alu instid0(VALU_DEP_2) | instskip(NEXT) | instid1(VALU_DEP_2)
	v_and_b32_e32 v12, 7, v11
	v_and_b32_e32 v8, 0x80000000, v8
	s_delay_alu instid0(VALU_DEP_2) | instskip(NEXT) | instid1(VALU_DEP_1)
	v_clz_i32_u32_e32 v13, v12
	v_min_u32_e32 v13, 32, v13
	s_delay_alu instid0(VALU_DEP_1) | instskip(SKIP_1) | instid1(VALU_DEP_2)
	v_subrev_nc_u32_e32 v14, 28, v13
	v_sub_nc_u32_e32 v13, 29, v13
	v_lshlrev_b32_e32 v14, v14, v11
	v_bfe_u32 v11, v11, 3, 4
	s_delay_alu instid0(VALU_DEP_2) | instskip(NEXT) | instid1(VALU_DEP_2)
	v_and_b32_e32 v14, 7, v14
	v_cmp_eq_u32_e32 vcc_lo, 0, v11
	s_delay_alu instid0(VALU_DEP_2) | instskip(NEXT) | instid1(VALU_DEP_1)
	v_dual_cndmask_b32 v11, v11, v13 :: v_dual_cndmask_b32 v12, v12, v14
	v_lshl_add_u32 v11, v11, 23, 0x3b800000
	s_delay_alu instid0(VALU_DEP_2) | instskip(NEXT) | instid1(VALU_DEP_1)
	v_lshlrev_b32_e32 v12, 20, v12
	v_or3_b32 v11, v8, v11, v12
.LBB345_1363:
	s_or_b32 exec_lo, exec_lo, s12
	s_delay_alu instid0(VALU_DEP_1) | instskip(SKIP_1) | instid1(VALU_DEP_2)
	v_bfe_u32 v8, v11, 16, 1
	v_cmp_o_f32_e32 vcc_lo, v11, v11
	v_add3_u32 v8, v11, v8, 0x7fff
	s_delay_alu instid0(VALU_DEP_1) | instskip(NEXT) | instid1(VALU_DEP_1)
	v_lshrrev_b32_e32 v8, 16, v8
	v_cndmask_b32_e32 v8, 0x7fc0, v8, vcc_lo
.LBB345_1364:
	s_mov_b32 s11, -1
.LBB345_1365:
	s_branch .LBB345_1398
.LBB345_1366:
	v_cmp_lt_i16_e32 vcc_lo, 22, v10
	s_cbranch_vccz .LBB345_1376
; %bb.1367:
	v_cmp_gt_i16_e32 vcc_lo, 24, v10
	s_cbranch_vccnz .LBB345_1379
; %bb.1368:
	v_cmp_lt_i16_e32 vcc_lo, 24, v10
	s_cbranch_vccz .LBB345_1380
; %bb.1369:
	global_load_u8 v8, v[6:7], off
	s_mov_b32 s12, exec_lo
                                        ; implicit-def: $sgpr11
	s_waitcnt vmcnt(0)
	v_cmpx_lt_i16_e32 0x7f, v8
	s_xor_b32 s12, exec_lo, s12
	s_cbranch_execz .LBB345_1392
; %bb.1370:
	s_mov_b32 s10, -1
	s_mov_b32 s13, exec_lo
                                        ; implicit-def: $sgpr11
	v_cmpx_eq_u16_e32 0x80, v8
; %bb.1371:
	s_mov_b32 s11, 0x7f800001
	s_xor_b32 s10, exec_lo, -1
; %bb.1372:
	s_or_b32 exec_lo, exec_lo, s13
	s_delay_alu instid0(SALU_CYCLE_1)
	s_and_b32 s10, s10, exec_lo
	s_or_saveexec_b32 s12, s12
	v_mov_b32_e32 v11, s11
	s_xor_b32 exec_lo, exec_lo, s12
	s_cbranch_execnz .LBB345_1393
.LBB345_1373:
	s_or_b32 exec_lo, exec_lo, s12
	s_and_saveexec_b32 s11, s10
	s_cbranch_execz .LBB345_1375
.LBB345_1374:
	v_and_b32_e32 v11, 0xffff, v8
	v_lshlrev_b32_e32 v8, 24, v8
	s_delay_alu instid0(VALU_DEP_2) | instskip(NEXT) | instid1(VALU_DEP_2)
	v_and_b32_e32 v12, 3, v11
	v_and_b32_e32 v8, 0x80000000, v8
	s_delay_alu instid0(VALU_DEP_2) | instskip(NEXT) | instid1(VALU_DEP_1)
	v_clz_i32_u32_e32 v13, v12
	v_min_u32_e32 v13, 32, v13
	s_delay_alu instid0(VALU_DEP_1) | instskip(SKIP_1) | instid1(VALU_DEP_2)
	v_subrev_nc_u32_e32 v14, 29, v13
	v_sub_nc_u32_e32 v13, 30, v13
	v_lshlrev_b32_e32 v14, v14, v11
	v_bfe_u32 v11, v11, 2, 5
	s_delay_alu instid0(VALU_DEP_2) | instskip(NEXT) | instid1(VALU_DEP_2)
	v_and_b32_e32 v14, 3, v14
	v_cmp_eq_u32_e32 vcc_lo, 0, v11
	s_delay_alu instid0(VALU_DEP_2) | instskip(NEXT) | instid1(VALU_DEP_1)
	v_dual_cndmask_b32 v11, v11, v13 :: v_dual_cndmask_b32 v12, v12, v14
	v_lshl_add_u32 v11, v11, 23, 0x37800000
	s_delay_alu instid0(VALU_DEP_2) | instskip(NEXT) | instid1(VALU_DEP_1)
	v_lshlrev_b32_e32 v12, 21, v12
	v_or3_b32 v11, v8, v11, v12
.LBB345_1375:
	s_or_b32 exec_lo, exec_lo, s11
	s_delay_alu instid0(VALU_DEP_1) | instskip(SKIP_2) | instid1(VALU_DEP_2)
	v_bfe_u32 v8, v11, 16, 1
	v_cmp_o_f32_e32 vcc_lo, v11, v11
	s_mov_b32 s10, 0
	v_add3_u32 v8, v11, v8, 0x7fff
	s_delay_alu instid0(VALU_DEP_1) | instskip(NEXT) | instid1(VALU_DEP_1)
	v_lshrrev_b32_e32 v8, 16, v8
	v_cndmask_b32_e32 v8, 0x7fc0, v8, vcc_lo
	s_branch .LBB345_1381
.LBB345_1376:
	s_mov_b32 s10, -1
                                        ; implicit-def: $vgpr8
	s_branch .LBB345_1387
.LBB345_1377:
	s_or_saveexec_b32 s13, s13
	v_mov_b32_e32 v11, s12
	s_xor_b32 exec_lo, exec_lo, s13
	s_cbranch_execz .LBB345_1361
.LBB345_1378:
	v_cmp_ne_u16_e32 vcc_lo, 0, v8
	v_mov_b32_e32 v11, 0
	s_and_not1_b32 s11, s11, exec_lo
	s_and_b32 s12, vcc_lo, exec_lo
	s_delay_alu instid0(SALU_CYCLE_1)
	s_or_b32 s11, s11, s12
	s_or_b32 exec_lo, exec_lo, s13
	s_and_saveexec_b32 s12, s11
	s_cbranch_execnz .LBB345_1362
	s_branch .LBB345_1363
.LBB345_1379:
	s_mov_b32 s10, -1
                                        ; implicit-def: $vgpr8
	s_branch .LBB345_1384
.LBB345_1380:
	s_mov_b32 s10, -1
                                        ; implicit-def: $vgpr8
.LBB345_1381:
	s_delay_alu instid0(SALU_CYCLE_1)
	s_and_b32 vcc_lo, exec_lo, s10
	s_cbranch_vccz .LBB345_1383
; %bb.1382:
	global_load_u8 v8, v[6:7], off
	s_waitcnt vmcnt(0)
	v_lshlrev_b32_e32 v8, 24, v8
	s_delay_alu instid0(VALU_DEP_1) | instskip(NEXT) | instid1(VALU_DEP_1)
	v_and_b32_e32 v11, 0x7f000000, v8
	v_clz_i32_u32_e32 v12, v11
	v_cmp_ne_u32_e32 vcc_lo, 0, v11
	v_add_nc_u32_e32 v14, 0x1000000, v11
	s_delay_alu instid0(VALU_DEP_3) | instskip(NEXT) | instid1(VALU_DEP_1)
	v_min_u32_e32 v12, 32, v12
	v_sub_nc_u32_e64 v12, v12, 4 clamp
	s_delay_alu instid0(VALU_DEP_1) | instskip(SKIP_1) | instid1(VALU_DEP_2)
	v_lshlrev_b32_e32 v13, v12, v11
	v_lshlrev_b32_e32 v12, 23, v12
	v_lshrrev_b32_e32 v13, 4, v13
	s_delay_alu instid0(VALU_DEP_1) | instskip(SKIP_1) | instid1(VALU_DEP_2)
	v_sub_nc_u32_e32 v12, v13, v12
	v_ashrrev_i32_e32 v13, 8, v14
	v_add_nc_u32_e32 v12, 0x3c000000, v12
	s_delay_alu instid0(VALU_DEP_1) | instskip(NEXT) | instid1(VALU_DEP_1)
	v_and_or_b32 v12, 0x7f800000, v13, v12
	v_cndmask_b32_e32 v11, 0, v12, vcc_lo
	s_delay_alu instid0(VALU_DEP_1) | instskip(SKIP_1) | instid1(VALU_DEP_2)
	v_and_or_b32 v8, 0x80000000, v8, v11
	v_bfe_u32 v11, v11, 16, 1
	v_cmp_o_f32_e32 vcc_lo, v8, v8
	s_delay_alu instid0(VALU_DEP_2) | instskip(NEXT) | instid1(VALU_DEP_1)
	v_add3_u32 v11, v8, v11, 0x7fff
	v_lshrrev_b32_e32 v11, 16, v11
	s_delay_alu instid0(VALU_DEP_1)
	v_cndmask_b32_e32 v8, 0x7fc0, v11, vcc_lo
.LBB345_1383:
	s_mov_b32 s10, 0
.LBB345_1384:
	s_delay_alu instid0(SALU_CYCLE_1)
	s_and_not1_b32 vcc_lo, exec_lo, s10
	s_cbranch_vccnz .LBB345_1386
; %bb.1385:
	global_load_u8 v8, v[6:7], off
	s_waitcnt vmcnt(0)
	v_lshlrev_b32_e32 v11, 25, v8
	v_lshlrev_b16 v8, 8, v8
	s_delay_alu instid0(VALU_DEP_2) | instskip(NEXT) | instid1(VALU_DEP_2)
	v_lshrrev_b32_e32 v12, 4, v11
	v_and_or_b32 v13, 0x7f00, v8, 0.5
	v_cmp_gt_u32_e32 vcc_lo, 0x8000000, v11
	v_bfe_i32 v8, v8, 0, 16
	s_delay_alu instid0(VALU_DEP_4) | instskip(NEXT) | instid1(VALU_DEP_1)
	v_or_b32_e32 v12, 0x70000000, v12
	v_dual_add_f32 v13, -0.5, v13 :: v_dual_mul_f32 v12, 0x7800000, v12
	s_delay_alu instid0(VALU_DEP_1) | instskip(NEXT) | instid1(VALU_DEP_1)
	v_cndmask_b32_e32 v11, v12, v13, vcc_lo
	v_and_or_b32 v8, 0x80000000, v8, v11
	v_bfe_u32 v11, v11, 16, 1
	s_delay_alu instid0(VALU_DEP_2) | instskip(NEXT) | instid1(VALU_DEP_2)
	v_cmp_o_f32_e32 vcc_lo, v8, v8
	v_add3_u32 v11, v8, v11, 0x7fff
	s_delay_alu instid0(VALU_DEP_1) | instskip(NEXT) | instid1(VALU_DEP_1)
	v_lshrrev_b32_e32 v11, 16, v11
	v_cndmask_b32_e32 v8, 0x7fc0, v11, vcc_lo
.LBB345_1386:
	s_mov_b32 s10, 0
	s_mov_b32 s11, -1
.LBB345_1387:
	s_and_not1_b32 vcc_lo, exec_lo, s10
	s_mov_b32 s10, 0
	s_cbranch_vccnz .LBB345_1398
; %bb.1388:
	v_cmp_lt_i16_e32 vcc_lo, 14, v10
	s_cbranch_vccz .LBB345_1391
; %bb.1389:
	v_cmp_eq_u16_e32 vcc_lo, 15, v10
	s_cbranch_vccz .LBB345_1394
; %bb.1390:
	global_load_u16 v8, v[6:7], off
	s_mov_b32 s3, 0
	s_mov_b32 s11, -1
	s_branch .LBB345_1396
.LBB345_1391:
	s_mov_b32 s10, -1
	s_branch .LBB345_1395
.LBB345_1392:
	s_or_saveexec_b32 s12, s12
	v_mov_b32_e32 v11, s11
	s_xor_b32 exec_lo, exec_lo, s12
	s_cbranch_execz .LBB345_1373
.LBB345_1393:
	v_cmp_ne_u16_e32 vcc_lo, 0, v8
	v_mov_b32_e32 v11, 0
	s_and_not1_b32 s10, s10, exec_lo
	s_and_b32 s11, vcc_lo, exec_lo
	s_delay_alu instid0(SALU_CYCLE_1)
	s_or_b32 s10, s10, s11
	s_or_b32 exec_lo, exec_lo, s12
	s_and_saveexec_b32 s11, s10
	s_cbranch_execnz .LBB345_1374
	s_branch .LBB345_1375
.LBB345_1394:
	s_mov_b32 s3, -1
.LBB345_1395:
                                        ; implicit-def: $vgpr8
.LBB345_1396:
	s_and_b32 vcc_lo, exec_lo, s10
	s_mov_b32 s10, 0
	s_cbranch_vccz .LBB345_1398
; %bb.1397:
	v_cmp_ne_u16_e64 s3, 11, v10
	s_mov_b32 s10, -1
                                        ; implicit-def: $vgpr8
.LBB345_1398:
	s_delay_alu instid0(VALU_DEP_1)
	s_and_b32 vcc_lo, exec_lo, s3
	s_cbranch_vccnz .LBB345_1424
; %bb.1399:
	s_and_not1_b32 vcc_lo, exec_lo, s10
	s_cbranch_vccnz .LBB345_1401
.LBB345_1400:
	global_load_u8 v8, v[6:7], off
	s_mov_b32 s11, -1
	s_waitcnt vmcnt(0)
	v_cmp_ne_u16_e32 vcc_lo, 0, v8
	v_cndmask_b32_e64 v8, 0, 1.0, vcc_lo
	s_delay_alu instid0(VALU_DEP_1)
	v_lshrrev_b32_e32 v8, 16, v8
.LBB345_1401:
.LBB345_1402:
	s_and_not1_b32 vcc_lo, exec_lo, s11
	s_cbranch_vccnz .LBB345_1683
.LBB345_1403:
	s_waitcnt vmcnt(0)
	s_delay_alu instid0(VALU_DEP_1) | instskip(SKIP_1) | instid1(VALU_DEP_1)
	v_lshlrev_b32_e32 v6, 16, v8
	s_mov_b32 s3, exec_lo
	v_cmpx_o_f32_e32 v6, v6
; %bb.1404:
	s_lshl_b32 s10, s0, 16
	s_delay_alu instid0(SALU_CYCLE_1) | instskip(SKIP_2) | instid1(VALU_DEP_1)
	v_cmp_lt_f32_e32 vcc_lo, s10, v6
	s_lshl_b32 s10, s2, 16
	v_cndmask_b32_e32 v6, s0, v8, vcc_lo
	v_lshlrev_b32_e32 v7, 16, v6
	s_delay_alu instid0(VALU_DEP_1)
	v_cmp_gt_f32_e32 vcc_lo, s10, v7
	v_cndmask_b32_e32 v8, s2, v6, vcc_lo
; %bb.1405:
	s_or_b32 exec_lo, exec_lo, s3
	v_cmp_gt_i16_e32 vcc_lo, 11, v10
	v_add_co_u32 v5, s3, s6, v5
	s_delay_alu instid0(VALU_DEP_1)
	v_add_co_ci_u32_e64 v6, null, s7, 0, s3
	s_mov_b32 s11, 0
	s_cbranch_vccnz .LBB345_1412
; %bb.1406:
	v_cmp_lt_i16_e32 vcc_lo, 25, v10
	s_mov_b32 s10, 0
	s_cbranch_vccz .LBB345_1418
; %bb.1407:
	v_cmp_lt_i16_e32 vcc_lo, 28, v10
	s_cbranch_vccz .LBB345_1420
; %bb.1408:
	v_cmp_lt_i16_e32 vcc_lo, 43, v10
	;; [unrolled: 3-line block ×3, first 2 shown]
	s_cbranch_vccz .LBB345_1426
; %bb.1410:
	v_cmp_eq_u16_e32 vcc_lo, 46, v10
	s_mov_b32 s12, 0
	s_cbranch_vccz .LBB345_1469
; %bb.1411:
	global_load_b32 v7, v[5:6], off
	s_mov_b32 s3, 0
	s_mov_b32 s11, -1
	s_branch .LBB345_1471
.LBB345_1412:
                                        ; implicit-def: $vgpr7
	s_cbranch_execz .LBB345_1537
; %bb.1413:
	v_cmp_gt_i16_e32 vcc_lo, 5, v10
	s_cbranch_vccnz .LBB345_1419
; %bb.1414:
	v_cmp_gt_i16_e32 vcc_lo, 8, v10
	s_cbranch_vccnz .LBB345_1421
	;; [unrolled: 3-line block ×3, first 2 shown]
; %bb.1416:
	v_cmp_lt_i16_e32 vcc_lo, 9, v10
	s_cbranch_vccz .LBB345_1427
; %bb.1417:
	global_load_b64 v[11:12], v[5:6], off
	s_mov_b32 s3, 0
	s_waitcnt vmcnt(0)
	v_cvt_f32_f64_e32 v7, v[11:12]
	s_delay_alu instid0(VALU_DEP_1) | instskip(SKIP_1) | instid1(VALU_DEP_2)
	v_bfe_u32 v11, v7, 16, 1
	v_cmp_o_f32_e32 vcc_lo, v7, v7
	v_add3_u32 v11, v7, v11, 0x7fff
	s_delay_alu instid0(VALU_DEP_1) | instskip(NEXT) | instid1(VALU_DEP_1)
	v_lshrrev_b32_e32 v11, 16, v11
	v_cndmask_b32_e32 v7, 0x7fc0, v11, vcc_lo
	s_branch .LBB345_1428
.LBB345_1418:
	s_mov_b32 s12, -1
	s_mov_b32 s3, 0
                                        ; implicit-def: $vgpr7
	s_branch .LBB345_1500
.LBB345_1419:
	s_mov_b32 s3, -1
                                        ; implicit-def: $vgpr7
	s_branch .LBB345_1446
.LBB345_1420:
	s_mov_b32 s12, -1
	s_mov_b32 s3, 0
                                        ; implicit-def: $vgpr7
	s_branch .LBB345_1481
.LBB345_1421:
	s_mov_b32 s3, -1
                                        ; implicit-def: $vgpr7
	s_branch .LBB345_1434
.LBB345_1422:
	s_mov_b32 s12, -1
	s_mov_b32 s3, 0
                                        ; implicit-def: $vgpr7
	s_branch .LBB345_1476
.LBB345_1423:
	s_mov_b32 s3, -1
                                        ; implicit-def: $vgpr7
	s_branch .LBB345_1431
.LBB345_1424:
	s_cbranch_execnz .LBB345_1467
; %bb.1425:
	s_or_b32 s1, s1, exec_lo
                                        ; implicit-def: $vgpr8
	s_cbranch_execz .LBB345_1400
	s_branch .LBB345_1401
.LBB345_1426:
	s_mov_b32 s12, -1
	s_mov_b32 s3, 0
	s_branch .LBB345_1470
.LBB345_1427:
	s_mov_b32 s3, -1
                                        ; implicit-def: $vgpr7
.LBB345_1428:
	s_delay_alu instid0(SALU_CYCLE_1)
	s_and_not1_b32 vcc_lo, exec_lo, s3
	s_cbranch_vccnz .LBB345_1430
; %bb.1429:
	global_load_b32 v7, v[5:6], off
	s_waitcnt vmcnt(0)
	v_bfe_u32 v11, v7, 16, 1
	v_cmp_o_f32_e32 vcc_lo, v7, v7
	s_delay_alu instid0(VALU_DEP_2) | instskip(NEXT) | instid1(VALU_DEP_1)
	v_add3_u32 v11, v7, v11, 0x7fff
	v_lshrrev_b32_e32 v11, 16, v11
	s_delay_alu instid0(VALU_DEP_1)
	v_cndmask_b32_e32 v7, 0x7fc0, v11, vcc_lo
.LBB345_1430:
	s_mov_b32 s3, 0
.LBB345_1431:
	s_delay_alu instid0(SALU_CYCLE_1)
	s_and_not1_b32 vcc_lo, exec_lo, s3
	s_cbranch_vccnz .LBB345_1433
; %bb.1432:
	global_load_b32 v7, v[5:6], off
	s_waitcnt vmcnt(0)
	v_cvt_f32_f16_e32 v11, v7
	v_cmp_o_f16_e32 vcc_lo, v7, v7
	s_delay_alu instid0(VALU_DEP_2) | instskip(NEXT) | instid1(VALU_DEP_1)
	v_bfe_u32 v12, v11, 16, 1
	v_add3_u32 v11, v11, v12, 0x7fff
	s_delay_alu instid0(VALU_DEP_1) | instskip(NEXT) | instid1(VALU_DEP_1)
	v_lshrrev_b32_e32 v11, 16, v11
	v_cndmask_b32_e32 v7, 0x7fc0, v11, vcc_lo
.LBB345_1433:
	s_mov_b32 s3, 0
.LBB345_1434:
	s_delay_alu instid0(SALU_CYCLE_1)
	s_and_not1_b32 vcc_lo, exec_lo, s3
	s_cbranch_vccnz .LBB345_1445
; %bb.1435:
	v_cmp_gt_i16_e32 vcc_lo, 6, v10
	s_cbranch_vccnz .LBB345_1438
; %bb.1436:
	v_cmp_lt_i16_e32 vcc_lo, 6, v10
	s_cbranch_vccz .LBB345_1439
; %bb.1437:
	global_load_b64 v[11:12], v[5:6], off
	s_mov_b32 s3, 0
	s_waitcnt vmcnt(0)
	v_cvt_f32_f64_e32 v7, v[11:12]
	s_delay_alu instid0(VALU_DEP_1) | instskip(SKIP_1) | instid1(VALU_DEP_2)
	v_bfe_u32 v11, v7, 16, 1
	v_cmp_o_f32_e32 vcc_lo, v7, v7
	v_add3_u32 v11, v7, v11, 0x7fff
	s_delay_alu instid0(VALU_DEP_1) | instskip(NEXT) | instid1(VALU_DEP_1)
	v_lshrrev_b32_e32 v11, 16, v11
	v_cndmask_b32_e32 v7, 0x7fc0, v11, vcc_lo
	s_branch .LBB345_1440
.LBB345_1438:
	s_mov_b32 s3, -1
                                        ; implicit-def: $vgpr7
	s_branch .LBB345_1443
.LBB345_1439:
	s_mov_b32 s3, -1
                                        ; implicit-def: $vgpr7
.LBB345_1440:
	s_delay_alu instid0(SALU_CYCLE_1)
	s_and_not1_b32 vcc_lo, exec_lo, s3
	s_cbranch_vccnz .LBB345_1442
; %bb.1441:
	global_load_b32 v7, v[5:6], off
	s_waitcnt vmcnt(0)
	v_bfe_u32 v11, v7, 16, 1
	v_cmp_o_f32_e32 vcc_lo, v7, v7
	s_delay_alu instid0(VALU_DEP_2) | instskip(NEXT) | instid1(VALU_DEP_1)
	v_add3_u32 v11, v7, v11, 0x7fff
	v_lshrrev_b32_e32 v11, 16, v11
	s_delay_alu instid0(VALU_DEP_1)
	v_cndmask_b32_e32 v7, 0x7fc0, v11, vcc_lo
.LBB345_1442:
	s_mov_b32 s3, 0
.LBB345_1443:
	s_delay_alu instid0(SALU_CYCLE_1)
	s_and_not1_b32 vcc_lo, exec_lo, s3
	s_cbranch_vccnz .LBB345_1445
; %bb.1444:
	global_load_u16 v7, v[5:6], off
	s_waitcnt vmcnt(0)
	v_cvt_f32_f16_e32 v11, v7
	v_cmp_o_f16_e32 vcc_lo, v7, v7
	s_delay_alu instid0(VALU_DEP_2) | instskip(NEXT) | instid1(VALU_DEP_1)
	v_bfe_u32 v12, v11, 16, 1
	v_add3_u32 v11, v11, v12, 0x7fff
	s_delay_alu instid0(VALU_DEP_1) | instskip(NEXT) | instid1(VALU_DEP_1)
	v_lshrrev_b32_e32 v11, 16, v11
	v_cndmask_b32_e32 v7, 0x7fc0, v11, vcc_lo
.LBB345_1445:
	s_mov_b32 s3, 0
.LBB345_1446:
	s_delay_alu instid0(SALU_CYCLE_1)
	s_and_not1_b32 vcc_lo, exec_lo, s3
	s_cbranch_vccnz .LBB345_1466
; %bb.1447:
	v_cmp_gt_i16_e32 vcc_lo, 2, v10
	s_cbranch_vccnz .LBB345_1451
; %bb.1448:
	v_cmp_gt_i16_e32 vcc_lo, 3, v10
	s_cbranch_vccnz .LBB345_1452
; %bb.1449:
	v_cmp_lt_i16_e32 vcc_lo, 3, v10
	s_cbranch_vccz .LBB345_1453
; %bb.1450:
	global_load_b64 v[11:12], v[5:6], off
	s_mov_b32 s3, 0
	s_waitcnt vmcnt(0)
	v_xor_b32_e32 v7, v11, v12
	v_cls_i32_e32 v13, v12
	s_delay_alu instid0(VALU_DEP_2) | instskip(NEXT) | instid1(VALU_DEP_2)
	v_ashrrev_i32_e32 v7, 31, v7
	v_add_nc_u32_e32 v13, -1, v13
	s_delay_alu instid0(VALU_DEP_2) | instskip(NEXT) | instid1(VALU_DEP_1)
	v_add_nc_u32_e32 v7, 32, v7
	v_min_u32_e32 v7, v13, v7
	s_delay_alu instid0(VALU_DEP_1) | instskip(SKIP_1) | instid1(VALU_DEP_2)
	v_lshlrev_b64 v[11:12], v7, v[11:12]
	v_sub_nc_u32_e32 v7, 32, v7
	v_min_u32_e32 v11, 1, v11
	s_delay_alu instid0(VALU_DEP_1) | instskip(NEXT) | instid1(VALU_DEP_1)
	v_or_b32_e32 v11, v12, v11
	v_cvt_f32_i32_e32 v11, v11
	s_delay_alu instid0(VALU_DEP_1) | instskip(NEXT) | instid1(VALU_DEP_1)
	v_ldexp_f32 v7, v11, v7
	v_bfe_u32 v11, v7, 16, 1
	s_delay_alu instid0(VALU_DEP_1) | instskip(NEXT) | instid1(VALU_DEP_1)
	v_add3_u32 v7, v7, v11, 0x7fff
	v_lshrrev_b32_e32 v7, 16, v7
	s_branch .LBB345_1454
.LBB345_1451:
	s_mov_b32 s3, -1
                                        ; implicit-def: $vgpr7
	s_branch .LBB345_1460
.LBB345_1452:
	s_mov_b32 s3, -1
                                        ; implicit-def: $vgpr7
	s_branch .LBB345_1457
.LBB345_1453:
	s_mov_b32 s3, -1
                                        ; implicit-def: $vgpr7
.LBB345_1454:
	s_delay_alu instid0(SALU_CYCLE_1)
	s_and_not1_b32 vcc_lo, exec_lo, s3
	s_cbranch_vccnz .LBB345_1456
; %bb.1455:
	global_load_b32 v7, v[5:6], off
	s_waitcnt vmcnt(0)
	v_cvt_f32_i32_e32 v7, v7
	s_delay_alu instid0(VALU_DEP_1) | instskip(NEXT) | instid1(VALU_DEP_1)
	v_bfe_u32 v11, v7, 16, 1
	v_add3_u32 v7, v7, v11, 0x7fff
	s_delay_alu instid0(VALU_DEP_1)
	v_lshrrev_b32_e32 v7, 16, v7
.LBB345_1456:
	s_mov_b32 s3, 0
.LBB345_1457:
	s_delay_alu instid0(SALU_CYCLE_1)
	s_and_not1_b32 vcc_lo, exec_lo, s3
	s_cbranch_vccnz .LBB345_1459
; %bb.1458:
	global_load_i16 v7, v[5:6], off
	s_waitcnt vmcnt(0)
	v_cvt_f32_i32_e32 v7, v7
	s_delay_alu instid0(VALU_DEP_1) | instskip(NEXT) | instid1(VALU_DEP_1)
	v_bfe_u32 v11, v7, 16, 1
	v_add3_u32 v7, v7, v11, 0x7fff
	s_delay_alu instid0(VALU_DEP_1)
	v_lshrrev_b32_e32 v7, 16, v7
.LBB345_1459:
	s_mov_b32 s3, 0
.LBB345_1460:
	s_delay_alu instid0(SALU_CYCLE_1)
	s_and_not1_b32 vcc_lo, exec_lo, s3
	s_cbranch_vccnz .LBB345_1466
; %bb.1461:
	v_cmp_lt_i16_e32 vcc_lo, 0, v10
	s_mov_b32 s3, 0
	s_cbranch_vccz .LBB345_1463
; %bb.1462:
	global_load_i8 v7, v[5:6], off
	s_waitcnt vmcnt(0)
	v_cvt_f32_i32_e32 v7, v7
	s_delay_alu instid0(VALU_DEP_1) | instskip(NEXT) | instid1(VALU_DEP_1)
	v_bfe_u32 v11, v7, 16, 1
	v_add3_u32 v7, v7, v11, 0x7fff
	s_delay_alu instid0(VALU_DEP_1)
	v_lshrrev_b32_e32 v7, 16, v7
	s_branch .LBB345_1464
.LBB345_1463:
	s_mov_b32 s3, -1
                                        ; implicit-def: $vgpr7
.LBB345_1464:
	s_delay_alu instid0(SALU_CYCLE_1)
	s_and_not1_b32 vcc_lo, exec_lo, s3
	s_cbranch_vccnz .LBB345_1466
; %bb.1465:
	global_load_u8 v5, v[5:6], off
	s_waitcnt vmcnt(0)
	v_cvt_f32_ubyte0_e32 v5, v5
	s_delay_alu instid0(VALU_DEP_1) | instskip(NEXT) | instid1(VALU_DEP_1)
	v_bfe_u32 v6, v5, 16, 1
	v_add3_u32 v5, v5, v6, 0x7fff
	s_delay_alu instid0(VALU_DEP_1)
	v_lshrrev_b32_e32 v7, 16, v5
.LBB345_1466:
	s_branch .LBB345_1538
.LBB345_1467:
	s_trap 2
	s_sendmsg_rtn_b32 s0, sendmsg(MSG_RTN_GET_DOORBELL)
	s_mov_b32 ttmp2, m0
	s_waitcnt lgkmcnt(0)
	s_and_b32 s0, s0, 0x3ff
	s_delay_alu instid0(SALU_CYCLE_1) | instskip(NEXT) | instid1(SALU_CYCLE_1)
	s_bitset1_b32 s0, 10
	s_mov_b32 m0, s0
	s_sendmsg sendmsg(MSG_INTERRUPT)
	s_mov_b32 m0, ttmp2
.LBB345_1468:                           ; =>This Inner Loop Header: Depth=1
	s_sethalt 5
	s_branch .LBB345_1468
.LBB345_1469:
	s_mov_b32 s3, -1
.LBB345_1470:
                                        ; implicit-def: $vgpr7
.LBB345_1471:
	s_and_b32 vcc_lo, exec_lo, s12
	s_cbranch_vccz .LBB345_1475
; %bb.1472:
	v_cmp_eq_u16_e32 vcc_lo, 44, v10
	s_cbranch_vccz .LBB345_1474
; %bb.1473:
	global_load_u8 v7, v[5:6], off
	s_mov_b32 s3, 0
	s_mov_b32 s11, -1
	s_waitcnt vmcnt(0)
	v_lshlrev_b32_e32 v11, 23, v7
	v_cmp_ne_u32_e32 vcc_lo, 0xff, v7
	s_delay_alu instid0(VALU_DEP_2) | instskip(SKIP_1) | instid1(VALU_DEP_2)
	v_cndmask_b32_e32 v11, 0x7f800001, v11, vcc_lo
	v_cmp_ne_u32_e32 vcc_lo, 0, v7
	v_cndmask_b32_e32 v7, 0x400000, v11, vcc_lo
	s_delay_alu instid0(VALU_DEP_1) | instskip(SKIP_1) | instid1(VALU_DEP_2)
	v_add_nc_u32_e32 v11, 0x7fff, v7
	v_cmp_o_f32_e32 vcc_lo, v7, v7
	v_lshrrev_b32_e32 v11, 16, v11
	s_delay_alu instid0(VALU_DEP_1)
	v_cndmask_b32_e32 v7, 0x7fc0, v11, vcc_lo
	s_branch .LBB345_1475
.LBB345_1474:
	s_mov_b32 s3, -1
                                        ; implicit-def: $vgpr7
.LBB345_1475:
	s_mov_b32 s12, 0
.LBB345_1476:
	s_delay_alu instid0(SALU_CYCLE_1)
	s_and_b32 vcc_lo, exec_lo, s12
	s_cbranch_vccz .LBB345_1480
; %bb.1477:
	v_cmp_eq_u16_e32 vcc_lo, 29, v10
	s_cbranch_vccz .LBB345_1479
; %bb.1478:
	global_load_b64 v[11:12], v[5:6], off
	s_mov_b32 s3, 0
	s_mov_b32 s11, -1
	s_mov_b32 s12, 0
	s_waitcnt vmcnt(0)
	v_clz_i32_u32_e32 v7, v12
	s_delay_alu instid0(VALU_DEP_1) | instskip(NEXT) | instid1(VALU_DEP_1)
	v_min_u32_e32 v7, 32, v7
	v_lshlrev_b64 v[11:12], v7, v[11:12]
	v_sub_nc_u32_e32 v7, 32, v7
	s_delay_alu instid0(VALU_DEP_2) | instskip(NEXT) | instid1(VALU_DEP_1)
	v_min_u32_e32 v11, 1, v11
	v_or_b32_e32 v11, v12, v11
	s_delay_alu instid0(VALU_DEP_1) | instskip(NEXT) | instid1(VALU_DEP_1)
	v_cvt_f32_u32_e32 v11, v11
	v_ldexp_f32 v7, v11, v7
	s_delay_alu instid0(VALU_DEP_1) | instskip(NEXT) | instid1(VALU_DEP_1)
	v_bfe_u32 v11, v7, 16, 1
	v_add3_u32 v7, v7, v11, 0x7fff
	s_delay_alu instid0(VALU_DEP_1)
	v_lshrrev_b32_e32 v7, 16, v7
	s_branch .LBB345_1481
.LBB345_1479:
	s_mov_b32 s3, -1
                                        ; implicit-def: $vgpr7
.LBB345_1480:
	s_mov_b32 s12, 0
.LBB345_1481:
	s_delay_alu instid0(SALU_CYCLE_1)
	s_and_b32 vcc_lo, exec_lo, s12
	s_cbranch_vccz .LBB345_1499
; %bb.1482:
	v_cmp_gt_i16_e32 vcc_lo, 27, v10
	s_cbranch_vccnz .LBB345_1485
; %bb.1483:
	v_cmp_lt_i16_e32 vcc_lo, 27, v10
	s_cbranch_vccz .LBB345_1486
; %bb.1484:
	global_load_b32 v7, v[5:6], off
	s_mov_b32 s11, 0
	s_waitcnt vmcnt(0)
	v_cvt_f32_u32_e32 v7, v7
	s_delay_alu instid0(VALU_DEP_1) | instskip(NEXT) | instid1(VALU_DEP_1)
	v_bfe_u32 v11, v7, 16, 1
	v_add3_u32 v7, v7, v11, 0x7fff
	s_delay_alu instid0(VALU_DEP_1)
	v_lshrrev_b32_e32 v7, 16, v7
	s_branch .LBB345_1487
.LBB345_1485:
	s_mov_b32 s11, -1
                                        ; implicit-def: $vgpr7
	s_branch .LBB345_1490
.LBB345_1486:
	s_mov_b32 s11, -1
                                        ; implicit-def: $vgpr7
.LBB345_1487:
	s_delay_alu instid0(SALU_CYCLE_1)
	s_and_not1_b32 vcc_lo, exec_lo, s11
	s_cbranch_vccnz .LBB345_1489
; %bb.1488:
	global_load_u16 v7, v[5:6], off
	s_waitcnt vmcnt(0)
	v_cvt_f32_u32_e32 v7, v7
	s_delay_alu instid0(VALU_DEP_1) | instskip(NEXT) | instid1(VALU_DEP_1)
	v_bfe_u32 v11, v7, 16, 1
	v_add3_u32 v7, v7, v11, 0x7fff
	s_delay_alu instid0(VALU_DEP_1)
	v_lshrrev_b32_e32 v7, 16, v7
.LBB345_1489:
	s_mov_b32 s11, 0
.LBB345_1490:
	s_delay_alu instid0(SALU_CYCLE_1)
	s_and_not1_b32 vcc_lo, exec_lo, s11
	s_cbranch_vccnz .LBB345_1498
; %bb.1491:
	global_load_u8 v7, v[5:6], off
	s_mov_b32 s11, 0
	s_mov_b32 s13, exec_lo
                                        ; implicit-def: $sgpr12
	s_waitcnt vmcnt(0)
	v_cmpx_lt_i16_e32 0x7f, v7
	s_xor_b32 s13, exec_lo, s13
	s_cbranch_execz .LBB345_1512
; %bb.1492:
	s_mov_b32 s11, -1
	s_mov_b32 s14, exec_lo
                                        ; implicit-def: $sgpr12
	v_cmpx_eq_u16_e32 0x80, v7
; %bb.1493:
	s_mov_b32 s12, 0x7f800001
	s_xor_b32 s11, exec_lo, -1
; %bb.1494:
	s_or_b32 exec_lo, exec_lo, s14
	s_delay_alu instid0(SALU_CYCLE_1)
	s_and_b32 s11, s11, exec_lo
	s_or_saveexec_b32 s13, s13
	v_mov_b32_e32 v11, s12
	s_xor_b32 exec_lo, exec_lo, s13
	s_cbranch_execnz .LBB345_1513
.LBB345_1495:
	s_or_b32 exec_lo, exec_lo, s13
	s_and_saveexec_b32 s12, s11
	s_cbranch_execz .LBB345_1497
.LBB345_1496:
	v_and_b32_e32 v11, 0xffff, v7
	v_lshlrev_b32_e32 v7, 24, v7
	s_delay_alu instid0(VALU_DEP_2) | instskip(NEXT) | instid1(VALU_DEP_2)
	v_and_b32_e32 v12, 7, v11
	v_and_b32_e32 v7, 0x80000000, v7
	s_delay_alu instid0(VALU_DEP_2) | instskip(NEXT) | instid1(VALU_DEP_1)
	v_clz_i32_u32_e32 v13, v12
	v_min_u32_e32 v13, 32, v13
	s_delay_alu instid0(VALU_DEP_1) | instskip(SKIP_1) | instid1(VALU_DEP_2)
	v_subrev_nc_u32_e32 v14, 28, v13
	v_sub_nc_u32_e32 v13, 29, v13
	v_lshlrev_b32_e32 v14, v14, v11
	v_bfe_u32 v11, v11, 3, 4
	s_delay_alu instid0(VALU_DEP_2) | instskip(NEXT) | instid1(VALU_DEP_2)
	v_and_b32_e32 v14, 7, v14
	v_cmp_eq_u32_e32 vcc_lo, 0, v11
	s_delay_alu instid0(VALU_DEP_2) | instskip(NEXT) | instid1(VALU_DEP_1)
	v_dual_cndmask_b32 v11, v11, v13 :: v_dual_cndmask_b32 v12, v12, v14
	v_lshl_add_u32 v11, v11, 23, 0x3b800000
	s_delay_alu instid0(VALU_DEP_2) | instskip(NEXT) | instid1(VALU_DEP_1)
	v_lshlrev_b32_e32 v12, 20, v12
	v_or3_b32 v11, v7, v11, v12
.LBB345_1497:
	s_or_b32 exec_lo, exec_lo, s12
	s_delay_alu instid0(VALU_DEP_1) | instskip(SKIP_1) | instid1(VALU_DEP_2)
	v_bfe_u32 v7, v11, 16, 1
	v_cmp_o_f32_e32 vcc_lo, v11, v11
	v_add3_u32 v7, v11, v7, 0x7fff
	s_delay_alu instid0(VALU_DEP_1) | instskip(NEXT) | instid1(VALU_DEP_1)
	v_lshrrev_b32_e32 v7, 16, v7
	v_cndmask_b32_e32 v7, 0x7fc0, v7, vcc_lo
.LBB345_1498:
	s_mov_b32 s11, -1
.LBB345_1499:
	s_mov_b32 s12, 0
.LBB345_1500:
	s_delay_alu instid0(SALU_CYCLE_1)
	s_and_b32 vcc_lo, exec_lo, s12
	s_cbranch_vccz .LBB345_1533
; %bb.1501:
	v_cmp_lt_i16_e32 vcc_lo, 22, v10
	s_cbranch_vccz .LBB345_1511
; %bb.1502:
	v_cmp_gt_i16_e32 vcc_lo, 24, v10
	s_cbranch_vccnz .LBB345_1514
; %bb.1503:
	v_cmp_lt_i16_e32 vcc_lo, 24, v10
	s_cbranch_vccz .LBB345_1515
; %bb.1504:
	global_load_u8 v7, v[5:6], off
	s_mov_b32 s12, exec_lo
                                        ; implicit-def: $sgpr11
	s_waitcnt vmcnt(0)
	v_cmpx_lt_i16_e32 0x7f, v7
	s_xor_b32 s12, exec_lo, s12
	s_cbranch_execz .LBB345_1527
; %bb.1505:
	s_mov_b32 s10, -1
	s_mov_b32 s13, exec_lo
                                        ; implicit-def: $sgpr11
	v_cmpx_eq_u16_e32 0x80, v7
; %bb.1506:
	s_mov_b32 s11, 0x7f800001
	s_xor_b32 s10, exec_lo, -1
; %bb.1507:
	s_or_b32 exec_lo, exec_lo, s13
	s_delay_alu instid0(SALU_CYCLE_1)
	s_and_b32 s10, s10, exec_lo
	s_or_saveexec_b32 s12, s12
	v_mov_b32_e32 v11, s11
	s_xor_b32 exec_lo, exec_lo, s12
	s_cbranch_execnz .LBB345_1528
.LBB345_1508:
	s_or_b32 exec_lo, exec_lo, s12
	s_and_saveexec_b32 s11, s10
	s_cbranch_execz .LBB345_1510
.LBB345_1509:
	v_and_b32_e32 v11, 0xffff, v7
	v_lshlrev_b32_e32 v7, 24, v7
	s_delay_alu instid0(VALU_DEP_2) | instskip(NEXT) | instid1(VALU_DEP_2)
	v_and_b32_e32 v12, 3, v11
	v_and_b32_e32 v7, 0x80000000, v7
	s_delay_alu instid0(VALU_DEP_2) | instskip(NEXT) | instid1(VALU_DEP_1)
	v_clz_i32_u32_e32 v13, v12
	v_min_u32_e32 v13, 32, v13
	s_delay_alu instid0(VALU_DEP_1) | instskip(SKIP_1) | instid1(VALU_DEP_2)
	v_subrev_nc_u32_e32 v14, 29, v13
	v_sub_nc_u32_e32 v13, 30, v13
	v_lshlrev_b32_e32 v14, v14, v11
	v_bfe_u32 v11, v11, 2, 5
	s_delay_alu instid0(VALU_DEP_2) | instskip(NEXT) | instid1(VALU_DEP_2)
	v_and_b32_e32 v14, 3, v14
	v_cmp_eq_u32_e32 vcc_lo, 0, v11
	s_delay_alu instid0(VALU_DEP_2) | instskip(NEXT) | instid1(VALU_DEP_1)
	v_dual_cndmask_b32 v11, v11, v13 :: v_dual_cndmask_b32 v12, v12, v14
	v_lshl_add_u32 v11, v11, 23, 0x37800000
	s_delay_alu instid0(VALU_DEP_2) | instskip(NEXT) | instid1(VALU_DEP_1)
	v_lshlrev_b32_e32 v12, 21, v12
	v_or3_b32 v11, v7, v11, v12
.LBB345_1510:
	s_or_b32 exec_lo, exec_lo, s11
	s_delay_alu instid0(VALU_DEP_1) | instskip(SKIP_2) | instid1(VALU_DEP_2)
	v_bfe_u32 v7, v11, 16, 1
	v_cmp_o_f32_e32 vcc_lo, v11, v11
	s_mov_b32 s10, 0
	v_add3_u32 v7, v11, v7, 0x7fff
	s_delay_alu instid0(VALU_DEP_1) | instskip(NEXT) | instid1(VALU_DEP_1)
	v_lshrrev_b32_e32 v7, 16, v7
	v_cndmask_b32_e32 v7, 0x7fc0, v7, vcc_lo
	s_branch .LBB345_1516
.LBB345_1511:
	s_mov_b32 s10, -1
                                        ; implicit-def: $vgpr7
	s_branch .LBB345_1522
.LBB345_1512:
	s_or_saveexec_b32 s13, s13
	v_mov_b32_e32 v11, s12
	s_xor_b32 exec_lo, exec_lo, s13
	s_cbranch_execz .LBB345_1495
.LBB345_1513:
	v_cmp_ne_u16_e32 vcc_lo, 0, v7
	v_mov_b32_e32 v11, 0
	s_and_not1_b32 s11, s11, exec_lo
	s_and_b32 s12, vcc_lo, exec_lo
	s_delay_alu instid0(SALU_CYCLE_1)
	s_or_b32 s11, s11, s12
	s_or_b32 exec_lo, exec_lo, s13
	s_and_saveexec_b32 s12, s11
	s_cbranch_execnz .LBB345_1496
	s_branch .LBB345_1497
.LBB345_1514:
	s_mov_b32 s10, -1
                                        ; implicit-def: $vgpr7
	s_branch .LBB345_1519
.LBB345_1515:
	s_mov_b32 s10, -1
                                        ; implicit-def: $vgpr7
.LBB345_1516:
	s_delay_alu instid0(SALU_CYCLE_1)
	s_and_b32 vcc_lo, exec_lo, s10
	s_cbranch_vccz .LBB345_1518
; %bb.1517:
	global_load_u8 v7, v[5:6], off
	s_waitcnt vmcnt(0)
	v_lshlrev_b32_e32 v7, 24, v7
	s_delay_alu instid0(VALU_DEP_1) | instskip(NEXT) | instid1(VALU_DEP_1)
	v_and_b32_e32 v11, 0x7f000000, v7
	v_clz_i32_u32_e32 v12, v11
	v_cmp_ne_u32_e32 vcc_lo, 0, v11
	v_add_nc_u32_e32 v14, 0x1000000, v11
	s_delay_alu instid0(VALU_DEP_3) | instskip(NEXT) | instid1(VALU_DEP_1)
	v_min_u32_e32 v12, 32, v12
	v_sub_nc_u32_e64 v12, v12, 4 clamp
	s_delay_alu instid0(VALU_DEP_1) | instskip(SKIP_1) | instid1(VALU_DEP_2)
	v_lshlrev_b32_e32 v13, v12, v11
	v_lshlrev_b32_e32 v12, 23, v12
	v_lshrrev_b32_e32 v13, 4, v13
	s_delay_alu instid0(VALU_DEP_1) | instskip(SKIP_1) | instid1(VALU_DEP_2)
	v_sub_nc_u32_e32 v12, v13, v12
	v_ashrrev_i32_e32 v13, 8, v14
	v_add_nc_u32_e32 v12, 0x3c000000, v12
	s_delay_alu instid0(VALU_DEP_1) | instskip(NEXT) | instid1(VALU_DEP_1)
	v_and_or_b32 v12, 0x7f800000, v13, v12
	v_cndmask_b32_e32 v11, 0, v12, vcc_lo
	s_delay_alu instid0(VALU_DEP_1) | instskip(SKIP_1) | instid1(VALU_DEP_2)
	v_and_or_b32 v7, 0x80000000, v7, v11
	v_bfe_u32 v11, v11, 16, 1
	v_cmp_o_f32_e32 vcc_lo, v7, v7
	s_delay_alu instid0(VALU_DEP_2) | instskip(NEXT) | instid1(VALU_DEP_1)
	v_add3_u32 v11, v7, v11, 0x7fff
	v_lshrrev_b32_e32 v11, 16, v11
	s_delay_alu instid0(VALU_DEP_1)
	v_cndmask_b32_e32 v7, 0x7fc0, v11, vcc_lo
.LBB345_1518:
	s_mov_b32 s10, 0
.LBB345_1519:
	s_delay_alu instid0(SALU_CYCLE_1)
	s_and_not1_b32 vcc_lo, exec_lo, s10
	s_cbranch_vccnz .LBB345_1521
; %bb.1520:
	global_load_u8 v7, v[5:6], off
	s_waitcnt vmcnt(0)
	v_lshlrev_b32_e32 v11, 25, v7
	v_lshlrev_b16 v7, 8, v7
	s_delay_alu instid0(VALU_DEP_2) | instskip(NEXT) | instid1(VALU_DEP_2)
	v_lshrrev_b32_e32 v12, 4, v11
	v_and_or_b32 v13, 0x7f00, v7, 0.5
	v_bfe_i32 v7, v7, 0, 16
	s_delay_alu instid0(VALU_DEP_3) | instskip(NEXT) | instid1(VALU_DEP_1)
	v_or_b32_e32 v12, 0x70000000, v12
	v_dual_add_f32 v13, -0.5, v13 :: v_dual_mul_f32 v12, 0x7800000, v12
	v_cmp_gt_u32_e32 vcc_lo, 0x8000000, v11
	s_delay_alu instid0(VALU_DEP_2) | instskip(NEXT) | instid1(VALU_DEP_1)
	v_cndmask_b32_e32 v11, v12, v13, vcc_lo
	v_and_or_b32 v7, 0x80000000, v7, v11
	v_bfe_u32 v11, v11, 16, 1
	s_delay_alu instid0(VALU_DEP_2) | instskip(NEXT) | instid1(VALU_DEP_2)
	v_cmp_o_f32_e32 vcc_lo, v7, v7
	v_add3_u32 v11, v7, v11, 0x7fff
	s_delay_alu instid0(VALU_DEP_1) | instskip(NEXT) | instid1(VALU_DEP_1)
	v_lshrrev_b32_e32 v11, 16, v11
	v_cndmask_b32_e32 v7, 0x7fc0, v11, vcc_lo
.LBB345_1521:
	s_mov_b32 s10, 0
	s_mov_b32 s11, -1
.LBB345_1522:
	s_and_not1_b32 vcc_lo, exec_lo, s10
	s_mov_b32 s10, 0
	s_cbranch_vccnz .LBB345_1533
; %bb.1523:
	v_cmp_lt_i16_e32 vcc_lo, 14, v10
	s_cbranch_vccz .LBB345_1526
; %bb.1524:
	v_cmp_eq_u16_e32 vcc_lo, 15, v10
	s_cbranch_vccz .LBB345_1529
; %bb.1525:
	global_load_u16 v7, v[5:6], off
	s_mov_b32 s3, 0
	s_mov_b32 s11, -1
	s_branch .LBB345_1531
.LBB345_1526:
	s_mov_b32 s10, -1
	s_branch .LBB345_1530
.LBB345_1527:
	s_or_saveexec_b32 s12, s12
	v_mov_b32_e32 v11, s11
	s_xor_b32 exec_lo, exec_lo, s12
	s_cbranch_execz .LBB345_1508
.LBB345_1528:
	v_cmp_ne_u16_e32 vcc_lo, 0, v7
	v_mov_b32_e32 v11, 0
	s_and_not1_b32 s10, s10, exec_lo
	s_and_b32 s11, vcc_lo, exec_lo
	s_delay_alu instid0(SALU_CYCLE_1)
	s_or_b32 s10, s10, s11
	s_or_b32 exec_lo, exec_lo, s12
	s_and_saveexec_b32 s11, s10
	s_cbranch_execnz .LBB345_1509
	s_branch .LBB345_1510
.LBB345_1529:
	s_mov_b32 s3, -1
.LBB345_1530:
                                        ; implicit-def: $vgpr7
.LBB345_1531:
	s_and_b32 vcc_lo, exec_lo, s10
	s_mov_b32 s10, 0
	s_cbranch_vccz .LBB345_1533
; %bb.1532:
	v_cmp_ne_u16_e64 s3, 11, v10
	s_mov_b32 s10, -1
                                        ; implicit-def: $vgpr7
.LBB345_1533:
	s_delay_alu instid0(VALU_DEP_1)
	s_and_b32 vcc_lo, exec_lo, s3
	s_cbranch_vccnz .LBB345_1551
; %bb.1534:
	s_and_not1_b32 vcc_lo, exec_lo, s10
	s_cbranch_vccnz .LBB345_1536
.LBB345_1535:
	global_load_u8 v7, v[5:6], off
	s_mov_b32 s11, -1
	s_waitcnt vmcnt(0)
	v_cmp_ne_u16_e32 vcc_lo, 0, v7
	v_cndmask_b32_e64 v7, 0, 1.0, vcc_lo
	s_delay_alu instid0(VALU_DEP_1)
	v_lshrrev_b32_e32 v7, 16, v7
.LBB345_1536:
.LBB345_1537:
	s_and_not1_b32 vcc_lo, exec_lo, s11
	s_cbranch_vccnz .LBB345_1683
.LBB345_1538:
	s_waitcnt vmcnt(0)
	s_delay_alu instid0(VALU_DEP_1) | instskip(SKIP_1) | instid1(VALU_DEP_1)
	v_lshlrev_b32_e32 v5, 16, v7
	s_mov_b32 s3, exec_lo
	v_cmpx_o_f32_e32 v5, v5
; %bb.1539:
	s_lshl_b32 s10, s0, 16
	s_delay_alu instid0(SALU_CYCLE_1) | instskip(SKIP_2) | instid1(VALU_DEP_1)
	v_cmp_lt_f32_e32 vcc_lo, s10, v5
	s_lshl_b32 s10, s2, 16
	v_cndmask_b32_e32 v5, s0, v7, vcc_lo
	v_lshlrev_b32_e32 v6, 16, v5
	s_delay_alu instid0(VALU_DEP_1)
	v_cmp_gt_f32_e32 vcc_lo, s10, v6
	v_cndmask_b32_e32 v7, s2, v5, vcc_lo
; %bb.1540:
	s_or_b32 exec_lo, exec_lo, s3
	v_cmp_gt_i16_e32 vcc_lo, 11, v10
	v_add_co_u32 v4, s3, s6, v4
	s_delay_alu instid0(VALU_DEP_1)
	v_add_co_ci_u32_e64 v5, null, s7, 0, s3
	s_mov_b32 s7, 0
	s_cbranch_vccnz .LBB345_1547
; %bb.1541:
	v_cmp_lt_i16_e32 vcc_lo, 25, v10
	s_mov_b32 s6, 0
	s_cbranch_vccz .LBB345_1548
; %bb.1542:
	v_cmp_lt_i16_e32 vcc_lo, 28, v10
	s_cbranch_vccz .LBB345_1549
; %bb.1543:
	v_cmp_lt_i16_e32 vcc_lo, 43, v10
	;; [unrolled: 3-line block ×3, first 2 shown]
	s_cbranch_vccz .LBB345_1553
; %bb.1545:
	v_cmp_eq_u16_e32 vcc_lo, 46, v10
	s_mov_b32 s10, 0
	s_cbranch_vccz .LBB345_1556
; %bb.1546:
	global_load_b32 v6, v[4:5], off
	s_mov_b32 s3, 0
	s_mov_b32 s7, -1
	s_branch .LBB345_1558
.LBB345_1547:
	s_mov_b32 s3, -1
                                        ; implicit-def: $vgpr6
	s_branch .LBB345_1624
.LBB345_1548:
	s_mov_b32 s10, -1
	s_mov_b32 s3, 0
                                        ; implicit-def: $vgpr6
	s_branch .LBB345_1587
.LBB345_1549:
	s_mov_b32 s10, -1
	s_mov_b32 s3, 0
                                        ; implicit-def: $vgpr6
	s_branch .LBB345_1568
.LBB345_1550:
	s_mov_b32 s10, -1
	s_mov_b32 s3, 0
                                        ; implicit-def: $vgpr6
	s_branch .LBB345_1563
.LBB345_1551:
	s_cbranch_execnz .LBB345_1554
; %bb.1552:
	s_or_b32 s1, s1, exec_lo
                                        ; implicit-def: $vgpr7
	s_cbranch_execz .LBB345_1535
	s_branch .LBB345_1536
.LBB345_1553:
	s_mov_b32 s10, -1
	s_mov_b32 s3, 0
	s_branch .LBB345_1557
.LBB345_1554:
	s_trap 2
	s_sendmsg_rtn_b32 s0, sendmsg(MSG_RTN_GET_DOORBELL)
	s_mov_b32 ttmp2, m0
	s_waitcnt lgkmcnt(0)
	s_and_b32 s0, s0, 0x3ff
	s_delay_alu instid0(SALU_CYCLE_1) | instskip(NEXT) | instid1(SALU_CYCLE_1)
	s_bitset1_b32 s0, 10
	s_mov_b32 m0, s0
	s_sendmsg sendmsg(MSG_INTERRUPT)
	s_mov_b32 m0, ttmp2
.LBB345_1555:                           ; =>This Inner Loop Header: Depth=1
	s_sethalt 5
	s_branch .LBB345_1555
.LBB345_1556:
	s_mov_b32 s3, -1
.LBB345_1557:
                                        ; implicit-def: $vgpr6
.LBB345_1558:
	s_and_b32 vcc_lo, exec_lo, s10
	s_cbranch_vccz .LBB345_1562
; %bb.1559:
	v_cmp_eq_u16_e32 vcc_lo, 44, v10
	s_cbranch_vccz .LBB345_1561
; %bb.1560:
	global_load_u8 v6, v[4:5], off
	s_mov_b32 s3, 0
	s_mov_b32 s7, -1
	s_waitcnt vmcnt(0)
	v_lshlrev_b32_e32 v11, 23, v6
	v_cmp_ne_u32_e32 vcc_lo, 0xff, v6
	s_delay_alu instid0(VALU_DEP_2) | instskip(SKIP_1) | instid1(VALU_DEP_2)
	v_cndmask_b32_e32 v11, 0x7f800001, v11, vcc_lo
	v_cmp_ne_u32_e32 vcc_lo, 0, v6
	v_cndmask_b32_e32 v6, 0x400000, v11, vcc_lo
	s_delay_alu instid0(VALU_DEP_1) | instskip(SKIP_1) | instid1(VALU_DEP_2)
	v_add_nc_u32_e32 v11, 0x7fff, v6
	v_cmp_o_f32_e32 vcc_lo, v6, v6
	v_lshrrev_b32_e32 v11, 16, v11
	s_delay_alu instid0(VALU_DEP_1)
	v_cndmask_b32_e32 v6, 0x7fc0, v11, vcc_lo
	s_branch .LBB345_1562
.LBB345_1561:
	s_mov_b32 s3, -1
                                        ; implicit-def: $vgpr6
.LBB345_1562:
	s_mov_b32 s10, 0
.LBB345_1563:
	s_delay_alu instid0(SALU_CYCLE_1)
	s_and_b32 vcc_lo, exec_lo, s10
	s_cbranch_vccz .LBB345_1567
; %bb.1564:
	v_cmp_eq_u16_e32 vcc_lo, 29, v10
	s_cbranch_vccz .LBB345_1566
; %bb.1565:
	global_load_b64 v[11:12], v[4:5], off
	s_mov_b32 s3, 0
	s_mov_b32 s7, -1
	s_mov_b32 s10, 0
	s_waitcnt vmcnt(0)
	v_clz_i32_u32_e32 v6, v12
	s_delay_alu instid0(VALU_DEP_1) | instskip(NEXT) | instid1(VALU_DEP_1)
	v_min_u32_e32 v6, 32, v6
	v_lshlrev_b64 v[11:12], v6, v[11:12]
	v_sub_nc_u32_e32 v6, 32, v6
	s_delay_alu instid0(VALU_DEP_2) | instskip(NEXT) | instid1(VALU_DEP_1)
	v_min_u32_e32 v11, 1, v11
	v_or_b32_e32 v11, v12, v11
	s_delay_alu instid0(VALU_DEP_1) | instskip(NEXT) | instid1(VALU_DEP_1)
	v_cvt_f32_u32_e32 v11, v11
	v_ldexp_f32 v6, v11, v6
	s_delay_alu instid0(VALU_DEP_1) | instskip(NEXT) | instid1(VALU_DEP_1)
	v_bfe_u32 v11, v6, 16, 1
	v_add3_u32 v6, v6, v11, 0x7fff
	s_delay_alu instid0(VALU_DEP_1)
	v_lshrrev_b32_e32 v6, 16, v6
	s_branch .LBB345_1568
.LBB345_1566:
	s_mov_b32 s3, -1
                                        ; implicit-def: $vgpr6
.LBB345_1567:
	s_mov_b32 s10, 0
.LBB345_1568:
	s_delay_alu instid0(SALU_CYCLE_1)
	s_and_b32 vcc_lo, exec_lo, s10
	s_cbranch_vccz .LBB345_1586
; %bb.1569:
	v_cmp_gt_i16_e32 vcc_lo, 27, v10
	s_cbranch_vccnz .LBB345_1572
; %bb.1570:
	v_cmp_lt_i16_e32 vcc_lo, 27, v10
	s_cbranch_vccz .LBB345_1573
; %bb.1571:
	global_load_b32 v6, v[4:5], off
	s_mov_b32 s7, 0
	s_waitcnt vmcnt(0)
	v_cvt_f32_u32_e32 v6, v6
	s_delay_alu instid0(VALU_DEP_1) | instskip(NEXT) | instid1(VALU_DEP_1)
	v_bfe_u32 v11, v6, 16, 1
	v_add3_u32 v6, v6, v11, 0x7fff
	s_delay_alu instid0(VALU_DEP_1)
	v_lshrrev_b32_e32 v6, 16, v6
	s_branch .LBB345_1574
.LBB345_1572:
	s_mov_b32 s7, -1
                                        ; implicit-def: $vgpr6
	s_branch .LBB345_1577
.LBB345_1573:
	s_mov_b32 s7, -1
                                        ; implicit-def: $vgpr6
.LBB345_1574:
	s_delay_alu instid0(SALU_CYCLE_1)
	s_and_not1_b32 vcc_lo, exec_lo, s7
	s_cbranch_vccnz .LBB345_1576
; %bb.1575:
	global_load_u16 v6, v[4:5], off
	s_waitcnt vmcnt(0)
	v_cvt_f32_u32_e32 v6, v6
	s_delay_alu instid0(VALU_DEP_1) | instskip(NEXT) | instid1(VALU_DEP_1)
	v_bfe_u32 v11, v6, 16, 1
	v_add3_u32 v6, v6, v11, 0x7fff
	s_delay_alu instid0(VALU_DEP_1)
	v_lshrrev_b32_e32 v6, 16, v6
.LBB345_1576:
	s_mov_b32 s7, 0
.LBB345_1577:
	s_delay_alu instid0(SALU_CYCLE_1)
	s_and_not1_b32 vcc_lo, exec_lo, s7
	s_cbranch_vccnz .LBB345_1585
; %bb.1578:
	global_load_u8 v6, v[4:5], off
	s_mov_b32 s7, 0
	s_mov_b32 s11, exec_lo
                                        ; implicit-def: $sgpr10
	s_waitcnt vmcnt(0)
	v_cmpx_lt_i16_e32 0x7f, v6
	s_xor_b32 s11, exec_lo, s11
	s_cbranch_execz .LBB345_1599
; %bb.1579:
	s_mov_b32 s7, -1
	s_mov_b32 s12, exec_lo
                                        ; implicit-def: $sgpr10
	v_cmpx_eq_u16_e32 0x80, v6
; %bb.1580:
	s_mov_b32 s10, 0x7f800001
	s_xor_b32 s7, exec_lo, -1
; %bb.1581:
	s_or_b32 exec_lo, exec_lo, s12
	s_delay_alu instid0(SALU_CYCLE_1)
	s_and_b32 s7, s7, exec_lo
	s_or_saveexec_b32 s11, s11
	v_mov_b32_e32 v11, s10
	s_xor_b32 exec_lo, exec_lo, s11
	s_cbranch_execnz .LBB345_1600
.LBB345_1582:
	s_or_b32 exec_lo, exec_lo, s11
	s_and_saveexec_b32 s10, s7
	s_cbranch_execz .LBB345_1584
.LBB345_1583:
	v_and_b32_e32 v11, 0xffff, v6
	v_lshlrev_b32_e32 v6, 24, v6
	s_delay_alu instid0(VALU_DEP_2) | instskip(NEXT) | instid1(VALU_DEP_2)
	v_and_b32_e32 v12, 7, v11
	v_and_b32_e32 v6, 0x80000000, v6
	s_delay_alu instid0(VALU_DEP_2) | instskip(NEXT) | instid1(VALU_DEP_1)
	v_clz_i32_u32_e32 v13, v12
	v_min_u32_e32 v13, 32, v13
	s_delay_alu instid0(VALU_DEP_1) | instskip(SKIP_1) | instid1(VALU_DEP_2)
	v_subrev_nc_u32_e32 v14, 28, v13
	v_sub_nc_u32_e32 v13, 29, v13
	v_lshlrev_b32_e32 v14, v14, v11
	v_bfe_u32 v11, v11, 3, 4
	s_delay_alu instid0(VALU_DEP_2) | instskip(NEXT) | instid1(VALU_DEP_2)
	v_and_b32_e32 v14, 7, v14
	v_cmp_eq_u32_e32 vcc_lo, 0, v11
	s_delay_alu instid0(VALU_DEP_2) | instskip(NEXT) | instid1(VALU_DEP_1)
	v_dual_cndmask_b32 v11, v11, v13 :: v_dual_cndmask_b32 v12, v12, v14
	v_lshl_add_u32 v11, v11, 23, 0x3b800000
	s_delay_alu instid0(VALU_DEP_2) | instskip(NEXT) | instid1(VALU_DEP_1)
	v_lshlrev_b32_e32 v12, 20, v12
	v_or3_b32 v11, v6, v11, v12
.LBB345_1584:
	s_or_b32 exec_lo, exec_lo, s10
	s_delay_alu instid0(VALU_DEP_1) | instskip(SKIP_1) | instid1(VALU_DEP_2)
	v_bfe_u32 v6, v11, 16, 1
	v_cmp_o_f32_e32 vcc_lo, v11, v11
	v_add3_u32 v6, v11, v6, 0x7fff
	s_delay_alu instid0(VALU_DEP_1) | instskip(NEXT) | instid1(VALU_DEP_1)
	v_lshrrev_b32_e32 v6, 16, v6
	v_cndmask_b32_e32 v6, 0x7fc0, v6, vcc_lo
.LBB345_1585:
	s_mov_b32 s7, -1
.LBB345_1586:
	s_mov_b32 s10, 0
.LBB345_1587:
	s_delay_alu instid0(SALU_CYCLE_1)
	s_and_b32 vcc_lo, exec_lo, s10
	s_cbranch_vccz .LBB345_1620
; %bb.1588:
	v_cmp_lt_i16_e32 vcc_lo, 22, v10
	s_cbranch_vccz .LBB345_1598
; %bb.1589:
	v_cmp_gt_i16_e32 vcc_lo, 24, v10
	s_cbranch_vccnz .LBB345_1601
; %bb.1590:
	v_cmp_lt_i16_e32 vcc_lo, 24, v10
	s_cbranch_vccz .LBB345_1602
; %bb.1591:
	global_load_u8 v6, v[4:5], off
	s_mov_b32 s10, exec_lo
                                        ; implicit-def: $sgpr7
	s_waitcnt vmcnt(0)
	v_cmpx_lt_i16_e32 0x7f, v6
	s_xor_b32 s10, exec_lo, s10
	s_cbranch_execz .LBB345_1614
; %bb.1592:
	s_mov_b32 s6, -1
	s_mov_b32 s11, exec_lo
                                        ; implicit-def: $sgpr7
	v_cmpx_eq_u16_e32 0x80, v6
; %bb.1593:
	s_mov_b32 s7, 0x7f800001
	s_xor_b32 s6, exec_lo, -1
; %bb.1594:
	s_or_b32 exec_lo, exec_lo, s11
	s_delay_alu instid0(SALU_CYCLE_1)
	s_and_b32 s6, s6, exec_lo
	s_or_saveexec_b32 s10, s10
	v_mov_b32_e32 v11, s7
	s_xor_b32 exec_lo, exec_lo, s10
	s_cbranch_execnz .LBB345_1615
.LBB345_1595:
	s_or_b32 exec_lo, exec_lo, s10
	s_and_saveexec_b32 s7, s6
	s_cbranch_execz .LBB345_1597
.LBB345_1596:
	v_and_b32_e32 v11, 0xffff, v6
	v_lshlrev_b32_e32 v6, 24, v6
	s_delay_alu instid0(VALU_DEP_2) | instskip(NEXT) | instid1(VALU_DEP_2)
	v_and_b32_e32 v12, 3, v11
	v_and_b32_e32 v6, 0x80000000, v6
	s_delay_alu instid0(VALU_DEP_2) | instskip(NEXT) | instid1(VALU_DEP_1)
	v_clz_i32_u32_e32 v13, v12
	v_min_u32_e32 v13, 32, v13
	s_delay_alu instid0(VALU_DEP_1) | instskip(SKIP_1) | instid1(VALU_DEP_2)
	v_subrev_nc_u32_e32 v14, 29, v13
	v_sub_nc_u32_e32 v13, 30, v13
	v_lshlrev_b32_e32 v14, v14, v11
	v_bfe_u32 v11, v11, 2, 5
	s_delay_alu instid0(VALU_DEP_2) | instskip(NEXT) | instid1(VALU_DEP_2)
	v_and_b32_e32 v14, 3, v14
	v_cmp_eq_u32_e32 vcc_lo, 0, v11
	s_delay_alu instid0(VALU_DEP_2) | instskip(NEXT) | instid1(VALU_DEP_1)
	v_dual_cndmask_b32 v11, v11, v13 :: v_dual_cndmask_b32 v12, v12, v14
	v_lshl_add_u32 v11, v11, 23, 0x37800000
	s_delay_alu instid0(VALU_DEP_2) | instskip(NEXT) | instid1(VALU_DEP_1)
	v_lshlrev_b32_e32 v12, 21, v12
	v_or3_b32 v11, v6, v11, v12
.LBB345_1597:
	s_or_b32 exec_lo, exec_lo, s7
	s_delay_alu instid0(VALU_DEP_1) | instskip(SKIP_2) | instid1(VALU_DEP_2)
	v_bfe_u32 v6, v11, 16, 1
	v_cmp_o_f32_e32 vcc_lo, v11, v11
	s_mov_b32 s6, 0
	v_add3_u32 v6, v11, v6, 0x7fff
	s_delay_alu instid0(VALU_DEP_1) | instskip(NEXT) | instid1(VALU_DEP_1)
	v_lshrrev_b32_e32 v6, 16, v6
	v_cndmask_b32_e32 v6, 0x7fc0, v6, vcc_lo
	s_branch .LBB345_1603
.LBB345_1598:
	s_mov_b32 s6, -1
                                        ; implicit-def: $vgpr6
	s_branch .LBB345_1609
.LBB345_1599:
	s_or_saveexec_b32 s11, s11
	v_mov_b32_e32 v11, s10
	s_xor_b32 exec_lo, exec_lo, s11
	s_cbranch_execz .LBB345_1582
.LBB345_1600:
	v_cmp_ne_u16_e32 vcc_lo, 0, v6
	v_mov_b32_e32 v11, 0
	s_and_not1_b32 s7, s7, exec_lo
	s_and_b32 s10, vcc_lo, exec_lo
	s_delay_alu instid0(SALU_CYCLE_1)
	s_or_b32 s7, s7, s10
	s_or_b32 exec_lo, exec_lo, s11
	s_and_saveexec_b32 s10, s7
	s_cbranch_execnz .LBB345_1583
	s_branch .LBB345_1584
.LBB345_1601:
	s_mov_b32 s6, -1
                                        ; implicit-def: $vgpr6
	s_branch .LBB345_1606
.LBB345_1602:
	s_mov_b32 s6, -1
                                        ; implicit-def: $vgpr6
.LBB345_1603:
	s_delay_alu instid0(SALU_CYCLE_1)
	s_and_b32 vcc_lo, exec_lo, s6
	s_cbranch_vccz .LBB345_1605
; %bb.1604:
	global_load_u8 v6, v[4:5], off
	s_waitcnt vmcnt(0)
	v_lshlrev_b32_e32 v6, 24, v6
	s_delay_alu instid0(VALU_DEP_1) | instskip(NEXT) | instid1(VALU_DEP_1)
	v_and_b32_e32 v11, 0x7f000000, v6
	v_clz_i32_u32_e32 v12, v11
	v_add_nc_u32_e32 v14, 0x1000000, v11
	v_cmp_ne_u32_e32 vcc_lo, 0, v11
	s_delay_alu instid0(VALU_DEP_3) | instskip(NEXT) | instid1(VALU_DEP_1)
	v_min_u32_e32 v12, 32, v12
	v_sub_nc_u32_e64 v12, v12, 4 clamp
	s_delay_alu instid0(VALU_DEP_1) | instskip(SKIP_1) | instid1(VALU_DEP_2)
	v_lshlrev_b32_e32 v13, v12, v11
	v_lshlrev_b32_e32 v12, 23, v12
	v_lshrrev_b32_e32 v13, 4, v13
	s_delay_alu instid0(VALU_DEP_1) | instskip(SKIP_1) | instid1(VALU_DEP_2)
	v_sub_nc_u32_e32 v12, v13, v12
	v_ashrrev_i32_e32 v13, 8, v14
	v_add_nc_u32_e32 v12, 0x3c000000, v12
	s_delay_alu instid0(VALU_DEP_1) | instskip(NEXT) | instid1(VALU_DEP_1)
	v_and_or_b32 v12, 0x7f800000, v13, v12
	v_cndmask_b32_e32 v11, 0, v12, vcc_lo
	s_delay_alu instid0(VALU_DEP_1) | instskip(SKIP_1) | instid1(VALU_DEP_2)
	v_and_or_b32 v6, 0x80000000, v6, v11
	v_bfe_u32 v11, v11, 16, 1
	v_cmp_o_f32_e32 vcc_lo, v6, v6
	s_delay_alu instid0(VALU_DEP_2) | instskip(NEXT) | instid1(VALU_DEP_1)
	v_add3_u32 v11, v6, v11, 0x7fff
	v_lshrrev_b32_e32 v11, 16, v11
	s_delay_alu instid0(VALU_DEP_1)
	v_cndmask_b32_e32 v6, 0x7fc0, v11, vcc_lo
.LBB345_1605:
	s_mov_b32 s6, 0
.LBB345_1606:
	s_delay_alu instid0(SALU_CYCLE_1)
	s_and_not1_b32 vcc_lo, exec_lo, s6
	s_cbranch_vccnz .LBB345_1608
; %bb.1607:
	global_load_u8 v6, v[4:5], off
	s_waitcnt vmcnt(0)
	v_lshlrev_b32_e32 v11, 25, v6
	v_lshlrev_b16 v6, 8, v6
	s_delay_alu instid0(VALU_DEP_2) | instskip(NEXT) | instid1(VALU_DEP_2)
	v_lshrrev_b32_e32 v12, 4, v11
	v_and_or_b32 v13, 0x7f00, v6, 0.5
	v_bfe_i32 v6, v6, 0, 16
	s_delay_alu instid0(VALU_DEP_3) | instskip(NEXT) | instid1(VALU_DEP_1)
	v_or_b32_e32 v12, 0x70000000, v12
	v_dual_add_f32 v13, -0.5, v13 :: v_dual_mul_f32 v12, 0x7800000, v12
	v_cmp_gt_u32_e32 vcc_lo, 0x8000000, v11
	s_delay_alu instid0(VALU_DEP_2) | instskip(NEXT) | instid1(VALU_DEP_1)
	v_cndmask_b32_e32 v11, v12, v13, vcc_lo
	v_and_or_b32 v6, 0x80000000, v6, v11
	v_bfe_u32 v11, v11, 16, 1
	s_delay_alu instid0(VALU_DEP_2) | instskip(NEXT) | instid1(VALU_DEP_2)
	v_cmp_o_f32_e32 vcc_lo, v6, v6
	v_add3_u32 v11, v6, v11, 0x7fff
	s_delay_alu instid0(VALU_DEP_1) | instskip(NEXT) | instid1(VALU_DEP_1)
	v_lshrrev_b32_e32 v11, 16, v11
	v_cndmask_b32_e32 v6, 0x7fc0, v11, vcc_lo
.LBB345_1608:
	s_mov_b32 s6, 0
	s_mov_b32 s7, -1
.LBB345_1609:
	s_and_not1_b32 vcc_lo, exec_lo, s6
	s_mov_b32 s6, 0
	s_cbranch_vccnz .LBB345_1620
; %bb.1610:
	v_cmp_lt_i16_e32 vcc_lo, 14, v10
	s_cbranch_vccz .LBB345_1613
; %bb.1611:
	v_cmp_eq_u16_e32 vcc_lo, 15, v10
	s_cbranch_vccz .LBB345_1616
; %bb.1612:
	global_load_u16 v6, v[4:5], off
	s_mov_b32 s3, 0
	s_mov_b32 s7, -1
	s_branch .LBB345_1618
.LBB345_1613:
	s_mov_b32 s6, -1
	s_branch .LBB345_1617
.LBB345_1614:
	s_or_saveexec_b32 s10, s10
	v_mov_b32_e32 v11, s7
	s_xor_b32 exec_lo, exec_lo, s10
	s_cbranch_execz .LBB345_1595
.LBB345_1615:
	v_cmp_ne_u16_e32 vcc_lo, 0, v6
	v_mov_b32_e32 v11, 0
	s_and_not1_b32 s6, s6, exec_lo
	s_and_b32 s7, vcc_lo, exec_lo
	s_delay_alu instid0(SALU_CYCLE_1)
	s_or_b32 s6, s6, s7
	s_or_b32 exec_lo, exec_lo, s10
	s_and_saveexec_b32 s7, s6
	s_cbranch_execnz .LBB345_1596
	s_branch .LBB345_1597
.LBB345_1616:
	s_mov_b32 s3, -1
.LBB345_1617:
                                        ; implicit-def: $vgpr6
.LBB345_1618:
	s_and_b32 vcc_lo, exec_lo, s6
	s_mov_b32 s6, 0
	s_cbranch_vccz .LBB345_1620
; %bb.1619:
	v_cmp_ne_u16_e64 s3, 11, v10
	s_mov_b32 s6, -1
                                        ; implicit-def: $vgpr6
.LBB345_1620:
	s_delay_alu instid0(VALU_DEP_1)
	s_and_b32 vcc_lo, exec_lo, s3
	s_cbranch_vccnz .LBB345_1730
; %bb.1621:
	s_and_not1_b32 vcc_lo, exec_lo, s6
	s_cbranch_vccnz .LBB345_1623
.LBB345_1622:
	global_load_u8 v6, v[4:5], off
	s_mov_b32 s7, -1
	s_waitcnt vmcnt(0)
	v_cmp_ne_u16_e32 vcc_lo, 0, v6
	v_cndmask_b32_e64 v6, 0, 1.0, vcc_lo
	s_delay_alu instid0(VALU_DEP_1)
	v_lshrrev_b32_e32 v6, 16, v6
.LBB345_1623:
	s_mov_b32 s3, 0
.LBB345_1624:
	s_delay_alu instid0(SALU_CYCLE_1)
	s_and_b32 vcc_lo, exec_lo, s3
	s_cbranch_vccz .LBB345_1673
; %bb.1625:
	v_cmp_gt_i16_e32 vcc_lo, 5, v10
	s_cbranch_vccnz .LBB345_1630
; %bb.1626:
	v_cmp_gt_i16_e32 vcc_lo, 8, v10
	s_cbranch_vccnz .LBB345_1631
	;; [unrolled: 3-line block ×3, first 2 shown]
; %bb.1628:
	v_cmp_lt_i16_e32 vcc_lo, 9, v10
	s_cbranch_vccz .LBB345_1633
; %bb.1629:
	global_load_b64 v[11:12], v[4:5], off
	s_mov_b32 s3, 0
	s_waitcnt vmcnt(0)
	v_cvt_f32_f64_e32 v6, v[11:12]
	s_delay_alu instid0(VALU_DEP_1) | instskip(SKIP_1) | instid1(VALU_DEP_2)
	v_bfe_u32 v11, v6, 16, 1
	v_cmp_o_f32_e32 vcc_lo, v6, v6
	v_add3_u32 v11, v6, v11, 0x7fff
	s_delay_alu instid0(VALU_DEP_1) | instskip(NEXT) | instid1(VALU_DEP_1)
	v_lshrrev_b32_e32 v11, 16, v11
	v_cndmask_b32_e32 v6, 0x7fc0, v11, vcc_lo
	s_branch .LBB345_1634
.LBB345_1630:
	s_mov_b32 s3, -1
                                        ; implicit-def: $vgpr6
	s_branch .LBB345_1652
.LBB345_1631:
	s_mov_b32 s3, -1
                                        ; implicit-def: $vgpr6
	s_branch .LBB345_1640
.LBB345_1632:
	s_mov_b32 s3, -1
                                        ; implicit-def: $vgpr6
	s_branch .LBB345_1637
.LBB345_1633:
	s_mov_b32 s3, -1
                                        ; implicit-def: $vgpr6
.LBB345_1634:
	s_delay_alu instid0(SALU_CYCLE_1)
	s_and_not1_b32 vcc_lo, exec_lo, s3
	s_cbranch_vccnz .LBB345_1636
; %bb.1635:
	global_load_b32 v6, v[4:5], off
	s_waitcnt vmcnt(0)
	v_bfe_u32 v11, v6, 16, 1
	v_cmp_o_f32_e32 vcc_lo, v6, v6
	s_delay_alu instid0(VALU_DEP_2) | instskip(NEXT) | instid1(VALU_DEP_1)
	v_add3_u32 v11, v6, v11, 0x7fff
	v_lshrrev_b32_e32 v11, 16, v11
	s_delay_alu instid0(VALU_DEP_1)
	v_cndmask_b32_e32 v6, 0x7fc0, v11, vcc_lo
.LBB345_1636:
	s_mov_b32 s3, 0
.LBB345_1637:
	s_delay_alu instid0(SALU_CYCLE_1)
	s_and_not1_b32 vcc_lo, exec_lo, s3
	s_cbranch_vccnz .LBB345_1639
; %bb.1638:
	global_load_b32 v6, v[4:5], off
	s_waitcnt vmcnt(0)
	v_cvt_f32_f16_e32 v11, v6
	v_cmp_o_f16_e32 vcc_lo, v6, v6
	s_delay_alu instid0(VALU_DEP_2) | instskip(NEXT) | instid1(VALU_DEP_1)
	v_bfe_u32 v12, v11, 16, 1
	v_add3_u32 v11, v11, v12, 0x7fff
	s_delay_alu instid0(VALU_DEP_1) | instskip(NEXT) | instid1(VALU_DEP_1)
	v_lshrrev_b32_e32 v11, 16, v11
	v_cndmask_b32_e32 v6, 0x7fc0, v11, vcc_lo
.LBB345_1639:
	s_mov_b32 s3, 0
.LBB345_1640:
	s_delay_alu instid0(SALU_CYCLE_1)
	s_and_not1_b32 vcc_lo, exec_lo, s3
	s_cbranch_vccnz .LBB345_1651
; %bb.1641:
	v_cmp_gt_i16_e32 vcc_lo, 6, v10
	s_cbranch_vccnz .LBB345_1644
; %bb.1642:
	v_cmp_lt_i16_e32 vcc_lo, 6, v10
	s_cbranch_vccz .LBB345_1645
; %bb.1643:
	global_load_b64 v[11:12], v[4:5], off
	s_mov_b32 s3, 0
	s_waitcnt vmcnt(0)
	v_cvt_f32_f64_e32 v6, v[11:12]
	s_delay_alu instid0(VALU_DEP_1) | instskip(SKIP_1) | instid1(VALU_DEP_2)
	v_bfe_u32 v11, v6, 16, 1
	v_cmp_o_f32_e32 vcc_lo, v6, v6
	v_add3_u32 v11, v6, v11, 0x7fff
	s_delay_alu instid0(VALU_DEP_1) | instskip(NEXT) | instid1(VALU_DEP_1)
	v_lshrrev_b32_e32 v11, 16, v11
	v_cndmask_b32_e32 v6, 0x7fc0, v11, vcc_lo
	s_branch .LBB345_1646
.LBB345_1644:
	s_mov_b32 s3, -1
                                        ; implicit-def: $vgpr6
	s_branch .LBB345_1649
.LBB345_1645:
	s_mov_b32 s3, -1
                                        ; implicit-def: $vgpr6
.LBB345_1646:
	s_delay_alu instid0(SALU_CYCLE_1)
	s_and_not1_b32 vcc_lo, exec_lo, s3
	s_cbranch_vccnz .LBB345_1648
; %bb.1647:
	global_load_b32 v6, v[4:5], off
	s_waitcnt vmcnt(0)
	v_bfe_u32 v11, v6, 16, 1
	v_cmp_o_f32_e32 vcc_lo, v6, v6
	s_delay_alu instid0(VALU_DEP_2) | instskip(NEXT) | instid1(VALU_DEP_1)
	v_add3_u32 v11, v6, v11, 0x7fff
	v_lshrrev_b32_e32 v11, 16, v11
	s_delay_alu instid0(VALU_DEP_1)
	v_cndmask_b32_e32 v6, 0x7fc0, v11, vcc_lo
.LBB345_1648:
	s_mov_b32 s3, 0
.LBB345_1649:
	s_delay_alu instid0(SALU_CYCLE_1)
	s_and_not1_b32 vcc_lo, exec_lo, s3
	s_cbranch_vccnz .LBB345_1651
; %bb.1650:
	global_load_u16 v6, v[4:5], off
	s_waitcnt vmcnt(0)
	v_cvt_f32_f16_e32 v11, v6
	v_cmp_o_f16_e32 vcc_lo, v6, v6
	s_delay_alu instid0(VALU_DEP_2) | instskip(NEXT) | instid1(VALU_DEP_1)
	v_bfe_u32 v12, v11, 16, 1
	v_add3_u32 v11, v11, v12, 0x7fff
	s_delay_alu instid0(VALU_DEP_1) | instskip(NEXT) | instid1(VALU_DEP_1)
	v_lshrrev_b32_e32 v11, 16, v11
	v_cndmask_b32_e32 v6, 0x7fc0, v11, vcc_lo
.LBB345_1651:
	s_mov_b32 s3, 0
.LBB345_1652:
	s_delay_alu instid0(SALU_CYCLE_1)
	s_and_not1_b32 vcc_lo, exec_lo, s3
	s_cbranch_vccnz .LBB345_1672
; %bb.1653:
	v_cmp_gt_i16_e32 vcc_lo, 2, v10
	s_cbranch_vccnz .LBB345_1657
; %bb.1654:
	v_cmp_gt_i16_e32 vcc_lo, 3, v10
	s_cbranch_vccnz .LBB345_1658
; %bb.1655:
	v_cmp_lt_i16_e32 vcc_lo, 3, v10
	s_cbranch_vccz .LBB345_1659
; %bb.1656:
	global_load_b64 v[11:12], v[4:5], off
	s_mov_b32 s3, 0
	s_waitcnt vmcnt(0)
	v_xor_b32_e32 v6, v11, v12
	v_cls_i32_e32 v13, v12
	s_delay_alu instid0(VALU_DEP_2) | instskip(NEXT) | instid1(VALU_DEP_2)
	v_ashrrev_i32_e32 v6, 31, v6
	v_add_nc_u32_e32 v13, -1, v13
	s_delay_alu instid0(VALU_DEP_2) | instskip(NEXT) | instid1(VALU_DEP_1)
	v_add_nc_u32_e32 v6, 32, v6
	v_min_u32_e32 v6, v13, v6
	s_delay_alu instid0(VALU_DEP_1) | instskip(SKIP_1) | instid1(VALU_DEP_2)
	v_lshlrev_b64 v[11:12], v6, v[11:12]
	v_sub_nc_u32_e32 v6, 32, v6
	v_min_u32_e32 v11, 1, v11
	s_delay_alu instid0(VALU_DEP_1) | instskip(NEXT) | instid1(VALU_DEP_1)
	v_or_b32_e32 v11, v12, v11
	v_cvt_f32_i32_e32 v11, v11
	s_delay_alu instid0(VALU_DEP_1) | instskip(NEXT) | instid1(VALU_DEP_1)
	v_ldexp_f32 v6, v11, v6
	v_bfe_u32 v11, v6, 16, 1
	s_delay_alu instid0(VALU_DEP_1) | instskip(NEXT) | instid1(VALU_DEP_1)
	v_add3_u32 v6, v6, v11, 0x7fff
	v_lshrrev_b32_e32 v6, 16, v6
	s_branch .LBB345_1660
.LBB345_1657:
	s_mov_b32 s3, -1
                                        ; implicit-def: $vgpr6
	s_branch .LBB345_1666
.LBB345_1658:
	s_mov_b32 s3, -1
                                        ; implicit-def: $vgpr6
	s_branch .LBB345_1663
.LBB345_1659:
	s_mov_b32 s3, -1
                                        ; implicit-def: $vgpr6
.LBB345_1660:
	s_delay_alu instid0(SALU_CYCLE_1)
	s_and_not1_b32 vcc_lo, exec_lo, s3
	s_cbranch_vccnz .LBB345_1662
; %bb.1661:
	global_load_b32 v6, v[4:5], off
	s_waitcnt vmcnt(0)
	v_cvt_f32_i32_e32 v6, v6
	s_delay_alu instid0(VALU_DEP_1) | instskip(NEXT) | instid1(VALU_DEP_1)
	v_bfe_u32 v11, v6, 16, 1
	v_add3_u32 v6, v6, v11, 0x7fff
	s_delay_alu instid0(VALU_DEP_1)
	v_lshrrev_b32_e32 v6, 16, v6
.LBB345_1662:
	s_mov_b32 s3, 0
.LBB345_1663:
	s_delay_alu instid0(SALU_CYCLE_1)
	s_and_not1_b32 vcc_lo, exec_lo, s3
	s_cbranch_vccnz .LBB345_1665
; %bb.1664:
	global_load_i16 v6, v[4:5], off
	s_waitcnt vmcnt(0)
	v_cvt_f32_i32_e32 v6, v6
	s_delay_alu instid0(VALU_DEP_1) | instskip(NEXT) | instid1(VALU_DEP_1)
	v_bfe_u32 v11, v6, 16, 1
	v_add3_u32 v6, v6, v11, 0x7fff
	s_delay_alu instid0(VALU_DEP_1)
	v_lshrrev_b32_e32 v6, 16, v6
.LBB345_1665:
	s_mov_b32 s3, 0
.LBB345_1666:
	s_delay_alu instid0(SALU_CYCLE_1)
	s_and_not1_b32 vcc_lo, exec_lo, s3
	s_cbranch_vccnz .LBB345_1672
; %bb.1667:
	v_cmp_lt_i16_e32 vcc_lo, 0, v10
	s_mov_b32 s3, 0
	s_cbranch_vccz .LBB345_1669
; %bb.1668:
	global_load_i8 v6, v[4:5], off
	s_waitcnt vmcnt(0)
	v_cvt_f32_i32_e32 v6, v6
	s_delay_alu instid0(VALU_DEP_1) | instskip(NEXT) | instid1(VALU_DEP_1)
	v_bfe_u32 v10, v6, 16, 1
	v_add3_u32 v6, v6, v10, 0x7fff
	s_delay_alu instid0(VALU_DEP_1)
	v_lshrrev_b32_e32 v6, 16, v6
	s_branch .LBB345_1670
.LBB345_1669:
	s_mov_b32 s3, -1
                                        ; implicit-def: $vgpr6
.LBB345_1670:
	s_delay_alu instid0(SALU_CYCLE_1)
	s_and_not1_b32 vcc_lo, exec_lo, s3
	s_cbranch_vccnz .LBB345_1672
; %bb.1671:
	global_load_u8 v4, v[4:5], off
	s_waitcnt vmcnt(0)
	v_cvt_f32_ubyte0_e32 v4, v4
	s_delay_alu instid0(VALU_DEP_1) | instskip(NEXT) | instid1(VALU_DEP_1)
	v_bfe_u32 v5, v4, 16, 1
	v_add3_u32 v4, v4, v5, 0x7fff
	s_delay_alu instid0(VALU_DEP_1)
	v_lshrrev_b32_e32 v6, 16, v4
.LBB345_1672:
	s_mov_b32 s7, -1
.LBB345_1673:
	s_delay_alu instid0(SALU_CYCLE_1)
	s_and_not1_b32 vcc_lo, exec_lo, s7
	s_cbranch_vccnz .LBB345_1683
; %bb.1674:
	s_waitcnt vmcnt(0)
	v_lshlrev_b32_e32 v4, 16, v6
	s_mov_b32 s3, exec_lo
	s_delay_alu instid0(VALU_DEP_1)
	v_cmpx_o_f32_e32 v4, v4
; %bb.1675:
	s_lshl_b32 s6, s0, 16
	s_delay_alu instid0(SALU_CYCLE_1) | instskip(SKIP_2) | instid1(VALU_DEP_1)
	v_cmp_lt_f32_e32 vcc_lo, s6, v4
	v_cndmask_b32_e32 v4, s0, v6, vcc_lo
	s_lshl_b32 s0, s2, 16
	v_lshlrev_b32_e32 v5, 16, v4
	s_delay_alu instid0(VALU_DEP_1)
	v_cmp_gt_f32_e32 vcc_lo, s0, v5
	v_cndmask_b32_e32 v6, s2, v4, vcc_lo
; %bb.1676:
	s_or_b32 exec_lo, exec_lo, s3
	s_load_b32 s0, s[16:17], 0x15c
	v_add_co_u32 v3, s3, s4, v3
	s_delay_alu instid0(VALU_DEP_1) | instskip(SKIP_3) | instid1(SALU_CYCLE_1)
	v_add_co_ci_u32_e64 v4, null, s5, 0, s3
	s_mov_b32 s6, 0
	s_waitcnt lgkmcnt(0)
	s_and_b32 s2, s0, 0xff
	v_cmp_lt_i16_e64 s0, s2, 11
	s_delay_alu instid0(VALU_DEP_1)
	s_and_b32 vcc_lo, exec_lo, s0
	s_mov_b32 s0, -1
	s_cbranch_vccnz .LBB345_1804
; %bb.1677:
	v_cmp_gt_i16_e64 s0, s2, 25
	s_mov_b32 s7, -1
	s_mov_b32 s3, 0
	s_delay_alu instid0(VALU_DEP_1)
	s_and_b32 vcc_lo, exec_lo, s0
	s_mov_b32 s0, 0
	s_cbranch_vccz .LBB345_1760
; %bb.1678:
	v_cmp_gt_i16_e64 s0, s2, 28
	s_delay_alu instid0(VALU_DEP_1)
	s_and_b32 vcc_lo, exec_lo, s0
	s_cbranch_vccz .LBB345_1728
; %bb.1679:
	v_cmp_gt_i16_e64 s0, s2, 43
	s_delay_alu instid0(VALU_DEP_1)
	s_and_b32 vcc_lo, exec_lo, s0
	;; [unrolled: 5-line block ×3, first 2 shown]
	s_cbranch_vccz .LBB345_1732
; %bb.1681:
	v_cmp_eq_u16_e64 s6, s2, 46
	s_mov_b32 s0, -1
	s_mov_b32 s7, 0
	s_delay_alu instid0(VALU_DEP_1)
	s_and_b32 vcc_lo, exec_lo, s6
	s_mov_b32 s6, 0
	s_cbranch_vccz .LBB345_1733
; %bb.1682:
	v_and_b32_e32 v5, 0xffff, v9
	s_mov_b32 s0, 0
	s_mov_b32 s6, -1
	global_store_b32 v[3:4], v5, off
	s_branch .LBB345_1733
.LBB345_1683:
	s_mov_b32 s0, 0
	s_mov_b32 s3, 0
                                        ; implicit-def: $vgpr0_vgpr1
                                        ; implicit-def: $sgpr2
                                        ; implicit-def: $vgpr6
.LBB345_1684:
	s_and_b32 s4, s0, exec_lo
	s_and_not1_b32 s0, s8, exec_lo
	s_and_b32 s1, s1, exec_lo
	s_and_b32 s28, s3, exec_lo
	s_or_b32 s8, s0, s1
.LBB345_1685:
	s_or_b32 exec_lo, exec_lo, s9
	s_and_saveexec_b32 s0, s8
	s_cbranch_execz .LBB345_1688
; %bb.1686:
	; divergent unreachable
	s_or_b32 exec_lo, exec_lo, s0
	s_and_saveexec_b32 s0, s28
	s_delay_alu instid0(SALU_CYCLE_1)
	s_xor_b32 s0, exec_lo, s0
	s_cbranch_execnz .LBB345_1689
.LBB345_1687:
	s_or_b32 exec_lo, exec_lo, s0
	s_and_saveexec_b32 s0, s4
	s_cbranch_execnz .LBB345_1690
	s_branch .LBB345_1727
.LBB345_1688:
	s_or_b32 exec_lo, exec_lo, s0
	s_and_saveexec_b32 s0, s28
	s_delay_alu instid0(SALU_CYCLE_1)
	s_xor_b32 s0, exec_lo, s0
	s_cbranch_execz .LBB345_1687
.LBB345_1689:
	s_waitcnt vmcnt(0)
	v_and_b32_e32 v2, 0x7fff, v6
	s_delay_alu instid0(VALU_DEP_1)
	v_cmp_ne_u16_e32 vcc_lo, 0, v2
	v_cndmask_b32_e64 v2, 0, 1, vcc_lo
	global_store_b8 v[0:1], v2, off
	s_or_b32 exec_lo, exec_lo, s0
	s_and_saveexec_b32 s0, s4
	s_cbranch_execz .LBB345_1727
.LBB345_1690:
	v_cmp_lt_i16_e64 s0, s2, 5
	s_delay_alu instid0(VALU_DEP_1)
	s_and_b32 vcc_lo, exec_lo, s0
	s_mov_b32 s0, -1
	s_cbranch_vccnz .LBB345_1711
; %bb.1691:
	v_cmp_lt_i16_e64 s0, s2, 8
	s_delay_alu instid0(VALU_DEP_1)
	s_and_b32 vcc_lo, exec_lo, s0
	s_mov_b32 s0, -1
	s_cbranch_vccnz .LBB345_1701
; %bb.1692:
	;; [unrolled: 6-line block ×3, first 2 shown]
	v_cmp_gt_i16_e64 s0, s2, 9
	s_delay_alu instid0(VALU_DEP_1)
	s_and_b32 vcc_lo, exec_lo, s0
	s_mov_b32 s0, -1
	s_cbranch_vccz .LBB345_1695
; %bb.1694:
	v_mov_b32_e32 v4, 0
	s_waitcnt vmcnt(0)
	v_lshlrev_b32_e32 v2, 16, v6
	s_mov_b32 s0, 0
	s_delay_alu instid0(VALU_DEP_2) | instskip(NEXT) | instid1(VALU_DEP_2)
	v_mov_b32_e32 v5, v4
	v_cvt_f64_f32_e32 v[2:3], v2
	global_store_b128 v[0:1], v[2:5], off
.LBB345_1695:
	s_and_not1_b32 vcc_lo, exec_lo, s0
	s_cbranch_vccnz .LBB345_1697
; %bb.1696:
	s_waitcnt vmcnt(0)
	v_dual_mov_b32 v3, 0 :: v_dual_lshlrev_b32 v2, 16, v6
	global_store_b64 v[0:1], v[2:3], off
.LBB345_1697:
	s_mov_b32 s0, 0
.LBB345_1698:
	s_delay_alu instid0(SALU_CYCLE_1)
	s_and_not1_b32 vcc_lo, exec_lo, s0
	s_cbranch_vccnz .LBB345_1700
; %bb.1699:
	s_waitcnt vmcnt(0)
	v_lshlrev_b32_e32 v2, 16, v6
	s_delay_alu instid0(VALU_DEP_1) | instskip(NEXT) | instid1(VALU_DEP_1)
	v_cvt_f16_f32_e32 v2, v2
	v_and_b32_e32 v2, 0xffff, v2
	global_store_b32 v[0:1], v2, off
.LBB345_1700:
	s_mov_b32 s0, 0
.LBB345_1701:
	s_delay_alu instid0(SALU_CYCLE_1)
	s_and_not1_b32 vcc_lo, exec_lo, s0
	s_cbranch_vccnz .LBB345_1710
; %bb.1702:
	v_cmp_lt_i16_e64 s0, s2, 6
	s_delay_alu instid0(VALU_DEP_1)
	s_and_b32 vcc_lo, exec_lo, s0
	s_mov_b32 s0, -1
	s_cbranch_vccnz .LBB345_1708
; %bb.1703:
	v_cmp_gt_i16_e64 s0, s2, 6
	s_delay_alu instid0(VALU_DEP_1)
	s_and_b32 vcc_lo, exec_lo, s0
	s_mov_b32 s0, -1
	s_cbranch_vccz .LBB345_1705
; %bb.1704:
	s_waitcnt vmcnt(0)
	v_lshlrev_b32_e32 v2, 16, v6
	s_mov_b32 s0, 0
	s_delay_alu instid0(VALU_DEP_1)
	v_cvt_f64_f32_e32 v[2:3], v2
	global_store_b64 v[0:1], v[2:3], off
.LBB345_1705:
	s_and_not1_b32 vcc_lo, exec_lo, s0
	s_cbranch_vccnz .LBB345_1707
; %bb.1706:
	s_waitcnt vmcnt(0)
	v_lshlrev_b32_e32 v2, 16, v6
	global_store_b32 v[0:1], v2, off
.LBB345_1707:
	s_mov_b32 s0, 0
.LBB345_1708:
	s_delay_alu instid0(SALU_CYCLE_1)
	s_and_not1_b32 vcc_lo, exec_lo, s0
	s_cbranch_vccnz .LBB345_1710
; %bb.1709:
	s_waitcnt vmcnt(0)
	v_lshlrev_b32_e32 v2, 16, v6
	s_delay_alu instid0(VALU_DEP_1)
	v_cvt_f16_f32_e32 v2, v2
	global_store_b16 v[0:1], v2, off
.LBB345_1710:
	s_mov_b32 s0, 0
.LBB345_1711:
	s_delay_alu instid0(SALU_CYCLE_1)
	s_and_not1_b32 vcc_lo, exec_lo, s0
	s_cbranch_vccnz .LBB345_1727
; %bb.1712:
	v_cmp_lt_i16_e64 s0, s2, 2
	s_delay_alu instid0(VALU_DEP_1)
	s_and_b32 vcc_lo, exec_lo, s0
	s_mov_b32 s0, -1
	s_cbranch_vccnz .LBB345_1722
; %bb.1713:
	v_cmp_lt_i16_e64 s0, s2, 3
	s_delay_alu instid0(VALU_DEP_1)
	s_and_b32 vcc_lo, exec_lo, s0
	s_mov_b32 s0, -1
	s_cbranch_vccnz .LBB345_1719
; %bb.1714:
	v_cmp_gt_i16_e64 s0, s2, 3
	s_delay_alu instid0(VALU_DEP_1)
	s_and_b32 vcc_lo, exec_lo, s0
	s_mov_b32 s0, -1
	s_cbranch_vccz .LBB345_1716
; %bb.1715:
	s_waitcnt vmcnt(0)
	v_lshlrev_b32_e32 v2, 16, v6
	s_mov_b32 s0, 0
	s_delay_alu instid0(VALU_DEP_1) | instskip(NEXT) | instid1(VALU_DEP_1)
	v_trunc_f32_e32 v2, v2
	v_mul_f32_e64 v3, 0x2f800000, |v2|
	v_ashrrev_i32_e32 v5, 31, v2
	s_delay_alu instid0(VALU_DEP_2) | instskip(NEXT) | instid1(VALU_DEP_1)
	v_floor_f32_e32 v3, v3
	v_fma_f32 v4, 0xcf800000, v3, |v2|
	v_cvt_u32_f32_e32 v3, v3
	s_delay_alu instid0(VALU_DEP_2) | instskip(NEXT) | instid1(VALU_DEP_2)
	v_cvt_u32_f32_e32 v2, v4
	v_xor_b32_e32 v3, v3, v5
	s_delay_alu instid0(VALU_DEP_2) | instskip(NEXT) | instid1(VALU_DEP_1)
	v_xor_b32_e32 v2, v2, v5
	v_sub_co_u32 v2, vcc_lo, v2, v5
	s_delay_alu instid0(VALU_DEP_3)
	v_sub_co_ci_u32_e32 v3, vcc_lo, v3, v5, vcc_lo
	global_store_b64 v[0:1], v[2:3], off
.LBB345_1716:
	s_and_not1_b32 vcc_lo, exec_lo, s0
	s_cbranch_vccnz .LBB345_1718
; %bb.1717:
	s_waitcnt vmcnt(0)
	v_lshlrev_b32_e32 v2, 16, v6
	s_delay_alu instid0(VALU_DEP_1)
	v_cvt_i32_f32_e32 v2, v2
	global_store_b32 v[0:1], v2, off
.LBB345_1718:
	s_mov_b32 s0, 0
.LBB345_1719:
	s_delay_alu instid0(SALU_CYCLE_1)
	s_and_not1_b32 vcc_lo, exec_lo, s0
	s_cbranch_vccnz .LBB345_1721
; %bb.1720:
	s_waitcnt vmcnt(0)
	v_lshlrev_b32_e32 v2, 16, v6
	s_delay_alu instid0(VALU_DEP_1)
	v_cvt_i32_f32_e32 v2, v2
	global_store_b16 v[0:1], v2, off
.LBB345_1721:
	s_mov_b32 s0, 0
.LBB345_1722:
	s_delay_alu instid0(SALU_CYCLE_1)
	s_and_not1_b32 vcc_lo, exec_lo, s0
	s_cbranch_vccnz .LBB345_1727
; %bb.1723:
	v_cmp_gt_i16_e64 s0, s2, 0
	s_waitcnt vmcnt(0)
	v_lshlrev_b32_e32 v2, 16, v6
	s_delay_alu instid0(VALU_DEP_2)
	s_and_b32 vcc_lo, exec_lo, s0
	s_mov_b32 s0, -1
	s_cbranch_vccz .LBB345_1725
; %bb.1724:
	s_delay_alu instid0(VALU_DEP_1)
	v_cvt_i32_f32_e32 v3, v2
	s_mov_b32 s0, 0
	global_store_b8 v[0:1], v3, off
.LBB345_1725:
	s_and_not1_b32 vcc_lo, exec_lo, s0
	s_cbranch_vccnz .LBB345_1727
; %bb.1726:
	v_trunc_f32_e32 v2, v2
	s_delay_alu instid0(VALU_DEP_1) | instskip(NEXT) | instid1(VALU_DEP_1)
	v_mul_f32_e64 v3, 0x2f800000, |v2|
	v_floor_f32_e32 v3, v3
	s_delay_alu instid0(VALU_DEP_1) | instskip(SKIP_1) | instid1(VALU_DEP_2)
	v_fma_f32 v3, 0xcf800000, v3, |v2|
	v_ashrrev_i32_e32 v2, 31, v2
	v_cvt_u32_f32_e32 v3, v3
	s_delay_alu instid0(VALU_DEP_1) | instskip(NEXT) | instid1(VALU_DEP_1)
	v_xor_b32_e32 v3, v3, v2
	v_sub_nc_u32_e32 v2, v3, v2
	global_store_b8 v[0:1], v2, off
	s_nop 0
	s_sendmsg sendmsg(MSG_DEALLOC_VGPRS)
	s_endpgm
.LBB345_1727:
	s_nop 0
	s_sendmsg sendmsg(MSG_DEALLOC_VGPRS)
	s_endpgm
.LBB345_1728:
	s_mov_b32 s0, 0
	s_branch .LBB345_1743
.LBB345_1729:
	s_mov_b32 s0, 0
	s_branch .LBB345_1739
.LBB345_1730:
	s_cbranch_execnz .LBB345_1855
; %bb.1731:
	s_or_b32 s1, s1, exec_lo
                                        ; implicit-def: $vgpr6
	s_cbranch_execz .LBB345_1622
	s_branch .LBB345_1623
.LBB345_1732:
	s_mov_b32 s0, 0
.LBB345_1733:
	s_and_b32 vcc_lo, exec_lo, s7
	s_cbranch_vccz .LBB345_1738
; %bb.1734:
	v_cmp_eq_u16_e64 s0, s2, 44
	s_delay_alu instid0(VALU_DEP_1)
	s_and_b32 vcc_lo, exec_lo, s0
	s_mov_b32 s0, -1
	s_cbranch_vccz .LBB345_1738
; %bb.1735:
	v_and_b32_e32 v5, 0xffff, v9
	v_mov_b32_e32 v10, 0xff
	s_mov_b32 s6, exec_lo
	s_delay_alu instid0(VALU_DEP_2) | instskip(NEXT) | instid1(VALU_DEP_1)
	v_bfe_u32 v11, v5, 7, 8
	v_cmpx_ne_u32_e32 0xff, v11
; %bb.1736:
	v_lshlrev_b32_e32 v10, 16, v5
	v_and_b32_e32 v12, 64, v5
	v_lshrrev_b32_e32 v5, 7, v5
	s_delay_alu instid0(VALU_DEP_3) | instskip(NEXT) | instid1(VALU_DEP_3)
	v_and_or_b32 v10, 0x3f0000, v10, v11
	v_cmp_ne_u32_e32 vcc_lo, 0, v12
	s_delay_alu instid0(VALU_DEP_2) | instskip(NEXT) | instid1(VALU_DEP_1)
	v_cmp_ne_u32_e64 s0, 0, v10
	s_and_b32 s0, vcc_lo, s0
	s_delay_alu instid0(SALU_CYCLE_1) | instskip(NEXT) | instid1(VALU_DEP_1)
	v_cndmask_b32_e64 v10, 0, 1, s0
	v_add_nc_u32_e32 v10, v5, v10
; %bb.1737:
	s_or_b32 exec_lo, exec_lo, s6
	s_mov_b32 s0, 0
	s_mov_b32 s6, -1
	global_store_b8 v[3:4], v10, off
.LBB345_1738:
	s_mov_b32 s7, 0
.LBB345_1739:
	s_delay_alu instid0(SALU_CYCLE_1)
	s_and_b32 vcc_lo, exec_lo, s7
	s_cbranch_vccz .LBB345_1742
; %bb.1740:
	v_cmp_eq_u16_e64 s0, s2, 29
	s_delay_alu instid0(VALU_DEP_1)
	s_and_b32 vcc_lo, exec_lo, s0
	s_mov_b32 s0, -1
	s_cbranch_vccz .LBB345_1742
; %bb.1741:
	v_lshlrev_b32_e32 v5, 16, v9
	s_mov_b32 s0, 0
	s_mov_b32 s6, -1
	s_mov_b32 s7, 0
	s_delay_alu instid0(VALU_DEP_1) | instskip(NEXT) | instid1(VALU_DEP_1)
	v_trunc_f32_e32 v5, v5
	v_mul_f32_e32 v10, 0x2f800000, v5
	s_delay_alu instid0(VALU_DEP_1) | instskip(NEXT) | instid1(VALU_DEP_1)
	v_floor_f32_e32 v10, v10
	v_fmamk_f32 v5, v10, 0xcf800000, v5
	v_cvt_u32_f32_e32 v11, v10
	s_delay_alu instid0(VALU_DEP_2)
	v_cvt_u32_f32_e32 v10, v5
	global_store_b64 v[3:4], v[10:11], off
	s_branch .LBB345_1743
.LBB345_1742:
	s_mov_b32 s7, 0
.LBB345_1743:
	s_delay_alu instid0(SALU_CYCLE_1)
	s_and_b32 vcc_lo, exec_lo, s7
	s_cbranch_vccz .LBB345_1759
; %bb.1744:
	v_cmp_lt_i16_e64 s6, s2, 27
	s_delay_alu instid0(VALU_DEP_1)
	s_and_b32 vcc_lo, exec_lo, s6
	s_mov_b32 s6, -1
	s_cbranch_vccnz .LBB345_1750
; %bb.1745:
	v_cmp_gt_i16_e64 s6, s2, 27
	s_delay_alu instid0(VALU_DEP_1)
	s_and_b32 vcc_lo, exec_lo, s6
	s_mov_b32 s6, -1
	s_cbranch_vccz .LBB345_1747
; %bb.1746:
	v_lshlrev_b32_e32 v5, 16, v9
	s_mov_b32 s6, 0
	s_delay_alu instid0(VALU_DEP_1)
	v_cvt_u32_f32_e32 v5, v5
	global_store_b32 v[3:4], v5, off
.LBB345_1747:
	s_and_not1_b32 vcc_lo, exec_lo, s6
	s_cbranch_vccnz .LBB345_1749
; %bb.1748:
	v_lshlrev_b32_e32 v5, 16, v9
	s_delay_alu instid0(VALU_DEP_1)
	v_cvt_u32_f32_e32 v5, v5
	global_store_b16 v[3:4], v5, off
.LBB345_1749:
	s_mov_b32 s6, 0
.LBB345_1750:
	s_delay_alu instid0(SALU_CYCLE_1)
	s_and_not1_b32 vcc_lo, exec_lo, s6
	s_cbranch_vccnz .LBB345_1758
; %bb.1751:
	v_dual_mov_b32 v12, 0x80 :: v_dual_lshlrev_b32 v11, 16, v9
	s_mov_b32 s6, exec_lo
	s_delay_alu instid0(VALU_DEP_1) | instskip(NEXT) | instid1(VALU_DEP_1)
	v_and_b32_e32 v10, 0x7fffffff, v11
	v_cmpx_gt_u32_e32 0x43800000, v10
	s_cbranch_execz .LBB345_1757
; %bb.1752:
	v_and_b32_e32 v5, 0xffff, v9
	v_cmp_lt_u32_e32 vcc_lo, 0x3bffffff, v10
	s_mov_b32 s7, 0
                                        ; implicit-def: $vgpr10
	s_and_saveexec_b32 s10, vcc_lo
	s_delay_alu instid0(SALU_CYCLE_1)
	s_xor_b32 s10, exec_lo, s10
	s_cbranch_execz .LBB345_1852
; %bb.1753:
	v_bfe_u32 v10, v5, 4, 1
	s_mov_b32 s7, exec_lo
	s_delay_alu instid0(VALU_DEP_1) | instskip(NEXT) | instid1(VALU_DEP_1)
	v_add3_u32 v10, v11, v10, 0x487ffff
                                        ; implicit-def: $vgpr11
	v_lshrrev_b32_e32 v10, 20, v10
	s_or_saveexec_b32 s10, s10
                                        ; implicit-def: $sgpr11
	s_delay_alu instid0(SALU_CYCLE_1)
	s_xor_b32 exec_lo, exec_lo, s10
	s_cbranch_execnz .LBB345_1853
.LBB345_1754:
	s_or_b32 exec_lo, exec_lo, s10
	v_mov_b32_e32 v12, s11
	s_and_saveexec_b32 s10, s7
.LBB345_1755:
	v_lshrrev_b32_e32 v5, 8, v5
	s_delay_alu instid0(VALU_DEP_1)
	v_and_or_b32 v12, 0x80, v5, v10
.LBB345_1756:
	s_or_b32 exec_lo, exec_lo, s10
.LBB345_1757:
	s_delay_alu instid0(SALU_CYCLE_1)
	s_or_b32 exec_lo, exec_lo, s6
	global_store_b8 v[3:4], v12, off
.LBB345_1758:
	s_mov_b32 s6, -1
.LBB345_1759:
	s_mov_b32 s7, 0
.LBB345_1760:
	s_delay_alu instid0(SALU_CYCLE_1)
	s_and_b32 vcc_lo, exec_lo, s7
	s_cbranch_vccz .LBB345_1800
; %bb.1761:
	v_cmp_gt_i16_e64 s3, s2, 22
	s_delay_alu instid0(VALU_DEP_1)
	s_and_b32 vcc_lo, exec_lo, s3
	s_mov_b32 s3, -1
	s_cbranch_vccz .LBB345_1793
; %bb.1762:
	v_cmp_lt_i16_e64 s3, s2, 24
	s_delay_alu instid0(VALU_DEP_1)
	s_and_b32 vcc_lo, exec_lo, s3
	s_mov_b32 s3, -1
	s_cbranch_vccnz .LBB345_1782
; %bb.1763:
	v_cmp_gt_i16_e64 s3, s2, 24
	s_delay_alu instid0(VALU_DEP_1)
	s_and_b32 vcc_lo, exec_lo, s3
	s_mov_b32 s3, -1
	s_cbranch_vccz .LBB345_1771
; %bb.1764:
	v_dual_mov_b32 v12, 0x80 :: v_dual_lshlrev_b32 v11, 16, v9
	s_mov_b32 s3, exec_lo
	s_delay_alu instid0(VALU_DEP_1) | instskip(NEXT) | instid1(VALU_DEP_1)
	v_and_b32_e32 v10, 0x7fffffff, v11
	v_cmpx_gt_u32_e32 0x47800000, v10
	s_cbranch_execz .LBB345_1770
; %bb.1765:
	v_and_b32_e32 v5, 0xffff, v9
	v_cmp_lt_u32_e32 vcc_lo, 0x37ffffff, v10
	s_mov_b32 s6, 0
                                        ; implicit-def: $vgpr10
	s_and_saveexec_b32 s7, vcc_lo
	s_delay_alu instid0(SALU_CYCLE_1)
	s_xor_b32 s7, exec_lo, s7
	s_cbranch_execz .LBB345_1859
; %bb.1766:
	v_bfe_u32 v10, v5, 5, 1
	s_mov_b32 s6, exec_lo
	s_delay_alu instid0(VALU_DEP_1) | instskip(NEXT) | instid1(VALU_DEP_1)
	v_add3_u32 v10, v11, v10, 0x88fffff
                                        ; implicit-def: $vgpr11
	v_lshrrev_b32_e32 v10, 21, v10
	s_or_saveexec_b32 s7, s7
                                        ; implicit-def: $sgpr10
	s_delay_alu instid0(SALU_CYCLE_1)
	s_xor_b32 exec_lo, exec_lo, s7
	s_cbranch_execnz .LBB345_1860
.LBB345_1767:
	s_or_b32 exec_lo, exec_lo, s7
	v_mov_b32_e32 v12, s10
	s_and_saveexec_b32 s7, s6
.LBB345_1768:
	v_lshrrev_b32_e32 v5, 8, v5
	s_delay_alu instid0(VALU_DEP_1)
	v_and_or_b32 v12, 0x80, v5, v10
.LBB345_1769:
	s_or_b32 exec_lo, exec_lo, s7
.LBB345_1770:
	s_delay_alu instid0(SALU_CYCLE_1)
	s_or_b32 exec_lo, exec_lo, s3
	s_mov_b32 s3, 0
	global_store_b8 v[3:4], v12, off
.LBB345_1771:
	s_and_b32 vcc_lo, exec_lo, s3
	s_cbranch_vccz .LBB345_1781
; %bb.1772:
	v_lshlrev_b32_e32 v11, 16, v9
	v_and_b32_e32 v5, 0xffff, v9
	s_mov_b32 s3, exec_lo
                                        ; implicit-def: $vgpr10
	s_delay_alu instid0(VALU_DEP_2) | instskip(NEXT) | instid1(VALU_DEP_1)
	v_and_b32_e32 v12, 0x7fffffff, v11
	v_cmpx_gt_u32_e32 0x43f00000, v12
	s_xor_b32 s3, exec_lo, s3
	s_cbranch_execz .LBB345_1778
; %bb.1773:
	s_mov_b32 s6, exec_lo
                                        ; implicit-def: $vgpr10
	v_cmpx_lt_u32_e32 0x3c7fffff, v12
	s_xor_b32 s6, exec_lo, s6
; %bb.1774:
	v_bfe_u32 v10, v5, 4, 1
	s_delay_alu instid0(VALU_DEP_1) | instskip(NEXT) | instid1(VALU_DEP_1)
	v_add3_u32 v10, v11, v10, 0x407ffff
	v_and_b32_e32 v11, 0xff00000, v10
	v_lshrrev_b32_e32 v10, 20, v10
	s_delay_alu instid0(VALU_DEP_2) | instskip(NEXT) | instid1(VALU_DEP_2)
	v_cmp_ne_u32_e32 vcc_lo, 0x7f00000, v11
                                        ; implicit-def: $vgpr11
	v_cndmask_b32_e32 v10, 0x7e, v10, vcc_lo
; %bb.1775:
	s_and_not1_saveexec_b32 s6, s6
; %bb.1776:
	v_add_f32_e64 v10, 0x46800000, |v11|
; %bb.1777:
	s_or_b32 exec_lo, exec_lo, s6
                                        ; implicit-def: $vgpr12
.LBB345_1778:
	s_and_not1_saveexec_b32 s3, s3
; %bb.1779:
	v_mov_b32_e32 v10, 0x7f
	v_cmp_lt_u32_e32 vcc_lo, 0x7f800000, v12
	s_delay_alu instid0(VALU_DEP_2)
	v_cndmask_b32_e32 v10, 0x7e, v10, vcc_lo
; %bb.1780:
	s_or_b32 exec_lo, exec_lo, s3
	v_lshrrev_b32_e32 v5, 8, v5
	s_delay_alu instid0(VALU_DEP_1)
	v_and_or_b32 v5, 0x80, v5, v10
	global_store_b8 v[3:4], v5, off
.LBB345_1781:
	s_mov_b32 s3, 0
.LBB345_1782:
	s_delay_alu instid0(SALU_CYCLE_1)
	s_and_not1_b32 vcc_lo, exec_lo, s3
	s_cbranch_vccnz .LBB345_1792
; %bb.1783:
	v_lshlrev_b32_e32 v11, 16, v9
	v_and_b32_e32 v5, 0xffff, v9
	s_mov_b32 s3, exec_lo
                                        ; implicit-def: $vgpr10
	s_delay_alu instid0(VALU_DEP_2) | instskip(NEXT) | instid1(VALU_DEP_1)
	v_and_b32_e32 v12, 0x7fffffff, v11
	v_cmpx_gt_u32_e32 0x47800000, v12
	s_xor_b32 s3, exec_lo, s3
	s_cbranch_execz .LBB345_1789
; %bb.1784:
	s_mov_b32 s6, exec_lo
                                        ; implicit-def: $vgpr10
	v_cmpx_lt_u32_e32 0x387fffff, v12
	s_xor_b32 s6, exec_lo, s6
; %bb.1785:
	v_bfe_u32 v10, v5, 5, 1
	s_delay_alu instid0(VALU_DEP_1) | instskip(NEXT) | instid1(VALU_DEP_1)
	v_add3_u32 v10, v11, v10, 0x80fffff
                                        ; implicit-def: $vgpr11
	v_lshrrev_b32_e32 v10, 21, v10
; %bb.1786:
	s_and_not1_saveexec_b32 s6, s6
; %bb.1787:
	v_add_f32_e64 v10, 0x43000000, |v11|
; %bb.1788:
	s_or_b32 exec_lo, exec_lo, s6
                                        ; implicit-def: $vgpr12
.LBB345_1789:
	s_and_not1_saveexec_b32 s3, s3
; %bb.1790:
	v_mov_b32_e32 v10, 0x7f
	v_cmp_lt_u32_e32 vcc_lo, 0x7f800000, v12
	s_delay_alu instid0(VALU_DEP_2)
	v_cndmask_b32_e32 v10, 0x7c, v10, vcc_lo
; %bb.1791:
	s_or_b32 exec_lo, exec_lo, s3
	v_lshrrev_b32_e32 v5, 8, v5
	s_delay_alu instid0(VALU_DEP_1)
	v_and_or_b32 v5, 0x80, v5, v10
	global_store_b8 v[3:4], v5, off
.LBB345_1792:
	s_mov_b32 s3, 0
	s_mov_b32 s6, -1
.LBB345_1793:
	s_and_not1_b32 vcc_lo, exec_lo, s3
	s_mov_b32 s3, 0
	s_cbranch_vccnz .LBB345_1800
; %bb.1794:
	v_cmp_gt_i16_e64 s3, s2, 14
	s_delay_alu instid0(VALU_DEP_1)
	s_and_b32 vcc_lo, exec_lo, s3
	s_mov_b32 s3, -1
	s_cbranch_vccz .LBB345_1798
; %bb.1795:
	v_cmp_eq_u16_e64 s0, s2, 15
	s_delay_alu instid0(VALU_DEP_1)
	s_and_b32 vcc_lo, exec_lo, s0
	s_mov_b32 s0, -1
	s_cbranch_vccz .LBB345_1797
; %bb.1796:
	s_mov_b32 s0, 0
	s_mov_b32 s6, -1
	global_store_b16 v[3:4], v9, off
.LBB345_1797:
	s_mov_b32 s3, 0
.LBB345_1798:
	s_delay_alu instid0(SALU_CYCLE_1)
	s_and_b32 vcc_lo, exec_lo, s3
	s_mov_b32 s3, 0
	s_cbranch_vccz .LBB345_1800
; %bb.1799:
	v_cmp_ne_u16_e64 s0, s2, 11
	s_mov_b32 s3, -1
.LBB345_1800:
	s_delay_alu instid0(VALU_DEP_1)
	s_and_b32 vcc_lo, exec_lo, s0
	s_cbranch_vccnz .LBB345_1857
; %bb.1801:
	s_and_not1_b32 vcc_lo, exec_lo, s3
	s_cbranch_vccnz .LBB345_1803
.LBB345_1802:
	v_and_b32_e32 v5, 0x7fff, v9
	s_mov_b32 s6, -1
	s_delay_alu instid0(VALU_DEP_1)
	v_cmp_ne_u16_e32 vcc_lo, 0, v5
	v_cndmask_b32_e64 v5, 0, 1, vcc_lo
	global_store_b8 v[3:4], v5, off
.LBB345_1803:
	s_mov_b32 s0, 0
.LBB345_1804:
	s_delay_alu instid0(SALU_CYCLE_1)
	s_and_b32 vcc_lo, exec_lo, s0
	s_cbranch_vccz .LBB345_1843
; %bb.1805:
	v_cmp_lt_i16_e64 s0, s2, 5
	s_delay_alu instid0(VALU_DEP_1)
	s_and_b32 vcc_lo, exec_lo, s0
	s_mov_b32 s0, -1
	s_cbranch_vccnz .LBB345_1826
; %bb.1806:
	v_cmp_lt_i16_e64 s0, s2, 8
	s_delay_alu instid0(VALU_DEP_1)
	s_and_b32 vcc_lo, exec_lo, s0
	s_mov_b32 s0, -1
	s_cbranch_vccnz .LBB345_1816
	;; [unrolled: 6-line block ×3, first 2 shown]
; %bb.1808:
	v_cmp_gt_i16_e64 s0, s2, 9
	s_delay_alu instid0(VALU_DEP_1)
	s_and_b32 vcc_lo, exec_lo, s0
	s_mov_b32 s0, -1
	s_cbranch_vccz .LBB345_1810
; %bb.1809:
	v_dual_mov_b32 v12, 0 :: v_dual_lshlrev_b32 v5, 16, v9
	s_mov_b32 s0, 0
	s_delay_alu instid0(VALU_DEP_1) | instskip(NEXT) | instid1(VALU_DEP_2)
	v_cvt_f64_f32_e32 v[10:11], v5
	v_mov_b32_e32 v13, v12
	global_store_b128 v[3:4], v[10:13], off
.LBB345_1810:
	s_and_not1_b32 vcc_lo, exec_lo, s0
	s_cbranch_vccnz .LBB345_1812
; %bb.1811:
	v_dual_mov_b32 v11, 0 :: v_dual_lshlrev_b32 v10, 16, v9
	global_store_b64 v[3:4], v[10:11], off
.LBB345_1812:
	s_mov_b32 s0, 0
.LBB345_1813:
	s_delay_alu instid0(SALU_CYCLE_1)
	s_and_not1_b32 vcc_lo, exec_lo, s0
	s_cbranch_vccnz .LBB345_1815
; %bb.1814:
	v_lshlrev_b32_e32 v5, 16, v9
	s_delay_alu instid0(VALU_DEP_1) | instskip(NEXT) | instid1(VALU_DEP_1)
	v_cvt_f16_f32_e32 v5, v5
	v_and_b32_e32 v5, 0xffff, v5
	global_store_b32 v[3:4], v5, off
.LBB345_1815:
	s_mov_b32 s0, 0
.LBB345_1816:
	s_delay_alu instid0(SALU_CYCLE_1)
	s_and_not1_b32 vcc_lo, exec_lo, s0
	s_cbranch_vccnz .LBB345_1825
; %bb.1817:
	v_cmp_lt_i16_e64 s0, s2, 6
	s_delay_alu instid0(VALU_DEP_1)
	s_and_b32 vcc_lo, exec_lo, s0
	s_mov_b32 s0, -1
	s_cbranch_vccnz .LBB345_1823
; %bb.1818:
	v_cmp_gt_i16_e64 s0, s2, 6
	s_delay_alu instid0(VALU_DEP_1)
	s_and_b32 vcc_lo, exec_lo, s0
	s_mov_b32 s0, -1
	s_cbranch_vccz .LBB345_1820
; %bb.1819:
	v_lshlrev_b32_e32 v5, 16, v9
	s_mov_b32 s0, 0
	s_delay_alu instid0(VALU_DEP_1)
	v_cvt_f64_f32_e32 v[10:11], v5
	global_store_b64 v[3:4], v[10:11], off
.LBB345_1820:
	s_and_not1_b32 vcc_lo, exec_lo, s0
	s_cbranch_vccnz .LBB345_1822
; %bb.1821:
	v_lshlrev_b32_e32 v5, 16, v9
	global_store_b32 v[3:4], v5, off
.LBB345_1822:
	s_mov_b32 s0, 0
.LBB345_1823:
	s_delay_alu instid0(SALU_CYCLE_1)
	s_and_not1_b32 vcc_lo, exec_lo, s0
	s_cbranch_vccnz .LBB345_1825
; %bb.1824:
	v_lshlrev_b32_e32 v5, 16, v9
	s_delay_alu instid0(VALU_DEP_1)
	v_cvt_f16_f32_e32 v5, v5
	global_store_b16 v[3:4], v5, off
.LBB345_1825:
	s_mov_b32 s0, 0
.LBB345_1826:
	s_delay_alu instid0(SALU_CYCLE_1)
	s_and_not1_b32 vcc_lo, exec_lo, s0
	s_cbranch_vccnz .LBB345_1842
; %bb.1827:
	v_cmp_lt_i16_e64 s0, s2, 2
	s_delay_alu instid0(VALU_DEP_1)
	s_and_b32 vcc_lo, exec_lo, s0
	s_mov_b32 s0, -1
	s_cbranch_vccnz .LBB345_1837
; %bb.1828:
	v_cmp_lt_i16_e64 s0, s2, 3
	s_delay_alu instid0(VALU_DEP_1)
	s_and_b32 vcc_lo, exec_lo, s0
	s_mov_b32 s0, -1
	s_cbranch_vccnz .LBB345_1834
; %bb.1829:
	v_cmp_gt_i16_e64 s0, s2, 3
	s_delay_alu instid0(VALU_DEP_1)
	s_and_b32 vcc_lo, exec_lo, s0
	s_mov_b32 s0, -1
	s_cbranch_vccz .LBB345_1831
; %bb.1830:
	v_lshlrev_b32_e32 v5, 16, v9
	s_mov_b32 s0, 0
	s_delay_alu instid0(VALU_DEP_1) | instskip(NEXT) | instid1(VALU_DEP_1)
	v_trunc_f32_e32 v5, v5
	v_mul_f32_e64 v10, 0x2f800000, |v5|
	s_delay_alu instid0(VALU_DEP_1) | instskip(NEXT) | instid1(VALU_DEP_1)
	v_floor_f32_e32 v10, v10
	v_fma_f32 v11, 0xcf800000, v10, |v5|
	v_ashrrev_i32_e32 v5, 31, v5
	v_cvt_u32_f32_e32 v10, v10
	s_delay_alu instid0(VALU_DEP_3) | instskip(NEXT) | instid1(VALU_DEP_2)
	v_cvt_u32_f32_e32 v11, v11
	v_xor_b32_e32 v12, v10, v5
	s_delay_alu instid0(VALU_DEP_2) | instskip(NEXT) | instid1(VALU_DEP_1)
	v_xor_b32_e32 v11, v11, v5
	v_sub_co_u32 v10, vcc_lo, v11, v5
	s_delay_alu instid0(VALU_DEP_3)
	v_sub_co_ci_u32_e32 v11, vcc_lo, v12, v5, vcc_lo
	global_store_b64 v[3:4], v[10:11], off
.LBB345_1831:
	s_and_not1_b32 vcc_lo, exec_lo, s0
	s_cbranch_vccnz .LBB345_1833
; %bb.1832:
	v_lshlrev_b32_e32 v5, 16, v9
	s_delay_alu instid0(VALU_DEP_1)
	v_cvt_i32_f32_e32 v5, v5
	global_store_b32 v[3:4], v5, off
.LBB345_1833:
	s_mov_b32 s0, 0
.LBB345_1834:
	s_delay_alu instid0(SALU_CYCLE_1)
	s_and_not1_b32 vcc_lo, exec_lo, s0
	s_cbranch_vccnz .LBB345_1836
; %bb.1835:
	v_lshlrev_b32_e32 v5, 16, v9
	s_delay_alu instid0(VALU_DEP_1)
	v_cvt_i32_f32_e32 v5, v5
	global_store_b16 v[3:4], v5, off
.LBB345_1836:
	s_mov_b32 s0, 0
.LBB345_1837:
	s_delay_alu instid0(SALU_CYCLE_1)
	s_and_not1_b32 vcc_lo, exec_lo, s0
	s_cbranch_vccnz .LBB345_1842
; %bb.1838:
	v_cmp_gt_i16_e64 s0, s2, 0
	s_delay_alu instid0(VALU_DEP_1)
	s_and_b32 vcc_lo, exec_lo, s0
	s_mov_b32 s0, -1
	s_cbranch_vccz .LBB345_1840
; %bb.1839:
	v_lshlrev_b32_e32 v5, 16, v9
	s_mov_b32 s0, 0
	s_delay_alu instid0(VALU_DEP_1)
	v_cvt_i32_f32_e32 v5, v5
	global_store_b8 v[3:4], v5, off
.LBB345_1840:
	s_and_not1_b32 vcc_lo, exec_lo, s0
	s_cbranch_vccnz .LBB345_1842
; %bb.1841:
	v_lshlrev_b32_e32 v5, 16, v9
	s_delay_alu instid0(VALU_DEP_1) | instskip(NEXT) | instid1(VALU_DEP_1)
	v_trunc_f32_e32 v5, v5
	v_mul_f32_e64 v9, 0x2f800000, |v5|
	s_delay_alu instid0(VALU_DEP_1) | instskip(NEXT) | instid1(VALU_DEP_1)
	v_floor_f32_e32 v9, v9
	v_fma_f32 v9, 0xcf800000, v9, |v5|
	v_ashrrev_i32_e32 v5, 31, v5
	s_delay_alu instid0(VALU_DEP_2) | instskip(NEXT) | instid1(VALU_DEP_1)
	v_cvt_u32_f32_e32 v9, v9
	v_xor_b32_e32 v9, v9, v5
	s_delay_alu instid0(VALU_DEP_1)
	v_sub_nc_u32_e32 v5, v9, v5
	global_store_b8 v[3:4], v5, off
.LBB345_1842:
	s_mov_b32 s6, -1
.LBB345_1843:
	s_delay_alu instid0(SALU_CYCLE_1)
	s_and_not1_b32 vcc_lo, exec_lo, s6
	s_cbranch_vccnz .LBB345_2110
; %bb.1844:
	v_cmp_lt_i16_e64 s0, s2, 11
	v_add_co_u32 v2, s3, s4, v2
	s_delay_alu instid0(VALU_DEP_1) | instskip(SKIP_1) | instid1(VALU_DEP_3)
	v_add_co_ci_u32_e64 v3, null, s5, 0, s3
	s_mov_b32 s6, 0
	s_and_b32 vcc_lo, exec_lo, s0
	s_mov_b32 s0, -1
	s_cbranch_vccnz .LBB345_1933
; %bb.1845:
	v_cmp_gt_i16_e64 s0, s2, 25
	s_mov_b32 s7, -1
	s_mov_b32 s3, 0
	s_delay_alu instid0(VALU_DEP_1)
	s_and_b32 vcc_lo, exec_lo, s0
	s_mov_b32 s0, 0
	s_cbranch_vccz .LBB345_1889
; %bb.1846:
	v_cmp_gt_i16_e64 s0, s2, 28
	s_delay_alu instid0(VALU_DEP_1)
	s_and_b32 vcc_lo, exec_lo, s0
	s_cbranch_vccz .LBB345_1851
; %bb.1847:
	v_cmp_gt_i16_e64 s0, s2, 43
	s_delay_alu instid0(VALU_DEP_1)
	s_and_b32 vcc_lo, exec_lo, s0
	;; [unrolled: 5-line block ×3, first 2 shown]
	s_cbranch_vccz .LBB345_1861
; %bb.1849:
	v_cmp_eq_u16_e64 s6, s2, 46
	s_mov_b32 s0, -1
	s_mov_b32 s7, 0
	s_delay_alu instid0(VALU_DEP_1)
	s_and_b32 vcc_lo, exec_lo, s6
	s_mov_b32 s6, 0
	s_cbranch_vccz .LBB345_1862
; %bb.1850:
	v_and_b32_e32 v4, 0xffff, v8
	s_mov_b32 s0, 0
	s_mov_b32 s6, -1
	global_store_b32 v[2:3], v4, off
	s_branch .LBB345_1862
.LBB345_1851:
	s_mov_b32 s0, 0
	s_branch .LBB345_1872
.LBB345_1852:
	s_or_saveexec_b32 s10, s10
                                        ; implicit-def: $sgpr11
	s_delay_alu instid0(SALU_CYCLE_1)
	s_xor_b32 exec_lo, exec_lo, s10
	s_cbranch_execz .LBB345_1754
.LBB345_1853:
	v_add_f32_e64 v10, 0x46000000, |v11|
	s_and_not1_b32 s7, s7, exec_lo
	s_mov_b32 s11, 0
	s_delay_alu instid0(VALU_DEP_1) | instskip(NEXT) | instid1(VALU_DEP_1)
	v_and_b32_e32 v10, 0xff, v10
	v_cmp_ne_u32_e32 vcc_lo, 0, v10
	s_and_b32 s12, vcc_lo, exec_lo
	s_delay_alu instid0(SALU_CYCLE_1)
	s_or_b32 s7, s7, s12
	s_or_b32 exec_lo, exec_lo, s10
	v_mov_b32_e32 v12, s11
	s_and_saveexec_b32 s10, s7
	s_cbranch_execnz .LBB345_1755
	s_branch .LBB345_1756
.LBB345_1854:
	s_mov_b32 s0, 0
	s_branch .LBB345_1868
.LBB345_1855:
	s_trap 2
	s_sendmsg_rtn_b32 s0, sendmsg(MSG_RTN_GET_DOORBELL)
	s_mov_b32 ttmp2, m0
	s_waitcnt lgkmcnt(0)
	s_and_b32 s0, s0, 0x3ff
	s_delay_alu instid0(SALU_CYCLE_1) | instskip(NEXT) | instid1(SALU_CYCLE_1)
	s_bitset1_b32 s0, 10
	s_mov_b32 m0, s0
	s_sendmsg sendmsg(MSG_INTERRUPT)
	s_mov_b32 m0, ttmp2
.LBB345_1856:                           ; =>This Inner Loop Header: Depth=1
	s_sethalt 5
	s_branch .LBB345_1856
.LBB345_1857:
	s_cbranch_execnz .LBB345_1984
; %bb.1858:
	s_or_b32 s1, s1, exec_lo
	s_cbranch_execz .LBB345_1802
	s_branch .LBB345_1803
.LBB345_1859:
	s_or_saveexec_b32 s7, s7
                                        ; implicit-def: $sgpr10
	s_delay_alu instid0(SALU_CYCLE_1)
	s_xor_b32 exec_lo, exec_lo, s7
	s_cbranch_execz .LBB345_1767
.LBB345_1860:
	v_add_f32_e64 v10, 0x42800000, |v11|
	s_and_not1_b32 s6, s6, exec_lo
	s_mov_b32 s10, 0
	s_delay_alu instid0(VALU_DEP_1) | instskip(NEXT) | instid1(VALU_DEP_1)
	v_and_b32_e32 v10, 0xff, v10
	v_cmp_ne_u32_e32 vcc_lo, 0, v10
	s_and_b32 s11, vcc_lo, exec_lo
	s_delay_alu instid0(SALU_CYCLE_1)
	s_or_b32 s6, s6, s11
	s_or_b32 exec_lo, exec_lo, s7
	v_mov_b32_e32 v12, s10
	s_and_saveexec_b32 s7, s6
	s_cbranch_execnz .LBB345_1768
	s_branch .LBB345_1769
.LBB345_1861:
	s_mov_b32 s0, 0
.LBB345_1862:
	s_and_b32 vcc_lo, exec_lo, s7
	s_cbranch_vccz .LBB345_1867
; %bb.1863:
	v_cmp_eq_u16_e64 s0, s2, 44
	s_delay_alu instid0(VALU_DEP_1)
	s_and_b32 vcc_lo, exec_lo, s0
	s_mov_b32 s0, -1
	s_cbranch_vccz .LBB345_1867
; %bb.1864:
	v_and_b32_e32 v4, 0xffff, v8
	v_mov_b32_e32 v5, 0xff
	s_mov_b32 s6, exec_lo
	s_delay_alu instid0(VALU_DEP_2) | instskip(NEXT) | instid1(VALU_DEP_1)
	v_bfe_u32 v9, v4, 7, 8
	v_cmpx_ne_u32_e32 0xff, v9
; %bb.1865:
	v_lshlrev_b32_e32 v5, 16, v4
	v_and_b32_e32 v10, 64, v4
	v_lshrrev_b32_e32 v4, 7, v4
	s_delay_alu instid0(VALU_DEP_3) | instskip(NEXT) | instid1(VALU_DEP_3)
	v_and_or_b32 v5, 0x3f0000, v5, v9
	v_cmp_ne_u32_e32 vcc_lo, 0, v10
	s_delay_alu instid0(VALU_DEP_2) | instskip(NEXT) | instid1(VALU_DEP_1)
	v_cmp_ne_u32_e64 s0, 0, v5
	s_and_b32 s0, vcc_lo, s0
	s_delay_alu instid0(SALU_CYCLE_1) | instskip(NEXT) | instid1(VALU_DEP_1)
	v_cndmask_b32_e64 v5, 0, 1, s0
	v_add_nc_u32_e32 v5, v4, v5
; %bb.1866:
	s_or_b32 exec_lo, exec_lo, s6
	s_mov_b32 s0, 0
	s_mov_b32 s6, -1
	global_store_b8 v[2:3], v5, off
.LBB345_1867:
	s_mov_b32 s7, 0
.LBB345_1868:
	s_delay_alu instid0(SALU_CYCLE_1)
	s_and_b32 vcc_lo, exec_lo, s7
	s_cbranch_vccz .LBB345_1871
; %bb.1869:
	v_cmp_eq_u16_e64 s0, s2, 29
	s_delay_alu instid0(VALU_DEP_1)
	s_and_b32 vcc_lo, exec_lo, s0
	s_mov_b32 s0, -1
	s_cbranch_vccz .LBB345_1871
; %bb.1870:
	v_lshlrev_b32_e32 v4, 16, v8
	s_mov_b32 s0, 0
	s_mov_b32 s6, -1
	s_mov_b32 s7, 0
	s_delay_alu instid0(VALU_DEP_1) | instskip(NEXT) | instid1(VALU_DEP_1)
	v_trunc_f32_e32 v4, v4
	v_mul_f32_e32 v5, 0x2f800000, v4
	s_delay_alu instid0(VALU_DEP_1) | instskip(NEXT) | instid1(VALU_DEP_1)
	v_floor_f32_e32 v5, v5
	v_fmamk_f32 v4, v5, 0xcf800000, v4
	v_cvt_u32_f32_e32 v5, v5
	s_delay_alu instid0(VALU_DEP_2)
	v_cvt_u32_f32_e32 v4, v4
	global_store_b64 v[2:3], v[4:5], off
	s_branch .LBB345_1872
.LBB345_1871:
	s_mov_b32 s7, 0
.LBB345_1872:
	s_delay_alu instid0(SALU_CYCLE_1)
	s_and_b32 vcc_lo, exec_lo, s7
	s_cbranch_vccz .LBB345_1888
; %bb.1873:
	v_cmp_lt_i16_e64 s6, s2, 27
	s_delay_alu instid0(VALU_DEP_1)
	s_and_b32 vcc_lo, exec_lo, s6
	s_mov_b32 s6, -1
	s_cbranch_vccnz .LBB345_1879
; %bb.1874:
	v_cmp_gt_i16_e64 s6, s2, 27
	s_delay_alu instid0(VALU_DEP_1)
	s_and_b32 vcc_lo, exec_lo, s6
	s_mov_b32 s6, -1
	s_cbranch_vccz .LBB345_1876
; %bb.1875:
	v_lshlrev_b32_e32 v4, 16, v8
	s_mov_b32 s6, 0
	s_delay_alu instid0(VALU_DEP_1)
	v_cvt_u32_f32_e32 v4, v4
	global_store_b32 v[2:3], v4, off
.LBB345_1876:
	s_and_not1_b32 vcc_lo, exec_lo, s6
	s_cbranch_vccnz .LBB345_1878
; %bb.1877:
	v_lshlrev_b32_e32 v4, 16, v8
	s_delay_alu instid0(VALU_DEP_1)
	v_cvt_u32_f32_e32 v4, v4
	global_store_b16 v[2:3], v4, off
.LBB345_1878:
	s_mov_b32 s6, 0
.LBB345_1879:
	s_delay_alu instid0(SALU_CYCLE_1)
	s_and_not1_b32 vcc_lo, exec_lo, s6
	s_cbranch_vccnz .LBB345_1887
; %bb.1880:
	v_dual_mov_b32 v10, 0x80 :: v_dual_lshlrev_b32 v9, 16, v8
	s_mov_b32 s6, exec_lo
	s_delay_alu instid0(VALU_DEP_1) | instskip(NEXT) | instid1(VALU_DEP_1)
	v_and_b32_e32 v5, 0x7fffffff, v9
	v_cmpx_gt_u32_e32 0x43800000, v5
	s_cbranch_execz .LBB345_1886
; %bb.1881:
	v_and_b32_e32 v4, 0xffff, v8
	v_cmp_lt_u32_e32 vcc_lo, 0x3bffffff, v5
	s_mov_b32 s7, 0
                                        ; implicit-def: $vgpr5
	s_and_saveexec_b32 s10, vcc_lo
	s_delay_alu instid0(SALU_CYCLE_1)
	s_xor_b32 s10, exec_lo, s10
	s_cbranch_execz .LBB345_1981
; %bb.1882:
	v_bfe_u32 v5, v4, 4, 1
	s_mov_b32 s7, exec_lo
	s_delay_alu instid0(VALU_DEP_1) | instskip(NEXT) | instid1(VALU_DEP_1)
	v_add3_u32 v5, v9, v5, 0x487ffff
                                        ; implicit-def: $vgpr9
	v_lshrrev_b32_e32 v5, 20, v5
	s_or_saveexec_b32 s10, s10
                                        ; implicit-def: $sgpr11
	s_delay_alu instid0(SALU_CYCLE_1)
	s_xor_b32 exec_lo, exec_lo, s10
	s_cbranch_execnz .LBB345_1982
.LBB345_1883:
	s_or_b32 exec_lo, exec_lo, s10
	v_mov_b32_e32 v10, s11
	s_and_saveexec_b32 s10, s7
.LBB345_1884:
	v_lshrrev_b32_e32 v4, 8, v4
	s_delay_alu instid0(VALU_DEP_1)
	v_and_or_b32 v10, 0x80, v4, v5
.LBB345_1885:
	s_or_b32 exec_lo, exec_lo, s10
.LBB345_1886:
	s_delay_alu instid0(SALU_CYCLE_1)
	s_or_b32 exec_lo, exec_lo, s6
	global_store_b8 v[2:3], v10, off
.LBB345_1887:
	s_mov_b32 s6, -1
.LBB345_1888:
	s_mov_b32 s7, 0
.LBB345_1889:
	s_delay_alu instid0(SALU_CYCLE_1)
	s_and_b32 vcc_lo, exec_lo, s7
	s_cbranch_vccz .LBB345_1929
; %bb.1890:
	v_cmp_gt_i16_e64 s3, s2, 22
	s_delay_alu instid0(VALU_DEP_1)
	s_and_b32 vcc_lo, exec_lo, s3
	s_mov_b32 s3, -1
	s_cbranch_vccz .LBB345_1922
; %bb.1891:
	v_cmp_lt_i16_e64 s3, s2, 24
	s_delay_alu instid0(VALU_DEP_1)
	s_and_b32 vcc_lo, exec_lo, s3
	s_mov_b32 s3, -1
	s_cbranch_vccnz .LBB345_1911
; %bb.1892:
	v_cmp_gt_i16_e64 s3, s2, 24
	s_delay_alu instid0(VALU_DEP_1)
	s_and_b32 vcc_lo, exec_lo, s3
	s_mov_b32 s3, -1
	s_cbranch_vccz .LBB345_1900
; %bb.1893:
	v_dual_mov_b32 v10, 0x80 :: v_dual_lshlrev_b32 v9, 16, v8
	s_mov_b32 s3, exec_lo
	s_delay_alu instid0(VALU_DEP_1) | instskip(NEXT) | instid1(VALU_DEP_1)
	v_and_b32_e32 v5, 0x7fffffff, v9
	v_cmpx_gt_u32_e32 0x47800000, v5
	s_cbranch_execz .LBB345_1899
; %bb.1894:
	v_and_b32_e32 v4, 0xffff, v8
	v_cmp_lt_u32_e32 vcc_lo, 0x37ffffff, v5
	s_mov_b32 s6, 0
                                        ; implicit-def: $vgpr5
	s_and_saveexec_b32 s7, vcc_lo
	s_delay_alu instid0(SALU_CYCLE_1)
	s_xor_b32 s7, exec_lo, s7
	s_cbranch_execz .LBB345_1988
; %bb.1895:
	v_bfe_u32 v5, v4, 5, 1
	s_mov_b32 s6, exec_lo
	s_delay_alu instid0(VALU_DEP_1) | instskip(NEXT) | instid1(VALU_DEP_1)
	v_add3_u32 v5, v9, v5, 0x88fffff
                                        ; implicit-def: $vgpr9
	v_lshrrev_b32_e32 v5, 21, v5
	s_or_saveexec_b32 s7, s7
                                        ; implicit-def: $sgpr10
	s_delay_alu instid0(SALU_CYCLE_1)
	s_xor_b32 exec_lo, exec_lo, s7
	s_cbranch_execnz .LBB345_1989
.LBB345_1896:
	s_or_b32 exec_lo, exec_lo, s7
	v_mov_b32_e32 v10, s10
	s_and_saveexec_b32 s7, s6
.LBB345_1897:
	v_lshrrev_b32_e32 v4, 8, v4
	s_delay_alu instid0(VALU_DEP_1)
	v_and_or_b32 v10, 0x80, v4, v5
.LBB345_1898:
	s_or_b32 exec_lo, exec_lo, s7
.LBB345_1899:
	s_delay_alu instid0(SALU_CYCLE_1)
	s_or_b32 exec_lo, exec_lo, s3
	s_mov_b32 s3, 0
	global_store_b8 v[2:3], v10, off
.LBB345_1900:
	s_and_b32 vcc_lo, exec_lo, s3
	s_cbranch_vccz .LBB345_1910
; %bb.1901:
	v_lshlrev_b32_e32 v9, 16, v8
	v_and_b32_e32 v4, 0xffff, v8
	s_mov_b32 s3, exec_lo
                                        ; implicit-def: $vgpr5
	s_delay_alu instid0(VALU_DEP_2) | instskip(NEXT) | instid1(VALU_DEP_1)
	v_and_b32_e32 v10, 0x7fffffff, v9
	v_cmpx_gt_u32_e32 0x43f00000, v10
	s_xor_b32 s3, exec_lo, s3
	s_cbranch_execz .LBB345_1907
; %bb.1902:
	s_mov_b32 s6, exec_lo
                                        ; implicit-def: $vgpr5
	v_cmpx_lt_u32_e32 0x3c7fffff, v10
	s_xor_b32 s6, exec_lo, s6
; %bb.1903:
	v_bfe_u32 v5, v4, 4, 1
	s_delay_alu instid0(VALU_DEP_1) | instskip(NEXT) | instid1(VALU_DEP_1)
	v_add3_u32 v5, v9, v5, 0x407ffff
	v_and_b32_e32 v9, 0xff00000, v5
	v_lshrrev_b32_e32 v5, 20, v5
	s_delay_alu instid0(VALU_DEP_2) | instskip(NEXT) | instid1(VALU_DEP_2)
	v_cmp_ne_u32_e32 vcc_lo, 0x7f00000, v9
                                        ; implicit-def: $vgpr9
	v_cndmask_b32_e32 v5, 0x7e, v5, vcc_lo
; %bb.1904:
	s_and_not1_saveexec_b32 s6, s6
; %bb.1905:
	v_add_f32_e64 v5, 0x46800000, |v9|
; %bb.1906:
	s_or_b32 exec_lo, exec_lo, s6
                                        ; implicit-def: $vgpr10
.LBB345_1907:
	s_and_not1_saveexec_b32 s3, s3
; %bb.1908:
	v_mov_b32_e32 v5, 0x7f
	v_cmp_lt_u32_e32 vcc_lo, 0x7f800000, v10
	s_delay_alu instid0(VALU_DEP_2)
	v_cndmask_b32_e32 v5, 0x7e, v5, vcc_lo
; %bb.1909:
	s_or_b32 exec_lo, exec_lo, s3
	v_lshrrev_b32_e32 v4, 8, v4
	s_delay_alu instid0(VALU_DEP_1)
	v_and_or_b32 v4, 0x80, v4, v5
	global_store_b8 v[2:3], v4, off
.LBB345_1910:
	s_mov_b32 s3, 0
.LBB345_1911:
	s_delay_alu instid0(SALU_CYCLE_1)
	s_and_not1_b32 vcc_lo, exec_lo, s3
	s_cbranch_vccnz .LBB345_1921
; %bb.1912:
	v_lshlrev_b32_e32 v9, 16, v8
	v_and_b32_e32 v4, 0xffff, v8
	s_mov_b32 s3, exec_lo
                                        ; implicit-def: $vgpr5
	s_delay_alu instid0(VALU_DEP_2) | instskip(NEXT) | instid1(VALU_DEP_1)
	v_and_b32_e32 v10, 0x7fffffff, v9
	v_cmpx_gt_u32_e32 0x47800000, v10
	s_xor_b32 s3, exec_lo, s3
	s_cbranch_execz .LBB345_1918
; %bb.1913:
	s_mov_b32 s6, exec_lo
                                        ; implicit-def: $vgpr5
	v_cmpx_lt_u32_e32 0x387fffff, v10
	s_xor_b32 s6, exec_lo, s6
; %bb.1914:
	v_bfe_u32 v5, v4, 5, 1
	s_delay_alu instid0(VALU_DEP_1) | instskip(NEXT) | instid1(VALU_DEP_1)
	v_add3_u32 v5, v9, v5, 0x80fffff
                                        ; implicit-def: $vgpr9
	v_lshrrev_b32_e32 v5, 21, v5
; %bb.1915:
	s_and_not1_saveexec_b32 s6, s6
; %bb.1916:
	v_add_f32_e64 v5, 0x43000000, |v9|
; %bb.1917:
	s_or_b32 exec_lo, exec_lo, s6
                                        ; implicit-def: $vgpr10
.LBB345_1918:
	s_and_not1_saveexec_b32 s3, s3
; %bb.1919:
	v_mov_b32_e32 v5, 0x7f
	v_cmp_lt_u32_e32 vcc_lo, 0x7f800000, v10
	s_delay_alu instid0(VALU_DEP_2)
	v_cndmask_b32_e32 v5, 0x7c, v5, vcc_lo
; %bb.1920:
	s_or_b32 exec_lo, exec_lo, s3
	v_lshrrev_b32_e32 v4, 8, v4
	s_delay_alu instid0(VALU_DEP_1)
	v_and_or_b32 v4, 0x80, v4, v5
	global_store_b8 v[2:3], v4, off
.LBB345_1921:
	s_mov_b32 s3, 0
	s_mov_b32 s6, -1
.LBB345_1922:
	s_and_not1_b32 vcc_lo, exec_lo, s3
	s_mov_b32 s3, 0
	s_cbranch_vccnz .LBB345_1929
; %bb.1923:
	v_cmp_gt_i16_e64 s3, s2, 14
	s_delay_alu instid0(VALU_DEP_1)
	s_and_b32 vcc_lo, exec_lo, s3
	s_mov_b32 s3, -1
	s_cbranch_vccz .LBB345_1927
; %bb.1924:
	v_cmp_eq_u16_e64 s0, s2, 15
	s_delay_alu instid0(VALU_DEP_1)
	s_and_b32 vcc_lo, exec_lo, s0
	s_mov_b32 s0, -1
	s_cbranch_vccz .LBB345_1926
; %bb.1925:
	s_mov_b32 s0, 0
	s_mov_b32 s6, -1
	global_store_b16 v[2:3], v8, off
.LBB345_1926:
	s_mov_b32 s3, 0
.LBB345_1927:
	s_delay_alu instid0(SALU_CYCLE_1)
	s_and_b32 vcc_lo, exec_lo, s3
	s_mov_b32 s3, 0
	s_cbranch_vccz .LBB345_1929
; %bb.1928:
	v_cmp_ne_u16_e64 s0, s2, 11
	s_mov_b32 s3, -1
.LBB345_1929:
	s_delay_alu instid0(VALU_DEP_1)
	s_and_b32 vcc_lo, exec_lo, s0
	s_cbranch_vccnz .LBB345_1986
; %bb.1930:
	s_and_not1_b32 vcc_lo, exec_lo, s3
	s_cbranch_vccnz .LBB345_1932
.LBB345_1931:
	v_and_b32_e32 v4, 0x7fff, v8
	s_mov_b32 s6, -1
	s_delay_alu instid0(VALU_DEP_1)
	v_cmp_ne_u16_e32 vcc_lo, 0, v4
	v_cndmask_b32_e64 v4, 0, 1, vcc_lo
	global_store_b8 v[2:3], v4, off
.LBB345_1932:
	s_mov_b32 s0, 0
.LBB345_1933:
	s_delay_alu instid0(SALU_CYCLE_1)
	s_and_b32 vcc_lo, exec_lo, s0
	s_cbranch_vccz .LBB345_1972
; %bb.1934:
	v_cmp_lt_i16_e64 s0, s2, 5
	s_delay_alu instid0(VALU_DEP_1)
	s_and_b32 vcc_lo, exec_lo, s0
	s_mov_b32 s0, -1
	s_cbranch_vccnz .LBB345_1955
; %bb.1935:
	v_cmp_lt_i16_e64 s0, s2, 8
	s_delay_alu instid0(VALU_DEP_1)
	s_and_b32 vcc_lo, exec_lo, s0
	s_mov_b32 s0, -1
	s_cbranch_vccnz .LBB345_1945
	;; [unrolled: 6-line block ×3, first 2 shown]
; %bb.1937:
	v_cmp_gt_i16_e64 s0, s2, 9
	s_delay_alu instid0(VALU_DEP_1)
	s_and_b32 vcc_lo, exec_lo, s0
	s_mov_b32 s0, -1
	s_cbranch_vccz .LBB345_1939
; %bb.1938:
	v_dual_mov_b32 v11, 0 :: v_dual_lshlrev_b32 v4, 16, v8
	s_mov_b32 s0, 0
	s_delay_alu instid0(VALU_DEP_1) | instskip(NEXT) | instid1(VALU_DEP_2)
	v_cvt_f64_f32_e32 v[9:10], v4
	v_mov_b32_e32 v12, v11
	global_store_b128 v[2:3], v[9:12], off
.LBB345_1939:
	s_and_not1_b32 vcc_lo, exec_lo, s0
	s_cbranch_vccnz .LBB345_1941
; %bb.1940:
	v_dual_mov_b32 v5, 0 :: v_dual_lshlrev_b32 v4, 16, v8
	global_store_b64 v[2:3], v[4:5], off
.LBB345_1941:
	s_mov_b32 s0, 0
.LBB345_1942:
	s_delay_alu instid0(SALU_CYCLE_1)
	s_and_not1_b32 vcc_lo, exec_lo, s0
	s_cbranch_vccnz .LBB345_1944
; %bb.1943:
	v_lshlrev_b32_e32 v4, 16, v8
	s_delay_alu instid0(VALU_DEP_1) | instskip(NEXT) | instid1(VALU_DEP_1)
	v_cvt_f16_f32_e32 v4, v4
	v_and_b32_e32 v4, 0xffff, v4
	global_store_b32 v[2:3], v4, off
.LBB345_1944:
	s_mov_b32 s0, 0
.LBB345_1945:
	s_delay_alu instid0(SALU_CYCLE_1)
	s_and_not1_b32 vcc_lo, exec_lo, s0
	s_cbranch_vccnz .LBB345_1954
; %bb.1946:
	v_cmp_lt_i16_e64 s0, s2, 6
	s_delay_alu instid0(VALU_DEP_1)
	s_and_b32 vcc_lo, exec_lo, s0
	s_mov_b32 s0, -1
	s_cbranch_vccnz .LBB345_1952
; %bb.1947:
	v_cmp_gt_i16_e64 s0, s2, 6
	s_delay_alu instid0(VALU_DEP_1)
	s_and_b32 vcc_lo, exec_lo, s0
	s_mov_b32 s0, -1
	s_cbranch_vccz .LBB345_1949
; %bb.1948:
	v_lshlrev_b32_e32 v4, 16, v8
	s_mov_b32 s0, 0
	s_delay_alu instid0(VALU_DEP_1)
	v_cvt_f64_f32_e32 v[4:5], v4
	global_store_b64 v[2:3], v[4:5], off
.LBB345_1949:
	s_and_not1_b32 vcc_lo, exec_lo, s0
	s_cbranch_vccnz .LBB345_1951
; %bb.1950:
	v_lshlrev_b32_e32 v4, 16, v8
	global_store_b32 v[2:3], v4, off
.LBB345_1951:
	s_mov_b32 s0, 0
.LBB345_1952:
	s_delay_alu instid0(SALU_CYCLE_1)
	s_and_not1_b32 vcc_lo, exec_lo, s0
	s_cbranch_vccnz .LBB345_1954
; %bb.1953:
	v_lshlrev_b32_e32 v4, 16, v8
	s_delay_alu instid0(VALU_DEP_1)
	v_cvt_f16_f32_e32 v4, v4
	global_store_b16 v[2:3], v4, off
.LBB345_1954:
	s_mov_b32 s0, 0
.LBB345_1955:
	s_delay_alu instid0(SALU_CYCLE_1)
	s_and_not1_b32 vcc_lo, exec_lo, s0
	s_cbranch_vccnz .LBB345_1971
; %bb.1956:
	v_cmp_lt_i16_e64 s0, s2, 2
	s_delay_alu instid0(VALU_DEP_1)
	s_and_b32 vcc_lo, exec_lo, s0
	s_mov_b32 s0, -1
	s_cbranch_vccnz .LBB345_1966
; %bb.1957:
	v_cmp_lt_i16_e64 s0, s2, 3
	s_delay_alu instid0(VALU_DEP_1)
	s_and_b32 vcc_lo, exec_lo, s0
	s_mov_b32 s0, -1
	s_cbranch_vccnz .LBB345_1963
; %bb.1958:
	v_cmp_gt_i16_e64 s0, s2, 3
	s_delay_alu instid0(VALU_DEP_1)
	s_and_b32 vcc_lo, exec_lo, s0
	s_mov_b32 s0, -1
	s_cbranch_vccz .LBB345_1960
; %bb.1959:
	v_lshlrev_b32_e32 v4, 16, v8
	s_mov_b32 s0, 0
	s_delay_alu instid0(VALU_DEP_1) | instskip(NEXT) | instid1(VALU_DEP_1)
	v_trunc_f32_e32 v4, v4
	v_mul_f32_e64 v5, 0x2f800000, |v4|
	v_ashrrev_i32_e32 v10, 31, v4
	s_delay_alu instid0(VALU_DEP_2) | instskip(NEXT) | instid1(VALU_DEP_1)
	v_floor_f32_e32 v5, v5
	v_fma_f32 v9, 0xcf800000, v5, |v4|
	v_cvt_u32_f32_e32 v5, v5
	s_delay_alu instid0(VALU_DEP_2) | instskip(NEXT) | instid1(VALU_DEP_2)
	v_cvt_u32_f32_e32 v4, v9
	v_xor_b32_e32 v5, v5, v10
	s_delay_alu instid0(VALU_DEP_2) | instskip(NEXT) | instid1(VALU_DEP_1)
	v_xor_b32_e32 v4, v4, v10
	v_sub_co_u32 v4, vcc_lo, v4, v10
	s_delay_alu instid0(VALU_DEP_3)
	v_sub_co_ci_u32_e32 v5, vcc_lo, v5, v10, vcc_lo
	global_store_b64 v[2:3], v[4:5], off
.LBB345_1960:
	s_and_not1_b32 vcc_lo, exec_lo, s0
	s_cbranch_vccnz .LBB345_1962
; %bb.1961:
	v_lshlrev_b32_e32 v4, 16, v8
	s_delay_alu instid0(VALU_DEP_1)
	v_cvt_i32_f32_e32 v4, v4
	global_store_b32 v[2:3], v4, off
.LBB345_1962:
	s_mov_b32 s0, 0
.LBB345_1963:
	s_delay_alu instid0(SALU_CYCLE_1)
	s_and_not1_b32 vcc_lo, exec_lo, s0
	s_cbranch_vccnz .LBB345_1965
; %bb.1964:
	v_lshlrev_b32_e32 v4, 16, v8
	s_delay_alu instid0(VALU_DEP_1)
	v_cvt_i32_f32_e32 v4, v4
	global_store_b16 v[2:3], v4, off
.LBB345_1965:
	s_mov_b32 s0, 0
.LBB345_1966:
	s_delay_alu instid0(SALU_CYCLE_1)
	s_and_not1_b32 vcc_lo, exec_lo, s0
	s_cbranch_vccnz .LBB345_1971
; %bb.1967:
	v_cmp_gt_i16_e64 s0, s2, 0
	v_lshlrev_b32_e32 v4, 16, v8
	s_delay_alu instid0(VALU_DEP_2)
	s_and_b32 vcc_lo, exec_lo, s0
	s_mov_b32 s0, -1
	s_cbranch_vccz .LBB345_1969
; %bb.1968:
	s_delay_alu instid0(VALU_DEP_1)
	v_cvt_i32_f32_e32 v5, v4
	s_mov_b32 s0, 0
	global_store_b8 v[2:3], v5, off
.LBB345_1969:
	s_and_not1_b32 vcc_lo, exec_lo, s0
	s_cbranch_vccnz .LBB345_1971
; %bb.1970:
	v_trunc_f32_e32 v4, v4
	s_delay_alu instid0(VALU_DEP_1) | instskip(NEXT) | instid1(VALU_DEP_1)
	v_mul_f32_e64 v5, 0x2f800000, |v4|
	v_floor_f32_e32 v5, v5
	s_delay_alu instid0(VALU_DEP_1) | instskip(SKIP_1) | instid1(VALU_DEP_2)
	v_fma_f32 v5, 0xcf800000, v5, |v4|
	v_ashrrev_i32_e32 v4, 31, v4
	v_cvt_u32_f32_e32 v5, v5
	s_delay_alu instid0(VALU_DEP_1) | instskip(NEXT) | instid1(VALU_DEP_1)
	v_xor_b32_e32 v5, v5, v4
	v_sub_nc_u32_e32 v4, v5, v4
	global_store_b8 v[2:3], v4, off
.LBB345_1971:
	s_mov_b32 s6, -1
.LBB345_1972:
	s_delay_alu instid0(SALU_CYCLE_1)
	s_and_not1_b32 vcc_lo, exec_lo, s6
	s_cbranch_vccnz .LBB345_2110
; %bb.1973:
	v_cmp_lt_i16_e64 s0, s2, 11
	v_add_co_u32 v1, s3, s4, v1
	s_delay_alu instid0(VALU_DEP_1) | instskip(SKIP_1) | instid1(VALU_DEP_3)
	v_add_co_ci_u32_e64 v2, null, s5, 0, s3
	s_mov_b32 s6, 0
	s_and_b32 vcc_lo, exec_lo, s0
	s_mov_b32 s0, -1
	s_cbranch_vccnz .LBB345_2062
; %bb.1974:
	v_cmp_gt_i16_e64 s0, s2, 25
	s_mov_b32 s7, -1
	s_mov_b32 s3, 0
	s_delay_alu instid0(VALU_DEP_1)
	s_and_b32 vcc_lo, exec_lo, s0
	s_mov_b32 s0, 0
	s_cbranch_vccz .LBB345_2018
; %bb.1975:
	v_cmp_gt_i16_e64 s0, s2, 28
	s_delay_alu instid0(VALU_DEP_1)
	s_and_b32 vcc_lo, exec_lo, s0
	s_cbranch_vccz .LBB345_1980
; %bb.1976:
	v_cmp_gt_i16_e64 s0, s2, 43
	s_delay_alu instid0(VALU_DEP_1)
	s_and_b32 vcc_lo, exec_lo, s0
	;; [unrolled: 5-line block ×3, first 2 shown]
	s_cbranch_vccz .LBB345_1990
; %bb.1978:
	v_cmp_eq_u16_e64 s6, s2, 46
	s_mov_b32 s0, -1
	s_mov_b32 s7, 0
	s_delay_alu instid0(VALU_DEP_1)
	s_and_b32 vcc_lo, exec_lo, s6
	s_mov_b32 s6, 0
	s_cbranch_vccz .LBB345_1991
; %bb.1979:
	v_and_b32_e32 v3, 0xffff, v7
	s_mov_b32 s0, 0
	s_mov_b32 s6, -1
	global_store_b32 v[1:2], v3, off
	s_branch .LBB345_1991
.LBB345_1980:
	s_mov_b32 s0, 0
	s_branch .LBB345_2001
.LBB345_1981:
	s_or_saveexec_b32 s10, s10
                                        ; implicit-def: $sgpr11
	s_delay_alu instid0(SALU_CYCLE_1)
	s_xor_b32 exec_lo, exec_lo, s10
	s_cbranch_execz .LBB345_1883
.LBB345_1982:
	v_add_f32_e64 v5, 0x46000000, |v9|
	s_and_not1_b32 s7, s7, exec_lo
	s_mov_b32 s11, 0
	s_delay_alu instid0(VALU_DEP_1) | instskip(NEXT) | instid1(VALU_DEP_1)
	v_and_b32_e32 v5, 0xff, v5
	v_cmp_ne_u32_e32 vcc_lo, 0, v5
	s_and_b32 s12, vcc_lo, exec_lo
	s_delay_alu instid0(SALU_CYCLE_1)
	s_or_b32 s7, s7, s12
	s_or_b32 exec_lo, exec_lo, s10
	v_mov_b32_e32 v10, s11
	s_and_saveexec_b32 s10, s7
	s_cbranch_execnz .LBB345_1884
	s_branch .LBB345_1885
.LBB345_1983:
	s_mov_b32 s0, 0
	s_branch .LBB345_1997
.LBB345_1984:
	s_trap 2
	s_sendmsg_rtn_b32 s0, sendmsg(MSG_RTN_GET_DOORBELL)
	s_mov_b32 ttmp2, m0
	s_waitcnt lgkmcnt(0)
	s_and_b32 s0, s0, 0x3ff
	s_delay_alu instid0(SALU_CYCLE_1) | instskip(NEXT) | instid1(SALU_CYCLE_1)
	s_bitset1_b32 s0, 10
	s_mov_b32 m0, s0
	s_sendmsg sendmsg(MSG_INTERRUPT)
	s_mov_b32 m0, ttmp2
.LBB345_1985:                           ; =>This Inner Loop Header: Depth=1
	s_sethalt 5
	s_branch .LBB345_1985
.LBB345_1986:
	s_cbranch_execnz .LBB345_2115
; %bb.1987:
	s_or_b32 s1, s1, exec_lo
	s_cbranch_execz .LBB345_1931
	s_branch .LBB345_1932
.LBB345_1988:
	s_or_saveexec_b32 s7, s7
                                        ; implicit-def: $sgpr10
	s_delay_alu instid0(SALU_CYCLE_1)
	s_xor_b32 exec_lo, exec_lo, s7
	s_cbranch_execz .LBB345_1896
.LBB345_1989:
	v_add_f32_e64 v5, 0x42800000, |v9|
	s_and_not1_b32 s6, s6, exec_lo
	s_mov_b32 s10, 0
	s_delay_alu instid0(VALU_DEP_1) | instskip(NEXT) | instid1(VALU_DEP_1)
	v_and_b32_e32 v5, 0xff, v5
	v_cmp_ne_u32_e32 vcc_lo, 0, v5
	s_and_b32 s11, vcc_lo, exec_lo
	s_delay_alu instid0(SALU_CYCLE_1)
	s_or_b32 s6, s6, s11
	s_or_b32 exec_lo, exec_lo, s7
	v_mov_b32_e32 v10, s10
	s_and_saveexec_b32 s7, s6
	s_cbranch_execnz .LBB345_1897
	s_branch .LBB345_1898
.LBB345_1990:
	s_mov_b32 s0, 0
.LBB345_1991:
	s_and_b32 vcc_lo, exec_lo, s7
	s_cbranch_vccz .LBB345_1996
; %bb.1992:
	v_cmp_eq_u16_e64 s0, s2, 44
	s_delay_alu instid0(VALU_DEP_1)
	s_and_b32 vcc_lo, exec_lo, s0
	s_mov_b32 s0, -1
	s_cbranch_vccz .LBB345_1996
; %bb.1993:
	v_and_b32_e32 v3, 0xffff, v7
	v_mov_b32_e32 v4, 0xff
	s_mov_b32 s6, exec_lo
	s_delay_alu instid0(VALU_DEP_2) | instskip(NEXT) | instid1(VALU_DEP_1)
	v_bfe_u32 v5, v3, 7, 8
	v_cmpx_ne_u32_e32 0xff, v5
; %bb.1994:
	v_lshlrev_b32_e32 v4, 16, v3
	v_and_b32_e32 v8, 64, v3
	v_lshrrev_b32_e32 v3, 7, v3
	s_delay_alu instid0(VALU_DEP_3) | instskip(NEXT) | instid1(VALU_DEP_3)
	v_and_or_b32 v4, 0x3f0000, v4, v5
	v_cmp_ne_u32_e32 vcc_lo, 0, v8
	s_delay_alu instid0(VALU_DEP_2) | instskip(NEXT) | instid1(VALU_DEP_1)
	v_cmp_ne_u32_e64 s0, 0, v4
	s_and_b32 s0, vcc_lo, s0
	s_delay_alu instid0(SALU_CYCLE_1) | instskip(NEXT) | instid1(VALU_DEP_1)
	v_cndmask_b32_e64 v4, 0, 1, s0
	v_add_nc_u32_e32 v4, v3, v4
; %bb.1995:
	s_or_b32 exec_lo, exec_lo, s6
	s_mov_b32 s0, 0
	s_mov_b32 s6, -1
	global_store_b8 v[1:2], v4, off
.LBB345_1996:
	s_mov_b32 s7, 0
.LBB345_1997:
	s_delay_alu instid0(SALU_CYCLE_1)
	s_and_b32 vcc_lo, exec_lo, s7
	s_cbranch_vccz .LBB345_2000
; %bb.1998:
	v_cmp_eq_u16_e64 s0, s2, 29
	s_delay_alu instid0(VALU_DEP_1)
	s_and_b32 vcc_lo, exec_lo, s0
	s_mov_b32 s0, -1
	s_cbranch_vccz .LBB345_2000
; %bb.1999:
	v_lshlrev_b32_e32 v3, 16, v7
	s_mov_b32 s0, 0
	s_mov_b32 s6, -1
	s_mov_b32 s7, 0
	s_delay_alu instid0(VALU_DEP_1) | instskip(NEXT) | instid1(VALU_DEP_1)
	v_trunc_f32_e32 v3, v3
	v_mul_f32_e32 v4, 0x2f800000, v3
	s_delay_alu instid0(VALU_DEP_1) | instskip(NEXT) | instid1(VALU_DEP_1)
	v_floor_f32_e32 v4, v4
	v_fmamk_f32 v3, v4, 0xcf800000, v3
	v_cvt_u32_f32_e32 v4, v4
	s_delay_alu instid0(VALU_DEP_2)
	v_cvt_u32_f32_e32 v3, v3
	global_store_b64 v[1:2], v[3:4], off
	s_branch .LBB345_2001
.LBB345_2000:
	s_mov_b32 s7, 0
.LBB345_2001:
	s_delay_alu instid0(SALU_CYCLE_1)
	s_and_b32 vcc_lo, exec_lo, s7
	s_cbranch_vccz .LBB345_2017
; %bb.2002:
	v_cmp_lt_i16_e64 s6, s2, 27
	s_delay_alu instid0(VALU_DEP_1)
	s_and_b32 vcc_lo, exec_lo, s6
	s_mov_b32 s6, -1
	s_cbranch_vccnz .LBB345_2008
; %bb.2003:
	v_cmp_gt_i16_e64 s6, s2, 27
	s_delay_alu instid0(VALU_DEP_1)
	s_and_b32 vcc_lo, exec_lo, s6
	s_mov_b32 s6, -1
	s_cbranch_vccz .LBB345_2005
; %bb.2004:
	v_lshlrev_b32_e32 v3, 16, v7
	s_mov_b32 s6, 0
	s_delay_alu instid0(VALU_DEP_1)
	v_cvt_u32_f32_e32 v3, v3
	global_store_b32 v[1:2], v3, off
.LBB345_2005:
	s_and_not1_b32 vcc_lo, exec_lo, s6
	s_cbranch_vccnz .LBB345_2007
; %bb.2006:
	v_lshlrev_b32_e32 v3, 16, v7
	s_delay_alu instid0(VALU_DEP_1)
	v_cvt_u32_f32_e32 v3, v3
	global_store_b16 v[1:2], v3, off
.LBB345_2007:
	s_mov_b32 s6, 0
.LBB345_2008:
	s_delay_alu instid0(SALU_CYCLE_1)
	s_and_not1_b32 vcc_lo, exec_lo, s6
	s_cbranch_vccnz .LBB345_2016
; %bb.2009:
	v_dual_mov_b32 v8, 0x80 :: v_dual_lshlrev_b32 v5, 16, v7
	s_mov_b32 s6, exec_lo
	s_delay_alu instid0(VALU_DEP_1) | instskip(NEXT) | instid1(VALU_DEP_1)
	v_and_b32_e32 v4, 0x7fffffff, v5
	v_cmpx_gt_u32_e32 0x43800000, v4
	s_cbranch_execz .LBB345_2015
; %bb.2010:
	v_and_b32_e32 v3, 0xffff, v7
	v_cmp_lt_u32_e32 vcc_lo, 0x3bffffff, v4
	s_mov_b32 s7, 0
                                        ; implicit-def: $vgpr4
	s_and_saveexec_b32 s10, vcc_lo
	s_delay_alu instid0(SALU_CYCLE_1)
	s_xor_b32 s10, exec_lo, s10
	s_cbranch_execz .LBB345_2112
; %bb.2011:
	v_bfe_u32 v4, v3, 4, 1
	s_mov_b32 s7, exec_lo
	s_delay_alu instid0(VALU_DEP_1) | instskip(NEXT) | instid1(VALU_DEP_1)
	v_add3_u32 v4, v5, v4, 0x487ffff
                                        ; implicit-def: $vgpr5
	v_lshrrev_b32_e32 v4, 20, v4
	s_or_saveexec_b32 s10, s10
                                        ; implicit-def: $sgpr11
	s_delay_alu instid0(SALU_CYCLE_1)
	s_xor_b32 exec_lo, exec_lo, s10
	s_cbranch_execnz .LBB345_2113
.LBB345_2012:
	s_or_b32 exec_lo, exec_lo, s10
	v_mov_b32_e32 v8, s11
	s_and_saveexec_b32 s10, s7
.LBB345_2013:
	v_lshrrev_b32_e32 v3, 8, v3
	s_delay_alu instid0(VALU_DEP_1)
	v_and_or_b32 v8, 0x80, v3, v4
.LBB345_2014:
	s_or_b32 exec_lo, exec_lo, s10
.LBB345_2015:
	s_delay_alu instid0(SALU_CYCLE_1)
	s_or_b32 exec_lo, exec_lo, s6
	global_store_b8 v[1:2], v8, off
.LBB345_2016:
	s_mov_b32 s6, -1
.LBB345_2017:
	s_mov_b32 s7, 0
.LBB345_2018:
	s_delay_alu instid0(SALU_CYCLE_1)
	s_and_b32 vcc_lo, exec_lo, s7
	s_cbranch_vccz .LBB345_2058
; %bb.2019:
	v_cmp_gt_i16_e64 s3, s2, 22
	s_delay_alu instid0(VALU_DEP_1)
	s_and_b32 vcc_lo, exec_lo, s3
	s_mov_b32 s3, -1
	s_cbranch_vccz .LBB345_2051
; %bb.2020:
	v_cmp_lt_i16_e64 s3, s2, 24
	s_delay_alu instid0(VALU_DEP_1)
	s_and_b32 vcc_lo, exec_lo, s3
	s_mov_b32 s3, -1
	s_cbranch_vccnz .LBB345_2040
; %bb.2021:
	v_cmp_gt_i16_e64 s3, s2, 24
	s_delay_alu instid0(VALU_DEP_1)
	s_and_b32 vcc_lo, exec_lo, s3
	s_mov_b32 s3, -1
	s_cbranch_vccz .LBB345_2029
; %bb.2022:
	v_dual_mov_b32 v8, 0x80 :: v_dual_lshlrev_b32 v5, 16, v7
	s_mov_b32 s3, exec_lo
	s_delay_alu instid0(VALU_DEP_1) | instskip(NEXT) | instid1(VALU_DEP_1)
	v_and_b32_e32 v4, 0x7fffffff, v5
	v_cmpx_gt_u32_e32 0x47800000, v4
	s_cbranch_execz .LBB345_2028
; %bb.2023:
	v_and_b32_e32 v3, 0xffff, v7
	v_cmp_lt_u32_e32 vcc_lo, 0x37ffffff, v4
	s_mov_b32 s6, 0
                                        ; implicit-def: $vgpr4
	s_and_saveexec_b32 s7, vcc_lo
	s_delay_alu instid0(SALU_CYCLE_1)
	s_xor_b32 s7, exec_lo, s7
	s_cbranch_execz .LBB345_2119
; %bb.2024:
	v_bfe_u32 v4, v3, 5, 1
	s_mov_b32 s6, exec_lo
	s_delay_alu instid0(VALU_DEP_1) | instskip(NEXT) | instid1(VALU_DEP_1)
	v_add3_u32 v4, v5, v4, 0x88fffff
                                        ; implicit-def: $vgpr5
	v_lshrrev_b32_e32 v4, 21, v4
	s_or_saveexec_b32 s7, s7
                                        ; implicit-def: $sgpr10
	s_delay_alu instid0(SALU_CYCLE_1)
	s_xor_b32 exec_lo, exec_lo, s7
	s_cbranch_execnz .LBB345_2120
.LBB345_2025:
	s_or_b32 exec_lo, exec_lo, s7
	v_mov_b32_e32 v8, s10
	s_and_saveexec_b32 s7, s6
.LBB345_2026:
	v_lshrrev_b32_e32 v3, 8, v3
	s_delay_alu instid0(VALU_DEP_1)
	v_and_or_b32 v8, 0x80, v3, v4
.LBB345_2027:
	s_or_b32 exec_lo, exec_lo, s7
.LBB345_2028:
	s_delay_alu instid0(SALU_CYCLE_1)
	s_or_b32 exec_lo, exec_lo, s3
	s_mov_b32 s3, 0
	global_store_b8 v[1:2], v8, off
.LBB345_2029:
	s_and_b32 vcc_lo, exec_lo, s3
	s_cbranch_vccz .LBB345_2039
; %bb.2030:
	v_lshlrev_b32_e32 v5, 16, v7
	v_and_b32_e32 v3, 0xffff, v7
	s_mov_b32 s3, exec_lo
                                        ; implicit-def: $vgpr4
	s_delay_alu instid0(VALU_DEP_2) | instskip(NEXT) | instid1(VALU_DEP_1)
	v_and_b32_e32 v8, 0x7fffffff, v5
	v_cmpx_gt_u32_e32 0x43f00000, v8
	s_xor_b32 s3, exec_lo, s3
	s_cbranch_execz .LBB345_2036
; %bb.2031:
	s_mov_b32 s6, exec_lo
                                        ; implicit-def: $vgpr4
	v_cmpx_lt_u32_e32 0x3c7fffff, v8
	s_xor_b32 s6, exec_lo, s6
; %bb.2032:
	v_bfe_u32 v4, v3, 4, 1
	s_delay_alu instid0(VALU_DEP_1) | instskip(NEXT) | instid1(VALU_DEP_1)
	v_add3_u32 v4, v5, v4, 0x407ffff
	v_and_b32_e32 v5, 0xff00000, v4
	v_lshrrev_b32_e32 v4, 20, v4
	s_delay_alu instid0(VALU_DEP_2) | instskip(NEXT) | instid1(VALU_DEP_2)
	v_cmp_ne_u32_e32 vcc_lo, 0x7f00000, v5
                                        ; implicit-def: $vgpr5
	v_cndmask_b32_e32 v4, 0x7e, v4, vcc_lo
; %bb.2033:
	s_and_not1_saveexec_b32 s6, s6
; %bb.2034:
	v_add_f32_e64 v4, 0x46800000, |v5|
; %bb.2035:
	s_or_b32 exec_lo, exec_lo, s6
                                        ; implicit-def: $vgpr8
.LBB345_2036:
	s_and_not1_saveexec_b32 s3, s3
; %bb.2037:
	v_mov_b32_e32 v4, 0x7f
	v_cmp_lt_u32_e32 vcc_lo, 0x7f800000, v8
	s_delay_alu instid0(VALU_DEP_2)
	v_cndmask_b32_e32 v4, 0x7e, v4, vcc_lo
; %bb.2038:
	s_or_b32 exec_lo, exec_lo, s3
	v_lshrrev_b32_e32 v3, 8, v3
	s_delay_alu instid0(VALU_DEP_1)
	v_and_or_b32 v3, 0x80, v3, v4
	global_store_b8 v[1:2], v3, off
.LBB345_2039:
	s_mov_b32 s3, 0
.LBB345_2040:
	s_delay_alu instid0(SALU_CYCLE_1)
	s_and_not1_b32 vcc_lo, exec_lo, s3
	s_cbranch_vccnz .LBB345_2050
; %bb.2041:
	v_lshlrev_b32_e32 v5, 16, v7
	v_and_b32_e32 v3, 0xffff, v7
	s_mov_b32 s3, exec_lo
                                        ; implicit-def: $vgpr4
	s_delay_alu instid0(VALU_DEP_2) | instskip(NEXT) | instid1(VALU_DEP_1)
	v_and_b32_e32 v8, 0x7fffffff, v5
	v_cmpx_gt_u32_e32 0x47800000, v8
	s_xor_b32 s3, exec_lo, s3
	s_cbranch_execz .LBB345_2047
; %bb.2042:
	s_mov_b32 s6, exec_lo
                                        ; implicit-def: $vgpr4
	v_cmpx_lt_u32_e32 0x387fffff, v8
	s_xor_b32 s6, exec_lo, s6
; %bb.2043:
	v_bfe_u32 v4, v3, 5, 1
	s_delay_alu instid0(VALU_DEP_1) | instskip(NEXT) | instid1(VALU_DEP_1)
	v_add3_u32 v4, v5, v4, 0x80fffff
                                        ; implicit-def: $vgpr5
	v_lshrrev_b32_e32 v4, 21, v4
; %bb.2044:
	s_and_not1_saveexec_b32 s6, s6
; %bb.2045:
	v_add_f32_e64 v4, 0x43000000, |v5|
; %bb.2046:
	s_or_b32 exec_lo, exec_lo, s6
                                        ; implicit-def: $vgpr8
.LBB345_2047:
	s_and_not1_saveexec_b32 s3, s3
; %bb.2048:
	v_mov_b32_e32 v4, 0x7f
	v_cmp_lt_u32_e32 vcc_lo, 0x7f800000, v8
	s_delay_alu instid0(VALU_DEP_2)
	v_cndmask_b32_e32 v4, 0x7c, v4, vcc_lo
; %bb.2049:
	s_or_b32 exec_lo, exec_lo, s3
	v_lshrrev_b32_e32 v3, 8, v3
	s_delay_alu instid0(VALU_DEP_1)
	v_and_or_b32 v3, 0x80, v3, v4
	global_store_b8 v[1:2], v3, off
.LBB345_2050:
	s_mov_b32 s3, 0
	s_mov_b32 s6, -1
.LBB345_2051:
	s_and_not1_b32 vcc_lo, exec_lo, s3
	s_mov_b32 s3, 0
	s_cbranch_vccnz .LBB345_2058
; %bb.2052:
	v_cmp_gt_i16_e64 s3, s2, 14
	s_delay_alu instid0(VALU_DEP_1)
	s_and_b32 vcc_lo, exec_lo, s3
	s_mov_b32 s3, -1
	s_cbranch_vccz .LBB345_2056
; %bb.2053:
	v_cmp_eq_u16_e64 s0, s2, 15
	s_delay_alu instid0(VALU_DEP_1)
	s_and_b32 vcc_lo, exec_lo, s0
	s_mov_b32 s0, -1
	s_cbranch_vccz .LBB345_2055
; %bb.2054:
	s_mov_b32 s0, 0
	s_mov_b32 s6, -1
	global_store_b16 v[1:2], v7, off
.LBB345_2055:
	s_mov_b32 s3, 0
.LBB345_2056:
	s_delay_alu instid0(SALU_CYCLE_1)
	s_and_b32 vcc_lo, exec_lo, s3
	s_mov_b32 s3, 0
	s_cbranch_vccz .LBB345_2058
; %bb.2057:
	v_cmp_ne_u16_e64 s0, s2, 11
	s_mov_b32 s3, -1
.LBB345_2058:
	s_delay_alu instid0(VALU_DEP_1)
	s_and_b32 vcc_lo, exec_lo, s0
	s_cbranch_vccnz .LBB345_2117
; %bb.2059:
	s_and_not1_b32 vcc_lo, exec_lo, s3
	s_cbranch_vccnz .LBB345_2061
.LBB345_2060:
	v_and_b32_e32 v3, 0x7fff, v7
	s_mov_b32 s6, -1
	s_delay_alu instid0(VALU_DEP_1)
	v_cmp_ne_u16_e32 vcc_lo, 0, v3
	v_cndmask_b32_e64 v3, 0, 1, vcc_lo
	global_store_b8 v[1:2], v3, off
.LBB345_2061:
	s_mov_b32 s0, 0
.LBB345_2062:
	s_delay_alu instid0(SALU_CYCLE_1)
	s_and_b32 vcc_lo, exec_lo, s0
	s_cbranch_vccz .LBB345_2101
; %bb.2063:
	v_cmp_lt_i16_e64 s0, s2, 5
	s_delay_alu instid0(VALU_DEP_1)
	s_and_b32 vcc_lo, exec_lo, s0
	s_mov_b32 s0, -1
	s_cbranch_vccnz .LBB345_2084
; %bb.2064:
	v_cmp_lt_i16_e64 s0, s2, 8
	s_delay_alu instid0(VALU_DEP_1)
	s_and_b32 vcc_lo, exec_lo, s0
	s_mov_b32 s0, -1
	s_cbranch_vccnz .LBB345_2074
	;; [unrolled: 6-line block ×3, first 2 shown]
; %bb.2066:
	v_cmp_gt_i16_e64 s0, s2, 9
	s_delay_alu instid0(VALU_DEP_1)
	s_and_b32 vcc_lo, exec_lo, s0
	s_mov_b32 s0, -1
	s_cbranch_vccz .LBB345_2068
; %bb.2067:
	v_dual_mov_b32 v10, 0 :: v_dual_lshlrev_b32 v3, 16, v7
	s_mov_b32 s0, 0
	s_delay_alu instid0(VALU_DEP_1) | instskip(NEXT) | instid1(VALU_DEP_2)
	v_cvt_f64_f32_e32 v[8:9], v3
	v_mov_b32_e32 v11, v10
	global_store_b128 v[1:2], v[8:11], off
.LBB345_2068:
	s_and_not1_b32 vcc_lo, exec_lo, s0
	s_cbranch_vccnz .LBB345_2070
; %bb.2069:
	v_dual_mov_b32 v4, 0 :: v_dual_lshlrev_b32 v3, 16, v7
	global_store_b64 v[1:2], v[3:4], off
.LBB345_2070:
	s_mov_b32 s0, 0
.LBB345_2071:
	s_delay_alu instid0(SALU_CYCLE_1)
	s_and_not1_b32 vcc_lo, exec_lo, s0
	s_cbranch_vccnz .LBB345_2073
; %bb.2072:
	v_lshlrev_b32_e32 v3, 16, v7
	s_delay_alu instid0(VALU_DEP_1) | instskip(NEXT) | instid1(VALU_DEP_1)
	v_cvt_f16_f32_e32 v3, v3
	v_and_b32_e32 v3, 0xffff, v3
	global_store_b32 v[1:2], v3, off
.LBB345_2073:
	s_mov_b32 s0, 0
.LBB345_2074:
	s_delay_alu instid0(SALU_CYCLE_1)
	s_and_not1_b32 vcc_lo, exec_lo, s0
	s_cbranch_vccnz .LBB345_2083
; %bb.2075:
	v_cmp_lt_i16_e64 s0, s2, 6
	s_delay_alu instid0(VALU_DEP_1)
	s_and_b32 vcc_lo, exec_lo, s0
	s_mov_b32 s0, -1
	s_cbranch_vccnz .LBB345_2081
; %bb.2076:
	v_cmp_gt_i16_e64 s0, s2, 6
	s_delay_alu instid0(VALU_DEP_1)
	s_and_b32 vcc_lo, exec_lo, s0
	s_mov_b32 s0, -1
	s_cbranch_vccz .LBB345_2078
; %bb.2077:
	v_lshlrev_b32_e32 v3, 16, v7
	s_mov_b32 s0, 0
	s_delay_alu instid0(VALU_DEP_1)
	v_cvt_f64_f32_e32 v[3:4], v3
	global_store_b64 v[1:2], v[3:4], off
.LBB345_2078:
	s_and_not1_b32 vcc_lo, exec_lo, s0
	s_cbranch_vccnz .LBB345_2080
; %bb.2079:
	v_lshlrev_b32_e32 v3, 16, v7
	global_store_b32 v[1:2], v3, off
.LBB345_2080:
	s_mov_b32 s0, 0
.LBB345_2081:
	s_delay_alu instid0(SALU_CYCLE_1)
	s_and_not1_b32 vcc_lo, exec_lo, s0
	s_cbranch_vccnz .LBB345_2083
; %bb.2082:
	v_lshlrev_b32_e32 v3, 16, v7
	s_delay_alu instid0(VALU_DEP_1)
	v_cvt_f16_f32_e32 v3, v3
	global_store_b16 v[1:2], v3, off
.LBB345_2083:
	s_mov_b32 s0, 0
.LBB345_2084:
	s_delay_alu instid0(SALU_CYCLE_1)
	s_and_not1_b32 vcc_lo, exec_lo, s0
	s_cbranch_vccnz .LBB345_2100
; %bb.2085:
	v_cmp_lt_i16_e64 s0, s2, 2
	s_delay_alu instid0(VALU_DEP_1)
	s_and_b32 vcc_lo, exec_lo, s0
	s_mov_b32 s0, -1
	s_cbranch_vccnz .LBB345_2095
; %bb.2086:
	v_cmp_lt_i16_e64 s0, s2, 3
	s_delay_alu instid0(VALU_DEP_1)
	s_and_b32 vcc_lo, exec_lo, s0
	s_mov_b32 s0, -1
	s_cbranch_vccnz .LBB345_2092
; %bb.2087:
	v_cmp_gt_i16_e64 s0, s2, 3
	s_delay_alu instid0(VALU_DEP_1)
	s_and_b32 vcc_lo, exec_lo, s0
	s_mov_b32 s0, -1
	s_cbranch_vccz .LBB345_2089
; %bb.2088:
	v_lshlrev_b32_e32 v3, 16, v7
	s_mov_b32 s0, 0
	s_delay_alu instid0(VALU_DEP_1) | instskip(NEXT) | instid1(VALU_DEP_1)
	v_trunc_f32_e32 v3, v3
	v_mul_f32_e64 v4, 0x2f800000, |v3|
	v_ashrrev_i32_e32 v8, 31, v3
	s_delay_alu instid0(VALU_DEP_2) | instskip(NEXT) | instid1(VALU_DEP_1)
	v_floor_f32_e32 v4, v4
	v_fma_f32 v5, 0xcf800000, v4, |v3|
	v_cvt_u32_f32_e32 v4, v4
	s_delay_alu instid0(VALU_DEP_2) | instskip(NEXT) | instid1(VALU_DEP_2)
	v_cvt_u32_f32_e32 v3, v5
	v_xor_b32_e32 v4, v4, v8
	s_delay_alu instid0(VALU_DEP_2) | instskip(NEXT) | instid1(VALU_DEP_1)
	v_xor_b32_e32 v3, v3, v8
	v_sub_co_u32 v3, vcc_lo, v3, v8
	s_delay_alu instid0(VALU_DEP_3)
	v_sub_co_ci_u32_e32 v4, vcc_lo, v4, v8, vcc_lo
	global_store_b64 v[1:2], v[3:4], off
.LBB345_2089:
	s_and_not1_b32 vcc_lo, exec_lo, s0
	s_cbranch_vccnz .LBB345_2091
; %bb.2090:
	v_lshlrev_b32_e32 v3, 16, v7
	s_delay_alu instid0(VALU_DEP_1)
	v_cvt_i32_f32_e32 v3, v3
	global_store_b32 v[1:2], v3, off
.LBB345_2091:
	s_mov_b32 s0, 0
.LBB345_2092:
	s_delay_alu instid0(SALU_CYCLE_1)
	s_and_not1_b32 vcc_lo, exec_lo, s0
	s_cbranch_vccnz .LBB345_2094
; %bb.2093:
	v_lshlrev_b32_e32 v3, 16, v7
	s_delay_alu instid0(VALU_DEP_1)
	v_cvt_i32_f32_e32 v3, v3
	global_store_b16 v[1:2], v3, off
.LBB345_2094:
	s_mov_b32 s0, 0
.LBB345_2095:
	s_delay_alu instid0(SALU_CYCLE_1)
	s_and_not1_b32 vcc_lo, exec_lo, s0
	s_cbranch_vccnz .LBB345_2100
; %bb.2096:
	v_cmp_gt_i16_e64 s0, s2, 0
	v_lshlrev_b32_e32 v3, 16, v7
	s_delay_alu instid0(VALU_DEP_2)
	s_and_b32 vcc_lo, exec_lo, s0
	s_mov_b32 s0, -1
	s_cbranch_vccz .LBB345_2098
; %bb.2097:
	s_delay_alu instid0(VALU_DEP_1)
	v_cvt_i32_f32_e32 v4, v3
	s_mov_b32 s0, 0
	global_store_b8 v[1:2], v4, off
.LBB345_2098:
	s_and_not1_b32 vcc_lo, exec_lo, s0
	s_cbranch_vccnz .LBB345_2100
; %bb.2099:
	v_trunc_f32_e32 v3, v3
	s_delay_alu instid0(VALU_DEP_1) | instskip(NEXT) | instid1(VALU_DEP_1)
	v_mul_f32_e64 v4, 0x2f800000, |v3|
	v_floor_f32_e32 v4, v4
	s_delay_alu instid0(VALU_DEP_1) | instskip(SKIP_1) | instid1(VALU_DEP_2)
	v_fma_f32 v4, 0xcf800000, v4, |v3|
	v_ashrrev_i32_e32 v3, 31, v3
	v_cvt_u32_f32_e32 v4, v4
	s_delay_alu instid0(VALU_DEP_1) | instskip(NEXT) | instid1(VALU_DEP_1)
	v_xor_b32_e32 v4, v4, v3
	v_sub_nc_u32_e32 v3, v4, v3
	global_store_b8 v[1:2], v3, off
.LBB345_2100:
	s_mov_b32 s6, -1
.LBB345_2101:
	s_delay_alu instid0(SALU_CYCLE_1)
	s_and_not1_b32 vcc_lo, exec_lo, s6
	s_cbranch_vccnz .LBB345_2110
; %bb.2102:
	v_cmp_lt_i16_e64 s0, s2, 11
	v_add_co_u32 v0, s4, s4, v0
	s_delay_alu instid0(VALU_DEP_1) | instskip(SKIP_1) | instid1(VALU_DEP_3)
	v_add_co_ci_u32_e64 v1, null, s5, 0, s4
	s_mov_b32 s3, 0
	s_and_b32 vcc_lo, exec_lo, s0
	s_mov_b32 s0, -1
	s_cbranch_vccnz .LBB345_1684
; %bb.2103:
	v_cmp_gt_i16_e64 s0, s2, 25
	s_mov_b32 s4, -1
	s_delay_alu instid0(VALU_DEP_1)
	s_and_b32 vcc_lo, exec_lo, s0
	s_mov_b32 s0, 0
	s_cbranch_vccz .LBB345_2148
; %bb.2104:
	v_cmp_gt_i16_e64 s0, s2, 28
	s_delay_alu instid0(VALU_DEP_1)
	s_and_b32 vcc_lo, exec_lo, s0
	s_cbranch_vccz .LBB345_2111
; %bb.2105:
	v_cmp_gt_i16_e64 s0, s2, 43
	s_delay_alu instid0(VALU_DEP_1)
	s_and_b32 vcc_lo, exec_lo, s0
	;; [unrolled: 5-line block ×3, first 2 shown]
	s_cbranch_vccz .LBB345_2121
; %bb.2107:
	v_cmp_eq_u16_e64 s0, s2, 46
	s_delay_alu instid0(VALU_DEP_1)
	s_and_b32 vcc_lo, exec_lo, s0
	s_mov_b32 s0, -1
	s_cbranch_vccz .LBB345_2109
; %bb.2108:
	v_and_b32_e32 v2, 0xffff, v6
	s_mov_b32 s0, 0
	global_store_b32 v[0:1], v2, off
.LBB345_2109:
	s_mov_b32 s4, 0
	s_branch .LBB345_2122
.LBB345_2110:
	s_mov_b32 s0, 0
	s_mov_b32 s3, 0
                                        ; implicit-def: $vgpr0_vgpr1
                                        ; implicit-def: $sgpr2
	s_branch .LBB345_1684
.LBB345_2111:
	s_mov_b32 s0, 0
	s_branch .LBB345_2132
.LBB345_2112:
	s_or_saveexec_b32 s10, s10
                                        ; implicit-def: $sgpr11
	s_delay_alu instid0(SALU_CYCLE_1)
	s_xor_b32 exec_lo, exec_lo, s10
	s_cbranch_execz .LBB345_2012
.LBB345_2113:
	v_add_f32_e64 v4, 0x46000000, |v5|
	s_and_not1_b32 s7, s7, exec_lo
	s_mov_b32 s11, 0
	s_delay_alu instid0(VALU_DEP_1) | instskip(NEXT) | instid1(VALU_DEP_1)
	v_and_b32_e32 v4, 0xff, v4
	v_cmp_ne_u32_e32 vcc_lo, 0, v4
	s_and_b32 s12, vcc_lo, exec_lo
	s_delay_alu instid0(SALU_CYCLE_1)
	s_or_b32 s7, s7, s12
	s_or_b32 exec_lo, exec_lo, s10
	v_mov_b32_e32 v8, s11
	s_and_saveexec_b32 s10, s7
	s_cbranch_execnz .LBB345_2013
	s_branch .LBB345_2014
.LBB345_2114:
	s_mov_b32 s0, 0
	s_branch .LBB345_2128
.LBB345_2115:
	s_trap 2
	s_sendmsg_rtn_b32 s0, sendmsg(MSG_RTN_GET_DOORBELL)
	s_mov_b32 ttmp2, m0
	s_waitcnt lgkmcnt(0)
	s_and_b32 s0, s0, 0x3ff
	s_delay_alu instid0(SALU_CYCLE_1) | instskip(NEXT) | instid1(SALU_CYCLE_1)
	s_bitset1_b32 s0, 10
	s_mov_b32 m0, s0
	s_sendmsg sendmsg(MSG_INTERRUPT)
	s_mov_b32 m0, ttmp2
.LBB345_2116:                           ; =>This Inner Loop Header: Depth=1
	s_sethalt 5
	s_branch .LBB345_2116
.LBB345_2117:
	s_cbranch_execnz .LBB345_2192
; %bb.2118:
	s_or_b32 s1, s1, exec_lo
	s_cbranch_execz .LBB345_2060
	s_branch .LBB345_2061
.LBB345_2119:
	s_or_saveexec_b32 s7, s7
                                        ; implicit-def: $sgpr10
	s_delay_alu instid0(SALU_CYCLE_1)
	s_xor_b32 exec_lo, exec_lo, s7
	s_cbranch_execz .LBB345_2025
.LBB345_2120:
	v_add_f32_e64 v4, 0x42800000, |v5|
	s_and_not1_b32 s6, s6, exec_lo
	s_mov_b32 s10, 0
	s_delay_alu instid0(VALU_DEP_1) | instskip(NEXT) | instid1(VALU_DEP_1)
	v_and_b32_e32 v4, 0xff, v4
	v_cmp_ne_u32_e32 vcc_lo, 0, v4
	s_and_b32 s11, vcc_lo, exec_lo
	s_delay_alu instid0(SALU_CYCLE_1)
	s_or_b32 s6, s6, s11
	s_or_b32 exec_lo, exec_lo, s7
	v_mov_b32_e32 v8, s10
	s_and_saveexec_b32 s7, s6
	s_cbranch_execnz .LBB345_2026
	s_branch .LBB345_2027
.LBB345_2121:
	s_mov_b32 s0, 0
.LBB345_2122:
	s_and_b32 vcc_lo, exec_lo, s4
	s_cbranch_vccz .LBB345_2127
; %bb.2123:
	v_cmp_eq_u16_e64 s0, s2, 44
	s_delay_alu instid0(VALU_DEP_1)
	s_and_b32 vcc_lo, exec_lo, s0
	s_mov_b32 s0, -1
	s_cbranch_vccz .LBB345_2127
; %bb.2124:
	v_and_b32_e32 v2, 0xffff, v6
	v_mov_b32_e32 v3, 0xff
	s_mov_b32 s4, exec_lo
	s_delay_alu instid0(VALU_DEP_2) | instskip(NEXT) | instid1(VALU_DEP_1)
	v_bfe_u32 v4, v2, 7, 8
	v_cmpx_ne_u32_e32 0xff, v4
; %bb.2125:
	v_lshlrev_b32_e32 v3, 16, v2
	v_and_b32_e32 v5, 64, v2
	v_lshrrev_b32_e32 v2, 7, v2
	s_delay_alu instid0(VALU_DEP_3) | instskip(NEXT) | instid1(VALU_DEP_3)
	v_and_or_b32 v3, 0x3f0000, v3, v4
	v_cmp_ne_u32_e32 vcc_lo, 0, v5
	s_delay_alu instid0(VALU_DEP_2) | instskip(NEXT) | instid1(VALU_DEP_1)
	v_cmp_ne_u32_e64 s0, 0, v3
	s_and_b32 s0, vcc_lo, s0
	s_delay_alu instid0(SALU_CYCLE_1) | instskip(NEXT) | instid1(VALU_DEP_1)
	v_cndmask_b32_e64 v3, 0, 1, s0
	v_add_nc_u32_e32 v3, v2, v3
; %bb.2126:
	s_or_b32 exec_lo, exec_lo, s4
	s_mov_b32 s0, 0
	global_store_b8 v[0:1], v3, off
.LBB345_2127:
	s_mov_b32 s4, 0
.LBB345_2128:
	s_delay_alu instid0(SALU_CYCLE_1)
	s_and_b32 vcc_lo, exec_lo, s4
	s_cbranch_vccz .LBB345_2131
; %bb.2129:
	v_cmp_eq_u16_e64 s0, s2, 29
	s_delay_alu instid0(VALU_DEP_1)
	s_and_b32 vcc_lo, exec_lo, s0
	s_mov_b32 s0, -1
	s_cbranch_vccz .LBB345_2131
; %bb.2130:
	v_lshlrev_b32_e32 v2, 16, v6
	s_mov_b32 s0, 0
	s_delay_alu instid0(VALU_DEP_1) | instskip(NEXT) | instid1(VALU_DEP_1)
	v_trunc_f32_e32 v2, v2
	v_mul_f32_e32 v3, 0x2f800000, v2
	s_delay_alu instid0(VALU_DEP_1) | instskip(NEXT) | instid1(VALU_DEP_1)
	v_floor_f32_e32 v3, v3
	v_fmamk_f32 v2, v3, 0xcf800000, v2
	v_cvt_u32_f32_e32 v3, v3
	s_delay_alu instid0(VALU_DEP_2)
	v_cvt_u32_f32_e32 v2, v2
	global_store_b64 v[0:1], v[2:3], off
.LBB345_2131:
	s_mov_b32 s4, 0
.LBB345_2132:
	s_delay_alu instid0(SALU_CYCLE_1)
	s_and_b32 vcc_lo, exec_lo, s4
	s_cbranch_vccz .LBB345_2147
; %bb.2133:
	v_cmp_lt_i16_e64 s4, s2, 27
	s_delay_alu instid0(VALU_DEP_1)
	s_and_b32 vcc_lo, exec_lo, s4
	s_mov_b32 s4, -1
	s_cbranch_vccnz .LBB345_2139
; %bb.2134:
	v_cmp_gt_i16_e64 s4, s2, 27
	s_delay_alu instid0(VALU_DEP_1)
	s_and_b32 vcc_lo, exec_lo, s4
	s_mov_b32 s4, -1
	s_cbranch_vccz .LBB345_2136
; %bb.2135:
	v_lshlrev_b32_e32 v2, 16, v6
	s_mov_b32 s4, 0
	s_delay_alu instid0(VALU_DEP_1)
	v_cvt_u32_f32_e32 v2, v2
	global_store_b32 v[0:1], v2, off
.LBB345_2136:
	s_and_not1_b32 vcc_lo, exec_lo, s4
	s_cbranch_vccnz .LBB345_2138
; %bb.2137:
	v_lshlrev_b32_e32 v2, 16, v6
	s_delay_alu instid0(VALU_DEP_1)
	v_cvt_u32_f32_e32 v2, v2
	global_store_b16 v[0:1], v2, off
.LBB345_2138:
	s_mov_b32 s4, 0
.LBB345_2139:
	s_delay_alu instid0(SALU_CYCLE_1)
	s_and_not1_b32 vcc_lo, exec_lo, s4
	s_cbranch_vccnz .LBB345_2147
; %bb.2140:
	v_dual_mov_b32 v5, 0x80 :: v_dual_lshlrev_b32 v4, 16, v6
	s_mov_b32 s4, exec_lo
	s_delay_alu instid0(VALU_DEP_1) | instskip(NEXT) | instid1(VALU_DEP_1)
	v_and_b32_e32 v3, 0x7fffffff, v4
	v_cmpx_gt_u32_e32 0x43800000, v3
	s_cbranch_execz .LBB345_2146
; %bb.2141:
	v_and_b32_e32 v2, 0xffff, v6
	v_cmp_lt_u32_e32 vcc_lo, 0x3bffffff, v3
	s_mov_b32 s5, 0
                                        ; implicit-def: $vgpr3
	s_and_saveexec_b32 s6, vcc_lo
	s_delay_alu instid0(SALU_CYCLE_1)
	s_xor_b32 s6, exec_lo, s6
	s_cbranch_execz .LBB345_2190
; %bb.2142:
	v_bfe_u32 v3, v2, 4, 1
	s_mov_b32 s5, exec_lo
	s_delay_alu instid0(VALU_DEP_1) | instskip(NEXT) | instid1(VALU_DEP_1)
	v_add3_u32 v3, v4, v3, 0x487ffff
                                        ; implicit-def: $vgpr4
	v_lshrrev_b32_e32 v3, 20, v3
	s_or_saveexec_b32 s6, s6
                                        ; implicit-def: $sgpr7
	s_delay_alu instid0(SALU_CYCLE_1)
	s_xor_b32 exec_lo, exec_lo, s6
	s_cbranch_execnz .LBB345_2191
.LBB345_2143:
	s_or_b32 exec_lo, exec_lo, s6
	v_mov_b32_e32 v5, s7
	s_and_saveexec_b32 s6, s5
.LBB345_2144:
	v_lshrrev_b32_e32 v2, 8, v2
	s_delay_alu instid0(VALU_DEP_1)
	v_and_or_b32 v5, 0x80, v2, v3
.LBB345_2145:
	s_or_b32 exec_lo, exec_lo, s6
.LBB345_2146:
	s_delay_alu instid0(SALU_CYCLE_1)
	s_or_b32 exec_lo, exec_lo, s4
	global_store_b8 v[0:1], v5, off
.LBB345_2147:
	s_mov_b32 s4, 0
.LBB345_2148:
	s_delay_alu instid0(SALU_CYCLE_1)
	s_and_b32 vcc_lo, exec_lo, s4
	s_cbranch_vccz .LBB345_2188
; %bb.2149:
	v_cmp_gt_i16_e64 s3, s2, 22
	s_delay_alu instid0(VALU_DEP_1)
	s_and_b32 vcc_lo, exec_lo, s3
	s_mov_b32 s3, -1
	s_cbranch_vccz .LBB345_2181
; %bb.2150:
	v_cmp_lt_i16_e64 s3, s2, 24
	s_delay_alu instid0(VALU_DEP_1)
	s_and_b32 vcc_lo, exec_lo, s3
	s_mov_b32 s3, -1
	s_cbranch_vccnz .LBB345_2170
; %bb.2151:
	v_cmp_gt_i16_e64 s3, s2, 24
	s_delay_alu instid0(VALU_DEP_1)
	s_and_b32 vcc_lo, exec_lo, s3
	s_mov_b32 s3, -1
	s_cbranch_vccz .LBB345_2159
; %bb.2152:
	v_dual_mov_b32 v5, 0x80 :: v_dual_lshlrev_b32 v4, 16, v6
	s_mov_b32 s3, exec_lo
	s_delay_alu instid0(VALU_DEP_1) | instskip(NEXT) | instid1(VALU_DEP_1)
	v_and_b32_e32 v3, 0x7fffffff, v4
	v_cmpx_gt_u32_e32 0x47800000, v3
	s_cbranch_execz .LBB345_2158
; %bb.2153:
	v_and_b32_e32 v2, 0xffff, v6
	v_cmp_lt_u32_e32 vcc_lo, 0x37ffffff, v3
	s_mov_b32 s4, 0
                                        ; implicit-def: $vgpr3
	s_and_saveexec_b32 s5, vcc_lo
	s_delay_alu instid0(SALU_CYCLE_1)
	s_xor_b32 s5, exec_lo, s5
	s_cbranch_execz .LBB345_2196
; %bb.2154:
	v_bfe_u32 v3, v2, 5, 1
	s_mov_b32 s4, exec_lo
	s_delay_alu instid0(VALU_DEP_1) | instskip(NEXT) | instid1(VALU_DEP_1)
	v_add3_u32 v3, v4, v3, 0x88fffff
                                        ; implicit-def: $vgpr4
	v_lshrrev_b32_e32 v3, 21, v3
	s_or_saveexec_b32 s5, s5
                                        ; implicit-def: $sgpr6
	s_delay_alu instid0(SALU_CYCLE_1)
	s_xor_b32 exec_lo, exec_lo, s5
	s_cbranch_execnz .LBB345_2197
.LBB345_2155:
	s_or_b32 exec_lo, exec_lo, s5
	v_mov_b32_e32 v5, s6
	s_and_saveexec_b32 s5, s4
.LBB345_2156:
	v_lshrrev_b32_e32 v2, 8, v2
	s_delay_alu instid0(VALU_DEP_1)
	v_and_or_b32 v5, 0x80, v2, v3
.LBB345_2157:
	s_or_b32 exec_lo, exec_lo, s5
.LBB345_2158:
	s_delay_alu instid0(SALU_CYCLE_1)
	s_or_b32 exec_lo, exec_lo, s3
	s_mov_b32 s3, 0
	global_store_b8 v[0:1], v5, off
.LBB345_2159:
	s_and_b32 vcc_lo, exec_lo, s3
	s_cbranch_vccz .LBB345_2169
; %bb.2160:
	v_lshlrev_b32_e32 v4, 16, v6
	v_and_b32_e32 v2, 0xffff, v6
	s_mov_b32 s3, exec_lo
                                        ; implicit-def: $vgpr3
	s_delay_alu instid0(VALU_DEP_2) | instskip(NEXT) | instid1(VALU_DEP_1)
	v_and_b32_e32 v5, 0x7fffffff, v4
	v_cmpx_gt_u32_e32 0x43f00000, v5
	s_xor_b32 s3, exec_lo, s3
	s_cbranch_execz .LBB345_2166
; %bb.2161:
	s_mov_b32 s4, exec_lo
                                        ; implicit-def: $vgpr3
	v_cmpx_lt_u32_e32 0x3c7fffff, v5
	s_xor_b32 s4, exec_lo, s4
; %bb.2162:
	v_bfe_u32 v3, v2, 4, 1
	s_delay_alu instid0(VALU_DEP_1) | instskip(NEXT) | instid1(VALU_DEP_1)
	v_add3_u32 v3, v4, v3, 0x407ffff
	v_and_b32_e32 v4, 0xff00000, v3
	v_lshrrev_b32_e32 v3, 20, v3
	s_delay_alu instid0(VALU_DEP_2) | instskip(NEXT) | instid1(VALU_DEP_2)
	v_cmp_ne_u32_e32 vcc_lo, 0x7f00000, v4
                                        ; implicit-def: $vgpr4
	v_cndmask_b32_e32 v3, 0x7e, v3, vcc_lo
; %bb.2163:
	s_and_not1_saveexec_b32 s4, s4
; %bb.2164:
	v_add_f32_e64 v3, 0x46800000, |v4|
; %bb.2165:
	s_or_b32 exec_lo, exec_lo, s4
                                        ; implicit-def: $vgpr5
.LBB345_2166:
	s_and_not1_saveexec_b32 s3, s3
; %bb.2167:
	v_mov_b32_e32 v3, 0x7f
	v_cmp_lt_u32_e32 vcc_lo, 0x7f800000, v5
	s_delay_alu instid0(VALU_DEP_2)
	v_cndmask_b32_e32 v3, 0x7e, v3, vcc_lo
; %bb.2168:
	s_or_b32 exec_lo, exec_lo, s3
	v_lshrrev_b32_e32 v2, 8, v2
	s_delay_alu instid0(VALU_DEP_1)
	v_and_or_b32 v2, 0x80, v2, v3
	global_store_b8 v[0:1], v2, off
.LBB345_2169:
	s_mov_b32 s3, 0
.LBB345_2170:
	s_delay_alu instid0(SALU_CYCLE_1)
	s_and_not1_b32 vcc_lo, exec_lo, s3
	s_cbranch_vccnz .LBB345_2180
; %bb.2171:
	v_lshlrev_b32_e32 v4, 16, v6
	v_and_b32_e32 v2, 0xffff, v6
	s_mov_b32 s3, exec_lo
                                        ; implicit-def: $vgpr3
	s_delay_alu instid0(VALU_DEP_2) | instskip(NEXT) | instid1(VALU_DEP_1)
	v_and_b32_e32 v5, 0x7fffffff, v4
	v_cmpx_gt_u32_e32 0x47800000, v5
	s_xor_b32 s3, exec_lo, s3
	s_cbranch_execz .LBB345_2177
; %bb.2172:
	s_mov_b32 s4, exec_lo
                                        ; implicit-def: $vgpr3
	v_cmpx_lt_u32_e32 0x387fffff, v5
	s_xor_b32 s4, exec_lo, s4
; %bb.2173:
	v_bfe_u32 v3, v2, 5, 1
	s_delay_alu instid0(VALU_DEP_1) | instskip(NEXT) | instid1(VALU_DEP_1)
	v_add3_u32 v3, v4, v3, 0x80fffff
                                        ; implicit-def: $vgpr4
	v_lshrrev_b32_e32 v3, 21, v3
; %bb.2174:
	s_and_not1_saveexec_b32 s4, s4
; %bb.2175:
	v_add_f32_e64 v3, 0x43000000, |v4|
; %bb.2176:
	s_or_b32 exec_lo, exec_lo, s4
                                        ; implicit-def: $vgpr5
.LBB345_2177:
	s_and_not1_saveexec_b32 s3, s3
; %bb.2178:
	v_mov_b32_e32 v3, 0x7f
	v_cmp_lt_u32_e32 vcc_lo, 0x7f800000, v5
	s_delay_alu instid0(VALU_DEP_2)
	v_cndmask_b32_e32 v3, 0x7c, v3, vcc_lo
; %bb.2179:
	s_or_b32 exec_lo, exec_lo, s3
	v_lshrrev_b32_e32 v2, 8, v2
	s_delay_alu instid0(VALU_DEP_1)
	v_and_or_b32 v2, 0x80, v2, v3
	global_store_b8 v[0:1], v2, off
.LBB345_2180:
	s_mov_b32 s3, 0
.LBB345_2181:
	s_delay_alu instid0(SALU_CYCLE_1)
	s_and_not1_b32 vcc_lo, exec_lo, s3
	s_mov_b32 s3, 0
	s_cbranch_vccnz .LBB345_2188
; %bb.2182:
	v_cmp_gt_i16_e64 s3, s2, 14
	s_delay_alu instid0(VALU_DEP_1)
	s_and_b32 vcc_lo, exec_lo, s3
	s_mov_b32 s3, -1
	s_cbranch_vccz .LBB345_2186
; %bb.2183:
	v_cmp_eq_u16_e64 s0, s2, 15
	s_delay_alu instid0(VALU_DEP_1)
	s_and_b32 vcc_lo, exec_lo, s0
	s_mov_b32 s0, -1
	s_cbranch_vccz .LBB345_2185
; %bb.2184:
	s_mov_b32 s0, 0
	global_store_b16 v[0:1], v6, off
.LBB345_2185:
	s_mov_b32 s3, 0
.LBB345_2186:
	s_delay_alu instid0(SALU_CYCLE_1)
	s_and_b32 vcc_lo, exec_lo, s3
	s_mov_b32 s3, 0
	s_cbranch_vccz .LBB345_2188
; %bb.2187:
	v_cmp_ne_u16_e64 s0, s2, 11
	s_mov_b32 s3, -1
.LBB345_2188:
	s_delay_alu instid0(VALU_DEP_1)
	s_and_b32 vcc_lo, exec_lo, s0
	s_cbranch_vccnz .LBB345_2194
.LBB345_2189:
	s_mov_b32 s0, 0
	s_branch .LBB345_1684
.LBB345_2190:
	s_or_saveexec_b32 s6, s6
                                        ; implicit-def: $sgpr7
	s_delay_alu instid0(SALU_CYCLE_1)
	s_xor_b32 exec_lo, exec_lo, s6
	s_cbranch_execz .LBB345_2143
.LBB345_2191:
	v_add_f32_e64 v3, 0x46000000, |v4|
	s_and_not1_b32 s5, s5, exec_lo
	s_mov_b32 s7, 0
	s_delay_alu instid0(VALU_DEP_1) | instskip(NEXT) | instid1(VALU_DEP_1)
	v_and_b32_e32 v3, 0xff, v3
	v_cmp_ne_u32_e32 vcc_lo, 0, v3
	s_and_b32 s10, vcc_lo, exec_lo
	s_delay_alu instid0(SALU_CYCLE_1)
	s_or_b32 s5, s5, s10
	s_or_b32 exec_lo, exec_lo, s6
	v_mov_b32_e32 v5, s7
	s_and_saveexec_b32 s6, s5
	s_cbranch_execnz .LBB345_2144
	s_branch .LBB345_2145
.LBB345_2192:
	s_trap 2
	s_sendmsg_rtn_b32 s0, sendmsg(MSG_RTN_GET_DOORBELL)
	s_mov_b32 ttmp2, m0
	s_waitcnt lgkmcnt(0)
	s_and_b32 s0, s0, 0x3ff
	s_delay_alu instid0(SALU_CYCLE_1) | instskip(NEXT) | instid1(SALU_CYCLE_1)
	s_bitset1_b32 s0, 10
	s_mov_b32 m0, s0
	s_sendmsg sendmsg(MSG_INTERRUPT)
	s_mov_b32 m0, ttmp2
.LBB345_2193:                           ; =>This Inner Loop Header: Depth=1
	s_sethalt 5
	s_branch .LBB345_2193
.LBB345_2194:
	s_cbranch_execnz .LBB345_2198
; %bb.2195:
	s_mov_b32 s3, 0
	s_or_b32 s1, s1, exec_lo
	s_branch .LBB345_2189
.LBB345_2196:
	s_or_saveexec_b32 s5, s5
                                        ; implicit-def: $sgpr6
	s_delay_alu instid0(SALU_CYCLE_1)
	s_xor_b32 exec_lo, exec_lo, s5
	s_cbranch_execz .LBB345_2155
.LBB345_2197:
	v_add_f32_e64 v3, 0x42800000, |v4|
	s_and_not1_b32 s4, s4, exec_lo
	s_mov_b32 s6, 0
	s_delay_alu instid0(VALU_DEP_1) | instskip(NEXT) | instid1(VALU_DEP_1)
	v_and_b32_e32 v3, 0xff, v3
	v_cmp_ne_u32_e32 vcc_lo, 0, v3
	s_and_b32 s7, vcc_lo, exec_lo
	s_delay_alu instid0(SALU_CYCLE_1)
	s_or_b32 s4, s4, s7
	s_or_b32 exec_lo, exec_lo, s5
	v_mov_b32_e32 v5, s6
	s_and_saveexec_b32 s5, s4
	s_cbranch_execnz .LBB345_2156
	s_branch .LBB345_2157
.LBB345_2198:
	s_trap 2
	s_sendmsg_rtn_b32 s0, sendmsg(MSG_RTN_GET_DOORBELL)
	s_mov_b32 ttmp2, m0
	s_waitcnt lgkmcnt(0)
	s_and_b32 s0, s0, 0x3ff
	s_delay_alu instid0(SALU_CYCLE_1) | instskip(NEXT) | instid1(SALU_CYCLE_1)
	s_bitset1_b32 s0, 10
	s_mov_b32 m0, s0
	s_sendmsg sendmsg(MSG_INTERRUPT)
	s_mov_b32 m0, ttmp2
.LBB345_2199:                           ; =>This Inner Loop Header: Depth=1
	s_sethalt 5
	s_branch .LBB345_2199
	.section	.rodata,"a",@progbits
	.p2align	6, 0x0
	.amdhsa_kernel _ZN2at6native32elementwise_kernel_manual_unrollILi128ELi4EZNS0_15gpu_kernel_implIZZZNS0_17clamp_kernel_cudaERNS_18TensorIteratorBaseERKN3c106ScalarES8_ENKUlvE_clEvENKUlvE7_clEvEUlNS5_8BFloat16EE_EEvS4_RKT_EUlibE0_EEviT1_
		.amdhsa_group_segment_fixed_size 0
		.amdhsa_private_segment_fixed_size 0
		.amdhsa_kernarg_size 360
		.amdhsa_user_sgpr_count 15
		.amdhsa_user_sgpr_dispatch_ptr 0
		.amdhsa_user_sgpr_queue_ptr 0
		.amdhsa_user_sgpr_kernarg_segment_ptr 1
		.amdhsa_user_sgpr_dispatch_id 0
		.amdhsa_user_sgpr_private_segment_size 0
		.amdhsa_wavefront_size32 1
		.amdhsa_uses_dynamic_stack 0
		.amdhsa_enable_private_segment 0
		.amdhsa_system_sgpr_workgroup_id_x 1
		.amdhsa_system_sgpr_workgroup_id_y 0
		.amdhsa_system_sgpr_workgroup_id_z 0
		.amdhsa_system_sgpr_workgroup_info 0
		.amdhsa_system_vgpr_workitem_id 0
		.amdhsa_next_free_vgpr 18
		.amdhsa_next_free_sgpr 72
		.amdhsa_reserve_vcc 1
		.amdhsa_float_round_mode_32 0
		.amdhsa_float_round_mode_16_64 0
		.amdhsa_float_denorm_mode_32 3
		.amdhsa_float_denorm_mode_16_64 3
		.amdhsa_dx10_clamp 1
		.amdhsa_ieee_mode 1
		.amdhsa_fp16_overflow 0
		.amdhsa_workgroup_processor_mode 1
		.amdhsa_memory_ordered 1
		.amdhsa_forward_progress 0
		.amdhsa_shared_vgpr_count 0
		.amdhsa_exception_fp_ieee_invalid_op 0
		.amdhsa_exception_fp_denorm_src 0
		.amdhsa_exception_fp_ieee_div_zero 0
		.amdhsa_exception_fp_ieee_overflow 0
		.amdhsa_exception_fp_ieee_underflow 0
		.amdhsa_exception_fp_ieee_inexact 0
		.amdhsa_exception_int_div_zero 0
	.end_amdhsa_kernel
	.section	.text._ZN2at6native32elementwise_kernel_manual_unrollILi128ELi4EZNS0_15gpu_kernel_implIZZZNS0_17clamp_kernel_cudaERNS_18TensorIteratorBaseERKN3c106ScalarES8_ENKUlvE_clEvENKUlvE7_clEvEUlNS5_8BFloat16EE_EEvS4_RKT_EUlibE0_EEviT1_,"axG",@progbits,_ZN2at6native32elementwise_kernel_manual_unrollILi128ELi4EZNS0_15gpu_kernel_implIZZZNS0_17clamp_kernel_cudaERNS_18TensorIteratorBaseERKN3c106ScalarES8_ENKUlvE_clEvENKUlvE7_clEvEUlNS5_8BFloat16EE_EEvS4_RKT_EUlibE0_EEviT1_,comdat
.Lfunc_end345:
	.size	_ZN2at6native32elementwise_kernel_manual_unrollILi128ELi4EZNS0_15gpu_kernel_implIZZZNS0_17clamp_kernel_cudaERNS_18TensorIteratorBaseERKN3c106ScalarES8_ENKUlvE_clEvENKUlvE7_clEvEUlNS5_8BFloat16EE_EEvS4_RKT_EUlibE0_EEviT1_, .Lfunc_end345-_ZN2at6native32elementwise_kernel_manual_unrollILi128ELi4EZNS0_15gpu_kernel_implIZZZNS0_17clamp_kernel_cudaERNS_18TensorIteratorBaseERKN3c106ScalarES8_ENKUlvE_clEvENKUlvE7_clEvEUlNS5_8BFloat16EE_EEvS4_RKT_EUlibE0_EEviT1_
                                        ; -- End function
	.section	.AMDGPU.csdata,"",@progbits
; Kernel info:
; codeLenInByte = 49668
; NumSgprs: 74
; NumVgprs: 18
; ScratchSize: 0
; MemoryBound: 0
; FloatMode: 240
; IeeeMode: 1
; LDSByteSize: 0 bytes/workgroup (compile time only)
; SGPRBlocks: 9
; VGPRBlocks: 2
; NumSGPRsForWavesPerEU: 74
; NumVGPRsForWavesPerEU: 18
; Occupancy: 16
; WaveLimiterHint : 1
; COMPUTE_PGM_RSRC2:SCRATCH_EN: 0
; COMPUTE_PGM_RSRC2:USER_SGPR: 15
; COMPUTE_PGM_RSRC2:TRAP_HANDLER: 0
; COMPUTE_PGM_RSRC2:TGID_X_EN: 1
; COMPUTE_PGM_RSRC2:TGID_Y_EN: 0
; COMPUTE_PGM_RSRC2:TGID_Z_EN: 0
; COMPUTE_PGM_RSRC2:TIDIG_COMP_CNT: 0
	.section	.text._ZN2at6native29vectorized_elementwise_kernelILi16EZZZNS0_21clamp_min_kernel_cudaERNS_18TensorIteratorBaseERKN3c106ScalarEENKUlvE_clEvENKUlvE_clEvEUlhE_St5arrayIPcLm2EEEEviT0_T1_,"axG",@progbits,_ZN2at6native29vectorized_elementwise_kernelILi16EZZZNS0_21clamp_min_kernel_cudaERNS_18TensorIteratorBaseERKN3c106ScalarEENKUlvE_clEvENKUlvE_clEvEUlhE_St5arrayIPcLm2EEEEviT0_T1_,comdat
	.globl	_ZN2at6native29vectorized_elementwise_kernelILi16EZZZNS0_21clamp_min_kernel_cudaERNS_18TensorIteratorBaseERKN3c106ScalarEENKUlvE_clEvENKUlvE_clEvEUlhE_St5arrayIPcLm2EEEEviT0_T1_ ; -- Begin function _ZN2at6native29vectorized_elementwise_kernelILi16EZZZNS0_21clamp_min_kernel_cudaERNS_18TensorIteratorBaseERKN3c106ScalarEENKUlvE_clEvENKUlvE_clEvEUlhE_St5arrayIPcLm2EEEEviT0_T1_
	.p2align	8
	.type	_ZN2at6native29vectorized_elementwise_kernelILi16EZZZNS0_21clamp_min_kernel_cudaERNS_18TensorIteratorBaseERKN3c106ScalarEENKUlvE_clEvENKUlvE_clEvEUlhE_St5arrayIPcLm2EEEEviT0_T1_,@function
_ZN2at6native29vectorized_elementwise_kernelILi16EZZZNS0_21clamp_min_kernel_cudaERNS_18TensorIteratorBaseERKN3c106ScalarEENKUlvE_clEvENKUlvE_clEvEUlhE_St5arrayIPcLm2EEEEviT0_T1_: ; @_ZN2at6native29vectorized_elementwise_kernelILi16EZZZNS0_21clamp_min_kernel_cudaERNS_18TensorIteratorBaseERKN3c106ScalarEENKUlvE_clEvENKUlvE_clEvEUlhE_St5arrayIPcLm2EEEEviT0_T1_
; %bb.0:
	s_clause 0x1
	s_load_b64 s[2:3], s[0:1], 0x0
	s_load_b128 s[4:7], s[0:1], 0x8
	s_lshl_b32 s1, s15, 12
	s_mov_b32 s0, -1
	s_waitcnt lgkmcnt(0)
	v_and_b32_e64 v1, 0xff, s3
	s_sub_i32 s2, s2, s1
	s_delay_alu instid0(SALU_CYCLE_1)
	s_cmpk_gt_i32 s2, 0xfff
	s_cbranch_scc0 .LBB346_2
; %bb.1:
	v_lshlrev_b32_e32 v6, 4, v0
	s_ashr_i32 s0, s1, 31
	s_add_u32 s8, s6, s1
	s_addc_u32 s9, s7, s0
	global_load_b128 v[2:5], v6, s[8:9]
	s_add_u32 s8, s4, s1
	s_addc_u32 s9, s5, s0
	s_mov_b32 s0, 0
	s_waitcnt vmcnt(0)
	v_lshrrev_b32_e32 v8, 8, v2
	v_lshrrev_b32_e32 v11, 8, v3
	;; [unrolled: 1-line block ×4, first 2 shown]
	v_and_b32_e32 v7, 0xff, v2
	v_lshrrev_b32_e32 v9, 16, v2
	v_lshrrev_b32_e32 v2, 24, v2
	v_and_b32_e32 v10, 0xff, v3
	v_lshrrev_b32_e32 v12, 16, v3
	v_lshrrev_b32_e32 v3, 24, v3
	;; [unrolled: 3-line block ×4, first 2 shown]
	v_and_b32_e32 v8, 0xff, v8
	v_and_b32_e32 v11, 0xff, v11
	v_and_b32_e32 v14, 0xff, v14
	v_and_b32_e32 v17, 0xff, v17
	v_and_b32_e32 v9, 0xff, v9
	v_and_b32_e32 v12, 0xff, v12
	v_and_b32_e32 v15, 0xff, v15
	v_and_b32_e32 v18, 0xff, v18
	v_max_u16 v2, v2, v1
	v_max_u16 v3, v3, v1
	;; [unrolled: 1-line block ×16, first 2 shown]
	v_lshlrev_b16 v5, 8, v5
	v_lshlrev_b16 v4, 8, v4
	;; [unrolled: 1-line block ×8, first 2 shown]
	v_or_b32_e32 v5, v18, v5
	v_or_b32_e32 v4, v15, v4
	;; [unrolled: 1-line block ×8, first 2 shown]
	v_lshlrev_b32_e32 v5, 16, v5
	v_lshlrev_b32_e32 v4, 16, v4
	;; [unrolled: 1-line block ×4, first 2 shown]
	v_and_b32_e32 v8, 0xffff, v9
	v_and_b32_e32 v9, 0xffff, v12
	;; [unrolled: 1-line block ×4, first 2 shown]
	s_delay_alu instid0(VALU_DEP_4) | instskip(NEXT) | instid1(VALU_DEP_4)
	v_or_b32_e32 v5, v8, v5
	v_or_b32_e32 v4, v9, v4
	s_delay_alu instid0(VALU_DEP_4) | instskip(NEXT) | instid1(VALU_DEP_4)
	v_or_b32_e32 v3, v10, v3
	v_or_b32_e32 v2, v7, v2
	global_store_b128 v6, v[2:5], s[8:9]
.LBB346_2:
	s_and_not1_b32 vcc_lo, exec_lo, s0
	s_cbranch_vccnz .LBB346_52
; %bb.3:
	v_cmp_gt_i32_e32 vcc_lo, s2, v0
	v_dual_mov_b32 v5, 0 :: v_dual_mov_b32 v6, 0
	v_or_b32_e32 v2, s1, v0
	v_or_b32_e32 v3, 0x100, v0
	v_mov_b32_e32 v11, v0
	s_and_saveexec_b32 s0, vcc_lo
	s_cbranch_execz .LBB346_5
; %bb.4:
	global_load_u8 v6, v2, s[6:7]
	v_or_b32_e32 v11, 0x100, v0
.LBB346_5:
	s_or_b32 exec_lo, exec_lo, s0
	s_delay_alu instid0(SALU_CYCLE_1) | instskip(NEXT) | instid1(VALU_DEP_1)
	s_mov_b32 s3, exec_lo
	v_cmpx_gt_i32_e64 s2, v11
	s_cbranch_execz .LBB346_7
; %bb.6:
	v_add_nc_u32_e32 v4, s1, v11
	v_add_nc_u32_e32 v11, 0x100, v11
	global_load_u8 v5, v4, s[6:7]
.LBB346_7:
	s_or_b32 exec_lo, exec_lo, s3
	v_dual_mov_b32 v9, 0 :: v_dual_mov_b32 v12, 0
	s_mov_b32 s3, exec_lo
	v_cmpx_gt_i32_e64 s2, v11
	s_cbranch_execz .LBB346_9
; %bb.8:
	v_add_nc_u32_e32 v4, s1, v11
	v_add_nc_u32_e32 v11, 0x100, v11
	global_load_u8 v12, v4, s[6:7]
.LBB346_9:
	s_or_b32 exec_lo, exec_lo, s3
	s_delay_alu instid0(SALU_CYCLE_1)
	s_mov_b32 s3, exec_lo
	v_cmpx_gt_i32_e64 s2, v11
	s_cbranch_execz .LBB346_11
; %bb.10:
	v_add_nc_u32_e32 v4, s1, v11
	v_add_nc_u32_e32 v11, 0x100, v11
	global_load_u8 v9, v4, s[6:7]
.LBB346_11:
	s_or_b32 exec_lo, exec_lo, s3
	v_dual_mov_b32 v14, 0 :: v_dual_mov_b32 v15, 0
	s_mov_b32 s3, exec_lo
	v_cmpx_gt_i32_e64 s2, v11
	s_cbranch_execz .LBB346_13
; %bb.12:
	v_add_nc_u32_e32 v4, s1, v11
	v_add_nc_u32_e32 v11, 0x100, v11
	global_load_u8 v15, v4, s[6:7]
.LBB346_13:
	s_or_b32 exec_lo, exec_lo, s3
	s_delay_alu instid0(SALU_CYCLE_1)
	s_mov_b32 s3, exec_lo
	v_cmpx_gt_i32_e64 s2, v11
	s_cbranch_execz .LBB346_15
; %bb.14:
	v_add_nc_u32_e32 v4, s1, v11
	v_add_nc_u32_e32 v11, 0x100, v11
	global_load_u8 v14, v4, s[6:7]
.LBB346_15:
	s_or_b32 exec_lo, exec_lo, s3
	v_mov_b32_e32 v4, 0
	v_mov_b32_e32 v16, 0
	s_mov_b32 s3, exec_lo
	v_cmpx_gt_i32_e64 s2, v11
	s_cbranch_execz .LBB346_17
; %bb.16:
	v_add_nc_u32_e32 v7, s1, v11
	v_add_nc_u32_e32 v11, 0x100, v11
	global_load_u8 v16, v7, s[6:7]
.LBB346_17:
	s_or_b32 exec_lo, exec_lo, s3
	s_delay_alu instid0(SALU_CYCLE_1)
	s_mov_b32 s3, exec_lo
	v_cmpx_gt_i32_e64 s2, v11
	s_cbranch_execz .LBB346_19
; %bb.18:
	v_add_nc_u32_e32 v4, s1, v11
	v_add_nc_u32_e32 v11, 0x100, v11
	global_load_u8 v4, v4, s[6:7]
.LBB346_19:
	s_or_b32 exec_lo, exec_lo, s3
	v_dual_mov_b32 v10, 0 :: v_dual_mov_b32 v7, 0
	s_mov_b32 s3, exec_lo
	v_cmpx_gt_i32_e64 s2, v11
	s_cbranch_execz .LBB346_21
; %bb.20:
	v_add_nc_u32_e32 v7, s1, v11
	v_add_nc_u32_e32 v11, 0x100, v11
	global_load_u8 v7, v7, s[6:7]
.LBB346_21:
	s_or_b32 exec_lo, exec_lo, s3
	s_delay_alu instid0(SALU_CYCLE_1)
	s_mov_b32 s3, exec_lo
	v_cmpx_gt_i32_e64 s2, v11
	s_cbranch_execz .LBB346_23
; %bb.22:
	v_add_nc_u32_e32 v8, s1, v11
	v_add_nc_u32_e32 v11, 0x100, v11
	global_load_u8 v10, v8, s[6:7]
.LBB346_23:
	s_or_b32 exec_lo, exec_lo, s3
	v_dual_mov_b32 v8, 0 :: v_dual_mov_b32 v13, 0
	s_mov_b32 s3, exec_lo
	v_cmpx_gt_i32_e64 s2, v11
	s_cbranch_execz .LBB346_25
; %bb.24:
	v_add_nc_u32_e32 v13, s1, v11
	v_add_nc_u32_e32 v11, 0x100, v11
	global_load_u8 v13, v13, s[6:7]
.LBB346_25:
	s_or_b32 exec_lo, exec_lo, s3
	s_delay_alu instid0(SALU_CYCLE_1)
	s_mov_b32 s3, exec_lo
	v_cmpx_gt_i32_e64 s2, v11
	s_cbranch_execz .LBB346_27
; %bb.26:
	v_add_nc_u32_e32 v8, s1, v11
	v_add_nc_u32_e32 v11, 0x100, v11
	global_load_u8 v8, v8, s[6:7]
.LBB346_27:
	s_or_b32 exec_lo, exec_lo, s3
	v_mov_b32_e32 v18, 0
	v_mov_b32_e32 v20, 0
	s_mov_b32 s3, exec_lo
	v_cmpx_gt_i32_e64 s2, v11
	s_cbranch_execz .LBB346_29
; %bb.28:
	v_add_nc_u32_e32 v17, s1, v11
	v_add_nc_u32_e32 v11, 0x100, v11
	global_load_u8 v20, v17, s[6:7]
.LBB346_29:
	s_or_b32 exec_lo, exec_lo, s3
	s_delay_alu instid0(SALU_CYCLE_1)
	s_mov_b32 s3, exec_lo
	v_cmpx_gt_i32_e64 s2, v11
	s_cbranch_execz .LBB346_31
; %bb.30:
	v_add_nc_u32_e32 v17, s1, v11
	v_add_nc_u32_e32 v11, 0x100, v11
	global_load_u8 v18, v17, s[6:7]
.LBB346_31:
	s_or_b32 exec_lo, exec_lo, s3
	v_mov_b32_e32 v17, 0
	v_mov_b32_e32 v19, 0
	s_mov_b32 s3, exec_lo
	v_cmpx_gt_i32_e64 s2, v11
	s_cbranch_execz .LBB346_33
; %bb.32:
	v_add_nc_u32_e32 v19, s1, v11
	v_add_nc_u32_e32 v11, 0x100, v11
	global_load_u8 v19, v19, s[6:7]
.LBB346_33:
	s_or_b32 exec_lo, exec_lo, s3
	s_delay_alu instid0(SALU_CYCLE_1)
	s_mov_b32 s3, exec_lo
	v_cmpx_gt_i32_e64 s2, v11
	s_cbranch_execz .LBB346_35
; %bb.34:
	v_add_nc_u32_e32 v11, s1, v11
	global_load_u8 v17, v11, s[6:7]
.LBB346_35:
	s_or_b32 exec_lo, exec_lo, s3
	s_waitcnt vmcnt(0)
	v_and_b32_e32 v5, 0xff, v5
	v_and_b32_e32 v6, 0xff, v6
	;; [unrolled: 1-line block ×3, first 2 shown]
	v_or_b32_e32 v21, 0x400, v0
	v_and_b32_e32 v12, 0xff, v12
	v_max_u16 v5, v5, v1
	v_max_u16 v6, v6, v1
	;; [unrolled: 1-line block ×3, first 2 shown]
	v_and_b32_e32 v14, 0xff, v14
	v_cmp_gt_i32_e64 s0, s2, v21
	v_lshlrev_b16 v5, 8, v5
	v_max_u16 v12, v12, v1
	v_and_b32_e32 v11, 0xffff, v11
	v_max_u16 v14, v14, v1
	v_or_b32_e32 v15, 0x200, v0
	v_or_b32_e32 v5, v6, v5
	v_and_b32_e32 v6, 0xffff, v6
	v_cndmask_b32_e64 v11, 0, v11, s0
	v_cmp_gt_i32_e64 s0, s2, v3
	v_lshlrev_b16 v14, 8, v14
	v_and_b32_e32 v5, 0xffff, v5
	v_lshlrev_b32_e32 v12, 16, v12
	v_and_b32_e32 v21, 0xff, v11
	v_or_b32_e32 v22, 0x500, v0
	v_and_b32_e32 v18, 0xff, v18
	v_cndmask_b32_e64 v5, v6, v5, s0
	v_and_b32_e32 v6, 0xff, v16
	v_or_b32_e32 v14, v21, v14
	v_and_b32_e32 v16, 0xff, v20
	v_cmp_gt_i32_e64 s0, s2, v15
	v_or_b32_e32 v12, v5, v12
	v_or_b32_e32 v20, 0xc00, v0
	v_and_b32_e32 v14, 0xffff, v14
	v_max_u16 v16, v16, v1
	v_and_b32_e32 v9, 0xff, v9
	v_cndmask_b32_e64 v5, v5, v12, s0
	v_cmp_gt_i32_e64 s0, s2, v22
	v_max_u16 v15, v18, v1
	v_and_b32_e32 v12, 0xffff, v16
	v_max_u16 v9, v9, v1
	v_max_u16 v6, v6, v1
	v_cndmask_b32_e64 v11, v11, v14, s0
	v_cmp_gt_i32_e64 s0, s2, v20
	v_lshrrev_b32_e32 v14, 16, v5
	v_lshlrev_b16 v15, 8, v15
	v_lshlrev_b16 v9, 8, v9
	v_lshrrev_b32_e32 v16, 16, v11
	v_cndmask_b32_e64 v12, 0, v12, s0
	v_and_b32_e32 v14, 0xff, v14
	v_and_b32_e32 v10, 0xff, v10
	;; [unrolled: 1-line block ×5, first 2 shown]
	v_or_b32_e32 v9, v14, v9
	v_or_b32_e32 v14, 0x600, v0
	v_max_u16 v10, v10, v1
	v_or_b32_e32 v6, v6, v16
	v_or_b32_e32 v15, v18, v15
	;; [unrolled: 1-line block ×3, first 2 shown]
	v_max_u16 v7, v7, v1
	v_lshlrev_b16 v10, 8, v10
	v_lshlrev_b32_e32 v6, 16, v6
	v_and_b32_e32 v15, 0xffff, v15
	v_cmp_gt_i32_e64 s0, s2, v16
	v_and_b32_e32 v4, 0xff, v4
	v_and_b32_e32 v8, 0xff, v8
	v_and_or_b32 v6, 0xffff, v11, v6
	v_lshlrev_b32_e32 v9, 16, v9
	v_cndmask_b32_e64 v12, v12, v15, s0
	v_cmp_gt_i32_e64 s0, s2, v14
	v_and_b32_e32 v14, 0xff, v19
	v_and_b32_e32 v15, 0xffff, v7
	v_or_b32_e32 v7, v7, v10
	v_and_b32_e32 v10, 0xff, v13
	v_cndmask_b32_e64 v11, v11, v6, s0
	v_lshrrev_b32_e32 v6, 16, v12
	v_max_u16 v13, v14, v1
	v_or_b32_e32 v14, 0x900, v0
	v_and_b32_e32 v7, 0xffff, v7
	v_max_u16 v10, v10, v1
	v_and_b32_e32 v6, 0xffffff00, v6
	v_lshrrev_b32_e32 v16, 16, v11
	v_cmp_gt_i32_e64 s0, s2, v14
	v_or_b32_e32 v14, 0xa00, v0
	v_lshlrev_b32_e32 v10, 16, v10
	v_or_b32_e32 v6, v13, v6
	v_max_u16 v4, v4, v1
	v_cndmask_b32_e64 v7, v15, v7, s0
	v_or_b32_e32 v15, 0xe00, v0
	v_cmp_gt_i32_e64 s0, s2, v14
	v_lshlrev_b32_e32 v6, 16, v6
	v_and_b32_e32 v13, 0xff, v16
	v_or_b32_e32 v10, v7, v10
	v_lshlrev_b16 v4, 8, v4
	v_max_u16 v8, v8, v1
	v_and_or_b32 v6, 0xffff, v12, v6
	v_and_or_b32 v9, 0xffff, v5, v9
	v_cndmask_b32_e64 v7, v7, v10, s0
	v_cmp_gt_i32_e64 s0, s2, v15
	v_or_b32_e32 v4, v13, v4
	v_lshlrev_b16 v8, 8, v8
	v_or_b32_e32 v13, 0x300, v0
	s_delay_alu instid0(VALU_DEP_4) | instskip(SKIP_2) | instid1(VALU_DEP_4)
	v_cndmask_b32_e64 v10, v12, v6, s0
	v_and_b32_e32 v6, 0xff, v17
	v_lshrrev_b32_e32 v12, 16, v7
	v_cmp_gt_i32_e64 s0, s2, v13
	v_lshlrev_b32_e32 v4, 16, v4
	v_lshrrev_b32_e32 v14, 16, v10
	v_max_u16 v1, v6, v1
	v_and_b32_e32 v6, 0xff, v12
	v_or_b32_e32 v13, 0xf00, v0
	v_and_or_b32 v4, 0xffff, v11, v4
	v_and_b32_e32 v12, 0xff, v14
	v_lshlrev_b16 v1, 8, v1
	v_or_b32_e32 v8, v6, v8
	v_cndmask_b32_e64 v6, v5, v9, s0
	v_or_b32_e32 v9, 0xb00, v0
	s_delay_alu instid0(VALU_DEP_4) | instskip(NEXT) | instid1(VALU_DEP_4)
	v_or_b32_e32 v1, v12, v1
	v_lshlrev_b32_e32 v5, 16, v8
	v_or_b32_e32 v8, 0x700, v0
	s_delay_alu instid0(VALU_DEP_3) | instskip(NEXT) | instid1(VALU_DEP_3)
	v_lshlrev_b32_e32 v1, 16, v1
	v_and_or_b32 v12, 0xffff, v7, v5
	s_delay_alu instid0(VALU_DEP_3) | instskip(NEXT) | instid1(VALU_DEP_3)
	v_cmp_gt_i32_e64 s0, s2, v8
	v_and_or_b32 v1, 0xffff, v10, v1
	s_delay_alu instid0(VALU_DEP_2) | instskip(SKIP_1) | instid1(VALU_DEP_1)
	v_cndmask_b32_e64 v5, v11, v4, s0
	v_cmp_gt_i32_e64 s0, s2, v9
	v_cndmask_b32_e64 v4, v7, v12, s0
	v_cmp_gt_i32_e64 s0, s2, v13
	s_delay_alu instid0(VALU_DEP_1)
	v_cndmask_b32_e64 v1, v10, v1, s0
	s_and_saveexec_b32 s0, vcc_lo
	s_cbranch_execnz .LBB346_53
; %bb.36:
	s_or_b32 exec_lo, exec_lo, s0
	s_delay_alu instid0(SALU_CYCLE_1)
	s_mov_b32 s0, exec_lo
	v_cmpx_gt_i32_e64 s2, v0
	s_cbranch_execnz .LBB346_54
.LBB346_37:
	s_or_b32 exec_lo, exec_lo, s0
	s_delay_alu instid0(SALU_CYCLE_1)
	s_mov_b32 s0, exec_lo
	v_cmpx_gt_i32_e64 s2, v0
	s_cbranch_execnz .LBB346_55
.LBB346_38:
	s_or_b32 exec_lo, exec_lo, s0
	s_delay_alu instid0(SALU_CYCLE_1)
	s_mov_b32 s0, exec_lo
	v_cmpx_gt_i32_e64 s2, v0
	s_cbranch_execnz .LBB346_56
.LBB346_39:
	s_or_b32 exec_lo, exec_lo, s0
	s_delay_alu instid0(SALU_CYCLE_1)
	s_mov_b32 s0, exec_lo
	v_cmpx_gt_i32_e64 s2, v0
	s_cbranch_execnz .LBB346_57
.LBB346_40:
	s_or_b32 exec_lo, exec_lo, s0
	s_delay_alu instid0(SALU_CYCLE_1)
	s_mov_b32 s0, exec_lo
	v_cmpx_gt_i32_e64 s2, v0
	s_cbranch_execnz .LBB346_58
.LBB346_41:
	s_or_b32 exec_lo, exec_lo, s0
	s_delay_alu instid0(SALU_CYCLE_1)
	s_mov_b32 s0, exec_lo
	v_cmpx_gt_i32_e64 s2, v0
	s_cbranch_execnz .LBB346_59
.LBB346_42:
	s_or_b32 exec_lo, exec_lo, s0
	s_delay_alu instid0(SALU_CYCLE_1)
	s_mov_b32 s0, exec_lo
	v_cmpx_gt_i32_e64 s2, v0
	s_cbranch_execnz .LBB346_60
.LBB346_43:
	s_or_b32 exec_lo, exec_lo, s0
	s_delay_alu instid0(SALU_CYCLE_1)
	s_mov_b32 s0, exec_lo
	v_cmpx_gt_i32_e64 s2, v0
	s_cbranch_execnz .LBB346_61
.LBB346_44:
	s_or_b32 exec_lo, exec_lo, s0
	s_delay_alu instid0(SALU_CYCLE_1)
	s_mov_b32 s0, exec_lo
	v_cmpx_gt_i32_e64 s2, v0
	s_cbranch_execnz .LBB346_62
.LBB346_45:
	s_or_b32 exec_lo, exec_lo, s0
	s_delay_alu instid0(SALU_CYCLE_1)
	s_mov_b32 s0, exec_lo
	v_cmpx_gt_i32_e64 s2, v0
	s_cbranch_execnz .LBB346_63
.LBB346_46:
	s_or_b32 exec_lo, exec_lo, s0
	s_delay_alu instid0(SALU_CYCLE_1)
	s_mov_b32 s0, exec_lo
	v_cmpx_gt_i32_e64 s2, v0
	s_cbranch_execnz .LBB346_64
.LBB346_47:
	s_or_b32 exec_lo, exec_lo, s0
	s_delay_alu instid0(SALU_CYCLE_1)
	s_mov_b32 s0, exec_lo
	v_cmpx_gt_i32_e64 s2, v0
	s_cbranch_execnz .LBB346_65
.LBB346_48:
	s_or_b32 exec_lo, exec_lo, s0
	s_delay_alu instid0(SALU_CYCLE_1)
	s_mov_b32 s0, exec_lo
	v_cmpx_gt_i32_e64 s2, v0
	s_cbranch_execnz .LBB346_66
.LBB346_49:
	s_or_b32 exec_lo, exec_lo, s0
	s_delay_alu instid0(SALU_CYCLE_1)
	s_mov_b32 s0, exec_lo
	v_cmpx_gt_i32_e64 s2, v0
	s_cbranch_execnz .LBB346_67
.LBB346_50:
	s_or_b32 exec_lo, exec_lo, s0
	s_delay_alu instid0(SALU_CYCLE_1)
	s_mov_b32 s0, exec_lo
	v_cmpx_gt_i32_e64 s2, v0
	s_cbranch_execz .LBB346_52
.LBB346_51:
	v_add_nc_u32_e32 v0, s1, v0
	v_lshrrev_b32_e32 v1, 24, v1
	global_store_b8 v0, v1, s[4:5]
.LBB346_52:
	s_nop 0
	s_sendmsg sendmsg(MSG_DEALLOC_VGPRS)
	s_endpgm
.LBB346_53:
	v_mov_b32_e32 v0, v3
	global_store_b8 v2, v6, s[4:5]
	s_or_b32 exec_lo, exec_lo, s0
	s_delay_alu instid0(SALU_CYCLE_1)
	s_mov_b32 s0, exec_lo
	v_cmpx_gt_i32_e64 s2, v0
	s_cbranch_execz .LBB346_37
.LBB346_54:
	v_add_nc_u32_e32 v2, s1, v0
	v_lshrrev_b32_e32 v3, 8, v6
	v_add_nc_u32_e32 v0, 0x100, v0
	global_store_b8 v2, v3, s[4:5]
	s_or_b32 exec_lo, exec_lo, s0
	s_delay_alu instid0(SALU_CYCLE_1)
	s_mov_b32 s0, exec_lo
	v_cmpx_gt_i32_e64 s2, v0
	s_cbranch_execz .LBB346_38
.LBB346_55:
	v_add_nc_u32_e32 v2, s1, v0
	v_add_nc_u32_e32 v0, 0x100, v0
	global_store_d16_hi_b8 v2, v6, s[4:5]
	s_or_b32 exec_lo, exec_lo, s0
	s_delay_alu instid0(SALU_CYCLE_1)
	s_mov_b32 s0, exec_lo
	v_cmpx_gt_i32_e64 s2, v0
	s_cbranch_execz .LBB346_39
.LBB346_56:
	v_add_nc_u32_e32 v2, s1, v0
	v_lshrrev_b32_e32 v3, 24, v6
	v_add_nc_u32_e32 v0, 0x100, v0
	global_store_b8 v2, v3, s[4:5]
	s_or_b32 exec_lo, exec_lo, s0
	s_delay_alu instid0(SALU_CYCLE_1)
	s_mov_b32 s0, exec_lo
	v_cmpx_gt_i32_e64 s2, v0
	s_cbranch_execz .LBB346_40
.LBB346_57:
	v_add_nc_u32_e32 v2, s1, v0
	v_add_nc_u32_e32 v0, 0x100, v0
	global_store_b8 v2, v5, s[4:5]
	s_or_b32 exec_lo, exec_lo, s0
	s_delay_alu instid0(SALU_CYCLE_1)
	s_mov_b32 s0, exec_lo
	v_cmpx_gt_i32_e64 s2, v0
	s_cbranch_execz .LBB346_41
.LBB346_58:
	v_add_nc_u32_e32 v2, s1, v0
	v_lshrrev_b32_e32 v3, 8, v5
	v_add_nc_u32_e32 v0, 0x100, v0
	global_store_b8 v2, v3, s[4:5]
	s_or_b32 exec_lo, exec_lo, s0
	s_delay_alu instid0(SALU_CYCLE_1)
	s_mov_b32 s0, exec_lo
	v_cmpx_gt_i32_e64 s2, v0
	s_cbranch_execz .LBB346_42
.LBB346_59:
	v_add_nc_u32_e32 v2, s1, v0
	v_add_nc_u32_e32 v0, 0x100, v0
	global_store_d16_hi_b8 v2, v5, s[4:5]
	s_or_b32 exec_lo, exec_lo, s0
	s_delay_alu instid0(SALU_CYCLE_1)
	s_mov_b32 s0, exec_lo
	v_cmpx_gt_i32_e64 s2, v0
	s_cbranch_execz .LBB346_43
.LBB346_60:
	v_add_nc_u32_e32 v2, s1, v0
	v_lshrrev_b32_e32 v3, 24, v5
	v_add_nc_u32_e32 v0, 0x100, v0
	global_store_b8 v2, v3, s[4:5]
	s_or_b32 exec_lo, exec_lo, s0
	s_delay_alu instid0(SALU_CYCLE_1)
	s_mov_b32 s0, exec_lo
	v_cmpx_gt_i32_e64 s2, v0
	s_cbranch_execz .LBB346_44
.LBB346_61:
	v_add_nc_u32_e32 v2, s1, v0
	v_add_nc_u32_e32 v0, 0x100, v0
	global_store_b8 v2, v4, s[4:5]
	s_or_b32 exec_lo, exec_lo, s0
	s_delay_alu instid0(SALU_CYCLE_1)
	s_mov_b32 s0, exec_lo
	v_cmpx_gt_i32_e64 s2, v0
	s_cbranch_execz .LBB346_45
.LBB346_62:
	v_add_nc_u32_e32 v2, s1, v0
	v_lshrrev_b32_e32 v3, 8, v4
	v_add_nc_u32_e32 v0, 0x100, v0
	global_store_b8 v2, v3, s[4:5]
	s_or_b32 exec_lo, exec_lo, s0
	s_delay_alu instid0(SALU_CYCLE_1)
	s_mov_b32 s0, exec_lo
	v_cmpx_gt_i32_e64 s2, v0
	s_cbranch_execz .LBB346_46
.LBB346_63:
	v_add_nc_u32_e32 v2, s1, v0
	v_add_nc_u32_e32 v0, 0x100, v0
	global_store_d16_hi_b8 v2, v4, s[4:5]
	s_or_b32 exec_lo, exec_lo, s0
	s_delay_alu instid0(SALU_CYCLE_1)
	s_mov_b32 s0, exec_lo
	v_cmpx_gt_i32_e64 s2, v0
	s_cbranch_execz .LBB346_47
.LBB346_64:
	v_add_nc_u32_e32 v2, s1, v0
	v_lshrrev_b32_e32 v3, 24, v4
	v_add_nc_u32_e32 v0, 0x100, v0
	global_store_b8 v2, v3, s[4:5]
	s_or_b32 exec_lo, exec_lo, s0
	s_delay_alu instid0(SALU_CYCLE_1)
	s_mov_b32 s0, exec_lo
	v_cmpx_gt_i32_e64 s2, v0
	s_cbranch_execz .LBB346_48
.LBB346_65:
	v_add_nc_u32_e32 v2, s1, v0
	v_add_nc_u32_e32 v0, 0x100, v0
	global_store_b8 v2, v1, s[4:5]
	s_or_b32 exec_lo, exec_lo, s0
	s_delay_alu instid0(SALU_CYCLE_1)
	s_mov_b32 s0, exec_lo
	v_cmpx_gt_i32_e64 s2, v0
	s_cbranch_execz .LBB346_49
.LBB346_66:
	v_add_nc_u32_e32 v2, s1, v0
	v_lshrrev_b32_e32 v3, 8, v1
	v_add_nc_u32_e32 v0, 0x100, v0
	global_store_b8 v2, v3, s[4:5]
	s_or_b32 exec_lo, exec_lo, s0
	s_delay_alu instid0(SALU_CYCLE_1)
	s_mov_b32 s0, exec_lo
	v_cmpx_gt_i32_e64 s2, v0
	s_cbranch_execz .LBB346_50
.LBB346_67:
	v_add_nc_u32_e32 v2, s1, v0
	v_add_nc_u32_e32 v0, 0x100, v0
	global_store_d16_hi_b8 v2, v1, s[4:5]
	s_or_b32 exec_lo, exec_lo, s0
	s_delay_alu instid0(SALU_CYCLE_1)
	s_mov_b32 s0, exec_lo
	v_cmpx_gt_i32_e64 s2, v0
	s_cbranch_execnz .LBB346_51
	s_branch .LBB346_52
	.section	.rodata,"a",@progbits
	.p2align	6, 0x0
	.amdhsa_kernel _ZN2at6native29vectorized_elementwise_kernelILi16EZZZNS0_21clamp_min_kernel_cudaERNS_18TensorIteratorBaseERKN3c106ScalarEENKUlvE_clEvENKUlvE_clEvEUlhE_St5arrayIPcLm2EEEEviT0_T1_
		.amdhsa_group_segment_fixed_size 0
		.amdhsa_private_segment_fixed_size 0
		.amdhsa_kernarg_size 24
		.amdhsa_user_sgpr_count 15
		.amdhsa_user_sgpr_dispatch_ptr 0
		.amdhsa_user_sgpr_queue_ptr 0
		.amdhsa_user_sgpr_kernarg_segment_ptr 1
		.amdhsa_user_sgpr_dispatch_id 0
		.amdhsa_user_sgpr_private_segment_size 0
		.amdhsa_wavefront_size32 1
		.amdhsa_uses_dynamic_stack 0
		.amdhsa_enable_private_segment 0
		.amdhsa_system_sgpr_workgroup_id_x 1
		.amdhsa_system_sgpr_workgroup_id_y 0
		.amdhsa_system_sgpr_workgroup_id_z 0
		.amdhsa_system_sgpr_workgroup_info 0
		.amdhsa_system_vgpr_workitem_id 0
		.amdhsa_next_free_vgpr 23
		.amdhsa_next_free_sgpr 16
		.amdhsa_reserve_vcc 1
		.amdhsa_float_round_mode_32 0
		.amdhsa_float_round_mode_16_64 0
		.amdhsa_float_denorm_mode_32 3
		.amdhsa_float_denorm_mode_16_64 3
		.amdhsa_dx10_clamp 1
		.amdhsa_ieee_mode 1
		.amdhsa_fp16_overflow 0
		.amdhsa_workgroup_processor_mode 1
		.amdhsa_memory_ordered 1
		.amdhsa_forward_progress 0
		.amdhsa_shared_vgpr_count 0
		.amdhsa_exception_fp_ieee_invalid_op 0
		.amdhsa_exception_fp_denorm_src 0
		.amdhsa_exception_fp_ieee_div_zero 0
		.amdhsa_exception_fp_ieee_overflow 0
		.amdhsa_exception_fp_ieee_underflow 0
		.amdhsa_exception_fp_ieee_inexact 0
		.amdhsa_exception_int_div_zero 0
	.end_amdhsa_kernel
	.section	.text._ZN2at6native29vectorized_elementwise_kernelILi16EZZZNS0_21clamp_min_kernel_cudaERNS_18TensorIteratorBaseERKN3c106ScalarEENKUlvE_clEvENKUlvE_clEvEUlhE_St5arrayIPcLm2EEEEviT0_T1_,"axG",@progbits,_ZN2at6native29vectorized_elementwise_kernelILi16EZZZNS0_21clamp_min_kernel_cudaERNS_18TensorIteratorBaseERKN3c106ScalarEENKUlvE_clEvENKUlvE_clEvEUlhE_St5arrayIPcLm2EEEEviT0_T1_,comdat
.Lfunc_end346:
	.size	_ZN2at6native29vectorized_elementwise_kernelILi16EZZZNS0_21clamp_min_kernel_cudaERNS_18TensorIteratorBaseERKN3c106ScalarEENKUlvE_clEvENKUlvE_clEvEUlhE_St5arrayIPcLm2EEEEviT0_T1_, .Lfunc_end346-_ZN2at6native29vectorized_elementwise_kernelILi16EZZZNS0_21clamp_min_kernel_cudaERNS_18TensorIteratorBaseERKN3c106ScalarEENKUlvE_clEvENKUlvE_clEvEUlhE_St5arrayIPcLm2EEEEviT0_T1_
                                        ; -- End function
	.section	.AMDGPU.csdata,"",@progbits
; Kernel info:
; codeLenInByte = 3352
; NumSgprs: 18
; NumVgprs: 23
; ScratchSize: 0
; MemoryBound: 0
; FloatMode: 240
; IeeeMode: 1
; LDSByteSize: 0 bytes/workgroup (compile time only)
; SGPRBlocks: 2
; VGPRBlocks: 2
; NumSGPRsForWavesPerEU: 18
; NumVGPRsForWavesPerEU: 23
; Occupancy: 16
; WaveLimiterHint : 0
; COMPUTE_PGM_RSRC2:SCRATCH_EN: 0
; COMPUTE_PGM_RSRC2:USER_SGPR: 15
; COMPUTE_PGM_RSRC2:TRAP_HANDLER: 0
; COMPUTE_PGM_RSRC2:TGID_X_EN: 1
; COMPUTE_PGM_RSRC2:TGID_Y_EN: 0
; COMPUTE_PGM_RSRC2:TGID_Z_EN: 0
; COMPUTE_PGM_RSRC2:TIDIG_COMP_CNT: 0
	.section	.text._ZN2at6native29vectorized_elementwise_kernelILi8EZZZNS0_21clamp_min_kernel_cudaERNS_18TensorIteratorBaseERKN3c106ScalarEENKUlvE_clEvENKUlvE_clEvEUlhE_St5arrayIPcLm2EEEEviT0_T1_,"axG",@progbits,_ZN2at6native29vectorized_elementwise_kernelILi8EZZZNS0_21clamp_min_kernel_cudaERNS_18TensorIteratorBaseERKN3c106ScalarEENKUlvE_clEvENKUlvE_clEvEUlhE_St5arrayIPcLm2EEEEviT0_T1_,comdat
	.globl	_ZN2at6native29vectorized_elementwise_kernelILi8EZZZNS0_21clamp_min_kernel_cudaERNS_18TensorIteratorBaseERKN3c106ScalarEENKUlvE_clEvENKUlvE_clEvEUlhE_St5arrayIPcLm2EEEEviT0_T1_ ; -- Begin function _ZN2at6native29vectorized_elementwise_kernelILi8EZZZNS0_21clamp_min_kernel_cudaERNS_18TensorIteratorBaseERKN3c106ScalarEENKUlvE_clEvENKUlvE_clEvEUlhE_St5arrayIPcLm2EEEEviT0_T1_
	.p2align	8
	.type	_ZN2at6native29vectorized_elementwise_kernelILi8EZZZNS0_21clamp_min_kernel_cudaERNS_18TensorIteratorBaseERKN3c106ScalarEENKUlvE_clEvENKUlvE_clEvEUlhE_St5arrayIPcLm2EEEEviT0_T1_,@function
_ZN2at6native29vectorized_elementwise_kernelILi8EZZZNS0_21clamp_min_kernel_cudaERNS_18TensorIteratorBaseERKN3c106ScalarEENKUlvE_clEvENKUlvE_clEvEUlhE_St5arrayIPcLm2EEEEviT0_T1_: ; @_ZN2at6native29vectorized_elementwise_kernelILi8EZZZNS0_21clamp_min_kernel_cudaERNS_18TensorIteratorBaseERKN3c106ScalarEENKUlvE_clEvENKUlvE_clEvEUlhE_St5arrayIPcLm2EEEEviT0_T1_
; %bb.0:
	s_clause 0x1
	s_load_b64 s[2:3], s[0:1], 0x0
	s_load_b128 s[4:7], s[0:1], 0x8
	s_lshl_b32 s1, s15, 12
	s_mov_b32 s0, -1
	s_waitcnt lgkmcnt(0)
	v_and_b32_e64 v1, 0xff, s3
	s_sub_i32 s2, s2, s1
	s_delay_alu instid0(SALU_CYCLE_1)
	s_cmpk_gt_i32 s2, 0xfff
	s_cbranch_scc0 .LBB347_2
; %bb.1:
	v_lshlrev_b32_e32 v6, 3, v0
	s_ashr_i32 s0, s1, 31
	s_add_u32 s8, s6, s1
	s_addc_u32 s9, s7, s0
	s_clause 0x1
	global_load_b64 v[2:3], v6, s[8:9]
	global_load_b64 v[4:5], v6, s[8:9] offset:2048
	s_add_u32 s8, s4, s1
	s_addc_u32 s9, s5, s0
	s_mov_b32 s0, 0
	s_waitcnt vmcnt(1)
	v_lshrrev_b32_e32 v8, 8, v2
	v_lshrrev_b32_e32 v12, 16, v3
	s_waitcnt vmcnt(0)
	v_lshrrev_b32_e32 v14, 8, v4
	v_lshrrev_b32_e32 v9, 16, v2
	;; [unrolled: 1-line block ×3, first 2 shown]
	v_and_b32_e32 v8, 0xff, v8
	v_and_b32_e32 v10, 0xff, v3
	v_lshrrev_b32_e32 v3, 24, v3
	v_lshrrev_b32_e32 v15, 16, v4
	;; [unrolled: 1-line block ×4, first 2 shown]
	v_and_b32_e32 v12, 0xff, v12
	v_and_b32_e32 v14, 0xff, v14
	;; [unrolled: 1-line block ×3, first 2 shown]
	v_lshrrev_b32_e32 v2, 24, v2
	v_and_b32_e32 v9, 0xff, v9
	v_and_b32_e32 v11, 0xff, v11
	v_max_u16 v8, v8, v1
	v_and_b32_e32 v13, 0xff, v4
	v_lshrrev_b32_e32 v4, 24, v4
	v_and_b32_e32 v16, 0xff, v5
	v_lshrrev_b32_e32 v5, 24, v5
	v_and_b32_e32 v15, 0xff, v15
	v_and_b32_e32 v17, 0xff, v17
	;; [unrolled: 1-line block ×3, first 2 shown]
	v_max_u16 v3, v3, v1
	v_max_u16 v12, v12, v1
	;; [unrolled: 1-line block ×6, first 2 shown]
	v_and_b32_e32 v8, 0xffff, v8
	v_max_u16 v4, v4, v1
	v_max_u16 v5, v5, v1
	;; [unrolled: 1-line block ×5, first 2 shown]
	v_lshlrev_b32_e32 v3, 24, v3
	v_lshlrev_b32_e32 v12, 16, v12
	v_and_b32_e32 v14, 0xffff, v14
	v_max_u16 v7, v7, v1
	v_max_u16 v10, v10, v1
	v_lshlrev_b32_e32 v2, 24, v2
	v_and_b32_e32 v11, 0xffff, v11
	v_lshlrev_b32_e32 v9, 16, v9
	v_lshlrev_b32_e32 v8, 8, v8
	v_max_u16 v13, v13, v1
	v_max_u16 v16, v16, v1
	v_lshlrev_b32_e32 v5, 24, v5
	v_lshlrev_b32_e32 v4, 24, v4
	;; [unrolled: 1-line block ×3, first 2 shown]
	v_and_b32_e32 v17, 0xffff, v17
	v_lshlrev_b32_e32 v15, 16, v15
	v_or_b32_e32 v3, v3, v12
	v_lshlrev_b32_e32 v12, 8, v14
	v_and_b32_e32 v10, 0xffff, v10
	v_and_b32_e32 v7, 0xffff, v7
	v_lshlrev_b32_e32 v11, 8, v11
	v_or3_b32 v2, v2, v9, v8
	v_and_b32_e32 v16, 0xffff, v16
	v_and_b32_e32 v13, 0xffff, v13
	v_or_b32_e32 v5, v5, v18
	v_lshlrev_b32_e32 v14, 8, v17
	v_or3_b32 v4, v4, v15, v12
	v_or3_b32 v3, v3, v11, v10
	v_or_b32_e32 v2, v2, v7
	s_delay_alu instid0(VALU_DEP_4) | instskip(NEXT) | instid1(VALU_DEP_4)
	v_or3_b32 v5, v5, v14, v16
	v_or_b32_e32 v4, v4, v13
	s_clause 0x1
	global_store_b64 v6, v[2:3], s[8:9]
	global_store_b64 v6, v[4:5], s[8:9] offset:2048
.LBB347_2:
	s_and_not1_b32 vcc_lo, exec_lo, s0
	s_cbranch_vccnz .LBB347_52
; %bb.3:
	v_cmp_gt_i32_e32 vcc_lo, s2, v0
	v_dual_mov_b32 v5, 0 :: v_dual_mov_b32 v6, 0
	v_or_b32_e32 v2, s1, v0
	v_or_b32_e32 v3, 0x100, v0
	v_mov_b32_e32 v11, v0
	s_and_saveexec_b32 s0, vcc_lo
	s_cbranch_execz .LBB347_5
; %bb.4:
	global_load_u8 v6, v2, s[6:7]
	v_or_b32_e32 v11, 0x100, v0
.LBB347_5:
	s_or_b32 exec_lo, exec_lo, s0
	s_delay_alu instid0(SALU_CYCLE_1) | instskip(NEXT) | instid1(VALU_DEP_1)
	s_mov_b32 s3, exec_lo
	v_cmpx_gt_i32_e64 s2, v11
	s_cbranch_execz .LBB347_7
; %bb.6:
	v_add_nc_u32_e32 v4, s1, v11
	v_add_nc_u32_e32 v11, 0x100, v11
	global_load_u8 v5, v4, s[6:7]
.LBB347_7:
	s_or_b32 exec_lo, exec_lo, s3
	v_dual_mov_b32 v9, 0 :: v_dual_mov_b32 v12, 0
	s_mov_b32 s3, exec_lo
	v_cmpx_gt_i32_e64 s2, v11
	s_cbranch_execz .LBB347_9
; %bb.8:
	v_add_nc_u32_e32 v4, s1, v11
	v_add_nc_u32_e32 v11, 0x100, v11
	global_load_u8 v12, v4, s[6:7]
.LBB347_9:
	s_or_b32 exec_lo, exec_lo, s3
	s_delay_alu instid0(SALU_CYCLE_1)
	s_mov_b32 s3, exec_lo
	v_cmpx_gt_i32_e64 s2, v11
	s_cbranch_execz .LBB347_11
; %bb.10:
	v_add_nc_u32_e32 v4, s1, v11
	v_add_nc_u32_e32 v11, 0x100, v11
	global_load_u8 v9, v4, s[6:7]
.LBB347_11:
	s_or_b32 exec_lo, exec_lo, s3
	v_dual_mov_b32 v14, 0 :: v_dual_mov_b32 v15, 0
	s_mov_b32 s3, exec_lo
	v_cmpx_gt_i32_e64 s2, v11
	s_cbranch_execz .LBB347_13
; %bb.12:
	v_add_nc_u32_e32 v4, s1, v11
	v_add_nc_u32_e32 v11, 0x100, v11
	global_load_u8 v15, v4, s[6:7]
.LBB347_13:
	s_or_b32 exec_lo, exec_lo, s3
	s_delay_alu instid0(SALU_CYCLE_1)
	s_mov_b32 s3, exec_lo
	v_cmpx_gt_i32_e64 s2, v11
	s_cbranch_execz .LBB347_15
; %bb.14:
	v_add_nc_u32_e32 v4, s1, v11
	v_add_nc_u32_e32 v11, 0x100, v11
	global_load_u8 v14, v4, s[6:7]
.LBB347_15:
	s_or_b32 exec_lo, exec_lo, s3
	v_mov_b32_e32 v4, 0
	v_mov_b32_e32 v16, 0
	s_mov_b32 s3, exec_lo
	v_cmpx_gt_i32_e64 s2, v11
	s_cbranch_execz .LBB347_17
; %bb.16:
	v_add_nc_u32_e32 v7, s1, v11
	v_add_nc_u32_e32 v11, 0x100, v11
	global_load_u8 v16, v7, s[6:7]
.LBB347_17:
	s_or_b32 exec_lo, exec_lo, s3
	s_delay_alu instid0(SALU_CYCLE_1)
	s_mov_b32 s3, exec_lo
	v_cmpx_gt_i32_e64 s2, v11
	s_cbranch_execz .LBB347_19
; %bb.18:
	v_add_nc_u32_e32 v4, s1, v11
	v_add_nc_u32_e32 v11, 0x100, v11
	global_load_u8 v4, v4, s[6:7]
.LBB347_19:
	s_or_b32 exec_lo, exec_lo, s3
	v_dual_mov_b32 v10, 0 :: v_dual_mov_b32 v7, 0
	s_mov_b32 s3, exec_lo
	v_cmpx_gt_i32_e64 s2, v11
	s_cbranch_execz .LBB347_21
; %bb.20:
	v_add_nc_u32_e32 v7, s1, v11
	v_add_nc_u32_e32 v11, 0x100, v11
	global_load_u8 v7, v7, s[6:7]
.LBB347_21:
	s_or_b32 exec_lo, exec_lo, s3
	s_delay_alu instid0(SALU_CYCLE_1)
	s_mov_b32 s3, exec_lo
	v_cmpx_gt_i32_e64 s2, v11
	s_cbranch_execz .LBB347_23
; %bb.22:
	v_add_nc_u32_e32 v8, s1, v11
	v_add_nc_u32_e32 v11, 0x100, v11
	global_load_u8 v10, v8, s[6:7]
.LBB347_23:
	s_or_b32 exec_lo, exec_lo, s3
	v_dual_mov_b32 v8, 0 :: v_dual_mov_b32 v13, 0
	s_mov_b32 s3, exec_lo
	v_cmpx_gt_i32_e64 s2, v11
	s_cbranch_execz .LBB347_25
; %bb.24:
	v_add_nc_u32_e32 v13, s1, v11
	v_add_nc_u32_e32 v11, 0x100, v11
	global_load_u8 v13, v13, s[6:7]
.LBB347_25:
	s_or_b32 exec_lo, exec_lo, s3
	s_delay_alu instid0(SALU_CYCLE_1)
	s_mov_b32 s3, exec_lo
	v_cmpx_gt_i32_e64 s2, v11
	s_cbranch_execz .LBB347_27
; %bb.26:
	v_add_nc_u32_e32 v8, s1, v11
	v_add_nc_u32_e32 v11, 0x100, v11
	global_load_u8 v8, v8, s[6:7]
.LBB347_27:
	s_or_b32 exec_lo, exec_lo, s3
	v_mov_b32_e32 v18, 0
	v_mov_b32_e32 v20, 0
	s_mov_b32 s3, exec_lo
	v_cmpx_gt_i32_e64 s2, v11
	s_cbranch_execz .LBB347_29
; %bb.28:
	v_add_nc_u32_e32 v17, s1, v11
	v_add_nc_u32_e32 v11, 0x100, v11
	global_load_u8 v20, v17, s[6:7]
.LBB347_29:
	s_or_b32 exec_lo, exec_lo, s3
	s_delay_alu instid0(SALU_CYCLE_1)
	s_mov_b32 s3, exec_lo
	v_cmpx_gt_i32_e64 s2, v11
	s_cbranch_execz .LBB347_31
; %bb.30:
	v_add_nc_u32_e32 v17, s1, v11
	v_add_nc_u32_e32 v11, 0x100, v11
	global_load_u8 v18, v17, s[6:7]
.LBB347_31:
	s_or_b32 exec_lo, exec_lo, s3
	v_mov_b32_e32 v17, 0
	v_mov_b32_e32 v19, 0
	s_mov_b32 s3, exec_lo
	v_cmpx_gt_i32_e64 s2, v11
	s_cbranch_execz .LBB347_33
; %bb.32:
	v_add_nc_u32_e32 v19, s1, v11
	v_add_nc_u32_e32 v11, 0x100, v11
	global_load_u8 v19, v19, s[6:7]
.LBB347_33:
	s_or_b32 exec_lo, exec_lo, s3
	s_delay_alu instid0(SALU_CYCLE_1)
	s_mov_b32 s3, exec_lo
	v_cmpx_gt_i32_e64 s2, v11
	s_cbranch_execz .LBB347_35
; %bb.34:
	v_add_nc_u32_e32 v11, s1, v11
	global_load_u8 v17, v11, s[6:7]
.LBB347_35:
	s_or_b32 exec_lo, exec_lo, s3
	s_waitcnt vmcnt(0)
	v_and_b32_e32 v5, 0xff, v5
	v_and_b32_e32 v6, 0xff, v6
	v_and_b32_e32 v11, 0xff, v15
	v_or_b32_e32 v21, 0x400, v0
	v_and_b32_e32 v12, 0xff, v12
	v_max_u16 v5, v5, v1
	v_max_u16 v6, v6, v1
	;; [unrolled: 1-line block ×3, first 2 shown]
	v_and_b32_e32 v14, 0xff, v14
	v_cmp_gt_i32_e64 s0, s2, v21
	v_lshlrev_b16 v5, 8, v5
	v_max_u16 v12, v12, v1
	v_and_b32_e32 v11, 0xffff, v11
	v_max_u16 v14, v14, v1
	v_or_b32_e32 v15, 0x200, v0
	v_or_b32_e32 v5, v6, v5
	v_and_b32_e32 v6, 0xffff, v6
	v_cndmask_b32_e64 v11, 0, v11, s0
	v_cmp_gt_i32_e64 s0, s2, v3
	v_lshlrev_b16 v14, 8, v14
	v_and_b32_e32 v5, 0xffff, v5
	v_lshlrev_b32_e32 v12, 16, v12
	v_and_b32_e32 v21, 0xff, v11
	v_or_b32_e32 v22, 0x500, v0
	v_and_b32_e32 v18, 0xff, v18
	v_cndmask_b32_e64 v5, v6, v5, s0
	v_and_b32_e32 v6, 0xff, v16
	v_or_b32_e32 v14, v21, v14
	v_and_b32_e32 v16, 0xff, v20
	v_cmp_gt_i32_e64 s0, s2, v15
	v_or_b32_e32 v12, v5, v12
	v_or_b32_e32 v20, 0xc00, v0
	v_and_b32_e32 v14, 0xffff, v14
	v_max_u16 v16, v16, v1
	v_and_b32_e32 v9, 0xff, v9
	v_cndmask_b32_e64 v5, v5, v12, s0
	v_cmp_gt_i32_e64 s0, s2, v22
	v_max_u16 v15, v18, v1
	v_and_b32_e32 v12, 0xffff, v16
	v_max_u16 v9, v9, v1
	v_max_u16 v6, v6, v1
	v_cndmask_b32_e64 v11, v11, v14, s0
	v_cmp_gt_i32_e64 s0, s2, v20
	v_lshrrev_b32_e32 v14, 16, v5
	v_lshlrev_b16 v15, 8, v15
	v_lshlrev_b16 v9, 8, v9
	v_lshrrev_b32_e32 v16, 16, v11
	v_cndmask_b32_e64 v12, 0, v12, s0
	v_and_b32_e32 v14, 0xff, v14
	v_and_b32_e32 v10, 0xff, v10
	;; [unrolled: 1-line block ×5, first 2 shown]
	v_or_b32_e32 v9, v14, v9
	v_or_b32_e32 v14, 0x600, v0
	v_max_u16 v10, v10, v1
	v_or_b32_e32 v6, v6, v16
	v_or_b32_e32 v15, v18, v15
	;; [unrolled: 1-line block ×3, first 2 shown]
	v_max_u16 v7, v7, v1
	v_lshlrev_b16 v10, 8, v10
	v_lshlrev_b32_e32 v6, 16, v6
	v_and_b32_e32 v15, 0xffff, v15
	v_cmp_gt_i32_e64 s0, s2, v16
	v_and_b32_e32 v4, 0xff, v4
	v_and_b32_e32 v8, 0xff, v8
	v_and_or_b32 v6, 0xffff, v11, v6
	v_lshlrev_b32_e32 v9, 16, v9
	v_cndmask_b32_e64 v12, v12, v15, s0
	v_cmp_gt_i32_e64 s0, s2, v14
	v_and_b32_e32 v14, 0xff, v19
	v_and_b32_e32 v15, 0xffff, v7
	v_or_b32_e32 v7, v7, v10
	v_and_b32_e32 v10, 0xff, v13
	v_cndmask_b32_e64 v11, v11, v6, s0
	v_lshrrev_b32_e32 v6, 16, v12
	v_max_u16 v13, v14, v1
	v_or_b32_e32 v14, 0x900, v0
	v_and_b32_e32 v7, 0xffff, v7
	v_max_u16 v10, v10, v1
	v_and_b32_e32 v6, 0xffffff00, v6
	v_lshrrev_b32_e32 v16, 16, v11
	v_cmp_gt_i32_e64 s0, s2, v14
	v_or_b32_e32 v14, 0xa00, v0
	v_lshlrev_b32_e32 v10, 16, v10
	v_or_b32_e32 v6, v13, v6
	v_max_u16 v4, v4, v1
	v_cndmask_b32_e64 v7, v15, v7, s0
	v_or_b32_e32 v15, 0xe00, v0
	v_cmp_gt_i32_e64 s0, s2, v14
	v_lshlrev_b32_e32 v6, 16, v6
	v_and_b32_e32 v13, 0xff, v16
	v_or_b32_e32 v10, v7, v10
	v_lshlrev_b16 v4, 8, v4
	v_max_u16 v8, v8, v1
	v_and_or_b32 v6, 0xffff, v12, v6
	v_and_or_b32 v9, 0xffff, v5, v9
	v_cndmask_b32_e64 v7, v7, v10, s0
	v_cmp_gt_i32_e64 s0, s2, v15
	v_or_b32_e32 v4, v13, v4
	v_lshlrev_b16 v8, 8, v8
	v_or_b32_e32 v13, 0x300, v0
	s_delay_alu instid0(VALU_DEP_4) | instskip(SKIP_2) | instid1(VALU_DEP_4)
	v_cndmask_b32_e64 v10, v12, v6, s0
	v_and_b32_e32 v6, 0xff, v17
	v_lshrrev_b32_e32 v12, 16, v7
	v_cmp_gt_i32_e64 s0, s2, v13
	v_lshlrev_b32_e32 v4, 16, v4
	v_lshrrev_b32_e32 v14, 16, v10
	v_max_u16 v1, v6, v1
	v_and_b32_e32 v6, 0xff, v12
	v_or_b32_e32 v13, 0xf00, v0
	v_and_or_b32 v4, 0xffff, v11, v4
	v_and_b32_e32 v12, 0xff, v14
	v_lshlrev_b16 v1, 8, v1
	v_or_b32_e32 v8, v6, v8
	v_cndmask_b32_e64 v6, v5, v9, s0
	v_or_b32_e32 v9, 0xb00, v0
	s_delay_alu instid0(VALU_DEP_4) | instskip(NEXT) | instid1(VALU_DEP_4)
	v_or_b32_e32 v1, v12, v1
	v_lshlrev_b32_e32 v5, 16, v8
	v_or_b32_e32 v8, 0x700, v0
	s_delay_alu instid0(VALU_DEP_3) | instskip(NEXT) | instid1(VALU_DEP_3)
	v_lshlrev_b32_e32 v1, 16, v1
	v_and_or_b32 v12, 0xffff, v7, v5
	s_delay_alu instid0(VALU_DEP_3) | instskip(NEXT) | instid1(VALU_DEP_3)
	v_cmp_gt_i32_e64 s0, s2, v8
	v_and_or_b32 v1, 0xffff, v10, v1
	s_delay_alu instid0(VALU_DEP_2) | instskip(SKIP_1) | instid1(VALU_DEP_1)
	v_cndmask_b32_e64 v5, v11, v4, s0
	v_cmp_gt_i32_e64 s0, s2, v9
	v_cndmask_b32_e64 v4, v7, v12, s0
	v_cmp_gt_i32_e64 s0, s2, v13
	s_delay_alu instid0(VALU_DEP_1)
	v_cndmask_b32_e64 v1, v10, v1, s0
	s_and_saveexec_b32 s0, vcc_lo
	s_cbranch_execnz .LBB347_53
; %bb.36:
	s_or_b32 exec_lo, exec_lo, s0
	s_delay_alu instid0(SALU_CYCLE_1)
	s_mov_b32 s0, exec_lo
	v_cmpx_gt_i32_e64 s2, v0
	s_cbranch_execnz .LBB347_54
.LBB347_37:
	s_or_b32 exec_lo, exec_lo, s0
	s_delay_alu instid0(SALU_CYCLE_1)
	s_mov_b32 s0, exec_lo
	v_cmpx_gt_i32_e64 s2, v0
	s_cbranch_execnz .LBB347_55
.LBB347_38:
	s_or_b32 exec_lo, exec_lo, s0
	s_delay_alu instid0(SALU_CYCLE_1)
	s_mov_b32 s0, exec_lo
	v_cmpx_gt_i32_e64 s2, v0
	s_cbranch_execnz .LBB347_56
.LBB347_39:
	s_or_b32 exec_lo, exec_lo, s0
	s_delay_alu instid0(SALU_CYCLE_1)
	s_mov_b32 s0, exec_lo
	v_cmpx_gt_i32_e64 s2, v0
	s_cbranch_execnz .LBB347_57
.LBB347_40:
	s_or_b32 exec_lo, exec_lo, s0
	s_delay_alu instid0(SALU_CYCLE_1)
	s_mov_b32 s0, exec_lo
	v_cmpx_gt_i32_e64 s2, v0
	s_cbranch_execnz .LBB347_58
.LBB347_41:
	s_or_b32 exec_lo, exec_lo, s0
	s_delay_alu instid0(SALU_CYCLE_1)
	s_mov_b32 s0, exec_lo
	v_cmpx_gt_i32_e64 s2, v0
	s_cbranch_execnz .LBB347_59
.LBB347_42:
	s_or_b32 exec_lo, exec_lo, s0
	s_delay_alu instid0(SALU_CYCLE_1)
	s_mov_b32 s0, exec_lo
	v_cmpx_gt_i32_e64 s2, v0
	s_cbranch_execnz .LBB347_60
.LBB347_43:
	s_or_b32 exec_lo, exec_lo, s0
	s_delay_alu instid0(SALU_CYCLE_1)
	s_mov_b32 s0, exec_lo
	v_cmpx_gt_i32_e64 s2, v0
	s_cbranch_execnz .LBB347_61
.LBB347_44:
	s_or_b32 exec_lo, exec_lo, s0
	s_delay_alu instid0(SALU_CYCLE_1)
	s_mov_b32 s0, exec_lo
	v_cmpx_gt_i32_e64 s2, v0
	s_cbranch_execnz .LBB347_62
.LBB347_45:
	s_or_b32 exec_lo, exec_lo, s0
	s_delay_alu instid0(SALU_CYCLE_1)
	s_mov_b32 s0, exec_lo
	v_cmpx_gt_i32_e64 s2, v0
	s_cbranch_execnz .LBB347_63
.LBB347_46:
	s_or_b32 exec_lo, exec_lo, s0
	s_delay_alu instid0(SALU_CYCLE_1)
	s_mov_b32 s0, exec_lo
	v_cmpx_gt_i32_e64 s2, v0
	s_cbranch_execnz .LBB347_64
.LBB347_47:
	s_or_b32 exec_lo, exec_lo, s0
	s_delay_alu instid0(SALU_CYCLE_1)
	s_mov_b32 s0, exec_lo
	v_cmpx_gt_i32_e64 s2, v0
	s_cbranch_execnz .LBB347_65
.LBB347_48:
	s_or_b32 exec_lo, exec_lo, s0
	s_delay_alu instid0(SALU_CYCLE_1)
	s_mov_b32 s0, exec_lo
	v_cmpx_gt_i32_e64 s2, v0
	s_cbranch_execnz .LBB347_66
.LBB347_49:
	s_or_b32 exec_lo, exec_lo, s0
	s_delay_alu instid0(SALU_CYCLE_1)
	s_mov_b32 s0, exec_lo
	v_cmpx_gt_i32_e64 s2, v0
	s_cbranch_execnz .LBB347_67
.LBB347_50:
	s_or_b32 exec_lo, exec_lo, s0
	s_delay_alu instid0(SALU_CYCLE_1)
	s_mov_b32 s0, exec_lo
	v_cmpx_gt_i32_e64 s2, v0
	s_cbranch_execz .LBB347_52
.LBB347_51:
	v_add_nc_u32_e32 v0, s1, v0
	v_lshrrev_b32_e32 v1, 24, v1
	global_store_b8 v0, v1, s[4:5]
.LBB347_52:
	s_nop 0
	s_sendmsg sendmsg(MSG_DEALLOC_VGPRS)
	s_endpgm
.LBB347_53:
	v_mov_b32_e32 v0, v3
	global_store_b8 v2, v6, s[4:5]
	s_or_b32 exec_lo, exec_lo, s0
	s_delay_alu instid0(SALU_CYCLE_1)
	s_mov_b32 s0, exec_lo
	v_cmpx_gt_i32_e64 s2, v0
	s_cbranch_execz .LBB347_37
.LBB347_54:
	v_add_nc_u32_e32 v2, s1, v0
	v_lshrrev_b32_e32 v3, 8, v6
	v_add_nc_u32_e32 v0, 0x100, v0
	global_store_b8 v2, v3, s[4:5]
	s_or_b32 exec_lo, exec_lo, s0
	s_delay_alu instid0(SALU_CYCLE_1)
	s_mov_b32 s0, exec_lo
	v_cmpx_gt_i32_e64 s2, v0
	s_cbranch_execz .LBB347_38
.LBB347_55:
	v_add_nc_u32_e32 v2, s1, v0
	v_add_nc_u32_e32 v0, 0x100, v0
	global_store_d16_hi_b8 v2, v6, s[4:5]
	s_or_b32 exec_lo, exec_lo, s0
	s_delay_alu instid0(SALU_CYCLE_1)
	s_mov_b32 s0, exec_lo
	v_cmpx_gt_i32_e64 s2, v0
	s_cbranch_execz .LBB347_39
.LBB347_56:
	v_add_nc_u32_e32 v2, s1, v0
	v_lshrrev_b32_e32 v3, 24, v6
	v_add_nc_u32_e32 v0, 0x100, v0
	global_store_b8 v2, v3, s[4:5]
	s_or_b32 exec_lo, exec_lo, s0
	s_delay_alu instid0(SALU_CYCLE_1)
	s_mov_b32 s0, exec_lo
	v_cmpx_gt_i32_e64 s2, v0
	s_cbranch_execz .LBB347_40
.LBB347_57:
	v_add_nc_u32_e32 v2, s1, v0
	v_add_nc_u32_e32 v0, 0x100, v0
	global_store_b8 v2, v5, s[4:5]
	s_or_b32 exec_lo, exec_lo, s0
	s_delay_alu instid0(SALU_CYCLE_1)
	s_mov_b32 s0, exec_lo
	v_cmpx_gt_i32_e64 s2, v0
	s_cbranch_execz .LBB347_41
.LBB347_58:
	v_add_nc_u32_e32 v2, s1, v0
	v_lshrrev_b32_e32 v3, 8, v5
	v_add_nc_u32_e32 v0, 0x100, v0
	global_store_b8 v2, v3, s[4:5]
	s_or_b32 exec_lo, exec_lo, s0
	s_delay_alu instid0(SALU_CYCLE_1)
	s_mov_b32 s0, exec_lo
	v_cmpx_gt_i32_e64 s2, v0
	s_cbranch_execz .LBB347_42
.LBB347_59:
	v_add_nc_u32_e32 v2, s1, v0
	v_add_nc_u32_e32 v0, 0x100, v0
	global_store_d16_hi_b8 v2, v5, s[4:5]
	s_or_b32 exec_lo, exec_lo, s0
	s_delay_alu instid0(SALU_CYCLE_1)
	s_mov_b32 s0, exec_lo
	v_cmpx_gt_i32_e64 s2, v0
	s_cbranch_execz .LBB347_43
.LBB347_60:
	v_add_nc_u32_e32 v2, s1, v0
	v_lshrrev_b32_e32 v3, 24, v5
	v_add_nc_u32_e32 v0, 0x100, v0
	global_store_b8 v2, v3, s[4:5]
	s_or_b32 exec_lo, exec_lo, s0
	s_delay_alu instid0(SALU_CYCLE_1)
	s_mov_b32 s0, exec_lo
	v_cmpx_gt_i32_e64 s2, v0
	s_cbranch_execz .LBB347_44
.LBB347_61:
	v_add_nc_u32_e32 v2, s1, v0
	v_add_nc_u32_e32 v0, 0x100, v0
	global_store_b8 v2, v4, s[4:5]
	s_or_b32 exec_lo, exec_lo, s0
	s_delay_alu instid0(SALU_CYCLE_1)
	s_mov_b32 s0, exec_lo
	v_cmpx_gt_i32_e64 s2, v0
	s_cbranch_execz .LBB347_45
.LBB347_62:
	v_add_nc_u32_e32 v2, s1, v0
	v_lshrrev_b32_e32 v3, 8, v4
	v_add_nc_u32_e32 v0, 0x100, v0
	global_store_b8 v2, v3, s[4:5]
	s_or_b32 exec_lo, exec_lo, s0
	s_delay_alu instid0(SALU_CYCLE_1)
	s_mov_b32 s0, exec_lo
	v_cmpx_gt_i32_e64 s2, v0
	s_cbranch_execz .LBB347_46
.LBB347_63:
	v_add_nc_u32_e32 v2, s1, v0
	v_add_nc_u32_e32 v0, 0x100, v0
	global_store_d16_hi_b8 v2, v4, s[4:5]
	s_or_b32 exec_lo, exec_lo, s0
	s_delay_alu instid0(SALU_CYCLE_1)
	s_mov_b32 s0, exec_lo
	v_cmpx_gt_i32_e64 s2, v0
	s_cbranch_execz .LBB347_47
.LBB347_64:
	v_add_nc_u32_e32 v2, s1, v0
	v_lshrrev_b32_e32 v3, 24, v4
	v_add_nc_u32_e32 v0, 0x100, v0
	global_store_b8 v2, v3, s[4:5]
	s_or_b32 exec_lo, exec_lo, s0
	s_delay_alu instid0(SALU_CYCLE_1)
	s_mov_b32 s0, exec_lo
	v_cmpx_gt_i32_e64 s2, v0
	s_cbranch_execz .LBB347_48
.LBB347_65:
	v_add_nc_u32_e32 v2, s1, v0
	v_add_nc_u32_e32 v0, 0x100, v0
	global_store_b8 v2, v1, s[4:5]
	s_or_b32 exec_lo, exec_lo, s0
	s_delay_alu instid0(SALU_CYCLE_1)
	s_mov_b32 s0, exec_lo
	v_cmpx_gt_i32_e64 s2, v0
	s_cbranch_execz .LBB347_49
.LBB347_66:
	v_add_nc_u32_e32 v2, s1, v0
	v_lshrrev_b32_e32 v3, 8, v1
	v_add_nc_u32_e32 v0, 0x100, v0
	global_store_b8 v2, v3, s[4:5]
	s_or_b32 exec_lo, exec_lo, s0
	s_delay_alu instid0(SALU_CYCLE_1)
	s_mov_b32 s0, exec_lo
	v_cmpx_gt_i32_e64 s2, v0
	s_cbranch_execz .LBB347_50
.LBB347_67:
	v_add_nc_u32_e32 v2, s1, v0
	v_add_nc_u32_e32 v0, 0x100, v0
	global_store_d16_hi_b8 v2, v1, s[4:5]
	s_or_b32 exec_lo, exec_lo, s0
	s_delay_alu instid0(SALU_CYCLE_1)
	s_mov_b32 s0, exec_lo
	v_cmpx_gt_i32_e64 s2, v0
	s_cbranch_execnz .LBB347_51
	s_branch .LBB347_52
	.section	.rodata,"a",@progbits
	.p2align	6, 0x0
	.amdhsa_kernel _ZN2at6native29vectorized_elementwise_kernelILi8EZZZNS0_21clamp_min_kernel_cudaERNS_18TensorIteratorBaseERKN3c106ScalarEENKUlvE_clEvENKUlvE_clEvEUlhE_St5arrayIPcLm2EEEEviT0_T1_
		.amdhsa_group_segment_fixed_size 0
		.amdhsa_private_segment_fixed_size 0
		.amdhsa_kernarg_size 24
		.amdhsa_user_sgpr_count 15
		.amdhsa_user_sgpr_dispatch_ptr 0
		.amdhsa_user_sgpr_queue_ptr 0
		.amdhsa_user_sgpr_kernarg_segment_ptr 1
		.amdhsa_user_sgpr_dispatch_id 0
		.amdhsa_user_sgpr_private_segment_size 0
		.amdhsa_wavefront_size32 1
		.amdhsa_uses_dynamic_stack 0
		.amdhsa_enable_private_segment 0
		.amdhsa_system_sgpr_workgroup_id_x 1
		.amdhsa_system_sgpr_workgroup_id_y 0
		.amdhsa_system_sgpr_workgroup_id_z 0
		.amdhsa_system_sgpr_workgroup_info 0
		.amdhsa_system_vgpr_workitem_id 0
		.amdhsa_next_free_vgpr 23
		.amdhsa_next_free_sgpr 16
		.amdhsa_reserve_vcc 1
		.amdhsa_float_round_mode_32 0
		.amdhsa_float_round_mode_16_64 0
		.amdhsa_float_denorm_mode_32 3
		.amdhsa_float_denorm_mode_16_64 3
		.amdhsa_dx10_clamp 1
		.amdhsa_ieee_mode 1
		.amdhsa_fp16_overflow 0
		.amdhsa_workgroup_processor_mode 1
		.amdhsa_memory_ordered 1
		.amdhsa_forward_progress 0
		.amdhsa_shared_vgpr_count 0
		.amdhsa_exception_fp_ieee_invalid_op 0
		.amdhsa_exception_fp_denorm_src 0
		.amdhsa_exception_fp_ieee_div_zero 0
		.amdhsa_exception_fp_ieee_overflow 0
		.amdhsa_exception_fp_ieee_underflow 0
		.amdhsa_exception_fp_ieee_inexact 0
		.amdhsa_exception_int_div_zero 0
	.end_amdhsa_kernel
	.section	.text._ZN2at6native29vectorized_elementwise_kernelILi8EZZZNS0_21clamp_min_kernel_cudaERNS_18TensorIteratorBaseERKN3c106ScalarEENKUlvE_clEvENKUlvE_clEvEUlhE_St5arrayIPcLm2EEEEviT0_T1_,"axG",@progbits,_ZN2at6native29vectorized_elementwise_kernelILi8EZZZNS0_21clamp_min_kernel_cudaERNS_18TensorIteratorBaseERKN3c106ScalarEENKUlvE_clEvENKUlvE_clEvEUlhE_St5arrayIPcLm2EEEEviT0_T1_,comdat
.Lfunc_end347:
	.size	_ZN2at6native29vectorized_elementwise_kernelILi8EZZZNS0_21clamp_min_kernel_cudaERNS_18TensorIteratorBaseERKN3c106ScalarEENKUlvE_clEvENKUlvE_clEvEUlhE_St5arrayIPcLm2EEEEviT0_T1_, .Lfunc_end347-_ZN2at6native29vectorized_elementwise_kernelILi8EZZZNS0_21clamp_min_kernel_cudaERNS_18TensorIteratorBaseERKN3c106ScalarEENKUlvE_clEvENKUlvE_clEvEUlhE_St5arrayIPcLm2EEEEviT0_T1_
                                        ; -- End function
	.section	.AMDGPU.csdata,"",@progbits
; Kernel info:
; codeLenInByte = 3376
; NumSgprs: 18
; NumVgprs: 23
; ScratchSize: 0
; MemoryBound: 0
; FloatMode: 240
; IeeeMode: 1
; LDSByteSize: 0 bytes/workgroup (compile time only)
; SGPRBlocks: 2
; VGPRBlocks: 2
; NumSGPRsForWavesPerEU: 18
; NumVGPRsForWavesPerEU: 23
; Occupancy: 16
; WaveLimiterHint : 1
; COMPUTE_PGM_RSRC2:SCRATCH_EN: 0
; COMPUTE_PGM_RSRC2:USER_SGPR: 15
; COMPUTE_PGM_RSRC2:TRAP_HANDLER: 0
; COMPUTE_PGM_RSRC2:TGID_X_EN: 1
; COMPUTE_PGM_RSRC2:TGID_Y_EN: 0
; COMPUTE_PGM_RSRC2:TGID_Z_EN: 0
; COMPUTE_PGM_RSRC2:TIDIG_COMP_CNT: 0
	.section	.text._ZN2at6native29vectorized_elementwise_kernelILi4EZZZNS0_21clamp_min_kernel_cudaERNS_18TensorIteratorBaseERKN3c106ScalarEENKUlvE_clEvENKUlvE_clEvEUlhE_St5arrayIPcLm2EEEEviT0_T1_,"axG",@progbits,_ZN2at6native29vectorized_elementwise_kernelILi4EZZZNS0_21clamp_min_kernel_cudaERNS_18TensorIteratorBaseERKN3c106ScalarEENKUlvE_clEvENKUlvE_clEvEUlhE_St5arrayIPcLm2EEEEviT0_T1_,comdat
	.globl	_ZN2at6native29vectorized_elementwise_kernelILi4EZZZNS0_21clamp_min_kernel_cudaERNS_18TensorIteratorBaseERKN3c106ScalarEENKUlvE_clEvENKUlvE_clEvEUlhE_St5arrayIPcLm2EEEEviT0_T1_ ; -- Begin function _ZN2at6native29vectorized_elementwise_kernelILi4EZZZNS0_21clamp_min_kernel_cudaERNS_18TensorIteratorBaseERKN3c106ScalarEENKUlvE_clEvENKUlvE_clEvEUlhE_St5arrayIPcLm2EEEEviT0_T1_
	.p2align	8
	.type	_ZN2at6native29vectorized_elementwise_kernelILi4EZZZNS0_21clamp_min_kernel_cudaERNS_18TensorIteratorBaseERKN3c106ScalarEENKUlvE_clEvENKUlvE_clEvEUlhE_St5arrayIPcLm2EEEEviT0_T1_,@function
_ZN2at6native29vectorized_elementwise_kernelILi4EZZZNS0_21clamp_min_kernel_cudaERNS_18TensorIteratorBaseERKN3c106ScalarEENKUlvE_clEvENKUlvE_clEvEUlhE_St5arrayIPcLm2EEEEviT0_T1_: ; @_ZN2at6native29vectorized_elementwise_kernelILi4EZZZNS0_21clamp_min_kernel_cudaERNS_18TensorIteratorBaseERKN3c106ScalarEENKUlvE_clEvENKUlvE_clEvEUlhE_St5arrayIPcLm2EEEEviT0_T1_
; %bb.0:
	s_clause 0x1
	s_load_b64 s[2:3], s[0:1], 0x0
	s_load_b128 s[4:7], s[0:1], 0x8
	s_lshl_b32 s1, s15, 12
	s_mov_b32 s0, -1
	s_waitcnt lgkmcnt(0)
	v_and_b32_e64 v1, 0xff, s3
	s_sub_i32 s2, s2, s1
	s_delay_alu instid0(SALU_CYCLE_1)
	s_cmpk_gt_i32 s2, 0xfff
	s_cbranch_scc0 .LBB348_2
; %bb.1:
	v_lshlrev_b32_e32 v2, 2, v0
	s_ashr_i32 s0, s1, 31
	s_add_u32 s8, s6, s1
	s_addc_u32 s9, s7, s0
	s_clause 0x3
	global_load_b32 v3, v2, s[8:9]
	global_load_b32 v4, v2, s[8:9] offset:1024
	global_load_b32 v5, v2, s[8:9] offset:2048
	;; [unrolled: 1-line block ×3, first 2 shown]
	s_add_u32 s8, s4, s1
	s_addc_u32 s9, s5, s0
	s_mov_b32 s0, 0
	s_waitcnt vmcnt(3)
	v_lshrrev_b32_e32 v8, 8, v3
	v_lshrrev_b32_e32 v9, 16, v3
	s_waitcnt vmcnt(2)
	v_lshrrev_b32_e32 v11, 8, v4
	v_lshrrev_b32_e32 v12, 16, v4
	;; [unrolled: 3-line block ×4, first 2 shown]
	v_and_b32_e32 v8, 0xff, v8
	v_and_b32_e32 v9, 0xff, v9
	;; [unrolled: 1-line block ×9, first 2 shown]
	v_lshrrev_b32_e32 v3, 24, v3
	v_max_u16 v8, v8, v1
	v_max_u16 v9, v9, v1
	v_and_b32_e32 v10, 0xff, v4
	v_lshrrev_b32_e32 v4, 24, v4
	v_max_u16 v11, v11, v1
	v_max_u16 v12, v12, v1
	v_and_b32_e32 v13, 0xff, v5
	v_lshrrev_b32_e32 v5, 24, v5
	v_max_u16 v14, v14, v1
	v_max_u16 v15, v15, v1
	v_and_b32_e32 v16, 0xff, v6
	v_lshrrev_b32_e32 v6, 24, v6
	v_max_u16 v17, v17, v1
	v_max_u16 v18, v18, v1
	;; [unrolled: 1-line block ×4, first 2 shown]
	v_lshlrev_b32_e32 v9, 16, v9
	v_and_b32_e32 v8, 0xffff, v8
	v_max_u16 v10, v10, v1
	v_max_u16 v4, v4, v1
	v_lshlrev_b32_e32 v12, 16, v12
	v_and_b32_e32 v11, 0xffff, v11
	v_max_u16 v13, v13, v1
	v_max_u16 v5, v5, v1
	;; [unrolled: 4-line block ×3, first 2 shown]
	v_lshlrev_b32_e32 v18, 16, v18
	v_and_b32_e32 v17, 0xffff, v17
	v_and_b32_e32 v7, 0xffff, v7
	v_lshl_or_b32 v3, v3, 24, v9
	v_lshlrev_b32_e32 v8, 8, v8
	v_and_b32_e32 v10, 0xffff, v10
	v_lshl_or_b32 v4, v4, 24, v12
	v_lshlrev_b32_e32 v9, 8, v11
	;; [unrolled: 3-line block ×4, first 2 shown]
	v_or3_b32 v3, v3, v8, v7
	v_or3_b32 v4, v4, v9, v10
	;; [unrolled: 1-line block ×3, first 2 shown]
	s_delay_alu instid0(VALU_DEP_4)
	v_or3_b32 v6, v6, v12, v16
	s_clause 0x3
	global_store_b32 v2, v3, s[8:9]
	global_store_b32 v2, v4, s[8:9] offset:1024
	global_store_b32 v2, v5, s[8:9] offset:2048
	;; [unrolled: 1-line block ×3, first 2 shown]
.LBB348_2:
	s_and_not1_b32 vcc_lo, exec_lo, s0
	s_cbranch_vccnz .LBB348_52
; %bb.3:
	v_cmp_gt_i32_e32 vcc_lo, s2, v0
	v_dual_mov_b32 v5, 0 :: v_dual_mov_b32 v6, 0
	v_or_b32_e32 v2, s1, v0
	v_or_b32_e32 v3, 0x100, v0
	v_mov_b32_e32 v11, v0
	s_and_saveexec_b32 s0, vcc_lo
	s_cbranch_execz .LBB348_5
; %bb.4:
	global_load_u8 v6, v2, s[6:7]
	v_or_b32_e32 v11, 0x100, v0
.LBB348_5:
	s_or_b32 exec_lo, exec_lo, s0
	s_delay_alu instid0(SALU_CYCLE_1) | instskip(NEXT) | instid1(VALU_DEP_1)
	s_mov_b32 s3, exec_lo
	v_cmpx_gt_i32_e64 s2, v11
	s_cbranch_execz .LBB348_7
; %bb.6:
	v_add_nc_u32_e32 v4, s1, v11
	v_add_nc_u32_e32 v11, 0x100, v11
	global_load_u8 v5, v4, s[6:7]
.LBB348_7:
	s_or_b32 exec_lo, exec_lo, s3
	v_dual_mov_b32 v9, 0 :: v_dual_mov_b32 v12, 0
	s_mov_b32 s3, exec_lo
	v_cmpx_gt_i32_e64 s2, v11
	s_cbranch_execz .LBB348_9
; %bb.8:
	v_add_nc_u32_e32 v4, s1, v11
	v_add_nc_u32_e32 v11, 0x100, v11
	global_load_u8 v12, v4, s[6:7]
.LBB348_9:
	s_or_b32 exec_lo, exec_lo, s3
	s_delay_alu instid0(SALU_CYCLE_1)
	s_mov_b32 s3, exec_lo
	v_cmpx_gt_i32_e64 s2, v11
	s_cbranch_execz .LBB348_11
; %bb.10:
	v_add_nc_u32_e32 v4, s1, v11
	v_add_nc_u32_e32 v11, 0x100, v11
	global_load_u8 v9, v4, s[6:7]
.LBB348_11:
	s_or_b32 exec_lo, exec_lo, s3
	v_dual_mov_b32 v14, 0 :: v_dual_mov_b32 v15, 0
	s_mov_b32 s3, exec_lo
	v_cmpx_gt_i32_e64 s2, v11
	s_cbranch_execz .LBB348_13
; %bb.12:
	v_add_nc_u32_e32 v4, s1, v11
	v_add_nc_u32_e32 v11, 0x100, v11
	global_load_u8 v15, v4, s[6:7]
.LBB348_13:
	s_or_b32 exec_lo, exec_lo, s3
	s_delay_alu instid0(SALU_CYCLE_1)
	s_mov_b32 s3, exec_lo
	v_cmpx_gt_i32_e64 s2, v11
	s_cbranch_execz .LBB348_15
; %bb.14:
	v_add_nc_u32_e32 v4, s1, v11
	v_add_nc_u32_e32 v11, 0x100, v11
	global_load_u8 v14, v4, s[6:7]
.LBB348_15:
	s_or_b32 exec_lo, exec_lo, s3
	v_mov_b32_e32 v4, 0
	v_mov_b32_e32 v16, 0
	s_mov_b32 s3, exec_lo
	v_cmpx_gt_i32_e64 s2, v11
	s_cbranch_execz .LBB348_17
; %bb.16:
	v_add_nc_u32_e32 v7, s1, v11
	v_add_nc_u32_e32 v11, 0x100, v11
	global_load_u8 v16, v7, s[6:7]
.LBB348_17:
	s_or_b32 exec_lo, exec_lo, s3
	s_delay_alu instid0(SALU_CYCLE_1)
	s_mov_b32 s3, exec_lo
	v_cmpx_gt_i32_e64 s2, v11
	s_cbranch_execz .LBB348_19
; %bb.18:
	v_add_nc_u32_e32 v4, s1, v11
	v_add_nc_u32_e32 v11, 0x100, v11
	global_load_u8 v4, v4, s[6:7]
.LBB348_19:
	s_or_b32 exec_lo, exec_lo, s3
	v_dual_mov_b32 v10, 0 :: v_dual_mov_b32 v7, 0
	s_mov_b32 s3, exec_lo
	v_cmpx_gt_i32_e64 s2, v11
	s_cbranch_execz .LBB348_21
; %bb.20:
	v_add_nc_u32_e32 v7, s1, v11
	v_add_nc_u32_e32 v11, 0x100, v11
	global_load_u8 v7, v7, s[6:7]
.LBB348_21:
	s_or_b32 exec_lo, exec_lo, s3
	s_delay_alu instid0(SALU_CYCLE_1)
	s_mov_b32 s3, exec_lo
	v_cmpx_gt_i32_e64 s2, v11
	s_cbranch_execz .LBB348_23
; %bb.22:
	v_add_nc_u32_e32 v8, s1, v11
	v_add_nc_u32_e32 v11, 0x100, v11
	global_load_u8 v10, v8, s[6:7]
.LBB348_23:
	s_or_b32 exec_lo, exec_lo, s3
	v_dual_mov_b32 v8, 0 :: v_dual_mov_b32 v13, 0
	s_mov_b32 s3, exec_lo
	v_cmpx_gt_i32_e64 s2, v11
	s_cbranch_execz .LBB348_25
; %bb.24:
	v_add_nc_u32_e32 v13, s1, v11
	v_add_nc_u32_e32 v11, 0x100, v11
	global_load_u8 v13, v13, s[6:7]
.LBB348_25:
	s_or_b32 exec_lo, exec_lo, s3
	s_delay_alu instid0(SALU_CYCLE_1)
	s_mov_b32 s3, exec_lo
	v_cmpx_gt_i32_e64 s2, v11
	s_cbranch_execz .LBB348_27
; %bb.26:
	v_add_nc_u32_e32 v8, s1, v11
	v_add_nc_u32_e32 v11, 0x100, v11
	global_load_u8 v8, v8, s[6:7]
.LBB348_27:
	s_or_b32 exec_lo, exec_lo, s3
	v_mov_b32_e32 v18, 0
	v_mov_b32_e32 v20, 0
	s_mov_b32 s3, exec_lo
	v_cmpx_gt_i32_e64 s2, v11
	s_cbranch_execz .LBB348_29
; %bb.28:
	v_add_nc_u32_e32 v17, s1, v11
	v_add_nc_u32_e32 v11, 0x100, v11
	global_load_u8 v20, v17, s[6:7]
.LBB348_29:
	s_or_b32 exec_lo, exec_lo, s3
	s_delay_alu instid0(SALU_CYCLE_1)
	s_mov_b32 s3, exec_lo
	v_cmpx_gt_i32_e64 s2, v11
	s_cbranch_execz .LBB348_31
; %bb.30:
	v_add_nc_u32_e32 v17, s1, v11
	v_add_nc_u32_e32 v11, 0x100, v11
	global_load_u8 v18, v17, s[6:7]
.LBB348_31:
	s_or_b32 exec_lo, exec_lo, s3
	v_mov_b32_e32 v17, 0
	v_mov_b32_e32 v19, 0
	s_mov_b32 s3, exec_lo
	v_cmpx_gt_i32_e64 s2, v11
	s_cbranch_execz .LBB348_33
; %bb.32:
	v_add_nc_u32_e32 v19, s1, v11
	v_add_nc_u32_e32 v11, 0x100, v11
	global_load_u8 v19, v19, s[6:7]
.LBB348_33:
	s_or_b32 exec_lo, exec_lo, s3
	s_delay_alu instid0(SALU_CYCLE_1)
	s_mov_b32 s3, exec_lo
	v_cmpx_gt_i32_e64 s2, v11
	s_cbranch_execz .LBB348_35
; %bb.34:
	v_add_nc_u32_e32 v11, s1, v11
	global_load_u8 v17, v11, s[6:7]
.LBB348_35:
	s_or_b32 exec_lo, exec_lo, s3
	s_waitcnt vmcnt(0)
	v_and_b32_e32 v5, 0xff, v5
	v_and_b32_e32 v6, 0xff, v6
	;; [unrolled: 1-line block ×3, first 2 shown]
	v_or_b32_e32 v21, 0x400, v0
	v_and_b32_e32 v12, 0xff, v12
	v_max_u16 v5, v5, v1
	v_max_u16 v6, v6, v1
	;; [unrolled: 1-line block ×3, first 2 shown]
	v_and_b32_e32 v14, 0xff, v14
	v_cmp_gt_i32_e64 s0, s2, v21
	v_lshlrev_b16 v5, 8, v5
	v_max_u16 v12, v12, v1
	v_and_b32_e32 v11, 0xffff, v11
	v_max_u16 v14, v14, v1
	v_or_b32_e32 v15, 0x200, v0
	v_or_b32_e32 v5, v6, v5
	v_and_b32_e32 v6, 0xffff, v6
	v_cndmask_b32_e64 v11, 0, v11, s0
	v_cmp_gt_i32_e64 s0, s2, v3
	v_lshlrev_b16 v14, 8, v14
	v_and_b32_e32 v5, 0xffff, v5
	v_lshlrev_b32_e32 v12, 16, v12
	v_and_b32_e32 v21, 0xff, v11
	v_or_b32_e32 v22, 0x500, v0
	v_and_b32_e32 v18, 0xff, v18
	v_cndmask_b32_e64 v5, v6, v5, s0
	v_and_b32_e32 v6, 0xff, v16
	v_or_b32_e32 v14, v21, v14
	v_and_b32_e32 v16, 0xff, v20
	v_cmp_gt_i32_e64 s0, s2, v15
	v_or_b32_e32 v12, v5, v12
	v_or_b32_e32 v20, 0xc00, v0
	v_and_b32_e32 v14, 0xffff, v14
	v_max_u16 v16, v16, v1
	v_and_b32_e32 v9, 0xff, v9
	v_cndmask_b32_e64 v5, v5, v12, s0
	v_cmp_gt_i32_e64 s0, s2, v22
	v_max_u16 v15, v18, v1
	v_and_b32_e32 v12, 0xffff, v16
	v_max_u16 v9, v9, v1
	v_max_u16 v6, v6, v1
	v_cndmask_b32_e64 v11, v11, v14, s0
	v_cmp_gt_i32_e64 s0, s2, v20
	v_lshrrev_b32_e32 v14, 16, v5
	v_lshlrev_b16 v15, 8, v15
	v_lshlrev_b16 v9, 8, v9
	v_lshrrev_b32_e32 v16, 16, v11
	v_cndmask_b32_e64 v12, 0, v12, s0
	v_and_b32_e32 v14, 0xff, v14
	v_and_b32_e32 v10, 0xff, v10
	;; [unrolled: 1-line block ×5, first 2 shown]
	v_or_b32_e32 v9, v14, v9
	v_or_b32_e32 v14, 0x600, v0
	v_max_u16 v10, v10, v1
	v_or_b32_e32 v6, v6, v16
	v_or_b32_e32 v15, v18, v15
	;; [unrolled: 1-line block ×3, first 2 shown]
	v_max_u16 v7, v7, v1
	v_lshlrev_b16 v10, 8, v10
	v_lshlrev_b32_e32 v6, 16, v6
	v_and_b32_e32 v15, 0xffff, v15
	v_cmp_gt_i32_e64 s0, s2, v16
	v_and_b32_e32 v4, 0xff, v4
	v_and_b32_e32 v8, 0xff, v8
	v_and_or_b32 v6, 0xffff, v11, v6
	v_lshlrev_b32_e32 v9, 16, v9
	v_cndmask_b32_e64 v12, v12, v15, s0
	v_cmp_gt_i32_e64 s0, s2, v14
	v_and_b32_e32 v14, 0xff, v19
	v_and_b32_e32 v15, 0xffff, v7
	v_or_b32_e32 v7, v7, v10
	v_and_b32_e32 v10, 0xff, v13
	v_cndmask_b32_e64 v11, v11, v6, s0
	v_lshrrev_b32_e32 v6, 16, v12
	v_max_u16 v13, v14, v1
	v_or_b32_e32 v14, 0x900, v0
	v_and_b32_e32 v7, 0xffff, v7
	v_max_u16 v10, v10, v1
	v_and_b32_e32 v6, 0xffffff00, v6
	v_lshrrev_b32_e32 v16, 16, v11
	v_cmp_gt_i32_e64 s0, s2, v14
	v_or_b32_e32 v14, 0xa00, v0
	v_lshlrev_b32_e32 v10, 16, v10
	v_or_b32_e32 v6, v13, v6
	v_max_u16 v4, v4, v1
	v_cndmask_b32_e64 v7, v15, v7, s0
	v_or_b32_e32 v15, 0xe00, v0
	v_cmp_gt_i32_e64 s0, s2, v14
	v_lshlrev_b32_e32 v6, 16, v6
	v_and_b32_e32 v13, 0xff, v16
	v_or_b32_e32 v10, v7, v10
	v_lshlrev_b16 v4, 8, v4
	v_max_u16 v8, v8, v1
	v_and_or_b32 v6, 0xffff, v12, v6
	v_and_or_b32 v9, 0xffff, v5, v9
	v_cndmask_b32_e64 v7, v7, v10, s0
	v_cmp_gt_i32_e64 s0, s2, v15
	v_or_b32_e32 v4, v13, v4
	v_lshlrev_b16 v8, 8, v8
	v_or_b32_e32 v13, 0x300, v0
	s_delay_alu instid0(VALU_DEP_4) | instskip(SKIP_2) | instid1(VALU_DEP_4)
	v_cndmask_b32_e64 v10, v12, v6, s0
	v_and_b32_e32 v6, 0xff, v17
	v_lshrrev_b32_e32 v12, 16, v7
	v_cmp_gt_i32_e64 s0, s2, v13
	v_lshlrev_b32_e32 v4, 16, v4
	v_lshrrev_b32_e32 v14, 16, v10
	v_max_u16 v1, v6, v1
	v_and_b32_e32 v6, 0xff, v12
	v_or_b32_e32 v13, 0xf00, v0
	v_and_or_b32 v4, 0xffff, v11, v4
	v_and_b32_e32 v12, 0xff, v14
	v_lshlrev_b16 v1, 8, v1
	v_or_b32_e32 v8, v6, v8
	v_cndmask_b32_e64 v6, v5, v9, s0
	v_or_b32_e32 v9, 0xb00, v0
	s_delay_alu instid0(VALU_DEP_4) | instskip(NEXT) | instid1(VALU_DEP_4)
	v_or_b32_e32 v1, v12, v1
	v_lshlrev_b32_e32 v5, 16, v8
	v_or_b32_e32 v8, 0x700, v0
	s_delay_alu instid0(VALU_DEP_3) | instskip(NEXT) | instid1(VALU_DEP_3)
	v_lshlrev_b32_e32 v1, 16, v1
	v_and_or_b32 v12, 0xffff, v7, v5
	s_delay_alu instid0(VALU_DEP_3) | instskip(NEXT) | instid1(VALU_DEP_3)
	v_cmp_gt_i32_e64 s0, s2, v8
	v_and_or_b32 v1, 0xffff, v10, v1
	s_delay_alu instid0(VALU_DEP_2) | instskip(SKIP_1) | instid1(VALU_DEP_1)
	v_cndmask_b32_e64 v5, v11, v4, s0
	v_cmp_gt_i32_e64 s0, s2, v9
	v_cndmask_b32_e64 v4, v7, v12, s0
	v_cmp_gt_i32_e64 s0, s2, v13
	s_delay_alu instid0(VALU_DEP_1)
	v_cndmask_b32_e64 v1, v10, v1, s0
	s_and_saveexec_b32 s0, vcc_lo
	s_cbranch_execnz .LBB348_53
; %bb.36:
	s_or_b32 exec_lo, exec_lo, s0
	s_delay_alu instid0(SALU_CYCLE_1)
	s_mov_b32 s0, exec_lo
	v_cmpx_gt_i32_e64 s2, v0
	s_cbranch_execnz .LBB348_54
.LBB348_37:
	s_or_b32 exec_lo, exec_lo, s0
	s_delay_alu instid0(SALU_CYCLE_1)
	s_mov_b32 s0, exec_lo
	v_cmpx_gt_i32_e64 s2, v0
	s_cbranch_execnz .LBB348_55
.LBB348_38:
	s_or_b32 exec_lo, exec_lo, s0
	s_delay_alu instid0(SALU_CYCLE_1)
	s_mov_b32 s0, exec_lo
	v_cmpx_gt_i32_e64 s2, v0
	s_cbranch_execnz .LBB348_56
.LBB348_39:
	s_or_b32 exec_lo, exec_lo, s0
	s_delay_alu instid0(SALU_CYCLE_1)
	s_mov_b32 s0, exec_lo
	v_cmpx_gt_i32_e64 s2, v0
	s_cbranch_execnz .LBB348_57
.LBB348_40:
	s_or_b32 exec_lo, exec_lo, s0
	s_delay_alu instid0(SALU_CYCLE_1)
	s_mov_b32 s0, exec_lo
	v_cmpx_gt_i32_e64 s2, v0
	s_cbranch_execnz .LBB348_58
.LBB348_41:
	s_or_b32 exec_lo, exec_lo, s0
	s_delay_alu instid0(SALU_CYCLE_1)
	s_mov_b32 s0, exec_lo
	v_cmpx_gt_i32_e64 s2, v0
	s_cbranch_execnz .LBB348_59
.LBB348_42:
	s_or_b32 exec_lo, exec_lo, s0
	s_delay_alu instid0(SALU_CYCLE_1)
	s_mov_b32 s0, exec_lo
	v_cmpx_gt_i32_e64 s2, v0
	s_cbranch_execnz .LBB348_60
.LBB348_43:
	s_or_b32 exec_lo, exec_lo, s0
	s_delay_alu instid0(SALU_CYCLE_1)
	s_mov_b32 s0, exec_lo
	v_cmpx_gt_i32_e64 s2, v0
	s_cbranch_execnz .LBB348_61
.LBB348_44:
	s_or_b32 exec_lo, exec_lo, s0
	s_delay_alu instid0(SALU_CYCLE_1)
	s_mov_b32 s0, exec_lo
	v_cmpx_gt_i32_e64 s2, v0
	s_cbranch_execnz .LBB348_62
.LBB348_45:
	s_or_b32 exec_lo, exec_lo, s0
	s_delay_alu instid0(SALU_CYCLE_1)
	s_mov_b32 s0, exec_lo
	v_cmpx_gt_i32_e64 s2, v0
	s_cbranch_execnz .LBB348_63
.LBB348_46:
	s_or_b32 exec_lo, exec_lo, s0
	s_delay_alu instid0(SALU_CYCLE_1)
	s_mov_b32 s0, exec_lo
	v_cmpx_gt_i32_e64 s2, v0
	s_cbranch_execnz .LBB348_64
.LBB348_47:
	s_or_b32 exec_lo, exec_lo, s0
	s_delay_alu instid0(SALU_CYCLE_1)
	s_mov_b32 s0, exec_lo
	v_cmpx_gt_i32_e64 s2, v0
	s_cbranch_execnz .LBB348_65
.LBB348_48:
	s_or_b32 exec_lo, exec_lo, s0
	s_delay_alu instid0(SALU_CYCLE_1)
	s_mov_b32 s0, exec_lo
	v_cmpx_gt_i32_e64 s2, v0
	s_cbranch_execnz .LBB348_66
.LBB348_49:
	s_or_b32 exec_lo, exec_lo, s0
	s_delay_alu instid0(SALU_CYCLE_1)
	s_mov_b32 s0, exec_lo
	v_cmpx_gt_i32_e64 s2, v0
	s_cbranch_execnz .LBB348_67
.LBB348_50:
	s_or_b32 exec_lo, exec_lo, s0
	s_delay_alu instid0(SALU_CYCLE_1)
	s_mov_b32 s0, exec_lo
	v_cmpx_gt_i32_e64 s2, v0
	s_cbranch_execz .LBB348_52
.LBB348_51:
	v_add_nc_u32_e32 v0, s1, v0
	v_lshrrev_b32_e32 v1, 24, v1
	global_store_b8 v0, v1, s[4:5]
.LBB348_52:
	s_nop 0
	s_sendmsg sendmsg(MSG_DEALLOC_VGPRS)
	s_endpgm
.LBB348_53:
	v_mov_b32_e32 v0, v3
	global_store_b8 v2, v6, s[4:5]
	s_or_b32 exec_lo, exec_lo, s0
	s_delay_alu instid0(SALU_CYCLE_1)
	s_mov_b32 s0, exec_lo
	v_cmpx_gt_i32_e64 s2, v0
	s_cbranch_execz .LBB348_37
.LBB348_54:
	v_add_nc_u32_e32 v2, s1, v0
	v_lshrrev_b32_e32 v3, 8, v6
	v_add_nc_u32_e32 v0, 0x100, v0
	global_store_b8 v2, v3, s[4:5]
	s_or_b32 exec_lo, exec_lo, s0
	s_delay_alu instid0(SALU_CYCLE_1)
	s_mov_b32 s0, exec_lo
	v_cmpx_gt_i32_e64 s2, v0
	s_cbranch_execz .LBB348_38
.LBB348_55:
	v_add_nc_u32_e32 v2, s1, v0
	v_add_nc_u32_e32 v0, 0x100, v0
	global_store_d16_hi_b8 v2, v6, s[4:5]
	s_or_b32 exec_lo, exec_lo, s0
	s_delay_alu instid0(SALU_CYCLE_1)
	s_mov_b32 s0, exec_lo
	v_cmpx_gt_i32_e64 s2, v0
	s_cbranch_execz .LBB348_39
.LBB348_56:
	v_add_nc_u32_e32 v2, s1, v0
	v_lshrrev_b32_e32 v3, 24, v6
	v_add_nc_u32_e32 v0, 0x100, v0
	global_store_b8 v2, v3, s[4:5]
	s_or_b32 exec_lo, exec_lo, s0
	s_delay_alu instid0(SALU_CYCLE_1)
	s_mov_b32 s0, exec_lo
	v_cmpx_gt_i32_e64 s2, v0
	s_cbranch_execz .LBB348_40
.LBB348_57:
	v_add_nc_u32_e32 v2, s1, v0
	v_add_nc_u32_e32 v0, 0x100, v0
	global_store_b8 v2, v5, s[4:5]
	s_or_b32 exec_lo, exec_lo, s0
	s_delay_alu instid0(SALU_CYCLE_1)
	s_mov_b32 s0, exec_lo
	v_cmpx_gt_i32_e64 s2, v0
	s_cbranch_execz .LBB348_41
.LBB348_58:
	v_add_nc_u32_e32 v2, s1, v0
	v_lshrrev_b32_e32 v3, 8, v5
	v_add_nc_u32_e32 v0, 0x100, v0
	global_store_b8 v2, v3, s[4:5]
	s_or_b32 exec_lo, exec_lo, s0
	s_delay_alu instid0(SALU_CYCLE_1)
	s_mov_b32 s0, exec_lo
	v_cmpx_gt_i32_e64 s2, v0
	s_cbranch_execz .LBB348_42
.LBB348_59:
	v_add_nc_u32_e32 v2, s1, v0
	v_add_nc_u32_e32 v0, 0x100, v0
	global_store_d16_hi_b8 v2, v5, s[4:5]
	s_or_b32 exec_lo, exec_lo, s0
	s_delay_alu instid0(SALU_CYCLE_1)
	s_mov_b32 s0, exec_lo
	v_cmpx_gt_i32_e64 s2, v0
	s_cbranch_execz .LBB348_43
.LBB348_60:
	v_add_nc_u32_e32 v2, s1, v0
	v_lshrrev_b32_e32 v3, 24, v5
	v_add_nc_u32_e32 v0, 0x100, v0
	global_store_b8 v2, v3, s[4:5]
	s_or_b32 exec_lo, exec_lo, s0
	s_delay_alu instid0(SALU_CYCLE_1)
	s_mov_b32 s0, exec_lo
	v_cmpx_gt_i32_e64 s2, v0
	s_cbranch_execz .LBB348_44
.LBB348_61:
	v_add_nc_u32_e32 v2, s1, v0
	v_add_nc_u32_e32 v0, 0x100, v0
	global_store_b8 v2, v4, s[4:5]
	s_or_b32 exec_lo, exec_lo, s0
	s_delay_alu instid0(SALU_CYCLE_1)
	s_mov_b32 s0, exec_lo
	v_cmpx_gt_i32_e64 s2, v0
	s_cbranch_execz .LBB348_45
.LBB348_62:
	v_add_nc_u32_e32 v2, s1, v0
	v_lshrrev_b32_e32 v3, 8, v4
	v_add_nc_u32_e32 v0, 0x100, v0
	global_store_b8 v2, v3, s[4:5]
	s_or_b32 exec_lo, exec_lo, s0
	s_delay_alu instid0(SALU_CYCLE_1)
	s_mov_b32 s0, exec_lo
	v_cmpx_gt_i32_e64 s2, v0
	s_cbranch_execz .LBB348_46
.LBB348_63:
	v_add_nc_u32_e32 v2, s1, v0
	v_add_nc_u32_e32 v0, 0x100, v0
	global_store_d16_hi_b8 v2, v4, s[4:5]
	s_or_b32 exec_lo, exec_lo, s0
	s_delay_alu instid0(SALU_CYCLE_1)
	s_mov_b32 s0, exec_lo
	v_cmpx_gt_i32_e64 s2, v0
	s_cbranch_execz .LBB348_47
.LBB348_64:
	v_add_nc_u32_e32 v2, s1, v0
	v_lshrrev_b32_e32 v3, 24, v4
	v_add_nc_u32_e32 v0, 0x100, v0
	global_store_b8 v2, v3, s[4:5]
	s_or_b32 exec_lo, exec_lo, s0
	s_delay_alu instid0(SALU_CYCLE_1)
	s_mov_b32 s0, exec_lo
	v_cmpx_gt_i32_e64 s2, v0
	s_cbranch_execz .LBB348_48
.LBB348_65:
	v_add_nc_u32_e32 v2, s1, v0
	v_add_nc_u32_e32 v0, 0x100, v0
	global_store_b8 v2, v1, s[4:5]
	s_or_b32 exec_lo, exec_lo, s0
	s_delay_alu instid0(SALU_CYCLE_1)
	s_mov_b32 s0, exec_lo
	v_cmpx_gt_i32_e64 s2, v0
	s_cbranch_execz .LBB348_49
.LBB348_66:
	v_add_nc_u32_e32 v2, s1, v0
	v_lshrrev_b32_e32 v3, 8, v1
	v_add_nc_u32_e32 v0, 0x100, v0
	global_store_b8 v2, v3, s[4:5]
	s_or_b32 exec_lo, exec_lo, s0
	s_delay_alu instid0(SALU_CYCLE_1)
	s_mov_b32 s0, exec_lo
	v_cmpx_gt_i32_e64 s2, v0
	s_cbranch_execz .LBB348_50
.LBB348_67:
	v_add_nc_u32_e32 v2, s1, v0
	v_add_nc_u32_e32 v0, 0x100, v0
	global_store_d16_hi_b8 v2, v1, s[4:5]
	s_or_b32 exec_lo, exec_lo, s0
	s_delay_alu instid0(SALU_CYCLE_1)
	s_mov_b32 s0, exec_lo
	v_cmpx_gt_i32_e64 s2, v0
	s_cbranch_execnz .LBB348_51
	s_branch .LBB348_52
	.section	.rodata,"a",@progbits
	.p2align	6, 0x0
	.amdhsa_kernel _ZN2at6native29vectorized_elementwise_kernelILi4EZZZNS0_21clamp_min_kernel_cudaERNS_18TensorIteratorBaseERKN3c106ScalarEENKUlvE_clEvENKUlvE_clEvEUlhE_St5arrayIPcLm2EEEEviT0_T1_
		.amdhsa_group_segment_fixed_size 0
		.amdhsa_private_segment_fixed_size 0
		.amdhsa_kernarg_size 24
		.amdhsa_user_sgpr_count 15
		.amdhsa_user_sgpr_dispatch_ptr 0
		.amdhsa_user_sgpr_queue_ptr 0
		.amdhsa_user_sgpr_kernarg_segment_ptr 1
		.amdhsa_user_sgpr_dispatch_id 0
		.amdhsa_user_sgpr_private_segment_size 0
		.amdhsa_wavefront_size32 1
		.amdhsa_uses_dynamic_stack 0
		.amdhsa_enable_private_segment 0
		.amdhsa_system_sgpr_workgroup_id_x 1
		.amdhsa_system_sgpr_workgroup_id_y 0
		.amdhsa_system_sgpr_workgroup_id_z 0
		.amdhsa_system_sgpr_workgroup_info 0
		.amdhsa_system_vgpr_workitem_id 0
		.amdhsa_next_free_vgpr 23
		.amdhsa_next_free_sgpr 16
		.amdhsa_reserve_vcc 1
		.amdhsa_float_round_mode_32 0
		.amdhsa_float_round_mode_16_64 0
		.amdhsa_float_denorm_mode_32 3
		.amdhsa_float_denorm_mode_16_64 3
		.amdhsa_dx10_clamp 1
		.amdhsa_ieee_mode 1
		.amdhsa_fp16_overflow 0
		.amdhsa_workgroup_processor_mode 1
		.amdhsa_memory_ordered 1
		.amdhsa_forward_progress 0
		.amdhsa_shared_vgpr_count 0
		.amdhsa_exception_fp_ieee_invalid_op 0
		.amdhsa_exception_fp_denorm_src 0
		.amdhsa_exception_fp_ieee_div_zero 0
		.amdhsa_exception_fp_ieee_overflow 0
		.amdhsa_exception_fp_ieee_underflow 0
		.amdhsa_exception_fp_ieee_inexact 0
		.amdhsa_exception_int_div_zero 0
	.end_amdhsa_kernel
	.section	.text._ZN2at6native29vectorized_elementwise_kernelILi4EZZZNS0_21clamp_min_kernel_cudaERNS_18TensorIteratorBaseERKN3c106ScalarEENKUlvE_clEvENKUlvE_clEvEUlhE_St5arrayIPcLm2EEEEviT0_T1_,"axG",@progbits,_ZN2at6native29vectorized_elementwise_kernelILi4EZZZNS0_21clamp_min_kernel_cudaERNS_18TensorIteratorBaseERKN3c106ScalarEENKUlvE_clEvENKUlvE_clEvEUlhE_St5arrayIPcLm2EEEEviT0_T1_,comdat
.Lfunc_end348:
	.size	_ZN2at6native29vectorized_elementwise_kernelILi4EZZZNS0_21clamp_min_kernel_cudaERNS_18TensorIteratorBaseERKN3c106ScalarEENKUlvE_clEvENKUlvE_clEvEUlhE_St5arrayIPcLm2EEEEviT0_T1_, .Lfunc_end348-_ZN2at6native29vectorized_elementwise_kernelILi4EZZZNS0_21clamp_min_kernel_cudaERNS_18TensorIteratorBaseERKN3c106ScalarEENKUlvE_clEvENKUlvE_clEvEUlhE_St5arrayIPcLm2EEEEviT0_T1_
                                        ; -- End function
	.section	.AMDGPU.csdata,"",@progbits
; Kernel info:
; codeLenInByte = 3416
; NumSgprs: 18
; NumVgprs: 23
; ScratchSize: 0
; MemoryBound: 0
; FloatMode: 240
; IeeeMode: 1
; LDSByteSize: 0 bytes/workgroup (compile time only)
; SGPRBlocks: 2
; VGPRBlocks: 2
; NumSGPRsForWavesPerEU: 18
; NumVGPRsForWavesPerEU: 23
; Occupancy: 16
; WaveLimiterHint : 1
; COMPUTE_PGM_RSRC2:SCRATCH_EN: 0
; COMPUTE_PGM_RSRC2:USER_SGPR: 15
; COMPUTE_PGM_RSRC2:TRAP_HANDLER: 0
; COMPUTE_PGM_RSRC2:TGID_X_EN: 1
; COMPUTE_PGM_RSRC2:TGID_Y_EN: 0
; COMPUTE_PGM_RSRC2:TGID_Z_EN: 0
; COMPUTE_PGM_RSRC2:TIDIG_COMP_CNT: 0
	.section	.text._ZN2at6native29vectorized_elementwise_kernelILi2EZZZNS0_21clamp_min_kernel_cudaERNS_18TensorIteratorBaseERKN3c106ScalarEENKUlvE_clEvENKUlvE_clEvEUlhE_St5arrayIPcLm2EEEEviT0_T1_,"axG",@progbits,_ZN2at6native29vectorized_elementwise_kernelILi2EZZZNS0_21clamp_min_kernel_cudaERNS_18TensorIteratorBaseERKN3c106ScalarEENKUlvE_clEvENKUlvE_clEvEUlhE_St5arrayIPcLm2EEEEviT0_T1_,comdat
	.globl	_ZN2at6native29vectorized_elementwise_kernelILi2EZZZNS0_21clamp_min_kernel_cudaERNS_18TensorIteratorBaseERKN3c106ScalarEENKUlvE_clEvENKUlvE_clEvEUlhE_St5arrayIPcLm2EEEEviT0_T1_ ; -- Begin function _ZN2at6native29vectorized_elementwise_kernelILi2EZZZNS0_21clamp_min_kernel_cudaERNS_18TensorIteratorBaseERKN3c106ScalarEENKUlvE_clEvENKUlvE_clEvEUlhE_St5arrayIPcLm2EEEEviT0_T1_
	.p2align	8
	.type	_ZN2at6native29vectorized_elementwise_kernelILi2EZZZNS0_21clamp_min_kernel_cudaERNS_18TensorIteratorBaseERKN3c106ScalarEENKUlvE_clEvENKUlvE_clEvEUlhE_St5arrayIPcLm2EEEEviT0_T1_,@function
_ZN2at6native29vectorized_elementwise_kernelILi2EZZZNS0_21clamp_min_kernel_cudaERNS_18TensorIteratorBaseERKN3c106ScalarEENKUlvE_clEvENKUlvE_clEvEUlhE_St5arrayIPcLm2EEEEviT0_T1_: ; @_ZN2at6native29vectorized_elementwise_kernelILi2EZZZNS0_21clamp_min_kernel_cudaERNS_18TensorIteratorBaseERKN3c106ScalarEENKUlvE_clEvENKUlvE_clEvEUlhE_St5arrayIPcLm2EEEEviT0_T1_
; %bb.0:
	s_clause 0x1
	s_load_b64 s[2:3], s[0:1], 0x0
	s_load_b128 s[4:7], s[0:1], 0x8
	s_lshl_b32 s1, s15, 12
	s_mov_b32 s0, -1
	s_waitcnt lgkmcnt(0)
	v_and_b32_e64 v1, 0xff, s3
	s_sub_i32 s2, s2, s1
	s_delay_alu instid0(SALU_CYCLE_1)
	s_cmpk_gt_i32 s2, 0xfff
	s_cbranch_scc0 .LBB349_2
; %bb.1:
	v_lshlrev_b32_e32 v2, 1, v0
	s_ashr_i32 s3, s1, 31
	s_add_u32 s8, s6, s1
	s_addc_u32 s9, s7, s3
	s_mov_b32 s0, 0
	s_clause 0x7
	global_load_u16 v3, v2, s[8:9]
	global_load_u16 v4, v2, s[8:9] offset:512
	global_load_u16 v5, v2, s[8:9] offset:1024
	;; [unrolled: 1-line block ×7, first 2 shown]
	s_add_u32 s8, s4, s1
	s_addc_u32 s9, s5, s3
	s_waitcnt vmcnt(7)
	v_and_b32_e32 v11, 0xff, v3
	v_lshrrev_b16 v3, 8, v3
	s_waitcnt vmcnt(6)
	v_and_b32_e32 v12, 0xff, v4
	v_lshrrev_b16 v4, 8, v4
	;; [unrolled: 3-line block ×8, first 2 shown]
	v_max_u16 v3, v3, v1
	v_max_u16 v4, v4, v1
	;; [unrolled: 1-line block ×9, first 2 shown]
	v_lshlrev_b16 v3, 8, v3
	v_max_u16 v12, v12, v1
	v_lshlrev_b16 v4, 8, v4
	v_max_u16 v13, v13, v1
	;; [unrolled: 2-line block ×5, first 2 shown]
	v_max_u16 v17, v17, v1
	v_max_u16 v18, v18, v1
	v_lshlrev_b16 v8, 8, v8
	v_lshlrev_b16 v9, 8, v9
	;; [unrolled: 1-line block ×3, first 2 shown]
	v_or_b32_e32 v3, v3, v11
	v_or_b32_e32 v4, v4, v12
	;; [unrolled: 1-line block ×8, first 2 shown]
	s_clause 0x7
	global_store_b16 v2, v3, s[8:9]
	global_store_b16 v2, v4, s[8:9] offset:512
	global_store_b16 v2, v5, s[8:9] offset:1024
	;; [unrolled: 1-line block ×7, first 2 shown]
.LBB349_2:
	s_and_not1_b32 vcc_lo, exec_lo, s0
	s_cbranch_vccnz .LBB349_52
; %bb.3:
	v_cmp_gt_i32_e32 vcc_lo, s2, v0
	v_dual_mov_b32 v5, 0 :: v_dual_mov_b32 v6, 0
	v_or_b32_e32 v2, s1, v0
	v_or_b32_e32 v3, 0x100, v0
	v_mov_b32_e32 v11, v0
	s_and_saveexec_b32 s0, vcc_lo
	s_cbranch_execz .LBB349_5
; %bb.4:
	global_load_u8 v6, v2, s[6:7]
	v_or_b32_e32 v11, 0x100, v0
.LBB349_5:
	s_or_b32 exec_lo, exec_lo, s0
	s_delay_alu instid0(SALU_CYCLE_1) | instskip(NEXT) | instid1(VALU_DEP_1)
	s_mov_b32 s3, exec_lo
	v_cmpx_gt_i32_e64 s2, v11
	s_cbranch_execz .LBB349_7
; %bb.6:
	v_add_nc_u32_e32 v4, s1, v11
	v_add_nc_u32_e32 v11, 0x100, v11
	global_load_u8 v5, v4, s[6:7]
.LBB349_7:
	s_or_b32 exec_lo, exec_lo, s3
	v_dual_mov_b32 v9, 0 :: v_dual_mov_b32 v12, 0
	s_mov_b32 s3, exec_lo
	v_cmpx_gt_i32_e64 s2, v11
	s_cbranch_execz .LBB349_9
; %bb.8:
	v_add_nc_u32_e32 v4, s1, v11
	v_add_nc_u32_e32 v11, 0x100, v11
	global_load_u8 v12, v4, s[6:7]
.LBB349_9:
	s_or_b32 exec_lo, exec_lo, s3
	s_delay_alu instid0(SALU_CYCLE_1)
	s_mov_b32 s3, exec_lo
	v_cmpx_gt_i32_e64 s2, v11
	s_cbranch_execz .LBB349_11
; %bb.10:
	v_add_nc_u32_e32 v4, s1, v11
	v_add_nc_u32_e32 v11, 0x100, v11
	global_load_u8 v9, v4, s[6:7]
.LBB349_11:
	s_or_b32 exec_lo, exec_lo, s3
	v_dual_mov_b32 v14, 0 :: v_dual_mov_b32 v15, 0
	s_mov_b32 s3, exec_lo
	v_cmpx_gt_i32_e64 s2, v11
	s_cbranch_execz .LBB349_13
; %bb.12:
	v_add_nc_u32_e32 v4, s1, v11
	v_add_nc_u32_e32 v11, 0x100, v11
	global_load_u8 v15, v4, s[6:7]
.LBB349_13:
	s_or_b32 exec_lo, exec_lo, s3
	s_delay_alu instid0(SALU_CYCLE_1)
	s_mov_b32 s3, exec_lo
	v_cmpx_gt_i32_e64 s2, v11
	s_cbranch_execz .LBB349_15
; %bb.14:
	v_add_nc_u32_e32 v4, s1, v11
	v_add_nc_u32_e32 v11, 0x100, v11
	global_load_u8 v14, v4, s[6:7]
.LBB349_15:
	s_or_b32 exec_lo, exec_lo, s3
	v_mov_b32_e32 v4, 0
	v_mov_b32_e32 v16, 0
	s_mov_b32 s3, exec_lo
	v_cmpx_gt_i32_e64 s2, v11
	s_cbranch_execz .LBB349_17
; %bb.16:
	v_add_nc_u32_e32 v7, s1, v11
	v_add_nc_u32_e32 v11, 0x100, v11
	global_load_u8 v16, v7, s[6:7]
.LBB349_17:
	s_or_b32 exec_lo, exec_lo, s3
	s_delay_alu instid0(SALU_CYCLE_1)
	s_mov_b32 s3, exec_lo
	v_cmpx_gt_i32_e64 s2, v11
	s_cbranch_execz .LBB349_19
; %bb.18:
	v_add_nc_u32_e32 v4, s1, v11
	v_add_nc_u32_e32 v11, 0x100, v11
	global_load_u8 v4, v4, s[6:7]
.LBB349_19:
	s_or_b32 exec_lo, exec_lo, s3
	v_dual_mov_b32 v10, 0 :: v_dual_mov_b32 v7, 0
	s_mov_b32 s3, exec_lo
	v_cmpx_gt_i32_e64 s2, v11
	s_cbranch_execz .LBB349_21
; %bb.20:
	v_add_nc_u32_e32 v7, s1, v11
	v_add_nc_u32_e32 v11, 0x100, v11
	global_load_u8 v7, v7, s[6:7]
.LBB349_21:
	s_or_b32 exec_lo, exec_lo, s3
	s_delay_alu instid0(SALU_CYCLE_1)
	s_mov_b32 s3, exec_lo
	v_cmpx_gt_i32_e64 s2, v11
	s_cbranch_execz .LBB349_23
; %bb.22:
	v_add_nc_u32_e32 v8, s1, v11
	v_add_nc_u32_e32 v11, 0x100, v11
	global_load_u8 v10, v8, s[6:7]
.LBB349_23:
	s_or_b32 exec_lo, exec_lo, s3
	v_dual_mov_b32 v8, 0 :: v_dual_mov_b32 v13, 0
	s_mov_b32 s3, exec_lo
	v_cmpx_gt_i32_e64 s2, v11
	s_cbranch_execz .LBB349_25
; %bb.24:
	v_add_nc_u32_e32 v13, s1, v11
	v_add_nc_u32_e32 v11, 0x100, v11
	global_load_u8 v13, v13, s[6:7]
.LBB349_25:
	s_or_b32 exec_lo, exec_lo, s3
	s_delay_alu instid0(SALU_CYCLE_1)
	s_mov_b32 s3, exec_lo
	v_cmpx_gt_i32_e64 s2, v11
	s_cbranch_execz .LBB349_27
; %bb.26:
	v_add_nc_u32_e32 v8, s1, v11
	v_add_nc_u32_e32 v11, 0x100, v11
	global_load_u8 v8, v8, s[6:7]
.LBB349_27:
	s_or_b32 exec_lo, exec_lo, s3
	v_mov_b32_e32 v18, 0
	v_mov_b32_e32 v20, 0
	s_mov_b32 s3, exec_lo
	v_cmpx_gt_i32_e64 s2, v11
	s_cbranch_execz .LBB349_29
; %bb.28:
	v_add_nc_u32_e32 v17, s1, v11
	v_add_nc_u32_e32 v11, 0x100, v11
	global_load_u8 v20, v17, s[6:7]
.LBB349_29:
	s_or_b32 exec_lo, exec_lo, s3
	s_delay_alu instid0(SALU_CYCLE_1)
	s_mov_b32 s3, exec_lo
	v_cmpx_gt_i32_e64 s2, v11
	s_cbranch_execz .LBB349_31
; %bb.30:
	v_add_nc_u32_e32 v17, s1, v11
	v_add_nc_u32_e32 v11, 0x100, v11
	global_load_u8 v18, v17, s[6:7]
.LBB349_31:
	s_or_b32 exec_lo, exec_lo, s3
	v_mov_b32_e32 v17, 0
	v_mov_b32_e32 v19, 0
	s_mov_b32 s3, exec_lo
	v_cmpx_gt_i32_e64 s2, v11
	s_cbranch_execz .LBB349_33
; %bb.32:
	v_add_nc_u32_e32 v19, s1, v11
	v_add_nc_u32_e32 v11, 0x100, v11
	global_load_u8 v19, v19, s[6:7]
.LBB349_33:
	s_or_b32 exec_lo, exec_lo, s3
	s_delay_alu instid0(SALU_CYCLE_1)
	s_mov_b32 s3, exec_lo
	v_cmpx_gt_i32_e64 s2, v11
	s_cbranch_execz .LBB349_35
; %bb.34:
	v_add_nc_u32_e32 v11, s1, v11
	global_load_u8 v17, v11, s[6:7]
.LBB349_35:
	s_or_b32 exec_lo, exec_lo, s3
	s_waitcnt vmcnt(0)
	v_and_b32_e32 v5, 0xff, v5
	v_and_b32_e32 v6, 0xff, v6
	;; [unrolled: 1-line block ×3, first 2 shown]
	v_or_b32_e32 v21, 0x400, v0
	v_and_b32_e32 v12, 0xff, v12
	v_max_u16 v5, v5, v1
	v_max_u16 v6, v6, v1
	;; [unrolled: 1-line block ×3, first 2 shown]
	v_and_b32_e32 v14, 0xff, v14
	v_cmp_gt_i32_e64 s0, s2, v21
	v_lshlrev_b16 v5, 8, v5
	v_max_u16 v12, v12, v1
	v_and_b32_e32 v11, 0xffff, v11
	v_max_u16 v14, v14, v1
	v_or_b32_e32 v15, 0x200, v0
	v_or_b32_e32 v5, v6, v5
	v_and_b32_e32 v6, 0xffff, v6
	v_cndmask_b32_e64 v11, 0, v11, s0
	v_cmp_gt_i32_e64 s0, s2, v3
	v_lshlrev_b16 v14, 8, v14
	v_and_b32_e32 v5, 0xffff, v5
	v_lshlrev_b32_e32 v12, 16, v12
	v_and_b32_e32 v21, 0xff, v11
	v_or_b32_e32 v22, 0x500, v0
	v_and_b32_e32 v18, 0xff, v18
	v_cndmask_b32_e64 v5, v6, v5, s0
	v_and_b32_e32 v6, 0xff, v16
	v_or_b32_e32 v14, v21, v14
	v_and_b32_e32 v16, 0xff, v20
	v_cmp_gt_i32_e64 s0, s2, v15
	v_or_b32_e32 v12, v5, v12
	v_or_b32_e32 v20, 0xc00, v0
	v_and_b32_e32 v14, 0xffff, v14
	v_max_u16 v16, v16, v1
	v_and_b32_e32 v9, 0xff, v9
	v_cndmask_b32_e64 v5, v5, v12, s0
	v_cmp_gt_i32_e64 s0, s2, v22
	v_max_u16 v15, v18, v1
	v_and_b32_e32 v12, 0xffff, v16
	v_max_u16 v9, v9, v1
	v_max_u16 v6, v6, v1
	v_cndmask_b32_e64 v11, v11, v14, s0
	v_cmp_gt_i32_e64 s0, s2, v20
	v_lshrrev_b32_e32 v14, 16, v5
	v_lshlrev_b16 v15, 8, v15
	v_lshlrev_b16 v9, 8, v9
	v_lshrrev_b32_e32 v16, 16, v11
	v_cndmask_b32_e64 v12, 0, v12, s0
	v_and_b32_e32 v14, 0xff, v14
	v_and_b32_e32 v10, 0xff, v10
	;; [unrolled: 1-line block ×5, first 2 shown]
	v_or_b32_e32 v9, v14, v9
	v_or_b32_e32 v14, 0x600, v0
	v_max_u16 v10, v10, v1
	v_or_b32_e32 v6, v6, v16
	v_or_b32_e32 v15, v18, v15
	;; [unrolled: 1-line block ×3, first 2 shown]
	v_max_u16 v7, v7, v1
	v_lshlrev_b16 v10, 8, v10
	v_lshlrev_b32_e32 v6, 16, v6
	v_and_b32_e32 v15, 0xffff, v15
	v_cmp_gt_i32_e64 s0, s2, v16
	v_and_b32_e32 v4, 0xff, v4
	v_and_b32_e32 v8, 0xff, v8
	v_and_or_b32 v6, 0xffff, v11, v6
	v_lshlrev_b32_e32 v9, 16, v9
	v_cndmask_b32_e64 v12, v12, v15, s0
	v_cmp_gt_i32_e64 s0, s2, v14
	v_and_b32_e32 v14, 0xff, v19
	v_and_b32_e32 v15, 0xffff, v7
	v_or_b32_e32 v7, v7, v10
	v_and_b32_e32 v10, 0xff, v13
	v_cndmask_b32_e64 v11, v11, v6, s0
	v_lshrrev_b32_e32 v6, 16, v12
	v_max_u16 v13, v14, v1
	v_or_b32_e32 v14, 0x900, v0
	v_and_b32_e32 v7, 0xffff, v7
	v_max_u16 v10, v10, v1
	v_and_b32_e32 v6, 0xffffff00, v6
	v_lshrrev_b32_e32 v16, 16, v11
	v_cmp_gt_i32_e64 s0, s2, v14
	v_or_b32_e32 v14, 0xa00, v0
	v_lshlrev_b32_e32 v10, 16, v10
	v_or_b32_e32 v6, v13, v6
	v_max_u16 v4, v4, v1
	v_cndmask_b32_e64 v7, v15, v7, s0
	v_or_b32_e32 v15, 0xe00, v0
	v_cmp_gt_i32_e64 s0, s2, v14
	v_lshlrev_b32_e32 v6, 16, v6
	v_and_b32_e32 v13, 0xff, v16
	v_or_b32_e32 v10, v7, v10
	v_lshlrev_b16 v4, 8, v4
	v_max_u16 v8, v8, v1
	v_and_or_b32 v6, 0xffff, v12, v6
	v_and_or_b32 v9, 0xffff, v5, v9
	v_cndmask_b32_e64 v7, v7, v10, s0
	v_cmp_gt_i32_e64 s0, s2, v15
	v_or_b32_e32 v4, v13, v4
	v_lshlrev_b16 v8, 8, v8
	v_or_b32_e32 v13, 0x300, v0
	s_delay_alu instid0(VALU_DEP_4) | instskip(SKIP_2) | instid1(VALU_DEP_4)
	v_cndmask_b32_e64 v10, v12, v6, s0
	v_and_b32_e32 v6, 0xff, v17
	v_lshrrev_b32_e32 v12, 16, v7
	v_cmp_gt_i32_e64 s0, s2, v13
	v_lshlrev_b32_e32 v4, 16, v4
	v_lshrrev_b32_e32 v14, 16, v10
	v_max_u16 v1, v6, v1
	v_and_b32_e32 v6, 0xff, v12
	v_or_b32_e32 v13, 0xf00, v0
	v_and_or_b32 v4, 0xffff, v11, v4
	v_and_b32_e32 v12, 0xff, v14
	v_lshlrev_b16 v1, 8, v1
	v_or_b32_e32 v8, v6, v8
	v_cndmask_b32_e64 v6, v5, v9, s0
	v_or_b32_e32 v9, 0xb00, v0
	s_delay_alu instid0(VALU_DEP_4) | instskip(NEXT) | instid1(VALU_DEP_4)
	v_or_b32_e32 v1, v12, v1
	v_lshlrev_b32_e32 v5, 16, v8
	v_or_b32_e32 v8, 0x700, v0
	s_delay_alu instid0(VALU_DEP_3) | instskip(NEXT) | instid1(VALU_DEP_3)
	v_lshlrev_b32_e32 v1, 16, v1
	v_and_or_b32 v12, 0xffff, v7, v5
	s_delay_alu instid0(VALU_DEP_3) | instskip(NEXT) | instid1(VALU_DEP_3)
	v_cmp_gt_i32_e64 s0, s2, v8
	v_and_or_b32 v1, 0xffff, v10, v1
	s_delay_alu instid0(VALU_DEP_2) | instskip(SKIP_1) | instid1(VALU_DEP_1)
	v_cndmask_b32_e64 v5, v11, v4, s0
	v_cmp_gt_i32_e64 s0, s2, v9
	v_cndmask_b32_e64 v4, v7, v12, s0
	v_cmp_gt_i32_e64 s0, s2, v13
	s_delay_alu instid0(VALU_DEP_1)
	v_cndmask_b32_e64 v1, v10, v1, s0
	s_and_saveexec_b32 s0, vcc_lo
	s_cbranch_execnz .LBB349_53
; %bb.36:
	s_or_b32 exec_lo, exec_lo, s0
	s_delay_alu instid0(SALU_CYCLE_1)
	s_mov_b32 s0, exec_lo
	v_cmpx_gt_i32_e64 s2, v0
	s_cbranch_execnz .LBB349_54
.LBB349_37:
	s_or_b32 exec_lo, exec_lo, s0
	s_delay_alu instid0(SALU_CYCLE_1)
	s_mov_b32 s0, exec_lo
	v_cmpx_gt_i32_e64 s2, v0
	s_cbranch_execnz .LBB349_55
.LBB349_38:
	s_or_b32 exec_lo, exec_lo, s0
	s_delay_alu instid0(SALU_CYCLE_1)
	s_mov_b32 s0, exec_lo
	v_cmpx_gt_i32_e64 s2, v0
	s_cbranch_execnz .LBB349_56
.LBB349_39:
	s_or_b32 exec_lo, exec_lo, s0
	s_delay_alu instid0(SALU_CYCLE_1)
	s_mov_b32 s0, exec_lo
	v_cmpx_gt_i32_e64 s2, v0
	s_cbranch_execnz .LBB349_57
.LBB349_40:
	s_or_b32 exec_lo, exec_lo, s0
	s_delay_alu instid0(SALU_CYCLE_1)
	s_mov_b32 s0, exec_lo
	v_cmpx_gt_i32_e64 s2, v0
	s_cbranch_execnz .LBB349_58
.LBB349_41:
	s_or_b32 exec_lo, exec_lo, s0
	s_delay_alu instid0(SALU_CYCLE_1)
	s_mov_b32 s0, exec_lo
	v_cmpx_gt_i32_e64 s2, v0
	s_cbranch_execnz .LBB349_59
.LBB349_42:
	s_or_b32 exec_lo, exec_lo, s0
	s_delay_alu instid0(SALU_CYCLE_1)
	s_mov_b32 s0, exec_lo
	v_cmpx_gt_i32_e64 s2, v0
	s_cbranch_execnz .LBB349_60
.LBB349_43:
	s_or_b32 exec_lo, exec_lo, s0
	s_delay_alu instid0(SALU_CYCLE_1)
	s_mov_b32 s0, exec_lo
	v_cmpx_gt_i32_e64 s2, v0
	s_cbranch_execnz .LBB349_61
.LBB349_44:
	s_or_b32 exec_lo, exec_lo, s0
	s_delay_alu instid0(SALU_CYCLE_1)
	s_mov_b32 s0, exec_lo
	v_cmpx_gt_i32_e64 s2, v0
	s_cbranch_execnz .LBB349_62
.LBB349_45:
	s_or_b32 exec_lo, exec_lo, s0
	s_delay_alu instid0(SALU_CYCLE_1)
	s_mov_b32 s0, exec_lo
	v_cmpx_gt_i32_e64 s2, v0
	s_cbranch_execnz .LBB349_63
.LBB349_46:
	s_or_b32 exec_lo, exec_lo, s0
	s_delay_alu instid0(SALU_CYCLE_1)
	s_mov_b32 s0, exec_lo
	v_cmpx_gt_i32_e64 s2, v0
	s_cbranch_execnz .LBB349_64
.LBB349_47:
	s_or_b32 exec_lo, exec_lo, s0
	s_delay_alu instid0(SALU_CYCLE_1)
	s_mov_b32 s0, exec_lo
	v_cmpx_gt_i32_e64 s2, v0
	s_cbranch_execnz .LBB349_65
.LBB349_48:
	s_or_b32 exec_lo, exec_lo, s0
	s_delay_alu instid0(SALU_CYCLE_1)
	s_mov_b32 s0, exec_lo
	v_cmpx_gt_i32_e64 s2, v0
	s_cbranch_execnz .LBB349_66
.LBB349_49:
	s_or_b32 exec_lo, exec_lo, s0
	s_delay_alu instid0(SALU_CYCLE_1)
	s_mov_b32 s0, exec_lo
	v_cmpx_gt_i32_e64 s2, v0
	s_cbranch_execnz .LBB349_67
.LBB349_50:
	s_or_b32 exec_lo, exec_lo, s0
	s_delay_alu instid0(SALU_CYCLE_1)
	s_mov_b32 s0, exec_lo
	v_cmpx_gt_i32_e64 s2, v0
	s_cbranch_execz .LBB349_52
.LBB349_51:
	v_add_nc_u32_e32 v0, s1, v0
	v_lshrrev_b32_e32 v1, 24, v1
	global_store_b8 v0, v1, s[4:5]
.LBB349_52:
	s_nop 0
	s_sendmsg sendmsg(MSG_DEALLOC_VGPRS)
	s_endpgm
.LBB349_53:
	v_mov_b32_e32 v0, v3
	global_store_b8 v2, v6, s[4:5]
	s_or_b32 exec_lo, exec_lo, s0
	s_delay_alu instid0(SALU_CYCLE_1)
	s_mov_b32 s0, exec_lo
	v_cmpx_gt_i32_e64 s2, v0
	s_cbranch_execz .LBB349_37
.LBB349_54:
	v_add_nc_u32_e32 v2, s1, v0
	v_lshrrev_b32_e32 v3, 8, v6
	v_add_nc_u32_e32 v0, 0x100, v0
	global_store_b8 v2, v3, s[4:5]
	s_or_b32 exec_lo, exec_lo, s0
	s_delay_alu instid0(SALU_CYCLE_1)
	s_mov_b32 s0, exec_lo
	v_cmpx_gt_i32_e64 s2, v0
	s_cbranch_execz .LBB349_38
.LBB349_55:
	v_add_nc_u32_e32 v2, s1, v0
	v_add_nc_u32_e32 v0, 0x100, v0
	global_store_d16_hi_b8 v2, v6, s[4:5]
	s_or_b32 exec_lo, exec_lo, s0
	s_delay_alu instid0(SALU_CYCLE_1)
	s_mov_b32 s0, exec_lo
	v_cmpx_gt_i32_e64 s2, v0
	s_cbranch_execz .LBB349_39
.LBB349_56:
	v_add_nc_u32_e32 v2, s1, v0
	v_lshrrev_b32_e32 v3, 24, v6
	v_add_nc_u32_e32 v0, 0x100, v0
	global_store_b8 v2, v3, s[4:5]
	s_or_b32 exec_lo, exec_lo, s0
	s_delay_alu instid0(SALU_CYCLE_1)
	s_mov_b32 s0, exec_lo
	v_cmpx_gt_i32_e64 s2, v0
	s_cbranch_execz .LBB349_40
.LBB349_57:
	v_add_nc_u32_e32 v2, s1, v0
	v_add_nc_u32_e32 v0, 0x100, v0
	global_store_b8 v2, v5, s[4:5]
	s_or_b32 exec_lo, exec_lo, s0
	s_delay_alu instid0(SALU_CYCLE_1)
	s_mov_b32 s0, exec_lo
	v_cmpx_gt_i32_e64 s2, v0
	s_cbranch_execz .LBB349_41
.LBB349_58:
	v_add_nc_u32_e32 v2, s1, v0
	v_lshrrev_b32_e32 v3, 8, v5
	v_add_nc_u32_e32 v0, 0x100, v0
	global_store_b8 v2, v3, s[4:5]
	s_or_b32 exec_lo, exec_lo, s0
	s_delay_alu instid0(SALU_CYCLE_1)
	s_mov_b32 s0, exec_lo
	v_cmpx_gt_i32_e64 s2, v0
	s_cbranch_execz .LBB349_42
.LBB349_59:
	v_add_nc_u32_e32 v2, s1, v0
	v_add_nc_u32_e32 v0, 0x100, v0
	global_store_d16_hi_b8 v2, v5, s[4:5]
	s_or_b32 exec_lo, exec_lo, s0
	s_delay_alu instid0(SALU_CYCLE_1)
	s_mov_b32 s0, exec_lo
	v_cmpx_gt_i32_e64 s2, v0
	s_cbranch_execz .LBB349_43
.LBB349_60:
	v_add_nc_u32_e32 v2, s1, v0
	v_lshrrev_b32_e32 v3, 24, v5
	v_add_nc_u32_e32 v0, 0x100, v0
	global_store_b8 v2, v3, s[4:5]
	s_or_b32 exec_lo, exec_lo, s0
	s_delay_alu instid0(SALU_CYCLE_1)
	s_mov_b32 s0, exec_lo
	v_cmpx_gt_i32_e64 s2, v0
	s_cbranch_execz .LBB349_44
.LBB349_61:
	v_add_nc_u32_e32 v2, s1, v0
	v_add_nc_u32_e32 v0, 0x100, v0
	global_store_b8 v2, v4, s[4:5]
	s_or_b32 exec_lo, exec_lo, s0
	s_delay_alu instid0(SALU_CYCLE_1)
	s_mov_b32 s0, exec_lo
	v_cmpx_gt_i32_e64 s2, v0
	s_cbranch_execz .LBB349_45
.LBB349_62:
	v_add_nc_u32_e32 v2, s1, v0
	v_lshrrev_b32_e32 v3, 8, v4
	v_add_nc_u32_e32 v0, 0x100, v0
	global_store_b8 v2, v3, s[4:5]
	s_or_b32 exec_lo, exec_lo, s0
	s_delay_alu instid0(SALU_CYCLE_1)
	s_mov_b32 s0, exec_lo
	v_cmpx_gt_i32_e64 s2, v0
	s_cbranch_execz .LBB349_46
.LBB349_63:
	v_add_nc_u32_e32 v2, s1, v0
	v_add_nc_u32_e32 v0, 0x100, v0
	global_store_d16_hi_b8 v2, v4, s[4:5]
	s_or_b32 exec_lo, exec_lo, s0
	s_delay_alu instid0(SALU_CYCLE_1)
	s_mov_b32 s0, exec_lo
	v_cmpx_gt_i32_e64 s2, v0
	s_cbranch_execz .LBB349_47
.LBB349_64:
	v_add_nc_u32_e32 v2, s1, v0
	v_lshrrev_b32_e32 v3, 24, v4
	v_add_nc_u32_e32 v0, 0x100, v0
	global_store_b8 v2, v3, s[4:5]
	s_or_b32 exec_lo, exec_lo, s0
	s_delay_alu instid0(SALU_CYCLE_1)
	s_mov_b32 s0, exec_lo
	v_cmpx_gt_i32_e64 s2, v0
	s_cbranch_execz .LBB349_48
.LBB349_65:
	v_add_nc_u32_e32 v2, s1, v0
	v_add_nc_u32_e32 v0, 0x100, v0
	global_store_b8 v2, v1, s[4:5]
	s_or_b32 exec_lo, exec_lo, s0
	s_delay_alu instid0(SALU_CYCLE_1)
	s_mov_b32 s0, exec_lo
	v_cmpx_gt_i32_e64 s2, v0
	s_cbranch_execz .LBB349_49
.LBB349_66:
	v_add_nc_u32_e32 v2, s1, v0
	v_lshrrev_b32_e32 v3, 8, v1
	v_add_nc_u32_e32 v0, 0x100, v0
	global_store_b8 v2, v3, s[4:5]
	s_or_b32 exec_lo, exec_lo, s0
	s_delay_alu instid0(SALU_CYCLE_1)
	s_mov_b32 s0, exec_lo
	v_cmpx_gt_i32_e64 s2, v0
	s_cbranch_execz .LBB349_50
.LBB349_67:
	v_add_nc_u32_e32 v2, s1, v0
	v_add_nc_u32_e32 v0, 0x100, v0
	global_store_d16_hi_b8 v2, v1, s[4:5]
	s_or_b32 exec_lo, exec_lo, s0
	s_delay_alu instid0(SALU_CYCLE_1)
	s_mov_b32 s0, exec_lo
	v_cmpx_gt_i32_e64 s2, v0
	s_cbranch_execnz .LBB349_51
	s_branch .LBB349_52
	.section	.rodata,"a",@progbits
	.p2align	6, 0x0
	.amdhsa_kernel _ZN2at6native29vectorized_elementwise_kernelILi2EZZZNS0_21clamp_min_kernel_cudaERNS_18TensorIteratorBaseERKN3c106ScalarEENKUlvE_clEvENKUlvE_clEvEUlhE_St5arrayIPcLm2EEEEviT0_T1_
		.amdhsa_group_segment_fixed_size 0
		.amdhsa_private_segment_fixed_size 0
		.amdhsa_kernarg_size 24
		.amdhsa_user_sgpr_count 15
		.amdhsa_user_sgpr_dispatch_ptr 0
		.amdhsa_user_sgpr_queue_ptr 0
		.amdhsa_user_sgpr_kernarg_segment_ptr 1
		.amdhsa_user_sgpr_dispatch_id 0
		.amdhsa_user_sgpr_private_segment_size 0
		.amdhsa_wavefront_size32 1
		.amdhsa_uses_dynamic_stack 0
		.amdhsa_enable_private_segment 0
		.amdhsa_system_sgpr_workgroup_id_x 1
		.amdhsa_system_sgpr_workgroup_id_y 0
		.amdhsa_system_sgpr_workgroup_id_z 0
		.amdhsa_system_sgpr_workgroup_info 0
		.amdhsa_system_vgpr_workitem_id 0
		.amdhsa_next_free_vgpr 23
		.amdhsa_next_free_sgpr 16
		.amdhsa_reserve_vcc 1
		.amdhsa_float_round_mode_32 0
		.amdhsa_float_round_mode_16_64 0
		.amdhsa_float_denorm_mode_32 3
		.amdhsa_float_denorm_mode_16_64 3
		.amdhsa_dx10_clamp 1
		.amdhsa_ieee_mode 1
		.amdhsa_fp16_overflow 0
		.amdhsa_workgroup_processor_mode 1
		.amdhsa_memory_ordered 1
		.amdhsa_forward_progress 0
		.amdhsa_shared_vgpr_count 0
		.amdhsa_exception_fp_ieee_invalid_op 0
		.amdhsa_exception_fp_denorm_src 0
		.amdhsa_exception_fp_ieee_div_zero 0
		.amdhsa_exception_fp_ieee_overflow 0
		.amdhsa_exception_fp_ieee_underflow 0
		.amdhsa_exception_fp_ieee_inexact 0
		.amdhsa_exception_int_div_zero 0
	.end_amdhsa_kernel
	.section	.text._ZN2at6native29vectorized_elementwise_kernelILi2EZZZNS0_21clamp_min_kernel_cudaERNS_18TensorIteratorBaseERKN3c106ScalarEENKUlvE_clEvENKUlvE_clEvEUlhE_St5arrayIPcLm2EEEEviT0_T1_,"axG",@progbits,_ZN2at6native29vectorized_elementwise_kernelILi2EZZZNS0_21clamp_min_kernel_cudaERNS_18TensorIteratorBaseERKN3c106ScalarEENKUlvE_clEvENKUlvE_clEvEUlhE_St5arrayIPcLm2EEEEviT0_T1_,comdat
.Lfunc_end349:
	.size	_ZN2at6native29vectorized_elementwise_kernelILi2EZZZNS0_21clamp_min_kernel_cudaERNS_18TensorIteratorBaseERKN3c106ScalarEENKUlvE_clEvENKUlvE_clEvEUlhE_St5arrayIPcLm2EEEEviT0_T1_, .Lfunc_end349-_ZN2at6native29vectorized_elementwise_kernelILi2EZZZNS0_21clamp_min_kernel_cudaERNS_18TensorIteratorBaseERKN3c106ScalarEENKUlvE_clEvENKUlvE_clEvEUlhE_St5arrayIPcLm2EEEEviT0_T1_
                                        ; -- End function
	.section	.AMDGPU.csdata,"",@progbits
; Kernel info:
; codeLenInByte = 3412
; NumSgprs: 18
; NumVgprs: 23
; ScratchSize: 0
; MemoryBound: 0
; FloatMode: 240
; IeeeMode: 1
; LDSByteSize: 0 bytes/workgroup (compile time only)
; SGPRBlocks: 2
; VGPRBlocks: 2
; NumSGPRsForWavesPerEU: 18
; NumVGPRsForWavesPerEU: 23
; Occupancy: 16
; WaveLimiterHint : 1
; COMPUTE_PGM_RSRC2:SCRATCH_EN: 0
; COMPUTE_PGM_RSRC2:USER_SGPR: 15
; COMPUTE_PGM_RSRC2:TRAP_HANDLER: 0
; COMPUTE_PGM_RSRC2:TGID_X_EN: 1
; COMPUTE_PGM_RSRC2:TGID_Y_EN: 0
; COMPUTE_PGM_RSRC2:TGID_Z_EN: 0
; COMPUTE_PGM_RSRC2:TIDIG_COMP_CNT: 0
	.section	.text._ZN2at6native27unrolled_elementwise_kernelIZZZNS0_21clamp_min_kernel_cudaERNS_18TensorIteratorBaseERKN3c106ScalarEENKUlvE_clEvENKUlvE_clEvEUlhE_St5arrayIPcLm2EELi4E23TrivialOffsetCalculatorILi1EjESF_NS0_6memory15LoadWithoutCastENSG_16StoreWithoutCastEEEviT_T0_T2_T3_T4_T5_,"axG",@progbits,_ZN2at6native27unrolled_elementwise_kernelIZZZNS0_21clamp_min_kernel_cudaERNS_18TensorIteratorBaseERKN3c106ScalarEENKUlvE_clEvENKUlvE_clEvEUlhE_St5arrayIPcLm2EELi4E23TrivialOffsetCalculatorILi1EjESF_NS0_6memory15LoadWithoutCastENSG_16StoreWithoutCastEEEviT_T0_T2_T3_T4_T5_,comdat
	.globl	_ZN2at6native27unrolled_elementwise_kernelIZZZNS0_21clamp_min_kernel_cudaERNS_18TensorIteratorBaseERKN3c106ScalarEENKUlvE_clEvENKUlvE_clEvEUlhE_St5arrayIPcLm2EELi4E23TrivialOffsetCalculatorILi1EjESF_NS0_6memory15LoadWithoutCastENSG_16StoreWithoutCastEEEviT_T0_T2_T3_T4_T5_ ; -- Begin function _ZN2at6native27unrolled_elementwise_kernelIZZZNS0_21clamp_min_kernel_cudaERNS_18TensorIteratorBaseERKN3c106ScalarEENKUlvE_clEvENKUlvE_clEvEUlhE_St5arrayIPcLm2EELi4E23TrivialOffsetCalculatorILi1EjESF_NS0_6memory15LoadWithoutCastENSG_16StoreWithoutCastEEEviT_T0_T2_T3_T4_T5_
	.p2align	8
	.type	_ZN2at6native27unrolled_elementwise_kernelIZZZNS0_21clamp_min_kernel_cudaERNS_18TensorIteratorBaseERKN3c106ScalarEENKUlvE_clEvENKUlvE_clEvEUlhE_St5arrayIPcLm2EELi4E23TrivialOffsetCalculatorILi1EjESF_NS0_6memory15LoadWithoutCastENSG_16StoreWithoutCastEEEviT_T0_T2_T3_T4_T5_,@function
_ZN2at6native27unrolled_elementwise_kernelIZZZNS0_21clamp_min_kernel_cudaERNS_18TensorIteratorBaseERKN3c106ScalarEENKUlvE_clEvENKUlvE_clEvEUlhE_St5arrayIPcLm2EELi4E23TrivialOffsetCalculatorILi1EjESF_NS0_6memory15LoadWithoutCastENSG_16StoreWithoutCastEEEviT_T0_T2_T3_T4_T5_: ; @_ZN2at6native27unrolled_elementwise_kernelIZZZNS0_21clamp_min_kernel_cudaERNS_18TensorIteratorBaseERKN3c106ScalarEENKUlvE_clEvENKUlvE_clEvEUlhE_St5arrayIPcLm2EELi4E23TrivialOffsetCalculatorILi1EjESF_NS0_6memory15LoadWithoutCastENSG_16StoreWithoutCastEEEviT_T0_T2_T3_T4_T5_
; %bb.0:
	s_clause 0x1
	s_load_b64 s[2:3], s[0:1], 0x0
	s_load_b128 s[4:7], s[0:1], 0x8
	s_lshl_b32 s1, s15, 10
	v_dual_mov_b32 v3, 0 :: v_dual_mov_b32 v4, 0
	v_or_b32_e32 v1, s1, v0
	v_or_b32_e32 v2, 0x100, v0
	v_mov_b32_e32 v6, v0
	s_waitcnt lgkmcnt(0)
	s_sub_i32 s2, s2, s1
	s_delay_alu instid0(SALU_CYCLE_1)
	v_cmp_gt_i32_e32 vcc_lo, s2, v0
	s_and_saveexec_b32 s0, vcc_lo
	s_cbranch_execz .LBB350_2
; %bb.1:
	global_load_u8 v4, v1, s[6:7]
	v_or_b32_e32 v6, 0x100, v0
.LBB350_2:
	s_or_b32 exec_lo, exec_lo, s0
	s_delay_alu instid0(SALU_CYCLE_1) | instskip(NEXT) | instid1(VALU_DEP_1)
	s_mov_b32 s8, exec_lo
	v_cmpx_gt_i32_e64 s2, v6
	s_cbranch_execz .LBB350_4
; %bb.3:
	v_add_nc_u32_e32 v3, s1, v6
	v_add_nc_u32_e32 v6, 0x100, v6
	global_load_u8 v3, v3, s[6:7]
.LBB350_4:
	s_or_b32 exec_lo, exec_lo, s8
	v_mov_b32_e32 v5, 0
	v_mov_b32_e32 v7, 0
	s_mov_b32 s8, exec_lo
	v_cmpx_gt_i32_e64 s2, v6
	s_cbranch_execz .LBB350_6
; %bb.5:
	v_add_nc_u32_e32 v7, s1, v6
	v_add_nc_u32_e32 v6, 0x100, v6
	global_load_u8 v7, v7, s[6:7]
.LBB350_6:
	s_or_b32 exec_lo, exec_lo, s8
	s_delay_alu instid0(SALU_CYCLE_1)
	s_mov_b32 s8, exec_lo
	v_cmpx_gt_i32_e64 s2, v6
	s_cbranch_execz .LBB350_8
; %bb.7:
	v_add_nc_u32_e32 v5, s1, v6
	global_load_u8 v5, v5, s[6:7]
.LBB350_8:
	s_or_b32 exec_lo, exec_lo, s8
	v_and_b32_e64 v6, 0xff, s3
	s_waitcnt vmcnt(0)
	v_and_b32_e32 v3, 0xff, v3
	v_and_b32_e32 v4, 0xff, v4
	;; [unrolled: 1-line block ×3, first 2 shown]
	v_cmp_gt_i32_e64 s0, s2, v2
	s_delay_alu instid0(VALU_DEP_4) | instskip(NEXT) | instid1(VALU_DEP_4)
	v_max_u16 v3, v3, v6
	v_max_u16 v4, v4, v6
	s_delay_alu instid0(VALU_DEP_4) | instskip(NEXT) | instid1(VALU_DEP_3)
	v_max_u16 v7, v7, v6
	v_lshlrev_b16 v3, 8, v3
	s_delay_alu instid0(VALU_DEP_2) | instskip(NEXT) | instid1(VALU_DEP_2)
	v_lshlrev_b32_e32 v7, 16, v7
	v_or_b32_e32 v3, v4, v3
	v_and_b32_e32 v4, 0xffff, v4
	s_delay_alu instid0(VALU_DEP_2) | instskip(NEXT) | instid1(VALU_DEP_1)
	v_and_b32_e32 v3, 0xffff, v3
	v_cndmask_b32_e64 v3, v4, v3, s0
	v_or_b32_e32 v4, 0x200, v0
	s_delay_alu instid0(VALU_DEP_2) | instskip(NEXT) | instid1(VALU_DEP_2)
	v_or_b32_e32 v7, v3, v7
	v_cmp_gt_i32_e64 s0, s2, v4
	v_and_b32_e32 v4, 0xff, v5
	s_delay_alu instid0(VALU_DEP_2) | instskip(NEXT) | instid1(VALU_DEP_2)
	v_cndmask_b32_e64 v3, v3, v7, s0
	v_max_u16 v4, v4, v6
	s_delay_alu instid0(VALU_DEP_2) | instskip(NEXT) | instid1(VALU_DEP_2)
	v_lshrrev_b32_e32 v5, 16, v3
	v_lshlrev_b16 v4, 8, v4
	s_delay_alu instid0(VALU_DEP_2) | instskip(NEXT) | instid1(VALU_DEP_1)
	v_and_b32_e32 v5, 0xff, v5
	v_or_b32_e32 v4, v5, v4
	v_or_b32_e32 v5, 0x300, v0
	s_delay_alu instid0(VALU_DEP_2) | instskip(NEXT) | instid1(VALU_DEP_2)
	v_lshlrev_b32_e32 v4, 16, v4
	v_cmp_gt_i32_e64 s0, s2, v5
	s_delay_alu instid0(VALU_DEP_2) | instskip(NEXT) | instid1(VALU_DEP_1)
	v_and_or_b32 v4, 0xffff, v3, v4
	v_cndmask_b32_e64 v3, v3, v4, s0
	s_and_saveexec_b32 s0, vcc_lo
	s_cbranch_execnz .LBB350_13
; %bb.9:
	s_or_b32 exec_lo, exec_lo, s0
	s_delay_alu instid0(SALU_CYCLE_1)
	s_mov_b32 s0, exec_lo
	v_cmpx_gt_i32_e64 s2, v0
	s_cbranch_execnz .LBB350_14
.LBB350_10:
	s_or_b32 exec_lo, exec_lo, s0
	s_delay_alu instid0(SALU_CYCLE_1)
	s_mov_b32 s0, exec_lo
	v_cmpx_gt_i32_e64 s2, v0
	s_cbranch_execnz .LBB350_15
.LBB350_11:
	s_or_b32 exec_lo, exec_lo, s0
	s_delay_alu instid0(SALU_CYCLE_1)
	s_mov_b32 s0, exec_lo
	v_cmpx_gt_i32_e64 s2, v0
	s_cbranch_execnz .LBB350_16
.LBB350_12:
	s_nop 0
	s_sendmsg sendmsg(MSG_DEALLOC_VGPRS)
	s_endpgm
.LBB350_13:
	v_mov_b32_e32 v0, v2
	global_store_b8 v1, v3, s[4:5]
	s_or_b32 exec_lo, exec_lo, s0
	s_delay_alu instid0(SALU_CYCLE_1)
	s_mov_b32 s0, exec_lo
	v_cmpx_gt_i32_e64 s2, v0
	s_cbranch_execz .LBB350_10
.LBB350_14:
	v_add_nc_u32_e32 v1, 0x100, v0
	v_lshrrev_b32_e32 v2, 8, v3
	v_add_nc_u32_e32 v4, s1, v0
	s_delay_alu instid0(VALU_DEP_3) | instskip(SKIP_2) | instid1(SALU_CYCLE_1)
	v_mov_b32_e32 v0, v1
	global_store_b8 v4, v2, s[4:5]
	s_or_b32 exec_lo, exec_lo, s0
	s_mov_b32 s0, exec_lo
	v_cmpx_gt_i32_e64 s2, v0
	s_cbranch_execz .LBB350_11
.LBB350_15:
	v_add_nc_u32_e32 v1, 0x100, v0
	v_add_nc_u32_e32 v2, s1, v0
	s_delay_alu instid0(VALU_DEP_2) | instskip(SKIP_2) | instid1(SALU_CYCLE_1)
	v_mov_b32_e32 v0, v1
	global_store_d16_hi_b8 v2, v3, s[4:5]
	s_or_b32 exec_lo, exec_lo, s0
	s_mov_b32 s0, exec_lo
	v_cmpx_gt_i32_e64 s2, v0
	s_cbranch_execz .LBB350_12
.LBB350_16:
	v_lshrrev_b32_e32 v1, 24, v3
	v_add_nc_u32_e32 v0, s1, v0
	global_store_b8 v0, v1, s[4:5]
	s_nop 0
	s_sendmsg sendmsg(MSG_DEALLOC_VGPRS)
	s_endpgm
	.section	.rodata,"a",@progbits
	.p2align	6, 0x0
	.amdhsa_kernel _ZN2at6native27unrolled_elementwise_kernelIZZZNS0_21clamp_min_kernel_cudaERNS_18TensorIteratorBaseERKN3c106ScalarEENKUlvE_clEvENKUlvE_clEvEUlhE_St5arrayIPcLm2EELi4E23TrivialOffsetCalculatorILi1EjESF_NS0_6memory15LoadWithoutCastENSG_16StoreWithoutCastEEEviT_T0_T2_T3_T4_T5_
		.amdhsa_group_segment_fixed_size 0
		.amdhsa_private_segment_fixed_size 0
		.amdhsa_kernarg_size 28
		.amdhsa_user_sgpr_count 15
		.amdhsa_user_sgpr_dispatch_ptr 0
		.amdhsa_user_sgpr_queue_ptr 0
		.amdhsa_user_sgpr_kernarg_segment_ptr 1
		.amdhsa_user_sgpr_dispatch_id 0
		.amdhsa_user_sgpr_private_segment_size 0
		.amdhsa_wavefront_size32 1
		.amdhsa_uses_dynamic_stack 0
		.amdhsa_enable_private_segment 0
		.amdhsa_system_sgpr_workgroup_id_x 1
		.amdhsa_system_sgpr_workgroup_id_y 0
		.amdhsa_system_sgpr_workgroup_id_z 0
		.amdhsa_system_sgpr_workgroup_info 0
		.amdhsa_system_vgpr_workitem_id 0
		.amdhsa_next_free_vgpr 8
		.amdhsa_next_free_sgpr 16
		.amdhsa_reserve_vcc 1
		.amdhsa_float_round_mode_32 0
		.amdhsa_float_round_mode_16_64 0
		.amdhsa_float_denorm_mode_32 3
		.amdhsa_float_denorm_mode_16_64 3
		.amdhsa_dx10_clamp 1
		.amdhsa_ieee_mode 1
		.amdhsa_fp16_overflow 0
		.amdhsa_workgroup_processor_mode 1
		.amdhsa_memory_ordered 1
		.amdhsa_forward_progress 0
		.amdhsa_shared_vgpr_count 0
		.amdhsa_exception_fp_ieee_invalid_op 0
		.amdhsa_exception_fp_denorm_src 0
		.amdhsa_exception_fp_ieee_div_zero 0
		.amdhsa_exception_fp_ieee_overflow 0
		.amdhsa_exception_fp_ieee_underflow 0
		.amdhsa_exception_fp_ieee_inexact 0
		.amdhsa_exception_int_div_zero 0
	.end_amdhsa_kernel
	.section	.text._ZN2at6native27unrolled_elementwise_kernelIZZZNS0_21clamp_min_kernel_cudaERNS_18TensorIteratorBaseERKN3c106ScalarEENKUlvE_clEvENKUlvE_clEvEUlhE_St5arrayIPcLm2EELi4E23TrivialOffsetCalculatorILi1EjESF_NS0_6memory15LoadWithoutCastENSG_16StoreWithoutCastEEEviT_T0_T2_T3_T4_T5_,"axG",@progbits,_ZN2at6native27unrolled_elementwise_kernelIZZZNS0_21clamp_min_kernel_cudaERNS_18TensorIteratorBaseERKN3c106ScalarEENKUlvE_clEvENKUlvE_clEvEUlhE_St5arrayIPcLm2EELi4E23TrivialOffsetCalculatorILi1EjESF_NS0_6memory15LoadWithoutCastENSG_16StoreWithoutCastEEEviT_T0_T2_T3_T4_T5_,comdat
.Lfunc_end350:
	.size	_ZN2at6native27unrolled_elementwise_kernelIZZZNS0_21clamp_min_kernel_cudaERNS_18TensorIteratorBaseERKN3c106ScalarEENKUlvE_clEvENKUlvE_clEvEUlhE_St5arrayIPcLm2EELi4E23TrivialOffsetCalculatorILi1EjESF_NS0_6memory15LoadWithoutCastENSG_16StoreWithoutCastEEEviT_T0_T2_T3_T4_T5_, .Lfunc_end350-_ZN2at6native27unrolled_elementwise_kernelIZZZNS0_21clamp_min_kernel_cudaERNS_18TensorIteratorBaseERKN3c106ScalarEENKUlvE_clEvENKUlvE_clEvEUlhE_St5arrayIPcLm2EELi4E23TrivialOffsetCalculatorILi1EjESF_NS0_6memory15LoadWithoutCastENSG_16StoreWithoutCastEEEviT_T0_T2_T3_T4_T5_
                                        ; -- End function
	.section	.AMDGPU.csdata,"",@progbits
; Kernel info:
; codeLenInByte = 736
; NumSgprs: 18
; NumVgprs: 8
; ScratchSize: 0
; MemoryBound: 0
; FloatMode: 240
; IeeeMode: 1
; LDSByteSize: 0 bytes/workgroup (compile time only)
; SGPRBlocks: 2
; VGPRBlocks: 0
; NumSGPRsForWavesPerEU: 18
; NumVGPRsForWavesPerEU: 8
; Occupancy: 16
; WaveLimiterHint : 0
; COMPUTE_PGM_RSRC2:SCRATCH_EN: 0
; COMPUTE_PGM_RSRC2:USER_SGPR: 15
; COMPUTE_PGM_RSRC2:TRAP_HANDLER: 0
; COMPUTE_PGM_RSRC2:TGID_X_EN: 1
; COMPUTE_PGM_RSRC2:TGID_Y_EN: 0
; COMPUTE_PGM_RSRC2:TGID_Z_EN: 0
; COMPUTE_PGM_RSRC2:TIDIG_COMP_CNT: 0
	.section	.text._ZN2at6native32elementwise_kernel_manual_unrollILi128ELi8EZNS0_22gpu_kernel_impl_nocastIZZZNS0_21clamp_min_kernel_cudaERNS_18TensorIteratorBaseERKN3c106ScalarEENKUlvE_clEvENKUlvE_clEvEUlhE_EEvS4_RKT_EUlibE_EEviT1_,"axG",@progbits,_ZN2at6native32elementwise_kernel_manual_unrollILi128ELi8EZNS0_22gpu_kernel_impl_nocastIZZZNS0_21clamp_min_kernel_cudaERNS_18TensorIteratorBaseERKN3c106ScalarEENKUlvE_clEvENKUlvE_clEvEUlhE_EEvS4_RKT_EUlibE_EEviT1_,comdat
	.globl	_ZN2at6native32elementwise_kernel_manual_unrollILi128ELi8EZNS0_22gpu_kernel_impl_nocastIZZZNS0_21clamp_min_kernel_cudaERNS_18TensorIteratorBaseERKN3c106ScalarEENKUlvE_clEvENKUlvE_clEvEUlhE_EEvS4_RKT_EUlibE_EEviT1_ ; -- Begin function _ZN2at6native32elementwise_kernel_manual_unrollILi128ELi8EZNS0_22gpu_kernel_impl_nocastIZZZNS0_21clamp_min_kernel_cudaERNS_18TensorIteratorBaseERKN3c106ScalarEENKUlvE_clEvENKUlvE_clEvEUlhE_EEvS4_RKT_EUlibE_EEviT1_
	.p2align	8
	.type	_ZN2at6native32elementwise_kernel_manual_unrollILi128ELi8EZNS0_22gpu_kernel_impl_nocastIZZZNS0_21clamp_min_kernel_cudaERNS_18TensorIteratorBaseERKN3c106ScalarEENKUlvE_clEvENKUlvE_clEvEUlhE_EEvS4_RKT_EUlibE_EEviT1_,@function
_ZN2at6native32elementwise_kernel_manual_unrollILi128ELi8EZNS0_22gpu_kernel_impl_nocastIZZZNS0_21clamp_min_kernel_cudaERNS_18TensorIteratorBaseERKN3c106ScalarEENKUlvE_clEvENKUlvE_clEvEUlhE_EEvS4_RKT_EUlibE_EEviT1_: ; @_ZN2at6native32elementwise_kernel_manual_unrollILi128ELi8EZNS0_22gpu_kernel_impl_nocastIZZZNS0_21clamp_min_kernel_cudaERNS_18TensorIteratorBaseERKN3c106ScalarEENKUlvE_clEvENKUlvE_clEvEUlhE_EEvS4_RKT_EUlibE_EEviT1_
; %bb.0:
	s_clause 0x1
	s_load_b32 s22, s[0:1], 0x8
	s_load_b32 s28, s[0:1], 0x0
	v_lshl_or_b32 v12, s15, 10, v0
	s_or_b32 s0, s0, 8
	s_mov_b32 s2, exec_lo
	s_delay_alu instid0(VALU_DEP_1) | instskip(SKIP_2) | instid1(SALU_CYCLE_1)
	v_or_b32_e32 v16, 0x380, v12
	s_waitcnt lgkmcnt(0)
	s_add_i32 s23, s22, -1
	s_cmp_gt_u32 s23, 1
	s_cselect_b32 s24, -1, 0
	v_cmpx_le_i32_e64 s28, v16
	s_xor_b32 s25, exec_lo, s2
	s_cbranch_execz .LBB351_7
; %bb.1:
	s_clause 0x4
	s_load_b128 s[12:15], s[0:1], 0x4
	s_load_b64 s[2:3], s[0:1], 0x14
	s_load_b128 s[8:11], s[0:1], 0xc4
	s_load_b128 s[4:7], s[0:1], 0x148
	s_load_b32 s26, s[0:1], 0x158
	s_cmp_lg_u32 s22, 0
	s_mov_b32 s31, exec_lo
	s_cselect_b32 s30, -1, 0
	s_add_u32 s16, s0, 0xc4
	s_addc_u32 s17, s1, 0
	s_min_u32 s29, s23, 15
	s_cmp_gt_u32 s22, 1
	s_cselect_b32 s27, -1, 0
	v_cmpx_gt_i32_e64 s28, v12
	s_cbranch_execz .LBB351_14
; %bb.2:
	s_and_not1_b32 vcc_lo, exec_lo, s24
	s_cbranch_vccnz .LBB351_21
; %bb.3:
	v_dual_mov_b32 v0, 0 :: v_dual_mov_b32 v1, 0
	s_and_not1_b32 vcc_lo, exec_lo, s30
	s_mov_b32 s33, 0
	s_cbranch_vccnz .LBB351_125
; %bb.4:
	v_mov_b32_e32 v0, 0
	s_add_i32 s35, s29, 1
	s_cmp_eq_u32 s23, 2
	s_mov_b32 s34, 0
	s_cbranch_scc1 .LBB351_121
; %bb.5:
	v_dual_mov_b32 v1, 0 :: v_dual_mov_b32 v0, 0
	v_mov_b32_e32 v2, v12
	s_and_b32 s34, s35, 28
	s_mov_b32 s36, 0
	s_mov_b64 s[18:19], s[16:17]
	s_mov_b64 s[20:21], s[0:1]
.LBB351_6:                              ; =>This Inner Loop Header: Depth=1
	s_clause 0x1
	s_load_b256 s[40:47], s[20:21], 0x4
	s_load_b128 s[56:59], s[20:21], 0x24
	s_load_b256 s[48:55], s[18:19], 0x0
	s_add_u32 s20, s20, 48
	s_addc_u32 s21, s21, 0
	s_add_i32 s36, s36, 4
	s_add_u32 s18, s18, 32
	s_addc_u32 s19, s19, 0
	s_cmp_lg_u32 s34, s36
	s_waitcnt lgkmcnt(0)
	v_mul_hi_u32 v3, s41, v2
	s_delay_alu instid0(VALU_DEP_1) | instskip(NEXT) | instid1(VALU_DEP_1)
	v_add_nc_u32_e32 v3, v2, v3
	v_lshrrev_b32_e32 v3, s42, v3
	s_delay_alu instid0(VALU_DEP_1) | instskip(SKIP_1) | instid1(VALU_DEP_2)
	v_mul_hi_u32 v4, s44, v3
	v_mul_lo_u32 v6, v3, s40
	v_add_nc_u32_e32 v4, v3, v4
	s_delay_alu instid0(VALU_DEP_2) | instskip(NEXT) | instid1(VALU_DEP_2)
	v_sub_nc_u32_e32 v2, v2, v6
	v_lshrrev_b32_e32 v4, s45, v4
	s_delay_alu instid0(VALU_DEP_2) | instskip(SKIP_1) | instid1(VALU_DEP_3)
	v_mul_lo_u32 v6, v2, s48
	v_mul_lo_u32 v8, v2, s49
	v_mul_hi_u32 v5, s47, v4
	s_delay_alu instid0(VALU_DEP_1) | instskip(NEXT) | instid1(VALU_DEP_1)
	v_add_nc_u32_e32 v5, v4, v5
	v_lshrrev_b32_e32 v5, s56, v5
	s_delay_alu instid0(VALU_DEP_1) | instskip(SKIP_1) | instid1(VALU_DEP_2)
	v_mul_hi_u32 v7, s58, v5
	v_mul_lo_u32 v9, v5, s46
	v_add_nc_u32_e32 v2, v5, v7
	v_mul_lo_u32 v7, v4, s43
	s_delay_alu instid0(VALU_DEP_3) | instskip(NEXT) | instid1(VALU_DEP_3)
	v_sub_nc_u32_e32 v4, v4, v9
	v_lshrrev_b32_e32 v2, s59, v2
	s_delay_alu instid0(VALU_DEP_2) | instskip(SKIP_2) | instid1(VALU_DEP_4)
	v_mul_lo_u32 v9, v4, s52
	v_mul_lo_u32 v4, v4, s53
	v_sub_nc_u32_e32 v3, v3, v7
	v_mul_lo_u32 v10, v2, s57
	s_delay_alu instid0(VALU_DEP_2) | instskip(SKIP_1) | instid1(VALU_DEP_3)
	v_mul_lo_u32 v7, v3, s50
	v_mul_lo_u32 v3, v3, s51
	v_sub_nc_u32_e32 v5, v5, v10
	s_delay_alu instid0(VALU_DEP_3) | instskip(NEXT) | instid1(VALU_DEP_2)
	v_add3_u32 v0, v6, v0, v7
	v_mul_lo_u32 v10, v5, s54
	v_mul_lo_u32 v5, v5, s55
	v_add3_u32 v1, v8, v1, v3
	s_delay_alu instid0(VALU_DEP_3) | instskip(NEXT) | instid1(VALU_DEP_2)
	v_add3_u32 v0, v9, v0, v10
	v_add3_u32 v1, v4, v1, v5
	s_cbranch_scc1 .LBB351_6
	s_branch .LBB351_122
.LBB351_7:
	s_and_not1_saveexec_b32 s2, s25
	s_cbranch_execz .LBB351_206
.LBB351_8:
	v_cndmask_b32_e64 v14, 0, 1, s24
	s_and_not1_b32 vcc_lo, exec_lo, s24
	s_cbranch_vccnz .LBB351_20
; %bb.9:
	v_dual_mov_b32 v0, 0 :: v_dual_mov_b32 v1, 0
	s_cmp_lg_u32 s22, 0
	s_mov_b32 s6, 0
	s_cbranch_scc0 .LBB351_26
; %bb.10:
	s_min_u32 s7, s23, 15
	v_mov_b32_e32 v0, 0
	s_add_i32 s7, s7, 1
	s_cmp_eq_u32 s23, 2
	s_mov_b32 s8, 0
	s_cbranch_scc1 .LBB351_23
; %bb.11:
	v_dual_mov_b32 v1, 0 :: v_dual_mov_b32 v0, 0
	v_mov_b32_e32 v2, v12
	s_add_u32 s2, s0, 0xc4
	s_addc_u32 s3, s1, 0
	s_and_b32 s8, s7, 28
	s_mov_b32 s9, 0
	s_mov_b64 s[4:5], s[0:1]
.LBB351_12:                             ; =>This Inner Loop Header: Depth=1
	s_clause 0x1
	s_load_b256 s[12:19], s[4:5], 0x4
	s_load_b128 s[36:39], s[4:5], 0x24
	s_load_b256 s[24:31], s[2:3], 0x0
	s_add_u32 s4, s4, 48
	s_addc_u32 s5, s5, 0
	s_add_i32 s9, s9, 4
	s_add_u32 s2, s2, 32
	s_addc_u32 s3, s3, 0
	s_cmp_lg_u32 s8, s9
	s_waitcnt lgkmcnt(0)
	v_mul_hi_u32 v3, s13, v2
	s_delay_alu instid0(VALU_DEP_1) | instskip(NEXT) | instid1(VALU_DEP_1)
	v_add_nc_u32_e32 v3, v2, v3
	v_lshrrev_b32_e32 v3, s14, v3
	s_delay_alu instid0(VALU_DEP_1) | instskip(SKIP_1) | instid1(VALU_DEP_2)
	v_mul_hi_u32 v4, s16, v3
	v_mul_lo_u32 v6, v3, s12
	v_add_nc_u32_e32 v4, v3, v4
	s_delay_alu instid0(VALU_DEP_2) | instskip(NEXT) | instid1(VALU_DEP_2)
	v_sub_nc_u32_e32 v2, v2, v6
	v_lshrrev_b32_e32 v4, s17, v4
	s_delay_alu instid0(VALU_DEP_2) | instskip(SKIP_1) | instid1(VALU_DEP_3)
	v_mul_lo_u32 v6, v2, s24
	v_mul_lo_u32 v8, v2, s25
	v_mul_hi_u32 v5, s19, v4
	s_delay_alu instid0(VALU_DEP_1) | instskip(NEXT) | instid1(VALU_DEP_1)
	v_add_nc_u32_e32 v5, v4, v5
	v_lshrrev_b32_e32 v5, s36, v5
	s_delay_alu instid0(VALU_DEP_1) | instskip(SKIP_1) | instid1(VALU_DEP_2)
	v_mul_hi_u32 v7, s38, v5
	v_mul_lo_u32 v9, v5, s18
	v_add_nc_u32_e32 v2, v5, v7
	v_mul_lo_u32 v7, v4, s15
	s_delay_alu instid0(VALU_DEP_3) | instskip(NEXT) | instid1(VALU_DEP_3)
	v_sub_nc_u32_e32 v4, v4, v9
	v_lshrrev_b32_e32 v2, s39, v2
	s_delay_alu instid0(VALU_DEP_2) | instskip(SKIP_2) | instid1(VALU_DEP_4)
	v_mul_lo_u32 v9, v4, s28
	v_mul_lo_u32 v4, v4, s29
	v_sub_nc_u32_e32 v3, v3, v7
	v_mul_lo_u32 v10, v2, s37
	s_delay_alu instid0(VALU_DEP_2) | instskip(SKIP_1) | instid1(VALU_DEP_3)
	v_mul_lo_u32 v7, v3, s26
	v_mul_lo_u32 v3, v3, s27
	v_sub_nc_u32_e32 v5, v5, v10
	s_delay_alu instid0(VALU_DEP_3) | instskip(NEXT) | instid1(VALU_DEP_2)
	v_add3_u32 v0, v6, v0, v7
	v_mul_lo_u32 v10, v5, s30
	v_mul_lo_u32 v5, v5, s31
	v_add3_u32 v1, v8, v1, v3
	s_delay_alu instid0(VALU_DEP_3) | instskip(NEXT) | instid1(VALU_DEP_2)
	v_add3_u32 v0, v9, v0, v10
	v_add3_u32 v1, v4, v1, v5
	s_cbranch_scc1 .LBB351_12
; %bb.13:
	s_and_b32 s7, s7, 3
	s_delay_alu instid0(SALU_CYCLE_1)
	s_cmp_eq_u32 s7, 0
	s_cbranch_scc0 .LBB351_24
	s_branch .LBB351_26
.LBB351_14:
	s_or_b32 exec_lo, exec_lo, s31
	s_delay_alu instid0(SALU_CYCLE_1)
	s_mov_b32 s31, exec_lo
	v_cmpx_gt_i32_e64 s28, v12
	s_cbranch_execz .LBB351_129
.LBB351_15:
	s_and_not1_b32 vcc_lo, exec_lo, s24
	s_cbranch_vccnz .LBB351_22
; %bb.16:
	v_dual_mov_b32 v0, 0 :: v_dual_mov_b32 v1, 0
	s_and_not1_b32 vcc_lo, exec_lo, s30
	s_mov_b32 s33, 0
	s_cbranch_vccnz .LBB351_140
; %bb.17:
	v_mov_b32_e32 v0, 0
	s_add_i32 s35, s29, 1
	s_cmp_eq_u32 s23, 2
	s_mov_b32 s34, 0
	s_cbranch_scc1 .LBB351_136
; %bb.18:
	v_dual_mov_b32 v1, 0 :: v_dual_mov_b32 v0, 0
	v_mov_b32_e32 v2, v12
	s_and_b32 s34, s35, 28
	s_mov_b32 s36, 0
	s_mov_b64 s[18:19], s[16:17]
	s_mov_b64 s[20:21], s[0:1]
.LBB351_19:                             ; =>This Inner Loop Header: Depth=1
	s_clause 0x1
	s_load_b256 s[40:47], s[20:21], 0x4
	s_load_b128 s[56:59], s[20:21], 0x24
	s_load_b256 s[48:55], s[18:19], 0x0
	s_add_u32 s20, s20, 48
	s_addc_u32 s21, s21, 0
	s_add_i32 s36, s36, 4
	s_add_u32 s18, s18, 32
	s_addc_u32 s19, s19, 0
	s_cmp_eq_u32 s34, s36
	s_waitcnt lgkmcnt(0)
	v_mul_hi_u32 v3, s41, v2
	s_delay_alu instid0(VALU_DEP_1) | instskip(NEXT) | instid1(VALU_DEP_1)
	v_add_nc_u32_e32 v3, v2, v3
	v_lshrrev_b32_e32 v3, s42, v3
	s_delay_alu instid0(VALU_DEP_1) | instskip(SKIP_1) | instid1(VALU_DEP_2)
	v_mul_hi_u32 v4, s44, v3
	v_mul_lo_u32 v6, v3, s40
	v_add_nc_u32_e32 v4, v3, v4
	s_delay_alu instid0(VALU_DEP_2) | instskip(NEXT) | instid1(VALU_DEP_2)
	v_sub_nc_u32_e32 v2, v2, v6
	v_lshrrev_b32_e32 v4, s45, v4
	s_delay_alu instid0(VALU_DEP_2) | instskip(SKIP_1) | instid1(VALU_DEP_3)
	v_mul_lo_u32 v6, v2, s48
	v_mul_lo_u32 v8, v2, s49
	v_mul_hi_u32 v5, s47, v4
	s_delay_alu instid0(VALU_DEP_1) | instskip(NEXT) | instid1(VALU_DEP_1)
	v_add_nc_u32_e32 v5, v4, v5
	v_lshrrev_b32_e32 v5, s56, v5
	s_delay_alu instid0(VALU_DEP_1) | instskip(SKIP_1) | instid1(VALU_DEP_2)
	v_mul_hi_u32 v7, s58, v5
	v_mul_lo_u32 v9, v5, s46
	v_add_nc_u32_e32 v2, v5, v7
	v_mul_lo_u32 v7, v4, s43
	s_delay_alu instid0(VALU_DEP_3) | instskip(NEXT) | instid1(VALU_DEP_3)
	v_sub_nc_u32_e32 v4, v4, v9
	v_lshrrev_b32_e32 v2, s59, v2
	s_delay_alu instid0(VALU_DEP_2) | instskip(SKIP_2) | instid1(VALU_DEP_4)
	v_mul_lo_u32 v9, v4, s52
	v_mul_lo_u32 v4, v4, s53
	v_sub_nc_u32_e32 v3, v3, v7
	v_mul_lo_u32 v10, v2, s57
	s_delay_alu instid0(VALU_DEP_2) | instskip(SKIP_1) | instid1(VALU_DEP_3)
	v_mul_lo_u32 v7, v3, s50
	v_mul_lo_u32 v3, v3, s51
	v_sub_nc_u32_e32 v5, v5, v10
	s_delay_alu instid0(VALU_DEP_3) | instskip(NEXT) | instid1(VALU_DEP_2)
	v_add3_u32 v0, v6, v0, v7
	v_mul_lo_u32 v10, v5, s54
	v_mul_lo_u32 v5, v5, s55
	v_add3_u32 v1, v8, v1, v3
	s_delay_alu instid0(VALU_DEP_3) | instskip(NEXT) | instid1(VALU_DEP_2)
	v_add3_u32 v0, v9, v0, v10
	v_add3_u32 v1, v4, v1, v5
	s_cbranch_scc0 .LBB351_19
	s_branch .LBB351_137
.LBB351_20:
	s_mov_b32 s6, -1
                                        ; implicit-def: $vgpr0
                                        ; implicit-def: $vgpr1
	s_branch .LBB351_26
.LBB351_21:
	s_mov_b32 s33, -1
                                        ; implicit-def: $vgpr0
                                        ; implicit-def: $vgpr1
	s_branch .LBB351_125
.LBB351_22:
	s_mov_b32 s33, -1
                                        ; implicit-def: $vgpr0
                                        ; implicit-def: $vgpr1
	s_branch .LBB351_140
.LBB351_23:
	v_dual_mov_b32 v2, v12 :: v_dual_mov_b32 v1, 0
	s_and_b32 s7, s7, 3
	s_delay_alu instid0(SALU_CYCLE_1)
	s_cmp_eq_u32 s7, 0
	s_cbranch_scc1 .LBB351_26
.LBB351_24:
	s_lshl_b32 s2, s8, 3
	s_mul_i32 s4, s8, 12
	s_add_u32 s2, s2, s0
	s_addc_u32 s3, 0, s1
	s_add_u32 s2, s2, 0xc4
	s_addc_u32 s3, s3, 0
	;; [unrolled: 2-line block ×3, first 2 shown]
	.p2align	6
.LBB351_25:                             ; =>This Inner Loop Header: Depth=1
	s_clause 0x1
	s_load_b64 s[8:9], s[4:5], 0x4
	s_load_b32 s12, s[4:5], 0xc
	s_load_b64 s[10:11], s[2:3], 0x0
	s_add_u32 s4, s4, 12
	s_addc_u32 s5, s5, 0
	s_add_u32 s2, s2, 8
	s_addc_u32 s3, s3, 0
	s_add_i32 s7, s7, -1
	s_delay_alu instid0(SALU_CYCLE_1) | instskip(SKIP_2) | instid1(VALU_DEP_1)
	s_cmp_lg_u32 s7, 0
	s_waitcnt lgkmcnt(0)
	v_mul_hi_u32 v3, s9, v2
	v_add_nc_u32_e32 v3, v2, v3
	s_delay_alu instid0(VALU_DEP_1) | instskip(NEXT) | instid1(VALU_DEP_1)
	v_lshrrev_b32_e32 v6, s12, v3
	v_mul_lo_u32 v3, v6, s8
	s_delay_alu instid0(VALU_DEP_1) | instskip(NEXT) | instid1(VALU_DEP_1)
	v_sub_nc_u32_e32 v2, v2, v3
	v_mad_u64_u32 v[3:4], null, v2, s10, v[0:1]
	v_mad_u64_u32 v[4:5], null, v2, s11, v[1:2]
	v_mov_b32_e32 v2, v6
	s_delay_alu instid0(VALU_DEP_2)
	v_dual_mov_b32 v0, v3 :: v_dual_mov_b32 v1, v4
	s_cbranch_scc1 .LBB351_25
.LBB351_26:
	s_and_not1_b32 vcc_lo, exec_lo, s6
	s_cbranch_vccnz .LBB351_29
; %bb.27:
	s_clause 0x1
	s_load_b128 s[4:7], s[0:1], 0x4
	s_load_b64 s[2:3], s[0:1], 0xc4
	s_cmp_lt_u32 s22, 2
	s_waitcnt lgkmcnt(0)
	v_mul_hi_u32 v0, s5, v12
	s_delay_alu instid0(VALU_DEP_1) | instskip(NEXT) | instid1(VALU_DEP_1)
	v_add_nc_u32_e32 v0, v12, v0
	v_lshrrev_b32_e32 v2, s6, v0
	s_delay_alu instid0(VALU_DEP_1) | instskip(NEXT) | instid1(VALU_DEP_1)
	v_mul_lo_u32 v0, v2, s4
	v_sub_nc_u32_e32 v1, v12, v0
	s_delay_alu instid0(VALU_DEP_1)
	v_mul_lo_u32 v0, v1, s2
	v_mul_lo_u32 v1, v1, s3
	s_cbranch_scc1 .LBB351_29
; %bb.28:
	s_clause 0x1
	s_load_b128 s[4:7], s[0:1], 0x10
	s_load_b64 s[2:3], s[0:1], 0xcc
	s_waitcnt lgkmcnt(0)
	v_mul_hi_u32 v3, s5, v2
	s_delay_alu instid0(VALU_DEP_1) | instskip(NEXT) | instid1(VALU_DEP_1)
	v_add_nc_u32_e32 v3, v2, v3
	v_lshrrev_b32_e32 v3, s6, v3
	s_delay_alu instid0(VALU_DEP_1) | instskip(NEXT) | instid1(VALU_DEP_1)
	v_mul_lo_u32 v3, v3, s4
	v_sub_nc_u32_e32 v5, v2, v3
	s_delay_alu instid0(VALU_DEP_1) | instskip(NEXT) | instid1(VALU_DEP_1)
	v_mad_u64_u32 v[2:3], null, v5, s2, v[0:1]
	v_mad_u64_u32 v[3:4], null, v5, s3, v[1:2]
	s_delay_alu instid0(VALU_DEP_1)
	v_dual_mov_b32 v0, v2 :: v_dual_mov_b32 v1, v3
.LBB351_29:
	v_cmp_ne_u32_e32 vcc_lo, 1, v14
	v_add_nc_u32_e32 v4, 0x80, v12
	s_cbranch_vccnz .LBB351_35
; %bb.30:
	v_dual_mov_b32 v2, 0 :: v_dual_mov_b32 v3, 0
	s_cmp_lg_u32 s22, 0
	s_mov_b32 s6, 0
	s_cbranch_scc0 .LBB351_39
; %bb.31:
	s_min_u32 s7, s23, 15
	v_mov_b32_e32 v2, 0
	s_add_i32 s7, s7, 1
	s_cmp_eq_u32 s23, 2
	s_mov_b32 s8, 0
	s_cbranch_scc1 .LBB351_36
; %bb.32:
	v_dual_mov_b32 v3, 0 :: v_dual_mov_b32 v2, 0
	v_mov_b32_e32 v5, v4
	s_add_u32 s2, s0, 0xc4
	s_addc_u32 s3, s1, 0
	s_and_b32 s8, s7, 28
	s_mov_b32 s9, 0
	s_mov_b64 s[4:5], s[0:1]
.LBB351_33:                             ; =>This Inner Loop Header: Depth=1
	s_clause 0x1
	s_load_b256 s[12:19], s[4:5], 0x4
	s_load_b128 s[36:39], s[4:5], 0x24
	s_load_b256 s[24:31], s[2:3], 0x0
	s_add_u32 s4, s4, 48
	s_addc_u32 s5, s5, 0
	s_add_i32 s9, s9, 4
	s_add_u32 s2, s2, 32
	s_addc_u32 s3, s3, 0
	s_cmp_lg_u32 s8, s9
	s_waitcnt lgkmcnt(0)
	v_mul_hi_u32 v6, s13, v5
	s_delay_alu instid0(VALU_DEP_1) | instskip(NEXT) | instid1(VALU_DEP_1)
	v_add_nc_u32_e32 v6, v5, v6
	v_lshrrev_b32_e32 v6, s14, v6
	s_delay_alu instid0(VALU_DEP_1) | instskip(SKIP_1) | instid1(VALU_DEP_2)
	v_mul_hi_u32 v7, s16, v6
	v_mul_lo_u32 v9, v6, s12
	v_add_nc_u32_e32 v7, v6, v7
	s_delay_alu instid0(VALU_DEP_2) | instskip(NEXT) | instid1(VALU_DEP_2)
	v_sub_nc_u32_e32 v5, v5, v9
	v_lshrrev_b32_e32 v7, s17, v7
	s_delay_alu instid0(VALU_DEP_2) | instskip(SKIP_1) | instid1(VALU_DEP_3)
	v_mul_lo_u32 v9, v5, s24
	v_mul_lo_u32 v11, v5, s25
	v_mul_hi_u32 v8, s19, v7
	s_delay_alu instid0(VALU_DEP_1) | instskip(NEXT) | instid1(VALU_DEP_1)
	v_add_nc_u32_e32 v8, v7, v8
	v_lshrrev_b32_e32 v8, s36, v8
	s_delay_alu instid0(VALU_DEP_1) | instskip(SKIP_1) | instid1(VALU_DEP_2)
	v_mul_hi_u32 v10, s38, v8
	v_mul_lo_u32 v13, v8, s18
	v_add_nc_u32_e32 v5, v8, v10
	v_mul_lo_u32 v10, v7, s15
	s_delay_alu instid0(VALU_DEP_3) | instskip(NEXT) | instid1(VALU_DEP_3)
	v_sub_nc_u32_e32 v7, v7, v13
	v_lshrrev_b32_e32 v5, s39, v5
	s_delay_alu instid0(VALU_DEP_2) | instskip(SKIP_2) | instid1(VALU_DEP_4)
	v_mul_lo_u32 v13, v7, s28
	v_mul_lo_u32 v7, v7, s29
	v_sub_nc_u32_e32 v6, v6, v10
	v_mul_lo_u32 v15, v5, s37
	s_delay_alu instid0(VALU_DEP_2) | instskip(SKIP_1) | instid1(VALU_DEP_3)
	v_mul_lo_u32 v10, v6, s26
	v_mul_lo_u32 v6, v6, s27
	v_sub_nc_u32_e32 v8, v8, v15
	s_delay_alu instid0(VALU_DEP_3) | instskip(NEXT) | instid1(VALU_DEP_2)
	v_add3_u32 v2, v9, v2, v10
	v_mul_lo_u32 v15, v8, s30
	v_mul_lo_u32 v8, v8, s31
	v_add3_u32 v3, v11, v3, v6
	s_delay_alu instid0(VALU_DEP_3) | instskip(NEXT) | instid1(VALU_DEP_2)
	v_add3_u32 v2, v13, v2, v15
	v_add3_u32 v3, v7, v3, v8
	s_cbranch_scc1 .LBB351_33
; %bb.34:
	s_and_b32 s7, s7, 3
	s_delay_alu instid0(SALU_CYCLE_1)
	s_cmp_eq_u32 s7, 0
	s_cbranch_scc0 .LBB351_37
	s_branch .LBB351_39
.LBB351_35:
	s_mov_b32 s6, -1
                                        ; implicit-def: $vgpr2
                                        ; implicit-def: $vgpr3
	s_branch .LBB351_39
.LBB351_36:
	v_mov_b32_e32 v5, v4
	v_mov_b32_e32 v3, 0
	s_and_b32 s7, s7, 3
	s_delay_alu instid0(SALU_CYCLE_1)
	s_cmp_eq_u32 s7, 0
	s_cbranch_scc1 .LBB351_39
.LBB351_37:
	s_lshl_b32 s2, s8, 3
	s_mul_i32 s4, s8, 12
	s_add_u32 s2, s2, s0
	s_addc_u32 s3, 0, s1
	s_add_u32 s2, s2, 0xc4
	s_addc_u32 s3, s3, 0
	s_add_u32 s4, s0, s4
	s_addc_u32 s5, 0, s1
	.p2align	6
.LBB351_38:                             ; =>This Inner Loop Header: Depth=1
	s_clause 0x1
	s_load_b64 s[8:9], s[4:5], 0x4
	s_load_b32 s12, s[4:5], 0xc
	s_load_b64 s[10:11], s[2:3], 0x0
	s_add_u32 s4, s4, 12
	s_addc_u32 s5, s5, 0
	s_add_u32 s2, s2, 8
	s_addc_u32 s3, s3, 0
	s_add_i32 s7, s7, -1
	s_delay_alu instid0(SALU_CYCLE_1) | instskip(SKIP_2) | instid1(VALU_DEP_1)
	s_cmp_lg_u32 s7, 0
	s_waitcnt lgkmcnt(0)
	v_mul_hi_u32 v6, s9, v5
	v_add_nc_u32_e32 v6, v5, v6
	s_delay_alu instid0(VALU_DEP_1) | instskip(NEXT) | instid1(VALU_DEP_1)
	v_lshrrev_b32_e32 v9, s12, v6
	v_mul_lo_u32 v6, v9, s8
	s_delay_alu instid0(VALU_DEP_1) | instskip(NEXT) | instid1(VALU_DEP_1)
	v_sub_nc_u32_e32 v5, v5, v6
	v_mad_u64_u32 v[6:7], null, v5, s10, v[2:3]
	v_mad_u64_u32 v[7:8], null, v5, s11, v[3:4]
	s_delay_alu instid0(VALU_DEP_2) | instskip(NEXT) | instid1(VALU_DEP_2)
	v_dual_mov_b32 v5, v9 :: v_dual_mov_b32 v2, v6
	v_mov_b32_e32 v3, v7
	s_cbranch_scc1 .LBB351_38
.LBB351_39:
	s_and_not1_b32 vcc_lo, exec_lo, s6
	s_cbranch_vccnz .LBB351_42
; %bb.40:
	s_clause 0x1
	s_load_b128 s[4:7], s[0:1], 0x4
	s_load_b64 s[2:3], s[0:1], 0xc4
	s_cmp_lt_u32 s22, 2
	s_waitcnt lgkmcnt(0)
	v_mul_hi_u32 v2, s5, v4
	s_delay_alu instid0(VALU_DEP_1) | instskip(NEXT) | instid1(VALU_DEP_1)
	v_add_nc_u32_e32 v2, v4, v2
	v_lshrrev_b32_e32 v5, s6, v2
	s_delay_alu instid0(VALU_DEP_1) | instskip(NEXT) | instid1(VALU_DEP_1)
	v_mul_lo_u32 v2, v5, s4
	v_sub_nc_u32_e32 v3, v4, v2
	s_delay_alu instid0(VALU_DEP_1)
	v_mul_lo_u32 v2, v3, s2
	v_mul_lo_u32 v3, v3, s3
	s_cbranch_scc1 .LBB351_42
; %bb.41:
	s_clause 0x1
	s_load_b128 s[4:7], s[0:1], 0x10
	s_load_b64 s[2:3], s[0:1], 0xcc
	s_waitcnt lgkmcnt(0)
	v_mul_hi_u32 v4, s5, v5
	s_delay_alu instid0(VALU_DEP_1) | instskip(NEXT) | instid1(VALU_DEP_1)
	v_add_nc_u32_e32 v4, v5, v4
	v_lshrrev_b32_e32 v4, s6, v4
	s_delay_alu instid0(VALU_DEP_1) | instskip(NEXT) | instid1(VALU_DEP_1)
	v_mul_lo_u32 v4, v4, s4
	v_sub_nc_u32_e32 v7, v5, v4
	s_delay_alu instid0(VALU_DEP_1) | instskip(NEXT) | instid1(VALU_DEP_1)
	v_mad_u64_u32 v[4:5], null, v7, s2, v[2:3]
	v_mad_u64_u32 v[5:6], null, v7, s3, v[3:4]
	s_delay_alu instid0(VALU_DEP_1)
	v_dual_mov_b32 v2, v4 :: v_dual_mov_b32 v3, v5
.LBB351_42:
	v_cmp_ne_u32_e32 vcc_lo, 1, v14
	v_add_nc_u32_e32 v6, 0x100, v12
	s_cbranch_vccnz .LBB351_48
; %bb.43:
	v_dual_mov_b32 v4, 0 :: v_dual_mov_b32 v5, 0
	s_cmp_lg_u32 s22, 0
	s_mov_b32 s6, 0
	s_cbranch_scc0 .LBB351_52
; %bb.44:
	s_min_u32 s7, s23, 15
	v_mov_b32_e32 v4, 0
	s_add_i32 s7, s7, 1
	s_cmp_eq_u32 s23, 2
	s_mov_b32 s8, 0
	s_cbranch_scc1 .LBB351_49
; %bb.45:
	v_dual_mov_b32 v5, 0 :: v_dual_mov_b32 v4, 0
	v_mov_b32_e32 v7, v6
	s_add_u32 s2, s0, 0xc4
	s_addc_u32 s3, s1, 0
	s_and_b32 s8, s7, 28
	s_mov_b32 s9, 0
	s_mov_b64 s[4:5], s[0:1]
.LBB351_46:                             ; =>This Inner Loop Header: Depth=1
	s_clause 0x1
	s_load_b256 s[12:19], s[4:5], 0x4
	s_load_b128 s[36:39], s[4:5], 0x24
	s_load_b256 s[24:31], s[2:3], 0x0
	s_add_u32 s4, s4, 48
	s_addc_u32 s5, s5, 0
	s_add_i32 s9, s9, 4
	s_add_u32 s2, s2, 32
	s_addc_u32 s3, s3, 0
	s_cmp_lg_u32 s8, s9
	s_waitcnt lgkmcnt(0)
	v_mul_hi_u32 v8, s13, v7
	s_delay_alu instid0(VALU_DEP_1) | instskip(NEXT) | instid1(VALU_DEP_1)
	v_add_nc_u32_e32 v8, v7, v8
	v_lshrrev_b32_e32 v8, s14, v8
	s_delay_alu instid0(VALU_DEP_1) | instskip(SKIP_1) | instid1(VALU_DEP_2)
	v_mul_hi_u32 v9, s16, v8
	v_mul_lo_u32 v11, v8, s12
	v_add_nc_u32_e32 v9, v8, v9
	s_delay_alu instid0(VALU_DEP_2) | instskip(NEXT) | instid1(VALU_DEP_2)
	v_sub_nc_u32_e32 v7, v7, v11
	v_lshrrev_b32_e32 v9, s17, v9
	s_delay_alu instid0(VALU_DEP_2) | instskip(SKIP_1) | instid1(VALU_DEP_3)
	v_mul_lo_u32 v11, v7, s24
	v_mul_lo_u32 v15, v7, s25
	v_mul_hi_u32 v10, s19, v9
	s_delay_alu instid0(VALU_DEP_1) | instskip(NEXT) | instid1(VALU_DEP_1)
	v_add_nc_u32_e32 v10, v9, v10
	v_lshrrev_b32_e32 v10, s36, v10
	s_delay_alu instid0(VALU_DEP_1) | instskip(SKIP_1) | instid1(VALU_DEP_2)
	v_mul_hi_u32 v13, s38, v10
	v_mul_lo_u32 v17, v10, s18
	v_add_nc_u32_e32 v7, v10, v13
	v_mul_lo_u32 v13, v9, s15
	s_delay_alu instid0(VALU_DEP_3) | instskip(NEXT) | instid1(VALU_DEP_3)
	v_sub_nc_u32_e32 v9, v9, v17
	v_lshrrev_b32_e32 v7, s39, v7
	s_delay_alu instid0(VALU_DEP_2) | instskip(SKIP_2) | instid1(VALU_DEP_4)
	v_mul_lo_u32 v17, v9, s28
	v_mul_lo_u32 v9, v9, s29
	v_sub_nc_u32_e32 v8, v8, v13
	v_mul_lo_u32 v18, v7, s37
	s_delay_alu instid0(VALU_DEP_2) | instskip(SKIP_1) | instid1(VALU_DEP_3)
	v_mul_lo_u32 v13, v8, s26
	v_mul_lo_u32 v8, v8, s27
	v_sub_nc_u32_e32 v10, v10, v18
	s_delay_alu instid0(VALU_DEP_3) | instskip(NEXT) | instid1(VALU_DEP_2)
	v_add3_u32 v4, v11, v4, v13
	v_mul_lo_u32 v18, v10, s30
	v_mul_lo_u32 v10, v10, s31
	v_add3_u32 v5, v15, v5, v8
	s_delay_alu instid0(VALU_DEP_3) | instskip(NEXT) | instid1(VALU_DEP_2)
	v_add3_u32 v4, v17, v4, v18
	v_add3_u32 v5, v9, v5, v10
	s_cbranch_scc1 .LBB351_46
; %bb.47:
	s_and_b32 s7, s7, 3
	s_delay_alu instid0(SALU_CYCLE_1)
	s_cmp_eq_u32 s7, 0
	s_cbranch_scc0 .LBB351_50
	s_branch .LBB351_52
.LBB351_48:
	s_mov_b32 s6, -1
                                        ; implicit-def: $vgpr4
                                        ; implicit-def: $vgpr5
	s_branch .LBB351_52
.LBB351_49:
	v_mov_b32_e32 v7, v6
	v_mov_b32_e32 v5, 0
	s_and_b32 s7, s7, 3
	s_delay_alu instid0(SALU_CYCLE_1)
	s_cmp_eq_u32 s7, 0
	s_cbranch_scc1 .LBB351_52
.LBB351_50:
	s_lshl_b32 s2, s8, 3
	s_mul_i32 s4, s8, 12
	s_add_u32 s2, s2, s0
	s_addc_u32 s3, 0, s1
	s_add_u32 s2, s2, 0xc4
	s_addc_u32 s3, s3, 0
	;; [unrolled: 2-line block ×3, first 2 shown]
	.p2align	6
.LBB351_51:                             ; =>This Inner Loop Header: Depth=1
	s_clause 0x1
	s_load_b64 s[8:9], s[4:5], 0x4
	s_load_b32 s12, s[4:5], 0xc
	s_load_b64 s[10:11], s[2:3], 0x0
	s_add_u32 s4, s4, 12
	s_addc_u32 s5, s5, 0
	s_add_u32 s2, s2, 8
	s_addc_u32 s3, s3, 0
	s_add_i32 s7, s7, -1
	s_delay_alu instid0(SALU_CYCLE_1) | instskip(SKIP_2) | instid1(VALU_DEP_1)
	s_cmp_lg_u32 s7, 0
	s_waitcnt lgkmcnt(0)
	v_mul_hi_u32 v8, s9, v7
	v_add_nc_u32_e32 v8, v7, v8
	s_delay_alu instid0(VALU_DEP_1) | instskip(NEXT) | instid1(VALU_DEP_1)
	v_lshrrev_b32_e32 v11, s12, v8
	v_mul_lo_u32 v8, v11, s8
	s_delay_alu instid0(VALU_DEP_1) | instskip(NEXT) | instid1(VALU_DEP_1)
	v_sub_nc_u32_e32 v7, v7, v8
	v_mad_u64_u32 v[8:9], null, v7, s10, v[4:5]
	v_mad_u64_u32 v[9:10], null, v7, s11, v[5:6]
	s_delay_alu instid0(VALU_DEP_2) | instskip(NEXT) | instid1(VALU_DEP_2)
	v_dual_mov_b32 v7, v11 :: v_dual_mov_b32 v4, v8
	v_mov_b32_e32 v5, v9
	s_cbranch_scc1 .LBB351_51
.LBB351_52:
	s_and_not1_b32 vcc_lo, exec_lo, s6
	s_cbranch_vccnz .LBB351_55
; %bb.53:
	s_clause 0x1
	s_load_b128 s[4:7], s[0:1], 0x4
	s_load_b64 s[2:3], s[0:1], 0xc4
	s_cmp_lt_u32 s22, 2
	s_waitcnt lgkmcnt(0)
	v_mul_hi_u32 v4, s5, v6
	s_delay_alu instid0(VALU_DEP_1) | instskip(NEXT) | instid1(VALU_DEP_1)
	v_add_nc_u32_e32 v4, v6, v4
	v_lshrrev_b32_e32 v7, s6, v4
	s_delay_alu instid0(VALU_DEP_1) | instskip(NEXT) | instid1(VALU_DEP_1)
	v_mul_lo_u32 v4, v7, s4
	v_sub_nc_u32_e32 v5, v6, v4
	s_delay_alu instid0(VALU_DEP_1)
	v_mul_lo_u32 v4, v5, s2
	v_mul_lo_u32 v5, v5, s3
	s_cbranch_scc1 .LBB351_55
; %bb.54:
	s_clause 0x1
	s_load_b128 s[4:7], s[0:1], 0x10
	s_load_b64 s[2:3], s[0:1], 0xcc
	s_waitcnt lgkmcnt(0)
	v_mul_hi_u32 v6, s5, v7
	s_delay_alu instid0(VALU_DEP_1) | instskip(NEXT) | instid1(VALU_DEP_1)
	v_add_nc_u32_e32 v6, v7, v6
	v_lshrrev_b32_e32 v6, s6, v6
	s_delay_alu instid0(VALU_DEP_1) | instskip(NEXT) | instid1(VALU_DEP_1)
	v_mul_lo_u32 v6, v6, s4
	v_sub_nc_u32_e32 v9, v7, v6
	s_delay_alu instid0(VALU_DEP_1) | instskip(NEXT) | instid1(VALU_DEP_1)
	v_mad_u64_u32 v[6:7], null, v9, s2, v[4:5]
	v_mad_u64_u32 v[7:8], null, v9, s3, v[5:6]
	s_delay_alu instid0(VALU_DEP_1)
	v_dual_mov_b32 v4, v6 :: v_dual_mov_b32 v5, v7
.LBB351_55:
	v_cmp_ne_u32_e32 vcc_lo, 1, v14
	v_add_nc_u32_e32 v8, 0x180, v12
	s_cbranch_vccnz .LBB351_61
; %bb.56:
	v_dual_mov_b32 v6, 0 :: v_dual_mov_b32 v7, 0
	s_cmp_lg_u32 s22, 0
	s_mov_b32 s6, 0
	s_cbranch_scc0 .LBB351_65
; %bb.57:
	s_min_u32 s7, s23, 15
	v_mov_b32_e32 v6, 0
	s_add_i32 s7, s7, 1
	s_cmp_eq_u32 s23, 2
	s_mov_b32 s8, 0
	s_cbranch_scc1 .LBB351_62
; %bb.58:
	v_dual_mov_b32 v7, 0 :: v_dual_mov_b32 v6, 0
	v_mov_b32_e32 v9, v8
	s_add_u32 s2, s0, 0xc4
	s_addc_u32 s3, s1, 0
	s_and_b32 s8, s7, 28
	s_mov_b32 s9, 0
	s_mov_b64 s[4:5], s[0:1]
.LBB351_59:                             ; =>This Inner Loop Header: Depth=1
	s_clause 0x1
	s_load_b256 s[12:19], s[4:5], 0x4
	s_load_b128 s[36:39], s[4:5], 0x24
	s_load_b256 s[24:31], s[2:3], 0x0
	s_add_u32 s4, s4, 48
	s_addc_u32 s5, s5, 0
	s_add_i32 s9, s9, 4
	s_add_u32 s2, s2, 32
	s_addc_u32 s3, s3, 0
	s_cmp_lg_u32 s8, s9
	s_waitcnt lgkmcnt(0)
	v_mul_hi_u32 v10, s13, v9
	s_delay_alu instid0(VALU_DEP_1) | instskip(NEXT) | instid1(VALU_DEP_1)
	v_add_nc_u32_e32 v10, v9, v10
	v_lshrrev_b32_e32 v10, s14, v10
	s_delay_alu instid0(VALU_DEP_1) | instskip(SKIP_1) | instid1(VALU_DEP_2)
	v_mul_hi_u32 v11, s16, v10
	v_mul_lo_u32 v15, v10, s12
	v_add_nc_u32_e32 v11, v10, v11
	s_delay_alu instid0(VALU_DEP_2) | instskip(NEXT) | instid1(VALU_DEP_2)
	v_sub_nc_u32_e32 v9, v9, v15
	v_lshrrev_b32_e32 v11, s17, v11
	s_delay_alu instid0(VALU_DEP_2) | instskip(SKIP_1) | instid1(VALU_DEP_3)
	v_mul_lo_u32 v15, v9, s24
	v_mul_lo_u32 v18, v9, s25
	v_mul_hi_u32 v13, s19, v11
	s_delay_alu instid0(VALU_DEP_1) | instskip(NEXT) | instid1(VALU_DEP_1)
	v_add_nc_u32_e32 v13, v11, v13
	v_lshrrev_b32_e32 v13, s36, v13
	s_delay_alu instid0(VALU_DEP_1) | instskip(SKIP_1) | instid1(VALU_DEP_2)
	v_mul_hi_u32 v17, s38, v13
	v_mul_lo_u32 v19, v13, s18
	v_add_nc_u32_e32 v9, v13, v17
	v_mul_lo_u32 v17, v11, s15
	s_delay_alu instid0(VALU_DEP_3) | instskip(NEXT) | instid1(VALU_DEP_3)
	v_sub_nc_u32_e32 v11, v11, v19
	v_lshrrev_b32_e32 v9, s39, v9
	s_delay_alu instid0(VALU_DEP_2) | instskip(SKIP_2) | instid1(VALU_DEP_4)
	v_mul_lo_u32 v19, v11, s28
	v_mul_lo_u32 v11, v11, s29
	v_sub_nc_u32_e32 v10, v10, v17
	v_mul_lo_u32 v20, v9, s37
	s_delay_alu instid0(VALU_DEP_2) | instskip(SKIP_1) | instid1(VALU_DEP_3)
	v_mul_lo_u32 v17, v10, s26
	v_mul_lo_u32 v10, v10, s27
	v_sub_nc_u32_e32 v13, v13, v20
	s_delay_alu instid0(VALU_DEP_3) | instskip(NEXT) | instid1(VALU_DEP_2)
	v_add3_u32 v6, v15, v6, v17
	v_mul_lo_u32 v20, v13, s30
	v_mul_lo_u32 v13, v13, s31
	v_add3_u32 v7, v18, v7, v10
	s_delay_alu instid0(VALU_DEP_3) | instskip(NEXT) | instid1(VALU_DEP_2)
	v_add3_u32 v6, v19, v6, v20
	v_add3_u32 v7, v11, v7, v13
	s_cbranch_scc1 .LBB351_59
; %bb.60:
	s_and_b32 s7, s7, 3
	s_delay_alu instid0(SALU_CYCLE_1)
	s_cmp_eq_u32 s7, 0
	s_cbranch_scc0 .LBB351_63
	s_branch .LBB351_65
.LBB351_61:
	s_mov_b32 s6, -1
                                        ; implicit-def: $vgpr6
                                        ; implicit-def: $vgpr7
	s_branch .LBB351_65
.LBB351_62:
	v_mov_b32_e32 v9, v8
	v_mov_b32_e32 v7, 0
	s_and_b32 s7, s7, 3
	s_delay_alu instid0(SALU_CYCLE_1)
	s_cmp_eq_u32 s7, 0
	s_cbranch_scc1 .LBB351_65
.LBB351_63:
	s_lshl_b32 s2, s8, 3
	s_mul_i32 s4, s8, 12
	s_add_u32 s2, s2, s0
	s_addc_u32 s3, 0, s1
	s_add_u32 s2, s2, 0xc4
	s_addc_u32 s3, s3, 0
	;; [unrolled: 2-line block ×3, first 2 shown]
	.p2align	6
.LBB351_64:                             ; =>This Inner Loop Header: Depth=1
	s_clause 0x1
	s_load_b64 s[8:9], s[4:5], 0x4
	s_load_b32 s12, s[4:5], 0xc
	s_load_b64 s[10:11], s[2:3], 0x0
	s_add_u32 s4, s4, 12
	s_addc_u32 s5, s5, 0
	s_add_u32 s2, s2, 8
	s_addc_u32 s3, s3, 0
	s_add_i32 s7, s7, -1
	s_delay_alu instid0(SALU_CYCLE_1) | instskip(SKIP_2) | instid1(VALU_DEP_1)
	s_cmp_lg_u32 s7, 0
	s_waitcnt lgkmcnt(0)
	v_mul_hi_u32 v10, s9, v9
	v_add_nc_u32_e32 v10, v9, v10
	s_delay_alu instid0(VALU_DEP_1) | instskip(NEXT) | instid1(VALU_DEP_1)
	v_lshrrev_b32_e32 v13, s12, v10
	v_mul_lo_u32 v10, v13, s8
	s_delay_alu instid0(VALU_DEP_1) | instskip(NEXT) | instid1(VALU_DEP_1)
	v_sub_nc_u32_e32 v9, v9, v10
	v_mad_u64_u32 v[10:11], null, v9, s10, v[6:7]
	v_mad_u64_u32 v[17:18], null, v9, s11, v[7:8]
	s_delay_alu instid0(VALU_DEP_2) | instskip(NEXT) | instid1(VALU_DEP_2)
	v_dual_mov_b32 v9, v13 :: v_dual_mov_b32 v6, v10
	v_mov_b32_e32 v7, v17
	s_cbranch_scc1 .LBB351_64
.LBB351_65:
	s_and_not1_b32 vcc_lo, exec_lo, s6
	s_cbranch_vccnz .LBB351_68
; %bb.66:
	s_clause 0x1
	s_load_b128 s[4:7], s[0:1], 0x4
	s_load_b64 s[2:3], s[0:1], 0xc4
	s_cmp_lt_u32 s22, 2
	s_waitcnt lgkmcnt(0)
	v_mul_hi_u32 v6, s5, v8
	s_delay_alu instid0(VALU_DEP_1) | instskip(NEXT) | instid1(VALU_DEP_1)
	v_add_nc_u32_e32 v6, v8, v6
	v_lshrrev_b32_e32 v9, s6, v6
	s_delay_alu instid0(VALU_DEP_1) | instskip(NEXT) | instid1(VALU_DEP_1)
	v_mul_lo_u32 v6, v9, s4
	v_sub_nc_u32_e32 v7, v8, v6
	s_delay_alu instid0(VALU_DEP_1)
	v_mul_lo_u32 v6, v7, s2
	v_mul_lo_u32 v7, v7, s3
	s_cbranch_scc1 .LBB351_68
; %bb.67:
	s_clause 0x1
	s_load_b128 s[4:7], s[0:1], 0x10
	s_load_b64 s[2:3], s[0:1], 0xcc
	s_waitcnt lgkmcnt(0)
	v_mul_hi_u32 v8, s5, v9
	s_delay_alu instid0(VALU_DEP_1) | instskip(NEXT) | instid1(VALU_DEP_1)
	v_add_nc_u32_e32 v8, v9, v8
	v_lshrrev_b32_e32 v8, s6, v8
	s_delay_alu instid0(VALU_DEP_1) | instskip(NEXT) | instid1(VALU_DEP_1)
	v_mul_lo_u32 v8, v8, s4
	v_sub_nc_u32_e32 v11, v9, v8
	s_delay_alu instid0(VALU_DEP_1) | instskip(NEXT) | instid1(VALU_DEP_1)
	v_mad_u64_u32 v[8:9], null, v11, s2, v[6:7]
	v_mad_u64_u32 v[9:10], null, v11, s3, v[7:8]
	s_delay_alu instid0(VALU_DEP_1)
	v_dual_mov_b32 v6, v8 :: v_dual_mov_b32 v7, v9
.LBB351_68:
	v_cmp_ne_u32_e32 vcc_lo, 1, v14
	v_add_nc_u32_e32 v10, 0x200, v12
	s_cbranch_vccnz .LBB351_74
; %bb.69:
	v_dual_mov_b32 v8, 0 :: v_dual_mov_b32 v9, 0
	s_cmp_lg_u32 s22, 0
	s_mov_b32 s6, 0
	s_cbranch_scc0 .LBB351_78
; %bb.70:
	s_min_u32 s7, s23, 15
	v_mov_b32_e32 v8, 0
	s_add_i32 s7, s7, 1
	s_cmp_eq_u32 s23, 2
	s_mov_b32 s8, 0
	s_cbranch_scc1 .LBB351_75
; %bb.71:
	v_dual_mov_b32 v9, 0 :: v_dual_mov_b32 v8, 0
	v_mov_b32_e32 v11, v10
	s_add_u32 s2, s0, 0xc4
	s_addc_u32 s3, s1, 0
	s_and_b32 s8, s7, 28
	s_mov_b32 s9, 0
	s_mov_b64 s[4:5], s[0:1]
.LBB351_72:                             ; =>This Inner Loop Header: Depth=1
	s_clause 0x1
	s_load_b256 s[12:19], s[4:5], 0x4
	s_load_b128 s[36:39], s[4:5], 0x24
	s_load_b256 s[24:31], s[2:3], 0x0
	s_add_u32 s4, s4, 48
	s_addc_u32 s5, s5, 0
	s_add_i32 s9, s9, 4
	s_add_u32 s2, s2, 32
	s_addc_u32 s3, s3, 0
	s_cmp_lg_u32 s8, s9
	s_waitcnt lgkmcnt(0)
	v_mul_hi_u32 v13, s13, v11
	s_delay_alu instid0(VALU_DEP_1) | instskip(NEXT) | instid1(VALU_DEP_1)
	v_add_nc_u32_e32 v13, v11, v13
	v_lshrrev_b32_e32 v13, s14, v13
	s_delay_alu instid0(VALU_DEP_1) | instskip(SKIP_1) | instid1(VALU_DEP_2)
	v_mul_hi_u32 v15, s16, v13
	v_mul_lo_u32 v18, v13, s12
	v_add_nc_u32_e32 v15, v13, v15
	s_delay_alu instid0(VALU_DEP_2) | instskip(NEXT) | instid1(VALU_DEP_2)
	v_sub_nc_u32_e32 v11, v11, v18
	v_lshrrev_b32_e32 v15, s17, v15
	s_delay_alu instid0(VALU_DEP_2) | instskip(SKIP_1) | instid1(VALU_DEP_3)
	v_mul_lo_u32 v18, v11, s24
	v_mul_lo_u32 v20, v11, s25
	v_mul_hi_u32 v17, s19, v15
	s_delay_alu instid0(VALU_DEP_1) | instskip(NEXT) | instid1(VALU_DEP_1)
	v_add_nc_u32_e32 v17, v15, v17
	v_lshrrev_b32_e32 v17, s36, v17
	s_delay_alu instid0(VALU_DEP_1) | instskip(SKIP_1) | instid1(VALU_DEP_2)
	v_mul_hi_u32 v19, s38, v17
	v_mul_lo_u32 v21, v17, s18
	v_add_nc_u32_e32 v11, v17, v19
	v_mul_lo_u32 v19, v15, s15
	s_delay_alu instid0(VALU_DEP_3) | instskip(NEXT) | instid1(VALU_DEP_3)
	v_sub_nc_u32_e32 v15, v15, v21
	v_lshrrev_b32_e32 v11, s39, v11
	s_delay_alu instid0(VALU_DEP_2) | instskip(SKIP_2) | instid1(VALU_DEP_4)
	v_mul_lo_u32 v21, v15, s28
	v_mul_lo_u32 v15, v15, s29
	v_sub_nc_u32_e32 v13, v13, v19
	v_mul_lo_u32 v22, v11, s37
	s_delay_alu instid0(VALU_DEP_2) | instskip(SKIP_1) | instid1(VALU_DEP_3)
	v_mul_lo_u32 v19, v13, s26
	v_mul_lo_u32 v13, v13, s27
	v_sub_nc_u32_e32 v17, v17, v22
	s_delay_alu instid0(VALU_DEP_3) | instskip(NEXT) | instid1(VALU_DEP_2)
	v_add3_u32 v8, v18, v8, v19
	v_mul_lo_u32 v22, v17, s30
	v_mul_lo_u32 v17, v17, s31
	v_add3_u32 v9, v20, v9, v13
	s_delay_alu instid0(VALU_DEP_3) | instskip(NEXT) | instid1(VALU_DEP_2)
	v_add3_u32 v8, v21, v8, v22
	v_add3_u32 v9, v15, v9, v17
	s_cbranch_scc1 .LBB351_72
; %bb.73:
	s_and_b32 s7, s7, 3
	s_delay_alu instid0(SALU_CYCLE_1)
	s_cmp_eq_u32 s7, 0
	s_cbranch_scc0 .LBB351_76
	s_branch .LBB351_78
.LBB351_74:
	s_mov_b32 s6, -1
                                        ; implicit-def: $vgpr8
                                        ; implicit-def: $vgpr9
	s_branch .LBB351_78
.LBB351_75:
	v_mov_b32_e32 v11, v10
	v_mov_b32_e32 v9, 0
	s_and_b32 s7, s7, 3
	s_delay_alu instid0(SALU_CYCLE_1)
	s_cmp_eq_u32 s7, 0
	s_cbranch_scc1 .LBB351_78
.LBB351_76:
	s_lshl_b32 s2, s8, 3
	s_mul_i32 s4, s8, 12
	s_add_u32 s2, s2, s0
	s_addc_u32 s3, 0, s1
	s_add_u32 s2, s2, 0xc4
	s_addc_u32 s3, s3, 0
	;; [unrolled: 2-line block ×3, first 2 shown]
	.p2align	6
.LBB351_77:                             ; =>This Inner Loop Header: Depth=1
	s_clause 0x1
	s_load_b64 s[8:9], s[4:5], 0x4
	s_load_b32 s12, s[4:5], 0xc
	s_load_b64 s[10:11], s[2:3], 0x0
	s_add_u32 s4, s4, 12
	s_addc_u32 s5, s5, 0
	s_add_u32 s2, s2, 8
	s_addc_u32 s3, s3, 0
	s_add_i32 s7, s7, -1
	s_delay_alu instid0(SALU_CYCLE_1) | instskip(SKIP_2) | instid1(VALU_DEP_1)
	s_cmp_lg_u32 s7, 0
	s_waitcnt lgkmcnt(0)
	v_mul_hi_u32 v13, s9, v11
	v_add_nc_u32_e32 v13, v11, v13
	s_delay_alu instid0(VALU_DEP_1) | instskip(NEXT) | instid1(VALU_DEP_1)
	v_lshrrev_b32_e32 v13, s12, v13
	v_mul_lo_u32 v15, v13, s8
	s_delay_alu instid0(VALU_DEP_1) | instskip(NEXT) | instid1(VALU_DEP_1)
	v_sub_nc_u32_e32 v11, v11, v15
	v_mad_u64_u32 v[17:18], null, v11, s10, v[8:9]
	v_mad_u64_u32 v[18:19], null, v11, s11, v[9:10]
	v_mov_b32_e32 v11, v13
	s_delay_alu instid0(VALU_DEP_2)
	v_dual_mov_b32 v8, v17 :: v_dual_mov_b32 v9, v18
	s_cbranch_scc1 .LBB351_77
.LBB351_78:
	s_and_not1_b32 vcc_lo, exec_lo, s6
	s_cbranch_vccnz .LBB351_81
; %bb.79:
	s_clause 0x1
	s_load_b128 s[4:7], s[0:1], 0x4
	s_load_b64 s[2:3], s[0:1], 0xc4
	s_cmp_lt_u32 s22, 2
	s_waitcnt lgkmcnt(0)
	v_mul_hi_u32 v8, s5, v10
	s_delay_alu instid0(VALU_DEP_1) | instskip(NEXT) | instid1(VALU_DEP_1)
	v_add_nc_u32_e32 v8, v10, v8
	v_lshrrev_b32_e32 v11, s6, v8
	s_delay_alu instid0(VALU_DEP_1) | instskip(NEXT) | instid1(VALU_DEP_1)
	v_mul_lo_u32 v8, v11, s4
	v_sub_nc_u32_e32 v9, v10, v8
	s_delay_alu instid0(VALU_DEP_1)
	v_mul_lo_u32 v8, v9, s2
	v_mul_lo_u32 v9, v9, s3
	s_cbranch_scc1 .LBB351_81
; %bb.80:
	s_clause 0x1
	s_load_b128 s[4:7], s[0:1], 0x10
	s_load_b64 s[2:3], s[0:1], 0xcc
	s_waitcnt lgkmcnt(0)
	v_mul_hi_u32 v10, s5, v11
	s_delay_alu instid0(VALU_DEP_1) | instskip(NEXT) | instid1(VALU_DEP_1)
	v_add_nc_u32_e32 v10, v11, v10
	v_lshrrev_b32_e32 v10, s6, v10
	s_delay_alu instid0(VALU_DEP_1) | instskip(NEXT) | instid1(VALU_DEP_1)
	v_mul_lo_u32 v10, v10, s4
	v_sub_nc_u32_e32 v13, v11, v10
	s_delay_alu instid0(VALU_DEP_1) | instskip(NEXT) | instid1(VALU_DEP_1)
	v_mad_u64_u32 v[10:11], null, v13, s2, v[8:9]
	v_mad_u64_u32 v[17:18], null, v13, s3, v[9:10]
	s_delay_alu instid0(VALU_DEP_1)
	v_dual_mov_b32 v8, v10 :: v_dual_mov_b32 v9, v17
.LBB351_81:
	v_cmp_ne_u32_e32 vcc_lo, 1, v14
	v_add_nc_u32_e32 v13, 0x280, v12
	s_cbranch_vccnz .LBB351_87
; %bb.82:
	v_dual_mov_b32 v10, 0 :: v_dual_mov_b32 v11, 0
	s_cmp_lg_u32 s22, 0
	s_mov_b32 s6, 0
	s_cbranch_scc0 .LBB351_91
; %bb.83:
	s_min_u32 s7, s23, 15
	v_mov_b32_e32 v10, 0
	s_add_i32 s7, s7, 1
	s_cmp_eq_u32 s23, 2
	s_mov_b32 s8, 0
	s_cbranch_scc1 .LBB351_88
; %bb.84:
	v_dual_mov_b32 v11, 0 :: v_dual_mov_b32 v10, 0
	v_mov_b32_e32 v15, v13
	s_add_u32 s2, s0, 0xc4
	s_addc_u32 s3, s1, 0
	s_and_b32 s8, s7, 28
	s_mov_b32 s9, 0
	s_mov_b64 s[4:5], s[0:1]
.LBB351_85:                             ; =>This Inner Loop Header: Depth=1
	s_clause 0x1
	s_load_b256 s[12:19], s[4:5], 0x4
	s_load_b128 s[36:39], s[4:5], 0x24
	s_load_b256 s[24:31], s[2:3], 0x0
	s_add_u32 s4, s4, 48
	s_addc_u32 s5, s5, 0
	s_add_i32 s9, s9, 4
	s_add_u32 s2, s2, 32
	s_addc_u32 s3, s3, 0
	s_cmp_lg_u32 s8, s9
	s_waitcnt lgkmcnt(0)
	v_mul_hi_u32 v17, s13, v15
	s_delay_alu instid0(VALU_DEP_1) | instskip(NEXT) | instid1(VALU_DEP_1)
	v_add_nc_u32_e32 v17, v15, v17
	v_lshrrev_b32_e32 v17, s14, v17
	s_delay_alu instid0(VALU_DEP_1) | instskip(SKIP_1) | instid1(VALU_DEP_2)
	v_mul_hi_u32 v18, s16, v17
	v_mul_lo_u32 v20, v17, s12
	v_add_nc_u32_e32 v18, v17, v18
	s_delay_alu instid0(VALU_DEP_2) | instskip(NEXT) | instid1(VALU_DEP_2)
	v_sub_nc_u32_e32 v15, v15, v20
	v_lshrrev_b32_e32 v18, s17, v18
	s_delay_alu instid0(VALU_DEP_2) | instskip(SKIP_1) | instid1(VALU_DEP_3)
	v_mul_lo_u32 v20, v15, s24
	v_mul_lo_u32 v22, v15, s25
	v_mul_hi_u32 v19, s19, v18
	s_delay_alu instid0(VALU_DEP_1) | instskip(NEXT) | instid1(VALU_DEP_1)
	v_add_nc_u32_e32 v19, v18, v19
	v_lshrrev_b32_e32 v19, s36, v19
	s_delay_alu instid0(VALU_DEP_1) | instskip(SKIP_1) | instid1(VALU_DEP_2)
	v_mul_hi_u32 v21, s38, v19
	v_mul_lo_u32 v23, v19, s18
	v_add_nc_u32_e32 v15, v19, v21
	v_mul_lo_u32 v21, v18, s15
	s_delay_alu instid0(VALU_DEP_3) | instskip(NEXT) | instid1(VALU_DEP_3)
	v_sub_nc_u32_e32 v18, v18, v23
	v_lshrrev_b32_e32 v15, s39, v15
	s_delay_alu instid0(VALU_DEP_2) | instskip(SKIP_2) | instid1(VALU_DEP_4)
	v_mul_lo_u32 v23, v18, s28
	v_mul_lo_u32 v18, v18, s29
	v_sub_nc_u32_e32 v17, v17, v21
	v_mul_lo_u32 v24, v15, s37
	s_delay_alu instid0(VALU_DEP_2) | instskip(SKIP_1) | instid1(VALU_DEP_3)
	v_mul_lo_u32 v21, v17, s26
	v_mul_lo_u32 v17, v17, s27
	v_sub_nc_u32_e32 v19, v19, v24
	s_delay_alu instid0(VALU_DEP_3) | instskip(NEXT) | instid1(VALU_DEP_2)
	v_add3_u32 v10, v20, v10, v21
	v_mul_lo_u32 v24, v19, s30
	v_mul_lo_u32 v19, v19, s31
	v_add3_u32 v11, v22, v11, v17
	s_delay_alu instid0(VALU_DEP_3) | instskip(NEXT) | instid1(VALU_DEP_2)
	v_add3_u32 v10, v23, v10, v24
	v_add3_u32 v11, v18, v11, v19
	s_cbranch_scc1 .LBB351_85
; %bb.86:
	s_and_b32 s7, s7, 3
	s_delay_alu instid0(SALU_CYCLE_1)
	s_cmp_eq_u32 s7, 0
	s_cbranch_scc0 .LBB351_89
	s_branch .LBB351_91
.LBB351_87:
	s_mov_b32 s6, -1
                                        ; implicit-def: $vgpr10
                                        ; implicit-def: $vgpr11
	s_branch .LBB351_91
.LBB351_88:
	v_mov_b32_e32 v15, v13
	v_mov_b32_e32 v11, 0
	s_and_b32 s7, s7, 3
	s_delay_alu instid0(SALU_CYCLE_1)
	s_cmp_eq_u32 s7, 0
	s_cbranch_scc1 .LBB351_91
.LBB351_89:
	s_lshl_b32 s2, s8, 3
	s_mul_i32 s4, s8, 12
	s_add_u32 s2, s2, s0
	s_addc_u32 s3, 0, s1
	s_add_u32 s2, s2, 0xc4
	s_addc_u32 s3, s3, 0
	;; [unrolled: 2-line block ×3, first 2 shown]
	.p2align	6
.LBB351_90:                             ; =>This Inner Loop Header: Depth=1
	s_clause 0x1
	s_load_b64 s[8:9], s[4:5], 0x4
	s_load_b32 s12, s[4:5], 0xc
	s_load_b64 s[10:11], s[2:3], 0x0
	s_add_u32 s4, s4, 12
	s_addc_u32 s5, s5, 0
	s_add_u32 s2, s2, 8
	s_addc_u32 s3, s3, 0
	s_add_i32 s7, s7, -1
	s_delay_alu instid0(SALU_CYCLE_1) | instskip(SKIP_2) | instid1(VALU_DEP_1)
	s_cmp_lg_u32 s7, 0
	s_waitcnt lgkmcnt(0)
	v_mul_hi_u32 v17, s9, v15
	v_add_nc_u32_e32 v17, v15, v17
	s_delay_alu instid0(VALU_DEP_1) | instskip(NEXT) | instid1(VALU_DEP_1)
	v_lshrrev_b32_e32 v20, s12, v17
	v_mul_lo_u32 v17, v20, s8
	s_delay_alu instid0(VALU_DEP_1) | instskip(NEXT) | instid1(VALU_DEP_1)
	v_sub_nc_u32_e32 v15, v15, v17
	v_mad_u64_u32 v[17:18], null, v15, s10, v[10:11]
	v_mad_u64_u32 v[18:19], null, v15, s11, v[11:12]
	s_delay_alu instid0(VALU_DEP_2) | instskip(NEXT) | instid1(VALU_DEP_2)
	v_dual_mov_b32 v15, v20 :: v_dual_mov_b32 v10, v17
	v_mov_b32_e32 v11, v18
	s_cbranch_scc1 .LBB351_90
.LBB351_91:
	s_and_not1_b32 vcc_lo, exec_lo, s6
	s_cbranch_vccnz .LBB351_94
; %bb.92:
	s_clause 0x1
	s_load_b128 s[4:7], s[0:1], 0x4
	s_load_b64 s[2:3], s[0:1], 0xc4
	s_cmp_lt_u32 s22, 2
	s_waitcnt lgkmcnt(0)
	v_mul_hi_u32 v10, s5, v13
	s_delay_alu instid0(VALU_DEP_1) | instskip(NEXT) | instid1(VALU_DEP_1)
	v_add_nc_u32_e32 v10, v13, v10
	v_lshrrev_b32_e32 v15, s6, v10
	s_delay_alu instid0(VALU_DEP_1) | instskip(NEXT) | instid1(VALU_DEP_1)
	v_mul_lo_u32 v10, v15, s4
	v_sub_nc_u32_e32 v11, v13, v10
	s_delay_alu instid0(VALU_DEP_1)
	v_mul_lo_u32 v10, v11, s2
	v_mul_lo_u32 v11, v11, s3
	s_cbranch_scc1 .LBB351_94
; %bb.93:
	s_clause 0x1
	s_load_b128 s[4:7], s[0:1], 0x10
	s_load_b64 s[2:3], s[0:1], 0xcc
	s_waitcnt lgkmcnt(0)
	v_mul_hi_u32 v13, s5, v15
	s_delay_alu instid0(VALU_DEP_1) | instskip(NEXT) | instid1(VALU_DEP_1)
	v_add_nc_u32_e32 v13, v15, v13
	v_lshrrev_b32_e32 v13, s6, v13
	s_delay_alu instid0(VALU_DEP_1) | instskip(NEXT) | instid1(VALU_DEP_1)
	v_mul_lo_u32 v13, v13, s4
	v_sub_nc_u32_e32 v13, v15, v13
	s_delay_alu instid0(VALU_DEP_1) | instskip(SKIP_1) | instid1(VALU_DEP_1)
	v_mad_u64_u32 v[17:18], null, v13, s2, v[10:11]
	v_mad_u64_u32 v[18:19], null, v13, s3, v[11:12]
	v_dual_mov_b32 v10, v17 :: v_dual_mov_b32 v11, v18
.LBB351_94:
	v_cmp_ne_u32_e32 vcc_lo, 1, v14
	v_add_nc_u32_e32 v15, 0x300, v12
	s_cbranch_vccnz .LBB351_100
; %bb.95:
	v_dual_mov_b32 v12, 0 :: v_dual_mov_b32 v13, 0
	s_cmp_lg_u32 s22, 0
	s_mov_b32 s6, 0
	s_cbranch_scc0 .LBB351_104
; %bb.96:
	s_min_u32 s7, s23, 15
	v_mov_b32_e32 v12, 0
	s_add_i32 s7, s7, 1
	s_cmp_eq_u32 s23, 2
	s_mov_b32 s8, 0
	s_cbranch_scc1 .LBB351_101
; %bb.97:
	v_dual_mov_b32 v13, 0 :: v_dual_mov_b32 v12, 0
	v_mov_b32_e32 v17, v15
	s_add_u32 s2, s0, 0xc4
	s_addc_u32 s3, s1, 0
	s_and_b32 s8, s7, 28
	s_mov_b32 s9, 0
	s_mov_b64 s[4:5], s[0:1]
.LBB351_98:                             ; =>This Inner Loop Header: Depth=1
	s_clause 0x1
	s_load_b256 s[12:19], s[4:5], 0x4
	s_load_b128 s[36:39], s[4:5], 0x24
	s_load_b256 s[24:31], s[2:3], 0x0
	s_add_u32 s4, s4, 48
	s_addc_u32 s5, s5, 0
	s_add_i32 s9, s9, 4
	s_add_u32 s2, s2, 32
	s_addc_u32 s3, s3, 0
	s_cmp_lg_u32 s8, s9
	s_waitcnt lgkmcnt(0)
	v_mul_hi_u32 v18, s13, v17
	s_delay_alu instid0(VALU_DEP_1) | instskip(NEXT) | instid1(VALU_DEP_1)
	v_add_nc_u32_e32 v18, v17, v18
	v_lshrrev_b32_e32 v18, s14, v18
	s_delay_alu instid0(VALU_DEP_1) | instskip(SKIP_1) | instid1(VALU_DEP_2)
	v_mul_hi_u32 v19, s16, v18
	v_mul_lo_u32 v21, v18, s12
	v_add_nc_u32_e32 v19, v18, v19
	s_delay_alu instid0(VALU_DEP_2) | instskip(NEXT) | instid1(VALU_DEP_2)
	v_sub_nc_u32_e32 v17, v17, v21
	v_lshrrev_b32_e32 v19, s17, v19
	s_delay_alu instid0(VALU_DEP_2) | instskip(SKIP_1) | instid1(VALU_DEP_3)
	v_mul_lo_u32 v21, v17, s24
	v_mul_lo_u32 v23, v17, s25
	v_mul_hi_u32 v20, s19, v19
	s_delay_alu instid0(VALU_DEP_1) | instskip(NEXT) | instid1(VALU_DEP_1)
	v_add_nc_u32_e32 v20, v19, v20
	v_lshrrev_b32_e32 v20, s36, v20
	s_delay_alu instid0(VALU_DEP_1) | instskip(SKIP_1) | instid1(VALU_DEP_2)
	v_mul_hi_u32 v22, s38, v20
	v_mul_lo_u32 v24, v20, s18
	v_add_nc_u32_e32 v17, v20, v22
	v_mul_lo_u32 v22, v19, s15
	s_delay_alu instid0(VALU_DEP_3) | instskip(NEXT) | instid1(VALU_DEP_3)
	v_sub_nc_u32_e32 v19, v19, v24
	v_lshrrev_b32_e32 v17, s39, v17
	s_delay_alu instid0(VALU_DEP_2) | instskip(SKIP_2) | instid1(VALU_DEP_4)
	v_mul_lo_u32 v24, v19, s28
	v_mul_lo_u32 v19, v19, s29
	v_sub_nc_u32_e32 v18, v18, v22
	v_mul_lo_u32 v25, v17, s37
	s_delay_alu instid0(VALU_DEP_2) | instskip(SKIP_1) | instid1(VALU_DEP_3)
	v_mul_lo_u32 v22, v18, s26
	v_mul_lo_u32 v18, v18, s27
	v_sub_nc_u32_e32 v20, v20, v25
	s_delay_alu instid0(VALU_DEP_3) | instskip(NEXT) | instid1(VALU_DEP_2)
	v_add3_u32 v12, v21, v12, v22
	v_mul_lo_u32 v25, v20, s30
	v_mul_lo_u32 v20, v20, s31
	v_add3_u32 v13, v23, v13, v18
	s_delay_alu instid0(VALU_DEP_3) | instskip(NEXT) | instid1(VALU_DEP_2)
	v_add3_u32 v12, v24, v12, v25
	v_add3_u32 v13, v19, v13, v20
	s_cbranch_scc1 .LBB351_98
; %bb.99:
	s_and_b32 s7, s7, 3
	s_delay_alu instid0(SALU_CYCLE_1)
	s_cmp_eq_u32 s7, 0
	s_cbranch_scc0 .LBB351_102
	s_branch .LBB351_104
.LBB351_100:
	s_mov_b32 s6, -1
                                        ; implicit-def: $vgpr12
                                        ; implicit-def: $vgpr13
	s_branch .LBB351_104
.LBB351_101:
	v_mov_b32_e32 v17, v15
	v_mov_b32_e32 v13, 0
	s_and_b32 s7, s7, 3
	s_delay_alu instid0(SALU_CYCLE_1)
	s_cmp_eq_u32 s7, 0
	s_cbranch_scc1 .LBB351_104
.LBB351_102:
	s_lshl_b32 s2, s8, 3
	s_mul_i32 s4, s8, 12
	s_add_u32 s2, s2, s0
	s_addc_u32 s3, 0, s1
	s_add_u32 s2, s2, 0xc4
	s_addc_u32 s3, s3, 0
	;; [unrolled: 2-line block ×3, first 2 shown]
	.p2align	6
.LBB351_103:                            ; =>This Inner Loop Header: Depth=1
	s_clause 0x1
	s_load_b64 s[8:9], s[4:5], 0x4
	s_load_b32 s12, s[4:5], 0xc
	s_load_b64 s[10:11], s[2:3], 0x0
	s_add_u32 s4, s4, 12
	s_addc_u32 s5, s5, 0
	s_add_u32 s2, s2, 8
	s_addc_u32 s3, s3, 0
	s_add_i32 s7, s7, -1
	s_delay_alu instid0(SALU_CYCLE_1) | instskip(SKIP_2) | instid1(VALU_DEP_1)
	s_cmp_lg_u32 s7, 0
	s_waitcnt lgkmcnt(0)
	v_mul_hi_u32 v18, s9, v17
	v_add_nc_u32_e32 v18, v17, v18
	s_delay_alu instid0(VALU_DEP_1) | instskip(NEXT) | instid1(VALU_DEP_1)
	v_lshrrev_b32_e32 v21, s12, v18
	v_mul_lo_u32 v18, v21, s8
	s_delay_alu instid0(VALU_DEP_1) | instskip(NEXT) | instid1(VALU_DEP_1)
	v_sub_nc_u32_e32 v17, v17, v18
	v_mad_u64_u32 v[18:19], null, v17, s10, v[12:13]
	v_mad_u64_u32 v[19:20], null, v17, s11, v[13:14]
	s_delay_alu instid0(VALU_DEP_2) | instskip(NEXT) | instid1(VALU_DEP_2)
	v_dual_mov_b32 v17, v21 :: v_dual_mov_b32 v12, v18
	v_mov_b32_e32 v13, v19
	s_cbranch_scc1 .LBB351_103
.LBB351_104:
	s_and_not1_b32 vcc_lo, exec_lo, s6
	s_cbranch_vccnz .LBB351_107
; %bb.105:
	s_clause 0x1
	s_load_b128 s[4:7], s[0:1], 0x4
	s_load_b64 s[2:3], s[0:1], 0xc4
	s_cmp_lt_u32 s22, 2
	s_waitcnt lgkmcnt(0)
	v_mul_hi_u32 v12, s5, v15
	s_delay_alu instid0(VALU_DEP_1) | instskip(NEXT) | instid1(VALU_DEP_1)
	v_add_nc_u32_e32 v12, v15, v12
	v_lshrrev_b32_e32 v17, s6, v12
	s_delay_alu instid0(VALU_DEP_1) | instskip(NEXT) | instid1(VALU_DEP_1)
	v_mul_lo_u32 v12, v17, s4
	v_sub_nc_u32_e32 v13, v15, v12
	s_delay_alu instid0(VALU_DEP_1)
	v_mul_lo_u32 v12, v13, s2
	v_mul_lo_u32 v13, v13, s3
	s_cbranch_scc1 .LBB351_107
; %bb.106:
	s_clause 0x1
	s_load_b128 s[4:7], s[0:1], 0x10
	s_load_b64 s[2:3], s[0:1], 0xcc
	s_waitcnt lgkmcnt(0)
	v_mul_hi_u32 v15, s5, v17
	s_delay_alu instid0(VALU_DEP_1) | instskip(NEXT) | instid1(VALU_DEP_1)
	v_add_nc_u32_e32 v15, v17, v15
	v_lshrrev_b32_e32 v15, s6, v15
	s_delay_alu instid0(VALU_DEP_1) | instskip(NEXT) | instid1(VALU_DEP_1)
	v_mul_lo_u32 v15, v15, s4
	v_sub_nc_u32_e32 v15, v17, v15
	s_delay_alu instid0(VALU_DEP_1) | instskip(SKIP_1) | instid1(VALU_DEP_1)
	v_mad_u64_u32 v[17:18], null, v15, s2, v[12:13]
	v_mad_u64_u32 v[18:19], null, v15, s3, v[13:14]
	v_dual_mov_b32 v12, v17 :: v_dual_mov_b32 v13, v18
.LBB351_107:
	v_cmp_ne_u32_e32 vcc_lo, 1, v14
	s_cbranch_vccnz .LBB351_113
; %bb.108:
	v_dual_mov_b32 v14, 0 :: v_dual_mov_b32 v15, 0
	s_cmp_lg_u32 s22, 0
	s_mov_b32 s6, 0
	s_cbranch_scc0 .LBB351_117
; %bb.109:
	s_min_u32 s7, s23, 15
	v_mov_b32_e32 v14, 0
	s_add_i32 s7, s7, 1
	s_cmp_eq_u32 s23, 2
	s_mov_b32 s8, 0
	s_cbranch_scc1 .LBB351_114
; %bb.110:
	v_dual_mov_b32 v15, 0 :: v_dual_mov_b32 v14, 0
	v_mov_b32_e32 v17, v16
	s_add_u32 s2, s0, 0xc4
	s_addc_u32 s3, s1, 0
	s_and_b32 s8, s7, 28
	s_mov_b32 s9, 0
	s_mov_b64 s[4:5], s[0:1]
.LBB351_111:                            ; =>This Inner Loop Header: Depth=1
	s_clause 0x1
	s_load_b256 s[12:19], s[4:5], 0x4
	s_load_b128 s[36:39], s[4:5], 0x24
	s_load_b256 s[24:31], s[2:3], 0x0
	s_add_u32 s4, s4, 48
	s_addc_u32 s5, s5, 0
	s_add_i32 s9, s9, 4
	s_add_u32 s2, s2, 32
	s_addc_u32 s3, s3, 0
	s_cmp_lg_u32 s8, s9
	s_waitcnt lgkmcnt(0)
	v_mul_hi_u32 v18, s13, v17
	s_delay_alu instid0(VALU_DEP_1) | instskip(NEXT) | instid1(VALU_DEP_1)
	v_add_nc_u32_e32 v18, v17, v18
	v_lshrrev_b32_e32 v18, s14, v18
	s_delay_alu instid0(VALU_DEP_1) | instskip(SKIP_1) | instid1(VALU_DEP_2)
	v_mul_hi_u32 v19, s16, v18
	v_mul_lo_u32 v21, v18, s12
	v_add_nc_u32_e32 v19, v18, v19
	s_delay_alu instid0(VALU_DEP_2) | instskip(NEXT) | instid1(VALU_DEP_2)
	v_sub_nc_u32_e32 v17, v17, v21
	v_lshrrev_b32_e32 v19, s17, v19
	s_delay_alu instid0(VALU_DEP_2) | instskip(SKIP_1) | instid1(VALU_DEP_3)
	v_mul_lo_u32 v21, v17, s24
	v_mul_lo_u32 v23, v17, s25
	v_mul_hi_u32 v20, s19, v19
	s_delay_alu instid0(VALU_DEP_1) | instskip(NEXT) | instid1(VALU_DEP_1)
	v_add_nc_u32_e32 v20, v19, v20
	v_lshrrev_b32_e32 v20, s36, v20
	s_delay_alu instid0(VALU_DEP_1) | instskip(SKIP_1) | instid1(VALU_DEP_2)
	v_mul_hi_u32 v22, s38, v20
	v_mul_lo_u32 v24, v20, s18
	v_add_nc_u32_e32 v17, v20, v22
	v_mul_lo_u32 v22, v19, s15
	s_delay_alu instid0(VALU_DEP_3) | instskip(NEXT) | instid1(VALU_DEP_3)
	v_sub_nc_u32_e32 v19, v19, v24
	v_lshrrev_b32_e32 v17, s39, v17
	s_delay_alu instid0(VALU_DEP_2) | instskip(SKIP_2) | instid1(VALU_DEP_4)
	v_mul_lo_u32 v24, v19, s28
	v_mul_lo_u32 v19, v19, s29
	v_sub_nc_u32_e32 v18, v18, v22
	v_mul_lo_u32 v25, v17, s37
	s_delay_alu instid0(VALU_DEP_2) | instskip(SKIP_1) | instid1(VALU_DEP_3)
	v_mul_lo_u32 v22, v18, s26
	v_mul_lo_u32 v18, v18, s27
	v_sub_nc_u32_e32 v20, v20, v25
	s_delay_alu instid0(VALU_DEP_3) | instskip(NEXT) | instid1(VALU_DEP_2)
	v_add3_u32 v14, v21, v14, v22
	v_mul_lo_u32 v25, v20, s30
	v_mul_lo_u32 v20, v20, s31
	v_add3_u32 v15, v23, v15, v18
	s_delay_alu instid0(VALU_DEP_3) | instskip(NEXT) | instid1(VALU_DEP_2)
	v_add3_u32 v14, v24, v14, v25
	v_add3_u32 v15, v19, v15, v20
	s_cbranch_scc1 .LBB351_111
; %bb.112:
	s_and_b32 s7, s7, 3
	s_delay_alu instid0(SALU_CYCLE_1)
	s_cmp_eq_u32 s7, 0
	s_cbranch_scc0 .LBB351_115
	s_branch .LBB351_117
.LBB351_113:
	s_mov_b32 s6, -1
                                        ; implicit-def: $vgpr14
                                        ; implicit-def: $vgpr15
	s_branch .LBB351_117
.LBB351_114:
	v_mov_b32_e32 v17, v16
	v_mov_b32_e32 v15, 0
	s_and_b32 s7, s7, 3
	s_delay_alu instid0(SALU_CYCLE_1)
	s_cmp_eq_u32 s7, 0
	s_cbranch_scc1 .LBB351_117
.LBB351_115:
	s_lshl_b32 s2, s8, 3
	s_mul_i32 s4, s8, 12
	s_add_u32 s2, s2, s0
	s_addc_u32 s3, 0, s1
	s_add_u32 s2, s2, 0xc4
	s_addc_u32 s3, s3, 0
	;; [unrolled: 2-line block ×3, first 2 shown]
	.p2align	6
.LBB351_116:                            ; =>This Inner Loop Header: Depth=1
	s_clause 0x1
	s_load_b64 s[8:9], s[4:5], 0x4
	s_load_b32 s12, s[4:5], 0xc
	s_load_b64 s[10:11], s[2:3], 0x0
	s_add_u32 s4, s4, 12
	s_addc_u32 s5, s5, 0
	s_add_u32 s2, s2, 8
	s_addc_u32 s3, s3, 0
	s_add_i32 s7, s7, -1
	s_delay_alu instid0(SALU_CYCLE_1) | instskip(SKIP_2) | instid1(VALU_DEP_1)
	s_cmp_lg_u32 s7, 0
	s_waitcnt lgkmcnt(0)
	v_mul_hi_u32 v18, s9, v17
	v_add_nc_u32_e32 v18, v17, v18
	s_delay_alu instid0(VALU_DEP_1) | instskip(NEXT) | instid1(VALU_DEP_1)
	v_lshrrev_b32_e32 v21, s12, v18
	v_mul_lo_u32 v18, v21, s8
	s_delay_alu instid0(VALU_DEP_1) | instskip(NEXT) | instid1(VALU_DEP_1)
	v_sub_nc_u32_e32 v17, v17, v18
	v_mad_u64_u32 v[18:19], null, v17, s10, v[14:15]
	v_mad_u64_u32 v[19:20], null, v17, s11, v[15:16]
	s_delay_alu instid0(VALU_DEP_2) | instskip(NEXT) | instid1(VALU_DEP_2)
	v_dual_mov_b32 v17, v21 :: v_dual_mov_b32 v14, v18
	v_mov_b32_e32 v15, v19
	s_cbranch_scc1 .LBB351_116
.LBB351_117:
	s_and_not1_b32 vcc_lo, exec_lo, s6
	s_cbranch_vccnz .LBB351_120
; %bb.118:
	s_clause 0x1
	s_load_b128 s[4:7], s[0:1], 0x4
	s_load_b64 s[2:3], s[0:1], 0xc4
	s_cmp_lt_u32 s22, 2
	s_waitcnt lgkmcnt(0)
	v_mul_hi_u32 v14, s5, v16
	s_delay_alu instid0(VALU_DEP_1) | instskip(NEXT) | instid1(VALU_DEP_1)
	v_add_nc_u32_e32 v14, v16, v14
	v_lshrrev_b32_e32 v17, s6, v14
	s_delay_alu instid0(VALU_DEP_1) | instskip(NEXT) | instid1(VALU_DEP_1)
	v_mul_lo_u32 v14, v17, s4
	v_sub_nc_u32_e32 v15, v16, v14
	s_delay_alu instid0(VALU_DEP_1)
	v_mul_lo_u32 v14, v15, s2
	v_mul_lo_u32 v15, v15, s3
	s_cbranch_scc1 .LBB351_120
; %bb.119:
	s_clause 0x1
	s_load_b128 s[4:7], s[0:1], 0x10
	s_load_b64 s[2:3], s[0:1], 0xcc
	s_waitcnt lgkmcnt(0)
	v_mul_hi_u32 v16, s5, v17
	s_delay_alu instid0(VALU_DEP_1) | instskip(NEXT) | instid1(VALU_DEP_1)
	v_add_nc_u32_e32 v16, v17, v16
	v_lshrrev_b32_e32 v16, s6, v16
	s_delay_alu instid0(VALU_DEP_1) | instskip(NEXT) | instid1(VALU_DEP_1)
	v_mul_lo_u32 v16, v16, s4
	v_sub_nc_u32_e32 v19, v17, v16
	s_delay_alu instid0(VALU_DEP_1) | instskip(NEXT) | instid1(VALU_DEP_1)
	v_mad_u64_u32 v[16:17], null, v19, s2, v[14:15]
	v_mad_u64_u32 v[17:18], null, v19, s3, v[15:16]
	s_delay_alu instid0(VALU_DEP_1)
	v_dual_mov_b32 v14, v16 :: v_dual_mov_b32 v15, v17
.LBB351_120:
	s_clause 0x1
	s_load_b128 s[4:7], s[0:1], 0x148
	s_load_b32 s0, s[0:1], 0x158
	s_waitcnt lgkmcnt(0)
	s_clause 0x7
	global_load_u8 v1, v1, s[6:7]
	global_load_u8 v3, v3, s[6:7]
	global_load_u8 v5, v5, s[6:7]
	global_load_u8 v7, v7, s[6:7]
	global_load_u8 v9, v9, s[6:7]
	global_load_u8 v11, v11, s[6:7]
	global_load_u8 v13, v13, s[6:7]
	global_load_u8 v15, v15, s[6:7]
	s_and_b32 s0, s0, 0xff
	s_waitcnt vmcnt(7)
	v_max_u16 v1, v1, s0
	s_waitcnt vmcnt(6)
	v_max_u16 v3, v3, s0
	;; [unrolled: 2-line block ×8, first 2 shown]
	s_clause 0x7
	global_store_b8 v0, v1, s[4:5]
	global_store_b8 v2, v3, s[4:5]
	;; [unrolled: 1-line block ×8, first 2 shown]
	s_nop 0
	s_sendmsg sendmsg(MSG_DEALLOC_VGPRS)
	s_endpgm
.LBB351_121:
	v_dual_mov_b32 v2, v12 :: v_dual_mov_b32 v1, 0
.LBB351_122:
	s_and_b32 s35, s35, 3
	s_delay_alu instid0(SALU_CYCLE_1)
	s_cmp_eq_u32 s35, 0
	s_cbranch_scc1 .LBB351_125
; %bb.123:
	s_lshl_b32 s18, s34, 3
	s_mul_i32 s20, s34, 12
	s_add_u32 s18, s18, s0
	s_addc_u32 s19, s1, 0
	s_add_u32 s18, s18, 0xc4
	s_addc_u32 s19, s19, 0
	;; [unrolled: 2-line block ×3, first 2 shown]
	.p2align	6
.LBB351_124:                            ; =>This Inner Loop Header: Depth=1
	s_clause 0x1
	s_load_b64 s[36:37], s[20:21], 0x4
	s_load_b32 s34, s[20:21], 0xc
	s_load_b64 s[38:39], s[18:19], 0x0
	s_add_u32 s20, s20, 12
	s_addc_u32 s21, s21, 0
	s_add_u32 s18, s18, 8
	s_addc_u32 s19, s19, 0
	s_add_i32 s35, s35, -1
	s_delay_alu instid0(SALU_CYCLE_1) | instskip(SKIP_2) | instid1(VALU_DEP_1)
	s_cmp_lg_u32 s35, 0
	s_waitcnt lgkmcnt(0)
	v_mul_hi_u32 v3, s37, v2
	v_add_nc_u32_e32 v3, v2, v3
	s_delay_alu instid0(VALU_DEP_1) | instskip(NEXT) | instid1(VALU_DEP_1)
	v_lshrrev_b32_e32 v6, s34, v3
	v_mul_lo_u32 v3, v6, s36
	s_delay_alu instid0(VALU_DEP_1) | instskip(NEXT) | instid1(VALU_DEP_1)
	v_sub_nc_u32_e32 v2, v2, v3
	v_mad_u64_u32 v[3:4], null, v2, s38, v[0:1]
	v_mad_u64_u32 v[4:5], null, v2, s39, v[1:2]
	v_mov_b32_e32 v2, v6
	s_delay_alu instid0(VALU_DEP_2)
	v_dual_mov_b32 v0, v3 :: v_dual_mov_b32 v1, v4
	s_cbranch_scc1 .LBB351_124
.LBB351_125:
	s_and_not1_b32 vcc_lo, exec_lo, s33
	s_cbranch_vccnz .LBB351_128
; %bb.126:
	s_waitcnt lgkmcnt(0)
	v_mul_hi_u32 v0, s13, v12
	s_and_not1_b32 vcc_lo, exec_lo, s27
	s_delay_alu instid0(VALU_DEP_1) | instskip(NEXT) | instid1(VALU_DEP_1)
	v_add_nc_u32_e32 v0, v12, v0
	v_lshrrev_b32_e32 v2, s14, v0
	s_delay_alu instid0(VALU_DEP_1) | instskip(NEXT) | instid1(VALU_DEP_1)
	v_mul_lo_u32 v0, v2, s12
	v_sub_nc_u32_e32 v1, v12, v0
	s_delay_alu instid0(VALU_DEP_1)
	v_mul_lo_u32 v0, v1, s8
	v_mul_lo_u32 v1, v1, s9
	s_cbranch_vccnz .LBB351_128
; %bb.127:
	v_mul_hi_u32 v3, s2, v2
	s_delay_alu instid0(VALU_DEP_1) | instskip(NEXT) | instid1(VALU_DEP_1)
	v_add_nc_u32_e32 v3, v2, v3
	v_lshrrev_b32_e32 v3, s3, v3
	s_delay_alu instid0(VALU_DEP_1) | instskip(NEXT) | instid1(VALU_DEP_1)
	v_mul_lo_u32 v3, v3, s15
	v_sub_nc_u32_e32 v5, v2, v3
	s_delay_alu instid0(VALU_DEP_1) | instskip(NEXT) | instid1(VALU_DEP_1)
	v_mad_u64_u32 v[2:3], null, v5, s10, v[0:1]
	v_mad_u64_u32 v[3:4], null, v5, s11, v[1:2]
	s_delay_alu instid0(VALU_DEP_1)
	v_dual_mov_b32 v0, v2 :: v_dual_mov_b32 v1, v3
.LBB351_128:
	s_waitcnt lgkmcnt(0)
	global_load_u8 v1, v1, s[6:7]
	v_and_b32_e64 v2, 0xff, s26
	v_add_nc_u32_e32 v12, 0x80, v12
	s_waitcnt vmcnt(0)
	s_delay_alu instid0(VALU_DEP_2) | instskip(SKIP_2) | instid1(SALU_CYCLE_1)
	v_max_u16 v1, v1, v2
	global_store_b8 v0, v1, s[4:5]
	s_or_b32 exec_lo, exec_lo, s31
	s_mov_b32 s31, exec_lo
	v_cmpx_gt_i32_e64 s28, v12
	s_cbranch_execnz .LBB351_15
.LBB351_129:
	s_or_b32 exec_lo, exec_lo, s31
	s_delay_alu instid0(SALU_CYCLE_1)
	s_mov_b32 s31, exec_lo
	v_cmpx_gt_i32_e64 s28, v12
	s_cbranch_execz .LBB351_144
.LBB351_130:
	s_and_not1_b32 vcc_lo, exec_lo, s24
	s_cbranch_vccnz .LBB351_135
; %bb.131:
	v_dual_mov_b32 v0, 0 :: v_dual_mov_b32 v1, 0
	s_and_not1_b32 vcc_lo, exec_lo, s30
	s_mov_b32 s33, 0
	s_cbranch_vccnz .LBB351_155
; %bb.132:
	v_mov_b32_e32 v0, 0
	s_add_i32 s35, s29, 1
	s_cmp_eq_u32 s23, 2
	s_mov_b32 s34, 0
	s_cbranch_scc1 .LBB351_151
; %bb.133:
	v_dual_mov_b32 v1, 0 :: v_dual_mov_b32 v0, 0
	v_mov_b32_e32 v2, v12
	s_and_b32 s34, s35, 28
	s_mov_b32 s36, 0
	s_mov_b64 s[18:19], s[16:17]
	s_mov_b64 s[20:21], s[0:1]
.LBB351_134:                            ; =>This Inner Loop Header: Depth=1
	s_clause 0x1
	s_load_b256 s[40:47], s[20:21], 0x4
	s_load_b128 s[56:59], s[20:21], 0x24
	s_load_b256 s[48:55], s[18:19], 0x0
	s_add_u32 s20, s20, 48
	s_addc_u32 s21, s21, 0
	s_add_i32 s36, s36, 4
	s_add_u32 s18, s18, 32
	s_addc_u32 s19, s19, 0
	s_cmp_eq_u32 s34, s36
	s_waitcnt lgkmcnt(0)
	v_mul_hi_u32 v3, s41, v2
	s_delay_alu instid0(VALU_DEP_1) | instskip(NEXT) | instid1(VALU_DEP_1)
	v_add_nc_u32_e32 v3, v2, v3
	v_lshrrev_b32_e32 v3, s42, v3
	s_delay_alu instid0(VALU_DEP_1) | instskip(SKIP_1) | instid1(VALU_DEP_2)
	v_mul_hi_u32 v4, s44, v3
	v_mul_lo_u32 v6, v3, s40
	v_add_nc_u32_e32 v4, v3, v4
	s_delay_alu instid0(VALU_DEP_2) | instskip(NEXT) | instid1(VALU_DEP_2)
	v_sub_nc_u32_e32 v2, v2, v6
	v_lshrrev_b32_e32 v4, s45, v4
	s_delay_alu instid0(VALU_DEP_2) | instskip(SKIP_1) | instid1(VALU_DEP_3)
	v_mul_lo_u32 v6, v2, s48
	v_mul_lo_u32 v8, v2, s49
	v_mul_hi_u32 v5, s47, v4
	s_delay_alu instid0(VALU_DEP_1) | instskip(NEXT) | instid1(VALU_DEP_1)
	v_add_nc_u32_e32 v5, v4, v5
	v_lshrrev_b32_e32 v5, s56, v5
	s_delay_alu instid0(VALU_DEP_1) | instskip(SKIP_1) | instid1(VALU_DEP_2)
	v_mul_hi_u32 v7, s58, v5
	v_mul_lo_u32 v9, v5, s46
	v_add_nc_u32_e32 v2, v5, v7
	v_mul_lo_u32 v7, v4, s43
	s_delay_alu instid0(VALU_DEP_3) | instskip(NEXT) | instid1(VALU_DEP_3)
	v_sub_nc_u32_e32 v4, v4, v9
	v_lshrrev_b32_e32 v2, s59, v2
	s_delay_alu instid0(VALU_DEP_2) | instskip(SKIP_2) | instid1(VALU_DEP_4)
	v_mul_lo_u32 v9, v4, s52
	v_mul_lo_u32 v4, v4, s53
	v_sub_nc_u32_e32 v3, v3, v7
	v_mul_lo_u32 v10, v2, s57
	s_delay_alu instid0(VALU_DEP_2) | instskip(SKIP_1) | instid1(VALU_DEP_3)
	v_mul_lo_u32 v7, v3, s50
	v_mul_lo_u32 v3, v3, s51
	v_sub_nc_u32_e32 v5, v5, v10
	s_delay_alu instid0(VALU_DEP_3) | instskip(NEXT) | instid1(VALU_DEP_2)
	v_add3_u32 v0, v6, v0, v7
	v_mul_lo_u32 v10, v5, s54
	v_mul_lo_u32 v5, v5, s55
	v_add3_u32 v1, v8, v1, v3
	s_delay_alu instid0(VALU_DEP_3) | instskip(NEXT) | instid1(VALU_DEP_2)
	v_add3_u32 v0, v9, v0, v10
	v_add3_u32 v1, v4, v1, v5
	s_cbranch_scc0 .LBB351_134
	s_branch .LBB351_152
.LBB351_135:
	s_mov_b32 s33, -1
                                        ; implicit-def: $vgpr0
                                        ; implicit-def: $vgpr1
	s_branch .LBB351_155
.LBB351_136:
	v_dual_mov_b32 v2, v12 :: v_dual_mov_b32 v1, 0
.LBB351_137:
	s_and_b32 s35, s35, 3
	s_delay_alu instid0(SALU_CYCLE_1)
	s_cmp_eq_u32 s35, 0
	s_cbranch_scc1 .LBB351_140
; %bb.138:
	s_lshl_b32 s18, s34, 3
	s_mul_i32 s20, s34, 12
	s_add_u32 s18, s18, s0
	s_addc_u32 s19, s1, 0
	s_add_u32 s18, s18, 0xc4
	s_addc_u32 s19, s19, 0
	;; [unrolled: 2-line block ×3, first 2 shown]
	.p2align	6
.LBB351_139:                            ; =>This Inner Loop Header: Depth=1
	s_clause 0x1
	s_load_b64 s[36:37], s[20:21], 0x4
	s_load_b32 s34, s[20:21], 0xc
	s_load_b64 s[38:39], s[18:19], 0x0
	s_add_u32 s20, s20, 12
	s_addc_u32 s21, s21, 0
	s_add_u32 s18, s18, 8
	s_addc_u32 s19, s19, 0
	s_add_i32 s35, s35, -1
	s_delay_alu instid0(SALU_CYCLE_1) | instskip(SKIP_2) | instid1(VALU_DEP_1)
	s_cmp_lg_u32 s35, 0
	s_waitcnt lgkmcnt(0)
	v_mul_hi_u32 v3, s37, v2
	v_add_nc_u32_e32 v3, v2, v3
	s_delay_alu instid0(VALU_DEP_1) | instskip(NEXT) | instid1(VALU_DEP_1)
	v_lshrrev_b32_e32 v6, s34, v3
	v_mul_lo_u32 v3, v6, s36
	s_delay_alu instid0(VALU_DEP_1) | instskip(NEXT) | instid1(VALU_DEP_1)
	v_sub_nc_u32_e32 v2, v2, v3
	v_mad_u64_u32 v[3:4], null, v2, s38, v[0:1]
	v_mad_u64_u32 v[4:5], null, v2, s39, v[1:2]
	v_mov_b32_e32 v2, v6
	s_delay_alu instid0(VALU_DEP_2)
	v_dual_mov_b32 v0, v3 :: v_dual_mov_b32 v1, v4
	s_cbranch_scc1 .LBB351_139
.LBB351_140:
	s_and_not1_b32 vcc_lo, exec_lo, s33
	s_cbranch_vccnz .LBB351_143
; %bb.141:
	s_waitcnt lgkmcnt(0)
	v_mul_hi_u32 v0, s13, v12
	s_and_not1_b32 vcc_lo, exec_lo, s27
	s_delay_alu instid0(VALU_DEP_1) | instskip(NEXT) | instid1(VALU_DEP_1)
	v_add_nc_u32_e32 v0, v12, v0
	v_lshrrev_b32_e32 v2, s14, v0
	s_delay_alu instid0(VALU_DEP_1) | instskip(NEXT) | instid1(VALU_DEP_1)
	v_mul_lo_u32 v0, v2, s12
	v_sub_nc_u32_e32 v1, v12, v0
	s_delay_alu instid0(VALU_DEP_1)
	v_mul_lo_u32 v0, v1, s8
	v_mul_lo_u32 v1, v1, s9
	s_cbranch_vccnz .LBB351_143
; %bb.142:
	v_mul_hi_u32 v3, s2, v2
	s_delay_alu instid0(VALU_DEP_1) | instskip(NEXT) | instid1(VALU_DEP_1)
	v_add_nc_u32_e32 v3, v2, v3
	v_lshrrev_b32_e32 v3, s3, v3
	s_delay_alu instid0(VALU_DEP_1) | instskip(NEXT) | instid1(VALU_DEP_1)
	v_mul_lo_u32 v3, v3, s15
	v_sub_nc_u32_e32 v5, v2, v3
	s_delay_alu instid0(VALU_DEP_1) | instskip(NEXT) | instid1(VALU_DEP_1)
	v_mad_u64_u32 v[2:3], null, v5, s10, v[0:1]
	v_mad_u64_u32 v[3:4], null, v5, s11, v[1:2]
	s_delay_alu instid0(VALU_DEP_1)
	v_dual_mov_b32 v0, v2 :: v_dual_mov_b32 v1, v3
.LBB351_143:
	s_waitcnt lgkmcnt(0)
	global_load_u8 v1, v1, s[6:7]
	v_and_b32_e64 v2, 0xff, s26
	v_add_nc_u32_e32 v12, 0x80, v12
	s_waitcnt vmcnt(0)
	s_delay_alu instid0(VALU_DEP_2) | instskip(SKIP_2) | instid1(SALU_CYCLE_1)
	v_max_u16 v1, v1, v2
	global_store_b8 v0, v1, s[4:5]
	s_or_b32 exec_lo, exec_lo, s31
	s_mov_b32 s31, exec_lo
	v_cmpx_gt_i32_e64 s28, v12
	s_cbranch_execnz .LBB351_130
.LBB351_144:
	s_or_b32 exec_lo, exec_lo, s31
	s_delay_alu instid0(SALU_CYCLE_1)
	s_mov_b32 s31, exec_lo
	v_cmpx_gt_i32_e64 s28, v12
	s_cbranch_execz .LBB351_159
.LBB351_145:
	s_and_not1_b32 vcc_lo, exec_lo, s24
	s_cbranch_vccnz .LBB351_150
; %bb.146:
	v_dual_mov_b32 v0, 0 :: v_dual_mov_b32 v1, 0
	s_and_not1_b32 vcc_lo, exec_lo, s30
	s_mov_b32 s33, 0
	s_cbranch_vccnz .LBB351_170
; %bb.147:
	v_mov_b32_e32 v0, 0
	s_add_i32 s35, s29, 1
	s_cmp_eq_u32 s23, 2
	s_mov_b32 s34, 0
	s_cbranch_scc1 .LBB351_166
; %bb.148:
	v_dual_mov_b32 v1, 0 :: v_dual_mov_b32 v0, 0
	v_mov_b32_e32 v2, v12
	s_and_b32 s34, s35, 28
	s_mov_b32 s36, 0
	s_mov_b64 s[18:19], s[16:17]
	s_mov_b64 s[20:21], s[0:1]
.LBB351_149:                            ; =>This Inner Loop Header: Depth=1
	s_clause 0x1
	s_load_b256 s[40:47], s[20:21], 0x4
	s_load_b128 s[56:59], s[20:21], 0x24
	s_load_b256 s[48:55], s[18:19], 0x0
	s_add_u32 s20, s20, 48
	s_addc_u32 s21, s21, 0
	s_add_i32 s36, s36, 4
	s_add_u32 s18, s18, 32
	s_addc_u32 s19, s19, 0
	s_cmp_eq_u32 s34, s36
	s_waitcnt lgkmcnt(0)
	v_mul_hi_u32 v3, s41, v2
	s_delay_alu instid0(VALU_DEP_1) | instskip(NEXT) | instid1(VALU_DEP_1)
	v_add_nc_u32_e32 v3, v2, v3
	v_lshrrev_b32_e32 v3, s42, v3
	s_delay_alu instid0(VALU_DEP_1) | instskip(SKIP_1) | instid1(VALU_DEP_2)
	v_mul_hi_u32 v4, s44, v3
	v_mul_lo_u32 v6, v3, s40
	v_add_nc_u32_e32 v4, v3, v4
	s_delay_alu instid0(VALU_DEP_2) | instskip(NEXT) | instid1(VALU_DEP_2)
	v_sub_nc_u32_e32 v2, v2, v6
	v_lshrrev_b32_e32 v4, s45, v4
	s_delay_alu instid0(VALU_DEP_2) | instskip(SKIP_1) | instid1(VALU_DEP_3)
	v_mul_lo_u32 v6, v2, s48
	v_mul_lo_u32 v8, v2, s49
	v_mul_hi_u32 v5, s47, v4
	s_delay_alu instid0(VALU_DEP_1) | instskip(NEXT) | instid1(VALU_DEP_1)
	v_add_nc_u32_e32 v5, v4, v5
	v_lshrrev_b32_e32 v5, s56, v5
	s_delay_alu instid0(VALU_DEP_1) | instskip(SKIP_1) | instid1(VALU_DEP_2)
	v_mul_hi_u32 v7, s58, v5
	v_mul_lo_u32 v9, v5, s46
	v_add_nc_u32_e32 v2, v5, v7
	v_mul_lo_u32 v7, v4, s43
	s_delay_alu instid0(VALU_DEP_3) | instskip(NEXT) | instid1(VALU_DEP_3)
	v_sub_nc_u32_e32 v4, v4, v9
	v_lshrrev_b32_e32 v2, s59, v2
	s_delay_alu instid0(VALU_DEP_2) | instskip(SKIP_2) | instid1(VALU_DEP_4)
	v_mul_lo_u32 v9, v4, s52
	v_mul_lo_u32 v4, v4, s53
	v_sub_nc_u32_e32 v3, v3, v7
	v_mul_lo_u32 v10, v2, s57
	s_delay_alu instid0(VALU_DEP_2) | instskip(SKIP_1) | instid1(VALU_DEP_3)
	v_mul_lo_u32 v7, v3, s50
	v_mul_lo_u32 v3, v3, s51
	v_sub_nc_u32_e32 v5, v5, v10
	s_delay_alu instid0(VALU_DEP_3) | instskip(NEXT) | instid1(VALU_DEP_2)
	v_add3_u32 v0, v6, v0, v7
	v_mul_lo_u32 v10, v5, s54
	v_mul_lo_u32 v5, v5, s55
	v_add3_u32 v1, v8, v1, v3
	s_delay_alu instid0(VALU_DEP_3) | instskip(NEXT) | instid1(VALU_DEP_2)
	v_add3_u32 v0, v9, v0, v10
	v_add3_u32 v1, v4, v1, v5
	s_cbranch_scc0 .LBB351_149
	s_branch .LBB351_167
.LBB351_150:
	s_mov_b32 s33, -1
                                        ; implicit-def: $vgpr0
                                        ; implicit-def: $vgpr1
	s_branch .LBB351_170
.LBB351_151:
	v_dual_mov_b32 v2, v12 :: v_dual_mov_b32 v1, 0
.LBB351_152:
	s_and_b32 s35, s35, 3
	s_delay_alu instid0(SALU_CYCLE_1)
	s_cmp_eq_u32 s35, 0
	s_cbranch_scc1 .LBB351_155
; %bb.153:
	s_lshl_b32 s18, s34, 3
	s_mul_i32 s20, s34, 12
	s_add_u32 s18, s18, s0
	s_addc_u32 s19, s1, 0
	s_add_u32 s18, s18, 0xc4
	s_addc_u32 s19, s19, 0
	;; [unrolled: 2-line block ×3, first 2 shown]
	.p2align	6
.LBB351_154:                            ; =>This Inner Loop Header: Depth=1
	s_clause 0x1
	s_load_b64 s[36:37], s[20:21], 0x4
	s_load_b32 s34, s[20:21], 0xc
	s_load_b64 s[38:39], s[18:19], 0x0
	s_add_u32 s20, s20, 12
	s_addc_u32 s21, s21, 0
	s_add_u32 s18, s18, 8
	s_addc_u32 s19, s19, 0
	s_add_i32 s35, s35, -1
	s_delay_alu instid0(SALU_CYCLE_1) | instskip(SKIP_2) | instid1(VALU_DEP_1)
	s_cmp_lg_u32 s35, 0
	s_waitcnt lgkmcnt(0)
	v_mul_hi_u32 v3, s37, v2
	v_add_nc_u32_e32 v3, v2, v3
	s_delay_alu instid0(VALU_DEP_1) | instskip(NEXT) | instid1(VALU_DEP_1)
	v_lshrrev_b32_e32 v6, s34, v3
	v_mul_lo_u32 v3, v6, s36
	s_delay_alu instid0(VALU_DEP_1) | instskip(NEXT) | instid1(VALU_DEP_1)
	v_sub_nc_u32_e32 v2, v2, v3
	v_mad_u64_u32 v[3:4], null, v2, s38, v[0:1]
	v_mad_u64_u32 v[4:5], null, v2, s39, v[1:2]
	v_mov_b32_e32 v2, v6
	s_delay_alu instid0(VALU_DEP_2)
	v_dual_mov_b32 v0, v3 :: v_dual_mov_b32 v1, v4
	s_cbranch_scc1 .LBB351_154
.LBB351_155:
	s_and_not1_b32 vcc_lo, exec_lo, s33
	s_cbranch_vccnz .LBB351_158
; %bb.156:
	s_waitcnt lgkmcnt(0)
	v_mul_hi_u32 v0, s13, v12
	s_and_not1_b32 vcc_lo, exec_lo, s27
	s_delay_alu instid0(VALU_DEP_1) | instskip(NEXT) | instid1(VALU_DEP_1)
	v_add_nc_u32_e32 v0, v12, v0
	v_lshrrev_b32_e32 v2, s14, v0
	s_delay_alu instid0(VALU_DEP_1) | instskip(NEXT) | instid1(VALU_DEP_1)
	v_mul_lo_u32 v0, v2, s12
	v_sub_nc_u32_e32 v1, v12, v0
	s_delay_alu instid0(VALU_DEP_1)
	v_mul_lo_u32 v0, v1, s8
	v_mul_lo_u32 v1, v1, s9
	s_cbranch_vccnz .LBB351_158
; %bb.157:
	v_mul_hi_u32 v3, s2, v2
	s_delay_alu instid0(VALU_DEP_1) | instskip(NEXT) | instid1(VALU_DEP_1)
	v_add_nc_u32_e32 v3, v2, v3
	v_lshrrev_b32_e32 v3, s3, v3
	s_delay_alu instid0(VALU_DEP_1) | instskip(NEXT) | instid1(VALU_DEP_1)
	v_mul_lo_u32 v3, v3, s15
	v_sub_nc_u32_e32 v5, v2, v3
	s_delay_alu instid0(VALU_DEP_1) | instskip(NEXT) | instid1(VALU_DEP_1)
	v_mad_u64_u32 v[2:3], null, v5, s10, v[0:1]
	v_mad_u64_u32 v[3:4], null, v5, s11, v[1:2]
	s_delay_alu instid0(VALU_DEP_1)
	v_dual_mov_b32 v0, v2 :: v_dual_mov_b32 v1, v3
.LBB351_158:
	s_waitcnt lgkmcnt(0)
	global_load_u8 v1, v1, s[6:7]
	v_and_b32_e64 v2, 0xff, s26
	v_add_nc_u32_e32 v12, 0x80, v12
	s_waitcnt vmcnt(0)
	s_delay_alu instid0(VALU_DEP_2) | instskip(SKIP_2) | instid1(SALU_CYCLE_1)
	v_max_u16 v1, v1, v2
	global_store_b8 v0, v1, s[4:5]
	s_or_b32 exec_lo, exec_lo, s31
	s_mov_b32 s31, exec_lo
	v_cmpx_gt_i32_e64 s28, v12
	s_cbranch_execnz .LBB351_145
.LBB351_159:
	s_or_b32 exec_lo, exec_lo, s31
	s_delay_alu instid0(SALU_CYCLE_1)
	s_mov_b32 s31, exec_lo
	v_cmpx_gt_i32_e64 s28, v12
	s_cbranch_execz .LBB351_174
.LBB351_160:
	s_and_not1_b32 vcc_lo, exec_lo, s24
	s_cbranch_vccnz .LBB351_165
; %bb.161:
	v_dual_mov_b32 v0, 0 :: v_dual_mov_b32 v1, 0
	s_and_not1_b32 vcc_lo, exec_lo, s30
	s_mov_b32 s33, 0
	s_cbranch_vccnz .LBB351_185
; %bb.162:
	v_mov_b32_e32 v0, 0
	s_add_i32 s35, s29, 1
	s_cmp_eq_u32 s23, 2
	s_mov_b32 s34, 0
	s_cbranch_scc1 .LBB351_181
; %bb.163:
	v_dual_mov_b32 v1, 0 :: v_dual_mov_b32 v0, 0
	v_mov_b32_e32 v2, v12
	s_and_b32 s34, s35, 28
	s_mov_b32 s36, 0
	s_mov_b64 s[18:19], s[16:17]
	s_mov_b64 s[20:21], s[0:1]
.LBB351_164:                            ; =>This Inner Loop Header: Depth=1
	s_clause 0x1
	s_load_b256 s[40:47], s[20:21], 0x4
	s_load_b128 s[56:59], s[20:21], 0x24
	s_load_b256 s[48:55], s[18:19], 0x0
	s_add_u32 s20, s20, 48
	s_addc_u32 s21, s21, 0
	s_add_i32 s36, s36, 4
	s_add_u32 s18, s18, 32
	s_addc_u32 s19, s19, 0
	s_cmp_eq_u32 s34, s36
	s_waitcnt lgkmcnt(0)
	v_mul_hi_u32 v3, s41, v2
	s_delay_alu instid0(VALU_DEP_1) | instskip(NEXT) | instid1(VALU_DEP_1)
	v_add_nc_u32_e32 v3, v2, v3
	v_lshrrev_b32_e32 v3, s42, v3
	s_delay_alu instid0(VALU_DEP_1) | instskip(SKIP_1) | instid1(VALU_DEP_2)
	v_mul_hi_u32 v4, s44, v3
	v_mul_lo_u32 v6, v3, s40
	v_add_nc_u32_e32 v4, v3, v4
	s_delay_alu instid0(VALU_DEP_2) | instskip(NEXT) | instid1(VALU_DEP_2)
	v_sub_nc_u32_e32 v2, v2, v6
	v_lshrrev_b32_e32 v4, s45, v4
	s_delay_alu instid0(VALU_DEP_2) | instskip(SKIP_1) | instid1(VALU_DEP_3)
	v_mul_lo_u32 v6, v2, s48
	v_mul_lo_u32 v8, v2, s49
	v_mul_hi_u32 v5, s47, v4
	s_delay_alu instid0(VALU_DEP_1) | instskip(NEXT) | instid1(VALU_DEP_1)
	v_add_nc_u32_e32 v5, v4, v5
	v_lshrrev_b32_e32 v5, s56, v5
	s_delay_alu instid0(VALU_DEP_1) | instskip(SKIP_1) | instid1(VALU_DEP_2)
	v_mul_hi_u32 v7, s58, v5
	v_mul_lo_u32 v9, v5, s46
	v_add_nc_u32_e32 v2, v5, v7
	v_mul_lo_u32 v7, v4, s43
	s_delay_alu instid0(VALU_DEP_3) | instskip(NEXT) | instid1(VALU_DEP_3)
	v_sub_nc_u32_e32 v4, v4, v9
	v_lshrrev_b32_e32 v2, s59, v2
	s_delay_alu instid0(VALU_DEP_2) | instskip(SKIP_2) | instid1(VALU_DEP_4)
	v_mul_lo_u32 v9, v4, s52
	v_mul_lo_u32 v4, v4, s53
	v_sub_nc_u32_e32 v3, v3, v7
	v_mul_lo_u32 v10, v2, s57
	s_delay_alu instid0(VALU_DEP_2) | instskip(SKIP_1) | instid1(VALU_DEP_3)
	v_mul_lo_u32 v7, v3, s50
	v_mul_lo_u32 v3, v3, s51
	v_sub_nc_u32_e32 v5, v5, v10
	s_delay_alu instid0(VALU_DEP_3) | instskip(NEXT) | instid1(VALU_DEP_2)
	v_add3_u32 v0, v6, v0, v7
	v_mul_lo_u32 v10, v5, s54
	v_mul_lo_u32 v5, v5, s55
	v_add3_u32 v1, v8, v1, v3
	s_delay_alu instid0(VALU_DEP_3) | instskip(NEXT) | instid1(VALU_DEP_2)
	v_add3_u32 v0, v9, v0, v10
	v_add3_u32 v1, v4, v1, v5
	s_cbranch_scc0 .LBB351_164
	s_branch .LBB351_182
.LBB351_165:
	s_mov_b32 s33, -1
                                        ; implicit-def: $vgpr0
                                        ; implicit-def: $vgpr1
	s_branch .LBB351_185
.LBB351_166:
	v_dual_mov_b32 v2, v12 :: v_dual_mov_b32 v1, 0
.LBB351_167:
	s_and_b32 s35, s35, 3
	s_delay_alu instid0(SALU_CYCLE_1)
	s_cmp_eq_u32 s35, 0
	s_cbranch_scc1 .LBB351_170
; %bb.168:
	s_lshl_b32 s18, s34, 3
	s_mul_i32 s20, s34, 12
	s_add_u32 s18, s18, s0
	s_addc_u32 s19, s1, 0
	s_add_u32 s18, s18, 0xc4
	s_addc_u32 s19, s19, 0
	;; [unrolled: 2-line block ×3, first 2 shown]
	.p2align	6
.LBB351_169:                            ; =>This Inner Loop Header: Depth=1
	s_clause 0x1
	s_load_b64 s[36:37], s[20:21], 0x4
	s_load_b32 s34, s[20:21], 0xc
	s_load_b64 s[38:39], s[18:19], 0x0
	s_add_u32 s20, s20, 12
	s_addc_u32 s21, s21, 0
	s_add_u32 s18, s18, 8
	s_addc_u32 s19, s19, 0
	s_add_i32 s35, s35, -1
	s_delay_alu instid0(SALU_CYCLE_1) | instskip(SKIP_2) | instid1(VALU_DEP_1)
	s_cmp_lg_u32 s35, 0
	s_waitcnt lgkmcnt(0)
	v_mul_hi_u32 v3, s37, v2
	v_add_nc_u32_e32 v3, v2, v3
	s_delay_alu instid0(VALU_DEP_1) | instskip(NEXT) | instid1(VALU_DEP_1)
	v_lshrrev_b32_e32 v6, s34, v3
	v_mul_lo_u32 v3, v6, s36
	s_delay_alu instid0(VALU_DEP_1) | instskip(NEXT) | instid1(VALU_DEP_1)
	v_sub_nc_u32_e32 v2, v2, v3
	v_mad_u64_u32 v[3:4], null, v2, s38, v[0:1]
	v_mad_u64_u32 v[4:5], null, v2, s39, v[1:2]
	v_mov_b32_e32 v2, v6
	s_delay_alu instid0(VALU_DEP_2)
	v_dual_mov_b32 v0, v3 :: v_dual_mov_b32 v1, v4
	s_cbranch_scc1 .LBB351_169
.LBB351_170:
	s_and_not1_b32 vcc_lo, exec_lo, s33
	s_cbranch_vccnz .LBB351_173
; %bb.171:
	s_waitcnt lgkmcnt(0)
	v_mul_hi_u32 v0, s13, v12
	s_and_not1_b32 vcc_lo, exec_lo, s27
	s_delay_alu instid0(VALU_DEP_1) | instskip(NEXT) | instid1(VALU_DEP_1)
	v_add_nc_u32_e32 v0, v12, v0
	v_lshrrev_b32_e32 v2, s14, v0
	s_delay_alu instid0(VALU_DEP_1) | instskip(NEXT) | instid1(VALU_DEP_1)
	v_mul_lo_u32 v0, v2, s12
	v_sub_nc_u32_e32 v1, v12, v0
	s_delay_alu instid0(VALU_DEP_1)
	v_mul_lo_u32 v0, v1, s8
	v_mul_lo_u32 v1, v1, s9
	s_cbranch_vccnz .LBB351_173
; %bb.172:
	v_mul_hi_u32 v3, s2, v2
	s_delay_alu instid0(VALU_DEP_1) | instskip(NEXT) | instid1(VALU_DEP_1)
	v_add_nc_u32_e32 v3, v2, v3
	v_lshrrev_b32_e32 v3, s3, v3
	s_delay_alu instid0(VALU_DEP_1) | instskip(NEXT) | instid1(VALU_DEP_1)
	v_mul_lo_u32 v3, v3, s15
	v_sub_nc_u32_e32 v5, v2, v3
	s_delay_alu instid0(VALU_DEP_1) | instskip(NEXT) | instid1(VALU_DEP_1)
	v_mad_u64_u32 v[2:3], null, v5, s10, v[0:1]
	v_mad_u64_u32 v[3:4], null, v5, s11, v[1:2]
	s_delay_alu instid0(VALU_DEP_1)
	v_dual_mov_b32 v0, v2 :: v_dual_mov_b32 v1, v3
.LBB351_173:
	s_waitcnt lgkmcnt(0)
	global_load_u8 v1, v1, s[6:7]
	v_and_b32_e64 v2, 0xff, s26
	v_add_nc_u32_e32 v12, 0x80, v12
	s_waitcnt vmcnt(0)
	s_delay_alu instid0(VALU_DEP_2) | instskip(SKIP_2) | instid1(SALU_CYCLE_1)
	v_max_u16 v1, v1, v2
	global_store_b8 v0, v1, s[4:5]
	s_or_b32 exec_lo, exec_lo, s31
	s_mov_b32 s31, exec_lo
	v_cmpx_gt_i32_e64 s28, v12
	s_cbranch_execnz .LBB351_160
.LBB351_174:
	s_or_b32 exec_lo, exec_lo, s31
	s_delay_alu instid0(SALU_CYCLE_1)
	s_mov_b32 s31, exec_lo
	v_cmpx_gt_i32_e64 s28, v12
	s_cbranch_execz .LBB351_189
.LBB351_175:
	s_and_not1_b32 vcc_lo, exec_lo, s24
	s_cbranch_vccnz .LBB351_180
; %bb.176:
	v_dual_mov_b32 v0, 0 :: v_dual_mov_b32 v1, 0
	s_and_not1_b32 vcc_lo, exec_lo, s30
	s_mov_b32 s33, 0
	s_cbranch_vccnz .LBB351_200
; %bb.177:
	v_mov_b32_e32 v0, 0
	s_add_i32 s35, s29, 1
	s_cmp_eq_u32 s23, 2
	s_mov_b32 s34, 0
	s_cbranch_scc1 .LBB351_196
; %bb.178:
	v_dual_mov_b32 v1, 0 :: v_dual_mov_b32 v0, 0
	v_mov_b32_e32 v2, v12
	s_and_b32 s34, s35, 28
	s_mov_b32 s36, 0
	s_mov_b64 s[18:19], s[16:17]
	s_mov_b64 s[20:21], s[0:1]
.LBB351_179:                            ; =>This Inner Loop Header: Depth=1
	s_clause 0x1
	s_load_b256 s[40:47], s[20:21], 0x4
	s_load_b128 s[56:59], s[20:21], 0x24
	s_load_b256 s[48:55], s[18:19], 0x0
	s_add_u32 s20, s20, 48
	s_addc_u32 s21, s21, 0
	s_add_i32 s36, s36, 4
	s_add_u32 s18, s18, 32
	s_addc_u32 s19, s19, 0
	s_cmp_eq_u32 s34, s36
	s_waitcnt lgkmcnt(0)
	v_mul_hi_u32 v3, s41, v2
	s_delay_alu instid0(VALU_DEP_1) | instskip(NEXT) | instid1(VALU_DEP_1)
	v_add_nc_u32_e32 v3, v2, v3
	v_lshrrev_b32_e32 v3, s42, v3
	s_delay_alu instid0(VALU_DEP_1) | instskip(SKIP_1) | instid1(VALU_DEP_2)
	v_mul_hi_u32 v4, s44, v3
	v_mul_lo_u32 v6, v3, s40
	v_add_nc_u32_e32 v4, v3, v4
	s_delay_alu instid0(VALU_DEP_2) | instskip(NEXT) | instid1(VALU_DEP_2)
	v_sub_nc_u32_e32 v2, v2, v6
	v_lshrrev_b32_e32 v4, s45, v4
	s_delay_alu instid0(VALU_DEP_2) | instskip(SKIP_1) | instid1(VALU_DEP_3)
	v_mul_lo_u32 v6, v2, s48
	v_mul_lo_u32 v8, v2, s49
	v_mul_hi_u32 v5, s47, v4
	s_delay_alu instid0(VALU_DEP_1) | instskip(NEXT) | instid1(VALU_DEP_1)
	v_add_nc_u32_e32 v5, v4, v5
	v_lshrrev_b32_e32 v5, s56, v5
	s_delay_alu instid0(VALU_DEP_1) | instskip(SKIP_1) | instid1(VALU_DEP_2)
	v_mul_hi_u32 v7, s58, v5
	v_mul_lo_u32 v9, v5, s46
	v_add_nc_u32_e32 v2, v5, v7
	v_mul_lo_u32 v7, v4, s43
	s_delay_alu instid0(VALU_DEP_3) | instskip(NEXT) | instid1(VALU_DEP_3)
	v_sub_nc_u32_e32 v4, v4, v9
	v_lshrrev_b32_e32 v2, s59, v2
	s_delay_alu instid0(VALU_DEP_2) | instskip(SKIP_2) | instid1(VALU_DEP_4)
	v_mul_lo_u32 v9, v4, s52
	v_mul_lo_u32 v4, v4, s53
	v_sub_nc_u32_e32 v3, v3, v7
	v_mul_lo_u32 v10, v2, s57
	s_delay_alu instid0(VALU_DEP_2) | instskip(SKIP_1) | instid1(VALU_DEP_3)
	v_mul_lo_u32 v7, v3, s50
	v_mul_lo_u32 v3, v3, s51
	v_sub_nc_u32_e32 v5, v5, v10
	s_delay_alu instid0(VALU_DEP_3) | instskip(NEXT) | instid1(VALU_DEP_2)
	v_add3_u32 v0, v6, v0, v7
	v_mul_lo_u32 v10, v5, s54
	v_mul_lo_u32 v5, v5, s55
	v_add3_u32 v1, v8, v1, v3
	s_delay_alu instid0(VALU_DEP_3) | instskip(NEXT) | instid1(VALU_DEP_2)
	v_add3_u32 v0, v9, v0, v10
	v_add3_u32 v1, v4, v1, v5
	s_cbranch_scc0 .LBB351_179
	s_branch .LBB351_197
.LBB351_180:
	s_mov_b32 s33, -1
                                        ; implicit-def: $vgpr0
                                        ; implicit-def: $vgpr1
	s_branch .LBB351_200
.LBB351_181:
	v_dual_mov_b32 v2, v12 :: v_dual_mov_b32 v1, 0
.LBB351_182:
	s_and_b32 s35, s35, 3
	s_delay_alu instid0(SALU_CYCLE_1)
	s_cmp_eq_u32 s35, 0
	s_cbranch_scc1 .LBB351_185
; %bb.183:
	s_lshl_b32 s18, s34, 3
	s_mul_i32 s20, s34, 12
	s_add_u32 s18, s18, s0
	s_addc_u32 s19, s1, 0
	s_add_u32 s18, s18, 0xc4
	s_addc_u32 s19, s19, 0
	;; [unrolled: 2-line block ×3, first 2 shown]
	.p2align	6
.LBB351_184:                            ; =>This Inner Loop Header: Depth=1
	s_clause 0x1
	s_load_b64 s[36:37], s[20:21], 0x4
	s_load_b32 s34, s[20:21], 0xc
	s_load_b64 s[38:39], s[18:19], 0x0
	s_add_u32 s20, s20, 12
	s_addc_u32 s21, s21, 0
	s_add_u32 s18, s18, 8
	s_addc_u32 s19, s19, 0
	s_add_i32 s35, s35, -1
	s_delay_alu instid0(SALU_CYCLE_1) | instskip(SKIP_2) | instid1(VALU_DEP_1)
	s_cmp_lg_u32 s35, 0
	s_waitcnt lgkmcnt(0)
	v_mul_hi_u32 v3, s37, v2
	v_add_nc_u32_e32 v3, v2, v3
	s_delay_alu instid0(VALU_DEP_1) | instskip(NEXT) | instid1(VALU_DEP_1)
	v_lshrrev_b32_e32 v6, s34, v3
	v_mul_lo_u32 v3, v6, s36
	s_delay_alu instid0(VALU_DEP_1) | instskip(NEXT) | instid1(VALU_DEP_1)
	v_sub_nc_u32_e32 v2, v2, v3
	v_mad_u64_u32 v[3:4], null, v2, s38, v[0:1]
	v_mad_u64_u32 v[4:5], null, v2, s39, v[1:2]
	v_mov_b32_e32 v2, v6
	s_delay_alu instid0(VALU_DEP_2)
	v_dual_mov_b32 v0, v3 :: v_dual_mov_b32 v1, v4
	s_cbranch_scc1 .LBB351_184
.LBB351_185:
	s_and_not1_b32 vcc_lo, exec_lo, s33
	s_cbranch_vccnz .LBB351_188
; %bb.186:
	s_waitcnt lgkmcnt(0)
	v_mul_hi_u32 v0, s13, v12
	s_and_not1_b32 vcc_lo, exec_lo, s27
	s_delay_alu instid0(VALU_DEP_1) | instskip(NEXT) | instid1(VALU_DEP_1)
	v_add_nc_u32_e32 v0, v12, v0
	v_lshrrev_b32_e32 v2, s14, v0
	s_delay_alu instid0(VALU_DEP_1) | instskip(NEXT) | instid1(VALU_DEP_1)
	v_mul_lo_u32 v0, v2, s12
	v_sub_nc_u32_e32 v1, v12, v0
	s_delay_alu instid0(VALU_DEP_1)
	v_mul_lo_u32 v0, v1, s8
	v_mul_lo_u32 v1, v1, s9
	s_cbranch_vccnz .LBB351_188
; %bb.187:
	v_mul_hi_u32 v3, s2, v2
	s_delay_alu instid0(VALU_DEP_1) | instskip(NEXT) | instid1(VALU_DEP_1)
	v_add_nc_u32_e32 v3, v2, v3
	v_lshrrev_b32_e32 v3, s3, v3
	s_delay_alu instid0(VALU_DEP_1) | instskip(NEXT) | instid1(VALU_DEP_1)
	v_mul_lo_u32 v3, v3, s15
	v_sub_nc_u32_e32 v5, v2, v3
	s_delay_alu instid0(VALU_DEP_1) | instskip(NEXT) | instid1(VALU_DEP_1)
	v_mad_u64_u32 v[2:3], null, v5, s10, v[0:1]
	v_mad_u64_u32 v[3:4], null, v5, s11, v[1:2]
	s_delay_alu instid0(VALU_DEP_1)
	v_dual_mov_b32 v0, v2 :: v_dual_mov_b32 v1, v3
.LBB351_188:
	s_waitcnt lgkmcnt(0)
	global_load_u8 v1, v1, s[6:7]
	v_and_b32_e64 v2, 0xff, s26
	v_add_nc_u32_e32 v12, 0x80, v12
	s_waitcnt vmcnt(0)
	s_delay_alu instid0(VALU_DEP_2) | instskip(SKIP_2) | instid1(SALU_CYCLE_1)
	v_max_u16 v1, v1, v2
	global_store_b8 v0, v1, s[4:5]
	s_or_b32 exec_lo, exec_lo, s31
	s_mov_b32 s31, exec_lo
	v_cmpx_gt_i32_e64 s28, v12
	s_cbranch_execnz .LBB351_175
.LBB351_189:
	s_or_b32 exec_lo, exec_lo, s31
	s_delay_alu instid0(SALU_CYCLE_1)
	s_mov_b32 s31, exec_lo
	v_cmpx_gt_i32_e64 s28, v12
	s_cbranch_execz .LBB351_204
.LBB351_190:
	s_and_not1_b32 vcc_lo, exec_lo, s24
	s_cbranch_vccnz .LBB351_195
; %bb.191:
	v_dual_mov_b32 v0, 0 :: v_dual_mov_b32 v1, 0
	s_and_not1_b32 vcc_lo, exec_lo, s30
	s_mov_b32 s33, 0
	s_cbranch_vccnz .LBB351_211
; %bb.192:
	v_mov_b32_e32 v0, 0
	s_add_i32 s35, s29, 1
	s_cmp_eq_u32 s23, 2
	s_mov_b32 s34, 0
	s_cbranch_scc1 .LBB351_207
; %bb.193:
	v_dual_mov_b32 v1, 0 :: v_dual_mov_b32 v0, 0
	v_mov_b32_e32 v2, v12
	s_and_b32 s34, s35, 28
	s_mov_b32 s36, 0
	s_mov_b64 s[18:19], s[16:17]
	s_mov_b64 s[20:21], s[0:1]
.LBB351_194:                            ; =>This Inner Loop Header: Depth=1
	s_clause 0x1
	s_load_b256 s[40:47], s[20:21], 0x4
	s_load_b128 s[56:59], s[20:21], 0x24
	s_load_b256 s[48:55], s[18:19], 0x0
	s_add_u32 s20, s20, 48
	s_addc_u32 s21, s21, 0
	s_add_i32 s36, s36, 4
	s_add_u32 s18, s18, 32
	s_addc_u32 s19, s19, 0
	s_cmp_eq_u32 s34, s36
	s_waitcnt lgkmcnt(0)
	v_mul_hi_u32 v3, s41, v2
	s_delay_alu instid0(VALU_DEP_1) | instskip(NEXT) | instid1(VALU_DEP_1)
	v_add_nc_u32_e32 v3, v2, v3
	v_lshrrev_b32_e32 v3, s42, v3
	s_delay_alu instid0(VALU_DEP_1) | instskip(SKIP_1) | instid1(VALU_DEP_2)
	v_mul_hi_u32 v4, s44, v3
	v_mul_lo_u32 v6, v3, s40
	v_add_nc_u32_e32 v4, v3, v4
	s_delay_alu instid0(VALU_DEP_2) | instskip(NEXT) | instid1(VALU_DEP_2)
	v_sub_nc_u32_e32 v2, v2, v6
	v_lshrrev_b32_e32 v4, s45, v4
	s_delay_alu instid0(VALU_DEP_2) | instskip(SKIP_1) | instid1(VALU_DEP_3)
	v_mul_lo_u32 v6, v2, s48
	v_mul_lo_u32 v8, v2, s49
	v_mul_hi_u32 v5, s47, v4
	s_delay_alu instid0(VALU_DEP_1) | instskip(NEXT) | instid1(VALU_DEP_1)
	v_add_nc_u32_e32 v5, v4, v5
	v_lshrrev_b32_e32 v5, s56, v5
	s_delay_alu instid0(VALU_DEP_1) | instskip(SKIP_1) | instid1(VALU_DEP_2)
	v_mul_hi_u32 v7, s58, v5
	v_mul_lo_u32 v9, v5, s46
	v_add_nc_u32_e32 v2, v5, v7
	v_mul_lo_u32 v7, v4, s43
	s_delay_alu instid0(VALU_DEP_3) | instskip(NEXT) | instid1(VALU_DEP_3)
	v_sub_nc_u32_e32 v4, v4, v9
	v_lshrrev_b32_e32 v2, s59, v2
	s_delay_alu instid0(VALU_DEP_2) | instskip(SKIP_2) | instid1(VALU_DEP_4)
	v_mul_lo_u32 v9, v4, s52
	v_mul_lo_u32 v4, v4, s53
	v_sub_nc_u32_e32 v3, v3, v7
	v_mul_lo_u32 v10, v2, s57
	s_delay_alu instid0(VALU_DEP_2) | instskip(SKIP_1) | instid1(VALU_DEP_3)
	v_mul_lo_u32 v7, v3, s50
	v_mul_lo_u32 v3, v3, s51
	v_sub_nc_u32_e32 v5, v5, v10
	s_delay_alu instid0(VALU_DEP_3) | instskip(NEXT) | instid1(VALU_DEP_2)
	v_add3_u32 v0, v6, v0, v7
	v_mul_lo_u32 v10, v5, s54
	v_mul_lo_u32 v5, v5, s55
	v_add3_u32 v1, v8, v1, v3
	s_delay_alu instid0(VALU_DEP_3) | instskip(NEXT) | instid1(VALU_DEP_2)
	v_add3_u32 v0, v9, v0, v10
	v_add3_u32 v1, v4, v1, v5
	s_cbranch_scc0 .LBB351_194
	s_branch .LBB351_208
.LBB351_195:
	s_mov_b32 s33, -1
                                        ; implicit-def: $vgpr0
                                        ; implicit-def: $vgpr1
	s_branch .LBB351_211
.LBB351_196:
	v_dual_mov_b32 v2, v12 :: v_dual_mov_b32 v1, 0
.LBB351_197:
	s_and_b32 s35, s35, 3
	s_delay_alu instid0(SALU_CYCLE_1)
	s_cmp_eq_u32 s35, 0
	s_cbranch_scc1 .LBB351_200
; %bb.198:
	s_lshl_b32 s18, s34, 3
	s_mul_i32 s20, s34, 12
	s_add_u32 s18, s18, s0
	s_addc_u32 s19, s1, 0
	s_add_u32 s18, s18, 0xc4
	s_addc_u32 s19, s19, 0
	;; [unrolled: 2-line block ×3, first 2 shown]
	.p2align	6
.LBB351_199:                            ; =>This Inner Loop Header: Depth=1
	s_clause 0x1
	s_load_b64 s[36:37], s[20:21], 0x4
	s_load_b32 s34, s[20:21], 0xc
	s_load_b64 s[38:39], s[18:19], 0x0
	s_add_u32 s20, s20, 12
	s_addc_u32 s21, s21, 0
	s_add_u32 s18, s18, 8
	s_addc_u32 s19, s19, 0
	s_add_i32 s35, s35, -1
	s_delay_alu instid0(SALU_CYCLE_1) | instskip(SKIP_2) | instid1(VALU_DEP_1)
	s_cmp_lg_u32 s35, 0
	s_waitcnt lgkmcnt(0)
	v_mul_hi_u32 v3, s37, v2
	v_add_nc_u32_e32 v3, v2, v3
	s_delay_alu instid0(VALU_DEP_1) | instskip(NEXT) | instid1(VALU_DEP_1)
	v_lshrrev_b32_e32 v6, s34, v3
	v_mul_lo_u32 v3, v6, s36
	s_delay_alu instid0(VALU_DEP_1) | instskip(NEXT) | instid1(VALU_DEP_1)
	v_sub_nc_u32_e32 v2, v2, v3
	v_mad_u64_u32 v[3:4], null, v2, s38, v[0:1]
	v_mad_u64_u32 v[4:5], null, v2, s39, v[1:2]
	v_mov_b32_e32 v2, v6
	s_delay_alu instid0(VALU_DEP_2)
	v_dual_mov_b32 v0, v3 :: v_dual_mov_b32 v1, v4
	s_cbranch_scc1 .LBB351_199
.LBB351_200:
	s_and_not1_b32 vcc_lo, exec_lo, s33
	s_cbranch_vccnz .LBB351_203
; %bb.201:
	s_waitcnt lgkmcnt(0)
	v_mul_hi_u32 v0, s13, v12
	s_and_not1_b32 vcc_lo, exec_lo, s27
	s_delay_alu instid0(VALU_DEP_1) | instskip(NEXT) | instid1(VALU_DEP_1)
	v_add_nc_u32_e32 v0, v12, v0
	v_lshrrev_b32_e32 v2, s14, v0
	s_delay_alu instid0(VALU_DEP_1) | instskip(NEXT) | instid1(VALU_DEP_1)
	v_mul_lo_u32 v0, v2, s12
	v_sub_nc_u32_e32 v1, v12, v0
	s_delay_alu instid0(VALU_DEP_1)
	v_mul_lo_u32 v0, v1, s8
	v_mul_lo_u32 v1, v1, s9
	s_cbranch_vccnz .LBB351_203
; %bb.202:
	v_mul_hi_u32 v3, s2, v2
	s_delay_alu instid0(VALU_DEP_1) | instskip(NEXT) | instid1(VALU_DEP_1)
	v_add_nc_u32_e32 v3, v2, v3
	v_lshrrev_b32_e32 v3, s3, v3
	s_delay_alu instid0(VALU_DEP_1) | instskip(NEXT) | instid1(VALU_DEP_1)
	v_mul_lo_u32 v3, v3, s15
	v_sub_nc_u32_e32 v5, v2, v3
	s_delay_alu instid0(VALU_DEP_1) | instskip(NEXT) | instid1(VALU_DEP_1)
	v_mad_u64_u32 v[2:3], null, v5, s10, v[0:1]
	v_mad_u64_u32 v[3:4], null, v5, s11, v[1:2]
	s_delay_alu instid0(VALU_DEP_1)
	v_dual_mov_b32 v0, v2 :: v_dual_mov_b32 v1, v3
.LBB351_203:
	s_waitcnt lgkmcnt(0)
	global_load_u8 v1, v1, s[6:7]
	v_and_b32_e64 v2, 0xff, s26
	v_add_nc_u32_e32 v12, 0x80, v12
	s_waitcnt vmcnt(0)
	s_delay_alu instid0(VALU_DEP_2) | instskip(SKIP_2) | instid1(SALU_CYCLE_1)
	v_max_u16 v1, v1, v2
	global_store_b8 v0, v1, s[4:5]
	s_or_b32 exec_lo, exec_lo, s31
	s_mov_b32 s31, exec_lo
	v_cmpx_gt_i32_e64 s28, v12
	s_cbranch_execnz .LBB351_190
.LBB351_204:
	s_or_b32 exec_lo, exec_lo, s31
	s_delay_alu instid0(SALU_CYCLE_1)
	s_mov_b32 s20, exec_lo
	v_cmpx_gt_i32_e64 s28, v12
	s_cbranch_execnz .LBB351_215
.LBB351_205:
	s_or_b32 exec_lo, exec_lo, s20
                                        ; implicit-def: $vgpr16
                                        ; implicit-def: $vgpr12
	s_waitcnt lgkmcnt(0)
	s_and_not1_saveexec_b32 s2, s25
	s_cbranch_execnz .LBB351_8
.LBB351_206:
	s_nop 0
	s_sendmsg sendmsg(MSG_DEALLOC_VGPRS)
	s_endpgm
.LBB351_207:
	v_dual_mov_b32 v2, v12 :: v_dual_mov_b32 v1, 0
.LBB351_208:
	s_and_b32 s35, s35, 3
	s_delay_alu instid0(SALU_CYCLE_1)
	s_cmp_eq_u32 s35, 0
	s_cbranch_scc1 .LBB351_211
; %bb.209:
	s_lshl_b32 s18, s34, 3
	s_mul_i32 s20, s34, 12
	s_add_u32 s18, s18, s0
	s_addc_u32 s19, s1, 0
	s_add_u32 s18, s18, 0xc4
	s_addc_u32 s19, s19, 0
	;; [unrolled: 2-line block ×3, first 2 shown]
	.p2align	6
.LBB351_210:                            ; =>This Inner Loop Header: Depth=1
	s_clause 0x1
	s_load_b64 s[36:37], s[20:21], 0x4
	s_load_b32 s34, s[20:21], 0xc
	s_load_b64 s[38:39], s[18:19], 0x0
	s_add_u32 s20, s20, 12
	s_addc_u32 s21, s21, 0
	s_add_u32 s18, s18, 8
	s_addc_u32 s19, s19, 0
	s_add_i32 s35, s35, -1
	s_delay_alu instid0(SALU_CYCLE_1) | instskip(SKIP_2) | instid1(VALU_DEP_1)
	s_cmp_lg_u32 s35, 0
	s_waitcnt lgkmcnt(0)
	v_mul_hi_u32 v3, s37, v2
	v_add_nc_u32_e32 v3, v2, v3
	s_delay_alu instid0(VALU_DEP_1) | instskip(NEXT) | instid1(VALU_DEP_1)
	v_lshrrev_b32_e32 v6, s34, v3
	v_mul_lo_u32 v3, v6, s36
	s_delay_alu instid0(VALU_DEP_1) | instskip(NEXT) | instid1(VALU_DEP_1)
	v_sub_nc_u32_e32 v2, v2, v3
	v_mad_u64_u32 v[3:4], null, v2, s38, v[0:1]
	v_mad_u64_u32 v[4:5], null, v2, s39, v[1:2]
	v_mov_b32_e32 v2, v6
	s_delay_alu instid0(VALU_DEP_2)
	v_dual_mov_b32 v0, v3 :: v_dual_mov_b32 v1, v4
	s_cbranch_scc1 .LBB351_210
.LBB351_211:
	s_and_not1_b32 vcc_lo, exec_lo, s33
	s_cbranch_vccnz .LBB351_214
; %bb.212:
	s_waitcnt lgkmcnt(0)
	v_mul_hi_u32 v0, s13, v12
	s_and_not1_b32 vcc_lo, exec_lo, s27
	s_delay_alu instid0(VALU_DEP_1) | instskip(NEXT) | instid1(VALU_DEP_1)
	v_add_nc_u32_e32 v0, v12, v0
	v_lshrrev_b32_e32 v2, s14, v0
	s_delay_alu instid0(VALU_DEP_1) | instskip(NEXT) | instid1(VALU_DEP_1)
	v_mul_lo_u32 v0, v2, s12
	v_sub_nc_u32_e32 v1, v12, v0
	s_delay_alu instid0(VALU_DEP_1)
	v_mul_lo_u32 v0, v1, s8
	v_mul_lo_u32 v1, v1, s9
	s_cbranch_vccnz .LBB351_214
; %bb.213:
	v_mul_hi_u32 v3, s2, v2
	s_delay_alu instid0(VALU_DEP_1) | instskip(NEXT) | instid1(VALU_DEP_1)
	v_add_nc_u32_e32 v3, v2, v3
	v_lshrrev_b32_e32 v3, s3, v3
	s_delay_alu instid0(VALU_DEP_1) | instskip(NEXT) | instid1(VALU_DEP_1)
	v_mul_lo_u32 v3, v3, s15
	v_sub_nc_u32_e32 v5, v2, v3
	s_delay_alu instid0(VALU_DEP_1) | instskip(NEXT) | instid1(VALU_DEP_1)
	v_mad_u64_u32 v[2:3], null, v5, s10, v[0:1]
	v_mad_u64_u32 v[3:4], null, v5, s11, v[1:2]
	s_delay_alu instid0(VALU_DEP_1)
	v_dual_mov_b32 v0, v2 :: v_dual_mov_b32 v1, v3
.LBB351_214:
	s_waitcnt lgkmcnt(0)
	global_load_u8 v1, v1, s[6:7]
	v_and_b32_e64 v2, 0xff, s26
	v_add_nc_u32_e32 v12, 0x80, v12
	s_waitcnt vmcnt(0)
	s_delay_alu instid0(VALU_DEP_2) | instskip(SKIP_2) | instid1(SALU_CYCLE_1)
	v_max_u16 v1, v1, v2
	global_store_b8 v0, v1, s[4:5]
	s_or_b32 exec_lo, exec_lo, s31
	s_mov_b32 s20, exec_lo
	v_cmpx_gt_i32_e64 s28, v12
	s_cbranch_execz .LBB351_205
.LBB351_215:
	s_and_not1_b32 vcc_lo, exec_lo, s24
	s_cbranch_vccnz .LBB351_220
; %bb.216:
	v_dual_mov_b32 v0, 0 :: v_dual_mov_b32 v1, 0
	s_and_not1_b32 vcc_lo, exec_lo, s30
	s_mov_b32 s21, 0
	s_cbranch_vccnz .LBB351_225
; %bb.217:
	v_mov_b32_e32 v0, 0
	s_add_i32 s29, s29, 1
	s_cmp_eq_u32 s23, 2
	s_mov_b32 s28, 0
	s_cbranch_scc1 .LBB351_221
; %bb.218:
	v_dual_mov_b32 v1, 0 :: v_dual_mov_b32 v0, 0
	v_mov_b32_e32 v2, v12
	s_and_b32 s28, s29, 28
	s_mov_b32 s30, 0
	s_mov_b64 s[18:19], s[0:1]
.LBB351_219:                            ; =>This Inner Loop Header: Depth=1
	s_clause 0x1
	s_load_b256 s[36:43], s[18:19], 0x4
	s_load_b128 s[52:55], s[18:19], 0x24
	s_load_b256 s[44:51], s[16:17], 0x0
	s_add_u32 s18, s18, 48
	s_addc_u32 s19, s19, 0
	s_add_i32 s30, s30, 4
	s_add_u32 s16, s16, 32
	s_addc_u32 s17, s17, 0
	s_cmp_eq_u32 s28, s30
	s_waitcnt lgkmcnt(0)
	v_mul_hi_u32 v3, s37, v2
	s_delay_alu instid0(VALU_DEP_1) | instskip(NEXT) | instid1(VALU_DEP_1)
	v_add_nc_u32_e32 v3, v2, v3
	v_lshrrev_b32_e32 v3, s38, v3
	s_delay_alu instid0(VALU_DEP_1) | instskip(SKIP_1) | instid1(VALU_DEP_2)
	v_mul_hi_u32 v4, s40, v3
	v_mul_lo_u32 v6, v3, s36
	v_add_nc_u32_e32 v4, v3, v4
	s_delay_alu instid0(VALU_DEP_2) | instskip(NEXT) | instid1(VALU_DEP_2)
	v_sub_nc_u32_e32 v2, v2, v6
	v_lshrrev_b32_e32 v4, s41, v4
	s_delay_alu instid0(VALU_DEP_2) | instskip(SKIP_1) | instid1(VALU_DEP_3)
	v_mul_lo_u32 v6, v2, s44
	v_mul_lo_u32 v8, v2, s45
	v_mul_hi_u32 v5, s43, v4
	s_delay_alu instid0(VALU_DEP_1) | instskip(NEXT) | instid1(VALU_DEP_1)
	v_add_nc_u32_e32 v5, v4, v5
	v_lshrrev_b32_e32 v5, s52, v5
	s_delay_alu instid0(VALU_DEP_1) | instskip(SKIP_1) | instid1(VALU_DEP_2)
	v_mul_hi_u32 v7, s54, v5
	v_mul_lo_u32 v9, v5, s42
	v_add_nc_u32_e32 v2, v5, v7
	v_mul_lo_u32 v7, v4, s39
	s_delay_alu instid0(VALU_DEP_3) | instskip(NEXT) | instid1(VALU_DEP_3)
	v_sub_nc_u32_e32 v4, v4, v9
	v_lshrrev_b32_e32 v2, s55, v2
	s_delay_alu instid0(VALU_DEP_2) | instskip(SKIP_2) | instid1(VALU_DEP_4)
	v_mul_lo_u32 v9, v4, s48
	v_mul_lo_u32 v4, v4, s49
	v_sub_nc_u32_e32 v3, v3, v7
	v_mul_lo_u32 v10, v2, s53
	s_delay_alu instid0(VALU_DEP_2) | instskip(SKIP_1) | instid1(VALU_DEP_3)
	v_mul_lo_u32 v7, v3, s46
	v_mul_lo_u32 v3, v3, s47
	v_sub_nc_u32_e32 v5, v5, v10
	s_delay_alu instid0(VALU_DEP_3) | instskip(NEXT) | instid1(VALU_DEP_2)
	v_add3_u32 v0, v6, v0, v7
	v_mul_lo_u32 v10, v5, s50
	v_mul_lo_u32 v5, v5, s51
	v_add3_u32 v1, v8, v1, v3
	s_delay_alu instid0(VALU_DEP_3) | instskip(NEXT) | instid1(VALU_DEP_2)
	v_add3_u32 v0, v9, v0, v10
	v_add3_u32 v1, v4, v1, v5
	s_cbranch_scc0 .LBB351_219
	s_branch .LBB351_222
.LBB351_220:
	s_mov_b32 s21, -1
                                        ; implicit-def: $vgpr0
                                        ; implicit-def: $vgpr1
	s_branch .LBB351_225
.LBB351_221:
	v_dual_mov_b32 v2, v12 :: v_dual_mov_b32 v1, 0
.LBB351_222:
	s_and_b32 s29, s29, 3
	s_delay_alu instid0(SALU_CYCLE_1)
	s_cmp_eq_u32 s29, 0
	s_cbranch_scc1 .LBB351_225
; %bb.223:
	s_lshl_b32 s16, s28, 3
	s_mul_i32 s18, s28, 12
	s_add_u32 s16, s16, s0
	s_addc_u32 s17, s1, 0
	s_add_u32 s16, s16, 0xc4
	s_addc_u32 s17, s17, 0
	;; [unrolled: 2-line block ×3, first 2 shown]
	.p2align	6
.LBB351_224:                            ; =>This Inner Loop Header: Depth=1
	s_clause 0x1
	s_load_b64 s[30:31], s[18:19], 0x4
	s_load_b32 s28, s[18:19], 0xc
	s_load_b64 s[34:35], s[16:17], 0x0
	s_add_u32 s18, s18, 12
	s_addc_u32 s19, s19, 0
	s_add_u32 s16, s16, 8
	s_addc_u32 s17, s17, 0
	s_add_i32 s29, s29, -1
	s_delay_alu instid0(SALU_CYCLE_1) | instskip(SKIP_2) | instid1(VALU_DEP_1)
	s_cmp_lg_u32 s29, 0
	s_waitcnt lgkmcnt(0)
	v_mul_hi_u32 v3, s31, v2
	v_add_nc_u32_e32 v3, v2, v3
	s_delay_alu instid0(VALU_DEP_1) | instskip(NEXT) | instid1(VALU_DEP_1)
	v_lshrrev_b32_e32 v6, s28, v3
	v_mul_lo_u32 v3, v6, s30
	s_delay_alu instid0(VALU_DEP_1) | instskip(NEXT) | instid1(VALU_DEP_1)
	v_sub_nc_u32_e32 v2, v2, v3
	v_mad_u64_u32 v[3:4], null, v2, s34, v[0:1]
	v_mad_u64_u32 v[4:5], null, v2, s35, v[1:2]
	v_mov_b32_e32 v2, v6
	s_delay_alu instid0(VALU_DEP_2)
	v_dual_mov_b32 v0, v3 :: v_dual_mov_b32 v1, v4
	s_cbranch_scc1 .LBB351_224
.LBB351_225:
	s_and_not1_b32 vcc_lo, exec_lo, s21
	s_cbranch_vccnz .LBB351_228
; %bb.226:
	s_waitcnt lgkmcnt(0)
	v_mul_hi_u32 v0, s13, v12
	s_and_not1_b32 vcc_lo, exec_lo, s27
	s_delay_alu instid0(VALU_DEP_1) | instskip(NEXT) | instid1(VALU_DEP_1)
	v_add_nc_u32_e32 v0, v12, v0
	v_lshrrev_b32_e32 v2, s14, v0
	s_delay_alu instid0(VALU_DEP_1) | instskip(NEXT) | instid1(VALU_DEP_1)
	v_mul_lo_u32 v0, v2, s12
	v_sub_nc_u32_e32 v1, v12, v0
	s_delay_alu instid0(VALU_DEP_1)
	v_mul_lo_u32 v0, v1, s8
	v_mul_lo_u32 v1, v1, s9
	s_cbranch_vccnz .LBB351_228
; %bb.227:
	v_mul_hi_u32 v3, s2, v2
	s_delay_alu instid0(VALU_DEP_1) | instskip(NEXT) | instid1(VALU_DEP_1)
	v_add_nc_u32_e32 v3, v2, v3
	v_lshrrev_b32_e32 v3, s3, v3
	s_delay_alu instid0(VALU_DEP_1) | instskip(NEXT) | instid1(VALU_DEP_1)
	v_mul_lo_u32 v3, v3, s15
	v_sub_nc_u32_e32 v5, v2, v3
	s_delay_alu instid0(VALU_DEP_1) | instskip(NEXT) | instid1(VALU_DEP_1)
	v_mad_u64_u32 v[2:3], null, v5, s10, v[0:1]
	v_mad_u64_u32 v[3:4], null, v5, s11, v[1:2]
	s_delay_alu instid0(VALU_DEP_1)
	v_dual_mov_b32 v0, v2 :: v_dual_mov_b32 v1, v3
.LBB351_228:
	s_waitcnt lgkmcnt(0)
	global_load_u8 v1, v1, s[6:7]
	v_and_b32_e64 v2, 0xff, s26
	s_waitcnt vmcnt(0)
	s_delay_alu instid0(VALU_DEP_1)
	v_max_u16 v1, v1, v2
	global_store_b8 v0, v1, s[4:5]
	s_or_b32 exec_lo, exec_lo, s20
                                        ; implicit-def: $vgpr16
                                        ; implicit-def: $vgpr12
	s_and_not1_saveexec_b32 s2, s25
	s_cbranch_execz .LBB351_206
	s_branch .LBB351_8
	.section	.rodata,"a",@progbits
	.p2align	6, 0x0
	.amdhsa_kernel _ZN2at6native32elementwise_kernel_manual_unrollILi128ELi8EZNS0_22gpu_kernel_impl_nocastIZZZNS0_21clamp_min_kernel_cudaERNS_18TensorIteratorBaseERKN3c106ScalarEENKUlvE_clEvENKUlvE_clEvEUlhE_EEvS4_RKT_EUlibE_EEviT1_
		.amdhsa_group_segment_fixed_size 0
		.amdhsa_private_segment_fixed_size 0
		.amdhsa_kernarg_size 360
		.amdhsa_user_sgpr_count 15
		.amdhsa_user_sgpr_dispatch_ptr 0
		.amdhsa_user_sgpr_queue_ptr 0
		.amdhsa_user_sgpr_kernarg_segment_ptr 1
		.amdhsa_user_sgpr_dispatch_id 0
		.amdhsa_user_sgpr_private_segment_size 0
		.amdhsa_wavefront_size32 1
		.amdhsa_uses_dynamic_stack 0
		.amdhsa_enable_private_segment 0
		.amdhsa_system_sgpr_workgroup_id_x 1
		.amdhsa_system_sgpr_workgroup_id_y 0
		.amdhsa_system_sgpr_workgroup_id_z 0
		.amdhsa_system_sgpr_workgroup_info 0
		.amdhsa_system_vgpr_workitem_id 0
		.amdhsa_next_free_vgpr 26
		.amdhsa_next_free_sgpr 60
		.amdhsa_reserve_vcc 1
		.amdhsa_float_round_mode_32 0
		.amdhsa_float_round_mode_16_64 0
		.amdhsa_float_denorm_mode_32 3
		.amdhsa_float_denorm_mode_16_64 3
		.amdhsa_dx10_clamp 1
		.amdhsa_ieee_mode 1
		.amdhsa_fp16_overflow 0
		.amdhsa_workgroup_processor_mode 1
		.amdhsa_memory_ordered 1
		.amdhsa_forward_progress 0
		.amdhsa_shared_vgpr_count 0
		.amdhsa_exception_fp_ieee_invalid_op 0
		.amdhsa_exception_fp_denorm_src 0
		.amdhsa_exception_fp_ieee_div_zero 0
		.amdhsa_exception_fp_ieee_overflow 0
		.amdhsa_exception_fp_ieee_underflow 0
		.amdhsa_exception_fp_ieee_inexact 0
		.amdhsa_exception_int_div_zero 0
	.end_amdhsa_kernel
	.section	.text._ZN2at6native32elementwise_kernel_manual_unrollILi128ELi8EZNS0_22gpu_kernel_impl_nocastIZZZNS0_21clamp_min_kernel_cudaERNS_18TensorIteratorBaseERKN3c106ScalarEENKUlvE_clEvENKUlvE_clEvEUlhE_EEvS4_RKT_EUlibE_EEviT1_,"axG",@progbits,_ZN2at6native32elementwise_kernel_manual_unrollILi128ELi8EZNS0_22gpu_kernel_impl_nocastIZZZNS0_21clamp_min_kernel_cudaERNS_18TensorIteratorBaseERKN3c106ScalarEENKUlvE_clEvENKUlvE_clEvEUlhE_EEvS4_RKT_EUlibE_EEviT1_,comdat
.Lfunc_end351:
	.size	_ZN2at6native32elementwise_kernel_manual_unrollILi128ELi8EZNS0_22gpu_kernel_impl_nocastIZZZNS0_21clamp_min_kernel_cudaERNS_18TensorIteratorBaseERKN3c106ScalarEENKUlvE_clEvENKUlvE_clEvEUlhE_EEvS4_RKT_EUlibE_EEviT1_, .Lfunc_end351-_ZN2at6native32elementwise_kernel_manual_unrollILi128ELi8EZNS0_22gpu_kernel_impl_nocastIZZZNS0_21clamp_min_kernel_cudaERNS_18TensorIteratorBaseERKN3c106ScalarEENKUlvE_clEvENKUlvE_clEvEUlhE_EEvS4_RKT_EUlibE_EEviT1_
                                        ; -- End function
	.section	.AMDGPU.csdata,"",@progbits
; Kernel info:
; codeLenInByte = 13644
; NumSgprs: 62
; NumVgprs: 26
; ScratchSize: 0
; MemoryBound: 0
; FloatMode: 240
; IeeeMode: 1
; LDSByteSize: 0 bytes/workgroup (compile time only)
; SGPRBlocks: 7
; VGPRBlocks: 3
; NumSGPRsForWavesPerEU: 62
; NumVGPRsForWavesPerEU: 26
; Occupancy: 16
; WaveLimiterHint : 1
; COMPUTE_PGM_RSRC2:SCRATCH_EN: 0
; COMPUTE_PGM_RSRC2:USER_SGPR: 15
; COMPUTE_PGM_RSRC2:TRAP_HANDLER: 0
; COMPUTE_PGM_RSRC2:TGID_X_EN: 1
; COMPUTE_PGM_RSRC2:TGID_Y_EN: 0
; COMPUTE_PGM_RSRC2:TGID_Z_EN: 0
; COMPUTE_PGM_RSRC2:TIDIG_COMP_CNT: 0
	.section	.text._ZN2at6native32elementwise_kernel_manual_unrollILi128ELi4EZNS0_15gpu_kernel_implIZZZNS0_21clamp_min_kernel_cudaERNS_18TensorIteratorBaseERKN3c106ScalarEENKUlvE_clEvENKUlvE_clEvEUlhE_EEvS4_RKT_EUlibE_EEviT1_,"axG",@progbits,_ZN2at6native32elementwise_kernel_manual_unrollILi128ELi4EZNS0_15gpu_kernel_implIZZZNS0_21clamp_min_kernel_cudaERNS_18TensorIteratorBaseERKN3c106ScalarEENKUlvE_clEvENKUlvE_clEvEUlhE_EEvS4_RKT_EUlibE_EEviT1_,comdat
	.globl	_ZN2at6native32elementwise_kernel_manual_unrollILi128ELi4EZNS0_15gpu_kernel_implIZZZNS0_21clamp_min_kernel_cudaERNS_18TensorIteratorBaseERKN3c106ScalarEENKUlvE_clEvENKUlvE_clEvEUlhE_EEvS4_RKT_EUlibE_EEviT1_ ; -- Begin function _ZN2at6native32elementwise_kernel_manual_unrollILi128ELi4EZNS0_15gpu_kernel_implIZZZNS0_21clamp_min_kernel_cudaERNS_18TensorIteratorBaseERKN3c106ScalarEENKUlvE_clEvENKUlvE_clEvEUlhE_EEvS4_RKT_EUlibE_EEviT1_
	.p2align	8
	.type	_ZN2at6native32elementwise_kernel_manual_unrollILi128ELi4EZNS0_15gpu_kernel_implIZZZNS0_21clamp_min_kernel_cudaERNS_18TensorIteratorBaseERKN3c106ScalarEENKUlvE_clEvENKUlvE_clEvEUlhE_EEvS4_RKT_EUlibE_EEviT1_,@function
_ZN2at6native32elementwise_kernel_manual_unrollILi128ELi4EZNS0_15gpu_kernel_implIZZZNS0_21clamp_min_kernel_cudaERNS_18TensorIteratorBaseERKN3c106ScalarEENKUlvE_clEvENKUlvE_clEvEUlhE_EEvS4_RKT_EUlibE_EEviT1_: ; @_ZN2at6native32elementwise_kernel_manual_unrollILi128ELi4EZNS0_15gpu_kernel_implIZZZNS0_21clamp_min_kernel_cudaERNS_18TensorIteratorBaseERKN3c106ScalarEENKUlvE_clEvENKUlvE_clEvEUlhE_EEvS4_RKT_EUlibE_EEviT1_
; %bb.0:
	s_clause 0x3
	s_load_b32 s8, s[0:1], 0x20
	s_load_b32 s13, s[0:1], 0x0
	s_load_b64 s[2:3], s[0:1], 0x18
	s_load_b128 s[4:7], s[0:1], 0x8
	v_lshl_or_b32 v7, s15, 9, v0
	s_mov_b32 s9, 0
	s_mov_b32 s12, 0
	s_mov_b32 s0, exec_lo
	s_delay_alu instid0(VALU_DEP_1) | instskip(SKIP_3) | instid1(VALU_DEP_1)
	v_or_b32_e32 v0, 0x180, v7
	s_waitcnt lgkmcnt(0)
	s_lshr_b32 s1, s8, 8
	s_lshr_b32 s10, s8, 16
	v_cmpx_le_i32_e64 s13, v0
	s_xor_b32 s11, exec_lo, s0
	s_cbranch_execz .LBB352_1017
; %bb.1:
	s_mov_b32 s18, -1
	s_mov_b32 s16, 0
	s_mov_b32 s14, 0
	s_mov_b32 s15, exec_lo
	v_cmpx_gt_i32_e64 s13, v7
	s_cbranch_execz .LBB352_248
; %bb.2:
	v_mul_lo_u32 v0, v7, s3
	v_and_b32_e64 v4, 0xff, s10
	s_delay_alu instid0(VALU_DEP_1) | instskip(NEXT) | instid1(VALU_DEP_3)
	v_cmp_gt_i16_e32 vcc_lo, 11, v4
	v_ashrrev_i32_e32 v1, 31, v0
	v_add_co_u32 v0, s0, s6, v0
	s_delay_alu instid0(VALU_DEP_1)
	v_add_co_ci_u32_e64 v1, s0, s7, v1, s0
	s_cbranch_vccnz .LBB352_9
; %bb.3:
	v_cmp_lt_i16_e32 vcc_lo, 25, v4
	s_cbranch_vccz .LBB352_18
; %bb.4:
	v_cmp_lt_i16_e32 vcc_lo, 28, v4
	s_cbranch_vccz .LBB352_21
	;; [unrolled: 3-line block ×4, first 2 shown]
; %bb.7:
	v_cmp_eq_u16_e32 vcc_lo, 46, v4
	s_cbranch_vccz .LBB352_27
; %bb.8:
	global_load_b32 v2, v[0:1], off
	s_mov_b32 s0, -1
	s_waitcnt vmcnt(0)
	v_lshlrev_b32_e32 v2, 16, v2
	s_delay_alu instid0(VALU_DEP_1) | instskip(NEXT) | instid1(VALU_DEP_1)
	v_trunc_f32_e32 v2, v2
	v_mul_f32_e64 v3, 0x2f800000, |v2|
	s_delay_alu instid0(VALU_DEP_1) | instskip(NEXT) | instid1(VALU_DEP_1)
	v_floor_f32_e32 v3, v3
	v_fma_f32 v3, 0xcf800000, v3, |v2|
	v_ashrrev_i32_e32 v2, 31, v2
	s_delay_alu instid0(VALU_DEP_2) | instskip(NEXT) | instid1(VALU_DEP_1)
	v_cvt_u32_f32_e32 v3, v3
	v_xor_b32_e32 v3, v3, v2
	s_delay_alu instid0(VALU_DEP_1)
	v_sub_nc_u32_e32 v2, v3, v2
	s_branch .LBB352_29
.LBB352_9:
	s_mov_b32 s0, 0
                                        ; implicit-def: $vgpr2
	s_cbranch_execnz .LBB352_198
.LBB352_10:
	s_and_not1_b32 vcc_lo, exec_lo, s0
	s_cbranch_vccnz .LBB352_245
.LBB352_11:
	v_mul_lo_u32 v0, v7, s2
	v_and_b32_e64 v1, 0xff, s8
	s_waitcnt vmcnt(0)
	s_delay_alu instid0(VALU_DEP_3) | instskip(SKIP_1) | instid1(VALU_DEP_2)
	v_and_b32_e32 v2, 0xff, v2
	v_and_b32_e64 v3, 0xff, s1
	v_max_u16 v2, v2, v1
	v_ashrrev_i32_e32 v1, 31, v0
	s_delay_alu instid0(VALU_DEP_3) | instskip(SKIP_1) | instid1(VALU_DEP_1)
	v_cmp_gt_i16_e32 vcc_lo, 11, v3
	v_add_co_u32 v0, s0, s4, v0
	v_add_co_ci_u32_e64 v1, s0, s5, v1, s0
	s_cbranch_vccnz .LBB352_19
; %bb.12:
	v_cmp_lt_i16_e32 vcc_lo, 25, v3
	s_cbranch_vccz .LBB352_22
; %bb.13:
	v_cmp_lt_i16_e32 vcc_lo, 28, v3
	s_cbranch_vccz .LBB352_24
	;; [unrolled: 3-line block ×4, first 2 shown]
; %bb.16:
	v_cmp_eq_u16_e32 vcc_lo, 46, v3
	s_mov_b32 s17, 0
	s_mov_b32 s0, -1
	s_mov_b32 s12, 0
	s_cbranch_vccz .LBB352_33
; %bb.17:
	v_cvt_f32_ubyte0_e32 v4, v2
	s_mov_b32 s12, -1
	s_mov_b32 s0, 0
	s_delay_alu instid0(VALU_DEP_1) | instskip(NEXT) | instid1(VALU_DEP_1)
	v_bfe_u32 v5, v4, 16, 1
	v_add3_u32 v4, v4, v5, 0x7fff
	s_delay_alu instid0(VALU_DEP_1)
	v_lshrrev_b32_e32 v4, 16, v4
	global_store_b32 v[0:1], v4, off
	s_branch .LBB352_33
.LBB352_18:
	s_mov_b32 s0, 0
                                        ; implicit-def: $vgpr2
	s_cbranch_execnz .LBB352_165
	s_branch .LBB352_197
.LBB352_19:
	s_mov_b32 s0, 0
	s_mov_b32 s12, 0
	s_cbranch_execnz .LBB352_102
.LBB352_20:
	s_and_not1_b32 vcc_lo, exec_lo, s12
	s_cbranch_vccnz .LBB352_246
	s_branch .LBB352_140
.LBB352_21:
	s_mov_b32 s12, -1
	s_mov_b32 s0, 0
                                        ; implicit-def: $vgpr2
	s_branch .LBB352_148
.LBB352_22:
	s_mov_b32 s17, -1
	s_mov_b32 s0, 0
	s_mov_b32 s12, 0
	s_branch .LBB352_60
.LBB352_23:
	s_mov_b32 s12, -1
	s_mov_b32 s0, 0
                                        ; implicit-def: $vgpr2
	s_branch .LBB352_143
.LBB352_24:
	s_mov_b32 s17, -1
	s_mov_b32 s0, 0
	s_mov_b32 s12, 0
	s_branch .LBB352_43
.LBB352_25:
	s_mov_b32 s12, -1
	s_branch .LBB352_28
.LBB352_26:
	s_mov_b32 s17, -1
	s_mov_b32 s0, 0
	s_mov_b32 s12, 0
	s_branch .LBB352_39
.LBB352_27:
	s_mov_b32 s14, -1
.LBB352_28:
	s_mov_b32 s0, 0
                                        ; implicit-def: $vgpr2
.LBB352_29:
	s_and_b32 vcc_lo, exec_lo, s12
	s_cbranch_vccz .LBB352_142
; %bb.30:
	v_cmp_eq_u16_e32 vcc_lo, 44, v4
	s_cbranch_vccz .LBB352_141
; %bb.31:
	global_load_u8 v2, v[0:1], off
	s_mov_b32 s14, 0
	s_mov_b32 s0, -1
	s_waitcnt vmcnt(0)
	v_lshlrev_b32_e32 v3, 23, v2
	v_cmp_ne_u32_e32 vcc_lo, 0, v2
	s_delay_alu instid0(VALU_DEP_2) | instskip(NEXT) | instid1(VALU_DEP_1)
	v_trunc_f32_e32 v3, v3
	v_mul_f32_e64 v5, 0x2f800000, |v3|
	s_delay_alu instid0(VALU_DEP_1) | instskip(NEXT) | instid1(VALU_DEP_1)
	v_floor_f32_e32 v5, v5
	v_fma_f32 v5, 0xcf800000, v5, |v3|
	v_ashrrev_i32_e32 v3, 31, v3
	s_delay_alu instid0(VALU_DEP_2) | instskip(NEXT) | instid1(VALU_DEP_1)
	v_cvt_u32_f32_e32 v5, v5
	v_xor_b32_e32 v5, v5, v3
	s_delay_alu instid0(VALU_DEP_1) | instskip(NEXT) | instid1(VALU_DEP_1)
	v_sub_nc_u32_e32 v3, v5, v3
	v_cndmask_b32_e32 v2, 0, v3, vcc_lo
	s_branch .LBB352_142
.LBB352_32:
	s_mov_b32 s17, -1
	s_mov_b32 s0, 0
	s_mov_b32 s12, 0
.LBB352_33:
	s_and_b32 vcc_lo, exec_lo, s17
	s_cbranch_vccz .LBB352_38
; %bb.34:
	v_cmp_eq_u16_e32 vcc_lo, 44, v3
	s_mov_b32 s0, -1
	s_cbranch_vccz .LBB352_38
; %bb.35:
	v_cvt_f32_ubyte0_e32 v6, v2
	v_mov_b32_e32 v5, 0xff
	s_mov_b32 s12, exec_lo
	s_delay_alu instid0(VALU_DEP_2) | instskip(NEXT) | instid1(VALU_DEP_1)
	v_lshrrev_b32_e32 v4, 23, v6
	v_cmpx_ne_u32_e32 0xff, v4
; %bb.36:
	v_and_b32_e32 v5, 0x400000, v6
	v_and_or_b32 v6, 0x3fffff, v6, v4
	s_delay_alu instid0(VALU_DEP_2) | instskip(NEXT) | instid1(VALU_DEP_2)
	v_cmp_ne_u32_e32 vcc_lo, 0, v5
	v_cmp_ne_u32_e64 s0, 0, v6
	s_delay_alu instid0(VALU_DEP_1) | instskip(NEXT) | instid1(SALU_CYCLE_1)
	s_and_b32 s0, vcc_lo, s0
	v_cndmask_b32_e64 v5, 0, 1, s0
	s_delay_alu instid0(VALU_DEP_1)
	v_add_nc_u32_e32 v5, v4, v5
; %bb.37:
	s_or_b32 exec_lo, exec_lo, s12
	s_mov_b32 s12, -1
	s_mov_b32 s0, 0
	global_store_b8 v[0:1], v5, off
.LBB352_38:
	s_mov_b32 s17, 0
.LBB352_39:
	s_delay_alu instid0(SALU_CYCLE_1)
	s_and_b32 vcc_lo, exec_lo, s17
	s_cbranch_vccz .LBB352_42
; %bb.40:
	v_cmp_eq_u16_e32 vcc_lo, 29, v3
	s_mov_b32 s0, -1
	s_cbranch_vccz .LBB352_42
; %bb.41:
	s_mov_b32 s0, 0
	s_delay_alu instid0(SALU_CYCLE_1)
	v_dual_mov_b32 v5, s0 :: v_dual_and_b32 v4, 0xffff, v2
	s_mov_b32 s12, -1
	s_mov_b32 s17, 0
	global_store_b64 v[0:1], v[4:5], off
	s_branch .LBB352_43
.LBB352_42:
	s_mov_b32 s17, 0
.LBB352_43:
	s_delay_alu instid0(SALU_CYCLE_1)
	s_and_b32 vcc_lo, exec_lo, s17
	s_cbranch_vccz .LBB352_59
; %bb.44:
	v_cmp_gt_i16_e32 vcc_lo, 27, v3
	s_mov_b32 s12, -1
	s_cbranch_vccnz .LBB352_50
; %bb.45:
	v_cmp_lt_i16_e32 vcc_lo, 27, v3
	s_cbranch_vccz .LBB352_47
; %bb.46:
	v_and_b32_e32 v4, 0xffff, v2
	s_mov_b32 s12, 0
	global_store_b32 v[0:1], v4, off
.LBB352_47:
	s_and_not1_b32 vcc_lo, exec_lo, s12
	s_cbranch_vccnz .LBB352_49
; %bb.48:
	global_store_b16 v[0:1], v2, off
.LBB352_49:
	s_mov_b32 s12, 0
.LBB352_50:
	s_delay_alu instid0(SALU_CYCLE_1)
	s_and_not1_b32 vcc_lo, exec_lo, s12
	s_cbranch_vccnz .LBB352_58
; %bb.51:
	v_cvt_f32_ubyte0_e32 v5, v2
	v_mov_b32_e32 v6, 0x80
	s_mov_b32 s12, exec_lo
	s_delay_alu instid0(VALU_DEP_2)
	v_cmpx_gt_u32_e32 0x43800000, v5
	s_cbranch_execz .LBB352_57
; %bb.52:
	s_mov_b32 s17, 0
	s_mov_b32 s18, exec_lo
                                        ; implicit-def: $vgpr4
	v_cmpx_lt_u32_e32 0x3bffffff, v5
	s_xor_b32 s18, exec_lo, s18
	s_cbranch_execz .LBB352_272
; %bb.53:
	v_bfe_u32 v4, v5, 20, 1
	s_mov_b32 s17, exec_lo
	s_delay_alu instid0(VALU_DEP_1) | instskip(NEXT) | instid1(VALU_DEP_1)
	v_add3_u32 v4, v5, v4, 0x487ffff
                                        ; implicit-def: $vgpr5
	v_lshrrev_b32_e32 v4, 20, v4
	s_or_saveexec_b32 s18, s18
                                        ; implicit-def: $sgpr19
	s_delay_alu instid0(SALU_CYCLE_1)
	s_xor_b32 exec_lo, exec_lo, s18
	s_cbranch_execnz .LBB352_273
.LBB352_54:
	s_or_b32 exec_lo, exec_lo, s18
	v_mov_b32_e32 v6, s19
	s_and_saveexec_b32 s18, s17
.LBB352_55:
	v_mov_b32_e32 v6, v4
.LBB352_56:
	s_or_b32 exec_lo, exec_lo, s18
.LBB352_57:
	s_delay_alu instid0(SALU_CYCLE_1)
	s_or_b32 exec_lo, exec_lo, s12
	global_store_b8 v[0:1], v6, off
.LBB352_58:
	s_mov_b32 s12, -1
.LBB352_59:
	s_mov_b32 s17, 0
.LBB352_60:
	s_delay_alu instid0(SALU_CYCLE_1)
	s_and_b32 vcc_lo, exec_lo, s17
	s_cbranch_vccz .LBB352_101
; %bb.61:
	v_cmp_lt_i16_e32 vcc_lo, 22, v3
	s_mov_b32 s17, -1
	s_cbranch_vccz .LBB352_93
; %bb.62:
	v_cmp_gt_i16_e32 vcc_lo, 24, v3
	s_mov_b32 s12, -1
	s_cbranch_vccnz .LBB352_82
; %bb.63:
	v_cmp_lt_i16_e32 vcc_lo, 24, v3
	s_cbranch_vccz .LBB352_71
; %bb.64:
	v_cvt_f32_ubyte0_e32 v5, v2
	v_mov_b32_e32 v6, 0x80
	s_mov_b32 s12, exec_lo
	s_delay_alu instid0(VALU_DEP_2)
	v_cmpx_gt_u32_e32 0x47800000, v5
	s_cbranch_execz .LBB352_70
; %bb.65:
	s_mov_b32 s17, 0
	s_mov_b32 s18, exec_lo
                                        ; implicit-def: $vgpr4
	v_cmpx_lt_u32_e32 0x37ffffff, v5
	s_xor_b32 s18, exec_lo, s18
	s_cbranch_execz .LBB352_276
; %bb.66:
	v_bfe_u32 v4, v5, 21, 1
	s_mov_b32 s17, exec_lo
	s_delay_alu instid0(VALU_DEP_1) | instskip(NEXT) | instid1(VALU_DEP_1)
	v_add3_u32 v4, v5, v4, 0x88fffff
                                        ; implicit-def: $vgpr5
	v_lshrrev_b32_e32 v4, 21, v4
	s_or_saveexec_b32 s18, s18
                                        ; implicit-def: $sgpr19
	s_delay_alu instid0(SALU_CYCLE_1)
	s_xor_b32 exec_lo, exec_lo, s18
	s_cbranch_execnz .LBB352_277
.LBB352_67:
	s_or_b32 exec_lo, exec_lo, s18
	v_mov_b32_e32 v6, s19
	s_and_saveexec_b32 s18, s17
.LBB352_68:
	v_mov_b32_e32 v6, v4
.LBB352_69:
	s_or_b32 exec_lo, exec_lo, s18
.LBB352_70:
	s_delay_alu instid0(SALU_CYCLE_1)
	s_or_b32 exec_lo, exec_lo, s12
	s_mov_b32 s12, 0
	global_store_b8 v[0:1], v6, off
.LBB352_71:
	s_and_b32 vcc_lo, exec_lo, s12
	s_cbranch_vccz .LBB352_81
; %bb.72:
	v_cvt_f32_ubyte0_e32 v5, v2
	s_mov_b32 s12, exec_lo
                                        ; implicit-def: $vgpr4
	s_delay_alu instid0(VALU_DEP_1)
	v_cmpx_gt_u32_e32 0x43f00000, v5
	s_xor_b32 s12, exec_lo, s12
	s_cbranch_execz .LBB352_78
; %bb.73:
	s_mov_b32 s17, exec_lo
                                        ; implicit-def: $vgpr4
	v_cmpx_lt_u32_e32 0x3c7fffff, v5
	s_xor_b32 s17, exec_lo, s17
; %bb.74:
	v_bfe_u32 v4, v5, 20, 1
	s_delay_alu instid0(VALU_DEP_1) | instskip(NEXT) | instid1(VALU_DEP_1)
	v_add3_u32 v4, v5, v4, 0x407ffff
	v_and_b32_e32 v5, 0xff00000, v4
	v_lshrrev_b32_e32 v4, 20, v4
	s_delay_alu instid0(VALU_DEP_2) | instskip(NEXT) | instid1(VALU_DEP_2)
	v_cmp_ne_u32_e32 vcc_lo, 0x7f00000, v5
                                        ; implicit-def: $vgpr5
	v_cndmask_b32_e32 v4, 0x7e, v4, vcc_lo
; %bb.75:
	s_and_not1_saveexec_b32 s17, s17
; %bb.76:
	v_add_f32_e32 v4, 0x46800000, v5
; %bb.77:
	s_or_b32 exec_lo, exec_lo, s17
                                        ; implicit-def: $vgpr5
.LBB352_78:
	s_and_not1_saveexec_b32 s12, s12
; %bb.79:
	v_mov_b32_e32 v4, 0x7f
	v_cmp_lt_u32_e32 vcc_lo, 0x7f800000, v5
	s_delay_alu instid0(VALU_DEP_2)
	v_cndmask_b32_e32 v4, 0x7e, v4, vcc_lo
; %bb.80:
	s_or_b32 exec_lo, exec_lo, s12
	global_store_b8 v[0:1], v4, off
.LBB352_81:
	s_mov_b32 s12, 0
.LBB352_82:
	s_delay_alu instid0(SALU_CYCLE_1)
	s_and_not1_b32 vcc_lo, exec_lo, s12
	s_cbranch_vccnz .LBB352_92
; %bb.83:
	v_cvt_f32_ubyte0_e32 v5, v2
	s_mov_b32 s12, exec_lo
                                        ; implicit-def: $vgpr4
	s_delay_alu instid0(VALU_DEP_1)
	v_cmpx_gt_u32_e32 0x47800000, v5
	s_xor_b32 s12, exec_lo, s12
	s_cbranch_execz .LBB352_89
; %bb.84:
	s_mov_b32 s17, exec_lo
                                        ; implicit-def: $vgpr4
	v_cmpx_lt_u32_e32 0x387fffff, v5
	s_xor_b32 s17, exec_lo, s17
; %bb.85:
	v_bfe_u32 v4, v5, 21, 1
	s_delay_alu instid0(VALU_DEP_1) | instskip(NEXT) | instid1(VALU_DEP_1)
	v_add3_u32 v4, v5, v4, 0x80fffff
                                        ; implicit-def: $vgpr5
	v_lshrrev_b32_e32 v4, 21, v4
; %bb.86:
	s_and_not1_saveexec_b32 s17, s17
; %bb.87:
	v_add_f32_e32 v4, 0x43000000, v5
; %bb.88:
	s_or_b32 exec_lo, exec_lo, s17
                                        ; implicit-def: $vgpr5
.LBB352_89:
	s_and_not1_saveexec_b32 s12, s12
; %bb.90:
	v_mov_b32_e32 v4, 0x7f
	v_cmp_lt_u32_e32 vcc_lo, 0x7f800000, v5
	s_delay_alu instid0(VALU_DEP_2)
	v_cndmask_b32_e32 v4, 0x7c, v4, vcc_lo
; %bb.91:
	s_or_b32 exec_lo, exec_lo, s12
	global_store_b8 v[0:1], v4, off
.LBB352_92:
	s_mov_b32 s17, 0
	s_mov_b32 s12, -1
.LBB352_93:
	s_and_not1_b32 vcc_lo, exec_lo, s17
	s_cbranch_vccnz .LBB352_101
; %bb.94:
	v_cmp_lt_i16_e32 vcc_lo, 14, v3
	s_mov_b32 s17, -1
	s_cbranch_vccz .LBB352_98
; %bb.95:
	v_cmp_eq_u16_e32 vcc_lo, 15, v3
	s_mov_b32 s0, -1
	s_cbranch_vccz .LBB352_97
; %bb.96:
	v_cvt_f32_ubyte0_e32 v4, v2
	s_mov_b32 s12, -1
	s_mov_b32 s0, 0
	s_delay_alu instid0(VALU_DEP_1) | instskip(NEXT) | instid1(VALU_DEP_1)
	v_bfe_u32 v5, v4, 16, 1
	v_add3_u32 v4, v4, v5, 0x7fff
	global_store_d16_hi_b16 v[0:1], v4, off
.LBB352_97:
	s_mov_b32 s17, 0
.LBB352_98:
	s_delay_alu instid0(SALU_CYCLE_1)
	s_and_b32 vcc_lo, exec_lo, s17
	s_cbranch_vccz .LBB352_101
; %bb.99:
	v_cmp_eq_u16_e32 vcc_lo, 11, v3
	s_mov_b32 s0, -1
	s_cbranch_vccz .LBB352_101
; %bb.100:
	v_cmp_ne_u16_e32 vcc_lo, 0, v2
	s_mov_b32 s0, 0
	s_mov_b32 s12, -1
	v_cndmask_b32_e64 v4, 0, 1, vcc_lo
	global_store_b8 v[0:1], v4, off
.LBB352_101:
	s_branch .LBB352_20
.LBB352_102:
	v_cmp_gt_i16_e32 vcc_lo, 5, v3
	s_mov_b32 s12, -1
	s_cbranch_vccnz .LBB352_123
; %bb.103:
	v_cmp_gt_i16_e32 vcc_lo, 8, v3
	s_cbranch_vccnz .LBB352_113
; %bb.104:
	v_cmp_gt_i16_e32 vcc_lo, 9, v3
	s_cbranch_vccnz .LBB352_110
; %bb.105:
	v_cmp_lt_i16_e32 vcc_lo, 9, v3
	s_cbranch_vccz .LBB352_107
; %bb.106:
	v_mov_b32_e32 v10, 0
	v_and_b32_e32 v4, 0xffff, v2
	s_mov_b32 s12, 0
	s_delay_alu instid0(VALU_DEP_2) | instskip(NEXT) | instid1(VALU_DEP_2)
	v_mov_b32_e32 v11, v10
	v_cvt_f64_u32_e32 v[8:9], v4
	global_store_b128 v[0:1], v[8:11], off
.LBB352_107:
	s_and_not1_b32 vcc_lo, exec_lo, s12
	s_cbranch_vccnz .LBB352_109
; %bb.108:
	v_cvt_f32_ubyte0_e32 v4, v2
	v_mov_b32_e32 v5, 0
	global_store_b64 v[0:1], v[4:5], off
.LBB352_109:
	s_mov_b32 s12, 0
.LBB352_110:
	s_delay_alu instid0(SALU_CYCLE_1)
	s_and_not1_b32 vcc_lo, exec_lo, s12
	s_cbranch_vccnz .LBB352_112
; %bb.111:
	v_cvt_f16_u16_e32 v4, v2
	s_delay_alu instid0(VALU_DEP_1)
	v_and_b32_e32 v4, 0xffff, v4
	global_store_b32 v[0:1], v4, off
.LBB352_112:
	s_mov_b32 s12, 0
.LBB352_113:
	s_delay_alu instid0(SALU_CYCLE_1)
	s_and_not1_b32 vcc_lo, exec_lo, s12
	s_cbranch_vccnz .LBB352_122
; %bb.114:
	v_cmp_gt_i16_e32 vcc_lo, 6, v3
	s_mov_b32 s12, -1
	s_cbranch_vccnz .LBB352_120
; %bb.115:
	v_cmp_lt_i16_e32 vcc_lo, 6, v3
	s_cbranch_vccz .LBB352_117
; %bb.116:
	v_and_b32_e32 v4, 0xffff, v2
	s_mov_b32 s12, 0
	s_delay_alu instid0(VALU_DEP_1)
	v_cvt_f64_u32_e32 v[4:5], v4
	global_store_b64 v[0:1], v[4:5], off
.LBB352_117:
	s_and_not1_b32 vcc_lo, exec_lo, s12
	s_cbranch_vccnz .LBB352_119
; %bb.118:
	v_cvt_f32_ubyte0_e32 v4, v2
	global_store_b32 v[0:1], v4, off
.LBB352_119:
	s_mov_b32 s12, 0
.LBB352_120:
	s_delay_alu instid0(SALU_CYCLE_1)
	s_and_not1_b32 vcc_lo, exec_lo, s12
	s_cbranch_vccnz .LBB352_122
; %bb.121:
	v_cvt_f16_u16_e32 v4, v2
	global_store_b16 v[0:1], v4, off
.LBB352_122:
	s_mov_b32 s12, 0
.LBB352_123:
	s_delay_alu instid0(SALU_CYCLE_1)
	s_and_not1_b32 vcc_lo, exec_lo, s12
	s_cbranch_vccnz .LBB352_139
; %bb.124:
	v_cmp_gt_i16_e32 vcc_lo, 2, v3
	s_mov_b32 s12, -1
	s_cbranch_vccnz .LBB352_134
; %bb.125:
	v_cmp_gt_i16_e32 vcc_lo, 3, v3
	s_cbranch_vccnz .LBB352_131
; %bb.126:
	v_cmp_lt_i16_e32 vcc_lo, 3, v3
	s_cbranch_vccz .LBB352_128
; %bb.127:
	s_mov_b32 s12, 0
	s_delay_alu instid0(SALU_CYCLE_1)
	v_dual_mov_b32 v5, s12 :: v_dual_and_b32 v4, 0xffff, v2
	global_store_b64 v[0:1], v[4:5], off
.LBB352_128:
	s_and_not1_b32 vcc_lo, exec_lo, s12
	s_cbranch_vccnz .LBB352_130
; %bb.129:
	v_and_b32_e32 v4, 0xffff, v2
	global_store_b32 v[0:1], v4, off
.LBB352_130:
	s_mov_b32 s12, 0
.LBB352_131:
	s_delay_alu instid0(SALU_CYCLE_1)
	s_and_not1_b32 vcc_lo, exec_lo, s12
	s_cbranch_vccnz .LBB352_133
; %bb.132:
	global_store_b16 v[0:1], v2, off
.LBB352_133:
	s_mov_b32 s12, 0
.LBB352_134:
	s_delay_alu instid0(SALU_CYCLE_1)
	s_and_not1_b32 vcc_lo, exec_lo, s12
	s_cbranch_vccnz .LBB352_139
; %bb.135:
	v_cmp_lt_i16_e32 vcc_lo, 0, v3
	s_mov_b32 s12, -1
	s_cbranch_vccz .LBB352_137
; %bb.136:
	s_mov_b32 s12, 0
	global_store_b8 v[0:1], v2, off
.LBB352_137:
	s_and_not1_b32 vcc_lo, exec_lo, s12
	s_cbranch_vccnz .LBB352_139
; %bb.138:
	global_store_b8 v[0:1], v2, off
.LBB352_139:
.LBB352_140:
	v_add_nc_u32_e32 v7, 0x80, v7
	s_mov_b32 s17, -1
	s_branch .LBB352_247
.LBB352_141:
	s_mov_b32 s14, -1
                                        ; implicit-def: $vgpr2
.LBB352_142:
	s_mov_b32 s12, 0
.LBB352_143:
	s_delay_alu instid0(SALU_CYCLE_1)
	s_and_b32 vcc_lo, exec_lo, s12
	s_cbranch_vccz .LBB352_147
; %bb.144:
	v_cmp_eq_u16_e32 vcc_lo, 29, v4
	s_cbranch_vccz .LBB352_146
; %bb.145:
	global_load_b64 v[2:3], v[0:1], off
	s_mov_b32 s0, -1
	s_mov_b32 s14, 0
	s_branch .LBB352_147
.LBB352_146:
	s_mov_b32 s14, -1
                                        ; implicit-def: $vgpr2
.LBB352_147:
	s_mov_b32 s12, 0
.LBB352_148:
	s_delay_alu instid0(SALU_CYCLE_1)
	s_and_b32 vcc_lo, exec_lo, s12
	s_cbranch_vccz .LBB352_164
; %bb.149:
	v_cmp_gt_i16_e32 vcc_lo, 27, v4
	s_cbranch_vccnz .LBB352_152
; %bb.150:
	v_cmp_lt_i16_e32 vcc_lo, 27, v4
	s_cbranch_vccz .LBB352_153
; %bb.151:
	global_load_b32 v2, v[0:1], off
	s_mov_b32 s0, 0
	s_branch .LBB352_154
.LBB352_152:
	s_mov_b32 s0, -1
                                        ; implicit-def: $vgpr2
	s_branch .LBB352_157
.LBB352_153:
	s_mov_b32 s0, -1
                                        ; implicit-def: $vgpr2
.LBB352_154:
	s_delay_alu instid0(SALU_CYCLE_1)
	s_and_not1_b32 vcc_lo, exec_lo, s0
	s_cbranch_vccnz .LBB352_156
; %bb.155:
	global_load_u16 v2, v[0:1], off
.LBB352_156:
	s_mov_b32 s0, 0
.LBB352_157:
	s_delay_alu instid0(SALU_CYCLE_1)
	s_and_not1_b32 vcc_lo, exec_lo, s0
	s_cbranch_vccnz .LBB352_163
; %bb.158:
	global_load_u8 v3, v[0:1], off
	s_mov_b32 s12, 0
	s_mov_b32 s0, exec_lo
                                        ; implicit-def: $sgpr17
	s_waitcnt vmcnt(0)
	v_cmpx_lt_i16_e32 0x7f, v3
	s_xor_b32 s0, exec_lo, s0
	s_cbranch_execz .LBB352_174
; %bb.159:
	v_cmp_ne_u16_e32 vcc_lo, 0x80, v3
	s_mov_b32 s17, 0
	s_and_b32 s12, vcc_lo, exec_lo
	s_or_saveexec_b32 s0, s0
	v_mov_b32_e32 v2, s17
	s_xor_b32 exec_lo, exec_lo, s0
	s_cbranch_execnz .LBB352_175
.LBB352_160:
	s_or_b32 exec_lo, exec_lo, s0
	s_and_saveexec_b32 s0, s12
	s_cbranch_execz .LBB352_162
.LBB352_161:
	v_and_b32_e32 v2, 0xffff, v3
	s_delay_alu instid0(VALU_DEP_1) | instskip(NEXT) | instid1(VALU_DEP_1)
	v_and_b32_e32 v5, 7, v2
	v_clz_i32_u32_e32 v6, v5
	s_delay_alu instid0(VALU_DEP_1) | instskip(NEXT) | instid1(VALU_DEP_1)
	v_min_u32_e32 v6, 32, v6
	v_subrev_nc_u32_e32 v8, 28, v6
	v_sub_nc_u32_e32 v6, 29, v6
	s_delay_alu instid0(VALU_DEP_2) | instskip(SKIP_1) | instid1(VALU_DEP_2)
	v_lshlrev_b32_e32 v8, v8, v2
	v_bfe_u32 v2, v2, 3, 4
	v_and_b32_e32 v8, 7, v8
	s_delay_alu instid0(VALU_DEP_2) | instskip(SKIP_1) | instid1(VALU_DEP_3)
	v_cmp_eq_u32_e32 vcc_lo, 0, v2
	v_dual_cndmask_b32 v2, v2, v6 :: v_dual_lshlrev_b32 v3, 24, v3
	v_cndmask_b32_e32 v5, v5, v8, vcc_lo
	s_delay_alu instid0(VALU_DEP_2) | instskip(NEXT) | instid1(VALU_DEP_3)
	v_and_b32_e32 v3, 0x80000000, v3
	v_lshl_add_u32 v2, v2, 23, 0x3b800000
	s_delay_alu instid0(VALU_DEP_3) | instskip(NEXT) | instid1(VALU_DEP_1)
	v_lshlrev_b32_e32 v5, 20, v5
	v_or3_b32 v2, v3, v2, v5
	s_delay_alu instid0(VALU_DEP_1) | instskip(NEXT) | instid1(VALU_DEP_1)
	v_trunc_f32_e32 v2, v2
	v_mul_f32_e64 v3, 0x2f800000, |v2|
	s_delay_alu instid0(VALU_DEP_1) | instskip(NEXT) | instid1(VALU_DEP_1)
	v_floor_f32_e32 v3, v3
	v_fma_f32 v3, 0xcf800000, v3, |v2|
	v_ashrrev_i32_e32 v2, 31, v2
	s_delay_alu instid0(VALU_DEP_2) | instskip(NEXT) | instid1(VALU_DEP_1)
	v_cvt_u32_f32_e32 v3, v3
	v_xor_b32_e32 v3, v3, v2
	s_delay_alu instid0(VALU_DEP_1)
	v_sub_nc_u32_e32 v2, v3, v2
.LBB352_162:
	s_or_b32 exec_lo, exec_lo, s0
.LBB352_163:
	s_mov_b32 s0, -1
.LBB352_164:
	s_branch .LBB352_197
.LBB352_165:
	v_cmp_lt_i16_e32 vcc_lo, 22, v4
	s_cbranch_vccz .LBB352_173
; %bb.166:
	v_cmp_gt_i16_e32 vcc_lo, 24, v4
	s_cbranch_vccnz .LBB352_176
; %bb.167:
	v_cmp_lt_i16_e32 vcc_lo, 24, v4
	s_cbranch_vccz .LBB352_177
; %bb.168:
	global_load_u8 v3, v[0:1], off
	s_mov_b32 s12, 0
	s_mov_b32 s0, exec_lo
                                        ; implicit-def: $sgpr17
	s_waitcnt vmcnt(0)
	v_cmpx_lt_i16_e32 0x7f, v3
	s_xor_b32 s0, exec_lo, s0
	s_cbranch_execz .LBB352_189
; %bb.169:
	v_cmp_ne_u16_e32 vcc_lo, 0x80, v3
	s_mov_b32 s17, 0
	s_and_b32 s12, vcc_lo, exec_lo
	s_or_saveexec_b32 s0, s0
	v_mov_b32_e32 v2, s17
	s_xor_b32 exec_lo, exec_lo, s0
	s_cbranch_execnz .LBB352_190
.LBB352_170:
	s_or_b32 exec_lo, exec_lo, s0
	s_and_saveexec_b32 s0, s12
	s_cbranch_execz .LBB352_172
.LBB352_171:
	v_and_b32_e32 v2, 0xffff, v3
	s_delay_alu instid0(VALU_DEP_1) | instskip(NEXT) | instid1(VALU_DEP_1)
	v_and_b32_e32 v5, 3, v2
	v_clz_i32_u32_e32 v6, v5
	s_delay_alu instid0(VALU_DEP_1) | instskip(NEXT) | instid1(VALU_DEP_1)
	v_min_u32_e32 v6, 32, v6
	v_subrev_nc_u32_e32 v8, 29, v6
	v_sub_nc_u32_e32 v6, 30, v6
	s_delay_alu instid0(VALU_DEP_2) | instskip(SKIP_1) | instid1(VALU_DEP_2)
	v_lshlrev_b32_e32 v8, v8, v2
	v_bfe_u32 v2, v2, 2, 5
	v_and_b32_e32 v8, 3, v8
	s_delay_alu instid0(VALU_DEP_2) | instskip(SKIP_1) | instid1(VALU_DEP_3)
	v_cmp_eq_u32_e32 vcc_lo, 0, v2
	v_dual_cndmask_b32 v2, v2, v6 :: v_dual_lshlrev_b32 v3, 24, v3
	v_cndmask_b32_e32 v5, v5, v8, vcc_lo
	s_delay_alu instid0(VALU_DEP_2) | instskip(NEXT) | instid1(VALU_DEP_3)
	v_and_b32_e32 v3, 0x80000000, v3
	v_lshl_add_u32 v2, v2, 23, 0x37800000
	s_delay_alu instid0(VALU_DEP_3) | instskip(NEXT) | instid1(VALU_DEP_1)
	v_lshlrev_b32_e32 v5, 21, v5
	v_or3_b32 v2, v3, v2, v5
	s_delay_alu instid0(VALU_DEP_1) | instskip(NEXT) | instid1(VALU_DEP_1)
	v_trunc_f32_e32 v2, v2
	v_mul_f32_e64 v3, 0x2f800000, |v2|
	s_delay_alu instid0(VALU_DEP_1) | instskip(NEXT) | instid1(VALU_DEP_1)
	v_floor_f32_e32 v3, v3
	v_fma_f32 v3, 0xcf800000, v3, |v2|
	v_ashrrev_i32_e32 v2, 31, v2
	s_delay_alu instid0(VALU_DEP_2) | instskip(NEXT) | instid1(VALU_DEP_1)
	v_cvt_u32_f32_e32 v3, v3
	v_xor_b32_e32 v3, v3, v2
	s_delay_alu instid0(VALU_DEP_1)
	v_sub_nc_u32_e32 v2, v3, v2
.LBB352_172:
	s_or_b32 exec_lo, exec_lo, s0
	s_mov_b32 s0, 0
	s_branch .LBB352_178
.LBB352_173:
	s_mov_b32 s12, -1
                                        ; implicit-def: $vgpr2
	s_branch .LBB352_184
.LBB352_174:
	s_or_saveexec_b32 s0, s0
	v_mov_b32_e32 v2, s17
	s_xor_b32 exec_lo, exec_lo, s0
	s_cbranch_execz .LBB352_160
.LBB352_175:
	v_cmp_ne_u16_e32 vcc_lo, 0, v3
	v_mov_b32_e32 v2, 0
	s_and_not1_b32 s12, s12, exec_lo
	s_and_b32 s17, vcc_lo, exec_lo
	s_delay_alu instid0(SALU_CYCLE_1)
	s_or_b32 s12, s12, s17
	s_or_b32 exec_lo, exec_lo, s0
	s_and_saveexec_b32 s0, s12
	s_cbranch_execnz .LBB352_161
	s_branch .LBB352_162
.LBB352_176:
	s_mov_b32 s0, -1
                                        ; implicit-def: $vgpr2
	s_branch .LBB352_181
.LBB352_177:
	s_mov_b32 s0, -1
                                        ; implicit-def: $vgpr2
.LBB352_178:
	s_delay_alu instid0(SALU_CYCLE_1)
	s_and_b32 vcc_lo, exec_lo, s0
	s_cbranch_vccz .LBB352_180
; %bb.179:
	global_load_u8 v2, v[0:1], off
	s_waitcnt vmcnt(0)
	v_lshlrev_b32_e32 v2, 24, v2
	s_delay_alu instid0(VALU_DEP_1) | instskip(NEXT) | instid1(VALU_DEP_1)
	v_and_b32_e32 v3, 0x7f000000, v2
	v_clz_i32_u32_e32 v5, v3
	v_add_nc_u32_e32 v8, 0x1000000, v3
	v_cmp_ne_u32_e32 vcc_lo, 0, v3
	s_delay_alu instid0(VALU_DEP_3) | instskip(NEXT) | instid1(VALU_DEP_1)
	v_min_u32_e32 v5, 32, v5
	v_sub_nc_u32_e64 v5, v5, 4 clamp
	s_delay_alu instid0(VALU_DEP_1) | instskip(SKIP_1) | instid1(VALU_DEP_2)
	v_lshlrev_b32_e32 v6, v5, v3
	v_lshlrev_b32_e32 v5, 23, v5
	v_lshrrev_b32_e32 v6, 4, v6
	s_delay_alu instid0(VALU_DEP_1) | instskip(SKIP_1) | instid1(VALU_DEP_2)
	v_sub_nc_u32_e32 v5, v6, v5
	v_ashrrev_i32_e32 v6, 8, v8
	v_add_nc_u32_e32 v5, 0x3c000000, v5
	s_delay_alu instid0(VALU_DEP_1) | instskip(NEXT) | instid1(VALU_DEP_1)
	v_and_or_b32 v5, 0x7f800000, v6, v5
	v_cndmask_b32_e32 v3, 0, v5, vcc_lo
	s_delay_alu instid0(VALU_DEP_1) | instskip(NEXT) | instid1(VALU_DEP_1)
	v_and_or_b32 v2, 0x80000000, v2, v3
	v_trunc_f32_e32 v2, v2
	s_delay_alu instid0(VALU_DEP_1) | instskip(NEXT) | instid1(VALU_DEP_1)
	v_mul_f32_e64 v3, 0x2f800000, |v2|
	v_floor_f32_e32 v3, v3
	s_delay_alu instid0(VALU_DEP_1) | instskip(SKIP_1) | instid1(VALU_DEP_2)
	v_fma_f32 v3, 0xcf800000, v3, |v2|
	v_ashrrev_i32_e32 v2, 31, v2
	v_cvt_u32_f32_e32 v3, v3
	s_delay_alu instid0(VALU_DEP_1) | instskip(NEXT) | instid1(VALU_DEP_1)
	v_xor_b32_e32 v3, v3, v2
	v_sub_nc_u32_e32 v2, v3, v2
.LBB352_180:
	s_mov_b32 s0, 0
.LBB352_181:
	s_delay_alu instid0(SALU_CYCLE_1)
	s_and_not1_b32 vcc_lo, exec_lo, s0
	s_cbranch_vccnz .LBB352_183
; %bb.182:
	global_load_u8 v2, v[0:1], off
	s_waitcnt vmcnt(0)
	v_lshlrev_b32_e32 v3, 25, v2
	v_lshlrev_b16 v2, 8, v2
	s_delay_alu instid0(VALU_DEP_2) | instskip(NEXT) | instid1(VALU_DEP_2)
	v_lshrrev_b32_e32 v5, 4, v3
	v_and_or_b32 v6, 0x7f00, v2, 0.5
	v_cmp_gt_u32_e32 vcc_lo, 0x8000000, v3
	v_bfe_i32 v2, v2, 0, 16
	s_delay_alu instid0(VALU_DEP_4) | instskip(NEXT) | instid1(VALU_DEP_1)
	v_or_b32_e32 v5, 0x70000000, v5
	v_dual_add_f32 v6, -0.5, v6 :: v_dual_mul_f32 v5, 0x7800000, v5
	s_delay_alu instid0(VALU_DEP_1) | instskip(NEXT) | instid1(VALU_DEP_1)
	v_cndmask_b32_e32 v3, v5, v6, vcc_lo
	v_and_or_b32 v2, 0x80000000, v2, v3
	s_delay_alu instid0(VALU_DEP_1) | instskip(NEXT) | instid1(VALU_DEP_1)
	v_trunc_f32_e32 v2, v2
	v_mul_f32_e64 v3, 0x2f800000, |v2|
	s_delay_alu instid0(VALU_DEP_1) | instskip(NEXT) | instid1(VALU_DEP_1)
	v_floor_f32_e32 v3, v3
	v_fma_f32 v3, 0xcf800000, v3, |v2|
	v_ashrrev_i32_e32 v2, 31, v2
	s_delay_alu instid0(VALU_DEP_2) | instskip(NEXT) | instid1(VALU_DEP_1)
	v_cvt_u32_f32_e32 v3, v3
	v_xor_b32_e32 v3, v3, v2
	s_delay_alu instid0(VALU_DEP_1)
	v_sub_nc_u32_e32 v2, v3, v2
.LBB352_183:
	s_mov_b32 s12, 0
	s_mov_b32 s0, -1
.LBB352_184:
	s_and_not1_b32 vcc_lo, exec_lo, s12
	s_cbranch_vccnz .LBB352_197
; %bb.185:
	v_cmp_lt_i16_e32 vcc_lo, 14, v4
	s_cbranch_vccz .LBB352_188
; %bb.186:
	v_cmp_eq_u16_e32 vcc_lo, 15, v4
	s_cbranch_vccz .LBB352_191
; %bb.187:
	global_load_u16 v2, v[0:1], off
	s_mov_b32 s0, -1
	s_mov_b32 s14, 0
	s_waitcnt vmcnt(0)
	v_lshlrev_b32_e32 v2, 16, v2
	s_delay_alu instid0(VALU_DEP_1) | instskip(NEXT) | instid1(VALU_DEP_1)
	v_trunc_f32_e32 v2, v2
	v_mul_f32_e64 v3, 0x2f800000, |v2|
	s_delay_alu instid0(VALU_DEP_1) | instskip(NEXT) | instid1(VALU_DEP_1)
	v_floor_f32_e32 v3, v3
	v_fma_f32 v3, 0xcf800000, v3, |v2|
	v_ashrrev_i32_e32 v2, 31, v2
	s_delay_alu instid0(VALU_DEP_2) | instskip(NEXT) | instid1(VALU_DEP_1)
	v_cvt_u32_f32_e32 v3, v3
	v_xor_b32_e32 v3, v3, v2
	s_delay_alu instid0(VALU_DEP_1)
	v_sub_nc_u32_e32 v2, v3, v2
	s_branch .LBB352_192
.LBB352_188:
	s_mov_b32 s12, -1
                                        ; implicit-def: $vgpr2
	s_branch .LBB352_193
.LBB352_189:
	s_or_saveexec_b32 s0, s0
	v_mov_b32_e32 v2, s17
	s_xor_b32 exec_lo, exec_lo, s0
	s_cbranch_execz .LBB352_170
.LBB352_190:
	v_cmp_ne_u16_e32 vcc_lo, 0, v3
	v_mov_b32_e32 v2, 0
	s_and_not1_b32 s12, s12, exec_lo
	s_and_b32 s17, vcc_lo, exec_lo
	s_delay_alu instid0(SALU_CYCLE_1)
	s_or_b32 s12, s12, s17
	s_or_b32 exec_lo, exec_lo, s0
	s_and_saveexec_b32 s0, s12
	s_cbranch_execnz .LBB352_171
	s_branch .LBB352_172
.LBB352_191:
	s_mov_b32 s14, -1
                                        ; implicit-def: $vgpr2
.LBB352_192:
	s_mov_b32 s12, 0
.LBB352_193:
	s_delay_alu instid0(SALU_CYCLE_1)
	s_and_b32 vcc_lo, exec_lo, s12
	s_cbranch_vccz .LBB352_197
; %bb.194:
	v_cmp_eq_u16_e32 vcc_lo, 11, v4
	s_cbranch_vccz .LBB352_196
; %bb.195:
	global_load_u8 v2, v[0:1], off
	s_mov_b32 s14, 0
	s_mov_b32 s0, -1
	s_waitcnt vmcnt(0)
	v_cmp_ne_u16_e32 vcc_lo, 0, v2
	v_cndmask_b32_e64 v2, 0, 1, vcc_lo
	s_branch .LBB352_197
.LBB352_196:
	s_mov_b32 s14, -1
                                        ; implicit-def: $vgpr2
.LBB352_197:
	s_branch .LBB352_10
.LBB352_198:
	v_cmp_gt_i16_e32 vcc_lo, 5, v4
	s_cbranch_vccnz .LBB352_203
; %bb.199:
	v_cmp_gt_i16_e32 vcc_lo, 8, v4
	s_cbranch_vccnz .LBB352_204
; %bb.200:
	;; [unrolled: 3-line block ×3, first 2 shown]
	v_cmp_lt_i16_e32 vcc_lo, 9, v4
	s_cbranch_vccz .LBB352_206
; %bb.202:
	global_load_b64 v[2:3], v[0:1], off
	s_mov_b32 s0, 0
	s_waitcnt vmcnt(0)
	v_trunc_f64_e32 v[2:3], v[2:3]
	s_delay_alu instid0(VALU_DEP_1) | instskip(NEXT) | instid1(VALU_DEP_1)
	v_ldexp_f64 v[5:6], v[2:3], 0xffffffe0
	v_floor_f64_e32 v[5:6], v[5:6]
	s_delay_alu instid0(VALU_DEP_1) | instskip(NEXT) | instid1(VALU_DEP_1)
	v_fma_f64 v[2:3], 0xc1f00000, v[5:6], v[2:3]
	v_cvt_u32_f64_e32 v2, v[2:3]
	s_branch .LBB352_207
.LBB352_203:
                                        ; implicit-def: $vgpr2
	s_branch .LBB352_225
.LBB352_204:
	s_mov_b32 s0, -1
                                        ; implicit-def: $vgpr2
	s_branch .LBB352_213
.LBB352_205:
	s_mov_b32 s0, -1
                                        ; implicit-def: $vgpr2
	s_branch .LBB352_210
.LBB352_206:
	s_mov_b32 s0, -1
                                        ; implicit-def: $vgpr2
.LBB352_207:
	s_delay_alu instid0(SALU_CYCLE_1)
	s_and_not1_b32 vcc_lo, exec_lo, s0
	s_cbranch_vccnz .LBB352_209
; %bb.208:
	global_load_b32 v2, v[0:1], off
	s_waitcnt vmcnt(0)
	v_trunc_f32_e32 v2, v2
	s_delay_alu instid0(VALU_DEP_1) | instskip(NEXT) | instid1(VALU_DEP_1)
	v_mul_f32_e64 v3, 0x2f800000, |v2|
	v_floor_f32_e32 v3, v3
	s_delay_alu instid0(VALU_DEP_1) | instskip(SKIP_1) | instid1(VALU_DEP_2)
	v_fma_f32 v3, 0xcf800000, v3, |v2|
	v_ashrrev_i32_e32 v2, 31, v2
	v_cvt_u32_f32_e32 v3, v3
	s_delay_alu instid0(VALU_DEP_1) | instskip(NEXT) | instid1(VALU_DEP_1)
	v_xor_b32_e32 v3, v3, v2
	v_sub_nc_u32_e32 v2, v3, v2
.LBB352_209:
	s_mov_b32 s0, 0
.LBB352_210:
	s_delay_alu instid0(SALU_CYCLE_1)
	s_and_not1_b32 vcc_lo, exec_lo, s0
	s_cbranch_vccnz .LBB352_212
; %bb.211:
	global_load_b32 v2, v[0:1], off
	s_waitcnt vmcnt(0)
	v_cvt_f32_f16_e32 v2, v2
	s_delay_alu instid0(VALU_DEP_1)
	v_cvt_i32_f32_e32 v2, v2
.LBB352_212:
	s_mov_b32 s0, 0
.LBB352_213:
	s_delay_alu instid0(SALU_CYCLE_1)
	s_and_not1_b32 vcc_lo, exec_lo, s0
	s_cbranch_vccnz .LBB352_224
; %bb.214:
	v_cmp_gt_i16_e32 vcc_lo, 6, v4
	s_cbranch_vccnz .LBB352_217
; %bb.215:
	v_cmp_lt_i16_e32 vcc_lo, 6, v4
	s_cbranch_vccz .LBB352_218
; %bb.216:
	global_load_b64 v[2:3], v[0:1], off
	s_mov_b32 s0, 0
	s_waitcnt vmcnt(0)
	v_trunc_f64_e32 v[2:3], v[2:3]
	s_delay_alu instid0(VALU_DEP_1) | instskip(NEXT) | instid1(VALU_DEP_1)
	v_ldexp_f64 v[5:6], v[2:3], 0xffffffe0
	v_floor_f64_e32 v[5:6], v[5:6]
	s_delay_alu instid0(VALU_DEP_1) | instskip(NEXT) | instid1(VALU_DEP_1)
	v_fma_f64 v[2:3], 0xc1f00000, v[5:6], v[2:3]
	v_cvt_u32_f64_e32 v2, v[2:3]
	s_branch .LBB352_219
.LBB352_217:
	s_mov_b32 s0, -1
                                        ; implicit-def: $vgpr2
	s_branch .LBB352_222
.LBB352_218:
	s_mov_b32 s0, -1
                                        ; implicit-def: $vgpr2
.LBB352_219:
	s_delay_alu instid0(SALU_CYCLE_1)
	s_and_not1_b32 vcc_lo, exec_lo, s0
	s_cbranch_vccnz .LBB352_221
; %bb.220:
	global_load_b32 v2, v[0:1], off
	s_waitcnt vmcnt(0)
	v_trunc_f32_e32 v2, v2
	s_delay_alu instid0(VALU_DEP_1) | instskip(NEXT) | instid1(VALU_DEP_1)
	v_mul_f32_e64 v3, 0x2f800000, |v2|
	v_floor_f32_e32 v3, v3
	s_delay_alu instid0(VALU_DEP_1) | instskip(SKIP_1) | instid1(VALU_DEP_2)
	v_fma_f32 v3, 0xcf800000, v3, |v2|
	v_ashrrev_i32_e32 v2, 31, v2
	v_cvt_u32_f32_e32 v3, v3
	s_delay_alu instid0(VALU_DEP_1) | instskip(NEXT) | instid1(VALU_DEP_1)
	v_xor_b32_e32 v3, v3, v2
	v_sub_nc_u32_e32 v2, v3, v2
.LBB352_221:
	s_mov_b32 s0, 0
.LBB352_222:
	s_delay_alu instid0(SALU_CYCLE_1)
	s_and_not1_b32 vcc_lo, exec_lo, s0
	s_cbranch_vccnz .LBB352_224
; %bb.223:
	global_load_u16 v2, v[0:1], off
	s_waitcnt vmcnt(0)
	v_cvt_f32_f16_e32 v2, v2
	s_delay_alu instid0(VALU_DEP_1)
	v_cvt_i32_f32_e32 v2, v2
.LBB352_224:
	s_cbranch_execnz .LBB352_244
.LBB352_225:
	v_cmp_gt_i16_e32 vcc_lo, 2, v4
	s_cbranch_vccnz .LBB352_229
; %bb.226:
	v_cmp_gt_i16_e32 vcc_lo, 3, v4
	s_cbranch_vccnz .LBB352_230
; %bb.227:
	v_cmp_lt_i16_e32 vcc_lo, 3, v4
	s_cbranch_vccz .LBB352_231
; %bb.228:
	global_load_b64 v[2:3], v[0:1], off
	s_mov_b32 s0, 0
	s_branch .LBB352_232
.LBB352_229:
	s_mov_b32 s0, -1
                                        ; implicit-def: $vgpr2
	s_branch .LBB352_238
.LBB352_230:
	s_mov_b32 s0, -1
                                        ; implicit-def: $vgpr2
	s_branch .LBB352_235
.LBB352_231:
	s_mov_b32 s0, -1
                                        ; implicit-def: $vgpr2
.LBB352_232:
	s_delay_alu instid0(SALU_CYCLE_1)
	s_and_not1_b32 vcc_lo, exec_lo, s0
	s_cbranch_vccnz .LBB352_234
; %bb.233:
	global_load_b32 v2, v[0:1], off
.LBB352_234:
	s_mov_b32 s0, 0
.LBB352_235:
	s_delay_alu instid0(SALU_CYCLE_1)
	s_and_not1_b32 vcc_lo, exec_lo, s0
	s_cbranch_vccnz .LBB352_237
; %bb.236:
	global_load_u16 v2, v[0:1], off
.LBB352_237:
	s_mov_b32 s0, 0
.LBB352_238:
	s_delay_alu instid0(SALU_CYCLE_1)
	s_and_not1_b32 vcc_lo, exec_lo, s0
	s_cbranch_vccnz .LBB352_244
; %bb.239:
	v_cmp_lt_i16_e32 vcc_lo, 0, v4
	s_mov_b32 s0, 0
	s_cbranch_vccz .LBB352_241
; %bb.240:
	global_load_u8 v2, v[0:1], off
	s_branch .LBB352_242
.LBB352_241:
	s_mov_b32 s0, -1
                                        ; implicit-def: $vgpr2
.LBB352_242:
	s_delay_alu instid0(SALU_CYCLE_1)
	s_and_not1_b32 vcc_lo, exec_lo, s0
	s_cbranch_vccnz .LBB352_244
; %bb.243:
	global_load_u8 v2, v[0:1], off
.LBB352_244:
	s_branch .LBB352_11
.LBB352_245:
	s_mov_b32 s0, 0
.LBB352_246:
	s_mov_b32 s17, 0
                                        ; implicit-def: $vgpr7
.LBB352_247:
	s_and_b32 s12, s0, exec_lo
	s_and_b32 s14, s14, exec_lo
	s_or_not1_b32 s18, s17, exec_lo
.LBB352_248:
	s_or_b32 exec_lo, exec_lo, s15
	s_mov_b32 s17, 0
	s_mov_b32 s0, 0
                                        ; implicit-def: $vgpr4
                                        ; implicit-def: $vgpr0_vgpr1
                                        ; implicit-def: $vgpr2
	s_and_saveexec_b32 s15, s18
	s_cbranch_execz .LBB352_844
; %bb.249:
	s_mov_b32 s20, -1
	s_mov_b32 s16, s14
	s_mov_b32 s17, s12
	s_mov_b32 s18, exec_lo
	v_cmpx_gt_i32_e64 s13, v7
	s_cbranch_execz .LBB352_504
; %bb.250:
	v_mul_lo_u32 v0, v7, s3
	v_and_b32_e64 v4, 0xff, s10
	s_delay_alu instid0(VALU_DEP_1) | instskip(NEXT) | instid1(VALU_DEP_3)
	v_cmp_gt_i16_e32 vcc_lo, 11, v4
	v_ashrrev_i32_e32 v1, 31, v0
	v_add_co_u32 v0, s0, s6, v0
	s_delay_alu instid0(VALU_DEP_1)
	v_add_co_ci_u32_e64 v1, s0, s7, v1, s0
	s_cbranch_vccnz .LBB352_257
; %bb.251:
	v_cmp_lt_i16_e32 vcc_lo, 25, v4
	s_cbranch_vccz .LBB352_266
; %bb.252:
	v_cmp_lt_i16_e32 vcc_lo, 28, v4
	s_cbranch_vccz .LBB352_268
	;; [unrolled: 3-line block ×4, first 2 shown]
; %bb.255:
	v_cmp_eq_u16_e32 vcc_lo, 46, v4
	s_mov_b32 s17, 0
	s_cbranch_vccz .LBB352_278
; %bb.256:
	global_load_b32 v2, v[0:1], off
	s_mov_b32 s0, -1
	s_mov_b32 s16, 0
	s_waitcnt vmcnt(0)
	v_lshlrev_b32_e32 v2, 16, v2
	s_delay_alu instid0(VALU_DEP_1) | instskip(NEXT) | instid1(VALU_DEP_1)
	v_trunc_f32_e32 v2, v2
	v_mul_f32_e64 v3, 0x2f800000, |v2|
	s_delay_alu instid0(VALU_DEP_1) | instskip(NEXT) | instid1(VALU_DEP_1)
	v_floor_f32_e32 v3, v3
	v_fma_f32 v3, 0xcf800000, v3, |v2|
	v_ashrrev_i32_e32 v2, 31, v2
	s_delay_alu instid0(VALU_DEP_2) | instskip(NEXT) | instid1(VALU_DEP_1)
	v_cvt_u32_f32_e32 v3, v3
	v_xor_b32_e32 v3, v3, v2
	s_delay_alu instid0(VALU_DEP_1)
	v_sub_nc_u32_e32 v2, v3, v2
	s_branch .LBB352_280
.LBB352_257:
	s_mov_b32 s0, 0
	s_mov_b32 s16, s14
                                        ; implicit-def: $vgpr2
	s_cbranch_execnz .LBB352_453
.LBB352_258:
	s_and_not1_b32 vcc_lo, exec_lo, s0
	s_cbranch_vccnz .LBB352_501
.LBB352_259:
	v_mul_lo_u32 v0, v7, s2
	v_and_b32_e64 v1, 0xff, s8
	s_waitcnt vmcnt(0)
	s_delay_alu instid0(VALU_DEP_3) | instskip(SKIP_1) | instid1(VALU_DEP_2)
	v_and_b32_e32 v2, 0xff, v2
	v_and_b32_e64 v3, 0xff, s1
	v_max_u16 v2, v2, v1
	v_ashrrev_i32_e32 v1, 31, v0
	s_delay_alu instid0(VALU_DEP_3) | instskip(SKIP_1) | instid1(VALU_DEP_1)
	v_cmp_gt_i16_e32 vcc_lo, 11, v3
	v_add_co_u32 v0, s0, s4, v0
	v_add_co_ci_u32_e64 v1, s0, s5, v1, s0
	s_cbranch_vccnz .LBB352_267
; %bb.260:
	v_cmp_lt_i16_e32 vcc_lo, 25, v3
	s_cbranch_vccz .LBB352_269
; %bb.261:
	v_cmp_lt_i16_e32 vcc_lo, 28, v3
	s_cbranch_vccz .LBB352_271
	;; [unrolled: 3-line block ×4, first 2 shown]
; %bb.264:
	v_cmp_eq_u16_e32 vcc_lo, 46, v3
	s_mov_b32 s19, 0
	s_mov_b32 s0, -1
	s_mov_b32 s17, 0
	s_cbranch_vccz .LBB352_284
; %bb.265:
	v_cvt_f32_ubyte0_e32 v4, v2
	s_mov_b32 s17, -1
	s_mov_b32 s0, 0
	s_delay_alu instid0(VALU_DEP_1) | instskip(NEXT) | instid1(VALU_DEP_1)
	v_bfe_u32 v5, v4, 16, 1
	v_add3_u32 v4, v4, v5, 0x7fff
	s_delay_alu instid0(VALU_DEP_1)
	v_lshrrev_b32_e32 v4, 16, v4
	global_store_b32 v[0:1], v4, off
	s_branch .LBB352_284
.LBB352_266:
	s_mov_b32 s17, -1
	s_mov_b32 s0, 0
	s_mov_b32 s16, s14
                                        ; implicit-def: $vgpr2
	s_branch .LBB352_419
.LBB352_267:
	s_mov_b32 s19, -1
	s_mov_b32 s17, 0
	s_mov_b32 s0, s12
	s_branch .LBB352_353
.LBB352_268:
	s_mov_b32 s17, -1
	s_mov_b32 s0, 0
	s_mov_b32 s16, s14
                                        ; implicit-def: $vgpr2
	s_branch .LBB352_402
.LBB352_269:
	s_mov_b32 s19, -1
	s_mov_b32 s17, 0
	s_mov_b32 s0, s12
	s_branch .LBB352_311
.LBB352_270:
	s_mov_b32 s17, -1
	s_mov_b32 s0, 0
	s_mov_b32 s16, s14
                                        ; implicit-def: $vgpr2
	s_branch .LBB352_397
.LBB352_271:
	s_mov_b32 s19, -1
	s_mov_b32 s17, 0
	s_mov_b32 s0, s12
	s_branch .LBB352_294
.LBB352_272:
	s_or_saveexec_b32 s18, s18
                                        ; implicit-def: $sgpr19
	s_delay_alu instid0(SALU_CYCLE_1)
	s_xor_b32 exec_lo, exec_lo, s18
	s_cbranch_execz .LBB352_54
.LBB352_273:
	v_add_f32_e32 v4, 0x46000000, v5
	s_and_not1_b32 s17, s17, exec_lo
	s_mov_b32 s19, 0
	s_delay_alu instid0(VALU_DEP_1) | instskip(NEXT) | instid1(VALU_DEP_1)
	v_and_b32_e32 v4, 0xff, v4
	v_cmp_ne_u32_e32 vcc_lo, 0, v4
	s_and_b32 s20, vcc_lo, exec_lo
	s_delay_alu instid0(SALU_CYCLE_1)
	s_or_b32 s17, s17, s20
	s_or_b32 exec_lo, exec_lo, s18
	v_mov_b32_e32 v6, s19
	s_and_saveexec_b32 s18, s17
	s_cbranch_execnz .LBB352_55
	s_branch .LBB352_56
.LBB352_274:
	s_mov_b32 s17, -1
	s_mov_b32 s0, 0
	s_mov_b32 s16, s14
	s_branch .LBB352_279
.LBB352_275:
	s_mov_b32 s19, -1
	s_mov_b32 s17, 0
	s_mov_b32 s0, s12
	s_branch .LBB352_290
.LBB352_276:
	s_or_saveexec_b32 s18, s18
                                        ; implicit-def: $sgpr19
	s_delay_alu instid0(SALU_CYCLE_1)
	s_xor_b32 exec_lo, exec_lo, s18
	s_cbranch_execz .LBB352_67
.LBB352_277:
	v_add_f32_e32 v4, 0x42800000, v5
	s_and_not1_b32 s17, s17, exec_lo
	s_mov_b32 s19, 0
	s_delay_alu instid0(VALU_DEP_1) | instskip(NEXT) | instid1(VALU_DEP_1)
	v_and_b32_e32 v4, 0xff, v4
	v_cmp_ne_u32_e32 vcc_lo, 0, v4
	s_and_b32 s20, vcc_lo, exec_lo
	s_delay_alu instid0(SALU_CYCLE_1)
	s_or_b32 s17, s17, s20
	s_or_b32 exec_lo, exec_lo, s18
	v_mov_b32_e32 v6, s19
	s_and_saveexec_b32 s18, s17
	s_cbranch_execnz .LBB352_68
	s_branch .LBB352_69
.LBB352_278:
	s_mov_b32 s16, -1
	s_mov_b32 s0, 0
.LBB352_279:
                                        ; implicit-def: $vgpr2
.LBB352_280:
	s_and_b32 vcc_lo, exec_lo, s17
	s_cbranch_vccz .LBB352_396
; %bb.281:
	v_cmp_eq_u16_e32 vcc_lo, 44, v4
	s_cbranch_vccz .LBB352_395
; %bb.282:
	global_load_u8 v2, v[0:1], off
	s_mov_b32 s16, 0
	s_mov_b32 s0, -1
	s_waitcnt vmcnt(0)
	v_lshlrev_b32_e32 v3, 23, v2
	v_cmp_ne_u32_e32 vcc_lo, 0, v2
	s_delay_alu instid0(VALU_DEP_2) | instskip(NEXT) | instid1(VALU_DEP_1)
	v_trunc_f32_e32 v3, v3
	v_mul_f32_e64 v5, 0x2f800000, |v3|
	s_delay_alu instid0(VALU_DEP_1) | instskip(NEXT) | instid1(VALU_DEP_1)
	v_floor_f32_e32 v5, v5
	v_fma_f32 v5, 0xcf800000, v5, |v3|
	v_ashrrev_i32_e32 v3, 31, v3
	s_delay_alu instid0(VALU_DEP_2) | instskip(NEXT) | instid1(VALU_DEP_1)
	v_cvt_u32_f32_e32 v5, v5
	v_xor_b32_e32 v5, v5, v3
	s_delay_alu instid0(VALU_DEP_1) | instskip(NEXT) | instid1(VALU_DEP_1)
	v_sub_nc_u32_e32 v3, v5, v3
	v_cndmask_b32_e32 v2, 0, v3, vcc_lo
	s_branch .LBB352_396
.LBB352_283:
	s_mov_b32 s19, -1
	s_mov_b32 s17, 0
	s_mov_b32 s0, s12
.LBB352_284:
	s_and_b32 vcc_lo, exec_lo, s19
	s_cbranch_vccz .LBB352_289
; %bb.285:
	v_cmp_eq_u16_e32 vcc_lo, 44, v3
	s_mov_b32 s0, -1
	s_cbranch_vccz .LBB352_289
; %bb.286:
	v_cvt_f32_ubyte0_e32 v6, v2
	v_mov_b32_e32 v5, 0xff
	s_mov_b32 s17, exec_lo
	s_delay_alu instid0(VALU_DEP_2) | instskip(NEXT) | instid1(VALU_DEP_1)
	v_lshrrev_b32_e32 v4, 23, v6
	v_cmpx_ne_u32_e32 0xff, v4
; %bb.287:
	v_and_b32_e32 v5, 0x400000, v6
	v_and_or_b32 v6, 0x3fffff, v6, v4
	s_delay_alu instid0(VALU_DEP_2) | instskip(NEXT) | instid1(VALU_DEP_2)
	v_cmp_ne_u32_e32 vcc_lo, 0, v5
	v_cmp_ne_u32_e64 s0, 0, v6
	s_delay_alu instid0(VALU_DEP_1) | instskip(NEXT) | instid1(SALU_CYCLE_1)
	s_and_b32 s0, vcc_lo, s0
	v_cndmask_b32_e64 v5, 0, 1, s0
	s_delay_alu instid0(VALU_DEP_1)
	v_add_nc_u32_e32 v5, v4, v5
; %bb.288:
	s_or_b32 exec_lo, exec_lo, s17
	s_mov_b32 s17, -1
	s_mov_b32 s0, 0
	global_store_b8 v[0:1], v5, off
.LBB352_289:
	s_mov_b32 s19, 0
.LBB352_290:
	s_delay_alu instid0(SALU_CYCLE_1)
	s_and_b32 vcc_lo, exec_lo, s19
	s_cbranch_vccz .LBB352_293
; %bb.291:
	v_cmp_eq_u16_e32 vcc_lo, 29, v3
	s_mov_b32 s0, -1
	s_cbranch_vccz .LBB352_293
; %bb.292:
	s_mov_b32 s0, 0
	s_delay_alu instid0(SALU_CYCLE_1)
	v_dual_mov_b32 v5, s0 :: v_dual_and_b32 v4, 0xffff, v2
	s_mov_b32 s17, -1
	s_mov_b32 s19, 0
	global_store_b64 v[0:1], v[4:5], off
	s_branch .LBB352_294
.LBB352_293:
	s_mov_b32 s19, 0
.LBB352_294:
	s_delay_alu instid0(SALU_CYCLE_1)
	s_and_b32 vcc_lo, exec_lo, s19
	s_cbranch_vccz .LBB352_310
; %bb.295:
	v_cmp_gt_i16_e32 vcc_lo, 27, v3
	s_mov_b32 s17, -1
	s_cbranch_vccnz .LBB352_301
; %bb.296:
	v_cmp_lt_i16_e32 vcc_lo, 27, v3
	s_cbranch_vccz .LBB352_298
; %bb.297:
	v_and_b32_e32 v4, 0xffff, v2
	s_mov_b32 s17, 0
	global_store_b32 v[0:1], v4, off
.LBB352_298:
	s_and_not1_b32 vcc_lo, exec_lo, s17
	s_cbranch_vccnz .LBB352_300
; %bb.299:
	global_store_b16 v[0:1], v2, off
.LBB352_300:
	s_mov_b32 s17, 0
.LBB352_301:
	s_delay_alu instid0(SALU_CYCLE_1)
	s_and_not1_b32 vcc_lo, exec_lo, s17
	s_cbranch_vccnz .LBB352_309
; %bb.302:
	v_cvt_f32_ubyte0_e32 v5, v2
	v_mov_b32_e32 v6, 0x80
	s_mov_b32 s17, exec_lo
	s_delay_alu instid0(VALU_DEP_2)
	v_cmpx_gt_u32_e32 0x43800000, v5
	s_cbranch_execz .LBB352_308
; %bb.303:
	s_mov_b32 s19, 0
	s_mov_b32 s20, exec_lo
                                        ; implicit-def: $vgpr4
	v_cmpx_lt_u32_e32 0x3bffffff, v5
	s_xor_b32 s20, exec_lo, s20
	s_cbranch_execz .LBB352_517
; %bb.304:
	v_bfe_u32 v4, v5, 20, 1
	s_mov_b32 s19, exec_lo
	s_delay_alu instid0(VALU_DEP_1) | instskip(NEXT) | instid1(VALU_DEP_1)
	v_add3_u32 v4, v5, v4, 0x487ffff
                                        ; implicit-def: $vgpr5
	v_lshrrev_b32_e32 v4, 20, v4
	s_or_saveexec_b32 s20, s20
                                        ; implicit-def: $sgpr21
	s_delay_alu instid0(SALU_CYCLE_1)
	s_xor_b32 exec_lo, exec_lo, s20
	s_cbranch_execnz .LBB352_518
.LBB352_305:
	s_or_b32 exec_lo, exec_lo, s20
	v_mov_b32_e32 v6, s21
	s_and_saveexec_b32 s20, s19
.LBB352_306:
	v_mov_b32_e32 v6, v4
.LBB352_307:
	s_or_b32 exec_lo, exec_lo, s20
.LBB352_308:
	s_delay_alu instid0(SALU_CYCLE_1)
	s_or_b32 exec_lo, exec_lo, s17
	global_store_b8 v[0:1], v6, off
.LBB352_309:
	s_mov_b32 s17, -1
.LBB352_310:
	s_mov_b32 s19, 0
.LBB352_311:
	s_delay_alu instid0(SALU_CYCLE_1)
	s_and_b32 vcc_lo, exec_lo, s19
	s_cbranch_vccz .LBB352_352
; %bb.312:
	v_cmp_lt_i16_e32 vcc_lo, 22, v3
	s_mov_b32 s19, -1
	s_cbranch_vccz .LBB352_344
; %bb.313:
	v_cmp_gt_i16_e32 vcc_lo, 24, v3
	s_mov_b32 s17, -1
	s_cbranch_vccnz .LBB352_333
; %bb.314:
	v_cmp_lt_i16_e32 vcc_lo, 24, v3
	s_cbranch_vccz .LBB352_322
; %bb.315:
	v_cvt_f32_ubyte0_e32 v5, v2
	v_mov_b32_e32 v6, 0x80
	s_mov_b32 s17, exec_lo
	s_delay_alu instid0(VALU_DEP_2)
	v_cmpx_gt_u32_e32 0x47800000, v5
	s_cbranch_execz .LBB352_321
; %bb.316:
	s_mov_b32 s19, 0
	s_mov_b32 s20, exec_lo
                                        ; implicit-def: $vgpr4
	v_cmpx_lt_u32_e32 0x37ffffff, v5
	s_xor_b32 s20, exec_lo, s20
	s_cbranch_execz .LBB352_520
; %bb.317:
	v_bfe_u32 v4, v5, 21, 1
	s_mov_b32 s19, exec_lo
	s_delay_alu instid0(VALU_DEP_1) | instskip(NEXT) | instid1(VALU_DEP_1)
	v_add3_u32 v4, v5, v4, 0x88fffff
                                        ; implicit-def: $vgpr5
	v_lshrrev_b32_e32 v4, 21, v4
	s_or_saveexec_b32 s20, s20
                                        ; implicit-def: $sgpr21
	s_delay_alu instid0(SALU_CYCLE_1)
	s_xor_b32 exec_lo, exec_lo, s20
	s_cbranch_execnz .LBB352_521
.LBB352_318:
	s_or_b32 exec_lo, exec_lo, s20
	v_mov_b32_e32 v6, s21
	s_and_saveexec_b32 s20, s19
.LBB352_319:
	v_mov_b32_e32 v6, v4
.LBB352_320:
	s_or_b32 exec_lo, exec_lo, s20
.LBB352_321:
	s_delay_alu instid0(SALU_CYCLE_1)
	s_or_b32 exec_lo, exec_lo, s17
	s_mov_b32 s17, 0
	global_store_b8 v[0:1], v6, off
.LBB352_322:
	s_and_b32 vcc_lo, exec_lo, s17
	s_cbranch_vccz .LBB352_332
; %bb.323:
	v_cvt_f32_ubyte0_e32 v5, v2
	s_mov_b32 s17, exec_lo
                                        ; implicit-def: $vgpr4
	s_delay_alu instid0(VALU_DEP_1)
	v_cmpx_gt_u32_e32 0x43f00000, v5
	s_xor_b32 s17, exec_lo, s17
	s_cbranch_execz .LBB352_329
; %bb.324:
	s_mov_b32 s19, exec_lo
                                        ; implicit-def: $vgpr4
	v_cmpx_lt_u32_e32 0x3c7fffff, v5
	s_xor_b32 s19, exec_lo, s19
; %bb.325:
	v_bfe_u32 v4, v5, 20, 1
	s_delay_alu instid0(VALU_DEP_1) | instskip(NEXT) | instid1(VALU_DEP_1)
	v_add3_u32 v4, v5, v4, 0x407ffff
	v_and_b32_e32 v5, 0xff00000, v4
	v_lshrrev_b32_e32 v4, 20, v4
	s_delay_alu instid0(VALU_DEP_2) | instskip(NEXT) | instid1(VALU_DEP_2)
	v_cmp_ne_u32_e32 vcc_lo, 0x7f00000, v5
                                        ; implicit-def: $vgpr5
	v_cndmask_b32_e32 v4, 0x7e, v4, vcc_lo
; %bb.326:
	s_and_not1_saveexec_b32 s19, s19
; %bb.327:
	v_add_f32_e32 v4, 0x46800000, v5
; %bb.328:
	s_or_b32 exec_lo, exec_lo, s19
                                        ; implicit-def: $vgpr5
.LBB352_329:
	s_and_not1_saveexec_b32 s17, s17
; %bb.330:
	v_mov_b32_e32 v4, 0x7f
	v_cmp_lt_u32_e32 vcc_lo, 0x7f800000, v5
	s_delay_alu instid0(VALU_DEP_2)
	v_cndmask_b32_e32 v4, 0x7e, v4, vcc_lo
; %bb.331:
	s_or_b32 exec_lo, exec_lo, s17
	global_store_b8 v[0:1], v4, off
.LBB352_332:
	s_mov_b32 s17, 0
.LBB352_333:
	s_delay_alu instid0(SALU_CYCLE_1)
	s_and_not1_b32 vcc_lo, exec_lo, s17
	s_cbranch_vccnz .LBB352_343
; %bb.334:
	v_cvt_f32_ubyte0_e32 v5, v2
	s_mov_b32 s17, exec_lo
                                        ; implicit-def: $vgpr4
	s_delay_alu instid0(VALU_DEP_1)
	v_cmpx_gt_u32_e32 0x47800000, v5
	s_xor_b32 s17, exec_lo, s17
	s_cbranch_execz .LBB352_340
; %bb.335:
	s_mov_b32 s19, exec_lo
                                        ; implicit-def: $vgpr4
	v_cmpx_lt_u32_e32 0x387fffff, v5
	s_xor_b32 s19, exec_lo, s19
; %bb.336:
	v_bfe_u32 v4, v5, 21, 1
	s_delay_alu instid0(VALU_DEP_1) | instskip(NEXT) | instid1(VALU_DEP_1)
	v_add3_u32 v4, v5, v4, 0x80fffff
                                        ; implicit-def: $vgpr5
	v_lshrrev_b32_e32 v4, 21, v4
; %bb.337:
	s_and_not1_saveexec_b32 s19, s19
; %bb.338:
	v_add_f32_e32 v4, 0x43000000, v5
; %bb.339:
	s_or_b32 exec_lo, exec_lo, s19
                                        ; implicit-def: $vgpr5
.LBB352_340:
	s_and_not1_saveexec_b32 s17, s17
; %bb.341:
	v_mov_b32_e32 v4, 0x7f
	v_cmp_lt_u32_e32 vcc_lo, 0x7f800000, v5
	s_delay_alu instid0(VALU_DEP_2)
	v_cndmask_b32_e32 v4, 0x7c, v4, vcc_lo
; %bb.342:
	s_or_b32 exec_lo, exec_lo, s17
	global_store_b8 v[0:1], v4, off
.LBB352_343:
	s_mov_b32 s19, 0
	s_mov_b32 s17, -1
.LBB352_344:
	s_and_not1_b32 vcc_lo, exec_lo, s19
	s_cbranch_vccnz .LBB352_352
; %bb.345:
	v_cmp_lt_i16_e32 vcc_lo, 14, v3
	s_mov_b32 s19, -1
	s_cbranch_vccz .LBB352_349
; %bb.346:
	v_cmp_eq_u16_e32 vcc_lo, 15, v3
	s_mov_b32 s0, -1
	s_cbranch_vccz .LBB352_348
; %bb.347:
	v_cvt_f32_ubyte0_e32 v4, v2
	s_mov_b32 s17, -1
	s_mov_b32 s0, 0
	s_delay_alu instid0(VALU_DEP_1) | instskip(NEXT) | instid1(VALU_DEP_1)
	v_bfe_u32 v5, v4, 16, 1
	v_add3_u32 v4, v4, v5, 0x7fff
	global_store_d16_hi_b16 v[0:1], v4, off
.LBB352_348:
	s_mov_b32 s19, 0
.LBB352_349:
	s_delay_alu instid0(SALU_CYCLE_1)
	s_and_b32 vcc_lo, exec_lo, s19
	s_cbranch_vccz .LBB352_352
; %bb.350:
	v_cmp_eq_u16_e32 vcc_lo, 11, v3
	s_mov_b32 s0, -1
	s_cbranch_vccz .LBB352_352
; %bb.351:
	v_cmp_ne_u16_e32 vcc_lo, 0, v2
	s_mov_b32 s0, 0
	s_mov_b32 s17, -1
	v_cndmask_b32_e64 v4, 0, 1, vcc_lo
	global_store_b8 v[0:1], v4, off
.LBB352_352:
	s_mov_b32 s19, 0
.LBB352_353:
	s_delay_alu instid0(SALU_CYCLE_1)
	s_and_b32 vcc_lo, exec_lo, s19
	s_cbranch_vccz .LBB352_392
; %bb.354:
	v_cmp_gt_i16_e32 vcc_lo, 5, v3
	s_mov_b32 s17, -1
	s_cbranch_vccnz .LBB352_375
; %bb.355:
	v_cmp_gt_i16_e32 vcc_lo, 8, v3
	s_cbranch_vccnz .LBB352_365
; %bb.356:
	v_cmp_gt_i16_e32 vcc_lo, 9, v3
	s_cbranch_vccnz .LBB352_362
; %bb.357:
	v_cmp_lt_i16_e32 vcc_lo, 9, v3
	s_cbranch_vccz .LBB352_359
; %bb.358:
	v_mov_b32_e32 v10, 0
	v_and_b32_e32 v4, 0xffff, v2
	s_mov_b32 s17, 0
	s_delay_alu instid0(VALU_DEP_2) | instskip(NEXT) | instid1(VALU_DEP_2)
	v_mov_b32_e32 v11, v10
	v_cvt_f64_u32_e32 v[8:9], v4
	global_store_b128 v[0:1], v[8:11], off
.LBB352_359:
	s_and_not1_b32 vcc_lo, exec_lo, s17
	s_cbranch_vccnz .LBB352_361
; %bb.360:
	v_cvt_f32_ubyte0_e32 v4, v2
	v_mov_b32_e32 v5, 0
	global_store_b64 v[0:1], v[4:5], off
.LBB352_361:
	s_mov_b32 s17, 0
.LBB352_362:
	s_delay_alu instid0(SALU_CYCLE_1)
	s_and_not1_b32 vcc_lo, exec_lo, s17
	s_cbranch_vccnz .LBB352_364
; %bb.363:
	v_cvt_f16_u16_e32 v4, v2
	s_delay_alu instid0(VALU_DEP_1)
	v_and_b32_e32 v4, 0xffff, v4
	global_store_b32 v[0:1], v4, off
.LBB352_364:
	s_mov_b32 s17, 0
.LBB352_365:
	s_delay_alu instid0(SALU_CYCLE_1)
	s_and_not1_b32 vcc_lo, exec_lo, s17
	s_cbranch_vccnz .LBB352_374
; %bb.366:
	v_cmp_gt_i16_e32 vcc_lo, 6, v3
	s_mov_b32 s17, -1
	s_cbranch_vccnz .LBB352_372
; %bb.367:
	v_cmp_lt_i16_e32 vcc_lo, 6, v3
	s_cbranch_vccz .LBB352_369
; %bb.368:
	v_and_b32_e32 v4, 0xffff, v2
	s_mov_b32 s17, 0
	s_delay_alu instid0(VALU_DEP_1)
	v_cvt_f64_u32_e32 v[4:5], v4
	global_store_b64 v[0:1], v[4:5], off
.LBB352_369:
	s_and_not1_b32 vcc_lo, exec_lo, s17
	s_cbranch_vccnz .LBB352_371
; %bb.370:
	v_cvt_f32_ubyte0_e32 v4, v2
	global_store_b32 v[0:1], v4, off
.LBB352_371:
	s_mov_b32 s17, 0
.LBB352_372:
	s_delay_alu instid0(SALU_CYCLE_1)
	s_and_not1_b32 vcc_lo, exec_lo, s17
	s_cbranch_vccnz .LBB352_374
; %bb.373:
	v_cvt_f16_u16_e32 v4, v2
	global_store_b16 v[0:1], v4, off
.LBB352_374:
	s_mov_b32 s17, 0
.LBB352_375:
	s_delay_alu instid0(SALU_CYCLE_1)
	s_and_not1_b32 vcc_lo, exec_lo, s17
	s_cbranch_vccnz .LBB352_391
; %bb.376:
	v_cmp_gt_i16_e32 vcc_lo, 2, v3
	s_mov_b32 s17, -1
	s_cbranch_vccnz .LBB352_386
; %bb.377:
	v_cmp_gt_i16_e32 vcc_lo, 3, v3
	s_cbranch_vccnz .LBB352_383
; %bb.378:
	v_cmp_lt_i16_e32 vcc_lo, 3, v3
	s_cbranch_vccz .LBB352_380
; %bb.379:
	s_mov_b32 s17, 0
	s_delay_alu instid0(SALU_CYCLE_1)
	v_dual_mov_b32 v5, s17 :: v_dual_and_b32 v4, 0xffff, v2
	global_store_b64 v[0:1], v[4:5], off
.LBB352_380:
	s_and_not1_b32 vcc_lo, exec_lo, s17
	s_cbranch_vccnz .LBB352_382
; %bb.381:
	v_and_b32_e32 v4, 0xffff, v2
	global_store_b32 v[0:1], v4, off
.LBB352_382:
	s_mov_b32 s17, 0
.LBB352_383:
	s_delay_alu instid0(SALU_CYCLE_1)
	s_and_not1_b32 vcc_lo, exec_lo, s17
	s_cbranch_vccnz .LBB352_385
; %bb.384:
	global_store_b16 v[0:1], v2, off
.LBB352_385:
	s_mov_b32 s17, 0
.LBB352_386:
	s_delay_alu instid0(SALU_CYCLE_1)
	s_and_not1_b32 vcc_lo, exec_lo, s17
	s_cbranch_vccnz .LBB352_391
; %bb.387:
	v_cmp_lt_i16_e32 vcc_lo, 0, v3
	s_mov_b32 s17, -1
	s_cbranch_vccz .LBB352_389
; %bb.388:
	s_mov_b32 s17, 0
	global_store_b8 v[0:1], v2, off
.LBB352_389:
	s_and_not1_b32 vcc_lo, exec_lo, s17
	s_cbranch_vccnz .LBB352_391
; %bb.390:
	global_store_b8 v[0:1], v2, off
.LBB352_391:
	s_mov_b32 s17, -1
.LBB352_392:
	s_delay_alu instid0(SALU_CYCLE_1)
	s_and_not1_b32 vcc_lo, exec_lo, s17
	s_cbranch_vccnz .LBB352_394
; %bb.393:
	v_add_nc_u32_e32 v7, 0x80, v7
	s_mov_b32 s19, -1
	s_branch .LBB352_503
.LBB352_394:
	s_mov_b32 s19, 0
	s_branch .LBB352_502
.LBB352_395:
	s_mov_b32 s16, -1
                                        ; implicit-def: $vgpr2
.LBB352_396:
	s_mov_b32 s17, 0
.LBB352_397:
	s_delay_alu instid0(SALU_CYCLE_1)
	s_and_b32 vcc_lo, exec_lo, s17
	s_cbranch_vccz .LBB352_401
; %bb.398:
	v_cmp_eq_u16_e32 vcc_lo, 29, v4
	s_cbranch_vccz .LBB352_400
; %bb.399:
	global_load_b64 v[2:3], v[0:1], off
	s_mov_b32 s0, -1
	s_mov_b32 s16, 0
	s_branch .LBB352_401
.LBB352_400:
	s_mov_b32 s16, -1
                                        ; implicit-def: $vgpr2
.LBB352_401:
	s_mov_b32 s17, 0
.LBB352_402:
	s_delay_alu instid0(SALU_CYCLE_1)
	s_and_b32 vcc_lo, exec_lo, s17
	s_cbranch_vccz .LBB352_418
; %bb.403:
	v_cmp_gt_i16_e32 vcc_lo, 27, v4
	s_cbranch_vccnz .LBB352_406
; %bb.404:
	v_cmp_lt_i16_e32 vcc_lo, 27, v4
	s_cbranch_vccz .LBB352_407
; %bb.405:
	global_load_b32 v2, v[0:1], off
	s_mov_b32 s0, 0
	s_branch .LBB352_408
.LBB352_406:
	s_mov_b32 s0, -1
                                        ; implicit-def: $vgpr2
	s_branch .LBB352_411
.LBB352_407:
	s_mov_b32 s0, -1
                                        ; implicit-def: $vgpr2
.LBB352_408:
	s_delay_alu instid0(SALU_CYCLE_1)
	s_and_not1_b32 vcc_lo, exec_lo, s0
	s_cbranch_vccnz .LBB352_410
; %bb.409:
	global_load_u16 v2, v[0:1], off
.LBB352_410:
	s_mov_b32 s0, 0
.LBB352_411:
	s_delay_alu instid0(SALU_CYCLE_1)
	s_and_not1_b32 vcc_lo, exec_lo, s0
	s_cbranch_vccnz .LBB352_417
; %bb.412:
	global_load_u8 v3, v[0:1], off
	s_mov_b32 s17, 0
	s_mov_b32 s0, exec_lo
                                        ; implicit-def: $sgpr19
	s_waitcnt vmcnt(0)
	v_cmpx_lt_i16_e32 0x7f, v3
	s_xor_b32 s0, exec_lo, s0
	s_cbranch_execz .LBB352_429
; %bb.413:
	v_cmp_ne_u16_e32 vcc_lo, 0x80, v3
	s_mov_b32 s19, 0
	s_and_b32 s17, vcc_lo, exec_lo
	s_or_saveexec_b32 s0, s0
	v_mov_b32_e32 v2, s19
	s_xor_b32 exec_lo, exec_lo, s0
	s_cbranch_execnz .LBB352_430
.LBB352_414:
	s_or_b32 exec_lo, exec_lo, s0
	s_and_saveexec_b32 s0, s17
	s_cbranch_execz .LBB352_416
.LBB352_415:
	v_and_b32_e32 v2, 0xffff, v3
	s_delay_alu instid0(VALU_DEP_1) | instskip(NEXT) | instid1(VALU_DEP_1)
	v_and_b32_e32 v5, 7, v2
	v_clz_i32_u32_e32 v6, v5
	s_delay_alu instid0(VALU_DEP_1) | instskip(NEXT) | instid1(VALU_DEP_1)
	v_min_u32_e32 v6, 32, v6
	v_subrev_nc_u32_e32 v8, 28, v6
	v_sub_nc_u32_e32 v6, 29, v6
	s_delay_alu instid0(VALU_DEP_2) | instskip(SKIP_1) | instid1(VALU_DEP_2)
	v_lshlrev_b32_e32 v8, v8, v2
	v_bfe_u32 v2, v2, 3, 4
	v_and_b32_e32 v8, 7, v8
	s_delay_alu instid0(VALU_DEP_2) | instskip(SKIP_1) | instid1(VALU_DEP_3)
	v_cmp_eq_u32_e32 vcc_lo, 0, v2
	v_dual_cndmask_b32 v2, v2, v6 :: v_dual_lshlrev_b32 v3, 24, v3
	v_cndmask_b32_e32 v5, v5, v8, vcc_lo
	s_delay_alu instid0(VALU_DEP_2) | instskip(NEXT) | instid1(VALU_DEP_3)
	v_and_b32_e32 v3, 0x80000000, v3
	v_lshl_add_u32 v2, v2, 23, 0x3b800000
	s_delay_alu instid0(VALU_DEP_3) | instskip(NEXT) | instid1(VALU_DEP_1)
	v_lshlrev_b32_e32 v5, 20, v5
	v_or3_b32 v2, v3, v2, v5
	s_delay_alu instid0(VALU_DEP_1) | instskip(NEXT) | instid1(VALU_DEP_1)
	v_trunc_f32_e32 v2, v2
	v_mul_f32_e64 v3, 0x2f800000, |v2|
	s_delay_alu instid0(VALU_DEP_1) | instskip(NEXT) | instid1(VALU_DEP_1)
	v_floor_f32_e32 v3, v3
	v_fma_f32 v3, 0xcf800000, v3, |v2|
	v_ashrrev_i32_e32 v2, 31, v2
	s_delay_alu instid0(VALU_DEP_2) | instskip(NEXT) | instid1(VALU_DEP_1)
	v_cvt_u32_f32_e32 v3, v3
	v_xor_b32_e32 v3, v3, v2
	s_delay_alu instid0(VALU_DEP_1)
	v_sub_nc_u32_e32 v2, v3, v2
.LBB352_416:
	s_or_b32 exec_lo, exec_lo, s0
.LBB352_417:
	s_mov_b32 s0, -1
.LBB352_418:
	s_mov_b32 s17, 0
.LBB352_419:
	s_delay_alu instid0(SALU_CYCLE_1)
	s_and_b32 vcc_lo, exec_lo, s17
	s_cbranch_vccz .LBB352_452
; %bb.420:
	v_cmp_lt_i16_e32 vcc_lo, 22, v4
	s_cbranch_vccz .LBB352_428
; %bb.421:
	v_cmp_gt_i16_e32 vcc_lo, 24, v4
	s_cbranch_vccnz .LBB352_431
; %bb.422:
	v_cmp_lt_i16_e32 vcc_lo, 24, v4
	s_cbranch_vccz .LBB352_432
; %bb.423:
	global_load_u8 v3, v[0:1], off
	s_mov_b32 s17, 0
	s_mov_b32 s0, exec_lo
                                        ; implicit-def: $sgpr19
	s_waitcnt vmcnt(0)
	v_cmpx_lt_i16_e32 0x7f, v3
	s_xor_b32 s0, exec_lo, s0
	s_cbranch_execz .LBB352_444
; %bb.424:
	v_cmp_ne_u16_e32 vcc_lo, 0x80, v3
	s_mov_b32 s19, 0
	s_and_b32 s17, vcc_lo, exec_lo
	s_or_saveexec_b32 s0, s0
	v_mov_b32_e32 v2, s19
	s_xor_b32 exec_lo, exec_lo, s0
	s_cbranch_execnz .LBB352_445
.LBB352_425:
	s_or_b32 exec_lo, exec_lo, s0
	s_and_saveexec_b32 s0, s17
	s_cbranch_execz .LBB352_427
.LBB352_426:
	v_and_b32_e32 v2, 0xffff, v3
	s_delay_alu instid0(VALU_DEP_1) | instskip(NEXT) | instid1(VALU_DEP_1)
	v_and_b32_e32 v5, 3, v2
	v_clz_i32_u32_e32 v6, v5
	s_delay_alu instid0(VALU_DEP_1) | instskip(NEXT) | instid1(VALU_DEP_1)
	v_min_u32_e32 v6, 32, v6
	v_subrev_nc_u32_e32 v8, 29, v6
	v_sub_nc_u32_e32 v6, 30, v6
	s_delay_alu instid0(VALU_DEP_2) | instskip(SKIP_1) | instid1(VALU_DEP_2)
	v_lshlrev_b32_e32 v8, v8, v2
	v_bfe_u32 v2, v2, 2, 5
	v_and_b32_e32 v8, 3, v8
	s_delay_alu instid0(VALU_DEP_2) | instskip(SKIP_1) | instid1(VALU_DEP_3)
	v_cmp_eq_u32_e32 vcc_lo, 0, v2
	v_dual_cndmask_b32 v2, v2, v6 :: v_dual_lshlrev_b32 v3, 24, v3
	v_cndmask_b32_e32 v5, v5, v8, vcc_lo
	s_delay_alu instid0(VALU_DEP_2) | instskip(NEXT) | instid1(VALU_DEP_3)
	v_and_b32_e32 v3, 0x80000000, v3
	v_lshl_add_u32 v2, v2, 23, 0x37800000
	s_delay_alu instid0(VALU_DEP_3) | instskip(NEXT) | instid1(VALU_DEP_1)
	v_lshlrev_b32_e32 v5, 21, v5
	v_or3_b32 v2, v3, v2, v5
	s_delay_alu instid0(VALU_DEP_1) | instskip(NEXT) | instid1(VALU_DEP_1)
	v_trunc_f32_e32 v2, v2
	v_mul_f32_e64 v3, 0x2f800000, |v2|
	s_delay_alu instid0(VALU_DEP_1) | instskip(NEXT) | instid1(VALU_DEP_1)
	v_floor_f32_e32 v3, v3
	v_fma_f32 v3, 0xcf800000, v3, |v2|
	v_ashrrev_i32_e32 v2, 31, v2
	s_delay_alu instid0(VALU_DEP_2) | instskip(NEXT) | instid1(VALU_DEP_1)
	v_cvt_u32_f32_e32 v3, v3
	v_xor_b32_e32 v3, v3, v2
	s_delay_alu instid0(VALU_DEP_1)
	v_sub_nc_u32_e32 v2, v3, v2
.LBB352_427:
	s_or_b32 exec_lo, exec_lo, s0
	s_mov_b32 s0, 0
	s_branch .LBB352_433
.LBB352_428:
	s_mov_b32 s17, -1
                                        ; implicit-def: $vgpr2
	s_branch .LBB352_439
.LBB352_429:
	s_or_saveexec_b32 s0, s0
	v_mov_b32_e32 v2, s19
	s_xor_b32 exec_lo, exec_lo, s0
	s_cbranch_execz .LBB352_414
.LBB352_430:
	v_cmp_ne_u16_e32 vcc_lo, 0, v3
	v_mov_b32_e32 v2, 0
	s_and_not1_b32 s17, s17, exec_lo
	s_and_b32 s19, vcc_lo, exec_lo
	s_delay_alu instid0(SALU_CYCLE_1)
	s_or_b32 s17, s17, s19
	s_or_b32 exec_lo, exec_lo, s0
	s_and_saveexec_b32 s0, s17
	s_cbranch_execnz .LBB352_415
	s_branch .LBB352_416
.LBB352_431:
	s_mov_b32 s0, -1
                                        ; implicit-def: $vgpr2
	s_branch .LBB352_436
.LBB352_432:
	s_mov_b32 s0, -1
                                        ; implicit-def: $vgpr2
.LBB352_433:
	s_delay_alu instid0(SALU_CYCLE_1)
	s_and_b32 vcc_lo, exec_lo, s0
	s_cbranch_vccz .LBB352_435
; %bb.434:
	global_load_u8 v2, v[0:1], off
	s_waitcnt vmcnt(0)
	v_lshlrev_b32_e32 v2, 24, v2
	s_delay_alu instid0(VALU_DEP_1) | instskip(NEXT) | instid1(VALU_DEP_1)
	v_and_b32_e32 v3, 0x7f000000, v2
	v_clz_i32_u32_e32 v5, v3
	v_add_nc_u32_e32 v8, 0x1000000, v3
	v_cmp_ne_u32_e32 vcc_lo, 0, v3
	s_delay_alu instid0(VALU_DEP_3) | instskip(NEXT) | instid1(VALU_DEP_1)
	v_min_u32_e32 v5, 32, v5
	v_sub_nc_u32_e64 v5, v5, 4 clamp
	s_delay_alu instid0(VALU_DEP_1) | instskip(SKIP_1) | instid1(VALU_DEP_2)
	v_lshlrev_b32_e32 v6, v5, v3
	v_lshlrev_b32_e32 v5, 23, v5
	v_lshrrev_b32_e32 v6, 4, v6
	s_delay_alu instid0(VALU_DEP_1) | instskip(SKIP_1) | instid1(VALU_DEP_2)
	v_sub_nc_u32_e32 v5, v6, v5
	v_ashrrev_i32_e32 v6, 8, v8
	v_add_nc_u32_e32 v5, 0x3c000000, v5
	s_delay_alu instid0(VALU_DEP_1) | instskip(NEXT) | instid1(VALU_DEP_1)
	v_and_or_b32 v5, 0x7f800000, v6, v5
	v_cndmask_b32_e32 v3, 0, v5, vcc_lo
	s_delay_alu instid0(VALU_DEP_1) | instskip(NEXT) | instid1(VALU_DEP_1)
	v_and_or_b32 v2, 0x80000000, v2, v3
	v_trunc_f32_e32 v2, v2
	s_delay_alu instid0(VALU_DEP_1) | instskip(NEXT) | instid1(VALU_DEP_1)
	v_mul_f32_e64 v3, 0x2f800000, |v2|
	v_floor_f32_e32 v3, v3
	s_delay_alu instid0(VALU_DEP_1) | instskip(SKIP_1) | instid1(VALU_DEP_2)
	v_fma_f32 v3, 0xcf800000, v3, |v2|
	v_ashrrev_i32_e32 v2, 31, v2
	v_cvt_u32_f32_e32 v3, v3
	s_delay_alu instid0(VALU_DEP_1) | instskip(NEXT) | instid1(VALU_DEP_1)
	v_xor_b32_e32 v3, v3, v2
	v_sub_nc_u32_e32 v2, v3, v2
.LBB352_435:
	s_mov_b32 s0, 0
.LBB352_436:
	s_delay_alu instid0(SALU_CYCLE_1)
	s_and_not1_b32 vcc_lo, exec_lo, s0
	s_cbranch_vccnz .LBB352_438
; %bb.437:
	global_load_u8 v2, v[0:1], off
	s_waitcnt vmcnt(0)
	v_lshlrev_b32_e32 v3, 25, v2
	v_lshlrev_b16 v2, 8, v2
	s_delay_alu instid0(VALU_DEP_2) | instskip(NEXT) | instid1(VALU_DEP_2)
	v_lshrrev_b32_e32 v5, 4, v3
	v_and_or_b32 v6, 0x7f00, v2, 0.5
	v_cmp_gt_u32_e32 vcc_lo, 0x8000000, v3
	v_bfe_i32 v2, v2, 0, 16
	s_delay_alu instid0(VALU_DEP_4) | instskip(NEXT) | instid1(VALU_DEP_1)
	v_or_b32_e32 v5, 0x70000000, v5
	v_dual_add_f32 v6, -0.5, v6 :: v_dual_mul_f32 v5, 0x7800000, v5
	s_delay_alu instid0(VALU_DEP_1) | instskip(NEXT) | instid1(VALU_DEP_1)
	v_cndmask_b32_e32 v3, v5, v6, vcc_lo
	v_and_or_b32 v2, 0x80000000, v2, v3
	s_delay_alu instid0(VALU_DEP_1) | instskip(NEXT) | instid1(VALU_DEP_1)
	v_trunc_f32_e32 v2, v2
	v_mul_f32_e64 v3, 0x2f800000, |v2|
	s_delay_alu instid0(VALU_DEP_1) | instskip(NEXT) | instid1(VALU_DEP_1)
	v_floor_f32_e32 v3, v3
	v_fma_f32 v3, 0xcf800000, v3, |v2|
	v_ashrrev_i32_e32 v2, 31, v2
	s_delay_alu instid0(VALU_DEP_2) | instskip(NEXT) | instid1(VALU_DEP_1)
	v_cvt_u32_f32_e32 v3, v3
	v_xor_b32_e32 v3, v3, v2
	s_delay_alu instid0(VALU_DEP_1)
	v_sub_nc_u32_e32 v2, v3, v2
.LBB352_438:
	s_mov_b32 s17, 0
	s_mov_b32 s0, -1
.LBB352_439:
	s_and_not1_b32 vcc_lo, exec_lo, s17
	s_cbranch_vccnz .LBB352_452
; %bb.440:
	v_cmp_lt_i16_e32 vcc_lo, 14, v4
	s_cbranch_vccz .LBB352_443
; %bb.441:
	v_cmp_eq_u16_e32 vcc_lo, 15, v4
	s_cbranch_vccz .LBB352_446
; %bb.442:
	global_load_u16 v2, v[0:1], off
	s_mov_b32 s0, -1
	s_mov_b32 s16, 0
	s_waitcnt vmcnt(0)
	v_lshlrev_b32_e32 v2, 16, v2
	s_delay_alu instid0(VALU_DEP_1) | instskip(NEXT) | instid1(VALU_DEP_1)
	v_trunc_f32_e32 v2, v2
	v_mul_f32_e64 v3, 0x2f800000, |v2|
	s_delay_alu instid0(VALU_DEP_1) | instskip(NEXT) | instid1(VALU_DEP_1)
	v_floor_f32_e32 v3, v3
	v_fma_f32 v3, 0xcf800000, v3, |v2|
	v_ashrrev_i32_e32 v2, 31, v2
	s_delay_alu instid0(VALU_DEP_2) | instskip(NEXT) | instid1(VALU_DEP_1)
	v_cvt_u32_f32_e32 v3, v3
	v_xor_b32_e32 v3, v3, v2
	s_delay_alu instid0(VALU_DEP_1)
	v_sub_nc_u32_e32 v2, v3, v2
	s_branch .LBB352_447
.LBB352_443:
	s_mov_b32 s17, -1
                                        ; implicit-def: $vgpr2
	s_branch .LBB352_448
.LBB352_444:
	s_or_saveexec_b32 s0, s0
	v_mov_b32_e32 v2, s19
	s_xor_b32 exec_lo, exec_lo, s0
	s_cbranch_execz .LBB352_425
.LBB352_445:
	v_cmp_ne_u16_e32 vcc_lo, 0, v3
	v_mov_b32_e32 v2, 0
	s_and_not1_b32 s17, s17, exec_lo
	s_and_b32 s19, vcc_lo, exec_lo
	s_delay_alu instid0(SALU_CYCLE_1)
	s_or_b32 s17, s17, s19
	s_or_b32 exec_lo, exec_lo, s0
	s_and_saveexec_b32 s0, s17
	s_cbranch_execnz .LBB352_426
	s_branch .LBB352_427
.LBB352_446:
	s_mov_b32 s16, -1
                                        ; implicit-def: $vgpr2
.LBB352_447:
	s_mov_b32 s17, 0
.LBB352_448:
	s_delay_alu instid0(SALU_CYCLE_1)
	s_and_b32 vcc_lo, exec_lo, s17
	s_cbranch_vccz .LBB352_452
; %bb.449:
	v_cmp_eq_u16_e32 vcc_lo, 11, v4
	s_cbranch_vccz .LBB352_451
; %bb.450:
	global_load_u8 v2, v[0:1], off
	s_mov_b32 s16, 0
	s_mov_b32 s0, -1
	s_waitcnt vmcnt(0)
	v_cmp_ne_u16_e32 vcc_lo, 0, v2
	v_cndmask_b32_e64 v2, 0, 1, vcc_lo
	s_branch .LBB352_452
.LBB352_451:
	s_mov_b32 s16, -1
                                        ; implicit-def: $vgpr2
.LBB352_452:
	s_branch .LBB352_258
.LBB352_453:
	v_cmp_gt_i16_e32 vcc_lo, 5, v4
	s_cbranch_vccnz .LBB352_458
; %bb.454:
	v_cmp_gt_i16_e32 vcc_lo, 8, v4
	s_cbranch_vccnz .LBB352_459
; %bb.455:
	;; [unrolled: 3-line block ×3, first 2 shown]
	v_cmp_lt_i16_e32 vcc_lo, 9, v4
	s_cbranch_vccz .LBB352_461
; %bb.457:
	global_load_b64 v[2:3], v[0:1], off
	s_mov_b32 s0, 0
	s_waitcnt vmcnt(0)
	v_trunc_f64_e32 v[2:3], v[2:3]
	s_delay_alu instid0(VALU_DEP_1) | instskip(NEXT) | instid1(VALU_DEP_1)
	v_ldexp_f64 v[5:6], v[2:3], 0xffffffe0
	v_floor_f64_e32 v[5:6], v[5:6]
	s_delay_alu instid0(VALU_DEP_1) | instskip(NEXT) | instid1(VALU_DEP_1)
	v_fma_f64 v[2:3], 0xc1f00000, v[5:6], v[2:3]
	v_cvt_u32_f64_e32 v2, v[2:3]
	s_branch .LBB352_462
.LBB352_458:
	s_mov_b32 s0, -1
                                        ; implicit-def: $vgpr2
	s_branch .LBB352_480
.LBB352_459:
	s_mov_b32 s0, -1
                                        ; implicit-def: $vgpr2
	s_branch .LBB352_468
.LBB352_460:
	s_mov_b32 s0, -1
                                        ; implicit-def: $vgpr2
	s_branch .LBB352_465
.LBB352_461:
	s_mov_b32 s0, -1
                                        ; implicit-def: $vgpr2
.LBB352_462:
	s_delay_alu instid0(SALU_CYCLE_1)
	s_and_not1_b32 vcc_lo, exec_lo, s0
	s_cbranch_vccnz .LBB352_464
; %bb.463:
	global_load_b32 v2, v[0:1], off
	s_waitcnt vmcnt(0)
	v_trunc_f32_e32 v2, v2
	s_delay_alu instid0(VALU_DEP_1) | instskip(NEXT) | instid1(VALU_DEP_1)
	v_mul_f32_e64 v3, 0x2f800000, |v2|
	v_floor_f32_e32 v3, v3
	s_delay_alu instid0(VALU_DEP_1) | instskip(SKIP_1) | instid1(VALU_DEP_2)
	v_fma_f32 v3, 0xcf800000, v3, |v2|
	v_ashrrev_i32_e32 v2, 31, v2
	v_cvt_u32_f32_e32 v3, v3
	s_delay_alu instid0(VALU_DEP_1) | instskip(NEXT) | instid1(VALU_DEP_1)
	v_xor_b32_e32 v3, v3, v2
	v_sub_nc_u32_e32 v2, v3, v2
.LBB352_464:
	s_mov_b32 s0, 0
.LBB352_465:
	s_delay_alu instid0(SALU_CYCLE_1)
	s_and_not1_b32 vcc_lo, exec_lo, s0
	s_cbranch_vccnz .LBB352_467
; %bb.466:
	global_load_b32 v2, v[0:1], off
	s_waitcnt vmcnt(0)
	v_cvt_f32_f16_e32 v2, v2
	s_delay_alu instid0(VALU_DEP_1)
	v_cvt_i32_f32_e32 v2, v2
.LBB352_467:
	s_mov_b32 s0, 0
.LBB352_468:
	s_delay_alu instid0(SALU_CYCLE_1)
	s_and_not1_b32 vcc_lo, exec_lo, s0
	s_cbranch_vccnz .LBB352_479
; %bb.469:
	v_cmp_gt_i16_e32 vcc_lo, 6, v4
	s_cbranch_vccnz .LBB352_472
; %bb.470:
	v_cmp_lt_i16_e32 vcc_lo, 6, v4
	s_cbranch_vccz .LBB352_473
; %bb.471:
	global_load_b64 v[2:3], v[0:1], off
	s_mov_b32 s0, 0
	s_waitcnt vmcnt(0)
	v_trunc_f64_e32 v[2:3], v[2:3]
	s_delay_alu instid0(VALU_DEP_1) | instskip(NEXT) | instid1(VALU_DEP_1)
	v_ldexp_f64 v[5:6], v[2:3], 0xffffffe0
	v_floor_f64_e32 v[5:6], v[5:6]
	s_delay_alu instid0(VALU_DEP_1) | instskip(NEXT) | instid1(VALU_DEP_1)
	v_fma_f64 v[2:3], 0xc1f00000, v[5:6], v[2:3]
	v_cvt_u32_f64_e32 v2, v[2:3]
	s_branch .LBB352_474
.LBB352_472:
	s_mov_b32 s0, -1
                                        ; implicit-def: $vgpr2
	s_branch .LBB352_477
.LBB352_473:
	s_mov_b32 s0, -1
                                        ; implicit-def: $vgpr2
.LBB352_474:
	s_delay_alu instid0(SALU_CYCLE_1)
	s_and_not1_b32 vcc_lo, exec_lo, s0
	s_cbranch_vccnz .LBB352_476
; %bb.475:
	global_load_b32 v2, v[0:1], off
	s_waitcnt vmcnt(0)
	v_trunc_f32_e32 v2, v2
	s_delay_alu instid0(VALU_DEP_1) | instskip(NEXT) | instid1(VALU_DEP_1)
	v_mul_f32_e64 v3, 0x2f800000, |v2|
	v_floor_f32_e32 v3, v3
	s_delay_alu instid0(VALU_DEP_1) | instskip(SKIP_1) | instid1(VALU_DEP_2)
	v_fma_f32 v3, 0xcf800000, v3, |v2|
	v_ashrrev_i32_e32 v2, 31, v2
	v_cvt_u32_f32_e32 v3, v3
	s_delay_alu instid0(VALU_DEP_1) | instskip(NEXT) | instid1(VALU_DEP_1)
	v_xor_b32_e32 v3, v3, v2
	v_sub_nc_u32_e32 v2, v3, v2
.LBB352_476:
	s_mov_b32 s0, 0
.LBB352_477:
	s_delay_alu instid0(SALU_CYCLE_1)
	s_and_not1_b32 vcc_lo, exec_lo, s0
	s_cbranch_vccnz .LBB352_479
; %bb.478:
	global_load_u16 v2, v[0:1], off
	s_waitcnt vmcnt(0)
	v_cvt_f32_f16_e32 v2, v2
	s_delay_alu instid0(VALU_DEP_1)
	v_cvt_i32_f32_e32 v2, v2
.LBB352_479:
	s_mov_b32 s0, 0
.LBB352_480:
	s_delay_alu instid0(SALU_CYCLE_1)
	s_and_not1_b32 vcc_lo, exec_lo, s0
	s_cbranch_vccnz .LBB352_500
; %bb.481:
	v_cmp_gt_i16_e32 vcc_lo, 2, v4
	s_cbranch_vccnz .LBB352_485
; %bb.482:
	v_cmp_gt_i16_e32 vcc_lo, 3, v4
	s_cbranch_vccnz .LBB352_486
; %bb.483:
	v_cmp_lt_i16_e32 vcc_lo, 3, v4
	s_cbranch_vccz .LBB352_487
; %bb.484:
	global_load_b64 v[2:3], v[0:1], off
	s_mov_b32 s0, 0
	s_branch .LBB352_488
.LBB352_485:
	s_mov_b32 s0, -1
                                        ; implicit-def: $vgpr2
	s_branch .LBB352_494
.LBB352_486:
	s_mov_b32 s0, -1
                                        ; implicit-def: $vgpr2
	s_branch .LBB352_491
.LBB352_487:
	s_mov_b32 s0, -1
                                        ; implicit-def: $vgpr2
.LBB352_488:
	s_delay_alu instid0(SALU_CYCLE_1)
	s_and_not1_b32 vcc_lo, exec_lo, s0
	s_cbranch_vccnz .LBB352_490
; %bb.489:
	global_load_b32 v2, v[0:1], off
.LBB352_490:
	s_mov_b32 s0, 0
.LBB352_491:
	s_delay_alu instid0(SALU_CYCLE_1)
	s_and_not1_b32 vcc_lo, exec_lo, s0
	s_cbranch_vccnz .LBB352_493
; %bb.492:
	global_load_u16 v2, v[0:1], off
.LBB352_493:
	s_mov_b32 s0, 0
.LBB352_494:
	s_delay_alu instid0(SALU_CYCLE_1)
	s_and_not1_b32 vcc_lo, exec_lo, s0
	s_cbranch_vccnz .LBB352_500
; %bb.495:
	v_cmp_lt_i16_e32 vcc_lo, 0, v4
	s_mov_b32 s0, 0
	s_cbranch_vccz .LBB352_497
; %bb.496:
	global_load_u8 v2, v[0:1], off
	s_branch .LBB352_498
.LBB352_497:
	s_mov_b32 s0, -1
                                        ; implicit-def: $vgpr2
.LBB352_498:
	s_delay_alu instid0(SALU_CYCLE_1)
	s_and_not1_b32 vcc_lo, exec_lo, s0
	s_cbranch_vccnz .LBB352_500
; %bb.499:
	global_load_u8 v2, v[0:1], off
.LBB352_500:
	s_branch .LBB352_259
.LBB352_501:
	s_mov_b32 s19, 0
	s_mov_b32 s0, s12
.LBB352_502:
                                        ; implicit-def: $vgpr7
.LBB352_503:
	s_and_not1_b32 s17, s12, exec_lo
	s_and_b32 s0, s0, exec_lo
	s_and_not1_b32 s20, s14, exec_lo
	s_and_b32 s16, s16, exec_lo
	s_or_b32 s17, s17, s0
	s_or_b32 s16, s20, s16
	s_or_not1_b32 s20, s19, exec_lo
.LBB352_504:
	s_or_b32 exec_lo, exec_lo, s18
	s_mov_b32 s19, 0
	s_mov_b32 s21, 0
	s_mov_b32 s0, 0
                                        ; implicit-def: $vgpr4
                                        ; implicit-def: $vgpr0_vgpr1
                                        ; implicit-def: $vgpr2
	s_and_saveexec_b32 s18, s20
	s_cbranch_execz .LBB352_843
; %bb.505:
	s_mov_b32 s0, -1
	s_mov_b32 s20, s16
	s_mov_b32 s21, s17
	s_mov_b32 s19, exec_lo
	v_cmpx_gt_i32_e64 s13, v7
	s_cbranch_execz .LBB352_761
; %bb.506:
	v_mul_lo_u32 v0, v7, s3
	v_and_b32_e64 v4, 0xff, s10
	s_delay_alu instid0(VALU_DEP_1) | instskip(NEXT) | instid1(VALU_DEP_3)
	v_cmp_gt_i16_e32 vcc_lo, 11, v4
	v_ashrrev_i32_e32 v1, 31, v0
	v_add_co_u32 v0, s0, s6, v0
	s_delay_alu instid0(VALU_DEP_1)
	v_add_co_ci_u32_e64 v1, s0, s7, v1, s0
	s_cbranch_vccnz .LBB352_513
; %bb.507:
	v_cmp_lt_i16_e32 vcc_lo, 25, v4
	s_cbranch_vccz .LBB352_514
; %bb.508:
	v_cmp_lt_i16_e32 vcc_lo, 28, v4
	s_cbranch_vccz .LBB352_515
	;; [unrolled: 3-line block ×4, first 2 shown]
; %bb.511:
	v_cmp_eq_u16_e32 vcc_lo, 46, v4
	s_mov_b32 s21, 0
	s_cbranch_vccz .LBB352_522
; %bb.512:
	global_load_b32 v2, v[0:1], off
	s_mov_b32 s0, -1
	s_mov_b32 s20, 0
	s_waitcnt vmcnt(0)
	v_lshlrev_b32_e32 v2, 16, v2
	s_delay_alu instid0(VALU_DEP_1) | instskip(NEXT) | instid1(VALU_DEP_1)
	v_trunc_f32_e32 v2, v2
	v_mul_f32_e64 v3, 0x2f800000, |v2|
	s_delay_alu instid0(VALU_DEP_1) | instskip(NEXT) | instid1(VALU_DEP_1)
	v_floor_f32_e32 v3, v3
	v_fma_f32 v3, 0xcf800000, v3, |v2|
	v_ashrrev_i32_e32 v2, 31, v2
	s_delay_alu instid0(VALU_DEP_2) | instskip(NEXT) | instid1(VALU_DEP_1)
	v_cvt_u32_f32_e32 v3, v3
	v_xor_b32_e32 v3, v3, v2
	s_delay_alu instid0(VALU_DEP_1)
	v_sub_nc_u32_e32 v2, v3, v2
	s_branch .LBB352_524
.LBB352_513:
	s_mov_b32 s21, -1
	s_mov_b32 s0, 0
	s_mov_b32 s20, s16
                                        ; implicit-def: $vgpr2
	s_branch .LBB352_585
.LBB352_514:
	s_mov_b32 s21, -1
	s_mov_b32 s0, 0
	s_mov_b32 s20, s16
                                        ; implicit-def: $vgpr2
	s_branch .LBB352_551
.LBB352_515:
	s_mov_b32 s21, -1
	s_mov_b32 s0, 0
	s_mov_b32 s20, s16
                                        ; implicit-def: $vgpr2
	s_branch .LBB352_534
.LBB352_516:
	s_mov_b32 s21, -1
	s_mov_b32 s0, 0
	s_mov_b32 s20, s16
                                        ; implicit-def: $vgpr2
	s_branch .LBB352_529
.LBB352_517:
	s_or_saveexec_b32 s20, s20
                                        ; implicit-def: $sgpr21
	s_delay_alu instid0(SALU_CYCLE_1)
	s_xor_b32 exec_lo, exec_lo, s20
	s_cbranch_execz .LBB352_305
.LBB352_518:
	v_add_f32_e32 v4, 0x46000000, v5
	s_and_not1_b32 s19, s19, exec_lo
	s_mov_b32 s21, 0
	s_delay_alu instid0(VALU_DEP_1) | instskip(NEXT) | instid1(VALU_DEP_1)
	v_and_b32_e32 v4, 0xff, v4
	v_cmp_ne_u32_e32 vcc_lo, 0, v4
	s_and_b32 s22, vcc_lo, exec_lo
	s_delay_alu instid0(SALU_CYCLE_1)
	s_or_b32 s19, s19, s22
	s_or_b32 exec_lo, exec_lo, s20
	v_mov_b32_e32 v6, s21
	s_and_saveexec_b32 s20, s19
	s_cbranch_execnz .LBB352_306
	s_branch .LBB352_307
.LBB352_519:
	s_mov_b32 s21, -1
	s_mov_b32 s0, 0
	s_mov_b32 s20, s16
	s_branch .LBB352_523
.LBB352_520:
	s_or_saveexec_b32 s20, s20
                                        ; implicit-def: $sgpr21
	s_delay_alu instid0(SALU_CYCLE_1)
	s_xor_b32 exec_lo, exec_lo, s20
	s_cbranch_execz .LBB352_318
.LBB352_521:
	v_add_f32_e32 v4, 0x42800000, v5
	s_and_not1_b32 s19, s19, exec_lo
	s_mov_b32 s21, 0
	s_delay_alu instid0(VALU_DEP_1) | instskip(NEXT) | instid1(VALU_DEP_1)
	v_and_b32_e32 v4, 0xff, v4
	v_cmp_ne_u32_e32 vcc_lo, 0, v4
	s_and_b32 s22, vcc_lo, exec_lo
	s_delay_alu instid0(SALU_CYCLE_1)
	s_or_b32 s19, s19, s22
	s_or_b32 exec_lo, exec_lo, s20
	v_mov_b32_e32 v6, s21
	s_and_saveexec_b32 s20, s19
	s_cbranch_execnz .LBB352_319
	s_branch .LBB352_320
.LBB352_522:
	s_mov_b32 s20, -1
	s_mov_b32 s0, 0
.LBB352_523:
                                        ; implicit-def: $vgpr2
.LBB352_524:
	s_and_b32 vcc_lo, exec_lo, s21
	s_cbranch_vccz .LBB352_528
; %bb.525:
	v_cmp_eq_u16_e32 vcc_lo, 44, v4
	s_cbranch_vccz .LBB352_527
; %bb.526:
	global_load_u8 v2, v[0:1], off
	s_mov_b32 s20, 0
	s_mov_b32 s0, -1
	s_waitcnt vmcnt(0)
	v_lshlrev_b32_e32 v3, 23, v2
	v_cmp_ne_u32_e32 vcc_lo, 0, v2
	s_delay_alu instid0(VALU_DEP_2) | instskip(NEXT) | instid1(VALU_DEP_1)
	v_trunc_f32_e32 v3, v3
	v_mul_f32_e64 v5, 0x2f800000, |v3|
	s_delay_alu instid0(VALU_DEP_1) | instskip(NEXT) | instid1(VALU_DEP_1)
	v_floor_f32_e32 v5, v5
	v_fma_f32 v5, 0xcf800000, v5, |v3|
	v_ashrrev_i32_e32 v3, 31, v3
	s_delay_alu instid0(VALU_DEP_2) | instskip(NEXT) | instid1(VALU_DEP_1)
	v_cvt_u32_f32_e32 v5, v5
	v_xor_b32_e32 v5, v5, v3
	s_delay_alu instid0(VALU_DEP_1) | instskip(NEXT) | instid1(VALU_DEP_1)
	v_sub_nc_u32_e32 v3, v5, v3
	v_cndmask_b32_e32 v2, 0, v3, vcc_lo
	s_branch .LBB352_528
.LBB352_527:
	s_mov_b32 s20, -1
                                        ; implicit-def: $vgpr2
.LBB352_528:
	s_mov_b32 s21, 0
.LBB352_529:
	s_delay_alu instid0(SALU_CYCLE_1)
	s_and_b32 vcc_lo, exec_lo, s21
	s_cbranch_vccz .LBB352_533
; %bb.530:
	v_cmp_eq_u16_e32 vcc_lo, 29, v4
	s_cbranch_vccz .LBB352_532
; %bb.531:
	global_load_b64 v[2:3], v[0:1], off
	s_mov_b32 s0, -1
	s_mov_b32 s20, 0
	s_branch .LBB352_533
.LBB352_532:
	s_mov_b32 s20, -1
                                        ; implicit-def: $vgpr2
.LBB352_533:
	s_mov_b32 s21, 0
.LBB352_534:
	s_delay_alu instid0(SALU_CYCLE_1)
	s_and_b32 vcc_lo, exec_lo, s21
	s_cbranch_vccz .LBB352_550
; %bb.535:
	v_cmp_gt_i16_e32 vcc_lo, 27, v4
	s_cbranch_vccnz .LBB352_538
; %bb.536:
	v_cmp_lt_i16_e32 vcc_lo, 27, v4
	s_cbranch_vccz .LBB352_539
; %bb.537:
	global_load_b32 v2, v[0:1], off
	s_mov_b32 s0, 0
	s_branch .LBB352_540
.LBB352_538:
	s_mov_b32 s0, -1
                                        ; implicit-def: $vgpr2
	s_branch .LBB352_543
.LBB352_539:
	s_mov_b32 s0, -1
                                        ; implicit-def: $vgpr2
.LBB352_540:
	s_delay_alu instid0(SALU_CYCLE_1)
	s_and_not1_b32 vcc_lo, exec_lo, s0
	s_cbranch_vccnz .LBB352_542
; %bb.541:
	global_load_u16 v2, v[0:1], off
.LBB352_542:
	s_mov_b32 s0, 0
.LBB352_543:
	s_delay_alu instid0(SALU_CYCLE_1)
	s_and_not1_b32 vcc_lo, exec_lo, s0
	s_cbranch_vccnz .LBB352_549
; %bb.544:
	global_load_u8 v3, v[0:1], off
	s_mov_b32 s21, 0
	s_mov_b32 s0, exec_lo
                                        ; implicit-def: $sgpr22
	s_waitcnt vmcnt(0)
	v_cmpx_lt_i16_e32 0x7f, v3
	s_xor_b32 s0, exec_lo, s0
	s_cbranch_execz .LBB352_561
; %bb.545:
	v_cmp_ne_u16_e32 vcc_lo, 0x80, v3
	s_mov_b32 s22, 0
	s_and_b32 s21, vcc_lo, exec_lo
	s_or_saveexec_b32 s0, s0
	v_mov_b32_e32 v2, s22
	s_xor_b32 exec_lo, exec_lo, s0
	s_cbranch_execnz .LBB352_562
.LBB352_546:
	s_or_b32 exec_lo, exec_lo, s0
	s_and_saveexec_b32 s0, s21
	s_cbranch_execz .LBB352_548
.LBB352_547:
	v_and_b32_e32 v2, 0xffff, v3
	s_delay_alu instid0(VALU_DEP_1) | instskip(NEXT) | instid1(VALU_DEP_1)
	v_and_b32_e32 v5, 7, v2
	v_clz_i32_u32_e32 v6, v5
	s_delay_alu instid0(VALU_DEP_1) | instskip(NEXT) | instid1(VALU_DEP_1)
	v_min_u32_e32 v6, 32, v6
	v_subrev_nc_u32_e32 v8, 28, v6
	v_sub_nc_u32_e32 v6, 29, v6
	s_delay_alu instid0(VALU_DEP_2) | instskip(SKIP_1) | instid1(VALU_DEP_2)
	v_lshlrev_b32_e32 v8, v8, v2
	v_bfe_u32 v2, v2, 3, 4
	v_and_b32_e32 v8, 7, v8
	s_delay_alu instid0(VALU_DEP_2) | instskip(SKIP_1) | instid1(VALU_DEP_3)
	v_cmp_eq_u32_e32 vcc_lo, 0, v2
	v_dual_cndmask_b32 v2, v2, v6 :: v_dual_lshlrev_b32 v3, 24, v3
	v_cndmask_b32_e32 v5, v5, v8, vcc_lo
	s_delay_alu instid0(VALU_DEP_2) | instskip(NEXT) | instid1(VALU_DEP_3)
	v_and_b32_e32 v3, 0x80000000, v3
	v_lshl_add_u32 v2, v2, 23, 0x3b800000
	s_delay_alu instid0(VALU_DEP_3) | instskip(NEXT) | instid1(VALU_DEP_1)
	v_lshlrev_b32_e32 v5, 20, v5
	v_or3_b32 v2, v3, v2, v5
	s_delay_alu instid0(VALU_DEP_1) | instskip(NEXT) | instid1(VALU_DEP_1)
	v_trunc_f32_e32 v2, v2
	v_mul_f32_e64 v3, 0x2f800000, |v2|
	s_delay_alu instid0(VALU_DEP_1) | instskip(NEXT) | instid1(VALU_DEP_1)
	v_floor_f32_e32 v3, v3
	v_fma_f32 v3, 0xcf800000, v3, |v2|
	v_ashrrev_i32_e32 v2, 31, v2
	s_delay_alu instid0(VALU_DEP_2) | instskip(NEXT) | instid1(VALU_DEP_1)
	v_cvt_u32_f32_e32 v3, v3
	v_xor_b32_e32 v3, v3, v2
	s_delay_alu instid0(VALU_DEP_1)
	v_sub_nc_u32_e32 v2, v3, v2
.LBB352_548:
	s_or_b32 exec_lo, exec_lo, s0
.LBB352_549:
	s_mov_b32 s0, -1
.LBB352_550:
	s_mov_b32 s21, 0
.LBB352_551:
	s_delay_alu instid0(SALU_CYCLE_1)
	s_and_b32 vcc_lo, exec_lo, s21
	s_cbranch_vccz .LBB352_584
; %bb.552:
	v_cmp_lt_i16_e32 vcc_lo, 22, v4
	s_cbranch_vccz .LBB352_560
; %bb.553:
	v_cmp_gt_i16_e32 vcc_lo, 24, v4
	s_cbranch_vccnz .LBB352_563
; %bb.554:
	v_cmp_lt_i16_e32 vcc_lo, 24, v4
	s_cbranch_vccz .LBB352_564
; %bb.555:
	global_load_u8 v3, v[0:1], off
	s_mov_b32 s21, 0
	s_mov_b32 s0, exec_lo
                                        ; implicit-def: $sgpr22
	s_waitcnt vmcnt(0)
	v_cmpx_lt_i16_e32 0x7f, v3
	s_xor_b32 s0, exec_lo, s0
	s_cbranch_execz .LBB352_576
; %bb.556:
	v_cmp_ne_u16_e32 vcc_lo, 0x80, v3
	s_mov_b32 s22, 0
	s_and_b32 s21, vcc_lo, exec_lo
	s_or_saveexec_b32 s0, s0
	v_mov_b32_e32 v2, s22
	s_xor_b32 exec_lo, exec_lo, s0
	s_cbranch_execnz .LBB352_577
.LBB352_557:
	s_or_b32 exec_lo, exec_lo, s0
	s_and_saveexec_b32 s0, s21
	s_cbranch_execz .LBB352_559
.LBB352_558:
	v_and_b32_e32 v2, 0xffff, v3
	s_delay_alu instid0(VALU_DEP_1) | instskip(NEXT) | instid1(VALU_DEP_1)
	v_and_b32_e32 v5, 3, v2
	v_clz_i32_u32_e32 v6, v5
	s_delay_alu instid0(VALU_DEP_1) | instskip(NEXT) | instid1(VALU_DEP_1)
	v_min_u32_e32 v6, 32, v6
	v_subrev_nc_u32_e32 v8, 29, v6
	v_sub_nc_u32_e32 v6, 30, v6
	s_delay_alu instid0(VALU_DEP_2) | instskip(SKIP_1) | instid1(VALU_DEP_2)
	v_lshlrev_b32_e32 v8, v8, v2
	v_bfe_u32 v2, v2, 2, 5
	v_and_b32_e32 v8, 3, v8
	s_delay_alu instid0(VALU_DEP_2) | instskip(SKIP_1) | instid1(VALU_DEP_3)
	v_cmp_eq_u32_e32 vcc_lo, 0, v2
	v_dual_cndmask_b32 v2, v2, v6 :: v_dual_lshlrev_b32 v3, 24, v3
	v_cndmask_b32_e32 v5, v5, v8, vcc_lo
	s_delay_alu instid0(VALU_DEP_2) | instskip(NEXT) | instid1(VALU_DEP_3)
	v_and_b32_e32 v3, 0x80000000, v3
	v_lshl_add_u32 v2, v2, 23, 0x37800000
	s_delay_alu instid0(VALU_DEP_3) | instskip(NEXT) | instid1(VALU_DEP_1)
	v_lshlrev_b32_e32 v5, 21, v5
	v_or3_b32 v2, v3, v2, v5
	s_delay_alu instid0(VALU_DEP_1) | instskip(NEXT) | instid1(VALU_DEP_1)
	v_trunc_f32_e32 v2, v2
	v_mul_f32_e64 v3, 0x2f800000, |v2|
	s_delay_alu instid0(VALU_DEP_1) | instskip(NEXT) | instid1(VALU_DEP_1)
	v_floor_f32_e32 v3, v3
	v_fma_f32 v3, 0xcf800000, v3, |v2|
	v_ashrrev_i32_e32 v2, 31, v2
	s_delay_alu instid0(VALU_DEP_2) | instskip(NEXT) | instid1(VALU_DEP_1)
	v_cvt_u32_f32_e32 v3, v3
	v_xor_b32_e32 v3, v3, v2
	s_delay_alu instid0(VALU_DEP_1)
	v_sub_nc_u32_e32 v2, v3, v2
.LBB352_559:
	s_or_b32 exec_lo, exec_lo, s0
	s_mov_b32 s0, 0
	s_branch .LBB352_565
.LBB352_560:
	s_mov_b32 s21, -1
                                        ; implicit-def: $vgpr2
	s_branch .LBB352_571
.LBB352_561:
	s_or_saveexec_b32 s0, s0
	v_mov_b32_e32 v2, s22
	s_xor_b32 exec_lo, exec_lo, s0
	s_cbranch_execz .LBB352_546
.LBB352_562:
	v_cmp_ne_u16_e32 vcc_lo, 0, v3
	v_mov_b32_e32 v2, 0
	s_and_not1_b32 s21, s21, exec_lo
	s_and_b32 s22, vcc_lo, exec_lo
	s_delay_alu instid0(SALU_CYCLE_1)
	s_or_b32 s21, s21, s22
	s_or_b32 exec_lo, exec_lo, s0
	s_and_saveexec_b32 s0, s21
	s_cbranch_execnz .LBB352_547
	s_branch .LBB352_548
.LBB352_563:
	s_mov_b32 s0, -1
                                        ; implicit-def: $vgpr2
	s_branch .LBB352_568
.LBB352_564:
	s_mov_b32 s0, -1
                                        ; implicit-def: $vgpr2
.LBB352_565:
	s_delay_alu instid0(SALU_CYCLE_1)
	s_and_b32 vcc_lo, exec_lo, s0
	s_cbranch_vccz .LBB352_567
; %bb.566:
	global_load_u8 v2, v[0:1], off
	s_waitcnt vmcnt(0)
	v_lshlrev_b32_e32 v2, 24, v2
	s_delay_alu instid0(VALU_DEP_1) | instskip(NEXT) | instid1(VALU_DEP_1)
	v_and_b32_e32 v3, 0x7f000000, v2
	v_clz_i32_u32_e32 v5, v3
	v_add_nc_u32_e32 v8, 0x1000000, v3
	v_cmp_ne_u32_e32 vcc_lo, 0, v3
	s_delay_alu instid0(VALU_DEP_3) | instskip(NEXT) | instid1(VALU_DEP_1)
	v_min_u32_e32 v5, 32, v5
	v_sub_nc_u32_e64 v5, v5, 4 clamp
	s_delay_alu instid0(VALU_DEP_1) | instskip(SKIP_1) | instid1(VALU_DEP_2)
	v_lshlrev_b32_e32 v6, v5, v3
	v_lshlrev_b32_e32 v5, 23, v5
	v_lshrrev_b32_e32 v6, 4, v6
	s_delay_alu instid0(VALU_DEP_1) | instskip(SKIP_1) | instid1(VALU_DEP_2)
	v_sub_nc_u32_e32 v5, v6, v5
	v_ashrrev_i32_e32 v6, 8, v8
	v_add_nc_u32_e32 v5, 0x3c000000, v5
	s_delay_alu instid0(VALU_DEP_1) | instskip(NEXT) | instid1(VALU_DEP_1)
	v_and_or_b32 v5, 0x7f800000, v6, v5
	v_cndmask_b32_e32 v3, 0, v5, vcc_lo
	s_delay_alu instid0(VALU_DEP_1) | instskip(NEXT) | instid1(VALU_DEP_1)
	v_and_or_b32 v2, 0x80000000, v2, v3
	v_trunc_f32_e32 v2, v2
	s_delay_alu instid0(VALU_DEP_1) | instskip(NEXT) | instid1(VALU_DEP_1)
	v_mul_f32_e64 v3, 0x2f800000, |v2|
	v_floor_f32_e32 v3, v3
	s_delay_alu instid0(VALU_DEP_1) | instskip(SKIP_1) | instid1(VALU_DEP_2)
	v_fma_f32 v3, 0xcf800000, v3, |v2|
	v_ashrrev_i32_e32 v2, 31, v2
	v_cvt_u32_f32_e32 v3, v3
	s_delay_alu instid0(VALU_DEP_1) | instskip(NEXT) | instid1(VALU_DEP_1)
	v_xor_b32_e32 v3, v3, v2
	v_sub_nc_u32_e32 v2, v3, v2
.LBB352_567:
	s_mov_b32 s0, 0
.LBB352_568:
	s_delay_alu instid0(SALU_CYCLE_1)
	s_and_not1_b32 vcc_lo, exec_lo, s0
	s_cbranch_vccnz .LBB352_570
; %bb.569:
	global_load_u8 v2, v[0:1], off
	s_waitcnt vmcnt(0)
	v_lshlrev_b32_e32 v3, 25, v2
	v_lshlrev_b16 v2, 8, v2
	s_delay_alu instid0(VALU_DEP_2) | instskip(NEXT) | instid1(VALU_DEP_2)
	v_lshrrev_b32_e32 v5, 4, v3
	v_and_or_b32 v6, 0x7f00, v2, 0.5
	v_cmp_gt_u32_e32 vcc_lo, 0x8000000, v3
	v_bfe_i32 v2, v2, 0, 16
	s_delay_alu instid0(VALU_DEP_4) | instskip(NEXT) | instid1(VALU_DEP_1)
	v_or_b32_e32 v5, 0x70000000, v5
	v_dual_add_f32 v6, -0.5, v6 :: v_dual_mul_f32 v5, 0x7800000, v5
	s_delay_alu instid0(VALU_DEP_1) | instskip(NEXT) | instid1(VALU_DEP_1)
	v_cndmask_b32_e32 v3, v5, v6, vcc_lo
	v_and_or_b32 v2, 0x80000000, v2, v3
	s_delay_alu instid0(VALU_DEP_1) | instskip(NEXT) | instid1(VALU_DEP_1)
	v_trunc_f32_e32 v2, v2
	v_mul_f32_e64 v3, 0x2f800000, |v2|
	s_delay_alu instid0(VALU_DEP_1) | instskip(NEXT) | instid1(VALU_DEP_1)
	v_floor_f32_e32 v3, v3
	v_fma_f32 v3, 0xcf800000, v3, |v2|
	v_ashrrev_i32_e32 v2, 31, v2
	s_delay_alu instid0(VALU_DEP_2) | instskip(NEXT) | instid1(VALU_DEP_1)
	v_cvt_u32_f32_e32 v3, v3
	v_xor_b32_e32 v3, v3, v2
	s_delay_alu instid0(VALU_DEP_1)
	v_sub_nc_u32_e32 v2, v3, v2
.LBB352_570:
	s_mov_b32 s21, 0
	s_mov_b32 s0, -1
.LBB352_571:
	s_and_not1_b32 vcc_lo, exec_lo, s21
	s_cbranch_vccnz .LBB352_584
; %bb.572:
	v_cmp_lt_i16_e32 vcc_lo, 14, v4
	s_cbranch_vccz .LBB352_575
; %bb.573:
	v_cmp_eq_u16_e32 vcc_lo, 15, v4
	s_cbranch_vccz .LBB352_578
; %bb.574:
	global_load_u16 v2, v[0:1], off
	s_mov_b32 s0, -1
	s_mov_b32 s20, 0
	s_waitcnt vmcnt(0)
	v_lshlrev_b32_e32 v2, 16, v2
	s_delay_alu instid0(VALU_DEP_1) | instskip(NEXT) | instid1(VALU_DEP_1)
	v_trunc_f32_e32 v2, v2
	v_mul_f32_e64 v3, 0x2f800000, |v2|
	s_delay_alu instid0(VALU_DEP_1) | instskip(NEXT) | instid1(VALU_DEP_1)
	v_floor_f32_e32 v3, v3
	v_fma_f32 v3, 0xcf800000, v3, |v2|
	v_ashrrev_i32_e32 v2, 31, v2
	s_delay_alu instid0(VALU_DEP_2) | instskip(NEXT) | instid1(VALU_DEP_1)
	v_cvt_u32_f32_e32 v3, v3
	v_xor_b32_e32 v3, v3, v2
	s_delay_alu instid0(VALU_DEP_1)
	v_sub_nc_u32_e32 v2, v3, v2
	s_branch .LBB352_579
.LBB352_575:
	s_mov_b32 s21, -1
                                        ; implicit-def: $vgpr2
	s_branch .LBB352_580
.LBB352_576:
	s_or_saveexec_b32 s0, s0
	v_mov_b32_e32 v2, s22
	s_xor_b32 exec_lo, exec_lo, s0
	s_cbranch_execz .LBB352_557
.LBB352_577:
	v_cmp_ne_u16_e32 vcc_lo, 0, v3
	v_mov_b32_e32 v2, 0
	s_and_not1_b32 s21, s21, exec_lo
	s_and_b32 s22, vcc_lo, exec_lo
	s_delay_alu instid0(SALU_CYCLE_1)
	s_or_b32 s21, s21, s22
	s_or_b32 exec_lo, exec_lo, s0
	s_and_saveexec_b32 s0, s21
	s_cbranch_execnz .LBB352_558
	s_branch .LBB352_559
.LBB352_578:
	s_mov_b32 s20, -1
                                        ; implicit-def: $vgpr2
.LBB352_579:
	s_mov_b32 s21, 0
.LBB352_580:
	s_delay_alu instid0(SALU_CYCLE_1)
	s_and_b32 vcc_lo, exec_lo, s21
	s_cbranch_vccz .LBB352_584
; %bb.581:
	v_cmp_eq_u16_e32 vcc_lo, 11, v4
	s_cbranch_vccz .LBB352_583
; %bb.582:
	global_load_u8 v2, v[0:1], off
	s_mov_b32 s20, 0
	s_mov_b32 s0, -1
	s_waitcnt vmcnt(0)
	v_cmp_ne_u16_e32 vcc_lo, 0, v2
	v_cndmask_b32_e64 v2, 0, 1, vcc_lo
	s_branch .LBB352_584
.LBB352_583:
	s_mov_b32 s20, -1
                                        ; implicit-def: $vgpr2
.LBB352_584:
	s_mov_b32 s21, 0
.LBB352_585:
	s_delay_alu instid0(SALU_CYCLE_1)
	s_and_b32 vcc_lo, exec_lo, s21
	s_cbranch_vccz .LBB352_634
; %bb.586:
	v_cmp_gt_i16_e32 vcc_lo, 5, v4
	s_cbranch_vccnz .LBB352_591
; %bb.587:
	v_cmp_gt_i16_e32 vcc_lo, 8, v4
	s_cbranch_vccnz .LBB352_592
	;; [unrolled: 3-line block ×3, first 2 shown]
; %bb.589:
	v_cmp_lt_i16_e32 vcc_lo, 9, v4
	s_cbranch_vccz .LBB352_594
; %bb.590:
	global_load_b64 v[2:3], v[0:1], off
	s_mov_b32 s0, 0
	s_waitcnt vmcnt(0)
	v_trunc_f64_e32 v[2:3], v[2:3]
	s_delay_alu instid0(VALU_DEP_1) | instskip(NEXT) | instid1(VALU_DEP_1)
	v_ldexp_f64 v[5:6], v[2:3], 0xffffffe0
	v_floor_f64_e32 v[5:6], v[5:6]
	s_delay_alu instid0(VALU_DEP_1) | instskip(NEXT) | instid1(VALU_DEP_1)
	v_fma_f64 v[2:3], 0xc1f00000, v[5:6], v[2:3]
	v_cvt_u32_f64_e32 v2, v[2:3]
	s_branch .LBB352_595
.LBB352_591:
	s_mov_b32 s0, -1
                                        ; implicit-def: $vgpr2
	s_branch .LBB352_613
.LBB352_592:
	s_mov_b32 s0, -1
                                        ; implicit-def: $vgpr2
	s_branch .LBB352_601
.LBB352_593:
	s_mov_b32 s0, -1
                                        ; implicit-def: $vgpr2
	s_branch .LBB352_598
.LBB352_594:
	s_mov_b32 s0, -1
                                        ; implicit-def: $vgpr2
.LBB352_595:
	s_delay_alu instid0(SALU_CYCLE_1)
	s_and_not1_b32 vcc_lo, exec_lo, s0
	s_cbranch_vccnz .LBB352_597
; %bb.596:
	global_load_b32 v2, v[0:1], off
	s_waitcnt vmcnt(0)
	v_trunc_f32_e32 v2, v2
	s_delay_alu instid0(VALU_DEP_1) | instskip(NEXT) | instid1(VALU_DEP_1)
	v_mul_f32_e64 v3, 0x2f800000, |v2|
	v_floor_f32_e32 v3, v3
	s_delay_alu instid0(VALU_DEP_1) | instskip(SKIP_1) | instid1(VALU_DEP_2)
	v_fma_f32 v3, 0xcf800000, v3, |v2|
	v_ashrrev_i32_e32 v2, 31, v2
	v_cvt_u32_f32_e32 v3, v3
	s_delay_alu instid0(VALU_DEP_1) | instskip(NEXT) | instid1(VALU_DEP_1)
	v_xor_b32_e32 v3, v3, v2
	v_sub_nc_u32_e32 v2, v3, v2
.LBB352_597:
	s_mov_b32 s0, 0
.LBB352_598:
	s_delay_alu instid0(SALU_CYCLE_1)
	s_and_not1_b32 vcc_lo, exec_lo, s0
	s_cbranch_vccnz .LBB352_600
; %bb.599:
	global_load_b32 v2, v[0:1], off
	s_waitcnt vmcnt(0)
	v_cvt_f32_f16_e32 v2, v2
	s_delay_alu instid0(VALU_DEP_1)
	v_cvt_i32_f32_e32 v2, v2
.LBB352_600:
	s_mov_b32 s0, 0
.LBB352_601:
	s_delay_alu instid0(SALU_CYCLE_1)
	s_and_not1_b32 vcc_lo, exec_lo, s0
	s_cbranch_vccnz .LBB352_612
; %bb.602:
	v_cmp_gt_i16_e32 vcc_lo, 6, v4
	s_cbranch_vccnz .LBB352_605
; %bb.603:
	v_cmp_lt_i16_e32 vcc_lo, 6, v4
	s_cbranch_vccz .LBB352_606
; %bb.604:
	global_load_b64 v[2:3], v[0:1], off
	s_mov_b32 s0, 0
	s_waitcnt vmcnt(0)
	v_trunc_f64_e32 v[2:3], v[2:3]
	s_delay_alu instid0(VALU_DEP_1) | instskip(NEXT) | instid1(VALU_DEP_1)
	v_ldexp_f64 v[5:6], v[2:3], 0xffffffe0
	v_floor_f64_e32 v[5:6], v[5:6]
	s_delay_alu instid0(VALU_DEP_1) | instskip(NEXT) | instid1(VALU_DEP_1)
	v_fma_f64 v[2:3], 0xc1f00000, v[5:6], v[2:3]
	v_cvt_u32_f64_e32 v2, v[2:3]
	s_branch .LBB352_607
.LBB352_605:
	s_mov_b32 s0, -1
                                        ; implicit-def: $vgpr2
	s_branch .LBB352_610
.LBB352_606:
	s_mov_b32 s0, -1
                                        ; implicit-def: $vgpr2
.LBB352_607:
	s_delay_alu instid0(SALU_CYCLE_1)
	s_and_not1_b32 vcc_lo, exec_lo, s0
	s_cbranch_vccnz .LBB352_609
; %bb.608:
	global_load_b32 v2, v[0:1], off
	s_waitcnt vmcnt(0)
	v_trunc_f32_e32 v2, v2
	s_delay_alu instid0(VALU_DEP_1) | instskip(NEXT) | instid1(VALU_DEP_1)
	v_mul_f32_e64 v3, 0x2f800000, |v2|
	v_floor_f32_e32 v3, v3
	s_delay_alu instid0(VALU_DEP_1) | instskip(SKIP_1) | instid1(VALU_DEP_2)
	v_fma_f32 v3, 0xcf800000, v3, |v2|
	v_ashrrev_i32_e32 v2, 31, v2
	v_cvt_u32_f32_e32 v3, v3
	s_delay_alu instid0(VALU_DEP_1) | instskip(NEXT) | instid1(VALU_DEP_1)
	v_xor_b32_e32 v3, v3, v2
	v_sub_nc_u32_e32 v2, v3, v2
.LBB352_609:
	s_mov_b32 s0, 0
.LBB352_610:
	s_delay_alu instid0(SALU_CYCLE_1)
	s_and_not1_b32 vcc_lo, exec_lo, s0
	s_cbranch_vccnz .LBB352_612
; %bb.611:
	global_load_u16 v2, v[0:1], off
	s_waitcnt vmcnt(0)
	v_cvt_f32_f16_e32 v2, v2
	s_delay_alu instid0(VALU_DEP_1)
	v_cvt_i32_f32_e32 v2, v2
.LBB352_612:
	s_mov_b32 s0, 0
.LBB352_613:
	s_delay_alu instid0(SALU_CYCLE_1)
	s_and_not1_b32 vcc_lo, exec_lo, s0
	s_cbranch_vccnz .LBB352_633
; %bb.614:
	v_cmp_gt_i16_e32 vcc_lo, 2, v4
	s_cbranch_vccnz .LBB352_618
; %bb.615:
	v_cmp_gt_i16_e32 vcc_lo, 3, v4
	s_cbranch_vccnz .LBB352_619
; %bb.616:
	v_cmp_lt_i16_e32 vcc_lo, 3, v4
	s_cbranch_vccz .LBB352_620
; %bb.617:
	global_load_b64 v[2:3], v[0:1], off
	s_mov_b32 s0, 0
	s_branch .LBB352_621
.LBB352_618:
	s_mov_b32 s0, -1
                                        ; implicit-def: $vgpr2
	s_branch .LBB352_627
.LBB352_619:
	s_mov_b32 s0, -1
                                        ; implicit-def: $vgpr2
	s_branch .LBB352_624
.LBB352_620:
	s_mov_b32 s0, -1
                                        ; implicit-def: $vgpr2
.LBB352_621:
	s_delay_alu instid0(SALU_CYCLE_1)
	s_and_not1_b32 vcc_lo, exec_lo, s0
	s_cbranch_vccnz .LBB352_623
; %bb.622:
	global_load_b32 v2, v[0:1], off
.LBB352_623:
	s_mov_b32 s0, 0
.LBB352_624:
	s_delay_alu instid0(SALU_CYCLE_1)
	s_and_not1_b32 vcc_lo, exec_lo, s0
	s_cbranch_vccnz .LBB352_626
; %bb.625:
	global_load_u16 v2, v[0:1], off
.LBB352_626:
	s_mov_b32 s0, 0
.LBB352_627:
	s_delay_alu instid0(SALU_CYCLE_1)
	s_and_not1_b32 vcc_lo, exec_lo, s0
	s_cbranch_vccnz .LBB352_633
; %bb.628:
	v_cmp_lt_i16_e32 vcc_lo, 0, v4
	s_mov_b32 s0, 0
	s_cbranch_vccz .LBB352_630
; %bb.629:
	global_load_u8 v2, v[0:1], off
	s_branch .LBB352_631
.LBB352_630:
	s_mov_b32 s0, -1
                                        ; implicit-def: $vgpr2
.LBB352_631:
	s_delay_alu instid0(SALU_CYCLE_1)
	s_and_not1_b32 vcc_lo, exec_lo, s0
	s_cbranch_vccnz .LBB352_633
; %bb.632:
	global_load_u8 v2, v[0:1], off
.LBB352_633:
	s_mov_b32 s0, -1
.LBB352_634:
	s_delay_alu instid0(SALU_CYCLE_1)
	s_and_not1_b32 vcc_lo, exec_lo, s0
	s_cbranch_vccnz .LBB352_642
; %bb.635:
	v_mul_lo_u32 v0, v7, s2
	v_and_b32_e64 v1, 0xff, s8
	s_waitcnt vmcnt(0)
	s_delay_alu instid0(VALU_DEP_3) | instskip(SKIP_1) | instid1(VALU_DEP_2)
	v_and_b32_e32 v2, 0xff, v2
	v_and_b32_e64 v3, 0xff, s1
	v_max_u16 v2, v2, v1
	v_ashrrev_i32_e32 v1, 31, v0
	s_delay_alu instid0(VALU_DEP_3) | instskip(SKIP_1) | instid1(VALU_DEP_1)
	v_cmp_gt_i16_e32 vcc_lo, 11, v3
	v_add_co_u32 v0, s0, s4, v0
	v_add_co_ci_u32_e64 v1, s0, s5, v1, s0
	s_cbranch_vccnz .LBB352_643
; %bb.636:
	v_cmp_lt_i16_e32 vcc_lo, 25, v3
	s_cbranch_vccz .LBB352_644
; %bb.637:
	v_cmp_lt_i16_e32 vcc_lo, 28, v3
	s_cbranch_vccz .LBB352_645
	;; [unrolled: 3-line block ×4, first 2 shown]
; %bb.640:
	v_cmp_eq_u16_e32 vcc_lo, 46, v3
	s_mov_b32 s22, 0
	s_mov_b32 s0, -1
	s_mov_b32 s21, 0
	s_cbranch_vccz .LBB352_648
; %bb.641:
	v_cvt_f32_ubyte0_e32 v4, v2
	s_mov_b32 s21, -1
	s_mov_b32 s0, 0
	s_delay_alu instid0(VALU_DEP_1) | instskip(NEXT) | instid1(VALU_DEP_1)
	v_bfe_u32 v5, v4, 16, 1
	v_add3_u32 v4, v4, v5, 0x7fff
	s_delay_alu instid0(VALU_DEP_1)
	v_lshrrev_b32_e32 v4, 16, v4
	global_store_b32 v[0:1], v4, off
	s_branch .LBB352_648
.LBB352_642:
	s_mov_b32 s22, 0
	s_mov_b32 s0, s17
	s_branch .LBB352_759
.LBB352_643:
	s_mov_b32 s22, -1
	s_mov_b32 s21, 0
	s_mov_b32 s0, s17
	s_branch .LBB352_717
.LBB352_644:
	s_mov_b32 s22, -1
	s_mov_b32 s21, 0
	s_mov_b32 s0, s17
	s_branch .LBB352_675
.LBB352_645:
	s_mov_b32 s22, -1
	s_mov_b32 s21, 0
	s_mov_b32 s0, s17
	s_branch .LBB352_658
.LBB352_646:
	s_mov_b32 s22, -1
	s_mov_b32 s21, 0
	s_mov_b32 s0, s17
	s_branch .LBB352_654
.LBB352_647:
	s_mov_b32 s22, -1
	s_mov_b32 s21, 0
	s_mov_b32 s0, s17
.LBB352_648:
	s_and_b32 vcc_lo, exec_lo, s22
	s_cbranch_vccz .LBB352_653
; %bb.649:
	v_cmp_eq_u16_e32 vcc_lo, 44, v3
	s_mov_b32 s0, -1
	s_cbranch_vccz .LBB352_653
; %bb.650:
	v_cvt_f32_ubyte0_e32 v6, v2
	v_mov_b32_e32 v5, 0xff
	s_mov_b32 s21, exec_lo
	s_delay_alu instid0(VALU_DEP_2) | instskip(NEXT) | instid1(VALU_DEP_1)
	v_lshrrev_b32_e32 v4, 23, v6
	v_cmpx_ne_u32_e32 0xff, v4
; %bb.651:
	v_and_b32_e32 v5, 0x400000, v6
	v_and_or_b32 v6, 0x3fffff, v6, v4
	s_delay_alu instid0(VALU_DEP_2) | instskip(NEXT) | instid1(VALU_DEP_2)
	v_cmp_ne_u32_e32 vcc_lo, 0, v5
	v_cmp_ne_u32_e64 s0, 0, v6
	s_delay_alu instid0(VALU_DEP_1) | instskip(NEXT) | instid1(SALU_CYCLE_1)
	s_and_b32 s0, vcc_lo, s0
	v_cndmask_b32_e64 v5, 0, 1, s0
	s_delay_alu instid0(VALU_DEP_1)
	v_add_nc_u32_e32 v5, v4, v5
; %bb.652:
	s_or_b32 exec_lo, exec_lo, s21
	s_mov_b32 s21, -1
	s_mov_b32 s0, 0
	global_store_b8 v[0:1], v5, off
.LBB352_653:
	s_mov_b32 s22, 0
.LBB352_654:
	s_delay_alu instid0(SALU_CYCLE_1)
	s_and_b32 vcc_lo, exec_lo, s22
	s_cbranch_vccz .LBB352_657
; %bb.655:
	v_cmp_eq_u16_e32 vcc_lo, 29, v3
	s_mov_b32 s0, -1
	s_cbranch_vccz .LBB352_657
; %bb.656:
	s_mov_b32 s0, 0
	s_delay_alu instid0(SALU_CYCLE_1)
	v_dual_mov_b32 v5, s0 :: v_dual_and_b32 v4, 0xffff, v2
	s_mov_b32 s21, -1
	s_mov_b32 s22, 0
	global_store_b64 v[0:1], v[4:5], off
	s_branch .LBB352_658
.LBB352_657:
	s_mov_b32 s22, 0
.LBB352_658:
	s_delay_alu instid0(SALU_CYCLE_1)
	s_and_b32 vcc_lo, exec_lo, s22
	s_cbranch_vccz .LBB352_674
; %bb.659:
	v_cmp_gt_i16_e32 vcc_lo, 27, v3
	s_mov_b32 s21, -1
	s_cbranch_vccnz .LBB352_665
; %bb.660:
	v_cmp_lt_i16_e32 vcc_lo, 27, v3
	s_cbranch_vccz .LBB352_662
; %bb.661:
	v_and_b32_e32 v4, 0xffff, v2
	s_mov_b32 s21, 0
	global_store_b32 v[0:1], v4, off
.LBB352_662:
	s_and_not1_b32 vcc_lo, exec_lo, s21
	s_cbranch_vccnz .LBB352_664
; %bb.663:
	global_store_b16 v[0:1], v2, off
.LBB352_664:
	s_mov_b32 s21, 0
.LBB352_665:
	s_delay_alu instid0(SALU_CYCLE_1)
	s_and_not1_b32 vcc_lo, exec_lo, s21
	s_cbranch_vccnz .LBB352_673
; %bb.666:
	v_cvt_f32_ubyte0_e32 v5, v2
	v_mov_b32_e32 v6, 0x80
	s_mov_b32 s21, exec_lo
	s_delay_alu instid0(VALU_DEP_2)
	v_cmpx_gt_u32_e32 0x43800000, v5
	s_cbranch_execz .LBB352_672
; %bb.667:
	s_mov_b32 s22, 0
	s_mov_b32 s23, exec_lo
                                        ; implicit-def: $vgpr4
	v_cmpx_lt_u32_e32 0x3bffffff, v5
	s_xor_b32 s23, exec_lo, s23
	s_cbranch_execz .LBB352_774
; %bb.668:
	v_bfe_u32 v4, v5, 20, 1
	s_mov_b32 s22, exec_lo
	s_delay_alu instid0(VALU_DEP_1) | instskip(NEXT) | instid1(VALU_DEP_1)
	v_add3_u32 v4, v5, v4, 0x487ffff
                                        ; implicit-def: $vgpr5
	v_lshrrev_b32_e32 v4, 20, v4
	s_or_saveexec_b32 s23, s23
                                        ; implicit-def: $sgpr24
	s_delay_alu instid0(SALU_CYCLE_1)
	s_xor_b32 exec_lo, exec_lo, s23
	s_cbranch_execnz .LBB352_775
.LBB352_669:
	s_or_b32 exec_lo, exec_lo, s23
	v_mov_b32_e32 v6, s24
	s_and_saveexec_b32 s23, s22
.LBB352_670:
	v_mov_b32_e32 v6, v4
.LBB352_671:
	s_or_b32 exec_lo, exec_lo, s23
.LBB352_672:
	s_delay_alu instid0(SALU_CYCLE_1)
	s_or_b32 exec_lo, exec_lo, s21
	global_store_b8 v[0:1], v6, off
.LBB352_673:
	s_mov_b32 s21, -1
.LBB352_674:
	s_mov_b32 s22, 0
.LBB352_675:
	s_delay_alu instid0(SALU_CYCLE_1)
	s_and_b32 vcc_lo, exec_lo, s22
	s_cbranch_vccz .LBB352_716
; %bb.676:
	v_cmp_lt_i16_e32 vcc_lo, 22, v3
	s_mov_b32 s22, -1
	s_cbranch_vccz .LBB352_708
; %bb.677:
	v_cmp_gt_i16_e32 vcc_lo, 24, v3
	s_mov_b32 s21, -1
	s_cbranch_vccnz .LBB352_697
; %bb.678:
	v_cmp_lt_i16_e32 vcc_lo, 24, v3
	s_cbranch_vccz .LBB352_686
; %bb.679:
	v_cvt_f32_ubyte0_e32 v5, v2
	v_mov_b32_e32 v6, 0x80
	s_mov_b32 s21, exec_lo
	s_delay_alu instid0(VALU_DEP_2)
	v_cmpx_gt_u32_e32 0x47800000, v5
	s_cbranch_execz .LBB352_685
; %bb.680:
	s_mov_b32 s22, 0
	s_mov_b32 s23, exec_lo
                                        ; implicit-def: $vgpr4
	v_cmpx_lt_u32_e32 0x37ffffff, v5
	s_xor_b32 s23, exec_lo, s23
	s_cbranch_execz .LBB352_777
; %bb.681:
	v_bfe_u32 v4, v5, 21, 1
	s_mov_b32 s22, exec_lo
	s_delay_alu instid0(VALU_DEP_1) | instskip(NEXT) | instid1(VALU_DEP_1)
	v_add3_u32 v4, v5, v4, 0x88fffff
                                        ; implicit-def: $vgpr5
	v_lshrrev_b32_e32 v4, 21, v4
	s_or_saveexec_b32 s23, s23
                                        ; implicit-def: $sgpr24
	s_delay_alu instid0(SALU_CYCLE_1)
	s_xor_b32 exec_lo, exec_lo, s23
	s_cbranch_execnz .LBB352_778
.LBB352_682:
	s_or_b32 exec_lo, exec_lo, s23
	v_mov_b32_e32 v6, s24
	s_and_saveexec_b32 s23, s22
.LBB352_683:
	v_mov_b32_e32 v6, v4
.LBB352_684:
	s_or_b32 exec_lo, exec_lo, s23
.LBB352_685:
	s_delay_alu instid0(SALU_CYCLE_1)
	s_or_b32 exec_lo, exec_lo, s21
	s_mov_b32 s21, 0
	global_store_b8 v[0:1], v6, off
.LBB352_686:
	s_and_b32 vcc_lo, exec_lo, s21
	s_cbranch_vccz .LBB352_696
; %bb.687:
	v_cvt_f32_ubyte0_e32 v5, v2
	s_mov_b32 s21, exec_lo
                                        ; implicit-def: $vgpr4
	s_delay_alu instid0(VALU_DEP_1)
	v_cmpx_gt_u32_e32 0x43f00000, v5
	s_xor_b32 s21, exec_lo, s21
	s_cbranch_execz .LBB352_693
; %bb.688:
	s_mov_b32 s22, exec_lo
                                        ; implicit-def: $vgpr4
	v_cmpx_lt_u32_e32 0x3c7fffff, v5
	s_xor_b32 s22, exec_lo, s22
; %bb.689:
	v_bfe_u32 v4, v5, 20, 1
	s_delay_alu instid0(VALU_DEP_1) | instskip(NEXT) | instid1(VALU_DEP_1)
	v_add3_u32 v4, v5, v4, 0x407ffff
	v_and_b32_e32 v5, 0xff00000, v4
	v_lshrrev_b32_e32 v4, 20, v4
	s_delay_alu instid0(VALU_DEP_2) | instskip(NEXT) | instid1(VALU_DEP_2)
	v_cmp_ne_u32_e32 vcc_lo, 0x7f00000, v5
                                        ; implicit-def: $vgpr5
	v_cndmask_b32_e32 v4, 0x7e, v4, vcc_lo
; %bb.690:
	s_and_not1_saveexec_b32 s22, s22
; %bb.691:
	v_add_f32_e32 v4, 0x46800000, v5
; %bb.692:
	s_or_b32 exec_lo, exec_lo, s22
                                        ; implicit-def: $vgpr5
.LBB352_693:
	s_and_not1_saveexec_b32 s21, s21
; %bb.694:
	v_mov_b32_e32 v4, 0x7f
	v_cmp_lt_u32_e32 vcc_lo, 0x7f800000, v5
	s_delay_alu instid0(VALU_DEP_2)
	v_cndmask_b32_e32 v4, 0x7e, v4, vcc_lo
; %bb.695:
	s_or_b32 exec_lo, exec_lo, s21
	global_store_b8 v[0:1], v4, off
.LBB352_696:
	s_mov_b32 s21, 0
.LBB352_697:
	s_delay_alu instid0(SALU_CYCLE_1)
	s_and_not1_b32 vcc_lo, exec_lo, s21
	s_cbranch_vccnz .LBB352_707
; %bb.698:
	v_cvt_f32_ubyte0_e32 v5, v2
	s_mov_b32 s21, exec_lo
                                        ; implicit-def: $vgpr4
	s_delay_alu instid0(VALU_DEP_1)
	v_cmpx_gt_u32_e32 0x47800000, v5
	s_xor_b32 s21, exec_lo, s21
	s_cbranch_execz .LBB352_704
; %bb.699:
	s_mov_b32 s22, exec_lo
                                        ; implicit-def: $vgpr4
	v_cmpx_lt_u32_e32 0x387fffff, v5
	s_xor_b32 s22, exec_lo, s22
; %bb.700:
	v_bfe_u32 v4, v5, 21, 1
	s_delay_alu instid0(VALU_DEP_1) | instskip(NEXT) | instid1(VALU_DEP_1)
	v_add3_u32 v4, v5, v4, 0x80fffff
                                        ; implicit-def: $vgpr5
	v_lshrrev_b32_e32 v4, 21, v4
; %bb.701:
	s_and_not1_saveexec_b32 s22, s22
; %bb.702:
	v_add_f32_e32 v4, 0x43000000, v5
; %bb.703:
	s_or_b32 exec_lo, exec_lo, s22
                                        ; implicit-def: $vgpr5
.LBB352_704:
	s_and_not1_saveexec_b32 s21, s21
; %bb.705:
	v_mov_b32_e32 v4, 0x7f
	v_cmp_lt_u32_e32 vcc_lo, 0x7f800000, v5
	s_delay_alu instid0(VALU_DEP_2)
	v_cndmask_b32_e32 v4, 0x7c, v4, vcc_lo
; %bb.706:
	s_or_b32 exec_lo, exec_lo, s21
	global_store_b8 v[0:1], v4, off
.LBB352_707:
	s_mov_b32 s22, 0
	s_mov_b32 s21, -1
.LBB352_708:
	s_and_not1_b32 vcc_lo, exec_lo, s22
	s_cbranch_vccnz .LBB352_716
; %bb.709:
	v_cmp_lt_i16_e32 vcc_lo, 14, v3
	s_mov_b32 s22, -1
	s_cbranch_vccz .LBB352_713
; %bb.710:
	v_cmp_eq_u16_e32 vcc_lo, 15, v3
	s_mov_b32 s0, -1
	s_cbranch_vccz .LBB352_712
; %bb.711:
	v_cvt_f32_ubyte0_e32 v4, v2
	s_mov_b32 s21, -1
	s_mov_b32 s0, 0
	s_delay_alu instid0(VALU_DEP_1) | instskip(NEXT) | instid1(VALU_DEP_1)
	v_bfe_u32 v5, v4, 16, 1
	v_add3_u32 v4, v4, v5, 0x7fff
	global_store_d16_hi_b16 v[0:1], v4, off
.LBB352_712:
	s_mov_b32 s22, 0
.LBB352_713:
	s_delay_alu instid0(SALU_CYCLE_1)
	s_and_b32 vcc_lo, exec_lo, s22
	s_cbranch_vccz .LBB352_716
; %bb.714:
	v_cmp_eq_u16_e32 vcc_lo, 11, v3
	s_mov_b32 s0, -1
	s_cbranch_vccz .LBB352_716
; %bb.715:
	v_cmp_ne_u16_e32 vcc_lo, 0, v2
	s_mov_b32 s0, 0
	s_mov_b32 s21, -1
	v_cndmask_b32_e64 v4, 0, 1, vcc_lo
	global_store_b8 v[0:1], v4, off
.LBB352_716:
	s_mov_b32 s22, 0
.LBB352_717:
	s_delay_alu instid0(SALU_CYCLE_1)
	s_and_b32 vcc_lo, exec_lo, s22
	s_cbranch_vccz .LBB352_756
; %bb.718:
	v_cmp_gt_i16_e32 vcc_lo, 5, v3
	s_mov_b32 s21, -1
	s_cbranch_vccnz .LBB352_739
; %bb.719:
	v_cmp_gt_i16_e32 vcc_lo, 8, v3
	s_cbranch_vccnz .LBB352_729
; %bb.720:
	v_cmp_gt_i16_e32 vcc_lo, 9, v3
	s_cbranch_vccnz .LBB352_726
; %bb.721:
	v_cmp_lt_i16_e32 vcc_lo, 9, v3
	s_cbranch_vccz .LBB352_723
; %bb.722:
	v_mov_b32_e32 v10, 0
	v_and_b32_e32 v4, 0xffff, v2
	s_mov_b32 s21, 0
	s_delay_alu instid0(VALU_DEP_2) | instskip(NEXT) | instid1(VALU_DEP_2)
	v_mov_b32_e32 v11, v10
	v_cvt_f64_u32_e32 v[8:9], v4
	global_store_b128 v[0:1], v[8:11], off
.LBB352_723:
	s_and_not1_b32 vcc_lo, exec_lo, s21
	s_cbranch_vccnz .LBB352_725
; %bb.724:
	v_cvt_f32_ubyte0_e32 v4, v2
	v_mov_b32_e32 v5, 0
	global_store_b64 v[0:1], v[4:5], off
.LBB352_725:
	s_mov_b32 s21, 0
.LBB352_726:
	s_delay_alu instid0(SALU_CYCLE_1)
	s_and_not1_b32 vcc_lo, exec_lo, s21
	s_cbranch_vccnz .LBB352_728
; %bb.727:
	v_cvt_f16_u16_e32 v4, v2
	s_delay_alu instid0(VALU_DEP_1)
	v_and_b32_e32 v4, 0xffff, v4
	global_store_b32 v[0:1], v4, off
.LBB352_728:
	s_mov_b32 s21, 0
.LBB352_729:
	s_delay_alu instid0(SALU_CYCLE_1)
	s_and_not1_b32 vcc_lo, exec_lo, s21
	s_cbranch_vccnz .LBB352_738
; %bb.730:
	v_cmp_gt_i16_e32 vcc_lo, 6, v3
	s_mov_b32 s21, -1
	s_cbranch_vccnz .LBB352_736
; %bb.731:
	v_cmp_lt_i16_e32 vcc_lo, 6, v3
	s_cbranch_vccz .LBB352_733
; %bb.732:
	v_and_b32_e32 v4, 0xffff, v2
	s_mov_b32 s21, 0
	s_delay_alu instid0(VALU_DEP_1)
	v_cvt_f64_u32_e32 v[4:5], v4
	global_store_b64 v[0:1], v[4:5], off
.LBB352_733:
	s_and_not1_b32 vcc_lo, exec_lo, s21
	s_cbranch_vccnz .LBB352_735
; %bb.734:
	v_cvt_f32_ubyte0_e32 v4, v2
	global_store_b32 v[0:1], v4, off
.LBB352_735:
	s_mov_b32 s21, 0
.LBB352_736:
	s_delay_alu instid0(SALU_CYCLE_1)
	s_and_not1_b32 vcc_lo, exec_lo, s21
	s_cbranch_vccnz .LBB352_738
; %bb.737:
	v_cvt_f16_u16_e32 v4, v2
	global_store_b16 v[0:1], v4, off
.LBB352_738:
	s_mov_b32 s21, 0
.LBB352_739:
	s_delay_alu instid0(SALU_CYCLE_1)
	s_and_not1_b32 vcc_lo, exec_lo, s21
	s_cbranch_vccnz .LBB352_755
; %bb.740:
	v_cmp_gt_i16_e32 vcc_lo, 2, v3
	s_mov_b32 s21, -1
	s_cbranch_vccnz .LBB352_750
; %bb.741:
	v_cmp_gt_i16_e32 vcc_lo, 3, v3
	s_cbranch_vccnz .LBB352_747
; %bb.742:
	v_cmp_lt_i16_e32 vcc_lo, 3, v3
	s_cbranch_vccz .LBB352_744
; %bb.743:
	s_mov_b32 s21, 0
	s_delay_alu instid0(SALU_CYCLE_1)
	v_dual_mov_b32 v5, s21 :: v_dual_and_b32 v4, 0xffff, v2
	global_store_b64 v[0:1], v[4:5], off
.LBB352_744:
	s_and_not1_b32 vcc_lo, exec_lo, s21
	s_cbranch_vccnz .LBB352_746
; %bb.745:
	v_and_b32_e32 v4, 0xffff, v2
	global_store_b32 v[0:1], v4, off
.LBB352_746:
	s_mov_b32 s21, 0
.LBB352_747:
	s_delay_alu instid0(SALU_CYCLE_1)
	s_and_not1_b32 vcc_lo, exec_lo, s21
	s_cbranch_vccnz .LBB352_749
; %bb.748:
	global_store_b16 v[0:1], v2, off
.LBB352_749:
	s_mov_b32 s21, 0
.LBB352_750:
	s_delay_alu instid0(SALU_CYCLE_1)
	s_and_not1_b32 vcc_lo, exec_lo, s21
	s_cbranch_vccnz .LBB352_755
; %bb.751:
	v_cmp_lt_i16_e32 vcc_lo, 0, v3
	s_mov_b32 s21, -1
	s_cbranch_vccz .LBB352_753
; %bb.752:
	s_mov_b32 s21, 0
	global_store_b8 v[0:1], v2, off
.LBB352_753:
	s_and_not1_b32 vcc_lo, exec_lo, s21
	s_cbranch_vccnz .LBB352_755
; %bb.754:
	global_store_b8 v[0:1], v2, off
.LBB352_755:
	s_mov_b32 s21, -1
.LBB352_756:
	s_delay_alu instid0(SALU_CYCLE_1)
	s_and_not1_b32 vcc_lo, exec_lo, s21
	s_cbranch_vccnz .LBB352_758
; %bb.757:
	v_add_nc_u32_e32 v7, 0x80, v7
	s_mov_b32 s22, -1
	s_branch .LBB352_760
.LBB352_758:
	s_mov_b32 s22, 0
.LBB352_759:
                                        ; implicit-def: $vgpr7
.LBB352_760:
	s_and_not1_b32 s21, s17, exec_lo
	s_and_b32 s0, s0, exec_lo
	s_and_not1_b32 s23, s16, exec_lo
	s_and_b32 s20, s20, exec_lo
	s_or_b32 s21, s21, s0
	s_or_b32 s20, s23, s20
	s_or_not1_b32 s0, s22, exec_lo
.LBB352_761:
	s_or_b32 exec_lo, exec_lo, s19
	s_mov_b32 s22, 0
	s_mov_b32 s23, 0
	;; [unrolled: 1-line block ×3, first 2 shown]
                                        ; implicit-def: $vgpr4
                                        ; implicit-def: $vgpr0_vgpr1
                                        ; implicit-def: $vgpr2
	s_and_saveexec_b32 s19, s0
	s_cbranch_execz .LBB352_842
; %bb.762:
	v_cmp_gt_i32_e32 vcc_lo, s13, v7
	s_mov_b32 s0, 0
	s_mov_b32 s22, s20
                                        ; implicit-def: $vgpr4
                                        ; implicit-def: $vgpr0_vgpr1
                                        ; implicit-def: $vgpr2
	s_and_saveexec_b32 s13, vcc_lo
	s_cbranch_execz .LBB352_841
; %bb.763:
	v_mul_lo_u32 v0, v7, s3
	v_and_b32_e64 v4, 0xff, s10
	s_delay_alu instid0(VALU_DEP_1) | instskip(NEXT) | instid1(VALU_DEP_3)
	v_cmp_gt_i16_e32 vcc_lo, 11, v4
	v_ashrrev_i32_e32 v1, 31, v0
	v_add_co_u32 v0, s0, s6, v0
	s_delay_alu instid0(VALU_DEP_1)
	v_add_co_ci_u32_e64 v1, s0, s7, v1, s0
	s_cbranch_vccnz .LBB352_770
; %bb.764:
	v_cmp_lt_i16_e32 vcc_lo, 25, v4
	s_mov_b32 s22, 0
	s_cbranch_vccz .LBB352_771
; %bb.765:
	v_cmp_lt_i16_e32 vcc_lo, 28, v4
	s_cbranch_vccz .LBB352_772
; %bb.766:
	v_cmp_lt_i16_e32 vcc_lo, 43, v4
	;; [unrolled: 3-line block ×3, first 2 shown]
	s_cbranch_vccz .LBB352_776
; %bb.768:
	v_cmp_eq_u16_e32 vcc_lo, 46, v4
	s_cbranch_vccz .LBB352_779
; %bb.769:
	global_load_b32 v2, v[0:1], off
	s_mov_b32 s0, 0
	s_mov_b32 s23, -1
	s_waitcnt vmcnt(0)
	v_lshlrev_b32_e32 v2, 16, v2
	s_delay_alu instid0(VALU_DEP_1) | instskip(NEXT) | instid1(VALU_DEP_1)
	v_trunc_f32_e32 v2, v2
	v_mul_f32_e64 v3, 0x2f800000, |v2|
	s_delay_alu instid0(VALU_DEP_1) | instskip(NEXT) | instid1(VALU_DEP_1)
	v_floor_f32_e32 v3, v3
	v_fma_f32 v3, 0xcf800000, v3, |v2|
	v_ashrrev_i32_e32 v2, 31, v2
	s_delay_alu instid0(VALU_DEP_2) | instskip(NEXT) | instid1(VALU_DEP_1)
	v_cvt_u32_f32_e32 v3, v3
	v_xor_b32_e32 v3, v3, v2
	s_delay_alu instid0(VALU_DEP_1)
	v_sub_nc_u32_e32 v2, v3, v2
	s_branch .LBB352_781
.LBB352_770:
	s_mov_b32 s25, -1
	s_mov_b32 s22, 0
	s_mov_b32 s0, s20
                                        ; implicit-def: $vgpr2
	s_branch .LBB352_840
.LBB352_771:
	s_mov_b32 s24, -1
	s_mov_b32 s0, s20
                                        ; implicit-def: $vgpr2
	s_branch .LBB352_808
.LBB352_772:
	s_mov_b32 s24, -1
	s_mov_b32 s0, s20
                                        ; implicit-def: $vgpr2
	s_branch .LBB352_791
.LBB352_773:
	s_mov_b32 s24, -1
	s_mov_b32 s0, s20
                                        ; implicit-def: $vgpr2
	s_branch .LBB352_786
.LBB352_774:
	s_or_saveexec_b32 s23, s23
                                        ; implicit-def: $sgpr24
	s_delay_alu instid0(SALU_CYCLE_1)
	s_xor_b32 exec_lo, exec_lo, s23
	s_cbranch_execz .LBB352_669
.LBB352_775:
	v_add_f32_e32 v4, 0x46000000, v5
	s_and_not1_b32 s22, s22, exec_lo
	s_mov_b32 s24, 0
	s_delay_alu instid0(VALU_DEP_1) | instskip(NEXT) | instid1(VALU_DEP_1)
	v_and_b32_e32 v4, 0xff, v4
	v_cmp_ne_u32_e32 vcc_lo, 0, v4
	s_and_b32 s25, vcc_lo, exec_lo
	s_delay_alu instid0(SALU_CYCLE_1)
	s_or_b32 s22, s22, s25
	s_or_b32 exec_lo, exec_lo, s23
	v_mov_b32_e32 v6, s24
	s_and_saveexec_b32 s23, s22
	s_cbranch_execnz .LBB352_670
	s_branch .LBB352_671
.LBB352_776:
	s_mov_b32 s24, -1
	s_mov_b32 s0, s20
	s_branch .LBB352_780
.LBB352_777:
	s_or_saveexec_b32 s23, s23
                                        ; implicit-def: $sgpr24
	s_delay_alu instid0(SALU_CYCLE_1)
	s_xor_b32 exec_lo, exec_lo, s23
	s_cbranch_execz .LBB352_682
.LBB352_778:
	v_add_f32_e32 v4, 0x42800000, v5
	s_and_not1_b32 s22, s22, exec_lo
	s_mov_b32 s24, 0
	s_delay_alu instid0(VALU_DEP_1) | instskip(NEXT) | instid1(VALU_DEP_1)
	v_and_b32_e32 v4, 0xff, v4
	v_cmp_ne_u32_e32 vcc_lo, 0, v4
	s_and_b32 s25, vcc_lo, exec_lo
	s_delay_alu instid0(SALU_CYCLE_1)
	s_or_b32 s22, s22, s25
	s_or_b32 exec_lo, exec_lo, s23
	v_mov_b32_e32 v6, s24
	s_and_saveexec_b32 s23, s22
	s_cbranch_execnz .LBB352_683
	s_branch .LBB352_684
.LBB352_779:
	s_mov_b32 s0, -1
.LBB352_780:
                                        ; implicit-def: $vgpr2
.LBB352_781:
	s_and_b32 vcc_lo, exec_lo, s24
	s_cbranch_vccz .LBB352_785
; %bb.782:
	v_cmp_eq_u16_e32 vcc_lo, 44, v4
	s_cbranch_vccz .LBB352_784
; %bb.783:
	global_load_u8 v2, v[0:1], off
	s_mov_b32 s0, 0
	s_mov_b32 s23, -1
	s_waitcnt vmcnt(0)
	v_lshlrev_b32_e32 v3, 23, v2
	v_cmp_ne_u32_e32 vcc_lo, 0, v2
	s_delay_alu instid0(VALU_DEP_2) | instskip(NEXT) | instid1(VALU_DEP_1)
	v_trunc_f32_e32 v3, v3
	v_mul_f32_e64 v5, 0x2f800000, |v3|
	s_delay_alu instid0(VALU_DEP_1) | instskip(NEXT) | instid1(VALU_DEP_1)
	v_floor_f32_e32 v5, v5
	v_fma_f32 v5, 0xcf800000, v5, |v3|
	v_ashrrev_i32_e32 v3, 31, v3
	s_delay_alu instid0(VALU_DEP_2) | instskip(NEXT) | instid1(VALU_DEP_1)
	v_cvt_u32_f32_e32 v5, v5
	v_xor_b32_e32 v5, v5, v3
	s_delay_alu instid0(VALU_DEP_1) | instskip(NEXT) | instid1(VALU_DEP_1)
	v_sub_nc_u32_e32 v3, v5, v3
	v_cndmask_b32_e32 v2, 0, v3, vcc_lo
	s_branch .LBB352_785
.LBB352_784:
	s_mov_b32 s0, -1
                                        ; implicit-def: $vgpr2
.LBB352_785:
	s_mov_b32 s24, 0
.LBB352_786:
	s_delay_alu instid0(SALU_CYCLE_1)
	s_and_b32 vcc_lo, exec_lo, s24
	s_cbranch_vccz .LBB352_790
; %bb.787:
	v_cmp_eq_u16_e32 vcc_lo, 29, v4
	s_cbranch_vccz .LBB352_789
; %bb.788:
	global_load_b64 v[2:3], v[0:1], off
	s_mov_b32 s0, 0
	s_mov_b32 s23, -1
	s_branch .LBB352_790
.LBB352_789:
	s_mov_b32 s0, -1
                                        ; implicit-def: $vgpr2
.LBB352_790:
	s_mov_b32 s24, 0
.LBB352_791:
	s_delay_alu instid0(SALU_CYCLE_1)
	s_and_b32 vcc_lo, exec_lo, s24
	s_cbranch_vccz .LBB352_807
; %bb.792:
	v_cmp_gt_i16_e32 vcc_lo, 27, v4
	s_cbranch_vccnz .LBB352_795
; %bb.793:
	v_cmp_lt_i16_e32 vcc_lo, 27, v4
	s_cbranch_vccz .LBB352_796
; %bb.794:
	global_load_b32 v2, v[0:1], off
	s_mov_b32 s23, 0
	s_branch .LBB352_797
.LBB352_795:
	s_mov_b32 s23, -1
                                        ; implicit-def: $vgpr2
	s_branch .LBB352_800
.LBB352_796:
	s_mov_b32 s23, -1
                                        ; implicit-def: $vgpr2
.LBB352_797:
	s_delay_alu instid0(SALU_CYCLE_1)
	s_and_not1_b32 vcc_lo, exec_lo, s23
	s_cbranch_vccnz .LBB352_799
; %bb.798:
	global_load_u16 v2, v[0:1], off
.LBB352_799:
	s_mov_b32 s23, 0
.LBB352_800:
	s_delay_alu instid0(SALU_CYCLE_1)
	s_and_not1_b32 vcc_lo, exec_lo, s23
	s_cbranch_vccnz .LBB352_806
; %bb.801:
	global_load_u8 v3, v[0:1], off
	s_mov_b32 s24, 0
	s_mov_b32 s23, exec_lo
                                        ; implicit-def: $sgpr25
	s_waitcnt vmcnt(0)
	v_cmpx_lt_i16_e32 0x7f, v3
	s_xor_b32 s23, exec_lo, s23
	s_cbranch_execz .LBB352_818
; %bb.802:
	v_cmp_ne_u16_e32 vcc_lo, 0x80, v3
	s_mov_b32 s25, 0
	s_and_b32 s24, vcc_lo, exec_lo
	s_or_saveexec_b32 s23, s23
	v_mov_b32_e32 v2, s25
	s_xor_b32 exec_lo, exec_lo, s23
	s_cbranch_execnz .LBB352_819
.LBB352_803:
	s_or_b32 exec_lo, exec_lo, s23
	s_and_saveexec_b32 s23, s24
	s_cbranch_execz .LBB352_805
.LBB352_804:
	v_and_b32_e32 v2, 0xffff, v3
	s_delay_alu instid0(VALU_DEP_1) | instskip(NEXT) | instid1(VALU_DEP_1)
	v_and_b32_e32 v5, 7, v2
	v_clz_i32_u32_e32 v6, v5
	s_delay_alu instid0(VALU_DEP_1) | instskip(NEXT) | instid1(VALU_DEP_1)
	v_min_u32_e32 v6, 32, v6
	v_subrev_nc_u32_e32 v8, 28, v6
	v_sub_nc_u32_e32 v6, 29, v6
	s_delay_alu instid0(VALU_DEP_2) | instskip(SKIP_1) | instid1(VALU_DEP_2)
	v_lshlrev_b32_e32 v8, v8, v2
	v_bfe_u32 v2, v2, 3, 4
	v_and_b32_e32 v8, 7, v8
	s_delay_alu instid0(VALU_DEP_2) | instskip(SKIP_1) | instid1(VALU_DEP_3)
	v_cmp_eq_u32_e32 vcc_lo, 0, v2
	v_dual_cndmask_b32 v2, v2, v6 :: v_dual_lshlrev_b32 v3, 24, v3
	v_cndmask_b32_e32 v5, v5, v8, vcc_lo
	s_delay_alu instid0(VALU_DEP_2) | instskip(NEXT) | instid1(VALU_DEP_3)
	v_and_b32_e32 v3, 0x80000000, v3
	v_lshl_add_u32 v2, v2, 23, 0x3b800000
	s_delay_alu instid0(VALU_DEP_3) | instskip(NEXT) | instid1(VALU_DEP_1)
	v_lshlrev_b32_e32 v5, 20, v5
	v_or3_b32 v2, v3, v2, v5
	s_delay_alu instid0(VALU_DEP_1) | instskip(NEXT) | instid1(VALU_DEP_1)
	v_trunc_f32_e32 v2, v2
	v_mul_f32_e64 v3, 0x2f800000, |v2|
	s_delay_alu instid0(VALU_DEP_1) | instskip(NEXT) | instid1(VALU_DEP_1)
	v_floor_f32_e32 v3, v3
	v_fma_f32 v3, 0xcf800000, v3, |v2|
	v_ashrrev_i32_e32 v2, 31, v2
	s_delay_alu instid0(VALU_DEP_2) | instskip(NEXT) | instid1(VALU_DEP_1)
	v_cvt_u32_f32_e32 v3, v3
	v_xor_b32_e32 v3, v3, v2
	s_delay_alu instid0(VALU_DEP_1)
	v_sub_nc_u32_e32 v2, v3, v2
.LBB352_805:
	s_or_b32 exec_lo, exec_lo, s23
.LBB352_806:
	s_mov_b32 s23, -1
.LBB352_807:
	s_mov_b32 s24, 0
.LBB352_808:
	s_delay_alu instid0(SALU_CYCLE_1)
	s_and_b32 vcc_lo, exec_lo, s24
	s_cbranch_vccz .LBB352_839
; %bb.809:
	v_cmp_lt_i16_e32 vcc_lo, 22, v4
	s_cbranch_vccz .LBB352_817
; %bb.810:
	v_cmp_gt_i16_e32 vcc_lo, 24, v4
	s_cbranch_vccnz .LBB352_820
; %bb.811:
	v_cmp_lt_i16_e32 vcc_lo, 24, v4
	s_cbranch_vccz .LBB352_821
; %bb.812:
	global_load_u8 v3, v[0:1], off
	s_mov_b32 s23, 0
	s_mov_b32 s22, exec_lo
                                        ; implicit-def: $sgpr24
	s_waitcnt vmcnt(0)
	v_cmpx_lt_i16_e32 0x7f, v3
	s_xor_b32 s22, exec_lo, s22
	s_cbranch_execz .LBB352_833
; %bb.813:
	v_cmp_ne_u16_e32 vcc_lo, 0x80, v3
	s_mov_b32 s24, 0
	s_and_b32 s23, vcc_lo, exec_lo
	s_or_saveexec_b32 s22, s22
	v_mov_b32_e32 v2, s24
	s_xor_b32 exec_lo, exec_lo, s22
	s_cbranch_execnz .LBB352_834
.LBB352_814:
	s_or_b32 exec_lo, exec_lo, s22
	s_and_saveexec_b32 s22, s23
	s_cbranch_execz .LBB352_816
.LBB352_815:
	v_and_b32_e32 v2, 0xffff, v3
	s_delay_alu instid0(VALU_DEP_1) | instskip(NEXT) | instid1(VALU_DEP_1)
	v_and_b32_e32 v5, 3, v2
	v_clz_i32_u32_e32 v6, v5
	s_delay_alu instid0(VALU_DEP_1) | instskip(NEXT) | instid1(VALU_DEP_1)
	v_min_u32_e32 v6, 32, v6
	v_subrev_nc_u32_e32 v8, 29, v6
	v_sub_nc_u32_e32 v6, 30, v6
	s_delay_alu instid0(VALU_DEP_2) | instskip(SKIP_1) | instid1(VALU_DEP_2)
	v_lshlrev_b32_e32 v8, v8, v2
	v_bfe_u32 v2, v2, 2, 5
	v_and_b32_e32 v8, 3, v8
	s_delay_alu instid0(VALU_DEP_2) | instskip(SKIP_1) | instid1(VALU_DEP_3)
	v_cmp_eq_u32_e32 vcc_lo, 0, v2
	v_dual_cndmask_b32 v2, v2, v6 :: v_dual_lshlrev_b32 v3, 24, v3
	v_cndmask_b32_e32 v5, v5, v8, vcc_lo
	s_delay_alu instid0(VALU_DEP_2) | instskip(NEXT) | instid1(VALU_DEP_3)
	v_and_b32_e32 v3, 0x80000000, v3
	v_lshl_add_u32 v2, v2, 23, 0x37800000
	s_delay_alu instid0(VALU_DEP_3) | instskip(NEXT) | instid1(VALU_DEP_1)
	v_lshlrev_b32_e32 v5, 21, v5
	v_or3_b32 v2, v3, v2, v5
	s_delay_alu instid0(VALU_DEP_1) | instskip(NEXT) | instid1(VALU_DEP_1)
	v_trunc_f32_e32 v2, v2
	v_mul_f32_e64 v3, 0x2f800000, |v2|
	s_delay_alu instid0(VALU_DEP_1) | instskip(NEXT) | instid1(VALU_DEP_1)
	v_floor_f32_e32 v3, v3
	v_fma_f32 v3, 0xcf800000, v3, |v2|
	v_ashrrev_i32_e32 v2, 31, v2
	s_delay_alu instid0(VALU_DEP_2) | instskip(NEXT) | instid1(VALU_DEP_1)
	v_cvt_u32_f32_e32 v3, v3
	v_xor_b32_e32 v3, v3, v2
	s_delay_alu instid0(VALU_DEP_1)
	v_sub_nc_u32_e32 v2, v3, v2
.LBB352_816:
	s_or_b32 exec_lo, exec_lo, s22
	s_mov_b32 s22, 0
	s_branch .LBB352_822
.LBB352_817:
	s_mov_b32 s22, -1
                                        ; implicit-def: $vgpr2
	s_branch .LBB352_828
.LBB352_818:
	s_or_saveexec_b32 s23, s23
	v_mov_b32_e32 v2, s25
	s_xor_b32 exec_lo, exec_lo, s23
	s_cbranch_execz .LBB352_803
.LBB352_819:
	v_cmp_ne_u16_e32 vcc_lo, 0, v3
	v_mov_b32_e32 v2, 0
	s_and_not1_b32 s24, s24, exec_lo
	s_and_b32 s25, vcc_lo, exec_lo
	s_delay_alu instid0(SALU_CYCLE_1)
	s_or_b32 s24, s24, s25
	s_or_b32 exec_lo, exec_lo, s23
	s_and_saveexec_b32 s23, s24
	s_cbranch_execnz .LBB352_804
	s_branch .LBB352_805
.LBB352_820:
	s_mov_b32 s22, -1
                                        ; implicit-def: $vgpr2
	s_branch .LBB352_825
.LBB352_821:
	s_mov_b32 s22, -1
                                        ; implicit-def: $vgpr2
.LBB352_822:
	s_delay_alu instid0(SALU_CYCLE_1)
	s_and_b32 vcc_lo, exec_lo, s22
	s_cbranch_vccz .LBB352_824
; %bb.823:
	global_load_u8 v2, v[0:1], off
	s_waitcnt vmcnt(0)
	v_lshlrev_b32_e32 v2, 24, v2
	s_delay_alu instid0(VALU_DEP_1) | instskip(NEXT) | instid1(VALU_DEP_1)
	v_and_b32_e32 v3, 0x7f000000, v2
	v_clz_i32_u32_e32 v5, v3
	v_add_nc_u32_e32 v8, 0x1000000, v3
	v_cmp_ne_u32_e32 vcc_lo, 0, v3
	s_delay_alu instid0(VALU_DEP_3) | instskip(NEXT) | instid1(VALU_DEP_1)
	v_min_u32_e32 v5, 32, v5
	v_sub_nc_u32_e64 v5, v5, 4 clamp
	s_delay_alu instid0(VALU_DEP_1) | instskip(SKIP_1) | instid1(VALU_DEP_2)
	v_lshlrev_b32_e32 v6, v5, v3
	v_lshlrev_b32_e32 v5, 23, v5
	v_lshrrev_b32_e32 v6, 4, v6
	s_delay_alu instid0(VALU_DEP_1) | instskip(SKIP_1) | instid1(VALU_DEP_2)
	v_sub_nc_u32_e32 v5, v6, v5
	v_ashrrev_i32_e32 v6, 8, v8
	v_add_nc_u32_e32 v5, 0x3c000000, v5
	s_delay_alu instid0(VALU_DEP_1) | instskip(NEXT) | instid1(VALU_DEP_1)
	v_and_or_b32 v5, 0x7f800000, v6, v5
	v_cndmask_b32_e32 v3, 0, v5, vcc_lo
	s_delay_alu instid0(VALU_DEP_1) | instskip(NEXT) | instid1(VALU_DEP_1)
	v_and_or_b32 v2, 0x80000000, v2, v3
	v_trunc_f32_e32 v2, v2
	s_delay_alu instid0(VALU_DEP_1) | instskip(NEXT) | instid1(VALU_DEP_1)
	v_mul_f32_e64 v3, 0x2f800000, |v2|
	v_floor_f32_e32 v3, v3
	s_delay_alu instid0(VALU_DEP_1) | instskip(SKIP_1) | instid1(VALU_DEP_2)
	v_fma_f32 v3, 0xcf800000, v3, |v2|
	v_ashrrev_i32_e32 v2, 31, v2
	v_cvt_u32_f32_e32 v3, v3
	s_delay_alu instid0(VALU_DEP_1) | instskip(NEXT) | instid1(VALU_DEP_1)
	v_xor_b32_e32 v3, v3, v2
	v_sub_nc_u32_e32 v2, v3, v2
.LBB352_824:
	s_mov_b32 s22, 0
.LBB352_825:
	s_delay_alu instid0(SALU_CYCLE_1)
	s_and_not1_b32 vcc_lo, exec_lo, s22
	s_cbranch_vccnz .LBB352_827
; %bb.826:
	global_load_u8 v2, v[0:1], off
	s_waitcnt vmcnt(0)
	v_lshlrev_b32_e32 v3, 25, v2
	v_lshlrev_b16 v2, 8, v2
	s_delay_alu instid0(VALU_DEP_2) | instskip(NEXT) | instid1(VALU_DEP_2)
	v_lshrrev_b32_e32 v5, 4, v3
	v_and_or_b32 v6, 0x7f00, v2, 0.5
	v_cmp_gt_u32_e32 vcc_lo, 0x8000000, v3
	v_bfe_i32 v2, v2, 0, 16
	s_delay_alu instid0(VALU_DEP_4) | instskip(NEXT) | instid1(VALU_DEP_1)
	v_or_b32_e32 v5, 0x70000000, v5
	v_dual_add_f32 v6, -0.5, v6 :: v_dual_mul_f32 v5, 0x7800000, v5
	s_delay_alu instid0(VALU_DEP_1) | instskip(NEXT) | instid1(VALU_DEP_1)
	v_cndmask_b32_e32 v3, v5, v6, vcc_lo
	v_and_or_b32 v2, 0x80000000, v2, v3
	s_delay_alu instid0(VALU_DEP_1) | instskip(NEXT) | instid1(VALU_DEP_1)
	v_trunc_f32_e32 v2, v2
	v_mul_f32_e64 v3, 0x2f800000, |v2|
	s_delay_alu instid0(VALU_DEP_1) | instskip(NEXT) | instid1(VALU_DEP_1)
	v_floor_f32_e32 v3, v3
	v_fma_f32 v3, 0xcf800000, v3, |v2|
	v_ashrrev_i32_e32 v2, 31, v2
	s_delay_alu instid0(VALU_DEP_2) | instskip(NEXT) | instid1(VALU_DEP_1)
	v_cvt_u32_f32_e32 v3, v3
	v_xor_b32_e32 v3, v3, v2
	s_delay_alu instid0(VALU_DEP_1)
	v_sub_nc_u32_e32 v2, v3, v2
.LBB352_827:
	s_mov_b32 s22, 0
	s_mov_b32 s23, -1
.LBB352_828:
	s_and_not1_b32 vcc_lo, exec_lo, s22
	s_mov_b32 s22, 0
	s_cbranch_vccnz .LBB352_839
; %bb.829:
	v_cmp_lt_i16_e32 vcc_lo, 14, v4
	s_cbranch_vccz .LBB352_832
; %bb.830:
	v_cmp_eq_u16_e32 vcc_lo, 15, v4
	s_cbranch_vccz .LBB352_835
; %bb.831:
	global_load_u16 v2, v[0:1], off
	s_mov_b32 s0, 0
	s_mov_b32 s23, -1
	s_waitcnt vmcnt(0)
	v_lshlrev_b32_e32 v2, 16, v2
	s_delay_alu instid0(VALU_DEP_1) | instskip(NEXT) | instid1(VALU_DEP_1)
	v_trunc_f32_e32 v2, v2
	v_mul_f32_e64 v3, 0x2f800000, |v2|
	s_delay_alu instid0(VALU_DEP_1) | instskip(NEXT) | instid1(VALU_DEP_1)
	v_floor_f32_e32 v3, v3
	v_fma_f32 v3, 0xcf800000, v3, |v2|
	v_ashrrev_i32_e32 v2, 31, v2
	s_delay_alu instid0(VALU_DEP_2) | instskip(NEXT) | instid1(VALU_DEP_1)
	v_cvt_u32_f32_e32 v3, v3
	v_xor_b32_e32 v3, v3, v2
	s_delay_alu instid0(VALU_DEP_1)
	v_sub_nc_u32_e32 v2, v3, v2
	s_branch .LBB352_837
.LBB352_832:
	s_mov_b32 s22, -1
	s_branch .LBB352_836
.LBB352_833:
	s_or_saveexec_b32 s22, s22
	v_mov_b32_e32 v2, s24
	s_xor_b32 exec_lo, exec_lo, s22
	s_cbranch_execz .LBB352_814
.LBB352_834:
	v_cmp_ne_u16_e32 vcc_lo, 0, v3
	v_mov_b32_e32 v2, 0
	s_and_not1_b32 s23, s23, exec_lo
	s_and_b32 s24, vcc_lo, exec_lo
	s_delay_alu instid0(SALU_CYCLE_1)
	s_or_b32 s23, s23, s24
	s_or_b32 exec_lo, exec_lo, s22
	s_and_saveexec_b32 s22, s23
	s_cbranch_execnz .LBB352_815
	s_branch .LBB352_816
.LBB352_835:
	s_mov_b32 s0, -1
.LBB352_836:
                                        ; implicit-def: $vgpr2
.LBB352_837:
	s_and_b32 vcc_lo, exec_lo, s22
	s_mov_b32 s22, 0
	s_cbranch_vccz .LBB352_839
; %bb.838:
	v_cmp_ne_u16_e32 vcc_lo, 11, v4
	s_and_not1_b32 s0, s0, exec_lo
	s_mov_b32 s22, -1
                                        ; implicit-def: $vgpr2
	s_and_b32 s24, vcc_lo, exec_lo
	s_delay_alu instid0(SALU_CYCLE_1)
	s_or_b32 s0, s0, s24
.LBB352_839:
	s_mov_b32 s25, 0
.LBB352_840:
	s_and_b32 s24, s23, exec_lo
	s_and_b32 s23, s25, exec_lo
	s_and_not1_b32 s25, s20, exec_lo
	s_and_b32 s26, s0, exec_lo
	s_and_b32 s0, s22, exec_lo
	s_or_b32 s22, s25, s26
.LBB352_841:
	s_or_b32 exec_lo, exec_lo, s13
	s_delay_alu instid0(SALU_CYCLE_1)
	s_and_not1_b32 s13, s20, exec_lo
	s_and_b32 s20, s22, exec_lo
	s_and_b32 s24, s24, exec_lo
	;; [unrolled: 1-line block ×4, first 2 shown]
	s_or_b32 s20, s13, s20
.LBB352_842:
	s_or_b32 exec_lo, exec_lo, s19
	s_delay_alu instid0(SALU_CYCLE_1)
	s_and_not1_b32 s0, s17, exec_lo
	s_and_b32 s13, s21, exec_lo
	s_and_b32 s21, s23, exec_lo
	s_or_b32 s17, s0, s13
	s_and_not1_b32 s13, s16, exec_lo
	s_and_b32 s16, s20, exec_lo
	s_and_b32 s0, s24, exec_lo
	;; [unrolled: 1-line block ×3, first 2 shown]
	s_or_b32 s16, s13, s16
.LBB352_843:
	s_or_b32 exec_lo, exec_lo, s18
	s_delay_alu instid0(SALU_CYCLE_1)
	s_and_not1_b32 s12, s12, exec_lo
	s_and_b32 s13, s17, exec_lo
	s_and_b32 s0, s0, exec_lo
	s_or_b32 s12, s12, s13
	s_and_not1_b32 s13, s14, exec_lo
	s_and_b32 s14, s16, exec_lo
	s_and_b32 s17, s21, exec_lo
	s_and_b32 s16, s19, exec_lo
	s_or_b32 s14, s13, s14
.LBB352_844:
	s_or_b32 exec_lo, exec_lo, s15
	s_mov_b32 s13, 0
	s_and_saveexec_b32 s15, s14
	s_cbranch_execnz .LBB352_856
; %bb.845:
	s_or_b32 exec_lo, exec_lo, s15
	s_and_saveexec_b32 s14, s16
	s_delay_alu instid0(SALU_CYCLE_1)
	s_xor_b32 s14, exec_lo, s14
	s_cbranch_execz .LBB352_847
.LBB352_846:
	global_load_u8 v2, v[0:1], off
	s_or_b32 s0, s0, exec_lo
	s_waitcnt vmcnt(0)
	v_cmp_ne_u16_e32 vcc_lo, 0, v2
	v_cndmask_b32_e64 v2, 0, 1, vcc_lo
.LBB352_847:
	s_or_b32 exec_lo, exec_lo, s14
	s_and_saveexec_b32 s14, s17
	s_cbranch_execz .LBB352_895
; %bb.848:
	v_cmp_gt_i16_e32 vcc_lo, 5, v4
	s_cbranch_vccnz .LBB352_853
; %bb.849:
	v_cmp_gt_i16_e32 vcc_lo, 8, v4
	s_cbranch_vccnz .LBB352_854
	;; [unrolled: 3-line block ×3, first 2 shown]
; %bb.851:
	v_cmp_lt_i16_e32 vcc_lo, 9, v4
	s_cbranch_vccz .LBB352_858
; %bb.852:
	global_load_b64 v[2:3], v[0:1], off
	s_mov_b32 s15, 0
	s_waitcnt vmcnt(0)
	v_trunc_f64_e32 v[2:3], v[2:3]
	s_delay_alu instid0(VALU_DEP_1) | instskip(NEXT) | instid1(VALU_DEP_1)
	v_ldexp_f64 v[5:6], v[2:3], 0xffffffe0
	v_floor_f64_e32 v[5:6], v[5:6]
	s_delay_alu instid0(VALU_DEP_1) | instskip(NEXT) | instid1(VALU_DEP_1)
	v_fma_f64 v[2:3], 0xc1f00000, v[5:6], v[2:3]
	v_cvt_u32_f64_e32 v2, v[2:3]
	s_branch .LBB352_859
.LBB352_853:
                                        ; implicit-def: $vgpr2
	s_branch .LBB352_876
.LBB352_854:
                                        ; implicit-def: $vgpr2
	s_branch .LBB352_865
.LBB352_855:
	s_mov_b32 s15, -1
                                        ; implicit-def: $vgpr2
	s_branch .LBB352_862
.LBB352_856:
	s_cbranch_execnz .LBB352_904
; %bb.857:
	s_mov_b32 s13, exec_lo
	s_and_not1_b32 s16, s16, exec_lo
                                        ; implicit-def: $vgpr2
	s_or_b32 exec_lo, exec_lo, s15
	s_and_saveexec_b32 s14, s16
	s_delay_alu instid0(SALU_CYCLE_1)
	s_xor_b32 s14, exec_lo, s14
	s_cbranch_execnz .LBB352_846
	s_branch .LBB352_847
.LBB352_858:
	s_mov_b32 s15, -1
                                        ; implicit-def: $vgpr2
.LBB352_859:
	s_delay_alu instid0(SALU_CYCLE_1)
	s_and_not1_b32 vcc_lo, exec_lo, s15
	s_cbranch_vccnz .LBB352_861
; %bb.860:
	global_load_b32 v2, v[0:1], off
	s_waitcnt vmcnt(0)
	v_trunc_f32_e32 v2, v2
	s_delay_alu instid0(VALU_DEP_1) | instskip(NEXT) | instid1(VALU_DEP_1)
	v_mul_f32_e64 v3, 0x2f800000, |v2|
	v_floor_f32_e32 v3, v3
	s_delay_alu instid0(VALU_DEP_1) | instskip(SKIP_1) | instid1(VALU_DEP_2)
	v_fma_f32 v3, 0xcf800000, v3, |v2|
	v_ashrrev_i32_e32 v2, 31, v2
	v_cvt_u32_f32_e32 v3, v3
	s_delay_alu instid0(VALU_DEP_1) | instskip(NEXT) | instid1(VALU_DEP_1)
	v_xor_b32_e32 v3, v3, v2
	v_sub_nc_u32_e32 v2, v3, v2
.LBB352_861:
	s_mov_b32 s15, 0
.LBB352_862:
	s_delay_alu instid0(SALU_CYCLE_1)
	s_and_not1_b32 vcc_lo, exec_lo, s15
	s_cbranch_vccnz .LBB352_864
; %bb.863:
	global_load_b32 v2, v[0:1], off
	s_waitcnt vmcnt(0)
	v_cvt_f32_f16_e32 v2, v2
	s_delay_alu instid0(VALU_DEP_1)
	v_cvt_i32_f32_e32 v2, v2
.LBB352_864:
	s_cbranch_execnz .LBB352_875
.LBB352_865:
	v_cmp_gt_i16_e32 vcc_lo, 6, v4
	s_cbranch_vccnz .LBB352_868
; %bb.866:
	v_cmp_lt_i16_e32 vcc_lo, 6, v4
	s_cbranch_vccz .LBB352_869
; %bb.867:
	global_load_b64 v[2:3], v[0:1], off
	s_mov_b32 s15, 0
	s_waitcnt vmcnt(0)
	v_trunc_f64_e32 v[2:3], v[2:3]
	s_delay_alu instid0(VALU_DEP_1) | instskip(NEXT) | instid1(VALU_DEP_1)
	v_ldexp_f64 v[5:6], v[2:3], 0xffffffe0
	v_floor_f64_e32 v[5:6], v[5:6]
	s_delay_alu instid0(VALU_DEP_1) | instskip(NEXT) | instid1(VALU_DEP_1)
	v_fma_f64 v[2:3], 0xc1f00000, v[5:6], v[2:3]
	v_cvt_u32_f64_e32 v2, v[2:3]
	s_branch .LBB352_870
.LBB352_868:
	s_mov_b32 s15, -1
                                        ; implicit-def: $vgpr2
	s_branch .LBB352_873
.LBB352_869:
	s_mov_b32 s15, -1
                                        ; implicit-def: $vgpr2
.LBB352_870:
	s_delay_alu instid0(SALU_CYCLE_1)
	s_and_not1_b32 vcc_lo, exec_lo, s15
	s_cbranch_vccnz .LBB352_872
; %bb.871:
	global_load_b32 v2, v[0:1], off
	s_waitcnt vmcnt(0)
	v_trunc_f32_e32 v2, v2
	s_delay_alu instid0(VALU_DEP_1) | instskip(NEXT) | instid1(VALU_DEP_1)
	v_mul_f32_e64 v3, 0x2f800000, |v2|
	v_floor_f32_e32 v3, v3
	s_delay_alu instid0(VALU_DEP_1) | instskip(SKIP_1) | instid1(VALU_DEP_2)
	v_fma_f32 v3, 0xcf800000, v3, |v2|
	v_ashrrev_i32_e32 v2, 31, v2
	v_cvt_u32_f32_e32 v3, v3
	s_delay_alu instid0(VALU_DEP_1) | instskip(NEXT) | instid1(VALU_DEP_1)
	v_xor_b32_e32 v3, v3, v2
	v_sub_nc_u32_e32 v2, v3, v2
.LBB352_872:
	s_mov_b32 s15, 0
.LBB352_873:
	s_delay_alu instid0(SALU_CYCLE_1)
	s_and_not1_b32 vcc_lo, exec_lo, s15
	s_cbranch_vccnz .LBB352_875
; %bb.874:
	global_load_u16 v2, v[0:1], off
	s_waitcnt vmcnt(0)
	v_cvt_f32_f16_e32 v2, v2
	s_delay_alu instid0(VALU_DEP_1)
	v_cvt_i32_f32_e32 v2, v2
.LBB352_875:
	s_cbranch_execnz .LBB352_894
.LBB352_876:
	v_cmp_gt_i16_e32 vcc_lo, 2, v4
	s_cbranch_vccnz .LBB352_880
; %bb.877:
	v_cmp_gt_i16_e32 vcc_lo, 3, v4
	s_cbranch_vccnz .LBB352_881
; %bb.878:
	v_cmp_lt_i16_e32 vcc_lo, 3, v4
	s_cbranch_vccz .LBB352_882
; %bb.879:
	global_load_b64 v[2:3], v[0:1], off
	s_mov_b32 s15, 0
	s_branch .LBB352_883
.LBB352_880:
                                        ; implicit-def: $vgpr2
	s_branch .LBB352_889
.LBB352_881:
	s_mov_b32 s15, -1
                                        ; implicit-def: $vgpr2
	s_branch .LBB352_886
.LBB352_882:
	s_mov_b32 s15, -1
                                        ; implicit-def: $vgpr2
.LBB352_883:
	s_delay_alu instid0(SALU_CYCLE_1)
	s_and_not1_b32 vcc_lo, exec_lo, s15
	s_cbranch_vccnz .LBB352_885
; %bb.884:
	global_load_b32 v2, v[0:1], off
.LBB352_885:
	s_mov_b32 s15, 0
.LBB352_886:
	s_delay_alu instid0(SALU_CYCLE_1)
	s_and_not1_b32 vcc_lo, exec_lo, s15
	s_cbranch_vccnz .LBB352_888
; %bb.887:
	global_load_u16 v2, v[0:1], off
.LBB352_888:
	s_cbranch_execnz .LBB352_894
.LBB352_889:
	v_cmp_lt_i16_e32 vcc_lo, 0, v4
	s_mov_b32 s15, 0
	s_cbranch_vccz .LBB352_891
; %bb.890:
	global_load_u8 v2, v[0:1], off
	s_branch .LBB352_892
.LBB352_891:
	s_mov_b32 s15, -1
                                        ; implicit-def: $vgpr2
.LBB352_892:
	s_delay_alu instid0(SALU_CYCLE_1)
	s_and_not1_b32 vcc_lo, exec_lo, s15
	s_cbranch_vccnz .LBB352_894
; %bb.893:
	global_load_u8 v2, v[0:1], off
.LBB352_894:
	s_or_b32 s0, s0, exec_lo
.LBB352_895:
	s_or_b32 exec_lo, exec_lo, s14
	s_mov_b32 s16, 0
	s_mov_b32 s15, 0
                                        ; implicit-def: $vgpr4
                                        ; implicit-def: $vgpr0_vgpr1
                                        ; implicit-def: $vgpr3
	s_and_saveexec_b32 s14, s0
	s_cbranch_execz .LBB352_975
; %bb.896:
	v_mul_lo_u32 v0, v7, s2
	v_and_b32_e64 v1, 0xff, s8
	s_waitcnt vmcnt(0)
	s_delay_alu instid0(VALU_DEP_3) | instskip(SKIP_1) | instid1(VALU_DEP_2)
	v_and_b32_e32 v2, 0xff, v2
	v_and_b32_e64 v4, 0xff, s1
	v_max_u16 v3, v2, v1
	v_ashrrev_i32_e32 v1, 31, v0
	s_delay_alu instid0(VALU_DEP_3) | instskip(SKIP_1) | instid1(VALU_DEP_1)
	v_cmp_gt_i16_e32 vcc_lo, 11, v4
	v_add_co_u32 v0, s0, s4, v0
	v_add_co_ci_u32_e64 v1, s0, s5, v1, s0
	s_cbranch_vccnz .LBB352_903
; %bb.897:
	v_cmp_lt_i16_e32 vcc_lo, 25, v4
	s_mov_b32 s15, -1
	s_mov_b32 s0, s12
	s_cbranch_vccz .LBB352_933
; %bb.898:
	v_cmp_lt_i16_e32 vcc_lo, 28, v4
	s_mov_b32 s0, s12
	s_cbranch_vccz .LBB352_917
; %bb.899:
	v_cmp_lt_i16_e32 vcc_lo, 43, v4
	;; [unrolled: 4-line block ×3, first 2 shown]
	s_mov_b32 s0, s12
	s_cbranch_vccz .LBB352_907
; %bb.901:
	v_cmp_eq_u16_e32 vcc_lo, 46, v4
	s_mov_b32 s0, -1
	s_cbranch_vccz .LBB352_906
; %bb.902:
	v_cvt_f32_ubyte0_e32 v2, v3
	s_mov_b32 s0, 0
	s_mov_b32 s15, 0
	s_delay_alu instid0(VALU_DEP_1) | instskip(NEXT) | instid1(VALU_DEP_1)
	v_bfe_u32 v5, v2, 16, 1
	v_add3_u32 v2, v2, v5, 0x7fff
	s_delay_alu instid0(VALU_DEP_1)
	v_lshrrev_b32_e32 v2, 16, v2
	global_store_b32 v[0:1], v2, off
	s_branch .LBB352_907
.LBB352_903:
	s_mov_b32 s15, -1
	s_mov_b32 s0, s12
	s_branch .LBB352_974
.LBB352_904:
	s_trap 2
	s_sendmsg_rtn_b32 s0, sendmsg(MSG_RTN_GET_DOORBELL)
	s_mov_b32 ttmp2, m0
	s_waitcnt lgkmcnt(0)
	s_and_b32 s0, s0, 0x3ff
	s_delay_alu instid0(SALU_CYCLE_1) | instskip(NEXT) | instid1(SALU_CYCLE_1)
	s_bitset1_b32 s0, 10
	s_mov_b32 m0, s0
	s_sendmsg sendmsg(MSG_INTERRUPT)
	s_mov_b32 m0, ttmp2
.LBB352_905:                            ; =>This Inner Loop Header: Depth=1
	s_sethalt 5
	s_branch .LBB352_905
.LBB352_906:
	s_mov_b32 s15, 0
.LBB352_907:
	s_delay_alu instid0(SALU_CYCLE_1)
	s_and_b32 vcc_lo, exec_lo, s15
	s_cbranch_vccz .LBB352_912
; %bb.908:
	v_cmp_eq_u16_e32 vcc_lo, 44, v4
	s_mov_b32 s0, -1
	s_cbranch_vccz .LBB352_912
; %bb.909:
	v_cvt_f32_ubyte0_e32 v6, v3
	v_mov_b32_e32 v5, 0xff
	s_mov_b32 s15, exec_lo
	s_delay_alu instid0(VALU_DEP_2) | instskip(NEXT) | instid1(VALU_DEP_1)
	v_lshrrev_b32_e32 v2, 23, v6
	v_cmpx_ne_u32_e32 0xff, v2
; %bb.910:
	v_and_b32_e32 v5, 0x400000, v6
	v_and_or_b32 v6, 0x3fffff, v6, v2
	s_delay_alu instid0(VALU_DEP_2) | instskip(NEXT) | instid1(VALU_DEP_2)
	v_cmp_ne_u32_e32 vcc_lo, 0, v5
	v_cmp_ne_u32_e64 s0, 0, v6
	s_delay_alu instid0(VALU_DEP_1) | instskip(NEXT) | instid1(SALU_CYCLE_1)
	s_and_b32 s0, vcc_lo, s0
	v_cndmask_b32_e64 v5, 0, 1, s0
	s_delay_alu instid0(VALU_DEP_1)
	v_add_nc_u32_e32 v5, v2, v5
; %bb.911:
	s_or_b32 exec_lo, exec_lo, s15
	s_mov_b32 s0, 0
	global_store_b8 v[0:1], v5, off
.LBB352_912:
	s_mov_b32 s15, 0
.LBB352_913:
	s_delay_alu instid0(SALU_CYCLE_1)
	s_and_b32 vcc_lo, exec_lo, s15
	s_cbranch_vccz .LBB352_916
; %bb.914:
	v_cmp_eq_u16_e32 vcc_lo, 29, v4
	s_mov_b32 s0, -1
	s_cbranch_vccz .LBB352_916
; %bb.915:
	s_mov_b32 s0, 0
	s_delay_alu instid0(SALU_CYCLE_1)
	v_dual_mov_b32 v6, s0 :: v_dual_and_b32 v5, 0xffff, v3
	s_mov_b32 s15, 0
	global_store_b64 v[0:1], v[5:6], off
	s_branch .LBB352_917
.LBB352_916:
	s_mov_b32 s15, 0
.LBB352_917:
	s_delay_alu instid0(SALU_CYCLE_1)
	s_and_b32 vcc_lo, exec_lo, s15
	s_cbranch_vccz .LBB352_932
; %bb.918:
	v_cmp_gt_i16_e32 vcc_lo, 27, v4
	s_mov_b32 s15, -1
	s_cbranch_vccnz .LBB352_924
; %bb.919:
	v_cmp_lt_i16_e32 vcc_lo, 27, v4
	s_cbranch_vccz .LBB352_921
; %bb.920:
	v_and_b32_e32 v2, 0xffff, v3
	s_mov_b32 s15, 0
	global_store_b32 v[0:1], v2, off
.LBB352_921:
	s_and_not1_b32 vcc_lo, exec_lo, s15
	s_cbranch_vccnz .LBB352_923
; %bb.922:
	global_store_b16 v[0:1], v3, off
.LBB352_923:
	s_mov_b32 s15, 0
.LBB352_924:
	s_delay_alu instid0(SALU_CYCLE_1)
	s_and_not1_b32 vcc_lo, exec_lo, s15
	s_cbranch_vccnz .LBB352_932
; %bb.925:
	v_cvt_f32_ubyte0_e32 v5, v3
	v_mov_b32_e32 v6, 0x80
	s_mov_b32 s15, exec_lo
	s_delay_alu instid0(VALU_DEP_2)
	v_cmpx_gt_u32_e32 0x43800000, v5
	s_cbranch_execz .LBB352_931
; %bb.926:
	s_mov_b32 s17, exec_lo
                                        ; implicit-def: $vgpr2
	v_cmpx_lt_u32_e32 0x3bffffff, v5
	s_xor_b32 s17, exec_lo, s17
	s_cbranch_execz .LBB352_1161
; %bb.927:
	v_bfe_u32 v2, v5, 20, 1
	s_mov_b32 s16, exec_lo
	s_delay_alu instid0(VALU_DEP_1) | instskip(NEXT) | instid1(VALU_DEP_1)
	v_add3_u32 v2, v5, v2, 0x487ffff
                                        ; implicit-def: $vgpr5
	v_lshrrev_b32_e32 v2, 20, v2
	s_or_saveexec_b32 s17, s17
                                        ; implicit-def: $sgpr18
	s_delay_alu instid0(SALU_CYCLE_1)
	s_xor_b32 exec_lo, exec_lo, s17
	s_cbranch_execnz .LBB352_1162
.LBB352_928:
	s_or_b32 exec_lo, exec_lo, s17
	v_mov_b32_e32 v6, s18
	s_and_saveexec_b32 s17, s16
.LBB352_929:
	v_mov_b32_e32 v6, v2
.LBB352_930:
	s_or_b32 exec_lo, exec_lo, s17
.LBB352_931:
	s_delay_alu instid0(SALU_CYCLE_1)
	s_or_b32 exec_lo, exec_lo, s15
	global_store_b8 v[0:1], v6, off
.LBB352_932:
	s_mov_b32 s15, 0
.LBB352_933:
	s_delay_alu instid0(SALU_CYCLE_1)
	s_and_b32 vcc_lo, exec_lo, s15
	s_mov_b32 s15, 0
	s_cbranch_vccz .LBB352_973
; %bb.934:
	v_cmp_lt_i16_e32 vcc_lo, 22, v4
	s_mov_b32 s16, -1
	s_cbranch_vccz .LBB352_966
; %bb.935:
	v_cmp_gt_i16_e32 vcc_lo, 24, v4
	s_cbranch_vccnz .LBB352_955
; %bb.936:
	v_cmp_lt_i16_e32 vcc_lo, 24, v4
	s_cbranch_vccz .LBB352_944
; %bb.937:
	v_cvt_f32_ubyte0_e32 v5, v3
	v_mov_b32_e32 v6, 0x80
	s_mov_b32 s16, exec_lo
	s_delay_alu instid0(VALU_DEP_2)
	v_cmpx_gt_u32_e32 0x47800000, v5
	s_cbranch_execz .LBB352_943
; %bb.938:
	s_mov_b32 s17, 0
	s_mov_b32 s18, exec_lo
                                        ; implicit-def: $vgpr2
	v_cmpx_lt_u32_e32 0x37ffffff, v5
	s_xor_b32 s18, exec_lo, s18
	s_cbranch_execz .LBB352_1205
; %bb.939:
	v_bfe_u32 v2, v5, 21, 1
	s_mov_b32 s17, exec_lo
	s_delay_alu instid0(VALU_DEP_1) | instskip(NEXT) | instid1(VALU_DEP_1)
	v_add3_u32 v2, v5, v2, 0x88fffff
                                        ; implicit-def: $vgpr5
	v_lshrrev_b32_e32 v2, 21, v2
	s_or_saveexec_b32 s18, s18
                                        ; implicit-def: $sgpr19
	s_delay_alu instid0(SALU_CYCLE_1)
	s_xor_b32 exec_lo, exec_lo, s18
	s_cbranch_execnz .LBB352_1206
.LBB352_940:
	s_or_b32 exec_lo, exec_lo, s18
	v_mov_b32_e32 v6, s19
	s_and_saveexec_b32 s18, s17
.LBB352_941:
	v_mov_b32_e32 v6, v2
.LBB352_942:
	s_or_b32 exec_lo, exec_lo, s18
.LBB352_943:
	s_delay_alu instid0(SALU_CYCLE_1)
	s_or_b32 exec_lo, exec_lo, s16
	s_mov_b32 s16, 0
	global_store_b8 v[0:1], v6, off
.LBB352_944:
	s_and_b32 vcc_lo, exec_lo, s16
	s_cbranch_vccz .LBB352_954
; %bb.945:
	v_cvt_f32_ubyte0_e32 v5, v3
	s_mov_b32 s16, exec_lo
                                        ; implicit-def: $vgpr2
	s_delay_alu instid0(VALU_DEP_1)
	v_cmpx_gt_u32_e32 0x43f00000, v5
	s_xor_b32 s16, exec_lo, s16
	s_cbranch_execz .LBB352_951
; %bb.946:
	s_mov_b32 s17, exec_lo
                                        ; implicit-def: $vgpr2
	v_cmpx_lt_u32_e32 0x3c7fffff, v5
	s_xor_b32 s17, exec_lo, s17
; %bb.947:
	v_bfe_u32 v2, v5, 20, 1
	s_delay_alu instid0(VALU_DEP_1) | instskip(NEXT) | instid1(VALU_DEP_1)
	v_add3_u32 v2, v5, v2, 0x407ffff
	v_and_b32_e32 v5, 0xff00000, v2
	v_lshrrev_b32_e32 v2, 20, v2
	s_delay_alu instid0(VALU_DEP_2) | instskip(NEXT) | instid1(VALU_DEP_2)
	v_cmp_ne_u32_e32 vcc_lo, 0x7f00000, v5
                                        ; implicit-def: $vgpr5
	v_cndmask_b32_e32 v2, 0x7e, v2, vcc_lo
; %bb.948:
	s_and_not1_saveexec_b32 s17, s17
; %bb.949:
	v_add_f32_e32 v2, 0x46800000, v5
; %bb.950:
	s_or_b32 exec_lo, exec_lo, s17
                                        ; implicit-def: $vgpr5
.LBB352_951:
	s_and_not1_saveexec_b32 s16, s16
; %bb.952:
	v_mov_b32_e32 v2, 0x7f
	v_cmp_lt_u32_e32 vcc_lo, 0x7f800000, v5
	s_delay_alu instid0(VALU_DEP_2)
	v_cndmask_b32_e32 v2, 0x7e, v2, vcc_lo
; %bb.953:
	s_or_b32 exec_lo, exec_lo, s16
	global_store_b8 v[0:1], v2, off
.LBB352_954:
	s_mov_b32 s16, 0
.LBB352_955:
	s_delay_alu instid0(SALU_CYCLE_1)
	s_and_not1_b32 vcc_lo, exec_lo, s16
	s_cbranch_vccnz .LBB352_965
; %bb.956:
	v_cvt_f32_ubyte0_e32 v5, v3
	s_mov_b32 s16, exec_lo
                                        ; implicit-def: $vgpr2
	s_delay_alu instid0(VALU_DEP_1)
	v_cmpx_gt_u32_e32 0x47800000, v5
	s_xor_b32 s16, exec_lo, s16
	s_cbranch_execz .LBB352_962
; %bb.957:
	s_mov_b32 s17, exec_lo
                                        ; implicit-def: $vgpr2
	v_cmpx_lt_u32_e32 0x387fffff, v5
	s_xor_b32 s17, exec_lo, s17
; %bb.958:
	v_bfe_u32 v2, v5, 21, 1
	s_delay_alu instid0(VALU_DEP_1) | instskip(NEXT) | instid1(VALU_DEP_1)
	v_add3_u32 v2, v5, v2, 0x80fffff
                                        ; implicit-def: $vgpr5
	v_lshrrev_b32_e32 v2, 21, v2
; %bb.959:
	s_and_not1_saveexec_b32 s17, s17
; %bb.960:
	v_add_f32_e32 v2, 0x43000000, v5
; %bb.961:
	s_or_b32 exec_lo, exec_lo, s17
                                        ; implicit-def: $vgpr5
.LBB352_962:
	s_and_not1_saveexec_b32 s16, s16
; %bb.963:
	v_mov_b32_e32 v2, 0x7f
	v_cmp_lt_u32_e32 vcc_lo, 0x7f800000, v5
	s_delay_alu instid0(VALU_DEP_2)
	v_cndmask_b32_e32 v2, 0x7c, v2, vcc_lo
; %bb.964:
	s_or_b32 exec_lo, exec_lo, s16
	global_store_b8 v[0:1], v2, off
.LBB352_965:
	s_mov_b32 s16, 0
.LBB352_966:
	s_delay_alu instid0(SALU_CYCLE_1)
	s_and_not1_b32 vcc_lo, exec_lo, s16
	s_mov_b32 s16, 0
	s_cbranch_vccnz .LBB352_974
; %bb.967:
	v_cmp_lt_i16_e32 vcc_lo, 14, v4
	s_mov_b32 s16, -1
	s_cbranch_vccz .LBB352_971
; %bb.968:
	v_cmp_eq_u16_e32 vcc_lo, 15, v4
	s_mov_b32 s0, -1
	s_cbranch_vccz .LBB352_970
; %bb.969:
	v_cvt_f32_ubyte0_e32 v2, v3
	s_mov_b32 s0, 0
	s_delay_alu instid0(VALU_DEP_1) | instskip(NEXT) | instid1(VALU_DEP_1)
	v_bfe_u32 v5, v2, 16, 1
	v_add3_u32 v2, v2, v5, 0x7fff
	global_store_d16_hi_b16 v[0:1], v2, off
.LBB352_970:
	s_mov_b32 s16, 0
.LBB352_971:
	s_delay_alu instid0(SALU_CYCLE_1)
	s_and_b32 vcc_lo, exec_lo, s16
	s_mov_b32 s16, 0
	s_cbranch_vccz .LBB352_974
; %bb.972:
	v_cmp_ne_u16_e32 vcc_lo, 11, v4
	s_and_not1_b32 s0, s0, exec_lo
	s_mov_b32 s16, -1
	s_and_b32 s17, vcc_lo, exec_lo
	s_delay_alu instid0(SALU_CYCLE_1)
	s_or_b32 s0, s0, s17
	s_branch .LBB352_974
.LBB352_973:
	s_mov_b32 s16, 0
.LBB352_974:
	s_and_not1_b32 s12, s12, exec_lo
	s_and_b32 s0, s0, exec_lo
	s_and_b32 s15, s15, exec_lo
	;; [unrolled: 1-line block ×3, first 2 shown]
	s_or_b32 s12, s12, s0
.LBB352_975:
	s_or_b32 exec_lo, exec_lo, s14
	s_and_saveexec_b32 s0, s12
	s_cbranch_execnz .LBB352_1037
; %bb.976:
	s_or_b32 exec_lo, exec_lo, s0
	s_and_saveexec_b32 s0, s16
	s_delay_alu instid0(SALU_CYCLE_1)
	s_xor_b32 s0, exec_lo, s0
	s_cbranch_execz .LBB352_978
.LBB352_977:
	s_waitcnt vmcnt(0)
	v_and_b32_e32 v2, 0xff, v3
	s_delay_alu instid0(VALU_DEP_1)
	v_cmp_ne_u16_e32 vcc_lo, 0, v2
	v_cndmask_b32_e64 v2, 0, 1, vcc_lo
	global_store_b8 v[0:1], v2, off
.LBB352_978:
	s_or_b32 exec_lo, exec_lo, s0
	s_and_saveexec_b32 s0, s15
	s_delay_alu instid0(SALU_CYCLE_1)
	s_xor_b32 s0, exec_lo, s0
	s_cbranch_execz .LBB352_1016
; %bb.979:
	v_cmp_gt_i16_e32 vcc_lo, 5, v4
	s_mov_b32 s12, -1
	s_cbranch_vccnz .LBB352_1000
; %bb.980:
	v_cmp_gt_i16_e32 vcc_lo, 8, v4
	s_cbranch_vccnz .LBB352_990
; %bb.981:
	v_cmp_gt_i16_e32 vcc_lo, 9, v4
	s_cbranch_vccnz .LBB352_987
; %bb.982:
	v_cmp_lt_i16_e32 vcc_lo, 9, v4
	s_cbranch_vccz .LBB352_984
; %bb.983:
	s_waitcnt vmcnt(0)
	v_dual_mov_b32 v7, 0 :: v_dual_and_b32 v2, 0xff, v3
	s_mov_b32 s12, 0
	s_delay_alu instid0(VALU_DEP_1) | instskip(NEXT) | instid1(VALU_DEP_2)
	v_and_b32_e32 v2, 0xffff, v2
	v_mov_b32_e32 v8, v7
	s_delay_alu instid0(VALU_DEP_2)
	v_cvt_f64_u32_e32 v[5:6], v2
	global_store_b128 v[0:1], v[5:8], off
.LBB352_984:
	s_and_not1_b32 vcc_lo, exec_lo, s12
	s_cbranch_vccnz .LBB352_986
; %bb.985:
	s_waitcnt vmcnt(0)
	v_cvt_f32_ubyte0_e32 v5, v3
	v_mov_b32_e32 v6, 0
	global_store_b64 v[0:1], v[5:6], off
.LBB352_986:
	s_mov_b32 s12, 0
.LBB352_987:
	s_delay_alu instid0(SALU_CYCLE_1)
	s_and_not1_b32 vcc_lo, exec_lo, s12
	s_cbranch_vccnz .LBB352_989
; %bb.988:
	s_waitcnt vmcnt(0)
	v_and_b32_e32 v2, 0xff, v3
	s_delay_alu instid0(VALU_DEP_1) | instskip(NEXT) | instid1(VALU_DEP_1)
	v_cvt_f16_u16_e32 v2, v2
	v_and_b32_e32 v2, 0xffff, v2
	global_store_b32 v[0:1], v2, off
.LBB352_989:
	s_mov_b32 s12, 0
.LBB352_990:
	s_delay_alu instid0(SALU_CYCLE_1)
	s_and_not1_b32 vcc_lo, exec_lo, s12
	s_cbranch_vccnz .LBB352_999
; %bb.991:
	v_cmp_gt_i16_e32 vcc_lo, 6, v4
	s_mov_b32 s12, -1
	s_cbranch_vccnz .LBB352_997
; %bb.992:
	v_cmp_lt_i16_e32 vcc_lo, 6, v4
	s_cbranch_vccz .LBB352_994
; %bb.993:
	s_waitcnt vmcnt(0)
	v_and_b32_e32 v2, 0xff, v3
	s_mov_b32 s12, 0
	s_delay_alu instid0(VALU_DEP_1) | instskip(NEXT) | instid1(VALU_DEP_1)
	v_and_b32_e32 v2, 0xffff, v2
	v_cvt_f64_u32_e32 v[5:6], v2
	global_store_b64 v[0:1], v[5:6], off
.LBB352_994:
	s_and_not1_b32 vcc_lo, exec_lo, s12
	s_cbranch_vccnz .LBB352_996
; %bb.995:
	s_waitcnt vmcnt(0)
	v_cvt_f32_ubyte0_e32 v2, v3
	global_store_b32 v[0:1], v2, off
.LBB352_996:
	s_mov_b32 s12, 0
.LBB352_997:
	s_delay_alu instid0(SALU_CYCLE_1)
	s_and_not1_b32 vcc_lo, exec_lo, s12
	s_cbranch_vccnz .LBB352_999
; %bb.998:
	s_waitcnt vmcnt(0)
	v_and_b32_e32 v2, 0xff, v3
	s_delay_alu instid0(VALU_DEP_1)
	v_cvt_f16_u16_e32 v2, v2
	global_store_b16 v[0:1], v2, off
.LBB352_999:
	s_mov_b32 s12, 0
.LBB352_1000:
	s_delay_alu instid0(SALU_CYCLE_1)
	s_and_not1_b32 vcc_lo, exec_lo, s12
	s_cbranch_vccnz .LBB352_1016
; %bb.1001:
	v_cmp_gt_i16_e32 vcc_lo, 2, v4
	s_mov_b32 s12, -1
	s_cbranch_vccnz .LBB352_1011
; %bb.1002:
	v_cmp_gt_i16_e32 vcc_lo, 3, v4
	s_cbranch_vccnz .LBB352_1008
; %bb.1003:
	v_cmp_lt_i16_e32 vcc_lo, 3, v4
	s_cbranch_vccz .LBB352_1005
; %bb.1004:
	s_waitcnt vmcnt(0)
	v_dual_mov_b32 v6, 0 :: v_dual_and_b32 v5, 0xff, v3
	s_mov_b32 s12, 0
	global_store_b64 v[0:1], v[5:6], off
.LBB352_1005:
	s_and_not1_b32 vcc_lo, exec_lo, s12
	s_cbranch_vccnz .LBB352_1007
; %bb.1006:
	s_waitcnt vmcnt(0)
	v_and_b32_e32 v2, 0xff, v3
	global_store_b32 v[0:1], v2, off
.LBB352_1007:
	s_mov_b32 s12, 0
.LBB352_1008:
	s_delay_alu instid0(SALU_CYCLE_1)
	s_and_not1_b32 vcc_lo, exec_lo, s12
	s_cbranch_vccnz .LBB352_1010
; %bb.1009:
	s_waitcnt vmcnt(0)
	v_and_b32_e32 v2, 0xff, v3
	global_store_b16 v[0:1], v2, off
.LBB352_1010:
	s_mov_b32 s12, 0
.LBB352_1011:
	s_delay_alu instid0(SALU_CYCLE_1)
	s_and_not1_b32 vcc_lo, exec_lo, s12
	s_cbranch_vccnz .LBB352_1016
; %bb.1012:
	v_cmp_lt_i16_e32 vcc_lo, 0, v4
	s_mov_b32 s12, -1
	s_cbranch_vccz .LBB352_1014
; %bb.1013:
	s_mov_b32 s12, 0
	s_waitcnt vmcnt(0)
	global_store_b8 v[0:1], v3, off
.LBB352_1014:
	s_and_not1_b32 vcc_lo, exec_lo, s12
	s_cbranch_vccnz .LBB352_1016
; %bb.1015:
	s_waitcnt vmcnt(0)
	global_store_b8 v[0:1], v3, off
.LBB352_1016:
	s_or_b32 exec_lo, exec_lo, s0
	s_delay_alu instid0(SALU_CYCLE_1)
	s_and_b32 s12, s13, exec_lo
                                        ; implicit-def: $vgpr7
.LBB352_1017:
	s_or_saveexec_b32 s11, s11
	s_mov_b32 s0, 0
                                        ; implicit-def: $vgpr6
                                        ; implicit-def: $vgpr0_vgpr1
                                        ; implicit-def: $vgpr2
	s_xor_b32 exec_lo, exec_lo, s11
	s_cbranch_execz .LBB352_1965
; %bb.1018:
	v_mul_lo_u32 v4, s3, v7
	v_and_b32_e64 v8, 0xff, s10
	s_delay_alu instid0(VALU_DEP_1) | instskip(NEXT) | instid1(VALU_DEP_3)
	v_cmp_gt_i16_e32 vcc_lo, 11, v8
	v_ashrrev_i32_e32 v0, 31, v4
	s_waitcnt vmcnt(0)
	v_add_co_u32 v2, s0, s6, v4
	s_delay_alu instid0(VALU_DEP_1)
	v_add_co_ci_u32_e64 v3, s0, s7, v0, s0
	s_cbranch_vccnz .LBB352_1025
; %bb.1019:
	v_cmp_lt_i16_e32 vcc_lo, 25, v8
	s_mov_b32 s10, 0
	s_cbranch_vccz .LBB352_1031
; %bb.1020:
	v_cmp_lt_i16_e32 vcc_lo, 28, v8
	s_cbranch_vccz .LBB352_1033
; %bb.1021:
	v_cmp_lt_i16_e32 vcc_lo, 43, v8
	s_cbranch_vccz .LBB352_1035
; %bb.1022:
	v_cmp_lt_i16_e32 vcc_lo, 45, v8
	s_cbranch_vccz .LBB352_1039
; %bb.1023:
	v_cmp_eq_u16_e32 vcc_lo, 46, v8
	s_cbranch_vccz .LBB352_1079
; %bb.1024:
	global_load_b32 v0, v[2:3], off
	s_mov_b32 s0, 0
	s_mov_b32 s13, -1
	s_waitcnt vmcnt(0)
	v_lshlrev_b32_e32 v0, 16, v0
	s_delay_alu instid0(VALU_DEP_1) | instskip(NEXT) | instid1(VALU_DEP_1)
	v_trunc_f32_e32 v0, v0
	v_mul_f32_e64 v1, 0x2f800000, |v0|
	s_delay_alu instid0(VALU_DEP_1) | instskip(NEXT) | instid1(VALU_DEP_1)
	v_floor_f32_e32 v1, v1
	v_fma_f32 v1, 0xcf800000, v1, |v0|
	v_ashrrev_i32_e32 v0, 31, v0
	s_delay_alu instid0(VALU_DEP_2) | instskip(NEXT) | instid1(VALU_DEP_1)
	v_cvt_u32_f32_e32 v1, v1
	v_xor_b32_e32 v1, v1, v0
	s_delay_alu instid0(VALU_DEP_1)
	v_sub_nc_u32_e32 v0, v1, v0
	s_branch .LBB352_1081
.LBB352_1025:
	s_mov_b32 s13, 0
	s_mov_b32 s9, s12
                                        ; implicit-def: $vgpr0
	s_cbranch_execz .LBB352_1139
; %bb.1026:
	v_cmp_gt_i16_e32 vcc_lo, 5, v8
	s_cbranch_vccnz .LBB352_1032
; %bb.1027:
	v_cmp_gt_i16_e32 vcc_lo, 8, v8
	s_cbranch_vccnz .LBB352_1034
	;; [unrolled: 3-line block ×3, first 2 shown]
; %bb.1029:
	v_cmp_lt_i16_e32 vcc_lo, 9, v8
	s_cbranch_vccz .LBB352_1040
; %bb.1030:
	global_load_b64 v[0:1], v[2:3], off
	s_mov_b32 s0, 0
	s_waitcnt vmcnt(0)
	v_trunc_f64_e32 v[0:1], v[0:1]
	s_delay_alu instid0(VALU_DEP_1) | instskip(NEXT) | instid1(VALU_DEP_1)
	v_ldexp_f64 v[5:6], v[0:1], 0xffffffe0
	v_floor_f64_e32 v[5:6], v[5:6]
	s_delay_alu instid0(VALU_DEP_1) | instskip(NEXT) | instid1(VALU_DEP_1)
	v_fma_f64 v[0:1], 0xc1f00000, v[5:6], v[0:1]
	v_cvt_u32_f64_e32 v0, v[0:1]
	s_branch .LBB352_1041
.LBB352_1031:
	s_mov_b32 s13, 0
	s_mov_b32 s0, 0
                                        ; implicit-def: $vgpr0
	s_cbranch_execnz .LBB352_1106
	s_branch .LBB352_1135
.LBB352_1032:
                                        ; implicit-def: $vgpr0
	s_branch .LBB352_1058
.LBB352_1033:
	s_mov_b32 s13, 0
	s_mov_b32 s0, 0
                                        ; implicit-def: $vgpr0
	s_cbranch_execz .LBB352_1105
	s_branch .LBB352_1090
.LBB352_1034:
                                        ; implicit-def: $vgpr0
	s_branch .LBB352_1047
.LBB352_1035:
	s_mov_b32 s13, 0
	s_mov_b32 s0, 0
                                        ; implicit-def: $vgpr0
	s_cbranch_execnz .LBB352_1086
	s_branch .LBB352_1089
.LBB352_1036:
	s_mov_b32 s0, -1
                                        ; implicit-def: $vgpr0
	s_branch .LBB352_1044
.LBB352_1037:
	s_cbranch_execnz .LBB352_1077
; %bb.1038:
	s_or_b32 s13, s13, exec_lo
	s_and_not1_b32 s16, s16, exec_lo
	s_or_b32 exec_lo, exec_lo, s0
	s_and_saveexec_b32 s0, s16
	s_delay_alu instid0(SALU_CYCLE_1)
	s_xor_b32 s0, exec_lo, s0
	s_cbranch_execnz .LBB352_977
	s_branch .LBB352_978
.LBB352_1039:
	s_mov_b32 s9, -1
	s_mov_b32 s13, 0
	s_mov_b32 s0, 0
	s_branch .LBB352_1080
.LBB352_1040:
	s_mov_b32 s0, -1
                                        ; implicit-def: $vgpr0
.LBB352_1041:
	s_delay_alu instid0(SALU_CYCLE_1)
	s_and_not1_b32 vcc_lo, exec_lo, s0
	s_cbranch_vccnz .LBB352_1043
; %bb.1042:
	global_load_b32 v0, v[2:3], off
	s_waitcnt vmcnt(0)
	v_trunc_f32_e32 v0, v0
	s_delay_alu instid0(VALU_DEP_1) | instskip(NEXT) | instid1(VALU_DEP_1)
	v_mul_f32_e64 v1, 0x2f800000, |v0|
	v_floor_f32_e32 v1, v1
	s_delay_alu instid0(VALU_DEP_1) | instskip(SKIP_1) | instid1(VALU_DEP_2)
	v_fma_f32 v1, 0xcf800000, v1, |v0|
	v_ashrrev_i32_e32 v0, 31, v0
	v_cvt_u32_f32_e32 v1, v1
	s_delay_alu instid0(VALU_DEP_1) | instskip(NEXT) | instid1(VALU_DEP_1)
	v_xor_b32_e32 v1, v1, v0
	v_sub_nc_u32_e32 v0, v1, v0
.LBB352_1043:
	s_mov_b32 s0, 0
.LBB352_1044:
	s_delay_alu instid0(SALU_CYCLE_1)
	s_and_not1_b32 vcc_lo, exec_lo, s0
	s_cbranch_vccnz .LBB352_1046
; %bb.1045:
	global_load_b32 v0, v[2:3], off
	s_waitcnt vmcnt(0)
	v_cvt_f32_f16_e32 v0, v0
	s_delay_alu instid0(VALU_DEP_1)
	v_cvt_i32_f32_e32 v0, v0
.LBB352_1046:
	s_cbranch_execnz .LBB352_1057
.LBB352_1047:
	v_cmp_gt_i16_e32 vcc_lo, 6, v8
	s_cbranch_vccnz .LBB352_1050
; %bb.1048:
	v_cmp_lt_i16_e32 vcc_lo, 6, v8
	s_cbranch_vccz .LBB352_1051
; %bb.1049:
	global_load_b64 v[0:1], v[2:3], off
	s_mov_b32 s0, 0
	s_waitcnt vmcnt(0)
	v_trunc_f64_e32 v[0:1], v[0:1]
	s_delay_alu instid0(VALU_DEP_1) | instskip(NEXT) | instid1(VALU_DEP_1)
	v_ldexp_f64 v[5:6], v[0:1], 0xffffffe0
	v_floor_f64_e32 v[5:6], v[5:6]
	s_delay_alu instid0(VALU_DEP_1) | instskip(NEXT) | instid1(VALU_DEP_1)
	v_fma_f64 v[0:1], 0xc1f00000, v[5:6], v[0:1]
	v_cvt_u32_f64_e32 v0, v[0:1]
	s_branch .LBB352_1052
.LBB352_1050:
	s_mov_b32 s0, -1
                                        ; implicit-def: $vgpr0
	s_branch .LBB352_1055
.LBB352_1051:
	s_mov_b32 s0, -1
                                        ; implicit-def: $vgpr0
.LBB352_1052:
	s_delay_alu instid0(SALU_CYCLE_1)
	s_and_not1_b32 vcc_lo, exec_lo, s0
	s_cbranch_vccnz .LBB352_1054
; %bb.1053:
	global_load_b32 v0, v[2:3], off
	s_waitcnt vmcnt(0)
	v_trunc_f32_e32 v0, v0
	s_delay_alu instid0(VALU_DEP_1) | instskip(NEXT) | instid1(VALU_DEP_1)
	v_mul_f32_e64 v1, 0x2f800000, |v0|
	v_floor_f32_e32 v1, v1
	s_delay_alu instid0(VALU_DEP_1) | instskip(SKIP_1) | instid1(VALU_DEP_2)
	v_fma_f32 v1, 0xcf800000, v1, |v0|
	v_ashrrev_i32_e32 v0, 31, v0
	v_cvt_u32_f32_e32 v1, v1
	s_delay_alu instid0(VALU_DEP_1) | instskip(NEXT) | instid1(VALU_DEP_1)
	v_xor_b32_e32 v1, v1, v0
	v_sub_nc_u32_e32 v0, v1, v0
.LBB352_1054:
	s_mov_b32 s0, 0
.LBB352_1055:
	s_delay_alu instid0(SALU_CYCLE_1)
	s_and_not1_b32 vcc_lo, exec_lo, s0
	s_cbranch_vccnz .LBB352_1057
; %bb.1056:
	global_load_u16 v0, v[2:3], off
	s_waitcnt vmcnt(0)
	v_cvt_f32_f16_e32 v0, v0
	s_delay_alu instid0(VALU_DEP_1)
	v_cvt_i32_f32_e32 v0, v0
.LBB352_1057:
	s_cbranch_execnz .LBB352_1076
.LBB352_1058:
	v_cmp_gt_i16_e32 vcc_lo, 2, v8
	s_cbranch_vccnz .LBB352_1062
; %bb.1059:
	v_cmp_gt_i16_e32 vcc_lo, 3, v8
	s_cbranch_vccnz .LBB352_1063
; %bb.1060:
	v_cmp_lt_i16_e32 vcc_lo, 3, v8
	s_cbranch_vccz .LBB352_1064
; %bb.1061:
	global_load_b64 v[0:1], v[2:3], off
	s_mov_b32 s0, 0
	s_branch .LBB352_1065
.LBB352_1062:
                                        ; implicit-def: $vgpr0
	s_branch .LBB352_1071
.LBB352_1063:
	s_mov_b32 s0, -1
                                        ; implicit-def: $vgpr0
	s_branch .LBB352_1068
.LBB352_1064:
	s_mov_b32 s0, -1
                                        ; implicit-def: $vgpr0
.LBB352_1065:
	s_delay_alu instid0(SALU_CYCLE_1)
	s_and_not1_b32 vcc_lo, exec_lo, s0
	s_cbranch_vccnz .LBB352_1067
; %bb.1066:
	global_load_b32 v0, v[2:3], off
.LBB352_1067:
	s_mov_b32 s0, 0
.LBB352_1068:
	s_delay_alu instid0(SALU_CYCLE_1)
	s_and_not1_b32 vcc_lo, exec_lo, s0
	s_cbranch_vccnz .LBB352_1070
; %bb.1069:
	global_load_u16 v0, v[2:3], off
.LBB352_1070:
	s_cbranch_execnz .LBB352_1076
.LBB352_1071:
	v_cmp_lt_i16_e32 vcc_lo, 0, v8
	s_mov_b32 s0, 0
	s_cbranch_vccz .LBB352_1073
; %bb.1072:
	global_load_u8 v0, v[2:3], off
	s_branch .LBB352_1074
.LBB352_1073:
	s_mov_b32 s0, -1
                                        ; implicit-def: $vgpr0
.LBB352_1074:
	s_delay_alu instid0(SALU_CYCLE_1)
	s_and_not1_b32 vcc_lo, exec_lo, s0
	s_cbranch_vccnz .LBB352_1076
; %bb.1075:
	global_load_u8 v0, v[2:3], off
.LBB352_1076:
	s_branch .LBB352_1140
.LBB352_1077:
	s_trap 2
	s_sendmsg_rtn_b32 s0, sendmsg(MSG_RTN_GET_DOORBELL)
	s_mov_b32 ttmp2, m0
	s_waitcnt lgkmcnt(0)
	s_and_b32 s0, s0, 0x3ff
	s_delay_alu instid0(SALU_CYCLE_1) | instskip(NEXT) | instid1(SALU_CYCLE_1)
	s_bitset1_b32 s0, 10
	s_mov_b32 m0, s0
	s_sendmsg sendmsg(MSG_INTERRUPT)
	s_mov_b32 m0, ttmp2
.LBB352_1078:                           ; =>This Inner Loop Header: Depth=1
	s_sethalt 5
	s_branch .LBB352_1078
.LBB352_1079:
	s_mov_b32 s0, -1
	s_mov_b32 s13, 0
.LBB352_1080:
                                        ; implicit-def: $vgpr0
.LBB352_1081:
	s_and_b32 vcc_lo, exec_lo, s9
	s_cbranch_vccz .LBB352_1084
; %bb.1082:
	v_cmp_eq_u16_e32 vcc_lo, 44, v8
	s_cbranch_vccz .LBB352_1085
; %bb.1083:
	global_load_u8 v0, v[2:3], off
	s_mov_b32 s0, 0
	s_mov_b32 s13, -1
	s_waitcnt vmcnt(0)
	v_lshlrev_b32_e32 v1, 23, v0
	v_cmp_ne_u32_e32 vcc_lo, 0, v0
	s_delay_alu instid0(VALU_DEP_2) | instskip(NEXT) | instid1(VALU_DEP_1)
	v_trunc_f32_e32 v1, v1
	v_mul_f32_e64 v5, 0x2f800000, |v1|
	s_delay_alu instid0(VALU_DEP_1) | instskip(NEXT) | instid1(VALU_DEP_1)
	v_floor_f32_e32 v5, v5
	v_fma_f32 v5, 0xcf800000, v5, |v1|
	v_ashrrev_i32_e32 v1, 31, v1
	s_delay_alu instid0(VALU_DEP_2) | instskip(NEXT) | instid1(VALU_DEP_1)
	v_cvt_u32_f32_e32 v5, v5
	v_xor_b32_e32 v5, v5, v1
	s_delay_alu instid0(VALU_DEP_1) | instskip(NEXT) | instid1(VALU_DEP_1)
	v_sub_nc_u32_e32 v1, v5, v1
	v_cndmask_b32_e32 v0, 0, v1, vcc_lo
.LBB352_1084:
	s_branch .LBB352_1089
.LBB352_1085:
	s_mov_b32 s0, -1
                                        ; implicit-def: $vgpr0
	s_branch .LBB352_1089
.LBB352_1086:
	v_cmp_eq_u16_e32 vcc_lo, 29, v8
	s_cbranch_vccz .LBB352_1088
; %bb.1087:
	global_load_b64 v[0:1], v[2:3], off
	s_mov_b32 s0, 0
	s_mov_b32 s13, -1
	s_branch .LBB352_1089
.LBB352_1088:
	s_mov_b32 s0, -1
                                        ; implicit-def: $vgpr0
.LBB352_1089:
	s_branch .LBB352_1105
.LBB352_1090:
	v_cmp_gt_i16_e32 vcc_lo, 27, v8
	s_cbranch_vccnz .LBB352_1093
; %bb.1091:
	v_cmp_lt_i16_e32 vcc_lo, 27, v8
	s_cbranch_vccz .LBB352_1094
; %bb.1092:
	global_load_b32 v0, v[2:3], off
	s_mov_b32 s9, 0
	s_branch .LBB352_1095
.LBB352_1093:
	s_mov_b32 s9, -1
                                        ; implicit-def: $vgpr0
	s_branch .LBB352_1098
.LBB352_1094:
	s_mov_b32 s9, -1
                                        ; implicit-def: $vgpr0
.LBB352_1095:
	s_delay_alu instid0(SALU_CYCLE_1)
	s_and_not1_b32 vcc_lo, exec_lo, s9
	s_cbranch_vccnz .LBB352_1097
; %bb.1096:
	global_load_u16 v0, v[2:3], off
.LBB352_1097:
	s_mov_b32 s9, 0
.LBB352_1098:
	s_delay_alu instid0(SALU_CYCLE_1)
	s_and_not1_b32 vcc_lo, exec_lo, s9
	s_cbranch_vccnz .LBB352_1104
; %bb.1099:
	global_load_u8 v1, v[2:3], off
	s_mov_b32 s13, 0
	s_mov_b32 s9, exec_lo
                                        ; implicit-def: $sgpr14
	s_waitcnt vmcnt(0)
	v_cmpx_lt_i16_e32 0x7f, v1
	s_xor_b32 s9, exec_lo, s9
	s_cbranch_execz .LBB352_1115
; %bb.1100:
	v_cmp_ne_u16_e32 vcc_lo, 0x80, v1
	s_mov_b32 s14, 0
	s_and_b32 s13, vcc_lo, exec_lo
	s_or_saveexec_b32 s9, s9
	v_mov_b32_e32 v0, s14
	s_xor_b32 exec_lo, exec_lo, s9
	s_cbranch_execnz .LBB352_1116
.LBB352_1101:
	s_or_b32 exec_lo, exec_lo, s9
	s_and_saveexec_b32 s9, s13
	s_cbranch_execz .LBB352_1103
.LBB352_1102:
	v_and_b32_e32 v0, 0xffff, v1
	v_lshlrev_b32_e32 v1, 24, v1
	s_delay_alu instid0(VALU_DEP_2) | instskip(NEXT) | instid1(VALU_DEP_2)
	v_and_b32_e32 v5, 7, v0
	v_and_b32_e32 v1, 0x80000000, v1
	s_delay_alu instid0(VALU_DEP_2) | instskip(NEXT) | instid1(VALU_DEP_1)
	v_clz_i32_u32_e32 v6, v5
	v_min_u32_e32 v6, 32, v6
	s_delay_alu instid0(VALU_DEP_1) | instskip(SKIP_1) | instid1(VALU_DEP_2)
	v_subrev_nc_u32_e32 v9, 28, v6
	v_sub_nc_u32_e32 v6, 29, v6
	v_lshlrev_b32_e32 v9, v9, v0
	v_bfe_u32 v0, v0, 3, 4
	s_delay_alu instid0(VALU_DEP_2) | instskip(NEXT) | instid1(VALU_DEP_2)
	v_and_b32_e32 v9, 7, v9
	v_cmp_eq_u32_e32 vcc_lo, 0, v0
	s_delay_alu instid0(VALU_DEP_2) | instskip(NEXT) | instid1(VALU_DEP_1)
	v_dual_cndmask_b32 v0, v0, v6 :: v_dual_cndmask_b32 v5, v5, v9
	v_lshl_add_u32 v0, v0, 23, 0x3b800000
	s_delay_alu instid0(VALU_DEP_2) | instskip(NEXT) | instid1(VALU_DEP_1)
	v_lshlrev_b32_e32 v5, 20, v5
	v_or3_b32 v0, v1, v0, v5
	s_delay_alu instid0(VALU_DEP_1) | instskip(NEXT) | instid1(VALU_DEP_1)
	v_trunc_f32_e32 v0, v0
	v_mul_f32_e64 v1, 0x2f800000, |v0|
	s_delay_alu instid0(VALU_DEP_1) | instskip(NEXT) | instid1(VALU_DEP_1)
	v_floor_f32_e32 v1, v1
	v_fma_f32 v1, 0xcf800000, v1, |v0|
	v_ashrrev_i32_e32 v0, 31, v0
	s_delay_alu instid0(VALU_DEP_2) | instskip(NEXT) | instid1(VALU_DEP_1)
	v_cvt_u32_f32_e32 v1, v1
	v_xor_b32_e32 v1, v1, v0
	s_delay_alu instid0(VALU_DEP_1)
	v_sub_nc_u32_e32 v0, v1, v0
.LBB352_1103:
	s_or_b32 exec_lo, exec_lo, s9
.LBB352_1104:
	s_mov_b32 s13, -1
.LBB352_1105:
	s_branch .LBB352_1135
.LBB352_1106:
	v_cmp_lt_i16_e32 vcc_lo, 22, v8
	s_cbranch_vccz .LBB352_1114
; %bb.1107:
	v_cmp_gt_i16_e32 vcc_lo, 24, v8
	s_cbranch_vccnz .LBB352_1117
; %bb.1108:
	v_cmp_lt_i16_e32 vcc_lo, 24, v8
	s_cbranch_vccz .LBB352_1118
; %bb.1109:
	global_load_u8 v1, v[2:3], off
	s_mov_b32 s9, exec_lo
                                        ; implicit-def: $sgpr13
	s_waitcnt vmcnt(0)
	v_cmpx_lt_i16_e32 0x7f, v1
	s_xor_b32 s9, exec_lo, s9
	s_cbranch_execz .LBB352_1129
; %bb.1110:
	v_cmp_ne_u16_e32 vcc_lo, 0x80, v1
	s_mov_b32 s13, 0
	s_and_b32 s10, vcc_lo, exec_lo
	s_or_saveexec_b32 s9, s9
	v_mov_b32_e32 v0, s13
	s_xor_b32 exec_lo, exec_lo, s9
	s_cbranch_execnz .LBB352_1130
.LBB352_1111:
	s_or_b32 exec_lo, exec_lo, s9
	s_and_saveexec_b32 s9, s10
	s_cbranch_execz .LBB352_1113
.LBB352_1112:
	v_and_b32_e32 v0, 0xffff, v1
	v_lshlrev_b32_e32 v1, 24, v1
	s_delay_alu instid0(VALU_DEP_2) | instskip(NEXT) | instid1(VALU_DEP_2)
	v_and_b32_e32 v5, 3, v0
	v_and_b32_e32 v1, 0x80000000, v1
	s_delay_alu instid0(VALU_DEP_2) | instskip(NEXT) | instid1(VALU_DEP_1)
	v_clz_i32_u32_e32 v6, v5
	v_min_u32_e32 v6, 32, v6
	s_delay_alu instid0(VALU_DEP_1) | instskip(SKIP_1) | instid1(VALU_DEP_2)
	v_subrev_nc_u32_e32 v9, 29, v6
	v_sub_nc_u32_e32 v6, 30, v6
	v_lshlrev_b32_e32 v9, v9, v0
	v_bfe_u32 v0, v0, 2, 5
	s_delay_alu instid0(VALU_DEP_2) | instskip(NEXT) | instid1(VALU_DEP_2)
	v_and_b32_e32 v9, 3, v9
	v_cmp_eq_u32_e32 vcc_lo, 0, v0
	s_delay_alu instid0(VALU_DEP_2) | instskip(NEXT) | instid1(VALU_DEP_1)
	v_dual_cndmask_b32 v0, v0, v6 :: v_dual_cndmask_b32 v5, v5, v9
	v_lshl_add_u32 v0, v0, 23, 0x37800000
	s_delay_alu instid0(VALU_DEP_2) | instskip(NEXT) | instid1(VALU_DEP_1)
	v_lshlrev_b32_e32 v5, 21, v5
	v_or3_b32 v0, v1, v0, v5
	s_delay_alu instid0(VALU_DEP_1) | instskip(NEXT) | instid1(VALU_DEP_1)
	v_trunc_f32_e32 v0, v0
	v_mul_f32_e64 v1, 0x2f800000, |v0|
	s_delay_alu instid0(VALU_DEP_1) | instskip(NEXT) | instid1(VALU_DEP_1)
	v_floor_f32_e32 v1, v1
	v_fma_f32 v1, 0xcf800000, v1, |v0|
	v_ashrrev_i32_e32 v0, 31, v0
	s_delay_alu instid0(VALU_DEP_2) | instskip(NEXT) | instid1(VALU_DEP_1)
	v_cvt_u32_f32_e32 v1, v1
	v_xor_b32_e32 v1, v1, v0
	s_delay_alu instid0(VALU_DEP_1)
	v_sub_nc_u32_e32 v0, v1, v0
.LBB352_1113:
	s_or_b32 exec_lo, exec_lo, s9
	s_mov_b32 s9, 0
	s_branch .LBB352_1119
.LBB352_1114:
                                        ; implicit-def: $vgpr0
	s_mov_b32 s10, 0
	s_branch .LBB352_1125
.LBB352_1115:
	s_or_saveexec_b32 s9, s9
	v_mov_b32_e32 v0, s14
	s_xor_b32 exec_lo, exec_lo, s9
	s_cbranch_execz .LBB352_1101
.LBB352_1116:
	v_cmp_ne_u16_e32 vcc_lo, 0, v1
	v_mov_b32_e32 v0, 0
	s_and_not1_b32 s13, s13, exec_lo
	s_and_b32 s14, vcc_lo, exec_lo
	s_delay_alu instid0(SALU_CYCLE_1)
	s_or_b32 s13, s13, s14
	s_or_b32 exec_lo, exec_lo, s9
	s_and_saveexec_b32 s9, s13
	s_cbranch_execnz .LBB352_1102
	s_branch .LBB352_1103
.LBB352_1117:
	s_mov_b32 s9, -1
                                        ; implicit-def: $vgpr0
	s_branch .LBB352_1122
.LBB352_1118:
	s_mov_b32 s9, -1
                                        ; implicit-def: $vgpr0
.LBB352_1119:
	s_delay_alu instid0(SALU_CYCLE_1)
	s_and_b32 vcc_lo, exec_lo, s9
	s_cbranch_vccz .LBB352_1121
; %bb.1120:
	global_load_u8 v0, v[2:3], off
	s_waitcnt vmcnt(0)
	v_lshlrev_b32_e32 v0, 24, v0
	s_delay_alu instid0(VALU_DEP_1) | instskip(NEXT) | instid1(VALU_DEP_1)
	v_and_b32_e32 v1, 0x7f000000, v0
	v_clz_i32_u32_e32 v5, v1
	v_add_nc_u32_e32 v9, 0x1000000, v1
	v_cmp_ne_u32_e32 vcc_lo, 0, v1
	s_delay_alu instid0(VALU_DEP_3) | instskip(NEXT) | instid1(VALU_DEP_1)
	v_min_u32_e32 v5, 32, v5
	v_sub_nc_u32_e64 v5, v5, 4 clamp
	s_delay_alu instid0(VALU_DEP_1) | instskip(SKIP_1) | instid1(VALU_DEP_2)
	v_lshlrev_b32_e32 v6, v5, v1
	v_lshlrev_b32_e32 v5, 23, v5
	v_lshrrev_b32_e32 v6, 4, v6
	s_delay_alu instid0(VALU_DEP_1) | instskip(SKIP_1) | instid1(VALU_DEP_2)
	v_sub_nc_u32_e32 v5, v6, v5
	v_ashrrev_i32_e32 v6, 8, v9
	v_add_nc_u32_e32 v5, 0x3c000000, v5
	s_delay_alu instid0(VALU_DEP_1) | instskip(NEXT) | instid1(VALU_DEP_1)
	v_and_or_b32 v5, 0x7f800000, v6, v5
	v_cndmask_b32_e32 v1, 0, v5, vcc_lo
	s_delay_alu instid0(VALU_DEP_1) | instskip(NEXT) | instid1(VALU_DEP_1)
	v_and_or_b32 v0, 0x80000000, v0, v1
	v_trunc_f32_e32 v0, v0
	s_delay_alu instid0(VALU_DEP_1) | instskip(NEXT) | instid1(VALU_DEP_1)
	v_mul_f32_e64 v1, 0x2f800000, |v0|
	v_floor_f32_e32 v1, v1
	s_delay_alu instid0(VALU_DEP_1) | instskip(SKIP_1) | instid1(VALU_DEP_2)
	v_fma_f32 v1, 0xcf800000, v1, |v0|
	v_ashrrev_i32_e32 v0, 31, v0
	v_cvt_u32_f32_e32 v1, v1
	s_delay_alu instid0(VALU_DEP_1) | instskip(NEXT) | instid1(VALU_DEP_1)
	v_xor_b32_e32 v1, v1, v0
	v_sub_nc_u32_e32 v0, v1, v0
.LBB352_1121:
	s_mov_b32 s9, 0
.LBB352_1122:
	s_delay_alu instid0(SALU_CYCLE_1)
	s_and_not1_b32 vcc_lo, exec_lo, s9
	s_cbranch_vccnz .LBB352_1124
; %bb.1123:
	global_load_u8 v0, v[2:3], off
	s_waitcnt vmcnt(0)
	v_lshlrev_b32_e32 v1, 25, v0
	v_lshlrev_b16 v0, 8, v0
	s_delay_alu instid0(VALU_DEP_1) | instskip(SKIP_1) | instid1(VALU_DEP_2)
	v_and_or_b32 v6, 0x7f00, v0, 0.5
	v_bfe_i32 v0, v0, 0, 16
	v_add_f32_e32 v6, -0.5, v6
	v_lshrrev_b32_e32 v5, 4, v1
	v_cmp_gt_u32_e32 vcc_lo, 0x8000000, v1
	s_delay_alu instid0(VALU_DEP_2) | instskip(NEXT) | instid1(VALU_DEP_1)
	v_or_b32_e32 v5, 0x70000000, v5
	v_mul_f32_e32 v5, 0x7800000, v5
	s_delay_alu instid0(VALU_DEP_1) | instskip(NEXT) | instid1(VALU_DEP_1)
	v_cndmask_b32_e32 v1, v5, v6, vcc_lo
	v_and_or_b32 v0, 0x80000000, v0, v1
	s_delay_alu instid0(VALU_DEP_1) | instskip(NEXT) | instid1(VALU_DEP_1)
	v_trunc_f32_e32 v0, v0
	v_mul_f32_e64 v1, 0x2f800000, |v0|
	s_delay_alu instid0(VALU_DEP_1) | instskip(NEXT) | instid1(VALU_DEP_1)
	v_floor_f32_e32 v1, v1
	v_fma_f32 v1, 0xcf800000, v1, |v0|
	v_ashrrev_i32_e32 v0, 31, v0
	s_delay_alu instid0(VALU_DEP_2) | instskip(NEXT) | instid1(VALU_DEP_1)
	v_cvt_u32_f32_e32 v1, v1
	v_xor_b32_e32 v1, v1, v0
	s_delay_alu instid0(VALU_DEP_1)
	v_sub_nc_u32_e32 v0, v1, v0
.LBB352_1124:
	s_mov_b32 s13, -1
	s_mov_b32 s10, 0
	s_cbranch_execnz .LBB352_1135
.LBB352_1125:
	v_cmp_lt_i16_e32 vcc_lo, 14, v8
	s_cbranch_vccz .LBB352_1128
; %bb.1126:
	v_cmp_eq_u16_e32 vcc_lo, 15, v8
	s_cbranch_vccz .LBB352_1131
; %bb.1127:
	global_load_u16 v0, v[2:3], off
	s_mov_b32 s0, 0
	s_mov_b32 s13, -1
	s_waitcnt vmcnt(0)
	v_lshlrev_b32_e32 v0, 16, v0
	s_delay_alu instid0(VALU_DEP_1) | instskip(NEXT) | instid1(VALU_DEP_1)
	v_trunc_f32_e32 v0, v0
	v_mul_f32_e64 v1, 0x2f800000, |v0|
	s_delay_alu instid0(VALU_DEP_1) | instskip(NEXT) | instid1(VALU_DEP_1)
	v_floor_f32_e32 v1, v1
	v_fma_f32 v1, 0xcf800000, v1, |v0|
	v_ashrrev_i32_e32 v0, 31, v0
	s_delay_alu instid0(VALU_DEP_2) | instskip(NEXT) | instid1(VALU_DEP_1)
	v_cvt_u32_f32_e32 v1, v1
	v_xor_b32_e32 v1, v1, v0
	s_delay_alu instid0(VALU_DEP_1)
	v_sub_nc_u32_e32 v0, v1, v0
	s_branch .LBB352_1132
.LBB352_1128:
	s_mov_b32 s9, -1
                                        ; implicit-def: $vgpr0
	s_branch .LBB352_1133
.LBB352_1129:
	s_or_saveexec_b32 s9, s9
	v_mov_b32_e32 v0, s13
	s_xor_b32 exec_lo, exec_lo, s9
	s_cbranch_execz .LBB352_1111
.LBB352_1130:
	v_cmp_ne_u16_e32 vcc_lo, 0, v1
	v_mov_b32_e32 v0, 0
	s_and_not1_b32 s10, s10, exec_lo
	s_and_b32 s13, vcc_lo, exec_lo
	s_delay_alu instid0(SALU_CYCLE_1)
	s_or_b32 s10, s10, s13
	s_or_b32 exec_lo, exec_lo, s9
	s_and_saveexec_b32 s9, s10
	s_cbranch_execnz .LBB352_1112
	s_branch .LBB352_1113
.LBB352_1131:
	s_mov_b32 s0, -1
                                        ; implicit-def: $vgpr0
.LBB352_1132:
	s_mov_b32 s9, 0
.LBB352_1133:
	s_delay_alu instid0(SALU_CYCLE_1)
	s_and_b32 vcc_lo, exec_lo, s9
	s_cbranch_vccz .LBB352_1135
; %bb.1134:
	v_cmp_ne_u16_e64 s0, 11, v8
	s_mov_b32 s10, -1
                                        ; implicit-def: $vgpr0
.LBB352_1135:
	s_delay_alu instid0(VALU_DEP_1)
	s_and_b32 vcc_lo, exec_lo, s0
	s_mov_b32 s9, s12
	s_cbranch_vccnz .LBB352_1159
; %bb.1136:
	s_and_not1_b32 vcc_lo, exec_lo, s10
	s_cbranch_vccnz .LBB352_1138
.LBB352_1137:
	global_load_u8 v0, v[2:3], off
	s_mov_b32 s13, -1
	s_waitcnt vmcnt(0)
	v_cmp_ne_u16_e32 vcc_lo, 0, v0
	v_cndmask_b32_e64 v0, 0, 1, vcc_lo
.LBB352_1138:
.LBB352_1139:
	s_and_not1_b32 vcc_lo, exec_lo, s13
	s_cbranch_vccnz .LBB352_1963
.LBB352_1140:
	s_lshl_b32 s3, s3, 7
	v_cmp_gt_i16_e32 vcc_lo, 11, v8
	v_add_nc_u32_e32 v5, s3, v4
	s_and_b32 vcc_lo, exec_lo, vcc_lo
	s_waitcnt vmcnt(0)
	s_delay_alu instid0(VALU_DEP_1) | instskip(SKIP_1) | instid1(VALU_DEP_1)
	v_ashrrev_i32_e32 v1, 31, v5
	v_add_co_u32 v3, s0, s6, v5
	v_add_co_ci_u32_e64 v4, s0, s7, v1, s0
	s_cbranch_vccnz .LBB352_1147
; %bb.1141:
	v_cmp_lt_i16_e32 vcc_lo, 25, v8
	s_mov_b32 s10, 0
	s_cbranch_vccz .LBB352_1153
; %bb.1142:
	v_cmp_lt_i16_e32 vcc_lo, 28, v8
	s_cbranch_vccz .LBB352_1155
; %bb.1143:
	v_cmp_lt_i16_e32 vcc_lo, 43, v8
	;; [unrolled: 3-line block ×3, first 2 shown]
	s_cbranch_vccz .LBB352_1163
; %bb.1145:
	v_cmp_eq_u16_e32 vcc_lo, 46, v8
	s_mov_b32 s14, 0
	s_cbranch_vccz .LBB352_1207
; %bb.1146:
	global_load_b32 v1, v[3:4], off
	s_mov_b32 s0, 0
	s_mov_b32 s13, -1
	s_waitcnt vmcnt(0)
	v_lshlrev_b32_e32 v1, 16, v1
	s_delay_alu instid0(VALU_DEP_1) | instskip(NEXT) | instid1(VALU_DEP_1)
	v_trunc_f32_e32 v1, v1
	v_mul_f32_e64 v2, 0x2f800000, |v1|
	s_delay_alu instid0(VALU_DEP_1) | instskip(NEXT) | instid1(VALU_DEP_1)
	v_floor_f32_e32 v2, v2
	v_fma_f32 v2, 0xcf800000, v2, |v1|
	v_ashrrev_i32_e32 v1, 31, v1
	s_delay_alu instid0(VALU_DEP_2) | instskip(NEXT) | instid1(VALU_DEP_1)
	v_cvt_u32_f32_e32 v2, v2
	v_xor_b32_e32 v2, v2, v1
	s_delay_alu instid0(VALU_DEP_1)
	v_sub_nc_u32_e32 v1, v2, v1
	s_branch .LBB352_1209
.LBB352_1147:
	s_mov_b32 s13, 0
                                        ; implicit-def: $vgpr1
	s_cbranch_execz .LBB352_1270
; %bb.1148:
	v_cmp_gt_i16_e32 vcc_lo, 5, v8
	s_cbranch_vccnz .LBB352_1154
; %bb.1149:
	v_cmp_gt_i16_e32 vcc_lo, 8, v8
	s_cbranch_vccnz .LBB352_1156
	;; [unrolled: 3-line block ×3, first 2 shown]
; %bb.1151:
	v_cmp_lt_i16_e32 vcc_lo, 9, v8
	s_cbranch_vccz .LBB352_1164
; %bb.1152:
	global_load_b64 v[1:2], v[3:4], off
	s_mov_b32 s0, 0
	s_waitcnt vmcnt(0)
	v_trunc_f64_e32 v[1:2], v[1:2]
	s_delay_alu instid0(VALU_DEP_1) | instskip(NEXT) | instid1(VALU_DEP_1)
	v_ldexp_f64 v[9:10], v[1:2], 0xffffffe0
	v_floor_f64_e32 v[9:10], v[9:10]
	s_delay_alu instid0(VALU_DEP_1) | instskip(NEXT) | instid1(VALU_DEP_1)
	v_fma_f64 v[1:2], 0xc1f00000, v[9:10], v[1:2]
	v_cvt_u32_f64_e32 v1, v[1:2]
	s_branch .LBB352_1165
.LBB352_1153:
	s_mov_b32 s13, 0
	s_mov_b32 s0, 0
                                        ; implicit-def: $vgpr1
	s_cbranch_execnz .LBB352_1236
	s_branch .LBB352_1266
.LBB352_1154:
                                        ; implicit-def: $vgpr1
	s_branch .LBB352_1183
.LBB352_1155:
	s_mov_b32 s14, -1
	s_mov_b32 s13, 0
	s_mov_b32 s0, 0
                                        ; implicit-def: $vgpr1
	s_branch .LBB352_1219
.LBB352_1156:
	s_mov_b32 s0, -1
                                        ; implicit-def: $vgpr1
	s_branch .LBB352_1171
.LBB352_1157:
	s_mov_b32 s14, -1
	s_mov_b32 s13, 0
	s_mov_b32 s0, 0
                                        ; implicit-def: $vgpr1
	s_branch .LBB352_1214
.LBB352_1158:
	s_mov_b32 s0, -1
                                        ; implicit-def: $vgpr1
	s_branch .LBB352_1168
.LBB352_1159:
	s_cbranch_execnz .LBB352_1203
; %bb.1160:
	s_or_b32 s9, s12, exec_lo
                                        ; implicit-def: $vgpr0
	s_cbranch_execz .LBB352_1137
	s_branch .LBB352_1138
.LBB352_1161:
	s_or_saveexec_b32 s17, s17
                                        ; implicit-def: $sgpr18
	s_delay_alu instid0(SALU_CYCLE_1)
	s_xor_b32 exec_lo, exec_lo, s17
	s_cbranch_execz .LBB352_928
.LBB352_1162:
	v_add_f32_e32 v2, 0x46000000, v5
	s_and_not1_b32 s16, s16, exec_lo
	s_mov_b32 s18, 0
	s_delay_alu instid0(VALU_DEP_1) | instskip(NEXT) | instid1(VALU_DEP_1)
	v_and_b32_e32 v2, 0xff, v2
	v_cmp_ne_u32_e32 vcc_lo, 0, v2
	s_and_b32 s19, vcc_lo, exec_lo
	s_delay_alu instid0(SALU_CYCLE_1)
	s_or_b32 s16, s16, s19
	s_or_b32 exec_lo, exec_lo, s17
	v_mov_b32_e32 v6, s18
	s_and_saveexec_b32 s17, s16
	s_cbranch_execnz .LBB352_929
	s_branch .LBB352_930
.LBB352_1163:
	s_mov_b32 s14, -1
	s_mov_b32 s13, 0
	s_mov_b32 s0, 0
	s_branch .LBB352_1208
.LBB352_1164:
	s_mov_b32 s0, -1
                                        ; implicit-def: $vgpr1
.LBB352_1165:
	s_delay_alu instid0(SALU_CYCLE_1)
	s_and_not1_b32 vcc_lo, exec_lo, s0
	s_cbranch_vccnz .LBB352_1167
; %bb.1166:
	global_load_b32 v1, v[3:4], off
	s_waitcnt vmcnt(0)
	v_trunc_f32_e32 v1, v1
	s_delay_alu instid0(VALU_DEP_1) | instskip(NEXT) | instid1(VALU_DEP_1)
	v_mul_f32_e64 v2, 0x2f800000, |v1|
	v_floor_f32_e32 v2, v2
	s_delay_alu instid0(VALU_DEP_1) | instskip(SKIP_1) | instid1(VALU_DEP_2)
	v_fma_f32 v2, 0xcf800000, v2, |v1|
	v_ashrrev_i32_e32 v1, 31, v1
	v_cvt_u32_f32_e32 v2, v2
	s_delay_alu instid0(VALU_DEP_1) | instskip(NEXT) | instid1(VALU_DEP_1)
	v_xor_b32_e32 v2, v2, v1
	v_sub_nc_u32_e32 v1, v2, v1
.LBB352_1167:
	s_mov_b32 s0, 0
.LBB352_1168:
	s_delay_alu instid0(SALU_CYCLE_1)
	s_and_not1_b32 vcc_lo, exec_lo, s0
	s_cbranch_vccnz .LBB352_1170
; %bb.1169:
	global_load_b32 v1, v[3:4], off
	s_waitcnt vmcnt(0)
	v_cvt_f32_f16_e32 v1, v1
	s_delay_alu instid0(VALU_DEP_1)
	v_cvt_i32_f32_e32 v1, v1
.LBB352_1170:
	s_mov_b32 s0, 0
.LBB352_1171:
	s_delay_alu instid0(SALU_CYCLE_1)
	s_and_not1_b32 vcc_lo, exec_lo, s0
	s_cbranch_vccnz .LBB352_1182
; %bb.1172:
	v_cmp_gt_i16_e32 vcc_lo, 6, v8
	s_cbranch_vccnz .LBB352_1175
; %bb.1173:
	v_cmp_lt_i16_e32 vcc_lo, 6, v8
	s_cbranch_vccz .LBB352_1176
; %bb.1174:
	global_load_b64 v[1:2], v[3:4], off
	s_mov_b32 s0, 0
	s_waitcnt vmcnt(0)
	v_trunc_f64_e32 v[1:2], v[1:2]
	s_delay_alu instid0(VALU_DEP_1) | instskip(NEXT) | instid1(VALU_DEP_1)
	v_ldexp_f64 v[9:10], v[1:2], 0xffffffe0
	v_floor_f64_e32 v[9:10], v[9:10]
	s_delay_alu instid0(VALU_DEP_1) | instskip(NEXT) | instid1(VALU_DEP_1)
	v_fma_f64 v[1:2], 0xc1f00000, v[9:10], v[1:2]
	v_cvt_u32_f64_e32 v1, v[1:2]
	s_branch .LBB352_1177
.LBB352_1175:
	s_mov_b32 s0, -1
                                        ; implicit-def: $vgpr1
	s_branch .LBB352_1180
.LBB352_1176:
	s_mov_b32 s0, -1
                                        ; implicit-def: $vgpr1
.LBB352_1177:
	s_delay_alu instid0(SALU_CYCLE_1)
	s_and_not1_b32 vcc_lo, exec_lo, s0
	s_cbranch_vccnz .LBB352_1179
; %bb.1178:
	global_load_b32 v1, v[3:4], off
	s_waitcnt vmcnt(0)
	v_trunc_f32_e32 v1, v1
	s_delay_alu instid0(VALU_DEP_1) | instskip(NEXT) | instid1(VALU_DEP_1)
	v_mul_f32_e64 v2, 0x2f800000, |v1|
	v_floor_f32_e32 v2, v2
	s_delay_alu instid0(VALU_DEP_1) | instskip(SKIP_1) | instid1(VALU_DEP_2)
	v_fma_f32 v2, 0xcf800000, v2, |v1|
	v_ashrrev_i32_e32 v1, 31, v1
	v_cvt_u32_f32_e32 v2, v2
	s_delay_alu instid0(VALU_DEP_1) | instskip(NEXT) | instid1(VALU_DEP_1)
	v_xor_b32_e32 v2, v2, v1
	v_sub_nc_u32_e32 v1, v2, v1
.LBB352_1179:
	s_mov_b32 s0, 0
.LBB352_1180:
	s_delay_alu instid0(SALU_CYCLE_1)
	s_and_not1_b32 vcc_lo, exec_lo, s0
	s_cbranch_vccnz .LBB352_1182
; %bb.1181:
	global_load_u16 v1, v[3:4], off
	s_waitcnt vmcnt(0)
	v_cvt_f32_f16_e32 v1, v1
	s_delay_alu instid0(VALU_DEP_1)
	v_cvt_i32_f32_e32 v1, v1
.LBB352_1182:
	s_cbranch_execnz .LBB352_1202
.LBB352_1183:
	v_cmp_gt_i16_e32 vcc_lo, 2, v8
	s_cbranch_vccnz .LBB352_1187
; %bb.1184:
	v_cmp_gt_i16_e32 vcc_lo, 3, v8
	s_cbranch_vccnz .LBB352_1188
; %bb.1185:
	v_cmp_lt_i16_e32 vcc_lo, 3, v8
	s_cbranch_vccz .LBB352_1189
; %bb.1186:
	global_load_b64 v[1:2], v[3:4], off
	s_mov_b32 s0, 0
	s_branch .LBB352_1190
.LBB352_1187:
	s_mov_b32 s0, -1
                                        ; implicit-def: $vgpr1
	s_branch .LBB352_1196
.LBB352_1188:
	s_mov_b32 s0, -1
                                        ; implicit-def: $vgpr1
	s_branch .LBB352_1193
.LBB352_1189:
	s_mov_b32 s0, -1
                                        ; implicit-def: $vgpr1
.LBB352_1190:
	s_delay_alu instid0(SALU_CYCLE_1)
	s_and_not1_b32 vcc_lo, exec_lo, s0
	s_cbranch_vccnz .LBB352_1192
; %bb.1191:
	global_load_b32 v1, v[3:4], off
.LBB352_1192:
	s_mov_b32 s0, 0
.LBB352_1193:
	s_delay_alu instid0(SALU_CYCLE_1)
	s_and_not1_b32 vcc_lo, exec_lo, s0
	s_cbranch_vccnz .LBB352_1195
; %bb.1194:
	global_load_u16 v1, v[3:4], off
.LBB352_1195:
	s_mov_b32 s0, 0
.LBB352_1196:
	s_delay_alu instid0(SALU_CYCLE_1)
	s_and_not1_b32 vcc_lo, exec_lo, s0
	s_cbranch_vccnz .LBB352_1202
; %bb.1197:
	v_cmp_lt_i16_e32 vcc_lo, 0, v8
	s_mov_b32 s0, 0
	s_cbranch_vccz .LBB352_1199
; %bb.1198:
	global_load_u8 v1, v[3:4], off
	s_branch .LBB352_1200
.LBB352_1199:
	s_mov_b32 s0, -1
                                        ; implicit-def: $vgpr1
.LBB352_1200:
	s_delay_alu instid0(SALU_CYCLE_1)
	s_and_not1_b32 vcc_lo, exec_lo, s0
	s_cbranch_vccnz .LBB352_1202
; %bb.1201:
	global_load_u8 v1, v[3:4], off
.LBB352_1202:
	s_branch .LBB352_1271
.LBB352_1203:
	s_trap 2
	s_sendmsg_rtn_b32 s0, sendmsg(MSG_RTN_GET_DOORBELL)
	s_mov_b32 ttmp2, m0
	s_waitcnt lgkmcnt(0)
	s_and_b32 s0, s0, 0x3ff
	s_delay_alu instid0(SALU_CYCLE_1) | instskip(NEXT) | instid1(SALU_CYCLE_1)
	s_bitset1_b32 s0, 10
	s_mov_b32 m0, s0
	s_sendmsg sendmsg(MSG_INTERRUPT)
	s_mov_b32 m0, ttmp2
.LBB352_1204:                           ; =>This Inner Loop Header: Depth=1
	s_sethalt 5
	s_branch .LBB352_1204
.LBB352_1205:
	s_or_saveexec_b32 s18, s18
                                        ; implicit-def: $sgpr19
	s_delay_alu instid0(SALU_CYCLE_1)
	s_xor_b32 exec_lo, exec_lo, s18
	s_cbranch_execz .LBB352_940
.LBB352_1206:
	v_add_f32_e32 v2, 0x42800000, v5
	s_and_not1_b32 s17, s17, exec_lo
	s_mov_b32 s19, 0
	s_delay_alu instid0(VALU_DEP_1) | instskip(NEXT) | instid1(VALU_DEP_1)
	v_and_b32_e32 v2, 0xff, v2
	v_cmp_ne_u32_e32 vcc_lo, 0, v2
	s_and_b32 s20, vcc_lo, exec_lo
	s_delay_alu instid0(SALU_CYCLE_1)
	s_or_b32 s17, s17, s20
	s_or_b32 exec_lo, exec_lo, s18
	v_mov_b32_e32 v6, s19
	s_and_saveexec_b32 s18, s17
	s_cbranch_execnz .LBB352_941
	s_branch .LBB352_942
.LBB352_1207:
	s_mov_b32 s0, -1
	s_mov_b32 s13, 0
.LBB352_1208:
                                        ; implicit-def: $vgpr1
.LBB352_1209:
	s_and_b32 vcc_lo, exec_lo, s14
	s_cbranch_vccz .LBB352_1213
; %bb.1210:
	v_cmp_eq_u16_e32 vcc_lo, 44, v8
	s_cbranch_vccz .LBB352_1212
; %bb.1211:
	global_load_u8 v1, v[3:4], off
	s_mov_b32 s0, 0
	s_mov_b32 s13, -1
	s_waitcnt vmcnt(0)
	v_lshlrev_b32_e32 v2, 23, v1
	v_cmp_ne_u32_e32 vcc_lo, 0, v1
	s_delay_alu instid0(VALU_DEP_2) | instskip(NEXT) | instid1(VALU_DEP_1)
	v_trunc_f32_e32 v2, v2
	v_mul_f32_e64 v6, 0x2f800000, |v2|
	s_delay_alu instid0(VALU_DEP_1) | instskip(NEXT) | instid1(VALU_DEP_1)
	v_floor_f32_e32 v6, v6
	v_fma_f32 v6, 0xcf800000, v6, |v2|
	v_ashrrev_i32_e32 v2, 31, v2
	s_delay_alu instid0(VALU_DEP_2) | instskip(NEXT) | instid1(VALU_DEP_1)
	v_cvt_u32_f32_e32 v6, v6
	v_xor_b32_e32 v6, v6, v2
	s_delay_alu instid0(VALU_DEP_1) | instskip(NEXT) | instid1(VALU_DEP_1)
	v_sub_nc_u32_e32 v2, v6, v2
	v_cndmask_b32_e32 v1, 0, v2, vcc_lo
	s_branch .LBB352_1213
.LBB352_1212:
	s_mov_b32 s0, -1
                                        ; implicit-def: $vgpr1
.LBB352_1213:
	s_mov_b32 s14, 0
.LBB352_1214:
	s_delay_alu instid0(SALU_CYCLE_1)
	s_and_b32 vcc_lo, exec_lo, s14
	s_cbranch_vccz .LBB352_1218
; %bb.1215:
	v_cmp_eq_u16_e32 vcc_lo, 29, v8
	s_cbranch_vccz .LBB352_1217
; %bb.1216:
	global_load_b64 v[1:2], v[3:4], off
	s_mov_b32 s0, 0
	s_mov_b32 s13, -1
	s_branch .LBB352_1218
.LBB352_1217:
	s_mov_b32 s0, -1
                                        ; implicit-def: $vgpr1
.LBB352_1218:
	s_mov_b32 s14, 0
.LBB352_1219:
	s_delay_alu instid0(SALU_CYCLE_1)
	s_and_b32 vcc_lo, exec_lo, s14
	s_cbranch_vccz .LBB352_1235
; %bb.1220:
	v_cmp_gt_i16_e32 vcc_lo, 27, v8
	s_cbranch_vccnz .LBB352_1223
; %bb.1221:
	v_cmp_lt_i16_e32 vcc_lo, 27, v8
	s_cbranch_vccz .LBB352_1224
; %bb.1222:
	global_load_b32 v1, v[3:4], off
	s_mov_b32 s13, 0
	s_branch .LBB352_1225
.LBB352_1223:
	s_mov_b32 s13, -1
                                        ; implicit-def: $vgpr1
	s_branch .LBB352_1228
.LBB352_1224:
	s_mov_b32 s13, -1
                                        ; implicit-def: $vgpr1
.LBB352_1225:
	s_delay_alu instid0(SALU_CYCLE_1)
	s_and_not1_b32 vcc_lo, exec_lo, s13
	s_cbranch_vccnz .LBB352_1227
; %bb.1226:
	global_load_u16 v1, v[3:4], off
.LBB352_1227:
	s_mov_b32 s13, 0
.LBB352_1228:
	s_delay_alu instid0(SALU_CYCLE_1)
	s_and_not1_b32 vcc_lo, exec_lo, s13
	s_cbranch_vccnz .LBB352_1234
; %bb.1229:
	global_load_u8 v2, v[3:4], off
	s_mov_b32 s14, 0
	s_mov_b32 s13, exec_lo
                                        ; implicit-def: $sgpr15
	s_waitcnt vmcnt(0)
	v_cmpx_lt_i16_e32 0x7f, v2
	s_xor_b32 s13, exec_lo, s13
	s_cbranch_execz .LBB352_1245
; %bb.1230:
	v_cmp_ne_u16_e32 vcc_lo, 0x80, v2
	s_mov_b32 s15, 0
	s_and_b32 s14, vcc_lo, exec_lo
	s_or_saveexec_b32 s13, s13
	v_mov_b32_e32 v1, s15
	s_xor_b32 exec_lo, exec_lo, s13
	s_cbranch_execnz .LBB352_1246
.LBB352_1231:
	s_or_b32 exec_lo, exec_lo, s13
	s_and_saveexec_b32 s13, s14
	s_cbranch_execz .LBB352_1233
.LBB352_1232:
	v_and_b32_e32 v1, 0xffff, v2
	v_lshlrev_b32_e32 v2, 24, v2
	s_delay_alu instid0(VALU_DEP_2) | instskip(NEXT) | instid1(VALU_DEP_2)
	v_and_b32_e32 v6, 7, v1
	v_and_b32_e32 v2, 0x80000000, v2
	s_delay_alu instid0(VALU_DEP_2) | instskip(NEXT) | instid1(VALU_DEP_1)
	v_clz_i32_u32_e32 v9, v6
	v_min_u32_e32 v9, 32, v9
	s_delay_alu instid0(VALU_DEP_1) | instskip(SKIP_1) | instid1(VALU_DEP_2)
	v_subrev_nc_u32_e32 v10, 28, v9
	v_sub_nc_u32_e32 v9, 29, v9
	v_lshlrev_b32_e32 v10, v10, v1
	v_bfe_u32 v1, v1, 3, 4
	s_delay_alu instid0(VALU_DEP_1) | instskip(NEXT) | instid1(VALU_DEP_3)
	v_cmp_eq_u32_e32 vcc_lo, 0, v1
	v_dual_cndmask_b32 v1, v1, v9 :: v_dual_and_b32 v10, 7, v10
	s_delay_alu instid0(VALU_DEP_1) | instskip(NEXT) | instid1(VALU_DEP_2)
	v_cndmask_b32_e32 v6, v6, v10, vcc_lo
	v_lshl_add_u32 v1, v1, 23, 0x3b800000
	s_delay_alu instid0(VALU_DEP_2) | instskip(NEXT) | instid1(VALU_DEP_1)
	v_lshlrev_b32_e32 v6, 20, v6
	v_or3_b32 v1, v2, v1, v6
	s_delay_alu instid0(VALU_DEP_1) | instskip(NEXT) | instid1(VALU_DEP_1)
	v_trunc_f32_e32 v1, v1
	v_mul_f32_e64 v2, 0x2f800000, |v1|
	s_delay_alu instid0(VALU_DEP_1) | instskip(NEXT) | instid1(VALU_DEP_1)
	v_floor_f32_e32 v2, v2
	v_fma_f32 v2, 0xcf800000, v2, |v1|
	v_ashrrev_i32_e32 v1, 31, v1
	s_delay_alu instid0(VALU_DEP_2) | instskip(NEXT) | instid1(VALU_DEP_1)
	v_cvt_u32_f32_e32 v2, v2
	v_xor_b32_e32 v2, v2, v1
	s_delay_alu instid0(VALU_DEP_1)
	v_sub_nc_u32_e32 v1, v2, v1
.LBB352_1233:
	s_or_b32 exec_lo, exec_lo, s13
.LBB352_1234:
	s_mov_b32 s13, -1
.LBB352_1235:
	s_branch .LBB352_1266
.LBB352_1236:
	v_cmp_lt_i16_e32 vcc_lo, 22, v8
	s_cbranch_vccz .LBB352_1244
; %bb.1237:
	v_cmp_gt_i16_e32 vcc_lo, 24, v8
	s_cbranch_vccnz .LBB352_1247
; %bb.1238:
	v_cmp_lt_i16_e32 vcc_lo, 24, v8
	s_cbranch_vccz .LBB352_1248
; %bb.1239:
	global_load_u8 v2, v[3:4], off
	s_mov_b32 s13, 0
	s_mov_b32 s10, exec_lo
                                        ; implicit-def: $sgpr14
	s_waitcnt vmcnt(0)
	v_cmpx_lt_i16_e32 0x7f, v2
	s_xor_b32 s10, exec_lo, s10
	s_cbranch_execz .LBB352_1260
; %bb.1240:
	v_cmp_ne_u16_e32 vcc_lo, 0x80, v2
	s_mov_b32 s14, 0
	s_and_b32 s13, vcc_lo, exec_lo
	s_or_saveexec_b32 s10, s10
	v_mov_b32_e32 v1, s14
	s_xor_b32 exec_lo, exec_lo, s10
	s_cbranch_execnz .LBB352_1261
.LBB352_1241:
	s_or_b32 exec_lo, exec_lo, s10
	s_and_saveexec_b32 s10, s13
	s_cbranch_execz .LBB352_1243
.LBB352_1242:
	v_and_b32_e32 v1, 0xffff, v2
	v_lshlrev_b32_e32 v2, 24, v2
	s_delay_alu instid0(VALU_DEP_2) | instskip(NEXT) | instid1(VALU_DEP_2)
	v_and_b32_e32 v6, 3, v1
	v_and_b32_e32 v2, 0x80000000, v2
	s_delay_alu instid0(VALU_DEP_2) | instskip(NEXT) | instid1(VALU_DEP_1)
	v_clz_i32_u32_e32 v9, v6
	v_min_u32_e32 v9, 32, v9
	s_delay_alu instid0(VALU_DEP_1) | instskip(SKIP_1) | instid1(VALU_DEP_2)
	v_subrev_nc_u32_e32 v10, 29, v9
	v_sub_nc_u32_e32 v9, 30, v9
	v_lshlrev_b32_e32 v10, v10, v1
	v_bfe_u32 v1, v1, 2, 5
	s_delay_alu instid0(VALU_DEP_1) | instskip(NEXT) | instid1(VALU_DEP_3)
	v_cmp_eq_u32_e32 vcc_lo, 0, v1
	v_dual_cndmask_b32 v1, v1, v9 :: v_dual_and_b32 v10, 3, v10
	s_delay_alu instid0(VALU_DEP_1) | instskip(NEXT) | instid1(VALU_DEP_2)
	v_cndmask_b32_e32 v6, v6, v10, vcc_lo
	v_lshl_add_u32 v1, v1, 23, 0x37800000
	s_delay_alu instid0(VALU_DEP_2) | instskip(NEXT) | instid1(VALU_DEP_1)
	v_lshlrev_b32_e32 v6, 21, v6
	v_or3_b32 v1, v2, v1, v6
	s_delay_alu instid0(VALU_DEP_1) | instskip(NEXT) | instid1(VALU_DEP_1)
	v_trunc_f32_e32 v1, v1
	v_mul_f32_e64 v2, 0x2f800000, |v1|
	s_delay_alu instid0(VALU_DEP_1) | instskip(NEXT) | instid1(VALU_DEP_1)
	v_floor_f32_e32 v2, v2
	v_fma_f32 v2, 0xcf800000, v2, |v1|
	v_ashrrev_i32_e32 v1, 31, v1
	s_delay_alu instid0(VALU_DEP_2) | instskip(NEXT) | instid1(VALU_DEP_1)
	v_cvt_u32_f32_e32 v2, v2
	v_xor_b32_e32 v2, v2, v1
	s_delay_alu instid0(VALU_DEP_1)
	v_sub_nc_u32_e32 v1, v2, v1
.LBB352_1243:
	s_or_b32 exec_lo, exec_lo, s10
	s_mov_b32 s10, 0
	s_branch .LBB352_1249
.LBB352_1244:
	s_mov_b32 s10, -1
                                        ; implicit-def: $vgpr1
	s_branch .LBB352_1255
.LBB352_1245:
	s_or_saveexec_b32 s13, s13
	v_mov_b32_e32 v1, s15
	s_xor_b32 exec_lo, exec_lo, s13
	s_cbranch_execz .LBB352_1231
.LBB352_1246:
	v_cmp_ne_u16_e32 vcc_lo, 0, v2
	v_mov_b32_e32 v1, 0
	s_and_not1_b32 s14, s14, exec_lo
	s_and_b32 s15, vcc_lo, exec_lo
	s_delay_alu instid0(SALU_CYCLE_1)
	s_or_b32 s14, s14, s15
	s_or_b32 exec_lo, exec_lo, s13
	s_and_saveexec_b32 s13, s14
	s_cbranch_execnz .LBB352_1232
	s_branch .LBB352_1233
.LBB352_1247:
	s_mov_b32 s10, -1
                                        ; implicit-def: $vgpr1
	s_branch .LBB352_1252
.LBB352_1248:
	s_mov_b32 s10, -1
                                        ; implicit-def: $vgpr1
.LBB352_1249:
	s_delay_alu instid0(SALU_CYCLE_1)
	s_and_b32 vcc_lo, exec_lo, s10
	s_cbranch_vccz .LBB352_1251
; %bb.1250:
	global_load_u8 v1, v[3:4], off
	s_waitcnt vmcnt(0)
	v_lshlrev_b32_e32 v1, 24, v1
	s_delay_alu instid0(VALU_DEP_1) | instskip(NEXT) | instid1(VALU_DEP_1)
	v_and_b32_e32 v2, 0x7f000000, v1
	v_clz_i32_u32_e32 v6, v2
	v_add_nc_u32_e32 v10, 0x1000000, v2
	v_cmp_ne_u32_e32 vcc_lo, 0, v2
	s_delay_alu instid0(VALU_DEP_3) | instskip(NEXT) | instid1(VALU_DEP_1)
	v_min_u32_e32 v6, 32, v6
	v_sub_nc_u32_e64 v6, v6, 4 clamp
	s_delay_alu instid0(VALU_DEP_1) | instskip(SKIP_1) | instid1(VALU_DEP_2)
	v_lshlrev_b32_e32 v9, v6, v2
	v_lshlrev_b32_e32 v6, 23, v6
	v_lshrrev_b32_e32 v9, 4, v9
	s_delay_alu instid0(VALU_DEP_1) | instskip(SKIP_1) | instid1(VALU_DEP_2)
	v_sub_nc_u32_e32 v6, v9, v6
	v_ashrrev_i32_e32 v9, 8, v10
	v_add_nc_u32_e32 v6, 0x3c000000, v6
	s_delay_alu instid0(VALU_DEP_1) | instskip(NEXT) | instid1(VALU_DEP_1)
	v_and_or_b32 v6, 0x7f800000, v9, v6
	v_cndmask_b32_e32 v2, 0, v6, vcc_lo
	s_delay_alu instid0(VALU_DEP_1) | instskip(NEXT) | instid1(VALU_DEP_1)
	v_and_or_b32 v1, 0x80000000, v1, v2
	v_trunc_f32_e32 v1, v1
	s_delay_alu instid0(VALU_DEP_1) | instskip(NEXT) | instid1(VALU_DEP_1)
	v_mul_f32_e64 v2, 0x2f800000, |v1|
	v_floor_f32_e32 v2, v2
	s_delay_alu instid0(VALU_DEP_1) | instskip(SKIP_1) | instid1(VALU_DEP_2)
	v_fma_f32 v2, 0xcf800000, v2, |v1|
	v_ashrrev_i32_e32 v1, 31, v1
	v_cvt_u32_f32_e32 v2, v2
	s_delay_alu instid0(VALU_DEP_1) | instskip(NEXT) | instid1(VALU_DEP_1)
	v_xor_b32_e32 v2, v2, v1
	v_sub_nc_u32_e32 v1, v2, v1
.LBB352_1251:
	s_mov_b32 s10, 0
.LBB352_1252:
	s_delay_alu instid0(SALU_CYCLE_1)
	s_and_not1_b32 vcc_lo, exec_lo, s10
	s_cbranch_vccnz .LBB352_1254
; %bb.1253:
	global_load_u8 v1, v[3:4], off
	s_waitcnt vmcnt(0)
	v_lshlrev_b32_e32 v2, 25, v1
	v_lshlrev_b16 v1, 8, v1
	s_delay_alu instid0(VALU_DEP_2) | instskip(NEXT) | instid1(VALU_DEP_2)
	v_lshrrev_b32_e32 v6, 4, v2
	v_and_or_b32 v9, 0x7f00, v1, 0.5
	v_cmp_gt_u32_e32 vcc_lo, 0x8000000, v2
	v_bfe_i32 v1, v1, 0, 16
	s_delay_alu instid0(VALU_DEP_4) | instskip(NEXT) | instid1(VALU_DEP_1)
	v_or_b32_e32 v6, 0x70000000, v6
	v_dual_add_f32 v9, -0.5, v9 :: v_dual_mul_f32 v6, 0x7800000, v6
	s_delay_alu instid0(VALU_DEP_1) | instskip(NEXT) | instid1(VALU_DEP_1)
	v_cndmask_b32_e32 v2, v6, v9, vcc_lo
	v_and_or_b32 v1, 0x80000000, v1, v2
	s_delay_alu instid0(VALU_DEP_1) | instskip(NEXT) | instid1(VALU_DEP_1)
	v_trunc_f32_e32 v1, v1
	v_mul_f32_e64 v2, 0x2f800000, |v1|
	s_delay_alu instid0(VALU_DEP_1) | instskip(NEXT) | instid1(VALU_DEP_1)
	v_floor_f32_e32 v2, v2
	v_fma_f32 v2, 0xcf800000, v2, |v1|
	v_ashrrev_i32_e32 v1, 31, v1
	s_delay_alu instid0(VALU_DEP_2) | instskip(NEXT) | instid1(VALU_DEP_1)
	v_cvt_u32_f32_e32 v2, v2
	v_xor_b32_e32 v2, v2, v1
	s_delay_alu instid0(VALU_DEP_1)
	v_sub_nc_u32_e32 v1, v2, v1
.LBB352_1254:
	s_mov_b32 s10, 0
	s_mov_b32 s13, -1
.LBB352_1255:
	s_and_not1_b32 vcc_lo, exec_lo, s10
	s_mov_b32 s10, 0
	s_cbranch_vccnz .LBB352_1266
; %bb.1256:
	v_cmp_lt_i16_e32 vcc_lo, 14, v8
	s_cbranch_vccz .LBB352_1259
; %bb.1257:
	v_cmp_eq_u16_e32 vcc_lo, 15, v8
	s_cbranch_vccz .LBB352_1262
; %bb.1258:
	global_load_u16 v1, v[3:4], off
	s_mov_b32 s0, 0
	s_mov_b32 s13, -1
	s_waitcnt vmcnt(0)
	v_lshlrev_b32_e32 v1, 16, v1
	s_delay_alu instid0(VALU_DEP_1) | instskip(NEXT) | instid1(VALU_DEP_1)
	v_trunc_f32_e32 v1, v1
	v_mul_f32_e64 v2, 0x2f800000, |v1|
	s_delay_alu instid0(VALU_DEP_1) | instskip(NEXT) | instid1(VALU_DEP_1)
	v_floor_f32_e32 v2, v2
	v_fma_f32 v2, 0xcf800000, v2, |v1|
	v_ashrrev_i32_e32 v1, 31, v1
	s_delay_alu instid0(VALU_DEP_2) | instskip(NEXT) | instid1(VALU_DEP_1)
	v_cvt_u32_f32_e32 v2, v2
	v_xor_b32_e32 v2, v2, v1
	s_delay_alu instid0(VALU_DEP_1)
	v_sub_nc_u32_e32 v1, v2, v1
	s_branch .LBB352_1264
.LBB352_1259:
	s_mov_b32 s10, -1
	s_branch .LBB352_1263
.LBB352_1260:
	s_or_saveexec_b32 s10, s10
	v_mov_b32_e32 v1, s14
	s_xor_b32 exec_lo, exec_lo, s10
	s_cbranch_execz .LBB352_1241
.LBB352_1261:
	v_cmp_ne_u16_e32 vcc_lo, 0, v2
	v_mov_b32_e32 v1, 0
	s_and_not1_b32 s13, s13, exec_lo
	s_and_b32 s14, vcc_lo, exec_lo
	s_delay_alu instid0(SALU_CYCLE_1)
	s_or_b32 s13, s13, s14
	s_or_b32 exec_lo, exec_lo, s10
	s_and_saveexec_b32 s10, s13
	s_cbranch_execnz .LBB352_1242
	s_branch .LBB352_1243
.LBB352_1262:
	s_mov_b32 s0, -1
.LBB352_1263:
                                        ; implicit-def: $vgpr1
.LBB352_1264:
	s_and_b32 vcc_lo, exec_lo, s10
	s_mov_b32 s10, 0
	s_cbranch_vccz .LBB352_1266
; %bb.1265:
	v_cmp_ne_u16_e64 s0, 11, v8
	s_mov_b32 s10, -1
                                        ; implicit-def: $vgpr1
.LBB352_1266:
	s_delay_alu instid0(VALU_DEP_1)
	s_and_b32 vcc_lo, exec_lo, s0
	s_cbranch_vccnz .LBB352_1290
; %bb.1267:
	s_and_not1_b32 vcc_lo, exec_lo, s10
	s_cbranch_vccnz .LBB352_1269
.LBB352_1268:
	global_load_u8 v1, v[3:4], off
	s_mov_b32 s13, -1
	s_waitcnt vmcnt(0)
	v_cmp_ne_u16_e32 vcc_lo, 0, v1
	v_cndmask_b32_e64 v1, 0, 1, vcc_lo
.LBB352_1269:
.LBB352_1270:
	s_and_not1_b32 vcc_lo, exec_lo, s13
	s_cbranch_vccnz .LBB352_1963
.LBB352_1271:
	v_add_nc_u32_e32 v6, s3, v5
	v_cmp_gt_i16_e32 vcc_lo, 11, v8
	s_waitcnt vmcnt(0)
	s_delay_alu instid0(VALU_DEP_2) | instskip(SKIP_1) | instid1(VALU_DEP_1)
	v_ashrrev_i32_e32 v2, 31, v6
	v_add_co_u32 v4, s0, s6, v6
	v_add_co_ci_u32_e64 v5, s0, s7, v2, s0
	s_cbranch_vccnz .LBB352_1278
; %bb.1272:
	v_cmp_lt_i16_e32 vcc_lo, 25, v8
	s_mov_b32 s10, 0
	s_cbranch_vccz .LBB352_1284
; %bb.1273:
	v_cmp_lt_i16_e32 vcc_lo, 28, v8
	s_cbranch_vccz .LBB352_1286
; %bb.1274:
	v_cmp_lt_i16_e32 vcc_lo, 43, v8
	;; [unrolled: 3-line block ×3, first 2 shown]
	s_cbranch_vccz .LBB352_1292
; %bb.1276:
	v_cmp_eq_u16_e32 vcc_lo, 46, v8
	s_mov_b32 s14, 0
	s_cbranch_vccz .LBB352_1335
; %bb.1277:
	global_load_b32 v2, v[4:5], off
	s_mov_b32 s0, 0
	s_mov_b32 s13, -1
	s_waitcnt vmcnt(0)
	v_lshlrev_b32_e32 v2, 16, v2
	s_delay_alu instid0(VALU_DEP_1) | instskip(NEXT) | instid1(VALU_DEP_1)
	v_trunc_f32_e32 v2, v2
	v_mul_f32_e64 v3, 0x2f800000, |v2|
	s_delay_alu instid0(VALU_DEP_1) | instskip(NEXT) | instid1(VALU_DEP_1)
	v_floor_f32_e32 v3, v3
	v_fma_f32 v3, 0xcf800000, v3, |v2|
	v_ashrrev_i32_e32 v2, 31, v2
	s_delay_alu instid0(VALU_DEP_2) | instskip(NEXT) | instid1(VALU_DEP_1)
	v_cvt_u32_f32_e32 v3, v3
	v_xor_b32_e32 v3, v3, v2
	s_delay_alu instid0(VALU_DEP_1)
	v_sub_nc_u32_e32 v2, v3, v2
	s_branch .LBB352_1337
.LBB352_1278:
	s_mov_b32 s13, 0
                                        ; implicit-def: $vgpr2
	s_cbranch_execz .LBB352_1399
; %bb.1279:
	v_cmp_gt_i16_e32 vcc_lo, 5, v8
	s_cbranch_vccnz .LBB352_1285
; %bb.1280:
	v_cmp_gt_i16_e32 vcc_lo, 8, v8
	s_cbranch_vccnz .LBB352_1287
; %bb.1281:
	v_cmp_gt_i16_e32 vcc_lo, 9, v8
	s_cbranch_vccnz .LBB352_1289
; %bb.1282:
	v_cmp_lt_i16_e32 vcc_lo, 9, v8
	s_cbranch_vccz .LBB352_1293
; %bb.1283:
	global_load_b64 v[2:3], v[4:5], off
	s_mov_b32 s0, 0
	s_waitcnt vmcnt(0)
	v_trunc_f64_e32 v[2:3], v[2:3]
	s_delay_alu instid0(VALU_DEP_1) | instskip(NEXT) | instid1(VALU_DEP_1)
	v_ldexp_f64 v[9:10], v[2:3], 0xffffffe0
	v_floor_f64_e32 v[9:10], v[9:10]
	s_delay_alu instid0(VALU_DEP_1) | instskip(NEXT) | instid1(VALU_DEP_1)
	v_fma_f64 v[2:3], 0xc1f00000, v[9:10], v[2:3]
	v_cvt_u32_f64_e32 v2, v[2:3]
	s_branch .LBB352_1294
.LBB352_1284:
	s_mov_b32 s14, -1
	s_mov_b32 s13, 0
	s_mov_b32 s0, 0
                                        ; implicit-def: $vgpr2
	s_branch .LBB352_1364
.LBB352_1285:
	s_mov_b32 s0, -1
                                        ; implicit-def: $vgpr2
	s_branch .LBB352_1312
.LBB352_1286:
	s_mov_b32 s14, -1
	s_mov_b32 s13, 0
	s_mov_b32 s0, 0
                                        ; implicit-def: $vgpr2
	s_branch .LBB352_1347
.LBB352_1287:
	s_mov_b32 s0, -1
                                        ; implicit-def: $vgpr2
	s_branch .LBB352_1300
.LBB352_1288:
	s_mov_b32 s14, -1
	s_mov_b32 s13, 0
	s_mov_b32 s0, 0
                                        ; implicit-def: $vgpr2
	s_branch .LBB352_1342
.LBB352_1289:
	s_mov_b32 s0, -1
                                        ; implicit-def: $vgpr2
	s_branch .LBB352_1297
.LBB352_1290:
	s_cbranch_execnz .LBB352_1333
; %bb.1291:
	s_or_b32 s9, s9, exec_lo
                                        ; implicit-def: $vgpr1
	s_cbranch_execz .LBB352_1268
	s_branch .LBB352_1269
.LBB352_1292:
	s_mov_b32 s14, -1
	s_mov_b32 s13, 0
	s_mov_b32 s0, 0
	s_branch .LBB352_1336
.LBB352_1293:
	s_mov_b32 s0, -1
                                        ; implicit-def: $vgpr2
.LBB352_1294:
	s_delay_alu instid0(SALU_CYCLE_1)
	s_and_not1_b32 vcc_lo, exec_lo, s0
	s_cbranch_vccnz .LBB352_1296
; %bb.1295:
	global_load_b32 v2, v[4:5], off
	s_waitcnt vmcnt(0)
	v_trunc_f32_e32 v2, v2
	s_delay_alu instid0(VALU_DEP_1) | instskip(NEXT) | instid1(VALU_DEP_1)
	v_mul_f32_e64 v3, 0x2f800000, |v2|
	v_floor_f32_e32 v3, v3
	s_delay_alu instid0(VALU_DEP_1) | instskip(SKIP_1) | instid1(VALU_DEP_2)
	v_fma_f32 v3, 0xcf800000, v3, |v2|
	v_ashrrev_i32_e32 v2, 31, v2
	v_cvt_u32_f32_e32 v3, v3
	s_delay_alu instid0(VALU_DEP_1) | instskip(NEXT) | instid1(VALU_DEP_1)
	v_xor_b32_e32 v3, v3, v2
	v_sub_nc_u32_e32 v2, v3, v2
.LBB352_1296:
	s_mov_b32 s0, 0
.LBB352_1297:
	s_delay_alu instid0(SALU_CYCLE_1)
	s_and_not1_b32 vcc_lo, exec_lo, s0
	s_cbranch_vccnz .LBB352_1299
; %bb.1298:
	global_load_b32 v2, v[4:5], off
	s_waitcnt vmcnt(0)
	v_cvt_f32_f16_e32 v2, v2
	s_delay_alu instid0(VALU_DEP_1)
	v_cvt_i32_f32_e32 v2, v2
.LBB352_1299:
	s_mov_b32 s0, 0
.LBB352_1300:
	s_delay_alu instid0(SALU_CYCLE_1)
	s_and_not1_b32 vcc_lo, exec_lo, s0
	s_cbranch_vccnz .LBB352_1311
; %bb.1301:
	v_cmp_gt_i16_e32 vcc_lo, 6, v8
	s_cbranch_vccnz .LBB352_1304
; %bb.1302:
	v_cmp_lt_i16_e32 vcc_lo, 6, v8
	s_cbranch_vccz .LBB352_1305
; %bb.1303:
	global_load_b64 v[2:3], v[4:5], off
	s_mov_b32 s0, 0
	s_waitcnt vmcnt(0)
	v_trunc_f64_e32 v[2:3], v[2:3]
	s_delay_alu instid0(VALU_DEP_1) | instskip(NEXT) | instid1(VALU_DEP_1)
	v_ldexp_f64 v[9:10], v[2:3], 0xffffffe0
	v_floor_f64_e32 v[9:10], v[9:10]
	s_delay_alu instid0(VALU_DEP_1) | instskip(NEXT) | instid1(VALU_DEP_1)
	v_fma_f64 v[2:3], 0xc1f00000, v[9:10], v[2:3]
	v_cvt_u32_f64_e32 v2, v[2:3]
	s_branch .LBB352_1306
.LBB352_1304:
	s_mov_b32 s0, -1
                                        ; implicit-def: $vgpr2
	s_branch .LBB352_1309
.LBB352_1305:
	s_mov_b32 s0, -1
                                        ; implicit-def: $vgpr2
.LBB352_1306:
	s_delay_alu instid0(SALU_CYCLE_1)
	s_and_not1_b32 vcc_lo, exec_lo, s0
	s_cbranch_vccnz .LBB352_1308
; %bb.1307:
	global_load_b32 v2, v[4:5], off
	s_waitcnt vmcnt(0)
	v_trunc_f32_e32 v2, v2
	s_delay_alu instid0(VALU_DEP_1) | instskip(NEXT) | instid1(VALU_DEP_1)
	v_mul_f32_e64 v3, 0x2f800000, |v2|
	v_floor_f32_e32 v3, v3
	s_delay_alu instid0(VALU_DEP_1) | instskip(SKIP_1) | instid1(VALU_DEP_2)
	v_fma_f32 v3, 0xcf800000, v3, |v2|
	v_ashrrev_i32_e32 v2, 31, v2
	v_cvt_u32_f32_e32 v3, v3
	s_delay_alu instid0(VALU_DEP_1) | instskip(NEXT) | instid1(VALU_DEP_1)
	v_xor_b32_e32 v3, v3, v2
	v_sub_nc_u32_e32 v2, v3, v2
.LBB352_1308:
	s_mov_b32 s0, 0
.LBB352_1309:
	s_delay_alu instid0(SALU_CYCLE_1)
	s_and_not1_b32 vcc_lo, exec_lo, s0
	s_cbranch_vccnz .LBB352_1311
; %bb.1310:
	global_load_u16 v2, v[4:5], off
	s_waitcnt vmcnt(0)
	v_cvt_f32_f16_e32 v2, v2
	s_delay_alu instid0(VALU_DEP_1)
	v_cvt_i32_f32_e32 v2, v2
.LBB352_1311:
	s_mov_b32 s0, 0
.LBB352_1312:
	s_delay_alu instid0(SALU_CYCLE_1)
	s_and_not1_b32 vcc_lo, exec_lo, s0
	s_cbranch_vccnz .LBB352_1332
; %bb.1313:
	v_cmp_gt_i16_e32 vcc_lo, 2, v8
	s_cbranch_vccnz .LBB352_1317
; %bb.1314:
	v_cmp_gt_i16_e32 vcc_lo, 3, v8
	s_cbranch_vccnz .LBB352_1318
; %bb.1315:
	v_cmp_lt_i16_e32 vcc_lo, 3, v8
	s_cbranch_vccz .LBB352_1319
; %bb.1316:
	global_load_b64 v[2:3], v[4:5], off
	s_mov_b32 s0, 0
	s_branch .LBB352_1320
.LBB352_1317:
	s_mov_b32 s0, -1
                                        ; implicit-def: $vgpr2
	s_branch .LBB352_1326
.LBB352_1318:
	s_mov_b32 s0, -1
                                        ; implicit-def: $vgpr2
	s_branch .LBB352_1323
.LBB352_1319:
	s_mov_b32 s0, -1
                                        ; implicit-def: $vgpr2
.LBB352_1320:
	s_delay_alu instid0(SALU_CYCLE_1)
	s_and_not1_b32 vcc_lo, exec_lo, s0
	s_cbranch_vccnz .LBB352_1322
; %bb.1321:
	global_load_b32 v2, v[4:5], off
.LBB352_1322:
	s_mov_b32 s0, 0
.LBB352_1323:
	s_delay_alu instid0(SALU_CYCLE_1)
	s_and_not1_b32 vcc_lo, exec_lo, s0
	s_cbranch_vccnz .LBB352_1325
; %bb.1324:
	global_load_u16 v2, v[4:5], off
.LBB352_1325:
	s_mov_b32 s0, 0
.LBB352_1326:
	s_delay_alu instid0(SALU_CYCLE_1)
	s_and_not1_b32 vcc_lo, exec_lo, s0
	s_cbranch_vccnz .LBB352_1332
; %bb.1327:
	v_cmp_lt_i16_e32 vcc_lo, 0, v8
	s_mov_b32 s0, 0
	s_cbranch_vccz .LBB352_1329
; %bb.1328:
	global_load_u8 v2, v[4:5], off
	s_branch .LBB352_1330
.LBB352_1329:
	s_mov_b32 s0, -1
                                        ; implicit-def: $vgpr2
.LBB352_1330:
	s_delay_alu instid0(SALU_CYCLE_1)
	s_and_not1_b32 vcc_lo, exec_lo, s0
	s_cbranch_vccnz .LBB352_1332
; %bb.1331:
	global_load_u8 v2, v[4:5], off
.LBB352_1332:
	s_branch .LBB352_1400
.LBB352_1333:
	s_trap 2
	s_sendmsg_rtn_b32 s0, sendmsg(MSG_RTN_GET_DOORBELL)
	s_mov_b32 ttmp2, m0
	s_waitcnt lgkmcnt(0)
	s_and_b32 s0, s0, 0x3ff
	s_delay_alu instid0(SALU_CYCLE_1) | instskip(NEXT) | instid1(SALU_CYCLE_1)
	s_bitset1_b32 s0, 10
	s_mov_b32 m0, s0
	s_sendmsg sendmsg(MSG_INTERRUPT)
	s_mov_b32 m0, ttmp2
.LBB352_1334:                           ; =>This Inner Loop Header: Depth=1
	s_sethalt 5
	s_branch .LBB352_1334
.LBB352_1335:
	s_mov_b32 s0, -1
	s_mov_b32 s13, 0
.LBB352_1336:
                                        ; implicit-def: $vgpr2
.LBB352_1337:
	s_and_b32 vcc_lo, exec_lo, s14
	s_cbranch_vccz .LBB352_1341
; %bb.1338:
	v_cmp_eq_u16_e32 vcc_lo, 44, v8
	s_cbranch_vccz .LBB352_1340
; %bb.1339:
	global_load_u8 v2, v[4:5], off
	s_mov_b32 s0, 0
	s_mov_b32 s13, -1
	s_waitcnt vmcnt(0)
	v_lshlrev_b32_e32 v3, 23, v2
	v_cmp_ne_u32_e32 vcc_lo, 0, v2
	s_delay_alu instid0(VALU_DEP_2) | instskip(NEXT) | instid1(VALU_DEP_1)
	v_trunc_f32_e32 v3, v3
	v_mul_f32_e64 v9, 0x2f800000, |v3|
	s_delay_alu instid0(VALU_DEP_1) | instskip(NEXT) | instid1(VALU_DEP_1)
	v_floor_f32_e32 v9, v9
	v_fma_f32 v9, 0xcf800000, v9, |v3|
	v_ashrrev_i32_e32 v3, 31, v3
	s_delay_alu instid0(VALU_DEP_2) | instskip(NEXT) | instid1(VALU_DEP_1)
	v_cvt_u32_f32_e32 v9, v9
	v_xor_b32_e32 v9, v9, v3
	s_delay_alu instid0(VALU_DEP_1) | instskip(NEXT) | instid1(VALU_DEP_1)
	v_sub_nc_u32_e32 v3, v9, v3
	v_cndmask_b32_e32 v2, 0, v3, vcc_lo
	s_branch .LBB352_1341
.LBB352_1340:
	s_mov_b32 s0, -1
                                        ; implicit-def: $vgpr2
.LBB352_1341:
	s_mov_b32 s14, 0
.LBB352_1342:
	s_delay_alu instid0(SALU_CYCLE_1)
	s_and_b32 vcc_lo, exec_lo, s14
	s_cbranch_vccz .LBB352_1346
; %bb.1343:
	v_cmp_eq_u16_e32 vcc_lo, 29, v8
	s_cbranch_vccz .LBB352_1345
; %bb.1344:
	global_load_b64 v[2:3], v[4:5], off
	s_mov_b32 s0, 0
	s_mov_b32 s13, -1
	s_branch .LBB352_1346
.LBB352_1345:
	s_mov_b32 s0, -1
                                        ; implicit-def: $vgpr2
.LBB352_1346:
	s_mov_b32 s14, 0
.LBB352_1347:
	s_delay_alu instid0(SALU_CYCLE_1)
	s_and_b32 vcc_lo, exec_lo, s14
	s_cbranch_vccz .LBB352_1363
; %bb.1348:
	v_cmp_gt_i16_e32 vcc_lo, 27, v8
	s_cbranch_vccnz .LBB352_1351
; %bb.1349:
	v_cmp_lt_i16_e32 vcc_lo, 27, v8
	s_cbranch_vccz .LBB352_1352
; %bb.1350:
	global_load_b32 v2, v[4:5], off
	s_mov_b32 s13, 0
	s_branch .LBB352_1353
.LBB352_1351:
	s_mov_b32 s13, -1
                                        ; implicit-def: $vgpr2
	s_branch .LBB352_1356
.LBB352_1352:
	s_mov_b32 s13, -1
                                        ; implicit-def: $vgpr2
.LBB352_1353:
	s_delay_alu instid0(SALU_CYCLE_1)
	s_and_not1_b32 vcc_lo, exec_lo, s13
	s_cbranch_vccnz .LBB352_1355
; %bb.1354:
	global_load_u16 v2, v[4:5], off
.LBB352_1355:
	s_mov_b32 s13, 0
.LBB352_1356:
	s_delay_alu instid0(SALU_CYCLE_1)
	s_and_not1_b32 vcc_lo, exec_lo, s13
	s_cbranch_vccnz .LBB352_1362
; %bb.1357:
	global_load_u8 v3, v[4:5], off
	s_mov_b32 s14, 0
	s_mov_b32 s13, exec_lo
                                        ; implicit-def: $sgpr15
	s_waitcnt vmcnt(0)
	v_cmpx_lt_i16_e32 0x7f, v3
	s_xor_b32 s13, exec_lo, s13
	s_cbranch_execz .LBB352_1374
; %bb.1358:
	v_cmp_ne_u16_e32 vcc_lo, 0x80, v3
	s_mov_b32 s15, 0
	s_and_b32 s14, vcc_lo, exec_lo
	s_or_saveexec_b32 s13, s13
	v_mov_b32_e32 v2, s15
	s_xor_b32 exec_lo, exec_lo, s13
	s_cbranch_execnz .LBB352_1375
.LBB352_1359:
	s_or_b32 exec_lo, exec_lo, s13
	s_and_saveexec_b32 s13, s14
	s_cbranch_execz .LBB352_1361
.LBB352_1360:
	v_and_b32_e32 v2, 0xffff, v3
	v_lshlrev_b32_e32 v3, 24, v3
	s_delay_alu instid0(VALU_DEP_2) | instskip(NEXT) | instid1(VALU_DEP_2)
	v_and_b32_e32 v9, 7, v2
	v_and_b32_e32 v3, 0x80000000, v3
	s_delay_alu instid0(VALU_DEP_2) | instskip(NEXT) | instid1(VALU_DEP_1)
	v_clz_i32_u32_e32 v10, v9
	v_min_u32_e32 v10, 32, v10
	s_delay_alu instid0(VALU_DEP_1) | instskip(SKIP_1) | instid1(VALU_DEP_2)
	v_subrev_nc_u32_e32 v11, 28, v10
	v_sub_nc_u32_e32 v10, 29, v10
	v_lshlrev_b32_e32 v11, v11, v2
	v_bfe_u32 v2, v2, 3, 4
	s_delay_alu instid0(VALU_DEP_1) | instskip(NEXT) | instid1(VALU_DEP_3)
	v_cmp_eq_u32_e32 vcc_lo, 0, v2
	v_dual_cndmask_b32 v2, v2, v10 :: v_dual_and_b32 v11, 7, v11
	s_delay_alu instid0(VALU_DEP_1) | instskip(NEXT) | instid1(VALU_DEP_2)
	v_cndmask_b32_e32 v9, v9, v11, vcc_lo
	v_lshl_add_u32 v2, v2, 23, 0x3b800000
	s_delay_alu instid0(VALU_DEP_2) | instskip(NEXT) | instid1(VALU_DEP_1)
	v_lshlrev_b32_e32 v9, 20, v9
	v_or3_b32 v2, v3, v2, v9
	s_delay_alu instid0(VALU_DEP_1) | instskip(NEXT) | instid1(VALU_DEP_1)
	v_trunc_f32_e32 v2, v2
	v_mul_f32_e64 v3, 0x2f800000, |v2|
	s_delay_alu instid0(VALU_DEP_1) | instskip(NEXT) | instid1(VALU_DEP_1)
	v_floor_f32_e32 v3, v3
	v_fma_f32 v3, 0xcf800000, v3, |v2|
	v_ashrrev_i32_e32 v2, 31, v2
	s_delay_alu instid0(VALU_DEP_2) | instskip(NEXT) | instid1(VALU_DEP_1)
	v_cvt_u32_f32_e32 v3, v3
	v_xor_b32_e32 v3, v3, v2
	s_delay_alu instid0(VALU_DEP_1)
	v_sub_nc_u32_e32 v2, v3, v2
.LBB352_1361:
	s_or_b32 exec_lo, exec_lo, s13
.LBB352_1362:
	s_mov_b32 s13, -1
.LBB352_1363:
	s_mov_b32 s14, 0
.LBB352_1364:
	s_delay_alu instid0(SALU_CYCLE_1)
	s_and_b32 vcc_lo, exec_lo, s14
	s_cbranch_vccz .LBB352_1395
; %bb.1365:
	v_cmp_lt_i16_e32 vcc_lo, 22, v8
	s_cbranch_vccz .LBB352_1373
; %bb.1366:
	v_cmp_gt_i16_e32 vcc_lo, 24, v8
	s_cbranch_vccnz .LBB352_1376
; %bb.1367:
	v_cmp_lt_i16_e32 vcc_lo, 24, v8
	s_cbranch_vccz .LBB352_1377
; %bb.1368:
	global_load_u8 v3, v[4:5], off
	s_mov_b32 s13, 0
	s_mov_b32 s10, exec_lo
                                        ; implicit-def: $sgpr14
	s_waitcnt vmcnt(0)
	v_cmpx_lt_i16_e32 0x7f, v3
	s_xor_b32 s10, exec_lo, s10
	s_cbranch_execz .LBB352_1389
; %bb.1369:
	v_cmp_ne_u16_e32 vcc_lo, 0x80, v3
	s_mov_b32 s14, 0
	s_and_b32 s13, vcc_lo, exec_lo
	s_or_saveexec_b32 s10, s10
	v_mov_b32_e32 v2, s14
	s_xor_b32 exec_lo, exec_lo, s10
	s_cbranch_execnz .LBB352_1390
.LBB352_1370:
	s_or_b32 exec_lo, exec_lo, s10
	s_and_saveexec_b32 s10, s13
	s_cbranch_execz .LBB352_1372
.LBB352_1371:
	v_and_b32_e32 v2, 0xffff, v3
	v_lshlrev_b32_e32 v3, 24, v3
	s_delay_alu instid0(VALU_DEP_2) | instskip(NEXT) | instid1(VALU_DEP_2)
	v_and_b32_e32 v9, 3, v2
	v_and_b32_e32 v3, 0x80000000, v3
	s_delay_alu instid0(VALU_DEP_2) | instskip(NEXT) | instid1(VALU_DEP_1)
	v_clz_i32_u32_e32 v10, v9
	v_min_u32_e32 v10, 32, v10
	s_delay_alu instid0(VALU_DEP_1) | instskip(SKIP_1) | instid1(VALU_DEP_2)
	v_subrev_nc_u32_e32 v11, 29, v10
	v_sub_nc_u32_e32 v10, 30, v10
	v_lshlrev_b32_e32 v11, v11, v2
	v_bfe_u32 v2, v2, 2, 5
	s_delay_alu instid0(VALU_DEP_1) | instskip(NEXT) | instid1(VALU_DEP_3)
	v_cmp_eq_u32_e32 vcc_lo, 0, v2
	v_dual_cndmask_b32 v2, v2, v10 :: v_dual_and_b32 v11, 3, v11
	s_delay_alu instid0(VALU_DEP_1) | instskip(NEXT) | instid1(VALU_DEP_2)
	v_cndmask_b32_e32 v9, v9, v11, vcc_lo
	v_lshl_add_u32 v2, v2, 23, 0x37800000
	s_delay_alu instid0(VALU_DEP_2) | instskip(NEXT) | instid1(VALU_DEP_1)
	v_lshlrev_b32_e32 v9, 21, v9
	v_or3_b32 v2, v3, v2, v9
	s_delay_alu instid0(VALU_DEP_1) | instskip(NEXT) | instid1(VALU_DEP_1)
	v_trunc_f32_e32 v2, v2
	v_mul_f32_e64 v3, 0x2f800000, |v2|
	s_delay_alu instid0(VALU_DEP_1) | instskip(NEXT) | instid1(VALU_DEP_1)
	v_floor_f32_e32 v3, v3
	v_fma_f32 v3, 0xcf800000, v3, |v2|
	v_ashrrev_i32_e32 v2, 31, v2
	s_delay_alu instid0(VALU_DEP_2) | instskip(NEXT) | instid1(VALU_DEP_1)
	v_cvt_u32_f32_e32 v3, v3
	v_xor_b32_e32 v3, v3, v2
	s_delay_alu instid0(VALU_DEP_1)
	v_sub_nc_u32_e32 v2, v3, v2
.LBB352_1372:
	s_or_b32 exec_lo, exec_lo, s10
	s_mov_b32 s10, 0
	s_branch .LBB352_1378
.LBB352_1373:
	s_mov_b32 s10, -1
                                        ; implicit-def: $vgpr2
	s_branch .LBB352_1384
.LBB352_1374:
	s_or_saveexec_b32 s13, s13
	v_mov_b32_e32 v2, s15
	s_xor_b32 exec_lo, exec_lo, s13
	s_cbranch_execz .LBB352_1359
.LBB352_1375:
	v_cmp_ne_u16_e32 vcc_lo, 0, v3
	v_mov_b32_e32 v2, 0
	s_and_not1_b32 s14, s14, exec_lo
	s_and_b32 s15, vcc_lo, exec_lo
	s_delay_alu instid0(SALU_CYCLE_1)
	s_or_b32 s14, s14, s15
	s_or_b32 exec_lo, exec_lo, s13
	s_and_saveexec_b32 s13, s14
	s_cbranch_execnz .LBB352_1360
	s_branch .LBB352_1361
.LBB352_1376:
	s_mov_b32 s10, -1
                                        ; implicit-def: $vgpr2
	s_branch .LBB352_1381
.LBB352_1377:
	s_mov_b32 s10, -1
                                        ; implicit-def: $vgpr2
.LBB352_1378:
	s_delay_alu instid0(SALU_CYCLE_1)
	s_and_b32 vcc_lo, exec_lo, s10
	s_cbranch_vccz .LBB352_1380
; %bb.1379:
	global_load_u8 v2, v[4:5], off
	s_waitcnt vmcnt(0)
	v_lshlrev_b32_e32 v2, 24, v2
	s_delay_alu instid0(VALU_DEP_1) | instskip(NEXT) | instid1(VALU_DEP_1)
	v_and_b32_e32 v3, 0x7f000000, v2
	v_clz_i32_u32_e32 v9, v3
	v_add_nc_u32_e32 v11, 0x1000000, v3
	v_cmp_ne_u32_e32 vcc_lo, 0, v3
	s_delay_alu instid0(VALU_DEP_3) | instskip(NEXT) | instid1(VALU_DEP_1)
	v_min_u32_e32 v9, 32, v9
	v_sub_nc_u32_e64 v9, v9, 4 clamp
	s_delay_alu instid0(VALU_DEP_1) | instskip(SKIP_1) | instid1(VALU_DEP_2)
	v_lshlrev_b32_e32 v10, v9, v3
	v_lshlrev_b32_e32 v9, 23, v9
	v_lshrrev_b32_e32 v10, 4, v10
	s_delay_alu instid0(VALU_DEP_1) | instskip(SKIP_1) | instid1(VALU_DEP_2)
	v_sub_nc_u32_e32 v9, v10, v9
	v_ashrrev_i32_e32 v10, 8, v11
	v_add_nc_u32_e32 v9, 0x3c000000, v9
	s_delay_alu instid0(VALU_DEP_1) | instskip(NEXT) | instid1(VALU_DEP_1)
	v_and_or_b32 v9, 0x7f800000, v10, v9
	v_cndmask_b32_e32 v3, 0, v9, vcc_lo
	s_delay_alu instid0(VALU_DEP_1) | instskip(NEXT) | instid1(VALU_DEP_1)
	v_and_or_b32 v2, 0x80000000, v2, v3
	v_trunc_f32_e32 v2, v2
	s_delay_alu instid0(VALU_DEP_1) | instskip(NEXT) | instid1(VALU_DEP_1)
	v_mul_f32_e64 v3, 0x2f800000, |v2|
	v_floor_f32_e32 v3, v3
	s_delay_alu instid0(VALU_DEP_1) | instskip(SKIP_1) | instid1(VALU_DEP_2)
	v_fma_f32 v3, 0xcf800000, v3, |v2|
	v_ashrrev_i32_e32 v2, 31, v2
	v_cvt_u32_f32_e32 v3, v3
	s_delay_alu instid0(VALU_DEP_1) | instskip(NEXT) | instid1(VALU_DEP_1)
	v_xor_b32_e32 v3, v3, v2
	v_sub_nc_u32_e32 v2, v3, v2
.LBB352_1380:
	s_mov_b32 s10, 0
.LBB352_1381:
	s_delay_alu instid0(SALU_CYCLE_1)
	s_and_not1_b32 vcc_lo, exec_lo, s10
	s_cbranch_vccnz .LBB352_1383
; %bb.1382:
	global_load_u8 v2, v[4:5], off
	s_waitcnt vmcnt(0)
	v_lshlrev_b32_e32 v3, 25, v2
	v_lshlrev_b16 v2, 8, v2
	s_delay_alu instid0(VALU_DEP_2) | instskip(NEXT) | instid1(VALU_DEP_2)
	v_lshrrev_b32_e32 v9, 4, v3
	v_and_or_b32 v10, 0x7f00, v2, 0.5
	v_cmp_gt_u32_e32 vcc_lo, 0x8000000, v3
	v_bfe_i32 v2, v2, 0, 16
	s_delay_alu instid0(VALU_DEP_4) | instskip(NEXT) | instid1(VALU_DEP_1)
	v_or_b32_e32 v9, 0x70000000, v9
	v_dual_add_f32 v10, -0.5, v10 :: v_dual_mul_f32 v9, 0x7800000, v9
	s_delay_alu instid0(VALU_DEP_1) | instskip(NEXT) | instid1(VALU_DEP_1)
	v_cndmask_b32_e32 v3, v9, v10, vcc_lo
	v_and_or_b32 v2, 0x80000000, v2, v3
	s_delay_alu instid0(VALU_DEP_1) | instskip(NEXT) | instid1(VALU_DEP_1)
	v_trunc_f32_e32 v2, v2
	v_mul_f32_e64 v3, 0x2f800000, |v2|
	s_delay_alu instid0(VALU_DEP_1) | instskip(NEXT) | instid1(VALU_DEP_1)
	v_floor_f32_e32 v3, v3
	v_fma_f32 v3, 0xcf800000, v3, |v2|
	v_ashrrev_i32_e32 v2, 31, v2
	s_delay_alu instid0(VALU_DEP_2) | instskip(NEXT) | instid1(VALU_DEP_1)
	v_cvt_u32_f32_e32 v3, v3
	v_xor_b32_e32 v3, v3, v2
	s_delay_alu instid0(VALU_DEP_1)
	v_sub_nc_u32_e32 v2, v3, v2
.LBB352_1383:
	s_mov_b32 s10, 0
	s_mov_b32 s13, -1
.LBB352_1384:
	s_and_not1_b32 vcc_lo, exec_lo, s10
	s_mov_b32 s10, 0
	s_cbranch_vccnz .LBB352_1395
; %bb.1385:
	v_cmp_lt_i16_e32 vcc_lo, 14, v8
	s_cbranch_vccz .LBB352_1388
; %bb.1386:
	v_cmp_eq_u16_e32 vcc_lo, 15, v8
	s_cbranch_vccz .LBB352_1391
; %bb.1387:
	global_load_u16 v2, v[4:5], off
	s_mov_b32 s0, 0
	s_mov_b32 s13, -1
	s_waitcnt vmcnt(0)
	v_lshlrev_b32_e32 v2, 16, v2
	s_delay_alu instid0(VALU_DEP_1) | instskip(NEXT) | instid1(VALU_DEP_1)
	v_trunc_f32_e32 v2, v2
	v_mul_f32_e64 v3, 0x2f800000, |v2|
	s_delay_alu instid0(VALU_DEP_1) | instskip(NEXT) | instid1(VALU_DEP_1)
	v_floor_f32_e32 v3, v3
	v_fma_f32 v3, 0xcf800000, v3, |v2|
	v_ashrrev_i32_e32 v2, 31, v2
	s_delay_alu instid0(VALU_DEP_2) | instskip(NEXT) | instid1(VALU_DEP_1)
	v_cvt_u32_f32_e32 v3, v3
	v_xor_b32_e32 v3, v3, v2
	s_delay_alu instid0(VALU_DEP_1)
	v_sub_nc_u32_e32 v2, v3, v2
	s_branch .LBB352_1393
.LBB352_1388:
	s_mov_b32 s10, -1
	s_branch .LBB352_1392
.LBB352_1389:
	s_or_saveexec_b32 s10, s10
	v_mov_b32_e32 v2, s14
	s_xor_b32 exec_lo, exec_lo, s10
	s_cbranch_execz .LBB352_1370
.LBB352_1390:
	v_cmp_ne_u16_e32 vcc_lo, 0, v3
	v_mov_b32_e32 v2, 0
	s_and_not1_b32 s13, s13, exec_lo
	s_and_b32 s14, vcc_lo, exec_lo
	s_delay_alu instid0(SALU_CYCLE_1)
	s_or_b32 s13, s13, s14
	s_or_b32 exec_lo, exec_lo, s10
	s_and_saveexec_b32 s10, s13
	s_cbranch_execnz .LBB352_1371
	s_branch .LBB352_1372
.LBB352_1391:
	s_mov_b32 s0, -1
.LBB352_1392:
                                        ; implicit-def: $vgpr2
.LBB352_1393:
	s_and_b32 vcc_lo, exec_lo, s10
	s_mov_b32 s10, 0
	s_cbranch_vccz .LBB352_1395
; %bb.1394:
	v_cmp_ne_u16_e64 s0, 11, v8
	s_mov_b32 s10, -1
                                        ; implicit-def: $vgpr2
.LBB352_1395:
	s_delay_alu instid0(VALU_DEP_1)
	s_and_b32 vcc_lo, exec_lo, s0
	s_cbranch_vccnz .LBB352_1411
; %bb.1396:
	s_and_not1_b32 vcc_lo, exec_lo, s10
	s_cbranch_vccnz .LBB352_1398
.LBB352_1397:
	global_load_u8 v2, v[4:5], off
	s_mov_b32 s13, -1
	s_waitcnt vmcnt(0)
	v_cmp_ne_u16_e32 vcc_lo, 0, v2
	v_cndmask_b32_e64 v2, 0, 1, vcc_lo
.LBB352_1398:
.LBB352_1399:
	s_and_not1_b32 vcc_lo, exec_lo, s13
	s_cbranch_vccnz .LBB352_1963
.LBB352_1400:
	s_waitcnt vmcnt(0)
	v_add_nc_u32_e32 v3, s3, v6
	v_cmp_gt_i16_e32 vcc_lo, 11, v8
	s_delay_alu instid0(VALU_DEP_2) | instskip(SKIP_1) | instid1(VALU_DEP_1)
	v_ashrrev_i32_e32 v4, 31, v3
	v_add_co_u32 v5, s0, s6, v3
	v_add_co_ci_u32_e64 v6, s0, s7, v4, s0
	s_cbranch_vccnz .LBB352_1407
; %bb.1401:
	v_cmp_lt_i16_e32 vcc_lo, 25, v8
	s_mov_b32 s3, 0
	s_cbranch_vccz .LBB352_1408
; %bb.1402:
	v_cmp_lt_i16_e32 vcc_lo, 28, v8
	s_cbranch_vccz .LBB352_1409
; %bb.1403:
	v_cmp_lt_i16_e32 vcc_lo, 43, v8
	;; [unrolled: 3-line block ×3, first 2 shown]
	s_cbranch_vccz .LBB352_1413
; %bb.1405:
	v_cmp_eq_u16_e32 vcc_lo, 46, v8
	s_mov_b32 s7, 0
	s_cbranch_vccz .LBB352_1416
; %bb.1406:
	global_load_b32 v3, v[5:6], off
	s_mov_b32 s0, 0
	s_mov_b32 s6, -1
	s_waitcnt vmcnt(0)
	v_lshlrev_b32_e32 v3, 16, v3
	s_delay_alu instid0(VALU_DEP_1) | instskip(NEXT) | instid1(VALU_DEP_1)
	v_trunc_f32_e32 v3, v3
	v_mul_f32_e64 v4, 0x2f800000, |v3|
	s_delay_alu instid0(VALU_DEP_1) | instskip(NEXT) | instid1(VALU_DEP_1)
	v_floor_f32_e32 v4, v4
	v_fma_f32 v4, 0xcf800000, v4, |v3|
	v_ashrrev_i32_e32 v3, 31, v3
	s_delay_alu instid0(VALU_DEP_2) | instskip(NEXT) | instid1(VALU_DEP_1)
	v_cvt_u32_f32_e32 v4, v4
	v_xor_b32_e32 v4, v4, v3
	s_delay_alu instid0(VALU_DEP_1)
	v_sub_nc_u32_e32 v3, v4, v3
	s_branch .LBB352_1418
.LBB352_1407:
	s_mov_b32 s0, -1
	s_mov_b32 s6, 0
                                        ; implicit-def: $vgpr3
	s_branch .LBB352_1480
.LBB352_1408:
	s_mov_b32 s7, -1
	s_mov_b32 s6, 0
	s_mov_b32 s0, 0
                                        ; implicit-def: $vgpr3
	s_branch .LBB352_1445
.LBB352_1409:
	s_mov_b32 s7, -1
	s_mov_b32 s6, 0
	s_mov_b32 s0, 0
                                        ; implicit-def: $vgpr3
	s_branch .LBB352_1428
.LBB352_1410:
	s_mov_b32 s7, -1
	s_mov_b32 s6, 0
	s_mov_b32 s0, 0
                                        ; implicit-def: $vgpr3
	s_branch .LBB352_1423
.LBB352_1411:
	s_cbranch_execnz .LBB352_1414
; %bb.1412:
	s_or_b32 s9, s9, exec_lo
                                        ; implicit-def: $vgpr2
	s_cbranch_execz .LBB352_1397
	s_branch .LBB352_1398
.LBB352_1413:
	s_mov_b32 s7, -1
	s_mov_b32 s6, 0
	s_mov_b32 s0, 0
	s_branch .LBB352_1417
.LBB352_1414:
	s_trap 2
	s_sendmsg_rtn_b32 s0, sendmsg(MSG_RTN_GET_DOORBELL)
	s_mov_b32 ttmp2, m0
	s_waitcnt lgkmcnt(0)
	s_and_b32 s0, s0, 0x3ff
	s_delay_alu instid0(SALU_CYCLE_1) | instskip(NEXT) | instid1(SALU_CYCLE_1)
	s_bitset1_b32 s0, 10
	s_mov_b32 m0, s0
	s_sendmsg sendmsg(MSG_INTERRUPT)
	s_mov_b32 m0, ttmp2
.LBB352_1415:                           ; =>This Inner Loop Header: Depth=1
	s_sethalt 5
	s_branch .LBB352_1415
.LBB352_1416:
	s_mov_b32 s0, -1
	s_mov_b32 s6, 0
.LBB352_1417:
                                        ; implicit-def: $vgpr3
.LBB352_1418:
	s_and_b32 vcc_lo, exec_lo, s7
	s_cbranch_vccz .LBB352_1422
; %bb.1419:
	v_cmp_eq_u16_e32 vcc_lo, 44, v8
	s_cbranch_vccz .LBB352_1421
; %bb.1420:
	global_load_u8 v3, v[5:6], off
	s_mov_b32 s0, 0
	s_mov_b32 s6, -1
	s_waitcnt vmcnt(0)
	v_lshlrev_b32_e32 v4, 23, v3
	v_cmp_ne_u32_e32 vcc_lo, 0, v3
	s_delay_alu instid0(VALU_DEP_2) | instskip(NEXT) | instid1(VALU_DEP_1)
	v_trunc_f32_e32 v4, v4
	v_mul_f32_e64 v9, 0x2f800000, |v4|
	s_delay_alu instid0(VALU_DEP_1) | instskip(NEXT) | instid1(VALU_DEP_1)
	v_floor_f32_e32 v9, v9
	v_fma_f32 v9, 0xcf800000, v9, |v4|
	v_ashrrev_i32_e32 v4, 31, v4
	s_delay_alu instid0(VALU_DEP_2) | instskip(NEXT) | instid1(VALU_DEP_1)
	v_cvt_u32_f32_e32 v9, v9
	v_xor_b32_e32 v9, v9, v4
	s_delay_alu instid0(VALU_DEP_1) | instskip(NEXT) | instid1(VALU_DEP_1)
	v_sub_nc_u32_e32 v4, v9, v4
	v_cndmask_b32_e32 v3, 0, v4, vcc_lo
	s_branch .LBB352_1422
.LBB352_1421:
	s_mov_b32 s0, -1
                                        ; implicit-def: $vgpr3
.LBB352_1422:
	s_mov_b32 s7, 0
.LBB352_1423:
	s_delay_alu instid0(SALU_CYCLE_1)
	s_and_b32 vcc_lo, exec_lo, s7
	s_cbranch_vccz .LBB352_1427
; %bb.1424:
	v_cmp_eq_u16_e32 vcc_lo, 29, v8
	s_cbranch_vccz .LBB352_1426
; %bb.1425:
	global_load_b64 v[3:4], v[5:6], off
	s_mov_b32 s0, 0
	s_mov_b32 s6, -1
	s_branch .LBB352_1427
.LBB352_1426:
	s_mov_b32 s0, -1
                                        ; implicit-def: $vgpr3
.LBB352_1427:
	s_mov_b32 s7, 0
.LBB352_1428:
	s_delay_alu instid0(SALU_CYCLE_1)
	s_and_b32 vcc_lo, exec_lo, s7
	s_cbranch_vccz .LBB352_1444
; %bb.1429:
	v_cmp_gt_i16_e32 vcc_lo, 27, v8
	s_cbranch_vccnz .LBB352_1432
; %bb.1430:
	v_cmp_lt_i16_e32 vcc_lo, 27, v8
	s_cbranch_vccz .LBB352_1433
; %bb.1431:
	global_load_b32 v3, v[5:6], off
	s_mov_b32 s6, 0
	s_branch .LBB352_1434
.LBB352_1432:
	s_mov_b32 s6, -1
                                        ; implicit-def: $vgpr3
	s_branch .LBB352_1437
.LBB352_1433:
	s_mov_b32 s6, -1
                                        ; implicit-def: $vgpr3
.LBB352_1434:
	s_delay_alu instid0(SALU_CYCLE_1)
	s_and_not1_b32 vcc_lo, exec_lo, s6
	s_cbranch_vccnz .LBB352_1436
; %bb.1435:
	global_load_u16 v3, v[5:6], off
.LBB352_1436:
	s_mov_b32 s6, 0
.LBB352_1437:
	s_delay_alu instid0(SALU_CYCLE_1)
	s_and_not1_b32 vcc_lo, exec_lo, s6
	s_cbranch_vccnz .LBB352_1443
; %bb.1438:
	global_load_u8 v4, v[5:6], off
	s_mov_b32 s7, 0
	s_mov_b32 s6, exec_lo
                                        ; implicit-def: $sgpr10
	s_waitcnt vmcnt(0)
	v_cmpx_lt_i16_e32 0x7f, v4
	s_xor_b32 s6, exec_lo, s6
	s_cbranch_execz .LBB352_1455
; %bb.1439:
	v_cmp_ne_u16_e32 vcc_lo, 0x80, v4
	s_mov_b32 s10, 0
	s_and_b32 s7, vcc_lo, exec_lo
	s_or_saveexec_b32 s6, s6
	v_mov_b32_e32 v3, s10
	s_xor_b32 exec_lo, exec_lo, s6
	s_cbranch_execnz .LBB352_1456
.LBB352_1440:
	s_or_b32 exec_lo, exec_lo, s6
	s_and_saveexec_b32 s6, s7
	s_cbranch_execz .LBB352_1442
.LBB352_1441:
	v_and_b32_e32 v3, 0xffff, v4
	s_delay_alu instid0(VALU_DEP_1) | instskip(NEXT) | instid1(VALU_DEP_1)
	v_and_b32_e32 v9, 7, v3
	v_clz_i32_u32_e32 v10, v9
	s_delay_alu instid0(VALU_DEP_1) | instskip(NEXT) | instid1(VALU_DEP_1)
	v_min_u32_e32 v10, 32, v10
	v_subrev_nc_u32_e32 v11, 28, v10
	v_sub_nc_u32_e32 v10, 29, v10
	s_delay_alu instid0(VALU_DEP_2) | instskip(SKIP_1) | instid1(VALU_DEP_2)
	v_lshlrev_b32_e32 v11, v11, v3
	v_bfe_u32 v3, v3, 3, 4
	v_and_b32_e32 v11, 7, v11
	s_delay_alu instid0(VALU_DEP_2) | instskip(SKIP_1) | instid1(VALU_DEP_1)
	v_cmp_eq_u32_e32 vcc_lo, 0, v3
	v_dual_cndmask_b32 v3, v3, v10 :: v_dual_lshlrev_b32 v4, 24, v4
	v_dual_cndmask_b32 v9, v9, v11 :: v_dual_and_b32 v4, 0x80000000, v4
	s_delay_alu instid0(VALU_DEP_2) | instskip(NEXT) | instid1(VALU_DEP_2)
	v_lshl_add_u32 v3, v3, 23, 0x3b800000
	v_lshlrev_b32_e32 v9, 20, v9
	s_delay_alu instid0(VALU_DEP_1) | instskip(NEXT) | instid1(VALU_DEP_1)
	v_or3_b32 v3, v4, v3, v9
	v_trunc_f32_e32 v3, v3
	s_delay_alu instid0(VALU_DEP_1) | instskip(NEXT) | instid1(VALU_DEP_1)
	v_mul_f32_e64 v4, 0x2f800000, |v3|
	v_floor_f32_e32 v4, v4
	s_delay_alu instid0(VALU_DEP_1) | instskip(SKIP_1) | instid1(VALU_DEP_2)
	v_fma_f32 v4, 0xcf800000, v4, |v3|
	v_ashrrev_i32_e32 v3, 31, v3
	v_cvt_u32_f32_e32 v4, v4
	s_delay_alu instid0(VALU_DEP_1) | instskip(NEXT) | instid1(VALU_DEP_1)
	v_xor_b32_e32 v4, v4, v3
	v_sub_nc_u32_e32 v3, v4, v3
.LBB352_1442:
	s_or_b32 exec_lo, exec_lo, s6
.LBB352_1443:
	s_mov_b32 s6, -1
.LBB352_1444:
	s_mov_b32 s7, 0
.LBB352_1445:
	s_delay_alu instid0(SALU_CYCLE_1)
	s_and_b32 vcc_lo, exec_lo, s7
	s_cbranch_vccz .LBB352_1476
; %bb.1446:
	v_cmp_lt_i16_e32 vcc_lo, 22, v8
	s_cbranch_vccz .LBB352_1454
; %bb.1447:
	v_cmp_gt_i16_e32 vcc_lo, 24, v8
	s_cbranch_vccnz .LBB352_1457
; %bb.1448:
	v_cmp_lt_i16_e32 vcc_lo, 24, v8
	s_cbranch_vccz .LBB352_1458
; %bb.1449:
	global_load_u8 v4, v[5:6], off
	s_mov_b32 s6, 0
	s_mov_b32 s3, exec_lo
                                        ; implicit-def: $sgpr7
	s_waitcnt vmcnt(0)
	v_cmpx_lt_i16_e32 0x7f, v4
	s_xor_b32 s3, exec_lo, s3
	s_cbranch_execz .LBB352_1470
; %bb.1450:
	v_cmp_ne_u16_e32 vcc_lo, 0x80, v4
	s_mov_b32 s7, 0
	s_and_b32 s6, vcc_lo, exec_lo
	s_or_saveexec_b32 s3, s3
	v_mov_b32_e32 v3, s7
	s_xor_b32 exec_lo, exec_lo, s3
	s_cbranch_execnz .LBB352_1471
.LBB352_1451:
	s_or_b32 exec_lo, exec_lo, s3
	s_and_saveexec_b32 s3, s6
	s_cbranch_execz .LBB352_1453
.LBB352_1452:
	v_and_b32_e32 v3, 0xffff, v4
	s_delay_alu instid0(VALU_DEP_1) | instskip(NEXT) | instid1(VALU_DEP_1)
	v_and_b32_e32 v9, 3, v3
	v_clz_i32_u32_e32 v10, v9
	s_delay_alu instid0(VALU_DEP_1) | instskip(NEXT) | instid1(VALU_DEP_1)
	v_min_u32_e32 v10, 32, v10
	v_subrev_nc_u32_e32 v11, 29, v10
	v_sub_nc_u32_e32 v10, 30, v10
	s_delay_alu instid0(VALU_DEP_2) | instskip(SKIP_1) | instid1(VALU_DEP_2)
	v_lshlrev_b32_e32 v11, v11, v3
	v_bfe_u32 v3, v3, 2, 5
	v_and_b32_e32 v11, 3, v11
	s_delay_alu instid0(VALU_DEP_2) | instskip(SKIP_1) | instid1(VALU_DEP_1)
	v_cmp_eq_u32_e32 vcc_lo, 0, v3
	v_dual_cndmask_b32 v3, v3, v10 :: v_dual_lshlrev_b32 v4, 24, v4
	v_dual_cndmask_b32 v9, v9, v11 :: v_dual_and_b32 v4, 0x80000000, v4
	s_delay_alu instid0(VALU_DEP_2) | instskip(NEXT) | instid1(VALU_DEP_2)
	v_lshl_add_u32 v3, v3, 23, 0x37800000
	v_lshlrev_b32_e32 v9, 21, v9
	s_delay_alu instid0(VALU_DEP_1) | instskip(NEXT) | instid1(VALU_DEP_1)
	v_or3_b32 v3, v4, v3, v9
	v_trunc_f32_e32 v3, v3
	s_delay_alu instid0(VALU_DEP_1) | instskip(NEXT) | instid1(VALU_DEP_1)
	v_mul_f32_e64 v4, 0x2f800000, |v3|
	v_floor_f32_e32 v4, v4
	s_delay_alu instid0(VALU_DEP_1) | instskip(SKIP_1) | instid1(VALU_DEP_2)
	v_fma_f32 v4, 0xcf800000, v4, |v3|
	v_ashrrev_i32_e32 v3, 31, v3
	v_cvt_u32_f32_e32 v4, v4
	s_delay_alu instid0(VALU_DEP_1) | instskip(NEXT) | instid1(VALU_DEP_1)
	v_xor_b32_e32 v4, v4, v3
	v_sub_nc_u32_e32 v3, v4, v3
.LBB352_1453:
	s_or_b32 exec_lo, exec_lo, s3
	s_mov_b32 s3, 0
	s_branch .LBB352_1459
.LBB352_1454:
	s_mov_b32 s3, -1
                                        ; implicit-def: $vgpr3
	s_branch .LBB352_1465
.LBB352_1455:
	s_or_saveexec_b32 s6, s6
	v_mov_b32_e32 v3, s10
	s_xor_b32 exec_lo, exec_lo, s6
	s_cbranch_execz .LBB352_1440
.LBB352_1456:
	v_cmp_ne_u16_e32 vcc_lo, 0, v4
	v_mov_b32_e32 v3, 0
	s_and_not1_b32 s7, s7, exec_lo
	s_and_b32 s10, vcc_lo, exec_lo
	s_delay_alu instid0(SALU_CYCLE_1)
	s_or_b32 s7, s7, s10
	s_or_b32 exec_lo, exec_lo, s6
	s_and_saveexec_b32 s6, s7
	s_cbranch_execnz .LBB352_1441
	s_branch .LBB352_1442
.LBB352_1457:
	s_mov_b32 s3, -1
                                        ; implicit-def: $vgpr3
	s_branch .LBB352_1462
.LBB352_1458:
	s_mov_b32 s3, -1
                                        ; implicit-def: $vgpr3
.LBB352_1459:
	s_delay_alu instid0(SALU_CYCLE_1)
	s_and_b32 vcc_lo, exec_lo, s3
	s_cbranch_vccz .LBB352_1461
; %bb.1460:
	global_load_u8 v3, v[5:6], off
	s_waitcnt vmcnt(0)
	v_lshlrev_b32_e32 v3, 24, v3
	s_delay_alu instid0(VALU_DEP_1) | instskip(NEXT) | instid1(VALU_DEP_1)
	v_and_b32_e32 v4, 0x7f000000, v3
	v_clz_i32_u32_e32 v9, v4
	v_add_nc_u32_e32 v11, 0x1000000, v4
	v_cmp_ne_u32_e32 vcc_lo, 0, v4
	s_delay_alu instid0(VALU_DEP_3) | instskip(NEXT) | instid1(VALU_DEP_1)
	v_min_u32_e32 v9, 32, v9
	v_sub_nc_u32_e64 v9, v9, 4 clamp
	s_delay_alu instid0(VALU_DEP_1) | instskip(SKIP_1) | instid1(VALU_DEP_2)
	v_lshlrev_b32_e32 v10, v9, v4
	v_lshlrev_b32_e32 v9, 23, v9
	v_lshrrev_b32_e32 v10, 4, v10
	s_delay_alu instid0(VALU_DEP_1) | instskip(SKIP_1) | instid1(VALU_DEP_2)
	v_sub_nc_u32_e32 v9, v10, v9
	v_ashrrev_i32_e32 v10, 8, v11
	v_add_nc_u32_e32 v9, 0x3c000000, v9
	s_delay_alu instid0(VALU_DEP_1) | instskip(NEXT) | instid1(VALU_DEP_1)
	v_and_or_b32 v9, 0x7f800000, v10, v9
	v_cndmask_b32_e32 v4, 0, v9, vcc_lo
	s_delay_alu instid0(VALU_DEP_1) | instskip(NEXT) | instid1(VALU_DEP_1)
	v_and_or_b32 v3, 0x80000000, v3, v4
	v_trunc_f32_e32 v3, v3
	s_delay_alu instid0(VALU_DEP_1) | instskip(NEXT) | instid1(VALU_DEP_1)
	v_mul_f32_e64 v4, 0x2f800000, |v3|
	v_floor_f32_e32 v4, v4
	s_delay_alu instid0(VALU_DEP_1) | instskip(SKIP_1) | instid1(VALU_DEP_2)
	v_fma_f32 v4, 0xcf800000, v4, |v3|
	v_ashrrev_i32_e32 v3, 31, v3
	v_cvt_u32_f32_e32 v4, v4
	s_delay_alu instid0(VALU_DEP_1) | instskip(NEXT) | instid1(VALU_DEP_1)
	v_xor_b32_e32 v4, v4, v3
	v_sub_nc_u32_e32 v3, v4, v3
.LBB352_1461:
	s_mov_b32 s3, 0
.LBB352_1462:
	s_delay_alu instid0(SALU_CYCLE_1)
	s_and_not1_b32 vcc_lo, exec_lo, s3
	s_cbranch_vccnz .LBB352_1464
; %bb.1463:
	global_load_u8 v3, v[5:6], off
	s_waitcnt vmcnt(0)
	v_lshlrev_b32_e32 v4, 25, v3
	v_lshlrev_b16 v3, 8, v3
	s_delay_alu instid0(VALU_DEP_2) | instskip(NEXT) | instid1(VALU_DEP_2)
	v_lshrrev_b32_e32 v9, 4, v4
	v_and_or_b32 v10, 0x7f00, v3, 0.5
	v_bfe_i32 v3, v3, 0, 16
	s_delay_alu instid0(VALU_DEP_3) | instskip(NEXT) | instid1(VALU_DEP_1)
	v_or_b32_e32 v9, 0x70000000, v9
	v_dual_add_f32 v10, -0.5, v10 :: v_dual_mul_f32 v9, 0x7800000, v9
	v_cmp_gt_u32_e32 vcc_lo, 0x8000000, v4
	s_delay_alu instid0(VALU_DEP_2) | instskip(NEXT) | instid1(VALU_DEP_1)
	v_cndmask_b32_e32 v4, v9, v10, vcc_lo
	v_and_or_b32 v3, 0x80000000, v3, v4
	s_delay_alu instid0(VALU_DEP_1) | instskip(NEXT) | instid1(VALU_DEP_1)
	v_trunc_f32_e32 v3, v3
	v_mul_f32_e64 v4, 0x2f800000, |v3|
	s_delay_alu instid0(VALU_DEP_1) | instskip(NEXT) | instid1(VALU_DEP_1)
	v_floor_f32_e32 v4, v4
	v_fma_f32 v4, 0xcf800000, v4, |v3|
	v_ashrrev_i32_e32 v3, 31, v3
	s_delay_alu instid0(VALU_DEP_2) | instskip(NEXT) | instid1(VALU_DEP_1)
	v_cvt_u32_f32_e32 v4, v4
	v_xor_b32_e32 v4, v4, v3
	s_delay_alu instid0(VALU_DEP_1)
	v_sub_nc_u32_e32 v3, v4, v3
.LBB352_1464:
	s_mov_b32 s3, 0
	s_mov_b32 s6, -1
.LBB352_1465:
	s_and_not1_b32 vcc_lo, exec_lo, s3
	s_mov_b32 s3, 0
	s_cbranch_vccnz .LBB352_1476
; %bb.1466:
	v_cmp_lt_i16_e32 vcc_lo, 14, v8
	s_cbranch_vccz .LBB352_1469
; %bb.1467:
	v_cmp_eq_u16_e32 vcc_lo, 15, v8
	s_cbranch_vccz .LBB352_1472
; %bb.1468:
	global_load_u16 v3, v[5:6], off
	s_mov_b32 s0, 0
	s_mov_b32 s6, -1
	s_waitcnt vmcnt(0)
	v_lshlrev_b32_e32 v3, 16, v3
	s_delay_alu instid0(VALU_DEP_1) | instskip(NEXT) | instid1(VALU_DEP_1)
	v_trunc_f32_e32 v3, v3
	v_mul_f32_e64 v4, 0x2f800000, |v3|
	s_delay_alu instid0(VALU_DEP_1) | instskip(NEXT) | instid1(VALU_DEP_1)
	v_floor_f32_e32 v4, v4
	v_fma_f32 v4, 0xcf800000, v4, |v3|
	v_ashrrev_i32_e32 v3, 31, v3
	s_delay_alu instid0(VALU_DEP_2) | instskip(NEXT) | instid1(VALU_DEP_1)
	v_cvt_u32_f32_e32 v4, v4
	v_xor_b32_e32 v4, v4, v3
	s_delay_alu instid0(VALU_DEP_1)
	v_sub_nc_u32_e32 v3, v4, v3
	s_branch .LBB352_1474
.LBB352_1469:
	s_mov_b32 s3, -1
	s_branch .LBB352_1473
.LBB352_1470:
	s_or_saveexec_b32 s3, s3
	v_mov_b32_e32 v3, s7
	s_xor_b32 exec_lo, exec_lo, s3
	s_cbranch_execz .LBB352_1451
.LBB352_1471:
	v_cmp_ne_u16_e32 vcc_lo, 0, v4
	v_mov_b32_e32 v3, 0
	s_and_not1_b32 s6, s6, exec_lo
	s_and_b32 s7, vcc_lo, exec_lo
	s_delay_alu instid0(SALU_CYCLE_1)
	s_or_b32 s6, s6, s7
	s_or_b32 exec_lo, exec_lo, s3
	s_and_saveexec_b32 s3, s6
	s_cbranch_execnz .LBB352_1452
	s_branch .LBB352_1453
.LBB352_1472:
	s_mov_b32 s0, -1
.LBB352_1473:
                                        ; implicit-def: $vgpr3
.LBB352_1474:
	s_and_b32 vcc_lo, exec_lo, s3
	s_mov_b32 s3, 0
	s_cbranch_vccz .LBB352_1476
; %bb.1475:
	v_cmp_ne_u16_e64 s0, 11, v8
	s_mov_b32 s3, -1
                                        ; implicit-def: $vgpr3
.LBB352_1476:
	s_delay_alu instid0(VALU_DEP_1)
	s_and_b32 vcc_lo, exec_lo, s0
	s_cbranch_vccnz .LBB352_2009
; %bb.1477:
	s_and_not1_b32 vcc_lo, exec_lo, s3
	s_cbranch_vccnz .LBB352_1479
.LBB352_1478:
	global_load_u8 v3, v[5:6], off
	s_mov_b32 s6, -1
	s_waitcnt vmcnt(0)
	v_cmp_ne_u16_e32 vcc_lo, 0, v3
	v_cndmask_b32_e64 v3, 0, 1, vcc_lo
.LBB352_1479:
	s_mov_b32 s0, 0
.LBB352_1480:
	s_delay_alu instid0(SALU_CYCLE_1)
	s_and_b32 vcc_lo, exec_lo, s0
	s_cbranch_vccz .LBB352_1529
; %bb.1481:
	v_cmp_gt_i16_e32 vcc_lo, 5, v8
	s_cbranch_vccnz .LBB352_1486
; %bb.1482:
	v_cmp_gt_i16_e32 vcc_lo, 8, v8
	s_cbranch_vccnz .LBB352_1487
	;; [unrolled: 3-line block ×3, first 2 shown]
; %bb.1484:
	v_cmp_lt_i16_e32 vcc_lo, 9, v8
	s_cbranch_vccz .LBB352_1489
; %bb.1485:
	global_load_b64 v[3:4], v[5:6], off
	s_mov_b32 s0, 0
	s_waitcnt vmcnt(0)
	v_trunc_f64_e32 v[3:4], v[3:4]
	s_delay_alu instid0(VALU_DEP_1) | instskip(NEXT) | instid1(VALU_DEP_1)
	v_ldexp_f64 v[9:10], v[3:4], 0xffffffe0
	v_floor_f64_e32 v[9:10], v[9:10]
	s_delay_alu instid0(VALU_DEP_1) | instskip(NEXT) | instid1(VALU_DEP_1)
	v_fma_f64 v[3:4], 0xc1f00000, v[9:10], v[3:4]
	v_cvt_u32_f64_e32 v3, v[3:4]
	s_branch .LBB352_1490
.LBB352_1486:
	s_mov_b32 s0, -1
                                        ; implicit-def: $vgpr3
	s_branch .LBB352_1508
.LBB352_1487:
	s_mov_b32 s0, -1
                                        ; implicit-def: $vgpr3
	s_branch .LBB352_1496
.LBB352_1488:
	s_mov_b32 s0, -1
                                        ; implicit-def: $vgpr3
	s_branch .LBB352_1493
.LBB352_1489:
	s_mov_b32 s0, -1
                                        ; implicit-def: $vgpr3
.LBB352_1490:
	s_delay_alu instid0(SALU_CYCLE_1)
	s_and_not1_b32 vcc_lo, exec_lo, s0
	s_cbranch_vccnz .LBB352_1492
; %bb.1491:
	global_load_b32 v3, v[5:6], off
	s_waitcnt vmcnt(0)
	v_trunc_f32_e32 v3, v3
	s_delay_alu instid0(VALU_DEP_1) | instskip(NEXT) | instid1(VALU_DEP_1)
	v_mul_f32_e64 v4, 0x2f800000, |v3|
	v_floor_f32_e32 v4, v4
	s_delay_alu instid0(VALU_DEP_1) | instskip(SKIP_1) | instid1(VALU_DEP_2)
	v_fma_f32 v4, 0xcf800000, v4, |v3|
	v_ashrrev_i32_e32 v3, 31, v3
	v_cvt_u32_f32_e32 v4, v4
	s_delay_alu instid0(VALU_DEP_1) | instskip(NEXT) | instid1(VALU_DEP_1)
	v_xor_b32_e32 v4, v4, v3
	v_sub_nc_u32_e32 v3, v4, v3
.LBB352_1492:
	s_mov_b32 s0, 0
.LBB352_1493:
	s_delay_alu instid0(SALU_CYCLE_1)
	s_and_not1_b32 vcc_lo, exec_lo, s0
	s_cbranch_vccnz .LBB352_1495
; %bb.1494:
	global_load_b32 v3, v[5:6], off
	s_waitcnt vmcnt(0)
	v_cvt_f32_f16_e32 v3, v3
	s_delay_alu instid0(VALU_DEP_1)
	v_cvt_i32_f32_e32 v3, v3
.LBB352_1495:
	s_mov_b32 s0, 0
.LBB352_1496:
	s_delay_alu instid0(SALU_CYCLE_1)
	s_and_not1_b32 vcc_lo, exec_lo, s0
	s_cbranch_vccnz .LBB352_1507
; %bb.1497:
	v_cmp_gt_i16_e32 vcc_lo, 6, v8
	s_cbranch_vccnz .LBB352_1500
; %bb.1498:
	v_cmp_lt_i16_e32 vcc_lo, 6, v8
	s_cbranch_vccz .LBB352_1501
; %bb.1499:
	global_load_b64 v[3:4], v[5:6], off
	s_mov_b32 s0, 0
	s_waitcnt vmcnt(0)
	v_trunc_f64_e32 v[3:4], v[3:4]
	s_delay_alu instid0(VALU_DEP_1) | instskip(NEXT) | instid1(VALU_DEP_1)
	v_ldexp_f64 v[9:10], v[3:4], 0xffffffe0
	v_floor_f64_e32 v[9:10], v[9:10]
	s_delay_alu instid0(VALU_DEP_1) | instskip(NEXT) | instid1(VALU_DEP_1)
	v_fma_f64 v[3:4], 0xc1f00000, v[9:10], v[3:4]
	v_cvt_u32_f64_e32 v3, v[3:4]
	s_branch .LBB352_1502
.LBB352_1500:
	s_mov_b32 s0, -1
                                        ; implicit-def: $vgpr3
	s_branch .LBB352_1505
.LBB352_1501:
	s_mov_b32 s0, -1
                                        ; implicit-def: $vgpr3
.LBB352_1502:
	s_delay_alu instid0(SALU_CYCLE_1)
	s_and_not1_b32 vcc_lo, exec_lo, s0
	s_cbranch_vccnz .LBB352_1504
; %bb.1503:
	global_load_b32 v3, v[5:6], off
	s_waitcnt vmcnt(0)
	v_trunc_f32_e32 v3, v3
	s_delay_alu instid0(VALU_DEP_1) | instskip(NEXT) | instid1(VALU_DEP_1)
	v_mul_f32_e64 v4, 0x2f800000, |v3|
	v_floor_f32_e32 v4, v4
	s_delay_alu instid0(VALU_DEP_1) | instskip(SKIP_1) | instid1(VALU_DEP_2)
	v_fma_f32 v4, 0xcf800000, v4, |v3|
	v_ashrrev_i32_e32 v3, 31, v3
	v_cvt_u32_f32_e32 v4, v4
	s_delay_alu instid0(VALU_DEP_1) | instskip(NEXT) | instid1(VALU_DEP_1)
	v_xor_b32_e32 v4, v4, v3
	v_sub_nc_u32_e32 v3, v4, v3
.LBB352_1504:
	s_mov_b32 s0, 0
.LBB352_1505:
	s_delay_alu instid0(SALU_CYCLE_1)
	s_and_not1_b32 vcc_lo, exec_lo, s0
	s_cbranch_vccnz .LBB352_1507
; %bb.1506:
	global_load_u16 v3, v[5:6], off
	s_waitcnt vmcnt(0)
	v_cvt_f32_f16_e32 v3, v3
	s_delay_alu instid0(VALU_DEP_1)
	v_cvt_i32_f32_e32 v3, v3
.LBB352_1507:
	s_mov_b32 s0, 0
.LBB352_1508:
	s_delay_alu instid0(SALU_CYCLE_1)
	s_and_not1_b32 vcc_lo, exec_lo, s0
	s_cbranch_vccnz .LBB352_1528
; %bb.1509:
	v_cmp_gt_i16_e32 vcc_lo, 2, v8
	s_cbranch_vccnz .LBB352_1513
; %bb.1510:
	v_cmp_gt_i16_e32 vcc_lo, 3, v8
	s_cbranch_vccnz .LBB352_1514
; %bb.1511:
	v_cmp_lt_i16_e32 vcc_lo, 3, v8
	s_cbranch_vccz .LBB352_1515
; %bb.1512:
	global_load_b64 v[3:4], v[5:6], off
	s_mov_b32 s0, 0
	s_branch .LBB352_1516
.LBB352_1513:
	s_mov_b32 s0, -1
                                        ; implicit-def: $vgpr3
	s_branch .LBB352_1522
.LBB352_1514:
	s_mov_b32 s0, -1
                                        ; implicit-def: $vgpr3
	s_branch .LBB352_1519
.LBB352_1515:
	s_mov_b32 s0, -1
                                        ; implicit-def: $vgpr3
.LBB352_1516:
	s_delay_alu instid0(SALU_CYCLE_1)
	s_and_not1_b32 vcc_lo, exec_lo, s0
	s_cbranch_vccnz .LBB352_1518
; %bb.1517:
	global_load_b32 v3, v[5:6], off
.LBB352_1518:
	s_mov_b32 s0, 0
.LBB352_1519:
	s_delay_alu instid0(SALU_CYCLE_1)
	s_and_not1_b32 vcc_lo, exec_lo, s0
	s_cbranch_vccnz .LBB352_1521
; %bb.1520:
	global_load_u16 v3, v[5:6], off
.LBB352_1521:
	s_mov_b32 s0, 0
.LBB352_1522:
	s_delay_alu instid0(SALU_CYCLE_1)
	s_and_not1_b32 vcc_lo, exec_lo, s0
	s_cbranch_vccnz .LBB352_1528
; %bb.1523:
	v_cmp_lt_i16_e32 vcc_lo, 0, v8
	s_mov_b32 s0, 0
	s_cbranch_vccz .LBB352_1525
; %bb.1524:
	global_load_u8 v3, v[5:6], off
	s_branch .LBB352_1526
.LBB352_1525:
	s_mov_b32 s0, -1
                                        ; implicit-def: $vgpr3
.LBB352_1526:
	s_delay_alu instid0(SALU_CYCLE_1)
	s_and_not1_b32 vcc_lo, exec_lo, s0
	s_cbranch_vccnz .LBB352_1528
; %bb.1527:
	global_load_u8 v3, v[5:6], off
.LBB352_1528:
	s_mov_b32 s6, -1
.LBB352_1529:
	s_delay_alu instid0(SALU_CYCLE_1)
	s_and_not1_b32 vcc_lo, exec_lo, s6
	s_cbranch_vccnz .LBB352_1963
; %bb.1530:
	v_mul_lo_u32 v8, s2, v7
	v_and_b32_e64 v6, 0xff, s1
	v_and_b32_e64 v7, 0xff, s8
	v_and_b32_e32 v0, 0xff, v0
	s_delay_alu instid0(VALU_DEP_3) | instskip(NEXT) | instid1(VALU_DEP_2)
	v_cmp_gt_i16_e32 vcc_lo, 11, v6
	v_max_u16 v0, v0, v7
	v_ashrrev_i32_e32 v5, 31, v8
	s_waitcnt vmcnt(0)
	v_add_co_u32 v4, s0, s4, v8
	s_delay_alu instid0(VALU_DEP_1)
	v_add_co_ci_u32_e64 v5, s0, s5, v5, s0
	s_cbranch_vccnz .LBB352_1608
; %bb.1531:
	v_cmp_lt_i16_e32 vcc_lo, 25, v6
	s_mov_b32 s6, -1
	s_mov_b32 s1, 0
	s_mov_b32 s3, 0
	;; [unrolled: 1-line block ×3, first 2 shown]
	s_cbranch_vccz .LBB352_1564
; %bb.1532:
	v_cmp_lt_i16_e32 vcc_lo, 28, v6
	s_cbranch_vccz .LBB352_1547
; %bb.1533:
	v_cmp_lt_i16_e32 vcc_lo, 43, v6
	;; [unrolled: 3-line block ×3, first 2 shown]
	s_cbranch_vccz .LBB352_1537
; %bb.1535:
	v_cmp_eq_u16_e32 vcc_lo, 46, v6
	s_mov_b32 s0, -1
	s_mov_b32 s6, 0
	s_cbranch_vccz .LBB352_1537
; %bb.1536:
	v_cvt_f32_ubyte0_e32 v9, v0
	s_mov_b32 s0, 0
	s_mov_b32 s3, -1
	s_delay_alu instid0(VALU_DEP_1) | instskip(NEXT) | instid1(VALU_DEP_1)
	v_bfe_u32 v10, v9, 16, 1
	v_add3_u32 v9, v9, v10, 0x7fff
	s_delay_alu instid0(VALU_DEP_1)
	v_lshrrev_b32_e32 v9, 16, v9
	global_store_b32 v[4:5], v9, off
.LBB352_1537:
	s_and_b32 vcc_lo, exec_lo, s6
	s_cbranch_vccz .LBB352_1542
; %bb.1538:
	v_cmp_eq_u16_e32 vcc_lo, 44, v6
	s_mov_b32 s0, -1
	s_cbranch_vccz .LBB352_1542
; %bb.1539:
	v_cvt_f32_ubyte0_e32 v11, v0
	v_mov_b32_e32 v10, 0xff
	s_mov_b32 s3, exec_lo
	s_delay_alu instid0(VALU_DEP_2) | instskip(NEXT) | instid1(VALU_DEP_1)
	v_lshrrev_b32_e32 v9, 23, v11
	v_cmpx_ne_u32_e32 0xff, v9
; %bb.1540:
	v_and_b32_e32 v10, 0x400000, v11
	v_and_or_b32 v11, 0x3fffff, v11, v9
	s_delay_alu instid0(VALU_DEP_2) | instskip(NEXT) | instid1(VALU_DEP_2)
	v_cmp_ne_u32_e32 vcc_lo, 0, v10
	v_cmp_ne_u32_e64 s0, 0, v11
	s_delay_alu instid0(VALU_DEP_1) | instskip(NEXT) | instid1(SALU_CYCLE_1)
	s_and_b32 s0, vcc_lo, s0
	v_cndmask_b32_e64 v10, 0, 1, s0
	s_delay_alu instid0(VALU_DEP_1)
	v_add_nc_u32_e32 v10, v9, v10
; %bb.1541:
	s_or_b32 exec_lo, exec_lo, s3
	s_mov_b32 s0, 0
	s_mov_b32 s3, -1
	global_store_b8 v[4:5], v10, off
.LBB352_1542:
	s_mov_b32 s6, 0
.LBB352_1543:
	s_delay_alu instid0(SALU_CYCLE_1)
	s_and_b32 vcc_lo, exec_lo, s6
	s_cbranch_vccz .LBB352_1546
; %bb.1544:
	v_cmp_eq_u16_e32 vcc_lo, 29, v6
	s_mov_b32 s0, -1
	s_cbranch_vccz .LBB352_1546
; %bb.1545:
	s_mov_b32 s0, 0
	s_delay_alu instid0(SALU_CYCLE_1)
	v_dual_mov_b32 v10, s0 :: v_dual_and_b32 v9, 0xffff, v0
	s_mov_b32 s3, -1
	global_store_b64 v[4:5], v[9:10], off
.LBB352_1546:
	s_mov_b32 s6, 0
.LBB352_1547:
	s_delay_alu instid0(SALU_CYCLE_1)
	s_and_b32 vcc_lo, exec_lo, s6
	s_cbranch_vccz .LBB352_1563
; %bb.1548:
	v_cmp_gt_i16_e32 vcc_lo, 27, v6
	s_mov_b32 s3, -1
	s_cbranch_vccnz .LBB352_1554
; %bb.1549:
	v_cmp_lt_i16_e32 vcc_lo, 27, v6
	s_cbranch_vccz .LBB352_1551
; %bb.1550:
	v_and_b32_e32 v9, 0xffff, v0
	s_mov_b32 s3, 0
	global_store_b32 v[4:5], v9, off
.LBB352_1551:
	s_and_not1_b32 vcc_lo, exec_lo, s3
	s_cbranch_vccnz .LBB352_1553
; %bb.1552:
	global_store_b16 v[4:5], v0, off
.LBB352_1553:
	s_mov_b32 s3, 0
.LBB352_1554:
	s_delay_alu instid0(SALU_CYCLE_1)
	s_and_not1_b32 vcc_lo, exec_lo, s3
	s_cbranch_vccnz .LBB352_1562
; %bb.1555:
	v_cvt_f32_ubyte0_e32 v10, v0
	v_mov_b32_e32 v11, 0x80
	s_mov_b32 s3, exec_lo
	s_delay_alu instid0(VALU_DEP_2)
	v_cmpx_gt_u32_e32 0x43800000, v10
	s_cbranch_execz .LBB352_1561
; %bb.1556:
	s_mov_b32 s6, 0
	s_mov_b32 s7, exec_lo
                                        ; implicit-def: $vgpr9
	v_cmpx_lt_u32_e32 0x3bffffff, v10
	s_xor_b32 s7, exec_lo, s7
	s_cbranch_execz .LBB352_2011
; %bb.1557:
	v_bfe_u32 v9, v10, 20, 1
	s_mov_b32 s6, exec_lo
	s_delay_alu instid0(VALU_DEP_1) | instskip(NEXT) | instid1(VALU_DEP_1)
	v_add3_u32 v9, v10, v9, 0x487ffff
                                        ; implicit-def: $vgpr10
	v_lshrrev_b32_e32 v9, 20, v9
	s_or_saveexec_b32 s7, s7
                                        ; implicit-def: $sgpr8
	s_delay_alu instid0(SALU_CYCLE_1)
	s_xor_b32 exec_lo, exec_lo, s7
	s_cbranch_execnz .LBB352_2012
.LBB352_1558:
	s_or_b32 exec_lo, exec_lo, s7
	v_mov_b32_e32 v11, s8
	s_and_saveexec_b32 s7, s6
.LBB352_1559:
	v_mov_b32_e32 v11, v9
.LBB352_1560:
	s_or_b32 exec_lo, exec_lo, s7
.LBB352_1561:
	s_delay_alu instid0(SALU_CYCLE_1)
	s_or_b32 exec_lo, exec_lo, s3
	global_store_b8 v[4:5], v11, off
.LBB352_1562:
	s_mov_b32 s3, -1
.LBB352_1563:
	s_mov_b32 s6, 0
.LBB352_1564:
	s_delay_alu instid0(SALU_CYCLE_1)
	s_and_b32 vcc_lo, exec_lo, s6
	s_cbranch_vccz .LBB352_1604
; %bb.1565:
	v_cmp_lt_i16_e32 vcc_lo, 22, v6
	s_mov_b32 s1, -1
	s_cbranch_vccz .LBB352_1597
; %bb.1566:
	v_cmp_gt_i16_e32 vcc_lo, 24, v6
	s_cbranch_vccnz .LBB352_1586
; %bb.1567:
	v_cmp_lt_i16_e32 vcc_lo, 24, v6
	s_cbranch_vccz .LBB352_1575
; %bb.1568:
	v_cvt_f32_ubyte0_e32 v10, v0
	v_mov_b32_e32 v11, 0x80
	s_mov_b32 s1, exec_lo
	s_delay_alu instid0(VALU_DEP_2)
	v_cmpx_gt_u32_e32 0x47800000, v10
	s_cbranch_execz .LBB352_1574
; %bb.1569:
	s_mov_b32 s3, 0
	s_mov_b32 s6, exec_lo
                                        ; implicit-def: $vgpr9
	v_cmpx_lt_u32_e32 0x37ffffff, v10
	s_xor_b32 s6, exec_lo, s6
	s_cbranch_execz .LBB352_2017
; %bb.1570:
	v_bfe_u32 v9, v10, 21, 1
	s_mov_b32 s3, exec_lo
	s_delay_alu instid0(VALU_DEP_1) | instskip(NEXT) | instid1(VALU_DEP_1)
	v_add3_u32 v9, v10, v9, 0x88fffff
                                        ; implicit-def: $vgpr10
	v_lshrrev_b32_e32 v9, 21, v9
	s_or_saveexec_b32 s6, s6
                                        ; implicit-def: $sgpr7
	s_delay_alu instid0(SALU_CYCLE_1)
	s_xor_b32 exec_lo, exec_lo, s6
	s_cbranch_execnz .LBB352_2018
.LBB352_1571:
	s_or_b32 exec_lo, exec_lo, s6
	v_mov_b32_e32 v11, s7
	s_and_saveexec_b32 s6, s3
.LBB352_1572:
	v_mov_b32_e32 v11, v9
.LBB352_1573:
	s_or_b32 exec_lo, exec_lo, s6
.LBB352_1574:
	s_delay_alu instid0(SALU_CYCLE_1)
	s_or_b32 exec_lo, exec_lo, s1
	s_mov_b32 s1, 0
	global_store_b8 v[4:5], v11, off
.LBB352_1575:
	s_and_b32 vcc_lo, exec_lo, s1
	s_cbranch_vccz .LBB352_1585
; %bb.1576:
	v_cvt_f32_ubyte0_e32 v10, v0
	s_mov_b32 s1, exec_lo
                                        ; implicit-def: $vgpr9
	s_delay_alu instid0(VALU_DEP_1)
	v_cmpx_gt_u32_e32 0x43f00000, v10
	s_xor_b32 s1, exec_lo, s1
	s_cbranch_execz .LBB352_1582
; %bb.1577:
	s_mov_b32 s3, exec_lo
                                        ; implicit-def: $vgpr9
	v_cmpx_lt_u32_e32 0x3c7fffff, v10
	s_xor_b32 s3, exec_lo, s3
; %bb.1578:
	v_bfe_u32 v9, v10, 20, 1
	s_delay_alu instid0(VALU_DEP_1) | instskip(NEXT) | instid1(VALU_DEP_1)
	v_add3_u32 v9, v10, v9, 0x407ffff
	v_and_b32_e32 v10, 0xff00000, v9
	v_lshrrev_b32_e32 v9, 20, v9
	s_delay_alu instid0(VALU_DEP_2) | instskip(NEXT) | instid1(VALU_DEP_2)
	v_cmp_ne_u32_e32 vcc_lo, 0x7f00000, v10
                                        ; implicit-def: $vgpr10
	v_cndmask_b32_e32 v9, 0x7e, v9, vcc_lo
; %bb.1579:
	s_and_not1_saveexec_b32 s3, s3
; %bb.1580:
	v_add_f32_e32 v9, 0x46800000, v10
; %bb.1581:
	s_or_b32 exec_lo, exec_lo, s3
                                        ; implicit-def: $vgpr10
.LBB352_1582:
	s_and_not1_saveexec_b32 s1, s1
; %bb.1583:
	v_mov_b32_e32 v9, 0x7f
	v_cmp_lt_u32_e32 vcc_lo, 0x7f800000, v10
	s_delay_alu instid0(VALU_DEP_2)
	v_cndmask_b32_e32 v9, 0x7e, v9, vcc_lo
; %bb.1584:
	s_or_b32 exec_lo, exec_lo, s1
	global_store_b8 v[4:5], v9, off
.LBB352_1585:
	s_mov_b32 s1, 0
.LBB352_1586:
	s_delay_alu instid0(SALU_CYCLE_1)
	s_and_not1_b32 vcc_lo, exec_lo, s1
	s_cbranch_vccnz .LBB352_1596
; %bb.1587:
	v_cvt_f32_ubyte0_e32 v10, v0
	s_mov_b32 s1, exec_lo
                                        ; implicit-def: $vgpr9
	s_delay_alu instid0(VALU_DEP_1)
	v_cmpx_gt_u32_e32 0x47800000, v10
	s_xor_b32 s1, exec_lo, s1
	s_cbranch_execz .LBB352_1593
; %bb.1588:
	s_mov_b32 s3, exec_lo
                                        ; implicit-def: $vgpr9
	v_cmpx_lt_u32_e32 0x387fffff, v10
	s_xor_b32 s3, exec_lo, s3
; %bb.1589:
	v_bfe_u32 v9, v10, 21, 1
	s_delay_alu instid0(VALU_DEP_1) | instskip(NEXT) | instid1(VALU_DEP_1)
	v_add3_u32 v9, v10, v9, 0x80fffff
                                        ; implicit-def: $vgpr10
	v_lshrrev_b32_e32 v9, 21, v9
; %bb.1590:
	s_and_not1_saveexec_b32 s3, s3
; %bb.1591:
	v_add_f32_e32 v9, 0x43000000, v10
; %bb.1592:
	s_or_b32 exec_lo, exec_lo, s3
                                        ; implicit-def: $vgpr10
.LBB352_1593:
	s_and_not1_saveexec_b32 s1, s1
; %bb.1594:
	v_mov_b32_e32 v9, 0x7f
	v_cmp_lt_u32_e32 vcc_lo, 0x7f800000, v10
	s_delay_alu instid0(VALU_DEP_2)
	v_cndmask_b32_e32 v9, 0x7c, v9, vcc_lo
; %bb.1595:
	s_or_b32 exec_lo, exec_lo, s1
	global_store_b8 v[4:5], v9, off
.LBB352_1596:
	s_mov_b32 s1, 0
	s_mov_b32 s3, -1
.LBB352_1597:
	s_and_not1_b32 vcc_lo, exec_lo, s1
	s_mov_b32 s1, 0
	s_cbranch_vccnz .LBB352_1604
; %bb.1598:
	v_cmp_lt_i16_e32 vcc_lo, 14, v6
	s_mov_b32 s1, -1
	s_cbranch_vccz .LBB352_1602
; %bb.1599:
	v_cmp_eq_u16_e32 vcc_lo, 15, v6
	s_mov_b32 s0, -1
	s_cbranch_vccz .LBB352_1601
; %bb.1600:
	v_cvt_f32_ubyte0_e32 v9, v0
	s_mov_b32 s0, 0
	s_mov_b32 s3, -1
	s_delay_alu instid0(VALU_DEP_1) | instskip(NEXT) | instid1(VALU_DEP_1)
	v_bfe_u32 v10, v9, 16, 1
	v_add3_u32 v9, v9, v10, 0x7fff
	global_store_d16_hi_b16 v[4:5], v9, off
.LBB352_1601:
	s_mov_b32 s1, 0
.LBB352_1602:
	s_delay_alu instid0(SALU_CYCLE_1)
	s_and_b32 vcc_lo, exec_lo, s1
	s_mov_b32 s1, 0
	s_cbranch_vccz .LBB352_1604
; %bb.1603:
	v_cmp_ne_u16_e64 s0, 11, v6
	s_mov_b32 s1, -1
.LBB352_1604:
	s_delay_alu instid0(VALU_DEP_1)
	s_and_b32 vcc_lo, exec_lo, s0
	s_cbranch_vccnz .LBB352_2015
; %bb.1605:
	s_and_not1_b32 vcc_lo, exec_lo, s1
	s_cbranch_vccnz .LBB352_1607
.LBB352_1606:
	v_cmp_ne_u16_e32 vcc_lo, 0, v0
	s_mov_b32 s3, -1
	v_cndmask_b32_e64 v9, 0, 1, vcc_lo
	global_store_b8 v[4:5], v9, off
.LBB352_1607:
	s_mov_b32 s0, 0
	s_branch .LBB352_1609
.LBB352_1608:
	s_mov_b32 s0, -1
	s_mov_b32 s3, 0
.LBB352_1609:
	s_and_b32 vcc_lo, exec_lo, s0
	s_cbranch_vccz .LBB352_1648
; %bb.1610:
	v_cmp_gt_i16_e32 vcc_lo, 5, v6
	s_mov_b32 s0, -1
	s_cbranch_vccnz .LBB352_1631
; %bb.1611:
	v_cmp_gt_i16_e32 vcc_lo, 8, v6
	s_cbranch_vccnz .LBB352_1621
; %bb.1612:
	v_cmp_gt_i16_e32 vcc_lo, 9, v6
	s_cbranch_vccnz .LBB352_1618
; %bb.1613:
	v_cmp_lt_i16_e32 vcc_lo, 9, v6
	s_cbranch_vccz .LBB352_1615
; %bb.1614:
	v_mov_b32_e32 v11, 0
	v_and_b32_e32 v9, 0xffff, v0
	s_mov_b32 s0, 0
	s_delay_alu instid0(VALU_DEP_2) | instskip(NEXT) | instid1(VALU_DEP_2)
	v_mov_b32_e32 v12, v11
	v_cvt_f64_u32_e32 v[9:10], v9
	global_store_b128 v[4:5], v[9:12], off
.LBB352_1615:
	s_and_not1_b32 vcc_lo, exec_lo, s0
	s_cbranch_vccnz .LBB352_1617
; %bb.1616:
	v_cvt_f32_ubyte0_e32 v9, v0
	v_mov_b32_e32 v10, 0
	global_store_b64 v[4:5], v[9:10], off
.LBB352_1617:
	s_mov_b32 s0, 0
.LBB352_1618:
	s_delay_alu instid0(SALU_CYCLE_1)
	s_and_not1_b32 vcc_lo, exec_lo, s0
	s_cbranch_vccnz .LBB352_1620
; %bb.1619:
	v_cvt_f16_u16_e32 v9, v0
	s_delay_alu instid0(VALU_DEP_1)
	v_and_b32_e32 v9, 0xffff, v9
	global_store_b32 v[4:5], v9, off
.LBB352_1620:
	s_mov_b32 s0, 0
.LBB352_1621:
	s_delay_alu instid0(SALU_CYCLE_1)
	s_and_not1_b32 vcc_lo, exec_lo, s0
	s_cbranch_vccnz .LBB352_1630
; %bb.1622:
	v_cmp_gt_i16_e32 vcc_lo, 6, v6
	s_mov_b32 s0, -1
	s_cbranch_vccnz .LBB352_1628
; %bb.1623:
	v_cmp_lt_i16_e32 vcc_lo, 6, v6
	s_cbranch_vccz .LBB352_1625
; %bb.1624:
	v_and_b32_e32 v9, 0xffff, v0
	s_mov_b32 s0, 0
	s_delay_alu instid0(VALU_DEP_1)
	v_cvt_f64_u32_e32 v[9:10], v9
	global_store_b64 v[4:5], v[9:10], off
.LBB352_1625:
	s_and_not1_b32 vcc_lo, exec_lo, s0
	s_cbranch_vccnz .LBB352_1627
; %bb.1626:
	v_cvt_f32_ubyte0_e32 v9, v0
	global_store_b32 v[4:5], v9, off
.LBB352_1627:
	s_mov_b32 s0, 0
.LBB352_1628:
	s_delay_alu instid0(SALU_CYCLE_1)
	s_and_not1_b32 vcc_lo, exec_lo, s0
	s_cbranch_vccnz .LBB352_1630
; %bb.1629:
	v_cvt_f16_u16_e32 v9, v0
	global_store_b16 v[4:5], v9, off
.LBB352_1630:
	s_mov_b32 s0, 0
.LBB352_1631:
	s_delay_alu instid0(SALU_CYCLE_1)
	s_and_not1_b32 vcc_lo, exec_lo, s0
	s_cbranch_vccnz .LBB352_1647
; %bb.1632:
	v_cmp_gt_i16_e32 vcc_lo, 2, v6
	s_mov_b32 s0, -1
	s_cbranch_vccnz .LBB352_1642
; %bb.1633:
	v_cmp_gt_i16_e32 vcc_lo, 3, v6
	s_cbranch_vccnz .LBB352_1639
; %bb.1634:
	v_cmp_lt_i16_e32 vcc_lo, 3, v6
	s_cbranch_vccz .LBB352_1636
; %bb.1635:
	s_mov_b32 s0, 0
	s_delay_alu instid0(SALU_CYCLE_1)
	v_dual_mov_b32 v10, s0 :: v_dual_and_b32 v9, 0xffff, v0
	global_store_b64 v[4:5], v[9:10], off
.LBB352_1636:
	s_and_not1_b32 vcc_lo, exec_lo, s0
	s_cbranch_vccnz .LBB352_1638
; %bb.1637:
	v_and_b32_e32 v9, 0xffff, v0
	global_store_b32 v[4:5], v9, off
.LBB352_1638:
	s_mov_b32 s0, 0
.LBB352_1639:
	s_delay_alu instid0(SALU_CYCLE_1)
	s_and_not1_b32 vcc_lo, exec_lo, s0
	s_cbranch_vccnz .LBB352_1641
; %bb.1640:
	global_store_b16 v[4:5], v0, off
.LBB352_1641:
	s_mov_b32 s0, 0
.LBB352_1642:
	s_delay_alu instid0(SALU_CYCLE_1)
	s_and_not1_b32 vcc_lo, exec_lo, s0
	s_cbranch_vccnz .LBB352_1647
; %bb.1643:
	v_cmp_lt_i16_e32 vcc_lo, 0, v6
	s_mov_b32 s0, -1
	s_cbranch_vccz .LBB352_1645
; %bb.1644:
	s_mov_b32 s0, 0
	global_store_b8 v[4:5], v0, off
.LBB352_1645:
	s_and_not1_b32 vcc_lo, exec_lo, s0
	s_cbranch_vccnz .LBB352_1647
; %bb.1646:
	global_store_b8 v[4:5], v0, off
.LBB352_1647:
	s_mov_b32 s3, -1
.LBB352_1648:
	s_delay_alu instid0(SALU_CYCLE_1)
	s_and_not1_b32 vcc_lo, exec_lo, s3
	s_cbranch_vccnz .LBB352_1963
; %bb.1649:
	s_lshl_b32 s1, s2, 7
	v_and_b32_e32 v0, 0xff, v1
	v_add_nc_u32_e32 v8, s1, v8
	v_cmp_gt_i16_e32 vcc_lo, 11, v6
	s_delay_alu instid0(VALU_DEP_3) | instskip(NEXT) | instid1(VALU_DEP_3)
	v_max_u16 v9, v0, v7
	v_ashrrev_i32_e32 v1, 31, v8
	v_add_co_u32 v0, s0, s4, v8
	s_delay_alu instid0(VALU_DEP_1)
	v_add_co_ci_u32_e64 v1, s0, s5, v1, s0
	s_cbranch_vccnz .LBB352_1727
; %bb.1650:
	v_cmp_lt_i16_e32 vcc_lo, 25, v6
	s_mov_b32 s6, -1
	s_mov_b32 s2, 0
	s_mov_b32 s3, 0
	;; [unrolled: 1-line block ×3, first 2 shown]
	s_cbranch_vccz .LBB352_1683
; %bb.1651:
	v_cmp_lt_i16_e32 vcc_lo, 28, v6
	s_cbranch_vccz .LBB352_1666
; %bb.1652:
	v_cmp_lt_i16_e32 vcc_lo, 43, v6
	;; [unrolled: 3-line block ×3, first 2 shown]
	s_cbranch_vccz .LBB352_1656
; %bb.1654:
	v_cmp_eq_u16_e32 vcc_lo, 46, v6
	s_mov_b32 s0, -1
	s_mov_b32 s6, 0
	s_cbranch_vccz .LBB352_1656
; %bb.1655:
	v_cvt_f32_ubyte0_e32 v4, v9
	s_mov_b32 s0, 0
	s_mov_b32 s3, -1
	s_delay_alu instid0(VALU_DEP_1) | instskip(NEXT) | instid1(VALU_DEP_1)
	v_bfe_u32 v5, v4, 16, 1
	v_add3_u32 v4, v4, v5, 0x7fff
	s_delay_alu instid0(VALU_DEP_1)
	v_lshrrev_b32_e32 v4, 16, v4
	global_store_b32 v[0:1], v4, off
.LBB352_1656:
	s_and_b32 vcc_lo, exec_lo, s6
	s_cbranch_vccz .LBB352_1661
; %bb.1657:
	v_cmp_eq_u16_e32 vcc_lo, 44, v6
	s_mov_b32 s0, -1
	s_cbranch_vccz .LBB352_1661
; %bb.1658:
	v_cvt_f32_ubyte0_e32 v10, v9
	v_mov_b32_e32 v5, 0xff
	s_mov_b32 s3, exec_lo
	s_delay_alu instid0(VALU_DEP_2) | instskip(NEXT) | instid1(VALU_DEP_1)
	v_lshrrev_b32_e32 v4, 23, v10
	v_cmpx_ne_u32_e32 0xff, v4
; %bb.1659:
	v_and_b32_e32 v5, 0x400000, v10
	v_and_or_b32 v10, 0x3fffff, v10, v4
	s_delay_alu instid0(VALU_DEP_2) | instskip(NEXT) | instid1(VALU_DEP_2)
	v_cmp_ne_u32_e32 vcc_lo, 0, v5
	v_cmp_ne_u32_e64 s0, 0, v10
	s_delay_alu instid0(VALU_DEP_1) | instskip(NEXT) | instid1(SALU_CYCLE_1)
	s_and_b32 s0, vcc_lo, s0
	v_cndmask_b32_e64 v5, 0, 1, s0
	s_delay_alu instid0(VALU_DEP_1)
	v_add_nc_u32_e32 v5, v4, v5
; %bb.1660:
	s_or_b32 exec_lo, exec_lo, s3
	s_mov_b32 s0, 0
	s_mov_b32 s3, -1
	global_store_b8 v[0:1], v5, off
.LBB352_1661:
	s_mov_b32 s6, 0
.LBB352_1662:
	s_delay_alu instid0(SALU_CYCLE_1)
	s_and_b32 vcc_lo, exec_lo, s6
	s_cbranch_vccz .LBB352_1665
; %bb.1663:
	v_cmp_eq_u16_e32 vcc_lo, 29, v6
	s_mov_b32 s0, -1
	s_cbranch_vccz .LBB352_1665
; %bb.1664:
	s_mov_b32 s0, 0
	s_delay_alu instid0(SALU_CYCLE_1)
	v_dual_mov_b32 v5, s0 :: v_dual_and_b32 v4, 0xffff, v9
	s_mov_b32 s3, -1
	global_store_b64 v[0:1], v[4:5], off
.LBB352_1665:
	s_mov_b32 s6, 0
.LBB352_1666:
	s_delay_alu instid0(SALU_CYCLE_1)
	s_and_b32 vcc_lo, exec_lo, s6
	s_cbranch_vccz .LBB352_1682
; %bb.1667:
	v_cmp_gt_i16_e32 vcc_lo, 27, v6
	s_mov_b32 s3, -1
	s_cbranch_vccnz .LBB352_1673
; %bb.1668:
	v_cmp_lt_i16_e32 vcc_lo, 27, v6
	s_cbranch_vccz .LBB352_1670
; %bb.1669:
	v_and_b32_e32 v4, 0xffff, v9
	s_mov_b32 s3, 0
	global_store_b32 v[0:1], v4, off
.LBB352_1670:
	s_and_not1_b32 vcc_lo, exec_lo, s3
	s_cbranch_vccnz .LBB352_1672
; %bb.1671:
	global_store_b16 v[0:1], v9, off
.LBB352_1672:
	s_mov_b32 s3, 0
.LBB352_1673:
	s_delay_alu instid0(SALU_CYCLE_1)
	s_and_not1_b32 vcc_lo, exec_lo, s3
	s_cbranch_vccnz .LBB352_1681
; %bb.1674:
	v_cvt_f32_ubyte0_e32 v5, v9
	v_mov_b32_e32 v10, 0x80
	s_mov_b32 s3, exec_lo
	s_delay_alu instid0(VALU_DEP_2)
	v_cmpx_gt_u32_e32 0x43800000, v5
	s_cbranch_execz .LBB352_1680
; %bb.1675:
	s_mov_b32 s6, 0
	s_mov_b32 s7, exec_lo
                                        ; implicit-def: $vgpr4
	v_cmpx_lt_u32_e32 0x3bffffff, v5
	s_xor_b32 s7, exec_lo, s7
	s_cbranch_execz .LBB352_2019
; %bb.1676:
	v_bfe_u32 v4, v5, 20, 1
	s_mov_b32 s6, exec_lo
	s_delay_alu instid0(VALU_DEP_1) | instskip(NEXT) | instid1(VALU_DEP_1)
	v_add3_u32 v4, v5, v4, 0x487ffff
                                        ; implicit-def: $vgpr5
	v_lshrrev_b32_e32 v4, 20, v4
	s_or_saveexec_b32 s7, s7
                                        ; implicit-def: $sgpr8
	s_delay_alu instid0(SALU_CYCLE_1)
	s_xor_b32 exec_lo, exec_lo, s7
	s_cbranch_execnz .LBB352_2020
.LBB352_1677:
	s_or_b32 exec_lo, exec_lo, s7
	v_mov_b32_e32 v10, s8
	s_and_saveexec_b32 s7, s6
.LBB352_1678:
	v_mov_b32_e32 v10, v4
.LBB352_1679:
	s_or_b32 exec_lo, exec_lo, s7
.LBB352_1680:
	s_delay_alu instid0(SALU_CYCLE_1)
	s_or_b32 exec_lo, exec_lo, s3
	global_store_b8 v[0:1], v10, off
.LBB352_1681:
	s_mov_b32 s3, -1
.LBB352_1682:
	s_mov_b32 s6, 0
.LBB352_1683:
	s_delay_alu instid0(SALU_CYCLE_1)
	s_and_b32 vcc_lo, exec_lo, s6
	s_cbranch_vccz .LBB352_1723
; %bb.1684:
	v_cmp_lt_i16_e32 vcc_lo, 22, v6
	s_mov_b32 s2, -1
	s_cbranch_vccz .LBB352_1716
; %bb.1685:
	v_cmp_gt_i16_e32 vcc_lo, 24, v6
	s_cbranch_vccnz .LBB352_1705
; %bb.1686:
	v_cmp_lt_i16_e32 vcc_lo, 24, v6
	s_cbranch_vccz .LBB352_1694
; %bb.1687:
	v_cvt_f32_ubyte0_e32 v5, v9
	v_mov_b32_e32 v10, 0x80
	s_mov_b32 s2, exec_lo
	s_delay_alu instid0(VALU_DEP_2)
	v_cmpx_gt_u32_e32 0x47800000, v5
	s_cbranch_execz .LBB352_1693
; %bb.1688:
	s_mov_b32 s3, 0
	s_mov_b32 s6, exec_lo
                                        ; implicit-def: $vgpr4
	v_cmpx_lt_u32_e32 0x37ffffff, v5
	s_xor_b32 s6, exec_lo, s6
	s_cbranch_execz .LBB352_2025
; %bb.1689:
	v_bfe_u32 v4, v5, 21, 1
	s_mov_b32 s3, exec_lo
	s_delay_alu instid0(VALU_DEP_1) | instskip(NEXT) | instid1(VALU_DEP_1)
	v_add3_u32 v4, v5, v4, 0x88fffff
                                        ; implicit-def: $vgpr5
	v_lshrrev_b32_e32 v4, 21, v4
	s_or_saveexec_b32 s6, s6
                                        ; implicit-def: $sgpr7
	s_delay_alu instid0(SALU_CYCLE_1)
	s_xor_b32 exec_lo, exec_lo, s6
	s_cbranch_execnz .LBB352_2026
.LBB352_1690:
	s_or_b32 exec_lo, exec_lo, s6
	v_mov_b32_e32 v10, s7
	s_and_saveexec_b32 s6, s3
.LBB352_1691:
	v_mov_b32_e32 v10, v4
.LBB352_1692:
	s_or_b32 exec_lo, exec_lo, s6
.LBB352_1693:
	s_delay_alu instid0(SALU_CYCLE_1)
	s_or_b32 exec_lo, exec_lo, s2
	s_mov_b32 s2, 0
	global_store_b8 v[0:1], v10, off
.LBB352_1694:
	s_and_b32 vcc_lo, exec_lo, s2
	s_cbranch_vccz .LBB352_1704
; %bb.1695:
	v_cvt_f32_ubyte0_e32 v5, v9
	s_mov_b32 s2, exec_lo
                                        ; implicit-def: $vgpr4
	s_delay_alu instid0(VALU_DEP_1)
	v_cmpx_gt_u32_e32 0x43f00000, v5
	s_xor_b32 s2, exec_lo, s2
	s_cbranch_execz .LBB352_1701
; %bb.1696:
	s_mov_b32 s3, exec_lo
                                        ; implicit-def: $vgpr4
	v_cmpx_lt_u32_e32 0x3c7fffff, v5
	s_xor_b32 s3, exec_lo, s3
; %bb.1697:
	v_bfe_u32 v4, v5, 20, 1
	s_delay_alu instid0(VALU_DEP_1) | instskip(NEXT) | instid1(VALU_DEP_1)
	v_add3_u32 v4, v5, v4, 0x407ffff
	v_and_b32_e32 v5, 0xff00000, v4
	v_lshrrev_b32_e32 v4, 20, v4
	s_delay_alu instid0(VALU_DEP_2) | instskip(NEXT) | instid1(VALU_DEP_2)
	v_cmp_ne_u32_e32 vcc_lo, 0x7f00000, v5
                                        ; implicit-def: $vgpr5
	v_cndmask_b32_e32 v4, 0x7e, v4, vcc_lo
; %bb.1698:
	s_and_not1_saveexec_b32 s3, s3
; %bb.1699:
	v_add_f32_e32 v4, 0x46800000, v5
; %bb.1700:
	s_or_b32 exec_lo, exec_lo, s3
                                        ; implicit-def: $vgpr5
.LBB352_1701:
	s_and_not1_saveexec_b32 s2, s2
; %bb.1702:
	v_mov_b32_e32 v4, 0x7f
	v_cmp_lt_u32_e32 vcc_lo, 0x7f800000, v5
	s_delay_alu instid0(VALU_DEP_2)
	v_cndmask_b32_e32 v4, 0x7e, v4, vcc_lo
; %bb.1703:
	s_or_b32 exec_lo, exec_lo, s2
	global_store_b8 v[0:1], v4, off
.LBB352_1704:
	s_mov_b32 s2, 0
.LBB352_1705:
	s_delay_alu instid0(SALU_CYCLE_1)
	s_and_not1_b32 vcc_lo, exec_lo, s2
	s_cbranch_vccnz .LBB352_1715
; %bb.1706:
	v_cvt_f32_ubyte0_e32 v5, v9
	s_mov_b32 s2, exec_lo
                                        ; implicit-def: $vgpr4
	s_delay_alu instid0(VALU_DEP_1)
	v_cmpx_gt_u32_e32 0x47800000, v5
	s_xor_b32 s2, exec_lo, s2
	s_cbranch_execz .LBB352_1712
; %bb.1707:
	s_mov_b32 s3, exec_lo
                                        ; implicit-def: $vgpr4
	v_cmpx_lt_u32_e32 0x387fffff, v5
	s_xor_b32 s3, exec_lo, s3
; %bb.1708:
	v_bfe_u32 v4, v5, 21, 1
	s_delay_alu instid0(VALU_DEP_1) | instskip(NEXT) | instid1(VALU_DEP_1)
	v_add3_u32 v4, v5, v4, 0x80fffff
                                        ; implicit-def: $vgpr5
	v_lshrrev_b32_e32 v4, 21, v4
; %bb.1709:
	s_and_not1_saveexec_b32 s3, s3
; %bb.1710:
	v_add_f32_e32 v4, 0x43000000, v5
; %bb.1711:
	s_or_b32 exec_lo, exec_lo, s3
                                        ; implicit-def: $vgpr5
.LBB352_1712:
	s_and_not1_saveexec_b32 s2, s2
; %bb.1713:
	v_mov_b32_e32 v4, 0x7f
	v_cmp_lt_u32_e32 vcc_lo, 0x7f800000, v5
	s_delay_alu instid0(VALU_DEP_2)
	v_cndmask_b32_e32 v4, 0x7c, v4, vcc_lo
; %bb.1714:
	s_or_b32 exec_lo, exec_lo, s2
	global_store_b8 v[0:1], v4, off
.LBB352_1715:
	s_mov_b32 s2, 0
	s_mov_b32 s3, -1
.LBB352_1716:
	s_and_not1_b32 vcc_lo, exec_lo, s2
	s_mov_b32 s2, 0
	s_cbranch_vccnz .LBB352_1723
; %bb.1717:
	v_cmp_lt_i16_e32 vcc_lo, 14, v6
	s_mov_b32 s2, -1
	s_cbranch_vccz .LBB352_1721
; %bb.1718:
	v_cmp_eq_u16_e32 vcc_lo, 15, v6
	s_mov_b32 s0, -1
	s_cbranch_vccz .LBB352_1720
; %bb.1719:
	v_cvt_f32_ubyte0_e32 v4, v9
	s_mov_b32 s0, 0
	s_mov_b32 s3, -1
	s_delay_alu instid0(VALU_DEP_1) | instskip(NEXT) | instid1(VALU_DEP_1)
	v_bfe_u32 v5, v4, 16, 1
	v_add3_u32 v4, v4, v5, 0x7fff
	global_store_d16_hi_b16 v[0:1], v4, off
.LBB352_1720:
	s_mov_b32 s2, 0
.LBB352_1721:
	s_delay_alu instid0(SALU_CYCLE_1)
	s_and_b32 vcc_lo, exec_lo, s2
	s_mov_b32 s2, 0
	s_cbranch_vccz .LBB352_1723
; %bb.1722:
	v_cmp_ne_u16_e64 s0, 11, v6
	s_mov_b32 s2, -1
.LBB352_1723:
	s_delay_alu instid0(VALU_DEP_1)
	s_and_b32 vcc_lo, exec_lo, s0
	s_cbranch_vccnz .LBB352_2023
; %bb.1724:
	s_and_not1_b32 vcc_lo, exec_lo, s2
	s_cbranch_vccnz .LBB352_1726
.LBB352_1725:
	v_cmp_ne_u16_e32 vcc_lo, 0, v9
	s_mov_b32 s3, -1
	v_cndmask_b32_e64 v4, 0, 1, vcc_lo
	global_store_b8 v[0:1], v4, off
.LBB352_1726:
	s_mov_b32 s0, 0
	s_branch .LBB352_1728
.LBB352_1727:
	s_mov_b32 s0, -1
	s_mov_b32 s3, 0
.LBB352_1728:
	s_and_b32 vcc_lo, exec_lo, s0
	s_cbranch_vccz .LBB352_1767
; %bb.1729:
	v_cmp_gt_i16_e32 vcc_lo, 5, v6
	s_mov_b32 s0, -1
	s_cbranch_vccnz .LBB352_1750
; %bb.1730:
	v_cmp_gt_i16_e32 vcc_lo, 8, v6
	s_cbranch_vccnz .LBB352_1740
; %bb.1731:
	v_cmp_gt_i16_e32 vcc_lo, 9, v6
	s_cbranch_vccnz .LBB352_1737
; %bb.1732:
	v_cmp_lt_i16_e32 vcc_lo, 9, v6
	s_cbranch_vccz .LBB352_1734
; %bb.1733:
	v_mov_b32_e32 v12, 0
	v_and_b32_e32 v4, 0xffff, v9
	s_mov_b32 s0, 0
	s_delay_alu instid0(VALU_DEP_2) | instskip(NEXT) | instid1(VALU_DEP_2)
	v_mov_b32_e32 v13, v12
	v_cvt_f64_u32_e32 v[10:11], v4
	global_store_b128 v[0:1], v[10:13], off
.LBB352_1734:
	s_and_not1_b32 vcc_lo, exec_lo, s0
	s_cbranch_vccnz .LBB352_1736
; %bb.1735:
	v_cvt_f32_ubyte0_e32 v4, v9
	v_mov_b32_e32 v5, 0
	global_store_b64 v[0:1], v[4:5], off
.LBB352_1736:
	s_mov_b32 s0, 0
.LBB352_1737:
	s_delay_alu instid0(SALU_CYCLE_1)
	s_and_not1_b32 vcc_lo, exec_lo, s0
	s_cbranch_vccnz .LBB352_1739
; %bb.1738:
	v_cvt_f16_u16_e32 v4, v9
	s_delay_alu instid0(VALU_DEP_1)
	v_and_b32_e32 v4, 0xffff, v4
	global_store_b32 v[0:1], v4, off
.LBB352_1739:
	s_mov_b32 s0, 0
.LBB352_1740:
	s_delay_alu instid0(SALU_CYCLE_1)
	s_and_not1_b32 vcc_lo, exec_lo, s0
	s_cbranch_vccnz .LBB352_1749
; %bb.1741:
	v_cmp_gt_i16_e32 vcc_lo, 6, v6
	s_mov_b32 s0, -1
	s_cbranch_vccnz .LBB352_1747
; %bb.1742:
	v_cmp_lt_i16_e32 vcc_lo, 6, v6
	s_cbranch_vccz .LBB352_1744
; %bb.1743:
	v_and_b32_e32 v4, 0xffff, v9
	s_mov_b32 s0, 0
	s_delay_alu instid0(VALU_DEP_1)
	v_cvt_f64_u32_e32 v[4:5], v4
	global_store_b64 v[0:1], v[4:5], off
.LBB352_1744:
	s_and_not1_b32 vcc_lo, exec_lo, s0
	s_cbranch_vccnz .LBB352_1746
; %bb.1745:
	v_cvt_f32_ubyte0_e32 v4, v9
	global_store_b32 v[0:1], v4, off
.LBB352_1746:
	s_mov_b32 s0, 0
.LBB352_1747:
	s_delay_alu instid0(SALU_CYCLE_1)
	s_and_not1_b32 vcc_lo, exec_lo, s0
	s_cbranch_vccnz .LBB352_1749
; %bb.1748:
	v_cvt_f16_u16_e32 v4, v9
	global_store_b16 v[0:1], v4, off
.LBB352_1749:
	s_mov_b32 s0, 0
.LBB352_1750:
	s_delay_alu instid0(SALU_CYCLE_1)
	s_and_not1_b32 vcc_lo, exec_lo, s0
	s_cbranch_vccnz .LBB352_1766
; %bb.1751:
	v_cmp_gt_i16_e32 vcc_lo, 2, v6
	s_mov_b32 s0, -1
	s_cbranch_vccnz .LBB352_1761
; %bb.1752:
	v_cmp_gt_i16_e32 vcc_lo, 3, v6
	s_cbranch_vccnz .LBB352_1758
; %bb.1753:
	v_cmp_lt_i16_e32 vcc_lo, 3, v6
	v_and_b32_e32 v4, 0xffff, v9
	s_cbranch_vccz .LBB352_1755
; %bb.1754:
	s_mov_b32 s0, 0
	s_delay_alu instid0(SALU_CYCLE_1)
	v_mov_b32_e32 v5, s0
	global_store_b64 v[0:1], v[4:5], off
.LBB352_1755:
	s_and_not1_b32 vcc_lo, exec_lo, s0
	s_cbranch_vccnz .LBB352_1757
; %bb.1756:
	global_store_b32 v[0:1], v4, off
.LBB352_1757:
	s_mov_b32 s0, 0
.LBB352_1758:
	s_delay_alu instid0(SALU_CYCLE_1)
	s_and_not1_b32 vcc_lo, exec_lo, s0
	s_cbranch_vccnz .LBB352_1760
; %bb.1759:
	global_store_b16 v[0:1], v9, off
.LBB352_1760:
	s_mov_b32 s0, 0
.LBB352_1761:
	s_delay_alu instid0(SALU_CYCLE_1)
	s_and_not1_b32 vcc_lo, exec_lo, s0
	s_cbranch_vccnz .LBB352_1766
; %bb.1762:
	v_cmp_lt_i16_e32 vcc_lo, 0, v6
	s_mov_b32 s0, -1
	s_cbranch_vccz .LBB352_1764
; %bb.1763:
	s_mov_b32 s0, 0
	global_store_b8 v[0:1], v9, off
.LBB352_1764:
	s_and_not1_b32 vcc_lo, exec_lo, s0
	s_cbranch_vccnz .LBB352_1766
; %bb.1765:
	global_store_b8 v[0:1], v9, off
.LBB352_1766:
	s_mov_b32 s3, -1
.LBB352_1767:
	s_delay_alu instid0(SALU_CYCLE_1)
	s_and_not1_b32 vcc_lo, exec_lo, s3
	s_cbranch_vccnz .LBB352_1963
; %bb.1768:
	v_add_nc_u32_e32 v8, s1, v8
	v_and_b32_e32 v0, 0xff, v2
	v_cmp_gt_i16_e32 vcc_lo, 11, v6
	s_delay_alu instid0(VALU_DEP_3) | instskip(NEXT) | instid1(VALU_DEP_3)
	v_ashrrev_i32_e32 v1, 31, v8
	v_max_u16 v2, v0, v7
	v_add_co_u32 v0, s0, s4, v8
	s_delay_alu instid0(VALU_DEP_1)
	v_add_co_ci_u32_e64 v1, s0, s5, v1, s0
	s_cbranch_vccnz .LBB352_1846
; %bb.1769:
	v_cmp_lt_i16_e32 vcc_lo, 25, v6
	s_mov_b32 s6, -1
	s_mov_b32 s2, 0
	s_mov_b32 s3, 0
	;; [unrolled: 1-line block ×3, first 2 shown]
	s_cbranch_vccz .LBB352_1802
; %bb.1770:
	v_cmp_lt_i16_e32 vcc_lo, 28, v6
	s_cbranch_vccz .LBB352_1785
; %bb.1771:
	v_cmp_lt_i16_e32 vcc_lo, 43, v6
	;; [unrolled: 3-line block ×3, first 2 shown]
	s_cbranch_vccz .LBB352_1775
; %bb.1773:
	v_cmp_eq_u16_e32 vcc_lo, 46, v6
	s_mov_b32 s0, -1
	s_mov_b32 s6, 0
	s_cbranch_vccz .LBB352_1775
; %bb.1774:
	v_cvt_f32_ubyte0_e32 v4, v2
	s_mov_b32 s0, 0
	s_mov_b32 s3, -1
	s_delay_alu instid0(VALU_DEP_1) | instskip(NEXT) | instid1(VALU_DEP_1)
	v_bfe_u32 v5, v4, 16, 1
	v_add3_u32 v4, v4, v5, 0x7fff
	s_delay_alu instid0(VALU_DEP_1)
	v_lshrrev_b32_e32 v4, 16, v4
	global_store_b32 v[0:1], v4, off
.LBB352_1775:
	s_and_b32 vcc_lo, exec_lo, s6
	s_cbranch_vccz .LBB352_1780
; %bb.1776:
	v_cmp_eq_u16_e32 vcc_lo, 44, v6
	s_mov_b32 s0, -1
	s_cbranch_vccz .LBB352_1780
; %bb.1777:
	v_cvt_f32_ubyte0_e32 v9, v2
	v_mov_b32_e32 v5, 0xff
	s_mov_b32 s3, exec_lo
	s_delay_alu instid0(VALU_DEP_2) | instskip(NEXT) | instid1(VALU_DEP_1)
	v_lshrrev_b32_e32 v4, 23, v9
	v_cmpx_ne_u32_e32 0xff, v4
; %bb.1778:
	v_and_b32_e32 v5, 0x400000, v9
	v_and_or_b32 v9, 0x3fffff, v9, v4
	s_delay_alu instid0(VALU_DEP_2) | instskip(NEXT) | instid1(VALU_DEP_2)
	v_cmp_ne_u32_e32 vcc_lo, 0, v5
	v_cmp_ne_u32_e64 s0, 0, v9
	s_delay_alu instid0(VALU_DEP_1) | instskip(NEXT) | instid1(SALU_CYCLE_1)
	s_and_b32 s0, vcc_lo, s0
	v_cndmask_b32_e64 v5, 0, 1, s0
	s_delay_alu instid0(VALU_DEP_1)
	v_add_nc_u32_e32 v5, v4, v5
; %bb.1779:
	s_or_b32 exec_lo, exec_lo, s3
	s_mov_b32 s0, 0
	s_mov_b32 s3, -1
	global_store_b8 v[0:1], v5, off
.LBB352_1780:
	s_mov_b32 s6, 0
.LBB352_1781:
	s_delay_alu instid0(SALU_CYCLE_1)
	s_and_b32 vcc_lo, exec_lo, s6
	s_cbranch_vccz .LBB352_1784
; %bb.1782:
	v_cmp_eq_u16_e32 vcc_lo, 29, v6
	s_mov_b32 s0, -1
	s_cbranch_vccz .LBB352_1784
; %bb.1783:
	s_mov_b32 s0, 0
	s_delay_alu instid0(SALU_CYCLE_1)
	v_dual_mov_b32 v5, s0 :: v_dual_and_b32 v4, 0xffff, v2
	s_mov_b32 s3, -1
	global_store_b64 v[0:1], v[4:5], off
.LBB352_1784:
	s_mov_b32 s6, 0
.LBB352_1785:
	s_delay_alu instid0(SALU_CYCLE_1)
	s_and_b32 vcc_lo, exec_lo, s6
	s_cbranch_vccz .LBB352_1801
; %bb.1786:
	v_cmp_gt_i16_e32 vcc_lo, 27, v6
	s_mov_b32 s3, -1
	s_cbranch_vccnz .LBB352_1792
; %bb.1787:
	v_cmp_lt_i16_e32 vcc_lo, 27, v6
	s_cbranch_vccz .LBB352_1789
; %bb.1788:
	v_and_b32_e32 v4, 0xffff, v2
	s_mov_b32 s3, 0
	global_store_b32 v[0:1], v4, off
.LBB352_1789:
	s_and_not1_b32 vcc_lo, exec_lo, s3
	s_cbranch_vccnz .LBB352_1791
; %bb.1790:
	global_store_b16 v[0:1], v2, off
.LBB352_1791:
	s_mov_b32 s3, 0
.LBB352_1792:
	s_delay_alu instid0(SALU_CYCLE_1)
	s_and_not1_b32 vcc_lo, exec_lo, s3
	s_cbranch_vccnz .LBB352_1800
; %bb.1793:
	v_cvt_f32_ubyte0_e32 v5, v2
	v_mov_b32_e32 v9, 0x80
	s_mov_b32 s3, exec_lo
	s_delay_alu instid0(VALU_DEP_2)
	v_cmpx_gt_u32_e32 0x43800000, v5
	s_cbranch_execz .LBB352_1799
; %bb.1794:
	s_mov_b32 s6, 0
	s_mov_b32 s7, exec_lo
                                        ; implicit-def: $vgpr4
	v_cmpx_lt_u32_e32 0x3bffffff, v5
	s_xor_b32 s7, exec_lo, s7
	s_cbranch_execz .LBB352_2027
; %bb.1795:
	v_bfe_u32 v4, v5, 20, 1
	s_mov_b32 s6, exec_lo
	s_delay_alu instid0(VALU_DEP_1) | instskip(NEXT) | instid1(VALU_DEP_1)
	v_add3_u32 v4, v5, v4, 0x487ffff
                                        ; implicit-def: $vgpr5
	v_lshrrev_b32_e32 v4, 20, v4
	s_or_saveexec_b32 s7, s7
                                        ; implicit-def: $sgpr8
	s_delay_alu instid0(SALU_CYCLE_1)
	s_xor_b32 exec_lo, exec_lo, s7
	s_cbranch_execnz .LBB352_2028
.LBB352_1796:
	s_or_b32 exec_lo, exec_lo, s7
	v_mov_b32_e32 v9, s8
	s_and_saveexec_b32 s7, s6
.LBB352_1797:
	v_mov_b32_e32 v9, v4
.LBB352_1798:
	s_or_b32 exec_lo, exec_lo, s7
.LBB352_1799:
	s_delay_alu instid0(SALU_CYCLE_1)
	s_or_b32 exec_lo, exec_lo, s3
	global_store_b8 v[0:1], v9, off
.LBB352_1800:
	s_mov_b32 s3, -1
.LBB352_1801:
	s_mov_b32 s6, 0
.LBB352_1802:
	s_delay_alu instid0(SALU_CYCLE_1)
	s_and_b32 vcc_lo, exec_lo, s6
	s_cbranch_vccz .LBB352_1842
; %bb.1803:
	v_cmp_lt_i16_e32 vcc_lo, 22, v6
	s_mov_b32 s2, -1
	s_cbranch_vccz .LBB352_1835
; %bb.1804:
	v_cmp_gt_i16_e32 vcc_lo, 24, v6
	s_cbranch_vccnz .LBB352_1824
; %bb.1805:
	v_cmp_lt_i16_e32 vcc_lo, 24, v6
	s_cbranch_vccz .LBB352_1813
; %bb.1806:
	v_cvt_f32_ubyte0_e32 v5, v2
	v_mov_b32_e32 v9, 0x80
	s_mov_b32 s2, exec_lo
	s_delay_alu instid0(VALU_DEP_2)
	v_cmpx_gt_u32_e32 0x47800000, v5
	s_cbranch_execz .LBB352_1812
; %bb.1807:
	s_mov_b32 s3, 0
	s_mov_b32 s6, exec_lo
                                        ; implicit-def: $vgpr4
	v_cmpx_lt_u32_e32 0x37ffffff, v5
	s_xor_b32 s6, exec_lo, s6
	s_cbranch_execz .LBB352_2033
; %bb.1808:
	v_bfe_u32 v4, v5, 21, 1
	s_mov_b32 s3, exec_lo
	s_delay_alu instid0(VALU_DEP_1) | instskip(NEXT) | instid1(VALU_DEP_1)
	v_add3_u32 v4, v5, v4, 0x88fffff
                                        ; implicit-def: $vgpr5
	v_lshrrev_b32_e32 v4, 21, v4
	s_or_saveexec_b32 s6, s6
                                        ; implicit-def: $sgpr7
	s_delay_alu instid0(SALU_CYCLE_1)
	s_xor_b32 exec_lo, exec_lo, s6
	s_cbranch_execnz .LBB352_2034
.LBB352_1809:
	s_or_b32 exec_lo, exec_lo, s6
	v_mov_b32_e32 v9, s7
	s_and_saveexec_b32 s6, s3
.LBB352_1810:
	v_mov_b32_e32 v9, v4
.LBB352_1811:
	s_or_b32 exec_lo, exec_lo, s6
.LBB352_1812:
	s_delay_alu instid0(SALU_CYCLE_1)
	s_or_b32 exec_lo, exec_lo, s2
	s_mov_b32 s2, 0
	global_store_b8 v[0:1], v9, off
.LBB352_1813:
	s_and_b32 vcc_lo, exec_lo, s2
	s_cbranch_vccz .LBB352_1823
; %bb.1814:
	v_cvt_f32_ubyte0_e32 v5, v2
	s_mov_b32 s2, exec_lo
                                        ; implicit-def: $vgpr4
	s_delay_alu instid0(VALU_DEP_1)
	v_cmpx_gt_u32_e32 0x43f00000, v5
	s_xor_b32 s2, exec_lo, s2
	s_cbranch_execz .LBB352_1820
; %bb.1815:
	s_mov_b32 s3, exec_lo
                                        ; implicit-def: $vgpr4
	v_cmpx_lt_u32_e32 0x3c7fffff, v5
	s_xor_b32 s3, exec_lo, s3
; %bb.1816:
	v_bfe_u32 v4, v5, 20, 1
	s_delay_alu instid0(VALU_DEP_1) | instskip(NEXT) | instid1(VALU_DEP_1)
	v_add3_u32 v4, v5, v4, 0x407ffff
	v_and_b32_e32 v5, 0xff00000, v4
	v_lshrrev_b32_e32 v4, 20, v4
	s_delay_alu instid0(VALU_DEP_2) | instskip(NEXT) | instid1(VALU_DEP_2)
	v_cmp_ne_u32_e32 vcc_lo, 0x7f00000, v5
                                        ; implicit-def: $vgpr5
	v_cndmask_b32_e32 v4, 0x7e, v4, vcc_lo
; %bb.1817:
	s_and_not1_saveexec_b32 s3, s3
; %bb.1818:
	v_add_f32_e32 v4, 0x46800000, v5
; %bb.1819:
	s_or_b32 exec_lo, exec_lo, s3
                                        ; implicit-def: $vgpr5
.LBB352_1820:
	s_and_not1_saveexec_b32 s2, s2
; %bb.1821:
	v_mov_b32_e32 v4, 0x7f
	v_cmp_lt_u32_e32 vcc_lo, 0x7f800000, v5
	s_delay_alu instid0(VALU_DEP_2)
	v_cndmask_b32_e32 v4, 0x7e, v4, vcc_lo
; %bb.1822:
	s_or_b32 exec_lo, exec_lo, s2
	global_store_b8 v[0:1], v4, off
.LBB352_1823:
	s_mov_b32 s2, 0
.LBB352_1824:
	s_delay_alu instid0(SALU_CYCLE_1)
	s_and_not1_b32 vcc_lo, exec_lo, s2
	s_cbranch_vccnz .LBB352_1834
; %bb.1825:
	v_cvt_f32_ubyte0_e32 v5, v2
	s_mov_b32 s2, exec_lo
                                        ; implicit-def: $vgpr4
	s_delay_alu instid0(VALU_DEP_1)
	v_cmpx_gt_u32_e32 0x47800000, v5
	s_xor_b32 s2, exec_lo, s2
	s_cbranch_execz .LBB352_1831
; %bb.1826:
	s_mov_b32 s3, exec_lo
                                        ; implicit-def: $vgpr4
	v_cmpx_lt_u32_e32 0x387fffff, v5
	s_xor_b32 s3, exec_lo, s3
; %bb.1827:
	v_bfe_u32 v4, v5, 21, 1
	s_delay_alu instid0(VALU_DEP_1) | instskip(NEXT) | instid1(VALU_DEP_1)
	v_add3_u32 v4, v5, v4, 0x80fffff
                                        ; implicit-def: $vgpr5
	v_lshrrev_b32_e32 v4, 21, v4
; %bb.1828:
	s_and_not1_saveexec_b32 s3, s3
; %bb.1829:
	v_add_f32_e32 v4, 0x43000000, v5
; %bb.1830:
	s_or_b32 exec_lo, exec_lo, s3
                                        ; implicit-def: $vgpr5
.LBB352_1831:
	s_and_not1_saveexec_b32 s2, s2
; %bb.1832:
	v_mov_b32_e32 v4, 0x7f
	v_cmp_lt_u32_e32 vcc_lo, 0x7f800000, v5
	s_delay_alu instid0(VALU_DEP_2)
	v_cndmask_b32_e32 v4, 0x7c, v4, vcc_lo
; %bb.1833:
	s_or_b32 exec_lo, exec_lo, s2
	global_store_b8 v[0:1], v4, off
.LBB352_1834:
	s_mov_b32 s2, 0
	s_mov_b32 s3, -1
.LBB352_1835:
	s_and_not1_b32 vcc_lo, exec_lo, s2
	s_mov_b32 s2, 0
	s_cbranch_vccnz .LBB352_1842
; %bb.1836:
	v_cmp_lt_i16_e32 vcc_lo, 14, v6
	s_mov_b32 s2, -1
	s_cbranch_vccz .LBB352_1840
; %bb.1837:
	v_cmp_eq_u16_e32 vcc_lo, 15, v6
	s_mov_b32 s0, -1
	s_cbranch_vccz .LBB352_1839
; %bb.1838:
	v_cvt_f32_ubyte0_e32 v4, v2
	s_mov_b32 s0, 0
	s_mov_b32 s3, -1
	s_delay_alu instid0(VALU_DEP_1) | instskip(NEXT) | instid1(VALU_DEP_1)
	v_bfe_u32 v5, v4, 16, 1
	v_add3_u32 v4, v4, v5, 0x7fff
	global_store_d16_hi_b16 v[0:1], v4, off
.LBB352_1839:
	s_mov_b32 s2, 0
.LBB352_1840:
	s_delay_alu instid0(SALU_CYCLE_1)
	s_and_b32 vcc_lo, exec_lo, s2
	s_mov_b32 s2, 0
	s_cbranch_vccz .LBB352_1842
; %bb.1841:
	v_cmp_ne_u16_e64 s0, 11, v6
	s_mov_b32 s2, -1
.LBB352_1842:
	s_delay_alu instid0(VALU_DEP_1)
	s_and_b32 vcc_lo, exec_lo, s0
	s_cbranch_vccnz .LBB352_2031
; %bb.1843:
	s_and_not1_b32 vcc_lo, exec_lo, s2
	s_cbranch_vccnz .LBB352_1845
.LBB352_1844:
	v_cmp_ne_u16_e32 vcc_lo, 0, v2
	s_mov_b32 s3, -1
	v_cndmask_b32_e64 v4, 0, 1, vcc_lo
	global_store_b8 v[0:1], v4, off
.LBB352_1845:
	s_mov_b32 s0, 0
	s_branch .LBB352_1847
.LBB352_1846:
	s_mov_b32 s0, -1
	s_mov_b32 s3, 0
.LBB352_1847:
	s_and_b32 vcc_lo, exec_lo, s0
	s_cbranch_vccz .LBB352_1886
; %bb.1848:
	v_cmp_gt_i16_e32 vcc_lo, 5, v6
	s_mov_b32 s0, -1
	s_cbranch_vccnz .LBB352_1869
; %bb.1849:
	v_cmp_gt_i16_e32 vcc_lo, 8, v6
	s_cbranch_vccnz .LBB352_1859
; %bb.1850:
	v_cmp_gt_i16_e32 vcc_lo, 9, v6
	s_cbranch_vccnz .LBB352_1856
; %bb.1851:
	v_cmp_lt_i16_e32 vcc_lo, 9, v6
	s_cbranch_vccz .LBB352_1853
; %bb.1852:
	v_dual_mov_b32 v11, 0 :: v_dual_and_b32 v4, 0xffff, v2
	s_mov_b32 s0, 0
	s_delay_alu instid0(VALU_DEP_1) | instskip(NEXT) | instid1(VALU_DEP_2)
	v_cvt_f64_u32_e32 v[9:10], v4
	v_mov_b32_e32 v12, v11
	global_store_b128 v[0:1], v[9:12], off
.LBB352_1853:
	s_and_not1_b32 vcc_lo, exec_lo, s0
	s_cbranch_vccnz .LBB352_1855
; %bb.1854:
	v_cvt_f32_ubyte0_e32 v4, v2
	v_mov_b32_e32 v5, 0
	global_store_b64 v[0:1], v[4:5], off
.LBB352_1855:
	s_mov_b32 s0, 0
.LBB352_1856:
	s_delay_alu instid0(SALU_CYCLE_1)
	s_and_not1_b32 vcc_lo, exec_lo, s0
	s_cbranch_vccnz .LBB352_1858
; %bb.1857:
	v_cvt_f16_u16_e32 v4, v2
	s_delay_alu instid0(VALU_DEP_1)
	v_and_b32_e32 v4, 0xffff, v4
	global_store_b32 v[0:1], v4, off
.LBB352_1858:
	s_mov_b32 s0, 0
.LBB352_1859:
	s_delay_alu instid0(SALU_CYCLE_1)
	s_and_not1_b32 vcc_lo, exec_lo, s0
	s_cbranch_vccnz .LBB352_1868
; %bb.1860:
	v_cmp_gt_i16_e32 vcc_lo, 6, v6
	s_mov_b32 s0, -1
	s_cbranch_vccnz .LBB352_1866
; %bb.1861:
	v_cmp_lt_i16_e32 vcc_lo, 6, v6
	s_cbranch_vccz .LBB352_1863
; %bb.1862:
	v_and_b32_e32 v4, 0xffff, v2
	s_mov_b32 s0, 0
	s_delay_alu instid0(VALU_DEP_1)
	v_cvt_f64_u32_e32 v[4:5], v4
	global_store_b64 v[0:1], v[4:5], off
.LBB352_1863:
	s_and_not1_b32 vcc_lo, exec_lo, s0
	s_cbranch_vccnz .LBB352_1865
; %bb.1864:
	v_cvt_f32_ubyte0_e32 v4, v2
	global_store_b32 v[0:1], v4, off
.LBB352_1865:
	s_mov_b32 s0, 0
.LBB352_1866:
	s_delay_alu instid0(SALU_CYCLE_1)
	s_and_not1_b32 vcc_lo, exec_lo, s0
	s_cbranch_vccnz .LBB352_1868
; %bb.1867:
	v_cvt_f16_u16_e32 v4, v2
	global_store_b16 v[0:1], v4, off
.LBB352_1868:
	s_mov_b32 s0, 0
.LBB352_1869:
	s_delay_alu instid0(SALU_CYCLE_1)
	s_and_not1_b32 vcc_lo, exec_lo, s0
	s_cbranch_vccnz .LBB352_1885
; %bb.1870:
	v_cmp_gt_i16_e32 vcc_lo, 2, v6
	s_mov_b32 s0, -1
	s_cbranch_vccnz .LBB352_1880
; %bb.1871:
	v_cmp_gt_i16_e32 vcc_lo, 3, v6
	s_cbranch_vccnz .LBB352_1877
; %bb.1872:
	v_cmp_lt_i16_e32 vcc_lo, 3, v6
	v_and_b32_e32 v4, 0xffff, v2
	s_cbranch_vccz .LBB352_1874
; %bb.1873:
	s_mov_b32 s0, 0
	s_delay_alu instid0(SALU_CYCLE_1)
	v_mov_b32_e32 v5, s0
	global_store_b64 v[0:1], v[4:5], off
.LBB352_1874:
	s_and_not1_b32 vcc_lo, exec_lo, s0
	s_cbranch_vccnz .LBB352_1876
; %bb.1875:
	global_store_b32 v[0:1], v4, off
.LBB352_1876:
	s_mov_b32 s0, 0
.LBB352_1877:
	s_delay_alu instid0(SALU_CYCLE_1)
	s_and_not1_b32 vcc_lo, exec_lo, s0
	s_cbranch_vccnz .LBB352_1879
; %bb.1878:
	global_store_b16 v[0:1], v2, off
.LBB352_1879:
	s_mov_b32 s0, 0
.LBB352_1880:
	s_delay_alu instid0(SALU_CYCLE_1)
	s_and_not1_b32 vcc_lo, exec_lo, s0
	s_cbranch_vccnz .LBB352_1885
; %bb.1881:
	v_cmp_lt_i16_e32 vcc_lo, 0, v6
	s_mov_b32 s0, -1
	s_cbranch_vccz .LBB352_1883
; %bb.1882:
	s_mov_b32 s0, 0
	global_store_b8 v[0:1], v2, off
.LBB352_1883:
	s_and_not1_b32 vcc_lo, exec_lo, s0
	s_cbranch_vccnz .LBB352_1885
; %bb.1884:
	global_store_b8 v[0:1], v2, off
.LBB352_1885:
	s_mov_b32 s3, -1
.LBB352_1886:
	s_delay_alu instid0(SALU_CYCLE_1)
	s_and_not1_b32 vcc_lo, exec_lo, s3
	s_cbranch_vccnz .LBB352_1963
; %bb.1887:
	v_add_nc_u32_e32 v0, s1, v8
	v_and_b32_e32 v1, 0xff, v3
	v_cmp_gt_i16_e32 vcc_lo, 11, v6
	s_delay_alu instid0(VALU_DEP_3) | instskip(SKIP_1) | instid1(VALU_DEP_4)
	v_ashrrev_i32_e32 v3, 31, v0
	v_add_co_u32 v0, s0, s4, v0
	v_max_u16 v2, v1, v7
	s_delay_alu instid0(VALU_DEP_3)
	v_add_co_ci_u32_e64 v1, s0, s5, v3, s0
	s_cbranch_vccnz .LBB352_2008
; %bb.1888:
	v_cmp_lt_i16_e32 vcc_lo, 25, v6
	s_mov_b32 s2, -1
	s_mov_b32 s1, 0
	s_mov_b32 s0, 0
	s_cbranch_vccz .LBB352_1921
; %bb.1889:
	v_cmp_lt_i16_e32 vcc_lo, 28, v6
	s_cbranch_vccz .LBB352_1905
; %bb.1890:
	v_cmp_lt_i16_e32 vcc_lo, 43, v6
	;; [unrolled: 3-line block ×3, first 2 shown]
	s_cbranch_vccz .LBB352_1895
; %bb.1892:
	v_cmp_eq_u16_e32 vcc_lo, 46, v6
	s_mov_b32 s0, -1
	s_cbranch_vccz .LBB352_1894
; %bb.1893:
	v_cvt_f32_ubyte0_e32 v3, v2
	s_mov_b32 s0, 0
	s_delay_alu instid0(VALU_DEP_1) | instskip(NEXT) | instid1(VALU_DEP_1)
	v_bfe_u32 v4, v3, 16, 1
	v_add3_u32 v3, v3, v4, 0x7fff
	s_delay_alu instid0(VALU_DEP_1)
	v_lshrrev_b32_e32 v3, 16, v3
	global_store_b32 v[0:1], v3, off
.LBB352_1894:
	s_mov_b32 s2, 0
.LBB352_1895:
	s_delay_alu instid0(SALU_CYCLE_1)
	s_and_b32 vcc_lo, exec_lo, s2
	s_cbranch_vccz .LBB352_1900
; %bb.1896:
	v_cmp_eq_u16_e32 vcc_lo, 44, v6
	s_mov_b32 s0, -1
	s_cbranch_vccz .LBB352_1900
; %bb.1897:
	v_cvt_f32_ubyte0_e32 v5, v2
	v_mov_b32_e32 v4, 0xff
	s_mov_b32 s2, exec_lo
	s_delay_alu instid0(VALU_DEP_2) | instskip(NEXT) | instid1(VALU_DEP_1)
	v_lshrrev_b32_e32 v3, 23, v5
	v_cmpx_ne_u32_e32 0xff, v3
; %bb.1898:
	v_and_b32_e32 v4, 0x400000, v5
	v_and_or_b32 v5, 0x3fffff, v5, v3
	s_delay_alu instid0(VALU_DEP_2) | instskip(NEXT) | instid1(VALU_DEP_2)
	v_cmp_ne_u32_e32 vcc_lo, 0, v4
	v_cmp_ne_u32_e64 s0, 0, v5
	s_delay_alu instid0(VALU_DEP_1) | instskip(NEXT) | instid1(SALU_CYCLE_1)
	s_and_b32 s0, vcc_lo, s0
	v_cndmask_b32_e64 v4, 0, 1, s0
	s_delay_alu instid0(VALU_DEP_1)
	v_add_nc_u32_e32 v4, v3, v4
; %bb.1899:
	s_or_b32 exec_lo, exec_lo, s2
	s_mov_b32 s0, 0
	global_store_b8 v[0:1], v4, off
.LBB352_1900:
	s_mov_b32 s2, 0
.LBB352_1901:
	s_delay_alu instid0(SALU_CYCLE_1)
	s_and_b32 vcc_lo, exec_lo, s2
	s_cbranch_vccz .LBB352_1904
; %bb.1902:
	v_cmp_eq_u16_e32 vcc_lo, 29, v6
	s_mov_b32 s0, -1
	s_cbranch_vccz .LBB352_1904
; %bb.1903:
	s_mov_b32 s0, 0
	s_delay_alu instid0(SALU_CYCLE_1)
	v_dual_mov_b32 v4, s0 :: v_dual_and_b32 v3, 0xffff, v2
	global_store_b64 v[0:1], v[3:4], off
.LBB352_1904:
	s_mov_b32 s2, 0
.LBB352_1905:
	s_delay_alu instid0(SALU_CYCLE_1)
	s_and_b32 vcc_lo, exec_lo, s2
	s_cbranch_vccz .LBB352_1920
; %bb.1906:
	v_cmp_gt_i16_e32 vcc_lo, 27, v6
	s_mov_b32 s2, -1
	s_cbranch_vccnz .LBB352_1912
; %bb.1907:
	v_cmp_lt_i16_e32 vcc_lo, 27, v6
	s_cbranch_vccz .LBB352_1909
; %bb.1908:
	v_and_b32_e32 v3, 0xffff, v2
	s_mov_b32 s2, 0
	global_store_b32 v[0:1], v3, off
.LBB352_1909:
	s_and_not1_b32 vcc_lo, exec_lo, s2
	s_cbranch_vccnz .LBB352_1911
; %bb.1910:
	global_store_b16 v[0:1], v2, off
.LBB352_1911:
	s_mov_b32 s2, 0
.LBB352_1912:
	s_delay_alu instid0(SALU_CYCLE_1)
	s_and_not1_b32 vcc_lo, exec_lo, s2
	s_cbranch_vccnz .LBB352_1920
; %bb.1913:
	v_cvt_f32_ubyte0_e32 v4, v2
	v_mov_b32_e32 v5, 0x80
	s_mov_b32 s2, exec_lo
	s_delay_alu instid0(VALU_DEP_2)
	v_cmpx_gt_u32_e32 0x43800000, v4
	s_cbranch_execz .LBB352_1919
; %bb.1914:
	s_mov_b32 s3, 0
	s_mov_b32 s4, exec_lo
                                        ; implicit-def: $vgpr3
	v_cmpx_lt_u32_e32 0x3bffffff, v4
	s_xor_b32 s4, exec_lo, s4
	s_cbranch_execz .LBB352_2035
; %bb.1915:
	v_bfe_u32 v3, v4, 20, 1
	s_mov_b32 s3, exec_lo
	s_delay_alu instid0(VALU_DEP_1) | instskip(NEXT) | instid1(VALU_DEP_1)
	v_add3_u32 v3, v4, v3, 0x487ffff
                                        ; implicit-def: $vgpr4
	v_lshrrev_b32_e32 v3, 20, v3
	s_or_saveexec_b32 s4, s4
                                        ; implicit-def: $sgpr5
	s_delay_alu instid0(SALU_CYCLE_1)
	s_xor_b32 exec_lo, exec_lo, s4
	s_cbranch_execnz .LBB352_2036
.LBB352_1916:
	s_or_b32 exec_lo, exec_lo, s4
	v_mov_b32_e32 v5, s5
	s_and_saveexec_b32 s4, s3
.LBB352_1917:
	v_mov_b32_e32 v5, v3
.LBB352_1918:
	s_or_b32 exec_lo, exec_lo, s4
.LBB352_1919:
	s_delay_alu instid0(SALU_CYCLE_1)
	s_or_b32 exec_lo, exec_lo, s2
	global_store_b8 v[0:1], v5, off
.LBB352_1920:
	s_mov_b32 s2, 0
.LBB352_1921:
	s_delay_alu instid0(SALU_CYCLE_1)
	s_and_b32 vcc_lo, exec_lo, s2
	s_cbranch_vccz .LBB352_1961
; %bb.1922:
	v_cmp_lt_i16_e32 vcc_lo, 22, v6
	s_mov_b32 s1, -1
	s_cbranch_vccz .LBB352_1954
; %bb.1923:
	v_cmp_gt_i16_e32 vcc_lo, 24, v6
	s_cbranch_vccnz .LBB352_1943
; %bb.1924:
	v_cmp_lt_i16_e32 vcc_lo, 24, v6
	s_cbranch_vccz .LBB352_1932
; %bb.1925:
	v_cvt_f32_ubyte0_e32 v4, v2
	v_mov_b32_e32 v5, 0x80
	s_mov_b32 s1, exec_lo
	s_delay_alu instid0(VALU_DEP_2)
	v_cmpx_gt_u32_e32 0x47800000, v4
	s_cbranch_execz .LBB352_1931
; %bb.1926:
	s_mov_b32 s2, 0
	s_mov_b32 s3, exec_lo
                                        ; implicit-def: $vgpr3
	v_cmpx_lt_u32_e32 0x37ffffff, v4
	s_xor_b32 s3, exec_lo, s3
	s_cbranch_execz .LBB352_2041
; %bb.1927:
	v_bfe_u32 v3, v4, 21, 1
	s_mov_b32 s2, exec_lo
	s_delay_alu instid0(VALU_DEP_1) | instskip(NEXT) | instid1(VALU_DEP_1)
	v_add3_u32 v3, v4, v3, 0x88fffff
                                        ; implicit-def: $vgpr4
	v_lshrrev_b32_e32 v3, 21, v3
	s_or_saveexec_b32 s3, s3
                                        ; implicit-def: $sgpr4
	s_delay_alu instid0(SALU_CYCLE_1)
	s_xor_b32 exec_lo, exec_lo, s3
	s_cbranch_execnz .LBB352_2042
.LBB352_1928:
	s_or_b32 exec_lo, exec_lo, s3
	v_mov_b32_e32 v5, s4
	s_and_saveexec_b32 s3, s2
.LBB352_1929:
	v_mov_b32_e32 v5, v3
.LBB352_1930:
	s_or_b32 exec_lo, exec_lo, s3
.LBB352_1931:
	s_delay_alu instid0(SALU_CYCLE_1)
	s_or_b32 exec_lo, exec_lo, s1
	s_mov_b32 s1, 0
	global_store_b8 v[0:1], v5, off
.LBB352_1932:
	s_and_b32 vcc_lo, exec_lo, s1
	s_cbranch_vccz .LBB352_1942
; %bb.1933:
	v_cvt_f32_ubyte0_e32 v4, v2
	s_mov_b32 s1, exec_lo
                                        ; implicit-def: $vgpr3
	s_delay_alu instid0(VALU_DEP_1)
	v_cmpx_gt_u32_e32 0x43f00000, v4
	s_xor_b32 s1, exec_lo, s1
	s_cbranch_execz .LBB352_1939
; %bb.1934:
	s_mov_b32 s2, exec_lo
                                        ; implicit-def: $vgpr3
	v_cmpx_lt_u32_e32 0x3c7fffff, v4
	s_xor_b32 s2, exec_lo, s2
; %bb.1935:
	v_bfe_u32 v3, v4, 20, 1
	s_delay_alu instid0(VALU_DEP_1) | instskip(NEXT) | instid1(VALU_DEP_1)
	v_add3_u32 v3, v4, v3, 0x407ffff
	v_and_b32_e32 v4, 0xff00000, v3
	v_lshrrev_b32_e32 v3, 20, v3
	s_delay_alu instid0(VALU_DEP_2) | instskip(NEXT) | instid1(VALU_DEP_2)
	v_cmp_ne_u32_e32 vcc_lo, 0x7f00000, v4
                                        ; implicit-def: $vgpr4
	v_cndmask_b32_e32 v3, 0x7e, v3, vcc_lo
; %bb.1936:
	s_and_not1_saveexec_b32 s2, s2
; %bb.1937:
	v_add_f32_e32 v3, 0x46800000, v4
; %bb.1938:
	s_or_b32 exec_lo, exec_lo, s2
                                        ; implicit-def: $vgpr4
.LBB352_1939:
	s_and_not1_saveexec_b32 s1, s1
; %bb.1940:
	v_mov_b32_e32 v3, 0x7f
	v_cmp_lt_u32_e32 vcc_lo, 0x7f800000, v4
	s_delay_alu instid0(VALU_DEP_2)
	v_cndmask_b32_e32 v3, 0x7e, v3, vcc_lo
; %bb.1941:
	s_or_b32 exec_lo, exec_lo, s1
	global_store_b8 v[0:1], v3, off
.LBB352_1942:
	s_mov_b32 s1, 0
.LBB352_1943:
	s_delay_alu instid0(SALU_CYCLE_1)
	s_and_not1_b32 vcc_lo, exec_lo, s1
	s_cbranch_vccnz .LBB352_1953
; %bb.1944:
	v_cvt_f32_ubyte0_e32 v4, v2
	s_mov_b32 s1, exec_lo
                                        ; implicit-def: $vgpr3
	s_delay_alu instid0(VALU_DEP_1)
	v_cmpx_gt_u32_e32 0x47800000, v4
	s_xor_b32 s1, exec_lo, s1
	s_cbranch_execz .LBB352_1950
; %bb.1945:
	s_mov_b32 s2, exec_lo
                                        ; implicit-def: $vgpr3
	v_cmpx_lt_u32_e32 0x387fffff, v4
	s_xor_b32 s2, exec_lo, s2
; %bb.1946:
	v_bfe_u32 v3, v4, 21, 1
	s_delay_alu instid0(VALU_DEP_1) | instskip(NEXT) | instid1(VALU_DEP_1)
	v_add3_u32 v3, v4, v3, 0x80fffff
                                        ; implicit-def: $vgpr4
	v_lshrrev_b32_e32 v3, 21, v3
; %bb.1947:
	s_and_not1_saveexec_b32 s2, s2
; %bb.1948:
	v_add_f32_e32 v3, 0x43000000, v4
; %bb.1949:
	s_or_b32 exec_lo, exec_lo, s2
                                        ; implicit-def: $vgpr4
.LBB352_1950:
	s_and_not1_saveexec_b32 s1, s1
; %bb.1951:
	v_mov_b32_e32 v3, 0x7f
	v_cmp_lt_u32_e32 vcc_lo, 0x7f800000, v4
	s_delay_alu instid0(VALU_DEP_2)
	v_cndmask_b32_e32 v3, 0x7c, v3, vcc_lo
; %bb.1952:
	s_or_b32 exec_lo, exec_lo, s1
	global_store_b8 v[0:1], v3, off
.LBB352_1953:
	s_mov_b32 s1, 0
.LBB352_1954:
	s_delay_alu instid0(SALU_CYCLE_1)
	s_and_not1_b32 vcc_lo, exec_lo, s1
	s_mov_b32 s1, 0
	s_cbranch_vccnz .LBB352_1961
; %bb.1955:
	v_cmp_lt_i16_e32 vcc_lo, 14, v6
	s_mov_b32 s1, -1
	s_cbranch_vccz .LBB352_1959
; %bb.1956:
	v_cmp_eq_u16_e32 vcc_lo, 15, v6
	s_mov_b32 s0, -1
	s_cbranch_vccz .LBB352_1958
; %bb.1957:
	v_cvt_f32_ubyte0_e32 v3, v2
	s_mov_b32 s0, 0
	s_delay_alu instid0(VALU_DEP_1) | instskip(NEXT) | instid1(VALU_DEP_1)
	v_bfe_u32 v4, v3, 16, 1
	v_add3_u32 v3, v3, v4, 0x7fff
	global_store_d16_hi_b16 v[0:1], v3, off
.LBB352_1958:
	s_mov_b32 s1, 0
.LBB352_1959:
	s_delay_alu instid0(SALU_CYCLE_1)
	s_and_b32 vcc_lo, exec_lo, s1
	s_mov_b32 s1, 0
	s_cbranch_vccz .LBB352_1961
; %bb.1960:
	v_cmp_ne_u16_e64 s0, 11, v6
	s_mov_b32 s1, -1
.LBB352_1961:
	s_delay_alu instid0(VALU_DEP_1)
	s_and_b32 vcc_lo, exec_lo, s0
	s_cbranch_vccnz .LBB352_2039
.LBB352_1962:
	s_mov_b32 s0, 0
	s_branch .LBB352_1964
.LBB352_1963:
	s_mov_b32 s0, 0
	s_mov_b32 s1, 0
                                        ; implicit-def: $vgpr6
                                        ; implicit-def: $vgpr0_vgpr1
                                        ; implicit-def: $vgpr2
.LBB352_1964:
	s_and_not1_b32 s2, s12, exec_lo
	s_and_b32 s3, s9, exec_lo
	s_and_b32 s0, s0, exec_lo
	;; [unrolled: 1-line block ×3, first 2 shown]
	s_or_b32 s12, s2, s3
.LBB352_1965:
	s_or_b32 exec_lo, exec_lo, s11
	s_and_saveexec_b32 s1, s12
	s_cbranch_execz .LBB352_1968
; %bb.1966:
	; divergent unreachable
	s_or_b32 exec_lo, exec_lo, s1
	s_and_saveexec_b32 s1, s9
	s_delay_alu instid0(SALU_CYCLE_1)
	s_xor_b32 s1, exec_lo, s1
	s_cbranch_execnz .LBB352_1969
.LBB352_1967:
	s_or_b32 exec_lo, exec_lo, s1
	s_and_saveexec_b32 s1, s0
	s_cbranch_execnz .LBB352_1970
	s_branch .LBB352_2007
.LBB352_1968:
	s_or_b32 exec_lo, exec_lo, s1
	s_and_saveexec_b32 s1, s9
	s_delay_alu instid0(SALU_CYCLE_1)
	s_xor_b32 s1, exec_lo, s1
	s_cbranch_execz .LBB352_1967
.LBB352_1969:
	s_waitcnt vmcnt(0)
	v_and_b32_e32 v3, 0xff, v2
	s_delay_alu instid0(VALU_DEP_1)
	v_cmp_ne_u16_e32 vcc_lo, 0, v3
	v_cndmask_b32_e64 v3, 0, 1, vcc_lo
	global_store_b8 v[0:1], v3, off
	s_or_b32 exec_lo, exec_lo, s1
	s_and_saveexec_b32 s1, s0
	s_cbranch_execz .LBB352_2007
.LBB352_1970:
	v_cmp_gt_i16_e32 vcc_lo, 5, v6
	s_mov_b32 s0, -1
	s_cbranch_vccnz .LBB352_1991
; %bb.1971:
	v_cmp_gt_i16_e32 vcc_lo, 8, v6
	s_cbranch_vccnz .LBB352_1981
; %bb.1972:
	v_cmp_gt_i16_e32 vcc_lo, 9, v6
	s_cbranch_vccnz .LBB352_1978
; %bb.1973:
	v_cmp_lt_i16_e32 vcc_lo, 9, v6
	s_cbranch_vccz .LBB352_1975
; %bb.1974:
	v_mov_b32_e32 v9, 0
	s_waitcnt vmcnt(0)
	v_and_b32_e32 v3, 0xff, v2
	s_mov_b32 s0, 0
	s_delay_alu instid0(VALU_DEP_1) | instskip(NEXT) | instid1(VALU_DEP_1)
	v_dual_mov_b32 v10, v9 :: v_dual_and_b32 v3, 0xffff, v3
	v_cvt_f64_u32_e32 v[7:8], v3
	global_store_b128 v[0:1], v[7:10], off
.LBB352_1975:
	s_and_not1_b32 vcc_lo, exec_lo, s0
	s_cbranch_vccnz .LBB352_1977
; %bb.1976:
	s_waitcnt vmcnt(0)
	v_cvt_f32_ubyte0_e32 v3, v2
	v_mov_b32_e32 v4, 0
	global_store_b64 v[0:1], v[3:4], off
.LBB352_1977:
	s_mov_b32 s0, 0
.LBB352_1978:
	s_delay_alu instid0(SALU_CYCLE_1)
	s_and_not1_b32 vcc_lo, exec_lo, s0
	s_cbranch_vccnz .LBB352_1980
; %bb.1979:
	s_waitcnt vmcnt(0)
	v_and_b32_e32 v3, 0xff, v2
	s_delay_alu instid0(VALU_DEP_1) | instskip(NEXT) | instid1(VALU_DEP_1)
	v_cvt_f16_u16_e32 v3, v3
	v_and_b32_e32 v3, 0xffff, v3
	global_store_b32 v[0:1], v3, off
.LBB352_1980:
	s_mov_b32 s0, 0
.LBB352_1981:
	s_delay_alu instid0(SALU_CYCLE_1)
	s_and_not1_b32 vcc_lo, exec_lo, s0
	s_cbranch_vccnz .LBB352_1990
; %bb.1982:
	v_cmp_gt_i16_e32 vcc_lo, 6, v6
	s_mov_b32 s0, -1
	s_cbranch_vccnz .LBB352_1988
; %bb.1983:
	v_cmp_lt_i16_e32 vcc_lo, 6, v6
	s_cbranch_vccz .LBB352_1985
; %bb.1984:
	s_waitcnt vmcnt(0)
	v_and_b32_e32 v3, 0xff, v2
	s_mov_b32 s0, 0
	s_delay_alu instid0(VALU_DEP_1) | instskip(NEXT) | instid1(VALU_DEP_1)
	v_and_b32_e32 v3, 0xffff, v3
	v_cvt_f64_u32_e32 v[3:4], v3
	global_store_b64 v[0:1], v[3:4], off
.LBB352_1985:
	s_and_not1_b32 vcc_lo, exec_lo, s0
	s_cbranch_vccnz .LBB352_1987
; %bb.1986:
	s_waitcnt vmcnt(0)
	v_cvt_f32_ubyte0_e32 v3, v2
	global_store_b32 v[0:1], v3, off
.LBB352_1987:
	s_mov_b32 s0, 0
.LBB352_1988:
	s_delay_alu instid0(SALU_CYCLE_1)
	s_and_not1_b32 vcc_lo, exec_lo, s0
	s_cbranch_vccnz .LBB352_1990
; %bb.1989:
	s_waitcnt vmcnt(0)
	v_and_b32_e32 v3, 0xff, v2
	s_delay_alu instid0(VALU_DEP_1)
	v_cvt_f16_u16_e32 v3, v3
	global_store_b16 v[0:1], v3, off
.LBB352_1990:
	s_mov_b32 s0, 0
.LBB352_1991:
	s_delay_alu instid0(SALU_CYCLE_1)
	s_and_not1_b32 vcc_lo, exec_lo, s0
	s_cbranch_vccnz .LBB352_2007
; %bb.1992:
	v_cmp_gt_i16_e32 vcc_lo, 2, v6
	s_mov_b32 s0, -1
	s_cbranch_vccnz .LBB352_2002
; %bb.1993:
	v_cmp_gt_i16_e32 vcc_lo, 3, v6
	s_cbranch_vccnz .LBB352_1999
; %bb.1994:
	v_cmp_lt_i16_e32 vcc_lo, 3, v6
	s_cbranch_vccz .LBB352_1996
; %bb.1995:
	s_waitcnt vmcnt(0)
	v_dual_mov_b32 v4, 0 :: v_dual_and_b32 v3, 0xff, v2
	s_mov_b32 s0, 0
	global_store_b64 v[0:1], v[3:4], off
.LBB352_1996:
	s_and_not1_b32 vcc_lo, exec_lo, s0
	s_cbranch_vccnz .LBB352_1998
; %bb.1997:
	s_waitcnt vmcnt(0)
	v_and_b32_e32 v3, 0xff, v2
	global_store_b32 v[0:1], v3, off
.LBB352_1998:
	s_mov_b32 s0, 0
.LBB352_1999:
	s_delay_alu instid0(SALU_CYCLE_1)
	s_and_not1_b32 vcc_lo, exec_lo, s0
	s_cbranch_vccnz .LBB352_2001
; %bb.2000:
	s_waitcnt vmcnt(0)
	v_and_b32_e32 v3, 0xff, v2
	global_store_b16 v[0:1], v3, off
.LBB352_2001:
	s_mov_b32 s0, 0
.LBB352_2002:
	s_delay_alu instid0(SALU_CYCLE_1)
	s_and_not1_b32 vcc_lo, exec_lo, s0
	s_cbranch_vccnz .LBB352_2007
; %bb.2003:
	v_cmp_lt_i16_e32 vcc_lo, 0, v6
	s_mov_b32 s0, -1
	s_cbranch_vccz .LBB352_2005
; %bb.2004:
	s_mov_b32 s0, 0
	s_waitcnt vmcnt(0)
	global_store_b8 v[0:1], v2, off
.LBB352_2005:
	s_and_not1_b32 vcc_lo, exec_lo, s0
	s_cbranch_vccnz .LBB352_2007
; %bb.2006:
	s_waitcnt vmcnt(0)
	global_store_b8 v[0:1], v2, off
	s_nop 0
	s_sendmsg sendmsg(MSG_DEALLOC_VGPRS)
	s_endpgm
.LBB352_2007:
	s_nop 0
	s_sendmsg sendmsg(MSG_DEALLOC_VGPRS)
	s_endpgm
.LBB352_2008:
	s_mov_b32 s1, 0
	s_mov_b32 s0, -1
	s_branch .LBB352_1964
.LBB352_2009:
	s_cbranch_execnz .LBB352_2013
; %bb.2010:
	s_or_b32 s9, s9, exec_lo
                                        ; implicit-def: $vgpr3
	s_cbranch_execz .LBB352_1478
	s_branch .LBB352_1479
.LBB352_2011:
	s_or_saveexec_b32 s7, s7
                                        ; implicit-def: $sgpr8
	s_delay_alu instid0(SALU_CYCLE_1)
	s_xor_b32 exec_lo, exec_lo, s7
	s_cbranch_execz .LBB352_1558
.LBB352_2012:
	v_add_f32_e32 v9, 0x46000000, v10
	s_and_not1_b32 s6, s6, exec_lo
	s_mov_b32 s8, 0
	s_delay_alu instid0(VALU_DEP_1) | instskip(NEXT) | instid1(VALU_DEP_1)
	v_and_b32_e32 v9, 0xff, v9
	v_cmp_ne_u32_e32 vcc_lo, 0, v9
	s_and_b32 s10, vcc_lo, exec_lo
	s_delay_alu instid0(SALU_CYCLE_1)
	s_or_b32 s6, s6, s10
	s_or_b32 exec_lo, exec_lo, s7
	v_mov_b32_e32 v11, s8
	s_and_saveexec_b32 s7, s6
	s_cbranch_execnz .LBB352_1559
	s_branch .LBB352_1560
.LBB352_2013:
	s_trap 2
	s_sendmsg_rtn_b32 s0, sendmsg(MSG_RTN_GET_DOORBELL)
	s_mov_b32 ttmp2, m0
	s_waitcnt lgkmcnt(0)
	s_and_b32 s0, s0, 0x3ff
	s_delay_alu instid0(SALU_CYCLE_1) | instskip(NEXT) | instid1(SALU_CYCLE_1)
	s_bitset1_b32 s0, 10
	s_mov_b32 m0, s0
	s_sendmsg sendmsg(MSG_INTERRUPT)
	s_mov_b32 m0, ttmp2
.LBB352_2014:                           ; =>This Inner Loop Header: Depth=1
	s_sethalt 5
	s_branch .LBB352_2014
.LBB352_2015:
	s_cbranch_execnz .LBB352_2021
; %bb.2016:
	s_or_b32 s9, s9, exec_lo
	s_cbranch_execz .LBB352_1606
	s_branch .LBB352_1607
.LBB352_2017:
	s_or_saveexec_b32 s6, s6
                                        ; implicit-def: $sgpr7
	s_delay_alu instid0(SALU_CYCLE_1)
	s_xor_b32 exec_lo, exec_lo, s6
	s_cbranch_execz .LBB352_1571
.LBB352_2018:
	v_add_f32_e32 v9, 0x42800000, v10
	s_and_not1_b32 s3, s3, exec_lo
	s_mov_b32 s7, 0
	s_delay_alu instid0(VALU_DEP_1) | instskip(NEXT) | instid1(VALU_DEP_1)
	v_and_b32_e32 v9, 0xff, v9
	v_cmp_ne_u32_e32 vcc_lo, 0, v9
	s_and_b32 s8, vcc_lo, exec_lo
	s_delay_alu instid0(SALU_CYCLE_1)
	s_or_b32 s3, s3, s8
	s_or_b32 exec_lo, exec_lo, s6
	v_mov_b32_e32 v11, s7
	s_and_saveexec_b32 s6, s3
	s_cbranch_execnz .LBB352_1572
	s_branch .LBB352_1573
.LBB352_2019:
	s_or_saveexec_b32 s7, s7
                                        ; implicit-def: $sgpr8
	s_delay_alu instid0(SALU_CYCLE_1)
	s_xor_b32 exec_lo, exec_lo, s7
	s_cbranch_execz .LBB352_1677
.LBB352_2020:
	v_add_f32_e32 v4, 0x46000000, v5
	s_and_not1_b32 s6, s6, exec_lo
	s_mov_b32 s8, 0
	s_delay_alu instid0(VALU_DEP_1) | instskip(NEXT) | instid1(VALU_DEP_1)
	v_and_b32_e32 v4, 0xff, v4
	v_cmp_ne_u32_e32 vcc_lo, 0, v4
	s_and_b32 s10, vcc_lo, exec_lo
	s_delay_alu instid0(SALU_CYCLE_1)
	s_or_b32 s6, s6, s10
	s_or_b32 exec_lo, exec_lo, s7
	v_mov_b32_e32 v10, s8
	s_and_saveexec_b32 s7, s6
	s_cbranch_execnz .LBB352_1678
	s_branch .LBB352_1679
.LBB352_2021:
	s_trap 2
	s_sendmsg_rtn_b32 s0, sendmsg(MSG_RTN_GET_DOORBELL)
	s_mov_b32 ttmp2, m0
	s_waitcnt lgkmcnt(0)
	s_and_b32 s0, s0, 0x3ff
	s_delay_alu instid0(SALU_CYCLE_1) | instskip(NEXT) | instid1(SALU_CYCLE_1)
	s_bitset1_b32 s0, 10
	s_mov_b32 m0, s0
	s_sendmsg sendmsg(MSG_INTERRUPT)
	s_mov_b32 m0, ttmp2
.LBB352_2022:                           ; =>This Inner Loop Header: Depth=1
	s_sethalt 5
	s_branch .LBB352_2022
.LBB352_2023:
	s_cbranch_execnz .LBB352_2029
; %bb.2024:
	s_or_b32 s9, s9, exec_lo
	s_cbranch_execz .LBB352_1725
	s_branch .LBB352_1726
.LBB352_2025:
	s_or_saveexec_b32 s6, s6
                                        ; implicit-def: $sgpr7
	s_delay_alu instid0(SALU_CYCLE_1)
	s_xor_b32 exec_lo, exec_lo, s6
	s_cbranch_execz .LBB352_1690
.LBB352_2026:
	v_add_f32_e32 v4, 0x42800000, v5
	s_and_not1_b32 s3, s3, exec_lo
	s_mov_b32 s7, 0
	s_delay_alu instid0(VALU_DEP_1) | instskip(NEXT) | instid1(VALU_DEP_1)
	v_and_b32_e32 v4, 0xff, v4
	v_cmp_ne_u32_e32 vcc_lo, 0, v4
	s_and_b32 s8, vcc_lo, exec_lo
	s_delay_alu instid0(SALU_CYCLE_1)
	s_or_b32 s3, s3, s8
	s_or_b32 exec_lo, exec_lo, s6
	v_mov_b32_e32 v10, s7
	s_and_saveexec_b32 s6, s3
	s_cbranch_execnz .LBB352_1691
	s_branch .LBB352_1692
.LBB352_2027:
	s_or_saveexec_b32 s7, s7
                                        ; implicit-def: $sgpr8
	s_delay_alu instid0(SALU_CYCLE_1)
	s_xor_b32 exec_lo, exec_lo, s7
	s_cbranch_execz .LBB352_1796
.LBB352_2028:
	v_add_f32_e32 v4, 0x46000000, v5
	s_and_not1_b32 s6, s6, exec_lo
	s_mov_b32 s8, 0
	s_delay_alu instid0(VALU_DEP_1) | instskip(NEXT) | instid1(VALU_DEP_1)
	v_and_b32_e32 v4, 0xff, v4
	v_cmp_ne_u32_e32 vcc_lo, 0, v4
	s_and_b32 s10, vcc_lo, exec_lo
	s_delay_alu instid0(SALU_CYCLE_1)
	s_or_b32 s6, s6, s10
	s_or_b32 exec_lo, exec_lo, s7
	v_mov_b32_e32 v9, s8
	s_and_saveexec_b32 s7, s6
	s_cbranch_execnz .LBB352_1797
	s_branch .LBB352_1798
.LBB352_2029:
	s_trap 2
	s_sendmsg_rtn_b32 s0, sendmsg(MSG_RTN_GET_DOORBELL)
	s_mov_b32 ttmp2, m0
	s_waitcnt lgkmcnt(0)
	s_and_b32 s0, s0, 0x3ff
	s_delay_alu instid0(SALU_CYCLE_1) | instskip(NEXT) | instid1(SALU_CYCLE_1)
	s_bitset1_b32 s0, 10
	s_mov_b32 m0, s0
	s_sendmsg sendmsg(MSG_INTERRUPT)
	s_mov_b32 m0, ttmp2
.LBB352_2030:                           ; =>This Inner Loop Header: Depth=1
	s_sethalt 5
	s_branch .LBB352_2030
.LBB352_2031:
	s_cbranch_execnz .LBB352_2037
; %bb.2032:
	s_or_b32 s9, s9, exec_lo
	s_cbranch_execz .LBB352_1844
	s_branch .LBB352_1845
.LBB352_2033:
	s_or_saveexec_b32 s6, s6
                                        ; implicit-def: $sgpr7
	s_delay_alu instid0(SALU_CYCLE_1)
	s_xor_b32 exec_lo, exec_lo, s6
	s_cbranch_execz .LBB352_1809
.LBB352_2034:
	v_add_f32_e32 v4, 0x42800000, v5
	s_and_not1_b32 s3, s3, exec_lo
	s_mov_b32 s7, 0
	s_delay_alu instid0(VALU_DEP_1) | instskip(NEXT) | instid1(VALU_DEP_1)
	v_and_b32_e32 v4, 0xff, v4
	v_cmp_ne_u32_e32 vcc_lo, 0, v4
	s_and_b32 s8, vcc_lo, exec_lo
	s_delay_alu instid0(SALU_CYCLE_1)
	s_or_b32 s3, s3, s8
	s_or_b32 exec_lo, exec_lo, s6
	v_mov_b32_e32 v9, s7
	s_and_saveexec_b32 s6, s3
	s_cbranch_execnz .LBB352_1810
	s_branch .LBB352_1811
.LBB352_2035:
	s_or_saveexec_b32 s4, s4
                                        ; implicit-def: $sgpr5
	s_delay_alu instid0(SALU_CYCLE_1)
	s_xor_b32 exec_lo, exec_lo, s4
	s_cbranch_execz .LBB352_1916
.LBB352_2036:
	v_add_f32_e32 v3, 0x46000000, v4
	s_and_not1_b32 s3, s3, exec_lo
	s_mov_b32 s5, 0
	s_delay_alu instid0(VALU_DEP_1) | instskip(NEXT) | instid1(VALU_DEP_1)
	v_and_b32_e32 v3, 0xff, v3
	v_cmp_ne_u32_e32 vcc_lo, 0, v3
	s_and_b32 s6, vcc_lo, exec_lo
	s_delay_alu instid0(SALU_CYCLE_1)
	s_or_b32 s3, s3, s6
	s_or_b32 exec_lo, exec_lo, s4
	v_mov_b32_e32 v5, s5
	s_and_saveexec_b32 s4, s3
	s_cbranch_execnz .LBB352_1917
	s_branch .LBB352_1918
.LBB352_2037:
	s_trap 2
	s_sendmsg_rtn_b32 s0, sendmsg(MSG_RTN_GET_DOORBELL)
	s_mov_b32 ttmp2, m0
	s_waitcnt lgkmcnt(0)
	s_and_b32 s0, s0, 0x3ff
	s_delay_alu instid0(SALU_CYCLE_1) | instskip(NEXT) | instid1(SALU_CYCLE_1)
	s_bitset1_b32 s0, 10
	s_mov_b32 m0, s0
	s_sendmsg sendmsg(MSG_INTERRUPT)
	s_mov_b32 m0, ttmp2
.LBB352_2038:                           ; =>This Inner Loop Header: Depth=1
	s_sethalt 5
	s_branch .LBB352_2038
.LBB352_2039:
	s_cbranch_execnz .LBB352_2043
; %bb.2040:
	s_mov_b32 s1, 0
	s_or_b32 s9, s9, exec_lo
	s_branch .LBB352_1962
.LBB352_2041:
	s_or_saveexec_b32 s3, s3
                                        ; implicit-def: $sgpr4
	s_delay_alu instid0(SALU_CYCLE_1)
	s_xor_b32 exec_lo, exec_lo, s3
	s_cbranch_execz .LBB352_1928
.LBB352_2042:
	v_add_f32_e32 v3, 0x42800000, v4
	s_and_not1_b32 s2, s2, exec_lo
	s_mov_b32 s4, 0
	s_delay_alu instid0(VALU_DEP_1) | instskip(NEXT) | instid1(VALU_DEP_1)
	v_and_b32_e32 v3, 0xff, v3
	v_cmp_ne_u32_e32 vcc_lo, 0, v3
	s_and_b32 s5, vcc_lo, exec_lo
	s_delay_alu instid0(SALU_CYCLE_1)
	s_or_b32 s2, s2, s5
	s_or_b32 exec_lo, exec_lo, s3
	v_mov_b32_e32 v5, s4
	s_and_saveexec_b32 s3, s2
	s_cbranch_execnz .LBB352_1929
	s_branch .LBB352_1930
.LBB352_2043:
	s_trap 2
	s_sendmsg_rtn_b32 s0, sendmsg(MSG_RTN_GET_DOORBELL)
	s_mov_b32 ttmp2, m0
	s_waitcnt lgkmcnt(0)
	s_and_b32 s0, s0, 0x3ff
	s_delay_alu instid0(SALU_CYCLE_1) | instskip(NEXT) | instid1(SALU_CYCLE_1)
	s_bitset1_b32 s0, 10
	s_mov_b32 m0, s0
	s_sendmsg sendmsg(MSG_INTERRUPT)
	s_mov_b32 m0, ttmp2
.LBB352_2044:                           ; =>This Inner Loop Header: Depth=1
	s_sethalt 5
	s_branch .LBB352_2044
	.section	.rodata,"a",@progbits
	.p2align	6, 0x0
	.amdhsa_kernel _ZN2at6native32elementwise_kernel_manual_unrollILi128ELi4EZNS0_15gpu_kernel_implIZZZNS0_21clamp_min_kernel_cudaERNS_18TensorIteratorBaseERKN3c106ScalarEENKUlvE_clEvENKUlvE_clEvEUlhE_EEvS4_RKT_EUlibE_EEviT1_
		.amdhsa_group_segment_fixed_size 0
		.amdhsa_private_segment_fixed_size 0
		.amdhsa_kernarg_size 40
		.amdhsa_user_sgpr_count 15
		.amdhsa_user_sgpr_dispatch_ptr 0
		.amdhsa_user_sgpr_queue_ptr 0
		.amdhsa_user_sgpr_kernarg_segment_ptr 1
		.amdhsa_user_sgpr_dispatch_id 0
		.amdhsa_user_sgpr_private_segment_size 0
		.amdhsa_wavefront_size32 1
		.amdhsa_uses_dynamic_stack 0
		.amdhsa_enable_private_segment 0
		.amdhsa_system_sgpr_workgroup_id_x 1
		.amdhsa_system_sgpr_workgroup_id_y 0
		.amdhsa_system_sgpr_workgroup_id_z 0
		.amdhsa_system_sgpr_workgroup_info 0
		.amdhsa_system_vgpr_workitem_id 0
		.amdhsa_next_free_vgpr 14
		.amdhsa_next_free_sgpr 27
		.amdhsa_reserve_vcc 1
		.amdhsa_float_round_mode_32 0
		.amdhsa_float_round_mode_16_64 0
		.amdhsa_float_denorm_mode_32 3
		.amdhsa_float_denorm_mode_16_64 3
		.amdhsa_dx10_clamp 1
		.amdhsa_ieee_mode 1
		.amdhsa_fp16_overflow 0
		.amdhsa_workgroup_processor_mode 1
		.amdhsa_memory_ordered 1
		.amdhsa_forward_progress 0
		.amdhsa_shared_vgpr_count 0
		.amdhsa_exception_fp_ieee_invalid_op 0
		.amdhsa_exception_fp_denorm_src 0
		.amdhsa_exception_fp_ieee_div_zero 0
		.amdhsa_exception_fp_ieee_overflow 0
		.amdhsa_exception_fp_ieee_underflow 0
		.amdhsa_exception_fp_ieee_inexact 0
		.amdhsa_exception_int_div_zero 0
	.end_amdhsa_kernel
	.section	.text._ZN2at6native32elementwise_kernel_manual_unrollILi128ELi4EZNS0_15gpu_kernel_implIZZZNS0_21clamp_min_kernel_cudaERNS_18TensorIteratorBaseERKN3c106ScalarEENKUlvE_clEvENKUlvE_clEvEUlhE_EEvS4_RKT_EUlibE_EEviT1_,"axG",@progbits,_ZN2at6native32elementwise_kernel_manual_unrollILi128ELi4EZNS0_15gpu_kernel_implIZZZNS0_21clamp_min_kernel_cudaERNS_18TensorIteratorBaseERKN3c106ScalarEENKUlvE_clEvENKUlvE_clEvEUlhE_EEvS4_RKT_EUlibE_EEviT1_,comdat
.Lfunc_end352:
	.size	_ZN2at6native32elementwise_kernel_manual_unrollILi128ELi4EZNS0_15gpu_kernel_implIZZZNS0_21clamp_min_kernel_cudaERNS_18TensorIteratorBaseERKN3c106ScalarEENKUlvE_clEvENKUlvE_clEvEUlhE_EEvS4_RKT_EUlibE_EEviT1_, .Lfunc_end352-_ZN2at6native32elementwise_kernel_manual_unrollILi128ELi4EZNS0_15gpu_kernel_implIZZZNS0_21clamp_min_kernel_cudaERNS_18TensorIteratorBaseERKN3c106ScalarEENKUlvE_clEvENKUlvE_clEvEUlhE_EEvS4_RKT_EUlibE_EEviT1_
                                        ; -- End function
	.section	.AMDGPU.csdata,"",@progbits
; Kernel info:
; codeLenInByte = 37036
; NumSgprs: 29
; NumVgprs: 14
; ScratchSize: 0
; MemoryBound: 1
; FloatMode: 240
; IeeeMode: 1
; LDSByteSize: 0 bytes/workgroup (compile time only)
; SGPRBlocks: 3
; VGPRBlocks: 1
; NumSGPRsForWavesPerEU: 29
; NumVGPRsForWavesPerEU: 14
; Occupancy: 16
; WaveLimiterHint : 0
; COMPUTE_PGM_RSRC2:SCRATCH_EN: 0
; COMPUTE_PGM_RSRC2:USER_SGPR: 15
; COMPUTE_PGM_RSRC2:TRAP_HANDLER: 0
; COMPUTE_PGM_RSRC2:TGID_X_EN: 1
; COMPUTE_PGM_RSRC2:TGID_Y_EN: 0
; COMPUTE_PGM_RSRC2:TGID_Z_EN: 0
; COMPUTE_PGM_RSRC2:TIDIG_COMP_CNT: 0
	.section	.text._ZN2at6native32elementwise_kernel_manual_unrollILi128ELi4EZNS0_15gpu_kernel_implIZZZNS0_21clamp_min_kernel_cudaERNS_18TensorIteratorBaseERKN3c106ScalarEENKUlvE_clEvENKUlvE_clEvEUlhE_EEvS4_RKT_EUlibE0_EEviT1_,"axG",@progbits,_ZN2at6native32elementwise_kernel_manual_unrollILi128ELi4EZNS0_15gpu_kernel_implIZZZNS0_21clamp_min_kernel_cudaERNS_18TensorIteratorBaseERKN3c106ScalarEENKUlvE_clEvENKUlvE_clEvEUlhE_EEvS4_RKT_EUlibE0_EEviT1_,comdat
	.globl	_ZN2at6native32elementwise_kernel_manual_unrollILi128ELi4EZNS0_15gpu_kernel_implIZZZNS0_21clamp_min_kernel_cudaERNS_18TensorIteratorBaseERKN3c106ScalarEENKUlvE_clEvENKUlvE_clEvEUlhE_EEvS4_RKT_EUlibE0_EEviT1_ ; -- Begin function _ZN2at6native32elementwise_kernel_manual_unrollILi128ELi4EZNS0_15gpu_kernel_implIZZZNS0_21clamp_min_kernel_cudaERNS_18TensorIteratorBaseERKN3c106ScalarEENKUlvE_clEvENKUlvE_clEvEUlhE_EEvS4_RKT_EUlibE0_EEviT1_
	.p2align	8
	.type	_ZN2at6native32elementwise_kernel_manual_unrollILi128ELi4EZNS0_15gpu_kernel_implIZZZNS0_21clamp_min_kernel_cudaERNS_18TensorIteratorBaseERKN3c106ScalarEENKUlvE_clEvENKUlvE_clEvEUlhE_EEvS4_RKT_EUlibE0_EEviT1_,@function
_ZN2at6native32elementwise_kernel_manual_unrollILi128ELi4EZNS0_15gpu_kernel_implIZZZNS0_21clamp_min_kernel_cudaERNS_18TensorIteratorBaseERKN3c106ScalarEENKUlvE_clEvENKUlvE_clEvEUlhE_EEvS4_RKT_EUlibE0_EEviT1_: ; @_ZN2at6native32elementwise_kernel_manual_unrollILi128ELi4EZNS0_15gpu_kernel_implIZZZNS0_21clamp_min_kernel_cudaERNS_18TensorIteratorBaseERKN3c106ScalarEENKUlvE_clEvENKUlvE_clEvEUlhE_EEvS4_RKT_EUlibE0_EEviT1_
; %bb.0:
	s_clause 0x1
	s_load_b32 s24, s[0:1], 0x8
	s_load_b32 s34, s[0:1], 0x0
	v_lshl_or_b32 v5, s15, 9, v0
	s_or_b32 s16, s0, 8
	s_mov_b32 s3, -1
	s_mov_b32 s26, 0
	s_mov_b32 s17, s1
	v_or_b32_e32 v9, 0x180, v5
	s_mov_b32 s8, 0
	s_mov_b32 s2, exec_lo
	s_waitcnt lgkmcnt(0)
	s_add_i32 s25, s24, -1
	s_delay_alu instid0(SALU_CYCLE_1)
	s_cmp_gt_u32 s25, 1
	s_cselect_b32 s27, -1, 0
	v_cmpx_le_i32_e64 s34, v9
	s_xor_b32 s28, exec_lo, s2
	s_cbranch_execz .LBB353_1060
; %bb.1:
	s_clause 0x4
	s_load_b32 s29, s[16:17], 0x158
	s_load_b128 s[12:15], s[16:17], 0x4
	s_load_b64 s[18:19], s[16:17], 0x14
	s_load_b128 s[8:11], s[16:17], 0xc4
	s_load_b128 s[4:7], s[16:17], 0x148
	s_cmp_lg_u32 s24, 0
	s_mov_b32 s40, 0
	s_cselect_b32 s36, -1, 0
	s_add_u32 s20, s16, 0xc4
	s_addc_u32 s21, s17, 0
	s_min_u32 s35, s25, 15
	s_cmp_gt_u32 s24, 1
	s_mov_b32 s38, 0
	s_cselect_b32 s33, -1, 0
	s_mov_b32 s37, 0
	s_mov_b32 s39, exec_lo
	s_waitcnt lgkmcnt(0)
	s_lshr_b32 s30, s29, 8
	s_lshr_b32 s31, s29, 16
	v_cmpx_gt_i32_e64 s34, v5
	s_cbranch_execz .LBB353_259
; %bb.2:
	s_and_not1_b32 vcc_lo, exec_lo, s27
	s_cbranch_vccnz .LBB353_7
; %bb.3:
	v_dual_mov_b32 v0, 0 :: v_dual_mov_b32 v1, 0
	s_and_not1_b32 vcc_lo, exec_lo, s36
	s_cbranch_vccnz .LBB353_12
; %bb.4:
	v_mov_b32_e32 v0, 0
	s_add_i32 s41, s35, 1
	s_cmp_eq_u32 s25, 2
	s_cbranch_scc1 .LBB353_8
; %bb.5:
	v_dual_mov_b32 v1, 0 :: v_dual_mov_b32 v0, 0
	v_mov_b32_e32 v2, v5
	s_and_b32 s38, s41, 28
	s_mov_b32 s42, 0
	s_mov_b64 s[2:3], s[20:21]
	s_mov_b64 s[22:23], s[16:17]
.LBB353_6:                              ; =>This Inner Loop Header: Depth=1
	s_clause 0x1
	s_load_b256 s[44:51], s[22:23], 0x4
	s_load_b128 s[60:63], s[22:23], 0x24
	s_load_b256 s[52:59], s[2:3], 0x0
	s_add_u32 s22, s22, 48
	s_addc_u32 s23, s23, 0
	s_add_i32 s42, s42, 4
	s_add_u32 s2, s2, 32
	s_addc_u32 s3, s3, 0
	s_cmp_lg_u32 s38, s42
	s_waitcnt lgkmcnt(0)
	v_mul_hi_u32 v3, s45, v2
	s_delay_alu instid0(VALU_DEP_1) | instskip(NEXT) | instid1(VALU_DEP_1)
	v_add_nc_u32_e32 v3, v2, v3
	v_lshrrev_b32_e32 v3, s46, v3
	s_delay_alu instid0(VALU_DEP_1) | instskip(SKIP_1) | instid1(VALU_DEP_2)
	v_mul_hi_u32 v4, s48, v3
	v_mul_lo_u32 v7, v3, s44
	v_add_nc_u32_e32 v4, v3, v4
	s_delay_alu instid0(VALU_DEP_2) | instskip(NEXT) | instid1(VALU_DEP_2)
	v_sub_nc_u32_e32 v2, v2, v7
	v_lshrrev_b32_e32 v4, s49, v4
	s_delay_alu instid0(VALU_DEP_2) | instskip(SKIP_1) | instid1(VALU_DEP_3)
	v_mul_lo_u32 v7, v2, s52
	v_mul_lo_u32 v9, v2, s53
	v_mul_hi_u32 v6, s51, v4
	s_delay_alu instid0(VALU_DEP_1) | instskip(NEXT) | instid1(VALU_DEP_1)
	v_add_nc_u32_e32 v6, v4, v6
	v_lshrrev_b32_e32 v6, s60, v6
	s_delay_alu instid0(VALU_DEP_1) | instskip(SKIP_1) | instid1(VALU_DEP_2)
	v_mul_hi_u32 v8, s62, v6
	v_mul_lo_u32 v10, v6, s50
	v_add_nc_u32_e32 v2, v6, v8
	v_mul_lo_u32 v8, v4, s47
	s_delay_alu instid0(VALU_DEP_3) | instskip(NEXT) | instid1(VALU_DEP_3)
	v_sub_nc_u32_e32 v4, v4, v10
	v_lshrrev_b32_e32 v2, s63, v2
	s_delay_alu instid0(VALU_DEP_2) | instskip(SKIP_2) | instid1(VALU_DEP_4)
	v_mul_lo_u32 v10, v4, s56
	v_mul_lo_u32 v4, v4, s57
	v_sub_nc_u32_e32 v3, v3, v8
	v_mul_lo_u32 v11, v2, s61
	s_delay_alu instid0(VALU_DEP_2) | instskip(SKIP_1) | instid1(VALU_DEP_3)
	v_mul_lo_u32 v8, v3, s54
	v_mul_lo_u32 v3, v3, s55
	v_sub_nc_u32_e32 v6, v6, v11
	s_delay_alu instid0(VALU_DEP_3) | instskip(NEXT) | instid1(VALU_DEP_2)
	v_add3_u32 v0, v7, v0, v8
	v_mul_lo_u32 v11, v6, s58
	v_mul_lo_u32 v6, v6, s59
	v_add3_u32 v1, v9, v1, v3
	s_delay_alu instid0(VALU_DEP_3) | instskip(NEXT) | instid1(VALU_DEP_2)
	v_add3_u32 v0, v10, v0, v11
	v_add3_u32 v1, v4, v1, v6
	s_cbranch_scc1 .LBB353_6
	s_branch .LBB353_9
.LBB353_7:
	s_mov_b32 s37, -1
                                        ; implicit-def: $vgpr0
                                        ; implicit-def: $vgpr1
	s_branch .LBB353_12
.LBB353_8:
	v_dual_mov_b32 v2, v5 :: v_dual_mov_b32 v1, 0
.LBB353_9:
	s_and_b32 s41, s41, 3
	s_delay_alu instid0(SALU_CYCLE_1)
	s_cmp_eq_u32 s41, 0
	s_cbranch_scc1 .LBB353_12
; %bb.10:
	s_lshl_b32 s2, s38, 3
	s_mul_i32 s22, s38, 12
	s_add_u32 s2, s2, s16
	s_addc_u32 s3, s17, 0
	s_add_u32 s2, s2, 0xc4
	s_addc_u32 s3, s3, 0
	;; [unrolled: 2-line block ×3, first 2 shown]
	.p2align	6
.LBB353_11:                             ; =>This Inner Loop Header: Depth=1
	s_clause 0x1
	s_load_b64 s[42:43], s[22:23], 0x4
	s_load_b32 s38, s[22:23], 0xc
	s_load_b64 s[44:45], s[2:3], 0x0
	s_add_u32 s22, s22, 12
	s_addc_u32 s23, s23, 0
	s_add_u32 s2, s2, 8
	s_addc_u32 s3, s3, 0
	s_add_i32 s41, s41, -1
	s_delay_alu instid0(SALU_CYCLE_1) | instskip(SKIP_2) | instid1(VALU_DEP_1)
	s_cmp_lg_u32 s41, 0
	s_waitcnt lgkmcnt(0)
	v_mul_hi_u32 v3, s43, v2
	v_add_nc_u32_e32 v3, v2, v3
	s_delay_alu instid0(VALU_DEP_1) | instskip(NEXT) | instid1(VALU_DEP_1)
	v_lshrrev_b32_e32 v8, s38, v3
	v_mul_lo_u32 v3, v8, s42
	s_delay_alu instid0(VALU_DEP_1) | instskip(NEXT) | instid1(VALU_DEP_1)
	v_sub_nc_u32_e32 v2, v2, v3
	v_mad_u64_u32 v[3:4], null, v2, s44, v[0:1]
	v_mad_u64_u32 v[6:7], null, v2, s45, v[1:2]
	v_mov_b32_e32 v2, v8
	s_delay_alu instid0(VALU_DEP_2)
	v_dual_mov_b32 v0, v3 :: v_dual_mov_b32 v1, v6
	s_cbranch_scc1 .LBB353_11
.LBB353_12:
	s_and_not1_b32 vcc_lo, exec_lo, s37
	s_cbranch_vccnz .LBB353_15
; %bb.13:
	v_mul_hi_u32 v0, s13, v5
	s_and_not1_b32 vcc_lo, exec_lo, s33
	s_delay_alu instid0(VALU_DEP_1) | instskip(NEXT) | instid1(VALU_DEP_1)
	v_add_nc_u32_e32 v0, v5, v0
	v_lshrrev_b32_e32 v2, s14, v0
	s_delay_alu instid0(VALU_DEP_1) | instskip(NEXT) | instid1(VALU_DEP_1)
	v_mul_lo_u32 v0, v2, s12
	v_sub_nc_u32_e32 v1, v5, v0
	s_delay_alu instid0(VALU_DEP_1)
	v_mul_lo_u32 v0, v1, s8
	v_mul_lo_u32 v1, v1, s9
	s_cbranch_vccnz .LBB353_15
; %bb.14:
	v_mul_hi_u32 v3, s18, v2
	s_delay_alu instid0(VALU_DEP_1) | instskip(NEXT) | instid1(VALU_DEP_1)
	v_add_nc_u32_e32 v3, v2, v3
	v_lshrrev_b32_e32 v3, s19, v3
	s_delay_alu instid0(VALU_DEP_1) | instskip(NEXT) | instid1(VALU_DEP_1)
	v_mul_lo_u32 v3, v3, s15
	v_sub_nc_u32_e32 v6, v2, v3
	s_delay_alu instid0(VALU_DEP_1) | instskip(NEXT) | instid1(VALU_DEP_1)
	v_mad_u64_u32 v[2:3], null, v6, s10, v[0:1]
	v_mad_u64_u32 v[3:4], null, v6, s11, v[1:2]
	s_delay_alu instid0(VALU_DEP_1)
	v_dual_mov_b32 v0, v2 :: v_dual_mov_b32 v1, v3
.LBB353_15:
	v_and_b32_e64 v6, 0xff, s31
	s_delay_alu instid0(VALU_DEP_2) | instskip(NEXT) | instid1(VALU_DEP_1)
	v_add_co_u32 v1, s2, s6, v1
	v_add_co_ci_u32_e64 v2, null, s7, 0, s2
	s_delay_alu instid0(VALU_DEP_3)
	v_cmp_gt_i16_e32 vcc_lo, 11, v6
	s_mov_b32 s3, 0
	s_cbranch_vccnz .LBB353_22
; %bb.16:
	v_cmp_lt_i16_e32 vcc_lo, 25, v6
	s_cbranch_vccz .LBB353_141
; %bb.17:
	v_cmp_lt_i16_e32 vcc_lo, 28, v6
	s_cbranch_vccz .LBB353_142
; %bb.18:
	v_cmp_lt_i16_e32 vcc_lo, 43, v6
	s_cbranch_vccz .LBB353_143
; %bb.19:
	v_cmp_lt_i16_e32 vcc_lo, 45, v6
	s_cbranch_vccz .LBB353_144
; %bb.20:
	v_cmp_eq_u16_e32 vcc_lo, 46, v6
	s_mov_b32 s22, 0
	s_cbranch_vccz .LBB353_145
; %bb.21:
	global_load_b32 v3, v[1:2], off
	s_mov_b32 s2, -1
	s_waitcnt vmcnt(0)
	v_lshlrev_b32_e32 v3, 16, v3
	s_delay_alu instid0(VALU_DEP_1) | instskip(NEXT) | instid1(VALU_DEP_1)
	v_trunc_f32_e32 v3, v3
	v_mul_f32_e64 v4, 0x2f800000, |v3|
	s_delay_alu instid0(VALU_DEP_1) | instskip(NEXT) | instid1(VALU_DEP_1)
	v_floor_f32_e32 v4, v4
	v_fma_f32 v4, 0xcf800000, v4, |v3|
	v_ashrrev_i32_e32 v3, 31, v3
	s_delay_alu instid0(VALU_DEP_2) | instskip(NEXT) | instid1(VALU_DEP_1)
	v_cvt_u32_f32_e32 v4, v4
	v_xor_b32_e32 v4, v4, v3
	s_delay_alu instid0(VALU_DEP_1)
	v_sub_nc_u32_e32 v3, v4, v3
	s_branch .LBB353_147
.LBB353_22:
	s_mov_b32 s2, 0
                                        ; implicit-def: $vgpr3
	s_cbranch_execnz .LBB353_209
.LBB353_23:
	s_and_not1_b32 vcc_lo, exec_lo, s2
	s_cbranch_vccnz .LBB353_256
.LBB353_24:
	s_waitcnt vmcnt(0)
	s_delay_alu instid0(VALU_DEP_1) | instskip(SKIP_4) | instid1(VALU_DEP_3)
	v_and_b32_e32 v2, 0xff, v3
	v_and_b32_e64 v3, 0xff, s30
	v_and_b32_e64 v1, 0xff, s29
	v_add_co_u32 v0, s22, s4, v0
	s_mov_b32 s2, 0
	v_cmp_gt_i16_e32 vcc_lo, 11, v3
	s_delay_alu instid0(VALU_DEP_3)
	v_max_u16 v2, v2, v1
	v_add_co_ci_u32_e64 v1, null, s5, 0, s22
	s_mov_b32 s23, -1
	s_mov_b32 s22, 0
	s_cbranch_vccnz .LBB353_101
; %bb.25:
	v_cmp_lt_i16_e32 vcc_lo, 25, v3
	s_cbranch_vccz .LBB353_58
; %bb.26:
	v_cmp_lt_i16_e32 vcc_lo, 28, v3
	s_cbranch_vccz .LBB353_41
	;; [unrolled: 3-line block ×4, first 2 shown]
; %bb.29:
	v_cmp_eq_u16_e32 vcc_lo, 46, v3
	s_mov_b32 s23, 0
	s_mov_b32 s2, -1
	s_cbranch_vccz .LBB353_31
; %bb.30:
	v_cvt_f32_ubyte0_e32 v4, v2
	s_mov_b32 s22, -1
	s_mov_b32 s2, 0
	s_delay_alu instid0(VALU_DEP_1) | instskip(NEXT) | instid1(VALU_DEP_1)
	v_bfe_u32 v6, v4, 16, 1
	v_add3_u32 v4, v4, v6, 0x7fff
	s_delay_alu instid0(VALU_DEP_1)
	v_lshrrev_b32_e32 v4, 16, v4
	global_store_b32 v[0:1], v4, off
.LBB353_31:
	s_and_b32 vcc_lo, exec_lo, s23
	s_cbranch_vccz .LBB353_36
; %bb.32:
	v_cmp_eq_u16_e32 vcc_lo, 44, v3
	s_mov_b32 s2, -1
	s_cbranch_vccz .LBB353_36
; %bb.33:
	v_cvt_f32_ubyte0_e32 v7, v2
	v_mov_b32_e32 v6, 0xff
	s_mov_b32 s22, exec_lo
	s_delay_alu instid0(VALU_DEP_2) | instskip(NEXT) | instid1(VALU_DEP_1)
	v_lshrrev_b32_e32 v4, 23, v7
	v_cmpx_ne_u32_e32 0xff, v4
; %bb.34:
	v_and_b32_e32 v6, 0x400000, v7
	v_and_or_b32 v7, 0x3fffff, v7, v4
	s_delay_alu instid0(VALU_DEP_2) | instskip(NEXT) | instid1(VALU_DEP_2)
	v_cmp_ne_u32_e32 vcc_lo, 0, v6
	v_cmp_ne_u32_e64 s2, 0, v7
	s_delay_alu instid0(VALU_DEP_1) | instskip(NEXT) | instid1(SALU_CYCLE_1)
	s_and_b32 s2, vcc_lo, s2
	v_cndmask_b32_e64 v6, 0, 1, s2
	s_delay_alu instid0(VALU_DEP_1)
	v_add_nc_u32_e32 v6, v4, v6
; %bb.35:
	s_or_b32 exec_lo, exec_lo, s22
	s_mov_b32 s22, -1
	s_mov_b32 s2, 0
	global_store_b8 v[0:1], v6, off
.LBB353_36:
	s_mov_b32 s23, 0
.LBB353_37:
	s_delay_alu instid0(SALU_CYCLE_1)
	s_and_b32 vcc_lo, exec_lo, s23
	s_cbranch_vccz .LBB353_40
; %bb.38:
	v_cmp_eq_u16_e32 vcc_lo, 29, v3
	s_mov_b32 s2, -1
	s_cbranch_vccz .LBB353_40
; %bb.39:
	s_mov_b32 s2, 0
	s_delay_alu instid0(SALU_CYCLE_1)
	v_dual_mov_b32 v7, s2 :: v_dual_and_b32 v6, 0xffff, v2
	s_mov_b32 s22, -1
	global_store_b64 v[0:1], v[6:7], off
.LBB353_40:
	s_mov_b32 s23, 0
.LBB353_41:
	s_delay_alu instid0(SALU_CYCLE_1)
	s_and_b32 vcc_lo, exec_lo, s23
	s_cbranch_vccz .LBB353_57
; %bb.42:
	v_cmp_gt_i16_e32 vcc_lo, 27, v3
	s_mov_b32 s22, -1
	s_cbranch_vccnz .LBB353_48
; %bb.43:
	v_cmp_lt_i16_e32 vcc_lo, 27, v3
	s_cbranch_vccz .LBB353_45
; %bb.44:
	v_and_b32_e32 v4, 0xffff, v2
	s_mov_b32 s22, 0
	global_store_b32 v[0:1], v4, off
.LBB353_45:
	s_and_not1_b32 vcc_lo, exec_lo, s22
	s_cbranch_vccnz .LBB353_47
; %bb.46:
	global_store_b16 v[0:1], v2, off
.LBB353_47:
	s_mov_b32 s22, 0
.LBB353_48:
	s_delay_alu instid0(SALU_CYCLE_1)
	s_and_not1_b32 vcc_lo, exec_lo, s22
	s_cbranch_vccnz .LBB353_56
; %bb.49:
	v_cvt_f32_ubyte0_e32 v6, v2
	v_mov_b32_e32 v7, 0x80
	s_mov_b32 s22, exec_lo
	s_delay_alu instid0(VALU_DEP_2)
	v_cmpx_gt_u32_e32 0x43800000, v6
	s_cbranch_execz .LBB353_55
; %bb.50:
	s_mov_b32 s23, 0
	s_mov_b32 s37, exec_lo
                                        ; implicit-def: $vgpr4
	v_cmpx_lt_u32_e32 0x3bffffff, v6
	s_xor_b32 s37, exec_lo, s37
	s_cbranch_execz .LBB353_150
; %bb.51:
	v_bfe_u32 v4, v6, 20, 1
	s_mov_b32 s23, exec_lo
	s_delay_alu instid0(VALU_DEP_1) | instskip(NEXT) | instid1(VALU_DEP_1)
	v_add3_u32 v4, v6, v4, 0x487ffff
                                        ; implicit-def: $vgpr6
	v_lshrrev_b32_e32 v4, 20, v4
	s_or_saveexec_b32 s37, s37
                                        ; implicit-def: $sgpr38
	s_delay_alu instid0(SALU_CYCLE_1)
	s_xor_b32 exec_lo, exec_lo, s37
	s_cbranch_execnz .LBB353_151
.LBB353_52:
	s_or_b32 exec_lo, exec_lo, s37
	v_mov_b32_e32 v7, s38
	s_and_saveexec_b32 s37, s23
.LBB353_53:
	v_mov_b32_e32 v7, v4
.LBB353_54:
	s_or_b32 exec_lo, exec_lo, s37
.LBB353_55:
	s_delay_alu instid0(SALU_CYCLE_1)
	s_or_b32 exec_lo, exec_lo, s22
	global_store_b8 v[0:1], v7, off
.LBB353_56:
	s_mov_b32 s22, -1
.LBB353_57:
	s_mov_b32 s23, 0
.LBB353_58:
	s_delay_alu instid0(SALU_CYCLE_1)
	s_and_b32 vcc_lo, exec_lo, s23
	s_cbranch_vccz .LBB353_99
; %bb.59:
	v_cmp_lt_i16_e32 vcc_lo, 22, v3
	s_mov_b32 s23, -1
	s_cbranch_vccz .LBB353_91
; %bb.60:
	v_cmp_gt_i16_e32 vcc_lo, 24, v3
	s_mov_b32 s22, -1
	s_cbranch_vccnz .LBB353_80
; %bb.61:
	v_cmp_lt_i16_e32 vcc_lo, 24, v3
	s_cbranch_vccz .LBB353_69
; %bb.62:
	v_cvt_f32_ubyte0_e32 v6, v2
	v_mov_b32_e32 v7, 0x80
	s_mov_b32 s22, exec_lo
	s_delay_alu instid0(VALU_DEP_2)
	v_cmpx_gt_u32_e32 0x47800000, v6
	s_cbranch_execz .LBB353_68
; %bb.63:
	s_mov_b32 s23, 0
	s_mov_b32 s37, exec_lo
                                        ; implicit-def: $vgpr4
	v_cmpx_lt_u32_e32 0x37ffffff, v6
	s_xor_b32 s37, exec_lo, s37
	s_cbranch_execz .LBB353_337
; %bb.64:
	v_bfe_u32 v4, v6, 21, 1
	s_mov_b32 s23, exec_lo
	s_delay_alu instid0(VALU_DEP_1) | instskip(NEXT) | instid1(VALU_DEP_1)
	v_add3_u32 v4, v6, v4, 0x88fffff
                                        ; implicit-def: $vgpr6
	v_lshrrev_b32_e32 v4, 21, v4
	s_or_saveexec_b32 s37, s37
                                        ; implicit-def: $sgpr38
	s_delay_alu instid0(SALU_CYCLE_1)
	s_xor_b32 exec_lo, exec_lo, s37
	s_cbranch_execnz .LBB353_338
.LBB353_65:
	s_or_b32 exec_lo, exec_lo, s37
	v_mov_b32_e32 v7, s38
	s_and_saveexec_b32 s37, s23
.LBB353_66:
	v_mov_b32_e32 v7, v4
.LBB353_67:
	s_or_b32 exec_lo, exec_lo, s37
.LBB353_68:
	s_delay_alu instid0(SALU_CYCLE_1)
	s_or_b32 exec_lo, exec_lo, s22
	s_mov_b32 s22, 0
	global_store_b8 v[0:1], v7, off
.LBB353_69:
	s_and_b32 vcc_lo, exec_lo, s22
	s_cbranch_vccz .LBB353_79
; %bb.70:
	v_cvt_f32_ubyte0_e32 v6, v2
	s_mov_b32 s22, exec_lo
                                        ; implicit-def: $vgpr4
	s_delay_alu instid0(VALU_DEP_1)
	v_cmpx_gt_u32_e32 0x43f00000, v6
	s_xor_b32 s22, exec_lo, s22
	s_cbranch_execz .LBB353_76
; %bb.71:
	s_mov_b32 s23, exec_lo
                                        ; implicit-def: $vgpr4
	v_cmpx_lt_u32_e32 0x3c7fffff, v6
	s_xor_b32 s23, exec_lo, s23
; %bb.72:
	v_bfe_u32 v4, v6, 20, 1
	s_delay_alu instid0(VALU_DEP_1) | instskip(NEXT) | instid1(VALU_DEP_1)
	v_add3_u32 v4, v6, v4, 0x407ffff
	v_and_b32_e32 v6, 0xff00000, v4
	v_lshrrev_b32_e32 v4, 20, v4
	s_delay_alu instid0(VALU_DEP_2) | instskip(NEXT) | instid1(VALU_DEP_2)
	v_cmp_ne_u32_e32 vcc_lo, 0x7f00000, v6
                                        ; implicit-def: $vgpr6
	v_cndmask_b32_e32 v4, 0x7e, v4, vcc_lo
; %bb.73:
	s_and_not1_saveexec_b32 s23, s23
; %bb.74:
	v_add_f32_e32 v4, 0x46800000, v6
; %bb.75:
	s_or_b32 exec_lo, exec_lo, s23
                                        ; implicit-def: $vgpr6
.LBB353_76:
	s_and_not1_saveexec_b32 s22, s22
; %bb.77:
	v_mov_b32_e32 v4, 0x7f
	v_cmp_lt_u32_e32 vcc_lo, 0x7f800000, v6
	s_delay_alu instid0(VALU_DEP_2)
	v_cndmask_b32_e32 v4, 0x7e, v4, vcc_lo
; %bb.78:
	s_or_b32 exec_lo, exec_lo, s22
	global_store_b8 v[0:1], v4, off
.LBB353_79:
	s_mov_b32 s22, 0
.LBB353_80:
	s_delay_alu instid0(SALU_CYCLE_1)
	s_and_not1_b32 vcc_lo, exec_lo, s22
	s_cbranch_vccnz .LBB353_90
; %bb.81:
	v_cvt_f32_ubyte0_e32 v6, v2
	s_mov_b32 s22, exec_lo
                                        ; implicit-def: $vgpr4
	s_delay_alu instid0(VALU_DEP_1)
	v_cmpx_gt_u32_e32 0x47800000, v6
	s_xor_b32 s22, exec_lo, s22
	s_cbranch_execz .LBB353_87
; %bb.82:
	s_mov_b32 s23, exec_lo
                                        ; implicit-def: $vgpr4
	v_cmpx_lt_u32_e32 0x387fffff, v6
	s_xor_b32 s23, exec_lo, s23
; %bb.83:
	v_bfe_u32 v4, v6, 21, 1
	s_delay_alu instid0(VALU_DEP_1) | instskip(NEXT) | instid1(VALU_DEP_1)
	v_add3_u32 v4, v6, v4, 0x80fffff
                                        ; implicit-def: $vgpr6
	v_lshrrev_b32_e32 v4, 21, v4
; %bb.84:
	s_and_not1_saveexec_b32 s23, s23
; %bb.85:
	v_add_f32_e32 v4, 0x43000000, v6
; %bb.86:
	s_or_b32 exec_lo, exec_lo, s23
                                        ; implicit-def: $vgpr6
.LBB353_87:
	s_and_not1_saveexec_b32 s22, s22
; %bb.88:
	v_mov_b32_e32 v4, 0x7f
	v_cmp_lt_u32_e32 vcc_lo, 0x7f800000, v6
	s_delay_alu instid0(VALU_DEP_2)
	v_cndmask_b32_e32 v4, 0x7c, v4, vcc_lo
; %bb.89:
	s_or_b32 exec_lo, exec_lo, s22
	global_store_b8 v[0:1], v4, off
.LBB353_90:
	s_mov_b32 s23, 0
	s_mov_b32 s22, -1
.LBB353_91:
	s_and_not1_b32 vcc_lo, exec_lo, s23
	s_cbranch_vccnz .LBB353_99
; %bb.92:
	v_cmp_lt_i16_e32 vcc_lo, 14, v3
	s_mov_b32 s23, -1
	s_cbranch_vccz .LBB353_96
; %bb.93:
	v_cmp_eq_u16_e32 vcc_lo, 15, v3
	s_mov_b32 s2, -1
	s_cbranch_vccz .LBB353_95
; %bb.94:
	v_cvt_f32_ubyte0_e32 v4, v2
	s_mov_b32 s22, -1
	s_mov_b32 s2, 0
	s_delay_alu instid0(VALU_DEP_1) | instskip(NEXT) | instid1(VALU_DEP_1)
	v_bfe_u32 v6, v4, 16, 1
	v_add3_u32 v4, v4, v6, 0x7fff
	global_store_d16_hi_b16 v[0:1], v4, off
.LBB353_95:
	s_mov_b32 s23, 0
.LBB353_96:
	s_delay_alu instid0(SALU_CYCLE_1)
	s_and_b32 vcc_lo, exec_lo, s23
	s_cbranch_vccz .LBB353_99
; %bb.97:
	v_cmp_eq_u16_e32 vcc_lo, 11, v3
	s_mov_b32 s2, -1
	s_cbranch_vccz .LBB353_99
; %bb.98:
	v_cmp_ne_u16_e32 vcc_lo, 0, v2
	s_mov_b32 s2, 0
	s_mov_b32 s22, -1
	v_cndmask_b32_e64 v4, 0, 1, vcc_lo
	global_store_b8 v[0:1], v4, off
.LBB353_99:
.LBB353_100:
	s_and_not1_b32 vcc_lo, exec_lo, s22
	s_cbranch_vccz .LBB353_140
	s_branch .LBB353_257
.LBB353_101:
	s_and_b32 vcc_lo, exec_lo, s23
	s_cbranch_vccz .LBB353_100
; %bb.102:
	v_cmp_gt_i16_e32 vcc_lo, 5, v3
	s_mov_b32 s22, -1
	s_cbranch_vccnz .LBB353_123
; %bb.103:
	v_cmp_gt_i16_e32 vcc_lo, 8, v3
	s_cbranch_vccnz .LBB353_113
; %bb.104:
	v_cmp_gt_i16_e32 vcc_lo, 9, v3
	s_cbranch_vccnz .LBB353_110
; %bb.105:
	v_cmp_lt_i16_e32 vcc_lo, 9, v3
	s_cbranch_vccz .LBB353_107
; %bb.106:
	v_mov_b32_e32 v8, 0
	v_and_b32_e32 v4, 0xffff, v2
	s_mov_b32 s22, 0
	s_delay_alu instid0(VALU_DEP_2) | instskip(NEXT) | instid1(VALU_DEP_2)
	v_mov_b32_e32 v9, v8
	v_cvt_f64_u32_e32 v[6:7], v4
	global_store_b128 v[0:1], v[6:9], off
.LBB353_107:
	s_and_not1_b32 vcc_lo, exec_lo, s22
	s_cbranch_vccnz .LBB353_109
; %bb.108:
	v_cvt_f32_ubyte0_e32 v6, v2
	v_mov_b32_e32 v7, 0
	global_store_b64 v[0:1], v[6:7], off
.LBB353_109:
	s_mov_b32 s22, 0
.LBB353_110:
	s_delay_alu instid0(SALU_CYCLE_1)
	s_and_not1_b32 vcc_lo, exec_lo, s22
	s_cbranch_vccnz .LBB353_112
; %bb.111:
	v_cvt_f16_u16_e32 v4, v2
	s_delay_alu instid0(VALU_DEP_1)
	v_and_b32_e32 v4, 0xffff, v4
	global_store_b32 v[0:1], v4, off
.LBB353_112:
	s_mov_b32 s22, 0
.LBB353_113:
	s_delay_alu instid0(SALU_CYCLE_1)
	s_and_not1_b32 vcc_lo, exec_lo, s22
	s_cbranch_vccnz .LBB353_122
; %bb.114:
	v_cmp_gt_i16_e32 vcc_lo, 6, v3
	s_mov_b32 s22, -1
	s_cbranch_vccnz .LBB353_120
; %bb.115:
	v_cmp_lt_i16_e32 vcc_lo, 6, v3
	s_cbranch_vccz .LBB353_117
; %bb.116:
	v_and_b32_e32 v4, 0xffff, v2
	s_mov_b32 s22, 0
	s_delay_alu instid0(VALU_DEP_1)
	v_cvt_f64_u32_e32 v[6:7], v4
	global_store_b64 v[0:1], v[6:7], off
.LBB353_117:
	s_and_not1_b32 vcc_lo, exec_lo, s22
	s_cbranch_vccnz .LBB353_119
; %bb.118:
	v_cvt_f32_ubyte0_e32 v4, v2
	global_store_b32 v[0:1], v4, off
.LBB353_119:
	s_mov_b32 s22, 0
.LBB353_120:
	s_delay_alu instid0(SALU_CYCLE_1)
	s_and_not1_b32 vcc_lo, exec_lo, s22
	s_cbranch_vccnz .LBB353_122
; %bb.121:
	v_cvt_f16_u16_e32 v4, v2
	global_store_b16 v[0:1], v4, off
.LBB353_122:
	s_mov_b32 s22, 0
.LBB353_123:
	s_delay_alu instid0(SALU_CYCLE_1)
	s_and_not1_b32 vcc_lo, exec_lo, s22
	s_cbranch_vccnz .LBB353_139
; %bb.124:
	v_cmp_gt_i16_e32 vcc_lo, 2, v3
	s_mov_b32 s22, -1
	s_cbranch_vccnz .LBB353_134
; %bb.125:
	v_cmp_gt_i16_e32 vcc_lo, 3, v3
	s_cbranch_vccnz .LBB353_131
; %bb.126:
	v_cmp_lt_i16_e32 vcc_lo, 3, v3
	s_cbranch_vccz .LBB353_128
; %bb.127:
	s_mov_b32 s22, 0
	s_delay_alu instid0(SALU_CYCLE_1)
	v_dual_mov_b32 v7, s22 :: v_dual_and_b32 v6, 0xffff, v2
	global_store_b64 v[0:1], v[6:7], off
.LBB353_128:
	s_and_not1_b32 vcc_lo, exec_lo, s22
	s_cbranch_vccnz .LBB353_130
; %bb.129:
	v_and_b32_e32 v4, 0xffff, v2
	global_store_b32 v[0:1], v4, off
.LBB353_130:
	s_mov_b32 s22, 0
.LBB353_131:
	s_delay_alu instid0(SALU_CYCLE_1)
	s_and_not1_b32 vcc_lo, exec_lo, s22
	s_cbranch_vccnz .LBB353_133
; %bb.132:
	global_store_b16 v[0:1], v2, off
.LBB353_133:
	s_mov_b32 s22, 0
.LBB353_134:
	s_delay_alu instid0(SALU_CYCLE_1)
	s_and_not1_b32 vcc_lo, exec_lo, s22
	s_cbranch_vccnz .LBB353_139
; %bb.135:
	v_cmp_lt_i16_e32 vcc_lo, 0, v3
	s_mov_b32 s22, -1
	s_cbranch_vccz .LBB353_137
; %bb.136:
	s_mov_b32 s22, 0
	global_store_b8 v[0:1], v2, off
.LBB353_137:
	s_and_not1_b32 vcc_lo, exec_lo, s22
	s_cbranch_vccnz .LBB353_139
; %bb.138:
	global_store_b8 v[0:1], v2, off
.LBB353_139:
.LBB353_140:
	v_add_nc_u32_e32 v5, 0x80, v5
	s_mov_b32 s22, -1
	s_branch .LBB353_258
.LBB353_141:
	s_mov_b32 s2, 0
                                        ; implicit-def: $vgpr3
	s_cbranch_execnz .LBB353_176
	s_branch .LBB353_208
.LBB353_142:
	s_mov_b32 s22, -1
	s_mov_b32 s2, 0
                                        ; implicit-def: $vgpr3
	s_branch .LBB353_159
.LBB353_143:
	s_mov_b32 s22, -1
	s_mov_b32 s2, 0
                                        ; implicit-def: $vgpr3
	s_branch .LBB353_154
.LBB353_144:
	s_mov_b32 s22, -1
	s_branch .LBB353_146
.LBB353_145:
	s_mov_b32 s3, -1
.LBB353_146:
	s_mov_b32 s2, 0
                                        ; implicit-def: $vgpr3
.LBB353_147:
	s_and_b32 vcc_lo, exec_lo, s22
	s_cbranch_vccz .LBB353_153
; %bb.148:
	v_cmp_eq_u16_e32 vcc_lo, 44, v6
	s_cbranch_vccz .LBB353_152
; %bb.149:
	global_load_u8 v3, v[1:2], off
	s_mov_b32 s3, 0
	s_mov_b32 s2, -1
	s_waitcnt vmcnt(0)
	v_lshlrev_b32_e32 v4, 23, v3
	v_cmp_ne_u32_e32 vcc_lo, 0, v3
	s_delay_alu instid0(VALU_DEP_2) | instskip(NEXT) | instid1(VALU_DEP_1)
	v_trunc_f32_e32 v4, v4
	v_mul_f32_e64 v7, 0x2f800000, |v4|
	s_delay_alu instid0(VALU_DEP_1) | instskip(NEXT) | instid1(VALU_DEP_1)
	v_floor_f32_e32 v7, v7
	v_fma_f32 v7, 0xcf800000, v7, |v4|
	v_ashrrev_i32_e32 v4, 31, v4
	s_delay_alu instid0(VALU_DEP_2) | instskip(NEXT) | instid1(VALU_DEP_1)
	v_cvt_u32_f32_e32 v7, v7
	v_xor_b32_e32 v7, v7, v4
	s_delay_alu instid0(VALU_DEP_1) | instskip(NEXT) | instid1(VALU_DEP_1)
	v_sub_nc_u32_e32 v4, v7, v4
	v_cndmask_b32_e32 v3, 0, v4, vcc_lo
	s_branch .LBB353_153
.LBB353_150:
	s_or_saveexec_b32 s37, s37
                                        ; implicit-def: $sgpr38
	s_delay_alu instid0(SALU_CYCLE_1)
	s_xor_b32 exec_lo, exec_lo, s37
	s_cbranch_execz .LBB353_52
.LBB353_151:
	v_add_f32_e32 v4, 0x46000000, v6
	s_and_not1_b32 s23, s23, exec_lo
	s_mov_b32 s38, 0
	s_delay_alu instid0(VALU_DEP_1) | instskip(NEXT) | instid1(VALU_DEP_1)
	v_and_b32_e32 v4, 0xff, v4
	v_cmp_ne_u32_e32 vcc_lo, 0, v4
	s_and_b32 s41, vcc_lo, exec_lo
	s_delay_alu instid0(SALU_CYCLE_1)
	s_or_b32 s23, s23, s41
	s_or_b32 exec_lo, exec_lo, s37
	v_mov_b32_e32 v7, s38
	s_and_saveexec_b32 s37, s23
	s_cbranch_execnz .LBB353_53
	s_branch .LBB353_54
.LBB353_152:
	s_mov_b32 s3, -1
                                        ; implicit-def: $vgpr3
.LBB353_153:
	s_mov_b32 s22, 0
.LBB353_154:
	s_delay_alu instid0(SALU_CYCLE_1)
	s_and_b32 vcc_lo, exec_lo, s22
	s_cbranch_vccz .LBB353_158
; %bb.155:
	v_cmp_eq_u16_e32 vcc_lo, 29, v6
	s_cbranch_vccz .LBB353_157
; %bb.156:
	global_load_b64 v[3:4], v[1:2], off
	s_mov_b32 s2, -1
	s_mov_b32 s3, 0
	s_branch .LBB353_158
.LBB353_157:
	s_mov_b32 s3, -1
                                        ; implicit-def: $vgpr3
.LBB353_158:
	s_mov_b32 s22, 0
.LBB353_159:
	s_delay_alu instid0(SALU_CYCLE_1)
	s_and_b32 vcc_lo, exec_lo, s22
	s_cbranch_vccz .LBB353_175
; %bb.160:
	v_cmp_gt_i16_e32 vcc_lo, 27, v6
	s_cbranch_vccnz .LBB353_163
; %bb.161:
	v_cmp_lt_i16_e32 vcc_lo, 27, v6
	s_cbranch_vccz .LBB353_164
; %bb.162:
	global_load_b32 v3, v[1:2], off
	s_mov_b32 s2, 0
	s_branch .LBB353_165
.LBB353_163:
	s_mov_b32 s2, -1
                                        ; implicit-def: $vgpr3
	s_branch .LBB353_168
.LBB353_164:
	s_mov_b32 s2, -1
                                        ; implicit-def: $vgpr3
.LBB353_165:
	s_delay_alu instid0(SALU_CYCLE_1)
	s_and_not1_b32 vcc_lo, exec_lo, s2
	s_cbranch_vccnz .LBB353_167
; %bb.166:
	global_load_u16 v3, v[1:2], off
.LBB353_167:
	s_mov_b32 s2, 0
.LBB353_168:
	s_delay_alu instid0(SALU_CYCLE_1)
	s_and_not1_b32 vcc_lo, exec_lo, s2
	s_cbranch_vccnz .LBB353_174
; %bb.169:
	global_load_u8 v4, v[1:2], off
	s_mov_b32 s22, 0
	s_mov_b32 s2, exec_lo
                                        ; implicit-def: $sgpr23
	s_waitcnt vmcnt(0)
	v_cmpx_lt_i16_e32 0x7f, v4
	s_xor_b32 s2, exec_lo, s2
	s_cbranch_execz .LBB353_185
; %bb.170:
	v_cmp_ne_u16_e32 vcc_lo, 0x80, v4
	s_mov_b32 s23, 0
	s_and_b32 s22, vcc_lo, exec_lo
	s_or_saveexec_b32 s2, s2
	v_mov_b32_e32 v3, s23
	s_xor_b32 exec_lo, exec_lo, s2
	s_cbranch_execnz .LBB353_186
.LBB353_171:
	s_or_b32 exec_lo, exec_lo, s2
	s_and_saveexec_b32 s2, s22
	s_cbranch_execz .LBB353_173
.LBB353_172:
	v_and_b32_e32 v3, 0xffff, v4
	s_delay_alu instid0(VALU_DEP_1) | instskip(NEXT) | instid1(VALU_DEP_1)
	v_and_b32_e32 v7, 7, v3
	v_clz_i32_u32_e32 v8, v7
	s_delay_alu instid0(VALU_DEP_1) | instskip(NEXT) | instid1(VALU_DEP_1)
	v_min_u32_e32 v8, 32, v8
	v_subrev_nc_u32_e32 v9, 28, v8
	v_sub_nc_u32_e32 v8, 29, v8
	s_delay_alu instid0(VALU_DEP_2) | instskip(SKIP_1) | instid1(VALU_DEP_2)
	v_lshlrev_b32_e32 v9, v9, v3
	v_bfe_u32 v3, v3, 3, 4
	v_and_b32_e32 v9, 7, v9
	s_delay_alu instid0(VALU_DEP_2) | instskip(NEXT) | instid1(VALU_DEP_2)
	v_cmp_eq_u32_e32 vcc_lo, 0, v3
	v_dual_cndmask_b32 v7, v7, v9 :: v_dual_lshlrev_b32 v4, 24, v4
	v_cndmask_b32_e32 v3, v3, v8, vcc_lo
	s_delay_alu instid0(VALU_DEP_2) | instskip(NEXT) | instid1(VALU_DEP_3)
	v_and_b32_e32 v4, 0x80000000, v4
	v_lshlrev_b32_e32 v7, 20, v7
	s_delay_alu instid0(VALU_DEP_3) | instskip(NEXT) | instid1(VALU_DEP_1)
	v_lshl_add_u32 v3, v3, 23, 0x3b800000
	v_or3_b32 v3, v4, v3, v7
	s_delay_alu instid0(VALU_DEP_1) | instskip(NEXT) | instid1(VALU_DEP_1)
	v_trunc_f32_e32 v3, v3
	v_mul_f32_e64 v4, 0x2f800000, |v3|
	s_delay_alu instid0(VALU_DEP_1) | instskip(NEXT) | instid1(VALU_DEP_1)
	v_floor_f32_e32 v4, v4
	v_fma_f32 v4, 0xcf800000, v4, |v3|
	v_ashrrev_i32_e32 v3, 31, v3
	s_delay_alu instid0(VALU_DEP_2) | instskip(NEXT) | instid1(VALU_DEP_1)
	v_cvt_u32_f32_e32 v4, v4
	v_xor_b32_e32 v4, v4, v3
	s_delay_alu instid0(VALU_DEP_1)
	v_sub_nc_u32_e32 v3, v4, v3
.LBB353_173:
	s_or_b32 exec_lo, exec_lo, s2
.LBB353_174:
	s_mov_b32 s2, -1
.LBB353_175:
	s_branch .LBB353_208
.LBB353_176:
	v_cmp_lt_i16_e32 vcc_lo, 22, v6
	s_cbranch_vccz .LBB353_184
; %bb.177:
	v_cmp_gt_i16_e32 vcc_lo, 24, v6
	s_cbranch_vccnz .LBB353_187
; %bb.178:
	v_cmp_lt_i16_e32 vcc_lo, 24, v6
	s_cbranch_vccz .LBB353_188
; %bb.179:
	global_load_u8 v4, v[1:2], off
	s_mov_b32 s22, 0
	s_mov_b32 s2, exec_lo
                                        ; implicit-def: $sgpr23
	s_waitcnt vmcnt(0)
	v_cmpx_lt_i16_e32 0x7f, v4
	s_xor_b32 s2, exec_lo, s2
	s_cbranch_execz .LBB353_200
; %bb.180:
	v_cmp_ne_u16_e32 vcc_lo, 0x80, v4
	s_mov_b32 s23, 0
	s_and_b32 s22, vcc_lo, exec_lo
	s_or_saveexec_b32 s2, s2
	v_mov_b32_e32 v3, s23
	s_xor_b32 exec_lo, exec_lo, s2
	s_cbranch_execnz .LBB353_201
.LBB353_181:
	s_or_b32 exec_lo, exec_lo, s2
	s_and_saveexec_b32 s2, s22
	s_cbranch_execz .LBB353_183
.LBB353_182:
	v_and_b32_e32 v3, 0xffff, v4
	s_delay_alu instid0(VALU_DEP_1) | instskip(NEXT) | instid1(VALU_DEP_1)
	v_and_b32_e32 v7, 3, v3
	v_clz_i32_u32_e32 v8, v7
	s_delay_alu instid0(VALU_DEP_1) | instskip(NEXT) | instid1(VALU_DEP_1)
	v_min_u32_e32 v8, 32, v8
	v_subrev_nc_u32_e32 v9, 29, v8
	v_sub_nc_u32_e32 v8, 30, v8
	s_delay_alu instid0(VALU_DEP_2) | instskip(SKIP_1) | instid1(VALU_DEP_2)
	v_lshlrev_b32_e32 v9, v9, v3
	v_bfe_u32 v3, v3, 2, 5
	v_and_b32_e32 v9, 3, v9
	s_delay_alu instid0(VALU_DEP_2) | instskip(NEXT) | instid1(VALU_DEP_2)
	v_cmp_eq_u32_e32 vcc_lo, 0, v3
	v_dual_cndmask_b32 v7, v7, v9 :: v_dual_lshlrev_b32 v4, 24, v4
	v_cndmask_b32_e32 v3, v3, v8, vcc_lo
	s_delay_alu instid0(VALU_DEP_2) | instskip(NEXT) | instid1(VALU_DEP_3)
	v_and_b32_e32 v4, 0x80000000, v4
	v_lshlrev_b32_e32 v7, 21, v7
	s_delay_alu instid0(VALU_DEP_3) | instskip(NEXT) | instid1(VALU_DEP_1)
	v_lshl_add_u32 v3, v3, 23, 0x37800000
	v_or3_b32 v3, v4, v3, v7
	s_delay_alu instid0(VALU_DEP_1) | instskip(NEXT) | instid1(VALU_DEP_1)
	v_trunc_f32_e32 v3, v3
	v_mul_f32_e64 v4, 0x2f800000, |v3|
	s_delay_alu instid0(VALU_DEP_1) | instskip(NEXT) | instid1(VALU_DEP_1)
	v_floor_f32_e32 v4, v4
	v_fma_f32 v4, 0xcf800000, v4, |v3|
	v_ashrrev_i32_e32 v3, 31, v3
	s_delay_alu instid0(VALU_DEP_2) | instskip(NEXT) | instid1(VALU_DEP_1)
	v_cvt_u32_f32_e32 v4, v4
	v_xor_b32_e32 v4, v4, v3
	s_delay_alu instid0(VALU_DEP_1)
	v_sub_nc_u32_e32 v3, v4, v3
.LBB353_183:
	s_or_b32 exec_lo, exec_lo, s2
	s_mov_b32 s2, 0
	s_branch .LBB353_189
.LBB353_184:
	s_mov_b32 s22, -1
                                        ; implicit-def: $vgpr3
	s_branch .LBB353_195
.LBB353_185:
	s_or_saveexec_b32 s2, s2
	v_mov_b32_e32 v3, s23
	s_xor_b32 exec_lo, exec_lo, s2
	s_cbranch_execz .LBB353_171
.LBB353_186:
	v_cmp_ne_u16_e32 vcc_lo, 0, v4
	v_mov_b32_e32 v3, 0
	s_and_not1_b32 s22, s22, exec_lo
	s_and_b32 s23, vcc_lo, exec_lo
	s_delay_alu instid0(SALU_CYCLE_1)
	s_or_b32 s22, s22, s23
	s_or_b32 exec_lo, exec_lo, s2
	s_and_saveexec_b32 s2, s22
	s_cbranch_execnz .LBB353_172
	s_branch .LBB353_173
.LBB353_187:
	s_mov_b32 s2, -1
                                        ; implicit-def: $vgpr3
	s_branch .LBB353_192
.LBB353_188:
	s_mov_b32 s2, -1
                                        ; implicit-def: $vgpr3
.LBB353_189:
	s_delay_alu instid0(SALU_CYCLE_1)
	s_and_b32 vcc_lo, exec_lo, s2
	s_cbranch_vccz .LBB353_191
; %bb.190:
	global_load_u8 v3, v[1:2], off
	s_waitcnt vmcnt(0)
	v_lshlrev_b32_e32 v3, 24, v3
	s_delay_alu instid0(VALU_DEP_1) | instskip(NEXT) | instid1(VALU_DEP_1)
	v_and_b32_e32 v4, 0x7f000000, v3
	v_clz_i32_u32_e32 v7, v4
	v_cmp_ne_u32_e32 vcc_lo, 0, v4
	v_add_nc_u32_e32 v9, 0x1000000, v4
	s_delay_alu instid0(VALU_DEP_3) | instskip(NEXT) | instid1(VALU_DEP_1)
	v_min_u32_e32 v7, 32, v7
	v_sub_nc_u32_e64 v7, v7, 4 clamp
	s_delay_alu instid0(VALU_DEP_1) | instskip(SKIP_1) | instid1(VALU_DEP_2)
	v_lshlrev_b32_e32 v8, v7, v4
	v_lshlrev_b32_e32 v7, 23, v7
	v_lshrrev_b32_e32 v8, 4, v8
	s_delay_alu instid0(VALU_DEP_1) | instskip(SKIP_1) | instid1(VALU_DEP_2)
	v_sub_nc_u32_e32 v7, v8, v7
	v_ashrrev_i32_e32 v8, 8, v9
	v_add_nc_u32_e32 v7, 0x3c000000, v7
	s_delay_alu instid0(VALU_DEP_1) | instskip(NEXT) | instid1(VALU_DEP_1)
	v_and_or_b32 v7, 0x7f800000, v8, v7
	v_cndmask_b32_e32 v4, 0, v7, vcc_lo
	s_delay_alu instid0(VALU_DEP_1) | instskip(NEXT) | instid1(VALU_DEP_1)
	v_and_or_b32 v3, 0x80000000, v3, v4
	v_trunc_f32_e32 v3, v3
	s_delay_alu instid0(VALU_DEP_1) | instskip(NEXT) | instid1(VALU_DEP_1)
	v_mul_f32_e64 v4, 0x2f800000, |v3|
	v_floor_f32_e32 v4, v4
	s_delay_alu instid0(VALU_DEP_1) | instskip(SKIP_1) | instid1(VALU_DEP_2)
	v_fma_f32 v4, 0xcf800000, v4, |v3|
	v_ashrrev_i32_e32 v3, 31, v3
	v_cvt_u32_f32_e32 v4, v4
	s_delay_alu instid0(VALU_DEP_1) | instskip(NEXT) | instid1(VALU_DEP_1)
	v_xor_b32_e32 v4, v4, v3
	v_sub_nc_u32_e32 v3, v4, v3
.LBB353_191:
	s_mov_b32 s2, 0
.LBB353_192:
	s_delay_alu instid0(SALU_CYCLE_1)
	s_and_not1_b32 vcc_lo, exec_lo, s2
	s_cbranch_vccnz .LBB353_194
; %bb.193:
	global_load_u8 v3, v[1:2], off
	s_waitcnt vmcnt(0)
	v_lshlrev_b32_e32 v4, 25, v3
	v_lshlrev_b16 v3, 8, v3
	s_delay_alu instid0(VALU_DEP_2) | instskip(NEXT) | instid1(VALU_DEP_2)
	v_lshrrev_b32_e32 v7, 4, v4
	v_and_or_b32 v8, 0x7f00, v3, 0.5
	v_cmp_gt_u32_e32 vcc_lo, 0x8000000, v4
	v_bfe_i32 v3, v3, 0, 16
	s_delay_alu instid0(VALU_DEP_4) | instskip(NEXT) | instid1(VALU_DEP_1)
	v_or_b32_e32 v7, 0x70000000, v7
	v_dual_add_f32 v8, -0.5, v8 :: v_dual_mul_f32 v7, 0x7800000, v7
	s_delay_alu instid0(VALU_DEP_1) | instskip(NEXT) | instid1(VALU_DEP_1)
	v_cndmask_b32_e32 v4, v7, v8, vcc_lo
	v_and_or_b32 v3, 0x80000000, v3, v4
	s_delay_alu instid0(VALU_DEP_1) | instskip(NEXT) | instid1(VALU_DEP_1)
	v_trunc_f32_e32 v3, v3
	v_mul_f32_e64 v4, 0x2f800000, |v3|
	s_delay_alu instid0(VALU_DEP_1) | instskip(NEXT) | instid1(VALU_DEP_1)
	v_floor_f32_e32 v4, v4
	v_fma_f32 v4, 0xcf800000, v4, |v3|
	v_ashrrev_i32_e32 v3, 31, v3
	s_delay_alu instid0(VALU_DEP_2) | instskip(NEXT) | instid1(VALU_DEP_1)
	v_cvt_u32_f32_e32 v4, v4
	v_xor_b32_e32 v4, v4, v3
	s_delay_alu instid0(VALU_DEP_1)
	v_sub_nc_u32_e32 v3, v4, v3
.LBB353_194:
	s_mov_b32 s22, 0
	s_mov_b32 s2, -1
.LBB353_195:
	s_and_not1_b32 vcc_lo, exec_lo, s22
	s_cbranch_vccnz .LBB353_208
; %bb.196:
	v_cmp_lt_i16_e32 vcc_lo, 14, v6
	s_cbranch_vccz .LBB353_199
; %bb.197:
	v_cmp_eq_u16_e32 vcc_lo, 15, v6
	s_cbranch_vccz .LBB353_202
; %bb.198:
	global_load_u16 v3, v[1:2], off
	s_mov_b32 s2, -1
	s_mov_b32 s3, 0
	s_waitcnt vmcnt(0)
	v_lshlrev_b32_e32 v3, 16, v3
	s_delay_alu instid0(VALU_DEP_1) | instskip(NEXT) | instid1(VALU_DEP_1)
	v_trunc_f32_e32 v3, v3
	v_mul_f32_e64 v4, 0x2f800000, |v3|
	s_delay_alu instid0(VALU_DEP_1) | instskip(NEXT) | instid1(VALU_DEP_1)
	v_floor_f32_e32 v4, v4
	v_fma_f32 v4, 0xcf800000, v4, |v3|
	v_ashrrev_i32_e32 v3, 31, v3
	s_delay_alu instid0(VALU_DEP_2) | instskip(NEXT) | instid1(VALU_DEP_1)
	v_cvt_u32_f32_e32 v4, v4
	v_xor_b32_e32 v4, v4, v3
	s_delay_alu instid0(VALU_DEP_1)
	v_sub_nc_u32_e32 v3, v4, v3
	s_branch .LBB353_203
.LBB353_199:
	s_mov_b32 s22, -1
                                        ; implicit-def: $vgpr3
	s_branch .LBB353_204
.LBB353_200:
	s_or_saveexec_b32 s2, s2
	v_mov_b32_e32 v3, s23
	s_xor_b32 exec_lo, exec_lo, s2
	s_cbranch_execz .LBB353_181
.LBB353_201:
	v_cmp_ne_u16_e32 vcc_lo, 0, v4
	v_mov_b32_e32 v3, 0
	s_and_not1_b32 s22, s22, exec_lo
	s_and_b32 s23, vcc_lo, exec_lo
	s_delay_alu instid0(SALU_CYCLE_1)
	s_or_b32 s22, s22, s23
	s_or_b32 exec_lo, exec_lo, s2
	s_and_saveexec_b32 s2, s22
	s_cbranch_execnz .LBB353_182
	s_branch .LBB353_183
.LBB353_202:
	s_mov_b32 s3, -1
                                        ; implicit-def: $vgpr3
.LBB353_203:
	s_mov_b32 s22, 0
.LBB353_204:
	s_delay_alu instid0(SALU_CYCLE_1)
	s_and_b32 vcc_lo, exec_lo, s22
	s_cbranch_vccz .LBB353_208
; %bb.205:
	v_cmp_eq_u16_e32 vcc_lo, 11, v6
	s_cbranch_vccz .LBB353_207
; %bb.206:
	global_load_u8 v3, v[1:2], off
	s_mov_b32 s3, 0
	s_mov_b32 s2, -1
	s_waitcnt vmcnt(0)
	v_cmp_ne_u16_e32 vcc_lo, 0, v3
	v_cndmask_b32_e64 v3, 0, 1, vcc_lo
	s_branch .LBB353_208
.LBB353_207:
	s_mov_b32 s3, -1
                                        ; implicit-def: $vgpr3
.LBB353_208:
	s_branch .LBB353_23
.LBB353_209:
	v_cmp_gt_i16_e32 vcc_lo, 5, v6
	s_cbranch_vccnz .LBB353_214
; %bb.210:
	v_cmp_gt_i16_e32 vcc_lo, 8, v6
	s_cbranch_vccnz .LBB353_215
; %bb.211:
	;; [unrolled: 3-line block ×3, first 2 shown]
	v_cmp_lt_i16_e32 vcc_lo, 9, v6
	s_cbranch_vccz .LBB353_217
; %bb.213:
	global_load_b64 v[3:4], v[1:2], off
	s_mov_b32 s2, 0
	s_waitcnt vmcnt(0)
	v_trunc_f64_e32 v[3:4], v[3:4]
	s_delay_alu instid0(VALU_DEP_1) | instskip(NEXT) | instid1(VALU_DEP_1)
	v_ldexp_f64 v[7:8], v[3:4], 0xffffffe0
	v_floor_f64_e32 v[7:8], v[7:8]
	s_delay_alu instid0(VALU_DEP_1) | instskip(NEXT) | instid1(VALU_DEP_1)
	v_fma_f64 v[3:4], 0xc1f00000, v[7:8], v[3:4]
	v_cvt_u32_f64_e32 v3, v[3:4]
	s_branch .LBB353_218
.LBB353_214:
                                        ; implicit-def: $vgpr3
	s_branch .LBB353_236
.LBB353_215:
	s_mov_b32 s2, -1
                                        ; implicit-def: $vgpr3
	s_branch .LBB353_224
.LBB353_216:
	s_mov_b32 s2, -1
                                        ; implicit-def: $vgpr3
	s_branch .LBB353_221
.LBB353_217:
	s_mov_b32 s2, -1
                                        ; implicit-def: $vgpr3
.LBB353_218:
	s_delay_alu instid0(SALU_CYCLE_1)
	s_and_not1_b32 vcc_lo, exec_lo, s2
	s_cbranch_vccnz .LBB353_220
; %bb.219:
	global_load_b32 v3, v[1:2], off
	s_waitcnt vmcnt(0)
	v_trunc_f32_e32 v3, v3
	s_delay_alu instid0(VALU_DEP_1) | instskip(NEXT) | instid1(VALU_DEP_1)
	v_mul_f32_e64 v4, 0x2f800000, |v3|
	v_floor_f32_e32 v4, v4
	s_delay_alu instid0(VALU_DEP_1) | instskip(SKIP_1) | instid1(VALU_DEP_2)
	v_fma_f32 v4, 0xcf800000, v4, |v3|
	v_ashrrev_i32_e32 v3, 31, v3
	v_cvt_u32_f32_e32 v4, v4
	s_delay_alu instid0(VALU_DEP_1) | instskip(NEXT) | instid1(VALU_DEP_1)
	v_xor_b32_e32 v4, v4, v3
	v_sub_nc_u32_e32 v3, v4, v3
.LBB353_220:
	s_mov_b32 s2, 0
.LBB353_221:
	s_delay_alu instid0(SALU_CYCLE_1)
	s_and_not1_b32 vcc_lo, exec_lo, s2
	s_cbranch_vccnz .LBB353_223
; %bb.222:
	global_load_b32 v3, v[1:2], off
	s_waitcnt vmcnt(0)
	v_cvt_f32_f16_e32 v3, v3
	s_delay_alu instid0(VALU_DEP_1)
	v_cvt_i32_f32_e32 v3, v3
.LBB353_223:
	s_mov_b32 s2, 0
.LBB353_224:
	s_delay_alu instid0(SALU_CYCLE_1)
	s_and_not1_b32 vcc_lo, exec_lo, s2
	s_cbranch_vccnz .LBB353_235
; %bb.225:
	v_cmp_gt_i16_e32 vcc_lo, 6, v6
	s_cbranch_vccnz .LBB353_228
; %bb.226:
	v_cmp_lt_i16_e32 vcc_lo, 6, v6
	s_cbranch_vccz .LBB353_229
; %bb.227:
	global_load_b64 v[3:4], v[1:2], off
	s_mov_b32 s2, 0
	s_waitcnt vmcnt(0)
	v_trunc_f64_e32 v[3:4], v[3:4]
	s_delay_alu instid0(VALU_DEP_1) | instskip(NEXT) | instid1(VALU_DEP_1)
	v_ldexp_f64 v[7:8], v[3:4], 0xffffffe0
	v_floor_f64_e32 v[7:8], v[7:8]
	s_delay_alu instid0(VALU_DEP_1) | instskip(NEXT) | instid1(VALU_DEP_1)
	v_fma_f64 v[3:4], 0xc1f00000, v[7:8], v[3:4]
	v_cvt_u32_f64_e32 v3, v[3:4]
	s_branch .LBB353_230
.LBB353_228:
	s_mov_b32 s2, -1
                                        ; implicit-def: $vgpr3
	s_branch .LBB353_233
.LBB353_229:
	s_mov_b32 s2, -1
                                        ; implicit-def: $vgpr3
.LBB353_230:
	s_delay_alu instid0(SALU_CYCLE_1)
	s_and_not1_b32 vcc_lo, exec_lo, s2
	s_cbranch_vccnz .LBB353_232
; %bb.231:
	global_load_b32 v3, v[1:2], off
	s_waitcnt vmcnt(0)
	v_trunc_f32_e32 v3, v3
	s_delay_alu instid0(VALU_DEP_1) | instskip(NEXT) | instid1(VALU_DEP_1)
	v_mul_f32_e64 v4, 0x2f800000, |v3|
	v_floor_f32_e32 v4, v4
	s_delay_alu instid0(VALU_DEP_1) | instskip(SKIP_1) | instid1(VALU_DEP_2)
	v_fma_f32 v4, 0xcf800000, v4, |v3|
	v_ashrrev_i32_e32 v3, 31, v3
	v_cvt_u32_f32_e32 v4, v4
	s_delay_alu instid0(VALU_DEP_1) | instskip(NEXT) | instid1(VALU_DEP_1)
	v_xor_b32_e32 v4, v4, v3
	v_sub_nc_u32_e32 v3, v4, v3
.LBB353_232:
	s_mov_b32 s2, 0
.LBB353_233:
	s_delay_alu instid0(SALU_CYCLE_1)
	s_and_not1_b32 vcc_lo, exec_lo, s2
	s_cbranch_vccnz .LBB353_235
; %bb.234:
	global_load_u16 v3, v[1:2], off
	s_waitcnt vmcnt(0)
	v_cvt_f32_f16_e32 v3, v3
	s_delay_alu instid0(VALU_DEP_1)
	v_cvt_i32_f32_e32 v3, v3
.LBB353_235:
	s_cbranch_execnz .LBB353_255
.LBB353_236:
	v_cmp_gt_i16_e32 vcc_lo, 2, v6
	s_cbranch_vccnz .LBB353_240
; %bb.237:
	v_cmp_gt_i16_e32 vcc_lo, 3, v6
	s_cbranch_vccnz .LBB353_241
; %bb.238:
	v_cmp_lt_i16_e32 vcc_lo, 3, v6
	s_cbranch_vccz .LBB353_242
; %bb.239:
	global_load_b64 v[3:4], v[1:2], off
	s_mov_b32 s2, 0
	s_branch .LBB353_243
.LBB353_240:
	s_mov_b32 s2, -1
                                        ; implicit-def: $vgpr3
	s_branch .LBB353_249
.LBB353_241:
	s_mov_b32 s2, -1
                                        ; implicit-def: $vgpr3
	s_branch .LBB353_246
.LBB353_242:
	s_mov_b32 s2, -1
                                        ; implicit-def: $vgpr3
.LBB353_243:
	s_delay_alu instid0(SALU_CYCLE_1)
	s_and_not1_b32 vcc_lo, exec_lo, s2
	s_cbranch_vccnz .LBB353_245
; %bb.244:
	global_load_b32 v3, v[1:2], off
.LBB353_245:
	s_mov_b32 s2, 0
.LBB353_246:
	s_delay_alu instid0(SALU_CYCLE_1)
	s_and_not1_b32 vcc_lo, exec_lo, s2
	s_cbranch_vccnz .LBB353_248
; %bb.247:
	global_load_u16 v3, v[1:2], off
.LBB353_248:
	s_mov_b32 s2, 0
.LBB353_249:
	s_delay_alu instid0(SALU_CYCLE_1)
	s_and_not1_b32 vcc_lo, exec_lo, s2
	s_cbranch_vccnz .LBB353_255
; %bb.250:
	v_cmp_lt_i16_e32 vcc_lo, 0, v6
	s_mov_b32 s2, 0
	s_cbranch_vccz .LBB353_252
; %bb.251:
	global_load_u8 v3, v[1:2], off
	s_branch .LBB353_253
.LBB353_252:
	s_mov_b32 s2, -1
                                        ; implicit-def: $vgpr3
.LBB353_253:
	s_delay_alu instid0(SALU_CYCLE_1)
	s_and_not1_b32 vcc_lo, exec_lo, s2
	s_cbranch_vccnz .LBB353_255
; %bb.254:
	global_load_u8 v3, v[1:2], off
.LBB353_255:
	s_branch .LBB353_24
.LBB353_256:
	s_mov_b32 s2, 0
.LBB353_257:
	s_mov_b32 s22, 0
                                        ; implicit-def: $vgpr5
.LBB353_258:
	s_and_b32 s37, s2, exec_lo
	s_and_b32 s38, s3, exec_lo
	s_or_not1_b32 s3, s22, exec_lo
.LBB353_259:
	s_or_b32 exec_lo, exec_lo, s39
	s_mov_b32 s22, 0
	s_mov_b32 s2, 0
                                        ; implicit-def: $vgpr6
                                        ; implicit-def: $vgpr1_vgpr2
                                        ; implicit-def: $vgpr0
                                        ; implicit-def: $vgpr3
	s_and_saveexec_b32 s39, s3
	s_cbranch_execz .LBB353_890
; %bb.260:
	s_mov_b32 s2, -1
	s_mov_b32 s40, s38
	s_mov_b32 s41, s37
	s_mov_b32 s42, exec_lo
	v_cmpx_gt_i32_e64 s34, v5
	s_cbranch_execz .LBB353_525
; %bb.261:
	s_and_not1_b32 vcc_lo, exec_lo, s27
	s_cbranch_vccnz .LBB353_266
; %bb.262:
	v_dual_mov_b32 v0, 0 :: v_dual_mov_b32 v1, 0
	s_and_not1_b32 vcc_lo, exec_lo, s36
	s_mov_b32 s40, 0
	s_cbranch_vccnz .LBB353_271
; %bb.263:
	v_mov_b32_e32 v0, 0
	s_add_i32 s43, s35, 1
	s_cmp_eq_u32 s25, 2
	s_mov_b32 s41, 0
	s_cbranch_scc1 .LBB353_267
; %bb.264:
	v_dual_mov_b32 v1, 0 :: v_dual_mov_b32 v0, 0
	v_mov_b32_e32 v2, v5
	s_and_b32 s41, s43, 28
	s_mov_b32 s44, 0
	s_mov_b64 s[2:3], s[20:21]
	s_mov_b64 s[22:23], s[16:17]
.LBB353_265:                            ; =>This Inner Loop Header: Depth=1
	s_clause 0x1
	s_load_b256 s[48:55], s[22:23], 0x4
	s_load_b128 s[64:67], s[22:23], 0x24
	s_load_b256 s[56:63], s[2:3], 0x0
	s_add_u32 s22, s22, 48
	s_addc_u32 s23, s23, 0
	s_add_i32 s44, s44, 4
	s_add_u32 s2, s2, 32
	s_addc_u32 s3, s3, 0
	s_cmp_eq_u32 s41, s44
	s_waitcnt vmcnt(0) lgkmcnt(0)
	v_mul_hi_u32 v3, s49, v2
	s_delay_alu instid0(VALU_DEP_1) | instskip(NEXT) | instid1(VALU_DEP_1)
	v_add_nc_u32_e32 v3, v2, v3
	v_lshrrev_b32_e32 v3, s50, v3
	s_delay_alu instid0(VALU_DEP_1) | instskip(SKIP_1) | instid1(VALU_DEP_2)
	v_mul_hi_u32 v4, s52, v3
	v_mul_lo_u32 v7, v3, s48
	v_add_nc_u32_e32 v4, v3, v4
	s_delay_alu instid0(VALU_DEP_2) | instskip(NEXT) | instid1(VALU_DEP_2)
	v_sub_nc_u32_e32 v2, v2, v7
	v_lshrrev_b32_e32 v4, s53, v4
	s_delay_alu instid0(VALU_DEP_2) | instskip(SKIP_1) | instid1(VALU_DEP_3)
	v_mul_lo_u32 v7, v2, s56
	v_mul_lo_u32 v9, v2, s57
	v_mul_hi_u32 v6, s55, v4
	s_delay_alu instid0(VALU_DEP_1) | instskip(NEXT) | instid1(VALU_DEP_1)
	v_add_nc_u32_e32 v6, v4, v6
	v_lshrrev_b32_e32 v6, s64, v6
	s_delay_alu instid0(VALU_DEP_1) | instskip(SKIP_1) | instid1(VALU_DEP_2)
	v_mul_hi_u32 v8, s66, v6
	v_mul_lo_u32 v10, v6, s54
	v_add_nc_u32_e32 v2, v6, v8
	v_mul_lo_u32 v8, v4, s51
	s_delay_alu instid0(VALU_DEP_3) | instskip(NEXT) | instid1(VALU_DEP_3)
	v_sub_nc_u32_e32 v4, v4, v10
	v_lshrrev_b32_e32 v2, s67, v2
	s_delay_alu instid0(VALU_DEP_2) | instskip(SKIP_2) | instid1(VALU_DEP_4)
	v_mul_lo_u32 v10, v4, s60
	v_mul_lo_u32 v4, v4, s61
	v_sub_nc_u32_e32 v3, v3, v8
	v_mul_lo_u32 v11, v2, s65
	s_delay_alu instid0(VALU_DEP_2) | instskip(SKIP_1) | instid1(VALU_DEP_3)
	v_mul_lo_u32 v8, v3, s58
	v_mul_lo_u32 v3, v3, s59
	v_sub_nc_u32_e32 v6, v6, v11
	s_delay_alu instid0(VALU_DEP_3) | instskip(NEXT) | instid1(VALU_DEP_2)
	v_add3_u32 v0, v7, v0, v8
	v_mul_lo_u32 v11, v6, s62
	v_mul_lo_u32 v6, v6, s63
	v_add3_u32 v1, v9, v1, v3
	s_delay_alu instid0(VALU_DEP_3) | instskip(NEXT) | instid1(VALU_DEP_2)
	v_add3_u32 v0, v10, v0, v11
	v_add3_u32 v1, v4, v1, v6
	s_cbranch_scc0 .LBB353_265
	s_branch .LBB353_268
.LBB353_266:
	s_mov_b32 s40, -1
                                        ; implicit-def: $vgpr0
                                        ; implicit-def: $vgpr1
	s_branch .LBB353_271
.LBB353_267:
	v_dual_mov_b32 v2, v5 :: v_dual_mov_b32 v1, 0
.LBB353_268:
	s_and_b32 s43, s43, 3
	s_delay_alu instid0(SALU_CYCLE_1)
	s_cmp_eq_u32 s43, 0
	s_cbranch_scc1 .LBB353_271
; %bb.269:
	s_lshl_b32 s2, s41, 3
	s_mul_i32 s22, s41, 12
	s_add_u32 s2, s2, s16
	s_addc_u32 s3, s17, 0
	s_add_u32 s2, s2, 0xc4
	s_addc_u32 s3, s3, 0
	;; [unrolled: 2-line block ×3, first 2 shown]
	.p2align	6
.LBB353_270:                            ; =>This Inner Loop Header: Depth=1
	s_clause 0x1
	s_load_b64 s[44:45], s[22:23], 0x4
	s_load_b32 s41, s[22:23], 0xc
	s_load_b64 s[46:47], s[2:3], 0x0
	s_add_u32 s22, s22, 12
	s_addc_u32 s23, s23, 0
	s_add_u32 s2, s2, 8
	s_addc_u32 s3, s3, 0
	s_add_i32 s43, s43, -1
	s_delay_alu instid0(SALU_CYCLE_1) | instskip(SKIP_2) | instid1(VALU_DEP_1)
	s_cmp_lg_u32 s43, 0
	s_waitcnt vmcnt(0) lgkmcnt(0)
	v_mul_hi_u32 v3, s45, v2
	v_add_nc_u32_e32 v3, v2, v3
	s_delay_alu instid0(VALU_DEP_1) | instskip(NEXT) | instid1(VALU_DEP_1)
	v_lshrrev_b32_e32 v8, s41, v3
	v_mul_lo_u32 v3, v8, s44
	s_delay_alu instid0(VALU_DEP_1) | instskip(NEXT) | instid1(VALU_DEP_1)
	v_sub_nc_u32_e32 v2, v2, v3
	v_mad_u64_u32 v[3:4], null, v2, s46, v[0:1]
	v_mad_u64_u32 v[6:7], null, v2, s47, v[1:2]
	v_mov_b32_e32 v2, v8
	s_delay_alu instid0(VALU_DEP_2)
	v_dual_mov_b32 v0, v3 :: v_dual_mov_b32 v1, v6
	s_cbranch_scc1 .LBB353_270
.LBB353_271:
	s_and_not1_b32 vcc_lo, exec_lo, s40
	s_cbranch_vccnz .LBB353_274
; %bb.272:
	v_mul_hi_u32 v0, s13, v5
	s_and_not1_b32 vcc_lo, exec_lo, s33
	s_delay_alu instid0(VALU_DEP_1) | instskip(NEXT) | instid1(VALU_DEP_1)
	v_add_nc_u32_e32 v0, v5, v0
	v_lshrrev_b32_e32 v2, s14, v0
	s_delay_alu instid0(VALU_DEP_1) | instskip(NEXT) | instid1(VALU_DEP_1)
	v_mul_lo_u32 v0, v2, s12
	v_sub_nc_u32_e32 v1, v5, v0
	s_delay_alu instid0(VALU_DEP_1)
	v_mul_lo_u32 v0, v1, s8
	v_mul_lo_u32 v1, v1, s9
	s_cbranch_vccnz .LBB353_274
; %bb.273:
	s_waitcnt vmcnt(0)
	v_mul_hi_u32 v3, s18, v2
	s_delay_alu instid0(VALU_DEP_1) | instskip(NEXT) | instid1(VALU_DEP_1)
	v_add_nc_u32_e32 v3, v2, v3
	v_lshrrev_b32_e32 v3, s19, v3
	s_delay_alu instid0(VALU_DEP_1) | instskip(NEXT) | instid1(VALU_DEP_1)
	v_mul_lo_u32 v3, v3, s15
	v_sub_nc_u32_e32 v6, v2, v3
	s_delay_alu instid0(VALU_DEP_1) | instskip(NEXT) | instid1(VALU_DEP_1)
	v_mad_u64_u32 v[2:3], null, v6, s10, v[0:1]
	v_mad_u64_u32 v[3:4], null, v6, s11, v[1:2]
	s_delay_alu instid0(VALU_DEP_1)
	v_dual_mov_b32 v0, v2 :: v_dual_mov_b32 v1, v3
.LBB353_274:
	v_and_b32_e64 v6, 0xff, s31
	s_delay_alu instid0(VALU_DEP_2) | instskip(NEXT) | instid1(VALU_DEP_1)
	v_add_co_u32 v1, s2, s6, v1
	v_add_co_ci_u32_e64 v2, null, s7, 0, s2
	s_delay_alu instid0(VALU_DEP_3)
	v_cmp_gt_i16_e32 vcc_lo, 11, v6
	s_mov_b32 s2, 0
	s_cbranch_vccnz .LBB353_281
; %bb.275:
	v_cmp_lt_i16_e32 vcc_lo, 25, v6
	s_cbranch_vccz .LBB353_330
; %bb.276:
	v_cmp_lt_i16_e32 vcc_lo, 28, v6
	s_cbranch_vccz .LBB353_331
	;; [unrolled: 3-line block ×4, first 2 shown]
; %bb.279:
	v_cmp_eq_u16_e32 vcc_lo, 46, v6
	s_mov_b32 s22, 0
	s_cbranch_vccz .LBB353_339
; %bb.280:
	global_load_b32 v3, v[1:2], off
	s_mov_b32 s2, -1
	s_mov_b32 s3, 0
	s_waitcnt vmcnt(0)
	v_lshlrev_b32_e32 v3, 16, v3
	s_delay_alu instid0(VALU_DEP_1) | instskip(NEXT) | instid1(VALU_DEP_1)
	v_trunc_f32_e32 v3, v3
	v_mul_f32_e64 v4, 0x2f800000, |v3|
	s_delay_alu instid0(VALU_DEP_1) | instskip(NEXT) | instid1(VALU_DEP_1)
	v_floor_f32_e32 v4, v4
	v_fma_f32 v4, 0xcf800000, v4, |v3|
	v_ashrrev_i32_e32 v3, 31, v3
	s_delay_alu instid0(VALU_DEP_2) | instskip(NEXT) | instid1(VALU_DEP_1)
	v_cvt_u32_f32_e32 v4, v4
	v_xor_b32_e32 v4, v4, v3
	s_delay_alu instid0(VALU_DEP_1)
	v_sub_nc_u32_e32 v3, v4, v3
	s_branch .LBB353_341
.LBB353_281:
	s_mov_b32 s3, s38
                                        ; implicit-def: $vgpr3
	s_cbranch_execnz .LBB353_474
.LBB353_282:
	s_and_not1_b32 vcc_lo, exec_lo, s2
	s_cbranch_vccnz .LBB353_522
.LBB353_283:
	s_waitcnt vmcnt(0)
	s_delay_alu instid0(VALU_DEP_1) | instskip(SKIP_4) | instid1(VALU_DEP_3)
	v_and_b32_e32 v2, 0xff, v3
	v_and_b32_e64 v3, 0xff, s30
	v_and_b32_e64 v1, 0xff, s29
	v_add_co_u32 v0, s2, s4, v0
	s_mov_b32 s22, 0
	v_cmp_gt_i16_e32 vcc_lo, 11, v3
	s_delay_alu instid0(VALU_DEP_3)
	v_max_u16 v2, v2, v1
	v_add_co_ci_u32_e64 v1, null, s5, 0, s2
	s_mov_b32 s23, -1
	s_mov_b32 s2, s37
	s_cbranch_vccnz .LBB353_290
; %bb.284:
	v_cmp_lt_i16_e32 vcc_lo, 25, v3
	s_cbranch_vccz .LBB353_332
; %bb.285:
	v_cmp_lt_i16_e32 vcc_lo, 28, v3
	s_cbranch_vccz .LBB353_334
	;; [unrolled: 3-line block ×4, first 2 shown]
; %bb.288:
	v_cmp_eq_u16_e32 vcc_lo, 46, v3
	s_mov_b32 s23, 0
	s_mov_b32 s2, -1
	s_cbranch_vccz .LBB353_345
; %bb.289:
	v_cvt_f32_ubyte0_e32 v4, v2
	s_mov_b32 s22, -1
	s_mov_b32 s2, 0
	s_delay_alu instid0(VALU_DEP_1) | instskip(NEXT) | instid1(VALU_DEP_1)
	v_bfe_u32 v6, v4, 16, 1
	v_add3_u32 v4, v4, v6, 0x7fff
	s_delay_alu instid0(VALU_DEP_1)
	v_lshrrev_b32_e32 v4, 16, v4
	global_store_b32 v[0:1], v4, off
	s_branch .LBB353_345
.LBB353_290:
	s_and_b32 vcc_lo, exec_lo, s23
	s_cbranch_vccz .LBB353_414
; %bb.291:
	v_cmp_gt_i16_e32 vcc_lo, 5, v3
	s_mov_b32 s22, -1
	s_cbranch_vccnz .LBB353_312
; %bb.292:
	v_cmp_gt_i16_e32 vcc_lo, 8, v3
	s_cbranch_vccnz .LBB353_302
; %bb.293:
	v_cmp_gt_i16_e32 vcc_lo, 9, v3
	s_cbranch_vccnz .LBB353_299
; %bb.294:
	v_cmp_lt_i16_e32 vcc_lo, 9, v3
	s_cbranch_vccz .LBB353_296
; %bb.295:
	v_mov_b32_e32 v8, 0
	v_and_b32_e32 v4, 0xffff, v2
	s_mov_b32 s22, 0
	s_delay_alu instid0(VALU_DEP_2) | instskip(NEXT) | instid1(VALU_DEP_2)
	v_mov_b32_e32 v9, v8
	v_cvt_f64_u32_e32 v[6:7], v4
	global_store_b128 v[0:1], v[6:9], off
.LBB353_296:
	s_and_not1_b32 vcc_lo, exec_lo, s22
	s_cbranch_vccnz .LBB353_298
; %bb.297:
	v_cvt_f32_ubyte0_e32 v6, v2
	v_mov_b32_e32 v7, 0
	global_store_b64 v[0:1], v[6:7], off
.LBB353_298:
	s_mov_b32 s22, 0
.LBB353_299:
	s_delay_alu instid0(SALU_CYCLE_1)
	s_and_not1_b32 vcc_lo, exec_lo, s22
	s_cbranch_vccnz .LBB353_301
; %bb.300:
	v_cvt_f16_u16_e32 v4, v2
	s_delay_alu instid0(VALU_DEP_1)
	v_and_b32_e32 v4, 0xffff, v4
	global_store_b32 v[0:1], v4, off
.LBB353_301:
	s_mov_b32 s22, 0
.LBB353_302:
	s_delay_alu instid0(SALU_CYCLE_1)
	s_and_not1_b32 vcc_lo, exec_lo, s22
	s_cbranch_vccnz .LBB353_311
; %bb.303:
	v_cmp_gt_i16_e32 vcc_lo, 6, v3
	s_mov_b32 s22, -1
	s_cbranch_vccnz .LBB353_309
; %bb.304:
	v_cmp_lt_i16_e32 vcc_lo, 6, v3
	s_cbranch_vccz .LBB353_306
; %bb.305:
	v_and_b32_e32 v4, 0xffff, v2
	s_mov_b32 s22, 0
	s_delay_alu instid0(VALU_DEP_1)
	v_cvt_f64_u32_e32 v[6:7], v4
	global_store_b64 v[0:1], v[6:7], off
.LBB353_306:
	s_and_not1_b32 vcc_lo, exec_lo, s22
	s_cbranch_vccnz .LBB353_308
; %bb.307:
	v_cvt_f32_ubyte0_e32 v4, v2
	global_store_b32 v[0:1], v4, off
.LBB353_308:
	s_mov_b32 s22, 0
.LBB353_309:
	s_delay_alu instid0(SALU_CYCLE_1)
	s_and_not1_b32 vcc_lo, exec_lo, s22
	s_cbranch_vccnz .LBB353_311
; %bb.310:
	v_cvt_f16_u16_e32 v4, v2
	global_store_b16 v[0:1], v4, off
.LBB353_311:
	s_mov_b32 s22, 0
.LBB353_312:
	s_delay_alu instid0(SALU_CYCLE_1)
	s_and_not1_b32 vcc_lo, exec_lo, s22
	s_cbranch_vccnz .LBB353_328
; %bb.313:
	v_cmp_gt_i16_e32 vcc_lo, 2, v3
	s_mov_b32 s22, -1
	s_cbranch_vccnz .LBB353_323
; %bb.314:
	v_cmp_gt_i16_e32 vcc_lo, 3, v3
	s_cbranch_vccnz .LBB353_320
; %bb.315:
	v_cmp_lt_i16_e32 vcc_lo, 3, v3
	s_cbranch_vccz .LBB353_317
; %bb.316:
	s_mov_b32 s22, 0
	s_delay_alu instid0(SALU_CYCLE_1)
	v_dual_mov_b32 v7, s22 :: v_dual_and_b32 v6, 0xffff, v2
	global_store_b64 v[0:1], v[6:7], off
.LBB353_317:
	s_and_not1_b32 vcc_lo, exec_lo, s22
	s_cbranch_vccnz .LBB353_319
; %bb.318:
	v_and_b32_e32 v4, 0xffff, v2
	global_store_b32 v[0:1], v4, off
.LBB353_319:
	s_mov_b32 s22, 0
.LBB353_320:
	s_delay_alu instid0(SALU_CYCLE_1)
	s_and_not1_b32 vcc_lo, exec_lo, s22
	s_cbranch_vccnz .LBB353_322
; %bb.321:
	global_store_b16 v[0:1], v2, off
.LBB353_322:
	s_mov_b32 s22, 0
.LBB353_323:
	s_delay_alu instid0(SALU_CYCLE_1)
	s_and_not1_b32 vcc_lo, exec_lo, s22
	s_cbranch_vccnz .LBB353_328
; %bb.324:
	v_cmp_lt_i16_e32 vcc_lo, 0, v3
	s_mov_b32 s22, -1
	s_cbranch_vccz .LBB353_326
; %bb.325:
	s_mov_b32 s22, 0
	global_store_b8 v[0:1], v2, off
.LBB353_326:
	s_and_not1_b32 vcc_lo, exec_lo, s22
	s_cbranch_vccnz .LBB353_328
; %bb.327:
	global_store_b8 v[0:1], v2, off
.LBB353_328:
	s_branch .LBB353_415
.LBB353_329:
	s_mov_b32 s22, 0
	s_branch .LBB353_523
.LBB353_330:
	s_mov_b32 s22, -1
	s_mov_b32 s3, s38
                                        ; implicit-def: $vgpr3
	s_branch .LBB353_440
.LBB353_331:
	s_mov_b32 s22, -1
	s_mov_b32 s3, s38
                                        ; implicit-def: $vgpr3
	s_branch .LBB353_423
.LBB353_332:
	s_mov_b32 s2, s37
	s_branch .LBB353_372
.LBB353_333:
	s_mov_b32 s22, -1
	s_mov_b32 s3, s38
                                        ; implicit-def: $vgpr3
	s_branch .LBB353_418
.LBB353_334:
	s_mov_b32 s2, s37
	s_branch .LBB353_355
.LBB353_335:
	s_mov_b32 s22, -1
	s_mov_b32 s3, s38
	s_branch .LBB353_340
.LBB353_336:
	s_mov_b32 s2, s37
	s_branch .LBB353_351
.LBB353_337:
	s_or_saveexec_b32 s37, s37
                                        ; implicit-def: $sgpr38
	s_delay_alu instid0(SALU_CYCLE_1)
	s_xor_b32 exec_lo, exec_lo, s37
	s_cbranch_execz .LBB353_65
.LBB353_338:
	v_add_f32_e32 v4, 0x42800000, v6
	s_and_not1_b32 s23, s23, exec_lo
	s_mov_b32 s38, 0
	s_delay_alu instid0(VALU_DEP_1) | instskip(NEXT) | instid1(VALU_DEP_1)
	v_and_b32_e32 v4, 0xff, v4
	v_cmp_ne_u32_e32 vcc_lo, 0, v4
	s_and_b32 s41, vcc_lo, exec_lo
	s_delay_alu instid0(SALU_CYCLE_1)
	s_or_b32 s23, s23, s41
	s_or_b32 exec_lo, exec_lo, s37
	v_mov_b32_e32 v7, s38
	s_and_saveexec_b32 s37, s23
	s_cbranch_execnz .LBB353_66
	s_branch .LBB353_67
.LBB353_339:
	s_mov_b32 s3, -1
.LBB353_340:
                                        ; implicit-def: $vgpr3
.LBB353_341:
	s_and_b32 vcc_lo, exec_lo, s22
	s_cbranch_vccz .LBB353_417
; %bb.342:
	v_cmp_eq_u16_e32 vcc_lo, 44, v6
	s_cbranch_vccz .LBB353_416
; %bb.343:
	global_load_u8 v3, v[1:2], off
	s_mov_b32 s3, 0
	s_mov_b32 s2, -1
	s_waitcnt vmcnt(0)
	v_lshlrev_b32_e32 v4, 23, v3
	v_cmp_ne_u32_e32 vcc_lo, 0, v3
	s_delay_alu instid0(VALU_DEP_2) | instskip(NEXT) | instid1(VALU_DEP_1)
	v_trunc_f32_e32 v4, v4
	v_mul_f32_e64 v7, 0x2f800000, |v4|
	s_delay_alu instid0(VALU_DEP_1) | instskip(NEXT) | instid1(VALU_DEP_1)
	v_floor_f32_e32 v7, v7
	v_fma_f32 v7, 0xcf800000, v7, |v4|
	v_ashrrev_i32_e32 v4, 31, v4
	s_delay_alu instid0(VALU_DEP_2) | instskip(NEXT) | instid1(VALU_DEP_1)
	v_cvt_u32_f32_e32 v7, v7
	v_xor_b32_e32 v7, v7, v4
	s_delay_alu instid0(VALU_DEP_1) | instskip(NEXT) | instid1(VALU_DEP_1)
	v_sub_nc_u32_e32 v4, v7, v4
	v_cndmask_b32_e32 v3, 0, v4, vcc_lo
	s_branch .LBB353_417
.LBB353_344:
	s_mov_b32 s2, s37
.LBB353_345:
	s_and_b32 vcc_lo, exec_lo, s23
	s_cbranch_vccz .LBB353_350
; %bb.346:
	v_cmp_eq_u16_e32 vcc_lo, 44, v3
	s_mov_b32 s2, -1
	s_cbranch_vccz .LBB353_350
; %bb.347:
	v_cvt_f32_ubyte0_e32 v7, v2
	v_mov_b32_e32 v6, 0xff
	s_mov_b32 s22, exec_lo
	s_delay_alu instid0(VALU_DEP_2) | instskip(NEXT) | instid1(VALU_DEP_1)
	v_lshrrev_b32_e32 v4, 23, v7
	v_cmpx_ne_u32_e32 0xff, v4
; %bb.348:
	v_and_b32_e32 v6, 0x400000, v7
	v_and_or_b32 v7, 0x3fffff, v7, v4
	s_delay_alu instid0(VALU_DEP_2) | instskip(NEXT) | instid1(VALU_DEP_2)
	v_cmp_ne_u32_e32 vcc_lo, 0, v6
	v_cmp_ne_u32_e64 s2, 0, v7
	s_delay_alu instid0(VALU_DEP_1) | instskip(NEXT) | instid1(SALU_CYCLE_1)
	s_and_b32 s2, vcc_lo, s2
	v_cndmask_b32_e64 v6, 0, 1, s2
	s_delay_alu instid0(VALU_DEP_1)
	v_add_nc_u32_e32 v6, v4, v6
; %bb.349:
	s_or_b32 exec_lo, exec_lo, s22
	s_mov_b32 s22, -1
	s_mov_b32 s2, 0
	global_store_b8 v[0:1], v6, off
.LBB353_350:
	s_mov_b32 s23, 0
.LBB353_351:
	s_delay_alu instid0(SALU_CYCLE_1)
	s_and_b32 vcc_lo, exec_lo, s23
	s_cbranch_vccz .LBB353_354
; %bb.352:
	v_cmp_eq_u16_e32 vcc_lo, 29, v3
	s_mov_b32 s2, -1
	s_cbranch_vccz .LBB353_354
; %bb.353:
	s_mov_b32 s2, 0
	s_delay_alu instid0(SALU_CYCLE_1)
	v_dual_mov_b32 v7, s2 :: v_dual_and_b32 v6, 0xffff, v2
	s_mov_b32 s22, -1
	s_mov_b32 s23, 0
	global_store_b64 v[0:1], v[6:7], off
	s_branch .LBB353_355
.LBB353_354:
	s_mov_b32 s23, 0
.LBB353_355:
	s_delay_alu instid0(SALU_CYCLE_1)
	s_and_b32 vcc_lo, exec_lo, s23
	s_cbranch_vccz .LBB353_371
; %bb.356:
	v_cmp_gt_i16_e32 vcc_lo, 27, v3
	s_mov_b32 s22, -1
	s_cbranch_vccnz .LBB353_362
; %bb.357:
	v_cmp_lt_i16_e32 vcc_lo, 27, v3
	s_cbranch_vccz .LBB353_359
; %bb.358:
	v_and_b32_e32 v4, 0xffff, v2
	s_mov_b32 s22, 0
	global_store_b32 v[0:1], v4, off
.LBB353_359:
	s_and_not1_b32 vcc_lo, exec_lo, s22
	s_cbranch_vccnz .LBB353_361
; %bb.360:
	global_store_b16 v[0:1], v2, off
.LBB353_361:
	s_mov_b32 s22, 0
.LBB353_362:
	s_delay_alu instid0(SALU_CYCLE_1)
	s_and_not1_b32 vcc_lo, exec_lo, s22
	s_cbranch_vccnz .LBB353_370
; %bb.363:
	v_cvt_f32_ubyte0_e32 v6, v2
	v_mov_b32_e32 v7, 0x80
	s_mov_b32 s22, exec_lo
	s_delay_alu instid0(VALU_DEP_2)
	v_cmpx_gt_u32_e32 0x43800000, v6
	s_cbranch_execz .LBB353_369
; %bb.364:
	s_mov_b32 s23, 0
	s_mov_b32 s40, exec_lo
                                        ; implicit-def: $vgpr4
	v_cmpx_lt_u32_e32 0x3bffffff, v6
	s_xor_b32 s40, exec_lo, s40
	s_cbranch_execz .LBB353_551
; %bb.365:
	v_bfe_u32 v4, v6, 20, 1
	s_mov_b32 s23, exec_lo
	s_delay_alu instid0(VALU_DEP_1) | instskip(NEXT) | instid1(VALU_DEP_1)
	v_add3_u32 v4, v6, v4, 0x487ffff
                                        ; implicit-def: $vgpr6
	v_lshrrev_b32_e32 v4, 20, v4
	s_or_saveexec_b32 s40, s40
                                        ; implicit-def: $sgpr41
	s_delay_alu instid0(SALU_CYCLE_1)
	s_xor_b32 exec_lo, exec_lo, s40
	s_cbranch_execnz .LBB353_552
.LBB353_366:
	s_or_b32 exec_lo, exec_lo, s40
	v_mov_b32_e32 v7, s41
	s_and_saveexec_b32 s40, s23
.LBB353_367:
	v_mov_b32_e32 v7, v4
.LBB353_368:
	s_or_b32 exec_lo, exec_lo, s40
.LBB353_369:
	s_delay_alu instid0(SALU_CYCLE_1)
	s_or_b32 exec_lo, exec_lo, s22
	global_store_b8 v[0:1], v7, off
.LBB353_370:
	s_mov_b32 s22, -1
.LBB353_371:
	s_mov_b32 s23, 0
.LBB353_372:
	s_delay_alu instid0(SALU_CYCLE_1)
	s_and_b32 vcc_lo, exec_lo, s23
	s_cbranch_vccz .LBB353_413
; %bb.373:
	v_cmp_lt_i16_e32 vcc_lo, 22, v3
	s_mov_b32 s23, -1
	s_cbranch_vccz .LBB353_405
; %bb.374:
	v_cmp_gt_i16_e32 vcc_lo, 24, v3
	s_mov_b32 s22, -1
	s_cbranch_vccnz .LBB353_394
; %bb.375:
	v_cmp_lt_i16_e32 vcc_lo, 24, v3
	s_cbranch_vccz .LBB353_383
; %bb.376:
	v_cvt_f32_ubyte0_e32 v6, v2
	v_mov_b32_e32 v7, 0x80
	s_mov_b32 s22, exec_lo
	s_delay_alu instid0(VALU_DEP_2)
	v_cmpx_gt_u32_e32 0x47800000, v6
	s_cbranch_execz .LBB353_382
; %bb.377:
	s_mov_b32 s23, 0
	s_mov_b32 s40, exec_lo
                                        ; implicit-def: $vgpr4
	v_cmpx_lt_u32_e32 0x37ffffff, v6
	s_xor_b32 s40, exec_lo, s40
	s_cbranch_execz .LBB353_554
; %bb.378:
	v_bfe_u32 v4, v6, 21, 1
	s_mov_b32 s23, exec_lo
	s_delay_alu instid0(VALU_DEP_1) | instskip(NEXT) | instid1(VALU_DEP_1)
	v_add3_u32 v4, v6, v4, 0x88fffff
                                        ; implicit-def: $vgpr6
	v_lshrrev_b32_e32 v4, 21, v4
	s_or_saveexec_b32 s40, s40
                                        ; implicit-def: $sgpr41
	s_delay_alu instid0(SALU_CYCLE_1)
	s_xor_b32 exec_lo, exec_lo, s40
	s_cbranch_execnz .LBB353_555
.LBB353_379:
	s_or_b32 exec_lo, exec_lo, s40
	v_mov_b32_e32 v7, s41
	s_and_saveexec_b32 s40, s23
.LBB353_380:
	v_mov_b32_e32 v7, v4
.LBB353_381:
	s_or_b32 exec_lo, exec_lo, s40
.LBB353_382:
	s_delay_alu instid0(SALU_CYCLE_1)
	s_or_b32 exec_lo, exec_lo, s22
	s_mov_b32 s22, 0
	global_store_b8 v[0:1], v7, off
.LBB353_383:
	s_and_b32 vcc_lo, exec_lo, s22
	s_cbranch_vccz .LBB353_393
; %bb.384:
	v_cvt_f32_ubyte0_e32 v6, v2
	s_mov_b32 s22, exec_lo
                                        ; implicit-def: $vgpr4
	s_delay_alu instid0(VALU_DEP_1)
	v_cmpx_gt_u32_e32 0x43f00000, v6
	s_xor_b32 s22, exec_lo, s22
	s_cbranch_execz .LBB353_390
; %bb.385:
	s_mov_b32 s23, exec_lo
                                        ; implicit-def: $vgpr4
	v_cmpx_lt_u32_e32 0x3c7fffff, v6
	s_xor_b32 s23, exec_lo, s23
; %bb.386:
	v_bfe_u32 v4, v6, 20, 1
	s_delay_alu instid0(VALU_DEP_1) | instskip(NEXT) | instid1(VALU_DEP_1)
	v_add3_u32 v4, v6, v4, 0x407ffff
	v_and_b32_e32 v6, 0xff00000, v4
	v_lshrrev_b32_e32 v4, 20, v4
	s_delay_alu instid0(VALU_DEP_2) | instskip(NEXT) | instid1(VALU_DEP_2)
	v_cmp_ne_u32_e32 vcc_lo, 0x7f00000, v6
                                        ; implicit-def: $vgpr6
	v_cndmask_b32_e32 v4, 0x7e, v4, vcc_lo
; %bb.387:
	s_and_not1_saveexec_b32 s23, s23
; %bb.388:
	v_add_f32_e32 v4, 0x46800000, v6
; %bb.389:
	s_or_b32 exec_lo, exec_lo, s23
                                        ; implicit-def: $vgpr6
.LBB353_390:
	s_and_not1_saveexec_b32 s22, s22
; %bb.391:
	v_mov_b32_e32 v4, 0x7f
	v_cmp_lt_u32_e32 vcc_lo, 0x7f800000, v6
	s_delay_alu instid0(VALU_DEP_2)
	v_cndmask_b32_e32 v4, 0x7e, v4, vcc_lo
; %bb.392:
	s_or_b32 exec_lo, exec_lo, s22
	global_store_b8 v[0:1], v4, off
.LBB353_393:
	s_mov_b32 s22, 0
.LBB353_394:
	s_delay_alu instid0(SALU_CYCLE_1)
	s_and_not1_b32 vcc_lo, exec_lo, s22
	s_cbranch_vccnz .LBB353_404
; %bb.395:
	v_cvt_f32_ubyte0_e32 v6, v2
	s_mov_b32 s22, exec_lo
                                        ; implicit-def: $vgpr4
	s_delay_alu instid0(VALU_DEP_1)
	v_cmpx_gt_u32_e32 0x47800000, v6
	s_xor_b32 s22, exec_lo, s22
	s_cbranch_execz .LBB353_401
; %bb.396:
	s_mov_b32 s23, exec_lo
                                        ; implicit-def: $vgpr4
	v_cmpx_lt_u32_e32 0x387fffff, v6
	s_xor_b32 s23, exec_lo, s23
; %bb.397:
	v_bfe_u32 v4, v6, 21, 1
	s_delay_alu instid0(VALU_DEP_1) | instskip(NEXT) | instid1(VALU_DEP_1)
	v_add3_u32 v4, v6, v4, 0x80fffff
                                        ; implicit-def: $vgpr6
	v_lshrrev_b32_e32 v4, 21, v4
; %bb.398:
	s_and_not1_saveexec_b32 s23, s23
; %bb.399:
	v_add_f32_e32 v4, 0x43000000, v6
; %bb.400:
	s_or_b32 exec_lo, exec_lo, s23
                                        ; implicit-def: $vgpr6
.LBB353_401:
	s_and_not1_saveexec_b32 s22, s22
; %bb.402:
	v_mov_b32_e32 v4, 0x7f
	v_cmp_lt_u32_e32 vcc_lo, 0x7f800000, v6
	s_delay_alu instid0(VALU_DEP_2)
	v_cndmask_b32_e32 v4, 0x7c, v4, vcc_lo
; %bb.403:
	s_or_b32 exec_lo, exec_lo, s22
	global_store_b8 v[0:1], v4, off
.LBB353_404:
	s_mov_b32 s23, 0
	s_mov_b32 s22, -1
.LBB353_405:
	s_and_not1_b32 vcc_lo, exec_lo, s23
	s_cbranch_vccnz .LBB353_413
; %bb.406:
	v_cmp_lt_i16_e32 vcc_lo, 14, v3
	s_mov_b32 s23, -1
	s_cbranch_vccz .LBB353_410
; %bb.407:
	v_cmp_eq_u16_e32 vcc_lo, 15, v3
	s_mov_b32 s2, -1
	s_cbranch_vccz .LBB353_409
; %bb.408:
	v_cvt_f32_ubyte0_e32 v4, v2
	s_mov_b32 s22, -1
	s_mov_b32 s2, 0
	s_delay_alu instid0(VALU_DEP_1) | instskip(NEXT) | instid1(VALU_DEP_1)
	v_bfe_u32 v6, v4, 16, 1
	v_add3_u32 v4, v4, v6, 0x7fff
	global_store_d16_hi_b16 v[0:1], v4, off
.LBB353_409:
	s_mov_b32 s23, 0
.LBB353_410:
	s_delay_alu instid0(SALU_CYCLE_1)
	s_and_b32 vcc_lo, exec_lo, s23
	s_cbranch_vccz .LBB353_413
; %bb.411:
	v_cmp_eq_u16_e32 vcc_lo, 11, v3
	s_mov_b32 s2, -1
	s_cbranch_vccz .LBB353_413
; %bb.412:
	v_cmp_ne_u16_e32 vcc_lo, 0, v2
	s_mov_b32 s2, 0
	s_mov_b32 s22, -1
	v_cndmask_b32_e64 v4, 0, 1, vcc_lo
	global_store_b8 v[0:1], v4, off
.LBB353_413:
.LBB353_414:
	s_and_not1_b32 vcc_lo, exec_lo, s22
	s_cbranch_vccnz .LBB353_329
.LBB353_415:
	v_add_nc_u32_e32 v5, 0x80, v5
	s_mov_b32 s22, -1
	s_branch .LBB353_524
.LBB353_416:
	s_mov_b32 s3, -1
                                        ; implicit-def: $vgpr3
.LBB353_417:
	s_mov_b32 s22, 0
.LBB353_418:
	s_delay_alu instid0(SALU_CYCLE_1)
	s_and_b32 vcc_lo, exec_lo, s22
	s_cbranch_vccz .LBB353_422
; %bb.419:
	v_cmp_eq_u16_e32 vcc_lo, 29, v6
	s_cbranch_vccz .LBB353_421
; %bb.420:
	global_load_b64 v[3:4], v[1:2], off
	s_mov_b32 s2, -1
	s_mov_b32 s3, 0
	s_branch .LBB353_422
.LBB353_421:
	s_mov_b32 s3, -1
                                        ; implicit-def: $vgpr3
.LBB353_422:
	s_mov_b32 s22, 0
.LBB353_423:
	s_delay_alu instid0(SALU_CYCLE_1)
	s_and_b32 vcc_lo, exec_lo, s22
	s_cbranch_vccz .LBB353_439
; %bb.424:
	v_cmp_gt_i16_e32 vcc_lo, 27, v6
	s_cbranch_vccnz .LBB353_427
; %bb.425:
	v_cmp_lt_i16_e32 vcc_lo, 27, v6
	s_cbranch_vccz .LBB353_428
; %bb.426:
	global_load_b32 v3, v[1:2], off
	s_mov_b32 s2, 0
	s_branch .LBB353_429
.LBB353_427:
	s_mov_b32 s2, -1
                                        ; implicit-def: $vgpr3
	s_branch .LBB353_432
.LBB353_428:
	s_mov_b32 s2, -1
                                        ; implicit-def: $vgpr3
.LBB353_429:
	s_delay_alu instid0(SALU_CYCLE_1)
	s_and_not1_b32 vcc_lo, exec_lo, s2
	s_cbranch_vccnz .LBB353_431
; %bb.430:
	global_load_u16 v3, v[1:2], off
.LBB353_431:
	s_mov_b32 s2, 0
.LBB353_432:
	s_delay_alu instid0(SALU_CYCLE_1)
	s_and_not1_b32 vcc_lo, exec_lo, s2
	s_cbranch_vccnz .LBB353_438
; %bb.433:
	global_load_u8 v4, v[1:2], off
	s_mov_b32 s22, 0
	s_mov_b32 s2, exec_lo
                                        ; implicit-def: $sgpr23
	s_waitcnt vmcnt(0)
	v_cmpx_lt_i16_e32 0x7f, v4
	s_xor_b32 s2, exec_lo, s2
	s_cbranch_execz .LBB353_450
; %bb.434:
	v_cmp_ne_u16_e32 vcc_lo, 0x80, v4
	s_mov_b32 s23, 0
	s_and_b32 s22, vcc_lo, exec_lo
	s_or_saveexec_b32 s2, s2
	v_mov_b32_e32 v3, s23
	s_xor_b32 exec_lo, exec_lo, s2
	s_cbranch_execnz .LBB353_451
.LBB353_435:
	s_or_b32 exec_lo, exec_lo, s2
	s_and_saveexec_b32 s2, s22
	s_cbranch_execz .LBB353_437
.LBB353_436:
	v_and_b32_e32 v3, 0xffff, v4
	s_delay_alu instid0(VALU_DEP_1) | instskip(NEXT) | instid1(VALU_DEP_1)
	v_and_b32_e32 v7, 7, v3
	v_clz_i32_u32_e32 v8, v7
	s_delay_alu instid0(VALU_DEP_1) | instskip(NEXT) | instid1(VALU_DEP_1)
	v_min_u32_e32 v8, 32, v8
	v_subrev_nc_u32_e32 v9, 28, v8
	v_sub_nc_u32_e32 v8, 29, v8
	s_delay_alu instid0(VALU_DEP_2) | instskip(SKIP_1) | instid1(VALU_DEP_2)
	v_lshlrev_b32_e32 v9, v9, v3
	v_bfe_u32 v3, v3, 3, 4
	v_and_b32_e32 v9, 7, v9
	s_delay_alu instid0(VALU_DEP_2) | instskip(NEXT) | instid1(VALU_DEP_2)
	v_cmp_eq_u32_e32 vcc_lo, 0, v3
	v_dual_cndmask_b32 v7, v7, v9 :: v_dual_lshlrev_b32 v4, 24, v4
	v_cndmask_b32_e32 v3, v3, v8, vcc_lo
	s_delay_alu instid0(VALU_DEP_2) | instskip(NEXT) | instid1(VALU_DEP_3)
	v_and_b32_e32 v4, 0x80000000, v4
	v_lshlrev_b32_e32 v7, 20, v7
	s_delay_alu instid0(VALU_DEP_3) | instskip(NEXT) | instid1(VALU_DEP_1)
	v_lshl_add_u32 v3, v3, 23, 0x3b800000
	v_or3_b32 v3, v4, v3, v7
	s_delay_alu instid0(VALU_DEP_1) | instskip(NEXT) | instid1(VALU_DEP_1)
	v_trunc_f32_e32 v3, v3
	v_mul_f32_e64 v4, 0x2f800000, |v3|
	s_delay_alu instid0(VALU_DEP_1) | instskip(NEXT) | instid1(VALU_DEP_1)
	v_floor_f32_e32 v4, v4
	v_fma_f32 v4, 0xcf800000, v4, |v3|
	v_ashrrev_i32_e32 v3, 31, v3
	s_delay_alu instid0(VALU_DEP_2) | instskip(NEXT) | instid1(VALU_DEP_1)
	v_cvt_u32_f32_e32 v4, v4
	v_xor_b32_e32 v4, v4, v3
	s_delay_alu instid0(VALU_DEP_1)
	v_sub_nc_u32_e32 v3, v4, v3
.LBB353_437:
	s_or_b32 exec_lo, exec_lo, s2
.LBB353_438:
	s_mov_b32 s2, -1
.LBB353_439:
	s_mov_b32 s22, 0
.LBB353_440:
	s_delay_alu instid0(SALU_CYCLE_1)
	s_and_b32 vcc_lo, exec_lo, s22
	s_cbranch_vccz .LBB353_473
; %bb.441:
	v_cmp_lt_i16_e32 vcc_lo, 22, v6
	s_cbranch_vccz .LBB353_449
; %bb.442:
	v_cmp_gt_i16_e32 vcc_lo, 24, v6
	s_cbranch_vccnz .LBB353_452
; %bb.443:
	v_cmp_lt_i16_e32 vcc_lo, 24, v6
	s_cbranch_vccz .LBB353_453
; %bb.444:
	global_load_u8 v4, v[1:2], off
	s_mov_b32 s22, 0
	s_mov_b32 s2, exec_lo
                                        ; implicit-def: $sgpr23
	s_waitcnt vmcnt(0)
	v_cmpx_lt_i16_e32 0x7f, v4
	s_xor_b32 s2, exec_lo, s2
	s_cbranch_execz .LBB353_465
; %bb.445:
	v_cmp_ne_u16_e32 vcc_lo, 0x80, v4
	s_mov_b32 s23, 0
	s_and_b32 s22, vcc_lo, exec_lo
	s_or_saveexec_b32 s2, s2
	v_mov_b32_e32 v3, s23
	s_xor_b32 exec_lo, exec_lo, s2
	s_cbranch_execnz .LBB353_466
.LBB353_446:
	s_or_b32 exec_lo, exec_lo, s2
	s_and_saveexec_b32 s2, s22
	s_cbranch_execz .LBB353_448
.LBB353_447:
	v_and_b32_e32 v3, 0xffff, v4
	s_delay_alu instid0(VALU_DEP_1) | instskip(NEXT) | instid1(VALU_DEP_1)
	v_and_b32_e32 v7, 3, v3
	v_clz_i32_u32_e32 v8, v7
	s_delay_alu instid0(VALU_DEP_1) | instskip(NEXT) | instid1(VALU_DEP_1)
	v_min_u32_e32 v8, 32, v8
	v_subrev_nc_u32_e32 v9, 29, v8
	v_sub_nc_u32_e32 v8, 30, v8
	s_delay_alu instid0(VALU_DEP_2) | instskip(SKIP_1) | instid1(VALU_DEP_2)
	v_lshlrev_b32_e32 v9, v9, v3
	v_bfe_u32 v3, v3, 2, 5
	v_and_b32_e32 v9, 3, v9
	s_delay_alu instid0(VALU_DEP_2) | instskip(NEXT) | instid1(VALU_DEP_2)
	v_cmp_eq_u32_e32 vcc_lo, 0, v3
	v_dual_cndmask_b32 v7, v7, v9 :: v_dual_lshlrev_b32 v4, 24, v4
	v_cndmask_b32_e32 v3, v3, v8, vcc_lo
	s_delay_alu instid0(VALU_DEP_2) | instskip(NEXT) | instid1(VALU_DEP_3)
	v_and_b32_e32 v4, 0x80000000, v4
	v_lshlrev_b32_e32 v7, 21, v7
	s_delay_alu instid0(VALU_DEP_3) | instskip(NEXT) | instid1(VALU_DEP_1)
	v_lshl_add_u32 v3, v3, 23, 0x37800000
	v_or3_b32 v3, v4, v3, v7
	s_delay_alu instid0(VALU_DEP_1) | instskip(NEXT) | instid1(VALU_DEP_1)
	v_trunc_f32_e32 v3, v3
	v_mul_f32_e64 v4, 0x2f800000, |v3|
	s_delay_alu instid0(VALU_DEP_1) | instskip(NEXT) | instid1(VALU_DEP_1)
	v_floor_f32_e32 v4, v4
	v_fma_f32 v4, 0xcf800000, v4, |v3|
	v_ashrrev_i32_e32 v3, 31, v3
	s_delay_alu instid0(VALU_DEP_2) | instskip(NEXT) | instid1(VALU_DEP_1)
	v_cvt_u32_f32_e32 v4, v4
	v_xor_b32_e32 v4, v4, v3
	s_delay_alu instid0(VALU_DEP_1)
	v_sub_nc_u32_e32 v3, v4, v3
.LBB353_448:
	s_or_b32 exec_lo, exec_lo, s2
	s_mov_b32 s2, 0
	s_branch .LBB353_454
.LBB353_449:
	s_mov_b32 s22, -1
                                        ; implicit-def: $vgpr3
	s_branch .LBB353_460
.LBB353_450:
	s_or_saveexec_b32 s2, s2
	v_mov_b32_e32 v3, s23
	s_xor_b32 exec_lo, exec_lo, s2
	s_cbranch_execz .LBB353_435
.LBB353_451:
	v_cmp_ne_u16_e32 vcc_lo, 0, v4
	v_mov_b32_e32 v3, 0
	s_and_not1_b32 s22, s22, exec_lo
	s_and_b32 s23, vcc_lo, exec_lo
	s_delay_alu instid0(SALU_CYCLE_1)
	s_or_b32 s22, s22, s23
	s_or_b32 exec_lo, exec_lo, s2
	s_and_saveexec_b32 s2, s22
	s_cbranch_execnz .LBB353_436
	s_branch .LBB353_437
.LBB353_452:
	s_mov_b32 s2, -1
                                        ; implicit-def: $vgpr3
	s_branch .LBB353_457
.LBB353_453:
	s_mov_b32 s2, -1
                                        ; implicit-def: $vgpr3
.LBB353_454:
	s_delay_alu instid0(SALU_CYCLE_1)
	s_and_b32 vcc_lo, exec_lo, s2
	s_cbranch_vccz .LBB353_456
; %bb.455:
	global_load_u8 v3, v[1:2], off
	s_waitcnt vmcnt(0)
	v_lshlrev_b32_e32 v3, 24, v3
	s_delay_alu instid0(VALU_DEP_1) | instskip(NEXT) | instid1(VALU_DEP_1)
	v_and_b32_e32 v4, 0x7f000000, v3
	v_clz_i32_u32_e32 v7, v4
	v_cmp_ne_u32_e32 vcc_lo, 0, v4
	v_add_nc_u32_e32 v9, 0x1000000, v4
	s_delay_alu instid0(VALU_DEP_3) | instskip(NEXT) | instid1(VALU_DEP_1)
	v_min_u32_e32 v7, 32, v7
	v_sub_nc_u32_e64 v7, v7, 4 clamp
	s_delay_alu instid0(VALU_DEP_1) | instskip(SKIP_1) | instid1(VALU_DEP_2)
	v_lshlrev_b32_e32 v8, v7, v4
	v_lshlrev_b32_e32 v7, 23, v7
	v_lshrrev_b32_e32 v8, 4, v8
	s_delay_alu instid0(VALU_DEP_1) | instskip(SKIP_1) | instid1(VALU_DEP_2)
	v_sub_nc_u32_e32 v7, v8, v7
	v_ashrrev_i32_e32 v8, 8, v9
	v_add_nc_u32_e32 v7, 0x3c000000, v7
	s_delay_alu instid0(VALU_DEP_1) | instskip(NEXT) | instid1(VALU_DEP_1)
	v_and_or_b32 v7, 0x7f800000, v8, v7
	v_cndmask_b32_e32 v4, 0, v7, vcc_lo
	s_delay_alu instid0(VALU_DEP_1) | instskip(NEXT) | instid1(VALU_DEP_1)
	v_and_or_b32 v3, 0x80000000, v3, v4
	v_trunc_f32_e32 v3, v3
	s_delay_alu instid0(VALU_DEP_1) | instskip(NEXT) | instid1(VALU_DEP_1)
	v_mul_f32_e64 v4, 0x2f800000, |v3|
	v_floor_f32_e32 v4, v4
	s_delay_alu instid0(VALU_DEP_1) | instskip(SKIP_1) | instid1(VALU_DEP_2)
	v_fma_f32 v4, 0xcf800000, v4, |v3|
	v_ashrrev_i32_e32 v3, 31, v3
	v_cvt_u32_f32_e32 v4, v4
	s_delay_alu instid0(VALU_DEP_1) | instskip(NEXT) | instid1(VALU_DEP_1)
	v_xor_b32_e32 v4, v4, v3
	v_sub_nc_u32_e32 v3, v4, v3
.LBB353_456:
	s_mov_b32 s2, 0
.LBB353_457:
	s_delay_alu instid0(SALU_CYCLE_1)
	s_and_not1_b32 vcc_lo, exec_lo, s2
	s_cbranch_vccnz .LBB353_459
; %bb.458:
	global_load_u8 v3, v[1:2], off
	s_waitcnt vmcnt(0)
	v_lshlrev_b32_e32 v4, 25, v3
	v_lshlrev_b16 v3, 8, v3
	s_delay_alu instid0(VALU_DEP_2) | instskip(NEXT) | instid1(VALU_DEP_2)
	v_lshrrev_b32_e32 v7, 4, v4
	v_and_or_b32 v8, 0x7f00, v3, 0.5
	v_cmp_gt_u32_e32 vcc_lo, 0x8000000, v4
	v_bfe_i32 v3, v3, 0, 16
	s_delay_alu instid0(VALU_DEP_4) | instskip(NEXT) | instid1(VALU_DEP_1)
	v_or_b32_e32 v7, 0x70000000, v7
	v_dual_add_f32 v8, -0.5, v8 :: v_dual_mul_f32 v7, 0x7800000, v7
	s_delay_alu instid0(VALU_DEP_1) | instskip(NEXT) | instid1(VALU_DEP_1)
	v_cndmask_b32_e32 v4, v7, v8, vcc_lo
	v_and_or_b32 v3, 0x80000000, v3, v4
	s_delay_alu instid0(VALU_DEP_1) | instskip(NEXT) | instid1(VALU_DEP_1)
	v_trunc_f32_e32 v3, v3
	v_mul_f32_e64 v4, 0x2f800000, |v3|
	s_delay_alu instid0(VALU_DEP_1) | instskip(NEXT) | instid1(VALU_DEP_1)
	v_floor_f32_e32 v4, v4
	v_fma_f32 v4, 0xcf800000, v4, |v3|
	v_ashrrev_i32_e32 v3, 31, v3
	s_delay_alu instid0(VALU_DEP_2) | instskip(NEXT) | instid1(VALU_DEP_1)
	v_cvt_u32_f32_e32 v4, v4
	v_xor_b32_e32 v4, v4, v3
	s_delay_alu instid0(VALU_DEP_1)
	v_sub_nc_u32_e32 v3, v4, v3
.LBB353_459:
	s_mov_b32 s22, 0
	s_mov_b32 s2, -1
.LBB353_460:
	s_and_not1_b32 vcc_lo, exec_lo, s22
	s_cbranch_vccnz .LBB353_473
; %bb.461:
	v_cmp_lt_i16_e32 vcc_lo, 14, v6
	s_cbranch_vccz .LBB353_464
; %bb.462:
	v_cmp_eq_u16_e32 vcc_lo, 15, v6
	s_cbranch_vccz .LBB353_467
; %bb.463:
	global_load_u16 v3, v[1:2], off
	s_mov_b32 s2, -1
	s_mov_b32 s3, 0
	s_waitcnt vmcnt(0)
	v_lshlrev_b32_e32 v3, 16, v3
	s_delay_alu instid0(VALU_DEP_1) | instskip(NEXT) | instid1(VALU_DEP_1)
	v_trunc_f32_e32 v3, v3
	v_mul_f32_e64 v4, 0x2f800000, |v3|
	s_delay_alu instid0(VALU_DEP_1) | instskip(NEXT) | instid1(VALU_DEP_1)
	v_floor_f32_e32 v4, v4
	v_fma_f32 v4, 0xcf800000, v4, |v3|
	v_ashrrev_i32_e32 v3, 31, v3
	s_delay_alu instid0(VALU_DEP_2) | instskip(NEXT) | instid1(VALU_DEP_1)
	v_cvt_u32_f32_e32 v4, v4
	v_xor_b32_e32 v4, v4, v3
	s_delay_alu instid0(VALU_DEP_1)
	v_sub_nc_u32_e32 v3, v4, v3
	s_branch .LBB353_468
.LBB353_464:
	s_mov_b32 s22, -1
                                        ; implicit-def: $vgpr3
	s_branch .LBB353_469
.LBB353_465:
	s_or_saveexec_b32 s2, s2
	v_mov_b32_e32 v3, s23
	s_xor_b32 exec_lo, exec_lo, s2
	s_cbranch_execz .LBB353_446
.LBB353_466:
	v_cmp_ne_u16_e32 vcc_lo, 0, v4
	v_mov_b32_e32 v3, 0
	s_and_not1_b32 s22, s22, exec_lo
	s_and_b32 s23, vcc_lo, exec_lo
	s_delay_alu instid0(SALU_CYCLE_1)
	s_or_b32 s22, s22, s23
	s_or_b32 exec_lo, exec_lo, s2
	s_and_saveexec_b32 s2, s22
	s_cbranch_execnz .LBB353_447
	s_branch .LBB353_448
.LBB353_467:
	s_mov_b32 s3, -1
                                        ; implicit-def: $vgpr3
.LBB353_468:
	s_mov_b32 s22, 0
.LBB353_469:
	s_delay_alu instid0(SALU_CYCLE_1)
	s_and_b32 vcc_lo, exec_lo, s22
	s_cbranch_vccz .LBB353_473
; %bb.470:
	v_cmp_eq_u16_e32 vcc_lo, 11, v6
	s_cbranch_vccz .LBB353_472
; %bb.471:
	global_load_u8 v3, v[1:2], off
	s_mov_b32 s3, 0
	s_mov_b32 s2, -1
	s_waitcnt vmcnt(0)
	v_cmp_ne_u16_e32 vcc_lo, 0, v3
	v_cndmask_b32_e64 v3, 0, 1, vcc_lo
	s_branch .LBB353_473
.LBB353_472:
	s_mov_b32 s3, -1
                                        ; implicit-def: $vgpr3
.LBB353_473:
	s_branch .LBB353_282
.LBB353_474:
	v_cmp_gt_i16_e32 vcc_lo, 5, v6
	s_cbranch_vccnz .LBB353_479
; %bb.475:
	v_cmp_gt_i16_e32 vcc_lo, 8, v6
	s_cbranch_vccnz .LBB353_480
; %bb.476:
	;; [unrolled: 3-line block ×3, first 2 shown]
	v_cmp_lt_i16_e32 vcc_lo, 9, v6
	s_cbranch_vccz .LBB353_482
; %bb.478:
	global_load_b64 v[3:4], v[1:2], off
	s_mov_b32 s2, 0
	s_waitcnt vmcnt(0)
	v_trunc_f64_e32 v[3:4], v[3:4]
	s_delay_alu instid0(VALU_DEP_1) | instskip(NEXT) | instid1(VALU_DEP_1)
	v_ldexp_f64 v[7:8], v[3:4], 0xffffffe0
	v_floor_f64_e32 v[7:8], v[7:8]
	s_delay_alu instid0(VALU_DEP_1) | instskip(NEXT) | instid1(VALU_DEP_1)
	v_fma_f64 v[3:4], 0xc1f00000, v[7:8], v[3:4]
	v_cvt_u32_f64_e32 v3, v[3:4]
	s_branch .LBB353_483
.LBB353_479:
	s_mov_b32 s2, -1
                                        ; implicit-def: $vgpr3
	s_branch .LBB353_501
.LBB353_480:
	s_mov_b32 s2, -1
                                        ; implicit-def: $vgpr3
	s_branch .LBB353_489
.LBB353_481:
	s_mov_b32 s2, -1
                                        ; implicit-def: $vgpr3
	s_branch .LBB353_486
.LBB353_482:
	s_mov_b32 s2, -1
                                        ; implicit-def: $vgpr3
.LBB353_483:
	s_delay_alu instid0(SALU_CYCLE_1)
	s_and_not1_b32 vcc_lo, exec_lo, s2
	s_cbranch_vccnz .LBB353_485
; %bb.484:
	global_load_b32 v3, v[1:2], off
	s_waitcnt vmcnt(0)
	v_trunc_f32_e32 v3, v3
	s_delay_alu instid0(VALU_DEP_1) | instskip(NEXT) | instid1(VALU_DEP_1)
	v_mul_f32_e64 v4, 0x2f800000, |v3|
	v_floor_f32_e32 v4, v4
	s_delay_alu instid0(VALU_DEP_1) | instskip(SKIP_1) | instid1(VALU_DEP_2)
	v_fma_f32 v4, 0xcf800000, v4, |v3|
	v_ashrrev_i32_e32 v3, 31, v3
	v_cvt_u32_f32_e32 v4, v4
	s_delay_alu instid0(VALU_DEP_1) | instskip(NEXT) | instid1(VALU_DEP_1)
	v_xor_b32_e32 v4, v4, v3
	v_sub_nc_u32_e32 v3, v4, v3
.LBB353_485:
	s_mov_b32 s2, 0
.LBB353_486:
	s_delay_alu instid0(SALU_CYCLE_1)
	s_and_not1_b32 vcc_lo, exec_lo, s2
	s_cbranch_vccnz .LBB353_488
; %bb.487:
	global_load_b32 v3, v[1:2], off
	s_waitcnt vmcnt(0)
	v_cvt_f32_f16_e32 v3, v3
	s_delay_alu instid0(VALU_DEP_1)
	v_cvt_i32_f32_e32 v3, v3
.LBB353_488:
	s_mov_b32 s2, 0
.LBB353_489:
	s_delay_alu instid0(SALU_CYCLE_1)
	s_and_not1_b32 vcc_lo, exec_lo, s2
	s_cbranch_vccnz .LBB353_500
; %bb.490:
	v_cmp_gt_i16_e32 vcc_lo, 6, v6
	s_cbranch_vccnz .LBB353_493
; %bb.491:
	v_cmp_lt_i16_e32 vcc_lo, 6, v6
	s_cbranch_vccz .LBB353_494
; %bb.492:
	global_load_b64 v[3:4], v[1:2], off
	s_mov_b32 s2, 0
	s_waitcnt vmcnt(0)
	v_trunc_f64_e32 v[3:4], v[3:4]
	s_delay_alu instid0(VALU_DEP_1) | instskip(NEXT) | instid1(VALU_DEP_1)
	v_ldexp_f64 v[7:8], v[3:4], 0xffffffe0
	v_floor_f64_e32 v[7:8], v[7:8]
	s_delay_alu instid0(VALU_DEP_1) | instskip(NEXT) | instid1(VALU_DEP_1)
	v_fma_f64 v[3:4], 0xc1f00000, v[7:8], v[3:4]
	v_cvt_u32_f64_e32 v3, v[3:4]
	s_branch .LBB353_495
.LBB353_493:
	s_mov_b32 s2, -1
                                        ; implicit-def: $vgpr3
	s_branch .LBB353_498
.LBB353_494:
	s_mov_b32 s2, -1
                                        ; implicit-def: $vgpr3
.LBB353_495:
	s_delay_alu instid0(SALU_CYCLE_1)
	s_and_not1_b32 vcc_lo, exec_lo, s2
	s_cbranch_vccnz .LBB353_497
; %bb.496:
	global_load_b32 v3, v[1:2], off
	s_waitcnt vmcnt(0)
	v_trunc_f32_e32 v3, v3
	s_delay_alu instid0(VALU_DEP_1) | instskip(NEXT) | instid1(VALU_DEP_1)
	v_mul_f32_e64 v4, 0x2f800000, |v3|
	v_floor_f32_e32 v4, v4
	s_delay_alu instid0(VALU_DEP_1) | instskip(SKIP_1) | instid1(VALU_DEP_2)
	v_fma_f32 v4, 0xcf800000, v4, |v3|
	v_ashrrev_i32_e32 v3, 31, v3
	v_cvt_u32_f32_e32 v4, v4
	s_delay_alu instid0(VALU_DEP_1) | instskip(NEXT) | instid1(VALU_DEP_1)
	v_xor_b32_e32 v4, v4, v3
	v_sub_nc_u32_e32 v3, v4, v3
.LBB353_497:
	s_mov_b32 s2, 0
.LBB353_498:
	s_delay_alu instid0(SALU_CYCLE_1)
	s_and_not1_b32 vcc_lo, exec_lo, s2
	s_cbranch_vccnz .LBB353_500
; %bb.499:
	global_load_u16 v3, v[1:2], off
	s_waitcnt vmcnt(0)
	v_cvt_f32_f16_e32 v3, v3
	s_delay_alu instid0(VALU_DEP_1)
	v_cvt_i32_f32_e32 v3, v3
.LBB353_500:
	s_mov_b32 s2, 0
.LBB353_501:
	s_delay_alu instid0(SALU_CYCLE_1)
	s_and_not1_b32 vcc_lo, exec_lo, s2
	s_cbranch_vccnz .LBB353_521
; %bb.502:
	v_cmp_gt_i16_e32 vcc_lo, 2, v6
	s_cbranch_vccnz .LBB353_506
; %bb.503:
	v_cmp_gt_i16_e32 vcc_lo, 3, v6
	s_cbranch_vccnz .LBB353_507
; %bb.504:
	v_cmp_lt_i16_e32 vcc_lo, 3, v6
	s_cbranch_vccz .LBB353_508
; %bb.505:
	global_load_b64 v[3:4], v[1:2], off
	s_mov_b32 s2, 0
	s_branch .LBB353_509
.LBB353_506:
	s_mov_b32 s2, -1
                                        ; implicit-def: $vgpr3
	s_branch .LBB353_515
.LBB353_507:
	s_mov_b32 s2, -1
                                        ; implicit-def: $vgpr3
	s_branch .LBB353_512
.LBB353_508:
	s_mov_b32 s2, -1
                                        ; implicit-def: $vgpr3
.LBB353_509:
	s_delay_alu instid0(SALU_CYCLE_1)
	s_and_not1_b32 vcc_lo, exec_lo, s2
	s_cbranch_vccnz .LBB353_511
; %bb.510:
	global_load_b32 v3, v[1:2], off
.LBB353_511:
	s_mov_b32 s2, 0
.LBB353_512:
	s_delay_alu instid0(SALU_CYCLE_1)
	s_and_not1_b32 vcc_lo, exec_lo, s2
	s_cbranch_vccnz .LBB353_514
; %bb.513:
	global_load_u16 v3, v[1:2], off
.LBB353_514:
	s_mov_b32 s2, 0
.LBB353_515:
	s_delay_alu instid0(SALU_CYCLE_1)
	s_and_not1_b32 vcc_lo, exec_lo, s2
	s_cbranch_vccnz .LBB353_521
; %bb.516:
	v_cmp_lt_i16_e32 vcc_lo, 0, v6
	s_mov_b32 s2, 0
	s_cbranch_vccz .LBB353_518
; %bb.517:
	global_load_u8 v3, v[1:2], off
	s_branch .LBB353_519
.LBB353_518:
	s_mov_b32 s2, -1
                                        ; implicit-def: $vgpr3
.LBB353_519:
	s_delay_alu instid0(SALU_CYCLE_1)
	s_and_not1_b32 vcc_lo, exec_lo, s2
	s_cbranch_vccnz .LBB353_521
; %bb.520:
	global_load_u8 v3, v[1:2], off
.LBB353_521:
	s_branch .LBB353_283
.LBB353_522:
	s_mov_b32 s22, 0
	s_mov_b32 s2, s37
.LBB353_523:
                                        ; implicit-def: $vgpr5
.LBB353_524:
	s_and_not1_b32 s23, s37, exec_lo
	s_and_b32 s2, s2, exec_lo
	s_and_not1_b32 s40, s38, exec_lo
	s_and_b32 s3, s3, exec_lo
	s_or_b32 s41, s23, s2
	s_or_b32 s40, s40, s3
	s_or_not1_b32 s2, s22, exec_lo
.LBB353_525:
	s_or_b32 exec_lo, exec_lo, s42
	s_mov_b32 s3, 0
	s_mov_b32 s23, 0
	;; [unrolled: 1-line block ×3, first 2 shown]
                                        ; implicit-def: $vgpr6
                                        ; implicit-def: $vgpr1_vgpr2
                                        ; implicit-def: $vgpr0
                                        ; implicit-def: $vgpr3
	s_and_saveexec_b32 s42, s2
	s_cbranch_execz .LBB353_889
; %bb.526:
	s_mov_b32 s45, -1
	s_mov_b32 s22, s40
	s_mov_b32 s23, s41
	s_mov_b32 s43, exec_lo
	v_cmpx_gt_i32_e64 s34, v5
	s_cbranch_execz .LBB353_794
; %bb.527:
	s_and_not1_b32 vcc_lo, exec_lo, s27
	s_cbranch_vccnz .LBB353_532
; %bb.528:
	v_dual_mov_b32 v0, 0 :: v_dual_mov_b32 v1, 0
	s_and_not1_b32 vcc_lo, exec_lo, s36
	s_mov_b32 s44, 0
	s_cbranch_vccnz .LBB353_537
; %bb.529:
	v_mov_b32_e32 v0, 0
	s_add_i32 s46, s35, 1
	s_cmp_eq_u32 s25, 2
	s_mov_b32 s45, 0
	s_cbranch_scc1 .LBB353_533
; %bb.530:
	v_dual_mov_b32 v1, 0 :: v_dual_mov_b32 v0, 0
	v_mov_b32_e32 v2, v5
	s_and_b32 s45, s46, 28
	s_mov_b32 s47, 0
	s_mov_b64 s[2:3], s[20:21]
	s_mov_b64 s[22:23], s[16:17]
.LBB353_531:                            ; =>This Inner Loop Header: Depth=1
	s_clause 0x1
	s_load_b256 s[48:55], s[22:23], 0x4
	s_load_b128 s[64:67], s[22:23], 0x24
	s_load_b256 s[56:63], s[2:3], 0x0
	s_add_u32 s22, s22, 48
	s_addc_u32 s23, s23, 0
	s_add_i32 s47, s47, 4
	s_add_u32 s2, s2, 32
	s_addc_u32 s3, s3, 0
	s_cmp_eq_u32 s45, s47
	s_waitcnt vmcnt(0) lgkmcnt(0)
	v_mul_hi_u32 v3, s49, v2
	s_delay_alu instid0(VALU_DEP_1) | instskip(NEXT) | instid1(VALU_DEP_1)
	v_add_nc_u32_e32 v3, v2, v3
	v_lshrrev_b32_e32 v3, s50, v3
	s_delay_alu instid0(VALU_DEP_1) | instskip(SKIP_1) | instid1(VALU_DEP_2)
	v_mul_hi_u32 v4, s52, v3
	v_mul_lo_u32 v7, v3, s48
	v_add_nc_u32_e32 v4, v3, v4
	s_delay_alu instid0(VALU_DEP_2) | instskip(NEXT) | instid1(VALU_DEP_2)
	v_sub_nc_u32_e32 v2, v2, v7
	v_lshrrev_b32_e32 v4, s53, v4
	s_delay_alu instid0(VALU_DEP_2) | instskip(SKIP_1) | instid1(VALU_DEP_3)
	v_mul_lo_u32 v7, v2, s56
	v_mul_lo_u32 v9, v2, s57
	v_mul_hi_u32 v6, s55, v4
	s_delay_alu instid0(VALU_DEP_1) | instskip(NEXT) | instid1(VALU_DEP_1)
	v_add_nc_u32_e32 v6, v4, v6
	v_lshrrev_b32_e32 v6, s64, v6
	s_delay_alu instid0(VALU_DEP_1) | instskip(SKIP_1) | instid1(VALU_DEP_2)
	v_mul_hi_u32 v8, s66, v6
	v_mul_lo_u32 v10, v6, s54
	v_add_nc_u32_e32 v2, v6, v8
	v_mul_lo_u32 v8, v4, s51
	s_delay_alu instid0(VALU_DEP_3) | instskip(NEXT) | instid1(VALU_DEP_3)
	v_sub_nc_u32_e32 v4, v4, v10
	v_lshrrev_b32_e32 v2, s67, v2
	s_delay_alu instid0(VALU_DEP_2) | instskip(SKIP_2) | instid1(VALU_DEP_4)
	v_mul_lo_u32 v10, v4, s60
	v_mul_lo_u32 v4, v4, s61
	v_sub_nc_u32_e32 v3, v3, v8
	v_mul_lo_u32 v11, v2, s65
	s_delay_alu instid0(VALU_DEP_2) | instskip(SKIP_1) | instid1(VALU_DEP_3)
	v_mul_lo_u32 v8, v3, s58
	v_mul_lo_u32 v3, v3, s59
	v_sub_nc_u32_e32 v6, v6, v11
	s_delay_alu instid0(VALU_DEP_3) | instskip(NEXT) | instid1(VALU_DEP_2)
	v_add3_u32 v0, v7, v0, v8
	v_mul_lo_u32 v11, v6, s62
	v_mul_lo_u32 v6, v6, s63
	v_add3_u32 v1, v9, v1, v3
	s_delay_alu instid0(VALU_DEP_3) | instskip(NEXT) | instid1(VALU_DEP_2)
	v_add3_u32 v0, v10, v0, v11
	v_add3_u32 v1, v4, v1, v6
	s_cbranch_scc0 .LBB353_531
	s_branch .LBB353_534
.LBB353_532:
	s_mov_b32 s44, -1
                                        ; implicit-def: $vgpr0
                                        ; implicit-def: $vgpr1
	s_branch .LBB353_537
.LBB353_533:
	v_dual_mov_b32 v2, v5 :: v_dual_mov_b32 v1, 0
.LBB353_534:
	s_and_b32 s46, s46, 3
	s_delay_alu instid0(SALU_CYCLE_1)
	s_cmp_eq_u32 s46, 0
	s_cbranch_scc1 .LBB353_537
; %bb.535:
	s_lshl_b32 s2, s45, 3
	s_mul_i32 s22, s45, 12
	s_add_u32 s2, s2, s16
	s_addc_u32 s3, s17, 0
	s_add_u32 s2, s2, 0xc4
	s_addc_u32 s3, s3, 0
	;; [unrolled: 2-line block ×3, first 2 shown]
	.p2align	6
.LBB353_536:                            ; =>This Inner Loop Header: Depth=1
	s_clause 0x1
	s_load_b64 s[48:49], s[22:23], 0x4
	s_load_b32 s45, s[22:23], 0xc
	s_load_b64 s[50:51], s[2:3], 0x0
	s_add_u32 s22, s22, 12
	s_addc_u32 s23, s23, 0
	s_add_u32 s2, s2, 8
	s_addc_u32 s3, s3, 0
	s_add_i32 s46, s46, -1
	s_delay_alu instid0(SALU_CYCLE_1) | instskip(SKIP_2) | instid1(VALU_DEP_1)
	s_cmp_lg_u32 s46, 0
	s_waitcnt vmcnt(0) lgkmcnt(0)
	v_mul_hi_u32 v3, s49, v2
	v_add_nc_u32_e32 v3, v2, v3
	s_delay_alu instid0(VALU_DEP_1) | instskip(NEXT) | instid1(VALU_DEP_1)
	v_lshrrev_b32_e32 v8, s45, v3
	v_mul_lo_u32 v3, v8, s48
	s_delay_alu instid0(VALU_DEP_1) | instskip(NEXT) | instid1(VALU_DEP_1)
	v_sub_nc_u32_e32 v2, v2, v3
	v_mad_u64_u32 v[3:4], null, v2, s50, v[0:1]
	v_mad_u64_u32 v[6:7], null, v2, s51, v[1:2]
	v_mov_b32_e32 v2, v8
	s_delay_alu instid0(VALU_DEP_2)
	v_dual_mov_b32 v0, v3 :: v_dual_mov_b32 v1, v6
	s_cbranch_scc1 .LBB353_536
.LBB353_537:
	s_and_not1_b32 vcc_lo, exec_lo, s44
	s_cbranch_vccnz .LBB353_540
; %bb.538:
	v_mul_hi_u32 v0, s13, v5
	s_and_not1_b32 vcc_lo, exec_lo, s33
	s_delay_alu instid0(VALU_DEP_1) | instskip(NEXT) | instid1(VALU_DEP_1)
	v_add_nc_u32_e32 v0, v5, v0
	v_lshrrev_b32_e32 v2, s14, v0
	s_delay_alu instid0(VALU_DEP_1) | instskip(NEXT) | instid1(VALU_DEP_1)
	v_mul_lo_u32 v0, v2, s12
	v_sub_nc_u32_e32 v1, v5, v0
	s_delay_alu instid0(VALU_DEP_1)
	v_mul_lo_u32 v0, v1, s8
	v_mul_lo_u32 v1, v1, s9
	s_cbranch_vccnz .LBB353_540
; %bb.539:
	s_waitcnt vmcnt(0)
	v_mul_hi_u32 v3, s18, v2
	s_delay_alu instid0(VALU_DEP_1) | instskip(NEXT) | instid1(VALU_DEP_1)
	v_add_nc_u32_e32 v3, v2, v3
	v_lshrrev_b32_e32 v3, s19, v3
	s_delay_alu instid0(VALU_DEP_1) | instskip(NEXT) | instid1(VALU_DEP_1)
	v_mul_lo_u32 v3, v3, s15
	v_sub_nc_u32_e32 v6, v2, v3
	s_delay_alu instid0(VALU_DEP_1) | instskip(NEXT) | instid1(VALU_DEP_1)
	v_mad_u64_u32 v[2:3], null, v6, s10, v[0:1]
	v_mad_u64_u32 v[3:4], null, v6, s11, v[1:2]
	s_delay_alu instid0(VALU_DEP_1)
	v_dual_mov_b32 v0, v2 :: v_dual_mov_b32 v1, v3
.LBB353_540:
	v_and_b32_e64 v6, 0xff, s31
	s_delay_alu instid0(VALU_DEP_2) | instskip(NEXT) | instid1(VALU_DEP_1)
	v_add_co_u32 v1, s2, s6, v1
	v_add_co_ci_u32_e64 v2, null, s7, 0, s2
	s_delay_alu instid0(VALU_DEP_3)
	v_cmp_gt_i16_e32 vcc_lo, 11, v6
	s_mov_b32 s2, 0
	s_cbranch_vccnz .LBB353_547
; %bb.541:
	v_cmp_lt_i16_e32 vcc_lo, 25, v6
	s_cbranch_vccz .LBB353_548
; %bb.542:
	v_cmp_lt_i16_e32 vcc_lo, 28, v6
	s_cbranch_vccz .LBB353_549
; %bb.543:
	v_cmp_lt_i16_e32 vcc_lo, 43, v6
	s_cbranch_vccz .LBB353_550
; %bb.544:
	v_cmp_lt_i16_e32 vcc_lo, 45, v6
	s_cbranch_vccz .LBB353_553
; %bb.545:
	v_cmp_eq_u16_e32 vcc_lo, 46, v6
	s_mov_b32 s22, 0
	s_cbranch_vccz .LBB353_556
; %bb.546:
	global_load_b32 v3, v[1:2], off
	s_mov_b32 s2, -1
	s_mov_b32 s3, 0
	s_waitcnt vmcnt(0)
	v_lshlrev_b32_e32 v3, 16, v3
	s_delay_alu instid0(VALU_DEP_1) | instskip(NEXT) | instid1(VALU_DEP_1)
	v_trunc_f32_e32 v3, v3
	v_mul_f32_e64 v4, 0x2f800000, |v3|
	s_delay_alu instid0(VALU_DEP_1) | instskip(NEXT) | instid1(VALU_DEP_1)
	v_floor_f32_e32 v4, v4
	v_fma_f32 v4, 0xcf800000, v4, |v3|
	v_ashrrev_i32_e32 v3, 31, v3
	s_delay_alu instid0(VALU_DEP_2) | instskip(NEXT) | instid1(VALU_DEP_1)
	v_cvt_u32_f32_e32 v4, v4
	v_xor_b32_e32 v4, v4, v3
	s_delay_alu instid0(VALU_DEP_1)
	v_sub_nc_u32_e32 v3, v4, v3
	s_branch .LBB353_558
.LBB353_547:
	s_mov_b32 s22, -1
	s_mov_b32 s3, s40
                                        ; implicit-def: $vgpr3
	s_branch .LBB353_619
.LBB353_548:
	s_mov_b32 s22, -1
	s_mov_b32 s3, s40
                                        ; implicit-def: $vgpr3
	s_branch .LBB353_585
.LBB353_549:
	s_mov_b32 s22, -1
	s_mov_b32 s3, s40
                                        ; implicit-def: $vgpr3
	s_branch .LBB353_568
.LBB353_550:
	s_mov_b32 s22, -1
	s_mov_b32 s3, s40
                                        ; implicit-def: $vgpr3
	s_branch .LBB353_563
.LBB353_551:
	s_or_saveexec_b32 s40, s40
                                        ; implicit-def: $sgpr41
	s_delay_alu instid0(SALU_CYCLE_1)
	s_xor_b32 exec_lo, exec_lo, s40
	s_cbranch_execz .LBB353_366
.LBB353_552:
	v_add_f32_e32 v4, 0x46000000, v6
	s_and_not1_b32 s23, s23, exec_lo
	s_mov_b32 s41, 0
	s_delay_alu instid0(VALU_DEP_1) | instskip(NEXT) | instid1(VALU_DEP_1)
	v_and_b32_e32 v4, 0xff, v4
	v_cmp_ne_u32_e32 vcc_lo, 0, v4
	s_and_b32 s43, vcc_lo, exec_lo
	s_delay_alu instid0(SALU_CYCLE_1)
	s_or_b32 s23, s23, s43
	s_or_b32 exec_lo, exec_lo, s40
	v_mov_b32_e32 v7, s41
	s_and_saveexec_b32 s40, s23
	s_cbranch_execnz .LBB353_367
	s_branch .LBB353_368
.LBB353_553:
	s_mov_b32 s22, -1
	s_mov_b32 s3, s40
	s_branch .LBB353_557
.LBB353_554:
	s_or_saveexec_b32 s40, s40
                                        ; implicit-def: $sgpr41
	s_delay_alu instid0(SALU_CYCLE_1)
	s_xor_b32 exec_lo, exec_lo, s40
	s_cbranch_execz .LBB353_379
.LBB353_555:
	v_add_f32_e32 v4, 0x42800000, v6
	s_and_not1_b32 s23, s23, exec_lo
	s_mov_b32 s41, 0
	s_delay_alu instid0(VALU_DEP_1) | instskip(NEXT) | instid1(VALU_DEP_1)
	v_and_b32_e32 v4, 0xff, v4
	v_cmp_ne_u32_e32 vcc_lo, 0, v4
	s_and_b32 s43, vcc_lo, exec_lo
	s_delay_alu instid0(SALU_CYCLE_1)
	s_or_b32 s23, s23, s43
	s_or_b32 exec_lo, exec_lo, s40
	v_mov_b32_e32 v7, s41
	s_and_saveexec_b32 s40, s23
	s_cbranch_execnz .LBB353_380
	s_branch .LBB353_381
.LBB353_556:
	s_mov_b32 s3, -1
.LBB353_557:
                                        ; implicit-def: $vgpr3
.LBB353_558:
	s_and_b32 vcc_lo, exec_lo, s22
	s_cbranch_vccz .LBB353_562
; %bb.559:
	v_cmp_eq_u16_e32 vcc_lo, 44, v6
	s_cbranch_vccz .LBB353_561
; %bb.560:
	global_load_u8 v3, v[1:2], off
	s_mov_b32 s3, 0
	s_mov_b32 s2, -1
	s_waitcnt vmcnt(0)
	v_lshlrev_b32_e32 v4, 23, v3
	v_cmp_ne_u32_e32 vcc_lo, 0, v3
	s_delay_alu instid0(VALU_DEP_2) | instskip(NEXT) | instid1(VALU_DEP_1)
	v_trunc_f32_e32 v4, v4
	v_mul_f32_e64 v7, 0x2f800000, |v4|
	s_delay_alu instid0(VALU_DEP_1) | instskip(NEXT) | instid1(VALU_DEP_1)
	v_floor_f32_e32 v7, v7
	v_fma_f32 v7, 0xcf800000, v7, |v4|
	v_ashrrev_i32_e32 v4, 31, v4
	s_delay_alu instid0(VALU_DEP_2) | instskip(NEXT) | instid1(VALU_DEP_1)
	v_cvt_u32_f32_e32 v7, v7
	v_xor_b32_e32 v7, v7, v4
	s_delay_alu instid0(VALU_DEP_1) | instskip(NEXT) | instid1(VALU_DEP_1)
	v_sub_nc_u32_e32 v4, v7, v4
	v_cndmask_b32_e32 v3, 0, v4, vcc_lo
	s_branch .LBB353_562
.LBB353_561:
	s_mov_b32 s3, -1
                                        ; implicit-def: $vgpr3
.LBB353_562:
	s_mov_b32 s22, 0
.LBB353_563:
	s_delay_alu instid0(SALU_CYCLE_1)
	s_and_b32 vcc_lo, exec_lo, s22
	s_cbranch_vccz .LBB353_567
; %bb.564:
	v_cmp_eq_u16_e32 vcc_lo, 29, v6
	s_cbranch_vccz .LBB353_566
; %bb.565:
	global_load_b64 v[3:4], v[1:2], off
	s_mov_b32 s2, -1
	s_mov_b32 s3, 0
	s_branch .LBB353_567
.LBB353_566:
	s_mov_b32 s3, -1
                                        ; implicit-def: $vgpr3
.LBB353_567:
	s_mov_b32 s22, 0
.LBB353_568:
	s_delay_alu instid0(SALU_CYCLE_1)
	s_and_b32 vcc_lo, exec_lo, s22
	s_cbranch_vccz .LBB353_584
; %bb.569:
	v_cmp_gt_i16_e32 vcc_lo, 27, v6
	s_cbranch_vccnz .LBB353_572
; %bb.570:
	v_cmp_lt_i16_e32 vcc_lo, 27, v6
	s_cbranch_vccz .LBB353_573
; %bb.571:
	global_load_b32 v3, v[1:2], off
	s_mov_b32 s2, 0
	s_branch .LBB353_574
.LBB353_572:
	s_mov_b32 s2, -1
                                        ; implicit-def: $vgpr3
	s_branch .LBB353_577
.LBB353_573:
	s_mov_b32 s2, -1
                                        ; implicit-def: $vgpr3
.LBB353_574:
	s_delay_alu instid0(SALU_CYCLE_1)
	s_and_not1_b32 vcc_lo, exec_lo, s2
	s_cbranch_vccnz .LBB353_576
; %bb.575:
	global_load_u16 v3, v[1:2], off
.LBB353_576:
	s_mov_b32 s2, 0
.LBB353_577:
	s_delay_alu instid0(SALU_CYCLE_1)
	s_and_not1_b32 vcc_lo, exec_lo, s2
	s_cbranch_vccnz .LBB353_583
; %bb.578:
	global_load_u8 v4, v[1:2], off
	s_mov_b32 s22, 0
	s_mov_b32 s2, exec_lo
                                        ; implicit-def: $sgpr23
	s_waitcnt vmcnt(0)
	v_cmpx_lt_i16_e32 0x7f, v4
	s_xor_b32 s2, exec_lo, s2
	s_cbranch_execz .LBB353_595
; %bb.579:
	v_cmp_ne_u16_e32 vcc_lo, 0x80, v4
	s_mov_b32 s23, 0
	s_and_b32 s22, vcc_lo, exec_lo
	s_or_saveexec_b32 s2, s2
	v_mov_b32_e32 v3, s23
	s_xor_b32 exec_lo, exec_lo, s2
	s_cbranch_execnz .LBB353_596
.LBB353_580:
	s_or_b32 exec_lo, exec_lo, s2
	s_and_saveexec_b32 s2, s22
	s_cbranch_execz .LBB353_582
.LBB353_581:
	v_and_b32_e32 v3, 0xffff, v4
	s_delay_alu instid0(VALU_DEP_1) | instskip(NEXT) | instid1(VALU_DEP_1)
	v_and_b32_e32 v7, 7, v3
	v_clz_i32_u32_e32 v8, v7
	s_delay_alu instid0(VALU_DEP_1) | instskip(NEXT) | instid1(VALU_DEP_1)
	v_min_u32_e32 v8, 32, v8
	v_subrev_nc_u32_e32 v9, 28, v8
	v_sub_nc_u32_e32 v8, 29, v8
	s_delay_alu instid0(VALU_DEP_2) | instskip(SKIP_1) | instid1(VALU_DEP_2)
	v_lshlrev_b32_e32 v9, v9, v3
	v_bfe_u32 v3, v3, 3, 4
	v_and_b32_e32 v9, 7, v9
	s_delay_alu instid0(VALU_DEP_2) | instskip(NEXT) | instid1(VALU_DEP_2)
	v_cmp_eq_u32_e32 vcc_lo, 0, v3
	v_dual_cndmask_b32 v7, v7, v9 :: v_dual_lshlrev_b32 v4, 24, v4
	v_cndmask_b32_e32 v3, v3, v8, vcc_lo
	s_delay_alu instid0(VALU_DEP_2) | instskip(NEXT) | instid1(VALU_DEP_3)
	v_and_b32_e32 v4, 0x80000000, v4
	v_lshlrev_b32_e32 v7, 20, v7
	s_delay_alu instid0(VALU_DEP_3) | instskip(NEXT) | instid1(VALU_DEP_1)
	v_lshl_add_u32 v3, v3, 23, 0x3b800000
	v_or3_b32 v3, v4, v3, v7
	s_delay_alu instid0(VALU_DEP_1) | instskip(NEXT) | instid1(VALU_DEP_1)
	v_trunc_f32_e32 v3, v3
	v_mul_f32_e64 v4, 0x2f800000, |v3|
	s_delay_alu instid0(VALU_DEP_1) | instskip(NEXT) | instid1(VALU_DEP_1)
	v_floor_f32_e32 v4, v4
	v_fma_f32 v4, 0xcf800000, v4, |v3|
	v_ashrrev_i32_e32 v3, 31, v3
	s_delay_alu instid0(VALU_DEP_2) | instskip(NEXT) | instid1(VALU_DEP_1)
	v_cvt_u32_f32_e32 v4, v4
	v_xor_b32_e32 v4, v4, v3
	s_delay_alu instid0(VALU_DEP_1)
	v_sub_nc_u32_e32 v3, v4, v3
.LBB353_582:
	s_or_b32 exec_lo, exec_lo, s2
.LBB353_583:
	s_mov_b32 s2, -1
.LBB353_584:
	s_mov_b32 s22, 0
.LBB353_585:
	s_delay_alu instid0(SALU_CYCLE_1)
	s_and_b32 vcc_lo, exec_lo, s22
	s_cbranch_vccz .LBB353_618
; %bb.586:
	v_cmp_lt_i16_e32 vcc_lo, 22, v6
	s_cbranch_vccz .LBB353_594
; %bb.587:
	v_cmp_gt_i16_e32 vcc_lo, 24, v6
	s_cbranch_vccnz .LBB353_597
; %bb.588:
	v_cmp_lt_i16_e32 vcc_lo, 24, v6
	s_cbranch_vccz .LBB353_598
; %bb.589:
	global_load_u8 v4, v[1:2], off
	s_mov_b32 s22, 0
	s_mov_b32 s2, exec_lo
                                        ; implicit-def: $sgpr23
	s_waitcnt vmcnt(0)
	v_cmpx_lt_i16_e32 0x7f, v4
	s_xor_b32 s2, exec_lo, s2
	s_cbranch_execz .LBB353_610
; %bb.590:
	v_cmp_ne_u16_e32 vcc_lo, 0x80, v4
	s_mov_b32 s23, 0
	s_and_b32 s22, vcc_lo, exec_lo
	s_or_saveexec_b32 s2, s2
	v_mov_b32_e32 v3, s23
	s_xor_b32 exec_lo, exec_lo, s2
	s_cbranch_execnz .LBB353_611
.LBB353_591:
	s_or_b32 exec_lo, exec_lo, s2
	s_and_saveexec_b32 s2, s22
	s_cbranch_execz .LBB353_593
.LBB353_592:
	v_and_b32_e32 v3, 0xffff, v4
	s_delay_alu instid0(VALU_DEP_1) | instskip(NEXT) | instid1(VALU_DEP_1)
	v_and_b32_e32 v7, 3, v3
	v_clz_i32_u32_e32 v8, v7
	s_delay_alu instid0(VALU_DEP_1) | instskip(NEXT) | instid1(VALU_DEP_1)
	v_min_u32_e32 v8, 32, v8
	v_subrev_nc_u32_e32 v9, 29, v8
	v_sub_nc_u32_e32 v8, 30, v8
	s_delay_alu instid0(VALU_DEP_2) | instskip(SKIP_1) | instid1(VALU_DEP_2)
	v_lshlrev_b32_e32 v9, v9, v3
	v_bfe_u32 v3, v3, 2, 5
	v_and_b32_e32 v9, 3, v9
	s_delay_alu instid0(VALU_DEP_2) | instskip(NEXT) | instid1(VALU_DEP_2)
	v_cmp_eq_u32_e32 vcc_lo, 0, v3
	v_dual_cndmask_b32 v7, v7, v9 :: v_dual_lshlrev_b32 v4, 24, v4
	v_cndmask_b32_e32 v3, v3, v8, vcc_lo
	s_delay_alu instid0(VALU_DEP_2) | instskip(NEXT) | instid1(VALU_DEP_3)
	v_and_b32_e32 v4, 0x80000000, v4
	v_lshlrev_b32_e32 v7, 21, v7
	s_delay_alu instid0(VALU_DEP_3) | instskip(NEXT) | instid1(VALU_DEP_1)
	v_lshl_add_u32 v3, v3, 23, 0x37800000
	v_or3_b32 v3, v4, v3, v7
	s_delay_alu instid0(VALU_DEP_1) | instskip(NEXT) | instid1(VALU_DEP_1)
	v_trunc_f32_e32 v3, v3
	v_mul_f32_e64 v4, 0x2f800000, |v3|
	s_delay_alu instid0(VALU_DEP_1) | instskip(NEXT) | instid1(VALU_DEP_1)
	v_floor_f32_e32 v4, v4
	v_fma_f32 v4, 0xcf800000, v4, |v3|
	v_ashrrev_i32_e32 v3, 31, v3
	s_delay_alu instid0(VALU_DEP_2) | instskip(NEXT) | instid1(VALU_DEP_1)
	v_cvt_u32_f32_e32 v4, v4
	v_xor_b32_e32 v4, v4, v3
	s_delay_alu instid0(VALU_DEP_1)
	v_sub_nc_u32_e32 v3, v4, v3
.LBB353_593:
	s_or_b32 exec_lo, exec_lo, s2
	s_mov_b32 s2, 0
	s_branch .LBB353_599
.LBB353_594:
	s_mov_b32 s22, -1
                                        ; implicit-def: $vgpr3
	s_branch .LBB353_605
.LBB353_595:
	s_or_saveexec_b32 s2, s2
	v_mov_b32_e32 v3, s23
	s_xor_b32 exec_lo, exec_lo, s2
	s_cbranch_execz .LBB353_580
.LBB353_596:
	v_cmp_ne_u16_e32 vcc_lo, 0, v4
	v_mov_b32_e32 v3, 0
	s_and_not1_b32 s22, s22, exec_lo
	s_and_b32 s23, vcc_lo, exec_lo
	s_delay_alu instid0(SALU_CYCLE_1)
	s_or_b32 s22, s22, s23
	s_or_b32 exec_lo, exec_lo, s2
	s_and_saveexec_b32 s2, s22
	s_cbranch_execnz .LBB353_581
	s_branch .LBB353_582
.LBB353_597:
	s_mov_b32 s2, -1
                                        ; implicit-def: $vgpr3
	s_branch .LBB353_602
.LBB353_598:
	s_mov_b32 s2, -1
                                        ; implicit-def: $vgpr3
.LBB353_599:
	s_delay_alu instid0(SALU_CYCLE_1)
	s_and_b32 vcc_lo, exec_lo, s2
	s_cbranch_vccz .LBB353_601
; %bb.600:
	global_load_u8 v3, v[1:2], off
	s_waitcnt vmcnt(0)
	v_lshlrev_b32_e32 v3, 24, v3
	s_delay_alu instid0(VALU_DEP_1) | instskip(NEXT) | instid1(VALU_DEP_1)
	v_and_b32_e32 v4, 0x7f000000, v3
	v_clz_i32_u32_e32 v7, v4
	v_cmp_ne_u32_e32 vcc_lo, 0, v4
	v_add_nc_u32_e32 v9, 0x1000000, v4
	s_delay_alu instid0(VALU_DEP_3) | instskip(NEXT) | instid1(VALU_DEP_1)
	v_min_u32_e32 v7, 32, v7
	v_sub_nc_u32_e64 v7, v7, 4 clamp
	s_delay_alu instid0(VALU_DEP_1) | instskip(SKIP_1) | instid1(VALU_DEP_2)
	v_lshlrev_b32_e32 v8, v7, v4
	v_lshlrev_b32_e32 v7, 23, v7
	v_lshrrev_b32_e32 v8, 4, v8
	s_delay_alu instid0(VALU_DEP_1) | instskip(SKIP_1) | instid1(VALU_DEP_2)
	v_sub_nc_u32_e32 v7, v8, v7
	v_ashrrev_i32_e32 v8, 8, v9
	v_add_nc_u32_e32 v7, 0x3c000000, v7
	s_delay_alu instid0(VALU_DEP_1) | instskip(NEXT) | instid1(VALU_DEP_1)
	v_and_or_b32 v7, 0x7f800000, v8, v7
	v_cndmask_b32_e32 v4, 0, v7, vcc_lo
	s_delay_alu instid0(VALU_DEP_1) | instskip(NEXT) | instid1(VALU_DEP_1)
	v_and_or_b32 v3, 0x80000000, v3, v4
	v_trunc_f32_e32 v3, v3
	s_delay_alu instid0(VALU_DEP_1) | instskip(NEXT) | instid1(VALU_DEP_1)
	v_mul_f32_e64 v4, 0x2f800000, |v3|
	v_floor_f32_e32 v4, v4
	s_delay_alu instid0(VALU_DEP_1) | instskip(SKIP_1) | instid1(VALU_DEP_2)
	v_fma_f32 v4, 0xcf800000, v4, |v3|
	v_ashrrev_i32_e32 v3, 31, v3
	v_cvt_u32_f32_e32 v4, v4
	s_delay_alu instid0(VALU_DEP_1) | instskip(NEXT) | instid1(VALU_DEP_1)
	v_xor_b32_e32 v4, v4, v3
	v_sub_nc_u32_e32 v3, v4, v3
.LBB353_601:
	s_mov_b32 s2, 0
.LBB353_602:
	s_delay_alu instid0(SALU_CYCLE_1)
	s_and_not1_b32 vcc_lo, exec_lo, s2
	s_cbranch_vccnz .LBB353_604
; %bb.603:
	global_load_u8 v3, v[1:2], off
	s_waitcnt vmcnt(0)
	v_lshlrev_b32_e32 v4, 25, v3
	v_lshlrev_b16 v3, 8, v3
	s_delay_alu instid0(VALU_DEP_2) | instskip(NEXT) | instid1(VALU_DEP_2)
	v_lshrrev_b32_e32 v7, 4, v4
	v_and_or_b32 v8, 0x7f00, v3, 0.5
	v_cmp_gt_u32_e32 vcc_lo, 0x8000000, v4
	v_bfe_i32 v3, v3, 0, 16
	s_delay_alu instid0(VALU_DEP_4) | instskip(NEXT) | instid1(VALU_DEP_1)
	v_or_b32_e32 v7, 0x70000000, v7
	v_dual_add_f32 v8, -0.5, v8 :: v_dual_mul_f32 v7, 0x7800000, v7
	s_delay_alu instid0(VALU_DEP_1) | instskip(NEXT) | instid1(VALU_DEP_1)
	v_cndmask_b32_e32 v4, v7, v8, vcc_lo
	v_and_or_b32 v3, 0x80000000, v3, v4
	s_delay_alu instid0(VALU_DEP_1) | instskip(NEXT) | instid1(VALU_DEP_1)
	v_trunc_f32_e32 v3, v3
	v_mul_f32_e64 v4, 0x2f800000, |v3|
	s_delay_alu instid0(VALU_DEP_1) | instskip(NEXT) | instid1(VALU_DEP_1)
	v_floor_f32_e32 v4, v4
	v_fma_f32 v4, 0xcf800000, v4, |v3|
	v_ashrrev_i32_e32 v3, 31, v3
	s_delay_alu instid0(VALU_DEP_2) | instskip(NEXT) | instid1(VALU_DEP_1)
	v_cvt_u32_f32_e32 v4, v4
	v_xor_b32_e32 v4, v4, v3
	s_delay_alu instid0(VALU_DEP_1)
	v_sub_nc_u32_e32 v3, v4, v3
.LBB353_604:
	s_mov_b32 s22, 0
	s_mov_b32 s2, -1
.LBB353_605:
	s_and_not1_b32 vcc_lo, exec_lo, s22
	s_cbranch_vccnz .LBB353_618
; %bb.606:
	v_cmp_lt_i16_e32 vcc_lo, 14, v6
	s_cbranch_vccz .LBB353_609
; %bb.607:
	v_cmp_eq_u16_e32 vcc_lo, 15, v6
	s_cbranch_vccz .LBB353_612
; %bb.608:
	global_load_u16 v3, v[1:2], off
	s_mov_b32 s2, -1
	s_mov_b32 s3, 0
	s_waitcnt vmcnt(0)
	v_lshlrev_b32_e32 v3, 16, v3
	s_delay_alu instid0(VALU_DEP_1) | instskip(NEXT) | instid1(VALU_DEP_1)
	v_trunc_f32_e32 v3, v3
	v_mul_f32_e64 v4, 0x2f800000, |v3|
	s_delay_alu instid0(VALU_DEP_1) | instskip(NEXT) | instid1(VALU_DEP_1)
	v_floor_f32_e32 v4, v4
	v_fma_f32 v4, 0xcf800000, v4, |v3|
	v_ashrrev_i32_e32 v3, 31, v3
	s_delay_alu instid0(VALU_DEP_2) | instskip(NEXT) | instid1(VALU_DEP_1)
	v_cvt_u32_f32_e32 v4, v4
	v_xor_b32_e32 v4, v4, v3
	s_delay_alu instid0(VALU_DEP_1)
	v_sub_nc_u32_e32 v3, v4, v3
	s_branch .LBB353_613
.LBB353_609:
	s_mov_b32 s22, -1
                                        ; implicit-def: $vgpr3
	s_branch .LBB353_614
.LBB353_610:
	s_or_saveexec_b32 s2, s2
	v_mov_b32_e32 v3, s23
	s_xor_b32 exec_lo, exec_lo, s2
	s_cbranch_execz .LBB353_591
.LBB353_611:
	v_cmp_ne_u16_e32 vcc_lo, 0, v4
	v_mov_b32_e32 v3, 0
	s_and_not1_b32 s22, s22, exec_lo
	s_and_b32 s23, vcc_lo, exec_lo
	s_delay_alu instid0(SALU_CYCLE_1)
	s_or_b32 s22, s22, s23
	s_or_b32 exec_lo, exec_lo, s2
	s_and_saveexec_b32 s2, s22
	s_cbranch_execnz .LBB353_592
	s_branch .LBB353_593
.LBB353_612:
	s_mov_b32 s3, -1
                                        ; implicit-def: $vgpr3
.LBB353_613:
	s_mov_b32 s22, 0
.LBB353_614:
	s_delay_alu instid0(SALU_CYCLE_1)
	s_and_b32 vcc_lo, exec_lo, s22
	s_cbranch_vccz .LBB353_618
; %bb.615:
	v_cmp_eq_u16_e32 vcc_lo, 11, v6
	s_cbranch_vccz .LBB353_617
; %bb.616:
	global_load_u8 v3, v[1:2], off
	s_mov_b32 s3, 0
	s_mov_b32 s2, -1
	s_waitcnt vmcnt(0)
	v_cmp_ne_u16_e32 vcc_lo, 0, v3
	v_cndmask_b32_e64 v3, 0, 1, vcc_lo
	s_branch .LBB353_618
.LBB353_617:
	s_mov_b32 s3, -1
                                        ; implicit-def: $vgpr3
.LBB353_618:
	s_mov_b32 s22, 0
.LBB353_619:
	s_delay_alu instid0(SALU_CYCLE_1)
	s_and_b32 vcc_lo, exec_lo, s22
	s_cbranch_vccz .LBB353_668
; %bb.620:
	v_cmp_gt_i16_e32 vcc_lo, 5, v6
	s_cbranch_vccnz .LBB353_625
; %bb.621:
	v_cmp_gt_i16_e32 vcc_lo, 8, v6
	s_cbranch_vccnz .LBB353_626
; %bb.622:
	v_cmp_gt_i16_e32 vcc_lo, 9, v6
	s_cbranch_vccnz .LBB353_627
; %bb.623:
	v_cmp_lt_i16_e32 vcc_lo, 9, v6
	s_cbranch_vccz .LBB353_628
; %bb.624:
	global_load_b64 v[3:4], v[1:2], off
	s_mov_b32 s2, 0
	s_waitcnt vmcnt(0)
	v_trunc_f64_e32 v[3:4], v[3:4]
	s_delay_alu instid0(VALU_DEP_1) | instskip(NEXT) | instid1(VALU_DEP_1)
	v_ldexp_f64 v[7:8], v[3:4], 0xffffffe0
	v_floor_f64_e32 v[7:8], v[7:8]
	s_delay_alu instid0(VALU_DEP_1) | instskip(NEXT) | instid1(VALU_DEP_1)
	v_fma_f64 v[3:4], 0xc1f00000, v[7:8], v[3:4]
	v_cvt_u32_f64_e32 v3, v[3:4]
	s_branch .LBB353_629
.LBB353_625:
	s_mov_b32 s2, -1
                                        ; implicit-def: $vgpr3
	s_branch .LBB353_647
.LBB353_626:
	s_mov_b32 s2, -1
                                        ; implicit-def: $vgpr3
	s_branch .LBB353_635
.LBB353_627:
	s_mov_b32 s2, -1
                                        ; implicit-def: $vgpr3
	s_branch .LBB353_632
.LBB353_628:
	s_mov_b32 s2, -1
                                        ; implicit-def: $vgpr3
.LBB353_629:
	s_delay_alu instid0(SALU_CYCLE_1)
	s_and_not1_b32 vcc_lo, exec_lo, s2
	s_cbranch_vccnz .LBB353_631
; %bb.630:
	global_load_b32 v3, v[1:2], off
	s_waitcnt vmcnt(0)
	v_trunc_f32_e32 v3, v3
	s_delay_alu instid0(VALU_DEP_1) | instskip(NEXT) | instid1(VALU_DEP_1)
	v_mul_f32_e64 v4, 0x2f800000, |v3|
	v_floor_f32_e32 v4, v4
	s_delay_alu instid0(VALU_DEP_1) | instskip(SKIP_1) | instid1(VALU_DEP_2)
	v_fma_f32 v4, 0xcf800000, v4, |v3|
	v_ashrrev_i32_e32 v3, 31, v3
	v_cvt_u32_f32_e32 v4, v4
	s_delay_alu instid0(VALU_DEP_1) | instskip(NEXT) | instid1(VALU_DEP_1)
	v_xor_b32_e32 v4, v4, v3
	v_sub_nc_u32_e32 v3, v4, v3
.LBB353_631:
	s_mov_b32 s2, 0
.LBB353_632:
	s_delay_alu instid0(SALU_CYCLE_1)
	s_and_not1_b32 vcc_lo, exec_lo, s2
	s_cbranch_vccnz .LBB353_634
; %bb.633:
	global_load_b32 v3, v[1:2], off
	s_waitcnt vmcnt(0)
	v_cvt_f32_f16_e32 v3, v3
	s_delay_alu instid0(VALU_DEP_1)
	v_cvt_i32_f32_e32 v3, v3
.LBB353_634:
	s_mov_b32 s2, 0
.LBB353_635:
	s_delay_alu instid0(SALU_CYCLE_1)
	s_and_not1_b32 vcc_lo, exec_lo, s2
	s_cbranch_vccnz .LBB353_646
; %bb.636:
	v_cmp_gt_i16_e32 vcc_lo, 6, v6
	s_cbranch_vccnz .LBB353_639
; %bb.637:
	v_cmp_lt_i16_e32 vcc_lo, 6, v6
	s_cbranch_vccz .LBB353_640
; %bb.638:
	global_load_b64 v[3:4], v[1:2], off
	s_mov_b32 s2, 0
	s_waitcnt vmcnt(0)
	v_trunc_f64_e32 v[3:4], v[3:4]
	s_delay_alu instid0(VALU_DEP_1) | instskip(NEXT) | instid1(VALU_DEP_1)
	v_ldexp_f64 v[7:8], v[3:4], 0xffffffe0
	v_floor_f64_e32 v[7:8], v[7:8]
	s_delay_alu instid0(VALU_DEP_1) | instskip(NEXT) | instid1(VALU_DEP_1)
	v_fma_f64 v[3:4], 0xc1f00000, v[7:8], v[3:4]
	v_cvt_u32_f64_e32 v3, v[3:4]
	s_branch .LBB353_641
.LBB353_639:
	s_mov_b32 s2, -1
                                        ; implicit-def: $vgpr3
	s_branch .LBB353_644
.LBB353_640:
	s_mov_b32 s2, -1
                                        ; implicit-def: $vgpr3
.LBB353_641:
	s_delay_alu instid0(SALU_CYCLE_1)
	s_and_not1_b32 vcc_lo, exec_lo, s2
	s_cbranch_vccnz .LBB353_643
; %bb.642:
	global_load_b32 v3, v[1:2], off
	s_waitcnt vmcnt(0)
	v_trunc_f32_e32 v3, v3
	s_delay_alu instid0(VALU_DEP_1) | instskip(NEXT) | instid1(VALU_DEP_1)
	v_mul_f32_e64 v4, 0x2f800000, |v3|
	v_floor_f32_e32 v4, v4
	s_delay_alu instid0(VALU_DEP_1) | instskip(SKIP_1) | instid1(VALU_DEP_2)
	v_fma_f32 v4, 0xcf800000, v4, |v3|
	v_ashrrev_i32_e32 v3, 31, v3
	v_cvt_u32_f32_e32 v4, v4
	s_delay_alu instid0(VALU_DEP_1) | instskip(NEXT) | instid1(VALU_DEP_1)
	v_xor_b32_e32 v4, v4, v3
	v_sub_nc_u32_e32 v3, v4, v3
.LBB353_643:
	s_mov_b32 s2, 0
.LBB353_644:
	s_delay_alu instid0(SALU_CYCLE_1)
	s_and_not1_b32 vcc_lo, exec_lo, s2
	s_cbranch_vccnz .LBB353_646
; %bb.645:
	global_load_u16 v3, v[1:2], off
	s_waitcnt vmcnt(0)
	v_cvt_f32_f16_e32 v3, v3
	s_delay_alu instid0(VALU_DEP_1)
	v_cvt_i32_f32_e32 v3, v3
.LBB353_646:
	s_mov_b32 s2, 0
.LBB353_647:
	s_delay_alu instid0(SALU_CYCLE_1)
	s_and_not1_b32 vcc_lo, exec_lo, s2
	s_cbranch_vccnz .LBB353_667
; %bb.648:
	v_cmp_gt_i16_e32 vcc_lo, 2, v6
	s_cbranch_vccnz .LBB353_652
; %bb.649:
	v_cmp_gt_i16_e32 vcc_lo, 3, v6
	s_cbranch_vccnz .LBB353_653
; %bb.650:
	v_cmp_lt_i16_e32 vcc_lo, 3, v6
	s_cbranch_vccz .LBB353_654
; %bb.651:
	global_load_b64 v[3:4], v[1:2], off
	s_mov_b32 s2, 0
	s_branch .LBB353_655
.LBB353_652:
	s_mov_b32 s2, -1
                                        ; implicit-def: $vgpr3
	s_branch .LBB353_661
.LBB353_653:
	s_mov_b32 s2, -1
                                        ; implicit-def: $vgpr3
	s_branch .LBB353_658
.LBB353_654:
	s_mov_b32 s2, -1
                                        ; implicit-def: $vgpr3
.LBB353_655:
	s_delay_alu instid0(SALU_CYCLE_1)
	s_and_not1_b32 vcc_lo, exec_lo, s2
	s_cbranch_vccnz .LBB353_657
; %bb.656:
	global_load_b32 v3, v[1:2], off
.LBB353_657:
	s_mov_b32 s2, 0
.LBB353_658:
	s_delay_alu instid0(SALU_CYCLE_1)
	s_and_not1_b32 vcc_lo, exec_lo, s2
	s_cbranch_vccnz .LBB353_660
; %bb.659:
	global_load_u16 v3, v[1:2], off
.LBB353_660:
	s_mov_b32 s2, 0
.LBB353_661:
	s_delay_alu instid0(SALU_CYCLE_1)
	s_and_not1_b32 vcc_lo, exec_lo, s2
	s_cbranch_vccnz .LBB353_667
; %bb.662:
	v_cmp_lt_i16_e32 vcc_lo, 0, v6
	s_mov_b32 s2, 0
	s_cbranch_vccz .LBB353_664
; %bb.663:
	global_load_u8 v3, v[1:2], off
	s_branch .LBB353_665
.LBB353_664:
	s_mov_b32 s2, -1
                                        ; implicit-def: $vgpr3
.LBB353_665:
	s_delay_alu instid0(SALU_CYCLE_1)
	s_and_not1_b32 vcc_lo, exec_lo, s2
	s_cbranch_vccnz .LBB353_667
; %bb.666:
	global_load_u8 v3, v[1:2], off
.LBB353_667:
	s_mov_b32 s2, -1
.LBB353_668:
	s_delay_alu instid0(SALU_CYCLE_1)
	s_and_not1_b32 vcc_lo, exec_lo, s2
	s_cbranch_vccnz .LBB353_676
; %bb.669:
	s_waitcnt vmcnt(0)
	s_delay_alu instid0(VALU_DEP_1) | instskip(SKIP_4) | instid1(VALU_DEP_3)
	v_and_b32_e32 v2, 0xff, v3
	v_and_b32_e64 v3, 0xff, s30
	v_and_b32_e64 v1, 0xff, s29
	v_add_co_u32 v0, s2, s4, v0
	s_mov_b32 s22, 0
	v_cmp_gt_i16_e32 vcc_lo, 11, v3
	s_delay_alu instid0(VALU_DEP_3)
	v_max_u16 v2, v2, v1
	v_add_co_ci_u32_e64 v1, null, s5, 0, s2
	s_mov_b32 s23, -1
	s_mov_b32 s2, s41
	s_cbranch_vccnz .LBB353_677
; %bb.670:
	v_cmp_lt_i16_e32 vcc_lo, 25, v3
	s_cbranch_vccz .LBB353_718
; %bb.671:
	v_cmp_lt_i16_e32 vcc_lo, 28, v3
	s_cbranch_vccz .LBB353_719
	;; [unrolled: 3-line block ×4, first 2 shown]
; %bb.674:
	v_cmp_eq_u16_e32 vcc_lo, 46, v3
	s_mov_b32 s23, 0
	s_mov_b32 s2, -1
	s_cbranch_vccz .LBB353_722
; %bb.675:
	v_cvt_f32_ubyte0_e32 v4, v2
	s_mov_b32 s22, -1
	s_mov_b32 s2, 0
	s_delay_alu instid0(VALU_DEP_1) | instskip(NEXT) | instid1(VALU_DEP_1)
	v_bfe_u32 v6, v4, 16, 1
	v_add3_u32 v4, v4, v6, 0x7fff
	s_delay_alu instid0(VALU_DEP_1)
	v_lshrrev_b32_e32 v4, 16, v4
	global_store_b32 v[0:1], v4, off
	s_branch .LBB353_722
.LBB353_676:
	s_mov_b32 s44, 0
	s_mov_b32 s2, s41
	s_branch .LBB353_717
.LBB353_677:
	s_and_b32 vcc_lo, exec_lo, s23
	s_cbranch_vccz .LBB353_791
; %bb.678:
	v_cmp_gt_i16_e32 vcc_lo, 5, v3
	s_mov_b32 s22, -1
	s_cbranch_vccnz .LBB353_699
; %bb.679:
	v_cmp_gt_i16_e32 vcc_lo, 8, v3
	s_cbranch_vccnz .LBB353_689
; %bb.680:
	v_cmp_gt_i16_e32 vcc_lo, 9, v3
	s_cbranch_vccnz .LBB353_686
; %bb.681:
	v_cmp_lt_i16_e32 vcc_lo, 9, v3
	s_cbranch_vccz .LBB353_683
; %bb.682:
	v_mov_b32_e32 v8, 0
	v_and_b32_e32 v4, 0xffff, v2
	s_mov_b32 s22, 0
	s_delay_alu instid0(VALU_DEP_2) | instskip(NEXT) | instid1(VALU_DEP_2)
	v_mov_b32_e32 v9, v8
	v_cvt_f64_u32_e32 v[6:7], v4
	global_store_b128 v[0:1], v[6:9], off
.LBB353_683:
	s_and_not1_b32 vcc_lo, exec_lo, s22
	s_cbranch_vccnz .LBB353_685
; %bb.684:
	v_cvt_f32_ubyte0_e32 v6, v2
	v_mov_b32_e32 v7, 0
	global_store_b64 v[0:1], v[6:7], off
.LBB353_685:
	s_mov_b32 s22, 0
.LBB353_686:
	s_delay_alu instid0(SALU_CYCLE_1)
	s_and_not1_b32 vcc_lo, exec_lo, s22
	s_cbranch_vccnz .LBB353_688
; %bb.687:
	v_cvt_f16_u16_e32 v4, v2
	s_delay_alu instid0(VALU_DEP_1)
	v_and_b32_e32 v4, 0xffff, v4
	global_store_b32 v[0:1], v4, off
.LBB353_688:
	s_mov_b32 s22, 0
.LBB353_689:
	s_delay_alu instid0(SALU_CYCLE_1)
	s_and_not1_b32 vcc_lo, exec_lo, s22
	s_cbranch_vccnz .LBB353_698
; %bb.690:
	v_cmp_gt_i16_e32 vcc_lo, 6, v3
	s_mov_b32 s22, -1
	s_cbranch_vccnz .LBB353_696
; %bb.691:
	v_cmp_lt_i16_e32 vcc_lo, 6, v3
	s_cbranch_vccz .LBB353_693
; %bb.692:
	v_and_b32_e32 v4, 0xffff, v2
	s_mov_b32 s22, 0
	s_delay_alu instid0(VALU_DEP_1)
	v_cvt_f64_u32_e32 v[6:7], v4
	global_store_b64 v[0:1], v[6:7], off
.LBB353_693:
	s_and_not1_b32 vcc_lo, exec_lo, s22
	s_cbranch_vccnz .LBB353_695
; %bb.694:
	v_cvt_f32_ubyte0_e32 v4, v2
	global_store_b32 v[0:1], v4, off
.LBB353_695:
	s_mov_b32 s22, 0
.LBB353_696:
	s_delay_alu instid0(SALU_CYCLE_1)
	s_and_not1_b32 vcc_lo, exec_lo, s22
	s_cbranch_vccnz .LBB353_698
; %bb.697:
	v_cvt_f16_u16_e32 v4, v2
	global_store_b16 v[0:1], v4, off
.LBB353_698:
	s_mov_b32 s22, 0
.LBB353_699:
	s_delay_alu instid0(SALU_CYCLE_1)
	s_and_not1_b32 vcc_lo, exec_lo, s22
	s_cbranch_vccnz .LBB353_715
; %bb.700:
	v_cmp_gt_i16_e32 vcc_lo, 2, v3
	s_mov_b32 s22, -1
	s_cbranch_vccnz .LBB353_710
; %bb.701:
	v_cmp_gt_i16_e32 vcc_lo, 3, v3
	s_cbranch_vccnz .LBB353_707
; %bb.702:
	v_cmp_lt_i16_e32 vcc_lo, 3, v3
	s_cbranch_vccz .LBB353_704
; %bb.703:
	s_mov_b32 s22, 0
	s_delay_alu instid0(SALU_CYCLE_1)
	v_dual_mov_b32 v7, s22 :: v_dual_and_b32 v6, 0xffff, v2
	global_store_b64 v[0:1], v[6:7], off
.LBB353_704:
	s_and_not1_b32 vcc_lo, exec_lo, s22
	s_cbranch_vccnz .LBB353_706
; %bb.705:
	v_and_b32_e32 v4, 0xffff, v2
	global_store_b32 v[0:1], v4, off
.LBB353_706:
	s_mov_b32 s22, 0
.LBB353_707:
	s_delay_alu instid0(SALU_CYCLE_1)
	s_and_not1_b32 vcc_lo, exec_lo, s22
	s_cbranch_vccnz .LBB353_709
; %bb.708:
	global_store_b16 v[0:1], v2, off
.LBB353_709:
	s_mov_b32 s22, 0
.LBB353_710:
	s_delay_alu instid0(SALU_CYCLE_1)
	s_and_not1_b32 vcc_lo, exec_lo, s22
	s_cbranch_vccnz .LBB353_715
; %bb.711:
	v_cmp_lt_i16_e32 vcc_lo, 0, v3
	s_mov_b32 s22, -1
	s_cbranch_vccz .LBB353_713
; %bb.712:
	s_mov_b32 s22, 0
	global_store_b8 v[0:1], v2, off
.LBB353_713:
	s_and_not1_b32 vcc_lo, exec_lo, s22
	s_cbranch_vccnz .LBB353_715
; %bb.714:
	global_store_b8 v[0:1], v2, off
.LBB353_715:
	s_branch .LBB353_792
.LBB353_716:
	s_mov_b32 s44, 0
.LBB353_717:
                                        ; implicit-def: $vgpr5
	s_branch .LBB353_793
.LBB353_718:
	s_mov_b32 s2, s41
	s_branch .LBB353_749
.LBB353_719:
	s_mov_b32 s2, s41
	s_branch .LBB353_732
.LBB353_720:
	s_mov_b32 s2, s41
	s_branch .LBB353_728
.LBB353_721:
	s_mov_b32 s2, s41
.LBB353_722:
	s_and_b32 vcc_lo, exec_lo, s23
	s_cbranch_vccz .LBB353_727
; %bb.723:
	v_cmp_eq_u16_e32 vcc_lo, 44, v3
	s_mov_b32 s2, -1
	s_cbranch_vccz .LBB353_727
; %bb.724:
	v_cvt_f32_ubyte0_e32 v7, v2
	v_mov_b32_e32 v6, 0xff
	s_mov_b32 s22, exec_lo
	s_delay_alu instid0(VALU_DEP_2) | instskip(NEXT) | instid1(VALU_DEP_1)
	v_lshrrev_b32_e32 v4, 23, v7
	v_cmpx_ne_u32_e32 0xff, v4
; %bb.725:
	v_and_b32_e32 v6, 0x400000, v7
	v_and_or_b32 v7, 0x3fffff, v7, v4
	s_delay_alu instid0(VALU_DEP_2) | instskip(NEXT) | instid1(VALU_DEP_2)
	v_cmp_ne_u32_e32 vcc_lo, 0, v6
	v_cmp_ne_u32_e64 s2, 0, v7
	s_delay_alu instid0(VALU_DEP_1) | instskip(NEXT) | instid1(SALU_CYCLE_1)
	s_and_b32 s2, vcc_lo, s2
	v_cndmask_b32_e64 v6, 0, 1, s2
	s_delay_alu instid0(VALU_DEP_1)
	v_add_nc_u32_e32 v6, v4, v6
; %bb.726:
	s_or_b32 exec_lo, exec_lo, s22
	s_mov_b32 s22, -1
	s_mov_b32 s2, 0
	global_store_b8 v[0:1], v6, off
.LBB353_727:
	s_mov_b32 s23, 0
.LBB353_728:
	s_delay_alu instid0(SALU_CYCLE_1)
	s_and_b32 vcc_lo, exec_lo, s23
	s_cbranch_vccz .LBB353_731
; %bb.729:
	v_cmp_eq_u16_e32 vcc_lo, 29, v3
	s_mov_b32 s2, -1
	s_cbranch_vccz .LBB353_731
; %bb.730:
	s_mov_b32 s2, 0
	s_delay_alu instid0(SALU_CYCLE_1)
	v_dual_mov_b32 v7, s2 :: v_dual_and_b32 v6, 0xffff, v2
	s_mov_b32 s22, -1
	s_mov_b32 s23, 0
	global_store_b64 v[0:1], v[6:7], off
	s_branch .LBB353_732
.LBB353_731:
	s_mov_b32 s23, 0
.LBB353_732:
	s_delay_alu instid0(SALU_CYCLE_1)
	s_and_b32 vcc_lo, exec_lo, s23
	s_cbranch_vccz .LBB353_748
; %bb.733:
	v_cmp_gt_i16_e32 vcc_lo, 27, v3
	s_mov_b32 s22, -1
	s_cbranch_vccnz .LBB353_739
; %bb.734:
	v_cmp_lt_i16_e32 vcc_lo, 27, v3
	s_cbranch_vccz .LBB353_736
; %bb.735:
	v_and_b32_e32 v4, 0xffff, v2
	s_mov_b32 s22, 0
	global_store_b32 v[0:1], v4, off
.LBB353_736:
	s_and_not1_b32 vcc_lo, exec_lo, s22
	s_cbranch_vccnz .LBB353_738
; %bb.737:
	global_store_b16 v[0:1], v2, off
.LBB353_738:
	s_mov_b32 s22, 0
.LBB353_739:
	s_delay_alu instid0(SALU_CYCLE_1)
	s_and_not1_b32 vcc_lo, exec_lo, s22
	s_cbranch_vccnz .LBB353_747
; %bb.740:
	v_cvt_f32_ubyte0_e32 v6, v2
	v_mov_b32_e32 v7, 0x80
	s_mov_b32 s22, exec_lo
	s_delay_alu instid0(VALU_DEP_2)
	v_cmpx_gt_u32_e32 0x43800000, v6
	s_cbranch_execz .LBB353_746
; %bb.741:
	s_mov_b32 s23, 0
	s_mov_b32 s44, exec_lo
                                        ; implicit-def: $vgpr4
	v_cmpx_lt_u32_e32 0x3bffffff, v6
	s_xor_b32 s44, exec_lo, s44
	s_cbranch_execz .LBB353_820
; %bb.742:
	v_bfe_u32 v4, v6, 20, 1
	s_mov_b32 s23, exec_lo
	s_delay_alu instid0(VALU_DEP_1) | instskip(NEXT) | instid1(VALU_DEP_1)
	v_add3_u32 v4, v6, v4, 0x487ffff
                                        ; implicit-def: $vgpr6
	v_lshrrev_b32_e32 v4, 20, v4
	s_or_saveexec_b32 s44, s44
                                        ; implicit-def: $sgpr45
	s_delay_alu instid0(SALU_CYCLE_1)
	s_xor_b32 exec_lo, exec_lo, s44
	s_cbranch_execnz .LBB353_821
.LBB353_743:
	s_or_b32 exec_lo, exec_lo, s44
	v_mov_b32_e32 v7, s45
	s_and_saveexec_b32 s44, s23
.LBB353_744:
	v_mov_b32_e32 v7, v4
.LBB353_745:
	s_or_b32 exec_lo, exec_lo, s44
.LBB353_746:
	s_delay_alu instid0(SALU_CYCLE_1)
	s_or_b32 exec_lo, exec_lo, s22
	global_store_b8 v[0:1], v7, off
.LBB353_747:
	s_mov_b32 s22, -1
.LBB353_748:
	s_mov_b32 s23, 0
.LBB353_749:
	s_delay_alu instid0(SALU_CYCLE_1)
	s_and_b32 vcc_lo, exec_lo, s23
	s_cbranch_vccz .LBB353_790
; %bb.750:
	v_cmp_lt_i16_e32 vcc_lo, 22, v3
	s_mov_b32 s23, -1
	s_cbranch_vccz .LBB353_782
; %bb.751:
	v_cmp_gt_i16_e32 vcc_lo, 24, v3
	s_mov_b32 s22, -1
	s_cbranch_vccnz .LBB353_771
; %bb.752:
	v_cmp_lt_i16_e32 vcc_lo, 24, v3
	s_cbranch_vccz .LBB353_760
; %bb.753:
	v_cvt_f32_ubyte0_e32 v6, v2
	v_mov_b32_e32 v7, 0x80
	s_mov_b32 s22, exec_lo
	s_delay_alu instid0(VALU_DEP_2)
	v_cmpx_gt_u32_e32 0x47800000, v6
	s_cbranch_execz .LBB353_759
; %bb.754:
	s_mov_b32 s23, 0
	s_mov_b32 s44, exec_lo
                                        ; implicit-def: $vgpr4
	v_cmpx_lt_u32_e32 0x37ffffff, v6
	s_xor_b32 s44, exec_lo, s44
	s_cbranch_execz .LBB353_823
; %bb.755:
	v_bfe_u32 v4, v6, 21, 1
	s_mov_b32 s23, exec_lo
	s_delay_alu instid0(VALU_DEP_1) | instskip(NEXT) | instid1(VALU_DEP_1)
	v_add3_u32 v4, v6, v4, 0x88fffff
                                        ; implicit-def: $vgpr6
	v_lshrrev_b32_e32 v4, 21, v4
	s_or_saveexec_b32 s44, s44
                                        ; implicit-def: $sgpr45
	s_delay_alu instid0(SALU_CYCLE_1)
	s_xor_b32 exec_lo, exec_lo, s44
	s_cbranch_execnz .LBB353_824
.LBB353_756:
	s_or_b32 exec_lo, exec_lo, s44
	v_mov_b32_e32 v7, s45
	s_and_saveexec_b32 s44, s23
.LBB353_757:
	v_mov_b32_e32 v7, v4
.LBB353_758:
	s_or_b32 exec_lo, exec_lo, s44
.LBB353_759:
	s_delay_alu instid0(SALU_CYCLE_1)
	s_or_b32 exec_lo, exec_lo, s22
	s_mov_b32 s22, 0
	global_store_b8 v[0:1], v7, off
.LBB353_760:
	s_and_b32 vcc_lo, exec_lo, s22
	s_cbranch_vccz .LBB353_770
; %bb.761:
	v_cvt_f32_ubyte0_e32 v6, v2
	s_mov_b32 s22, exec_lo
                                        ; implicit-def: $vgpr4
	s_delay_alu instid0(VALU_DEP_1)
	v_cmpx_gt_u32_e32 0x43f00000, v6
	s_xor_b32 s22, exec_lo, s22
	s_cbranch_execz .LBB353_767
; %bb.762:
	s_mov_b32 s23, exec_lo
                                        ; implicit-def: $vgpr4
	v_cmpx_lt_u32_e32 0x3c7fffff, v6
	s_xor_b32 s23, exec_lo, s23
; %bb.763:
	v_bfe_u32 v4, v6, 20, 1
	s_delay_alu instid0(VALU_DEP_1) | instskip(NEXT) | instid1(VALU_DEP_1)
	v_add3_u32 v4, v6, v4, 0x407ffff
	v_and_b32_e32 v6, 0xff00000, v4
	v_lshrrev_b32_e32 v4, 20, v4
	s_delay_alu instid0(VALU_DEP_2) | instskip(NEXT) | instid1(VALU_DEP_2)
	v_cmp_ne_u32_e32 vcc_lo, 0x7f00000, v6
                                        ; implicit-def: $vgpr6
	v_cndmask_b32_e32 v4, 0x7e, v4, vcc_lo
; %bb.764:
	s_and_not1_saveexec_b32 s23, s23
; %bb.765:
	v_add_f32_e32 v4, 0x46800000, v6
; %bb.766:
	s_or_b32 exec_lo, exec_lo, s23
                                        ; implicit-def: $vgpr6
.LBB353_767:
	s_and_not1_saveexec_b32 s22, s22
; %bb.768:
	v_mov_b32_e32 v4, 0x7f
	v_cmp_lt_u32_e32 vcc_lo, 0x7f800000, v6
	s_delay_alu instid0(VALU_DEP_2)
	v_cndmask_b32_e32 v4, 0x7e, v4, vcc_lo
; %bb.769:
	s_or_b32 exec_lo, exec_lo, s22
	global_store_b8 v[0:1], v4, off
.LBB353_770:
	s_mov_b32 s22, 0
.LBB353_771:
	s_delay_alu instid0(SALU_CYCLE_1)
	s_and_not1_b32 vcc_lo, exec_lo, s22
	s_cbranch_vccnz .LBB353_781
; %bb.772:
	v_cvt_f32_ubyte0_e32 v6, v2
	s_mov_b32 s22, exec_lo
                                        ; implicit-def: $vgpr4
	s_delay_alu instid0(VALU_DEP_1)
	v_cmpx_gt_u32_e32 0x47800000, v6
	s_xor_b32 s22, exec_lo, s22
	s_cbranch_execz .LBB353_778
; %bb.773:
	s_mov_b32 s23, exec_lo
                                        ; implicit-def: $vgpr4
	v_cmpx_lt_u32_e32 0x387fffff, v6
	s_xor_b32 s23, exec_lo, s23
; %bb.774:
	v_bfe_u32 v4, v6, 21, 1
	s_delay_alu instid0(VALU_DEP_1) | instskip(NEXT) | instid1(VALU_DEP_1)
	v_add3_u32 v4, v6, v4, 0x80fffff
                                        ; implicit-def: $vgpr6
	v_lshrrev_b32_e32 v4, 21, v4
; %bb.775:
	s_and_not1_saveexec_b32 s23, s23
; %bb.776:
	v_add_f32_e32 v4, 0x43000000, v6
; %bb.777:
	s_or_b32 exec_lo, exec_lo, s23
                                        ; implicit-def: $vgpr6
.LBB353_778:
	s_and_not1_saveexec_b32 s22, s22
; %bb.779:
	v_mov_b32_e32 v4, 0x7f
	v_cmp_lt_u32_e32 vcc_lo, 0x7f800000, v6
	s_delay_alu instid0(VALU_DEP_2)
	v_cndmask_b32_e32 v4, 0x7c, v4, vcc_lo
; %bb.780:
	s_or_b32 exec_lo, exec_lo, s22
	global_store_b8 v[0:1], v4, off
.LBB353_781:
	s_mov_b32 s23, 0
	s_mov_b32 s22, -1
.LBB353_782:
	s_and_not1_b32 vcc_lo, exec_lo, s23
	s_cbranch_vccnz .LBB353_790
; %bb.783:
	v_cmp_lt_i16_e32 vcc_lo, 14, v3
	s_mov_b32 s23, -1
	s_cbranch_vccz .LBB353_787
; %bb.784:
	v_cmp_eq_u16_e32 vcc_lo, 15, v3
	s_mov_b32 s2, -1
	s_cbranch_vccz .LBB353_786
; %bb.785:
	v_cvt_f32_ubyte0_e32 v4, v2
	s_mov_b32 s22, -1
	s_mov_b32 s2, 0
	s_delay_alu instid0(VALU_DEP_1) | instskip(NEXT) | instid1(VALU_DEP_1)
	v_bfe_u32 v6, v4, 16, 1
	v_add3_u32 v4, v4, v6, 0x7fff
	global_store_d16_hi_b16 v[0:1], v4, off
.LBB353_786:
	s_mov_b32 s23, 0
.LBB353_787:
	s_delay_alu instid0(SALU_CYCLE_1)
	s_and_b32 vcc_lo, exec_lo, s23
	s_cbranch_vccz .LBB353_790
; %bb.788:
	v_cmp_eq_u16_e32 vcc_lo, 11, v3
	s_mov_b32 s2, -1
	s_cbranch_vccz .LBB353_790
; %bb.789:
	v_cmp_ne_u16_e32 vcc_lo, 0, v2
	s_mov_b32 s2, 0
	s_mov_b32 s22, -1
	v_cndmask_b32_e64 v4, 0, 1, vcc_lo
	global_store_b8 v[0:1], v4, off
.LBB353_790:
.LBB353_791:
	s_and_not1_b32 vcc_lo, exec_lo, s22
	s_cbranch_vccnz .LBB353_716
.LBB353_792:
	v_add_nc_u32_e32 v5, 0x80, v5
	s_mov_b32 s44, -1
.LBB353_793:
	s_and_not1_b32 s22, s41, exec_lo
	s_and_b32 s2, s2, exec_lo
	s_and_not1_b32 s45, s40, exec_lo
	s_and_b32 s3, s3, exec_lo
	s_or_b32 s23, s22, s2
	s_or_b32 s22, s45, s3
	s_or_not1_b32 s45, s44, exec_lo
.LBB353_794:
	s_or_b32 exec_lo, exec_lo, s43
	s_mov_b32 s2, 0
	s_mov_b32 s3, 0
	;; [unrolled: 1-line block ×3, first 2 shown]
                                        ; implicit-def: $vgpr6
                                        ; implicit-def: $vgpr1_vgpr2
                                        ; implicit-def: $vgpr0
                                        ; implicit-def: $vgpr3
	s_and_saveexec_b32 s43, s45
	s_cbranch_execz .LBB353_888
; %bb.795:
	v_cmp_gt_i32_e32 vcc_lo, s34, v5
	s_mov_b32 s46, s22
	s_mov_b32 s45, 0
                                        ; implicit-def: $vgpr6
                                        ; implicit-def: $vgpr1_vgpr2
                                        ; implicit-def: $vgpr0
                                        ; implicit-def: $vgpr3
	s_and_saveexec_b32 s34, vcc_lo
	s_cbranch_execz .LBB353_887
; %bb.796:
	s_and_not1_b32 vcc_lo, exec_lo, s27
	s_cbranch_vccnz .LBB353_801
; %bb.797:
	v_dual_mov_b32 v0, 0 :: v_dual_mov_b32 v1, 0
	s_and_not1_b32 vcc_lo, exec_lo, s36
	s_mov_b32 s36, 0
	s_cbranch_vccnz .LBB353_806
; %bb.798:
	v_mov_b32_e32 v0, 0
	s_add_i32 s44, s35, 1
	s_cmp_eq_u32 s25, 2
	s_mov_b32 s35, 0
	s_cbranch_scc1 .LBB353_802
; %bb.799:
	v_dual_mov_b32 v1, 0 :: v_dual_mov_b32 v0, 0
	v_mov_b32_e32 v2, v5
	s_and_b32 s35, s44, 28
	s_mov_b64 s[2:3], s[16:17]
.LBB353_800:                            ; =>This Inner Loop Header: Depth=1
	s_clause 0x1
	s_load_b256 s[48:55], s[2:3], 0x4
	s_load_b128 s[64:67], s[2:3], 0x24
	s_load_b256 s[56:63], s[20:21], 0x0
	s_add_u32 s2, s2, 48
	s_addc_u32 s3, s3, 0
	s_add_i32 s45, s45, 4
	s_add_u32 s20, s20, 32
	s_addc_u32 s21, s21, 0
	s_cmp_eq_u32 s35, s45
	s_waitcnt vmcnt(0) lgkmcnt(0)
	v_mul_hi_u32 v3, s49, v2
	s_delay_alu instid0(VALU_DEP_1) | instskip(NEXT) | instid1(VALU_DEP_1)
	v_add_nc_u32_e32 v3, v2, v3
	v_lshrrev_b32_e32 v3, s50, v3
	s_delay_alu instid0(VALU_DEP_1) | instskip(SKIP_1) | instid1(VALU_DEP_2)
	v_mul_hi_u32 v4, s52, v3
	v_mul_lo_u32 v7, v3, s48
	v_add_nc_u32_e32 v4, v3, v4
	s_delay_alu instid0(VALU_DEP_2) | instskip(NEXT) | instid1(VALU_DEP_2)
	v_sub_nc_u32_e32 v2, v2, v7
	v_lshrrev_b32_e32 v4, s53, v4
	s_delay_alu instid0(VALU_DEP_2) | instskip(SKIP_1) | instid1(VALU_DEP_3)
	v_mul_lo_u32 v7, v2, s56
	v_mul_lo_u32 v9, v2, s57
	v_mul_hi_u32 v6, s55, v4
	s_delay_alu instid0(VALU_DEP_1) | instskip(NEXT) | instid1(VALU_DEP_1)
	v_add_nc_u32_e32 v6, v4, v6
	v_lshrrev_b32_e32 v6, s64, v6
	s_delay_alu instid0(VALU_DEP_1) | instskip(SKIP_1) | instid1(VALU_DEP_2)
	v_mul_hi_u32 v8, s66, v6
	v_mul_lo_u32 v10, v6, s54
	v_add_nc_u32_e32 v2, v6, v8
	v_mul_lo_u32 v8, v4, s51
	s_delay_alu instid0(VALU_DEP_3) | instskip(NEXT) | instid1(VALU_DEP_3)
	v_sub_nc_u32_e32 v4, v4, v10
	v_lshrrev_b32_e32 v2, s67, v2
	s_delay_alu instid0(VALU_DEP_2) | instskip(SKIP_2) | instid1(VALU_DEP_4)
	v_mul_lo_u32 v10, v4, s60
	v_mul_lo_u32 v4, v4, s61
	v_sub_nc_u32_e32 v3, v3, v8
	v_mul_lo_u32 v11, v2, s65
	s_delay_alu instid0(VALU_DEP_2) | instskip(SKIP_1) | instid1(VALU_DEP_3)
	v_mul_lo_u32 v8, v3, s58
	v_mul_lo_u32 v3, v3, s59
	v_sub_nc_u32_e32 v6, v6, v11
	s_delay_alu instid0(VALU_DEP_3) | instskip(NEXT) | instid1(VALU_DEP_2)
	v_add3_u32 v0, v7, v0, v8
	v_mul_lo_u32 v11, v6, s62
	v_mul_lo_u32 v6, v6, s63
	v_add3_u32 v1, v9, v1, v3
	s_delay_alu instid0(VALU_DEP_3) | instskip(NEXT) | instid1(VALU_DEP_2)
	v_add3_u32 v0, v10, v0, v11
	v_add3_u32 v1, v4, v1, v6
	s_cbranch_scc0 .LBB353_800
	s_branch .LBB353_803
.LBB353_801:
	s_mov_b32 s36, -1
                                        ; implicit-def: $vgpr0
                                        ; implicit-def: $vgpr1
	s_branch .LBB353_806
.LBB353_802:
	v_dual_mov_b32 v2, v5 :: v_dual_mov_b32 v1, 0
.LBB353_803:
	s_and_b32 s44, s44, 3
	s_delay_alu instid0(SALU_CYCLE_1)
	s_cmp_eq_u32 s44, 0
	s_cbranch_scc1 .LBB353_806
; %bb.804:
	s_lshl_b32 s2, s35, 3
	s_mul_i32 s20, s35, 12
	s_add_u32 s2, s2, s16
	s_addc_u32 s3, s17, 0
	s_add_u32 s2, s2, 0xc4
	s_addc_u32 s3, s3, 0
	;; [unrolled: 2-line block ×3, first 2 shown]
.LBB353_805:                            ; =>This Inner Loop Header: Depth=1
	s_clause 0x1
	s_load_b64 s[46:47], s[20:21], 0x4
	s_load_b32 s35, s[20:21], 0xc
	s_load_b64 s[48:49], s[2:3], 0x0
	s_add_u32 s20, s20, 12
	s_addc_u32 s21, s21, 0
	s_add_u32 s2, s2, 8
	s_addc_u32 s3, s3, 0
	s_add_i32 s44, s44, -1
	s_delay_alu instid0(SALU_CYCLE_1) | instskip(SKIP_2) | instid1(VALU_DEP_1)
	s_cmp_lg_u32 s44, 0
	s_waitcnt vmcnt(0) lgkmcnt(0)
	v_mul_hi_u32 v3, s47, v2
	v_add_nc_u32_e32 v3, v2, v3
	s_delay_alu instid0(VALU_DEP_1) | instskip(NEXT) | instid1(VALU_DEP_1)
	v_lshrrev_b32_e32 v8, s35, v3
	v_mul_lo_u32 v3, v8, s46
	s_delay_alu instid0(VALU_DEP_1) | instskip(NEXT) | instid1(VALU_DEP_1)
	v_sub_nc_u32_e32 v2, v2, v3
	v_mad_u64_u32 v[3:4], null, v2, s48, v[0:1]
	v_mad_u64_u32 v[6:7], null, v2, s49, v[1:2]
	v_mov_b32_e32 v2, v8
	s_delay_alu instid0(VALU_DEP_2)
	v_dual_mov_b32 v0, v3 :: v_dual_mov_b32 v1, v6
	s_cbranch_scc1 .LBB353_805
.LBB353_806:
	s_and_not1_b32 vcc_lo, exec_lo, s36
	s_cbranch_vccnz .LBB353_809
; %bb.807:
	v_mul_hi_u32 v0, s13, v5
	s_and_not1_b32 vcc_lo, exec_lo, s33
	s_delay_alu instid0(VALU_DEP_1) | instskip(NEXT) | instid1(VALU_DEP_1)
	v_add_nc_u32_e32 v0, v5, v0
	v_lshrrev_b32_e32 v2, s14, v0
	s_delay_alu instid0(VALU_DEP_1) | instskip(NEXT) | instid1(VALU_DEP_1)
	v_mul_lo_u32 v0, v2, s12
	v_sub_nc_u32_e32 v1, v5, v0
	s_delay_alu instid0(VALU_DEP_1)
	v_mul_lo_u32 v0, v1, s8
	v_mul_lo_u32 v1, v1, s9
	s_cbranch_vccnz .LBB353_809
; %bb.808:
	s_waitcnt vmcnt(0)
	v_mul_hi_u32 v3, s18, v2
	s_delay_alu instid0(VALU_DEP_1) | instskip(NEXT) | instid1(VALU_DEP_1)
	v_add_nc_u32_e32 v3, v2, v3
	v_lshrrev_b32_e32 v3, s19, v3
	s_delay_alu instid0(VALU_DEP_1) | instskip(NEXT) | instid1(VALU_DEP_1)
	v_mul_lo_u32 v3, v3, s15
	v_sub_nc_u32_e32 v5, v2, v3
	s_delay_alu instid0(VALU_DEP_1) | instskip(NEXT) | instid1(VALU_DEP_1)
	v_mad_u64_u32 v[2:3], null, v5, s10, v[0:1]
	v_mad_u64_u32 v[3:4], null, v5, s11, v[1:2]
	s_delay_alu instid0(VALU_DEP_1)
	v_dual_mov_b32 v0, v2 :: v_dual_mov_b32 v1, v3
.LBB353_809:
	v_and_b32_e64 v6, 0xff, s31
	s_delay_alu instid0(VALU_DEP_2) | instskip(NEXT) | instid1(VALU_DEP_1)
	v_add_co_u32 v1, s2, s6, v1
	v_add_co_ci_u32_e64 v2, null, s7, 0, s2
	s_delay_alu instid0(VALU_DEP_3)
	v_cmp_gt_i16_e32 vcc_lo, 11, v6
	s_mov_b32 s6, 0
	s_cbranch_vccnz .LBB353_816
; %bb.810:
	v_cmp_lt_i16_e32 vcc_lo, 25, v6
	s_mov_b32 s3, 0
	s_cbranch_vccz .LBB353_817
; %bb.811:
	v_cmp_lt_i16_e32 vcc_lo, 28, v6
	s_cbranch_vccz .LBB353_818
; %bb.812:
	v_cmp_lt_i16_e32 vcc_lo, 43, v6
	;; [unrolled: 3-line block ×3, first 2 shown]
	s_cbranch_vccz .LBB353_822
; %bb.814:
	v_cmp_eq_u16_e32 vcc_lo, 46, v6
	s_mov_b32 s7, 0
	s_cbranch_vccz .LBB353_825
; %bb.815:
	global_load_b32 v3, v[1:2], off
	s_mov_b32 s2, 0
	s_mov_b32 s6, -1
	s_waitcnt vmcnt(0)
	v_lshlrev_b32_e32 v3, 16, v3
	s_delay_alu instid0(VALU_DEP_1) | instskip(NEXT) | instid1(VALU_DEP_1)
	v_trunc_f32_e32 v3, v3
	v_mul_f32_e64 v4, 0x2f800000, |v3|
	s_delay_alu instid0(VALU_DEP_1) | instskip(NEXT) | instid1(VALU_DEP_1)
	v_floor_f32_e32 v4, v4
	v_fma_f32 v4, 0xcf800000, v4, |v3|
	v_ashrrev_i32_e32 v3, 31, v3
	s_delay_alu instid0(VALU_DEP_2) | instskip(NEXT) | instid1(VALU_DEP_1)
	v_cvt_u32_f32_e32 v4, v4
	v_xor_b32_e32 v4, v4, v3
	s_delay_alu instid0(VALU_DEP_1)
	v_sub_nc_u32_e32 v3, v4, v3
	s_branch .LBB353_827
.LBB353_816:
	s_mov_b32 s7, -1
	s_mov_b32 s3, 0
	s_mov_b32 s2, s22
                                        ; implicit-def: $vgpr3
	s_branch .LBB353_886
.LBB353_817:
	s_mov_b32 s7, -1
	s_mov_b32 s2, s22
                                        ; implicit-def: $vgpr3
	s_branch .LBB353_854
.LBB353_818:
	s_mov_b32 s7, -1
	s_mov_b32 s2, s22
                                        ; implicit-def: $vgpr3
	s_branch .LBB353_837
.LBB353_819:
	s_mov_b32 s7, -1
	s_mov_b32 s2, s22
                                        ; implicit-def: $vgpr3
	s_branch .LBB353_832
.LBB353_820:
	s_or_saveexec_b32 s44, s44
                                        ; implicit-def: $sgpr45
	s_delay_alu instid0(SALU_CYCLE_1)
	s_xor_b32 exec_lo, exec_lo, s44
	s_cbranch_execz .LBB353_743
.LBB353_821:
	v_add_f32_e32 v4, 0x46000000, v6
	s_and_not1_b32 s23, s23, exec_lo
	s_mov_b32 s45, 0
	s_delay_alu instid0(VALU_DEP_1) | instskip(NEXT) | instid1(VALU_DEP_1)
	v_and_b32_e32 v4, 0xff, v4
	v_cmp_ne_u32_e32 vcc_lo, 0, v4
	s_and_b32 s46, vcc_lo, exec_lo
	s_delay_alu instid0(SALU_CYCLE_1)
	s_or_b32 s23, s23, s46
	s_or_b32 exec_lo, exec_lo, s44
	v_mov_b32_e32 v7, s45
	s_and_saveexec_b32 s44, s23
	s_cbranch_execnz .LBB353_744
	s_branch .LBB353_745
.LBB353_822:
	s_mov_b32 s7, -1
	s_mov_b32 s2, s22
	s_branch .LBB353_826
.LBB353_823:
	s_or_saveexec_b32 s44, s44
                                        ; implicit-def: $sgpr45
	s_delay_alu instid0(SALU_CYCLE_1)
	s_xor_b32 exec_lo, exec_lo, s44
	s_cbranch_execz .LBB353_756
.LBB353_824:
	v_add_f32_e32 v4, 0x42800000, v6
	s_and_not1_b32 s23, s23, exec_lo
	s_mov_b32 s45, 0
	s_delay_alu instid0(VALU_DEP_1) | instskip(NEXT) | instid1(VALU_DEP_1)
	v_and_b32_e32 v4, 0xff, v4
	v_cmp_ne_u32_e32 vcc_lo, 0, v4
	s_and_b32 s46, vcc_lo, exec_lo
	s_delay_alu instid0(SALU_CYCLE_1)
	s_or_b32 s23, s23, s46
	s_or_b32 exec_lo, exec_lo, s44
	v_mov_b32_e32 v7, s45
	s_and_saveexec_b32 s44, s23
	s_cbranch_execnz .LBB353_757
	s_branch .LBB353_758
.LBB353_825:
	s_mov_b32 s2, -1
.LBB353_826:
                                        ; implicit-def: $vgpr3
.LBB353_827:
	s_and_b32 vcc_lo, exec_lo, s7
	s_cbranch_vccz .LBB353_831
; %bb.828:
	v_cmp_eq_u16_e32 vcc_lo, 44, v6
	s_cbranch_vccz .LBB353_830
; %bb.829:
	global_load_u8 v3, v[1:2], off
	s_mov_b32 s2, 0
	s_mov_b32 s6, -1
	s_waitcnt vmcnt(0)
	v_lshlrev_b32_e32 v4, 23, v3
	v_cmp_ne_u32_e32 vcc_lo, 0, v3
	s_delay_alu instid0(VALU_DEP_2) | instskip(NEXT) | instid1(VALU_DEP_1)
	v_trunc_f32_e32 v4, v4
	v_mul_f32_e64 v5, 0x2f800000, |v4|
	s_delay_alu instid0(VALU_DEP_1) | instskip(NEXT) | instid1(VALU_DEP_1)
	v_floor_f32_e32 v5, v5
	v_fma_f32 v5, 0xcf800000, v5, |v4|
	v_ashrrev_i32_e32 v4, 31, v4
	s_delay_alu instid0(VALU_DEP_2) | instskip(NEXT) | instid1(VALU_DEP_1)
	v_cvt_u32_f32_e32 v5, v5
	v_xor_b32_e32 v5, v5, v4
	s_delay_alu instid0(VALU_DEP_1) | instskip(NEXT) | instid1(VALU_DEP_1)
	v_sub_nc_u32_e32 v4, v5, v4
	v_cndmask_b32_e32 v3, 0, v4, vcc_lo
	s_branch .LBB353_831
.LBB353_830:
	s_mov_b32 s2, -1
                                        ; implicit-def: $vgpr3
.LBB353_831:
	s_mov_b32 s7, 0
.LBB353_832:
	s_delay_alu instid0(SALU_CYCLE_1)
	s_and_b32 vcc_lo, exec_lo, s7
	s_cbranch_vccz .LBB353_836
; %bb.833:
	v_cmp_eq_u16_e32 vcc_lo, 29, v6
	s_cbranch_vccz .LBB353_835
; %bb.834:
	global_load_b64 v[3:4], v[1:2], off
	s_mov_b32 s2, 0
	s_mov_b32 s6, -1
	s_branch .LBB353_836
.LBB353_835:
	s_mov_b32 s2, -1
                                        ; implicit-def: $vgpr3
.LBB353_836:
	s_mov_b32 s7, 0
.LBB353_837:
	s_delay_alu instid0(SALU_CYCLE_1)
	s_and_b32 vcc_lo, exec_lo, s7
	s_cbranch_vccz .LBB353_853
; %bb.838:
	v_cmp_gt_i16_e32 vcc_lo, 27, v6
	s_cbranch_vccnz .LBB353_841
; %bb.839:
	v_cmp_lt_i16_e32 vcc_lo, 27, v6
	s_cbranch_vccz .LBB353_842
; %bb.840:
	global_load_b32 v3, v[1:2], off
	s_mov_b32 s6, 0
	s_branch .LBB353_843
.LBB353_841:
	s_mov_b32 s6, -1
                                        ; implicit-def: $vgpr3
	s_branch .LBB353_846
.LBB353_842:
	s_mov_b32 s6, -1
                                        ; implicit-def: $vgpr3
.LBB353_843:
	s_delay_alu instid0(SALU_CYCLE_1)
	s_and_not1_b32 vcc_lo, exec_lo, s6
	s_cbranch_vccnz .LBB353_845
; %bb.844:
	global_load_u16 v3, v[1:2], off
.LBB353_845:
	s_mov_b32 s6, 0
.LBB353_846:
	s_delay_alu instid0(SALU_CYCLE_1)
	s_and_not1_b32 vcc_lo, exec_lo, s6
	s_cbranch_vccnz .LBB353_852
; %bb.847:
	global_load_u8 v4, v[1:2], off
	s_mov_b32 s7, 0
	s_mov_b32 s6, exec_lo
                                        ; implicit-def: $sgpr8
	s_waitcnt vmcnt(0)
	v_cmpx_lt_i16_e32 0x7f, v4
	s_xor_b32 s6, exec_lo, s6
	s_cbranch_execz .LBB353_864
; %bb.848:
	v_cmp_ne_u16_e32 vcc_lo, 0x80, v4
	s_mov_b32 s8, 0
	s_and_b32 s7, vcc_lo, exec_lo
	s_or_saveexec_b32 s6, s6
	v_mov_b32_e32 v3, s8
	s_xor_b32 exec_lo, exec_lo, s6
	s_cbranch_execnz .LBB353_865
.LBB353_849:
	s_or_b32 exec_lo, exec_lo, s6
	s_and_saveexec_b32 s6, s7
	s_cbranch_execz .LBB353_851
.LBB353_850:
	v_and_b32_e32 v3, 0xffff, v4
	v_lshlrev_b32_e32 v4, 24, v4
	s_delay_alu instid0(VALU_DEP_2) | instskip(NEXT) | instid1(VALU_DEP_2)
	v_and_b32_e32 v5, 7, v3
	v_and_b32_e32 v4, 0x80000000, v4
	s_delay_alu instid0(VALU_DEP_2) | instskip(NEXT) | instid1(VALU_DEP_1)
	v_clz_i32_u32_e32 v7, v5
	v_min_u32_e32 v7, 32, v7
	s_delay_alu instid0(VALU_DEP_1) | instskip(SKIP_1) | instid1(VALU_DEP_2)
	v_subrev_nc_u32_e32 v8, 28, v7
	v_sub_nc_u32_e32 v7, 29, v7
	v_lshlrev_b32_e32 v8, v8, v3
	v_bfe_u32 v3, v3, 3, 4
	s_delay_alu instid0(VALU_DEP_1) | instskip(NEXT) | instid1(VALU_DEP_3)
	v_cmp_eq_u32_e32 vcc_lo, 0, v3
	v_dual_cndmask_b32 v3, v3, v7 :: v_dual_and_b32 v8, 7, v8
	s_delay_alu instid0(VALU_DEP_1) | instskip(NEXT) | instid1(VALU_DEP_2)
	v_cndmask_b32_e32 v5, v5, v8, vcc_lo
	v_lshl_add_u32 v3, v3, 23, 0x3b800000
	s_delay_alu instid0(VALU_DEP_2) | instskip(NEXT) | instid1(VALU_DEP_1)
	v_lshlrev_b32_e32 v5, 20, v5
	v_or3_b32 v3, v4, v3, v5
	s_delay_alu instid0(VALU_DEP_1) | instskip(NEXT) | instid1(VALU_DEP_1)
	v_trunc_f32_e32 v3, v3
	v_mul_f32_e64 v4, 0x2f800000, |v3|
	s_delay_alu instid0(VALU_DEP_1) | instskip(NEXT) | instid1(VALU_DEP_1)
	v_floor_f32_e32 v4, v4
	v_fma_f32 v4, 0xcf800000, v4, |v3|
	v_ashrrev_i32_e32 v3, 31, v3
	s_delay_alu instid0(VALU_DEP_2) | instskip(NEXT) | instid1(VALU_DEP_1)
	v_cvt_u32_f32_e32 v4, v4
	v_xor_b32_e32 v4, v4, v3
	s_delay_alu instid0(VALU_DEP_1)
	v_sub_nc_u32_e32 v3, v4, v3
.LBB353_851:
	s_or_b32 exec_lo, exec_lo, s6
.LBB353_852:
	s_mov_b32 s6, -1
.LBB353_853:
	s_mov_b32 s7, 0
.LBB353_854:
	s_delay_alu instid0(SALU_CYCLE_1)
	s_and_b32 vcc_lo, exec_lo, s7
	s_cbranch_vccz .LBB353_885
; %bb.855:
	v_cmp_lt_i16_e32 vcc_lo, 22, v6
	s_cbranch_vccz .LBB353_863
; %bb.856:
	v_cmp_gt_i16_e32 vcc_lo, 24, v6
	s_cbranch_vccnz .LBB353_866
; %bb.857:
	v_cmp_lt_i16_e32 vcc_lo, 24, v6
	s_cbranch_vccz .LBB353_867
; %bb.858:
	global_load_u8 v4, v[1:2], off
	s_mov_b32 s6, 0
	s_mov_b32 s3, exec_lo
                                        ; implicit-def: $sgpr7
	s_waitcnt vmcnt(0)
	v_cmpx_lt_i16_e32 0x7f, v4
	s_xor_b32 s3, exec_lo, s3
	s_cbranch_execz .LBB353_879
; %bb.859:
	v_cmp_ne_u16_e32 vcc_lo, 0x80, v4
	s_mov_b32 s7, 0
	s_and_b32 s6, vcc_lo, exec_lo
	s_or_saveexec_b32 s3, s3
	v_mov_b32_e32 v3, s7
	s_xor_b32 exec_lo, exec_lo, s3
	s_cbranch_execnz .LBB353_880
.LBB353_860:
	s_or_b32 exec_lo, exec_lo, s3
	s_and_saveexec_b32 s3, s6
	s_cbranch_execz .LBB353_862
.LBB353_861:
	v_and_b32_e32 v3, 0xffff, v4
	v_lshlrev_b32_e32 v4, 24, v4
	s_delay_alu instid0(VALU_DEP_2) | instskip(NEXT) | instid1(VALU_DEP_2)
	v_and_b32_e32 v5, 3, v3
	v_and_b32_e32 v4, 0x80000000, v4
	s_delay_alu instid0(VALU_DEP_2) | instskip(NEXT) | instid1(VALU_DEP_1)
	v_clz_i32_u32_e32 v7, v5
	v_min_u32_e32 v7, 32, v7
	s_delay_alu instid0(VALU_DEP_1) | instskip(SKIP_1) | instid1(VALU_DEP_2)
	v_subrev_nc_u32_e32 v8, 29, v7
	v_sub_nc_u32_e32 v7, 30, v7
	v_lshlrev_b32_e32 v8, v8, v3
	v_bfe_u32 v3, v3, 2, 5
	s_delay_alu instid0(VALU_DEP_1) | instskip(NEXT) | instid1(VALU_DEP_3)
	v_cmp_eq_u32_e32 vcc_lo, 0, v3
	v_dual_cndmask_b32 v3, v3, v7 :: v_dual_and_b32 v8, 3, v8
	s_delay_alu instid0(VALU_DEP_1) | instskip(NEXT) | instid1(VALU_DEP_2)
	v_cndmask_b32_e32 v5, v5, v8, vcc_lo
	v_lshl_add_u32 v3, v3, 23, 0x37800000
	s_delay_alu instid0(VALU_DEP_2) | instskip(NEXT) | instid1(VALU_DEP_1)
	v_lshlrev_b32_e32 v5, 21, v5
	v_or3_b32 v3, v4, v3, v5
	s_delay_alu instid0(VALU_DEP_1) | instskip(NEXT) | instid1(VALU_DEP_1)
	v_trunc_f32_e32 v3, v3
	v_mul_f32_e64 v4, 0x2f800000, |v3|
	s_delay_alu instid0(VALU_DEP_1) | instskip(NEXT) | instid1(VALU_DEP_1)
	v_floor_f32_e32 v4, v4
	v_fma_f32 v4, 0xcf800000, v4, |v3|
	v_ashrrev_i32_e32 v3, 31, v3
	s_delay_alu instid0(VALU_DEP_2) | instskip(NEXT) | instid1(VALU_DEP_1)
	v_cvt_u32_f32_e32 v4, v4
	v_xor_b32_e32 v4, v4, v3
	s_delay_alu instid0(VALU_DEP_1)
	v_sub_nc_u32_e32 v3, v4, v3
.LBB353_862:
	s_or_b32 exec_lo, exec_lo, s3
	s_mov_b32 s3, 0
	s_branch .LBB353_868
.LBB353_863:
	s_mov_b32 s3, -1
                                        ; implicit-def: $vgpr3
	s_branch .LBB353_874
.LBB353_864:
	s_or_saveexec_b32 s6, s6
	v_mov_b32_e32 v3, s8
	s_xor_b32 exec_lo, exec_lo, s6
	s_cbranch_execz .LBB353_849
.LBB353_865:
	v_cmp_ne_u16_e32 vcc_lo, 0, v4
	v_mov_b32_e32 v3, 0
	s_and_not1_b32 s7, s7, exec_lo
	s_and_b32 s8, vcc_lo, exec_lo
	s_delay_alu instid0(SALU_CYCLE_1)
	s_or_b32 s7, s7, s8
	s_or_b32 exec_lo, exec_lo, s6
	s_and_saveexec_b32 s6, s7
	s_cbranch_execnz .LBB353_850
	s_branch .LBB353_851
.LBB353_866:
	s_mov_b32 s3, -1
                                        ; implicit-def: $vgpr3
	s_branch .LBB353_871
.LBB353_867:
	s_mov_b32 s3, -1
                                        ; implicit-def: $vgpr3
.LBB353_868:
	s_delay_alu instid0(SALU_CYCLE_1)
	s_and_b32 vcc_lo, exec_lo, s3
	s_cbranch_vccz .LBB353_870
; %bb.869:
	global_load_u8 v3, v[1:2], off
	s_waitcnt vmcnt(0)
	v_lshlrev_b32_e32 v3, 24, v3
	s_delay_alu instid0(VALU_DEP_1) | instskip(NEXT) | instid1(VALU_DEP_1)
	v_and_b32_e32 v4, 0x7f000000, v3
	v_clz_i32_u32_e32 v5, v4
	v_add_nc_u32_e32 v8, 0x1000000, v4
	v_cmp_ne_u32_e32 vcc_lo, 0, v4
	s_delay_alu instid0(VALU_DEP_3) | instskip(NEXT) | instid1(VALU_DEP_1)
	v_min_u32_e32 v5, 32, v5
	v_sub_nc_u32_e64 v5, v5, 4 clamp
	s_delay_alu instid0(VALU_DEP_1) | instskip(SKIP_1) | instid1(VALU_DEP_2)
	v_lshlrev_b32_e32 v7, v5, v4
	v_lshlrev_b32_e32 v5, 23, v5
	v_lshrrev_b32_e32 v7, 4, v7
	s_delay_alu instid0(VALU_DEP_1) | instskip(SKIP_1) | instid1(VALU_DEP_2)
	v_sub_nc_u32_e32 v5, v7, v5
	v_ashrrev_i32_e32 v7, 8, v8
	v_add_nc_u32_e32 v5, 0x3c000000, v5
	s_delay_alu instid0(VALU_DEP_1) | instskip(NEXT) | instid1(VALU_DEP_1)
	v_and_or_b32 v5, 0x7f800000, v7, v5
	v_cndmask_b32_e32 v4, 0, v5, vcc_lo
	s_delay_alu instid0(VALU_DEP_1) | instskip(NEXT) | instid1(VALU_DEP_1)
	v_and_or_b32 v3, 0x80000000, v3, v4
	v_trunc_f32_e32 v3, v3
	s_delay_alu instid0(VALU_DEP_1) | instskip(NEXT) | instid1(VALU_DEP_1)
	v_mul_f32_e64 v4, 0x2f800000, |v3|
	v_floor_f32_e32 v4, v4
	s_delay_alu instid0(VALU_DEP_1) | instskip(SKIP_1) | instid1(VALU_DEP_2)
	v_fma_f32 v4, 0xcf800000, v4, |v3|
	v_ashrrev_i32_e32 v3, 31, v3
	v_cvt_u32_f32_e32 v4, v4
	s_delay_alu instid0(VALU_DEP_1) | instskip(NEXT) | instid1(VALU_DEP_1)
	v_xor_b32_e32 v4, v4, v3
	v_sub_nc_u32_e32 v3, v4, v3
.LBB353_870:
	s_mov_b32 s3, 0
.LBB353_871:
	s_delay_alu instid0(SALU_CYCLE_1)
	s_and_not1_b32 vcc_lo, exec_lo, s3
	s_cbranch_vccnz .LBB353_873
; %bb.872:
	global_load_u8 v3, v[1:2], off
	s_waitcnt vmcnt(0)
	v_lshlrev_b32_e32 v4, 25, v3
	v_lshlrev_b16 v3, 8, v3
	s_delay_alu instid0(VALU_DEP_2) | instskip(NEXT) | instid1(VALU_DEP_2)
	v_lshrrev_b32_e32 v5, 4, v4
	v_and_or_b32 v7, 0x7f00, v3, 0.5
	v_bfe_i32 v3, v3, 0, 16
	s_delay_alu instid0(VALU_DEP_3) | instskip(NEXT) | instid1(VALU_DEP_3)
	v_or_b32_e32 v5, 0x70000000, v5
	v_add_f32_e32 v7, -0.5, v7
	s_delay_alu instid0(VALU_DEP_2) | instskip(SKIP_1) | instid1(VALU_DEP_2)
	v_mul_f32_e32 v5, 0x7800000, v5
	v_cmp_gt_u32_e32 vcc_lo, 0x8000000, v4
	v_cndmask_b32_e32 v4, v5, v7, vcc_lo
	s_delay_alu instid0(VALU_DEP_1) | instskip(NEXT) | instid1(VALU_DEP_1)
	v_and_or_b32 v3, 0x80000000, v3, v4
	v_trunc_f32_e32 v3, v3
	s_delay_alu instid0(VALU_DEP_1) | instskip(NEXT) | instid1(VALU_DEP_1)
	v_mul_f32_e64 v4, 0x2f800000, |v3|
	v_floor_f32_e32 v4, v4
	s_delay_alu instid0(VALU_DEP_1) | instskip(SKIP_1) | instid1(VALU_DEP_2)
	v_fma_f32 v4, 0xcf800000, v4, |v3|
	v_ashrrev_i32_e32 v3, 31, v3
	v_cvt_u32_f32_e32 v4, v4
	s_delay_alu instid0(VALU_DEP_1) | instskip(NEXT) | instid1(VALU_DEP_1)
	v_xor_b32_e32 v4, v4, v3
	v_sub_nc_u32_e32 v3, v4, v3
.LBB353_873:
	s_mov_b32 s3, 0
	s_mov_b32 s6, -1
.LBB353_874:
	s_and_not1_b32 vcc_lo, exec_lo, s3
	s_mov_b32 s3, 0
	s_cbranch_vccnz .LBB353_885
; %bb.875:
	v_cmp_lt_i16_e32 vcc_lo, 14, v6
	s_cbranch_vccz .LBB353_878
; %bb.876:
	v_cmp_eq_u16_e32 vcc_lo, 15, v6
	s_cbranch_vccz .LBB353_881
; %bb.877:
	global_load_u16 v3, v[1:2], off
	s_mov_b32 s2, 0
	s_mov_b32 s6, -1
	s_waitcnt vmcnt(0)
	v_lshlrev_b32_e32 v3, 16, v3
	s_delay_alu instid0(VALU_DEP_1) | instskip(NEXT) | instid1(VALU_DEP_1)
	v_trunc_f32_e32 v3, v3
	v_mul_f32_e64 v4, 0x2f800000, |v3|
	s_delay_alu instid0(VALU_DEP_1) | instskip(NEXT) | instid1(VALU_DEP_1)
	v_floor_f32_e32 v4, v4
	v_fma_f32 v4, 0xcf800000, v4, |v3|
	v_ashrrev_i32_e32 v3, 31, v3
	s_delay_alu instid0(VALU_DEP_2) | instskip(NEXT) | instid1(VALU_DEP_1)
	v_cvt_u32_f32_e32 v4, v4
	v_xor_b32_e32 v4, v4, v3
	s_delay_alu instid0(VALU_DEP_1)
	v_sub_nc_u32_e32 v3, v4, v3
	s_branch .LBB353_883
.LBB353_878:
	s_mov_b32 s3, -1
	s_branch .LBB353_882
.LBB353_879:
	s_or_saveexec_b32 s3, s3
	v_mov_b32_e32 v3, s7
	s_xor_b32 exec_lo, exec_lo, s3
	s_cbranch_execz .LBB353_860
.LBB353_880:
	v_cmp_ne_u16_e32 vcc_lo, 0, v4
	v_mov_b32_e32 v3, 0
	s_and_not1_b32 s6, s6, exec_lo
	s_and_b32 s7, vcc_lo, exec_lo
	s_delay_alu instid0(SALU_CYCLE_1)
	s_or_b32 s6, s6, s7
	s_or_b32 exec_lo, exec_lo, s3
	s_and_saveexec_b32 s3, s6
	s_cbranch_execnz .LBB353_861
	s_branch .LBB353_862
.LBB353_881:
	s_mov_b32 s2, -1
.LBB353_882:
                                        ; implicit-def: $vgpr3
.LBB353_883:
	s_and_b32 vcc_lo, exec_lo, s3
	s_mov_b32 s3, 0
	s_cbranch_vccz .LBB353_885
; %bb.884:
	v_cmp_ne_u16_e32 vcc_lo, 11, v6
	s_and_not1_b32 s2, s2, exec_lo
	s_mov_b32 s3, -1
                                        ; implicit-def: $vgpr3
	s_and_b32 s7, vcc_lo, exec_lo
	s_delay_alu instid0(SALU_CYCLE_1)
	s_or_b32 s2, s2, s7
.LBB353_885:
	s_mov_b32 s7, 0
.LBB353_886:
	s_and_b32 s44, s6, exec_lo
	s_and_b32 s45, s7, exec_lo
	s_and_not1_b32 s6, s22, exec_lo
	s_and_b32 s7, s2, exec_lo
	s_and_b32 s2, s3, exec_lo
	s_or_b32 s46, s6, s7
.LBB353_887:
	s_or_b32 exec_lo, exec_lo, s34
	s_delay_alu instid0(SALU_CYCLE_1)
	s_and_not1_b32 s6, s22, exec_lo
	s_and_b32 s7, s46, exec_lo
	s_and_b32 s44, s44, exec_lo
	;; [unrolled: 1-line block ×4, first 2 shown]
	s_or_b32 s22, s6, s7
.LBB353_888:
	s_or_b32 exec_lo, exec_lo, s43
	s_delay_alu instid0(SALU_CYCLE_1)
	s_and_not1_b32 s6, s41, exec_lo
	s_and_b32 s7, s23, exec_lo
	s_and_b32 s43, s44, exec_lo
	s_or_b32 s41, s6, s7
	s_and_not1_b32 s6, s40, exec_lo
	s_and_b32 s7, s22, exec_lo
	s_and_b32 s23, s3, exec_lo
	;; [unrolled: 1-line block ×3, first 2 shown]
	s_or_b32 s40, s6, s7
.LBB353_889:
	s_or_b32 exec_lo, exec_lo, s42
	s_delay_alu instid0(SALU_CYCLE_1)
	s_and_not1_b32 s2, s37, exec_lo
	s_and_b32 s6, s41, exec_lo
	s_and_b32 s7, s40, exec_lo
	s_or_b32 s37, s2, s6
	s_and_not1_b32 s6, s38, exec_lo
	s_and_b32 s2, s43, exec_lo
	s_and_b32 s22, s23, exec_lo
	;; [unrolled: 1-line block ×3, first 2 shown]
	s_or_b32 s38, s6, s7
.LBB353_890:
	s_or_b32 exec_lo, exec_lo, s39
	s_mov_b32 s3, 0
	s_and_saveexec_b32 s6, s38
	s_cbranch_execnz .LBB353_902
; %bb.891:
	s_or_b32 exec_lo, exec_lo, s6
	s_and_saveexec_b32 s6, s40
	s_delay_alu instid0(SALU_CYCLE_1)
	s_xor_b32 s6, exec_lo, s6
	s_cbranch_execz .LBB353_893
.LBB353_892:
	global_load_u8 v3, v[1:2], off
	s_or_b32 s2, s2, exec_lo
	s_waitcnt vmcnt(0)
	v_cmp_ne_u16_e32 vcc_lo, 0, v3
	v_cndmask_b32_e64 v3, 0, 1, vcc_lo
.LBB353_893:
	s_or_b32 exec_lo, exec_lo, s6
	s_and_saveexec_b32 s6, s22
	s_cbranch_execz .LBB353_941
; %bb.894:
	v_cmp_gt_i16_e32 vcc_lo, 5, v6
	s_cbranch_vccnz .LBB353_899
; %bb.895:
	v_cmp_gt_i16_e32 vcc_lo, 8, v6
	s_cbranch_vccnz .LBB353_900
	;; [unrolled: 3-line block ×3, first 2 shown]
; %bb.897:
	v_cmp_lt_i16_e32 vcc_lo, 9, v6
	s_cbranch_vccz .LBB353_904
; %bb.898:
	global_load_b64 v[3:4], v[1:2], off
	s_mov_b32 s7, 0
	s_waitcnt vmcnt(0)
	v_trunc_f64_e32 v[3:4], v[3:4]
	s_delay_alu instid0(VALU_DEP_1) | instskip(NEXT) | instid1(VALU_DEP_1)
	v_ldexp_f64 v[7:8], v[3:4], 0xffffffe0
	v_floor_f64_e32 v[7:8], v[7:8]
	s_delay_alu instid0(VALU_DEP_1) | instskip(NEXT) | instid1(VALU_DEP_1)
	v_fma_f64 v[3:4], 0xc1f00000, v[7:8], v[3:4]
	v_cvt_u32_f64_e32 v3, v[3:4]
	s_branch .LBB353_905
.LBB353_899:
                                        ; implicit-def: $vgpr3
	s_branch .LBB353_922
.LBB353_900:
                                        ; implicit-def: $vgpr3
	s_branch .LBB353_911
.LBB353_901:
	s_mov_b32 s7, -1
                                        ; implicit-def: $vgpr3
	s_branch .LBB353_908
.LBB353_902:
	s_cbranch_execnz .LBB353_1172
; %bb.903:
	s_mov_b32 s3, exec_lo
	s_and_not1_b32 s40, s40, exec_lo
                                        ; implicit-def: $vgpr3
	s_or_b32 exec_lo, exec_lo, s6
	s_and_saveexec_b32 s6, s40
	s_delay_alu instid0(SALU_CYCLE_1)
	s_xor_b32 s6, exec_lo, s6
	s_cbranch_execnz .LBB353_892
	s_branch .LBB353_893
.LBB353_904:
	s_mov_b32 s7, -1
                                        ; implicit-def: $vgpr3
.LBB353_905:
	s_delay_alu instid0(SALU_CYCLE_1)
	s_and_not1_b32 vcc_lo, exec_lo, s7
	s_cbranch_vccnz .LBB353_907
; %bb.906:
	global_load_b32 v3, v[1:2], off
	s_waitcnt vmcnt(0)
	v_trunc_f32_e32 v3, v3
	s_delay_alu instid0(VALU_DEP_1) | instskip(NEXT) | instid1(VALU_DEP_1)
	v_mul_f32_e64 v4, 0x2f800000, |v3|
	v_floor_f32_e32 v4, v4
	s_delay_alu instid0(VALU_DEP_1) | instskip(SKIP_1) | instid1(VALU_DEP_2)
	v_fma_f32 v4, 0xcf800000, v4, |v3|
	v_ashrrev_i32_e32 v3, 31, v3
	v_cvt_u32_f32_e32 v4, v4
	s_delay_alu instid0(VALU_DEP_1) | instskip(NEXT) | instid1(VALU_DEP_1)
	v_xor_b32_e32 v4, v4, v3
	v_sub_nc_u32_e32 v3, v4, v3
.LBB353_907:
	s_mov_b32 s7, 0
.LBB353_908:
	s_delay_alu instid0(SALU_CYCLE_1)
	s_and_not1_b32 vcc_lo, exec_lo, s7
	s_cbranch_vccnz .LBB353_910
; %bb.909:
	global_load_b32 v3, v[1:2], off
	s_waitcnt vmcnt(0)
	v_cvt_f32_f16_e32 v3, v3
	s_delay_alu instid0(VALU_DEP_1)
	v_cvt_i32_f32_e32 v3, v3
.LBB353_910:
	s_cbranch_execnz .LBB353_921
.LBB353_911:
	v_cmp_gt_i16_e32 vcc_lo, 6, v6
	s_cbranch_vccnz .LBB353_914
; %bb.912:
	v_cmp_lt_i16_e32 vcc_lo, 6, v6
	s_cbranch_vccz .LBB353_915
; %bb.913:
	global_load_b64 v[3:4], v[1:2], off
	s_mov_b32 s7, 0
	s_waitcnt vmcnt(0)
	v_trunc_f64_e32 v[3:4], v[3:4]
	s_delay_alu instid0(VALU_DEP_1) | instskip(NEXT) | instid1(VALU_DEP_1)
	v_ldexp_f64 v[7:8], v[3:4], 0xffffffe0
	v_floor_f64_e32 v[7:8], v[7:8]
	s_delay_alu instid0(VALU_DEP_1) | instskip(NEXT) | instid1(VALU_DEP_1)
	v_fma_f64 v[3:4], 0xc1f00000, v[7:8], v[3:4]
	v_cvt_u32_f64_e32 v3, v[3:4]
	s_branch .LBB353_916
.LBB353_914:
	s_mov_b32 s7, -1
                                        ; implicit-def: $vgpr3
	s_branch .LBB353_919
.LBB353_915:
	s_mov_b32 s7, -1
                                        ; implicit-def: $vgpr3
.LBB353_916:
	s_delay_alu instid0(SALU_CYCLE_1)
	s_and_not1_b32 vcc_lo, exec_lo, s7
	s_cbranch_vccnz .LBB353_918
; %bb.917:
	global_load_b32 v3, v[1:2], off
	s_waitcnt vmcnt(0)
	v_trunc_f32_e32 v3, v3
	s_delay_alu instid0(VALU_DEP_1) | instskip(NEXT) | instid1(VALU_DEP_1)
	v_mul_f32_e64 v4, 0x2f800000, |v3|
	v_floor_f32_e32 v4, v4
	s_delay_alu instid0(VALU_DEP_1) | instskip(SKIP_1) | instid1(VALU_DEP_2)
	v_fma_f32 v4, 0xcf800000, v4, |v3|
	v_ashrrev_i32_e32 v3, 31, v3
	v_cvt_u32_f32_e32 v4, v4
	s_delay_alu instid0(VALU_DEP_1) | instskip(NEXT) | instid1(VALU_DEP_1)
	v_xor_b32_e32 v4, v4, v3
	v_sub_nc_u32_e32 v3, v4, v3
.LBB353_918:
	s_mov_b32 s7, 0
.LBB353_919:
	s_delay_alu instid0(SALU_CYCLE_1)
	s_and_not1_b32 vcc_lo, exec_lo, s7
	s_cbranch_vccnz .LBB353_921
; %bb.920:
	global_load_u16 v3, v[1:2], off
	s_waitcnt vmcnt(0)
	v_cvt_f32_f16_e32 v3, v3
	s_delay_alu instid0(VALU_DEP_1)
	v_cvt_i32_f32_e32 v3, v3
.LBB353_921:
	s_cbranch_execnz .LBB353_940
.LBB353_922:
	v_cmp_gt_i16_e32 vcc_lo, 2, v6
	s_cbranch_vccnz .LBB353_926
; %bb.923:
	v_cmp_gt_i16_e32 vcc_lo, 3, v6
	s_cbranch_vccnz .LBB353_927
; %bb.924:
	v_cmp_lt_i16_e32 vcc_lo, 3, v6
	s_cbranch_vccz .LBB353_928
; %bb.925:
	global_load_b64 v[3:4], v[1:2], off
	s_mov_b32 s7, 0
	s_branch .LBB353_929
.LBB353_926:
                                        ; implicit-def: $vgpr3
	s_branch .LBB353_935
.LBB353_927:
	s_mov_b32 s7, -1
                                        ; implicit-def: $vgpr3
	s_branch .LBB353_932
.LBB353_928:
	s_mov_b32 s7, -1
                                        ; implicit-def: $vgpr3
.LBB353_929:
	s_delay_alu instid0(SALU_CYCLE_1)
	s_and_not1_b32 vcc_lo, exec_lo, s7
	s_cbranch_vccnz .LBB353_931
; %bb.930:
	global_load_b32 v3, v[1:2], off
.LBB353_931:
	s_mov_b32 s7, 0
.LBB353_932:
	s_delay_alu instid0(SALU_CYCLE_1)
	s_and_not1_b32 vcc_lo, exec_lo, s7
	s_cbranch_vccnz .LBB353_934
; %bb.933:
	global_load_u16 v3, v[1:2], off
.LBB353_934:
	s_cbranch_execnz .LBB353_940
.LBB353_935:
	v_cmp_lt_i16_e32 vcc_lo, 0, v6
	s_mov_b32 s7, 0
	s_cbranch_vccz .LBB353_937
; %bb.936:
	global_load_u8 v3, v[1:2], off
	s_branch .LBB353_938
.LBB353_937:
	s_mov_b32 s7, -1
                                        ; implicit-def: $vgpr3
.LBB353_938:
	s_delay_alu instid0(SALU_CYCLE_1)
	s_and_not1_b32 vcc_lo, exec_lo, s7
	s_cbranch_vccnz .LBB353_940
; %bb.939:
	global_load_u8 v3, v[1:2], off
.LBB353_940:
	s_or_b32 s2, s2, exec_lo
.LBB353_941:
	s_or_b32 exec_lo, exec_lo, s6
	s_mov_b32 s8, 0
	s_mov_b32 s7, 0
                                        ; implicit-def: $vgpr5
                                        ; implicit-def: $vgpr1_vgpr2
                                        ; implicit-def: $vgpr4
	s_and_saveexec_b32 s6, s2
	s_cbranch_execz .LBB353_1018
; %bb.942:
	v_and_b32_e64 v1, 0xff, s29
	s_waitcnt vmcnt(0)
	s_delay_alu instid0(VALU_DEP_2) | instskip(SKIP_1) | instid1(VALU_DEP_2)
	v_and_b32_e32 v2, 0xff, v3
	v_and_b32_e64 v5, 0xff, s30
	v_max_u16 v4, v2, v1
	s_delay_alu instid0(VALU_DEP_2) | instskip(SKIP_1) | instid1(VALU_DEP_1)
	v_cmp_gt_i16_e32 vcc_lo, 11, v5
	v_add_co_u32 v1, s2, s4, v0
	v_add_co_ci_u32_e64 v2, null, s5, 0, s2
	s_mov_b32 s4, -1
	s_mov_b32 s2, s37
	s_cbranch_vccnz .LBB353_1017
; %bb.943:
	v_cmp_lt_i16_e32 vcc_lo, 25, v5
	s_mov_b32 s2, s37
	s_cbranch_vccz .LBB353_976
; %bb.944:
	v_cmp_lt_i16_e32 vcc_lo, 28, v5
	s_mov_b32 s2, s37
	s_cbranch_vccz .LBB353_960
; %bb.945:
	v_cmp_lt_i16_e32 vcc_lo, 43, v5
	s_mov_b32 s2, s37
	s_cbranch_vccz .LBB353_956
; %bb.946:
	v_cmp_lt_i16_e32 vcc_lo, 45, v5
	s_mov_b32 s2, s37
	s_cbranch_vccz .LBB353_950
; %bb.947:
	v_cmp_eq_u16_e32 vcc_lo, 46, v5
	s_mov_b32 s2, -1
	s_cbranch_vccz .LBB353_949
; %bb.948:
	v_cvt_f32_ubyte0_e32 v0, v4
	s_mov_b32 s2, 0
	s_delay_alu instid0(VALU_DEP_1) | instskip(NEXT) | instid1(VALU_DEP_1)
	v_bfe_u32 v3, v0, 16, 1
	v_add3_u32 v0, v0, v3, 0x7fff
	s_delay_alu instid0(VALU_DEP_1)
	v_lshrrev_b32_e32 v0, 16, v0
	global_store_b32 v[1:2], v0, off
.LBB353_949:
	s_mov_b32 s4, 0
.LBB353_950:
	s_delay_alu instid0(SALU_CYCLE_1)
	s_and_b32 vcc_lo, exec_lo, s4
	s_cbranch_vccz .LBB353_955
; %bb.951:
	v_cmp_eq_u16_e32 vcc_lo, 44, v5
	s_mov_b32 s2, -1
	s_cbranch_vccz .LBB353_955
; %bb.952:
	v_cvt_f32_ubyte0_e32 v6, v4
	v_mov_b32_e32 v3, 0xff
	s_mov_b32 s4, exec_lo
	s_delay_alu instid0(VALU_DEP_2) | instskip(NEXT) | instid1(VALU_DEP_1)
	v_lshrrev_b32_e32 v0, 23, v6
	v_cmpx_ne_u32_e32 0xff, v0
; %bb.953:
	v_and_b32_e32 v3, 0x400000, v6
	v_and_or_b32 v6, 0x3fffff, v6, v0
	s_delay_alu instid0(VALU_DEP_2) | instskip(NEXT) | instid1(VALU_DEP_2)
	v_cmp_ne_u32_e32 vcc_lo, 0, v3
	v_cmp_ne_u32_e64 s2, 0, v6
	s_delay_alu instid0(VALU_DEP_1) | instskip(NEXT) | instid1(SALU_CYCLE_1)
	s_and_b32 s2, vcc_lo, s2
	v_cndmask_b32_e64 v3, 0, 1, s2
	s_delay_alu instid0(VALU_DEP_1)
	v_add_nc_u32_e32 v3, v0, v3
; %bb.954:
	s_or_b32 exec_lo, exec_lo, s4
	s_mov_b32 s2, 0
	global_store_b8 v[1:2], v3, off
.LBB353_955:
	s_mov_b32 s4, 0
.LBB353_956:
	s_delay_alu instid0(SALU_CYCLE_1)
	s_and_b32 vcc_lo, exec_lo, s4
	s_cbranch_vccz .LBB353_959
; %bb.957:
	v_cmp_eq_u16_e32 vcc_lo, 29, v5
	s_mov_b32 s2, -1
	s_cbranch_vccz .LBB353_959
; %bb.958:
	s_mov_b32 s2, 0
	s_delay_alu instid0(SALU_CYCLE_1)
	v_dual_mov_b32 v7, s2 :: v_dual_and_b32 v6, 0xffff, v4
	global_store_b64 v[1:2], v[6:7], off
.LBB353_959:
	s_mov_b32 s4, 0
.LBB353_960:
	s_delay_alu instid0(SALU_CYCLE_1)
	s_and_b32 vcc_lo, exec_lo, s4
	s_cbranch_vccz .LBB353_975
; %bb.961:
	v_cmp_gt_i16_e32 vcc_lo, 27, v5
	s_mov_b32 s4, -1
	s_cbranch_vccnz .LBB353_967
; %bb.962:
	v_cmp_lt_i16_e32 vcc_lo, 27, v5
	s_cbranch_vccz .LBB353_964
; %bb.963:
	v_and_b32_e32 v0, 0xffff, v4
	s_mov_b32 s4, 0
	global_store_b32 v[1:2], v0, off
.LBB353_964:
	s_and_not1_b32 vcc_lo, exec_lo, s4
	s_cbranch_vccnz .LBB353_966
; %bb.965:
	global_store_b16 v[1:2], v4, off
.LBB353_966:
	s_mov_b32 s4, 0
.LBB353_967:
	s_delay_alu instid0(SALU_CYCLE_1)
	s_and_not1_b32 vcc_lo, exec_lo, s4
	s_cbranch_vccnz .LBB353_975
; %bb.968:
	v_cvt_f32_ubyte0_e32 v3, v4
	v_mov_b32_e32 v6, 0x80
	s_mov_b32 s4, exec_lo
	s_delay_alu instid0(VALU_DEP_2)
	v_cmpx_gt_u32_e32 0x43800000, v3
	s_cbranch_execz .LBB353_974
; %bb.969:
	s_mov_b32 s5, 0
	s_mov_b32 s7, exec_lo
                                        ; implicit-def: $vgpr0
	v_cmpx_lt_u32_e32 0x3bffffff, v3
	s_xor_b32 s7, exec_lo, s7
	s_cbranch_execz .LBB353_1258
; %bb.970:
	v_bfe_u32 v0, v3, 20, 1
	s_mov_b32 s5, exec_lo
	s_delay_alu instid0(VALU_DEP_1) | instskip(NEXT) | instid1(VALU_DEP_1)
	v_add3_u32 v0, v3, v0, 0x487ffff
                                        ; implicit-def: $vgpr3
	v_lshrrev_b32_e32 v0, 20, v0
	s_or_saveexec_b32 s7, s7
                                        ; implicit-def: $sgpr8
	s_delay_alu instid0(SALU_CYCLE_1)
	s_xor_b32 exec_lo, exec_lo, s7
	s_cbranch_execnz .LBB353_1259
.LBB353_971:
	s_or_b32 exec_lo, exec_lo, s7
	v_mov_b32_e32 v6, s8
	s_and_saveexec_b32 s7, s5
.LBB353_972:
	v_mov_b32_e32 v6, v0
.LBB353_973:
	s_or_b32 exec_lo, exec_lo, s7
.LBB353_974:
	s_delay_alu instid0(SALU_CYCLE_1)
	s_or_b32 exec_lo, exec_lo, s4
	global_store_b8 v[1:2], v6, off
.LBB353_975:
	s_mov_b32 s4, 0
.LBB353_976:
	s_delay_alu instid0(SALU_CYCLE_1)
	s_and_b32 vcc_lo, exec_lo, s4
	s_mov_b32 s4, 0
	s_cbranch_vccz .LBB353_1016
; %bb.977:
	v_cmp_lt_i16_e32 vcc_lo, 22, v5
	s_mov_b32 s5, -1
	s_cbranch_vccz .LBB353_1009
; %bb.978:
	v_cmp_gt_i16_e32 vcc_lo, 24, v5
	s_cbranch_vccnz .LBB353_998
; %bb.979:
	v_cmp_lt_i16_e32 vcc_lo, 24, v5
	s_cbranch_vccz .LBB353_987
; %bb.980:
	v_cvt_f32_ubyte0_e32 v3, v4
	v_mov_b32_e32 v6, 0x80
	s_mov_b32 s5, exec_lo
	s_delay_alu instid0(VALU_DEP_2)
	v_cmpx_gt_u32_e32 0x47800000, v3
	s_cbranch_execz .LBB353_986
; %bb.981:
	s_mov_b32 s7, 0
	s_mov_b32 s8, exec_lo
                                        ; implicit-def: $vgpr0
	v_cmpx_lt_u32_e32 0x37ffffff, v3
	s_xor_b32 s8, exec_lo, s8
	s_cbranch_execz .LBB353_1302
; %bb.982:
	v_bfe_u32 v0, v3, 21, 1
	s_mov_b32 s7, exec_lo
	s_delay_alu instid0(VALU_DEP_1) | instskip(NEXT) | instid1(VALU_DEP_1)
	v_add3_u32 v0, v3, v0, 0x88fffff
                                        ; implicit-def: $vgpr3
	v_lshrrev_b32_e32 v0, 21, v0
	s_or_saveexec_b32 s8, s8
                                        ; implicit-def: $sgpr9
	s_delay_alu instid0(SALU_CYCLE_1)
	s_xor_b32 exec_lo, exec_lo, s8
	s_cbranch_execnz .LBB353_1303
.LBB353_983:
	s_or_b32 exec_lo, exec_lo, s8
	v_mov_b32_e32 v6, s9
	s_and_saveexec_b32 s8, s7
.LBB353_984:
	v_mov_b32_e32 v6, v0
.LBB353_985:
	s_or_b32 exec_lo, exec_lo, s8
.LBB353_986:
	s_delay_alu instid0(SALU_CYCLE_1)
	s_or_b32 exec_lo, exec_lo, s5
	s_mov_b32 s5, 0
	global_store_b8 v[1:2], v6, off
.LBB353_987:
	s_and_b32 vcc_lo, exec_lo, s5
	s_cbranch_vccz .LBB353_997
; %bb.988:
	v_cvt_f32_ubyte0_e32 v3, v4
	s_mov_b32 s5, exec_lo
                                        ; implicit-def: $vgpr0
	s_delay_alu instid0(VALU_DEP_1)
	v_cmpx_gt_u32_e32 0x43f00000, v3
	s_xor_b32 s5, exec_lo, s5
	s_cbranch_execz .LBB353_994
; %bb.989:
	s_mov_b32 s7, exec_lo
                                        ; implicit-def: $vgpr0
	v_cmpx_lt_u32_e32 0x3c7fffff, v3
	s_xor_b32 s7, exec_lo, s7
; %bb.990:
	v_bfe_u32 v0, v3, 20, 1
	s_delay_alu instid0(VALU_DEP_1) | instskip(NEXT) | instid1(VALU_DEP_1)
	v_add3_u32 v0, v3, v0, 0x407ffff
	v_and_b32_e32 v3, 0xff00000, v0
	v_lshrrev_b32_e32 v0, 20, v0
	s_delay_alu instid0(VALU_DEP_2) | instskip(NEXT) | instid1(VALU_DEP_2)
	v_cmp_ne_u32_e32 vcc_lo, 0x7f00000, v3
                                        ; implicit-def: $vgpr3
	v_cndmask_b32_e32 v0, 0x7e, v0, vcc_lo
; %bb.991:
	s_and_not1_saveexec_b32 s7, s7
; %bb.992:
	v_add_f32_e32 v0, 0x46800000, v3
; %bb.993:
	s_or_b32 exec_lo, exec_lo, s7
                                        ; implicit-def: $vgpr3
.LBB353_994:
	s_and_not1_saveexec_b32 s5, s5
; %bb.995:
	v_mov_b32_e32 v0, 0x7f
	v_cmp_lt_u32_e32 vcc_lo, 0x7f800000, v3
	s_delay_alu instid0(VALU_DEP_2)
	v_cndmask_b32_e32 v0, 0x7e, v0, vcc_lo
; %bb.996:
	s_or_b32 exec_lo, exec_lo, s5
	global_store_b8 v[1:2], v0, off
.LBB353_997:
	s_mov_b32 s5, 0
.LBB353_998:
	s_delay_alu instid0(SALU_CYCLE_1)
	s_and_not1_b32 vcc_lo, exec_lo, s5
	s_cbranch_vccnz .LBB353_1008
; %bb.999:
	v_cvt_f32_ubyte0_e32 v3, v4
	s_mov_b32 s5, exec_lo
                                        ; implicit-def: $vgpr0
	s_delay_alu instid0(VALU_DEP_1)
	v_cmpx_gt_u32_e32 0x47800000, v3
	s_xor_b32 s5, exec_lo, s5
	s_cbranch_execz .LBB353_1005
; %bb.1000:
	s_mov_b32 s7, exec_lo
                                        ; implicit-def: $vgpr0
	v_cmpx_lt_u32_e32 0x387fffff, v3
	s_xor_b32 s7, exec_lo, s7
; %bb.1001:
	v_bfe_u32 v0, v3, 21, 1
	s_delay_alu instid0(VALU_DEP_1) | instskip(NEXT) | instid1(VALU_DEP_1)
	v_add3_u32 v0, v3, v0, 0x80fffff
                                        ; implicit-def: $vgpr3
	v_lshrrev_b32_e32 v0, 21, v0
; %bb.1002:
	s_and_not1_saveexec_b32 s7, s7
; %bb.1003:
	v_add_f32_e32 v0, 0x43000000, v3
; %bb.1004:
	s_or_b32 exec_lo, exec_lo, s7
                                        ; implicit-def: $vgpr3
.LBB353_1005:
	s_and_not1_saveexec_b32 s5, s5
; %bb.1006:
	v_mov_b32_e32 v0, 0x7f
	v_cmp_lt_u32_e32 vcc_lo, 0x7f800000, v3
	s_delay_alu instid0(VALU_DEP_2)
	v_cndmask_b32_e32 v0, 0x7c, v0, vcc_lo
; %bb.1007:
	s_or_b32 exec_lo, exec_lo, s5
	global_store_b8 v[1:2], v0, off
.LBB353_1008:
	s_mov_b32 s5, 0
.LBB353_1009:
	s_delay_alu instid0(SALU_CYCLE_1)
	s_and_not1_b32 vcc_lo, exec_lo, s5
	s_mov_b32 s8, 0
	s_cbranch_vccnz .LBB353_1017
; %bb.1010:
	v_cmp_lt_i16_e32 vcc_lo, 14, v5
	s_mov_b32 s5, -1
	s_cbranch_vccz .LBB353_1014
; %bb.1011:
	v_cmp_eq_u16_e32 vcc_lo, 15, v5
	s_mov_b32 s2, -1
	s_cbranch_vccz .LBB353_1013
; %bb.1012:
	v_cvt_f32_ubyte0_e32 v0, v4
	s_mov_b32 s2, 0
	s_delay_alu instid0(VALU_DEP_1) | instskip(NEXT) | instid1(VALU_DEP_1)
	v_bfe_u32 v3, v0, 16, 1
	v_add3_u32 v0, v0, v3, 0x7fff
	global_store_d16_hi_b16 v[1:2], v0, off
.LBB353_1013:
	s_mov_b32 s5, 0
.LBB353_1014:
	s_delay_alu instid0(SALU_CYCLE_1)
	s_and_b32 vcc_lo, exec_lo, s5
	s_cbranch_vccz .LBB353_1017
; %bb.1015:
	v_cmp_ne_u16_e32 vcc_lo, 11, v5
	s_and_not1_b32 s2, s2, exec_lo
	s_mov_b32 s8, -1
	s_and_b32 s5, vcc_lo, exec_lo
	s_delay_alu instid0(SALU_CYCLE_1)
	s_or_b32 s2, s2, s5
	s_branch .LBB353_1017
.LBB353_1016:
	s_mov_b32 s8, 0
.LBB353_1017:
	s_and_b32 s7, s4, exec_lo
	s_and_not1_b32 s4, s37, exec_lo
	s_and_b32 s2, s2, exec_lo
	s_and_b32 s8, s8, exec_lo
	s_or_b32 s37, s4, s2
.LBB353_1018:
	s_or_b32 exec_lo, exec_lo, s6
	s_and_saveexec_b32 s2, s37
	s_cbranch_execnz .LBB353_1132
; %bb.1019:
	s_or_b32 exec_lo, exec_lo, s2
	s_and_saveexec_b32 s2, s8
	s_delay_alu instid0(SALU_CYCLE_1)
	s_xor_b32 s2, exec_lo, s2
	s_cbranch_execz .LBB353_1021
.LBB353_1020:
	s_waitcnt vmcnt(0)
	v_and_b32_e32 v0, 0xff, v4
	s_delay_alu instid0(VALU_DEP_1)
	v_cmp_ne_u16_e32 vcc_lo, 0, v0
	v_cndmask_b32_e64 v0, 0, 1, vcc_lo
	global_store_b8 v[1:2], v0, off
.LBB353_1021:
	s_or_b32 exec_lo, exec_lo, s2
	s_and_saveexec_b32 s2, s7
	s_delay_alu instid0(SALU_CYCLE_1)
	s_xor_b32 s2, exec_lo, s2
	s_cbranch_execz .LBB353_1059
; %bb.1022:
	v_cmp_gt_i16_e32 vcc_lo, 5, v5
	s_mov_b32 s4, -1
	s_cbranch_vccnz .LBB353_1043
; %bb.1023:
	v_cmp_gt_i16_e32 vcc_lo, 8, v5
	s_cbranch_vccnz .LBB353_1033
; %bb.1024:
	v_cmp_gt_i16_e32 vcc_lo, 9, v5
	s_cbranch_vccnz .LBB353_1030
; %bb.1025:
	v_cmp_lt_i16_e32 vcc_lo, 9, v5
	s_cbranch_vccz .LBB353_1027
; %bb.1026:
	v_mov_b32_e32 v8, 0
	s_waitcnt vmcnt(0)
	v_and_b32_e32 v0, 0xff, v4
	s_mov_b32 s4, 0
	s_delay_alu instid0(VALU_DEP_1) | instskip(NEXT) | instid1(VALU_DEP_1)
	v_dual_mov_b32 v9, v8 :: v_dual_and_b32 v0, 0xffff, v0
	v_cvt_f64_u32_e32 v[6:7], v0
	global_store_b128 v[1:2], v[6:9], off
.LBB353_1027:
	s_and_not1_b32 vcc_lo, exec_lo, s4
	s_cbranch_vccnz .LBB353_1029
; %bb.1028:
	s_waitcnt vmcnt(0)
	v_cvt_f32_ubyte0_e32 v6, v4
	v_mov_b32_e32 v7, 0
	global_store_b64 v[1:2], v[6:7], off
.LBB353_1029:
	s_mov_b32 s4, 0
.LBB353_1030:
	s_delay_alu instid0(SALU_CYCLE_1)
	s_and_not1_b32 vcc_lo, exec_lo, s4
	s_cbranch_vccnz .LBB353_1032
; %bb.1031:
	s_waitcnt vmcnt(0)
	v_and_b32_e32 v0, 0xff, v4
	s_delay_alu instid0(VALU_DEP_1) | instskip(NEXT) | instid1(VALU_DEP_1)
	v_cvt_f16_u16_e32 v0, v0
	v_and_b32_e32 v0, 0xffff, v0
	global_store_b32 v[1:2], v0, off
.LBB353_1032:
	s_mov_b32 s4, 0
.LBB353_1033:
	s_delay_alu instid0(SALU_CYCLE_1)
	s_and_not1_b32 vcc_lo, exec_lo, s4
	s_cbranch_vccnz .LBB353_1042
; %bb.1034:
	v_cmp_gt_i16_e32 vcc_lo, 6, v5
	s_mov_b32 s4, -1
	s_cbranch_vccnz .LBB353_1040
; %bb.1035:
	v_cmp_lt_i16_e32 vcc_lo, 6, v5
	s_cbranch_vccz .LBB353_1037
; %bb.1036:
	s_waitcnt vmcnt(0)
	v_and_b32_e32 v0, 0xff, v4
	s_mov_b32 s4, 0
	s_delay_alu instid0(VALU_DEP_1) | instskip(NEXT) | instid1(VALU_DEP_1)
	v_and_b32_e32 v0, 0xffff, v0
	v_cvt_f64_u32_e32 v[6:7], v0
	global_store_b64 v[1:2], v[6:7], off
.LBB353_1037:
	s_and_not1_b32 vcc_lo, exec_lo, s4
	s_cbranch_vccnz .LBB353_1039
; %bb.1038:
	s_waitcnt vmcnt(0)
	v_cvt_f32_ubyte0_e32 v0, v4
	global_store_b32 v[1:2], v0, off
.LBB353_1039:
	s_mov_b32 s4, 0
.LBB353_1040:
	s_delay_alu instid0(SALU_CYCLE_1)
	s_and_not1_b32 vcc_lo, exec_lo, s4
	s_cbranch_vccnz .LBB353_1042
; %bb.1041:
	s_waitcnt vmcnt(0)
	v_and_b32_e32 v0, 0xff, v4
	s_delay_alu instid0(VALU_DEP_1)
	v_cvt_f16_u16_e32 v0, v0
	global_store_b16 v[1:2], v0, off
.LBB353_1042:
	s_mov_b32 s4, 0
.LBB353_1043:
	s_delay_alu instid0(SALU_CYCLE_1)
	s_and_not1_b32 vcc_lo, exec_lo, s4
	s_cbranch_vccnz .LBB353_1059
; %bb.1044:
	v_cmp_gt_i16_e32 vcc_lo, 2, v5
	s_mov_b32 s4, -1
	s_cbranch_vccnz .LBB353_1054
; %bb.1045:
	v_cmp_gt_i16_e32 vcc_lo, 3, v5
	s_cbranch_vccnz .LBB353_1051
; %bb.1046:
	v_cmp_lt_i16_e32 vcc_lo, 3, v5
	s_cbranch_vccz .LBB353_1048
; %bb.1047:
	s_waitcnt vmcnt(0)
	v_dual_mov_b32 v7, 0 :: v_dual_and_b32 v6, 0xff, v4
	s_mov_b32 s4, 0
	global_store_b64 v[1:2], v[6:7], off
.LBB353_1048:
	s_and_not1_b32 vcc_lo, exec_lo, s4
	s_cbranch_vccnz .LBB353_1050
; %bb.1049:
	s_waitcnt vmcnt(0)
	v_and_b32_e32 v0, 0xff, v4
	global_store_b32 v[1:2], v0, off
.LBB353_1050:
	s_mov_b32 s4, 0
.LBB353_1051:
	s_delay_alu instid0(SALU_CYCLE_1)
	s_and_not1_b32 vcc_lo, exec_lo, s4
	s_cbranch_vccnz .LBB353_1053
; %bb.1052:
	s_waitcnt vmcnt(0)
	v_and_b32_e32 v0, 0xff, v4
	global_store_b16 v[1:2], v0, off
.LBB353_1053:
	s_mov_b32 s4, 0
.LBB353_1054:
	s_delay_alu instid0(SALU_CYCLE_1)
	s_and_not1_b32 vcc_lo, exec_lo, s4
	s_cbranch_vccnz .LBB353_1059
; %bb.1055:
	v_cmp_lt_i16_e32 vcc_lo, 0, v5
	s_mov_b32 s4, -1
	s_cbranch_vccz .LBB353_1057
; %bb.1056:
	s_mov_b32 s4, 0
	s_waitcnt vmcnt(0)
	global_store_b8 v[1:2], v4, off
.LBB353_1057:
	s_and_not1_b32 vcc_lo, exec_lo, s4
	s_cbranch_vccnz .LBB353_1059
; %bb.1058:
	s_waitcnt vmcnt(0)
	global_store_b8 v[1:2], v4, off
.LBB353_1059:
	s_or_b32 exec_lo, exec_lo, s2
	s_delay_alu instid0(SALU_CYCLE_1)
	s_and_b32 s8, s3, exec_lo
                                        ; implicit-def: $vgpr9
                                        ; implicit-def: $vgpr5
.LBB353_1060:
	s_or_saveexec_b32 s9, s28
	s_mov_b32 s3, 0
                                        ; implicit-def: $vgpr0_vgpr1
                                        ; implicit-def: $vgpr8
                                        ; implicit-def: $vgpr2
	s_xor_b32 exec_lo, exec_lo, s9
	s_cbranch_execz .LBB353_2059
; %bb.1061:
	v_cndmask_b32_e64 v0, 0, 1, s27
	s_and_not1_b32 vcc_lo, exec_lo, s27
	s_cbranch_vccnz .LBB353_1067
; %bb.1062:
	s_waitcnt vmcnt(0)
	v_dual_mov_b32 v3, 0 :: v_dual_mov_b32 v4, 0
	s_cmp_lg_u32 s24, 0
	s_mov_b32 s6, 0
	s_cbranch_scc0 .LBB353_1071
; %bb.1063:
	s_min_u32 s7, s25, 15
	v_mov_b32_e32 v3, 0
	s_add_i32 s7, s7, 1
	s_cmp_eq_u32 s25, 2
	s_mov_b32 s10, 0
	s_cbranch_scc1 .LBB353_1068
; %bb.1064:
	v_dual_mov_b32 v4, 0 :: v_dual_mov_b32 v3, 0
	v_mov_b32_e32 v1, v5
	s_add_u32 s2, s16, 0xc4
	s_addc_u32 s3, s17, 0
	s_and_b32 s10, s7, 28
	s_mov_b32 s11, 0
	s_mov_b64 s[4:5], s[16:17]
.LBB353_1065:                           ; =>This Inner Loop Header: Depth=1
	s_clause 0x1
	s_load_b256 s[36:43], s[4:5], 0x4
	s_load_b128 s[12:15], s[4:5], 0x24
	s_load_b256 s[44:51], s[2:3], 0x0
	s_add_u32 s4, s4, 48
	s_addc_u32 s5, s5, 0
	s_add_i32 s11, s11, 4
	s_add_u32 s2, s2, 32
	s_addc_u32 s3, s3, 0
	s_cmp_lg_u32 s10, s11
	s_waitcnt lgkmcnt(0)
	v_mul_hi_u32 v2, s37, v1
	s_delay_alu instid0(VALU_DEP_1) | instskip(NEXT) | instid1(VALU_DEP_1)
	v_add_nc_u32_e32 v2, v1, v2
	v_lshrrev_b32_e32 v2, s38, v2
	s_delay_alu instid0(VALU_DEP_1) | instskip(SKIP_1) | instid1(VALU_DEP_2)
	v_mul_hi_u32 v6, s40, v2
	v_mul_lo_u32 v8, v2, s36
	v_add_nc_u32_e32 v6, v2, v6
	s_delay_alu instid0(VALU_DEP_2) | instskip(NEXT) | instid1(VALU_DEP_2)
	v_sub_nc_u32_e32 v1, v1, v8
	v_lshrrev_b32_e32 v6, s41, v6
	s_delay_alu instid0(VALU_DEP_2) | instskip(SKIP_1) | instid1(VALU_DEP_3)
	v_mul_lo_u32 v8, v1, s44
	v_mul_lo_u32 v11, v1, s45
	v_mul_hi_u32 v7, s43, v6
	s_delay_alu instid0(VALU_DEP_1) | instskip(NEXT) | instid1(VALU_DEP_1)
	v_add_nc_u32_e32 v7, v6, v7
	v_lshrrev_b32_e32 v7, s12, v7
	s_delay_alu instid0(VALU_DEP_1) | instskip(SKIP_1) | instid1(VALU_DEP_2)
	v_mul_hi_u32 v10, s14, v7
	v_mul_lo_u32 v12, v7, s42
	v_add_nc_u32_e32 v1, v7, v10
	v_mul_lo_u32 v10, v6, s39
	s_delay_alu instid0(VALU_DEP_3) | instskip(NEXT) | instid1(VALU_DEP_3)
	v_sub_nc_u32_e32 v6, v6, v12
	v_lshrrev_b32_e32 v1, s15, v1
	s_delay_alu instid0(VALU_DEP_2) | instskip(SKIP_2) | instid1(VALU_DEP_4)
	v_mul_lo_u32 v12, v6, s48
	v_mul_lo_u32 v6, v6, s49
	v_sub_nc_u32_e32 v2, v2, v10
	v_mul_lo_u32 v13, v1, s13
	s_delay_alu instid0(VALU_DEP_2) | instskip(SKIP_1) | instid1(VALU_DEP_3)
	v_mul_lo_u32 v10, v2, s46
	v_mul_lo_u32 v2, v2, s47
	v_sub_nc_u32_e32 v7, v7, v13
	s_delay_alu instid0(VALU_DEP_3) | instskip(NEXT) | instid1(VALU_DEP_2)
	v_add3_u32 v3, v8, v3, v10
	v_mul_lo_u32 v13, v7, s50
	v_mul_lo_u32 v7, v7, s51
	v_add3_u32 v2, v11, v4, v2
	s_delay_alu instid0(VALU_DEP_3) | instskip(NEXT) | instid1(VALU_DEP_2)
	v_add3_u32 v3, v12, v3, v13
	v_add3_u32 v4, v6, v2, v7
	s_cbranch_scc1 .LBB353_1065
; %bb.1066:
	s_and_b32 s7, s7, 3
	s_delay_alu instid0(SALU_CYCLE_1)
	s_cmp_eq_u32 s7, 0
	s_cbranch_scc0 .LBB353_1069
	s_branch .LBB353_1071
.LBB353_1067:
	s_mov_b32 s6, -1
                                        ; implicit-def: $vgpr3
                                        ; implicit-def: $vgpr4
	s_branch .LBB353_1071
.LBB353_1068:
	v_dual_mov_b32 v1, v5 :: v_dual_mov_b32 v4, 0
	s_and_b32 s7, s7, 3
	s_delay_alu instid0(SALU_CYCLE_1)
	s_cmp_eq_u32 s7, 0
	s_cbranch_scc1 .LBB353_1071
.LBB353_1069:
	s_lshl_b32 s2, s10, 3
	s_mul_i32 s4, s10, 12
	s_add_u32 s2, s2, s16
	s_addc_u32 s3, 0, s17
	s_add_u32 s2, s2, 0xc4
	s_addc_u32 s3, s3, 0
	;; [unrolled: 2-line block ×3, first 2 shown]
	.p2align	6
.LBB353_1070:                           ; =>This Inner Loop Header: Depth=1
	s_clause 0x1
	s_load_b64 s[10:11], s[4:5], 0x4
	s_load_b32 s14, s[4:5], 0xc
	s_load_b64 s[12:13], s[2:3], 0x0
	s_add_u32 s4, s4, 12
	s_addc_u32 s5, s5, 0
	s_add_u32 s2, s2, 8
	s_addc_u32 s3, s3, 0
	s_add_i32 s7, s7, -1
	s_delay_alu instid0(SALU_CYCLE_1) | instskip(SKIP_2) | instid1(VALU_DEP_1)
	s_cmp_lg_u32 s7, 0
	s_waitcnt lgkmcnt(0)
	v_mul_hi_u32 v2, s11, v1
	v_add_nc_u32_e32 v2, v1, v2
	s_delay_alu instid0(VALU_DEP_1) | instskip(NEXT) | instid1(VALU_DEP_1)
	v_lshrrev_b32_e32 v8, s14, v2
	v_mul_lo_u32 v2, v8, s10
	s_delay_alu instid0(VALU_DEP_1) | instskip(NEXT) | instid1(VALU_DEP_1)
	v_sub_nc_u32_e32 v1, v1, v2
	v_mad_u64_u32 v[6:7], null, v1, s12, v[3:4]
	v_mad_u64_u32 v[2:3], null, v1, s13, v[4:5]
	v_mov_b32_e32 v1, v8
	s_delay_alu instid0(VALU_DEP_3) | instskip(NEXT) | instid1(VALU_DEP_3)
	v_mov_b32_e32 v3, v6
	v_mov_b32_e32 v4, v2
	s_cbranch_scc1 .LBB353_1070
.LBB353_1071:
	s_and_not1_b32 vcc_lo, exec_lo, s6
	s_cbranch_vccnz .LBB353_1074
; %bb.1072:
	s_clause 0x1
	s_load_b128 s[4:7], s[16:17], 0x4
	s_load_b64 s[2:3], s[16:17], 0xc4
	s_cmp_lt_u32 s24, 2
	s_waitcnt lgkmcnt(0)
	v_mul_hi_u32 v1, s5, v5
	s_delay_alu instid0(VALU_DEP_1) | instskip(NEXT) | instid1(VALU_DEP_1)
	v_add_nc_u32_e32 v1, v5, v1
	v_lshrrev_b32_e32 v1, s6, v1
	s_delay_alu instid0(VALU_DEP_1) | instskip(NEXT) | instid1(VALU_DEP_1)
	v_mul_lo_u32 v2, v1, s4
	v_sub_nc_u32_e32 v2, v5, v2
	s_waitcnt vmcnt(0)
	s_delay_alu instid0(VALU_DEP_1)
	v_mul_lo_u32 v3, v2, s2
	v_mul_lo_u32 v4, v2, s3
	s_cbranch_scc1 .LBB353_1074
; %bb.1073:
	s_clause 0x1
	s_load_b128 s[4:7], s[16:17], 0x10
	s_load_b64 s[2:3], s[16:17], 0xcc
	s_waitcnt lgkmcnt(0)
	v_mul_hi_u32 v2, s5, v1
	s_delay_alu instid0(VALU_DEP_1) | instskip(NEXT) | instid1(VALU_DEP_1)
	v_add_nc_u32_e32 v2, v1, v2
	v_lshrrev_b32_e32 v2, s6, v2
	s_delay_alu instid0(VALU_DEP_1) | instskip(NEXT) | instid1(VALU_DEP_1)
	v_mul_lo_u32 v2, v2, s4
	v_sub_nc_u32_e32 v6, v1, v2
	s_delay_alu instid0(VALU_DEP_1) | instskip(SKIP_1) | instid1(VALU_DEP_1)
	v_mad_u64_u32 v[1:2], null, v6, s2, v[3:4]
	v_mad_u64_u32 v[2:3], null, v6, s3, v[4:5]
	v_dual_mov_b32 v3, v1 :: v_dual_mov_b32 v4, v2
.LBB353_1074:
	v_cmp_ne_u32_e32 vcc_lo, 1, v0
	v_add_nc_u32_e32 v1, 0x80, v5
	s_cbranch_vccnz .LBB353_1080
; %bb.1075:
	v_mov_b32_e32 v2, 0
	v_mov_b32_e32 v6, 0
	s_cmp_lg_u32 s24, 0
	s_mov_b32 s6, 0
	s_cbranch_scc0 .LBB353_1084
; %bb.1076:
	s_min_u32 s7, s25, 15
	v_mov_b32_e32 v2, 0
	s_add_i32 s7, s7, 1
	s_cmp_eq_u32 s25, 2
	s_mov_b32 s10, 0
	s_cbranch_scc1 .LBB353_1081
; %bb.1077:
	v_dual_mov_b32 v6, 0 :: v_dual_mov_b32 v7, v1
	v_mov_b32_e32 v2, 0
	s_add_u32 s2, s16, 0xc4
	s_addc_u32 s3, s17, 0
	s_and_b32 s10, s7, 28
	s_mov_b32 s11, 0
	s_mov_b64 s[4:5], s[16:17]
.LBB353_1078:                           ; =>This Inner Loop Header: Depth=1
	s_clause 0x1
	s_load_b256 s[36:43], s[4:5], 0x4
	s_load_b128 s[12:15], s[4:5], 0x24
	s_load_b256 s[44:51], s[2:3], 0x0
	s_add_u32 s4, s4, 48
	s_addc_u32 s5, s5, 0
	s_add_i32 s11, s11, 4
	s_add_u32 s2, s2, 32
	s_addc_u32 s3, s3, 0
	s_cmp_lg_u32 s10, s11
	s_waitcnt lgkmcnt(0)
	v_mul_hi_u32 v8, s37, v7
	s_delay_alu instid0(VALU_DEP_1) | instskip(NEXT) | instid1(VALU_DEP_1)
	v_add_nc_u32_e32 v8, v7, v8
	v_lshrrev_b32_e32 v8, s38, v8
	s_delay_alu instid0(VALU_DEP_1) | instskip(SKIP_1) | instid1(VALU_DEP_2)
	v_mul_hi_u32 v10, s40, v8
	v_mul_lo_u32 v12, v8, s36
	v_add_nc_u32_e32 v10, v8, v10
	s_delay_alu instid0(VALU_DEP_2) | instskip(NEXT) | instid1(VALU_DEP_2)
	v_sub_nc_u32_e32 v7, v7, v12
	v_lshrrev_b32_e32 v10, s41, v10
	s_delay_alu instid0(VALU_DEP_2) | instskip(SKIP_1) | instid1(VALU_DEP_3)
	v_mul_lo_u32 v12, v7, s44
	v_mul_lo_u32 v14, v7, s45
	v_mul_hi_u32 v11, s43, v10
	s_delay_alu instid0(VALU_DEP_1) | instskip(NEXT) | instid1(VALU_DEP_1)
	v_add_nc_u32_e32 v11, v10, v11
	v_lshrrev_b32_e32 v11, s12, v11
	s_delay_alu instid0(VALU_DEP_1) | instskip(SKIP_1) | instid1(VALU_DEP_2)
	v_mul_hi_u32 v13, s14, v11
	v_mul_lo_u32 v15, v11, s42
	v_add_nc_u32_e32 v7, v11, v13
	v_mul_lo_u32 v13, v10, s39
	s_delay_alu instid0(VALU_DEP_3) | instskip(NEXT) | instid1(VALU_DEP_3)
	v_sub_nc_u32_e32 v10, v10, v15
	v_lshrrev_b32_e32 v7, s15, v7
	s_delay_alu instid0(VALU_DEP_2) | instskip(SKIP_2) | instid1(VALU_DEP_4)
	v_mul_lo_u32 v15, v10, s48
	v_mul_lo_u32 v10, v10, s49
	v_sub_nc_u32_e32 v8, v8, v13
	v_mul_lo_u32 v16, v7, s13
	s_delay_alu instid0(VALU_DEP_2) | instskip(SKIP_1) | instid1(VALU_DEP_3)
	v_mul_lo_u32 v13, v8, s46
	v_mul_lo_u32 v8, v8, s47
	v_sub_nc_u32_e32 v11, v11, v16
	s_delay_alu instid0(VALU_DEP_3) | instskip(NEXT) | instid1(VALU_DEP_2)
	v_add3_u32 v2, v12, v2, v13
	v_mul_lo_u32 v16, v11, s50
	v_mul_lo_u32 v11, v11, s51
	v_add3_u32 v6, v14, v6, v8
	s_delay_alu instid0(VALU_DEP_3) | instskip(NEXT) | instid1(VALU_DEP_2)
	v_add3_u32 v2, v15, v2, v16
	v_add3_u32 v6, v10, v6, v11
	s_cbranch_scc1 .LBB353_1078
; %bb.1079:
	s_and_b32 s7, s7, 3
	s_delay_alu instid0(SALU_CYCLE_1)
	s_cmp_eq_u32 s7, 0
	s_cbranch_scc0 .LBB353_1082
	s_branch .LBB353_1084
.LBB353_1080:
	s_mov_b32 s6, -1
                                        ; implicit-def: $vgpr2
                                        ; implicit-def: $vgpr6
	s_branch .LBB353_1084
.LBB353_1081:
	v_dual_mov_b32 v7, v1 :: v_dual_mov_b32 v6, 0
	s_and_b32 s7, s7, 3
	s_delay_alu instid0(SALU_CYCLE_1)
	s_cmp_eq_u32 s7, 0
	s_cbranch_scc1 .LBB353_1084
.LBB353_1082:
	s_lshl_b32 s2, s10, 3
	s_mul_i32 s4, s10, 12
	s_add_u32 s2, s2, s16
	s_addc_u32 s3, 0, s17
	s_add_u32 s2, s2, 0xc4
	s_addc_u32 s3, s3, 0
	;; [unrolled: 2-line block ×3, first 2 shown]
	.p2align	6
.LBB353_1083:                           ; =>This Inner Loop Header: Depth=1
	s_clause 0x1
	s_load_b64 s[10:11], s[4:5], 0x4
	s_load_b32 s14, s[4:5], 0xc
	s_load_b64 s[12:13], s[2:3], 0x0
	s_add_u32 s4, s4, 12
	s_addc_u32 s5, s5, 0
	s_add_u32 s2, s2, 8
	s_addc_u32 s3, s3, 0
	s_add_i32 s7, s7, -1
	s_delay_alu instid0(SALU_CYCLE_1) | instskip(SKIP_2) | instid1(VALU_DEP_1)
	s_cmp_lg_u32 s7, 0
	s_waitcnt lgkmcnt(0)
	v_mul_hi_u32 v8, s11, v7
	v_add_nc_u32_e32 v8, v7, v8
	s_delay_alu instid0(VALU_DEP_1) | instskip(NEXT) | instid1(VALU_DEP_1)
	v_lshrrev_b32_e32 v8, s14, v8
	v_mul_lo_u32 v10, v8, s10
	s_delay_alu instid0(VALU_DEP_1) | instskip(SKIP_1) | instid1(VALU_DEP_1)
	v_sub_nc_u32_e32 v7, v7, v10
	s_waitcnt vmcnt(0)
	v_mad_u64_u32 v[10:11], null, v7, s12, v[2:3]
	v_mad_u64_u32 v[11:12], null, v7, s13, v[6:7]
	s_delay_alu instid0(VALU_DEP_2) | instskip(NEXT) | instid1(VALU_DEP_2)
	v_dual_mov_b32 v7, v8 :: v_dual_mov_b32 v2, v10
	v_mov_b32_e32 v6, v11
	s_cbranch_scc1 .LBB353_1083
.LBB353_1084:
	s_and_not1_b32 vcc_lo, exec_lo, s6
	s_cbranch_vccnz .LBB353_1087
; %bb.1085:
	s_clause 0x1
	s_load_b128 s[4:7], s[16:17], 0x4
	s_load_b64 s[2:3], s[16:17], 0xc4
	s_cmp_lt_u32 s24, 2
	s_waitcnt lgkmcnt(0)
	v_mul_hi_u32 v2, s5, v1
	s_delay_alu instid0(VALU_DEP_1) | instskip(NEXT) | instid1(VALU_DEP_1)
	v_add_nc_u32_e32 v2, v1, v2
	v_lshrrev_b32_e32 v7, s6, v2
	s_delay_alu instid0(VALU_DEP_1) | instskip(NEXT) | instid1(VALU_DEP_1)
	v_mul_lo_u32 v2, v7, s4
	v_sub_nc_u32_e32 v1, v1, v2
	s_delay_alu instid0(VALU_DEP_1)
	v_mul_lo_u32 v2, v1, s2
	v_mul_lo_u32 v6, v1, s3
	s_cbranch_scc1 .LBB353_1087
; %bb.1086:
	s_clause 0x1
	s_load_b128 s[4:7], s[16:17], 0x10
	s_load_b64 s[2:3], s[16:17], 0xcc
	s_waitcnt lgkmcnt(0)
	v_mul_hi_u32 v1, s5, v7
	s_delay_alu instid0(VALU_DEP_1) | instskip(NEXT) | instid1(VALU_DEP_1)
	v_add_nc_u32_e32 v1, v7, v1
	v_lshrrev_b32_e32 v1, s6, v1
	s_delay_alu instid0(VALU_DEP_1) | instskip(NEXT) | instid1(VALU_DEP_1)
	v_mul_lo_u32 v1, v1, s4
	v_sub_nc_u32_e32 v10, v7, v1
	s_waitcnt vmcnt(0)
	s_delay_alu instid0(VALU_DEP_1) | instskip(NEXT) | instid1(VALU_DEP_1)
	v_mad_u64_u32 v[7:8], null, v10, s2, v[2:3]
	v_mad_u64_u32 v[1:2], null, v10, s3, v[6:7]
	v_mov_b32_e32 v2, v7
	s_delay_alu instid0(VALU_DEP_2)
	v_mov_b32_e32 v6, v1
.LBB353_1087:
	v_cmp_ne_u32_e32 vcc_lo, 1, v0
	v_add_nc_u32_e32 v5, 0x100, v5
	s_cbranch_vccnz .LBB353_1093
; %bb.1088:
	v_mov_b32_e32 v1, 0
	v_mov_b32_e32 v7, 0
	s_cmp_lg_u32 s24, 0
	s_mov_b32 s6, 0
	s_cbranch_scc0 .LBB353_1097
; %bb.1089:
	s_min_u32 s7, s25, 15
	v_mov_b32_e32 v1, 0
	s_add_i32 s7, s7, 1
	s_cmp_eq_u32 s25, 2
	s_mov_b32 s10, 0
	s_cbranch_scc1 .LBB353_1094
; %bb.1090:
	v_dual_mov_b32 v7, 0 :: v_dual_mov_b32 v8, v5
	v_mov_b32_e32 v1, 0
	s_add_u32 s2, s16, 0xc4
	s_addc_u32 s3, s17, 0
	s_and_b32 s10, s7, 28
	s_mov_b32 s11, 0
	s_mov_b64 s[4:5], s[16:17]
.LBB353_1091:                           ; =>This Inner Loop Header: Depth=1
	s_clause 0x1
	s_load_b256 s[36:43], s[4:5], 0x4
	s_load_b128 s[12:15], s[4:5], 0x24
	s_load_b256 s[44:51], s[2:3], 0x0
	s_add_u32 s4, s4, 48
	s_addc_u32 s5, s5, 0
	s_add_i32 s11, s11, 4
	s_add_u32 s2, s2, 32
	s_addc_u32 s3, s3, 0
	s_cmp_lg_u32 s10, s11
	s_waitcnt lgkmcnt(0)
	v_mul_hi_u32 v10, s37, v8
	s_delay_alu instid0(VALU_DEP_1) | instskip(NEXT) | instid1(VALU_DEP_1)
	v_add_nc_u32_e32 v10, v8, v10
	v_lshrrev_b32_e32 v10, s38, v10
	s_delay_alu instid0(VALU_DEP_1) | instskip(SKIP_1) | instid1(VALU_DEP_2)
	v_mul_hi_u32 v11, s40, v10
	v_mul_lo_u32 v13, v10, s36
	v_add_nc_u32_e32 v11, v10, v11
	s_delay_alu instid0(VALU_DEP_2) | instskip(NEXT) | instid1(VALU_DEP_2)
	v_sub_nc_u32_e32 v8, v8, v13
	v_lshrrev_b32_e32 v11, s41, v11
	s_delay_alu instid0(VALU_DEP_2) | instskip(SKIP_1) | instid1(VALU_DEP_3)
	v_mul_lo_u32 v13, v8, s44
	v_mul_lo_u32 v15, v8, s45
	v_mul_hi_u32 v12, s43, v11
	s_delay_alu instid0(VALU_DEP_1) | instskip(NEXT) | instid1(VALU_DEP_1)
	v_add_nc_u32_e32 v12, v11, v12
	v_lshrrev_b32_e32 v12, s12, v12
	s_delay_alu instid0(VALU_DEP_1) | instskip(SKIP_1) | instid1(VALU_DEP_2)
	v_mul_hi_u32 v14, s14, v12
	v_mul_lo_u32 v16, v12, s42
	v_add_nc_u32_e32 v8, v12, v14
	v_mul_lo_u32 v14, v11, s39
	s_delay_alu instid0(VALU_DEP_3) | instskip(NEXT) | instid1(VALU_DEP_3)
	v_sub_nc_u32_e32 v11, v11, v16
	v_lshrrev_b32_e32 v8, s15, v8
	s_delay_alu instid0(VALU_DEP_2) | instskip(SKIP_2) | instid1(VALU_DEP_4)
	v_mul_lo_u32 v16, v11, s48
	v_mul_lo_u32 v11, v11, s49
	v_sub_nc_u32_e32 v10, v10, v14
	v_mul_lo_u32 v17, v8, s13
	s_delay_alu instid0(VALU_DEP_2) | instskip(SKIP_1) | instid1(VALU_DEP_3)
	v_mul_lo_u32 v14, v10, s46
	v_mul_lo_u32 v10, v10, s47
	v_sub_nc_u32_e32 v12, v12, v17
	s_delay_alu instid0(VALU_DEP_3) | instskip(NEXT) | instid1(VALU_DEP_2)
	v_add3_u32 v1, v13, v1, v14
	v_mul_lo_u32 v17, v12, s50
	v_mul_lo_u32 v12, v12, s51
	v_add3_u32 v7, v15, v7, v10
	s_delay_alu instid0(VALU_DEP_3) | instskip(NEXT) | instid1(VALU_DEP_2)
	v_add3_u32 v1, v16, v1, v17
	v_add3_u32 v7, v11, v7, v12
	s_cbranch_scc1 .LBB353_1091
; %bb.1092:
	s_and_b32 s7, s7, 3
	s_delay_alu instid0(SALU_CYCLE_1)
	s_cmp_eq_u32 s7, 0
	s_cbranch_scc0 .LBB353_1095
	s_branch .LBB353_1097
.LBB353_1093:
	s_mov_b32 s6, -1
                                        ; implicit-def: $vgpr1
                                        ; implicit-def: $vgpr7
	s_branch .LBB353_1097
.LBB353_1094:
	v_dual_mov_b32 v8, v5 :: v_dual_mov_b32 v7, 0
	s_and_b32 s7, s7, 3
	s_delay_alu instid0(SALU_CYCLE_1)
	s_cmp_eq_u32 s7, 0
	s_cbranch_scc1 .LBB353_1097
.LBB353_1095:
	s_lshl_b32 s2, s10, 3
	s_mul_i32 s4, s10, 12
	s_add_u32 s2, s2, s16
	s_addc_u32 s3, 0, s17
	s_add_u32 s2, s2, 0xc4
	s_addc_u32 s3, s3, 0
	;; [unrolled: 2-line block ×3, first 2 shown]
	.p2align	6
.LBB353_1096:                           ; =>This Inner Loop Header: Depth=1
	s_clause 0x1
	s_load_b64 s[10:11], s[4:5], 0x4
	s_load_b32 s14, s[4:5], 0xc
	s_load_b64 s[12:13], s[2:3], 0x0
	s_add_u32 s4, s4, 12
	s_addc_u32 s5, s5, 0
	s_add_u32 s2, s2, 8
	s_addc_u32 s3, s3, 0
	s_add_i32 s7, s7, -1
	s_delay_alu instid0(SALU_CYCLE_1) | instskip(SKIP_2) | instid1(VALU_DEP_1)
	s_cmp_lg_u32 s7, 0
	s_waitcnt lgkmcnt(0)
	v_mul_hi_u32 v10, s11, v8
	v_add_nc_u32_e32 v10, v8, v10
	s_delay_alu instid0(VALU_DEP_1) | instskip(NEXT) | instid1(VALU_DEP_1)
	v_lshrrev_b32_e32 v13, s14, v10
	v_mul_lo_u32 v10, v13, s10
	s_delay_alu instid0(VALU_DEP_1) | instskip(NEXT) | instid1(VALU_DEP_1)
	v_sub_nc_u32_e32 v8, v8, v10
	v_mad_u64_u32 v[10:11], null, v8, s12, v[1:2]
	v_mad_u64_u32 v[11:12], null, v8, s13, v[7:8]
	s_delay_alu instid0(VALU_DEP_2) | instskip(NEXT) | instid1(VALU_DEP_2)
	v_dual_mov_b32 v8, v13 :: v_dual_mov_b32 v1, v10
	v_mov_b32_e32 v7, v11
	s_cbranch_scc1 .LBB353_1096
.LBB353_1097:
	s_and_not1_b32 vcc_lo, exec_lo, s6
	s_cbranch_vccnz .LBB353_1100
; %bb.1098:
	s_clause 0x1
	s_load_b128 s[4:7], s[16:17], 0x4
	s_load_b64 s[2:3], s[16:17], 0xc4
	s_cmp_lt_u32 s24, 2
	s_waitcnt lgkmcnt(0)
	v_mul_hi_u32 v1, s5, v5
	s_delay_alu instid0(VALU_DEP_1) | instskip(NEXT) | instid1(VALU_DEP_1)
	v_add_nc_u32_e32 v1, v5, v1
	v_lshrrev_b32_e32 v8, s6, v1
	s_delay_alu instid0(VALU_DEP_1) | instskip(NEXT) | instid1(VALU_DEP_1)
	v_mul_lo_u32 v1, v8, s4
	v_sub_nc_u32_e32 v5, v5, v1
	s_delay_alu instid0(VALU_DEP_1)
	v_mul_lo_u32 v1, v5, s2
	v_mul_lo_u32 v7, v5, s3
	s_cbranch_scc1 .LBB353_1100
; %bb.1099:
	s_clause 0x1
	s_load_b128 s[4:7], s[16:17], 0x10
	s_load_b64 s[2:3], s[16:17], 0xcc
	s_waitcnt lgkmcnt(0)
	v_mul_hi_u32 v5, s5, v8
	s_delay_alu instid0(VALU_DEP_1) | instskip(NEXT) | instid1(VALU_DEP_1)
	v_add_nc_u32_e32 v5, v8, v5
	v_lshrrev_b32_e32 v5, s6, v5
	s_delay_alu instid0(VALU_DEP_1) | instskip(NEXT) | instid1(VALU_DEP_1)
	v_mul_lo_u32 v5, v5, s4
	v_sub_nc_u32_e32 v5, v8, v5
	s_delay_alu instid0(VALU_DEP_1) | instskip(SKIP_1) | instid1(VALU_DEP_2)
	v_mad_u64_u32 v[10:11], null, v5, s2, v[1:2]
	v_mad_u64_u32 v[11:12], null, v5, s3, v[7:8]
	v_mov_b32_e32 v1, v10
	s_delay_alu instid0(VALU_DEP_2)
	v_mov_b32_e32 v7, v11
.LBB353_1100:
	v_cmp_ne_u32_e32 vcc_lo, 1, v0
	s_cbranch_vccnz .LBB353_1106
; %bb.1101:
	v_mov_b32_e32 v0, 0
	v_mov_b32_e32 v8, 0
	s_cmp_lg_u32 s24, 0
	s_mov_b32 s6, 0
	s_cbranch_scc0 .LBB353_1110
; %bb.1102:
	s_min_u32 s7, s25, 15
	v_mov_b32_e32 v0, 0
	s_add_i32 s7, s7, 1
	s_cmp_eq_u32 s25, 2
	s_mov_b32 s10, 0
	s_cbranch_scc1 .LBB353_1107
; %bb.1103:
	v_dual_mov_b32 v8, 0 :: v_dual_mov_b32 v5, v9
	v_mov_b32_e32 v0, 0
	s_add_u32 s2, s16, 0xc4
	s_addc_u32 s3, s17, 0
	s_and_b32 s10, s7, 28
	s_mov_b32 s11, 0
	s_mov_b64 s[4:5], s[16:17]
.LBB353_1104:                           ; =>This Inner Loop Header: Depth=1
	s_clause 0x1
	s_load_b256 s[36:43], s[4:5], 0x4
	s_load_b128 s[12:15], s[4:5], 0x24
	s_load_b256 s[44:51], s[2:3], 0x0
	s_add_u32 s4, s4, 48
	s_addc_u32 s5, s5, 0
	s_add_i32 s11, s11, 4
	s_add_u32 s2, s2, 32
	s_addc_u32 s3, s3, 0
	s_cmp_lg_u32 s10, s11
	s_waitcnt lgkmcnt(0)
	v_mul_hi_u32 v10, s37, v5
	s_delay_alu instid0(VALU_DEP_1) | instskip(NEXT) | instid1(VALU_DEP_1)
	v_add_nc_u32_e32 v10, v5, v10
	v_lshrrev_b32_e32 v10, s38, v10
	s_delay_alu instid0(VALU_DEP_1) | instskip(SKIP_1) | instid1(VALU_DEP_2)
	v_mul_hi_u32 v11, s40, v10
	v_mul_lo_u32 v13, v10, s36
	v_add_nc_u32_e32 v11, v10, v11
	s_delay_alu instid0(VALU_DEP_2) | instskip(NEXT) | instid1(VALU_DEP_2)
	v_sub_nc_u32_e32 v5, v5, v13
	v_lshrrev_b32_e32 v11, s41, v11
	s_delay_alu instid0(VALU_DEP_2) | instskip(SKIP_1) | instid1(VALU_DEP_3)
	v_mul_lo_u32 v13, v5, s44
	v_mul_lo_u32 v15, v5, s45
	v_mul_hi_u32 v12, s43, v11
	s_delay_alu instid0(VALU_DEP_1) | instskip(NEXT) | instid1(VALU_DEP_1)
	v_add_nc_u32_e32 v12, v11, v12
	v_lshrrev_b32_e32 v12, s12, v12
	s_delay_alu instid0(VALU_DEP_1) | instskip(SKIP_1) | instid1(VALU_DEP_2)
	v_mul_hi_u32 v14, s14, v12
	v_mul_lo_u32 v16, v12, s42
	v_add_nc_u32_e32 v5, v12, v14
	v_mul_lo_u32 v14, v11, s39
	s_delay_alu instid0(VALU_DEP_3) | instskip(NEXT) | instid1(VALU_DEP_3)
	v_sub_nc_u32_e32 v11, v11, v16
	v_lshrrev_b32_e32 v5, s15, v5
	s_delay_alu instid0(VALU_DEP_2) | instskip(SKIP_2) | instid1(VALU_DEP_4)
	v_mul_lo_u32 v16, v11, s48
	v_mul_lo_u32 v11, v11, s49
	v_sub_nc_u32_e32 v10, v10, v14
	v_mul_lo_u32 v17, v5, s13
	s_delay_alu instid0(VALU_DEP_2) | instskip(SKIP_1) | instid1(VALU_DEP_3)
	v_mul_lo_u32 v14, v10, s46
	v_mul_lo_u32 v10, v10, s47
	v_sub_nc_u32_e32 v12, v12, v17
	s_delay_alu instid0(VALU_DEP_3) | instskip(NEXT) | instid1(VALU_DEP_2)
	v_add3_u32 v0, v13, v0, v14
	v_mul_lo_u32 v17, v12, s50
	v_mul_lo_u32 v12, v12, s51
	v_add3_u32 v8, v15, v8, v10
	s_delay_alu instid0(VALU_DEP_3) | instskip(NEXT) | instid1(VALU_DEP_2)
	v_add3_u32 v0, v16, v0, v17
	v_add3_u32 v8, v11, v8, v12
	s_cbranch_scc1 .LBB353_1104
; %bb.1105:
	s_and_b32 s7, s7, 3
	s_delay_alu instid0(SALU_CYCLE_1)
	s_cmp_eq_u32 s7, 0
	s_cbranch_scc0 .LBB353_1108
	s_branch .LBB353_1110
.LBB353_1106:
	s_mov_b32 s6, -1
                                        ; implicit-def: $vgpr0
                                        ; implicit-def: $vgpr8
	s_branch .LBB353_1110
.LBB353_1107:
	v_dual_mov_b32 v5, v9 :: v_dual_mov_b32 v8, 0
	s_and_b32 s7, s7, 3
	s_delay_alu instid0(SALU_CYCLE_1)
	s_cmp_eq_u32 s7, 0
	s_cbranch_scc1 .LBB353_1110
.LBB353_1108:
	s_lshl_b32 s2, s10, 3
	s_mul_i32 s4, s10, 12
	s_add_u32 s2, s2, s16
	s_addc_u32 s3, 0, s17
	s_add_u32 s2, s2, 0xc4
	s_addc_u32 s3, s3, 0
	;; [unrolled: 2-line block ×3, first 2 shown]
	.p2align	6
.LBB353_1109:                           ; =>This Inner Loop Header: Depth=1
	s_clause 0x1
	s_load_b64 s[10:11], s[4:5], 0x4
	s_load_b32 s14, s[4:5], 0xc
	s_load_b64 s[12:13], s[2:3], 0x0
	s_add_u32 s4, s4, 12
	s_addc_u32 s5, s5, 0
	s_add_u32 s2, s2, 8
	s_addc_u32 s3, s3, 0
	s_add_i32 s7, s7, -1
	s_delay_alu instid0(SALU_CYCLE_1) | instskip(SKIP_2) | instid1(VALU_DEP_1)
	s_cmp_lg_u32 s7, 0
	s_waitcnt lgkmcnt(0)
	v_mul_hi_u32 v10, s11, v5
	v_add_nc_u32_e32 v10, v5, v10
	s_delay_alu instid0(VALU_DEP_1) | instskip(NEXT) | instid1(VALU_DEP_1)
	v_lshrrev_b32_e32 v13, s14, v10
	v_mul_lo_u32 v10, v13, s10
	s_delay_alu instid0(VALU_DEP_1) | instskip(NEXT) | instid1(VALU_DEP_1)
	v_sub_nc_u32_e32 v5, v5, v10
	v_mad_u64_u32 v[10:11], null, v5, s12, v[0:1]
	v_mad_u64_u32 v[11:12], null, v5, s13, v[8:9]
	s_delay_alu instid0(VALU_DEP_2) | instskip(NEXT) | instid1(VALU_DEP_2)
	v_dual_mov_b32 v5, v13 :: v_dual_mov_b32 v0, v10
	v_mov_b32_e32 v8, v11
	s_cbranch_scc1 .LBB353_1109
.LBB353_1110:
	s_and_not1_b32 vcc_lo, exec_lo, s6
	s_cbranch_vccnz .LBB353_1113
; %bb.1111:
	s_clause 0x1
	s_load_b128 s[4:7], s[16:17], 0x4
	s_load_b64 s[2:3], s[16:17], 0xc4
	s_cmp_lt_u32 s24, 2
	s_waitcnt lgkmcnt(0)
	v_mul_hi_u32 v0, s5, v9
	s_delay_alu instid0(VALU_DEP_1) | instskip(NEXT) | instid1(VALU_DEP_1)
	v_add_nc_u32_e32 v0, v9, v0
	v_lshrrev_b32_e32 v5, s6, v0
	s_delay_alu instid0(VALU_DEP_1) | instskip(NEXT) | instid1(VALU_DEP_1)
	v_mul_lo_u32 v0, v5, s4
	v_sub_nc_u32_e32 v8, v9, v0
	s_delay_alu instid0(VALU_DEP_1)
	v_mul_lo_u32 v0, v8, s2
	v_mul_lo_u32 v8, v8, s3
	s_cbranch_scc1 .LBB353_1113
; %bb.1112:
	s_clause 0x1
	s_load_b128 s[4:7], s[16:17], 0x10
	s_load_b64 s[2:3], s[16:17], 0xcc
	s_waitcnt lgkmcnt(0)
	v_mul_hi_u32 v9, s5, v5
	s_delay_alu instid0(VALU_DEP_1) | instskip(NEXT) | instid1(VALU_DEP_1)
	v_add_nc_u32_e32 v9, v5, v9
	v_lshrrev_b32_e32 v9, s6, v9
	s_delay_alu instid0(VALU_DEP_1) | instskip(NEXT) | instid1(VALU_DEP_1)
	v_mul_lo_u32 v9, v9, s4
	v_sub_nc_u32_e32 v5, v5, v9
	s_delay_alu instid0(VALU_DEP_1) | instskip(NEXT) | instid1(VALU_DEP_1)
	v_mad_u64_u32 v[9:10], null, v5, s2, v[0:1]
	v_mad_u64_u32 v[10:11], null, v5, s3, v[8:9]
	v_mov_b32_e32 v0, v9
	s_delay_alu instid0(VALU_DEP_2)
	v_mov_b32_e32 v8, v10
.LBB353_1113:
	s_clause 0x1
	s_load_b32 s0, s[0:1], 0x160
	s_load_b128 s[4:7], s[16:17], 0x148
	s_mov_b32 s3, 0
	s_waitcnt lgkmcnt(0)
	s_lshr_b32 s1, s0, 16
	s_delay_alu instid0(SALU_CYCLE_1) | instskip(SKIP_2) | instid1(VALU_DEP_1)
	v_and_b32_e64 v11, 0xff, s1
	s_waitcnt vmcnt(0)
	v_add_co_u32 v9, s1, s6, v4
	v_add_co_ci_u32_e64 v10, null, s7, 0, s1
	s_delay_alu instid0(VALU_DEP_3)
	v_cmp_gt_i16_e32 vcc_lo, 11, v11
	s_cbranch_vccnz .LBB353_1120
; %bb.1114:
	v_cmp_lt_i16_e32 vcc_lo, 25, v11
	s_mov_b32 s2, 0
	s_cbranch_vccz .LBB353_1126
; %bb.1115:
	v_cmp_lt_i16_e32 vcc_lo, 28, v11
	s_cbranch_vccz .LBB353_1128
; %bb.1116:
	v_cmp_lt_i16_e32 vcc_lo, 43, v11
	;; [unrolled: 3-line block ×3, first 2 shown]
	s_cbranch_vccz .LBB353_1134
; %bb.1118:
	v_cmp_eq_u16_e32 vcc_lo, 46, v11
	s_mov_b32 s10, 0
	s_cbranch_vccz .LBB353_1176
; %bb.1119:
	global_load_b32 v4, v[9:10], off
	s_mov_b32 s1, 0
	s_mov_b32 s3, -1
	s_waitcnt vmcnt(0)
	v_lshlrev_b32_e32 v4, 16, v4
	s_delay_alu instid0(VALU_DEP_1) | instskip(NEXT) | instid1(VALU_DEP_1)
	v_trunc_f32_e32 v4, v4
	v_mul_f32_e64 v5, 0x2f800000, |v4|
	s_delay_alu instid0(VALU_DEP_1) | instskip(NEXT) | instid1(VALU_DEP_1)
	v_floor_f32_e32 v5, v5
	v_fma_f32 v5, 0xcf800000, v5, |v4|
	v_ashrrev_i32_e32 v4, 31, v4
	s_delay_alu instid0(VALU_DEP_2) | instskip(NEXT) | instid1(VALU_DEP_1)
	v_cvt_u32_f32_e32 v5, v5
	v_xor_b32_e32 v5, v5, v4
	s_delay_alu instid0(VALU_DEP_1)
	v_sub_nc_u32_e32 v4, v5, v4
	s_branch .LBB353_1178
.LBB353_1120:
	s_mov_b32 s1, s8
                                        ; implicit-def: $vgpr4
	s_cbranch_execz .LBB353_1236
; %bb.1121:
	v_cmp_gt_i16_e32 vcc_lo, 5, v11
	s_cbranch_vccnz .LBB353_1127
; %bb.1122:
	v_cmp_gt_i16_e32 vcc_lo, 8, v11
	s_cbranch_vccnz .LBB353_1129
	;; [unrolled: 3-line block ×3, first 2 shown]
; %bb.1124:
	v_cmp_lt_i16_e32 vcc_lo, 9, v11
	s_cbranch_vccz .LBB353_1135
; %bb.1125:
	global_load_b64 v[4:5], v[9:10], off
	s_mov_b32 s2, 0
	s_waitcnt vmcnt(0)
	v_trunc_f64_e32 v[4:5], v[4:5]
	s_delay_alu instid0(VALU_DEP_1) | instskip(NEXT) | instid1(VALU_DEP_1)
	v_ldexp_f64 v[12:13], v[4:5], 0xffffffe0
	v_floor_f64_e32 v[12:13], v[12:13]
	s_delay_alu instid0(VALU_DEP_1) | instskip(NEXT) | instid1(VALU_DEP_1)
	v_fma_f64 v[4:5], 0xc1f00000, v[12:13], v[4:5]
	v_cvt_u32_f64_e32 v4, v[4:5]
	s_branch .LBB353_1136
.LBB353_1126:
	s_mov_b32 s1, 0
                                        ; implicit-def: $vgpr4
	s_cbranch_execnz .LBB353_1203
	s_branch .LBB353_1232
.LBB353_1127:
                                        ; implicit-def: $vgpr4
	s_branch .LBB353_1153
.LBB353_1128:
	s_mov_b32 s1, 0
                                        ; implicit-def: $vgpr4
	s_cbranch_execz .LBB353_1202
	s_branch .LBB353_1187
.LBB353_1129:
                                        ; implicit-def: $vgpr4
	s_branch .LBB353_1142
.LBB353_1130:
	s_mov_b32 s1, 0
                                        ; implicit-def: $vgpr4
	s_cbranch_execnz .LBB353_1183
	s_branch .LBB353_1186
.LBB353_1131:
	s_mov_b32 s2, -1
                                        ; implicit-def: $vgpr4
	s_branch .LBB353_1139
.LBB353_1132:
	s_cbranch_execnz .LBB353_1174
; %bb.1133:
	s_or_b32 s3, s3, exec_lo
	s_and_not1_b32 s8, s8, exec_lo
	s_or_b32 exec_lo, exec_lo, s2
	s_and_saveexec_b32 s2, s8
	s_delay_alu instid0(SALU_CYCLE_1)
	s_xor_b32 s2, exec_lo, s2
	s_cbranch_execnz .LBB353_1020
	s_branch .LBB353_1021
.LBB353_1134:
	s_mov_b32 s10, -1
	s_mov_b32 s1, 0
	s_branch .LBB353_1177
.LBB353_1135:
	s_mov_b32 s2, -1
                                        ; implicit-def: $vgpr4
.LBB353_1136:
	s_delay_alu instid0(SALU_CYCLE_1)
	s_and_not1_b32 vcc_lo, exec_lo, s2
	s_cbranch_vccnz .LBB353_1138
; %bb.1137:
	global_load_b32 v4, v[9:10], off
	s_waitcnt vmcnt(0)
	v_trunc_f32_e32 v4, v4
	s_delay_alu instid0(VALU_DEP_1) | instskip(NEXT) | instid1(VALU_DEP_1)
	v_mul_f32_e64 v5, 0x2f800000, |v4|
	v_floor_f32_e32 v5, v5
	s_delay_alu instid0(VALU_DEP_1) | instskip(SKIP_1) | instid1(VALU_DEP_2)
	v_fma_f32 v5, 0xcf800000, v5, |v4|
	v_ashrrev_i32_e32 v4, 31, v4
	v_cvt_u32_f32_e32 v5, v5
	s_delay_alu instid0(VALU_DEP_1) | instskip(NEXT) | instid1(VALU_DEP_1)
	v_xor_b32_e32 v5, v5, v4
	v_sub_nc_u32_e32 v4, v5, v4
.LBB353_1138:
	s_mov_b32 s2, 0
.LBB353_1139:
	s_delay_alu instid0(SALU_CYCLE_1)
	s_and_not1_b32 vcc_lo, exec_lo, s2
	s_cbranch_vccnz .LBB353_1141
; %bb.1140:
	global_load_b32 v4, v[9:10], off
	s_waitcnt vmcnt(0)
	v_cvt_f32_f16_e32 v4, v4
	s_delay_alu instid0(VALU_DEP_1)
	v_cvt_i32_f32_e32 v4, v4
.LBB353_1141:
	s_cbranch_execnz .LBB353_1152
.LBB353_1142:
	v_cmp_gt_i16_e32 vcc_lo, 6, v11
	s_cbranch_vccnz .LBB353_1145
; %bb.1143:
	v_cmp_lt_i16_e32 vcc_lo, 6, v11
	s_cbranch_vccz .LBB353_1146
; %bb.1144:
	global_load_b64 v[4:5], v[9:10], off
	s_mov_b32 s2, 0
	s_waitcnt vmcnt(0)
	v_trunc_f64_e32 v[4:5], v[4:5]
	s_delay_alu instid0(VALU_DEP_1) | instskip(NEXT) | instid1(VALU_DEP_1)
	v_ldexp_f64 v[12:13], v[4:5], 0xffffffe0
	v_floor_f64_e32 v[12:13], v[12:13]
	s_delay_alu instid0(VALU_DEP_1) | instskip(NEXT) | instid1(VALU_DEP_1)
	v_fma_f64 v[4:5], 0xc1f00000, v[12:13], v[4:5]
	v_cvt_u32_f64_e32 v4, v[4:5]
	s_branch .LBB353_1147
.LBB353_1145:
	s_mov_b32 s2, -1
                                        ; implicit-def: $vgpr4
	s_branch .LBB353_1150
.LBB353_1146:
	s_mov_b32 s2, -1
                                        ; implicit-def: $vgpr4
.LBB353_1147:
	s_delay_alu instid0(SALU_CYCLE_1)
	s_and_not1_b32 vcc_lo, exec_lo, s2
	s_cbranch_vccnz .LBB353_1149
; %bb.1148:
	global_load_b32 v4, v[9:10], off
	s_waitcnt vmcnt(0)
	v_trunc_f32_e32 v4, v4
	s_delay_alu instid0(VALU_DEP_1) | instskip(NEXT) | instid1(VALU_DEP_1)
	v_mul_f32_e64 v5, 0x2f800000, |v4|
	v_floor_f32_e32 v5, v5
	s_delay_alu instid0(VALU_DEP_1) | instskip(SKIP_1) | instid1(VALU_DEP_2)
	v_fma_f32 v5, 0xcf800000, v5, |v4|
	v_ashrrev_i32_e32 v4, 31, v4
	v_cvt_u32_f32_e32 v5, v5
	s_delay_alu instid0(VALU_DEP_1) | instskip(NEXT) | instid1(VALU_DEP_1)
	v_xor_b32_e32 v5, v5, v4
	v_sub_nc_u32_e32 v4, v5, v4
.LBB353_1149:
	s_mov_b32 s2, 0
.LBB353_1150:
	s_delay_alu instid0(SALU_CYCLE_1)
	s_and_not1_b32 vcc_lo, exec_lo, s2
	s_cbranch_vccnz .LBB353_1152
; %bb.1151:
	global_load_u16 v4, v[9:10], off
	s_waitcnt vmcnt(0)
	v_cvt_f32_f16_e32 v4, v4
	s_delay_alu instid0(VALU_DEP_1)
	v_cvt_i32_f32_e32 v4, v4
.LBB353_1152:
	s_cbranch_execnz .LBB353_1171
.LBB353_1153:
	v_cmp_gt_i16_e32 vcc_lo, 2, v11
	s_cbranch_vccnz .LBB353_1157
; %bb.1154:
	v_cmp_gt_i16_e32 vcc_lo, 3, v11
	s_cbranch_vccnz .LBB353_1158
; %bb.1155:
	v_cmp_lt_i16_e32 vcc_lo, 3, v11
	s_cbranch_vccz .LBB353_1159
; %bb.1156:
	global_load_b64 v[4:5], v[9:10], off
	s_mov_b32 s2, 0
	s_branch .LBB353_1160
.LBB353_1157:
                                        ; implicit-def: $vgpr4
	s_branch .LBB353_1166
.LBB353_1158:
	s_mov_b32 s2, -1
                                        ; implicit-def: $vgpr4
	s_branch .LBB353_1163
.LBB353_1159:
	s_mov_b32 s2, -1
                                        ; implicit-def: $vgpr4
.LBB353_1160:
	s_delay_alu instid0(SALU_CYCLE_1)
	s_and_not1_b32 vcc_lo, exec_lo, s2
	s_cbranch_vccnz .LBB353_1162
; %bb.1161:
	global_load_b32 v4, v[9:10], off
.LBB353_1162:
	s_mov_b32 s2, 0
.LBB353_1163:
	s_delay_alu instid0(SALU_CYCLE_1)
	s_and_not1_b32 vcc_lo, exec_lo, s2
	s_cbranch_vccnz .LBB353_1165
; %bb.1164:
	global_load_u16 v4, v[9:10], off
.LBB353_1165:
	s_cbranch_execnz .LBB353_1171
.LBB353_1166:
	v_cmp_lt_i16_e32 vcc_lo, 0, v11
	s_mov_b32 s2, 0
	s_cbranch_vccz .LBB353_1168
; %bb.1167:
	global_load_u8 v4, v[9:10], off
	s_branch .LBB353_1169
.LBB353_1168:
	s_mov_b32 s2, -1
                                        ; implicit-def: $vgpr4
.LBB353_1169:
	s_delay_alu instid0(SALU_CYCLE_1)
	s_and_not1_b32 vcc_lo, exec_lo, s2
	s_cbranch_vccnz .LBB353_1171
; %bb.1170:
	global_load_u8 v4, v[9:10], off
.LBB353_1171:
	s_branch .LBB353_1237
.LBB353_1172:
	s_trap 2
	s_sendmsg_rtn_b32 s0, sendmsg(MSG_RTN_GET_DOORBELL)
	s_mov_b32 ttmp2, m0
	s_waitcnt lgkmcnt(0)
	s_and_b32 s0, s0, 0x3ff
	s_delay_alu instid0(SALU_CYCLE_1) | instskip(NEXT) | instid1(SALU_CYCLE_1)
	s_bitset1_b32 s0, 10
	s_mov_b32 m0, s0
	s_sendmsg sendmsg(MSG_INTERRUPT)
	s_mov_b32 m0, ttmp2
.LBB353_1173:                           ; =>This Inner Loop Header: Depth=1
	s_sethalt 5
	s_branch .LBB353_1173
.LBB353_1174:
	s_trap 2
	s_sendmsg_rtn_b32 s0, sendmsg(MSG_RTN_GET_DOORBELL)
	s_mov_b32 ttmp2, m0
	s_waitcnt lgkmcnt(0)
	s_and_b32 s0, s0, 0x3ff
	s_delay_alu instid0(SALU_CYCLE_1) | instskip(NEXT) | instid1(SALU_CYCLE_1)
	s_bitset1_b32 s0, 10
	s_mov_b32 m0, s0
	s_sendmsg sendmsg(MSG_INTERRUPT)
	s_mov_b32 m0, ttmp2
.LBB353_1175:                           ; =>This Inner Loop Header: Depth=1
	s_sethalt 5
	s_branch .LBB353_1175
.LBB353_1176:
	s_mov_b32 s1, -1
.LBB353_1177:
                                        ; implicit-def: $vgpr4
.LBB353_1178:
	s_and_b32 vcc_lo, exec_lo, s10
	s_cbranch_vccz .LBB353_1181
; %bb.1179:
	v_cmp_eq_u16_e32 vcc_lo, 44, v11
	s_cbranch_vccz .LBB353_1182
; %bb.1180:
	global_load_u8 v4, v[9:10], off
	s_mov_b32 s1, 0
	s_mov_b32 s3, -1
	s_waitcnt vmcnt(0)
	v_lshlrev_b32_e32 v5, 23, v4
	v_cmp_ne_u32_e32 vcc_lo, 0, v4
	s_delay_alu instid0(VALU_DEP_2) | instskip(NEXT) | instid1(VALU_DEP_1)
	v_trunc_f32_e32 v5, v5
	v_mul_f32_e64 v12, 0x2f800000, |v5|
	s_delay_alu instid0(VALU_DEP_1) | instskip(NEXT) | instid1(VALU_DEP_1)
	v_floor_f32_e32 v12, v12
	v_fma_f32 v12, 0xcf800000, v12, |v5|
	v_ashrrev_i32_e32 v5, 31, v5
	s_delay_alu instid0(VALU_DEP_2) | instskip(NEXT) | instid1(VALU_DEP_1)
	v_cvt_u32_f32_e32 v12, v12
	v_xor_b32_e32 v12, v12, v5
	s_delay_alu instid0(VALU_DEP_1) | instskip(NEXT) | instid1(VALU_DEP_1)
	v_sub_nc_u32_e32 v5, v12, v5
	v_cndmask_b32_e32 v4, 0, v5, vcc_lo
.LBB353_1181:
	s_branch .LBB353_1186
.LBB353_1182:
	s_mov_b32 s1, -1
                                        ; implicit-def: $vgpr4
	s_branch .LBB353_1186
.LBB353_1183:
	v_cmp_eq_u16_e32 vcc_lo, 29, v11
	s_cbranch_vccz .LBB353_1185
; %bb.1184:
	global_load_b64 v[4:5], v[9:10], off
	s_mov_b32 s1, 0
	s_mov_b32 s3, -1
	s_branch .LBB353_1186
.LBB353_1185:
	s_mov_b32 s1, -1
                                        ; implicit-def: $vgpr4
.LBB353_1186:
	s_branch .LBB353_1202
.LBB353_1187:
	v_cmp_gt_i16_e32 vcc_lo, 27, v11
	s_cbranch_vccnz .LBB353_1190
; %bb.1188:
	v_cmp_lt_i16_e32 vcc_lo, 27, v11
	s_cbranch_vccz .LBB353_1191
; %bb.1189:
	global_load_b32 v4, v[9:10], off
	s_mov_b32 s3, 0
	s_branch .LBB353_1192
.LBB353_1190:
	s_mov_b32 s3, -1
                                        ; implicit-def: $vgpr4
	s_branch .LBB353_1195
.LBB353_1191:
	s_mov_b32 s3, -1
                                        ; implicit-def: $vgpr4
.LBB353_1192:
	s_delay_alu instid0(SALU_CYCLE_1)
	s_and_not1_b32 vcc_lo, exec_lo, s3
	s_cbranch_vccnz .LBB353_1194
; %bb.1193:
	global_load_u16 v4, v[9:10], off
.LBB353_1194:
	s_mov_b32 s3, 0
.LBB353_1195:
	s_delay_alu instid0(SALU_CYCLE_1)
	s_and_not1_b32 vcc_lo, exec_lo, s3
	s_cbranch_vccnz .LBB353_1201
; %bb.1196:
	global_load_u8 v5, v[9:10], off
	s_mov_b32 s10, 0
	s_mov_b32 s3, exec_lo
                                        ; implicit-def: $sgpr11
	s_waitcnt vmcnt(0)
	v_cmpx_lt_i16_e32 0x7f, v5
	s_xor_b32 s3, exec_lo, s3
	s_cbranch_execz .LBB353_1212
; %bb.1197:
	v_cmp_ne_u16_e32 vcc_lo, 0x80, v5
	s_mov_b32 s11, 0
	s_and_b32 s10, vcc_lo, exec_lo
	s_or_saveexec_b32 s3, s3
	v_mov_b32_e32 v4, s11
	s_xor_b32 exec_lo, exec_lo, s3
	s_cbranch_execnz .LBB353_1213
.LBB353_1198:
	s_or_b32 exec_lo, exec_lo, s3
	s_and_saveexec_b32 s3, s10
	s_cbranch_execz .LBB353_1200
.LBB353_1199:
	v_and_b32_e32 v4, 0xffff, v5
	s_delay_alu instid0(VALU_DEP_1) | instskip(NEXT) | instid1(VALU_DEP_1)
	v_and_b32_e32 v12, 7, v4
	v_clz_i32_u32_e32 v13, v12
	s_delay_alu instid0(VALU_DEP_1) | instskip(NEXT) | instid1(VALU_DEP_1)
	v_min_u32_e32 v13, 32, v13
	v_subrev_nc_u32_e32 v14, 28, v13
	v_sub_nc_u32_e32 v13, 29, v13
	s_delay_alu instid0(VALU_DEP_2) | instskip(SKIP_1) | instid1(VALU_DEP_2)
	v_lshlrev_b32_e32 v14, v14, v4
	v_bfe_u32 v4, v4, 3, 4
	v_and_b32_e32 v14, 7, v14
	s_delay_alu instid0(VALU_DEP_2) | instskip(NEXT) | instid1(VALU_DEP_2)
	v_cmp_eq_u32_e32 vcc_lo, 0, v4
	v_dual_cndmask_b32 v12, v12, v14 :: v_dual_lshlrev_b32 v5, 24, v5
	v_cndmask_b32_e32 v4, v4, v13, vcc_lo
	s_delay_alu instid0(VALU_DEP_2) | instskip(NEXT) | instid1(VALU_DEP_3)
	v_and_b32_e32 v5, 0x80000000, v5
	v_lshlrev_b32_e32 v12, 20, v12
	s_delay_alu instid0(VALU_DEP_3) | instskip(NEXT) | instid1(VALU_DEP_1)
	v_lshl_add_u32 v4, v4, 23, 0x3b800000
	v_or3_b32 v4, v5, v4, v12
	s_delay_alu instid0(VALU_DEP_1) | instskip(NEXT) | instid1(VALU_DEP_1)
	v_trunc_f32_e32 v4, v4
	v_mul_f32_e64 v5, 0x2f800000, |v4|
	s_delay_alu instid0(VALU_DEP_1) | instskip(NEXT) | instid1(VALU_DEP_1)
	v_floor_f32_e32 v5, v5
	v_fma_f32 v5, 0xcf800000, v5, |v4|
	v_ashrrev_i32_e32 v4, 31, v4
	s_delay_alu instid0(VALU_DEP_2) | instskip(NEXT) | instid1(VALU_DEP_1)
	v_cvt_u32_f32_e32 v5, v5
	v_xor_b32_e32 v5, v5, v4
	s_delay_alu instid0(VALU_DEP_1)
	v_sub_nc_u32_e32 v4, v5, v4
.LBB353_1200:
	s_or_b32 exec_lo, exec_lo, s3
.LBB353_1201:
	s_mov_b32 s3, -1
.LBB353_1202:
	s_branch .LBB353_1232
.LBB353_1203:
	v_cmp_lt_i16_e32 vcc_lo, 22, v11
	s_cbranch_vccz .LBB353_1211
; %bb.1204:
	v_cmp_gt_i16_e32 vcc_lo, 24, v11
	s_cbranch_vccnz .LBB353_1214
; %bb.1205:
	v_cmp_lt_i16_e32 vcc_lo, 24, v11
	s_cbranch_vccz .LBB353_1215
; %bb.1206:
	global_load_u8 v5, v[9:10], off
	s_mov_b32 s3, 0
	s_mov_b32 s2, exec_lo
                                        ; implicit-def: $sgpr10
	s_waitcnt vmcnt(0)
	v_cmpx_lt_i16_e32 0x7f, v5
	s_xor_b32 s2, exec_lo, s2
	s_cbranch_execz .LBB353_1226
; %bb.1207:
	v_cmp_ne_u16_e32 vcc_lo, 0x80, v5
	s_mov_b32 s10, 0
	s_and_b32 s3, vcc_lo, exec_lo
	s_or_saveexec_b32 s2, s2
	v_mov_b32_e32 v4, s10
	s_xor_b32 exec_lo, exec_lo, s2
	s_cbranch_execnz .LBB353_1227
.LBB353_1208:
	s_or_b32 exec_lo, exec_lo, s2
	s_and_saveexec_b32 s2, s3
	s_cbranch_execz .LBB353_1210
.LBB353_1209:
	v_and_b32_e32 v4, 0xffff, v5
	s_delay_alu instid0(VALU_DEP_1) | instskip(NEXT) | instid1(VALU_DEP_1)
	v_and_b32_e32 v12, 3, v4
	v_clz_i32_u32_e32 v13, v12
	s_delay_alu instid0(VALU_DEP_1) | instskip(NEXT) | instid1(VALU_DEP_1)
	v_min_u32_e32 v13, 32, v13
	v_subrev_nc_u32_e32 v14, 29, v13
	v_sub_nc_u32_e32 v13, 30, v13
	s_delay_alu instid0(VALU_DEP_2) | instskip(SKIP_1) | instid1(VALU_DEP_2)
	v_lshlrev_b32_e32 v14, v14, v4
	v_bfe_u32 v4, v4, 2, 5
	v_and_b32_e32 v14, 3, v14
	s_delay_alu instid0(VALU_DEP_2) | instskip(NEXT) | instid1(VALU_DEP_2)
	v_cmp_eq_u32_e32 vcc_lo, 0, v4
	v_dual_cndmask_b32 v12, v12, v14 :: v_dual_lshlrev_b32 v5, 24, v5
	v_cndmask_b32_e32 v4, v4, v13, vcc_lo
	s_delay_alu instid0(VALU_DEP_2) | instskip(NEXT) | instid1(VALU_DEP_3)
	v_and_b32_e32 v5, 0x80000000, v5
	v_lshlrev_b32_e32 v12, 21, v12
	s_delay_alu instid0(VALU_DEP_3) | instskip(NEXT) | instid1(VALU_DEP_1)
	v_lshl_add_u32 v4, v4, 23, 0x37800000
	v_or3_b32 v4, v5, v4, v12
	s_delay_alu instid0(VALU_DEP_1) | instskip(NEXT) | instid1(VALU_DEP_1)
	v_trunc_f32_e32 v4, v4
	v_mul_f32_e64 v5, 0x2f800000, |v4|
	s_delay_alu instid0(VALU_DEP_1) | instskip(NEXT) | instid1(VALU_DEP_1)
	v_floor_f32_e32 v5, v5
	v_fma_f32 v5, 0xcf800000, v5, |v4|
	v_ashrrev_i32_e32 v4, 31, v4
	s_delay_alu instid0(VALU_DEP_2) | instskip(NEXT) | instid1(VALU_DEP_1)
	v_cvt_u32_f32_e32 v5, v5
	v_xor_b32_e32 v5, v5, v4
	s_delay_alu instid0(VALU_DEP_1)
	v_sub_nc_u32_e32 v4, v5, v4
.LBB353_1210:
	s_or_b32 exec_lo, exec_lo, s2
	s_mov_b32 s2, 0
	s_branch .LBB353_1216
.LBB353_1211:
                                        ; implicit-def: $vgpr4
	s_mov_b32 s2, 0
	s_branch .LBB353_1222
.LBB353_1212:
	s_or_saveexec_b32 s3, s3
	v_mov_b32_e32 v4, s11
	s_xor_b32 exec_lo, exec_lo, s3
	s_cbranch_execz .LBB353_1198
.LBB353_1213:
	v_cmp_ne_u16_e32 vcc_lo, 0, v5
	v_mov_b32_e32 v4, 0
	s_and_not1_b32 s10, s10, exec_lo
	s_and_b32 s11, vcc_lo, exec_lo
	s_delay_alu instid0(SALU_CYCLE_1)
	s_or_b32 s10, s10, s11
	s_or_b32 exec_lo, exec_lo, s3
	s_and_saveexec_b32 s3, s10
	s_cbranch_execnz .LBB353_1199
	s_branch .LBB353_1200
.LBB353_1214:
	s_mov_b32 s2, -1
                                        ; implicit-def: $vgpr4
	s_branch .LBB353_1219
.LBB353_1215:
	s_mov_b32 s2, -1
                                        ; implicit-def: $vgpr4
.LBB353_1216:
	s_delay_alu instid0(SALU_CYCLE_1)
	s_and_b32 vcc_lo, exec_lo, s2
	s_cbranch_vccz .LBB353_1218
; %bb.1217:
	global_load_u8 v4, v[9:10], off
	s_waitcnt vmcnt(0)
	v_lshlrev_b32_e32 v4, 24, v4
	s_delay_alu instid0(VALU_DEP_1) | instskip(NEXT) | instid1(VALU_DEP_1)
	v_and_b32_e32 v5, 0x7f000000, v4
	v_clz_i32_u32_e32 v12, v5
	v_cmp_ne_u32_e32 vcc_lo, 0, v5
	v_add_nc_u32_e32 v14, 0x1000000, v5
	s_delay_alu instid0(VALU_DEP_3) | instskip(NEXT) | instid1(VALU_DEP_1)
	v_min_u32_e32 v12, 32, v12
	v_sub_nc_u32_e64 v12, v12, 4 clamp
	s_delay_alu instid0(VALU_DEP_1) | instskip(SKIP_1) | instid1(VALU_DEP_2)
	v_lshlrev_b32_e32 v13, v12, v5
	v_lshlrev_b32_e32 v12, 23, v12
	v_lshrrev_b32_e32 v13, 4, v13
	s_delay_alu instid0(VALU_DEP_1) | instskip(SKIP_1) | instid1(VALU_DEP_2)
	v_sub_nc_u32_e32 v12, v13, v12
	v_ashrrev_i32_e32 v13, 8, v14
	v_add_nc_u32_e32 v12, 0x3c000000, v12
	s_delay_alu instid0(VALU_DEP_1) | instskip(NEXT) | instid1(VALU_DEP_1)
	v_and_or_b32 v12, 0x7f800000, v13, v12
	v_cndmask_b32_e32 v5, 0, v12, vcc_lo
	s_delay_alu instid0(VALU_DEP_1) | instskip(NEXT) | instid1(VALU_DEP_1)
	v_and_or_b32 v4, 0x80000000, v4, v5
	v_trunc_f32_e32 v4, v4
	s_delay_alu instid0(VALU_DEP_1) | instskip(NEXT) | instid1(VALU_DEP_1)
	v_mul_f32_e64 v5, 0x2f800000, |v4|
	v_floor_f32_e32 v5, v5
	s_delay_alu instid0(VALU_DEP_1) | instskip(SKIP_1) | instid1(VALU_DEP_2)
	v_fma_f32 v5, 0xcf800000, v5, |v4|
	v_ashrrev_i32_e32 v4, 31, v4
	v_cvt_u32_f32_e32 v5, v5
	s_delay_alu instid0(VALU_DEP_1) | instskip(NEXT) | instid1(VALU_DEP_1)
	v_xor_b32_e32 v5, v5, v4
	v_sub_nc_u32_e32 v4, v5, v4
.LBB353_1218:
	s_mov_b32 s2, 0
.LBB353_1219:
	s_delay_alu instid0(SALU_CYCLE_1)
	s_and_not1_b32 vcc_lo, exec_lo, s2
	s_cbranch_vccnz .LBB353_1221
; %bb.1220:
	global_load_u8 v4, v[9:10], off
	s_waitcnt vmcnt(0)
	v_lshlrev_b32_e32 v5, 25, v4
	v_lshlrev_b16 v4, 8, v4
	s_delay_alu instid0(VALU_DEP_2) | instskip(NEXT) | instid1(VALU_DEP_2)
	v_lshrrev_b32_e32 v12, 4, v5
	v_and_or_b32 v13, 0x7f00, v4, 0.5
	v_cmp_gt_u32_e32 vcc_lo, 0x8000000, v5
	v_bfe_i32 v4, v4, 0, 16
	s_delay_alu instid0(VALU_DEP_4) | instskip(NEXT) | instid1(VALU_DEP_1)
	v_or_b32_e32 v12, 0x70000000, v12
	v_dual_add_f32 v13, -0.5, v13 :: v_dual_mul_f32 v12, 0x7800000, v12
	s_delay_alu instid0(VALU_DEP_1) | instskip(NEXT) | instid1(VALU_DEP_1)
	v_cndmask_b32_e32 v5, v12, v13, vcc_lo
	v_and_or_b32 v4, 0x80000000, v4, v5
	s_delay_alu instid0(VALU_DEP_1) | instskip(NEXT) | instid1(VALU_DEP_1)
	v_trunc_f32_e32 v4, v4
	v_mul_f32_e64 v5, 0x2f800000, |v4|
	s_delay_alu instid0(VALU_DEP_1) | instskip(NEXT) | instid1(VALU_DEP_1)
	v_floor_f32_e32 v5, v5
	v_fma_f32 v5, 0xcf800000, v5, |v4|
	v_ashrrev_i32_e32 v4, 31, v4
	s_delay_alu instid0(VALU_DEP_2) | instskip(NEXT) | instid1(VALU_DEP_1)
	v_cvt_u32_f32_e32 v5, v5
	v_xor_b32_e32 v5, v5, v4
	s_delay_alu instid0(VALU_DEP_1)
	v_sub_nc_u32_e32 v4, v5, v4
.LBB353_1221:
	s_mov_b32 s3, -1
	s_mov_b32 s2, 0
	s_cbranch_execnz .LBB353_1232
.LBB353_1222:
	v_cmp_lt_i16_e32 vcc_lo, 14, v11
	s_cbranch_vccz .LBB353_1225
; %bb.1223:
	v_cmp_eq_u16_e32 vcc_lo, 15, v11
	s_cbranch_vccz .LBB353_1228
; %bb.1224:
	global_load_u16 v4, v[9:10], off
	s_mov_b32 s1, 0
	s_mov_b32 s3, -1
	s_waitcnt vmcnt(0)
	v_lshlrev_b32_e32 v4, 16, v4
	s_delay_alu instid0(VALU_DEP_1) | instskip(NEXT) | instid1(VALU_DEP_1)
	v_trunc_f32_e32 v4, v4
	v_mul_f32_e64 v5, 0x2f800000, |v4|
	s_delay_alu instid0(VALU_DEP_1) | instskip(NEXT) | instid1(VALU_DEP_1)
	v_floor_f32_e32 v5, v5
	v_fma_f32 v5, 0xcf800000, v5, |v4|
	v_ashrrev_i32_e32 v4, 31, v4
	s_delay_alu instid0(VALU_DEP_2) | instskip(NEXT) | instid1(VALU_DEP_1)
	v_cvt_u32_f32_e32 v5, v5
	v_xor_b32_e32 v5, v5, v4
	s_delay_alu instid0(VALU_DEP_1)
	v_sub_nc_u32_e32 v4, v5, v4
	s_branch .LBB353_1230
.LBB353_1225:
	s_mov_b32 s2, -1
	s_branch .LBB353_1229
.LBB353_1226:
	s_or_saveexec_b32 s2, s2
	v_mov_b32_e32 v4, s10
	s_xor_b32 exec_lo, exec_lo, s2
	s_cbranch_execz .LBB353_1208
.LBB353_1227:
	v_cmp_ne_u16_e32 vcc_lo, 0, v5
	v_mov_b32_e32 v4, 0
	s_and_not1_b32 s3, s3, exec_lo
	s_and_b32 s10, vcc_lo, exec_lo
	s_delay_alu instid0(SALU_CYCLE_1)
	s_or_b32 s3, s3, s10
	s_or_b32 exec_lo, exec_lo, s2
	s_and_saveexec_b32 s2, s3
	s_cbranch_execnz .LBB353_1209
	s_branch .LBB353_1210
.LBB353_1228:
	s_mov_b32 s1, -1
.LBB353_1229:
                                        ; implicit-def: $vgpr4
.LBB353_1230:
	s_and_b32 vcc_lo, exec_lo, s2
	s_mov_b32 s2, 0
	s_cbranch_vccz .LBB353_1232
; %bb.1231:
	v_cmp_ne_u16_e64 s1, 11, v11
	s_mov_b32 s2, -1
                                        ; implicit-def: $vgpr4
.LBB353_1232:
	s_delay_alu instid0(VALU_DEP_1)
	s_and_b32 vcc_lo, exec_lo, s1
	s_mov_b32 s1, s8
	s_cbranch_vccnz .LBB353_1256
; %bb.1233:
	s_and_not1_b32 vcc_lo, exec_lo, s2
	s_cbranch_vccnz .LBB353_1235
.LBB353_1234:
	global_load_u8 v4, v[9:10], off
	s_mov_b32 s3, -1
	s_waitcnt vmcnt(0)
	v_cmp_ne_u16_e32 vcc_lo, 0, v4
	v_cndmask_b32_e64 v4, 0, 1, vcc_lo
.LBB353_1235:
.LBB353_1236:
	s_and_not1_b32 vcc_lo, exec_lo, s3
	s_cbranch_vccnz .LBB353_2057
.LBB353_1237:
	v_cmp_gt_i16_e32 vcc_lo, 11, v11
	v_add_co_u32 v9, s2, s6, v6
	s_delay_alu instid0(VALU_DEP_1)
	v_add_co_ci_u32_e64 v10, null, s7, 0, s2
	s_mov_b32 s10, 0
	s_cbranch_vccnz .LBB353_1244
; %bb.1238:
	v_cmp_lt_i16_e32 vcc_lo, 25, v11
	s_mov_b32 s3, 0
	s_cbranch_vccz .LBB353_1250
; %bb.1239:
	v_cmp_lt_i16_e32 vcc_lo, 28, v11
	s_cbranch_vccz .LBB353_1252
; %bb.1240:
	v_cmp_lt_i16_e32 vcc_lo, 43, v11
	;; [unrolled: 3-line block ×3, first 2 shown]
	s_cbranch_vccz .LBB353_1260
; %bb.1242:
	v_cmp_eq_u16_e32 vcc_lo, 46, v11
	s_mov_b32 s11, 0
	s_cbranch_vccz .LBB353_1304
; %bb.1243:
	global_load_b32 v5, v[9:10], off
	s_mov_b32 s2, 0
	s_mov_b32 s10, -1
	s_waitcnt vmcnt(0)
	v_lshlrev_b32_e32 v5, 16, v5
	s_delay_alu instid0(VALU_DEP_1) | instskip(NEXT) | instid1(VALU_DEP_1)
	v_trunc_f32_e32 v5, v5
	v_mul_f32_e64 v6, 0x2f800000, |v5|
	s_delay_alu instid0(VALU_DEP_1) | instskip(NEXT) | instid1(VALU_DEP_1)
	v_floor_f32_e32 v6, v6
	v_fma_f32 v6, 0xcf800000, v6, |v5|
	v_ashrrev_i32_e32 v5, 31, v5
	s_delay_alu instid0(VALU_DEP_2) | instskip(NEXT) | instid1(VALU_DEP_1)
	v_cvt_u32_f32_e32 v6, v6
	v_xor_b32_e32 v6, v6, v5
	s_delay_alu instid0(VALU_DEP_1)
	v_sub_nc_u32_e32 v5, v6, v5
	s_branch .LBB353_1306
.LBB353_1244:
                                        ; implicit-def: $vgpr5
	s_cbranch_execz .LBB353_1367
; %bb.1245:
	v_cmp_gt_i16_e32 vcc_lo, 5, v11
	s_cbranch_vccnz .LBB353_1251
; %bb.1246:
	v_cmp_gt_i16_e32 vcc_lo, 8, v11
	s_cbranch_vccnz .LBB353_1253
; %bb.1247:
	v_cmp_gt_i16_e32 vcc_lo, 9, v11
	s_cbranch_vccnz .LBB353_1255
; %bb.1248:
	v_cmp_lt_i16_e32 vcc_lo, 9, v11
	s_cbranch_vccz .LBB353_1261
; %bb.1249:
	global_load_b64 v[5:6], v[9:10], off
	s_mov_b32 s2, 0
	s_waitcnt vmcnt(0)
	v_trunc_f64_e32 v[5:6], v[5:6]
	s_delay_alu instid0(VALU_DEP_1) | instskip(NEXT) | instid1(VALU_DEP_1)
	v_ldexp_f64 v[12:13], v[5:6], 0xffffffe0
	v_floor_f64_e32 v[12:13], v[12:13]
	s_delay_alu instid0(VALU_DEP_1) | instskip(NEXT) | instid1(VALU_DEP_1)
	v_fma_f64 v[5:6], 0xc1f00000, v[12:13], v[5:6]
	v_cvt_u32_f64_e32 v5, v[5:6]
	s_branch .LBB353_1262
.LBB353_1250:
	s_mov_b32 s2, 0
                                        ; implicit-def: $vgpr5
	s_cbranch_execnz .LBB353_1333
	s_branch .LBB353_1363
.LBB353_1251:
                                        ; implicit-def: $vgpr5
	s_branch .LBB353_1280
.LBB353_1252:
	s_mov_b32 s11, -1
	s_mov_b32 s2, 0
                                        ; implicit-def: $vgpr5
	s_branch .LBB353_1316
.LBB353_1253:
	s_mov_b32 s2, -1
                                        ; implicit-def: $vgpr5
	s_branch .LBB353_1268
.LBB353_1254:
	s_mov_b32 s11, -1
	s_mov_b32 s2, 0
                                        ; implicit-def: $vgpr5
	s_branch .LBB353_1311
.LBB353_1255:
	s_mov_b32 s2, -1
                                        ; implicit-def: $vgpr5
	s_branch .LBB353_1265
.LBB353_1256:
	s_cbranch_execnz .LBB353_1300
; %bb.1257:
	s_or_b32 s1, s8, exec_lo
                                        ; implicit-def: $vgpr4
	s_cbranch_execz .LBB353_1234
	s_branch .LBB353_1235
.LBB353_1258:
	s_or_saveexec_b32 s7, s7
                                        ; implicit-def: $sgpr8
	s_delay_alu instid0(SALU_CYCLE_1)
	s_xor_b32 exec_lo, exec_lo, s7
	s_cbranch_execz .LBB353_971
.LBB353_1259:
	v_add_f32_e32 v0, 0x46000000, v3
	s_and_not1_b32 s5, s5, exec_lo
	s_mov_b32 s8, 0
	s_delay_alu instid0(VALU_DEP_1) | instskip(NEXT) | instid1(VALU_DEP_1)
	v_and_b32_e32 v0, 0xff, v0
	v_cmp_ne_u32_e32 vcc_lo, 0, v0
	s_and_b32 s9, vcc_lo, exec_lo
	s_delay_alu instid0(SALU_CYCLE_1)
	s_or_b32 s5, s5, s9
	s_or_b32 exec_lo, exec_lo, s7
	v_mov_b32_e32 v6, s8
	s_and_saveexec_b32 s7, s5
	s_cbranch_execnz .LBB353_972
	s_branch .LBB353_973
.LBB353_1260:
	s_mov_b32 s11, -1
	s_mov_b32 s2, 0
	s_branch .LBB353_1305
.LBB353_1261:
	s_mov_b32 s2, -1
                                        ; implicit-def: $vgpr5
.LBB353_1262:
	s_delay_alu instid0(SALU_CYCLE_1)
	s_and_not1_b32 vcc_lo, exec_lo, s2
	s_cbranch_vccnz .LBB353_1264
; %bb.1263:
	global_load_b32 v5, v[9:10], off
	s_waitcnt vmcnt(0)
	v_trunc_f32_e32 v5, v5
	s_delay_alu instid0(VALU_DEP_1) | instskip(NEXT) | instid1(VALU_DEP_1)
	v_mul_f32_e64 v6, 0x2f800000, |v5|
	v_floor_f32_e32 v6, v6
	s_delay_alu instid0(VALU_DEP_1) | instskip(SKIP_1) | instid1(VALU_DEP_2)
	v_fma_f32 v6, 0xcf800000, v6, |v5|
	v_ashrrev_i32_e32 v5, 31, v5
	v_cvt_u32_f32_e32 v6, v6
	s_delay_alu instid0(VALU_DEP_1) | instskip(NEXT) | instid1(VALU_DEP_1)
	v_xor_b32_e32 v6, v6, v5
	v_sub_nc_u32_e32 v5, v6, v5
.LBB353_1264:
	s_mov_b32 s2, 0
.LBB353_1265:
	s_delay_alu instid0(SALU_CYCLE_1)
	s_and_not1_b32 vcc_lo, exec_lo, s2
	s_cbranch_vccnz .LBB353_1267
; %bb.1266:
	global_load_b32 v5, v[9:10], off
	s_waitcnt vmcnt(0)
	v_cvt_f32_f16_e32 v5, v5
	s_delay_alu instid0(VALU_DEP_1)
	v_cvt_i32_f32_e32 v5, v5
.LBB353_1267:
	s_mov_b32 s2, 0
.LBB353_1268:
	s_delay_alu instid0(SALU_CYCLE_1)
	s_and_not1_b32 vcc_lo, exec_lo, s2
	s_cbranch_vccnz .LBB353_1279
; %bb.1269:
	v_cmp_gt_i16_e32 vcc_lo, 6, v11
	s_cbranch_vccnz .LBB353_1272
; %bb.1270:
	v_cmp_lt_i16_e32 vcc_lo, 6, v11
	s_cbranch_vccz .LBB353_1273
; %bb.1271:
	global_load_b64 v[5:6], v[9:10], off
	s_mov_b32 s2, 0
	s_waitcnt vmcnt(0)
	v_trunc_f64_e32 v[5:6], v[5:6]
	s_delay_alu instid0(VALU_DEP_1) | instskip(NEXT) | instid1(VALU_DEP_1)
	v_ldexp_f64 v[12:13], v[5:6], 0xffffffe0
	v_floor_f64_e32 v[12:13], v[12:13]
	s_delay_alu instid0(VALU_DEP_1) | instskip(NEXT) | instid1(VALU_DEP_1)
	v_fma_f64 v[5:6], 0xc1f00000, v[12:13], v[5:6]
	v_cvt_u32_f64_e32 v5, v[5:6]
	s_branch .LBB353_1274
.LBB353_1272:
	s_mov_b32 s2, -1
                                        ; implicit-def: $vgpr5
	s_branch .LBB353_1277
.LBB353_1273:
	s_mov_b32 s2, -1
                                        ; implicit-def: $vgpr5
.LBB353_1274:
	s_delay_alu instid0(SALU_CYCLE_1)
	s_and_not1_b32 vcc_lo, exec_lo, s2
	s_cbranch_vccnz .LBB353_1276
; %bb.1275:
	global_load_b32 v5, v[9:10], off
	s_waitcnt vmcnt(0)
	v_trunc_f32_e32 v5, v5
	s_delay_alu instid0(VALU_DEP_1) | instskip(NEXT) | instid1(VALU_DEP_1)
	v_mul_f32_e64 v6, 0x2f800000, |v5|
	v_floor_f32_e32 v6, v6
	s_delay_alu instid0(VALU_DEP_1) | instskip(SKIP_1) | instid1(VALU_DEP_2)
	v_fma_f32 v6, 0xcf800000, v6, |v5|
	v_ashrrev_i32_e32 v5, 31, v5
	v_cvt_u32_f32_e32 v6, v6
	s_delay_alu instid0(VALU_DEP_1) | instskip(NEXT) | instid1(VALU_DEP_1)
	v_xor_b32_e32 v6, v6, v5
	v_sub_nc_u32_e32 v5, v6, v5
.LBB353_1276:
	s_mov_b32 s2, 0
.LBB353_1277:
	s_delay_alu instid0(SALU_CYCLE_1)
	s_and_not1_b32 vcc_lo, exec_lo, s2
	s_cbranch_vccnz .LBB353_1279
; %bb.1278:
	global_load_u16 v5, v[9:10], off
	s_waitcnt vmcnt(0)
	v_cvt_f32_f16_e32 v5, v5
	s_delay_alu instid0(VALU_DEP_1)
	v_cvt_i32_f32_e32 v5, v5
.LBB353_1279:
	s_cbranch_execnz .LBB353_1299
.LBB353_1280:
	v_cmp_gt_i16_e32 vcc_lo, 2, v11
	s_cbranch_vccnz .LBB353_1284
; %bb.1281:
	v_cmp_gt_i16_e32 vcc_lo, 3, v11
	s_cbranch_vccnz .LBB353_1285
; %bb.1282:
	v_cmp_lt_i16_e32 vcc_lo, 3, v11
	s_cbranch_vccz .LBB353_1286
; %bb.1283:
	global_load_b64 v[5:6], v[9:10], off
	s_mov_b32 s2, 0
	s_branch .LBB353_1287
.LBB353_1284:
	s_mov_b32 s2, -1
                                        ; implicit-def: $vgpr5
	s_branch .LBB353_1293
.LBB353_1285:
	s_mov_b32 s2, -1
                                        ; implicit-def: $vgpr5
	s_branch .LBB353_1290
.LBB353_1286:
	s_mov_b32 s2, -1
                                        ; implicit-def: $vgpr5
.LBB353_1287:
	s_delay_alu instid0(SALU_CYCLE_1)
	s_and_not1_b32 vcc_lo, exec_lo, s2
	s_cbranch_vccnz .LBB353_1289
; %bb.1288:
	global_load_b32 v5, v[9:10], off
.LBB353_1289:
	s_mov_b32 s2, 0
.LBB353_1290:
	s_delay_alu instid0(SALU_CYCLE_1)
	s_and_not1_b32 vcc_lo, exec_lo, s2
	s_cbranch_vccnz .LBB353_1292
; %bb.1291:
	global_load_u16 v5, v[9:10], off
.LBB353_1292:
	s_mov_b32 s2, 0
.LBB353_1293:
	s_delay_alu instid0(SALU_CYCLE_1)
	s_and_not1_b32 vcc_lo, exec_lo, s2
	s_cbranch_vccnz .LBB353_1299
; %bb.1294:
	v_cmp_lt_i16_e32 vcc_lo, 0, v11
	s_mov_b32 s2, 0
	s_cbranch_vccz .LBB353_1296
; %bb.1295:
	global_load_u8 v5, v[9:10], off
	s_branch .LBB353_1297
.LBB353_1296:
	s_mov_b32 s2, -1
                                        ; implicit-def: $vgpr5
.LBB353_1297:
	s_delay_alu instid0(SALU_CYCLE_1)
	s_and_not1_b32 vcc_lo, exec_lo, s2
	s_cbranch_vccnz .LBB353_1299
; %bb.1298:
	global_load_u8 v5, v[9:10], off
.LBB353_1299:
	s_branch .LBB353_1368
.LBB353_1300:
	s_trap 2
	s_sendmsg_rtn_b32 s0, sendmsg(MSG_RTN_GET_DOORBELL)
	s_mov_b32 ttmp2, m0
	s_waitcnt lgkmcnt(0)
	s_and_b32 s0, s0, 0x3ff
	s_delay_alu instid0(SALU_CYCLE_1) | instskip(NEXT) | instid1(SALU_CYCLE_1)
	s_bitset1_b32 s0, 10
	s_mov_b32 m0, s0
	s_sendmsg sendmsg(MSG_INTERRUPT)
	s_mov_b32 m0, ttmp2
.LBB353_1301:                           ; =>This Inner Loop Header: Depth=1
	s_sethalt 5
	s_branch .LBB353_1301
.LBB353_1302:
	s_or_saveexec_b32 s8, s8
                                        ; implicit-def: $sgpr9
	s_delay_alu instid0(SALU_CYCLE_1)
	s_xor_b32 exec_lo, exec_lo, s8
	s_cbranch_execz .LBB353_983
.LBB353_1303:
	v_add_f32_e32 v0, 0x42800000, v3
	s_and_not1_b32 s7, s7, exec_lo
	s_mov_b32 s9, 0
	s_delay_alu instid0(VALU_DEP_1) | instskip(NEXT) | instid1(VALU_DEP_1)
	v_and_b32_e32 v0, 0xff, v0
	v_cmp_ne_u32_e32 vcc_lo, 0, v0
	s_and_b32 s10, vcc_lo, exec_lo
	s_delay_alu instid0(SALU_CYCLE_1)
	s_or_b32 s7, s7, s10
	s_or_b32 exec_lo, exec_lo, s8
	v_mov_b32_e32 v6, s9
	s_and_saveexec_b32 s8, s7
	s_cbranch_execnz .LBB353_984
	s_branch .LBB353_985
.LBB353_1304:
	s_mov_b32 s2, -1
.LBB353_1305:
                                        ; implicit-def: $vgpr5
.LBB353_1306:
	s_and_b32 vcc_lo, exec_lo, s11
	s_cbranch_vccz .LBB353_1310
; %bb.1307:
	v_cmp_eq_u16_e32 vcc_lo, 44, v11
	s_cbranch_vccz .LBB353_1309
; %bb.1308:
	global_load_u8 v5, v[9:10], off
	s_mov_b32 s2, 0
	s_mov_b32 s10, -1
	s_waitcnt vmcnt(0)
	v_lshlrev_b32_e32 v6, 23, v5
	v_cmp_ne_u32_e32 vcc_lo, 0, v5
	s_delay_alu instid0(VALU_DEP_2) | instskip(NEXT) | instid1(VALU_DEP_1)
	v_trunc_f32_e32 v6, v6
	v_mul_f32_e64 v12, 0x2f800000, |v6|
	s_delay_alu instid0(VALU_DEP_1) | instskip(NEXT) | instid1(VALU_DEP_1)
	v_floor_f32_e32 v12, v12
	v_fma_f32 v12, 0xcf800000, v12, |v6|
	v_ashrrev_i32_e32 v6, 31, v6
	s_delay_alu instid0(VALU_DEP_2) | instskip(NEXT) | instid1(VALU_DEP_1)
	v_cvt_u32_f32_e32 v12, v12
	v_xor_b32_e32 v12, v12, v6
	s_delay_alu instid0(VALU_DEP_1) | instskip(NEXT) | instid1(VALU_DEP_1)
	v_sub_nc_u32_e32 v6, v12, v6
	v_cndmask_b32_e32 v5, 0, v6, vcc_lo
	s_branch .LBB353_1310
.LBB353_1309:
	s_mov_b32 s2, -1
                                        ; implicit-def: $vgpr5
.LBB353_1310:
	s_mov_b32 s11, 0
.LBB353_1311:
	s_delay_alu instid0(SALU_CYCLE_1)
	s_and_b32 vcc_lo, exec_lo, s11
	s_cbranch_vccz .LBB353_1315
; %bb.1312:
	v_cmp_eq_u16_e32 vcc_lo, 29, v11
	s_cbranch_vccz .LBB353_1314
; %bb.1313:
	global_load_b64 v[5:6], v[9:10], off
	s_mov_b32 s2, 0
	s_mov_b32 s10, -1
	s_branch .LBB353_1315
.LBB353_1314:
	s_mov_b32 s2, -1
                                        ; implicit-def: $vgpr5
.LBB353_1315:
	s_mov_b32 s11, 0
.LBB353_1316:
	s_delay_alu instid0(SALU_CYCLE_1)
	s_and_b32 vcc_lo, exec_lo, s11
	s_cbranch_vccz .LBB353_1332
; %bb.1317:
	v_cmp_gt_i16_e32 vcc_lo, 27, v11
	s_cbranch_vccnz .LBB353_1320
; %bb.1318:
	v_cmp_lt_i16_e32 vcc_lo, 27, v11
	s_cbranch_vccz .LBB353_1321
; %bb.1319:
	global_load_b32 v5, v[9:10], off
	s_mov_b32 s10, 0
	s_branch .LBB353_1322
.LBB353_1320:
	s_mov_b32 s10, -1
                                        ; implicit-def: $vgpr5
	s_branch .LBB353_1325
.LBB353_1321:
	s_mov_b32 s10, -1
                                        ; implicit-def: $vgpr5
.LBB353_1322:
	s_delay_alu instid0(SALU_CYCLE_1)
	s_and_not1_b32 vcc_lo, exec_lo, s10
	s_cbranch_vccnz .LBB353_1324
; %bb.1323:
	global_load_u16 v5, v[9:10], off
.LBB353_1324:
	s_mov_b32 s10, 0
.LBB353_1325:
	s_delay_alu instid0(SALU_CYCLE_1)
	s_and_not1_b32 vcc_lo, exec_lo, s10
	s_cbranch_vccnz .LBB353_1331
; %bb.1326:
	global_load_u8 v6, v[9:10], off
	s_mov_b32 s11, 0
	s_mov_b32 s10, exec_lo
                                        ; implicit-def: $sgpr12
	s_waitcnt vmcnt(0)
	v_cmpx_lt_i16_e32 0x7f, v6
	s_xor_b32 s10, exec_lo, s10
	s_cbranch_execz .LBB353_1342
; %bb.1327:
	v_cmp_ne_u16_e32 vcc_lo, 0x80, v6
	s_mov_b32 s12, 0
	s_and_b32 s11, vcc_lo, exec_lo
	s_or_saveexec_b32 s10, s10
	v_mov_b32_e32 v5, s12
	s_xor_b32 exec_lo, exec_lo, s10
	s_cbranch_execnz .LBB353_1343
.LBB353_1328:
	s_or_b32 exec_lo, exec_lo, s10
	s_and_saveexec_b32 s10, s11
	s_cbranch_execz .LBB353_1330
.LBB353_1329:
	v_and_b32_e32 v5, 0xffff, v6
	v_lshlrev_b32_e32 v6, 24, v6
	s_delay_alu instid0(VALU_DEP_2) | instskip(NEXT) | instid1(VALU_DEP_2)
	v_and_b32_e32 v12, 7, v5
	v_and_b32_e32 v6, 0x80000000, v6
	s_delay_alu instid0(VALU_DEP_2) | instskip(NEXT) | instid1(VALU_DEP_1)
	v_clz_i32_u32_e32 v13, v12
	v_min_u32_e32 v13, 32, v13
	s_delay_alu instid0(VALU_DEP_1) | instskip(SKIP_1) | instid1(VALU_DEP_2)
	v_subrev_nc_u32_e32 v14, 28, v13
	v_sub_nc_u32_e32 v13, 29, v13
	v_lshlrev_b32_e32 v14, v14, v5
	v_bfe_u32 v5, v5, 3, 4
	s_delay_alu instid0(VALU_DEP_1) | instskip(NEXT) | instid1(VALU_DEP_3)
	v_cmp_eq_u32_e32 vcc_lo, 0, v5
	v_dual_cndmask_b32 v5, v5, v13 :: v_dual_and_b32 v14, 7, v14
	s_delay_alu instid0(VALU_DEP_1) | instskip(NEXT) | instid1(VALU_DEP_2)
	v_cndmask_b32_e32 v12, v12, v14, vcc_lo
	v_lshl_add_u32 v5, v5, 23, 0x3b800000
	s_delay_alu instid0(VALU_DEP_2) | instskip(NEXT) | instid1(VALU_DEP_1)
	v_lshlrev_b32_e32 v12, 20, v12
	v_or3_b32 v5, v6, v5, v12
	s_delay_alu instid0(VALU_DEP_1) | instskip(NEXT) | instid1(VALU_DEP_1)
	v_trunc_f32_e32 v5, v5
	v_mul_f32_e64 v6, 0x2f800000, |v5|
	s_delay_alu instid0(VALU_DEP_1) | instskip(NEXT) | instid1(VALU_DEP_1)
	v_floor_f32_e32 v6, v6
	v_fma_f32 v6, 0xcf800000, v6, |v5|
	v_ashrrev_i32_e32 v5, 31, v5
	s_delay_alu instid0(VALU_DEP_2) | instskip(NEXT) | instid1(VALU_DEP_1)
	v_cvt_u32_f32_e32 v6, v6
	v_xor_b32_e32 v6, v6, v5
	s_delay_alu instid0(VALU_DEP_1)
	v_sub_nc_u32_e32 v5, v6, v5
.LBB353_1330:
	s_or_b32 exec_lo, exec_lo, s10
.LBB353_1331:
	s_mov_b32 s10, -1
.LBB353_1332:
	s_branch .LBB353_1363
.LBB353_1333:
	v_cmp_lt_i16_e32 vcc_lo, 22, v11
	s_cbranch_vccz .LBB353_1341
; %bb.1334:
	v_cmp_gt_i16_e32 vcc_lo, 24, v11
	s_cbranch_vccnz .LBB353_1344
; %bb.1335:
	v_cmp_lt_i16_e32 vcc_lo, 24, v11
	s_cbranch_vccz .LBB353_1345
; %bb.1336:
	global_load_u8 v6, v[9:10], off
	s_mov_b32 s10, 0
	s_mov_b32 s3, exec_lo
                                        ; implicit-def: $sgpr11
	s_waitcnt vmcnt(0)
	v_cmpx_lt_i16_e32 0x7f, v6
	s_xor_b32 s3, exec_lo, s3
	s_cbranch_execz .LBB353_1357
; %bb.1337:
	v_cmp_ne_u16_e32 vcc_lo, 0x80, v6
	s_mov_b32 s11, 0
	s_and_b32 s10, vcc_lo, exec_lo
	s_or_saveexec_b32 s3, s3
	v_mov_b32_e32 v5, s11
	s_xor_b32 exec_lo, exec_lo, s3
	s_cbranch_execnz .LBB353_1358
.LBB353_1338:
	s_or_b32 exec_lo, exec_lo, s3
	s_and_saveexec_b32 s3, s10
	s_cbranch_execz .LBB353_1340
.LBB353_1339:
	v_and_b32_e32 v5, 0xffff, v6
	v_lshlrev_b32_e32 v6, 24, v6
	s_delay_alu instid0(VALU_DEP_2) | instskip(NEXT) | instid1(VALU_DEP_2)
	v_and_b32_e32 v12, 3, v5
	v_and_b32_e32 v6, 0x80000000, v6
	s_delay_alu instid0(VALU_DEP_2) | instskip(NEXT) | instid1(VALU_DEP_1)
	v_clz_i32_u32_e32 v13, v12
	v_min_u32_e32 v13, 32, v13
	s_delay_alu instid0(VALU_DEP_1) | instskip(SKIP_1) | instid1(VALU_DEP_2)
	v_subrev_nc_u32_e32 v14, 29, v13
	v_sub_nc_u32_e32 v13, 30, v13
	v_lshlrev_b32_e32 v14, v14, v5
	v_bfe_u32 v5, v5, 2, 5
	s_delay_alu instid0(VALU_DEP_1) | instskip(NEXT) | instid1(VALU_DEP_3)
	v_cmp_eq_u32_e32 vcc_lo, 0, v5
	v_dual_cndmask_b32 v5, v5, v13 :: v_dual_and_b32 v14, 3, v14
	s_delay_alu instid0(VALU_DEP_1) | instskip(NEXT) | instid1(VALU_DEP_2)
	v_cndmask_b32_e32 v12, v12, v14, vcc_lo
	v_lshl_add_u32 v5, v5, 23, 0x37800000
	s_delay_alu instid0(VALU_DEP_2) | instskip(NEXT) | instid1(VALU_DEP_1)
	v_lshlrev_b32_e32 v12, 21, v12
	v_or3_b32 v5, v6, v5, v12
	s_delay_alu instid0(VALU_DEP_1) | instskip(NEXT) | instid1(VALU_DEP_1)
	v_trunc_f32_e32 v5, v5
	v_mul_f32_e64 v6, 0x2f800000, |v5|
	s_delay_alu instid0(VALU_DEP_1) | instskip(NEXT) | instid1(VALU_DEP_1)
	v_floor_f32_e32 v6, v6
	v_fma_f32 v6, 0xcf800000, v6, |v5|
	v_ashrrev_i32_e32 v5, 31, v5
	s_delay_alu instid0(VALU_DEP_2) | instskip(NEXT) | instid1(VALU_DEP_1)
	v_cvt_u32_f32_e32 v6, v6
	v_xor_b32_e32 v6, v6, v5
	s_delay_alu instid0(VALU_DEP_1)
	v_sub_nc_u32_e32 v5, v6, v5
.LBB353_1340:
	s_or_b32 exec_lo, exec_lo, s3
	s_mov_b32 s3, 0
	s_branch .LBB353_1346
.LBB353_1341:
	s_mov_b32 s3, -1
                                        ; implicit-def: $vgpr5
	s_branch .LBB353_1352
.LBB353_1342:
	s_or_saveexec_b32 s10, s10
	v_mov_b32_e32 v5, s12
	s_xor_b32 exec_lo, exec_lo, s10
	s_cbranch_execz .LBB353_1328
.LBB353_1343:
	v_cmp_ne_u16_e32 vcc_lo, 0, v6
	v_mov_b32_e32 v5, 0
	s_and_not1_b32 s11, s11, exec_lo
	s_and_b32 s12, vcc_lo, exec_lo
	s_delay_alu instid0(SALU_CYCLE_1)
	s_or_b32 s11, s11, s12
	s_or_b32 exec_lo, exec_lo, s10
	s_and_saveexec_b32 s10, s11
	s_cbranch_execnz .LBB353_1329
	s_branch .LBB353_1330
.LBB353_1344:
	s_mov_b32 s3, -1
                                        ; implicit-def: $vgpr5
	s_branch .LBB353_1349
.LBB353_1345:
	s_mov_b32 s3, -1
                                        ; implicit-def: $vgpr5
.LBB353_1346:
	s_delay_alu instid0(SALU_CYCLE_1)
	s_and_b32 vcc_lo, exec_lo, s3
	s_cbranch_vccz .LBB353_1348
; %bb.1347:
	global_load_u8 v5, v[9:10], off
	s_waitcnt vmcnt(0)
	v_lshlrev_b32_e32 v5, 24, v5
	s_delay_alu instid0(VALU_DEP_1) | instskip(NEXT) | instid1(VALU_DEP_1)
	v_and_b32_e32 v6, 0x7f000000, v5
	v_clz_i32_u32_e32 v12, v6
	v_add_nc_u32_e32 v14, 0x1000000, v6
	v_cmp_ne_u32_e32 vcc_lo, 0, v6
	s_delay_alu instid0(VALU_DEP_3) | instskip(NEXT) | instid1(VALU_DEP_1)
	v_min_u32_e32 v12, 32, v12
	v_sub_nc_u32_e64 v12, v12, 4 clamp
	s_delay_alu instid0(VALU_DEP_1) | instskip(SKIP_1) | instid1(VALU_DEP_2)
	v_lshlrev_b32_e32 v13, v12, v6
	v_lshlrev_b32_e32 v12, 23, v12
	v_lshrrev_b32_e32 v13, 4, v13
	s_delay_alu instid0(VALU_DEP_1) | instskip(SKIP_1) | instid1(VALU_DEP_2)
	v_sub_nc_u32_e32 v12, v13, v12
	v_ashrrev_i32_e32 v13, 8, v14
	v_add_nc_u32_e32 v12, 0x3c000000, v12
	s_delay_alu instid0(VALU_DEP_1) | instskip(NEXT) | instid1(VALU_DEP_1)
	v_and_or_b32 v12, 0x7f800000, v13, v12
	v_cndmask_b32_e32 v6, 0, v12, vcc_lo
	s_delay_alu instid0(VALU_DEP_1) | instskip(NEXT) | instid1(VALU_DEP_1)
	v_and_or_b32 v5, 0x80000000, v5, v6
	v_trunc_f32_e32 v5, v5
	s_delay_alu instid0(VALU_DEP_1) | instskip(NEXT) | instid1(VALU_DEP_1)
	v_mul_f32_e64 v6, 0x2f800000, |v5|
	v_floor_f32_e32 v6, v6
	s_delay_alu instid0(VALU_DEP_1) | instskip(SKIP_1) | instid1(VALU_DEP_2)
	v_fma_f32 v6, 0xcf800000, v6, |v5|
	v_ashrrev_i32_e32 v5, 31, v5
	v_cvt_u32_f32_e32 v6, v6
	s_delay_alu instid0(VALU_DEP_1) | instskip(NEXT) | instid1(VALU_DEP_1)
	v_xor_b32_e32 v6, v6, v5
	v_sub_nc_u32_e32 v5, v6, v5
.LBB353_1348:
	s_mov_b32 s3, 0
.LBB353_1349:
	s_delay_alu instid0(SALU_CYCLE_1)
	s_and_not1_b32 vcc_lo, exec_lo, s3
	s_cbranch_vccnz .LBB353_1351
; %bb.1350:
	global_load_u8 v5, v[9:10], off
	s_waitcnt vmcnt(0)
	v_lshlrev_b32_e32 v6, 25, v5
	v_lshlrev_b16 v5, 8, v5
	s_delay_alu instid0(VALU_DEP_2) | instskip(NEXT) | instid1(VALU_DEP_2)
	v_lshrrev_b32_e32 v12, 4, v6
	v_and_or_b32 v13, 0x7f00, v5, 0.5
	v_cmp_gt_u32_e32 vcc_lo, 0x8000000, v6
	v_bfe_i32 v5, v5, 0, 16
	s_delay_alu instid0(VALU_DEP_4) | instskip(NEXT) | instid1(VALU_DEP_1)
	v_or_b32_e32 v12, 0x70000000, v12
	v_dual_add_f32 v13, -0.5, v13 :: v_dual_mul_f32 v12, 0x7800000, v12
	s_delay_alu instid0(VALU_DEP_1) | instskip(NEXT) | instid1(VALU_DEP_1)
	v_cndmask_b32_e32 v6, v12, v13, vcc_lo
	v_and_or_b32 v5, 0x80000000, v5, v6
	s_delay_alu instid0(VALU_DEP_1) | instskip(NEXT) | instid1(VALU_DEP_1)
	v_trunc_f32_e32 v5, v5
	v_mul_f32_e64 v6, 0x2f800000, |v5|
	s_delay_alu instid0(VALU_DEP_1) | instskip(NEXT) | instid1(VALU_DEP_1)
	v_floor_f32_e32 v6, v6
	v_fma_f32 v6, 0xcf800000, v6, |v5|
	v_ashrrev_i32_e32 v5, 31, v5
	s_delay_alu instid0(VALU_DEP_2) | instskip(NEXT) | instid1(VALU_DEP_1)
	v_cvt_u32_f32_e32 v6, v6
	v_xor_b32_e32 v6, v6, v5
	s_delay_alu instid0(VALU_DEP_1)
	v_sub_nc_u32_e32 v5, v6, v5
.LBB353_1351:
	s_mov_b32 s3, 0
	s_mov_b32 s10, -1
.LBB353_1352:
	s_and_not1_b32 vcc_lo, exec_lo, s3
	s_mov_b32 s3, 0
	s_cbranch_vccnz .LBB353_1363
; %bb.1353:
	v_cmp_lt_i16_e32 vcc_lo, 14, v11
	s_cbranch_vccz .LBB353_1356
; %bb.1354:
	v_cmp_eq_u16_e32 vcc_lo, 15, v11
	s_cbranch_vccz .LBB353_1359
; %bb.1355:
	global_load_u16 v5, v[9:10], off
	s_mov_b32 s2, 0
	s_mov_b32 s10, -1
	s_waitcnt vmcnt(0)
	v_lshlrev_b32_e32 v5, 16, v5
	s_delay_alu instid0(VALU_DEP_1) | instskip(NEXT) | instid1(VALU_DEP_1)
	v_trunc_f32_e32 v5, v5
	v_mul_f32_e64 v6, 0x2f800000, |v5|
	s_delay_alu instid0(VALU_DEP_1) | instskip(NEXT) | instid1(VALU_DEP_1)
	v_floor_f32_e32 v6, v6
	v_fma_f32 v6, 0xcf800000, v6, |v5|
	v_ashrrev_i32_e32 v5, 31, v5
	s_delay_alu instid0(VALU_DEP_2) | instskip(NEXT) | instid1(VALU_DEP_1)
	v_cvt_u32_f32_e32 v6, v6
	v_xor_b32_e32 v6, v6, v5
	s_delay_alu instid0(VALU_DEP_1)
	v_sub_nc_u32_e32 v5, v6, v5
	s_branch .LBB353_1361
.LBB353_1356:
	s_mov_b32 s3, -1
	s_branch .LBB353_1360
.LBB353_1357:
	s_or_saveexec_b32 s3, s3
	v_mov_b32_e32 v5, s11
	s_xor_b32 exec_lo, exec_lo, s3
	s_cbranch_execz .LBB353_1338
.LBB353_1358:
	v_cmp_ne_u16_e32 vcc_lo, 0, v6
	v_mov_b32_e32 v5, 0
	s_and_not1_b32 s10, s10, exec_lo
	s_and_b32 s11, vcc_lo, exec_lo
	s_delay_alu instid0(SALU_CYCLE_1)
	s_or_b32 s10, s10, s11
	s_or_b32 exec_lo, exec_lo, s3
	s_and_saveexec_b32 s3, s10
	s_cbranch_execnz .LBB353_1339
	s_branch .LBB353_1340
.LBB353_1359:
	s_mov_b32 s2, -1
.LBB353_1360:
                                        ; implicit-def: $vgpr5
.LBB353_1361:
	s_and_b32 vcc_lo, exec_lo, s3
	s_mov_b32 s3, 0
	s_cbranch_vccz .LBB353_1363
; %bb.1362:
	v_cmp_ne_u16_e64 s2, 11, v11
	s_mov_b32 s3, -1
                                        ; implicit-def: $vgpr5
.LBB353_1363:
	s_delay_alu instid0(VALU_DEP_1)
	s_and_b32 vcc_lo, exec_lo, s2
	s_cbranch_vccnz .LBB353_1387
; %bb.1364:
	s_and_not1_b32 vcc_lo, exec_lo, s3
	s_cbranch_vccnz .LBB353_1366
.LBB353_1365:
	global_load_u8 v5, v[9:10], off
	s_mov_b32 s10, -1
	s_waitcnt vmcnt(0)
	v_cmp_ne_u16_e32 vcc_lo, 0, v5
	v_cndmask_b32_e64 v5, 0, 1, vcc_lo
.LBB353_1366:
.LBB353_1367:
	s_and_not1_b32 vcc_lo, exec_lo, s10
	s_cbranch_vccnz .LBB353_2057
.LBB353_1368:
	v_cmp_gt_i16_e32 vcc_lo, 11, v11
	v_add_co_u32 v9, s2, s6, v7
	s_delay_alu instid0(VALU_DEP_1)
	v_add_co_ci_u32_e64 v10, null, s7, 0, s2
	s_mov_b32 s10, 0
	s_cbranch_vccnz .LBB353_1375
; %bb.1369:
	v_cmp_lt_i16_e32 vcc_lo, 25, v11
	s_mov_b32 s3, 0
	s_cbranch_vccz .LBB353_1381
; %bb.1370:
	v_cmp_lt_i16_e32 vcc_lo, 28, v11
	s_cbranch_vccz .LBB353_1383
; %bb.1371:
	v_cmp_lt_i16_e32 vcc_lo, 43, v11
	;; [unrolled: 3-line block ×3, first 2 shown]
	s_cbranch_vccz .LBB353_1389
; %bb.1373:
	v_cmp_eq_u16_e32 vcc_lo, 46, v11
	s_mov_b32 s11, 0
	s_cbranch_vccz .LBB353_1432
; %bb.1374:
	global_load_b32 v6, v[9:10], off
	s_mov_b32 s2, 0
	s_mov_b32 s10, -1
	s_waitcnt vmcnt(0)
	v_lshlrev_b32_e32 v6, 16, v6
	s_delay_alu instid0(VALU_DEP_1) | instskip(NEXT) | instid1(VALU_DEP_1)
	v_trunc_f32_e32 v6, v6
	v_mul_f32_e64 v7, 0x2f800000, |v6|
	s_delay_alu instid0(VALU_DEP_1) | instskip(NEXT) | instid1(VALU_DEP_1)
	v_floor_f32_e32 v7, v7
	v_fma_f32 v7, 0xcf800000, v7, |v6|
	v_ashrrev_i32_e32 v6, 31, v6
	s_delay_alu instid0(VALU_DEP_2) | instskip(NEXT) | instid1(VALU_DEP_1)
	v_cvt_u32_f32_e32 v7, v7
	v_xor_b32_e32 v7, v7, v6
	s_delay_alu instid0(VALU_DEP_1)
	v_sub_nc_u32_e32 v6, v7, v6
	s_branch .LBB353_1434
.LBB353_1375:
                                        ; implicit-def: $vgpr6
	s_cbranch_execz .LBB353_1496
; %bb.1376:
	v_cmp_gt_i16_e32 vcc_lo, 5, v11
	s_cbranch_vccnz .LBB353_1382
; %bb.1377:
	v_cmp_gt_i16_e32 vcc_lo, 8, v11
	s_cbranch_vccnz .LBB353_1384
	;; [unrolled: 3-line block ×3, first 2 shown]
; %bb.1379:
	v_cmp_lt_i16_e32 vcc_lo, 9, v11
	s_cbranch_vccz .LBB353_1390
; %bb.1380:
	global_load_b64 v[6:7], v[9:10], off
	s_mov_b32 s2, 0
	s_waitcnt vmcnt(0)
	v_trunc_f64_e32 v[6:7], v[6:7]
	s_delay_alu instid0(VALU_DEP_1) | instskip(NEXT) | instid1(VALU_DEP_1)
	v_ldexp_f64 v[12:13], v[6:7], 0xffffffe0
	v_floor_f64_e32 v[12:13], v[12:13]
	s_delay_alu instid0(VALU_DEP_1) | instskip(NEXT) | instid1(VALU_DEP_1)
	v_fma_f64 v[6:7], 0xc1f00000, v[12:13], v[6:7]
	v_cvt_u32_f64_e32 v6, v[6:7]
	s_branch .LBB353_1391
.LBB353_1381:
	s_mov_b32 s11, -1
	s_mov_b32 s2, 0
                                        ; implicit-def: $vgpr6
	s_branch .LBB353_1461
.LBB353_1382:
	s_mov_b32 s2, -1
                                        ; implicit-def: $vgpr6
	s_branch .LBB353_1409
.LBB353_1383:
	s_mov_b32 s11, -1
	s_mov_b32 s2, 0
                                        ; implicit-def: $vgpr6
	s_branch .LBB353_1444
.LBB353_1384:
	s_mov_b32 s2, -1
                                        ; implicit-def: $vgpr6
	s_branch .LBB353_1397
.LBB353_1385:
	s_mov_b32 s11, -1
	s_mov_b32 s2, 0
                                        ; implicit-def: $vgpr6
	s_branch .LBB353_1439
.LBB353_1386:
	s_mov_b32 s2, -1
                                        ; implicit-def: $vgpr6
	s_branch .LBB353_1394
.LBB353_1387:
	s_cbranch_execnz .LBB353_1430
; %bb.1388:
	s_or_b32 s1, s1, exec_lo
                                        ; implicit-def: $vgpr5
	s_cbranch_execz .LBB353_1365
	s_branch .LBB353_1366
.LBB353_1389:
	s_mov_b32 s11, -1
	s_mov_b32 s2, 0
	s_branch .LBB353_1433
.LBB353_1390:
	s_mov_b32 s2, -1
                                        ; implicit-def: $vgpr6
.LBB353_1391:
	s_delay_alu instid0(SALU_CYCLE_1)
	s_and_not1_b32 vcc_lo, exec_lo, s2
	s_cbranch_vccnz .LBB353_1393
; %bb.1392:
	global_load_b32 v6, v[9:10], off
	s_waitcnt vmcnt(0)
	v_trunc_f32_e32 v6, v6
	s_delay_alu instid0(VALU_DEP_1) | instskip(NEXT) | instid1(VALU_DEP_1)
	v_mul_f32_e64 v7, 0x2f800000, |v6|
	v_floor_f32_e32 v7, v7
	s_delay_alu instid0(VALU_DEP_1) | instskip(SKIP_1) | instid1(VALU_DEP_2)
	v_fma_f32 v7, 0xcf800000, v7, |v6|
	v_ashrrev_i32_e32 v6, 31, v6
	v_cvt_u32_f32_e32 v7, v7
	s_delay_alu instid0(VALU_DEP_1) | instskip(NEXT) | instid1(VALU_DEP_1)
	v_xor_b32_e32 v7, v7, v6
	v_sub_nc_u32_e32 v6, v7, v6
.LBB353_1393:
	s_mov_b32 s2, 0
.LBB353_1394:
	s_delay_alu instid0(SALU_CYCLE_1)
	s_and_not1_b32 vcc_lo, exec_lo, s2
	s_cbranch_vccnz .LBB353_1396
; %bb.1395:
	global_load_b32 v6, v[9:10], off
	s_waitcnt vmcnt(0)
	v_cvt_f32_f16_e32 v6, v6
	s_delay_alu instid0(VALU_DEP_1)
	v_cvt_i32_f32_e32 v6, v6
.LBB353_1396:
	s_mov_b32 s2, 0
.LBB353_1397:
	s_delay_alu instid0(SALU_CYCLE_1)
	s_and_not1_b32 vcc_lo, exec_lo, s2
	s_cbranch_vccnz .LBB353_1408
; %bb.1398:
	v_cmp_gt_i16_e32 vcc_lo, 6, v11
	s_cbranch_vccnz .LBB353_1401
; %bb.1399:
	v_cmp_lt_i16_e32 vcc_lo, 6, v11
	s_cbranch_vccz .LBB353_1402
; %bb.1400:
	global_load_b64 v[6:7], v[9:10], off
	s_mov_b32 s2, 0
	s_waitcnt vmcnt(0)
	v_trunc_f64_e32 v[6:7], v[6:7]
	s_delay_alu instid0(VALU_DEP_1) | instskip(NEXT) | instid1(VALU_DEP_1)
	v_ldexp_f64 v[12:13], v[6:7], 0xffffffe0
	v_floor_f64_e32 v[12:13], v[12:13]
	s_delay_alu instid0(VALU_DEP_1) | instskip(NEXT) | instid1(VALU_DEP_1)
	v_fma_f64 v[6:7], 0xc1f00000, v[12:13], v[6:7]
	v_cvt_u32_f64_e32 v6, v[6:7]
	s_branch .LBB353_1403
.LBB353_1401:
	s_mov_b32 s2, -1
                                        ; implicit-def: $vgpr6
	s_branch .LBB353_1406
.LBB353_1402:
	s_mov_b32 s2, -1
                                        ; implicit-def: $vgpr6
.LBB353_1403:
	s_delay_alu instid0(SALU_CYCLE_1)
	s_and_not1_b32 vcc_lo, exec_lo, s2
	s_cbranch_vccnz .LBB353_1405
; %bb.1404:
	global_load_b32 v6, v[9:10], off
	s_waitcnt vmcnt(0)
	v_trunc_f32_e32 v6, v6
	s_delay_alu instid0(VALU_DEP_1) | instskip(NEXT) | instid1(VALU_DEP_1)
	v_mul_f32_e64 v7, 0x2f800000, |v6|
	v_floor_f32_e32 v7, v7
	s_delay_alu instid0(VALU_DEP_1) | instskip(SKIP_1) | instid1(VALU_DEP_2)
	v_fma_f32 v7, 0xcf800000, v7, |v6|
	v_ashrrev_i32_e32 v6, 31, v6
	v_cvt_u32_f32_e32 v7, v7
	s_delay_alu instid0(VALU_DEP_1) | instskip(NEXT) | instid1(VALU_DEP_1)
	v_xor_b32_e32 v7, v7, v6
	v_sub_nc_u32_e32 v6, v7, v6
.LBB353_1405:
	s_mov_b32 s2, 0
.LBB353_1406:
	s_delay_alu instid0(SALU_CYCLE_1)
	s_and_not1_b32 vcc_lo, exec_lo, s2
	s_cbranch_vccnz .LBB353_1408
; %bb.1407:
	global_load_u16 v6, v[9:10], off
	s_waitcnt vmcnt(0)
	v_cvt_f32_f16_e32 v6, v6
	s_delay_alu instid0(VALU_DEP_1)
	v_cvt_i32_f32_e32 v6, v6
.LBB353_1408:
	s_mov_b32 s2, 0
.LBB353_1409:
	s_delay_alu instid0(SALU_CYCLE_1)
	s_and_not1_b32 vcc_lo, exec_lo, s2
	s_cbranch_vccnz .LBB353_1429
; %bb.1410:
	v_cmp_gt_i16_e32 vcc_lo, 2, v11
	s_cbranch_vccnz .LBB353_1414
; %bb.1411:
	v_cmp_gt_i16_e32 vcc_lo, 3, v11
	s_cbranch_vccnz .LBB353_1415
; %bb.1412:
	v_cmp_lt_i16_e32 vcc_lo, 3, v11
	s_cbranch_vccz .LBB353_1416
; %bb.1413:
	global_load_b64 v[6:7], v[9:10], off
	s_mov_b32 s2, 0
	s_branch .LBB353_1417
.LBB353_1414:
	s_mov_b32 s2, -1
                                        ; implicit-def: $vgpr6
	s_branch .LBB353_1423
.LBB353_1415:
	s_mov_b32 s2, -1
                                        ; implicit-def: $vgpr6
	s_branch .LBB353_1420
.LBB353_1416:
	s_mov_b32 s2, -1
                                        ; implicit-def: $vgpr6
.LBB353_1417:
	s_delay_alu instid0(SALU_CYCLE_1)
	s_and_not1_b32 vcc_lo, exec_lo, s2
	s_cbranch_vccnz .LBB353_1419
; %bb.1418:
	global_load_b32 v6, v[9:10], off
.LBB353_1419:
	s_mov_b32 s2, 0
.LBB353_1420:
	s_delay_alu instid0(SALU_CYCLE_1)
	s_and_not1_b32 vcc_lo, exec_lo, s2
	s_cbranch_vccnz .LBB353_1422
; %bb.1421:
	global_load_u16 v6, v[9:10], off
.LBB353_1422:
	s_mov_b32 s2, 0
.LBB353_1423:
	s_delay_alu instid0(SALU_CYCLE_1)
	s_and_not1_b32 vcc_lo, exec_lo, s2
	s_cbranch_vccnz .LBB353_1429
; %bb.1424:
	v_cmp_lt_i16_e32 vcc_lo, 0, v11
	s_mov_b32 s2, 0
	s_cbranch_vccz .LBB353_1426
; %bb.1425:
	global_load_u8 v6, v[9:10], off
	s_branch .LBB353_1427
.LBB353_1426:
	s_mov_b32 s2, -1
                                        ; implicit-def: $vgpr6
.LBB353_1427:
	s_delay_alu instid0(SALU_CYCLE_1)
	s_and_not1_b32 vcc_lo, exec_lo, s2
	s_cbranch_vccnz .LBB353_1429
; %bb.1428:
	global_load_u8 v6, v[9:10], off
.LBB353_1429:
	s_branch .LBB353_1497
.LBB353_1430:
	s_trap 2
	s_sendmsg_rtn_b32 s0, sendmsg(MSG_RTN_GET_DOORBELL)
	s_mov_b32 ttmp2, m0
	s_waitcnt lgkmcnt(0)
	s_and_b32 s0, s0, 0x3ff
	s_delay_alu instid0(SALU_CYCLE_1) | instskip(NEXT) | instid1(SALU_CYCLE_1)
	s_bitset1_b32 s0, 10
	s_mov_b32 m0, s0
	s_sendmsg sendmsg(MSG_INTERRUPT)
	s_mov_b32 m0, ttmp2
.LBB353_1431:                           ; =>This Inner Loop Header: Depth=1
	s_sethalt 5
	s_branch .LBB353_1431
.LBB353_1432:
	s_mov_b32 s2, -1
.LBB353_1433:
                                        ; implicit-def: $vgpr6
.LBB353_1434:
	s_and_b32 vcc_lo, exec_lo, s11
	s_cbranch_vccz .LBB353_1438
; %bb.1435:
	v_cmp_eq_u16_e32 vcc_lo, 44, v11
	s_cbranch_vccz .LBB353_1437
; %bb.1436:
	global_load_u8 v6, v[9:10], off
	s_mov_b32 s2, 0
	s_mov_b32 s10, -1
	s_waitcnt vmcnt(0)
	v_lshlrev_b32_e32 v7, 23, v6
	v_cmp_ne_u32_e32 vcc_lo, 0, v6
	s_delay_alu instid0(VALU_DEP_2) | instskip(NEXT) | instid1(VALU_DEP_1)
	v_trunc_f32_e32 v7, v7
	v_mul_f32_e64 v12, 0x2f800000, |v7|
	s_delay_alu instid0(VALU_DEP_1) | instskip(NEXT) | instid1(VALU_DEP_1)
	v_floor_f32_e32 v12, v12
	v_fma_f32 v12, 0xcf800000, v12, |v7|
	v_ashrrev_i32_e32 v7, 31, v7
	s_delay_alu instid0(VALU_DEP_2) | instskip(NEXT) | instid1(VALU_DEP_1)
	v_cvt_u32_f32_e32 v12, v12
	v_xor_b32_e32 v12, v12, v7
	s_delay_alu instid0(VALU_DEP_1) | instskip(NEXT) | instid1(VALU_DEP_1)
	v_sub_nc_u32_e32 v7, v12, v7
	v_cndmask_b32_e32 v6, 0, v7, vcc_lo
	s_branch .LBB353_1438
.LBB353_1437:
	s_mov_b32 s2, -1
                                        ; implicit-def: $vgpr6
.LBB353_1438:
	s_mov_b32 s11, 0
.LBB353_1439:
	s_delay_alu instid0(SALU_CYCLE_1)
	s_and_b32 vcc_lo, exec_lo, s11
	s_cbranch_vccz .LBB353_1443
; %bb.1440:
	v_cmp_eq_u16_e32 vcc_lo, 29, v11
	s_cbranch_vccz .LBB353_1442
; %bb.1441:
	global_load_b64 v[6:7], v[9:10], off
	s_mov_b32 s2, 0
	s_mov_b32 s10, -1
	s_branch .LBB353_1443
.LBB353_1442:
	s_mov_b32 s2, -1
                                        ; implicit-def: $vgpr6
.LBB353_1443:
	s_mov_b32 s11, 0
.LBB353_1444:
	s_delay_alu instid0(SALU_CYCLE_1)
	s_and_b32 vcc_lo, exec_lo, s11
	s_cbranch_vccz .LBB353_1460
; %bb.1445:
	v_cmp_gt_i16_e32 vcc_lo, 27, v11
	s_cbranch_vccnz .LBB353_1448
; %bb.1446:
	v_cmp_lt_i16_e32 vcc_lo, 27, v11
	s_cbranch_vccz .LBB353_1449
; %bb.1447:
	global_load_b32 v6, v[9:10], off
	s_mov_b32 s10, 0
	s_branch .LBB353_1450
.LBB353_1448:
	s_mov_b32 s10, -1
                                        ; implicit-def: $vgpr6
	s_branch .LBB353_1453
.LBB353_1449:
	s_mov_b32 s10, -1
                                        ; implicit-def: $vgpr6
.LBB353_1450:
	s_delay_alu instid0(SALU_CYCLE_1)
	s_and_not1_b32 vcc_lo, exec_lo, s10
	s_cbranch_vccnz .LBB353_1452
; %bb.1451:
	global_load_u16 v6, v[9:10], off
.LBB353_1452:
	s_mov_b32 s10, 0
.LBB353_1453:
	s_delay_alu instid0(SALU_CYCLE_1)
	s_and_not1_b32 vcc_lo, exec_lo, s10
	s_cbranch_vccnz .LBB353_1459
; %bb.1454:
	global_load_u8 v7, v[9:10], off
	s_mov_b32 s11, 0
	s_mov_b32 s10, exec_lo
                                        ; implicit-def: $sgpr12
	s_waitcnt vmcnt(0)
	v_cmpx_lt_i16_e32 0x7f, v7
	s_xor_b32 s10, exec_lo, s10
	s_cbranch_execz .LBB353_1471
; %bb.1455:
	v_cmp_ne_u16_e32 vcc_lo, 0x80, v7
	s_mov_b32 s12, 0
	s_and_b32 s11, vcc_lo, exec_lo
	s_or_saveexec_b32 s10, s10
	v_mov_b32_e32 v6, s12
	s_xor_b32 exec_lo, exec_lo, s10
	s_cbranch_execnz .LBB353_1472
.LBB353_1456:
	s_or_b32 exec_lo, exec_lo, s10
	s_and_saveexec_b32 s10, s11
	s_cbranch_execz .LBB353_1458
.LBB353_1457:
	v_and_b32_e32 v6, 0xffff, v7
	s_delay_alu instid0(VALU_DEP_1) | instskip(NEXT) | instid1(VALU_DEP_1)
	v_and_b32_e32 v12, 7, v6
	v_clz_i32_u32_e32 v13, v12
	s_delay_alu instid0(VALU_DEP_1) | instskip(NEXT) | instid1(VALU_DEP_1)
	v_min_u32_e32 v13, 32, v13
	v_subrev_nc_u32_e32 v14, 28, v13
	v_sub_nc_u32_e32 v13, 29, v13
	s_delay_alu instid0(VALU_DEP_2) | instskip(SKIP_1) | instid1(VALU_DEP_2)
	v_lshlrev_b32_e32 v14, v14, v6
	v_bfe_u32 v6, v6, 3, 4
	v_and_b32_e32 v14, 7, v14
	s_delay_alu instid0(VALU_DEP_2) | instskip(SKIP_1) | instid1(VALU_DEP_1)
	v_cmp_eq_u32_e32 vcc_lo, 0, v6
	v_dual_cndmask_b32 v6, v6, v13 :: v_dual_lshlrev_b32 v7, 24, v7
	v_dual_cndmask_b32 v12, v12, v14 :: v_dual_and_b32 v7, 0x80000000, v7
	s_delay_alu instid0(VALU_DEP_2) | instskip(NEXT) | instid1(VALU_DEP_2)
	v_lshl_add_u32 v6, v6, 23, 0x3b800000
	v_lshlrev_b32_e32 v12, 20, v12
	s_delay_alu instid0(VALU_DEP_1) | instskip(NEXT) | instid1(VALU_DEP_1)
	v_or3_b32 v6, v7, v6, v12
	v_trunc_f32_e32 v6, v6
	s_delay_alu instid0(VALU_DEP_1) | instskip(NEXT) | instid1(VALU_DEP_1)
	v_mul_f32_e64 v7, 0x2f800000, |v6|
	v_floor_f32_e32 v7, v7
	s_delay_alu instid0(VALU_DEP_1) | instskip(SKIP_1) | instid1(VALU_DEP_2)
	v_fma_f32 v7, 0xcf800000, v7, |v6|
	v_ashrrev_i32_e32 v6, 31, v6
	v_cvt_u32_f32_e32 v7, v7
	s_delay_alu instid0(VALU_DEP_1) | instskip(NEXT) | instid1(VALU_DEP_1)
	v_xor_b32_e32 v7, v7, v6
	v_sub_nc_u32_e32 v6, v7, v6
.LBB353_1458:
	s_or_b32 exec_lo, exec_lo, s10
.LBB353_1459:
	s_mov_b32 s10, -1
.LBB353_1460:
	s_mov_b32 s11, 0
.LBB353_1461:
	s_delay_alu instid0(SALU_CYCLE_1)
	s_and_b32 vcc_lo, exec_lo, s11
	s_cbranch_vccz .LBB353_1492
; %bb.1462:
	v_cmp_lt_i16_e32 vcc_lo, 22, v11
	s_cbranch_vccz .LBB353_1470
; %bb.1463:
	v_cmp_gt_i16_e32 vcc_lo, 24, v11
	s_cbranch_vccnz .LBB353_1473
; %bb.1464:
	v_cmp_lt_i16_e32 vcc_lo, 24, v11
	s_cbranch_vccz .LBB353_1474
; %bb.1465:
	global_load_u8 v7, v[9:10], off
	s_mov_b32 s10, 0
	s_mov_b32 s3, exec_lo
                                        ; implicit-def: $sgpr11
	s_waitcnt vmcnt(0)
	v_cmpx_lt_i16_e32 0x7f, v7
	s_xor_b32 s3, exec_lo, s3
	s_cbranch_execz .LBB353_1486
; %bb.1466:
	v_cmp_ne_u16_e32 vcc_lo, 0x80, v7
	s_mov_b32 s11, 0
	s_and_b32 s10, vcc_lo, exec_lo
	s_or_saveexec_b32 s3, s3
	v_mov_b32_e32 v6, s11
	s_xor_b32 exec_lo, exec_lo, s3
	s_cbranch_execnz .LBB353_1487
.LBB353_1467:
	s_or_b32 exec_lo, exec_lo, s3
	s_and_saveexec_b32 s3, s10
	s_cbranch_execz .LBB353_1469
.LBB353_1468:
	v_and_b32_e32 v6, 0xffff, v7
	s_delay_alu instid0(VALU_DEP_1) | instskip(NEXT) | instid1(VALU_DEP_1)
	v_and_b32_e32 v12, 3, v6
	v_clz_i32_u32_e32 v13, v12
	s_delay_alu instid0(VALU_DEP_1) | instskip(NEXT) | instid1(VALU_DEP_1)
	v_min_u32_e32 v13, 32, v13
	v_subrev_nc_u32_e32 v14, 29, v13
	v_sub_nc_u32_e32 v13, 30, v13
	s_delay_alu instid0(VALU_DEP_2) | instskip(SKIP_1) | instid1(VALU_DEP_2)
	v_lshlrev_b32_e32 v14, v14, v6
	v_bfe_u32 v6, v6, 2, 5
	v_and_b32_e32 v14, 3, v14
	s_delay_alu instid0(VALU_DEP_2) | instskip(SKIP_1) | instid1(VALU_DEP_1)
	v_cmp_eq_u32_e32 vcc_lo, 0, v6
	v_dual_cndmask_b32 v6, v6, v13 :: v_dual_lshlrev_b32 v7, 24, v7
	v_dual_cndmask_b32 v12, v12, v14 :: v_dual_and_b32 v7, 0x80000000, v7
	s_delay_alu instid0(VALU_DEP_2) | instskip(NEXT) | instid1(VALU_DEP_2)
	v_lshl_add_u32 v6, v6, 23, 0x37800000
	v_lshlrev_b32_e32 v12, 21, v12
	s_delay_alu instid0(VALU_DEP_1) | instskip(NEXT) | instid1(VALU_DEP_1)
	v_or3_b32 v6, v7, v6, v12
	v_trunc_f32_e32 v6, v6
	s_delay_alu instid0(VALU_DEP_1) | instskip(NEXT) | instid1(VALU_DEP_1)
	v_mul_f32_e64 v7, 0x2f800000, |v6|
	v_floor_f32_e32 v7, v7
	s_delay_alu instid0(VALU_DEP_1) | instskip(SKIP_1) | instid1(VALU_DEP_2)
	v_fma_f32 v7, 0xcf800000, v7, |v6|
	v_ashrrev_i32_e32 v6, 31, v6
	v_cvt_u32_f32_e32 v7, v7
	s_delay_alu instid0(VALU_DEP_1) | instskip(NEXT) | instid1(VALU_DEP_1)
	v_xor_b32_e32 v7, v7, v6
	v_sub_nc_u32_e32 v6, v7, v6
.LBB353_1469:
	s_or_b32 exec_lo, exec_lo, s3
	s_mov_b32 s3, 0
	s_branch .LBB353_1475
.LBB353_1470:
	s_mov_b32 s3, -1
                                        ; implicit-def: $vgpr6
	s_branch .LBB353_1481
.LBB353_1471:
	s_or_saveexec_b32 s10, s10
	v_mov_b32_e32 v6, s12
	s_xor_b32 exec_lo, exec_lo, s10
	s_cbranch_execz .LBB353_1456
.LBB353_1472:
	v_cmp_ne_u16_e32 vcc_lo, 0, v7
	v_mov_b32_e32 v6, 0
	s_and_not1_b32 s11, s11, exec_lo
	s_and_b32 s12, vcc_lo, exec_lo
	s_delay_alu instid0(SALU_CYCLE_1)
	s_or_b32 s11, s11, s12
	s_or_b32 exec_lo, exec_lo, s10
	s_and_saveexec_b32 s10, s11
	s_cbranch_execnz .LBB353_1457
	s_branch .LBB353_1458
.LBB353_1473:
	s_mov_b32 s3, -1
                                        ; implicit-def: $vgpr6
	s_branch .LBB353_1478
.LBB353_1474:
	s_mov_b32 s3, -1
                                        ; implicit-def: $vgpr6
.LBB353_1475:
	s_delay_alu instid0(SALU_CYCLE_1)
	s_and_b32 vcc_lo, exec_lo, s3
	s_cbranch_vccz .LBB353_1477
; %bb.1476:
	global_load_u8 v6, v[9:10], off
	s_waitcnt vmcnt(0)
	v_lshlrev_b32_e32 v6, 24, v6
	s_delay_alu instid0(VALU_DEP_1) | instskip(NEXT) | instid1(VALU_DEP_1)
	v_and_b32_e32 v7, 0x7f000000, v6
	v_clz_i32_u32_e32 v12, v7
	v_add_nc_u32_e32 v14, 0x1000000, v7
	v_cmp_ne_u32_e32 vcc_lo, 0, v7
	s_delay_alu instid0(VALU_DEP_3) | instskip(NEXT) | instid1(VALU_DEP_1)
	v_min_u32_e32 v12, 32, v12
	v_sub_nc_u32_e64 v12, v12, 4 clamp
	s_delay_alu instid0(VALU_DEP_1) | instskip(SKIP_1) | instid1(VALU_DEP_2)
	v_lshlrev_b32_e32 v13, v12, v7
	v_lshlrev_b32_e32 v12, 23, v12
	v_lshrrev_b32_e32 v13, 4, v13
	s_delay_alu instid0(VALU_DEP_1) | instskip(SKIP_1) | instid1(VALU_DEP_2)
	v_sub_nc_u32_e32 v12, v13, v12
	v_ashrrev_i32_e32 v13, 8, v14
	v_add_nc_u32_e32 v12, 0x3c000000, v12
	s_delay_alu instid0(VALU_DEP_1) | instskip(NEXT) | instid1(VALU_DEP_1)
	v_and_or_b32 v12, 0x7f800000, v13, v12
	v_cndmask_b32_e32 v7, 0, v12, vcc_lo
	s_delay_alu instid0(VALU_DEP_1) | instskip(NEXT) | instid1(VALU_DEP_1)
	v_and_or_b32 v6, 0x80000000, v6, v7
	v_trunc_f32_e32 v6, v6
	s_delay_alu instid0(VALU_DEP_1) | instskip(NEXT) | instid1(VALU_DEP_1)
	v_mul_f32_e64 v7, 0x2f800000, |v6|
	v_floor_f32_e32 v7, v7
	s_delay_alu instid0(VALU_DEP_1) | instskip(SKIP_1) | instid1(VALU_DEP_2)
	v_fma_f32 v7, 0xcf800000, v7, |v6|
	v_ashrrev_i32_e32 v6, 31, v6
	v_cvt_u32_f32_e32 v7, v7
	s_delay_alu instid0(VALU_DEP_1) | instskip(NEXT) | instid1(VALU_DEP_1)
	v_xor_b32_e32 v7, v7, v6
	v_sub_nc_u32_e32 v6, v7, v6
.LBB353_1477:
	s_mov_b32 s3, 0
.LBB353_1478:
	s_delay_alu instid0(SALU_CYCLE_1)
	s_and_not1_b32 vcc_lo, exec_lo, s3
	s_cbranch_vccnz .LBB353_1480
; %bb.1479:
	global_load_u8 v6, v[9:10], off
	s_waitcnt vmcnt(0)
	v_lshlrev_b32_e32 v7, 25, v6
	v_lshlrev_b16 v6, 8, v6
	s_delay_alu instid0(VALU_DEP_2) | instskip(NEXT) | instid1(VALU_DEP_2)
	v_lshrrev_b32_e32 v12, 4, v7
	v_and_or_b32 v13, 0x7f00, v6, 0.5
	v_bfe_i32 v6, v6, 0, 16
	s_delay_alu instid0(VALU_DEP_3) | instskip(NEXT) | instid1(VALU_DEP_1)
	v_or_b32_e32 v12, 0x70000000, v12
	v_dual_add_f32 v13, -0.5, v13 :: v_dual_mul_f32 v12, 0x7800000, v12
	v_cmp_gt_u32_e32 vcc_lo, 0x8000000, v7
	s_delay_alu instid0(VALU_DEP_2) | instskip(NEXT) | instid1(VALU_DEP_1)
	v_cndmask_b32_e32 v7, v12, v13, vcc_lo
	v_and_or_b32 v6, 0x80000000, v6, v7
	s_delay_alu instid0(VALU_DEP_1) | instskip(NEXT) | instid1(VALU_DEP_1)
	v_trunc_f32_e32 v6, v6
	v_mul_f32_e64 v7, 0x2f800000, |v6|
	s_delay_alu instid0(VALU_DEP_1) | instskip(NEXT) | instid1(VALU_DEP_1)
	v_floor_f32_e32 v7, v7
	v_fma_f32 v7, 0xcf800000, v7, |v6|
	v_ashrrev_i32_e32 v6, 31, v6
	s_delay_alu instid0(VALU_DEP_2) | instskip(NEXT) | instid1(VALU_DEP_1)
	v_cvt_u32_f32_e32 v7, v7
	v_xor_b32_e32 v7, v7, v6
	s_delay_alu instid0(VALU_DEP_1)
	v_sub_nc_u32_e32 v6, v7, v6
.LBB353_1480:
	s_mov_b32 s3, 0
	s_mov_b32 s10, -1
.LBB353_1481:
	s_and_not1_b32 vcc_lo, exec_lo, s3
	s_mov_b32 s3, 0
	s_cbranch_vccnz .LBB353_1492
; %bb.1482:
	v_cmp_lt_i16_e32 vcc_lo, 14, v11
	s_cbranch_vccz .LBB353_1485
; %bb.1483:
	v_cmp_eq_u16_e32 vcc_lo, 15, v11
	s_cbranch_vccz .LBB353_1488
; %bb.1484:
	global_load_u16 v6, v[9:10], off
	s_mov_b32 s2, 0
	s_mov_b32 s10, -1
	s_waitcnt vmcnt(0)
	v_lshlrev_b32_e32 v6, 16, v6
	s_delay_alu instid0(VALU_DEP_1) | instskip(NEXT) | instid1(VALU_DEP_1)
	v_trunc_f32_e32 v6, v6
	v_mul_f32_e64 v7, 0x2f800000, |v6|
	s_delay_alu instid0(VALU_DEP_1) | instskip(NEXT) | instid1(VALU_DEP_1)
	v_floor_f32_e32 v7, v7
	v_fma_f32 v7, 0xcf800000, v7, |v6|
	v_ashrrev_i32_e32 v6, 31, v6
	s_delay_alu instid0(VALU_DEP_2) | instskip(NEXT) | instid1(VALU_DEP_1)
	v_cvt_u32_f32_e32 v7, v7
	v_xor_b32_e32 v7, v7, v6
	s_delay_alu instid0(VALU_DEP_1)
	v_sub_nc_u32_e32 v6, v7, v6
	s_branch .LBB353_1490
.LBB353_1485:
	s_mov_b32 s3, -1
	s_branch .LBB353_1489
.LBB353_1486:
	s_or_saveexec_b32 s3, s3
	v_mov_b32_e32 v6, s11
	s_xor_b32 exec_lo, exec_lo, s3
	s_cbranch_execz .LBB353_1467
.LBB353_1487:
	v_cmp_ne_u16_e32 vcc_lo, 0, v7
	v_mov_b32_e32 v6, 0
	s_and_not1_b32 s10, s10, exec_lo
	s_and_b32 s11, vcc_lo, exec_lo
	s_delay_alu instid0(SALU_CYCLE_1)
	s_or_b32 s10, s10, s11
	s_or_b32 exec_lo, exec_lo, s3
	s_and_saveexec_b32 s3, s10
	s_cbranch_execnz .LBB353_1468
	s_branch .LBB353_1469
.LBB353_1488:
	s_mov_b32 s2, -1
.LBB353_1489:
                                        ; implicit-def: $vgpr6
.LBB353_1490:
	s_and_b32 vcc_lo, exec_lo, s3
	s_mov_b32 s3, 0
	s_cbranch_vccz .LBB353_1492
; %bb.1491:
	v_cmp_ne_u16_e64 s2, 11, v11
	s_mov_b32 s3, -1
                                        ; implicit-def: $vgpr6
.LBB353_1492:
	s_delay_alu instid0(VALU_DEP_1)
	s_and_b32 vcc_lo, exec_lo, s2
	s_cbranch_vccnz .LBB353_1508
; %bb.1493:
	s_and_not1_b32 vcc_lo, exec_lo, s3
	s_cbranch_vccnz .LBB353_1495
.LBB353_1494:
	global_load_u8 v6, v[9:10], off
	s_mov_b32 s10, -1
	s_waitcnt vmcnt(0)
	v_cmp_ne_u16_e32 vcc_lo, 0, v6
	v_cndmask_b32_e64 v6, 0, 1, vcc_lo
.LBB353_1495:
.LBB353_1496:
	s_and_not1_b32 vcc_lo, exec_lo, s10
	s_cbranch_vccnz .LBB353_2057
.LBB353_1497:
	v_cmp_gt_i16_e32 vcc_lo, 11, v11
	v_add_co_u32 v9, s2, s6, v8
	s_delay_alu instid0(VALU_DEP_1)
	v_add_co_ci_u32_e64 v10, null, s7, 0, s2
	s_mov_b32 s6, 0
	s_cbranch_vccnz .LBB353_1504
; %bb.1498:
	v_cmp_lt_i16_e32 vcc_lo, 25, v11
	s_mov_b32 s3, 0
	s_cbranch_vccz .LBB353_1505
; %bb.1499:
	v_cmp_lt_i16_e32 vcc_lo, 28, v11
	s_cbranch_vccz .LBB353_1506
; %bb.1500:
	v_cmp_lt_i16_e32 vcc_lo, 43, v11
	;; [unrolled: 3-line block ×3, first 2 shown]
	s_cbranch_vccz .LBB353_1510
; %bb.1502:
	v_cmp_eq_u16_e32 vcc_lo, 46, v11
	s_mov_b32 s7, 0
	s_cbranch_vccz .LBB353_1513
; %bb.1503:
	global_load_b32 v7, v[9:10], off
	s_mov_b32 s2, 0
	s_mov_b32 s6, -1
	s_waitcnt vmcnt(0)
	v_lshlrev_b32_e32 v7, 16, v7
	s_delay_alu instid0(VALU_DEP_1) | instskip(NEXT) | instid1(VALU_DEP_1)
	v_trunc_f32_e32 v7, v7
	v_mul_f32_e64 v8, 0x2f800000, |v7|
	s_delay_alu instid0(VALU_DEP_1) | instskip(NEXT) | instid1(VALU_DEP_1)
	v_floor_f32_e32 v8, v8
	v_fma_f32 v8, 0xcf800000, v8, |v7|
	v_ashrrev_i32_e32 v7, 31, v7
	s_delay_alu instid0(VALU_DEP_2) | instskip(NEXT) | instid1(VALU_DEP_1)
	v_cvt_u32_f32_e32 v8, v8
	v_xor_b32_e32 v8, v8, v7
	s_delay_alu instid0(VALU_DEP_1)
	v_sub_nc_u32_e32 v7, v8, v7
	s_branch .LBB353_1515
.LBB353_1504:
	s_mov_b32 s2, -1
                                        ; implicit-def: $vgpr7
	s_branch .LBB353_1577
.LBB353_1505:
	s_mov_b32 s7, -1
	s_mov_b32 s2, 0
                                        ; implicit-def: $vgpr7
	s_branch .LBB353_1542
.LBB353_1506:
	s_mov_b32 s7, -1
	s_mov_b32 s2, 0
                                        ; implicit-def: $vgpr7
	s_branch .LBB353_1525
.LBB353_1507:
	s_mov_b32 s7, -1
	s_mov_b32 s2, 0
                                        ; implicit-def: $vgpr7
	s_branch .LBB353_1520
.LBB353_1508:
	s_cbranch_execnz .LBB353_1511
; %bb.1509:
	s_or_b32 s1, s1, exec_lo
                                        ; implicit-def: $vgpr6
	s_cbranch_execz .LBB353_1494
	s_branch .LBB353_1495
.LBB353_1510:
	s_mov_b32 s7, -1
	s_mov_b32 s2, 0
	s_branch .LBB353_1514
.LBB353_1511:
	s_trap 2
	s_sendmsg_rtn_b32 s0, sendmsg(MSG_RTN_GET_DOORBELL)
	s_mov_b32 ttmp2, m0
	s_waitcnt lgkmcnt(0)
	s_and_b32 s0, s0, 0x3ff
	s_delay_alu instid0(SALU_CYCLE_1) | instskip(NEXT) | instid1(SALU_CYCLE_1)
	s_bitset1_b32 s0, 10
	s_mov_b32 m0, s0
	s_sendmsg sendmsg(MSG_INTERRUPT)
	s_mov_b32 m0, ttmp2
.LBB353_1512:                           ; =>This Inner Loop Header: Depth=1
	s_sethalt 5
	s_branch .LBB353_1512
.LBB353_1513:
	s_mov_b32 s2, -1
.LBB353_1514:
                                        ; implicit-def: $vgpr7
.LBB353_1515:
	s_and_b32 vcc_lo, exec_lo, s7
	s_cbranch_vccz .LBB353_1519
; %bb.1516:
	v_cmp_eq_u16_e32 vcc_lo, 44, v11
	s_cbranch_vccz .LBB353_1518
; %bb.1517:
	global_load_u8 v7, v[9:10], off
	s_mov_b32 s2, 0
	s_mov_b32 s6, -1
	s_waitcnt vmcnt(0)
	v_lshlrev_b32_e32 v8, 23, v7
	v_cmp_ne_u32_e32 vcc_lo, 0, v7
	s_delay_alu instid0(VALU_DEP_2) | instskip(NEXT) | instid1(VALU_DEP_1)
	v_trunc_f32_e32 v8, v8
	v_mul_f32_e64 v12, 0x2f800000, |v8|
	s_delay_alu instid0(VALU_DEP_1) | instskip(NEXT) | instid1(VALU_DEP_1)
	v_floor_f32_e32 v12, v12
	v_fma_f32 v12, 0xcf800000, v12, |v8|
	v_ashrrev_i32_e32 v8, 31, v8
	s_delay_alu instid0(VALU_DEP_2) | instskip(NEXT) | instid1(VALU_DEP_1)
	v_cvt_u32_f32_e32 v12, v12
	v_xor_b32_e32 v12, v12, v8
	s_delay_alu instid0(VALU_DEP_1) | instskip(NEXT) | instid1(VALU_DEP_1)
	v_sub_nc_u32_e32 v8, v12, v8
	v_cndmask_b32_e32 v7, 0, v8, vcc_lo
	s_branch .LBB353_1519
.LBB353_1518:
	s_mov_b32 s2, -1
                                        ; implicit-def: $vgpr7
.LBB353_1519:
	s_mov_b32 s7, 0
.LBB353_1520:
	s_delay_alu instid0(SALU_CYCLE_1)
	s_and_b32 vcc_lo, exec_lo, s7
	s_cbranch_vccz .LBB353_1524
; %bb.1521:
	v_cmp_eq_u16_e32 vcc_lo, 29, v11
	s_cbranch_vccz .LBB353_1523
; %bb.1522:
	global_load_b64 v[7:8], v[9:10], off
	s_mov_b32 s2, 0
	s_mov_b32 s6, -1
	s_branch .LBB353_1524
.LBB353_1523:
	s_mov_b32 s2, -1
                                        ; implicit-def: $vgpr7
.LBB353_1524:
	s_mov_b32 s7, 0
.LBB353_1525:
	s_delay_alu instid0(SALU_CYCLE_1)
	s_and_b32 vcc_lo, exec_lo, s7
	s_cbranch_vccz .LBB353_1541
; %bb.1526:
	v_cmp_gt_i16_e32 vcc_lo, 27, v11
	s_cbranch_vccnz .LBB353_1529
; %bb.1527:
	v_cmp_lt_i16_e32 vcc_lo, 27, v11
	s_cbranch_vccz .LBB353_1530
; %bb.1528:
	global_load_b32 v7, v[9:10], off
	s_mov_b32 s6, 0
	s_branch .LBB353_1531
.LBB353_1529:
	s_mov_b32 s6, -1
                                        ; implicit-def: $vgpr7
	s_branch .LBB353_1534
.LBB353_1530:
	s_mov_b32 s6, -1
                                        ; implicit-def: $vgpr7
.LBB353_1531:
	s_delay_alu instid0(SALU_CYCLE_1)
	s_and_not1_b32 vcc_lo, exec_lo, s6
	s_cbranch_vccnz .LBB353_1533
; %bb.1532:
	global_load_u16 v7, v[9:10], off
.LBB353_1533:
	s_mov_b32 s6, 0
.LBB353_1534:
	s_delay_alu instid0(SALU_CYCLE_1)
	s_and_not1_b32 vcc_lo, exec_lo, s6
	s_cbranch_vccnz .LBB353_1540
; %bb.1535:
	global_load_u8 v8, v[9:10], off
	s_mov_b32 s7, 0
	s_mov_b32 s6, exec_lo
                                        ; implicit-def: $sgpr10
	s_waitcnt vmcnt(0)
	v_cmpx_lt_i16_e32 0x7f, v8
	s_xor_b32 s6, exec_lo, s6
	s_cbranch_execz .LBB353_1552
; %bb.1536:
	v_cmp_ne_u16_e32 vcc_lo, 0x80, v8
	s_mov_b32 s10, 0
	s_and_b32 s7, vcc_lo, exec_lo
	s_or_saveexec_b32 s6, s6
	v_mov_b32_e32 v7, s10
	s_xor_b32 exec_lo, exec_lo, s6
	s_cbranch_execnz .LBB353_1553
.LBB353_1537:
	s_or_b32 exec_lo, exec_lo, s6
	s_and_saveexec_b32 s6, s7
	s_cbranch_execz .LBB353_1539
.LBB353_1538:
	v_and_b32_e32 v7, 0xffff, v8
	v_lshlrev_b32_e32 v8, 24, v8
	s_delay_alu instid0(VALU_DEP_2) | instskip(NEXT) | instid1(VALU_DEP_2)
	v_and_b32_e32 v12, 7, v7
	v_and_b32_e32 v8, 0x80000000, v8
	s_delay_alu instid0(VALU_DEP_2) | instskip(NEXT) | instid1(VALU_DEP_1)
	v_clz_i32_u32_e32 v13, v12
	v_min_u32_e32 v13, 32, v13
	s_delay_alu instid0(VALU_DEP_1) | instskip(SKIP_1) | instid1(VALU_DEP_2)
	v_subrev_nc_u32_e32 v14, 28, v13
	v_sub_nc_u32_e32 v13, 29, v13
	v_lshlrev_b32_e32 v14, v14, v7
	v_bfe_u32 v7, v7, 3, 4
	s_delay_alu instid0(VALU_DEP_2) | instskip(NEXT) | instid1(VALU_DEP_2)
	v_and_b32_e32 v14, 7, v14
	v_cmp_eq_u32_e32 vcc_lo, 0, v7
	s_delay_alu instid0(VALU_DEP_2) | instskip(NEXT) | instid1(VALU_DEP_1)
	v_dual_cndmask_b32 v7, v7, v13 :: v_dual_cndmask_b32 v12, v12, v14
	v_lshl_add_u32 v7, v7, 23, 0x3b800000
	s_delay_alu instid0(VALU_DEP_2) | instskip(NEXT) | instid1(VALU_DEP_1)
	v_lshlrev_b32_e32 v12, 20, v12
	v_or3_b32 v7, v8, v7, v12
	s_delay_alu instid0(VALU_DEP_1) | instskip(NEXT) | instid1(VALU_DEP_1)
	v_trunc_f32_e32 v7, v7
	v_mul_f32_e64 v8, 0x2f800000, |v7|
	s_delay_alu instid0(VALU_DEP_1) | instskip(NEXT) | instid1(VALU_DEP_1)
	v_floor_f32_e32 v8, v8
	v_fma_f32 v8, 0xcf800000, v8, |v7|
	v_ashrrev_i32_e32 v7, 31, v7
	s_delay_alu instid0(VALU_DEP_2) | instskip(NEXT) | instid1(VALU_DEP_1)
	v_cvt_u32_f32_e32 v8, v8
	v_xor_b32_e32 v8, v8, v7
	s_delay_alu instid0(VALU_DEP_1)
	v_sub_nc_u32_e32 v7, v8, v7
.LBB353_1539:
	s_or_b32 exec_lo, exec_lo, s6
.LBB353_1540:
	s_mov_b32 s6, -1
.LBB353_1541:
	s_mov_b32 s7, 0
.LBB353_1542:
	s_delay_alu instid0(SALU_CYCLE_1)
	s_and_b32 vcc_lo, exec_lo, s7
	s_cbranch_vccz .LBB353_1573
; %bb.1543:
	v_cmp_lt_i16_e32 vcc_lo, 22, v11
	s_cbranch_vccz .LBB353_1551
; %bb.1544:
	v_cmp_gt_i16_e32 vcc_lo, 24, v11
	s_cbranch_vccnz .LBB353_1554
; %bb.1545:
	v_cmp_lt_i16_e32 vcc_lo, 24, v11
	s_cbranch_vccz .LBB353_1555
; %bb.1546:
	global_load_u8 v8, v[9:10], off
	s_mov_b32 s6, 0
	s_mov_b32 s3, exec_lo
                                        ; implicit-def: $sgpr7
	s_waitcnt vmcnt(0)
	v_cmpx_lt_i16_e32 0x7f, v8
	s_xor_b32 s3, exec_lo, s3
	s_cbranch_execz .LBB353_1567
; %bb.1547:
	v_cmp_ne_u16_e32 vcc_lo, 0x80, v8
	s_mov_b32 s7, 0
	s_and_b32 s6, vcc_lo, exec_lo
	s_or_saveexec_b32 s3, s3
	v_mov_b32_e32 v7, s7
	s_xor_b32 exec_lo, exec_lo, s3
	s_cbranch_execnz .LBB353_1568
.LBB353_1548:
	s_or_b32 exec_lo, exec_lo, s3
	s_and_saveexec_b32 s3, s6
	s_cbranch_execz .LBB353_1550
.LBB353_1549:
	v_and_b32_e32 v7, 0xffff, v8
	v_lshlrev_b32_e32 v8, 24, v8
	s_delay_alu instid0(VALU_DEP_2) | instskip(NEXT) | instid1(VALU_DEP_2)
	v_and_b32_e32 v12, 3, v7
	v_and_b32_e32 v8, 0x80000000, v8
	s_delay_alu instid0(VALU_DEP_2) | instskip(NEXT) | instid1(VALU_DEP_1)
	v_clz_i32_u32_e32 v13, v12
	v_min_u32_e32 v13, 32, v13
	s_delay_alu instid0(VALU_DEP_1) | instskip(SKIP_1) | instid1(VALU_DEP_2)
	v_subrev_nc_u32_e32 v14, 29, v13
	v_sub_nc_u32_e32 v13, 30, v13
	v_lshlrev_b32_e32 v14, v14, v7
	v_bfe_u32 v7, v7, 2, 5
	s_delay_alu instid0(VALU_DEP_2) | instskip(NEXT) | instid1(VALU_DEP_2)
	v_and_b32_e32 v14, 3, v14
	v_cmp_eq_u32_e32 vcc_lo, 0, v7
	s_delay_alu instid0(VALU_DEP_2) | instskip(NEXT) | instid1(VALU_DEP_1)
	v_dual_cndmask_b32 v7, v7, v13 :: v_dual_cndmask_b32 v12, v12, v14
	v_lshl_add_u32 v7, v7, 23, 0x37800000
	s_delay_alu instid0(VALU_DEP_2) | instskip(NEXT) | instid1(VALU_DEP_1)
	v_lshlrev_b32_e32 v12, 21, v12
	v_or3_b32 v7, v8, v7, v12
	s_delay_alu instid0(VALU_DEP_1) | instskip(NEXT) | instid1(VALU_DEP_1)
	v_trunc_f32_e32 v7, v7
	v_mul_f32_e64 v8, 0x2f800000, |v7|
	s_delay_alu instid0(VALU_DEP_1) | instskip(NEXT) | instid1(VALU_DEP_1)
	v_floor_f32_e32 v8, v8
	v_fma_f32 v8, 0xcf800000, v8, |v7|
	v_ashrrev_i32_e32 v7, 31, v7
	s_delay_alu instid0(VALU_DEP_2) | instskip(NEXT) | instid1(VALU_DEP_1)
	v_cvt_u32_f32_e32 v8, v8
	v_xor_b32_e32 v8, v8, v7
	s_delay_alu instid0(VALU_DEP_1)
	v_sub_nc_u32_e32 v7, v8, v7
.LBB353_1550:
	s_or_b32 exec_lo, exec_lo, s3
	s_mov_b32 s3, 0
	s_branch .LBB353_1556
.LBB353_1551:
	s_mov_b32 s3, -1
                                        ; implicit-def: $vgpr7
	s_branch .LBB353_1562
.LBB353_1552:
	s_or_saveexec_b32 s6, s6
	v_mov_b32_e32 v7, s10
	s_xor_b32 exec_lo, exec_lo, s6
	s_cbranch_execz .LBB353_1537
.LBB353_1553:
	v_cmp_ne_u16_e32 vcc_lo, 0, v8
	v_mov_b32_e32 v7, 0
	s_and_not1_b32 s7, s7, exec_lo
	s_and_b32 s10, vcc_lo, exec_lo
	s_delay_alu instid0(SALU_CYCLE_1)
	s_or_b32 s7, s7, s10
	s_or_b32 exec_lo, exec_lo, s6
	s_and_saveexec_b32 s6, s7
	s_cbranch_execnz .LBB353_1538
	s_branch .LBB353_1539
.LBB353_1554:
	s_mov_b32 s3, -1
                                        ; implicit-def: $vgpr7
	s_branch .LBB353_1559
.LBB353_1555:
	s_mov_b32 s3, -1
                                        ; implicit-def: $vgpr7
.LBB353_1556:
	s_delay_alu instid0(SALU_CYCLE_1)
	s_and_b32 vcc_lo, exec_lo, s3
	s_cbranch_vccz .LBB353_1558
; %bb.1557:
	global_load_u8 v7, v[9:10], off
	s_waitcnt vmcnt(0)
	v_lshlrev_b32_e32 v7, 24, v7
	s_delay_alu instid0(VALU_DEP_1) | instskip(NEXT) | instid1(VALU_DEP_1)
	v_and_b32_e32 v8, 0x7f000000, v7
	v_clz_i32_u32_e32 v12, v8
	v_add_nc_u32_e32 v14, 0x1000000, v8
	v_cmp_ne_u32_e32 vcc_lo, 0, v8
	s_delay_alu instid0(VALU_DEP_3) | instskip(NEXT) | instid1(VALU_DEP_1)
	v_min_u32_e32 v12, 32, v12
	v_sub_nc_u32_e64 v12, v12, 4 clamp
	s_delay_alu instid0(VALU_DEP_1) | instskip(SKIP_1) | instid1(VALU_DEP_2)
	v_lshlrev_b32_e32 v13, v12, v8
	v_lshlrev_b32_e32 v12, 23, v12
	v_lshrrev_b32_e32 v13, 4, v13
	s_delay_alu instid0(VALU_DEP_1) | instskip(SKIP_1) | instid1(VALU_DEP_2)
	v_sub_nc_u32_e32 v12, v13, v12
	v_ashrrev_i32_e32 v13, 8, v14
	v_add_nc_u32_e32 v12, 0x3c000000, v12
	s_delay_alu instid0(VALU_DEP_1) | instskip(NEXT) | instid1(VALU_DEP_1)
	v_and_or_b32 v12, 0x7f800000, v13, v12
	v_cndmask_b32_e32 v8, 0, v12, vcc_lo
	s_delay_alu instid0(VALU_DEP_1) | instskip(NEXT) | instid1(VALU_DEP_1)
	v_and_or_b32 v7, 0x80000000, v7, v8
	v_trunc_f32_e32 v7, v7
	s_delay_alu instid0(VALU_DEP_1) | instskip(NEXT) | instid1(VALU_DEP_1)
	v_mul_f32_e64 v8, 0x2f800000, |v7|
	v_floor_f32_e32 v8, v8
	s_delay_alu instid0(VALU_DEP_1) | instskip(SKIP_1) | instid1(VALU_DEP_2)
	v_fma_f32 v8, 0xcf800000, v8, |v7|
	v_ashrrev_i32_e32 v7, 31, v7
	v_cvt_u32_f32_e32 v8, v8
	s_delay_alu instid0(VALU_DEP_1) | instskip(NEXT) | instid1(VALU_DEP_1)
	v_xor_b32_e32 v8, v8, v7
	v_sub_nc_u32_e32 v7, v8, v7
.LBB353_1558:
	s_mov_b32 s3, 0
.LBB353_1559:
	s_delay_alu instid0(SALU_CYCLE_1)
	s_and_not1_b32 vcc_lo, exec_lo, s3
	s_cbranch_vccnz .LBB353_1561
; %bb.1560:
	global_load_u8 v7, v[9:10], off
	s_waitcnt vmcnt(0)
	v_lshlrev_b32_e32 v8, 25, v7
	v_lshlrev_b16 v7, 8, v7
	s_delay_alu instid0(VALU_DEP_1) | instskip(SKIP_1) | instid1(VALU_DEP_2)
	v_and_or_b32 v13, 0x7f00, v7, 0.5
	v_bfe_i32 v7, v7, 0, 16
	v_add_f32_e32 v13, -0.5, v13
	v_lshrrev_b32_e32 v12, 4, v8
	v_cmp_gt_u32_e32 vcc_lo, 0x8000000, v8
	s_delay_alu instid0(VALU_DEP_2) | instskip(NEXT) | instid1(VALU_DEP_1)
	v_or_b32_e32 v12, 0x70000000, v12
	v_mul_f32_e32 v12, 0x7800000, v12
	s_delay_alu instid0(VALU_DEP_1) | instskip(NEXT) | instid1(VALU_DEP_1)
	v_cndmask_b32_e32 v8, v12, v13, vcc_lo
	v_and_or_b32 v7, 0x80000000, v7, v8
	s_delay_alu instid0(VALU_DEP_1) | instskip(NEXT) | instid1(VALU_DEP_1)
	v_trunc_f32_e32 v7, v7
	v_mul_f32_e64 v8, 0x2f800000, |v7|
	s_delay_alu instid0(VALU_DEP_1) | instskip(NEXT) | instid1(VALU_DEP_1)
	v_floor_f32_e32 v8, v8
	v_fma_f32 v8, 0xcf800000, v8, |v7|
	v_ashrrev_i32_e32 v7, 31, v7
	s_delay_alu instid0(VALU_DEP_2) | instskip(NEXT) | instid1(VALU_DEP_1)
	v_cvt_u32_f32_e32 v8, v8
	v_xor_b32_e32 v8, v8, v7
	s_delay_alu instid0(VALU_DEP_1)
	v_sub_nc_u32_e32 v7, v8, v7
.LBB353_1561:
	s_mov_b32 s3, 0
	s_mov_b32 s6, -1
.LBB353_1562:
	s_and_not1_b32 vcc_lo, exec_lo, s3
	s_mov_b32 s3, 0
	s_cbranch_vccnz .LBB353_1573
; %bb.1563:
	v_cmp_lt_i16_e32 vcc_lo, 14, v11
	s_cbranch_vccz .LBB353_1566
; %bb.1564:
	v_cmp_eq_u16_e32 vcc_lo, 15, v11
	s_cbranch_vccz .LBB353_1569
; %bb.1565:
	global_load_u16 v7, v[9:10], off
	s_mov_b32 s2, 0
	s_mov_b32 s6, -1
	s_waitcnt vmcnt(0)
	v_lshlrev_b32_e32 v7, 16, v7
	s_delay_alu instid0(VALU_DEP_1) | instskip(NEXT) | instid1(VALU_DEP_1)
	v_trunc_f32_e32 v7, v7
	v_mul_f32_e64 v8, 0x2f800000, |v7|
	s_delay_alu instid0(VALU_DEP_1) | instskip(NEXT) | instid1(VALU_DEP_1)
	v_floor_f32_e32 v8, v8
	v_fma_f32 v8, 0xcf800000, v8, |v7|
	v_ashrrev_i32_e32 v7, 31, v7
	s_delay_alu instid0(VALU_DEP_2) | instskip(NEXT) | instid1(VALU_DEP_1)
	v_cvt_u32_f32_e32 v8, v8
	v_xor_b32_e32 v8, v8, v7
	s_delay_alu instid0(VALU_DEP_1)
	v_sub_nc_u32_e32 v7, v8, v7
	s_branch .LBB353_1571
.LBB353_1566:
	s_mov_b32 s3, -1
	s_branch .LBB353_1570
.LBB353_1567:
	s_or_saveexec_b32 s3, s3
	v_mov_b32_e32 v7, s7
	s_xor_b32 exec_lo, exec_lo, s3
	s_cbranch_execz .LBB353_1548
.LBB353_1568:
	v_cmp_ne_u16_e32 vcc_lo, 0, v8
	v_mov_b32_e32 v7, 0
	s_and_not1_b32 s6, s6, exec_lo
	s_and_b32 s7, vcc_lo, exec_lo
	s_delay_alu instid0(SALU_CYCLE_1)
	s_or_b32 s6, s6, s7
	s_or_b32 exec_lo, exec_lo, s3
	s_and_saveexec_b32 s3, s6
	s_cbranch_execnz .LBB353_1549
	s_branch .LBB353_1550
.LBB353_1569:
	s_mov_b32 s2, -1
.LBB353_1570:
                                        ; implicit-def: $vgpr7
.LBB353_1571:
	s_and_b32 vcc_lo, exec_lo, s3
	s_mov_b32 s3, 0
	s_cbranch_vccz .LBB353_1573
; %bb.1572:
	v_cmp_ne_u16_e64 s2, 11, v11
	s_mov_b32 s3, -1
                                        ; implicit-def: $vgpr7
.LBB353_1573:
	s_delay_alu instid0(VALU_DEP_1)
	s_and_b32 vcc_lo, exec_lo, s2
	s_cbranch_vccnz .LBB353_2102
; %bb.1574:
	s_and_not1_b32 vcc_lo, exec_lo, s3
	s_cbranch_vccnz .LBB353_1576
.LBB353_1575:
	global_load_u8 v7, v[9:10], off
	s_mov_b32 s6, -1
	s_waitcnt vmcnt(0)
	v_cmp_ne_u16_e32 vcc_lo, 0, v7
	v_cndmask_b32_e64 v7, 0, 1, vcc_lo
.LBB353_1576:
	s_mov_b32 s2, 0
.LBB353_1577:
	s_delay_alu instid0(SALU_CYCLE_1)
	s_and_b32 vcc_lo, exec_lo, s2
	s_cbranch_vccz .LBB353_1626
; %bb.1578:
	v_cmp_gt_i16_e32 vcc_lo, 5, v11
	s_cbranch_vccnz .LBB353_1583
; %bb.1579:
	v_cmp_gt_i16_e32 vcc_lo, 8, v11
	s_cbranch_vccnz .LBB353_1584
	;; [unrolled: 3-line block ×3, first 2 shown]
; %bb.1581:
	v_cmp_lt_i16_e32 vcc_lo, 9, v11
	s_cbranch_vccz .LBB353_1586
; %bb.1582:
	global_load_b64 v[7:8], v[9:10], off
	s_mov_b32 s2, 0
	s_waitcnt vmcnt(0)
	v_trunc_f64_e32 v[7:8], v[7:8]
	s_delay_alu instid0(VALU_DEP_1) | instskip(NEXT) | instid1(VALU_DEP_1)
	v_ldexp_f64 v[12:13], v[7:8], 0xffffffe0
	v_floor_f64_e32 v[12:13], v[12:13]
	s_delay_alu instid0(VALU_DEP_1) | instskip(NEXT) | instid1(VALU_DEP_1)
	v_fma_f64 v[7:8], 0xc1f00000, v[12:13], v[7:8]
	v_cvt_u32_f64_e32 v7, v[7:8]
	s_branch .LBB353_1587
.LBB353_1583:
	s_mov_b32 s2, -1
                                        ; implicit-def: $vgpr7
	s_branch .LBB353_1605
.LBB353_1584:
	s_mov_b32 s2, -1
                                        ; implicit-def: $vgpr7
	s_branch .LBB353_1593
.LBB353_1585:
	s_mov_b32 s2, -1
                                        ; implicit-def: $vgpr7
	s_branch .LBB353_1590
.LBB353_1586:
	s_mov_b32 s2, -1
                                        ; implicit-def: $vgpr7
.LBB353_1587:
	s_delay_alu instid0(SALU_CYCLE_1)
	s_and_not1_b32 vcc_lo, exec_lo, s2
	s_cbranch_vccnz .LBB353_1589
; %bb.1588:
	global_load_b32 v7, v[9:10], off
	s_waitcnt vmcnt(0)
	v_trunc_f32_e32 v7, v7
	s_delay_alu instid0(VALU_DEP_1) | instskip(NEXT) | instid1(VALU_DEP_1)
	v_mul_f32_e64 v8, 0x2f800000, |v7|
	v_floor_f32_e32 v8, v8
	s_delay_alu instid0(VALU_DEP_1) | instskip(SKIP_1) | instid1(VALU_DEP_2)
	v_fma_f32 v8, 0xcf800000, v8, |v7|
	v_ashrrev_i32_e32 v7, 31, v7
	v_cvt_u32_f32_e32 v8, v8
	s_delay_alu instid0(VALU_DEP_1) | instskip(NEXT) | instid1(VALU_DEP_1)
	v_xor_b32_e32 v8, v8, v7
	v_sub_nc_u32_e32 v7, v8, v7
.LBB353_1589:
	s_mov_b32 s2, 0
.LBB353_1590:
	s_delay_alu instid0(SALU_CYCLE_1)
	s_and_not1_b32 vcc_lo, exec_lo, s2
	s_cbranch_vccnz .LBB353_1592
; %bb.1591:
	global_load_b32 v7, v[9:10], off
	s_waitcnt vmcnt(0)
	v_cvt_f32_f16_e32 v7, v7
	s_delay_alu instid0(VALU_DEP_1)
	v_cvt_i32_f32_e32 v7, v7
.LBB353_1592:
	s_mov_b32 s2, 0
.LBB353_1593:
	s_delay_alu instid0(SALU_CYCLE_1)
	s_and_not1_b32 vcc_lo, exec_lo, s2
	s_cbranch_vccnz .LBB353_1604
; %bb.1594:
	v_cmp_gt_i16_e32 vcc_lo, 6, v11
	s_cbranch_vccnz .LBB353_1597
; %bb.1595:
	v_cmp_lt_i16_e32 vcc_lo, 6, v11
	s_cbranch_vccz .LBB353_1598
; %bb.1596:
	global_load_b64 v[7:8], v[9:10], off
	s_mov_b32 s2, 0
	s_waitcnt vmcnt(0)
	v_trunc_f64_e32 v[7:8], v[7:8]
	s_delay_alu instid0(VALU_DEP_1) | instskip(NEXT) | instid1(VALU_DEP_1)
	v_ldexp_f64 v[12:13], v[7:8], 0xffffffe0
	v_floor_f64_e32 v[12:13], v[12:13]
	s_delay_alu instid0(VALU_DEP_1) | instskip(NEXT) | instid1(VALU_DEP_1)
	v_fma_f64 v[7:8], 0xc1f00000, v[12:13], v[7:8]
	v_cvt_u32_f64_e32 v7, v[7:8]
	s_branch .LBB353_1599
.LBB353_1597:
	s_mov_b32 s2, -1
                                        ; implicit-def: $vgpr7
	s_branch .LBB353_1602
.LBB353_1598:
	s_mov_b32 s2, -1
                                        ; implicit-def: $vgpr7
.LBB353_1599:
	s_delay_alu instid0(SALU_CYCLE_1)
	s_and_not1_b32 vcc_lo, exec_lo, s2
	s_cbranch_vccnz .LBB353_1601
; %bb.1600:
	global_load_b32 v7, v[9:10], off
	s_waitcnt vmcnt(0)
	v_trunc_f32_e32 v7, v7
	s_delay_alu instid0(VALU_DEP_1) | instskip(NEXT) | instid1(VALU_DEP_1)
	v_mul_f32_e64 v8, 0x2f800000, |v7|
	v_floor_f32_e32 v8, v8
	s_delay_alu instid0(VALU_DEP_1) | instskip(SKIP_1) | instid1(VALU_DEP_2)
	v_fma_f32 v8, 0xcf800000, v8, |v7|
	v_ashrrev_i32_e32 v7, 31, v7
	v_cvt_u32_f32_e32 v8, v8
	s_delay_alu instid0(VALU_DEP_1) | instskip(NEXT) | instid1(VALU_DEP_1)
	v_xor_b32_e32 v8, v8, v7
	v_sub_nc_u32_e32 v7, v8, v7
.LBB353_1601:
	s_mov_b32 s2, 0
.LBB353_1602:
	s_delay_alu instid0(SALU_CYCLE_1)
	s_and_not1_b32 vcc_lo, exec_lo, s2
	s_cbranch_vccnz .LBB353_1604
; %bb.1603:
	global_load_u16 v7, v[9:10], off
	s_waitcnt vmcnt(0)
	v_cvt_f32_f16_e32 v7, v7
	s_delay_alu instid0(VALU_DEP_1)
	v_cvt_i32_f32_e32 v7, v7
.LBB353_1604:
	s_mov_b32 s2, 0
.LBB353_1605:
	s_delay_alu instid0(SALU_CYCLE_1)
	s_and_not1_b32 vcc_lo, exec_lo, s2
	s_cbranch_vccnz .LBB353_1625
; %bb.1606:
	v_cmp_gt_i16_e32 vcc_lo, 2, v11
	s_cbranch_vccnz .LBB353_1610
; %bb.1607:
	v_cmp_gt_i16_e32 vcc_lo, 3, v11
	s_cbranch_vccnz .LBB353_1611
; %bb.1608:
	v_cmp_lt_i16_e32 vcc_lo, 3, v11
	s_cbranch_vccz .LBB353_1612
; %bb.1609:
	global_load_b64 v[7:8], v[9:10], off
	s_mov_b32 s2, 0
	s_branch .LBB353_1613
.LBB353_1610:
	s_mov_b32 s2, -1
                                        ; implicit-def: $vgpr7
	s_branch .LBB353_1619
.LBB353_1611:
	s_mov_b32 s2, -1
                                        ; implicit-def: $vgpr7
	s_branch .LBB353_1616
.LBB353_1612:
	s_mov_b32 s2, -1
                                        ; implicit-def: $vgpr7
.LBB353_1613:
	s_delay_alu instid0(SALU_CYCLE_1)
	s_and_not1_b32 vcc_lo, exec_lo, s2
	s_cbranch_vccnz .LBB353_1615
; %bb.1614:
	global_load_b32 v7, v[9:10], off
.LBB353_1615:
	s_mov_b32 s2, 0
.LBB353_1616:
	s_delay_alu instid0(SALU_CYCLE_1)
	s_and_not1_b32 vcc_lo, exec_lo, s2
	s_cbranch_vccnz .LBB353_1618
; %bb.1617:
	global_load_u16 v7, v[9:10], off
.LBB353_1618:
	s_mov_b32 s2, 0
.LBB353_1619:
	s_delay_alu instid0(SALU_CYCLE_1)
	s_and_not1_b32 vcc_lo, exec_lo, s2
	s_cbranch_vccnz .LBB353_1625
; %bb.1620:
	v_cmp_lt_i16_e32 vcc_lo, 0, v11
	s_mov_b32 s2, 0
	s_cbranch_vccz .LBB353_1622
; %bb.1621:
	global_load_u8 v7, v[9:10], off
	s_branch .LBB353_1623
.LBB353_1622:
	s_mov_b32 s2, -1
                                        ; implicit-def: $vgpr7
.LBB353_1623:
	s_delay_alu instid0(SALU_CYCLE_1)
	s_and_not1_b32 vcc_lo, exec_lo, s2
	s_cbranch_vccnz .LBB353_1625
; %bb.1624:
	global_load_u8 v7, v[9:10], off
.LBB353_1625:
	s_mov_b32 s6, -1
.LBB353_1626:
	s_delay_alu instid0(SALU_CYCLE_1)
	s_and_not1_b32 vcc_lo, exec_lo, s6
	s_cbranch_vccnz .LBB353_2057
; %bb.1627:
	s_load_b32 s2, s[16:17], 0x158
	s_lshr_b32 s0, s0, 8
	s_waitcnt vmcnt(0)
	v_and_b32_e32 v10, 0xff, v4
	v_and_b32_e64 v8, 0xff, s0
	v_add_co_u32 v3, s0, s4, v3
	s_delay_alu instid0(VALU_DEP_1) | instskip(NEXT) | instid1(VALU_DEP_3)
	v_add_co_ci_u32_e64 v4, null, s5, 0, s0
	v_cmp_gt_i16_e32 vcc_lo, 11, v8
	s_mov_b32 s3, 0
	s_mov_b32 s0, -1
	s_waitcnt lgkmcnt(0)
	v_and_b32_e64 v9, 0xff, s2
	s_delay_alu instid0(VALU_DEP_1)
	v_max_u16 v10, v10, v9
	s_cbranch_vccnz .LBB353_1705
; %bb.1628:
	v_cmp_lt_i16_e32 vcc_lo, 25, v8
	s_mov_b32 s6, -1
	s_mov_b32 s2, 0
	s_mov_b32 s0, 0
	s_cbranch_vccz .LBB353_1661
; %bb.1629:
	v_cmp_lt_i16_e32 vcc_lo, 28, v8
	s_cbranch_vccz .LBB353_1644
; %bb.1630:
	v_cmp_lt_i16_e32 vcc_lo, 43, v8
	;; [unrolled: 3-line block ×3, first 2 shown]
	s_cbranch_vccz .LBB353_1634
; %bb.1632:
	v_cmp_eq_u16_e32 vcc_lo, 46, v8
	s_mov_b32 s0, -1
	s_mov_b32 s6, 0
	s_cbranch_vccz .LBB353_1634
; %bb.1633:
	v_cvt_f32_ubyte0_e32 v11, v10
	s_mov_b32 s0, 0
	s_mov_b32 s3, -1
	s_delay_alu instid0(VALU_DEP_1) | instskip(NEXT) | instid1(VALU_DEP_1)
	v_bfe_u32 v12, v11, 16, 1
	v_add3_u32 v11, v11, v12, 0x7fff
	s_delay_alu instid0(VALU_DEP_1)
	v_lshrrev_b32_e32 v11, 16, v11
	global_store_b32 v[3:4], v11, off
.LBB353_1634:
	s_and_b32 vcc_lo, exec_lo, s6
	s_cbranch_vccz .LBB353_1639
; %bb.1635:
	v_cmp_eq_u16_e32 vcc_lo, 44, v8
	s_mov_b32 s0, -1
	s_cbranch_vccz .LBB353_1639
; %bb.1636:
	v_cvt_f32_ubyte0_e32 v13, v10
	v_mov_b32_e32 v12, 0xff
	s_mov_b32 s3, exec_lo
	s_delay_alu instid0(VALU_DEP_2) | instskip(NEXT) | instid1(VALU_DEP_1)
	v_lshrrev_b32_e32 v11, 23, v13
	v_cmpx_ne_u32_e32 0xff, v11
; %bb.1637:
	v_and_b32_e32 v12, 0x400000, v13
	v_and_or_b32 v13, 0x3fffff, v13, v11
	s_delay_alu instid0(VALU_DEP_2) | instskip(NEXT) | instid1(VALU_DEP_2)
	v_cmp_ne_u32_e32 vcc_lo, 0, v12
	v_cmp_ne_u32_e64 s0, 0, v13
	s_delay_alu instid0(VALU_DEP_1) | instskip(NEXT) | instid1(SALU_CYCLE_1)
	s_and_b32 s0, vcc_lo, s0
	v_cndmask_b32_e64 v12, 0, 1, s0
	s_delay_alu instid0(VALU_DEP_1)
	v_add_nc_u32_e32 v12, v11, v12
; %bb.1638:
	s_or_b32 exec_lo, exec_lo, s3
	s_mov_b32 s0, 0
	s_mov_b32 s3, -1
	global_store_b8 v[3:4], v12, off
.LBB353_1639:
	s_mov_b32 s6, 0
.LBB353_1640:
	s_delay_alu instid0(SALU_CYCLE_1)
	s_and_b32 vcc_lo, exec_lo, s6
	s_cbranch_vccz .LBB353_1643
; %bb.1641:
	v_cmp_eq_u16_e32 vcc_lo, 29, v8
	s_mov_b32 s0, -1
	s_cbranch_vccz .LBB353_1643
; %bb.1642:
	s_mov_b32 s0, 0
	s_delay_alu instid0(SALU_CYCLE_1)
	v_dual_mov_b32 v12, s0 :: v_dual_and_b32 v11, 0xffff, v10
	s_mov_b32 s3, -1
	global_store_b64 v[3:4], v[11:12], off
.LBB353_1643:
	s_mov_b32 s6, 0
.LBB353_1644:
	s_delay_alu instid0(SALU_CYCLE_1)
	s_and_b32 vcc_lo, exec_lo, s6
	s_cbranch_vccz .LBB353_1660
; %bb.1645:
	v_cmp_gt_i16_e32 vcc_lo, 27, v8
	s_mov_b32 s3, -1
	s_cbranch_vccnz .LBB353_1651
; %bb.1646:
	v_cmp_lt_i16_e32 vcc_lo, 27, v8
	s_cbranch_vccz .LBB353_1648
; %bb.1647:
	v_and_b32_e32 v11, 0xffff, v10
	s_mov_b32 s3, 0
	global_store_b32 v[3:4], v11, off
.LBB353_1648:
	s_and_not1_b32 vcc_lo, exec_lo, s3
	s_cbranch_vccnz .LBB353_1650
; %bb.1649:
	global_store_b16 v[3:4], v10, off
.LBB353_1650:
	s_mov_b32 s3, 0
.LBB353_1651:
	s_delay_alu instid0(SALU_CYCLE_1)
	s_and_not1_b32 vcc_lo, exec_lo, s3
	s_cbranch_vccnz .LBB353_1659
; %bb.1652:
	v_cvt_f32_ubyte0_e32 v12, v10
	v_mov_b32_e32 v13, 0x80
	s_mov_b32 s3, exec_lo
	s_delay_alu instid0(VALU_DEP_2)
	v_cmpx_gt_u32_e32 0x43800000, v12
	s_cbranch_execz .LBB353_1658
; %bb.1653:
	s_mov_b32 s6, 0
	s_mov_b32 s7, exec_lo
                                        ; implicit-def: $vgpr11
	v_cmpx_lt_u32_e32 0x3bffffff, v12
	s_xor_b32 s7, exec_lo, s7
	s_cbranch_execz .LBB353_2104
; %bb.1654:
	v_bfe_u32 v11, v12, 20, 1
	s_mov_b32 s6, exec_lo
	s_delay_alu instid0(VALU_DEP_1) | instskip(NEXT) | instid1(VALU_DEP_1)
	v_add3_u32 v11, v12, v11, 0x487ffff
                                        ; implicit-def: $vgpr12
	v_lshrrev_b32_e32 v11, 20, v11
	s_or_saveexec_b32 s7, s7
                                        ; implicit-def: $sgpr10
	s_delay_alu instid0(SALU_CYCLE_1)
	s_xor_b32 exec_lo, exec_lo, s7
	s_cbranch_execnz .LBB353_2105
.LBB353_1655:
	s_or_b32 exec_lo, exec_lo, s7
	v_mov_b32_e32 v13, s10
	s_and_saveexec_b32 s7, s6
.LBB353_1656:
	v_mov_b32_e32 v13, v11
.LBB353_1657:
	s_or_b32 exec_lo, exec_lo, s7
.LBB353_1658:
	s_delay_alu instid0(SALU_CYCLE_1)
	s_or_b32 exec_lo, exec_lo, s3
	global_store_b8 v[3:4], v13, off
.LBB353_1659:
	s_mov_b32 s3, -1
.LBB353_1660:
	s_mov_b32 s6, 0
.LBB353_1661:
	s_delay_alu instid0(SALU_CYCLE_1)
	s_and_b32 vcc_lo, exec_lo, s6
	s_cbranch_vccz .LBB353_1701
; %bb.1662:
	v_cmp_lt_i16_e32 vcc_lo, 22, v8
	s_mov_b32 s2, -1
	s_cbranch_vccz .LBB353_1694
; %bb.1663:
	v_cmp_gt_i16_e32 vcc_lo, 24, v8
	s_cbranch_vccnz .LBB353_1683
; %bb.1664:
	v_cmp_lt_i16_e32 vcc_lo, 24, v8
	s_cbranch_vccz .LBB353_1672
; %bb.1665:
	v_cvt_f32_ubyte0_e32 v12, v10
	v_mov_b32_e32 v13, 0x80
	s_mov_b32 s2, exec_lo
	s_delay_alu instid0(VALU_DEP_2)
	v_cmpx_gt_u32_e32 0x47800000, v12
	s_cbranch_execz .LBB353_1671
; %bb.1666:
	s_mov_b32 s3, 0
	s_mov_b32 s6, exec_lo
                                        ; implicit-def: $vgpr11
	v_cmpx_lt_u32_e32 0x37ffffff, v12
	s_xor_b32 s6, exec_lo, s6
	s_cbranch_execz .LBB353_2110
; %bb.1667:
	v_bfe_u32 v11, v12, 21, 1
	s_mov_b32 s3, exec_lo
	s_delay_alu instid0(VALU_DEP_1) | instskip(NEXT) | instid1(VALU_DEP_1)
	v_add3_u32 v11, v12, v11, 0x88fffff
                                        ; implicit-def: $vgpr12
	v_lshrrev_b32_e32 v11, 21, v11
	s_or_saveexec_b32 s6, s6
                                        ; implicit-def: $sgpr7
	s_delay_alu instid0(SALU_CYCLE_1)
	s_xor_b32 exec_lo, exec_lo, s6
	s_cbranch_execnz .LBB353_2111
.LBB353_1668:
	s_or_b32 exec_lo, exec_lo, s6
	v_mov_b32_e32 v13, s7
	s_and_saveexec_b32 s6, s3
.LBB353_1669:
	v_mov_b32_e32 v13, v11
.LBB353_1670:
	s_or_b32 exec_lo, exec_lo, s6
.LBB353_1671:
	s_delay_alu instid0(SALU_CYCLE_1)
	s_or_b32 exec_lo, exec_lo, s2
	s_mov_b32 s2, 0
	global_store_b8 v[3:4], v13, off
.LBB353_1672:
	s_and_b32 vcc_lo, exec_lo, s2
	s_cbranch_vccz .LBB353_1682
; %bb.1673:
	v_cvt_f32_ubyte0_e32 v12, v10
	s_mov_b32 s2, exec_lo
                                        ; implicit-def: $vgpr11
	s_delay_alu instid0(VALU_DEP_1)
	v_cmpx_gt_u32_e32 0x43f00000, v12
	s_xor_b32 s2, exec_lo, s2
	s_cbranch_execz .LBB353_1679
; %bb.1674:
	s_mov_b32 s3, exec_lo
                                        ; implicit-def: $vgpr11
	v_cmpx_lt_u32_e32 0x3c7fffff, v12
	s_xor_b32 s3, exec_lo, s3
; %bb.1675:
	v_bfe_u32 v11, v12, 20, 1
	s_delay_alu instid0(VALU_DEP_1) | instskip(NEXT) | instid1(VALU_DEP_1)
	v_add3_u32 v11, v12, v11, 0x407ffff
	v_and_b32_e32 v12, 0xff00000, v11
	v_lshrrev_b32_e32 v11, 20, v11
	s_delay_alu instid0(VALU_DEP_2) | instskip(NEXT) | instid1(VALU_DEP_2)
	v_cmp_ne_u32_e32 vcc_lo, 0x7f00000, v12
                                        ; implicit-def: $vgpr12
	v_cndmask_b32_e32 v11, 0x7e, v11, vcc_lo
; %bb.1676:
	s_and_not1_saveexec_b32 s3, s3
; %bb.1677:
	v_add_f32_e32 v11, 0x46800000, v12
; %bb.1678:
	s_or_b32 exec_lo, exec_lo, s3
                                        ; implicit-def: $vgpr12
.LBB353_1679:
	s_and_not1_saveexec_b32 s2, s2
; %bb.1680:
	v_mov_b32_e32 v11, 0x7f
	v_cmp_lt_u32_e32 vcc_lo, 0x7f800000, v12
	s_delay_alu instid0(VALU_DEP_2)
	v_cndmask_b32_e32 v11, 0x7e, v11, vcc_lo
; %bb.1681:
	s_or_b32 exec_lo, exec_lo, s2
	global_store_b8 v[3:4], v11, off
.LBB353_1682:
	s_mov_b32 s2, 0
.LBB353_1683:
	s_delay_alu instid0(SALU_CYCLE_1)
	s_and_not1_b32 vcc_lo, exec_lo, s2
	s_cbranch_vccnz .LBB353_1693
; %bb.1684:
	v_cvt_f32_ubyte0_e32 v12, v10
	s_mov_b32 s2, exec_lo
                                        ; implicit-def: $vgpr11
	s_delay_alu instid0(VALU_DEP_1)
	v_cmpx_gt_u32_e32 0x47800000, v12
	s_xor_b32 s2, exec_lo, s2
	s_cbranch_execz .LBB353_1690
; %bb.1685:
	s_mov_b32 s3, exec_lo
                                        ; implicit-def: $vgpr11
	v_cmpx_lt_u32_e32 0x387fffff, v12
	s_xor_b32 s3, exec_lo, s3
; %bb.1686:
	v_bfe_u32 v11, v12, 21, 1
	s_delay_alu instid0(VALU_DEP_1) | instskip(NEXT) | instid1(VALU_DEP_1)
	v_add3_u32 v11, v12, v11, 0x80fffff
                                        ; implicit-def: $vgpr12
	v_lshrrev_b32_e32 v11, 21, v11
; %bb.1687:
	s_and_not1_saveexec_b32 s3, s3
; %bb.1688:
	v_add_f32_e32 v11, 0x43000000, v12
; %bb.1689:
	s_or_b32 exec_lo, exec_lo, s3
                                        ; implicit-def: $vgpr12
.LBB353_1690:
	s_and_not1_saveexec_b32 s2, s2
; %bb.1691:
	v_mov_b32_e32 v11, 0x7f
	v_cmp_lt_u32_e32 vcc_lo, 0x7f800000, v12
	s_delay_alu instid0(VALU_DEP_2)
	v_cndmask_b32_e32 v11, 0x7c, v11, vcc_lo
; %bb.1692:
	s_or_b32 exec_lo, exec_lo, s2
	global_store_b8 v[3:4], v11, off
.LBB353_1693:
	s_mov_b32 s2, 0
	s_mov_b32 s3, -1
.LBB353_1694:
	s_and_not1_b32 vcc_lo, exec_lo, s2
	s_mov_b32 s2, 0
	s_cbranch_vccnz .LBB353_1701
; %bb.1695:
	v_cmp_lt_i16_e32 vcc_lo, 14, v8
	s_mov_b32 s2, -1
	s_cbranch_vccz .LBB353_1699
; %bb.1696:
	v_cmp_eq_u16_e32 vcc_lo, 15, v8
	s_mov_b32 s0, -1
	s_cbranch_vccz .LBB353_1698
; %bb.1697:
	v_cvt_f32_ubyte0_e32 v11, v10
	s_mov_b32 s0, 0
	s_mov_b32 s3, -1
	s_delay_alu instid0(VALU_DEP_1) | instskip(NEXT) | instid1(VALU_DEP_1)
	v_bfe_u32 v12, v11, 16, 1
	v_add3_u32 v11, v11, v12, 0x7fff
	global_store_d16_hi_b16 v[3:4], v11, off
.LBB353_1698:
	s_mov_b32 s2, 0
.LBB353_1699:
	s_delay_alu instid0(SALU_CYCLE_1)
	s_and_b32 vcc_lo, exec_lo, s2
	s_mov_b32 s2, 0
	s_cbranch_vccz .LBB353_1701
; %bb.1700:
	v_cmp_ne_u16_e64 s0, 11, v8
	s_mov_b32 s2, -1
.LBB353_1701:
	s_delay_alu instid0(VALU_DEP_1)
	s_and_b32 vcc_lo, exec_lo, s0
	s_cbranch_vccnz .LBB353_2108
; %bb.1702:
	s_and_not1_b32 vcc_lo, exec_lo, s2
	s_cbranch_vccnz .LBB353_1704
.LBB353_1703:
	v_cmp_ne_u16_e32 vcc_lo, 0, v10
	s_mov_b32 s3, -1
	v_cndmask_b32_e64 v11, 0, 1, vcc_lo
	global_store_b8 v[3:4], v11, off
.LBB353_1704:
	s_mov_b32 s0, 0
.LBB353_1705:
	s_delay_alu instid0(SALU_CYCLE_1)
	s_and_b32 vcc_lo, exec_lo, s0
	s_cbranch_vccz .LBB353_1744
; %bb.1706:
	v_cmp_gt_i16_e32 vcc_lo, 5, v8
	s_mov_b32 s0, -1
	s_cbranch_vccnz .LBB353_1727
; %bb.1707:
	v_cmp_gt_i16_e32 vcc_lo, 8, v8
	s_cbranch_vccnz .LBB353_1717
; %bb.1708:
	v_cmp_gt_i16_e32 vcc_lo, 9, v8
	s_cbranch_vccnz .LBB353_1714
; %bb.1709:
	v_cmp_lt_i16_e32 vcc_lo, 9, v8
	s_cbranch_vccz .LBB353_1711
; %bb.1710:
	v_mov_b32_e32 v13, 0
	v_and_b32_e32 v11, 0xffff, v10
	s_mov_b32 s0, 0
	s_delay_alu instid0(VALU_DEP_2) | instskip(NEXT) | instid1(VALU_DEP_2)
	v_mov_b32_e32 v14, v13
	v_cvt_f64_u32_e32 v[11:12], v11
	global_store_b128 v[3:4], v[11:14], off
.LBB353_1711:
	s_and_not1_b32 vcc_lo, exec_lo, s0
	s_cbranch_vccnz .LBB353_1713
; %bb.1712:
	v_cvt_f32_ubyte0_e32 v11, v10
	v_mov_b32_e32 v12, 0
	global_store_b64 v[3:4], v[11:12], off
.LBB353_1713:
	s_mov_b32 s0, 0
.LBB353_1714:
	s_delay_alu instid0(SALU_CYCLE_1)
	s_and_not1_b32 vcc_lo, exec_lo, s0
	s_cbranch_vccnz .LBB353_1716
; %bb.1715:
	v_cvt_f16_u16_e32 v11, v10
	s_delay_alu instid0(VALU_DEP_1)
	v_and_b32_e32 v11, 0xffff, v11
	global_store_b32 v[3:4], v11, off
.LBB353_1716:
	s_mov_b32 s0, 0
.LBB353_1717:
	s_delay_alu instid0(SALU_CYCLE_1)
	s_and_not1_b32 vcc_lo, exec_lo, s0
	s_cbranch_vccnz .LBB353_1726
; %bb.1718:
	v_cmp_gt_i16_e32 vcc_lo, 6, v8
	s_mov_b32 s0, -1
	s_cbranch_vccnz .LBB353_1724
; %bb.1719:
	v_cmp_lt_i16_e32 vcc_lo, 6, v8
	s_cbranch_vccz .LBB353_1721
; %bb.1720:
	v_and_b32_e32 v11, 0xffff, v10
	s_mov_b32 s0, 0
	s_delay_alu instid0(VALU_DEP_1)
	v_cvt_f64_u32_e32 v[11:12], v11
	global_store_b64 v[3:4], v[11:12], off
.LBB353_1721:
	s_and_not1_b32 vcc_lo, exec_lo, s0
	s_cbranch_vccnz .LBB353_1723
; %bb.1722:
	v_cvt_f32_ubyte0_e32 v11, v10
	global_store_b32 v[3:4], v11, off
.LBB353_1723:
	s_mov_b32 s0, 0
.LBB353_1724:
	s_delay_alu instid0(SALU_CYCLE_1)
	s_and_not1_b32 vcc_lo, exec_lo, s0
	s_cbranch_vccnz .LBB353_1726
; %bb.1725:
	v_cvt_f16_u16_e32 v11, v10
	global_store_b16 v[3:4], v11, off
.LBB353_1726:
	s_mov_b32 s0, 0
.LBB353_1727:
	s_delay_alu instid0(SALU_CYCLE_1)
	s_and_not1_b32 vcc_lo, exec_lo, s0
	s_cbranch_vccnz .LBB353_1743
; %bb.1728:
	v_cmp_gt_i16_e32 vcc_lo, 2, v8
	s_mov_b32 s0, -1
	s_cbranch_vccnz .LBB353_1738
; %bb.1729:
	v_cmp_gt_i16_e32 vcc_lo, 3, v8
	s_cbranch_vccnz .LBB353_1735
; %bb.1730:
	v_cmp_lt_i16_e32 vcc_lo, 3, v8
	s_cbranch_vccz .LBB353_1732
; %bb.1731:
	s_mov_b32 s0, 0
	s_delay_alu instid0(SALU_CYCLE_1)
	v_dual_mov_b32 v12, s0 :: v_dual_and_b32 v11, 0xffff, v10
	global_store_b64 v[3:4], v[11:12], off
.LBB353_1732:
	s_and_not1_b32 vcc_lo, exec_lo, s0
	s_cbranch_vccnz .LBB353_1734
; %bb.1733:
	v_and_b32_e32 v11, 0xffff, v10
	global_store_b32 v[3:4], v11, off
.LBB353_1734:
	s_mov_b32 s0, 0
.LBB353_1735:
	s_delay_alu instid0(SALU_CYCLE_1)
	s_and_not1_b32 vcc_lo, exec_lo, s0
	s_cbranch_vccnz .LBB353_1737
; %bb.1736:
	global_store_b16 v[3:4], v10, off
.LBB353_1737:
	s_mov_b32 s0, 0
.LBB353_1738:
	s_delay_alu instid0(SALU_CYCLE_1)
	s_and_not1_b32 vcc_lo, exec_lo, s0
	s_cbranch_vccnz .LBB353_1743
; %bb.1739:
	v_cmp_lt_i16_e32 vcc_lo, 0, v8
	s_mov_b32 s0, -1
	s_cbranch_vccz .LBB353_1741
; %bb.1740:
	s_mov_b32 s0, 0
	global_store_b8 v[3:4], v10, off
.LBB353_1741:
	s_and_not1_b32 vcc_lo, exec_lo, s0
	s_cbranch_vccnz .LBB353_1743
; %bb.1742:
	global_store_b8 v[3:4], v10, off
.LBB353_1743:
	s_mov_b32 s3, -1
.LBB353_1744:
	s_delay_alu instid0(SALU_CYCLE_1)
	s_and_not1_b32 vcc_lo, exec_lo, s3
	s_cbranch_vccnz .LBB353_2057
; %bb.1745:
	v_and_b32_e32 v3, 0xff, v5
	v_cmp_gt_i16_e32 vcc_lo, 11, v8
	v_add_co_u32 v2, s0, s4, v2
	s_mov_b32 s3, 0
	s_delay_alu instid0(VALU_DEP_3)
	v_max_u16 v10, v3, v9
	v_add_co_ci_u32_e64 v3, null, s5, 0, s0
	s_mov_b32 s0, -1
	s_cbranch_vccnz .LBB353_1823
; %bb.1746:
	v_cmp_lt_i16_e32 vcc_lo, 25, v8
	s_mov_b32 s6, -1
	s_mov_b32 s2, 0
	s_mov_b32 s0, 0
	s_cbranch_vccz .LBB353_1779
; %bb.1747:
	v_cmp_lt_i16_e32 vcc_lo, 28, v8
	s_cbranch_vccz .LBB353_1762
; %bb.1748:
	v_cmp_lt_i16_e32 vcc_lo, 43, v8
	;; [unrolled: 3-line block ×3, first 2 shown]
	s_cbranch_vccz .LBB353_1752
; %bb.1750:
	v_cmp_eq_u16_e32 vcc_lo, 46, v8
	s_mov_b32 s0, -1
	s_mov_b32 s6, 0
	s_cbranch_vccz .LBB353_1752
; %bb.1751:
	v_cvt_f32_ubyte0_e32 v4, v10
	s_mov_b32 s0, 0
	s_mov_b32 s3, -1
	s_delay_alu instid0(VALU_DEP_1) | instskip(NEXT) | instid1(VALU_DEP_1)
	v_bfe_u32 v5, v4, 16, 1
	v_add3_u32 v4, v4, v5, 0x7fff
	s_delay_alu instid0(VALU_DEP_1)
	v_lshrrev_b32_e32 v4, 16, v4
	global_store_b32 v[2:3], v4, off
.LBB353_1752:
	s_and_b32 vcc_lo, exec_lo, s6
	s_cbranch_vccz .LBB353_1757
; %bb.1753:
	v_cmp_eq_u16_e32 vcc_lo, 44, v8
	s_mov_b32 s0, -1
	s_cbranch_vccz .LBB353_1757
; %bb.1754:
	v_cvt_f32_ubyte0_e32 v11, v10
	v_mov_b32_e32 v5, 0xff
	s_mov_b32 s3, exec_lo
	s_delay_alu instid0(VALU_DEP_2) | instskip(NEXT) | instid1(VALU_DEP_1)
	v_lshrrev_b32_e32 v4, 23, v11
	v_cmpx_ne_u32_e32 0xff, v4
; %bb.1755:
	v_and_b32_e32 v5, 0x400000, v11
	v_and_or_b32 v11, 0x3fffff, v11, v4
	s_delay_alu instid0(VALU_DEP_2) | instskip(NEXT) | instid1(VALU_DEP_2)
	v_cmp_ne_u32_e32 vcc_lo, 0, v5
	v_cmp_ne_u32_e64 s0, 0, v11
	s_delay_alu instid0(VALU_DEP_1) | instskip(NEXT) | instid1(SALU_CYCLE_1)
	s_and_b32 s0, vcc_lo, s0
	v_cndmask_b32_e64 v5, 0, 1, s0
	s_delay_alu instid0(VALU_DEP_1)
	v_add_nc_u32_e32 v5, v4, v5
; %bb.1756:
	s_or_b32 exec_lo, exec_lo, s3
	s_mov_b32 s0, 0
	s_mov_b32 s3, -1
	global_store_b8 v[2:3], v5, off
.LBB353_1757:
	s_mov_b32 s6, 0
.LBB353_1758:
	s_delay_alu instid0(SALU_CYCLE_1)
	s_and_b32 vcc_lo, exec_lo, s6
	s_cbranch_vccz .LBB353_1761
; %bb.1759:
	v_cmp_eq_u16_e32 vcc_lo, 29, v8
	s_mov_b32 s0, -1
	s_cbranch_vccz .LBB353_1761
; %bb.1760:
	s_mov_b32 s0, 0
	s_delay_alu instid0(SALU_CYCLE_1)
	v_dual_mov_b32 v5, s0 :: v_dual_and_b32 v4, 0xffff, v10
	s_mov_b32 s3, -1
	global_store_b64 v[2:3], v[4:5], off
.LBB353_1761:
	s_mov_b32 s6, 0
.LBB353_1762:
	s_delay_alu instid0(SALU_CYCLE_1)
	s_and_b32 vcc_lo, exec_lo, s6
	s_cbranch_vccz .LBB353_1778
; %bb.1763:
	v_cmp_gt_i16_e32 vcc_lo, 27, v8
	s_mov_b32 s3, -1
	s_cbranch_vccnz .LBB353_1769
; %bb.1764:
	v_cmp_lt_i16_e32 vcc_lo, 27, v8
	s_cbranch_vccz .LBB353_1766
; %bb.1765:
	v_and_b32_e32 v4, 0xffff, v10
	s_mov_b32 s3, 0
	global_store_b32 v[2:3], v4, off
.LBB353_1766:
	s_and_not1_b32 vcc_lo, exec_lo, s3
	s_cbranch_vccnz .LBB353_1768
; %bb.1767:
	global_store_b16 v[2:3], v10, off
.LBB353_1768:
	s_mov_b32 s3, 0
.LBB353_1769:
	s_delay_alu instid0(SALU_CYCLE_1)
	s_and_not1_b32 vcc_lo, exec_lo, s3
	s_cbranch_vccnz .LBB353_1777
; %bb.1770:
	v_cvt_f32_ubyte0_e32 v5, v10
	v_mov_b32_e32 v11, 0x80
	s_mov_b32 s3, exec_lo
	s_delay_alu instid0(VALU_DEP_2)
	v_cmpx_gt_u32_e32 0x43800000, v5
	s_cbranch_execz .LBB353_1776
; %bb.1771:
	s_mov_b32 s6, 0
	s_mov_b32 s7, exec_lo
                                        ; implicit-def: $vgpr4
	v_cmpx_lt_u32_e32 0x3bffffff, v5
	s_xor_b32 s7, exec_lo, s7
	s_cbranch_execz .LBB353_2112
; %bb.1772:
	v_bfe_u32 v4, v5, 20, 1
	s_mov_b32 s6, exec_lo
	s_delay_alu instid0(VALU_DEP_1) | instskip(NEXT) | instid1(VALU_DEP_1)
	v_add3_u32 v4, v5, v4, 0x487ffff
                                        ; implicit-def: $vgpr5
	v_lshrrev_b32_e32 v4, 20, v4
	s_or_saveexec_b32 s7, s7
                                        ; implicit-def: $sgpr10
	s_delay_alu instid0(SALU_CYCLE_1)
	s_xor_b32 exec_lo, exec_lo, s7
	s_cbranch_execnz .LBB353_2113
.LBB353_1773:
	s_or_b32 exec_lo, exec_lo, s7
	v_mov_b32_e32 v11, s10
	s_and_saveexec_b32 s7, s6
.LBB353_1774:
	v_mov_b32_e32 v11, v4
.LBB353_1775:
	s_or_b32 exec_lo, exec_lo, s7
.LBB353_1776:
	s_delay_alu instid0(SALU_CYCLE_1)
	s_or_b32 exec_lo, exec_lo, s3
	global_store_b8 v[2:3], v11, off
.LBB353_1777:
	s_mov_b32 s3, -1
.LBB353_1778:
	s_mov_b32 s6, 0
.LBB353_1779:
	s_delay_alu instid0(SALU_CYCLE_1)
	s_and_b32 vcc_lo, exec_lo, s6
	s_cbranch_vccz .LBB353_1819
; %bb.1780:
	v_cmp_lt_i16_e32 vcc_lo, 22, v8
	s_mov_b32 s2, -1
	s_cbranch_vccz .LBB353_1812
; %bb.1781:
	v_cmp_gt_i16_e32 vcc_lo, 24, v8
	s_cbranch_vccnz .LBB353_1801
; %bb.1782:
	v_cmp_lt_i16_e32 vcc_lo, 24, v8
	s_cbranch_vccz .LBB353_1790
; %bb.1783:
	v_cvt_f32_ubyte0_e32 v5, v10
	v_mov_b32_e32 v11, 0x80
	s_mov_b32 s2, exec_lo
	s_delay_alu instid0(VALU_DEP_2)
	v_cmpx_gt_u32_e32 0x47800000, v5
	s_cbranch_execz .LBB353_1789
; %bb.1784:
	s_mov_b32 s3, 0
	s_mov_b32 s6, exec_lo
                                        ; implicit-def: $vgpr4
	v_cmpx_lt_u32_e32 0x37ffffff, v5
	s_xor_b32 s6, exec_lo, s6
	s_cbranch_execz .LBB353_2118
; %bb.1785:
	v_bfe_u32 v4, v5, 21, 1
	s_mov_b32 s3, exec_lo
	s_delay_alu instid0(VALU_DEP_1) | instskip(NEXT) | instid1(VALU_DEP_1)
	v_add3_u32 v4, v5, v4, 0x88fffff
                                        ; implicit-def: $vgpr5
	v_lshrrev_b32_e32 v4, 21, v4
	s_or_saveexec_b32 s6, s6
                                        ; implicit-def: $sgpr7
	s_delay_alu instid0(SALU_CYCLE_1)
	s_xor_b32 exec_lo, exec_lo, s6
	s_cbranch_execnz .LBB353_2119
.LBB353_1786:
	s_or_b32 exec_lo, exec_lo, s6
	v_mov_b32_e32 v11, s7
	s_and_saveexec_b32 s6, s3
.LBB353_1787:
	v_mov_b32_e32 v11, v4
.LBB353_1788:
	s_or_b32 exec_lo, exec_lo, s6
.LBB353_1789:
	s_delay_alu instid0(SALU_CYCLE_1)
	s_or_b32 exec_lo, exec_lo, s2
	s_mov_b32 s2, 0
	global_store_b8 v[2:3], v11, off
.LBB353_1790:
	s_and_b32 vcc_lo, exec_lo, s2
	s_cbranch_vccz .LBB353_1800
; %bb.1791:
	v_cvt_f32_ubyte0_e32 v5, v10
	s_mov_b32 s2, exec_lo
                                        ; implicit-def: $vgpr4
	s_delay_alu instid0(VALU_DEP_1)
	v_cmpx_gt_u32_e32 0x43f00000, v5
	s_xor_b32 s2, exec_lo, s2
	s_cbranch_execz .LBB353_1797
; %bb.1792:
	s_mov_b32 s3, exec_lo
                                        ; implicit-def: $vgpr4
	v_cmpx_lt_u32_e32 0x3c7fffff, v5
	s_xor_b32 s3, exec_lo, s3
; %bb.1793:
	v_bfe_u32 v4, v5, 20, 1
	s_delay_alu instid0(VALU_DEP_1) | instskip(NEXT) | instid1(VALU_DEP_1)
	v_add3_u32 v4, v5, v4, 0x407ffff
	v_and_b32_e32 v5, 0xff00000, v4
	v_lshrrev_b32_e32 v4, 20, v4
	s_delay_alu instid0(VALU_DEP_2) | instskip(NEXT) | instid1(VALU_DEP_2)
	v_cmp_ne_u32_e32 vcc_lo, 0x7f00000, v5
                                        ; implicit-def: $vgpr5
	v_cndmask_b32_e32 v4, 0x7e, v4, vcc_lo
; %bb.1794:
	s_and_not1_saveexec_b32 s3, s3
; %bb.1795:
	v_add_f32_e32 v4, 0x46800000, v5
; %bb.1796:
	s_or_b32 exec_lo, exec_lo, s3
                                        ; implicit-def: $vgpr5
.LBB353_1797:
	s_and_not1_saveexec_b32 s2, s2
; %bb.1798:
	v_mov_b32_e32 v4, 0x7f
	v_cmp_lt_u32_e32 vcc_lo, 0x7f800000, v5
	s_delay_alu instid0(VALU_DEP_2)
	v_cndmask_b32_e32 v4, 0x7e, v4, vcc_lo
; %bb.1799:
	s_or_b32 exec_lo, exec_lo, s2
	global_store_b8 v[2:3], v4, off
.LBB353_1800:
	s_mov_b32 s2, 0
.LBB353_1801:
	s_delay_alu instid0(SALU_CYCLE_1)
	s_and_not1_b32 vcc_lo, exec_lo, s2
	s_cbranch_vccnz .LBB353_1811
; %bb.1802:
	v_cvt_f32_ubyte0_e32 v5, v10
	s_mov_b32 s2, exec_lo
                                        ; implicit-def: $vgpr4
	s_delay_alu instid0(VALU_DEP_1)
	v_cmpx_gt_u32_e32 0x47800000, v5
	s_xor_b32 s2, exec_lo, s2
	s_cbranch_execz .LBB353_1808
; %bb.1803:
	s_mov_b32 s3, exec_lo
                                        ; implicit-def: $vgpr4
	v_cmpx_lt_u32_e32 0x387fffff, v5
	s_xor_b32 s3, exec_lo, s3
; %bb.1804:
	v_bfe_u32 v4, v5, 21, 1
	s_delay_alu instid0(VALU_DEP_1) | instskip(NEXT) | instid1(VALU_DEP_1)
	v_add3_u32 v4, v5, v4, 0x80fffff
                                        ; implicit-def: $vgpr5
	v_lshrrev_b32_e32 v4, 21, v4
; %bb.1805:
	s_and_not1_saveexec_b32 s3, s3
; %bb.1806:
	v_add_f32_e32 v4, 0x43000000, v5
; %bb.1807:
	s_or_b32 exec_lo, exec_lo, s3
                                        ; implicit-def: $vgpr5
.LBB353_1808:
	s_and_not1_saveexec_b32 s2, s2
; %bb.1809:
	v_mov_b32_e32 v4, 0x7f
	v_cmp_lt_u32_e32 vcc_lo, 0x7f800000, v5
	s_delay_alu instid0(VALU_DEP_2)
	v_cndmask_b32_e32 v4, 0x7c, v4, vcc_lo
; %bb.1810:
	s_or_b32 exec_lo, exec_lo, s2
	global_store_b8 v[2:3], v4, off
.LBB353_1811:
	s_mov_b32 s2, 0
	s_mov_b32 s3, -1
.LBB353_1812:
	s_and_not1_b32 vcc_lo, exec_lo, s2
	s_mov_b32 s2, 0
	s_cbranch_vccnz .LBB353_1819
; %bb.1813:
	v_cmp_lt_i16_e32 vcc_lo, 14, v8
	s_mov_b32 s2, -1
	s_cbranch_vccz .LBB353_1817
; %bb.1814:
	v_cmp_eq_u16_e32 vcc_lo, 15, v8
	s_mov_b32 s0, -1
	s_cbranch_vccz .LBB353_1816
; %bb.1815:
	v_cvt_f32_ubyte0_e32 v4, v10
	s_mov_b32 s0, 0
	s_mov_b32 s3, -1
	s_delay_alu instid0(VALU_DEP_1) | instskip(NEXT) | instid1(VALU_DEP_1)
	v_bfe_u32 v5, v4, 16, 1
	v_add3_u32 v4, v4, v5, 0x7fff
	global_store_d16_hi_b16 v[2:3], v4, off
.LBB353_1816:
	s_mov_b32 s2, 0
.LBB353_1817:
	s_delay_alu instid0(SALU_CYCLE_1)
	s_and_b32 vcc_lo, exec_lo, s2
	s_mov_b32 s2, 0
	s_cbranch_vccz .LBB353_1819
; %bb.1818:
	v_cmp_ne_u16_e64 s0, 11, v8
	s_mov_b32 s2, -1
.LBB353_1819:
	s_delay_alu instid0(VALU_DEP_1)
	s_and_b32 vcc_lo, exec_lo, s0
	s_cbranch_vccnz .LBB353_2116
; %bb.1820:
	s_and_not1_b32 vcc_lo, exec_lo, s2
	s_cbranch_vccnz .LBB353_1822
.LBB353_1821:
	v_cmp_ne_u16_e32 vcc_lo, 0, v10
	s_mov_b32 s3, -1
	v_cndmask_b32_e64 v4, 0, 1, vcc_lo
	global_store_b8 v[2:3], v4, off
.LBB353_1822:
	s_mov_b32 s0, 0
.LBB353_1823:
	s_delay_alu instid0(SALU_CYCLE_1)
	s_and_b32 vcc_lo, exec_lo, s0
	s_cbranch_vccz .LBB353_1862
; %bb.1824:
	v_cmp_gt_i16_e32 vcc_lo, 5, v8
	s_mov_b32 s0, -1
	s_cbranch_vccnz .LBB353_1845
; %bb.1825:
	v_cmp_gt_i16_e32 vcc_lo, 8, v8
	s_cbranch_vccnz .LBB353_1835
; %bb.1826:
	v_cmp_gt_i16_e32 vcc_lo, 9, v8
	s_cbranch_vccnz .LBB353_1832
; %bb.1827:
	v_cmp_lt_i16_e32 vcc_lo, 9, v8
	s_cbranch_vccz .LBB353_1829
; %bb.1828:
	v_dual_mov_b32 v13, 0 :: v_dual_and_b32 v4, 0xffff, v10
	s_mov_b32 s0, 0
	s_delay_alu instid0(VALU_DEP_1) | instskip(NEXT) | instid1(VALU_DEP_2)
	v_cvt_f64_u32_e32 v[11:12], v4
	v_mov_b32_e32 v14, v13
	global_store_b128 v[2:3], v[11:14], off
.LBB353_1829:
	s_and_not1_b32 vcc_lo, exec_lo, s0
	s_cbranch_vccnz .LBB353_1831
; %bb.1830:
	v_cvt_f32_ubyte0_e32 v4, v10
	v_mov_b32_e32 v5, 0
	global_store_b64 v[2:3], v[4:5], off
.LBB353_1831:
	s_mov_b32 s0, 0
.LBB353_1832:
	s_delay_alu instid0(SALU_CYCLE_1)
	s_and_not1_b32 vcc_lo, exec_lo, s0
	s_cbranch_vccnz .LBB353_1834
; %bb.1833:
	v_cvt_f16_u16_e32 v4, v10
	s_delay_alu instid0(VALU_DEP_1)
	v_and_b32_e32 v4, 0xffff, v4
	global_store_b32 v[2:3], v4, off
.LBB353_1834:
	s_mov_b32 s0, 0
.LBB353_1835:
	s_delay_alu instid0(SALU_CYCLE_1)
	s_and_not1_b32 vcc_lo, exec_lo, s0
	s_cbranch_vccnz .LBB353_1844
; %bb.1836:
	v_cmp_gt_i16_e32 vcc_lo, 6, v8
	s_mov_b32 s0, -1
	s_cbranch_vccnz .LBB353_1842
; %bb.1837:
	v_cmp_lt_i16_e32 vcc_lo, 6, v8
	s_cbranch_vccz .LBB353_1839
; %bb.1838:
	v_and_b32_e32 v4, 0xffff, v10
	s_mov_b32 s0, 0
	s_delay_alu instid0(VALU_DEP_1)
	v_cvt_f64_u32_e32 v[4:5], v4
	global_store_b64 v[2:3], v[4:5], off
.LBB353_1839:
	s_and_not1_b32 vcc_lo, exec_lo, s0
	s_cbranch_vccnz .LBB353_1841
; %bb.1840:
	v_cvt_f32_ubyte0_e32 v4, v10
	global_store_b32 v[2:3], v4, off
.LBB353_1841:
	s_mov_b32 s0, 0
.LBB353_1842:
	s_delay_alu instid0(SALU_CYCLE_1)
	s_and_not1_b32 vcc_lo, exec_lo, s0
	s_cbranch_vccnz .LBB353_1844
; %bb.1843:
	v_cvt_f16_u16_e32 v4, v10
	global_store_b16 v[2:3], v4, off
.LBB353_1844:
	s_mov_b32 s0, 0
.LBB353_1845:
	s_delay_alu instid0(SALU_CYCLE_1)
	s_and_not1_b32 vcc_lo, exec_lo, s0
	s_cbranch_vccnz .LBB353_1861
; %bb.1846:
	v_cmp_gt_i16_e32 vcc_lo, 2, v8
	s_mov_b32 s0, -1
	s_cbranch_vccnz .LBB353_1856
; %bb.1847:
	v_cmp_gt_i16_e32 vcc_lo, 3, v8
	s_cbranch_vccnz .LBB353_1853
; %bb.1848:
	v_cmp_lt_i16_e32 vcc_lo, 3, v8
	v_and_b32_e32 v4, 0xffff, v10
	s_cbranch_vccz .LBB353_1850
; %bb.1849:
	s_mov_b32 s0, 0
	s_delay_alu instid0(SALU_CYCLE_1)
	v_mov_b32_e32 v5, s0
	global_store_b64 v[2:3], v[4:5], off
.LBB353_1850:
	s_and_not1_b32 vcc_lo, exec_lo, s0
	s_cbranch_vccnz .LBB353_1852
; %bb.1851:
	global_store_b32 v[2:3], v4, off
.LBB353_1852:
	s_mov_b32 s0, 0
.LBB353_1853:
	s_delay_alu instid0(SALU_CYCLE_1)
	s_and_not1_b32 vcc_lo, exec_lo, s0
	s_cbranch_vccnz .LBB353_1855
; %bb.1854:
	global_store_b16 v[2:3], v10, off
.LBB353_1855:
	s_mov_b32 s0, 0
.LBB353_1856:
	s_delay_alu instid0(SALU_CYCLE_1)
	s_and_not1_b32 vcc_lo, exec_lo, s0
	s_cbranch_vccnz .LBB353_1861
; %bb.1857:
	v_cmp_lt_i16_e32 vcc_lo, 0, v8
	s_mov_b32 s0, -1
	s_cbranch_vccz .LBB353_1859
; %bb.1858:
	s_mov_b32 s0, 0
	global_store_b8 v[2:3], v10, off
.LBB353_1859:
	s_and_not1_b32 vcc_lo, exec_lo, s0
	s_cbranch_vccnz .LBB353_1861
; %bb.1860:
	global_store_b8 v[2:3], v10, off
.LBB353_1861:
	s_mov_b32 s3, -1
.LBB353_1862:
	s_delay_alu instid0(SALU_CYCLE_1)
	s_and_not1_b32 vcc_lo, exec_lo, s3
	s_cbranch_vccnz .LBB353_2057
; %bb.1863:
	v_and_b32_e32 v2, 0xff, v6
	v_cmp_gt_i16_e32 vcc_lo, 11, v8
	v_add_co_u32 v1, s0, s4, v1
	s_mov_b32 s3, 0
	s_delay_alu instid0(VALU_DEP_3)
	v_max_u16 v5, v2, v9
	v_add_co_ci_u32_e64 v2, null, s5, 0, s0
	s_mov_b32 s0, -1
	s_cbranch_vccnz .LBB353_1941
; %bb.1864:
	v_cmp_lt_i16_e32 vcc_lo, 25, v8
	s_mov_b32 s6, -1
	s_mov_b32 s2, 0
	s_mov_b32 s0, 0
	s_cbranch_vccz .LBB353_1897
; %bb.1865:
	v_cmp_lt_i16_e32 vcc_lo, 28, v8
	s_cbranch_vccz .LBB353_1880
; %bb.1866:
	v_cmp_lt_i16_e32 vcc_lo, 43, v8
	;; [unrolled: 3-line block ×3, first 2 shown]
	s_cbranch_vccz .LBB353_1870
; %bb.1868:
	v_cmp_eq_u16_e32 vcc_lo, 46, v8
	s_mov_b32 s0, -1
	s_mov_b32 s6, 0
	s_cbranch_vccz .LBB353_1870
; %bb.1869:
	v_cvt_f32_ubyte0_e32 v3, v5
	s_mov_b32 s0, 0
	s_mov_b32 s3, -1
	s_delay_alu instid0(VALU_DEP_1) | instskip(NEXT) | instid1(VALU_DEP_1)
	v_bfe_u32 v4, v3, 16, 1
	v_add3_u32 v3, v3, v4, 0x7fff
	s_delay_alu instid0(VALU_DEP_1)
	v_lshrrev_b32_e32 v3, 16, v3
	global_store_b32 v[1:2], v3, off
.LBB353_1870:
	s_and_b32 vcc_lo, exec_lo, s6
	s_cbranch_vccz .LBB353_1875
; %bb.1871:
	v_cmp_eq_u16_e32 vcc_lo, 44, v8
	s_mov_b32 s0, -1
	s_cbranch_vccz .LBB353_1875
; %bb.1872:
	v_cvt_f32_ubyte0_e32 v6, v5
	v_mov_b32_e32 v4, 0xff
	s_mov_b32 s3, exec_lo
	s_delay_alu instid0(VALU_DEP_2) | instskip(NEXT) | instid1(VALU_DEP_1)
	v_lshrrev_b32_e32 v3, 23, v6
	v_cmpx_ne_u32_e32 0xff, v3
; %bb.1873:
	v_and_b32_e32 v4, 0x400000, v6
	v_and_or_b32 v6, 0x3fffff, v6, v3
	s_delay_alu instid0(VALU_DEP_2) | instskip(NEXT) | instid1(VALU_DEP_2)
	v_cmp_ne_u32_e32 vcc_lo, 0, v4
	v_cmp_ne_u32_e64 s0, 0, v6
	s_delay_alu instid0(VALU_DEP_1) | instskip(NEXT) | instid1(SALU_CYCLE_1)
	s_and_b32 s0, vcc_lo, s0
	v_cndmask_b32_e64 v4, 0, 1, s0
	s_delay_alu instid0(VALU_DEP_1)
	v_add_nc_u32_e32 v4, v3, v4
; %bb.1874:
	s_or_b32 exec_lo, exec_lo, s3
	s_mov_b32 s0, 0
	s_mov_b32 s3, -1
	global_store_b8 v[1:2], v4, off
.LBB353_1875:
	s_mov_b32 s6, 0
.LBB353_1876:
	s_delay_alu instid0(SALU_CYCLE_1)
	s_and_b32 vcc_lo, exec_lo, s6
	s_cbranch_vccz .LBB353_1879
; %bb.1877:
	v_cmp_eq_u16_e32 vcc_lo, 29, v8
	s_mov_b32 s0, -1
	s_cbranch_vccz .LBB353_1879
; %bb.1878:
	s_mov_b32 s0, 0
	s_delay_alu instid0(SALU_CYCLE_1)
	v_dual_mov_b32 v4, s0 :: v_dual_and_b32 v3, 0xffff, v5
	s_mov_b32 s3, -1
	global_store_b64 v[1:2], v[3:4], off
.LBB353_1879:
	s_mov_b32 s6, 0
.LBB353_1880:
	s_delay_alu instid0(SALU_CYCLE_1)
	s_and_b32 vcc_lo, exec_lo, s6
	s_cbranch_vccz .LBB353_1896
; %bb.1881:
	v_cmp_gt_i16_e32 vcc_lo, 27, v8
	s_mov_b32 s3, -1
	s_cbranch_vccnz .LBB353_1887
; %bb.1882:
	v_cmp_lt_i16_e32 vcc_lo, 27, v8
	s_cbranch_vccz .LBB353_1884
; %bb.1883:
	v_and_b32_e32 v3, 0xffff, v5
	s_mov_b32 s3, 0
	global_store_b32 v[1:2], v3, off
.LBB353_1884:
	s_and_not1_b32 vcc_lo, exec_lo, s3
	s_cbranch_vccnz .LBB353_1886
; %bb.1885:
	global_store_b16 v[1:2], v5, off
.LBB353_1886:
	s_mov_b32 s3, 0
.LBB353_1887:
	s_delay_alu instid0(SALU_CYCLE_1)
	s_and_not1_b32 vcc_lo, exec_lo, s3
	s_cbranch_vccnz .LBB353_1895
; %bb.1888:
	v_cvt_f32_ubyte0_e32 v4, v5
	v_mov_b32_e32 v6, 0x80
	s_mov_b32 s3, exec_lo
	s_delay_alu instid0(VALU_DEP_2)
	v_cmpx_gt_u32_e32 0x43800000, v4
	s_cbranch_execz .LBB353_1894
; %bb.1889:
	s_mov_b32 s6, 0
	s_mov_b32 s7, exec_lo
                                        ; implicit-def: $vgpr3
	v_cmpx_lt_u32_e32 0x3bffffff, v4
	s_xor_b32 s7, exec_lo, s7
	s_cbranch_execz .LBB353_2120
; %bb.1890:
	v_bfe_u32 v3, v4, 20, 1
	s_mov_b32 s6, exec_lo
	s_delay_alu instid0(VALU_DEP_1) | instskip(NEXT) | instid1(VALU_DEP_1)
	v_add3_u32 v3, v4, v3, 0x487ffff
                                        ; implicit-def: $vgpr4
	v_lshrrev_b32_e32 v3, 20, v3
	s_or_saveexec_b32 s7, s7
                                        ; implicit-def: $sgpr10
	s_delay_alu instid0(SALU_CYCLE_1)
	s_xor_b32 exec_lo, exec_lo, s7
	s_cbranch_execnz .LBB353_2121
.LBB353_1891:
	s_or_b32 exec_lo, exec_lo, s7
	v_mov_b32_e32 v6, s10
	s_and_saveexec_b32 s7, s6
.LBB353_1892:
	v_mov_b32_e32 v6, v3
.LBB353_1893:
	s_or_b32 exec_lo, exec_lo, s7
.LBB353_1894:
	s_delay_alu instid0(SALU_CYCLE_1)
	s_or_b32 exec_lo, exec_lo, s3
	global_store_b8 v[1:2], v6, off
.LBB353_1895:
	s_mov_b32 s3, -1
.LBB353_1896:
	s_mov_b32 s6, 0
.LBB353_1897:
	s_delay_alu instid0(SALU_CYCLE_1)
	s_and_b32 vcc_lo, exec_lo, s6
	s_cbranch_vccz .LBB353_1937
; %bb.1898:
	v_cmp_lt_i16_e32 vcc_lo, 22, v8
	s_mov_b32 s2, -1
	s_cbranch_vccz .LBB353_1930
; %bb.1899:
	v_cmp_gt_i16_e32 vcc_lo, 24, v8
	s_cbranch_vccnz .LBB353_1919
; %bb.1900:
	v_cmp_lt_i16_e32 vcc_lo, 24, v8
	s_cbranch_vccz .LBB353_1908
; %bb.1901:
	v_cvt_f32_ubyte0_e32 v4, v5
	v_mov_b32_e32 v6, 0x80
	s_mov_b32 s2, exec_lo
	s_delay_alu instid0(VALU_DEP_2)
	v_cmpx_gt_u32_e32 0x47800000, v4
	s_cbranch_execz .LBB353_1907
; %bb.1902:
	s_mov_b32 s3, 0
	s_mov_b32 s6, exec_lo
                                        ; implicit-def: $vgpr3
	v_cmpx_lt_u32_e32 0x37ffffff, v4
	s_xor_b32 s6, exec_lo, s6
	s_cbranch_execz .LBB353_2126
; %bb.1903:
	v_bfe_u32 v3, v4, 21, 1
	s_mov_b32 s3, exec_lo
	s_delay_alu instid0(VALU_DEP_1) | instskip(NEXT) | instid1(VALU_DEP_1)
	v_add3_u32 v3, v4, v3, 0x88fffff
                                        ; implicit-def: $vgpr4
	v_lshrrev_b32_e32 v3, 21, v3
	s_or_saveexec_b32 s6, s6
                                        ; implicit-def: $sgpr7
	s_delay_alu instid0(SALU_CYCLE_1)
	s_xor_b32 exec_lo, exec_lo, s6
	s_cbranch_execnz .LBB353_2127
.LBB353_1904:
	s_or_b32 exec_lo, exec_lo, s6
	v_mov_b32_e32 v6, s7
	s_and_saveexec_b32 s6, s3
.LBB353_1905:
	v_mov_b32_e32 v6, v3
.LBB353_1906:
	s_or_b32 exec_lo, exec_lo, s6
.LBB353_1907:
	s_delay_alu instid0(SALU_CYCLE_1)
	s_or_b32 exec_lo, exec_lo, s2
	s_mov_b32 s2, 0
	global_store_b8 v[1:2], v6, off
.LBB353_1908:
	s_and_b32 vcc_lo, exec_lo, s2
	s_cbranch_vccz .LBB353_1918
; %bb.1909:
	v_cvt_f32_ubyte0_e32 v4, v5
	s_mov_b32 s2, exec_lo
                                        ; implicit-def: $vgpr3
	s_delay_alu instid0(VALU_DEP_1)
	v_cmpx_gt_u32_e32 0x43f00000, v4
	s_xor_b32 s2, exec_lo, s2
	s_cbranch_execz .LBB353_1915
; %bb.1910:
	s_mov_b32 s3, exec_lo
                                        ; implicit-def: $vgpr3
	v_cmpx_lt_u32_e32 0x3c7fffff, v4
	s_xor_b32 s3, exec_lo, s3
; %bb.1911:
	v_bfe_u32 v3, v4, 20, 1
	s_delay_alu instid0(VALU_DEP_1) | instskip(NEXT) | instid1(VALU_DEP_1)
	v_add3_u32 v3, v4, v3, 0x407ffff
	v_and_b32_e32 v4, 0xff00000, v3
	v_lshrrev_b32_e32 v3, 20, v3
	s_delay_alu instid0(VALU_DEP_2) | instskip(NEXT) | instid1(VALU_DEP_2)
	v_cmp_ne_u32_e32 vcc_lo, 0x7f00000, v4
                                        ; implicit-def: $vgpr4
	v_cndmask_b32_e32 v3, 0x7e, v3, vcc_lo
; %bb.1912:
	s_and_not1_saveexec_b32 s3, s3
; %bb.1913:
	v_add_f32_e32 v3, 0x46800000, v4
; %bb.1914:
	s_or_b32 exec_lo, exec_lo, s3
                                        ; implicit-def: $vgpr4
.LBB353_1915:
	s_and_not1_saveexec_b32 s2, s2
; %bb.1916:
	v_mov_b32_e32 v3, 0x7f
	v_cmp_lt_u32_e32 vcc_lo, 0x7f800000, v4
	s_delay_alu instid0(VALU_DEP_2)
	v_cndmask_b32_e32 v3, 0x7e, v3, vcc_lo
; %bb.1917:
	s_or_b32 exec_lo, exec_lo, s2
	global_store_b8 v[1:2], v3, off
.LBB353_1918:
	s_mov_b32 s2, 0
.LBB353_1919:
	s_delay_alu instid0(SALU_CYCLE_1)
	s_and_not1_b32 vcc_lo, exec_lo, s2
	s_cbranch_vccnz .LBB353_1929
; %bb.1920:
	v_cvt_f32_ubyte0_e32 v4, v5
	s_mov_b32 s2, exec_lo
                                        ; implicit-def: $vgpr3
	s_delay_alu instid0(VALU_DEP_1)
	v_cmpx_gt_u32_e32 0x47800000, v4
	s_xor_b32 s2, exec_lo, s2
	s_cbranch_execz .LBB353_1926
; %bb.1921:
	s_mov_b32 s3, exec_lo
                                        ; implicit-def: $vgpr3
	v_cmpx_lt_u32_e32 0x387fffff, v4
	s_xor_b32 s3, exec_lo, s3
; %bb.1922:
	v_bfe_u32 v3, v4, 21, 1
	s_delay_alu instid0(VALU_DEP_1) | instskip(NEXT) | instid1(VALU_DEP_1)
	v_add3_u32 v3, v4, v3, 0x80fffff
                                        ; implicit-def: $vgpr4
	v_lshrrev_b32_e32 v3, 21, v3
; %bb.1923:
	s_and_not1_saveexec_b32 s3, s3
; %bb.1924:
	v_add_f32_e32 v3, 0x43000000, v4
; %bb.1925:
	s_or_b32 exec_lo, exec_lo, s3
                                        ; implicit-def: $vgpr4
.LBB353_1926:
	s_and_not1_saveexec_b32 s2, s2
; %bb.1927:
	v_mov_b32_e32 v3, 0x7f
	v_cmp_lt_u32_e32 vcc_lo, 0x7f800000, v4
	s_delay_alu instid0(VALU_DEP_2)
	v_cndmask_b32_e32 v3, 0x7c, v3, vcc_lo
; %bb.1928:
	s_or_b32 exec_lo, exec_lo, s2
	global_store_b8 v[1:2], v3, off
.LBB353_1929:
	s_mov_b32 s2, 0
	s_mov_b32 s3, -1
.LBB353_1930:
	s_and_not1_b32 vcc_lo, exec_lo, s2
	s_mov_b32 s2, 0
	s_cbranch_vccnz .LBB353_1937
; %bb.1931:
	v_cmp_lt_i16_e32 vcc_lo, 14, v8
	s_mov_b32 s2, -1
	s_cbranch_vccz .LBB353_1935
; %bb.1932:
	v_cmp_eq_u16_e32 vcc_lo, 15, v8
	s_mov_b32 s0, -1
	s_cbranch_vccz .LBB353_1934
; %bb.1933:
	v_cvt_f32_ubyte0_e32 v3, v5
	s_mov_b32 s0, 0
	s_mov_b32 s3, -1
	s_delay_alu instid0(VALU_DEP_1) | instskip(NEXT) | instid1(VALU_DEP_1)
	v_bfe_u32 v4, v3, 16, 1
	v_add3_u32 v3, v3, v4, 0x7fff
	global_store_d16_hi_b16 v[1:2], v3, off
.LBB353_1934:
	s_mov_b32 s2, 0
.LBB353_1935:
	s_delay_alu instid0(SALU_CYCLE_1)
	s_and_b32 vcc_lo, exec_lo, s2
	s_mov_b32 s2, 0
	s_cbranch_vccz .LBB353_1937
; %bb.1936:
	v_cmp_ne_u16_e64 s0, 11, v8
	s_mov_b32 s2, -1
.LBB353_1937:
	s_delay_alu instid0(VALU_DEP_1)
	s_and_b32 vcc_lo, exec_lo, s0
	s_cbranch_vccnz .LBB353_2124
; %bb.1938:
	s_and_not1_b32 vcc_lo, exec_lo, s2
	s_cbranch_vccnz .LBB353_1940
.LBB353_1939:
	v_cmp_ne_u16_e32 vcc_lo, 0, v5
	s_mov_b32 s3, -1
	v_cndmask_b32_e64 v3, 0, 1, vcc_lo
	global_store_b8 v[1:2], v3, off
.LBB353_1940:
	s_mov_b32 s0, 0
.LBB353_1941:
	s_delay_alu instid0(SALU_CYCLE_1)
	s_and_b32 vcc_lo, exec_lo, s0
	s_cbranch_vccz .LBB353_1980
; %bb.1942:
	v_cmp_gt_i16_e32 vcc_lo, 5, v8
	s_mov_b32 s0, -1
	s_cbranch_vccnz .LBB353_1963
; %bb.1943:
	v_cmp_gt_i16_e32 vcc_lo, 8, v8
	s_cbranch_vccnz .LBB353_1953
; %bb.1944:
	v_cmp_gt_i16_e32 vcc_lo, 9, v8
	s_cbranch_vccnz .LBB353_1950
; %bb.1945:
	v_cmp_lt_i16_e32 vcc_lo, 9, v8
	s_cbranch_vccz .LBB353_1947
; %bb.1946:
	v_dual_mov_b32 v12, 0 :: v_dual_and_b32 v3, 0xffff, v5
	s_mov_b32 s0, 0
	s_delay_alu instid0(VALU_DEP_1) | instskip(NEXT) | instid1(VALU_DEP_2)
	v_cvt_f64_u32_e32 v[10:11], v3
	v_mov_b32_e32 v13, v12
	global_store_b128 v[1:2], v[10:13], off
.LBB353_1947:
	s_and_not1_b32 vcc_lo, exec_lo, s0
	s_cbranch_vccnz .LBB353_1949
; %bb.1948:
	v_cvt_f32_ubyte0_e32 v3, v5
	v_mov_b32_e32 v4, 0
	global_store_b64 v[1:2], v[3:4], off
.LBB353_1949:
	s_mov_b32 s0, 0
.LBB353_1950:
	s_delay_alu instid0(SALU_CYCLE_1)
	s_and_not1_b32 vcc_lo, exec_lo, s0
	s_cbranch_vccnz .LBB353_1952
; %bb.1951:
	v_cvt_f16_u16_e32 v3, v5
	s_delay_alu instid0(VALU_DEP_1)
	v_and_b32_e32 v3, 0xffff, v3
	global_store_b32 v[1:2], v3, off
.LBB353_1952:
	s_mov_b32 s0, 0
.LBB353_1953:
	s_delay_alu instid0(SALU_CYCLE_1)
	s_and_not1_b32 vcc_lo, exec_lo, s0
	s_cbranch_vccnz .LBB353_1962
; %bb.1954:
	v_cmp_gt_i16_e32 vcc_lo, 6, v8
	s_mov_b32 s0, -1
	s_cbranch_vccnz .LBB353_1960
; %bb.1955:
	v_cmp_lt_i16_e32 vcc_lo, 6, v8
	s_cbranch_vccz .LBB353_1957
; %bb.1956:
	v_and_b32_e32 v3, 0xffff, v5
	s_mov_b32 s0, 0
	s_delay_alu instid0(VALU_DEP_1)
	v_cvt_f64_u32_e32 v[3:4], v3
	global_store_b64 v[1:2], v[3:4], off
.LBB353_1957:
	s_and_not1_b32 vcc_lo, exec_lo, s0
	s_cbranch_vccnz .LBB353_1959
; %bb.1958:
	v_cvt_f32_ubyte0_e32 v3, v5
	global_store_b32 v[1:2], v3, off
.LBB353_1959:
	s_mov_b32 s0, 0
.LBB353_1960:
	s_delay_alu instid0(SALU_CYCLE_1)
	s_and_not1_b32 vcc_lo, exec_lo, s0
	s_cbranch_vccnz .LBB353_1962
; %bb.1961:
	v_cvt_f16_u16_e32 v3, v5
	global_store_b16 v[1:2], v3, off
.LBB353_1962:
	s_mov_b32 s0, 0
.LBB353_1963:
	s_delay_alu instid0(SALU_CYCLE_1)
	s_and_not1_b32 vcc_lo, exec_lo, s0
	s_cbranch_vccnz .LBB353_1979
; %bb.1964:
	v_cmp_gt_i16_e32 vcc_lo, 2, v8
	s_mov_b32 s0, -1
	s_cbranch_vccnz .LBB353_1974
; %bb.1965:
	v_cmp_gt_i16_e32 vcc_lo, 3, v8
	s_cbranch_vccnz .LBB353_1971
; %bb.1966:
	v_cmp_lt_i16_e32 vcc_lo, 3, v8
	v_and_b32_e32 v3, 0xffff, v5
	s_cbranch_vccz .LBB353_1968
; %bb.1967:
	s_mov_b32 s0, 0
	s_delay_alu instid0(SALU_CYCLE_1)
	v_mov_b32_e32 v4, s0
	global_store_b64 v[1:2], v[3:4], off
.LBB353_1968:
	s_and_not1_b32 vcc_lo, exec_lo, s0
	s_cbranch_vccnz .LBB353_1970
; %bb.1969:
	global_store_b32 v[1:2], v3, off
.LBB353_1970:
	s_mov_b32 s0, 0
.LBB353_1971:
	s_delay_alu instid0(SALU_CYCLE_1)
	s_and_not1_b32 vcc_lo, exec_lo, s0
	s_cbranch_vccnz .LBB353_1973
; %bb.1972:
	global_store_b16 v[1:2], v5, off
.LBB353_1973:
	s_mov_b32 s0, 0
.LBB353_1974:
	s_delay_alu instid0(SALU_CYCLE_1)
	s_and_not1_b32 vcc_lo, exec_lo, s0
	s_cbranch_vccnz .LBB353_1979
; %bb.1975:
	v_cmp_lt_i16_e32 vcc_lo, 0, v8
	s_mov_b32 s0, -1
	s_cbranch_vccz .LBB353_1977
; %bb.1976:
	s_mov_b32 s0, 0
	global_store_b8 v[1:2], v5, off
.LBB353_1977:
	s_and_not1_b32 vcc_lo, exec_lo, s0
	s_cbranch_vccnz .LBB353_1979
; %bb.1978:
	global_store_b8 v[1:2], v5, off
.LBB353_1979:
	s_mov_b32 s3, -1
.LBB353_1980:
	s_delay_alu instid0(SALU_CYCLE_1)
	s_and_not1_b32 vcc_lo, exec_lo, s3
	s_cbranch_vccnz .LBB353_2057
; %bb.1981:
	v_and_b32_e32 v1, 0xff, v7
	v_cmp_gt_i16_e32 vcc_lo, 11, v8
	v_add_co_u32 v0, s0, s4, v0
	s_mov_b32 s2, 0
	s_delay_alu instid0(VALU_DEP_3)
	v_max_u16 v2, v1, v9
	v_add_co_ci_u32_e64 v1, null, s5, 0, s0
	s_mov_b32 s0, -1
	s_cbranch_vccnz .LBB353_2058
; %bb.1982:
	v_cmp_lt_i16_e32 vcc_lo, 25, v8
	s_mov_b32 s3, -1
	s_mov_b32 s0, 0
	s_cbranch_vccz .LBB353_2015
; %bb.1983:
	v_cmp_lt_i16_e32 vcc_lo, 28, v8
	s_cbranch_vccz .LBB353_1999
; %bb.1984:
	v_cmp_lt_i16_e32 vcc_lo, 43, v8
	;; [unrolled: 3-line block ×3, first 2 shown]
	s_cbranch_vccz .LBB353_1989
; %bb.1986:
	v_cmp_eq_u16_e32 vcc_lo, 46, v8
	s_mov_b32 s0, -1
	s_cbranch_vccz .LBB353_1988
; %bb.1987:
	v_cvt_f32_ubyte0_e32 v3, v2
	s_mov_b32 s0, 0
	s_delay_alu instid0(VALU_DEP_1) | instskip(NEXT) | instid1(VALU_DEP_1)
	v_bfe_u32 v4, v3, 16, 1
	v_add3_u32 v3, v3, v4, 0x7fff
	s_delay_alu instid0(VALU_DEP_1)
	v_lshrrev_b32_e32 v3, 16, v3
	global_store_b32 v[0:1], v3, off
.LBB353_1988:
	s_mov_b32 s3, 0
.LBB353_1989:
	s_delay_alu instid0(SALU_CYCLE_1)
	s_and_b32 vcc_lo, exec_lo, s3
	s_cbranch_vccz .LBB353_1994
; %bb.1990:
	v_cmp_eq_u16_e32 vcc_lo, 44, v8
	s_mov_b32 s0, -1
	s_cbranch_vccz .LBB353_1994
; %bb.1991:
	v_cvt_f32_ubyte0_e32 v5, v2
	v_mov_b32_e32 v4, 0xff
	s_mov_b32 s3, exec_lo
	s_delay_alu instid0(VALU_DEP_2) | instskip(NEXT) | instid1(VALU_DEP_1)
	v_lshrrev_b32_e32 v3, 23, v5
	v_cmpx_ne_u32_e32 0xff, v3
; %bb.1992:
	v_and_b32_e32 v4, 0x400000, v5
	v_and_or_b32 v5, 0x3fffff, v5, v3
	s_delay_alu instid0(VALU_DEP_2) | instskip(NEXT) | instid1(VALU_DEP_2)
	v_cmp_ne_u32_e32 vcc_lo, 0, v4
	v_cmp_ne_u32_e64 s0, 0, v5
	s_delay_alu instid0(VALU_DEP_1) | instskip(NEXT) | instid1(SALU_CYCLE_1)
	s_and_b32 s0, vcc_lo, s0
	v_cndmask_b32_e64 v4, 0, 1, s0
	s_delay_alu instid0(VALU_DEP_1)
	v_add_nc_u32_e32 v4, v3, v4
; %bb.1993:
	s_or_b32 exec_lo, exec_lo, s3
	s_mov_b32 s0, 0
	global_store_b8 v[0:1], v4, off
.LBB353_1994:
	s_mov_b32 s3, 0
.LBB353_1995:
	s_delay_alu instid0(SALU_CYCLE_1)
	s_and_b32 vcc_lo, exec_lo, s3
	s_cbranch_vccz .LBB353_1998
; %bb.1996:
	v_cmp_eq_u16_e32 vcc_lo, 29, v8
	s_mov_b32 s0, -1
	s_cbranch_vccz .LBB353_1998
; %bb.1997:
	s_mov_b32 s0, 0
	s_delay_alu instid0(SALU_CYCLE_1)
	v_dual_mov_b32 v4, s0 :: v_dual_and_b32 v3, 0xffff, v2
	global_store_b64 v[0:1], v[3:4], off
.LBB353_1998:
	s_mov_b32 s3, 0
.LBB353_1999:
	s_delay_alu instid0(SALU_CYCLE_1)
	s_and_b32 vcc_lo, exec_lo, s3
	s_cbranch_vccz .LBB353_2014
; %bb.2000:
	v_cmp_gt_i16_e32 vcc_lo, 27, v8
	s_mov_b32 s3, -1
	s_cbranch_vccnz .LBB353_2006
; %bb.2001:
	v_cmp_lt_i16_e32 vcc_lo, 27, v8
	s_cbranch_vccz .LBB353_2003
; %bb.2002:
	v_and_b32_e32 v3, 0xffff, v2
	s_mov_b32 s3, 0
	global_store_b32 v[0:1], v3, off
.LBB353_2003:
	s_and_not1_b32 vcc_lo, exec_lo, s3
	s_cbranch_vccnz .LBB353_2005
; %bb.2004:
	global_store_b16 v[0:1], v2, off
.LBB353_2005:
	s_mov_b32 s3, 0
.LBB353_2006:
	s_delay_alu instid0(SALU_CYCLE_1)
	s_and_not1_b32 vcc_lo, exec_lo, s3
	s_cbranch_vccnz .LBB353_2014
; %bb.2007:
	v_cvt_f32_ubyte0_e32 v4, v2
	v_mov_b32_e32 v5, 0x80
	s_mov_b32 s3, exec_lo
	s_delay_alu instid0(VALU_DEP_2)
	v_cmpx_gt_u32_e32 0x43800000, v4
	s_cbranch_execz .LBB353_2013
; %bb.2008:
	s_mov_b32 s4, 0
	s_mov_b32 s5, exec_lo
                                        ; implicit-def: $vgpr3
	v_cmpx_lt_u32_e32 0x3bffffff, v4
	s_xor_b32 s5, exec_lo, s5
	s_cbranch_execz .LBB353_2128
; %bb.2009:
	v_bfe_u32 v3, v4, 20, 1
	s_mov_b32 s4, exec_lo
	s_delay_alu instid0(VALU_DEP_1) | instskip(NEXT) | instid1(VALU_DEP_1)
	v_add3_u32 v3, v4, v3, 0x487ffff
                                        ; implicit-def: $vgpr4
	v_lshrrev_b32_e32 v3, 20, v3
	s_or_saveexec_b32 s5, s5
                                        ; implicit-def: $sgpr6
	s_delay_alu instid0(SALU_CYCLE_1)
	s_xor_b32 exec_lo, exec_lo, s5
	s_cbranch_execnz .LBB353_2129
.LBB353_2010:
	s_or_b32 exec_lo, exec_lo, s5
	v_mov_b32_e32 v5, s6
	s_and_saveexec_b32 s5, s4
.LBB353_2011:
	v_mov_b32_e32 v5, v3
.LBB353_2012:
	s_or_b32 exec_lo, exec_lo, s5
.LBB353_2013:
	s_delay_alu instid0(SALU_CYCLE_1)
	s_or_b32 exec_lo, exec_lo, s3
	global_store_b8 v[0:1], v5, off
.LBB353_2014:
	s_mov_b32 s3, 0
.LBB353_2015:
	s_delay_alu instid0(SALU_CYCLE_1)
	s_and_b32 vcc_lo, exec_lo, s3
	s_cbranch_vccz .LBB353_2055
; %bb.2016:
	v_cmp_lt_i16_e32 vcc_lo, 22, v8
	s_mov_b32 s2, -1
	s_cbranch_vccz .LBB353_2048
; %bb.2017:
	v_cmp_gt_i16_e32 vcc_lo, 24, v8
	s_cbranch_vccnz .LBB353_2037
; %bb.2018:
	v_cmp_lt_i16_e32 vcc_lo, 24, v8
	s_cbranch_vccz .LBB353_2026
; %bb.2019:
	v_cvt_f32_ubyte0_e32 v4, v2
	v_mov_b32_e32 v5, 0x80
	s_mov_b32 s2, exec_lo
	s_delay_alu instid0(VALU_DEP_2)
	v_cmpx_gt_u32_e32 0x47800000, v4
	s_cbranch_execz .LBB353_2025
; %bb.2020:
	s_mov_b32 s3, 0
	s_mov_b32 s4, exec_lo
                                        ; implicit-def: $vgpr3
	v_cmpx_lt_u32_e32 0x37ffffff, v4
	s_xor_b32 s4, exec_lo, s4
	s_cbranch_execz .LBB353_2134
; %bb.2021:
	v_bfe_u32 v3, v4, 21, 1
	s_mov_b32 s3, exec_lo
	s_delay_alu instid0(VALU_DEP_1) | instskip(NEXT) | instid1(VALU_DEP_1)
	v_add3_u32 v3, v4, v3, 0x88fffff
                                        ; implicit-def: $vgpr4
	v_lshrrev_b32_e32 v3, 21, v3
	s_or_saveexec_b32 s4, s4
                                        ; implicit-def: $sgpr5
	s_delay_alu instid0(SALU_CYCLE_1)
	s_xor_b32 exec_lo, exec_lo, s4
	s_cbranch_execnz .LBB353_2135
.LBB353_2022:
	s_or_b32 exec_lo, exec_lo, s4
	v_mov_b32_e32 v5, s5
	s_and_saveexec_b32 s4, s3
.LBB353_2023:
	v_mov_b32_e32 v5, v3
.LBB353_2024:
	s_or_b32 exec_lo, exec_lo, s4
.LBB353_2025:
	s_delay_alu instid0(SALU_CYCLE_1)
	s_or_b32 exec_lo, exec_lo, s2
	s_mov_b32 s2, 0
	global_store_b8 v[0:1], v5, off
.LBB353_2026:
	s_and_b32 vcc_lo, exec_lo, s2
	s_cbranch_vccz .LBB353_2036
; %bb.2027:
	v_cvt_f32_ubyte0_e32 v4, v2
	s_mov_b32 s2, exec_lo
                                        ; implicit-def: $vgpr3
	s_delay_alu instid0(VALU_DEP_1)
	v_cmpx_gt_u32_e32 0x43f00000, v4
	s_xor_b32 s2, exec_lo, s2
	s_cbranch_execz .LBB353_2033
; %bb.2028:
	s_mov_b32 s3, exec_lo
                                        ; implicit-def: $vgpr3
	v_cmpx_lt_u32_e32 0x3c7fffff, v4
	s_xor_b32 s3, exec_lo, s3
; %bb.2029:
	v_bfe_u32 v3, v4, 20, 1
	s_delay_alu instid0(VALU_DEP_1) | instskip(NEXT) | instid1(VALU_DEP_1)
	v_add3_u32 v3, v4, v3, 0x407ffff
	v_and_b32_e32 v4, 0xff00000, v3
	v_lshrrev_b32_e32 v3, 20, v3
	s_delay_alu instid0(VALU_DEP_2) | instskip(NEXT) | instid1(VALU_DEP_2)
	v_cmp_ne_u32_e32 vcc_lo, 0x7f00000, v4
                                        ; implicit-def: $vgpr4
	v_cndmask_b32_e32 v3, 0x7e, v3, vcc_lo
; %bb.2030:
	s_and_not1_saveexec_b32 s3, s3
; %bb.2031:
	v_add_f32_e32 v3, 0x46800000, v4
; %bb.2032:
	s_or_b32 exec_lo, exec_lo, s3
                                        ; implicit-def: $vgpr4
.LBB353_2033:
	s_and_not1_saveexec_b32 s2, s2
; %bb.2034:
	v_mov_b32_e32 v3, 0x7f
	v_cmp_lt_u32_e32 vcc_lo, 0x7f800000, v4
	s_delay_alu instid0(VALU_DEP_2)
	v_cndmask_b32_e32 v3, 0x7e, v3, vcc_lo
; %bb.2035:
	s_or_b32 exec_lo, exec_lo, s2
	global_store_b8 v[0:1], v3, off
.LBB353_2036:
	s_mov_b32 s2, 0
.LBB353_2037:
	s_delay_alu instid0(SALU_CYCLE_1)
	s_and_not1_b32 vcc_lo, exec_lo, s2
	s_cbranch_vccnz .LBB353_2047
; %bb.2038:
	v_cvt_f32_ubyte0_e32 v4, v2
	s_mov_b32 s2, exec_lo
                                        ; implicit-def: $vgpr3
	s_delay_alu instid0(VALU_DEP_1)
	v_cmpx_gt_u32_e32 0x47800000, v4
	s_xor_b32 s2, exec_lo, s2
	s_cbranch_execz .LBB353_2044
; %bb.2039:
	s_mov_b32 s3, exec_lo
                                        ; implicit-def: $vgpr3
	v_cmpx_lt_u32_e32 0x387fffff, v4
	s_xor_b32 s3, exec_lo, s3
; %bb.2040:
	v_bfe_u32 v3, v4, 21, 1
	s_delay_alu instid0(VALU_DEP_1) | instskip(NEXT) | instid1(VALU_DEP_1)
	v_add3_u32 v3, v4, v3, 0x80fffff
                                        ; implicit-def: $vgpr4
	v_lshrrev_b32_e32 v3, 21, v3
; %bb.2041:
	s_and_not1_saveexec_b32 s3, s3
; %bb.2042:
	v_add_f32_e32 v3, 0x43000000, v4
; %bb.2043:
	s_or_b32 exec_lo, exec_lo, s3
                                        ; implicit-def: $vgpr4
.LBB353_2044:
	s_and_not1_saveexec_b32 s2, s2
; %bb.2045:
	v_mov_b32_e32 v3, 0x7f
	v_cmp_lt_u32_e32 vcc_lo, 0x7f800000, v4
	s_delay_alu instid0(VALU_DEP_2)
	v_cndmask_b32_e32 v3, 0x7c, v3, vcc_lo
; %bb.2046:
	s_or_b32 exec_lo, exec_lo, s2
	global_store_b8 v[0:1], v3, off
.LBB353_2047:
	s_mov_b32 s2, 0
.LBB353_2048:
	s_delay_alu instid0(SALU_CYCLE_1)
	s_and_not1_b32 vcc_lo, exec_lo, s2
	s_mov_b32 s2, 0
	s_cbranch_vccnz .LBB353_2055
; %bb.2049:
	v_cmp_lt_i16_e32 vcc_lo, 14, v8
	s_mov_b32 s2, -1
	s_cbranch_vccz .LBB353_2053
; %bb.2050:
	v_cmp_eq_u16_e32 vcc_lo, 15, v8
	s_mov_b32 s0, -1
	s_cbranch_vccz .LBB353_2052
; %bb.2051:
	v_cvt_f32_ubyte0_e32 v3, v2
	s_mov_b32 s0, 0
	s_delay_alu instid0(VALU_DEP_1) | instskip(NEXT) | instid1(VALU_DEP_1)
	v_bfe_u32 v4, v3, 16, 1
	v_add3_u32 v3, v3, v4, 0x7fff
	global_store_d16_hi_b16 v[0:1], v3, off
.LBB353_2052:
	s_mov_b32 s2, 0
.LBB353_2053:
	s_delay_alu instid0(SALU_CYCLE_1)
	s_and_b32 vcc_lo, exec_lo, s2
	s_mov_b32 s2, 0
	s_cbranch_vccz .LBB353_2055
; %bb.2054:
	v_cmp_ne_u16_e64 s0, 11, v8
	s_mov_b32 s2, -1
.LBB353_2055:
	s_delay_alu instid0(VALU_DEP_1)
	s_and_b32 vcc_lo, exec_lo, s0
	s_cbranch_vccnz .LBB353_2132
.LBB353_2056:
	s_mov_b32 s0, 0
	s_branch .LBB353_2058
.LBB353_2057:
	s_mov_b32 s0, 0
	s_mov_b32 s2, 0
                                        ; implicit-def: $vgpr0_vgpr1
                                        ; implicit-def: $vgpr8
                                        ; implicit-def: $vgpr2
.LBB353_2058:
	s_and_b32 s3, s0, exec_lo
	s_and_not1_b32 s0, s8, exec_lo
	s_and_b32 s1, s1, exec_lo
	s_and_b32 s26, s2, exec_lo
	s_or_b32 s8, s0, s1
.LBB353_2059:
	s_or_b32 exec_lo, exec_lo, s9
	s_and_saveexec_b32 s0, s8
	s_cbranch_execz .LBB353_2062
; %bb.2060:
	; divergent unreachable
	s_or_b32 exec_lo, exec_lo, s0
	s_and_saveexec_b32 s0, s26
	s_delay_alu instid0(SALU_CYCLE_1)
	s_xor_b32 s0, exec_lo, s0
	s_cbranch_execnz .LBB353_2063
.LBB353_2061:
	s_or_b32 exec_lo, exec_lo, s0
	s_and_saveexec_b32 s0, s3
	s_cbranch_execnz .LBB353_2064
	s_branch .LBB353_2101
.LBB353_2062:
	s_or_b32 exec_lo, exec_lo, s0
	s_and_saveexec_b32 s0, s26
	s_delay_alu instid0(SALU_CYCLE_1)
	s_xor_b32 s0, exec_lo, s0
	s_cbranch_execz .LBB353_2061
.LBB353_2063:
	s_waitcnt vmcnt(0)
	v_and_b32_e32 v3, 0xff, v2
	s_delay_alu instid0(VALU_DEP_1)
	v_cmp_ne_u16_e32 vcc_lo, 0, v3
	v_cndmask_b32_e64 v3, 0, 1, vcc_lo
	global_store_b8 v[0:1], v3, off
	s_or_b32 exec_lo, exec_lo, s0
	s_and_saveexec_b32 s0, s3
	s_cbranch_execz .LBB353_2101
.LBB353_2064:
	s_waitcnt vmcnt(0)
	v_cmp_gt_i16_e32 vcc_lo, 5, v8
	s_mov_b32 s0, -1
	s_cbranch_vccnz .LBB353_2085
; %bb.2065:
	v_cmp_gt_i16_e32 vcc_lo, 8, v8
	s_cbranch_vccnz .LBB353_2075
; %bb.2066:
	v_cmp_gt_i16_e32 vcc_lo, 9, v8
	s_cbranch_vccnz .LBB353_2072
; %bb.2067:
	v_cmp_lt_i16_e32 vcc_lo, 9, v8
	s_cbranch_vccz .LBB353_2069
; %bb.2068:
	v_mov_b32_e32 v5, 0
	v_and_b32_e32 v3, 0xff, v2
	s_mov_b32 s0, 0
	s_delay_alu instid0(VALU_DEP_1) | instskip(NEXT) | instid1(VALU_DEP_1)
	v_dual_mov_b32 v6, v5 :: v_dual_and_b32 v3, 0xffff, v3
	v_cvt_f64_u32_e32 v[3:4], v3
	global_store_b128 v[0:1], v[3:6], off
.LBB353_2069:
	s_and_not1_b32 vcc_lo, exec_lo, s0
	s_cbranch_vccnz .LBB353_2071
; %bb.2070:
	v_cvt_f32_ubyte0_e32 v3, v2
	v_mov_b32_e32 v4, 0
	global_store_b64 v[0:1], v[3:4], off
.LBB353_2071:
	s_mov_b32 s0, 0
.LBB353_2072:
	s_delay_alu instid0(SALU_CYCLE_1)
	s_and_not1_b32 vcc_lo, exec_lo, s0
	s_cbranch_vccnz .LBB353_2074
; %bb.2073:
	v_and_b32_e32 v3, 0xff, v2
	s_delay_alu instid0(VALU_DEP_1) | instskip(NEXT) | instid1(VALU_DEP_1)
	v_cvt_f16_u16_e32 v3, v3
	v_and_b32_e32 v3, 0xffff, v3
	global_store_b32 v[0:1], v3, off
.LBB353_2074:
	s_mov_b32 s0, 0
.LBB353_2075:
	s_delay_alu instid0(SALU_CYCLE_1)
	s_and_not1_b32 vcc_lo, exec_lo, s0
	s_cbranch_vccnz .LBB353_2084
; %bb.2076:
	v_cmp_gt_i16_e32 vcc_lo, 6, v8
	s_mov_b32 s0, -1
	s_cbranch_vccnz .LBB353_2082
; %bb.2077:
	v_cmp_lt_i16_e32 vcc_lo, 6, v8
	s_cbranch_vccz .LBB353_2079
; %bb.2078:
	v_and_b32_e32 v3, 0xff, v2
	s_mov_b32 s0, 0
	s_delay_alu instid0(VALU_DEP_1) | instskip(NEXT) | instid1(VALU_DEP_1)
	v_and_b32_e32 v3, 0xffff, v3
	v_cvt_f64_u32_e32 v[3:4], v3
	global_store_b64 v[0:1], v[3:4], off
.LBB353_2079:
	s_and_not1_b32 vcc_lo, exec_lo, s0
	s_cbranch_vccnz .LBB353_2081
; %bb.2080:
	v_cvt_f32_ubyte0_e32 v3, v2
	global_store_b32 v[0:1], v3, off
.LBB353_2081:
	s_mov_b32 s0, 0
.LBB353_2082:
	s_delay_alu instid0(SALU_CYCLE_1)
	s_and_not1_b32 vcc_lo, exec_lo, s0
	s_cbranch_vccnz .LBB353_2084
; %bb.2083:
	v_and_b32_e32 v3, 0xff, v2
	s_delay_alu instid0(VALU_DEP_1)
	v_cvt_f16_u16_e32 v3, v3
	global_store_b16 v[0:1], v3, off
.LBB353_2084:
	s_mov_b32 s0, 0
.LBB353_2085:
	s_delay_alu instid0(SALU_CYCLE_1)
	s_and_not1_b32 vcc_lo, exec_lo, s0
	s_cbranch_vccnz .LBB353_2101
; %bb.2086:
	v_cmp_gt_i16_e32 vcc_lo, 2, v8
	s_mov_b32 s0, -1
	s_cbranch_vccnz .LBB353_2096
; %bb.2087:
	v_cmp_gt_i16_e32 vcc_lo, 3, v8
	s_cbranch_vccnz .LBB353_2093
; %bb.2088:
	v_cmp_lt_i16_e32 vcc_lo, 3, v8
	s_cbranch_vccz .LBB353_2090
; %bb.2089:
	v_dual_mov_b32 v4, 0 :: v_dual_and_b32 v3, 0xff, v2
	s_mov_b32 s0, 0
	global_store_b64 v[0:1], v[3:4], off
.LBB353_2090:
	s_and_not1_b32 vcc_lo, exec_lo, s0
	s_cbranch_vccnz .LBB353_2092
; %bb.2091:
	v_and_b32_e32 v3, 0xff, v2
	global_store_b32 v[0:1], v3, off
.LBB353_2092:
	s_mov_b32 s0, 0
.LBB353_2093:
	s_delay_alu instid0(SALU_CYCLE_1)
	s_and_not1_b32 vcc_lo, exec_lo, s0
	s_cbranch_vccnz .LBB353_2095
; %bb.2094:
	v_and_b32_e32 v3, 0xff, v2
	global_store_b16 v[0:1], v3, off
.LBB353_2095:
	s_mov_b32 s0, 0
.LBB353_2096:
	s_delay_alu instid0(SALU_CYCLE_1)
	s_and_not1_b32 vcc_lo, exec_lo, s0
	s_cbranch_vccnz .LBB353_2101
; %bb.2097:
	v_cmp_lt_i16_e32 vcc_lo, 0, v8
	s_mov_b32 s0, -1
	s_cbranch_vccz .LBB353_2099
; %bb.2098:
	s_mov_b32 s0, 0
	global_store_b8 v[0:1], v2, off
.LBB353_2099:
	s_and_not1_b32 vcc_lo, exec_lo, s0
	s_cbranch_vccnz .LBB353_2101
; %bb.2100:
	global_store_b8 v[0:1], v2, off
	s_nop 0
	s_sendmsg sendmsg(MSG_DEALLOC_VGPRS)
	s_endpgm
.LBB353_2101:
	s_nop 0
	s_sendmsg sendmsg(MSG_DEALLOC_VGPRS)
	s_endpgm
.LBB353_2102:
	s_cbranch_execnz .LBB353_2106
; %bb.2103:
	s_or_b32 s1, s1, exec_lo
                                        ; implicit-def: $vgpr7
	s_cbranch_execz .LBB353_1575
	s_branch .LBB353_1576
.LBB353_2104:
	s_or_saveexec_b32 s7, s7
                                        ; implicit-def: $sgpr10
	s_delay_alu instid0(SALU_CYCLE_1)
	s_xor_b32 exec_lo, exec_lo, s7
	s_cbranch_execz .LBB353_1655
.LBB353_2105:
	v_add_f32_e32 v11, 0x46000000, v12
	s_and_not1_b32 s6, s6, exec_lo
	s_mov_b32 s10, 0
	s_delay_alu instid0(VALU_DEP_1) | instskip(NEXT) | instid1(VALU_DEP_1)
	v_and_b32_e32 v11, 0xff, v11
	v_cmp_ne_u32_e32 vcc_lo, 0, v11
	s_and_b32 s11, vcc_lo, exec_lo
	s_delay_alu instid0(SALU_CYCLE_1)
	s_or_b32 s6, s6, s11
	s_or_b32 exec_lo, exec_lo, s7
	v_mov_b32_e32 v13, s10
	s_and_saveexec_b32 s7, s6
	s_cbranch_execnz .LBB353_1656
	s_branch .LBB353_1657
.LBB353_2106:
	s_trap 2
	s_sendmsg_rtn_b32 s0, sendmsg(MSG_RTN_GET_DOORBELL)
	s_mov_b32 ttmp2, m0
	s_waitcnt lgkmcnt(0)
	s_and_b32 s0, s0, 0x3ff
	s_delay_alu instid0(SALU_CYCLE_1) | instskip(NEXT) | instid1(SALU_CYCLE_1)
	s_bitset1_b32 s0, 10
	s_mov_b32 m0, s0
	s_sendmsg sendmsg(MSG_INTERRUPT)
	s_mov_b32 m0, ttmp2
.LBB353_2107:                           ; =>This Inner Loop Header: Depth=1
	s_sethalt 5
	s_branch .LBB353_2107
.LBB353_2108:
	s_cbranch_execnz .LBB353_2114
; %bb.2109:
	s_or_b32 s1, s1, exec_lo
	s_cbranch_execz .LBB353_1703
	s_branch .LBB353_1704
.LBB353_2110:
	s_or_saveexec_b32 s6, s6
                                        ; implicit-def: $sgpr7
	s_delay_alu instid0(SALU_CYCLE_1)
	s_xor_b32 exec_lo, exec_lo, s6
	s_cbranch_execz .LBB353_1668
.LBB353_2111:
	v_add_f32_e32 v11, 0x42800000, v12
	s_and_not1_b32 s3, s3, exec_lo
	s_mov_b32 s7, 0
	s_delay_alu instid0(VALU_DEP_1) | instskip(NEXT) | instid1(VALU_DEP_1)
	v_and_b32_e32 v11, 0xff, v11
	v_cmp_ne_u32_e32 vcc_lo, 0, v11
	s_and_b32 s10, vcc_lo, exec_lo
	s_delay_alu instid0(SALU_CYCLE_1)
	s_or_b32 s3, s3, s10
	s_or_b32 exec_lo, exec_lo, s6
	v_mov_b32_e32 v13, s7
	s_and_saveexec_b32 s6, s3
	s_cbranch_execnz .LBB353_1669
	s_branch .LBB353_1670
.LBB353_2112:
	s_or_saveexec_b32 s7, s7
                                        ; implicit-def: $sgpr10
	s_delay_alu instid0(SALU_CYCLE_1)
	s_xor_b32 exec_lo, exec_lo, s7
	s_cbranch_execz .LBB353_1773
.LBB353_2113:
	v_add_f32_e32 v4, 0x46000000, v5
	s_and_not1_b32 s6, s6, exec_lo
	s_mov_b32 s10, 0
	s_delay_alu instid0(VALU_DEP_1) | instskip(NEXT) | instid1(VALU_DEP_1)
	v_and_b32_e32 v4, 0xff, v4
	v_cmp_ne_u32_e32 vcc_lo, 0, v4
	s_and_b32 s11, vcc_lo, exec_lo
	s_delay_alu instid0(SALU_CYCLE_1)
	s_or_b32 s6, s6, s11
	s_or_b32 exec_lo, exec_lo, s7
	v_mov_b32_e32 v11, s10
	s_and_saveexec_b32 s7, s6
	s_cbranch_execnz .LBB353_1774
	s_branch .LBB353_1775
.LBB353_2114:
	s_trap 2
	s_sendmsg_rtn_b32 s0, sendmsg(MSG_RTN_GET_DOORBELL)
	s_mov_b32 ttmp2, m0
	s_waitcnt lgkmcnt(0)
	s_and_b32 s0, s0, 0x3ff
	s_delay_alu instid0(SALU_CYCLE_1) | instskip(NEXT) | instid1(SALU_CYCLE_1)
	s_bitset1_b32 s0, 10
	s_mov_b32 m0, s0
	s_sendmsg sendmsg(MSG_INTERRUPT)
	s_mov_b32 m0, ttmp2
.LBB353_2115:                           ; =>This Inner Loop Header: Depth=1
	s_sethalt 5
	s_branch .LBB353_2115
.LBB353_2116:
	s_cbranch_execnz .LBB353_2122
; %bb.2117:
	s_or_b32 s1, s1, exec_lo
	s_cbranch_execz .LBB353_1821
	s_branch .LBB353_1822
.LBB353_2118:
	s_or_saveexec_b32 s6, s6
                                        ; implicit-def: $sgpr7
	s_delay_alu instid0(SALU_CYCLE_1)
	s_xor_b32 exec_lo, exec_lo, s6
	s_cbranch_execz .LBB353_1786
.LBB353_2119:
	v_add_f32_e32 v4, 0x42800000, v5
	s_and_not1_b32 s3, s3, exec_lo
	s_mov_b32 s7, 0
	s_delay_alu instid0(VALU_DEP_1) | instskip(NEXT) | instid1(VALU_DEP_1)
	v_and_b32_e32 v4, 0xff, v4
	v_cmp_ne_u32_e32 vcc_lo, 0, v4
	s_and_b32 s10, vcc_lo, exec_lo
	s_delay_alu instid0(SALU_CYCLE_1)
	s_or_b32 s3, s3, s10
	s_or_b32 exec_lo, exec_lo, s6
	v_mov_b32_e32 v11, s7
	s_and_saveexec_b32 s6, s3
	s_cbranch_execnz .LBB353_1787
	s_branch .LBB353_1788
.LBB353_2120:
	s_or_saveexec_b32 s7, s7
                                        ; implicit-def: $sgpr10
	s_delay_alu instid0(SALU_CYCLE_1)
	s_xor_b32 exec_lo, exec_lo, s7
	s_cbranch_execz .LBB353_1891
.LBB353_2121:
	v_add_f32_e32 v3, 0x46000000, v4
	s_and_not1_b32 s6, s6, exec_lo
	s_mov_b32 s10, 0
	s_delay_alu instid0(VALU_DEP_1) | instskip(NEXT) | instid1(VALU_DEP_1)
	v_and_b32_e32 v3, 0xff, v3
	v_cmp_ne_u32_e32 vcc_lo, 0, v3
	s_and_b32 s11, vcc_lo, exec_lo
	s_delay_alu instid0(SALU_CYCLE_1)
	s_or_b32 s6, s6, s11
	s_or_b32 exec_lo, exec_lo, s7
	v_mov_b32_e32 v6, s10
	s_and_saveexec_b32 s7, s6
	s_cbranch_execnz .LBB353_1892
	s_branch .LBB353_1893
.LBB353_2122:
	s_trap 2
	s_sendmsg_rtn_b32 s0, sendmsg(MSG_RTN_GET_DOORBELL)
	s_mov_b32 ttmp2, m0
	s_waitcnt lgkmcnt(0)
	s_and_b32 s0, s0, 0x3ff
	s_delay_alu instid0(SALU_CYCLE_1) | instskip(NEXT) | instid1(SALU_CYCLE_1)
	s_bitset1_b32 s0, 10
	s_mov_b32 m0, s0
	s_sendmsg sendmsg(MSG_INTERRUPT)
	s_mov_b32 m0, ttmp2
.LBB353_2123:                           ; =>This Inner Loop Header: Depth=1
	s_sethalt 5
	s_branch .LBB353_2123
.LBB353_2124:
	s_cbranch_execnz .LBB353_2130
; %bb.2125:
	s_or_b32 s1, s1, exec_lo
	s_cbranch_execz .LBB353_1939
	s_branch .LBB353_1940
.LBB353_2126:
	s_or_saveexec_b32 s6, s6
                                        ; implicit-def: $sgpr7
	s_delay_alu instid0(SALU_CYCLE_1)
	s_xor_b32 exec_lo, exec_lo, s6
	s_cbranch_execz .LBB353_1904
.LBB353_2127:
	v_add_f32_e32 v3, 0x42800000, v4
	s_and_not1_b32 s3, s3, exec_lo
	s_mov_b32 s7, 0
	s_delay_alu instid0(VALU_DEP_1) | instskip(NEXT) | instid1(VALU_DEP_1)
	v_and_b32_e32 v3, 0xff, v3
	v_cmp_ne_u32_e32 vcc_lo, 0, v3
	s_and_b32 s10, vcc_lo, exec_lo
	s_delay_alu instid0(SALU_CYCLE_1)
	s_or_b32 s3, s3, s10
	s_or_b32 exec_lo, exec_lo, s6
	v_mov_b32_e32 v6, s7
	s_and_saveexec_b32 s6, s3
	s_cbranch_execnz .LBB353_1905
	s_branch .LBB353_1906
.LBB353_2128:
	s_or_saveexec_b32 s5, s5
                                        ; implicit-def: $sgpr6
	s_delay_alu instid0(SALU_CYCLE_1)
	s_xor_b32 exec_lo, exec_lo, s5
	s_cbranch_execz .LBB353_2010
.LBB353_2129:
	v_add_f32_e32 v3, 0x46000000, v4
	s_and_not1_b32 s4, s4, exec_lo
	s_mov_b32 s6, 0
	s_delay_alu instid0(VALU_DEP_1) | instskip(NEXT) | instid1(VALU_DEP_1)
	v_and_b32_e32 v3, 0xff, v3
	v_cmp_ne_u32_e32 vcc_lo, 0, v3
	s_and_b32 s7, vcc_lo, exec_lo
	s_delay_alu instid0(SALU_CYCLE_1)
	s_or_b32 s4, s4, s7
	s_or_b32 exec_lo, exec_lo, s5
	v_mov_b32_e32 v5, s6
	s_and_saveexec_b32 s5, s4
	s_cbranch_execnz .LBB353_2011
	s_branch .LBB353_2012
.LBB353_2130:
	s_trap 2
	s_sendmsg_rtn_b32 s0, sendmsg(MSG_RTN_GET_DOORBELL)
	s_mov_b32 ttmp2, m0
	s_waitcnt lgkmcnt(0)
	s_and_b32 s0, s0, 0x3ff
	s_delay_alu instid0(SALU_CYCLE_1) | instskip(NEXT) | instid1(SALU_CYCLE_1)
	s_bitset1_b32 s0, 10
	s_mov_b32 m0, s0
	s_sendmsg sendmsg(MSG_INTERRUPT)
	s_mov_b32 m0, ttmp2
.LBB353_2131:                           ; =>This Inner Loop Header: Depth=1
	s_sethalt 5
	s_branch .LBB353_2131
.LBB353_2132:
	s_cbranch_execnz .LBB353_2136
; %bb.2133:
	s_mov_b32 s2, 0
	s_or_b32 s1, s1, exec_lo
	s_branch .LBB353_2056
.LBB353_2134:
	s_or_saveexec_b32 s4, s4
                                        ; implicit-def: $sgpr5
	s_delay_alu instid0(SALU_CYCLE_1)
	s_xor_b32 exec_lo, exec_lo, s4
	s_cbranch_execz .LBB353_2022
.LBB353_2135:
	v_add_f32_e32 v3, 0x42800000, v4
	s_and_not1_b32 s3, s3, exec_lo
	s_mov_b32 s5, 0
	s_delay_alu instid0(VALU_DEP_1) | instskip(NEXT) | instid1(VALU_DEP_1)
	v_and_b32_e32 v3, 0xff, v3
	v_cmp_ne_u32_e32 vcc_lo, 0, v3
	s_and_b32 s6, vcc_lo, exec_lo
	s_delay_alu instid0(SALU_CYCLE_1)
	s_or_b32 s3, s3, s6
	s_or_b32 exec_lo, exec_lo, s4
	v_mov_b32_e32 v5, s5
	s_and_saveexec_b32 s4, s3
	s_cbranch_execnz .LBB353_2023
	s_branch .LBB353_2024
.LBB353_2136:
	s_trap 2
	s_sendmsg_rtn_b32 s0, sendmsg(MSG_RTN_GET_DOORBELL)
	s_mov_b32 ttmp2, m0
	s_waitcnt lgkmcnt(0)
	s_and_b32 s0, s0, 0x3ff
	s_delay_alu instid0(SALU_CYCLE_1) | instskip(NEXT) | instid1(SALU_CYCLE_1)
	s_bitset1_b32 s0, 10
	s_mov_b32 m0, s0
	s_sendmsg sendmsg(MSG_INTERRUPT)
	s_mov_b32 m0, ttmp2
.LBB353_2137:                           ; =>This Inner Loop Header: Depth=1
	s_sethalt 5
	s_branch .LBB353_2137
	.section	.rodata,"a",@progbits
	.p2align	6, 0x0
	.amdhsa_kernel _ZN2at6native32elementwise_kernel_manual_unrollILi128ELi4EZNS0_15gpu_kernel_implIZZZNS0_21clamp_min_kernel_cudaERNS_18TensorIteratorBaseERKN3c106ScalarEENKUlvE_clEvENKUlvE_clEvEUlhE_EEvS4_RKT_EUlibE0_EEviT1_
		.amdhsa_group_segment_fixed_size 0
		.amdhsa_private_segment_fixed_size 0
		.amdhsa_kernarg_size 360
		.amdhsa_user_sgpr_count 15
		.amdhsa_user_sgpr_dispatch_ptr 0
		.amdhsa_user_sgpr_queue_ptr 0
		.amdhsa_user_sgpr_kernarg_segment_ptr 1
		.amdhsa_user_sgpr_dispatch_id 0
		.amdhsa_user_sgpr_private_segment_size 0
		.amdhsa_wavefront_size32 1
		.amdhsa_uses_dynamic_stack 0
		.amdhsa_enable_private_segment 0
		.amdhsa_system_sgpr_workgroup_id_x 1
		.amdhsa_system_sgpr_workgroup_id_y 0
		.amdhsa_system_sgpr_workgroup_id_z 0
		.amdhsa_system_sgpr_workgroup_info 0
		.amdhsa_system_vgpr_workitem_id 0
		.amdhsa_next_free_vgpr 18
		.amdhsa_next_free_sgpr 68
		.amdhsa_reserve_vcc 1
		.amdhsa_float_round_mode_32 0
		.amdhsa_float_round_mode_16_64 0
		.amdhsa_float_denorm_mode_32 3
		.amdhsa_float_denorm_mode_16_64 3
		.amdhsa_dx10_clamp 1
		.amdhsa_ieee_mode 1
		.amdhsa_fp16_overflow 0
		.amdhsa_workgroup_processor_mode 1
		.amdhsa_memory_ordered 1
		.amdhsa_forward_progress 0
		.amdhsa_shared_vgpr_count 0
		.amdhsa_exception_fp_ieee_invalid_op 0
		.amdhsa_exception_fp_denorm_src 0
		.amdhsa_exception_fp_ieee_div_zero 0
		.amdhsa_exception_fp_ieee_overflow 0
		.amdhsa_exception_fp_ieee_underflow 0
		.amdhsa_exception_fp_ieee_inexact 0
		.amdhsa_exception_int_div_zero 0
	.end_amdhsa_kernel
	.section	.text._ZN2at6native32elementwise_kernel_manual_unrollILi128ELi4EZNS0_15gpu_kernel_implIZZZNS0_21clamp_min_kernel_cudaERNS_18TensorIteratorBaseERKN3c106ScalarEENKUlvE_clEvENKUlvE_clEvEUlhE_EEvS4_RKT_EUlibE0_EEviT1_,"axG",@progbits,_ZN2at6native32elementwise_kernel_manual_unrollILi128ELi4EZNS0_15gpu_kernel_implIZZZNS0_21clamp_min_kernel_cudaERNS_18TensorIteratorBaseERKN3c106ScalarEENKUlvE_clEvENKUlvE_clEvEUlhE_EEvS4_RKT_EUlibE0_EEviT1_,comdat
.Lfunc_end353:
	.size	_ZN2at6native32elementwise_kernel_manual_unrollILi128ELi4EZNS0_15gpu_kernel_implIZZZNS0_21clamp_min_kernel_cudaERNS_18TensorIteratorBaseERKN3c106ScalarEENKUlvE_clEvENKUlvE_clEvEUlhE_EEvS4_RKT_EUlibE0_EEviT1_, .Lfunc_end353-_ZN2at6native32elementwise_kernel_manual_unrollILi128ELi4EZNS0_15gpu_kernel_implIZZZNS0_21clamp_min_kernel_cudaERNS_18TensorIteratorBaseERKN3c106ScalarEENKUlvE_clEvENKUlvE_clEvEUlhE_EEvS4_RKT_EUlibE0_EEviT1_
                                        ; -- End function
	.section	.AMDGPU.csdata,"",@progbits
; Kernel info:
; codeLenInByte = 42792
; NumSgprs: 70
; NumVgprs: 18
; ScratchSize: 0
; MemoryBound: 1
; FloatMode: 240
; IeeeMode: 1
; LDSByteSize: 0 bytes/workgroup (compile time only)
; SGPRBlocks: 8
; VGPRBlocks: 2
; NumSGPRsForWavesPerEU: 70
; NumVGPRsForWavesPerEU: 18
; Occupancy: 16
; WaveLimiterHint : 1
; COMPUTE_PGM_RSRC2:SCRATCH_EN: 0
; COMPUTE_PGM_RSRC2:USER_SGPR: 15
; COMPUTE_PGM_RSRC2:TRAP_HANDLER: 0
; COMPUTE_PGM_RSRC2:TGID_X_EN: 1
; COMPUTE_PGM_RSRC2:TGID_Y_EN: 0
; COMPUTE_PGM_RSRC2:TGID_Z_EN: 0
; COMPUTE_PGM_RSRC2:TIDIG_COMP_CNT: 0
	.section	.text._ZN2at6native29vectorized_elementwise_kernelILi16EZZZNS0_21clamp_min_kernel_cudaERNS_18TensorIteratorBaseERKN3c106ScalarEENKUlvE_clEvENKUlvE0_clEvEUlaE_St5arrayIPcLm2EEEEviT0_T1_,"axG",@progbits,_ZN2at6native29vectorized_elementwise_kernelILi16EZZZNS0_21clamp_min_kernel_cudaERNS_18TensorIteratorBaseERKN3c106ScalarEENKUlvE_clEvENKUlvE0_clEvEUlaE_St5arrayIPcLm2EEEEviT0_T1_,comdat
	.globl	_ZN2at6native29vectorized_elementwise_kernelILi16EZZZNS0_21clamp_min_kernel_cudaERNS_18TensorIteratorBaseERKN3c106ScalarEENKUlvE_clEvENKUlvE0_clEvEUlaE_St5arrayIPcLm2EEEEviT0_T1_ ; -- Begin function _ZN2at6native29vectorized_elementwise_kernelILi16EZZZNS0_21clamp_min_kernel_cudaERNS_18TensorIteratorBaseERKN3c106ScalarEENKUlvE_clEvENKUlvE0_clEvEUlaE_St5arrayIPcLm2EEEEviT0_T1_
	.p2align	8
	.type	_ZN2at6native29vectorized_elementwise_kernelILi16EZZZNS0_21clamp_min_kernel_cudaERNS_18TensorIteratorBaseERKN3c106ScalarEENKUlvE_clEvENKUlvE0_clEvEUlaE_St5arrayIPcLm2EEEEviT0_T1_,@function
_ZN2at6native29vectorized_elementwise_kernelILi16EZZZNS0_21clamp_min_kernel_cudaERNS_18TensorIteratorBaseERKN3c106ScalarEENKUlvE_clEvENKUlvE0_clEvEUlaE_St5arrayIPcLm2EEEEviT0_T1_: ; @_ZN2at6native29vectorized_elementwise_kernelILi16EZZZNS0_21clamp_min_kernel_cudaERNS_18TensorIteratorBaseERKN3c106ScalarEENKUlvE_clEvENKUlvE0_clEvEUlaE_St5arrayIPcLm2EEEEviT0_T1_
; %bb.0:
	s_clause 0x1
	s_load_b64 s[2:3], s[0:1], 0x0
	s_load_b128 s[4:7], s[0:1], 0x8
	s_lshl_b32 s1, s15, 12
	s_mov_b32 s0, -1
	s_waitcnt lgkmcnt(0)
	s_sub_i32 s2, s2, s1
	s_delay_alu instid0(SALU_CYCLE_1)
	s_cmpk_gt_i32 s2, 0xfff
	s_cbranch_scc0 .LBB354_2
; %bb.1:
	v_lshlrev_b32_e32 v5, 4, v0
	s_ashr_i32 s0, s1, 31
	s_add_u32 s8, s6, s1
	s_addc_u32 s9, s7, s0
	global_load_b128 v[1:4], v5, s[8:9]
	s_bfe_i32 s8, s3, 0x80000
	s_waitcnt vmcnt(0)
	v_bfe_i32 v6, v1, 0, 8
	v_lshrrev_b32_e32 v7, 8, v1
	v_lshrrev_b32_e32 v8, 16, v1
	v_lshrrev_b32_e32 v1, 24, v1
	v_bfe_i32 v9, v2, 0, 8
	v_lshrrev_b32_e32 v10, 8, v2
	v_lshrrev_b32_e32 v11, 16, v2
	v_lshrrev_b32_e32 v2, 24, v2
	;; [unrolled: 4-line block ×4, first 2 shown]
	v_bfe_i32 v7, v7, 0, 8
	v_bfe_i32 v8, v8, 0, 8
	;; [unrolled: 1-line block ×12, first 2 shown]
	v_max_i16 v6, v6, s8
	v_max_i16 v9, v9, s8
	;; [unrolled: 1-line block ×16, first 2 shown]
	v_and_b32_e32 v15, 0xff, v15
	v_and_b32_e32 v12, 0xff, v12
	;; [unrolled: 1-line block ×4, first 2 shown]
	v_lshlrev_b16 v16, 8, v16
	v_lshlrev_b16 v4, 8, v4
	v_and_b32_e32 v17, 0xff, v17
	v_lshlrev_b16 v13, 8, v13
	v_lshlrev_b16 v3, 8, v3
	v_and_b32_e32 v14, 0xff, v14
	;; [unrolled: 3-line block ×4, first 2 shown]
	v_or_b32_e32 v15, v15, v16
	v_or_b32_e32 v4, v17, v4
	;; [unrolled: 1-line block ×8, first 2 shown]
	v_and_b32_e32 v7, 0xffff, v15
	v_lshlrev_b32_e32 v4, 16, v4
	v_and_b32_e32 v8, 0xffff, v12
	v_lshlrev_b32_e32 v3, 16, v3
	;; [unrolled: 2-line block ×4, first 2 shown]
	v_or_b32_e32 v4, v7, v4
	v_or_b32_e32 v3, v8, v3
	;; [unrolled: 1-line block ×3, first 2 shown]
	s_add_u32 s8, s4, s1
	v_or_b32_e32 v1, v6, v1
	s_addc_u32 s9, s5, s0
	s_mov_b32 s0, 0
	global_store_b128 v5, v[1:4], s[8:9]
.LBB354_2:
	s_and_not1_b32 vcc_lo, exec_lo, s0
	s_cbranch_vccnz .LBB354_52
; %bb.3:
	v_cmp_gt_i32_e32 vcc_lo, s2, v0
	v_dual_mov_b32 v4, 0 :: v_dual_mov_b32 v5, 0
	v_or_b32_e32 v1, s1, v0
	v_or_b32_e32 v2, 0x100, v0
	v_mov_b32_e32 v7, v0
	s_and_saveexec_b32 s0, vcc_lo
	s_cbranch_execz .LBB354_5
; %bb.4:
	global_load_u8 v5, v1, s[6:7]
	v_or_b32_e32 v7, 0x100, v0
.LBB354_5:
	s_or_b32 exec_lo, exec_lo, s0
	s_delay_alu instid0(SALU_CYCLE_1) | instskip(NEXT) | instid1(VALU_DEP_1)
	s_mov_b32 s8, exec_lo
	v_cmpx_gt_i32_e64 s2, v7
	s_cbranch_execz .LBB354_7
; %bb.6:
	v_add_nc_u32_e32 v3, s1, v7
	v_add_nc_u32_e32 v7, 0x100, v7
	global_load_u8 v4, v3, s[6:7]
.LBB354_7:
	s_or_b32 exec_lo, exec_lo, s8
	v_dual_mov_b32 v6, 0 :: v_dual_mov_b32 v9, 0
	s_mov_b32 s8, exec_lo
	v_cmpx_gt_i32_e64 s2, v7
	s_cbranch_execz .LBB354_9
; %bb.8:
	v_add_nc_u32_e32 v3, s1, v7
	v_add_nc_u32_e32 v7, 0x100, v7
	global_load_u8 v9, v3, s[6:7]
.LBB354_9:
	s_or_b32 exec_lo, exec_lo, s8
	s_delay_alu instid0(SALU_CYCLE_1)
	s_mov_b32 s8, exec_lo
	v_cmpx_gt_i32_e64 s2, v7
	s_cbranch_execz .LBB354_11
; %bb.10:
	v_add_nc_u32_e32 v3, s1, v7
	v_add_nc_u32_e32 v7, 0x100, v7
	global_load_u8 v6, v3, s[6:7]
.LBB354_11:
	s_or_b32 exec_lo, exec_lo, s8
	v_mov_b32_e32 v10, 0
	v_mov_b32_e32 v12, 0
	s_mov_b32 s8, exec_lo
	v_cmpx_gt_i32_e64 s2, v7
	s_cbranch_execz .LBB354_13
; %bb.12:
	v_add_nc_u32_e32 v3, s1, v7
	v_add_nc_u32_e32 v7, 0x100, v7
	global_load_u8 v12, v3, s[6:7]
.LBB354_13:
	s_or_b32 exec_lo, exec_lo, s8
	s_delay_alu instid0(SALU_CYCLE_1)
	s_mov_b32 s8, exec_lo
	v_cmpx_gt_i32_e64 s2, v7
	s_cbranch_execz .LBB354_15
; %bb.14:
	v_add_nc_u32_e32 v3, s1, v7
	v_add_nc_u32_e32 v7, 0x100, v7
	global_load_u8 v10, v3, s[6:7]
.LBB354_15:
	s_or_b32 exec_lo, exec_lo, s8
	v_mov_b32_e32 v3, 0
	v_mov_b32_e32 v13, 0
	s_mov_b32 s8, exec_lo
	v_cmpx_gt_i32_e64 s2, v7
	s_cbranch_execz .LBB354_17
; %bb.16:
	v_add_nc_u32_e32 v8, s1, v7
	v_add_nc_u32_e32 v7, 0x100, v7
	global_load_u8 v13, v8, s[6:7]
.LBB354_17:
	s_or_b32 exec_lo, exec_lo, s8
	s_delay_alu instid0(SALU_CYCLE_1)
	s_mov_b32 s8, exec_lo
	v_cmpx_gt_i32_e64 s2, v7
	s_cbranch_execz .LBB354_19
; %bb.18:
	v_add_nc_u32_e32 v3, s1, v7
	v_add_nc_u32_e32 v7, 0x100, v7
	global_load_u8 v3, v3, s[6:7]
.LBB354_19:
	s_or_b32 exec_lo, exec_lo, s8
	v_dual_mov_b32 v14, 0 :: v_dual_mov_b32 v15, 0
	s_mov_b32 s8, exec_lo
	v_cmpx_gt_i32_e64 s2, v7
	s_cbranch_execz .LBB354_21
; %bb.20:
	v_add_nc_u32_e32 v8, s1, v7
	v_add_nc_u32_e32 v7, 0x100, v7
	global_load_u8 v15, v8, s[6:7]
.LBB354_21:
	s_or_b32 exec_lo, exec_lo, s8
	s_delay_alu instid0(SALU_CYCLE_1)
	s_mov_b32 s8, exec_lo
	v_cmpx_gt_i32_e64 s2, v7
	s_cbranch_execz .LBB354_23
; %bb.22:
	v_add_nc_u32_e32 v8, s1, v7
	v_add_nc_u32_e32 v7, 0x100, v7
	global_load_u8 v14, v8, s[6:7]
.LBB354_23:
	s_or_b32 exec_lo, exec_lo, s8
	v_dual_mov_b32 v8, 0 :: v_dual_mov_b32 v11, 0
	s_mov_b32 s8, exec_lo
	v_cmpx_gt_i32_e64 s2, v7
	s_cbranch_execz .LBB354_25
; %bb.24:
	v_add_nc_u32_e32 v11, s1, v7
	v_add_nc_u32_e32 v7, 0x100, v7
	global_load_u8 v11, v11, s[6:7]
.LBB354_25:
	s_or_b32 exec_lo, exec_lo, s8
	s_delay_alu instid0(SALU_CYCLE_1)
	s_mov_b32 s8, exec_lo
	v_cmpx_gt_i32_e64 s2, v7
	s_cbranch_execz .LBB354_27
; %bb.26:
	v_add_nc_u32_e32 v8, s1, v7
	v_add_nc_u32_e32 v7, 0x100, v7
	global_load_u8 v8, v8, s[6:7]
.LBB354_27:
	s_or_b32 exec_lo, exec_lo, s8
	v_mov_b32_e32 v17, 0
	v_mov_b32_e32 v19, 0
	s_mov_b32 s8, exec_lo
	v_cmpx_gt_i32_e64 s2, v7
	s_cbranch_execz .LBB354_29
; %bb.28:
	v_add_nc_u32_e32 v16, s1, v7
	v_add_nc_u32_e32 v7, 0x100, v7
	global_load_u8 v19, v16, s[6:7]
.LBB354_29:
	s_or_b32 exec_lo, exec_lo, s8
	s_delay_alu instid0(SALU_CYCLE_1)
	s_mov_b32 s8, exec_lo
	v_cmpx_gt_i32_e64 s2, v7
	s_cbranch_execz .LBB354_31
; %bb.30:
	v_add_nc_u32_e32 v16, s1, v7
	v_add_nc_u32_e32 v7, 0x100, v7
	global_load_u8 v17, v16, s[6:7]
.LBB354_31:
	s_or_b32 exec_lo, exec_lo, s8
	v_mov_b32_e32 v16, 0
	v_mov_b32_e32 v18, 0
	s_mov_b32 s8, exec_lo
	v_cmpx_gt_i32_e64 s2, v7
	s_cbranch_execz .LBB354_33
; %bb.32:
	v_add_nc_u32_e32 v18, s1, v7
	v_add_nc_u32_e32 v7, 0x100, v7
	global_load_u8 v18, v18, s[6:7]
.LBB354_33:
	s_or_b32 exec_lo, exec_lo, s8
	s_delay_alu instid0(SALU_CYCLE_1)
	s_mov_b32 s8, exec_lo
	v_cmpx_gt_i32_e64 s2, v7
	s_cbranch_execz .LBB354_35
; %bb.34:
	v_add_nc_u32_e32 v7, s1, v7
	global_load_u8 v16, v7, s[6:7]
.LBB354_35:
	s_or_b32 exec_lo, exec_lo, s8
	s_waitcnt vmcnt(0)
	v_bfe_i32 v5, v5, 0, 8
	v_bfe_i32 v4, v4, 0, 8
	s_bfe_i32 s3, s3, 0x80000
	v_bfe_i32 v12, v12, 0, 8
	v_or_b32_e32 v20, 0x400, v0
	v_max_i16 v5, v5, s3
	v_max_i16 v4, v4, s3
	v_bfe_i32 v9, v9, 0, 8
	v_max_i16 v12, v12, s3
	v_bfe_i32 v10, v10, 0, 8
	v_and_b32_e32 v5, 0xff, v5
	v_lshlrev_b16 v4, 8, v4
	v_cmp_gt_i32_e64 s0, s2, v20
	v_perm_b32 v12, v12, 0, 0x3020104
	v_max_i16 v9, v9, s3
	v_max_i16 v10, v10, s3
	v_or_b32_e32 v4, v5, v4
	v_and_b32_e32 v5, 0xffff, v5
	v_cndmask_b32_e64 v12, 0, v12, s0
	v_cmp_gt_i32_e64 s0, s2, v2
	v_and_b32_e32 v9, 0xff, v9
	v_and_b32_e32 v4, 0xffff, v4
	v_or_b32_e32 v7, 0x200, v0
	v_or_b32_e32 v20, 0x500, v0
	v_bfe_i32 v6, v6, 0, 8
	v_lshlrev_b32_e32 v9, 16, v9
	v_cndmask_b32_e64 v4, v5, v4, s0
	v_lshlrev_b16 v5, 8, v10
	v_and_b32_e32 v10, 0xff, v12
	v_cmp_gt_i32_e64 s0, s2, v7
	v_bfe_i32 v13, v13, 0, 8
	v_or_b32_e32 v9, v4, v9
	v_bfe_i32 v7, v14, 0, 8
	v_or_b32_e32 v5, v10, v5
	v_max_i16 v6, v6, s3
	v_or_b32_e32 v21, 0x600, v0
	v_cndmask_b32_e64 v4, v4, v9, s0
	v_bfe_i32 v9, v19, 0, 8
	v_and_b32_e32 v5, 0xffff, v5
	v_cmp_gt_i32_e64 s0, s2, v20
	v_max_i16 v13, v13, s3
	v_lshrrev_b32_e32 v14, 16, v4
	v_max_i16 v9, v9, s3
	v_and_or_b32 v5, 0xffff0000, v12, v5
	v_lshlrev_b16 v6, 8, v6
	v_bfe_i32 v10, v15, 0, 8
	v_and_b32_e32 v14, 0xff, v14
	v_perm_b32 v9, v9, 0, 0x3020104
	v_cndmask_b32_e64 v5, v12, v5, s0
	v_or_b32_e32 v12, 0xc00, v0
	v_max_i16 v10, v10, s3
	v_or_b32_e32 v6, v14, v6
	v_bfe_i32 v14, v17, 0, 8
	v_perm_b32 v13, v5, v13, 0x7000504
	v_cmp_gt_i32_e64 s0, s2, v12
	v_max_i16 v7, v7, s3
	v_and_b32_e32 v10, 0xff, v10
	v_max_i16 v12, v14, s3
	v_bfe_i32 v11, v11, 0, 8
	v_cndmask_b32_e64 v9, 0, v9, s0
	v_cmp_gt_i32_e64 s0, s2, v21
	v_lshlrev_b16 v7, 8, v7
	v_lshlrev_b16 v12, 8, v12
	v_max_i16 v11, v11, s3
	v_or_b32_e32 v15, 0xd00, v0
	v_cndmask_b32_e64 v5, v5, v13, s0
	v_and_b32_e32 v13, 0xff, v9
	v_or_b32_e32 v7, v10, v7
	v_and_b32_e32 v10, 0xffff, v10
	v_and_b32_e32 v11, 0xff, v11
	v_lshrrev_b32_e32 v14, 16, v5
	v_or_b32_e32 v12, v13, v12
	v_and_b32_e32 v7, 0xffff, v7
	v_bfe_i32 v17, v18, 0, 8
	v_bfe_i32 v3, v3, 0, 8
	v_and_b32_e32 v13, 0xff, v14
	v_or_b32_e32 v14, 0x900, v0
	v_and_b32_e32 v12, 0xffff, v12
	v_bfe_i32 v8, v8, 0, 8
	v_max_i16 v3, v3, s3
	v_lshlrev_b32_e32 v6, 16, v6
	v_cmp_gt_i32_e64 s0, s2, v14
	v_and_or_b32 v12, 0xffff0000, v9, v12
	v_or_b32_e32 v14, 0xe00, v0
	v_lshlrev_b16 v3, 8, v3
	v_max_i16 v8, v8, s3
	v_cndmask_b32_e64 v7, v10, v7, s0
	v_cmp_gt_i32_e64 s0, s2, v15
	v_lshlrev_b32_e32 v10, 16, v11
	v_max_i16 v11, v17, s3
	v_or_b32_e32 v3, v13, v3
	v_lshlrev_b16 v8, 8, v8
	v_cndmask_b32_e64 v9, v9, v12, s0
	v_or_b32_e32 v12, 0xa00, v0
	v_or_b32_e32 v10, v7, v10
	;; [unrolled: 1-line block ×3, first 2 shown]
	v_and_or_b32 v6, 0xffff, v4, v6
	v_perm_b32 v11, v9, v11, 0x7000504
	v_cmp_gt_i32_e64 s0, s2, v12
	v_lshlrev_b32_e32 v3, 16, v3
	s_delay_alu instid0(VALU_DEP_2) | instskip(SKIP_2) | instid1(VALU_DEP_4)
	v_cndmask_b32_e64 v7, v7, v10, s0
	v_cmp_gt_i32_e64 s0, s2, v14
	v_bfe_i32 v10, v16, 0, 8
	v_and_or_b32 v3, 0xffff, v5, v3
	s_delay_alu instid0(VALU_DEP_3) | instskip(SKIP_1) | instid1(VALU_DEP_4)
	v_cndmask_b32_e64 v9, v9, v11, s0
	v_lshrrev_b32_e32 v11, 16, v7
	v_max_i16 v10, v10, s3
	v_cmp_gt_i32_e64 s0, s2, v13
	s_delay_alu instid0(VALU_DEP_4) | instskip(NEXT) | instid1(VALU_DEP_4)
	v_lshrrev_b32_e32 v12, 16, v9
	v_and_b32_e32 v11, 0xff, v11
	s_delay_alu instid0(VALU_DEP_4) | instskip(NEXT) | instid1(VALU_DEP_4)
	v_lshlrev_b16 v10, 8, v10
	v_cndmask_b32_e64 v6, v4, v6, s0
	s_delay_alu instid0(VALU_DEP_4) | instskip(NEXT) | instid1(VALU_DEP_4)
	v_and_b32_e32 v12, 0xff, v12
	v_or_b32_e32 v8, v11, v8
	v_or_b32_e32 v11, 0xb00, v0
	s_delay_alu instid0(VALU_DEP_3) | instskip(NEXT) | instid1(VALU_DEP_3)
	v_or_b32_e32 v10, v12, v10
	v_lshlrev_b32_e32 v4, 16, v8
	v_or_b32_e32 v8, 0x700, v0
	v_or_b32_e32 v12, 0xf00, v0
	s_delay_alu instid0(VALU_DEP_4) | instskip(NEXT) | instid1(VALU_DEP_4)
	v_lshlrev_b32_e32 v10, 16, v10
	v_and_or_b32 v4, 0xffff, v7, v4
	s_delay_alu instid0(VALU_DEP_4) | instskip(NEXT) | instid1(VALU_DEP_3)
	v_cmp_gt_i32_e64 s0, s2, v8
	v_and_or_b32 v10, 0xffff, v9, v10
	s_delay_alu instid0(VALU_DEP_2) | instskip(SKIP_1) | instid1(VALU_DEP_1)
	v_cndmask_b32_e64 v5, v5, v3, s0
	v_cmp_gt_i32_e64 s0, s2, v11
	v_cndmask_b32_e64 v4, v7, v4, s0
	v_cmp_gt_i32_e64 s0, s2, v12
	s_delay_alu instid0(VALU_DEP_1)
	v_cndmask_b32_e64 v3, v9, v10, s0
	s_and_saveexec_b32 s0, vcc_lo
	s_cbranch_execnz .LBB354_53
; %bb.36:
	s_or_b32 exec_lo, exec_lo, s0
	s_delay_alu instid0(SALU_CYCLE_1)
	s_mov_b32 s0, exec_lo
	v_cmpx_gt_i32_e64 s2, v0
	s_cbranch_execnz .LBB354_54
.LBB354_37:
	s_or_b32 exec_lo, exec_lo, s0
	s_delay_alu instid0(SALU_CYCLE_1)
	s_mov_b32 s0, exec_lo
	v_cmpx_gt_i32_e64 s2, v0
	s_cbranch_execnz .LBB354_55
.LBB354_38:
	s_or_b32 exec_lo, exec_lo, s0
	s_delay_alu instid0(SALU_CYCLE_1)
	s_mov_b32 s0, exec_lo
	v_cmpx_gt_i32_e64 s2, v0
	s_cbranch_execnz .LBB354_56
.LBB354_39:
	s_or_b32 exec_lo, exec_lo, s0
	s_delay_alu instid0(SALU_CYCLE_1)
	s_mov_b32 s0, exec_lo
	v_cmpx_gt_i32_e64 s2, v0
	s_cbranch_execnz .LBB354_57
.LBB354_40:
	s_or_b32 exec_lo, exec_lo, s0
	s_delay_alu instid0(SALU_CYCLE_1)
	s_mov_b32 s0, exec_lo
	v_cmpx_gt_i32_e64 s2, v0
	s_cbranch_execnz .LBB354_58
.LBB354_41:
	s_or_b32 exec_lo, exec_lo, s0
	s_delay_alu instid0(SALU_CYCLE_1)
	s_mov_b32 s0, exec_lo
	v_cmpx_gt_i32_e64 s2, v0
	s_cbranch_execnz .LBB354_59
.LBB354_42:
	s_or_b32 exec_lo, exec_lo, s0
	s_delay_alu instid0(SALU_CYCLE_1)
	s_mov_b32 s0, exec_lo
	v_cmpx_gt_i32_e64 s2, v0
	s_cbranch_execnz .LBB354_60
.LBB354_43:
	s_or_b32 exec_lo, exec_lo, s0
	s_delay_alu instid0(SALU_CYCLE_1)
	s_mov_b32 s0, exec_lo
	v_cmpx_gt_i32_e64 s2, v0
	s_cbranch_execnz .LBB354_61
.LBB354_44:
	s_or_b32 exec_lo, exec_lo, s0
	s_delay_alu instid0(SALU_CYCLE_1)
	s_mov_b32 s0, exec_lo
	v_cmpx_gt_i32_e64 s2, v0
	s_cbranch_execnz .LBB354_62
.LBB354_45:
	s_or_b32 exec_lo, exec_lo, s0
	s_delay_alu instid0(SALU_CYCLE_1)
	s_mov_b32 s0, exec_lo
	v_cmpx_gt_i32_e64 s2, v0
	s_cbranch_execnz .LBB354_63
.LBB354_46:
	s_or_b32 exec_lo, exec_lo, s0
	s_delay_alu instid0(SALU_CYCLE_1)
	s_mov_b32 s0, exec_lo
	v_cmpx_gt_i32_e64 s2, v0
	s_cbranch_execnz .LBB354_64
.LBB354_47:
	s_or_b32 exec_lo, exec_lo, s0
	s_delay_alu instid0(SALU_CYCLE_1)
	s_mov_b32 s0, exec_lo
	v_cmpx_gt_i32_e64 s2, v0
	s_cbranch_execnz .LBB354_65
.LBB354_48:
	s_or_b32 exec_lo, exec_lo, s0
	s_delay_alu instid0(SALU_CYCLE_1)
	s_mov_b32 s0, exec_lo
	v_cmpx_gt_i32_e64 s2, v0
	s_cbranch_execnz .LBB354_66
.LBB354_49:
	s_or_b32 exec_lo, exec_lo, s0
	s_delay_alu instid0(SALU_CYCLE_1)
	s_mov_b32 s0, exec_lo
	v_cmpx_gt_i32_e64 s2, v0
	s_cbranch_execnz .LBB354_67
.LBB354_50:
	s_or_b32 exec_lo, exec_lo, s0
	s_delay_alu instid0(SALU_CYCLE_1)
	s_mov_b32 s0, exec_lo
	v_cmpx_gt_i32_e64 s2, v0
	s_cbranch_execz .LBB354_52
.LBB354_51:
	v_add_nc_u32_e32 v0, s1, v0
	v_lshrrev_b32_e32 v1, 24, v3
	global_store_b8 v0, v1, s[4:5]
.LBB354_52:
	s_nop 0
	s_sendmsg sendmsg(MSG_DEALLOC_VGPRS)
	s_endpgm
.LBB354_53:
	v_mov_b32_e32 v0, v2
	global_store_b8 v1, v6, s[4:5]
	s_or_b32 exec_lo, exec_lo, s0
	s_delay_alu instid0(SALU_CYCLE_1)
	s_mov_b32 s0, exec_lo
	v_cmpx_gt_i32_e64 s2, v0
	s_cbranch_execz .LBB354_37
.LBB354_54:
	v_add_nc_u32_e32 v1, s1, v0
	v_lshrrev_b32_e32 v2, 8, v6
	v_add_nc_u32_e32 v0, 0x100, v0
	global_store_b8 v1, v2, s[4:5]
	s_or_b32 exec_lo, exec_lo, s0
	s_delay_alu instid0(SALU_CYCLE_1)
	s_mov_b32 s0, exec_lo
	v_cmpx_gt_i32_e64 s2, v0
	s_cbranch_execz .LBB354_38
.LBB354_55:
	v_add_nc_u32_e32 v1, s1, v0
	v_add_nc_u32_e32 v0, 0x100, v0
	global_store_d16_hi_b8 v1, v6, s[4:5]
	s_or_b32 exec_lo, exec_lo, s0
	s_delay_alu instid0(SALU_CYCLE_1)
	s_mov_b32 s0, exec_lo
	v_cmpx_gt_i32_e64 s2, v0
	s_cbranch_execz .LBB354_39
.LBB354_56:
	v_add_nc_u32_e32 v1, s1, v0
	v_lshrrev_b32_e32 v2, 24, v6
	v_add_nc_u32_e32 v0, 0x100, v0
	global_store_b8 v1, v2, s[4:5]
	s_or_b32 exec_lo, exec_lo, s0
	s_delay_alu instid0(SALU_CYCLE_1)
	s_mov_b32 s0, exec_lo
	v_cmpx_gt_i32_e64 s2, v0
	s_cbranch_execz .LBB354_40
.LBB354_57:
	v_add_nc_u32_e32 v1, s1, v0
	v_add_nc_u32_e32 v0, 0x100, v0
	global_store_b8 v1, v5, s[4:5]
	s_or_b32 exec_lo, exec_lo, s0
	s_delay_alu instid0(SALU_CYCLE_1)
	s_mov_b32 s0, exec_lo
	v_cmpx_gt_i32_e64 s2, v0
	s_cbranch_execz .LBB354_41
.LBB354_58:
	v_add_nc_u32_e32 v1, s1, v0
	v_lshrrev_b32_e32 v2, 8, v5
	v_add_nc_u32_e32 v0, 0x100, v0
	global_store_b8 v1, v2, s[4:5]
	s_or_b32 exec_lo, exec_lo, s0
	s_delay_alu instid0(SALU_CYCLE_1)
	s_mov_b32 s0, exec_lo
	v_cmpx_gt_i32_e64 s2, v0
	s_cbranch_execz .LBB354_42
.LBB354_59:
	v_add_nc_u32_e32 v1, s1, v0
	v_add_nc_u32_e32 v0, 0x100, v0
	global_store_d16_hi_b8 v1, v5, s[4:5]
	s_or_b32 exec_lo, exec_lo, s0
	s_delay_alu instid0(SALU_CYCLE_1)
	s_mov_b32 s0, exec_lo
	v_cmpx_gt_i32_e64 s2, v0
	s_cbranch_execz .LBB354_43
.LBB354_60:
	v_add_nc_u32_e32 v1, s1, v0
	v_lshrrev_b32_e32 v2, 24, v5
	v_add_nc_u32_e32 v0, 0x100, v0
	global_store_b8 v1, v2, s[4:5]
	s_or_b32 exec_lo, exec_lo, s0
	s_delay_alu instid0(SALU_CYCLE_1)
	s_mov_b32 s0, exec_lo
	v_cmpx_gt_i32_e64 s2, v0
	s_cbranch_execz .LBB354_44
.LBB354_61:
	v_add_nc_u32_e32 v1, s1, v0
	v_add_nc_u32_e32 v0, 0x100, v0
	global_store_b8 v1, v4, s[4:5]
	s_or_b32 exec_lo, exec_lo, s0
	s_delay_alu instid0(SALU_CYCLE_1)
	s_mov_b32 s0, exec_lo
	v_cmpx_gt_i32_e64 s2, v0
	s_cbranch_execz .LBB354_45
.LBB354_62:
	v_add_nc_u32_e32 v1, s1, v0
	v_lshrrev_b32_e32 v2, 8, v4
	v_add_nc_u32_e32 v0, 0x100, v0
	global_store_b8 v1, v2, s[4:5]
	s_or_b32 exec_lo, exec_lo, s0
	s_delay_alu instid0(SALU_CYCLE_1)
	s_mov_b32 s0, exec_lo
	v_cmpx_gt_i32_e64 s2, v0
	s_cbranch_execz .LBB354_46
.LBB354_63:
	v_add_nc_u32_e32 v1, s1, v0
	v_add_nc_u32_e32 v0, 0x100, v0
	global_store_d16_hi_b8 v1, v4, s[4:5]
	s_or_b32 exec_lo, exec_lo, s0
	s_delay_alu instid0(SALU_CYCLE_1)
	s_mov_b32 s0, exec_lo
	v_cmpx_gt_i32_e64 s2, v0
	s_cbranch_execz .LBB354_47
.LBB354_64:
	v_add_nc_u32_e32 v1, s1, v0
	v_lshrrev_b32_e32 v2, 24, v4
	v_add_nc_u32_e32 v0, 0x100, v0
	global_store_b8 v1, v2, s[4:5]
	s_or_b32 exec_lo, exec_lo, s0
	s_delay_alu instid0(SALU_CYCLE_1)
	s_mov_b32 s0, exec_lo
	v_cmpx_gt_i32_e64 s2, v0
	s_cbranch_execz .LBB354_48
.LBB354_65:
	v_add_nc_u32_e32 v1, s1, v0
	v_add_nc_u32_e32 v0, 0x100, v0
	global_store_b8 v1, v3, s[4:5]
	s_or_b32 exec_lo, exec_lo, s0
	s_delay_alu instid0(SALU_CYCLE_1)
	s_mov_b32 s0, exec_lo
	v_cmpx_gt_i32_e64 s2, v0
	s_cbranch_execz .LBB354_49
.LBB354_66:
	v_add_nc_u32_e32 v1, s1, v0
	v_lshrrev_b32_e32 v2, 8, v3
	v_add_nc_u32_e32 v0, 0x100, v0
	global_store_b8 v1, v2, s[4:5]
	s_or_b32 exec_lo, exec_lo, s0
	s_delay_alu instid0(SALU_CYCLE_1)
	s_mov_b32 s0, exec_lo
	v_cmpx_gt_i32_e64 s2, v0
	s_cbranch_execz .LBB354_50
.LBB354_67:
	v_add_nc_u32_e32 v1, s1, v0
	v_add_nc_u32_e32 v0, 0x100, v0
	global_store_d16_hi_b8 v1, v3, s[4:5]
	s_or_b32 exec_lo, exec_lo, s0
	s_delay_alu instid0(SALU_CYCLE_1)
	s_mov_b32 s0, exec_lo
	v_cmpx_gt_i32_e64 s2, v0
	s_cbranch_execnz .LBB354_51
	s_branch .LBB354_52
	.section	.rodata,"a",@progbits
	.p2align	6, 0x0
	.amdhsa_kernel _ZN2at6native29vectorized_elementwise_kernelILi16EZZZNS0_21clamp_min_kernel_cudaERNS_18TensorIteratorBaseERKN3c106ScalarEENKUlvE_clEvENKUlvE0_clEvEUlaE_St5arrayIPcLm2EEEEviT0_T1_
		.amdhsa_group_segment_fixed_size 0
		.amdhsa_private_segment_fixed_size 0
		.amdhsa_kernarg_size 24
		.amdhsa_user_sgpr_count 15
		.amdhsa_user_sgpr_dispatch_ptr 0
		.amdhsa_user_sgpr_queue_ptr 0
		.amdhsa_user_sgpr_kernarg_segment_ptr 1
		.amdhsa_user_sgpr_dispatch_id 0
		.amdhsa_user_sgpr_private_segment_size 0
		.amdhsa_wavefront_size32 1
		.amdhsa_uses_dynamic_stack 0
		.amdhsa_enable_private_segment 0
		.amdhsa_system_sgpr_workgroup_id_x 1
		.amdhsa_system_sgpr_workgroup_id_y 0
		.amdhsa_system_sgpr_workgroup_id_z 0
		.amdhsa_system_sgpr_workgroup_info 0
		.amdhsa_system_vgpr_workitem_id 0
		.amdhsa_next_free_vgpr 22
		.amdhsa_next_free_sgpr 16
		.amdhsa_reserve_vcc 1
		.amdhsa_float_round_mode_32 0
		.amdhsa_float_round_mode_16_64 0
		.amdhsa_float_denorm_mode_32 3
		.amdhsa_float_denorm_mode_16_64 3
		.amdhsa_dx10_clamp 1
		.amdhsa_ieee_mode 1
		.amdhsa_fp16_overflow 0
		.amdhsa_workgroup_processor_mode 1
		.amdhsa_memory_ordered 1
		.amdhsa_forward_progress 0
		.amdhsa_shared_vgpr_count 0
		.amdhsa_exception_fp_ieee_invalid_op 0
		.amdhsa_exception_fp_denorm_src 0
		.amdhsa_exception_fp_ieee_div_zero 0
		.amdhsa_exception_fp_ieee_overflow 0
		.amdhsa_exception_fp_ieee_underflow 0
		.amdhsa_exception_fp_ieee_inexact 0
		.amdhsa_exception_int_div_zero 0
	.end_amdhsa_kernel
	.section	.text._ZN2at6native29vectorized_elementwise_kernelILi16EZZZNS0_21clamp_min_kernel_cudaERNS_18TensorIteratorBaseERKN3c106ScalarEENKUlvE_clEvENKUlvE0_clEvEUlaE_St5arrayIPcLm2EEEEviT0_T1_,"axG",@progbits,_ZN2at6native29vectorized_elementwise_kernelILi16EZZZNS0_21clamp_min_kernel_cudaERNS_18TensorIteratorBaseERKN3c106ScalarEENKUlvE_clEvENKUlvE0_clEvEUlaE_St5arrayIPcLm2EEEEviT0_T1_,comdat
.Lfunc_end354:
	.size	_ZN2at6native29vectorized_elementwise_kernelILi16EZZZNS0_21clamp_min_kernel_cudaERNS_18TensorIteratorBaseERKN3c106ScalarEENKUlvE_clEvENKUlvE0_clEvEUlaE_St5arrayIPcLm2EEEEviT0_T1_, .Lfunc_end354-_ZN2at6native29vectorized_elementwise_kernelILi16EZZZNS0_21clamp_min_kernel_cudaERNS_18TensorIteratorBaseERKN3c106ScalarEENKUlvE_clEvENKUlvE0_clEvEUlaE_St5arrayIPcLm2EEEEviT0_T1_
                                        ; -- End function
	.section	.AMDGPU.csdata,"",@progbits
; Kernel info:
; codeLenInByte = 3484
; NumSgprs: 18
; NumVgprs: 22
; ScratchSize: 0
; MemoryBound: 0
; FloatMode: 240
; IeeeMode: 1
; LDSByteSize: 0 bytes/workgroup (compile time only)
; SGPRBlocks: 2
; VGPRBlocks: 2
; NumSGPRsForWavesPerEU: 18
; NumVGPRsForWavesPerEU: 22
; Occupancy: 16
; WaveLimiterHint : 0
; COMPUTE_PGM_RSRC2:SCRATCH_EN: 0
; COMPUTE_PGM_RSRC2:USER_SGPR: 15
; COMPUTE_PGM_RSRC2:TRAP_HANDLER: 0
; COMPUTE_PGM_RSRC2:TGID_X_EN: 1
; COMPUTE_PGM_RSRC2:TGID_Y_EN: 0
; COMPUTE_PGM_RSRC2:TGID_Z_EN: 0
; COMPUTE_PGM_RSRC2:TIDIG_COMP_CNT: 0
	.section	.text._ZN2at6native29vectorized_elementwise_kernelILi8EZZZNS0_21clamp_min_kernel_cudaERNS_18TensorIteratorBaseERKN3c106ScalarEENKUlvE_clEvENKUlvE0_clEvEUlaE_St5arrayIPcLm2EEEEviT0_T1_,"axG",@progbits,_ZN2at6native29vectorized_elementwise_kernelILi8EZZZNS0_21clamp_min_kernel_cudaERNS_18TensorIteratorBaseERKN3c106ScalarEENKUlvE_clEvENKUlvE0_clEvEUlaE_St5arrayIPcLm2EEEEviT0_T1_,comdat
	.globl	_ZN2at6native29vectorized_elementwise_kernelILi8EZZZNS0_21clamp_min_kernel_cudaERNS_18TensorIteratorBaseERKN3c106ScalarEENKUlvE_clEvENKUlvE0_clEvEUlaE_St5arrayIPcLm2EEEEviT0_T1_ ; -- Begin function _ZN2at6native29vectorized_elementwise_kernelILi8EZZZNS0_21clamp_min_kernel_cudaERNS_18TensorIteratorBaseERKN3c106ScalarEENKUlvE_clEvENKUlvE0_clEvEUlaE_St5arrayIPcLm2EEEEviT0_T1_
	.p2align	8
	.type	_ZN2at6native29vectorized_elementwise_kernelILi8EZZZNS0_21clamp_min_kernel_cudaERNS_18TensorIteratorBaseERKN3c106ScalarEENKUlvE_clEvENKUlvE0_clEvEUlaE_St5arrayIPcLm2EEEEviT0_T1_,@function
_ZN2at6native29vectorized_elementwise_kernelILi8EZZZNS0_21clamp_min_kernel_cudaERNS_18TensorIteratorBaseERKN3c106ScalarEENKUlvE_clEvENKUlvE0_clEvEUlaE_St5arrayIPcLm2EEEEviT0_T1_: ; @_ZN2at6native29vectorized_elementwise_kernelILi8EZZZNS0_21clamp_min_kernel_cudaERNS_18TensorIteratorBaseERKN3c106ScalarEENKUlvE_clEvENKUlvE0_clEvEUlaE_St5arrayIPcLm2EEEEviT0_T1_
; %bb.0:
	s_clause 0x1
	s_load_b64 s[2:3], s[0:1], 0x0
	s_load_b128 s[4:7], s[0:1], 0x8
	s_lshl_b32 s1, s15, 12
	s_mov_b32 s0, -1
	s_waitcnt lgkmcnt(0)
	s_sub_i32 s2, s2, s1
	s_delay_alu instid0(SALU_CYCLE_1)
	s_cmpk_gt_i32 s2, 0xfff
	s_cbranch_scc0 .LBB355_2
; %bb.1:
	v_lshlrev_b32_e32 v5, 3, v0
	s_ashr_i32 s0, s1, 31
	s_add_u32 s8, s6, s1
	s_addc_u32 s9, s7, s0
	s_clause 0x1
	global_load_b64 v[1:2], v5, s[8:9]
	global_load_b64 v[3:4], v5, s[8:9] offset:2048
	s_bfe_i32 s8, s3, 0x80000
	s_waitcnt vmcnt(1)
	v_lshrrev_b32_e32 v7, 8, v1
	v_lshrrev_b32_e32 v8, 16, v1
	;; [unrolled: 1-line block ×3, first 2 shown]
	s_waitcnt vmcnt(0)
	v_lshrrev_b32_e32 v13, 8, v3
	v_lshrrev_b32_e32 v14, 16, v3
	;; [unrolled: 1-line block ×3, first 2 shown]
	v_bfe_i32 v6, v1, 0, 8
	v_lshrrev_b32_e32 v1, 24, v1
	v_bfe_i32 v9, v2, 0, 8
	v_lshrrev_b32_e32 v10, 8, v2
	v_lshrrev_b32_e32 v2, 24, v2
	v_bfe_i32 v7, v7, 0, 8
	v_bfe_i32 v8, v8, 0, 8
	;; [unrolled: 1-line block ×4, first 2 shown]
	v_lshrrev_b32_e32 v3, 24, v3
	v_bfe_i32 v15, v4, 0, 8
	v_lshrrev_b32_e32 v16, 8, v4
	v_lshrrev_b32_e32 v4, 24, v4
	v_bfe_i32 v13, v13, 0, 8
	v_bfe_i32 v14, v14, 0, 8
	;; [unrolled: 1-line block ×6, first 2 shown]
	v_max_i16 v7, v7, s8
	v_max_i16 v8, v8, s8
	;; [unrolled: 1-line block ×3, first 2 shown]
	v_bfe_i32 v3, v3, 0, 8
	v_bfe_i32 v16, v16, 0, 8
	;; [unrolled: 1-line block ×3, first 2 shown]
	v_max_i16 v13, v13, s8
	v_max_i16 v14, v14, s8
	;; [unrolled: 1-line block ×6, first 2 shown]
	v_and_b32_e32 v11, 0xff, v11
	v_and_b32_e32 v8, 0xff, v8
	;; [unrolled: 1-line block ×3, first 2 shown]
	v_max_i16 v3, v3, s8
	v_max_i16 v16, v16, s8
	;; [unrolled: 1-line block ×3, first 2 shown]
	v_and_b32_e32 v17, 0xff, v17
	v_and_b32_e32 v14, 0xff, v14
	;; [unrolled: 1-line block ×3, first 2 shown]
	v_max_i16 v6, v6, s8
	v_max_i16 v9, v9, s8
	v_lshlrev_b32_e32 v2, 24, v2
	v_and_b32_e32 v10, 0xff, v10
	v_lshlrev_b32_e32 v1, 24, v1
	v_lshlrev_b32_e32 v11, 16, v11
	;; [unrolled: 1-line block ×4, first 2 shown]
	v_max_i16 v12, v12, s8
	v_max_i16 v15, v15, s8
	v_lshlrev_b32_e32 v4, 24, v4
	v_and_b32_e32 v16, 0xff, v16
	v_lshlrev_b32_e32 v3, 24, v3
	v_lshlrev_b32_e32 v17, 16, v17
	;; [unrolled: 1-line block ×4, first 2 shown]
	v_and_b32_e32 v9, 0xff, v9
	v_and_b32_e32 v6, 0xff, v6
	v_lshlrev_b32_e32 v10, 8, v10
	v_or_b32_e32 v2, v2, v11
	v_or3_b32 v1, v1, v8, v7
	v_and_b32_e32 v15, 0xff, v15
	v_and_b32_e32 v12, 0xff, v12
	v_lshlrev_b32_e32 v16, 8, v16
	v_or_b32_e32 v4, v4, v17
	v_or3_b32 v3, v3, v14, v13
	v_or3_b32 v2, v2, v10, v9
	v_or_b32_e32 v1, v1, v6
	s_add_u32 s8, s4, s1
	v_or3_b32 v4, v4, v16, v15
	v_or_b32_e32 v3, v3, v12
	s_addc_u32 s9, s5, s0
	s_mov_b32 s0, 0
	s_clause 0x1
	global_store_b64 v5, v[1:2], s[8:9]
	global_store_b64 v5, v[3:4], s[8:9] offset:2048
.LBB355_2:
	s_and_not1_b32 vcc_lo, exec_lo, s0
	s_cbranch_vccnz .LBB355_52
; %bb.3:
	v_cmp_gt_i32_e32 vcc_lo, s2, v0
	v_dual_mov_b32 v4, 0 :: v_dual_mov_b32 v5, 0
	v_or_b32_e32 v1, s1, v0
	v_or_b32_e32 v2, 0x100, v0
	v_mov_b32_e32 v7, v0
	s_and_saveexec_b32 s0, vcc_lo
	s_cbranch_execz .LBB355_5
; %bb.4:
	global_load_u8 v5, v1, s[6:7]
	v_or_b32_e32 v7, 0x100, v0
.LBB355_5:
	s_or_b32 exec_lo, exec_lo, s0
	s_delay_alu instid0(SALU_CYCLE_1) | instskip(NEXT) | instid1(VALU_DEP_1)
	s_mov_b32 s8, exec_lo
	v_cmpx_gt_i32_e64 s2, v7
	s_cbranch_execz .LBB355_7
; %bb.6:
	v_add_nc_u32_e32 v3, s1, v7
	v_add_nc_u32_e32 v7, 0x100, v7
	global_load_u8 v4, v3, s[6:7]
.LBB355_7:
	s_or_b32 exec_lo, exec_lo, s8
	v_dual_mov_b32 v6, 0 :: v_dual_mov_b32 v9, 0
	s_mov_b32 s8, exec_lo
	v_cmpx_gt_i32_e64 s2, v7
	s_cbranch_execz .LBB355_9
; %bb.8:
	v_add_nc_u32_e32 v3, s1, v7
	v_add_nc_u32_e32 v7, 0x100, v7
	global_load_u8 v9, v3, s[6:7]
.LBB355_9:
	s_or_b32 exec_lo, exec_lo, s8
	s_delay_alu instid0(SALU_CYCLE_1)
	s_mov_b32 s8, exec_lo
	v_cmpx_gt_i32_e64 s2, v7
	s_cbranch_execz .LBB355_11
; %bb.10:
	v_add_nc_u32_e32 v3, s1, v7
	v_add_nc_u32_e32 v7, 0x100, v7
	global_load_u8 v6, v3, s[6:7]
.LBB355_11:
	s_or_b32 exec_lo, exec_lo, s8
	v_mov_b32_e32 v10, 0
	v_mov_b32_e32 v12, 0
	s_mov_b32 s8, exec_lo
	v_cmpx_gt_i32_e64 s2, v7
	s_cbranch_execz .LBB355_13
; %bb.12:
	v_add_nc_u32_e32 v3, s1, v7
	v_add_nc_u32_e32 v7, 0x100, v7
	global_load_u8 v12, v3, s[6:7]
.LBB355_13:
	s_or_b32 exec_lo, exec_lo, s8
	s_delay_alu instid0(SALU_CYCLE_1)
	s_mov_b32 s8, exec_lo
	v_cmpx_gt_i32_e64 s2, v7
	s_cbranch_execz .LBB355_15
; %bb.14:
	v_add_nc_u32_e32 v3, s1, v7
	v_add_nc_u32_e32 v7, 0x100, v7
	global_load_u8 v10, v3, s[6:7]
.LBB355_15:
	s_or_b32 exec_lo, exec_lo, s8
	v_mov_b32_e32 v3, 0
	v_mov_b32_e32 v13, 0
	s_mov_b32 s8, exec_lo
	v_cmpx_gt_i32_e64 s2, v7
	s_cbranch_execz .LBB355_17
; %bb.16:
	v_add_nc_u32_e32 v8, s1, v7
	v_add_nc_u32_e32 v7, 0x100, v7
	global_load_u8 v13, v8, s[6:7]
.LBB355_17:
	s_or_b32 exec_lo, exec_lo, s8
	s_delay_alu instid0(SALU_CYCLE_1)
	s_mov_b32 s8, exec_lo
	v_cmpx_gt_i32_e64 s2, v7
	s_cbranch_execz .LBB355_19
; %bb.18:
	v_add_nc_u32_e32 v3, s1, v7
	v_add_nc_u32_e32 v7, 0x100, v7
	global_load_u8 v3, v3, s[6:7]
.LBB355_19:
	s_or_b32 exec_lo, exec_lo, s8
	v_dual_mov_b32 v14, 0 :: v_dual_mov_b32 v15, 0
	s_mov_b32 s8, exec_lo
	v_cmpx_gt_i32_e64 s2, v7
	s_cbranch_execz .LBB355_21
; %bb.20:
	v_add_nc_u32_e32 v8, s1, v7
	v_add_nc_u32_e32 v7, 0x100, v7
	global_load_u8 v15, v8, s[6:7]
.LBB355_21:
	s_or_b32 exec_lo, exec_lo, s8
	s_delay_alu instid0(SALU_CYCLE_1)
	s_mov_b32 s8, exec_lo
	v_cmpx_gt_i32_e64 s2, v7
	s_cbranch_execz .LBB355_23
; %bb.22:
	v_add_nc_u32_e32 v8, s1, v7
	v_add_nc_u32_e32 v7, 0x100, v7
	global_load_u8 v14, v8, s[6:7]
.LBB355_23:
	s_or_b32 exec_lo, exec_lo, s8
	v_dual_mov_b32 v8, 0 :: v_dual_mov_b32 v11, 0
	s_mov_b32 s8, exec_lo
	v_cmpx_gt_i32_e64 s2, v7
	s_cbranch_execz .LBB355_25
; %bb.24:
	v_add_nc_u32_e32 v11, s1, v7
	v_add_nc_u32_e32 v7, 0x100, v7
	global_load_u8 v11, v11, s[6:7]
.LBB355_25:
	s_or_b32 exec_lo, exec_lo, s8
	s_delay_alu instid0(SALU_CYCLE_1)
	s_mov_b32 s8, exec_lo
	v_cmpx_gt_i32_e64 s2, v7
	s_cbranch_execz .LBB355_27
; %bb.26:
	v_add_nc_u32_e32 v8, s1, v7
	v_add_nc_u32_e32 v7, 0x100, v7
	global_load_u8 v8, v8, s[6:7]
.LBB355_27:
	s_or_b32 exec_lo, exec_lo, s8
	v_mov_b32_e32 v17, 0
	v_mov_b32_e32 v19, 0
	s_mov_b32 s8, exec_lo
	v_cmpx_gt_i32_e64 s2, v7
	s_cbranch_execz .LBB355_29
; %bb.28:
	v_add_nc_u32_e32 v16, s1, v7
	v_add_nc_u32_e32 v7, 0x100, v7
	global_load_u8 v19, v16, s[6:7]
.LBB355_29:
	s_or_b32 exec_lo, exec_lo, s8
	s_delay_alu instid0(SALU_CYCLE_1)
	s_mov_b32 s8, exec_lo
	v_cmpx_gt_i32_e64 s2, v7
	s_cbranch_execz .LBB355_31
; %bb.30:
	v_add_nc_u32_e32 v16, s1, v7
	v_add_nc_u32_e32 v7, 0x100, v7
	global_load_u8 v17, v16, s[6:7]
.LBB355_31:
	s_or_b32 exec_lo, exec_lo, s8
	v_mov_b32_e32 v16, 0
	v_mov_b32_e32 v18, 0
	s_mov_b32 s8, exec_lo
	v_cmpx_gt_i32_e64 s2, v7
	s_cbranch_execz .LBB355_33
; %bb.32:
	v_add_nc_u32_e32 v18, s1, v7
	v_add_nc_u32_e32 v7, 0x100, v7
	global_load_u8 v18, v18, s[6:7]
.LBB355_33:
	s_or_b32 exec_lo, exec_lo, s8
	s_delay_alu instid0(SALU_CYCLE_1)
	s_mov_b32 s8, exec_lo
	v_cmpx_gt_i32_e64 s2, v7
	s_cbranch_execz .LBB355_35
; %bb.34:
	v_add_nc_u32_e32 v7, s1, v7
	global_load_u8 v16, v7, s[6:7]
.LBB355_35:
	s_or_b32 exec_lo, exec_lo, s8
	s_waitcnt vmcnt(0)
	v_bfe_i32 v5, v5, 0, 8
	v_bfe_i32 v4, v4, 0, 8
	s_bfe_i32 s3, s3, 0x80000
	v_bfe_i32 v12, v12, 0, 8
	v_or_b32_e32 v20, 0x400, v0
	v_max_i16 v5, v5, s3
	v_max_i16 v4, v4, s3
	v_bfe_i32 v9, v9, 0, 8
	v_max_i16 v12, v12, s3
	v_bfe_i32 v10, v10, 0, 8
	v_and_b32_e32 v5, 0xff, v5
	v_lshlrev_b16 v4, 8, v4
	v_cmp_gt_i32_e64 s0, s2, v20
	v_perm_b32 v12, v12, 0, 0x3020104
	v_max_i16 v9, v9, s3
	v_max_i16 v10, v10, s3
	v_or_b32_e32 v4, v5, v4
	v_and_b32_e32 v5, 0xffff, v5
	v_cndmask_b32_e64 v12, 0, v12, s0
	v_cmp_gt_i32_e64 s0, s2, v2
	v_and_b32_e32 v9, 0xff, v9
	v_and_b32_e32 v4, 0xffff, v4
	v_or_b32_e32 v7, 0x200, v0
	v_or_b32_e32 v20, 0x500, v0
	v_bfe_i32 v6, v6, 0, 8
	v_lshlrev_b32_e32 v9, 16, v9
	v_cndmask_b32_e64 v4, v5, v4, s0
	v_lshlrev_b16 v5, 8, v10
	v_and_b32_e32 v10, 0xff, v12
	v_cmp_gt_i32_e64 s0, s2, v7
	v_bfe_i32 v13, v13, 0, 8
	v_or_b32_e32 v9, v4, v9
	v_bfe_i32 v7, v14, 0, 8
	v_or_b32_e32 v5, v10, v5
	v_max_i16 v6, v6, s3
	v_or_b32_e32 v21, 0x600, v0
	v_cndmask_b32_e64 v4, v4, v9, s0
	v_bfe_i32 v9, v19, 0, 8
	v_and_b32_e32 v5, 0xffff, v5
	v_cmp_gt_i32_e64 s0, s2, v20
	v_max_i16 v13, v13, s3
	v_lshrrev_b32_e32 v14, 16, v4
	v_max_i16 v9, v9, s3
	v_and_or_b32 v5, 0xffff0000, v12, v5
	v_lshlrev_b16 v6, 8, v6
	v_bfe_i32 v10, v15, 0, 8
	v_and_b32_e32 v14, 0xff, v14
	v_perm_b32 v9, v9, 0, 0x3020104
	v_cndmask_b32_e64 v5, v12, v5, s0
	v_or_b32_e32 v12, 0xc00, v0
	v_max_i16 v10, v10, s3
	v_or_b32_e32 v6, v14, v6
	v_bfe_i32 v14, v17, 0, 8
	v_perm_b32 v13, v5, v13, 0x7000504
	v_cmp_gt_i32_e64 s0, s2, v12
	v_max_i16 v7, v7, s3
	v_and_b32_e32 v10, 0xff, v10
	v_max_i16 v12, v14, s3
	v_bfe_i32 v11, v11, 0, 8
	v_cndmask_b32_e64 v9, 0, v9, s0
	v_cmp_gt_i32_e64 s0, s2, v21
	v_lshlrev_b16 v7, 8, v7
	v_lshlrev_b16 v12, 8, v12
	v_max_i16 v11, v11, s3
	v_or_b32_e32 v15, 0xd00, v0
	v_cndmask_b32_e64 v5, v5, v13, s0
	v_and_b32_e32 v13, 0xff, v9
	v_or_b32_e32 v7, v10, v7
	v_and_b32_e32 v10, 0xffff, v10
	v_and_b32_e32 v11, 0xff, v11
	v_lshrrev_b32_e32 v14, 16, v5
	v_or_b32_e32 v12, v13, v12
	v_and_b32_e32 v7, 0xffff, v7
	v_bfe_i32 v17, v18, 0, 8
	v_bfe_i32 v3, v3, 0, 8
	v_and_b32_e32 v13, 0xff, v14
	v_or_b32_e32 v14, 0x900, v0
	v_and_b32_e32 v12, 0xffff, v12
	v_bfe_i32 v8, v8, 0, 8
	v_max_i16 v3, v3, s3
	v_lshlrev_b32_e32 v6, 16, v6
	v_cmp_gt_i32_e64 s0, s2, v14
	v_and_or_b32 v12, 0xffff0000, v9, v12
	v_or_b32_e32 v14, 0xe00, v0
	v_lshlrev_b16 v3, 8, v3
	v_max_i16 v8, v8, s3
	v_cndmask_b32_e64 v7, v10, v7, s0
	v_cmp_gt_i32_e64 s0, s2, v15
	v_lshlrev_b32_e32 v10, 16, v11
	v_max_i16 v11, v17, s3
	v_or_b32_e32 v3, v13, v3
	v_lshlrev_b16 v8, 8, v8
	v_cndmask_b32_e64 v9, v9, v12, s0
	v_or_b32_e32 v12, 0xa00, v0
	v_or_b32_e32 v10, v7, v10
	;; [unrolled: 1-line block ×3, first 2 shown]
	v_and_or_b32 v6, 0xffff, v4, v6
	v_perm_b32 v11, v9, v11, 0x7000504
	v_cmp_gt_i32_e64 s0, s2, v12
	v_lshlrev_b32_e32 v3, 16, v3
	s_delay_alu instid0(VALU_DEP_2) | instskip(SKIP_2) | instid1(VALU_DEP_4)
	v_cndmask_b32_e64 v7, v7, v10, s0
	v_cmp_gt_i32_e64 s0, s2, v14
	v_bfe_i32 v10, v16, 0, 8
	v_and_or_b32 v3, 0xffff, v5, v3
	s_delay_alu instid0(VALU_DEP_3) | instskip(SKIP_1) | instid1(VALU_DEP_4)
	v_cndmask_b32_e64 v9, v9, v11, s0
	v_lshrrev_b32_e32 v11, 16, v7
	v_max_i16 v10, v10, s3
	v_cmp_gt_i32_e64 s0, s2, v13
	s_delay_alu instid0(VALU_DEP_4) | instskip(NEXT) | instid1(VALU_DEP_4)
	v_lshrrev_b32_e32 v12, 16, v9
	v_and_b32_e32 v11, 0xff, v11
	s_delay_alu instid0(VALU_DEP_4) | instskip(NEXT) | instid1(VALU_DEP_4)
	v_lshlrev_b16 v10, 8, v10
	v_cndmask_b32_e64 v6, v4, v6, s0
	s_delay_alu instid0(VALU_DEP_4) | instskip(NEXT) | instid1(VALU_DEP_4)
	v_and_b32_e32 v12, 0xff, v12
	v_or_b32_e32 v8, v11, v8
	v_or_b32_e32 v11, 0xb00, v0
	s_delay_alu instid0(VALU_DEP_3) | instskip(NEXT) | instid1(VALU_DEP_3)
	v_or_b32_e32 v10, v12, v10
	v_lshlrev_b32_e32 v4, 16, v8
	v_or_b32_e32 v8, 0x700, v0
	v_or_b32_e32 v12, 0xf00, v0
	s_delay_alu instid0(VALU_DEP_4) | instskip(NEXT) | instid1(VALU_DEP_4)
	v_lshlrev_b32_e32 v10, 16, v10
	v_and_or_b32 v4, 0xffff, v7, v4
	s_delay_alu instid0(VALU_DEP_4) | instskip(NEXT) | instid1(VALU_DEP_3)
	v_cmp_gt_i32_e64 s0, s2, v8
	v_and_or_b32 v10, 0xffff, v9, v10
	s_delay_alu instid0(VALU_DEP_2) | instskip(SKIP_1) | instid1(VALU_DEP_1)
	v_cndmask_b32_e64 v5, v5, v3, s0
	v_cmp_gt_i32_e64 s0, s2, v11
	v_cndmask_b32_e64 v4, v7, v4, s0
	v_cmp_gt_i32_e64 s0, s2, v12
	s_delay_alu instid0(VALU_DEP_1)
	v_cndmask_b32_e64 v3, v9, v10, s0
	s_and_saveexec_b32 s0, vcc_lo
	s_cbranch_execnz .LBB355_53
; %bb.36:
	s_or_b32 exec_lo, exec_lo, s0
	s_delay_alu instid0(SALU_CYCLE_1)
	s_mov_b32 s0, exec_lo
	v_cmpx_gt_i32_e64 s2, v0
	s_cbranch_execnz .LBB355_54
.LBB355_37:
	s_or_b32 exec_lo, exec_lo, s0
	s_delay_alu instid0(SALU_CYCLE_1)
	s_mov_b32 s0, exec_lo
	v_cmpx_gt_i32_e64 s2, v0
	s_cbranch_execnz .LBB355_55
.LBB355_38:
	s_or_b32 exec_lo, exec_lo, s0
	s_delay_alu instid0(SALU_CYCLE_1)
	s_mov_b32 s0, exec_lo
	v_cmpx_gt_i32_e64 s2, v0
	s_cbranch_execnz .LBB355_56
.LBB355_39:
	s_or_b32 exec_lo, exec_lo, s0
	s_delay_alu instid0(SALU_CYCLE_1)
	s_mov_b32 s0, exec_lo
	v_cmpx_gt_i32_e64 s2, v0
	s_cbranch_execnz .LBB355_57
.LBB355_40:
	s_or_b32 exec_lo, exec_lo, s0
	s_delay_alu instid0(SALU_CYCLE_1)
	s_mov_b32 s0, exec_lo
	v_cmpx_gt_i32_e64 s2, v0
	s_cbranch_execnz .LBB355_58
.LBB355_41:
	s_or_b32 exec_lo, exec_lo, s0
	s_delay_alu instid0(SALU_CYCLE_1)
	s_mov_b32 s0, exec_lo
	v_cmpx_gt_i32_e64 s2, v0
	s_cbranch_execnz .LBB355_59
.LBB355_42:
	s_or_b32 exec_lo, exec_lo, s0
	s_delay_alu instid0(SALU_CYCLE_1)
	s_mov_b32 s0, exec_lo
	v_cmpx_gt_i32_e64 s2, v0
	s_cbranch_execnz .LBB355_60
.LBB355_43:
	s_or_b32 exec_lo, exec_lo, s0
	s_delay_alu instid0(SALU_CYCLE_1)
	s_mov_b32 s0, exec_lo
	v_cmpx_gt_i32_e64 s2, v0
	s_cbranch_execnz .LBB355_61
.LBB355_44:
	s_or_b32 exec_lo, exec_lo, s0
	s_delay_alu instid0(SALU_CYCLE_1)
	s_mov_b32 s0, exec_lo
	v_cmpx_gt_i32_e64 s2, v0
	s_cbranch_execnz .LBB355_62
.LBB355_45:
	s_or_b32 exec_lo, exec_lo, s0
	s_delay_alu instid0(SALU_CYCLE_1)
	s_mov_b32 s0, exec_lo
	v_cmpx_gt_i32_e64 s2, v0
	s_cbranch_execnz .LBB355_63
.LBB355_46:
	s_or_b32 exec_lo, exec_lo, s0
	s_delay_alu instid0(SALU_CYCLE_1)
	s_mov_b32 s0, exec_lo
	v_cmpx_gt_i32_e64 s2, v0
	s_cbranch_execnz .LBB355_64
.LBB355_47:
	s_or_b32 exec_lo, exec_lo, s0
	s_delay_alu instid0(SALU_CYCLE_1)
	s_mov_b32 s0, exec_lo
	v_cmpx_gt_i32_e64 s2, v0
	s_cbranch_execnz .LBB355_65
.LBB355_48:
	s_or_b32 exec_lo, exec_lo, s0
	s_delay_alu instid0(SALU_CYCLE_1)
	s_mov_b32 s0, exec_lo
	v_cmpx_gt_i32_e64 s2, v0
	s_cbranch_execnz .LBB355_66
.LBB355_49:
	s_or_b32 exec_lo, exec_lo, s0
	s_delay_alu instid0(SALU_CYCLE_1)
	s_mov_b32 s0, exec_lo
	v_cmpx_gt_i32_e64 s2, v0
	s_cbranch_execnz .LBB355_67
.LBB355_50:
	s_or_b32 exec_lo, exec_lo, s0
	s_delay_alu instid0(SALU_CYCLE_1)
	s_mov_b32 s0, exec_lo
	v_cmpx_gt_i32_e64 s2, v0
	s_cbranch_execz .LBB355_52
.LBB355_51:
	v_add_nc_u32_e32 v0, s1, v0
	v_lshrrev_b32_e32 v1, 24, v3
	global_store_b8 v0, v1, s[4:5]
.LBB355_52:
	s_nop 0
	s_sendmsg sendmsg(MSG_DEALLOC_VGPRS)
	s_endpgm
.LBB355_53:
	v_mov_b32_e32 v0, v2
	global_store_b8 v1, v6, s[4:5]
	s_or_b32 exec_lo, exec_lo, s0
	s_delay_alu instid0(SALU_CYCLE_1)
	s_mov_b32 s0, exec_lo
	v_cmpx_gt_i32_e64 s2, v0
	s_cbranch_execz .LBB355_37
.LBB355_54:
	v_add_nc_u32_e32 v1, s1, v0
	v_lshrrev_b32_e32 v2, 8, v6
	v_add_nc_u32_e32 v0, 0x100, v0
	global_store_b8 v1, v2, s[4:5]
	s_or_b32 exec_lo, exec_lo, s0
	s_delay_alu instid0(SALU_CYCLE_1)
	s_mov_b32 s0, exec_lo
	v_cmpx_gt_i32_e64 s2, v0
	s_cbranch_execz .LBB355_38
.LBB355_55:
	v_add_nc_u32_e32 v1, s1, v0
	v_add_nc_u32_e32 v0, 0x100, v0
	global_store_d16_hi_b8 v1, v6, s[4:5]
	s_or_b32 exec_lo, exec_lo, s0
	s_delay_alu instid0(SALU_CYCLE_1)
	s_mov_b32 s0, exec_lo
	v_cmpx_gt_i32_e64 s2, v0
	s_cbranch_execz .LBB355_39
.LBB355_56:
	v_add_nc_u32_e32 v1, s1, v0
	v_lshrrev_b32_e32 v2, 24, v6
	v_add_nc_u32_e32 v0, 0x100, v0
	global_store_b8 v1, v2, s[4:5]
	s_or_b32 exec_lo, exec_lo, s0
	s_delay_alu instid0(SALU_CYCLE_1)
	s_mov_b32 s0, exec_lo
	v_cmpx_gt_i32_e64 s2, v0
	s_cbranch_execz .LBB355_40
.LBB355_57:
	v_add_nc_u32_e32 v1, s1, v0
	v_add_nc_u32_e32 v0, 0x100, v0
	global_store_b8 v1, v5, s[4:5]
	s_or_b32 exec_lo, exec_lo, s0
	s_delay_alu instid0(SALU_CYCLE_1)
	s_mov_b32 s0, exec_lo
	v_cmpx_gt_i32_e64 s2, v0
	s_cbranch_execz .LBB355_41
.LBB355_58:
	v_add_nc_u32_e32 v1, s1, v0
	v_lshrrev_b32_e32 v2, 8, v5
	v_add_nc_u32_e32 v0, 0x100, v0
	global_store_b8 v1, v2, s[4:5]
	s_or_b32 exec_lo, exec_lo, s0
	s_delay_alu instid0(SALU_CYCLE_1)
	s_mov_b32 s0, exec_lo
	v_cmpx_gt_i32_e64 s2, v0
	s_cbranch_execz .LBB355_42
.LBB355_59:
	v_add_nc_u32_e32 v1, s1, v0
	v_add_nc_u32_e32 v0, 0x100, v0
	global_store_d16_hi_b8 v1, v5, s[4:5]
	s_or_b32 exec_lo, exec_lo, s0
	s_delay_alu instid0(SALU_CYCLE_1)
	s_mov_b32 s0, exec_lo
	v_cmpx_gt_i32_e64 s2, v0
	s_cbranch_execz .LBB355_43
.LBB355_60:
	v_add_nc_u32_e32 v1, s1, v0
	v_lshrrev_b32_e32 v2, 24, v5
	v_add_nc_u32_e32 v0, 0x100, v0
	global_store_b8 v1, v2, s[4:5]
	s_or_b32 exec_lo, exec_lo, s0
	s_delay_alu instid0(SALU_CYCLE_1)
	s_mov_b32 s0, exec_lo
	v_cmpx_gt_i32_e64 s2, v0
	s_cbranch_execz .LBB355_44
.LBB355_61:
	v_add_nc_u32_e32 v1, s1, v0
	v_add_nc_u32_e32 v0, 0x100, v0
	global_store_b8 v1, v4, s[4:5]
	s_or_b32 exec_lo, exec_lo, s0
	s_delay_alu instid0(SALU_CYCLE_1)
	s_mov_b32 s0, exec_lo
	v_cmpx_gt_i32_e64 s2, v0
	s_cbranch_execz .LBB355_45
.LBB355_62:
	v_add_nc_u32_e32 v1, s1, v0
	v_lshrrev_b32_e32 v2, 8, v4
	v_add_nc_u32_e32 v0, 0x100, v0
	global_store_b8 v1, v2, s[4:5]
	s_or_b32 exec_lo, exec_lo, s0
	s_delay_alu instid0(SALU_CYCLE_1)
	s_mov_b32 s0, exec_lo
	v_cmpx_gt_i32_e64 s2, v0
	s_cbranch_execz .LBB355_46
.LBB355_63:
	v_add_nc_u32_e32 v1, s1, v0
	v_add_nc_u32_e32 v0, 0x100, v0
	global_store_d16_hi_b8 v1, v4, s[4:5]
	s_or_b32 exec_lo, exec_lo, s0
	s_delay_alu instid0(SALU_CYCLE_1)
	s_mov_b32 s0, exec_lo
	v_cmpx_gt_i32_e64 s2, v0
	s_cbranch_execz .LBB355_47
.LBB355_64:
	v_add_nc_u32_e32 v1, s1, v0
	v_lshrrev_b32_e32 v2, 24, v4
	v_add_nc_u32_e32 v0, 0x100, v0
	global_store_b8 v1, v2, s[4:5]
	s_or_b32 exec_lo, exec_lo, s0
	s_delay_alu instid0(SALU_CYCLE_1)
	s_mov_b32 s0, exec_lo
	v_cmpx_gt_i32_e64 s2, v0
	s_cbranch_execz .LBB355_48
.LBB355_65:
	v_add_nc_u32_e32 v1, s1, v0
	v_add_nc_u32_e32 v0, 0x100, v0
	global_store_b8 v1, v3, s[4:5]
	s_or_b32 exec_lo, exec_lo, s0
	s_delay_alu instid0(SALU_CYCLE_1)
	s_mov_b32 s0, exec_lo
	v_cmpx_gt_i32_e64 s2, v0
	s_cbranch_execz .LBB355_49
.LBB355_66:
	v_add_nc_u32_e32 v1, s1, v0
	v_lshrrev_b32_e32 v2, 8, v3
	v_add_nc_u32_e32 v0, 0x100, v0
	global_store_b8 v1, v2, s[4:5]
	s_or_b32 exec_lo, exec_lo, s0
	s_delay_alu instid0(SALU_CYCLE_1)
	s_mov_b32 s0, exec_lo
	v_cmpx_gt_i32_e64 s2, v0
	s_cbranch_execz .LBB355_50
.LBB355_67:
	v_add_nc_u32_e32 v1, s1, v0
	v_add_nc_u32_e32 v0, 0x100, v0
	global_store_d16_hi_b8 v1, v3, s[4:5]
	s_or_b32 exec_lo, exec_lo, s0
	s_delay_alu instid0(SALU_CYCLE_1)
	s_mov_b32 s0, exec_lo
	v_cmpx_gt_i32_e64 s2, v0
	s_cbranch_execnz .LBB355_51
	s_branch .LBB355_52
	.section	.rodata,"a",@progbits
	.p2align	6, 0x0
	.amdhsa_kernel _ZN2at6native29vectorized_elementwise_kernelILi8EZZZNS0_21clamp_min_kernel_cudaERNS_18TensorIteratorBaseERKN3c106ScalarEENKUlvE_clEvENKUlvE0_clEvEUlaE_St5arrayIPcLm2EEEEviT0_T1_
		.amdhsa_group_segment_fixed_size 0
		.amdhsa_private_segment_fixed_size 0
		.amdhsa_kernarg_size 24
		.amdhsa_user_sgpr_count 15
		.amdhsa_user_sgpr_dispatch_ptr 0
		.amdhsa_user_sgpr_queue_ptr 0
		.amdhsa_user_sgpr_kernarg_segment_ptr 1
		.amdhsa_user_sgpr_dispatch_id 0
		.amdhsa_user_sgpr_private_segment_size 0
		.amdhsa_wavefront_size32 1
		.amdhsa_uses_dynamic_stack 0
		.amdhsa_enable_private_segment 0
		.amdhsa_system_sgpr_workgroup_id_x 1
		.amdhsa_system_sgpr_workgroup_id_y 0
		.amdhsa_system_sgpr_workgroup_id_z 0
		.amdhsa_system_sgpr_workgroup_info 0
		.amdhsa_system_vgpr_workitem_id 0
		.amdhsa_next_free_vgpr 22
		.amdhsa_next_free_sgpr 16
		.amdhsa_reserve_vcc 1
		.amdhsa_float_round_mode_32 0
		.amdhsa_float_round_mode_16_64 0
		.amdhsa_float_denorm_mode_32 3
		.amdhsa_float_denorm_mode_16_64 3
		.amdhsa_dx10_clamp 1
		.amdhsa_ieee_mode 1
		.amdhsa_fp16_overflow 0
		.amdhsa_workgroup_processor_mode 1
		.amdhsa_memory_ordered 1
		.amdhsa_forward_progress 0
		.amdhsa_shared_vgpr_count 0
		.amdhsa_exception_fp_ieee_invalid_op 0
		.amdhsa_exception_fp_denorm_src 0
		.amdhsa_exception_fp_ieee_div_zero 0
		.amdhsa_exception_fp_ieee_overflow 0
		.amdhsa_exception_fp_ieee_underflow 0
		.amdhsa_exception_fp_ieee_inexact 0
		.amdhsa_exception_int_div_zero 0
	.end_amdhsa_kernel
	.section	.text._ZN2at6native29vectorized_elementwise_kernelILi8EZZZNS0_21clamp_min_kernel_cudaERNS_18TensorIteratorBaseERKN3c106ScalarEENKUlvE_clEvENKUlvE0_clEvEUlaE_St5arrayIPcLm2EEEEviT0_T1_,"axG",@progbits,_ZN2at6native29vectorized_elementwise_kernelILi8EZZZNS0_21clamp_min_kernel_cudaERNS_18TensorIteratorBaseERKN3c106ScalarEENKUlvE_clEvENKUlvE0_clEvEUlaE_St5arrayIPcLm2EEEEviT0_T1_,comdat
.Lfunc_end355:
	.size	_ZN2at6native29vectorized_elementwise_kernelILi8EZZZNS0_21clamp_min_kernel_cudaERNS_18TensorIteratorBaseERKN3c106ScalarEENKUlvE_clEvENKUlvE0_clEvEUlaE_St5arrayIPcLm2EEEEviT0_T1_, .Lfunc_end355-_ZN2at6native29vectorized_elementwise_kernelILi8EZZZNS0_21clamp_min_kernel_cudaERNS_18TensorIteratorBaseERKN3c106ScalarEENKUlvE_clEvENKUlvE0_clEvEUlaE_St5arrayIPcLm2EEEEviT0_T1_
                                        ; -- End function
	.section	.AMDGPU.csdata,"",@progbits
; Kernel info:
; codeLenInByte = 3480
; NumSgprs: 18
; NumVgprs: 22
; ScratchSize: 0
; MemoryBound: 0
; FloatMode: 240
; IeeeMode: 1
; LDSByteSize: 0 bytes/workgroup (compile time only)
; SGPRBlocks: 2
; VGPRBlocks: 2
; NumSGPRsForWavesPerEU: 18
; NumVGPRsForWavesPerEU: 22
; Occupancy: 16
; WaveLimiterHint : 1
; COMPUTE_PGM_RSRC2:SCRATCH_EN: 0
; COMPUTE_PGM_RSRC2:USER_SGPR: 15
; COMPUTE_PGM_RSRC2:TRAP_HANDLER: 0
; COMPUTE_PGM_RSRC2:TGID_X_EN: 1
; COMPUTE_PGM_RSRC2:TGID_Y_EN: 0
; COMPUTE_PGM_RSRC2:TGID_Z_EN: 0
; COMPUTE_PGM_RSRC2:TIDIG_COMP_CNT: 0
	.section	.text._ZN2at6native29vectorized_elementwise_kernelILi4EZZZNS0_21clamp_min_kernel_cudaERNS_18TensorIteratorBaseERKN3c106ScalarEENKUlvE_clEvENKUlvE0_clEvEUlaE_St5arrayIPcLm2EEEEviT0_T1_,"axG",@progbits,_ZN2at6native29vectorized_elementwise_kernelILi4EZZZNS0_21clamp_min_kernel_cudaERNS_18TensorIteratorBaseERKN3c106ScalarEENKUlvE_clEvENKUlvE0_clEvEUlaE_St5arrayIPcLm2EEEEviT0_T1_,comdat
	.globl	_ZN2at6native29vectorized_elementwise_kernelILi4EZZZNS0_21clamp_min_kernel_cudaERNS_18TensorIteratorBaseERKN3c106ScalarEENKUlvE_clEvENKUlvE0_clEvEUlaE_St5arrayIPcLm2EEEEviT0_T1_ ; -- Begin function _ZN2at6native29vectorized_elementwise_kernelILi4EZZZNS0_21clamp_min_kernel_cudaERNS_18TensorIteratorBaseERKN3c106ScalarEENKUlvE_clEvENKUlvE0_clEvEUlaE_St5arrayIPcLm2EEEEviT0_T1_
	.p2align	8
	.type	_ZN2at6native29vectorized_elementwise_kernelILi4EZZZNS0_21clamp_min_kernel_cudaERNS_18TensorIteratorBaseERKN3c106ScalarEENKUlvE_clEvENKUlvE0_clEvEUlaE_St5arrayIPcLm2EEEEviT0_T1_,@function
_ZN2at6native29vectorized_elementwise_kernelILi4EZZZNS0_21clamp_min_kernel_cudaERNS_18TensorIteratorBaseERKN3c106ScalarEENKUlvE_clEvENKUlvE0_clEvEUlaE_St5arrayIPcLm2EEEEviT0_T1_: ; @_ZN2at6native29vectorized_elementwise_kernelILi4EZZZNS0_21clamp_min_kernel_cudaERNS_18TensorIteratorBaseERKN3c106ScalarEENKUlvE_clEvENKUlvE0_clEvEUlaE_St5arrayIPcLm2EEEEviT0_T1_
; %bb.0:
	s_clause 0x1
	s_load_b64 s[2:3], s[0:1], 0x0
	s_load_b128 s[4:7], s[0:1], 0x8
	s_lshl_b32 s8, s15, 12
	s_mov_b32 s9, -1
	s_waitcnt lgkmcnt(0)
	s_sub_i32 s2, s2, s8
	s_delay_alu instid0(SALU_CYCLE_1)
	s_cmpk_gt_i32 s2, 0xfff
	s_cbranch_scc0 .LBB356_2
; %bb.1:
	v_lshlrev_b32_e32 v1, 2, v0
	s_ashr_i32 s9, s8, 31
	s_add_u32 s0, s6, s8
	s_addc_u32 s1, s7, s9
	s_clause 0x3
	global_load_b32 v2, v1, s[0:1]
	global_load_b32 v3, v1, s[0:1] offset:1024
	global_load_b32 v4, v1, s[0:1] offset:2048
	;; [unrolled: 1-line block ×3, first 2 shown]
	s_bfe_i32 s1, s3, 0x80000
	s_add_u32 s0, s4, s8
	s_waitcnt vmcnt(3)
	v_lshrrev_b32_e32 v8, 16, v2
	s_waitcnt vmcnt(2)
	v_lshrrev_b32_e32 v11, 16, v3
	;; [unrolled: 2-line block ×4, first 2 shown]
	v_lshrrev_b32_e32 v7, 8, v2
	v_bfe_i32 v8, v8, 0, 8
	v_lshrrev_b32_e32 v10, 8, v3
	v_bfe_i32 v11, v11, 0, 8
	v_lshrrev_b32_e32 v13, 8, v4
	v_bfe_i32 v14, v14, 0, 8
	v_lshrrev_b32_e32 v16, 8, v5
	v_bfe_i32 v17, v17, 0, 8
	v_bfe_i32 v6, v2, 0, 8
	v_lshrrev_b32_e32 v2, 24, v2
	v_bfe_i32 v7, v7, 0, 8
	v_max_i16 v8, v8, s1
	v_bfe_i32 v9, v3, 0, 8
	v_lshrrev_b32_e32 v3, 24, v3
	v_bfe_i32 v10, v10, 0, 8
	v_max_i16 v11, v11, s1
	;; [unrolled: 4-line block ×4, first 2 shown]
	v_bfe_i32 v2, v2, 0, 8
	v_max_i16 v7, v7, s1
	v_and_b32_e32 v8, 0xff, v8
	v_bfe_i32 v3, v3, 0, 8
	v_max_i16 v10, v10, s1
	v_and_b32_e32 v11, 0xff, v11
	v_bfe_i32 v4, v4, 0, 8
	v_max_i16 v13, v13, s1
	v_and_b32_e32 v14, 0xff, v14
	v_bfe_i32 v5, v5, 0, 8
	v_max_i16 v16, v16, s1
	v_and_b32_e32 v17, 0xff, v17
	v_max_i16 v6, v6, s1
	v_max_i16 v2, v2, s1
	v_and_b32_e32 v7, 0xff, v7
	v_lshlrev_b32_e32 v8, 16, v8
	v_max_i16 v9, v9, s1
	v_max_i16 v3, v3, s1
	v_and_b32_e32 v10, 0xff, v10
	v_lshlrev_b32_e32 v11, 16, v11
	;; [unrolled: 4-line block ×4, first 2 shown]
	v_and_b32_e32 v6, 0xff, v6
	v_lshlrev_b32_e32 v7, 8, v7
	v_lshl_or_b32 v2, v2, 24, v8
	v_and_b32_e32 v9, 0xff, v9
	v_lshlrev_b32_e32 v10, 8, v10
	v_lshl_or_b32 v3, v3, 24, v11
	;; [unrolled: 3-line block ×4, first 2 shown]
	v_or3_b32 v2, v2, v7, v6
	v_or3_b32 v3, v3, v10, v9
	;; [unrolled: 1-line block ×3, first 2 shown]
	s_addc_u32 s1, s5, s9
	v_or3_b32 v5, v5, v16, v15
	s_mov_b32 s9, 0
	s_clause 0x3
	global_store_b32 v1, v2, s[0:1]
	global_store_b32 v1, v3, s[0:1] offset:1024
	global_store_b32 v1, v4, s[0:1] offset:2048
	global_store_b32 v1, v5, s[0:1] offset:3072
.LBB356_2:
	s_and_not1_b32 vcc_lo, exec_lo, s9
	s_cbranch_vccnz .LBB356_52
; %bb.3:
	v_cmp_gt_i32_e32 vcc_lo, s2, v0
	v_dual_mov_b32 v4, 0 :: v_dual_mov_b32 v5, 0
	v_or_b32_e32 v1, s8, v0
	v_or_b32_e32 v2, 0x100, v0
	v_mov_b32_e32 v7, v0
	s_and_saveexec_b32 s0, vcc_lo
	s_cbranch_execz .LBB356_5
; %bb.4:
	global_load_u8 v5, v1, s[6:7]
	v_or_b32_e32 v7, 0x100, v0
.LBB356_5:
	s_or_b32 exec_lo, exec_lo, s0
	s_delay_alu instid0(SALU_CYCLE_1) | instskip(NEXT) | instid1(VALU_DEP_1)
	s_mov_b32 s1, exec_lo
	v_cmpx_gt_i32_e64 s2, v7
	s_cbranch_execz .LBB356_7
; %bb.6:
	v_add_nc_u32_e32 v3, s8, v7
	v_add_nc_u32_e32 v7, 0x100, v7
	global_load_u8 v4, v3, s[6:7]
.LBB356_7:
	s_or_b32 exec_lo, exec_lo, s1
	v_dual_mov_b32 v6, 0 :: v_dual_mov_b32 v9, 0
	s_mov_b32 s1, exec_lo
	v_cmpx_gt_i32_e64 s2, v7
	s_cbranch_execz .LBB356_9
; %bb.8:
	v_add_nc_u32_e32 v3, s8, v7
	v_add_nc_u32_e32 v7, 0x100, v7
	global_load_u8 v9, v3, s[6:7]
.LBB356_9:
	s_or_b32 exec_lo, exec_lo, s1
	s_delay_alu instid0(SALU_CYCLE_1)
	s_mov_b32 s1, exec_lo
	v_cmpx_gt_i32_e64 s2, v7
	s_cbranch_execz .LBB356_11
; %bb.10:
	v_add_nc_u32_e32 v3, s8, v7
	v_add_nc_u32_e32 v7, 0x100, v7
	global_load_u8 v6, v3, s[6:7]
.LBB356_11:
	s_or_b32 exec_lo, exec_lo, s1
	v_mov_b32_e32 v10, 0
	v_mov_b32_e32 v12, 0
	s_mov_b32 s1, exec_lo
	v_cmpx_gt_i32_e64 s2, v7
	s_cbranch_execz .LBB356_13
; %bb.12:
	v_add_nc_u32_e32 v3, s8, v7
	v_add_nc_u32_e32 v7, 0x100, v7
	global_load_u8 v12, v3, s[6:7]
.LBB356_13:
	s_or_b32 exec_lo, exec_lo, s1
	s_delay_alu instid0(SALU_CYCLE_1)
	s_mov_b32 s1, exec_lo
	v_cmpx_gt_i32_e64 s2, v7
	s_cbranch_execz .LBB356_15
; %bb.14:
	v_add_nc_u32_e32 v3, s8, v7
	v_add_nc_u32_e32 v7, 0x100, v7
	global_load_u8 v10, v3, s[6:7]
.LBB356_15:
	s_or_b32 exec_lo, exec_lo, s1
	v_mov_b32_e32 v3, 0
	v_mov_b32_e32 v13, 0
	s_mov_b32 s1, exec_lo
	v_cmpx_gt_i32_e64 s2, v7
	s_cbranch_execz .LBB356_17
; %bb.16:
	v_add_nc_u32_e32 v8, s8, v7
	v_add_nc_u32_e32 v7, 0x100, v7
	global_load_u8 v13, v8, s[6:7]
.LBB356_17:
	s_or_b32 exec_lo, exec_lo, s1
	s_delay_alu instid0(SALU_CYCLE_1)
	s_mov_b32 s1, exec_lo
	v_cmpx_gt_i32_e64 s2, v7
	s_cbranch_execz .LBB356_19
; %bb.18:
	v_add_nc_u32_e32 v3, s8, v7
	v_add_nc_u32_e32 v7, 0x100, v7
	global_load_u8 v3, v3, s[6:7]
.LBB356_19:
	s_or_b32 exec_lo, exec_lo, s1
	v_dual_mov_b32 v14, 0 :: v_dual_mov_b32 v15, 0
	s_mov_b32 s1, exec_lo
	v_cmpx_gt_i32_e64 s2, v7
	s_cbranch_execz .LBB356_21
; %bb.20:
	v_add_nc_u32_e32 v8, s8, v7
	v_add_nc_u32_e32 v7, 0x100, v7
	global_load_u8 v15, v8, s[6:7]
.LBB356_21:
	s_or_b32 exec_lo, exec_lo, s1
	s_delay_alu instid0(SALU_CYCLE_1)
	s_mov_b32 s1, exec_lo
	v_cmpx_gt_i32_e64 s2, v7
	s_cbranch_execz .LBB356_23
; %bb.22:
	v_add_nc_u32_e32 v8, s8, v7
	v_add_nc_u32_e32 v7, 0x100, v7
	global_load_u8 v14, v8, s[6:7]
.LBB356_23:
	s_or_b32 exec_lo, exec_lo, s1
	v_dual_mov_b32 v8, 0 :: v_dual_mov_b32 v11, 0
	s_mov_b32 s1, exec_lo
	v_cmpx_gt_i32_e64 s2, v7
	s_cbranch_execz .LBB356_25
; %bb.24:
	v_add_nc_u32_e32 v11, s8, v7
	v_add_nc_u32_e32 v7, 0x100, v7
	global_load_u8 v11, v11, s[6:7]
.LBB356_25:
	s_or_b32 exec_lo, exec_lo, s1
	s_delay_alu instid0(SALU_CYCLE_1)
	s_mov_b32 s1, exec_lo
	v_cmpx_gt_i32_e64 s2, v7
	s_cbranch_execz .LBB356_27
; %bb.26:
	v_add_nc_u32_e32 v8, s8, v7
	v_add_nc_u32_e32 v7, 0x100, v7
	global_load_u8 v8, v8, s[6:7]
.LBB356_27:
	s_or_b32 exec_lo, exec_lo, s1
	v_mov_b32_e32 v17, 0
	v_mov_b32_e32 v19, 0
	s_mov_b32 s1, exec_lo
	v_cmpx_gt_i32_e64 s2, v7
	s_cbranch_execz .LBB356_29
; %bb.28:
	v_add_nc_u32_e32 v16, s8, v7
	v_add_nc_u32_e32 v7, 0x100, v7
	global_load_u8 v19, v16, s[6:7]
.LBB356_29:
	s_or_b32 exec_lo, exec_lo, s1
	s_delay_alu instid0(SALU_CYCLE_1)
	s_mov_b32 s1, exec_lo
	v_cmpx_gt_i32_e64 s2, v7
	s_cbranch_execz .LBB356_31
; %bb.30:
	v_add_nc_u32_e32 v16, s8, v7
	v_add_nc_u32_e32 v7, 0x100, v7
	global_load_u8 v17, v16, s[6:7]
.LBB356_31:
	s_or_b32 exec_lo, exec_lo, s1
	v_mov_b32_e32 v16, 0
	v_mov_b32_e32 v18, 0
	s_mov_b32 s1, exec_lo
	v_cmpx_gt_i32_e64 s2, v7
	s_cbranch_execz .LBB356_33
; %bb.32:
	v_add_nc_u32_e32 v18, s8, v7
	v_add_nc_u32_e32 v7, 0x100, v7
	global_load_u8 v18, v18, s[6:7]
.LBB356_33:
	s_or_b32 exec_lo, exec_lo, s1
	s_delay_alu instid0(SALU_CYCLE_1)
	s_mov_b32 s1, exec_lo
	v_cmpx_gt_i32_e64 s2, v7
	s_cbranch_execz .LBB356_35
; %bb.34:
	v_add_nc_u32_e32 v7, s8, v7
	global_load_u8 v16, v7, s[6:7]
.LBB356_35:
	s_or_b32 exec_lo, exec_lo, s1
	s_waitcnt vmcnt(0)
	v_bfe_i32 v5, v5, 0, 8
	v_bfe_i32 v4, v4, 0, 8
	s_bfe_i32 s1, s3, 0x80000
	v_bfe_i32 v12, v12, 0, 8
	v_or_b32_e32 v20, 0x400, v0
	v_max_i16 v5, v5, s1
	v_max_i16 v4, v4, s1
	v_bfe_i32 v9, v9, 0, 8
	v_max_i16 v12, v12, s1
	v_bfe_i32 v10, v10, 0, 8
	v_and_b32_e32 v5, 0xff, v5
	v_lshlrev_b16 v4, 8, v4
	v_cmp_gt_i32_e64 s0, s2, v20
	v_perm_b32 v12, v12, 0, 0x3020104
	v_max_i16 v9, v9, s1
	v_max_i16 v10, v10, s1
	v_or_b32_e32 v4, v5, v4
	v_and_b32_e32 v5, 0xffff, v5
	v_cndmask_b32_e64 v12, 0, v12, s0
	v_cmp_gt_i32_e64 s0, s2, v2
	v_and_b32_e32 v9, 0xff, v9
	v_and_b32_e32 v4, 0xffff, v4
	v_or_b32_e32 v7, 0x200, v0
	v_or_b32_e32 v20, 0x500, v0
	v_bfe_i32 v6, v6, 0, 8
	v_lshlrev_b32_e32 v9, 16, v9
	v_cndmask_b32_e64 v4, v5, v4, s0
	v_lshlrev_b16 v5, 8, v10
	v_and_b32_e32 v10, 0xff, v12
	v_cmp_gt_i32_e64 s0, s2, v7
	v_bfe_i32 v13, v13, 0, 8
	v_or_b32_e32 v9, v4, v9
	v_bfe_i32 v7, v14, 0, 8
	v_or_b32_e32 v5, v10, v5
	v_max_i16 v6, v6, s1
	v_or_b32_e32 v21, 0x600, v0
	v_cndmask_b32_e64 v4, v4, v9, s0
	v_bfe_i32 v9, v19, 0, 8
	v_and_b32_e32 v5, 0xffff, v5
	v_cmp_gt_i32_e64 s0, s2, v20
	v_max_i16 v13, v13, s1
	v_lshrrev_b32_e32 v14, 16, v4
	v_max_i16 v9, v9, s1
	v_and_or_b32 v5, 0xffff0000, v12, v5
	v_lshlrev_b16 v6, 8, v6
	v_bfe_i32 v10, v15, 0, 8
	v_and_b32_e32 v14, 0xff, v14
	v_perm_b32 v9, v9, 0, 0x3020104
	v_cndmask_b32_e64 v5, v12, v5, s0
	v_or_b32_e32 v12, 0xc00, v0
	v_max_i16 v10, v10, s1
	v_or_b32_e32 v6, v14, v6
	v_bfe_i32 v14, v17, 0, 8
	v_perm_b32 v13, v5, v13, 0x7000504
	v_cmp_gt_i32_e64 s0, s2, v12
	v_max_i16 v7, v7, s1
	v_and_b32_e32 v10, 0xff, v10
	v_max_i16 v12, v14, s1
	v_bfe_i32 v11, v11, 0, 8
	v_cndmask_b32_e64 v9, 0, v9, s0
	v_cmp_gt_i32_e64 s0, s2, v21
	v_lshlrev_b16 v7, 8, v7
	v_lshlrev_b16 v12, 8, v12
	v_max_i16 v11, v11, s1
	v_or_b32_e32 v15, 0xd00, v0
	v_cndmask_b32_e64 v5, v5, v13, s0
	v_and_b32_e32 v13, 0xff, v9
	v_or_b32_e32 v7, v10, v7
	v_and_b32_e32 v10, 0xffff, v10
	v_and_b32_e32 v11, 0xff, v11
	v_lshrrev_b32_e32 v14, 16, v5
	v_or_b32_e32 v12, v13, v12
	v_and_b32_e32 v7, 0xffff, v7
	v_bfe_i32 v17, v18, 0, 8
	v_bfe_i32 v3, v3, 0, 8
	v_and_b32_e32 v13, 0xff, v14
	v_or_b32_e32 v14, 0x900, v0
	v_and_b32_e32 v12, 0xffff, v12
	v_bfe_i32 v8, v8, 0, 8
	v_max_i16 v3, v3, s1
	v_lshlrev_b32_e32 v6, 16, v6
	v_cmp_gt_i32_e64 s0, s2, v14
	v_and_or_b32 v12, 0xffff0000, v9, v12
	v_or_b32_e32 v14, 0xe00, v0
	v_lshlrev_b16 v3, 8, v3
	v_max_i16 v8, v8, s1
	v_cndmask_b32_e64 v7, v10, v7, s0
	v_cmp_gt_i32_e64 s0, s2, v15
	v_lshlrev_b32_e32 v10, 16, v11
	v_max_i16 v11, v17, s1
	v_or_b32_e32 v3, v13, v3
	v_lshlrev_b16 v8, 8, v8
	v_cndmask_b32_e64 v9, v9, v12, s0
	v_or_b32_e32 v12, 0xa00, v0
	v_or_b32_e32 v10, v7, v10
	;; [unrolled: 1-line block ×3, first 2 shown]
	v_and_or_b32 v6, 0xffff, v4, v6
	v_perm_b32 v11, v9, v11, 0x7000504
	v_cmp_gt_i32_e64 s0, s2, v12
	v_lshlrev_b32_e32 v3, 16, v3
	s_delay_alu instid0(VALU_DEP_2) | instskip(SKIP_2) | instid1(VALU_DEP_4)
	v_cndmask_b32_e64 v7, v7, v10, s0
	v_cmp_gt_i32_e64 s0, s2, v14
	v_bfe_i32 v10, v16, 0, 8
	v_and_or_b32 v3, 0xffff, v5, v3
	s_delay_alu instid0(VALU_DEP_3) | instskip(SKIP_1) | instid1(VALU_DEP_4)
	v_cndmask_b32_e64 v9, v9, v11, s0
	v_lshrrev_b32_e32 v11, 16, v7
	v_max_i16 v10, v10, s1
	v_cmp_gt_i32_e64 s0, s2, v13
	s_delay_alu instid0(VALU_DEP_4) | instskip(NEXT) | instid1(VALU_DEP_4)
	v_lshrrev_b32_e32 v12, 16, v9
	v_and_b32_e32 v11, 0xff, v11
	s_delay_alu instid0(VALU_DEP_4) | instskip(NEXT) | instid1(VALU_DEP_4)
	v_lshlrev_b16 v10, 8, v10
	v_cndmask_b32_e64 v6, v4, v6, s0
	s_delay_alu instid0(VALU_DEP_4) | instskip(NEXT) | instid1(VALU_DEP_4)
	v_and_b32_e32 v12, 0xff, v12
	v_or_b32_e32 v8, v11, v8
	v_or_b32_e32 v11, 0xb00, v0
	s_delay_alu instid0(VALU_DEP_3) | instskip(NEXT) | instid1(VALU_DEP_3)
	v_or_b32_e32 v10, v12, v10
	v_lshlrev_b32_e32 v4, 16, v8
	v_or_b32_e32 v8, 0x700, v0
	v_or_b32_e32 v12, 0xf00, v0
	s_delay_alu instid0(VALU_DEP_4) | instskip(NEXT) | instid1(VALU_DEP_4)
	v_lshlrev_b32_e32 v10, 16, v10
	v_and_or_b32 v4, 0xffff, v7, v4
	s_delay_alu instid0(VALU_DEP_4) | instskip(NEXT) | instid1(VALU_DEP_3)
	v_cmp_gt_i32_e64 s0, s2, v8
	v_and_or_b32 v10, 0xffff, v9, v10
	s_delay_alu instid0(VALU_DEP_2) | instskip(SKIP_1) | instid1(VALU_DEP_1)
	v_cndmask_b32_e64 v5, v5, v3, s0
	v_cmp_gt_i32_e64 s0, s2, v11
	v_cndmask_b32_e64 v4, v7, v4, s0
	v_cmp_gt_i32_e64 s0, s2, v12
	s_delay_alu instid0(VALU_DEP_1)
	v_cndmask_b32_e64 v3, v9, v10, s0
	s_and_saveexec_b32 s0, vcc_lo
	s_cbranch_execnz .LBB356_53
; %bb.36:
	s_or_b32 exec_lo, exec_lo, s0
	s_delay_alu instid0(SALU_CYCLE_1)
	s_mov_b32 s0, exec_lo
	v_cmpx_gt_i32_e64 s2, v0
	s_cbranch_execnz .LBB356_54
.LBB356_37:
	s_or_b32 exec_lo, exec_lo, s0
	s_delay_alu instid0(SALU_CYCLE_1)
	s_mov_b32 s0, exec_lo
	v_cmpx_gt_i32_e64 s2, v0
	s_cbranch_execnz .LBB356_55
.LBB356_38:
	s_or_b32 exec_lo, exec_lo, s0
	s_delay_alu instid0(SALU_CYCLE_1)
	s_mov_b32 s0, exec_lo
	v_cmpx_gt_i32_e64 s2, v0
	s_cbranch_execnz .LBB356_56
.LBB356_39:
	s_or_b32 exec_lo, exec_lo, s0
	s_delay_alu instid0(SALU_CYCLE_1)
	s_mov_b32 s0, exec_lo
	v_cmpx_gt_i32_e64 s2, v0
	s_cbranch_execnz .LBB356_57
.LBB356_40:
	s_or_b32 exec_lo, exec_lo, s0
	s_delay_alu instid0(SALU_CYCLE_1)
	s_mov_b32 s0, exec_lo
	v_cmpx_gt_i32_e64 s2, v0
	s_cbranch_execnz .LBB356_58
.LBB356_41:
	s_or_b32 exec_lo, exec_lo, s0
	s_delay_alu instid0(SALU_CYCLE_1)
	s_mov_b32 s0, exec_lo
	v_cmpx_gt_i32_e64 s2, v0
	s_cbranch_execnz .LBB356_59
.LBB356_42:
	s_or_b32 exec_lo, exec_lo, s0
	s_delay_alu instid0(SALU_CYCLE_1)
	s_mov_b32 s0, exec_lo
	v_cmpx_gt_i32_e64 s2, v0
	s_cbranch_execnz .LBB356_60
.LBB356_43:
	s_or_b32 exec_lo, exec_lo, s0
	s_delay_alu instid0(SALU_CYCLE_1)
	s_mov_b32 s0, exec_lo
	v_cmpx_gt_i32_e64 s2, v0
	s_cbranch_execnz .LBB356_61
.LBB356_44:
	s_or_b32 exec_lo, exec_lo, s0
	s_delay_alu instid0(SALU_CYCLE_1)
	s_mov_b32 s0, exec_lo
	v_cmpx_gt_i32_e64 s2, v0
	s_cbranch_execnz .LBB356_62
.LBB356_45:
	s_or_b32 exec_lo, exec_lo, s0
	s_delay_alu instid0(SALU_CYCLE_1)
	s_mov_b32 s0, exec_lo
	v_cmpx_gt_i32_e64 s2, v0
	s_cbranch_execnz .LBB356_63
.LBB356_46:
	s_or_b32 exec_lo, exec_lo, s0
	s_delay_alu instid0(SALU_CYCLE_1)
	s_mov_b32 s0, exec_lo
	v_cmpx_gt_i32_e64 s2, v0
	s_cbranch_execnz .LBB356_64
.LBB356_47:
	s_or_b32 exec_lo, exec_lo, s0
	s_delay_alu instid0(SALU_CYCLE_1)
	s_mov_b32 s0, exec_lo
	v_cmpx_gt_i32_e64 s2, v0
	s_cbranch_execnz .LBB356_65
.LBB356_48:
	s_or_b32 exec_lo, exec_lo, s0
	s_delay_alu instid0(SALU_CYCLE_1)
	s_mov_b32 s0, exec_lo
	v_cmpx_gt_i32_e64 s2, v0
	s_cbranch_execnz .LBB356_66
.LBB356_49:
	s_or_b32 exec_lo, exec_lo, s0
	s_delay_alu instid0(SALU_CYCLE_1)
	s_mov_b32 s0, exec_lo
	v_cmpx_gt_i32_e64 s2, v0
	s_cbranch_execnz .LBB356_67
.LBB356_50:
	s_or_b32 exec_lo, exec_lo, s0
	s_delay_alu instid0(SALU_CYCLE_1)
	s_mov_b32 s0, exec_lo
	v_cmpx_gt_i32_e64 s2, v0
	s_cbranch_execz .LBB356_52
.LBB356_51:
	v_add_nc_u32_e32 v0, s8, v0
	v_lshrrev_b32_e32 v1, 24, v3
	global_store_b8 v0, v1, s[4:5]
.LBB356_52:
	s_nop 0
	s_sendmsg sendmsg(MSG_DEALLOC_VGPRS)
	s_endpgm
.LBB356_53:
	v_mov_b32_e32 v0, v2
	global_store_b8 v1, v6, s[4:5]
	s_or_b32 exec_lo, exec_lo, s0
	s_delay_alu instid0(SALU_CYCLE_1)
	s_mov_b32 s0, exec_lo
	v_cmpx_gt_i32_e64 s2, v0
	s_cbranch_execz .LBB356_37
.LBB356_54:
	v_add_nc_u32_e32 v1, s8, v0
	v_lshrrev_b32_e32 v2, 8, v6
	v_add_nc_u32_e32 v0, 0x100, v0
	global_store_b8 v1, v2, s[4:5]
	s_or_b32 exec_lo, exec_lo, s0
	s_delay_alu instid0(SALU_CYCLE_1)
	s_mov_b32 s0, exec_lo
	v_cmpx_gt_i32_e64 s2, v0
	s_cbranch_execz .LBB356_38
.LBB356_55:
	v_add_nc_u32_e32 v1, s8, v0
	v_add_nc_u32_e32 v0, 0x100, v0
	global_store_d16_hi_b8 v1, v6, s[4:5]
	s_or_b32 exec_lo, exec_lo, s0
	s_delay_alu instid0(SALU_CYCLE_1)
	s_mov_b32 s0, exec_lo
	v_cmpx_gt_i32_e64 s2, v0
	s_cbranch_execz .LBB356_39
.LBB356_56:
	v_add_nc_u32_e32 v1, s8, v0
	v_lshrrev_b32_e32 v2, 24, v6
	v_add_nc_u32_e32 v0, 0x100, v0
	global_store_b8 v1, v2, s[4:5]
	s_or_b32 exec_lo, exec_lo, s0
	s_delay_alu instid0(SALU_CYCLE_1)
	s_mov_b32 s0, exec_lo
	v_cmpx_gt_i32_e64 s2, v0
	s_cbranch_execz .LBB356_40
.LBB356_57:
	v_add_nc_u32_e32 v1, s8, v0
	v_add_nc_u32_e32 v0, 0x100, v0
	global_store_b8 v1, v5, s[4:5]
	s_or_b32 exec_lo, exec_lo, s0
	s_delay_alu instid0(SALU_CYCLE_1)
	s_mov_b32 s0, exec_lo
	v_cmpx_gt_i32_e64 s2, v0
	s_cbranch_execz .LBB356_41
.LBB356_58:
	v_add_nc_u32_e32 v1, s8, v0
	v_lshrrev_b32_e32 v2, 8, v5
	v_add_nc_u32_e32 v0, 0x100, v0
	global_store_b8 v1, v2, s[4:5]
	s_or_b32 exec_lo, exec_lo, s0
	s_delay_alu instid0(SALU_CYCLE_1)
	s_mov_b32 s0, exec_lo
	v_cmpx_gt_i32_e64 s2, v0
	s_cbranch_execz .LBB356_42
.LBB356_59:
	v_add_nc_u32_e32 v1, s8, v0
	v_add_nc_u32_e32 v0, 0x100, v0
	global_store_d16_hi_b8 v1, v5, s[4:5]
	s_or_b32 exec_lo, exec_lo, s0
	s_delay_alu instid0(SALU_CYCLE_1)
	s_mov_b32 s0, exec_lo
	v_cmpx_gt_i32_e64 s2, v0
	s_cbranch_execz .LBB356_43
.LBB356_60:
	v_add_nc_u32_e32 v1, s8, v0
	v_lshrrev_b32_e32 v2, 24, v5
	v_add_nc_u32_e32 v0, 0x100, v0
	global_store_b8 v1, v2, s[4:5]
	s_or_b32 exec_lo, exec_lo, s0
	s_delay_alu instid0(SALU_CYCLE_1)
	s_mov_b32 s0, exec_lo
	v_cmpx_gt_i32_e64 s2, v0
	s_cbranch_execz .LBB356_44
.LBB356_61:
	v_add_nc_u32_e32 v1, s8, v0
	v_add_nc_u32_e32 v0, 0x100, v0
	global_store_b8 v1, v4, s[4:5]
	s_or_b32 exec_lo, exec_lo, s0
	s_delay_alu instid0(SALU_CYCLE_1)
	s_mov_b32 s0, exec_lo
	v_cmpx_gt_i32_e64 s2, v0
	s_cbranch_execz .LBB356_45
.LBB356_62:
	v_add_nc_u32_e32 v1, s8, v0
	v_lshrrev_b32_e32 v2, 8, v4
	v_add_nc_u32_e32 v0, 0x100, v0
	global_store_b8 v1, v2, s[4:5]
	s_or_b32 exec_lo, exec_lo, s0
	s_delay_alu instid0(SALU_CYCLE_1)
	s_mov_b32 s0, exec_lo
	v_cmpx_gt_i32_e64 s2, v0
	s_cbranch_execz .LBB356_46
.LBB356_63:
	v_add_nc_u32_e32 v1, s8, v0
	v_add_nc_u32_e32 v0, 0x100, v0
	global_store_d16_hi_b8 v1, v4, s[4:5]
	s_or_b32 exec_lo, exec_lo, s0
	s_delay_alu instid0(SALU_CYCLE_1)
	s_mov_b32 s0, exec_lo
	v_cmpx_gt_i32_e64 s2, v0
	s_cbranch_execz .LBB356_47
.LBB356_64:
	v_add_nc_u32_e32 v1, s8, v0
	v_lshrrev_b32_e32 v2, 24, v4
	v_add_nc_u32_e32 v0, 0x100, v0
	global_store_b8 v1, v2, s[4:5]
	s_or_b32 exec_lo, exec_lo, s0
	s_delay_alu instid0(SALU_CYCLE_1)
	s_mov_b32 s0, exec_lo
	v_cmpx_gt_i32_e64 s2, v0
	s_cbranch_execz .LBB356_48
.LBB356_65:
	v_add_nc_u32_e32 v1, s8, v0
	v_add_nc_u32_e32 v0, 0x100, v0
	global_store_b8 v1, v3, s[4:5]
	s_or_b32 exec_lo, exec_lo, s0
	s_delay_alu instid0(SALU_CYCLE_1)
	s_mov_b32 s0, exec_lo
	v_cmpx_gt_i32_e64 s2, v0
	s_cbranch_execz .LBB356_49
.LBB356_66:
	v_add_nc_u32_e32 v1, s8, v0
	v_lshrrev_b32_e32 v2, 8, v3
	v_add_nc_u32_e32 v0, 0x100, v0
	global_store_b8 v1, v2, s[4:5]
	s_or_b32 exec_lo, exec_lo, s0
	s_delay_alu instid0(SALU_CYCLE_1)
	s_mov_b32 s0, exec_lo
	v_cmpx_gt_i32_e64 s2, v0
	s_cbranch_execz .LBB356_50
.LBB356_67:
	v_add_nc_u32_e32 v1, s8, v0
	v_add_nc_u32_e32 v0, 0x100, v0
	global_store_d16_hi_b8 v1, v3, s[4:5]
	s_or_b32 exec_lo, exec_lo, s0
	s_delay_alu instid0(SALU_CYCLE_1)
	s_mov_b32 s0, exec_lo
	v_cmpx_gt_i32_e64 s2, v0
	s_cbranch_execnz .LBB356_51
	s_branch .LBB356_52
	.section	.rodata,"a",@progbits
	.p2align	6, 0x0
	.amdhsa_kernel _ZN2at6native29vectorized_elementwise_kernelILi4EZZZNS0_21clamp_min_kernel_cudaERNS_18TensorIteratorBaseERKN3c106ScalarEENKUlvE_clEvENKUlvE0_clEvEUlaE_St5arrayIPcLm2EEEEviT0_T1_
		.amdhsa_group_segment_fixed_size 0
		.amdhsa_private_segment_fixed_size 0
		.amdhsa_kernarg_size 24
		.amdhsa_user_sgpr_count 15
		.amdhsa_user_sgpr_dispatch_ptr 0
		.amdhsa_user_sgpr_queue_ptr 0
		.amdhsa_user_sgpr_kernarg_segment_ptr 1
		.amdhsa_user_sgpr_dispatch_id 0
		.amdhsa_user_sgpr_private_segment_size 0
		.amdhsa_wavefront_size32 1
		.amdhsa_uses_dynamic_stack 0
		.amdhsa_enable_private_segment 0
		.amdhsa_system_sgpr_workgroup_id_x 1
		.amdhsa_system_sgpr_workgroup_id_y 0
		.amdhsa_system_sgpr_workgroup_id_z 0
		.amdhsa_system_sgpr_workgroup_info 0
		.amdhsa_system_vgpr_workitem_id 0
		.amdhsa_next_free_vgpr 22
		.amdhsa_next_free_sgpr 16
		.amdhsa_reserve_vcc 1
		.amdhsa_float_round_mode_32 0
		.amdhsa_float_round_mode_16_64 0
		.amdhsa_float_denorm_mode_32 3
		.amdhsa_float_denorm_mode_16_64 3
		.amdhsa_dx10_clamp 1
		.amdhsa_ieee_mode 1
		.amdhsa_fp16_overflow 0
		.amdhsa_workgroup_processor_mode 1
		.amdhsa_memory_ordered 1
		.amdhsa_forward_progress 0
		.amdhsa_shared_vgpr_count 0
		.amdhsa_exception_fp_ieee_invalid_op 0
		.amdhsa_exception_fp_denorm_src 0
		.amdhsa_exception_fp_ieee_div_zero 0
		.amdhsa_exception_fp_ieee_overflow 0
		.amdhsa_exception_fp_ieee_underflow 0
		.amdhsa_exception_fp_ieee_inexact 0
		.amdhsa_exception_int_div_zero 0
	.end_amdhsa_kernel
	.section	.text._ZN2at6native29vectorized_elementwise_kernelILi4EZZZNS0_21clamp_min_kernel_cudaERNS_18TensorIteratorBaseERKN3c106ScalarEENKUlvE_clEvENKUlvE0_clEvEUlaE_St5arrayIPcLm2EEEEviT0_T1_,"axG",@progbits,_ZN2at6native29vectorized_elementwise_kernelILi4EZZZNS0_21clamp_min_kernel_cudaERNS_18TensorIteratorBaseERKN3c106ScalarEENKUlvE_clEvENKUlvE0_clEvEUlaE_St5arrayIPcLm2EEEEviT0_T1_,comdat
.Lfunc_end356:
	.size	_ZN2at6native29vectorized_elementwise_kernelILi4EZZZNS0_21clamp_min_kernel_cudaERNS_18TensorIteratorBaseERKN3c106ScalarEENKUlvE_clEvENKUlvE0_clEvEUlaE_St5arrayIPcLm2EEEEviT0_T1_, .Lfunc_end356-_ZN2at6native29vectorized_elementwise_kernelILi4EZZZNS0_21clamp_min_kernel_cudaERNS_18TensorIteratorBaseERKN3c106ScalarEENKUlvE_clEvENKUlvE0_clEvEUlaE_St5arrayIPcLm2EEEEviT0_T1_
                                        ; -- End function
	.section	.AMDGPU.csdata,"",@progbits
; Kernel info:
; codeLenInByte = 3520
; NumSgprs: 18
; NumVgprs: 22
; ScratchSize: 0
; MemoryBound: 0
; FloatMode: 240
; IeeeMode: 1
; LDSByteSize: 0 bytes/workgroup (compile time only)
; SGPRBlocks: 2
; VGPRBlocks: 2
; NumSGPRsForWavesPerEU: 18
; NumVGPRsForWavesPerEU: 22
; Occupancy: 16
; WaveLimiterHint : 1
; COMPUTE_PGM_RSRC2:SCRATCH_EN: 0
; COMPUTE_PGM_RSRC2:USER_SGPR: 15
; COMPUTE_PGM_RSRC2:TRAP_HANDLER: 0
; COMPUTE_PGM_RSRC2:TGID_X_EN: 1
; COMPUTE_PGM_RSRC2:TGID_Y_EN: 0
; COMPUTE_PGM_RSRC2:TGID_Z_EN: 0
; COMPUTE_PGM_RSRC2:TIDIG_COMP_CNT: 0
	.section	.text._ZN2at6native29vectorized_elementwise_kernelILi2EZZZNS0_21clamp_min_kernel_cudaERNS_18TensorIteratorBaseERKN3c106ScalarEENKUlvE_clEvENKUlvE0_clEvEUlaE_St5arrayIPcLm2EEEEviT0_T1_,"axG",@progbits,_ZN2at6native29vectorized_elementwise_kernelILi2EZZZNS0_21clamp_min_kernel_cudaERNS_18TensorIteratorBaseERKN3c106ScalarEENKUlvE_clEvENKUlvE0_clEvEUlaE_St5arrayIPcLm2EEEEviT0_T1_,comdat
	.globl	_ZN2at6native29vectorized_elementwise_kernelILi2EZZZNS0_21clamp_min_kernel_cudaERNS_18TensorIteratorBaseERKN3c106ScalarEENKUlvE_clEvENKUlvE0_clEvEUlaE_St5arrayIPcLm2EEEEviT0_T1_ ; -- Begin function _ZN2at6native29vectorized_elementwise_kernelILi2EZZZNS0_21clamp_min_kernel_cudaERNS_18TensorIteratorBaseERKN3c106ScalarEENKUlvE_clEvENKUlvE0_clEvEUlaE_St5arrayIPcLm2EEEEviT0_T1_
	.p2align	8
	.type	_ZN2at6native29vectorized_elementwise_kernelILi2EZZZNS0_21clamp_min_kernel_cudaERNS_18TensorIteratorBaseERKN3c106ScalarEENKUlvE_clEvENKUlvE0_clEvEUlaE_St5arrayIPcLm2EEEEviT0_T1_,@function
_ZN2at6native29vectorized_elementwise_kernelILi2EZZZNS0_21clamp_min_kernel_cudaERNS_18TensorIteratorBaseERKN3c106ScalarEENKUlvE_clEvENKUlvE0_clEvEUlaE_St5arrayIPcLm2EEEEviT0_T1_: ; @_ZN2at6native29vectorized_elementwise_kernelILi2EZZZNS0_21clamp_min_kernel_cudaERNS_18TensorIteratorBaseERKN3c106ScalarEENKUlvE_clEvENKUlvE0_clEvEUlaE_St5arrayIPcLm2EEEEviT0_T1_
; %bb.0:
	s_clause 0x1
	s_load_b64 s[2:3], s[0:1], 0x0
	s_load_b128 s[4:7], s[0:1], 0x8
	s_lshl_b32 s1, s15, 12
	s_mov_b32 s0, -1
	s_waitcnt lgkmcnt(0)
	s_sub_i32 s2, s2, s1
	s_delay_alu instid0(SALU_CYCLE_1)
	s_cmpk_gt_i32 s2, 0xfff
	s_cbranch_scc0 .LBB357_2
; %bb.1:
	v_lshlrev_b32_e32 v1, 1, v0
	s_ashr_i32 s10, s1, 31
	s_add_u32 s8, s6, s1
	s_addc_u32 s9, s7, s10
	s_bfe_i32 s11, s3, 0x80000
	s_clause 0x7
	global_load_u16 v2, v1, s[8:9]
	global_load_u16 v3, v1, s[8:9] offset:512
	global_load_u16 v4, v1, s[8:9] offset:1024
	;; [unrolled: 1-line block ×7, first 2 shown]
	s_add_u32 s8, s4, s1
	s_addc_u32 s9, s5, s10
	s_mov_b32 s0, 0
	s_waitcnt vmcnt(7)
	v_bfe_i32 v10, v2, 0, 8
	v_ashrrev_i16 v2, 8, v2
	s_waitcnt vmcnt(6)
	v_bfe_i32 v11, v3, 0, 8
	v_ashrrev_i16 v3, 8, v3
	s_waitcnt vmcnt(5)
	v_bfe_i32 v12, v4, 0, 8
	v_ashrrev_i16 v4, 8, v4
	s_waitcnt vmcnt(4)
	v_bfe_i32 v13, v5, 0, 8
	v_ashrrev_i16 v5, 8, v5
	s_waitcnt vmcnt(3)
	v_bfe_i32 v14, v6, 0, 8
	v_ashrrev_i16 v6, 8, v6
	s_waitcnt vmcnt(2)
	v_bfe_i32 v15, v7, 0, 8
	v_ashrrev_i16 v7, 8, v7
	s_waitcnt vmcnt(1)
	v_bfe_i32 v16, v8, 0, 8
	v_ashrrev_i16 v8, 8, v8
	s_waitcnt vmcnt(0)
	v_bfe_i32 v17, v9, 0, 8
	v_ashrrev_i16 v9, 8, v9
	v_max_i16 v10, v10, s11
	v_max_i16 v2, v2, s11
	;; [unrolled: 1-line block ×16, first 2 shown]
	v_lshlrev_b16 v2, 8, v2
	v_and_b32_e32 v10, 0xff, v10
	v_lshlrev_b16 v3, 8, v3
	v_and_b32_e32 v11, 0xff, v11
	;; [unrolled: 2-line block ×8, first 2 shown]
	v_or_b32_e32 v2, v2, v10
	v_or_b32_e32 v3, v3, v11
	;; [unrolled: 1-line block ×8, first 2 shown]
	s_clause 0x7
	global_store_b16 v1, v2, s[8:9]
	global_store_b16 v1, v3, s[8:9] offset:512
	global_store_b16 v1, v4, s[8:9] offset:1024
	;; [unrolled: 1-line block ×7, first 2 shown]
.LBB357_2:
	s_and_not1_b32 vcc_lo, exec_lo, s0
	s_cbranch_vccnz .LBB357_52
; %bb.3:
	v_cmp_gt_i32_e32 vcc_lo, s2, v0
	v_dual_mov_b32 v4, 0 :: v_dual_mov_b32 v5, 0
	v_or_b32_e32 v1, s1, v0
	v_or_b32_e32 v2, 0x100, v0
	v_mov_b32_e32 v7, v0
	s_and_saveexec_b32 s0, vcc_lo
	s_cbranch_execz .LBB357_5
; %bb.4:
	global_load_u8 v5, v1, s[6:7]
	v_or_b32_e32 v7, 0x100, v0
.LBB357_5:
	s_or_b32 exec_lo, exec_lo, s0
	s_delay_alu instid0(SALU_CYCLE_1) | instskip(NEXT) | instid1(VALU_DEP_1)
	s_mov_b32 s8, exec_lo
	v_cmpx_gt_i32_e64 s2, v7
	s_cbranch_execz .LBB357_7
; %bb.6:
	v_add_nc_u32_e32 v3, s1, v7
	v_add_nc_u32_e32 v7, 0x100, v7
	global_load_u8 v4, v3, s[6:7]
.LBB357_7:
	s_or_b32 exec_lo, exec_lo, s8
	v_dual_mov_b32 v6, 0 :: v_dual_mov_b32 v9, 0
	s_mov_b32 s8, exec_lo
	v_cmpx_gt_i32_e64 s2, v7
	s_cbranch_execz .LBB357_9
; %bb.8:
	v_add_nc_u32_e32 v3, s1, v7
	v_add_nc_u32_e32 v7, 0x100, v7
	global_load_u8 v9, v3, s[6:7]
.LBB357_9:
	s_or_b32 exec_lo, exec_lo, s8
	s_delay_alu instid0(SALU_CYCLE_1)
	s_mov_b32 s8, exec_lo
	v_cmpx_gt_i32_e64 s2, v7
	s_cbranch_execz .LBB357_11
; %bb.10:
	v_add_nc_u32_e32 v3, s1, v7
	v_add_nc_u32_e32 v7, 0x100, v7
	global_load_u8 v6, v3, s[6:7]
.LBB357_11:
	s_or_b32 exec_lo, exec_lo, s8
	v_mov_b32_e32 v10, 0
	v_mov_b32_e32 v12, 0
	s_mov_b32 s8, exec_lo
	v_cmpx_gt_i32_e64 s2, v7
	s_cbranch_execz .LBB357_13
; %bb.12:
	v_add_nc_u32_e32 v3, s1, v7
	v_add_nc_u32_e32 v7, 0x100, v7
	global_load_u8 v12, v3, s[6:7]
.LBB357_13:
	s_or_b32 exec_lo, exec_lo, s8
	s_delay_alu instid0(SALU_CYCLE_1)
	s_mov_b32 s8, exec_lo
	v_cmpx_gt_i32_e64 s2, v7
	s_cbranch_execz .LBB357_15
; %bb.14:
	v_add_nc_u32_e32 v3, s1, v7
	v_add_nc_u32_e32 v7, 0x100, v7
	global_load_u8 v10, v3, s[6:7]
.LBB357_15:
	s_or_b32 exec_lo, exec_lo, s8
	v_mov_b32_e32 v3, 0
	v_mov_b32_e32 v13, 0
	s_mov_b32 s8, exec_lo
	v_cmpx_gt_i32_e64 s2, v7
	s_cbranch_execz .LBB357_17
; %bb.16:
	v_add_nc_u32_e32 v8, s1, v7
	v_add_nc_u32_e32 v7, 0x100, v7
	global_load_u8 v13, v8, s[6:7]
.LBB357_17:
	s_or_b32 exec_lo, exec_lo, s8
	s_delay_alu instid0(SALU_CYCLE_1)
	s_mov_b32 s8, exec_lo
	v_cmpx_gt_i32_e64 s2, v7
	s_cbranch_execz .LBB357_19
; %bb.18:
	v_add_nc_u32_e32 v3, s1, v7
	v_add_nc_u32_e32 v7, 0x100, v7
	global_load_u8 v3, v3, s[6:7]
.LBB357_19:
	s_or_b32 exec_lo, exec_lo, s8
	v_dual_mov_b32 v14, 0 :: v_dual_mov_b32 v15, 0
	s_mov_b32 s8, exec_lo
	v_cmpx_gt_i32_e64 s2, v7
	s_cbranch_execz .LBB357_21
; %bb.20:
	v_add_nc_u32_e32 v8, s1, v7
	v_add_nc_u32_e32 v7, 0x100, v7
	global_load_u8 v15, v8, s[6:7]
.LBB357_21:
	s_or_b32 exec_lo, exec_lo, s8
	s_delay_alu instid0(SALU_CYCLE_1)
	s_mov_b32 s8, exec_lo
	v_cmpx_gt_i32_e64 s2, v7
	s_cbranch_execz .LBB357_23
; %bb.22:
	v_add_nc_u32_e32 v8, s1, v7
	v_add_nc_u32_e32 v7, 0x100, v7
	global_load_u8 v14, v8, s[6:7]
.LBB357_23:
	s_or_b32 exec_lo, exec_lo, s8
	v_dual_mov_b32 v8, 0 :: v_dual_mov_b32 v11, 0
	s_mov_b32 s8, exec_lo
	v_cmpx_gt_i32_e64 s2, v7
	s_cbranch_execz .LBB357_25
; %bb.24:
	v_add_nc_u32_e32 v11, s1, v7
	v_add_nc_u32_e32 v7, 0x100, v7
	global_load_u8 v11, v11, s[6:7]
.LBB357_25:
	s_or_b32 exec_lo, exec_lo, s8
	s_delay_alu instid0(SALU_CYCLE_1)
	s_mov_b32 s8, exec_lo
	v_cmpx_gt_i32_e64 s2, v7
	s_cbranch_execz .LBB357_27
; %bb.26:
	v_add_nc_u32_e32 v8, s1, v7
	v_add_nc_u32_e32 v7, 0x100, v7
	global_load_u8 v8, v8, s[6:7]
.LBB357_27:
	s_or_b32 exec_lo, exec_lo, s8
	v_mov_b32_e32 v17, 0
	v_mov_b32_e32 v19, 0
	s_mov_b32 s8, exec_lo
	v_cmpx_gt_i32_e64 s2, v7
	s_cbranch_execz .LBB357_29
; %bb.28:
	v_add_nc_u32_e32 v16, s1, v7
	v_add_nc_u32_e32 v7, 0x100, v7
	global_load_u8 v19, v16, s[6:7]
.LBB357_29:
	s_or_b32 exec_lo, exec_lo, s8
	s_delay_alu instid0(SALU_CYCLE_1)
	s_mov_b32 s8, exec_lo
	v_cmpx_gt_i32_e64 s2, v7
	s_cbranch_execz .LBB357_31
; %bb.30:
	v_add_nc_u32_e32 v16, s1, v7
	v_add_nc_u32_e32 v7, 0x100, v7
	global_load_u8 v17, v16, s[6:7]
.LBB357_31:
	s_or_b32 exec_lo, exec_lo, s8
	v_mov_b32_e32 v16, 0
	v_mov_b32_e32 v18, 0
	s_mov_b32 s8, exec_lo
	v_cmpx_gt_i32_e64 s2, v7
	s_cbranch_execz .LBB357_33
; %bb.32:
	v_add_nc_u32_e32 v18, s1, v7
	v_add_nc_u32_e32 v7, 0x100, v7
	global_load_u8 v18, v18, s[6:7]
.LBB357_33:
	s_or_b32 exec_lo, exec_lo, s8
	s_delay_alu instid0(SALU_CYCLE_1)
	s_mov_b32 s8, exec_lo
	v_cmpx_gt_i32_e64 s2, v7
	s_cbranch_execz .LBB357_35
; %bb.34:
	v_add_nc_u32_e32 v7, s1, v7
	global_load_u8 v16, v7, s[6:7]
.LBB357_35:
	s_or_b32 exec_lo, exec_lo, s8
	s_waitcnt vmcnt(0)
	v_bfe_i32 v5, v5, 0, 8
	v_bfe_i32 v4, v4, 0, 8
	s_bfe_i32 s3, s3, 0x80000
	v_bfe_i32 v12, v12, 0, 8
	v_or_b32_e32 v20, 0x400, v0
	v_max_i16 v5, v5, s3
	v_max_i16 v4, v4, s3
	v_bfe_i32 v9, v9, 0, 8
	v_max_i16 v12, v12, s3
	v_bfe_i32 v10, v10, 0, 8
	v_and_b32_e32 v5, 0xff, v5
	v_lshlrev_b16 v4, 8, v4
	v_cmp_gt_i32_e64 s0, s2, v20
	v_perm_b32 v12, v12, 0, 0x3020104
	v_max_i16 v9, v9, s3
	v_max_i16 v10, v10, s3
	v_or_b32_e32 v4, v5, v4
	v_and_b32_e32 v5, 0xffff, v5
	v_cndmask_b32_e64 v12, 0, v12, s0
	v_cmp_gt_i32_e64 s0, s2, v2
	v_and_b32_e32 v9, 0xff, v9
	v_and_b32_e32 v4, 0xffff, v4
	v_or_b32_e32 v7, 0x200, v0
	v_or_b32_e32 v20, 0x500, v0
	v_bfe_i32 v6, v6, 0, 8
	v_lshlrev_b32_e32 v9, 16, v9
	v_cndmask_b32_e64 v4, v5, v4, s0
	v_lshlrev_b16 v5, 8, v10
	v_and_b32_e32 v10, 0xff, v12
	v_cmp_gt_i32_e64 s0, s2, v7
	v_bfe_i32 v13, v13, 0, 8
	v_or_b32_e32 v9, v4, v9
	v_bfe_i32 v7, v14, 0, 8
	v_or_b32_e32 v5, v10, v5
	v_max_i16 v6, v6, s3
	v_or_b32_e32 v21, 0x600, v0
	v_cndmask_b32_e64 v4, v4, v9, s0
	v_bfe_i32 v9, v19, 0, 8
	v_and_b32_e32 v5, 0xffff, v5
	v_cmp_gt_i32_e64 s0, s2, v20
	v_max_i16 v13, v13, s3
	v_lshrrev_b32_e32 v14, 16, v4
	v_max_i16 v9, v9, s3
	v_and_or_b32 v5, 0xffff0000, v12, v5
	v_lshlrev_b16 v6, 8, v6
	v_bfe_i32 v10, v15, 0, 8
	v_and_b32_e32 v14, 0xff, v14
	v_perm_b32 v9, v9, 0, 0x3020104
	v_cndmask_b32_e64 v5, v12, v5, s0
	v_or_b32_e32 v12, 0xc00, v0
	v_max_i16 v10, v10, s3
	v_or_b32_e32 v6, v14, v6
	v_bfe_i32 v14, v17, 0, 8
	v_perm_b32 v13, v5, v13, 0x7000504
	v_cmp_gt_i32_e64 s0, s2, v12
	v_max_i16 v7, v7, s3
	v_and_b32_e32 v10, 0xff, v10
	v_max_i16 v12, v14, s3
	v_bfe_i32 v11, v11, 0, 8
	v_cndmask_b32_e64 v9, 0, v9, s0
	v_cmp_gt_i32_e64 s0, s2, v21
	v_lshlrev_b16 v7, 8, v7
	v_lshlrev_b16 v12, 8, v12
	v_max_i16 v11, v11, s3
	v_or_b32_e32 v15, 0xd00, v0
	v_cndmask_b32_e64 v5, v5, v13, s0
	v_and_b32_e32 v13, 0xff, v9
	v_or_b32_e32 v7, v10, v7
	v_and_b32_e32 v10, 0xffff, v10
	v_and_b32_e32 v11, 0xff, v11
	v_lshrrev_b32_e32 v14, 16, v5
	v_or_b32_e32 v12, v13, v12
	v_and_b32_e32 v7, 0xffff, v7
	v_bfe_i32 v17, v18, 0, 8
	v_bfe_i32 v3, v3, 0, 8
	v_and_b32_e32 v13, 0xff, v14
	v_or_b32_e32 v14, 0x900, v0
	v_and_b32_e32 v12, 0xffff, v12
	v_bfe_i32 v8, v8, 0, 8
	v_max_i16 v3, v3, s3
	v_lshlrev_b32_e32 v6, 16, v6
	v_cmp_gt_i32_e64 s0, s2, v14
	v_and_or_b32 v12, 0xffff0000, v9, v12
	v_or_b32_e32 v14, 0xe00, v0
	v_lshlrev_b16 v3, 8, v3
	v_max_i16 v8, v8, s3
	v_cndmask_b32_e64 v7, v10, v7, s0
	v_cmp_gt_i32_e64 s0, s2, v15
	v_lshlrev_b32_e32 v10, 16, v11
	v_max_i16 v11, v17, s3
	v_or_b32_e32 v3, v13, v3
	v_lshlrev_b16 v8, 8, v8
	v_cndmask_b32_e64 v9, v9, v12, s0
	v_or_b32_e32 v12, 0xa00, v0
	v_or_b32_e32 v10, v7, v10
	v_or_b32_e32 v13, 0x300, v0
	v_and_or_b32 v6, 0xffff, v4, v6
	v_perm_b32 v11, v9, v11, 0x7000504
	v_cmp_gt_i32_e64 s0, s2, v12
	v_lshlrev_b32_e32 v3, 16, v3
	s_delay_alu instid0(VALU_DEP_2) | instskip(SKIP_2) | instid1(VALU_DEP_4)
	v_cndmask_b32_e64 v7, v7, v10, s0
	v_cmp_gt_i32_e64 s0, s2, v14
	v_bfe_i32 v10, v16, 0, 8
	v_and_or_b32 v3, 0xffff, v5, v3
	s_delay_alu instid0(VALU_DEP_3) | instskip(SKIP_1) | instid1(VALU_DEP_4)
	v_cndmask_b32_e64 v9, v9, v11, s0
	v_lshrrev_b32_e32 v11, 16, v7
	v_max_i16 v10, v10, s3
	v_cmp_gt_i32_e64 s0, s2, v13
	s_delay_alu instid0(VALU_DEP_4) | instskip(NEXT) | instid1(VALU_DEP_4)
	v_lshrrev_b32_e32 v12, 16, v9
	v_and_b32_e32 v11, 0xff, v11
	s_delay_alu instid0(VALU_DEP_4) | instskip(NEXT) | instid1(VALU_DEP_4)
	v_lshlrev_b16 v10, 8, v10
	v_cndmask_b32_e64 v6, v4, v6, s0
	s_delay_alu instid0(VALU_DEP_4) | instskip(NEXT) | instid1(VALU_DEP_4)
	v_and_b32_e32 v12, 0xff, v12
	v_or_b32_e32 v8, v11, v8
	v_or_b32_e32 v11, 0xb00, v0
	s_delay_alu instid0(VALU_DEP_3) | instskip(NEXT) | instid1(VALU_DEP_3)
	v_or_b32_e32 v10, v12, v10
	v_lshlrev_b32_e32 v4, 16, v8
	v_or_b32_e32 v8, 0x700, v0
	v_or_b32_e32 v12, 0xf00, v0
	s_delay_alu instid0(VALU_DEP_4) | instskip(NEXT) | instid1(VALU_DEP_4)
	v_lshlrev_b32_e32 v10, 16, v10
	v_and_or_b32 v4, 0xffff, v7, v4
	s_delay_alu instid0(VALU_DEP_4) | instskip(NEXT) | instid1(VALU_DEP_3)
	v_cmp_gt_i32_e64 s0, s2, v8
	v_and_or_b32 v10, 0xffff, v9, v10
	s_delay_alu instid0(VALU_DEP_2) | instskip(SKIP_1) | instid1(VALU_DEP_1)
	v_cndmask_b32_e64 v5, v5, v3, s0
	v_cmp_gt_i32_e64 s0, s2, v11
	v_cndmask_b32_e64 v4, v7, v4, s0
	v_cmp_gt_i32_e64 s0, s2, v12
	s_delay_alu instid0(VALU_DEP_1)
	v_cndmask_b32_e64 v3, v9, v10, s0
	s_and_saveexec_b32 s0, vcc_lo
	s_cbranch_execnz .LBB357_53
; %bb.36:
	s_or_b32 exec_lo, exec_lo, s0
	s_delay_alu instid0(SALU_CYCLE_1)
	s_mov_b32 s0, exec_lo
	v_cmpx_gt_i32_e64 s2, v0
	s_cbranch_execnz .LBB357_54
.LBB357_37:
	s_or_b32 exec_lo, exec_lo, s0
	s_delay_alu instid0(SALU_CYCLE_1)
	s_mov_b32 s0, exec_lo
	v_cmpx_gt_i32_e64 s2, v0
	s_cbranch_execnz .LBB357_55
.LBB357_38:
	s_or_b32 exec_lo, exec_lo, s0
	s_delay_alu instid0(SALU_CYCLE_1)
	s_mov_b32 s0, exec_lo
	v_cmpx_gt_i32_e64 s2, v0
	s_cbranch_execnz .LBB357_56
.LBB357_39:
	s_or_b32 exec_lo, exec_lo, s0
	s_delay_alu instid0(SALU_CYCLE_1)
	s_mov_b32 s0, exec_lo
	v_cmpx_gt_i32_e64 s2, v0
	s_cbranch_execnz .LBB357_57
.LBB357_40:
	s_or_b32 exec_lo, exec_lo, s0
	s_delay_alu instid0(SALU_CYCLE_1)
	s_mov_b32 s0, exec_lo
	v_cmpx_gt_i32_e64 s2, v0
	s_cbranch_execnz .LBB357_58
.LBB357_41:
	s_or_b32 exec_lo, exec_lo, s0
	s_delay_alu instid0(SALU_CYCLE_1)
	s_mov_b32 s0, exec_lo
	v_cmpx_gt_i32_e64 s2, v0
	s_cbranch_execnz .LBB357_59
.LBB357_42:
	s_or_b32 exec_lo, exec_lo, s0
	s_delay_alu instid0(SALU_CYCLE_1)
	s_mov_b32 s0, exec_lo
	v_cmpx_gt_i32_e64 s2, v0
	s_cbranch_execnz .LBB357_60
.LBB357_43:
	s_or_b32 exec_lo, exec_lo, s0
	s_delay_alu instid0(SALU_CYCLE_1)
	s_mov_b32 s0, exec_lo
	v_cmpx_gt_i32_e64 s2, v0
	s_cbranch_execnz .LBB357_61
.LBB357_44:
	s_or_b32 exec_lo, exec_lo, s0
	s_delay_alu instid0(SALU_CYCLE_1)
	s_mov_b32 s0, exec_lo
	v_cmpx_gt_i32_e64 s2, v0
	s_cbranch_execnz .LBB357_62
.LBB357_45:
	s_or_b32 exec_lo, exec_lo, s0
	s_delay_alu instid0(SALU_CYCLE_1)
	s_mov_b32 s0, exec_lo
	v_cmpx_gt_i32_e64 s2, v0
	s_cbranch_execnz .LBB357_63
.LBB357_46:
	s_or_b32 exec_lo, exec_lo, s0
	s_delay_alu instid0(SALU_CYCLE_1)
	s_mov_b32 s0, exec_lo
	v_cmpx_gt_i32_e64 s2, v0
	s_cbranch_execnz .LBB357_64
.LBB357_47:
	s_or_b32 exec_lo, exec_lo, s0
	s_delay_alu instid0(SALU_CYCLE_1)
	s_mov_b32 s0, exec_lo
	v_cmpx_gt_i32_e64 s2, v0
	s_cbranch_execnz .LBB357_65
.LBB357_48:
	s_or_b32 exec_lo, exec_lo, s0
	s_delay_alu instid0(SALU_CYCLE_1)
	s_mov_b32 s0, exec_lo
	v_cmpx_gt_i32_e64 s2, v0
	s_cbranch_execnz .LBB357_66
.LBB357_49:
	s_or_b32 exec_lo, exec_lo, s0
	s_delay_alu instid0(SALU_CYCLE_1)
	s_mov_b32 s0, exec_lo
	v_cmpx_gt_i32_e64 s2, v0
	s_cbranch_execnz .LBB357_67
.LBB357_50:
	s_or_b32 exec_lo, exec_lo, s0
	s_delay_alu instid0(SALU_CYCLE_1)
	s_mov_b32 s0, exec_lo
	v_cmpx_gt_i32_e64 s2, v0
	s_cbranch_execz .LBB357_52
.LBB357_51:
	v_add_nc_u32_e32 v0, s1, v0
	v_lshrrev_b32_e32 v1, 24, v3
	global_store_b8 v0, v1, s[4:5]
.LBB357_52:
	s_nop 0
	s_sendmsg sendmsg(MSG_DEALLOC_VGPRS)
	s_endpgm
.LBB357_53:
	v_mov_b32_e32 v0, v2
	global_store_b8 v1, v6, s[4:5]
	s_or_b32 exec_lo, exec_lo, s0
	s_delay_alu instid0(SALU_CYCLE_1)
	s_mov_b32 s0, exec_lo
	v_cmpx_gt_i32_e64 s2, v0
	s_cbranch_execz .LBB357_37
.LBB357_54:
	v_add_nc_u32_e32 v1, s1, v0
	v_lshrrev_b32_e32 v2, 8, v6
	v_add_nc_u32_e32 v0, 0x100, v0
	global_store_b8 v1, v2, s[4:5]
	s_or_b32 exec_lo, exec_lo, s0
	s_delay_alu instid0(SALU_CYCLE_1)
	s_mov_b32 s0, exec_lo
	v_cmpx_gt_i32_e64 s2, v0
	s_cbranch_execz .LBB357_38
.LBB357_55:
	v_add_nc_u32_e32 v1, s1, v0
	v_add_nc_u32_e32 v0, 0x100, v0
	global_store_d16_hi_b8 v1, v6, s[4:5]
	s_or_b32 exec_lo, exec_lo, s0
	s_delay_alu instid0(SALU_CYCLE_1)
	s_mov_b32 s0, exec_lo
	v_cmpx_gt_i32_e64 s2, v0
	s_cbranch_execz .LBB357_39
.LBB357_56:
	v_add_nc_u32_e32 v1, s1, v0
	v_lshrrev_b32_e32 v2, 24, v6
	v_add_nc_u32_e32 v0, 0x100, v0
	global_store_b8 v1, v2, s[4:5]
	s_or_b32 exec_lo, exec_lo, s0
	s_delay_alu instid0(SALU_CYCLE_1)
	s_mov_b32 s0, exec_lo
	v_cmpx_gt_i32_e64 s2, v0
	s_cbranch_execz .LBB357_40
.LBB357_57:
	v_add_nc_u32_e32 v1, s1, v0
	v_add_nc_u32_e32 v0, 0x100, v0
	global_store_b8 v1, v5, s[4:5]
	s_or_b32 exec_lo, exec_lo, s0
	s_delay_alu instid0(SALU_CYCLE_1)
	s_mov_b32 s0, exec_lo
	v_cmpx_gt_i32_e64 s2, v0
	s_cbranch_execz .LBB357_41
.LBB357_58:
	v_add_nc_u32_e32 v1, s1, v0
	v_lshrrev_b32_e32 v2, 8, v5
	v_add_nc_u32_e32 v0, 0x100, v0
	global_store_b8 v1, v2, s[4:5]
	s_or_b32 exec_lo, exec_lo, s0
	s_delay_alu instid0(SALU_CYCLE_1)
	s_mov_b32 s0, exec_lo
	v_cmpx_gt_i32_e64 s2, v0
	s_cbranch_execz .LBB357_42
.LBB357_59:
	v_add_nc_u32_e32 v1, s1, v0
	v_add_nc_u32_e32 v0, 0x100, v0
	global_store_d16_hi_b8 v1, v5, s[4:5]
	s_or_b32 exec_lo, exec_lo, s0
	s_delay_alu instid0(SALU_CYCLE_1)
	s_mov_b32 s0, exec_lo
	v_cmpx_gt_i32_e64 s2, v0
	s_cbranch_execz .LBB357_43
.LBB357_60:
	v_add_nc_u32_e32 v1, s1, v0
	v_lshrrev_b32_e32 v2, 24, v5
	v_add_nc_u32_e32 v0, 0x100, v0
	global_store_b8 v1, v2, s[4:5]
	s_or_b32 exec_lo, exec_lo, s0
	s_delay_alu instid0(SALU_CYCLE_1)
	s_mov_b32 s0, exec_lo
	v_cmpx_gt_i32_e64 s2, v0
	s_cbranch_execz .LBB357_44
.LBB357_61:
	v_add_nc_u32_e32 v1, s1, v0
	v_add_nc_u32_e32 v0, 0x100, v0
	global_store_b8 v1, v4, s[4:5]
	s_or_b32 exec_lo, exec_lo, s0
	s_delay_alu instid0(SALU_CYCLE_1)
	s_mov_b32 s0, exec_lo
	v_cmpx_gt_i32_e64 s2, v0
	s_cbranch_execz .LBB357_45
.LBB357_62:
	v_add_nc_u32_e32 v1, s1, v0
	v_lshrrev_b32_e32 v2, 8, v4
	v_add_nc_u32_e32 v0, 0x100, v0
	global_store_b8 v1, v2, s[4:5]
	s_or_b32 exec_lo, exec_lo, s0
	s_delay_alu instid0(SALU_CYCLE_1)
	s_mov_b32 s0, exec_lo
	v_cmpx_gt_i32_e64 s2, v0
	s_cbranch_execz .LBB357_46
.LBB357_63:
	v_add_nc_u32_e32 v1, s1, v0
	v_add_nc_u32_e32 v0, 0x100, v0
	global_store_d16_hi_b8 v1, v4, s[4:5]
	s_or_b32 exec_lo, exec_lo, s0
	s_delay_alu instid0(SALU_CYCLE_1)
	s_mov_b32 s0, exec_lo
	v_cmpx_gt_i32_e64 s2, v0
	s_cbranch_execz .LBB357_47
.LBB357_64:
	v_add_nc_u32_e32 v1, s1, v0
	v_lshrrev_b32_e32 v2, 24, v4
	v_add_nc_u32_e32 v0, 0x100, v0
	global_store_b8 v1, v2, s[4:5]
	s_or_b32 exec_lo, exec_lo, s0
	s_delay_alu instid0(SALU_CYCLE_1)
	s_mov_b32 s0, exec_lo
	v_cmpx_gt_i32_e64 s2, v0
	s_cbranch_execz .LBB357_48
.LBB357_65:
	v_add_nc_u32_e32 v1, s1, v0
	v_add_nc_u32_e32 v0, 0x100, v0
	global_store_b8 v1, v3, s[4:5]
	s_or_b32 exec_lo, exec_lo, s0
	s_delay_alu instid0(SALU_CYCLE_1)
	s_mov_b32 s0, exec_lo
	v_cmpx_gt_i32_e64 s2, v0
	s_cbranch_execz .LBB357_49
.LBB357_66:
	v_add_nc_u32_e32 v1, s1, v0
	v_lshrrev_b32_e32 v2, 8, v3
	v_add_nc_u32_e32 v0, 0x100, v0
	global_store_b8 v1, v2, s[4:5]
	s_or_b32 exec_lo, exec_lo, s0
	s_delay_alu instid0(SALU_CYCLE_1)
	s_mov_b32 s0, exec_lo
	v_cmpx_gt_i32_e64 s2, v0
	s_cbranch_execz .LBB357_50
.LBB357_67:
	v_add_nc_u32_e32 v1, s1, v0
	v_add_nc_u32_e32 v0, 0x100, v0
	global_store_d16_hi_b8 v1, v3, s[4:5]
	s_or_b32 exec_lo, exec_lo, s0
	s_delay_alu instid0(SALU_CYCLE_1)
	s_mov_b32 s0, exec_lo
	v_cmpx_gt_i32_e64 s2, v0
	s_cbranch_execnz .LBB357_51
	s_branch .LBB357_52
	.section	.rodata,"a",@progbits
	.p2align	6, 0x0
	.amdhsa_kernel _ZN2at6native29vectorized_elementwise_kernelILi2EZZZNS0_21clamp_min_kernel_cudaERNS_18TensorIteratorBaseERKN3c106ScalarEENKUlvE_clEvENKUlvE0_clEvEUlaE_St5arrayIPcLm2EEEEviT0_T1_
		.amdhsa_group_segment_fixed_size 0
		.amdhsa_private_segment_fixed_size 0
		.amdhsa_kernarg_size 24
		.amdhsa_user_sgpr_count 15
		.amdhsa_user_sgpr_dispatch_ptr 0
		.amdhsa_user_sgpr_queue_ptr 0
		.amdhsa_user_sgpr_kernarg_segment_ptr 1
		.amdhsa_user_sgpr_dispatch_id 0
		.amdhsa_user_sgpr_private_segment_size 0
		.amdhsa_wavefront_size32 1
		.amdhsa_uses_dynamic_stack 0
		.amdhsa_enable_private_segment 0
		.amdhsa_system_sgpr_workgroup_id_x 1
		.amdhsa_system_sgpr_workgroup_id_y 0
		.amdhsa_system_sgpr_workgroup_id_z 0
		.amdhsa_system_sgpr_workgroup_info 0
		.amdhsa_system_vgpr_workitem_id 0
		.amdhsa_next_free_vgpr 22
		.amdhsa_next_free_sgpr 16
		.amdhsa_reserve_vcc 1
		.amdhsa_float_round_mode_32 0
		.amdhsa_float_round_mode_16_64 0
		.amdhsa_float_denorm_mode_32 3
		.amdhsa_float_denorm_mode_16_64 3
		.amdhsa_dx10_clamp 1
		.amdhsa_ieee_mode 1
		.amdhsa_fp16_overflow 0
		.amdhsa_workgroup_processor_mode 1
		.amdhsa_memory_ordered 1
		.amdhsa_forward_progress 0
		.amdhsa_shared_vgpr_count 0
		.amdhsa_exception_fp_ieee_invalid_op 0
		.amdhsa_exception_fp_denorm_src 0
		.amdhsa_exception_fp_ieee_div_zero 0
		.amdhsa_exception_fp_ieee_overflow 0
		.amdhsa_exception_fp_ieee_underflow 0
		.amdhsa_exception_fp_ieee_inexact 0
		.amdhsa_exception_int_div_zero 0
	.end_amdhsa_kernel
	.section	.text._ZN2at6native29vectorized_elementwise_kernelILi2EZZZNS0_21clamp_min_kernel_cudaERNS_18TensorIteratorBaseERKN3c106ScalarEENKUlvE_clEvENKUlvE0_clEvEUlaE_St5arrayIPcLm2EEEEviT0_T1_,"axG",@progbits,_ZN2at6native29vectorized_elementwise_kernelILi2EZZZNS0_21clamp_min_kernel_cudaERNS_18TensorIteratorBaseERKN3c106ScalarEENKUlvE_clEvENKUlvE0_clEvEUlaE_St5arrayIPcLm2EEEEviT0_T1_,comdat
.Lfunc_end357:
	.size	_ZN2at6native29vectorized_elementwise_kernelILi2EZZZNS0_21clamp_min_kernel_cudaERNS_18TensorIteratorBaseERKN3c106ScalarEENKUlvE_clEvENKUlvE0_clEvEUlaE_St5arrayIPcLm2EEEEviT0_T1_, .Lfunc_end357-_ZN2at6native29vectorized_elementwise_kernelILi2EZZZNS0_21clamp_min_kernel_cudaERNS_18TensorIteratorBaseERKN3c106ScalarEENKUlvE_clEvENKUlvE0_clEvEUlaE_St5arrayIPcLm2EEEEviT0_T1_
                                        ; -- End function
	.section	.AMDGPU.csdata,"",@progbits
; Kernel info:
; codeLenInByte = 3520
; NumSgprs: 18
; NumVgprs: 22
; ScratchSize: 0
; MemoryBound: 0
; FloatMode: 240
; IeeeMode: 1
; LDSByteSize: 0 bytes/workgroup (compile time only)
; SGPRBlocks: 2
; VGPRBlocks: 2
; NumSGPRsForWavesPerEU: 18
; NumVGPRsForWavesPerEU: 22
; Occupancy: 16
; WaveLimiterHint : 1
; COMPUTE_PGM_RSRC2:SCRATCH_EN: 0
; COMPUTE_PGM_RSRC2:USER_SGPR: 15
; COMPUTE_PGM_RSRC2:TRAP_HANDLER: 0
; COMPUTE_PGM_RSRC2:TGID_X_EN: 1
; COMPUTE_PGM_RSRC2:TGID_Y_EN: 0
; COMPUTE_PGM_RSRC2:TGID_Z_EN: 0
; COMPUTE_PGM_RSRC2:TIDIG_COMP_CNT: 0
	.section	.text._ZN2at6native27unrolled_elementwise_kernelIZZZNS0_21clamp_min_kernel_cudaERNS_18TensorIteratorBaseERKN3c106ScalarEENKUlvE_clEvENKUlvE0_clEvEUlaE_St5arrayIPcLm2EELi4E23TrivialOffsetCalculatorILi1EjESF_NS0_6memory15LoadWithoutCastENSG_16StoreWithoutCastEEEviT_T0_T2_T3_T4_T5_,"axG",@progbits,_ZN2at6native27unrolled_elementwise_kernelIZZZNS0_21clamp_min_kernel_cudaERNS_18TensorIteratorBaseERKN3c106ScalarEENKUlvE_clEvENKUlvE0_clEvEUlaE_St5arrayIPcLm2EELi4E23TrivialOffsetCalculatorILi1EjESF_NS0_6memory15LoadWithoutCastENSG_16StoreWithoutCastEEEviT_T0_T2_T3_T4_T5_,comdat
	.globl	_ZN2at6native27unrolled_elementwise_kernelIZZZNS0_21clamp_min_kernel_cudaERNS_18TensorIteratorBaseERKN3c106ScalarEENKUlvE_clEvENKUlvE0_clEvEUlaE_St5arrayIPcLm2EELi4E23TrivialOffsetCalculatorILi1EjESF_NS0_6memory15LoadWithoutCastENSG_16StoreWithoutCastEEEviT_T0_T2_T3_T4_T5_ ; -- Begin function _ZN2at6native27unrolled_elementwise_kernelIZZZNS0_21clamp_min_kernel_cudaERNS_18TensorIteratorBaseERKN3c106ScalarEENKUlvE_clEvENKUlvE0_clEvEUlaE_St5arrayIPcLm2EELi4E23TrivialOffsetCalculatorILi1EjESF_NS0_6memory15LoadWithoutCastENSG_16StoreWithoutCastEEEviT_T0_T2_T3_T4_T5_
	.p2align	8
	.type	_ZN2at6native27unrolled_elementwise_kernelIZZZNS0_21clamp_min_kernel_cudaERNS_18TensorIteratorBaseERKN3c106ScalarEENKUlvE_clEvENKUlvE0_clEvEUlaE_St5arrayIPcLm2EELi4E23TrivialOffsetCalculatorILi1EjESF_NS0_6memory15LoadWithoutCastENSG_16StoreWithoutCastEEEviT_T0_T2_T3_T4_T5_,@function
_ZN2at6native27unrolled_elementwise_kernelIZZZNS0_21clamp_min_kernel_cudaERNS_18TensorIteratorBaseERKN3c106ScalarEENKUlvE_clEvENKUlvE0_clEvEUlaE_St5arrayIPcLm2EELi4E23TrivialOffsetCalculatorILi1EjESF_NS0_6memory15LoadWithoutCastENSG_16StoreWithoutCastEEEviT_T0_T2_T3_T4_T5_: ; @_ZN2at6native27unrolled_elementwise_kernelIZZZNS0_21clamp_min_kernel_cudaERNS_18TensorIteratorBaseERKN3c106ScalarEENKUlvE_clEvENKUlvE0_clEvEUlaE_St5arrayIPcLm2EELi4E23TrivialOffsetCalculatorILi1EjESF_NS0_6memory15LoadWithoutCastENSG_16StoreWithoutCastEEEviT_T0_T2_T3_T4_T5_
; %bb.0:
	s_clause 0x1
	s_load_b64 s[2:3], s[0:1], 0x0
	s_load_b128 s[4:7], s[0:1], 0x8
	s_lshl_b32 s1, s15, 10
	v_dual_mov_b32 v3, 0 :: v_dual_mov_b32 v4, 0
	v_or_b32_e32 v1, s1, v0
	v_or_b32_e32 v2, 0x100, v0
	v_mov_b32_e32 v6, v0
	s_waitcnt lgkmcnt(0)
	s_sub_i32 s2, s2, s1
	s_delay_alu instid0(SALU_CYCLE_1)
	v_cmp_gt_i32_e32 vcc_lo, s2, v0
	s_and_saveexec_b32 s0, vcc_lo
	s_cbranch_execz .LBB358_2
; %bb.1:
	global_load_u8 v4, v1, s[6:7]
	v_or_b32_e32 v6, 0x100, v0
.LBB358_2:
	s_or_b32 exec_lo, exec_lo, s0
	s_delay_alu instid0(SALU_CYCLE_1) | instskip(NEXT) | instid1(VALU_DEP_1)
	s_mov_b32 s8, exec_lo
	v_cmpx_gt_i32_e64 s2, v6
	s_cbranch_execz .LBB358_4
; %bb.3:
	v_add_nc_u32_e32 v3, s1, v6
	v_add_nc_u32_e32 v6, 0x100, v6
	global_load_u8 v3, v3, s[6:7]
.LBB358_4:
	s_or_b32 exec_lo, exec_lo, s8
	v_mov_b32_e32 v5, 0
	v_mov_b32_e32 v7, 0
	s_mov_b32 s8, exec_lo
	v_cmpx_gt_i32_e64 s2, v6
	s_cbranch_execz .LBB358_6
; %bb.5:
	v_add_nc_u32_e32 v7, s1, v6
	v_add_nc_u32_e32 v6, 0x100, v6
	global_load_u8 v7, v7, s[6:7]
.LBB358_6:
	s_or_b32 exec_lo, exec_lo, s8
	s_delay_alu instid0(SALU_CYCLE_1)
	s_mov_b32 s8, exec_lo
	v_cmpx_gt_i32_e64 s2, v6
	s_cbranch_execz .LBB358_8
; %bb.7:
	v_add_nc_u32_e32 v5, s1, v6
	global_load_u8 v5, v5, s[6:7]
.LBB358_8:
	s_or_b32 exec_lo, exec_lo, s8
	s_waitcnt vmcnt(0)
	v_bfe_i32 v4, v4, 0, 8
	v_bfe_i32 v3, v3, 0, 8
	s_bfe_i32 s3, s3, 0x80000
	v_bfe_i32 v6, v7, 0, 8
	v_cmp_gt_i32_e64 s0, s2, v2
	v_max_i16 v4, v4, s3
	v_max_i16 v3, v3, s3
	s_delay_alu instid0(VALU_DEP_4) | instskip(NEXT) | instid1(VALU_DEP_3)
	v_max_i16 v6, v6, s3
	v_and_b32_e32 v4, 0xff, v4
	s_delay_alu instid0(VALU_DEP_3) | instskip(NEXT) | instid1(VALU_DEP_3)
	v_lshlrev_b16 v3, 8, v3
	v_and_b32_e32 v6, 0xff, v6
	s_delay_alu instid0(VALU_DEP_2) | instskip(SKIP_1) | instid1(VALU_DEP_3)
	v_or_b32_e32 v3, v4, v3
	v_and_b32_e32 v4, 0xffff, v4
	v_lshlrev_b32_e32 v6, 16, v6
	s_delay_alu instid0(VALU_DEP_3) | instskip(NEXT) | instid1(VALU_DEP_1)
	v_and_b32_e32 v3, 0xffff, v3
	v_cndmask_b32_e64 v3, v4, v3, s0
	v_or_b32_e32 v4, 0x200, v0
	s_delay_alu instid0(VALU_DEP_2) | instskip(NEXT) | instid1(VALU_DEP_2)
	v_or_b32_e32 v6, v3, v6
	v_cmp_gt_i32_e64 s0, s2, v4
	v_bfe_i32 v4, v5, 0, 8
	s_delay_alu instid0(VALU_DEP_2) | instskip(NEXT) | instid1(VALU_DEP_2)
	v_cndmask_b32_e64 v3, v3, v6, s0
	v_max_i16 v4, v4, s3
	s_delay_alu instid0(VALU_DEP_2) | instskip(NEXT) | instid1(VALU_DEP_2)
	v_lshrrev_b32_e32 v5, 16, v3
	v_lshlrev_b16 v4, 8, v4
	s_delay_alu instid0(VALU_DEP_2) | instskip(NEXT) | instid1(VALU_DEP_1)
	v_and_b32_e32 v5, 0xff, v5
	v_or_b32_e32 v4, v5, v4
	v_or_b32_e32 v5, 0x300, v0
	s_delay_alu instid0(VALU_DEP_2) | instskip(NEXT) | instid1(VALU_DEP_2)
	v_lshlrev_b32_e32 v4, 16, v4
	v_cmp_gt_i32_e64 s0, s2, v5
	s_delay_alu instid0(VALU_DEP_2) | instskip(NEXT) | instid1(VALU_DEP_1)
	v_and_or_b32 v4, 0xffff, v3, v4
	v_cndmask_b32_e64 v3, v3, v4, s0
	s_and_saveexec_b32 s0, vcc_lo
	s_cbranch_execnz .LBB358_13
; %bb.9:
	s_or_b32 exec_lo, exec_lo, s0
	s_delay_alu instid0(SALU_CYCLE_1)
	s_mov_b32 s0, exec_lo
	v_cmpx_gt_i32_e64 s2, v0
	s_cbranch_execnz .LBB358_14
.LBB358_10:
	s_or_b32 exec_lo, exec_lo, s0
	s_delay_alu instid0(SALU_CYCLE_1)
	s_mov_b32 s0, exec_lo
	v_cmpx_gt_i32_e64 s2, v0
	s_cbranch_execnz .LBB358_15
.LBB358_11:
	s_or_b32 exec_lo, exec_lo, s0
	s_delay_alu instid0(SALU_CYCLE_1)
	s_mov_b32 s0, exec_lo
	v_cmpx_gt_i32_e64 s2, v0
	s_cbranch_execnz .LBB358_16
.LBB358_12:
	s_nop 0
	s_sendmsg sendmsg(MSG_DEALLOC_VGPRS)
	s_endpgm
.LBB358_13:
	v_mov_b32_e32 v0, v2
	global_store_b8 v1, v3, s[4:5]
	s_or_b32 exec_lo, exec_lo, s0
	s_delay_alu instid0(SALU_CYCLE_1)
	s_mov_b32 s0, exec_lo
	v_cmpx_gt_i32_e64 s2, v0
	s_cbranch_execz .LBB358_10
.LBB358_14:
	v_add_nc_u32_e32 v1, 0x100, v0
	v_lshrrev_b32_e32 v2, 8, v3
	v_add_nc_u32_e32 v4, s1, v0
	s_delay_alu instid0(VALU_DEP_3) | instskip(SKIP_2) | instid1(SALU_CYCLE_1)
	v_mov_b32_e32 v0, v1
	global_store_b8 v4, v2, s[4:5]
	s_or_b32 exec_lo, exec_lo, s0
	s_mov_b32 s0, exec_lo
	v_cmpx_gt_i32_e64 s2, v0
	s_cbranch_execz .LBB358_11
.LBB358_15:
	v_add_nc_u32_e32 v1, 0x100, v0
	v_add_nc_u32_e32 v2, s1, v0
	s_delay_alu instid0(VALU_DEP_2) | instskip(SKIP_2) | instid1(SALU_CYCLE_1)
	v_mov_b32_e32 v0, v1
	global_store_d16_hi_b8 v2, v3, s[4:5]
	s_or_b32 exec_lo, exec_lo, s0
	s_mov_b32 s0, exec_lo
	v_cmpx_gt_i32_e64 s2, v0
	s_cbranch_execz .LBB358_12
.LBB358_16:
	v_lshrrev_b32_e32 v1, 24, v3
	v_add_nc_u32_e32 v0, s1, v0
	global_store_b8 v0, v1, s[4:5]
	s_nop 0
	s_sendmsg sendmsg(MSG_DEALLOC_VGPRS)
	s_endpgm
	.section	.rodata,"a",@progbits
	.p2align	6, 0x0
	.amdhsa_kernel _ZN2at6native27unrolled_elementwise_kernelIZZZNS0_21clamp_min_kernel_cudaERNS_18TensorIteratorBaseERKN3c106ScalarEENKUlvE_clEvENKUlvE0_clEvEUlaE_St5arrayIPcLm2EELi4E23TrivialOffsetCalculatorILi1EjESF_NS0_6memory15LoadWithoutCastENSG_16StoreWithoutCastEEEviT_T0_T2_T3_T4_T5_
		.amdhsa_group_segment_fixed_size 0
		.amdhsa_private_segment_fixed_size 0
		.amdhsa_kernarg_size 28
		.amdhsa_user_sgpr_count 15
		.amdhsa_user_sgpr_dispatch_ptr 0
		.amdhsa_user_sgpr_queue_ptr 0
		.amdhsa_user_sgpr_kernarg_segment_ptr 1
		.amdhsa_user_sgpr_dispatch_id 0
		.amdhsa_user_sgpr_private_segment_size 0
		.amdhsa_wavefront_size32 1
		.amdhsa_uses_dynamic_stack 0
		.amdhsa_enable_private_segment 0
		.amdhsa_system_sgpr_workgroup_id_x 1
		.amdhsa_system_sgpr_workgroup_id_y 0
		.amdhsa_system_sgpr_workgroup_id_z 0
		.amdhsa_system_sgpr_workgroup_info 0
		.amdhsa_system_vgpr_workitem_id 0
		.amdhsa_next_free_vgpr 8
		.amdhsa_next_free_sgpr 16
		.amdhsa_reserve_vcc 1
		.amdhsa_float_round_mode_32 0
		.amdhsa_float_round_mode_16_64 0
		.amdhsa_float_denorm_mode_32 3
		.amdhsa_float_denorm_mode_16_64 3
		.amdhsa_dx10_clamp 1
		.amdhsa_ieee_mode 1
		.amdhsa_fp16_overflow 0
		.amdhsa_workgroup_processor_mode 1
		.amdhsa_memory_ordered 1
		.amdhsa_forward_progress 0
		.amdhsa_shared_vgpr_count 0
		.amdhsa_exception_fp_ieee_invalid_op 0
		.amdhsa_exception_fp_denorm_src 0
		.amdhsa_exception_fp_ieee_div_zero 0
		.amdhsa_exception_fp_ieee_overflow 0
		.amdhsa_exception_fp_ieee_underflow 0
		.amdhsa_exception_fp_ieee_inexact 0
		.amdhsa_exception_int_div_zero 0
	.end_amdhsa_kernel
	.section	.text._ZN2at6native27unrolled_elementwise_kernelIZZZNS0_21clamp_min_kernel_cudaERNS_18TensorIteratorBaseERKN3c106ScalarEENKUlvE_clEvENKUlvE0_clEvEUlaE_St5arrayIPcLm2EELi4E23TrivialOffsetCalculatorILi1EjESF_NS0_6memory15LoadWithoutCastENSG_16StoreWithoutCastEEEviT_T0_T2_T3_T4_T5_,"axG",@progbits,_ZN2at6native27unrolled_elementwise_kernelIZZZNS0_21clamp_min_kernel_cudaERNS_18TensorIteratorBaseERKN3c106ScalarEENKUlvE_clEvENKUlvE0_clEvEUlaE_St5arrayIPcLm2EELi4E23TrivialOffsetCalculatorILi1EjESF_NS0_6memory15LoadWithoutCastENSG_16StoreWithoutCastEEEviT_T0_T2_T3_T4_T5_,comdat
.Lfunc_end358:
	.size	_ZN2at6native27unrolled_elementwise_kernelIZZZNS0_21clamp_min_kernel_cudaERNS_18TensorIteratorBaseERKN3c106ScalarEENKUlvE_clEvENKUlvE0_clEvEUlaE_St5arrayIPcLm2EELi4E23TrivialOffsetCalculatorILi1EjESF_NS0_6memory15LoadWithoutCastENSG_16StoreWithoutCastEEEviT_T0_T2_T3_T4_T5_, .Lfunc_end358-_ZN2at6native27unrolled_elementwise_kernelIZZZNS0_21clamp_min_kernel_cudaERNS_18TensorIteratorBaseERKN3c106ScalarEENKUlvE_clEvENKUlvE0_clEvEUlaE_St5arrayIPcLm2EELi4E23TrivialOffsetCalculatorILi1EjESF_NS0_6memory15LoadWithoutCastENSG_16StoreWithoutCastEEEviT_T0_T2_T3_T4_T5_
                                        ; -- End function
	.section	.AMDGPU.csdata,"",@progbits
; Kernel info:
; codeLenInByte = 748
; NumSgprs: 18
; NumVgprs: 8
; ScratchSize: 0
; MemoryBound: 0
; FloatMode: 240
; IeeeMode: 1
; LDSByteSize: 0 bytes/workgroup (compile time only)
; SGPRBlocks: 2
; VGPRBlocks: 0
; NumSGPRsForWavesPerEU: 18
; NumVGPRsForWavesPerEU: 8
; Occupancy: 16
; WaveLimiterHint : 0
; COMPUTE_PGM_RSRC2:SCRATCH_EN: 0
; COMPUTE_PGM_RSRC2:USER_SGPR: 15
; COMPUTE_PGM_RSRC2:TRAP_HANDLER: 0
; COMPUTE_PGM_RSRC2:TGID_X_EN: 1
; COMPUTE_PGM_RSRC2:TGID_Y_EN: 0
; COMPUTE_PGM_RSRC2:TGID_Z_EN: 0
; COMPUTE_PGM_RSRC2:TIDIG_COMP_CNT: 0
	.section	.text._ZN2at6native32elementwise_kernel_manual_unrollILi128ELi8EZNS0_22gpu_kernel_impl_nocastIZZZNS0_21clamp_min_kernel_cudaERNS_18TensorIteratorBaseERKN3c106ScalarEENKUlvE_clEvENKUlvE0_clEvEUlaE_EEvS4_RKT_EUlibE_EEviT1_,"axG",@progbits,_ZN2at6native32elementwise_kernel_manual_unrollILi128ELi8EZNS0_22gpu_kernel_impl_nocastIZZZNS0_21clamp_min_kernel_cudaERNS_18TensorIteratorBaseERKN3c106ScalarEENKUlvE_clEvENKUlvE0_clEvEUlaE_EEvS4_RKT_EUlibE_EEviT1_,comdat
	.globl	_ZN2at6native32elementwise_kernel_manual_unrollILi128ELi8EZNS0_22gpu_kernel_impl_nocastIZZZNS0_21clamp_min_kernel_cudaERNS_18TensorIteratorBaseERKN3c106ScalarEENKUlvE_clEvENKUlvE0_clEvEUlaE_EEvS4_RKT_EUlibE_EEviT1_ ; -- Begin function _ZN2at6native32elementwise_kernel_manual_unrollILi128ELi8EZNS0_22gpu_kernel_impl_nocastIZZZNS0_21clamp_min_kernel_cudaERNS_18TensorIteratorBaseERKN3c106ScalarEENKUlvE_clEvENKUlvE0_clEvEUlaE_EEvS4_RKT_EUlibE_EEviT1_
	.p2align	8
	.type	_ZN2at6native32elementwise_kernel_manual_unrollILi128ELi8EZNS0_22gpu_kernel_impl_nocastIZZZNS0_21clamp_min_kernel_cudaERNS_18TensorIteratorBaseERKN3c106ScalarEENKUlvE_clEvENKUlvE0_clEvEUlaE_EEvS4_RKT_EUlibE_EEviT1_,@function
_ZN2at6native32elementwise_kernel_manual_unrollILi128ELi8EZNS0_22gpu_kernel_impl_nocastIZZZNS0_21clamp_min_kernel_cudaERNS_18TensorIteratorBaseERKN3c106ScalarEENKUlvE_clEvENKUlvE0_clEvEUlaE_EEvS4_RKT_EUlibE_EEviT1_: ; @_ZN2at6native32elementwise_kernel_manual_unrollILi128ELi8EZNS0_22gpu_kernel_impl_nocastIZZZNS0_21clamp_min_kernel_cudaERNS_18TensorIteratorBaseERKN3c106ScalarEENKUlvE_clEvENKUlvE0_clEvEUlaE_EEvS4_RKT_EUlibE_EEviT1_
; %bb.0:
	s_clause 0x1
	s_load_b32 s22, s[0:1], 0x8
	s_load_b32 s28, s[0:1], 0x0
	v_lshl_or_b32 v12, s15, 10, v0
	s_or_b32 s0, s0, 8
	s_mov_b32 s2, exec_lo
	s_delay_alu instid0(VALU_DEP_1) | instskip(SKIP_2) | instid1(SALU_CYCLE_1)
	v_or_b32_e32 v16, 0x380, v12
	s_waitcnt lgkmcnt(0)
	s_add_i32 s23, s22, -1
	s_cmp_gt_u32 s23, 1
	s_cselect_b32 s24, -1, 0
	v_cmpx_le_i32_e64 s28, v16
	s_xor_b32 s25, exec_lo, s2
	s_cbranch_execz .LBB359_7
; %bb.1:
	s_clause 0x4
	s_load_b128 s[12:15], s[0:1], 0x4
	s_load_b64 s[2:3], s[0:1], 0x14
	s_load_b128 s[8:11], s[0:1], 0xc4
	s_load_b128 s[4:7], s[0:1], 0x148
	s_load_b32 s26, s[0:1], 0x158
	s_cmp_lg_u32 s22, 0
	s_mov_b32 s31, exec_lo
	s_cselect_b32 s30, -1, 0
	s_add_u32 s16, s0, 0xc4
	s_addc_u32 s17, s1, 0
	s_min_u32 s29, s23, 15
	s_cmp_gt_u32 s22, 1
	s_cselect_b32 s27, -1, 0
	v_cmpx_gt_i32_e64 s28, v12
	s_cbranch_execz .LBB359_14
; %bb.2:
	s_and_not1_b32 vcc_lo, exec_lo, s24
	s_cbranch_vccnz .LBB359_21
; %bb.3:
	v_dual_mov_b32 v0, 0 :: v_dual_mov_b32 v1, 0
	s_and_not1_b32 vcc_lo, exec_lo, s30
	s_mov_b32 s33, 0
	s_cbranch_vccnz .LBB359_125
; %bb.4:
	v_mov_b32_e32 v0, 0
	s_add_i32 s35, s29, 1
	s_cmp_eq_u32 s23, 2
	s_mov_b32 s34, 0
	s_cbranch_scc1 .LBB359_121
; %bb.5:
	v_dual_mov_b32 v1, 0 :: v_dual_mov_b32 v0, 0
	v_mov_b32_e32 v2, v12
	s_and_b32 s34, s35, 28
	s_mov_b32 s36, 0
	s_mov_b64 s[18:19], s[16:17]
	s_mov_b64 s[20:21], s[0:1]
.LBB359_6:                              ; =>This Inner Loop Header: Depth=1
	s_clause 0x1
	s_load_b256 s[40:47], s[20:21], 0x4
	s_load_b128 s[56:59], s[20:21], 0x24
	s_load_b256 s[48:55], s[18:19], 0x0
	s_add_u32 s20, s20, 48
	s_addc_u32 s21, s21, 0
	s_add_i32 s36, s36, 4
	s_add_u32 s18, s18, 32
	s_addc_u32 s19, s19, 0
	s_cmp_lg_u32 s34, s36
	s_waitcnt lgkmcnt(0)
	v_mul_hi_u32 v3, s41, v2
	s_delay_alu instid0(VALU_DEP_1) | instskip(NEXT) | instid1(VALU_DEP_1)
	v_add_nc_u32_e32 v3, v2, v3
	v_lshrrev_b32_e32 v3, s42, v3
	s_delay_alu instid0(VALU_DEP_1) | instskip(SKIP_1) | instid1(VALU_DEP_2)
	v_mul_hi_u32 v4, s44, v3
	v_mul_lo_u32 v6, v3, s40
	v_add_nc_u32_e32 v4, v3, v4
	s_delay_alu instid0(VALU_DEP_2) | instskip(NEXT) | instid1(VALU_DEP_2)
	v_sub_nc_u32_e32 v2, v2, v6
	v_lshrrev_b32_e32 v4, s45, v4
	s_delay_alu instid0(VALU_DEP_2) | instskip(SKIP_1) | instid1(VALU_DEP_3)
	v_mul_lo_u32 v6, v2, s48
	v_mul_lo_u32 v8, v2, s49
	v_mul_hi_u32 v5, s47, v4
	s_delay_alu instid0(VALU_DEP_1) | instskip(NEXT) | instid1(VALU_DEP_1)
	v_add_nc_u32_e32 v5, v4, v5
	v_lshrrev_b32_e32 v5, s56, v5
	s_delay_alu instid0(VALU_DEP_1) | instskip(SKIP_1) | instid1(VALU_DEP_2)
	v_mul_hi_u32 v7, s58, v5
	v_mul_lo_u32 v9, v5, s46
	v_add_nc_u32_e32 v2, v5, v7
	v_mul_lo_u32 v7, v4, s43
	s_delay_alu instid0(VALU_DEP_3) | instskip(NEXT) | instid1(VALU_DEP_3)
	v_sub_nc_u32_e32 v4, v4, v9
	v_lshrrev_b32_e32 v2, s59, v2
	s_delay_alu instid0(VALU_DEP_2) | instskip(SKIP_2) | instid1(VALU_DEP_4)
	v_mul_lo_u32 v9, v4, s52
	v_mul_lo_u32 v4, v4, s53
	v_sub_nc_u32_e32 v3, v3, v7
	v_mul_lo_u32 v10, v2, s57
	s_delay_alu instid0(VALU_DEP_2) | instskip(SKIP_1) | instid1(VALU_DEP_3)
	v_mul_lo_u32 v7, v3, s50
	v_mul_lo_u32 v3, v3, s51
	v_sub_nc_u32_e32 v5, v5, v10
	s_delay_alu instid0(VALU_DEP_3) | instskip(NEXT) | instid1(VALU_DEP_2)
	v_add3_u32 v0, v6, v0, v7
	v_mul_lo_u32 v10, v5, s54
	v_mul_lo_u32 v5, v5, s55
	v_add3_u32 v1, v8, v1, v3
	s_delay_alu instid0(VALU_DEP_3) | instskip(NEXT) | instid1(VALU_DEP_2)
	v_add3_u32 v0, v9, v0, v10
	v_add3_u32 v1, v4, v1, v5
	s_cbranch_scc1 .LBB359_6
	s_branch .LBB359_122
.LBB359_7:
	s_and_not1_saveexec_b32 s2, s25
	s_cbranch_execz .LBB359_206
.LBB359_8:
	v_cndmask_b32_e64 v14, 0, 1, s24
	s_and_not1_b32 vcc_lo, exec_lo, s24
	s_cbranch_vccnz .LBB359_20
; %bb.9:
	v_dual_mov_b32 v0, 0 :: v_dual_mov_b32 v1, 0
	s_cmp_lg_u32 s22, 0
	s_mov_b32 s6, 0
	s_cbranch_scc0 .LBB359_26
; %bb.10:
	s_min_u32 s7, s23, 15
	v_mov_b32_e32 v0, 0
	s_add_i32 s7, s7, 1
	s_cmp_eq_u32 s23, 2
	s_mov_b32 s8, 0
	s_cbranch_scc1 .LBB359_23
; %bb.11:
	v_dual_mov_b32 v1, 0 :: v_dual_mov_b32 v0, 0
	v_mov_b32_e32 v2, v12
	s_add_u32 s2, s0, 0xc4
	s_addc_u32 s3, s1, 0
	s_and_b32 s8, s7, 28
	s_mov_b32 s9, 0
	s_mov_b64 s[4:5], s[0:1]
.LBB359_12:                             ; =>This Inner Loop Header: Depth=1
	s_clause 0x1
	s_load_b256 s[12:19], s[4:5], 0x4
	s_load_b128 s[36:39], s[4:5], 0x24
	s_load_b256 s[24:31], s[2:3], 0x0
	s_add_u32 s4, s4, 48
	s_addc_u32 s5, s5, 0
	s_add_i32 s9, s9, 4
	s_add_u32 s2, s2, 32
	s_addc_u32 s3, s3, 0
	s_cmp_lg_u32 s8, s9
	s_waitcnt lgkmcnt(0)
	v_mul_hi_u32 v3, s13, v2
	s_delay_alu instid0(VALU_DEP_1) | instskip(NEXT) | instid1(VALU_DEP_1)
	v_add_nc_u32_e32 v3, v2, v3
	v_lshrrev_b32_e32 v3, s14, v3
	s_delay_alu instid0(VALU_DEP_1) | instskip(SKIP_1) | instid1(VALU_DEP_2)
	v_mul_hi_u32 v4, s16, v3
	v_mul_lo_u32 v6, v3, s12
	v_add_nc_u32_e32 v4, v3, v4
	s_delay_alu instid0(VALU_DEP_2) | instskip(NEXT) | instid1(VALU_DEP_2)
	v_sub_nc_u32_e32 v2, v2, v6
	v_lshrrev_b32_e32 v4, s17, v4
	s_delay_alu instid0(VALU_DEP_2) | instskip(SKIP_1) | instid1(VALU_DEP_3)
	v_mul_lo_u32 v6, v2, s24
	v_mul_lo_u32 v8, v2, s25
	v_mul_hi_u32 v5, s19, v4
	s_delay_alu instid0(VALU_DEP_1) | instskip(NEXT) | instid1(VALU_DEP_1)
	v_add_nc_u32_e32 v5, v4, v5
	v_lshrrev_b32_e32 v5, s36, v5
	s_delay_alu instid0(VALU_DEP_1) | instskip(SKIP_1) | instid1(VALU_DEP_2)
	v_mul_hi_u32 v7, s38, v5
	v_mul_lo_u32 v9, v5, s18
	v_add_nc_u32_e32 v2, v5, v7
	v_mul_lo_u32 v7, v4, s15
	s_delay_alu instid0(VALU_DEP_3) | instskip(NEXT) | instid1(VALU_DEP_3)
	v_sub_nc_u32_e32 v4, v4, v9
	v_lshrrev_b32_e32 v2, s39, v2
	s_delay_alu instid0(VALU_DEP_2) | instskip(SKIP_2) | instid1(VALU_DEP_4)
	v_mul_lo_u32 v9, v4, s28
	v_mul_lo_u32 v4, v4, s29
	v_sub_nc_u32_e32 v3, v3, v7
	v_mul_lo_u32 v10, v2, s37
	s_delay_alu instid0(VALU_DEP_2) | instskip(SKIP_1) | instid1(VALU_DEP_3)
	v_mul_lo_u32 v7, v3, s26
	v_mul_lo_u32 v3, v3, s27
	v_sub_nc_u32_e32 v5, v5, v10
	s_delay_alu instid0(VALU_DEP_3) | instskip(NEXT) | instid1(VALU_DEP_2)
	v_add3_u32 v0, v6, v0, v7
	v_mul_lo_u32 v10, v5, s30
	v_mul_lo_u32 v5, v5, s31
	v_add3_u32 v1, v8, v1, v3
	s_delay_alu instid0(VALU_DEP_3) | instskip(NEXT) | instid1(VALU_DEP_2)
	v_add3_u32 v0, v9, v0, v10
	v_add3_u32 v1, v4, v1, v5
	s_cbranch_scc1 .LBB359_12
; %bb.13:
	s_and_b32 s7, s7, 3
	s_delay_alu instid0(SALU_CYCLE_1)
	s_cmp_eq_u32 s7, 0
	s_cbranch_scc0 .LBB359_24
	s_branch .LBB359_26
.LBB359_14:
	s_or_b32 exec_lo, exec_lo, s31
	s_delay_alu instid0(SALU_CYCLE_1)
	s_mov_b32 s31, exec_lo
	v_cmpx_gt_i32_e64 s28, v12
	s_cbranch_execz .LBB359_129
.LBB359_15:
	s_and_not1_b32 vcc_lo, exec_lo, s24
	s_cbranch_vccnz .LBB359_22
; %bb.16:
	v_dual_mov_b32 v0, 0 :: v_dual_mov_b32 v1, 0
	s_and_not1_b32 vcc_lo, exec_lo, s30
	s_mov_b32 s33, 0
	s_cbranch_vccnz .LBB359_140
; %bb.17:
	v_mov_b32_e32 v0, 0
	s_add_i32 s35, s29, 1
	s_cmp_eq_u32 s23, 2
	s_mov_b32 s34, 0
	s_cbranch_scc1 .LBB359_136
; %bb.18:
	v_dual_mov_b32 v1, 0 :: v_dual_mov_b32 v0, 0
	v_mov_b32_e32 v2, v12
	s_and_b32 s34, s35, 28
	s_mov_b32 s36, 0
	s_mov_b64 s[18:19], s[16:17]
	s_mov_b64 s[20:21], s[0:1]
.LBB359_19:                             ; =>This Inner Loop Header: Depth=1
	s_clause 0x1
	s_load_b256 s[40:47], s[20:21], 0x4
	s_load_b128 s[56:59], s[20:21], 0x24
	s_load_b256 s[48:55], s[18:19], 0x0
	s_add_u32 s20, s20, 48
	s_addc_u32 s21, s21, 0
	s_add_i32 s36, s36, 4
	s_add_u32 s18, s18, 32
	s_addc_u32 s19, s19, 0
	s_cmp_eq_u32 s34, s36
	s_waitcnt lgkmcnt(0)
	v_mul_hi_u32 v3, s41, v2
	s_delay_alu instid0(VALU_DEP_1) | instskip(NEXT) | instid1(VALU_DEP_1)
	v_add_nc_u32_e32 v3, v2, v3
	v_lshrrev_b32_e32 v3, s42, v3
	s_delay_alu instid0(VALU_DEP_1) | instskip(SKIP_1) | instid1(VALU_DEP_2)
	v_mul_hi_u32 v4, s44, v3
	v_mul_lo_u32 v6, v3, s40
	v_add_nc_u32_e32 v4, v3, v4
	s_delay_alu instid0(VALU_DEP_2) | instskip(NEXT) | instid1(VALU_DEP_2)
	v_sub_nc_u32_e32 v2, v2, v6
	v_lshrrev_b32_e32 v4, s45, v4
	s_delay_alu instid0(VALU_DEP_2) | instskip(SKIP_1) | instid1(VALU_DEP_3)
	v_mul_lo_u32 v6, v2, s48
	v_mul_lo_u32 v8, v2, s49
	v_mul_hi_u32 v5, s47, v4
	s_delay_alu instid0(VALU_DEP_1) | instskip(NEXT) | instid1(VALU_DEP_1)
	v_add_nc_u32_e32 v5, v4, v5
	v_lshrrev_b32_e32 v5, s56, v5
	s_delay_alu instid0(VALU_DEP_1) | instskip(SKIP_1) | instid1(VALU_DEP_2)
	v_mul_hi_u32 v7, s58, v5
	v_mul_lo_u32 v9, v5, s46
	v_add_nc_u32_e32 v2, v5, v7
	v_mul_lo_u32 v7, v4, s43
	s_delay_alu instid0(VALU_DEP_3) | instskip(NEXT) | instid1(VALU_DEP_3)
	v_sub_nc_u32_e32 v4, v4, v9
	v_lshrrev_b32_e32 v2, s59, v2
	s_delay_alu instid0(VALU_DEP_2) | instskip(SKIP_2) | instid1(VALU_DEP_4)
	v_mul_lo_u32 v9, v4, s52
	v_mul_lo_u32 v4, v4, s53
	v_sub_nc_u32_e32 v3, v3, v7
	v_mul_lo_u32 v10, v2, s57
	s_delay_alu instid0(VALU_DEP_2) | instskip(SKIP_1) | instid1(VALU_DEP_3)
	v_mul_lo_u32 v7, v3, s50
	v_mul_lo_u32 v3, v3, s51
	v_sub_nc_u32_e32 v5, v5, v10
	s_delay_alu instid0(VALU_DEP_3) | instskip(NEXT) | instid1(VALU_DEP_2)
	v_add3_u32 v0, v6, v0, v7
	v_mul_lo_u32 v10, v5, s54
	v_mul_lo_u32 v5, v5, s55
	v_add3_u32 v1, v8, v1, v3
	s_delay_alu instid0(VALU_DEP_3) | instskip(NEXT) | instid1(VALU_DEP_2)
	v_add3_u32 v0, v9, v0, v10
	v_add3_u32 v1, v4, v1, v5
	s_cbranch_scc0 .LBB359_19
	s_branch .LBB359_137
.LBB359_20:
	s_mov_b32 s6, -1
                                        ; implicit-def: $vgpr0
                                        ; implicit-def: $vgpr1
	s_branch .LBB359_26
.LBB359_21:
	s_mov_b32 s33, -1
                                        ; implicit-def: $vgpr0
                                        ; implicit-def: $vgpr1
	s_branch .LBB359_125
.LBB359_22:
	s_mov_b32 s33, -1
                                        ; implicit-def: $vgpr0
                                        ; implicit-def: $vgpr1
	s_branch .LBB359_140
.LBB359_23:
	v_dual_mov_b32 v2, v12 :: v_dual_mov_b32 v1, 0
	s_and_b32 s7, s7, 3
	s_delay_alu instid0(SALU_CYCLE_1)
	s_cmp_eq_u32 s7, 0
	s_cbranch_scc1 .LBB359_26
.LBB359_24:
	s_lshl_b32 s2, s8, 3
	s_mul_i32 s4, s8, 12
	s_add_u32 s2, s2, s0
	s_addc_u32 s3, 0, s1
	s_add_u32 s2, s2, 0xc4
	s_addc_u32 s3, s3, 0
	;; [unrolled: 2-line block ×3, first 2 shown]
	.p2align	6
.LBB359_25:                             ; =>This Inner Loop Header: Depth=1
	s_clause 0x1
	s_load_b64 s[8:9], s[4:5], 0x4
	s_load_b32 s12, s[4:5], 0xc
	s_load_b64 s[10:11], s[2:3], 0x0
	s_add_u32 s4, s4, 12
	s_addc_u32 s5, s5, 0
	s_add_u32 s2, s2, 8
	s_addc_u32 s3, s3, 0
	s_add_i32 s7, s7, -1
	s_delay_alu instid0(SALU_CYCLE_1) | instskip(SKIP_2) | instid1(VALU_DEP_1)
	s_cmp_lg_u32 s7, 0
	s_waitcnt lgkmcnt(0)
	v_mul_hi_u32 v3, s9, v2
	v_add_nc_u32_e32 v3, v2, v3
	s_delay_alu instid0(VALU_DEP_1) | instskip(NEXT) | instid1(VALU_DEP_1)
	v_lshrrev_b32_e32 v6, s12, v3
	v_mul_lo_u32 v3, v6, s8
	s_delay_alu instid0(VALU_DEP_1) | instskip(NEXT) | instid1(VALU_DEP_1)
	v_sub_nc_u32_e32 v2, v2, v3
	v_mad_u64_u32 v[3:4], null, v2, s10, v[0:1]
	v_mad_u64_u32 v[4:5], null, v2, s11, v[1:2]
	v_mov_b32_e32 v2, v6
	s_delay_alu instid0(VALU_DEP_2)
	v_dual_mov_b32 v0, v3 :: v_dual_mov_b32 v1, v4
	s_cbranch_scc1 .LBB359_25
.LBB359_26:
	s_and_not1_b32 vcc_lo, exec_lo, s6
	s_cbranch_vccnz .LBB359_29
; %bb.27:
	s_clause 0x1
	s_load_b128 s[4:7], s[0:1], 0x4
	s_load_b64 s[2:3], s[0:1], 0xc4
	s_cmp_lt_u32 s22, 2
	s_waitcnt lgkmcnt(0)
	v_mul_hi_u32 v0, s5, v12
	s_delay_alu instid0(VALU_DEP_1) | instskip(NEXT) | instid1(VALU_DEP_1)
	v_add_nc_u32_e32 v0, v12, v0
	v_lshrrev_b32_e32 v2, s6, v0
	s_delay_alu instid0(VALU_DEP_1) | instskip(NEXT) | instid1(VALU_DEP_1)
	v_mul_lo_u32 v0, v2, s4
	v_sub_nc_u32_e32 v1, v12, v0
	s_delay_alu instid0(VALU_DEP_1)
	v_mul_lo_u32 v0, v1, s2
	v_mul_lo_u32 v1, v1, s3
	s_cbranch_scc1 .LBB359_29
; %bb.28:
	s_clause 0x1
	s_load_b128 s[4:7], s[0:1], 0x10
	s_load_b64 s[2:3], s[0:1], 0xcc
	s_waitcnt lgkmcnt(0)
	v_mul_hi_u32 v3, s5, v2
	s_delay_alu instid0(VALU_DEP_1) | instskip(NEXT) | instid1(VALU_DEP_1)
	v_add_nc_u32_e32 v3, v2, v3
	v_lshrrev_b32_e32 v3, s6, v3
	s_delay_alu instid0(VALU_DEP_1) | instskip(NEXT) | instid1(VALU_DEP_1)
	v_mul_lo_u32 v3, v3, s4
	v_sub_nc_u32_e32 v5, v2, v3
	s_delay_alu instid0(VALU_DEP_1) | instskip(NEXT) | instid1(VALU_DEP_1)
	v_mad_u64_u32 v[2:3], null, v5, s2, v[0:1]
	v_mad_u64_u32 v[3:4], null, v5, s3, v[1:2]
	s_delay_alu instid0(VALU_DEP_1)
	v_dual_mov_b32 v0, v2 :: v_dual_mov_b32 v1, v3
.LBB359_29:
	v_cmp_ne_u32_e32 vcc_lo, 1, v14
	v_add_nc_u32_e32 v4, 0x80, v12
	s_cbranch_vccnz .LBB359_35
; %bb.30:
	v_dual_mov_b32 v2, 0 :: v_dual_mov_b32 v3, 0
	s_cmp_lg_u32 s22, 0
	s_mov_b32 s6, 0
	s_cbranch_scc0 .LBB359_39
; %bb.31:
	s_min_u32 s7, s23, 15
	v_mov_b32_e32 v2, 0
	s_add_i32 s7, s7, 1
	s_cmp_eq_u32 s23, 2
	s_mov_b32 s8, 0
	s_cbranch_scc1 .LBB359_36
; %bb.32:
	v_dual_mov_b32 v3, 0 :: v_dual_mov_b32 v2, 0
	v_mov_b32_e32 v5, v4
	s_add_u32 s2, s0, 0xc4
	s_addc_u32 s3, s1, 0
	s_and_b32 s8, s7, 28
	s_mov_b32 s9, 0
	s_mov_b64 s[4:5], s[0:1]
.LBB359_33:                             ; =>This Inner Loop Header: Depth=1
	s_clause 0x1
	s_load_b256 s[12:19], s[4:5], 0x4
	s_load_b128 s[36:39], s[4:5], 0x24
	s_load_b256 s[24:31], s[2:3], 0x0
	s_add_u32 s4, s4, 48
	s_addc_u32 s5, s5, 0
	s_add_i32 s9, s9, 4
	s_add_u32 s2, s2, 32
	s_addc_u32 s3, s3, 0
	s_cmp_lg_u32 s8, s9
	s_waitcnt lgkmcnt(0)
	v_mul_hi_u32 v6, s13, v5
	s_delay_alu instid0(VALU_DEP_1) | instskip(NEXT) | instid1(VALU_DEP_1)
	v_add_nc_u32_e32 v6, v5, v6
	v_lshrrev_b32_e32 v6, s14, v6
	s_delay_alu instid0(VALU_DEP_1) | instskip(SKIP_1) | instid1(VALU_DEP_2)
	v_mul_hi_u32 v7, s16, v6
	v_mul_lo_u32 v9, v6, s12
	v_add_nc_u32_e32 v7, v6, v7
	s_delay_alu instid0(VALU_DEP_2) | instskip(NEXT) | instid1(VALU_DEP_2)
	v_sub_nc_u32_e32 v5, v5, v9
	v_lshrrev_b32_e32 v7, s17, v7
	s_delay_alu instid0(VALU_DEP_2) | instskip(SKIP_1) | instid1(VALU_DEP_3)
	v_mul_lo_u32 v9, v5, s24
	v_mul_lo_u32 v11, v5, s25
	v_mul_hi_u32 v8, s19, v7
	s_delay_alu instid0(VALU_DEP_1) | instskip(NEXT) | instid1(VALU_DEP_1)
	v_add_nc_u32_e32 v8, v7, v8
	v_lshrrev_b32_e32 v8, s36, v8
	s_delay_alu instid0(VALU_DEP_1) | instskip(SKIP_1) | instid1(VALU_DEP_2)
	v_mul_hi_u32 v10, s38, v8
	v_mul_lo_u32 v13, v8, s18
	v_add_nc_u32_e32 v5, v8, v10
	v_mul_lo_u32 v10, v7, s15
	s_delay_alu instid0(VALU_DEP_3) | instskip(NEXT) | instid1(VALU_DEP_3)
	v_sub_nc_u32_e32 v7, v7, v13
	v_lshrrev_b32_e32 v5, s39, v5
	s_delay_alu instid0(VALU_DEP_2) | instskip(SKIP_2) | instid1(VALU_DEP_4)
	v_mul_lo_u32 v13, v7, s28
	v_mul_lo_u32 v7, v7, s29
	v_sub_nc_u32_e32 v6, v6, v10
	v_mul_lo_u32 v15, v5, s37
	s_delay_alu instid0(VALU_DEP_2) | instskip(SKIP_1) | instid1(VALU_DEP_3)
	v_mul_lo_u32 v10, v6, s26
	v_mul_lo_u32 v6, v6, s27
	v_sub_nc_u32_e32 v8, v8, v15
	s_delay_alu instid0(VALU_DEP_3) | instskip(NEXT) | instid1(VALU_DEP_2)
	v_add3_u32 v2, v9, v2, v10
	v_mul_lo_u32 v15, v8, s30
	v_mul_lo_u32 v8, v8, s31
	v_add3_u32 v3, v11, v3, v6
	s_delay_alu instid0(VALU_DEP_3) | instskip(NEXT) | instid1(VALU_DEP_2)
	v_add3_u32 v2, v13, v2, v15
	v_add3_u32 v3, v7, v3, v8
	s_cbranch_scc1 .LBB359_33
; %bb.34:
	s_and_b32 s7, s7, 3
	s_delay_alu instid0(SALU_CYCLE_1)
	s_cmp_eq_u32 s7, 0
	s_cbranch_scc0 .LBB359_37
	s_branch .LBB359_39
.LBB359_35:
	s_mov_b32 s6, -1
                                        ; implicit-def: $vgpr2
                                        ; implicit-def: $vgpr3
	s_branch .LBB359_39
.LBB359_36:
	v_mov_b32_e32 v5, v4
	v_mov_b32_e32 v3, 0
	s_and_b32 s7, s7, 3
	s_delay_alu instid0(SALU_CYCLE_1)
	s_cmp_eq_u32 s7, 0
	s_cbranch_scc1 .LBB359_39
.LBB359_37:
	s_lshl_b32 s2, s8, 3
	s_mul_i32 s4, s8, 12
	s_add_u32 s2, s2, s0
	s_addc_u32 s3, 0, s1
	s_add_u32 s2, s2, 0xc4
	s_addc_u32 s3, s3, 0
	;; [unrolled: 2-line block ×3, first 2 shown]
	.p2align	6
.LBB359_38:                             ; =>This Inner Loop Header: Depth=1
	s_clause 0x1
	s_load_b64 s[8:9], s[4:5], 0x4
	s_load_b32 s12, s[4:5], 0xc
	s_load_b64 s[10:11], s[2:3], 0x0
	s_add_u32 s4, s4, 12
	s_addc_u32 s5, s5, 0
	s_add_u32 s2, s2, 8
	s_addc_u32 s3, s3, 0
	s_add_i32 s7, s7, -1
	s_delay_alu instid0(SALU_CYCLE_1) | instskip(SKIP_2) | instid1(VALU_DEP_1)
	s_cmp_lg_u32 s7, 0
	s_waitcnt lgkmcnt(0)
	v_mul_hi_u32 v6, s9, v5
	v_add_nc_u32_e32 v6, v5, v6
	s_delay_alu instid0(VALU_DEP_1) | instskip(NEXT) | instid1(VALU_DEP_1)
	v_lshrrev_b32_e32 v9, s12, v6
	v_mul_lo_u32 v6, v9, s8
	s_delay_alu instid0(VALU_DEP_1) | instskip(NEXT) | instid1(VALU_DEP_1)
	v_sub_nc_u32_e32 v5, v5, v6
	v_mad_u64_u32 v[6:7], null, v5, s10, v[2:3]
	v_mad_u64_u32 v[7:8], null, v5, s11, v[3:4]
	s_delay_alu instid0(VALU_DEP_2) | instskip(NEXT) | instid1(VALU_DEP_2)
	v_dual_mov_b32 v5, v9 :: v_dual_mov_b32 v2, v6
	v_mov_b32_e32 v3, v7
	s_cbranch_scc1 .LBB359_38
.LBB359_39:
	s_and_not1_b32 vcc_lo, exec_lo, s6
	s_cbranch_vccnz .LBB359_42
; %bb.40:
	s_clause 0x1
	s_load_b128 s[4:7], s[0:1], 0x4
	s_load_b64 s[2:3], s[0:1], 0xc4
	s_cmp_lt_u32 s22, 2
	s_waitcnt lgkmcnt(0)
	v_mul_hi_u32 v2, s5, v4
	s_delay_alu instid0(VALU_DEP_1) | instskip(NEXT) | instid1(VALU_DEP_1)
	v_add_nc_u32_e32 v2, v4, v2
	v_lshrrev_b32_e32 v5, s6, v2
	s_delay_alu instid0(VALU_DEP_1) | instskip(NEXT) | instid1(VALU_DEP_1)
	v_mul_lo_u32 v2, v5, s4
	v_sub_nc_u32_e32 v3, v4, v2
	s_delay_alu instid0(VALU_DEP_1)
	v_mul_lo_u32 v2, v3, s2
	v_mul_lo_u32 v3, v3, s3
	s_cbranch_scc1 .LBB359_42
; %bb.41:
	s_clause 0x1
	s_load_b128 s[4:7], s[0:1], 0x10
	s_load_b64 s[2:3], s[0:1], 0xcc
	s_waitcnt lgkmcnt(0)
	v_mul_hi_u32 v4, s5, v5
	s_delay_alu instid0(VALU_DEP_1) | instskip(NEXT) | instid1(VALU_DEP_1)
	v_add_nc_u32_e32 v4, v5, v4
	v_lshrrev_b32_e32 v4, s6, v4
	s_delay_alu instid0(VALU_DEP_1) | instskip(NEXT) | instid1(VALU_DEP_1)
	v_mul_lo_u32 v4, v4, s4
	v_sub_nc_u32_e32 v7, v5, v4
	s_delay_alu instid0(VALU_DEP_1) | instskip(NEXT) | instid1(VALU_DEP_1)
	v_mad_u64_u32 v[4:5], null, v7, s2, v[2:3]
	v_mad_u64_u32 v[5:6], null, v7, s3, v[3:4]
	s_delay_alu instid0(VALU_DEP_1)
	v_dual_mov_b32 v2, v4 :: v_dual_mov_b32 v3, v5
.LBB359_42:
	v_cmp_ne_u32_e32 vcc_lo, 1, v14
	v_add_nc_u32_e32 v6, 0x100, v12
	s_cbranch_vccnz .LBB359_48
; %bb.43:
	v_dual_mov_b32 v4, 0 :: v_dual_mov_b32 v5, 0
	s_cmp_lg_u32 s22, 0
	s_mov_b32 s6, 0
	s_cbranch_scc0 .LBB359_52
; %bb.44:
	s_min_u32 s7, s23, 15
	v_mov_b32_e32 v4, 0
	s_add_i32 s7, s7, 1
	s_cmp_eq_u32 s23, 2
	s_mov_b32 s8, 0
	s_cbranch_scc1 .LBB359_49
; %bb.45:
	v_dual_mov_b32 v5, 0 :: v_dual_mov_b32 v4, 0
	v_mov_b32_e32 v7, v6
	s_add_u32 s2, s0, 0xc4
	s_addc_u32 s3, s1, 0
	s_and_b32 s8, s7, 28
	s_mov_b32 s9, 0
	s_mov_b64 s[4:5], s[0:1]
.LBB359_46:                             ; =>This Inner Loop Header: Depth=1
	s_clause 0x1
	s_load_b256 s[12:19], s[4:5], 0x4
	s_load_b128 s[36:39], s[4:5], 0x24
	s_load_b256 s[24:31], s[2:3], 0x0
	s_add_u32 s4, s4, 48
	s_addc_u32 s5, s5, 0
	s_add_i32 s9, s9, 4
	s_add_u32 s2, s2, 32
	s_addc_u32 s3, s3, 0
	s_cmp_lg_u32 s8, s9
	s_waitcnt lgkmcnt(0)
	v_mul_hi_u32 v8, s13, v7
	s_delay_alu instid0(VALU_DEP_1) | instskip(NEXT) | instid1(VALU_DEP_1)
	v_add_nc_u32_e32 v8, v7, v8
	v_lshrrev_b32_e32 v8, s14, v8
	s_delay_alu instid0(VALU_DEP_1) | instskip(SKIP_1) | instid1(VALU_DEP_2)
	v_mul_hi_u32 v9, s16, v8
	v_mul_lo_u32 v11, v8, s12
	v_add_nc_u32_e32 v9, v8, v9
	s_delay_alu instid0(VALU_DEP_2) | instskip(NEXT) | instid1(VALU_DEP_2)
	v_sub_nc_u32_e32 v7, v7, v11
	v_lshrrev_b32_e32 v9, s17, v9
	s_delay_alu instid0(VALU_DEP_2) | instskip(SKIP_1) | instid1(VALU_DEP_3)
	v_mul_lo_u32 v11, v7, s24
	v_mul_lo_u32 v15, v7, s25
	v_mul_hi_u32 v10, s19, v9
	s_delay_alu instid0(VALU_DEP_1) | instskip(NEXT) | instid1(VALU_DEP_1)
	v_add_nc_u32_e32 v10, v9, v10
	v_lshrrev_b32_e32 v10, s36, v10
	s_delay_alu instid0(VALU_DEP_1) | instskip(SKIP_1) | instid1(VALU_DEP_2)
	v_mul_hi_u32 v13, s38, v10
	v_mul_lo_u32 v17, v10, s18
	v_add_nc_u32_e32 v7, v10, v13
	v_mul_lo_u32 v13, v9, s15
	s_delay_alu instid0(VALU_DEP_3) | instskip(NEXT) | instid1(VALU_DEP_3)
	v_sub_nc_u32_e32 v9, v9, v17
	v_lshrrev_b32_e32 v7, s39, v7
	s_delay_alu instid0(VALU_DEP_2) | instskip(SKIP_2) | instid1(VALU_DEP_4)
	v_mul_lo_u32 v17, v9, s28
	v_mul_lo_u32 v9, v9, s29
	v_sub_nc_u32_e32 v8, v8, v13
	v_mul_lo_u32 v18, v7, s37
	s_delay_alu instid0(VALU_DEP_2) | instskip(SKIP_1) | instid1(VALU_DEP_3)
	v_mul_lo_u32 v13, v8, s26
	v_mul_lo_u32 v8, v8, s27
	v_sub_nc_u32_e32 v10, v10, v18
	s_delay_alu instid0(VALU_DEP_3) | instskip(NEXT) | instid1(VALU_DEP_2)
	v_add3_u32 v4, v11, v4, v13
	v_mul_lo_u32 v18, v10, s30
	v_mul_lo_u32 v10, v10, s31
	v_add3_u32 v5, v15, v5, v8
	s_delay_alu instid0(VALU_DEP_3) | instskip(NEXT) | instid1(VALU_DEP_2)
	v_add3_u32 v4, v17, v4, v18
	v_add3_u32 v5, v9, v5, v10
	s_cbranch_scc1 .LBB359_46
; %bb.47:
	s_and_b32 s7, s7, 3
	s_delay_alu instid0(SALU_CYCLE_1)
	s_cmp_eq_u32 s7, 0
	s_cbranch_scc0 .LBB359_50
	s_branch .LBB359_52
.LBB359_48:
	s_mov_b32 s6, -1
                                        ; implicit-def: $vgpr4
                                        ; implicit-def: $vgpr5
	s_branch .LBB359_52
.LBB359_49:
	v_mov_b32_e32 v7, v6
	v_mov_b32_e32 v5, 0
	s_and_b32 s7, s7, 3
	s_delay_alu instid0(SALU_CYCLE_1)
	s_cmp_eq_u32 s7, 0
	s_cbranch_scc1 .LBB359_52
.LBB359_50:
	s_lshl_b32 s2, s8, 3
	s_mul_i32 s4, s8, 12
	s_add_u32 s2, s2, s0
	s_addc_u32 s3, 0, s1
	s_add_u32 s2, s2, 0xc4
	s_addc_u32 s3, s3, 0
	;; [unrolled: 2-line block ×3, first 2 shown]
	.p2align	6
.LBB359_51:                             ; =>This Inner Loop Header: Depth=1
	s_clause 0x1
	s_load_b64 s[8:9], s[4:5], 0x4
	s_load_b32 s12, s[4:5], 0xc
	s_load_b64 s[10:11], s[2:3], 0x0
	s_add_u32 s4, s4, 12
	s_addc_u32 s5, s5, 0
	s_add_u32 s2, s2, 8
	s_addc_u32 s3, s3, 0
	s_add_i32 s7, s7, -1
	s_delay_alu instid0(SALU_CYCLE_1) | instskip(SKIP_2) | instid1(VALU_DEP_1)
	s_cmp_lg_u32 s7, 0
	s_waitcnt lgkmcnt(0)
	v_mul_hi_u32 v8, s9, v7
	v_add_nc_u32_e32 v8, v7, v8
	s_delay_alu instid0(VALU_DEP_1) | instskip(NEXT) | instid1(VALU_DEP_1)
	v_lshrrev_b32_e32 v11, s12, v8
	v_mul_lo_u32 v8, v11, s8
	s_delay_alu instid0(VALU_DEP_1) | instskip(NEXT) | instid1(VALU_DEP_1)
	v_sub_nc_u32_e32 v7, v7, v8
	v_mad_u64_u32 v[8:9], null, v7, s10, v[4:5]
	v_mad_u64_u32 v[9:10], null, v7, s11, v[5:6]
	s_delay_alu instid0(VALU_DEP_2) | instskip(NEXT) | instid1(VALU_DEP_2)
	v_dual_mov_b32 v7, v11 :: v_dual_mov_b32 v4, v8
	v_mov_b32_e32 v5, v9
	s_cbranch_scc1 .LBB359_51
.LBB359_52:
	s_and_not1_b32 vcc_lo, exec_lo, s6
	s_cbranch_vccnz .LBB359_55
; %bb.53:
	s_clause 0x1
	s_load_b128 s[4:7], s[0:1], 0x4
	s_load_b64 s[2:3], s[0:1], 0xc4
	s_cmp_lt_u32 s22, 2
	s_waitcnt lgkmcnt(0)
	v_mul_hi_u32 v4, s5, v6
	s_delay_alu instid0(VALU_DEP_1) | instskip(NEXT) | instid1(VALU_DEP_1)
	v_add_nc_u32_e32 v4, v6, v4
	v_lshrrev_b32_e32 v7, s6, v4
	s_delay_alu instid0(VALU_DEP_1) | instskip(NEXT) | instid1(VALU_DEP_1)
	v_mul_lo_u32 v4, v7, s4
	v_sub_nc_u32_e32 v5, v6, v4
	s_delay_alu instid0(VALU_DEP_1)
	v_mul_lo_u32 v4, v5, s2
	v_mul_lo_u32 v5, v5, s3
	s_cbranch_scc1 .LBB359_55
; %bb.54:
	s_clause 0x1
	s_load_b128 s[4:7], s[0:1], 0x10
	s_load_b64 s[2:3], s[0:1], 0xcc
	s_waitcnt lgkmcnt(0)
	v_mul_hi_u32 v6, s5, v7
	s_delay_alu instid0(VALU_DEP_1) | instskip(NEXT) | instid1(VALU_DEP_1)
	v_add_nc_u32_e32 v6, v7, v6
	v_lshrrev_b32_e32 v6, s6, v6
	s_delay_alu instid0(VALU_DEP_1) | instskip(NEXT) | instid1(VALU_DEP_1)
	v_mul_lo_u32 v6, v6, s4
	v_sub_nc_u32_e32 v9, v7, v6
	s_delay_alu instid0(VALU_DEP_1) | instskip(NEXT) | instid1(VALU_DEP_1)
	v_mad_u64_u32 v[6:7], null, v9, s2, v[4:5]
	v_mad_u64_u32 v[7:8], null, v9, s3, v[5:6]
	s_delay_alu instid0(VALU_DEP_1)
	v_dual_mov_b32 v4, v6 :: v_dual_mov_b32 v5, v7
.LBB359_55:
	v_cmp_ne_u32_e32 vcc_lo, 1, v14
	v_add_nc_u32_e32 v8, 0x180, v12
	s_cbranch_vccnz .LBB359_61
; %bb.56:
	v_dual_mov_b32 v6, 0 :: v_dual_mov_b32 v7, 0
	s_cmp_lg_u32 s22, 0
	s_mov_b32 s6, 0
	s_cbranch_scc0 .LBB359_65
; %bb.57:
	s_min_u32 s7, s23, 15
	v_mov_b32_e32 v6, 0
	s_add_i32 s7, s7, 1
	s_cmp_eq_u32 s23, 2
	s_mov_b32 s8, 0
	s_cbranch_scc1 .LBB359_62
; %bb.58:
	v_dual_mov_b32 v7, 0 :: v_dual_mov_b32 v6, 0
	v_mov_b32_e32 v9, v8
	s_add_u32 s2, s0, 0xc4
	s_addc_u32 s3, s1, 0
	s_and_b32 s8, s7, 28
	s_mov_b32 s9, 0
	s_mov_b64 s[4:5], s[0:1]
.LBB359_59:                             ; =>This Inner Loop Header: Depth=1
	s_clause 0x1
	s_load_b256 s[12:19], s[4:5], 0x4
	s_load_b128 s[36:39], s[4:5], 0x24
	s_load_b256 s[24:31], s[2:3], 0x0
	s_add_u32 s4, s4, 48
	s_addc_u32 s5, s5, 0
	s_add_i32 s9, s9, 4
	s_add_u32 s2, s2, 32
	s_addc_u32 s3, s3, 0
	s_cmp_lg_u32 s8, s9
	s_waitcnt lgkmcnt(0)
	v_mul_hi_u32 v10, s13, v9
	s_delay_alu instid0(VALU_DEP_1) | instskip(NEXT) | instid1(VALU_DEP_1)
	v_add_nc_u32_e32 v10, v9, v10
	v_lshrrev_b32_e32 v10, s14, v10
	s_delay_alu instid0(VALU_DEP_1) | instskip(SKIP_1) | instid1(VALU_DEP_2)
	v_mul_hi_u32 v11, s16, v10
	v_mul_lo_u32 v15, v10, s12
	v_add_nc_u32_e32 v11, v10, v11
	s_delay_alu instid0(VALU_DEP_2) | instskip(NEXT) | instid1(VALU_DEP_2)
	v_sub_nc_u32_e32 v9, v9, v15
	v_lshrrev_b32_e32 v11, s17, v11
	s_delay_alu instid0(VALU_DEP_2) | instskip(SKIP_1) | instid1(VALU_DEP_3)
	v_mul_lo_u32 v15, v9, s24
	v_mul_lo_u32 v18, v9, s25
	v_mul_hi_u32 v13, s19, v11
	s_delay_alu instid0(VALU_DEP_1) | instskip(NEXT) | instid1(VALU_DEP_1)
	v_add_nc_u32_e32 v13, v11, v13
	v_lshrrev_b32_e32 v13, s36, v13
	s_delay_alu instid0(VALU_DEP_1) | instskip(SKIP_1) | instid1(VALU_DEP_2)
	v_mul_hi_u32 v17, s38, v13
	v_mul_lo_u32 v19, v13, s18
	v_add_nc_u32_e32 v9, v13, v17
	v_mul_lo_u32 v17, v11, s15
	s_delay_alu instid0(VALU_DEP_3) | instskip(NEXT) | instid1(VALU_DEP_3)
	v_sub_nc_u32_e32 v11, v11, v19
	v_lshrrev_b32_e32 v9, s39, v9
	s_delay_alu instid0(VALU_DEP_2) | instskip(SKIP_2) | instid1(VALU_DEP_4)
	v_mul_lo_u32 v19, v11, s28
	v_mul_lo_u32 v11, v11, s29
	v_sub_nc_u32_e32 v10, v10, v17
	v_mul_lo_u32 v20, v9, s37
	s_delay_alu instid0(VALU_DEP_2) | instskip(SKIP_1) | instid1(VALU_DEP_3)
	v_mul_lo_u32 v17, v10, s26
	v_mul_lo_u32 v10, v10, s27
	v_sub_nc_u32_e32 v13, v13, v20
	s_delay_alu instid0(VALU_DEP_3) | instskip(NEXT) | instid1(VALU_DEP_2)
	v_add3_u32 v6, v15, v6, v17
	v_mul_lo_u32 v20, v13, s30
	v_mul_lo_u32 v13, v13, s31
	v_add3_u32 v7, v18, v7, v10
	s_delay_alu instid0(VALU_DEP_3) | instskip(NEXT) | instid1(VALU_DEP_2)
	v_add3_u32 v6, v19, v6, v20
	v_add3_u32 v7, v11, v7, v13
	s_cbranch_scc1 .LBB359_59
; %bb.60:
	s_and_b32 s7, s7, 3
	s_delay_alu instid0(SALU_CYCLE_1)
	s_cmp_eq_u32 s7, 0
	s_cbranch_scc0 .LBB359_63
	s_branch .LBB359_65
.LBB359_61:
	s_mov_b32 s6, -1
                                        ; implicit-def: $vgpr6
                                        ; implicit-def: $vgpr7
	s_branch .LBB359_65
.LBB359_62:
	v_mov_b32_e32 v9, v8
	v_mov_b32_e32 v7, 0
	s_and_b32 s7, s7, 3
	s_delay_alu instid0(SALU_CYCLE_1)
	s_cmp_eq_u32 s7, 0
	s_cbranch_scc1 .LBB359_65
.LBB359_63:
	s_lshl_b32 s2, s8, 3
	s_mul_i32 s4, s8, 12
	s_add_u32 s2, s2, s0
	s_addc_u32 s3, 0, s1
	s_add_u32 s2, s2, 0xc4
	s_addc_u32 s3, s3, 0
	;; [unrolled: 2-line block ×3, first 2 shown]
	.p2align	6
.LBB359_64:                             ; =>This Inner Loop Header: Depth=1
	s_clause 0x1
	s_load_b64 s[8:9], s[4:5], 0x4
	s_load_b32 s12, s[4:5], 0xc
	s_load_b64 s[10:11], s[2:3], 0x0
	s_add_u32 s4, s4, 12
	s_addc_u32 s5, s5, 0
	s_add_u32 s2, s2, 8
	s_addc_u32 s3, s3, 0
	s_add_i32 s7, s7, -1
	s_delay_alu instid0(SALU_CYCLE_1) | instskip(SKIP_2) | instid1(VALU_DEP_1)
	s_cmp_lg_u32 s7, 0
	s_waitcnt lgkmcnt(0)
	v_mul_hi_u32 v10, s9, v9
	v_add_nc_u32_e32 v10, v9, v10
	s_delay_alu instid0(VALU_DEP_1) | instskip(NEXT) | instid1(VALU_DEP_1)
	v_lshrrev_b32_e32 v13, s12, v10
	v_mul_lo_u32 v10, v13, s8
	s_delay_alu instid0(VALU_DEP_1) | instskip(NEXT) | instid1(VALU_DEP_1)
	v_sub_nc_u32_e32 v9, v9, v10
	v_mad_u64_u32 v[10:11], null, v9, s10, v[6:7]
	v_mad_u64_u32 v[17:18], null, v9, s11, v[7:8]
	s_delay_alu instid0(VALU_DEP_2) | instskip(NEXT) | instid1(VALU_DEP_2)
	v_dual_mov_b32 v9, v13 :: v_dual_mov_b32 v6, v10
	v_mov_b32_e32 v7, v17
	s_cbranch_scc1 .LBB359_64
.LBB359_65:
	s_and_not1_b32 vcc_lo, exec_lo, s6
	s_cbranch_vccnz .LBB359_68
; %bb.66:
	s_clause 0x1
	s_load_b128 s[4:7], s[0:1], 0x4
	s_load_b64 s[2:3], s[0:1], 0xc4
	s_cmp_lt_u32 s22, 2
	s_waitcnt lgkmcnt(0)
	v_mul_hi_u32 v6, s5, v8
	s_delay_alu instid0(VALU_DEP_1) | instskip(NEXT) | instid1(VALU_DEP_1)
	v_add_nc_u32_e32 v6, v8, v6
	v_lshrrev_b32_e32 v9, s6, v6
	s_delay_alu instid0(VALU_DEP_1) | instskip(NEXT) | instid1(VALU_DEP_1)
	v_mul_lo_u32 v6, v9, s4
	v_sub_nc_u32_e32 v7, v8, v6
	s_delay_alu instid0(VALU_DEP_1)
	v_mul_lo_u32 v6, v7, s2
	v_mul_lo_u32 v7, v7, s3
	s_cbranch_scc1 .LBB359_68
; %bb.67:
	s_clause 0x1
	s_load_b128 s[4:7], s[0:1], 0x10
	s_load_b64 s[2:3], s[0:1], 0xcc
	s_waitcnt lgkmcnt(0)
	v_mul_hi_u32 v8, s5, v9
	s_delay_alu instid0(VALU_DEP_1) | instskip(NEXT) | instid1(VALU_DEP_1)
	v_add_nc_u32_e32 v8, v9, v8
	v_lshrrev_b32_e32 v8, s6, v8
	s_delay_alu instid0(VALU_DEP_1) | instskip(NEXT) | instid1(VALU_DEP_1)
	v_mul_lo_u32 v8, v8, s4
	v_sub_nc_u32_e32 v11, v9, v8
	s_delay_alu instid0(VALU_DEP_1) | instskip(NEXT) | instid1(VALU_DEP_1)
	v_mad_u64_u32 v[8:9], null, v11, s2, v[6:7]
	v_mad_u64_u32 v[9:10], null, v11, s3, v[7:8]
	s_delay_alu instid0(VALU_DEP_1)
	v_dual_mov_b32 v6, v8 :: v_dual_mov_b32 v7, v9
.LBB359_68:
	v_cmp_ne_u32_e32 vcc_lo, 1, v14
	v_add_nc_u32_e32 v10, 0x200, v12
	s_cbranch_vccnz .LBB359_74
; %bb.69:
	v_dual_mov_b32 v8, 0 :: v_dual_mov_b32 v9, 0
	s_cmp_lg_u32 s22, 0
	s_mov_b32 s6, 0
	s_cbranch_scc0 .LBB359_78
; %bb.70:
	s_min_u32 s7, s23, 15
	v_mov_b32_e32 v8, 0
	s_add_i32 s7, s7, 1
	s_cmp_eq_u32 s23, 2
	s_mov_b32 s8, 0
	s_cbranch_scc1 .LBB359_75
; %bb.71:
	v_dual_mov_b32 v9, 0 :: v_dual_mov_b32 v8, 0
	v_mov_b32_e32 v11, v10
	s_add_u32 s2, s0, 0xc4
	s_addc_u32 s3, s1, 0
	s_and_b32 s8, s7, 28
	s_mov_b32 s9, 0
	s_mov_b64 s[4:5], s[0:1]
.LBB359_72:                             ; =>This Inner Loop Header: Depth=1
	s_clause 0x1
	s_load_b256 s[12:19], s[4:5], 0x4
	s_load_b128 s[36:39], s[4:5], 0x24
	s_load_b256 s[24:31], s[2:3], 0x0
	s_add_u32 s4, s4, 48
	s_addc_u32 s5, s5, 0
	s_add_i32 s9, s9, 4
	s_add_u32 s2, s2, 32
	s_addc_u32 s3, s3, 0
	s_cmp_lg_u32 s8, s9
	s_waitcnt lgkmcnt(0)
	v_mul_hi_u32 v13, s13, v11
	s_delay_alu instid0(VALU_DEP_1) | instskip(NEXT) | instid1(VALU_DEP_1)
	v_add_nc_u32_e32 v13, v11, v13
	v_lshrrev_b32_e32 v13, s14, v13
	s_delay_alu instid0(VALU_DEP_1) | instskip(SKIP_1) | instid1(VALU_DEP_2)
	v_mul_hi_u32 v15, s16, v13
	v_mul_lo_u32 v18, v13, s12
	v_add_nc_u32_e32 v15, v13, v15
	s_delay_alu instid0(VALU_DEP_2) | instskip(NEXT) | instid1(VALU_DEP_2)
	v_sub_nc_u32_e32 v11, v11, v18
	v_lshrrev_b32_e32 v15, s17, v15
	s_delay_alu instid0(VALU_DEP_2) | instskip(SKIP_1) | instid1(VALU_DEP_3)
	v_mul_lo_u32 v18, v11, s24
	v_mul_lo_u32 v20, v11, s25
	v_mul_hi_u32 v17, s19, v15
	s_delay_alu instid0(VALU_DEP_1) | instskip(NEXT) | instid1(VALU_DEP_1)
	v_add_nc_u32_e32 v17, v15, v17
	v_lshrrev_b32_e32 v17, s36, v17
	s_delay_alu instid0(VALU_DEP_1) | instskip(SKIP_1) | instid1(VALU_DEP_2)
	v_mul_hi_u32 v19, s38, v17
	v_mul_lo_u32 v21, v17, s18
	v_add_nc_u32_e32 v11, v17, v19
	v_mul_lo_u32 v19, v15, s15
	s_delay_alu instid0(VALU_DEP_3) | instskip(NEXT) | instid1(VALU_DEP_3)
	v_sub_nc_u32_e32 v15, v15, v21
	v_lshrrev_b32_e32 v11, s39, v11
	s_delay_alu instid0(VALU_DEP_2) | instskip(SKIP_2) | instid1(VALU_DEP_4)
	v_mul_lo_u32 v21, v15, s28
	v_mul_lo_u32 v15, v15, s29
	v_sub_nc_u32_e32 v13, v13, v19
	v_mul_lo_u32 v22, v11, s37
	s_delay_alu instid0(VALU_DEP_2) | instskip(SKIP_1) | instid1(VALU_DEP_3)
	v_mul_lo_u32 v19, v13, s26
	v_mul_lo_u32 v13, v13, s27
	v_sub_nc_u32_e32 v17, v17, v22
	s_delay_alu instid0(VALU_DEP_3) | instskip(NEXT) | instid1(VALU_DEP_2)
	v_add3_u32 v8, v18, v8, v19
	v_mul_lo_u32 v22, v17, s30
	v_mul_lo_u32 v17, v17, s31
	v_add3_u32 v9, v20, v9, v13
	s_delay_alu instid0(VALU_DEP_3) | instskip(NEXT) | instid1(VALU_DEP_2)
	v_add3_u32 v8, v21, v8, v22
	v_add3_u32 v9, v15, v9, v17
	s_cbranch_scc1 .LBB359_72
; %bb.73:
	s_and_b32 s7, s7, 3
	s_delay_alu instid0(SALU_CYCLE_1)
	s_cmp_eq_u32 s7, 0
	s_cbranch_scc0 .LBB359_76
	s_branch .LBB359_78
.LBB359_74:
	s_mov_b32 s6, -1
                                        ; implicit-def: $vgpr8
                                        ; implicit-def: $vgpr9
	s_branch .LBB359_78
.LBB359_75:
	v_mov_b32_e32 v11, v10
	v_mov_b32_e32 v9, 0
	s_and_b32 s7, s7, 3
	s_delay_alu instid0(SALU_CYCLE_1)
	s_cmp_eq_u32 s7, 0
	s_cbranch_scc1 .LBB359_78
.LBB359_76:
	s_lshl_b32 s2, s8, 3
	s_mul_i32 s4, s8, 12
	s_add_u32 s2, s2, s0
	s_addc_u32 s3, 0, s1
	s_add_u32 s2, s2, 0xc4
	s_addc_u32 s3, s3, 0
	;; [unrolled: 2-line block ×3, first 2 shown]
	.p2align	6
.LBB359_77:                             ; =>This Inner Loop Header: Depth=1
	s_clause 0x1
	s_load_b64 s[8:9], s[4:5], 0x4
	s_load_b32 s12, s[4:5], 0xc
	s_load_b64 s[10:11], s[2:3], 0x0
	s_add_u32 s4, s4, 12
	s_addc_u32 s5, s5, 0
	s_add_u32 s2, s2, 8
	s_addc_u32 s3, s3, 0
	s_add_i32 s7, s7, -1
	s_delay_alu instid0(SALU_CYCLE_1) | instskip(SKIP_2) | instid1(VALU_DEP_1)
	s_cmp_lg_u32 s7, 0
	s_waitcnt lgkmcnt(0)
	v_mul_hi_u32 v13, s9, v11
	v_add_nc_u32_e32 v13, v11, v13
	s_delay_alu instid0(VALU_DEP_1) | instskip(NEXT) | instid1(VALU_DEP_1)
	v_lshrrev_b32_e32 v13, s12, v13
	v_mul_lo_u32 v15, v13, s8
	s_delay_alu instid0(VALU_DEP_1) | instskip(NEXT) | instid1(VALU_DEP_1)
	v_sub_nc_u32_e32 v11, v11, v15
	v_mad_u64_u32 v[17:18], null, v11, s10, v[8:9]
	v_mad_u64_u32 v[18:19], null, v11, s11, v[9:10]
	v_mov_b32_e32 v11, v13
	s_delay_alu instid0(VALU_DEP_2)
	v_dual_mov_b32 v8, v17 :: v_dual_mov_b32 v9, v18
	s_cbranch_scc1 .LBB359_77
.LBB359_78:
	s_and_not1_b32 vcc_lo, exec_lo, s6
	s_cbranch_vccnz .LBB359_81
; %bb.79:
	s_clause 0x1
	s_load_b128 s[4:7], s[0:1], 0x4
	s_load_b64 s[2:3], s[0:1], 0xc4
	s_cmp_lt_u32 s22, 2
	s_waitcnt lgkmcnt(0)
	v_mul_hi_u32 v8, s5, v10
	s_delay_alu instid0(VALU_DEP_1) | instskip(NEXT) | instid1(VALU_DEP_1)
	v_add_nc_u32_e32 v8, v10, v8
	v_lshrrev_b32_e32 v11, s6, v8
	s_delay_alu instid0(VALU_DEP_1) | instskip(NEXT) | instid1(VALU_DEP_1)
	v_mul_lo_u32 v8, v11, s4
	v_sub_nc_u32_e32 v9, v10, v8
	s_delay_alu instid0(VALU_DEP_1)
	v_mul_lo_u32 v8, v9, s2
	v_mul_lo_u32 v9, v9, s3
	s_cbranch_scc1 .LBB359_81
; %bb.80:
	s_clause 0x1
	s_load_b128 s[4:7], s[0:1], 0x10
	s_load_b64 s[2:3], s[0:1], 0xcc
	s_waitcnt lgkmcnt(0)
	v_mul_hi_u32 v10, s5, v11
	s_delay_alu instid0(VALU_DEP_1) | instskip(NEXT) | instid1(VALU_DEP_1)
	v_add_nc_u32_e32 v10, v11, v10
	v_lshrrev_b32_e32 v10, s6, v10
	s_delay_alu instid0(VALU_DEP_1) | instskip(NEXT) | instid1(VALU_DEP_1)
	v_mul_lo_u32 v10, v10, s4
	v_sub_nc_u32_e32 v13, v11, v10
	s_delay_alu instid0(VALU_DEP_1) | instskip(NEXT) | instid1(VALU_DEP_1)
	v_mad_u64_u32 v[10:11], null, v13, s2, v[8:9]
	v_mad_u64_u32 v[17:18], null, v13, s3, v[9:10]
	s_delay_alu instid0(VALU_DEP_1)
	v_dual_mov_b32 v8, v10 :: v_dual_mov_b32 v9, v17
.LBB359_81:
	v_cmp_ne_u32_e32 vcc_lo, 1, v14
	v_add_nc_u32_e32 v13, 0x280, v12
	s_cbranch_vccnz .LBB359_87
; %bb.82:
	v_dual_mov_b32 v10, 0 :: v_dual_mov_b32 v11, 0
	s_cmp_lg_u32 s22, 0
	s_mov_b32 s6, 0
	s_cbranch_scc0 .LBB359_91
; %bb.83:
	s_min_u32 s7, s23, 15
	v_mov_b32_e32 v10, 0
	s_add_i32 s7, s7, 1
	s_cmp_eq_u32 s23, 2
	s_mov_b32 s8, 0
	s_cbranch_scc1 .LBB359_88
; %bb.84:
	v_dual_mov_b32 v11, 0 :: v_dual_mov_b32 v10, 0
	v_mov_b32_e32 v15, v13
	s_add_u32 s2, s0, 0xc4
	s_addc_u32 s3, s1, 0
	s_and_b32 s8, s7, 28
	s_mov_b32 s9, 0
	s_mov_b64 s[4:5], s[0:1]
.LBB359_85:                             ; =>This Inner Loop Header: Depth=1
	s_clause 0x1
	s_load_b256 s[12:19], s[4:5], 0x4
	s_load_b128 s[36:39], s[4:5], 0x24
	s_load_b256 s[24:31], s[2:3], 0x0
	s_add_u32 s4, s4, 48
	s_addc_u32 s5, s5, 0
	s_add_i32 s9, s9, 4
	s_add_u32 s2, s2, 32
	s_addc_u32 s3, s3, 0
	s_cmp_lg_u32 s8, s9
	s_waitcnt lgkmcnt(0)
	v_mul_hi_u32 v17, s13, v15
	s_delay_alu instid0(VALU_DEP_1) | instskip(NEXT) | instid1(VALU_DEP_1)
	v_add_nc_u32_e32 v17, v15, v17
	v_lshrrev_b32_e32 v17, s14, v17
	s_delay_alu instid0(VALU_DEP_1) | instskip(SKIP_1) | instid1(VALU_DEP_2)
	v_mul_hi_u32 v18, s16, v17
	v_mul_lo_u32 v20, v17, s12
	v_add_nc_u32_e32 v18, v17, v18
	s_delay_alu instid0(VALU_DEP_2) | instskip(NEXT) | instid1(VALU_DEP_2)
	v_sub_nc_u32_e32 v15, v15, v20
	v_lshrrev_b32_e32 v18, s17, v18
	s_delay_alu instid0(VALU_DEP_2) | instskip(SKIP_1) | instid1(VALU_DEP_3)
	v_mul_lo_u32 v20, v15, s24
	v_mul_lo_u32 v22, v15, s25
	v_mul_hi_u32 v19, s19, v18
	s_delay_alu instid0(VALU_DEP_1) | instskip(NEXT) | instid1(VALU_DEP_1)
	v_add_nc_u32_e32 v19, v18, v19
	v_lshrrev_b32_e32 v19, s36, v19
	s_delay_alu instid0(VALU_DEP_1) | instskip(SKIP_1) | instid1(VALU_DEP_2)
	v_mul_hi_u32 v21, s38, v19
	v_mul_lo_u32 v23, v19, s18
	v_add_nc_u32_e32 v15, v19, v21
	v_mul_lo_u32 v21, v18, s15
	s_delay_alu instid0(VALU_DEP_3) | instskip(NEXT) | instid1(VALU_DEP_3)
	v_sub_nc_u32_e32 v18, v18, v23
	v_lshrrev_b32_e32 v15, s39, v15
	s_delay_alu instid0(VALU_DEP_2) | instskip(SKIP_2) | instid1(VALU_DEP_4)
	v_mul_lo_u32 v23, v18, s28
	v_mul_lo_u32 v18, v18, s29
	v_sub_nc_u32_e32 v17, v17, v21
	v_mul_lo_u32 v24, v15, s37
	s_delay_alu instid0(VALU_DEP_2) | instskip(SKIP_1) | instid1(VALU_DEP_3)
	v_mul_lo_u32 v21, v17, s26
	v_mul_lo_u32 v17, v17, s27
	v_sub_nc_u32_e32 v19, v19, v24
	s_delay_alu instid0(VALU_DEP_3) | instskip(NEXT) | instid1(VALU_DEP_2)
	v_add3_u32 v10, v20, v10, v21
	v_mul_lo_u32 v24, v19, s30
	v_mul_lo_u32 v19, v19, s31
	v_add3_u32 v11, v22, v11, v17
	s_delay_alu instid0(VALU_DEP_3) | instskip(NEXT) | instid1(VALU_DEP_2)
	v_add3_u32 v10, v23, v10, v24
	v_add3_u32 v11, v18, v11, v19
	s_cbranch_scc1 .LBB359_85
; %bb.86:
	s_and_b32 s7, s7, 3
	s_delay_alu instid0(SALU_CYCLE_1)
	s_cmp_eq_u32 s7, 0
	s_cbranch_scc0 .LBB359_89
	s_branch .LBB359_91
.LBB359_87:
	s_mov_b32 s6, -1
                                        ; implicit-def: $vgpr10
                                        ; implicit-def: $vgpr11
	s_branch .LBB359_91
.LBB359_88:
	v_mov_b32_e32 v15, v13
	v_mov_b32_e32 v11, 0
	s_and_b32 s7, s7, 3
	s_delay_alu instid0(SALU_CYCLE_1)
	s_cmp_eq_u32 s7, 0
	s_cbranch_scc1 .LBB359_91
.LBB359_89:
	s_lshl_b32 s2, s8, 3
	s_mul_i32 s4, s8, 12
	s_add_u32 s2, s2, s0
	s_addc_u32 s3, 0, s1
	s_add_u32 s2, s2, 0xc4
	s_addc_u32 s3, s3, 0
	s_add_u32 s4, s0, s4
	s_addc_u32 s5, 0, s1
	.p2align	6
.LBB359_90:                             ; =>This Inner Loop Header: Depth=1
	s_clause 0x1
	s_load_b64 s[8:9], s[4:5], 0x4
	s_load_b32 s12, s[4:5], 0xc
	s_load_b64 s[10:11], s[2:3], 0x0
	s_add_u32 s4, s4, 12
	s_addc_u32 s5, s5, 0
	s_add_u32 s2, s2, 8
	s_addc_u32 s3, s3, 0
	s_add_i32 s7, s7, -1
	s_delay_alu instid0(SALU_CYCLE_1) | instskip(SKIP_2) | instid1(VALU_DEP_1)
	s_cmp_lg_u32 s7, 0
	s_waitcnt lgkmcnt(0)
	v_mul_hi_u32 v17, s9, v15
	v_add_nc_u32_e32 v17, v15, v17
	s_delay_alu instid0(VALU_DEP_1) | instskip(NEXT) | instid1(VALU_DEP_1)
	v_lshrrev_b32_e32 v20, s12, v17
	v_mul_lo_u32 v17, v20, s8
	s_delay_alu instid0(VALU_DEP_1) | instskip(NEXT) | instid1(VALU_DEP_1)
	v_sub_nc_u32_e32 v15, v15, v17
	v_mad_u64_u32 v[17:18], null, v15, s10, v[10:11]
	v_mad_u64_u32 v[18:19], null, v15, s11, v[11:12]
	s_delay_alu instid0(VALU_DEP_2) | instskip(NEXT) | instid1(VALU_DEP_2)
	v_dual_mov_b32 v15, v20 :: v_dual_mov_b32 v10, v17
	v_mov_b32_e32 v11, v18
	s_cbranch_scc1 .LBB359_90
.LBB359_91:
	s_and_not1_b32 vcc_lo, exec_lo, s6
	s_cbranch_vccnz .LBB359_94
; %bb.92:
	s_clause 0x1
	s_load_b128 s[4:7], s[0:1], 0x4
	s_load_b64 s[2:3], s[0:1], 0xc4
	s_cmp_lt_u32 s22, 2
	s_waitcnt lgkmcnt(0)
	v_mul_hi_u32 v10, s5, v13
	s_delay_alu instid0(VALU_DEP_1) | instskip(NEXT) | instid1(VALU_DEP_1)
	v_add_nc_u32_e32 v10, v13, v10
	v_lshrrev_b32_e32 v15, s6, v10
	s_delay_alu instid0(VALU_DEP_1) | instskip(NEXT) | instid1(VALU_DEP_1)
	v_mul_lo_u32 v10, v15, s4
	v_sub_nc_u32_e32 v11, v13, v10
	s_delay_alu instid0(VALU_DEP_1)
	v_mul_lo_u32 v10, v11, s2
	v_mul_lo_u32 v11, v11, s3
	s_cbranch_scc1 .LBB359_94
; %bb.93:
	s_clause 0x1
	s_load_b128 s[4:7], s[0:1], 0x10
	s_load_b64 s[2:3], s[0:1], 0xcc
	s_waitcnt lgkmcnt(0)
	v_mul_hi_u32 v13, s5, v15
	s_delay_alu instid0(VALU_DEP_1) | instskip(NEXT) | instid1(VALU_DEP_1)
	v_add_nc_u32_e32 v13, v15, v13
	v_lshrrev_b32_e32 v13, s6, v13
	s_delay_alu instid0(VALU_DEP_1) | instskip(NEXT) | instid1(VALU_DEP_1)
	v_mul_lo_u32 v13, v13, s4
	v_sub_nc_u32_e32 v13, v15, v13
	s_delay_alu instid0(VALU_DEP_1) | instskip(SKIP_1) | instid1(VALU_DEP_1)
	v_mad_u64_u32 v[17:18], null, v13, s2, v[10:11]
	v_mad_u64_u32 v[18:19], null, v13, s3, v[11:12]
	v_dual_mov_b32 v10, v17 :: v_dual_mov_b32 v11, v18
.LBB359_94:
	v_cmp_ne_u32_e32 vcc_lo, 1, v14
	v_add_nc_u32_e32 v15, 0x300, v12
	s_cbranch_vccnz .LBB359_100
; %bb.95:
	v_dual_mov_b32 v12, 0 :: v_dual_mov_b32 v13, 0
	s_cmp_lg_u32 s22, 0
	s_mov_b32 s6, 0
	s_cbranch_scc0 .LBB359_104
; %bb.96:
	s_min_u32 s7, s23, 15
	v_mov_b32_e32 v12, 0
	s_add_i32 s7, s7, 1
	s_cmp_eq_u32 s23, 2
	s_mov_b32 s8, 0
	s_cbranch_scc1 .LBB359_101
; %bb.97:
	v_dual_mov_b32 v13, 0 :: v_dual_mov_b32 v12, 0
	v_mov_b32_e32 v17, v15
	s_add_u32 s2, s0, 0xc4
	s_addc_u32 s3, s1, 0
	s_and_b32 s8, s7, 28
	s_mov_b32 s9, 0
	s_mov_b64 s[4:5], s[0:1]
.LBB359_98:                             ; =>This Inner Loop Header: Depth=1
	s_clause 0x1
	s_load_b256 s[12:19], s[4:5], 0x4
	s_load_b128 s[36:39], s[4:5], 0x24
	s_load_b256 s[24:31], s[2:3], 0x0
	s_add_u32 s4, s4, 48
	s_addc_u32 s5, s5, 0
	s_add_i32 s9, s9, 4
	s_add_u32 s2, s2, 32
	s_addc_u32 s3, s3, 0
	s_cmp_lg_u32 s8, s9
	s_waitcnt lgkmcnt(0)
	v_mul_hi_u32 v18, s13, v17
	s_delay_alu instid0(VALU_DEP_1) | instskip(NEXT) | instid1(VALU_DEP_1)
	v_add_nc_u32_e32 v18, v17, v18
	v_lshrrev_b32_e32 v18, s14, v18
	s_delay_alu instid0(VALU_DEP_1) | instskip(SKIP_1) | instid1(VALU_DEP_2)
	v_mul_hi_u32 v19, s16, v18
	v_mul_lo_u32 v21, v18, s12
	v_add_nc_u32_e32 v19, v18, v19
	s_delay_alu instid0(VALU_DEP_2) | instskip(NEXT) | instid1(VALU_DEP_2)
	v_sub_nc_u32_e32 v17, v17, v21
	v_lshrrev_b32_e32 v19, s17, v19
	s_delay_alu instid0(VALU_DEP_2) | instskip(SKIP_1) | instid1(VALU_DEP_3)
	v_mul_lo_u32 v21, v17, s24
	v_mul_lo_u32 v23, v17, s25
	v_mul_hi_u32 v20, s19, v19
	s_delay_alu instid0(VALU_DEP_1) | instskip(NEXT) | instid1(VALU_DEP_1)
	v_add_nc_u32_e32 v20, v19, v20
	v_lshrrev_b32_e32 v20, s36, v20
	s_delay_alu instid0(VALU_DEP_1) | instskip(SKIP_1) | instid1(VALU_DEP_2)
	v_mul_hi_u32 v22, s38, v20
	v_mul_lo_u32 v24, v20, s18
	v_add_nc_u32_e32 v17, v20, v22
	v_mul_lo_u32 v22, v19, s15
	s_delay_alu instid0(VALU_DEP_3) | instskip(NEXT) | instid1(VALU_DEP_3)
	v_sub_nc_u32_e32 v19, v19, v24
	v_lshrrev_b32_e32 v17, s39, v17
	s_delay_alu instid0(VALU_DEP_2) | instskip(SKIP_2) | instid1(VALU_DEP_4)
	v_mul_lo_u32 v24, v19, s28
	v_mul_lo_u32 v19, v19, s29
	v_sub_nc_u32_e32 v18, v18, v22
	v_mul_lo_u32 v25, v17, s37
	s_delay_alu instid0(VALU_DEP_2) | instskip(SKIP_1) | instid1(VALU_DEP_3)
	v_mul_lo_u32 v22, v18, s26
	v_mul_lo_u32 v18, v18, s27
	v_sub_nc_u32_e32 v20, v20, v25
	s_delay_alu instid0(VALU_DEP_3) | instskip(NEXT) | instid1(VALU_DEP_2)
	v_add3_u32 v12, v21, v12, v22
	v_mul_lo_u32 v25, v20, s30
	v_mul_lo_u32 v20, v20, s31
	v_add3_u32 v13, v23, v13, v18
	s_delay_alu instid0(VALU_DEP_3) | instskip(NEXT) | instid1(VALU_DEP_2)
	v_add3_u32 v12, v24, v12, v25
	v_add3_u32 v13, v19, v13, v20
	s_cbranch_scc1 .LBB359_98
; %bb.99:
	s_and_b32 s7, s7, 3
	s_delay_alu instid0(SALU_CYCLE_1)
	s_cmp_eq_u32 s7, 0
	s_cbranch_scc0 .LBB359_102
	s_branch .LBB359_104
.LBB359_100:
	s_mov_b32 s6, -1
                                        ; implicit-def: $vgpr12
                                        ; implicit-def: $vgpr13
	s_branch .LBB359_104
.LBB359_101:
	v_mov_b32_e32 v17, v15
	v_mov_b32_e32 v13, 0
	s_and_b32 s7, s7, 3
	s_delay_alu instid0(SALU_CYCLE_1)
	s_cmp_eq_u32 s7, 0
	s_cbranch_scc1 .LBB359_104
.LBB359_102:
	s_lshl_b32 s2, s8, 3
	s_mul_i32 s4, s8, 12
	s_add_u32 s2, s2, s0
	s_addc_u32 s3, 0, s1
	s_add_u32 s2, s2, 0xc4
	s_addc_u32 s3, s3, 0
	;; [unrolled: 2-line block ×3, first 2 shown]
	.p2align	6
.LBB359_103:                            ; =>This Inner Loop Header: Depth=1
	s_clause 0x1
	s_load_b64 s[8:9], s[4:5], 0x4
	s_load_b32 s12, s[4:5], 0xc
	s_load_b64 s[10:11], s[2:3], 0x0
	s_add_u32 s4, s4, 12
	s_addc_u32 s5, s5, 0
	s_add_u32 s2, s2, 8
	s_addc_u32 s3, s3, 0
	s_add_i32 s7, s7, -1
	s_delay_alu instid0(SALU_CYCLE_1) | instskip(SKIP_2) | instid1(VALU_DEP_1)
	s_cmp_lg_u32 s7, 0
	s_waitcnt lgkmcnt(0)
	v_mul_hi_u32 v18, s9, v17
	v_add_nc_u32_e32 v18, v17, v18
	s_delay_alu instid0(VALU_DEP_1) | instskip(NEXT) | instid1(VALU_DEP_1)
	v_lshrrev_b32_e32 v21, s12, v18
	v_mul_lo_u32 v18, v21, s8
	s_delay_alu instid0(VALU_DEP_1) | instskip(NEXT) | instid1(VALU_DEP_1)
	v_sub_nc_u32_e32 v17, v17, v18
	v_mad_u64_u32 v[18:19], null, v17, s10, v[12:13]
	v_mad_u64_u32 v[19:20], null, v17, s11, v[13:14]
	s_delay_alu instid0(VALU_DEP_2) | instskip(NEXT) | instid1(VALU_DEP_2)
	v_dual_mov_b32 v17, v21 :: v_dual_mov_b32 v12, v18
	v_mov_b32_e32 v13, v19
	s_cbranch_scc1 .LBB359_103
.LBB359_104:
	s_and_not1_b32 vcc_lo, exec_lo, s6
	s_cbranch_vccnz .LBB359_107
; %bb.105:
	s_clause 0x1
	s_load_b128 s[4:7], s[0:1], 0x4
	s_load_b64 s[2:3], s[0:1], 0xc4
	s_cmp_lt_u32 s22, 2
	s_waitcnt lgkmcnt(0)
	v_mul_hi_u32 v12, s5, v15
	s_delay_alu instid0(VALU_DEP_1) | instskip(NEXT) | instid1(VALU_DEP_1)
	v_add_nc_u32_e32 v12, v15, v12
	v_lshrrev_b32_e32 v17, s6, v12
	s_delay_alu instid0(VALU_DEP_1) | instskip(NEXT) | instid1(VALU_DEP_1)
	v_mul_lo_u32 v12, v17, s4
	v_sub_nc_u32_e32 v13, v15, v12
	s_delay_alu instid0(VALU_DEP_1)
	v_mul_lo_u32 v12, v13, s2
	v_mul_lo_u32 v13, v13, s3
	s_cbranch_scc1 .LBB359_107
; %bb.106:
	s_clause 0x1
	s_load_b128 s[4:7], s[0:1], 0x10
	s_load_b64 s[2:3], s[0:1], 0xcc
	s_waitcnt lgkmcnt(0)
	v_mul_hi_u32 v15, s5, v17
	s_delay_alu instid0(VALU_DEP_1) | instskip(NEXT) | instid1(VALU_DEP_1)
	v_add_nc_u32_e32 v15, v17, v15
	v_lshrrev_b32_e32 v15, s6, v15
	s_delay_alu instid0(VALU_DEP_1) | instskip(NEXT) | instid1(VALU_DEP_1)
	v_mul_lo_u32 v15, v15, s4
	v_sub_nc_u32_e32 v15, v17, v15
	s_delay_alu instid0(VALU_DEP_1) | instskip(SKIP_1) | instid1(VALU_DEP_1)
	v_mad_u64_u32 v[17:18], null, v15, s2, v[12:13]
	v_mad_u64_u32 v[18:19], null, v15, s3, v[13:14]
	v_dual_mov_b32 v12, v17 :: v_dual_mov_b32 v13, v18
.LBB359_107:
	v_cmp_ne_u32_e32 vcc_lo, 1, v14
	s_cbranch_vccnz .LBB359_113
; %bb.108:
	v_dual_mov_b32 v14, 0 :: v_dual_mov_b32 v15, 0
	s_cmp_lg_u32 s22, 0
	s_mov_b32 s6, 0
	s_cbranch_scc0 .LBB359_117
; %bb.109:
	s_min_u32 s7, s23, 15
	v_mov_b32_e32 v14, 0
	s_add_i32 s7, s7, 1
	s_cmp_eq_u32 s23, 2
	s_mov_b32 s8, 0
	s_cbranch_scc1 .LBB359_114
; %bb.110:
	v_dual_mov_b32 v15, 0 :: v_dual_mov_b32 v14, 0
	v_mov_b32_e32 v17, v16
	s_add_u32 s2, s0, 0xc4
	s_addc_u32 s3, s1, 0
	s_and_b32 s8, s7, 28
	s_mov_b32 s9, 0
	s_mov_b64 s[4:5], s[0:1]
.LBB359_111:                            ; =>This Inner Loop Header: Depth=1
	s_clause 0x1
	s_load_b256 s[12:19], s[4:5], 0x4
	s_load_b128 s[36:39], s[4:5], 0x24
	s_load_b256 s[24:31], s[2:3], 0x0
	s_add_u32 s4, s4, 48
	s_addc_u32 s5, s5, 0
	s_add_i32 s9, s9, 4
	s_add_u32 s2, s2, 32
	s_addc_u32 s3, s3, 0
	s_cmp_lg_u32 s8, s9
	s_waitcnt lgkmcnt(0)
	v_mul_hi_u32 v18, s13, v17
	s_delay_alu instid0(VALU_DEP_1) | instskip(NEXT) | instid1(VALU_DEP_1)
	v_add_nc_u32_e32 v18, v17, v18
	v_lshrrev_b32_e32 v18, s14, v18
	s_delay_alu instid0(VALU_DEP_1) | instskip(SKIP_1) | instid1(VALU_DEP_2)
	v_mul_hi_u32 v19, s16, v18
	v_mul_lo_u32 v21, v18, s12
	v_add_nc_u32_e32 v19, v18, v19
	s_delay_alu instid0(VALU_DEP_2) | instskip(NEXT) | instid1(VALU_DEP_2)
	v_sub_nc_u32_e32 v17, v17, v21
	v_lshrrev_b32_e32 v19, s17, v19
	s_delay_alu instid0(VALU_DEP_2) | instskip(SKIP_1) | instid1(VALU_DEP_3)
	v_mul_lo_u32 v21, v17, s24
	v_mul_lo_u32 v23, v17, s25
	v_mul_hi_u32 v20, s19, v19
	s_delay_alu instid0(VALU_DEP_1) | instskip(NEXT) | instid1(VALU_DEP_1)
	v_add_nc_u32_e32 v20, v19, v20
	v_lshrrev_b32_e32 v20, s36, v20
	s_delay_alu instid0(VALU_DEP_1) | instskip(SKIP_1) | instid1(VALU_DEP_2)
	v_mul_hi_u32 v22, s38, v20
	v_mul_lo_u32 v24, v20, s18
	v_add_nc_u32_e32 v17, v20, v22
	v_mul_lo_u32 v22, v19, s15
	s_delay_alu instid0(VALU_DEP_3) | instskip(NEXT) | instid1(VALU_DEP_3)
	v_sub_nc_u32_e32 v19, v19, v24
	v_lshrrev_b32_e32 v17, s39, v17
	s_delay_alu instid0(VALU_DEP_2) | instskip(SKIP_2) | instid1(VALU_DEP_4)
	v_mul_lo_u32 v24, v19, s28
	v_mul_lo_u32 v19, v19, s29
	v_sub_nc_u32_e32 v18, v18, v22
	v_mul_lo_u32 v25, v17, s37
	s_delay_alu instid0(VALU_DEP_2) | instskip(SKIP_1) | instid1(VALU_DEP_3)
	v_mul_lo_u32 v22, v18, s26
	v_mul_lo_u32 v18, v18, s27
	v_sub_nc_u32_e32 v20, v20, v25
	s_delay_alu instid0(VALU_DEP_3) | instskip(NEXT) | instid1(VALU_DEP_2)
	v_add3_u32 v14, v21, v14, v22
	v_mul_lo_u32 v25, v20, s30
	v_mul_lo_u32 v20, v20, s31
	v_add3_u32 v15, v23, v15, v18
	s_delay_alu instid0(VALU_DEP_3) | instskip(NEXT) | instid1(VALU_DEP_2)
	v_add3_u32 v14, v24, v14, v25
	v_add3_u32 v15, v19, v15, v20
	s_cbranch_scc1 .LBB359_111
; %bb.112:
	s_and_b32 s7, s7, 3
	s_delay_alu instid0(SALU_CYCLE_1)
	s_cmp_eq_u32 s7, 0
	s_cbranch_scc0 .LBB359_115
	s_branch .LBB359_117
.LBB359_113:
	s_mov_b32 s6, -1
                                        ; implicit-def: $vgpr14
                                        ; implicit-def: $vgpr15
	s_branch .LBB359_117
.LBB359_114:
	v_mov_b32_e32 v17, v16
	v_mov_b32_e32 v15, 0
	s_and_b32 s7, s7, 3
	s_delay_alu instid0(SALU_CYCLE_1)
	s_cmp_eq_u32 s7, 0
	s_cbranch_scc1 .LBB359_117
.LBB359_115:
	s_lshl_b32 s2, s8, 3
	s_mul_i32 s4, s8, 12
	s_add_u32 s2, s2, s0
	s_addc_u32 s3, 0, s1
	s_add_u32 s2, s2, 0xc4
	s_addc_u32 s3, s3, 0
	;; [unrolled: 2-line block ×3, first 2 shown]
	.p2align	6
.LBB359_116:                            ; =>This Inner Loop Header: Depth=1
	s_clause 0x1
	s_load_b64 s[8:9], s[4:5], 0x4
	s_load_b32 s12, s[4:5], 0xc
	s_load_b64 s[10:11], s[2:3], 0x0
	s_add_u32 s4, s4, 12
	s_addc_u32 s5, s5, 0
	s_add_u32 s2, s2, 8
	s_addc_u32 s3, s3, 0
	s_add_i32 s7, s7, -1
	s_delay_alu instid0(SALU_CYCLE_1) | instskip(SKIP_2) | instid1(VALU_DEP_1)
	s_cmp_lg_u32 s7, 0
	s_waitcnt lgkmcnt(0)
	v_mul_hi_u32 v18, s9, v17
	v_add_nc_u32_e32 v18, v17, v18
	s_delay_alu instid0(VALU_DEP_1) | instskip(NEXT) | instid1(VALU_DEP_1)
	v_lshrrev_b32_e32 v21, s12, v18
	v_mul_lo_u32 v18, v21, s8
	s_delay_alu instid0(VALU_DEP_1) | instskip(NEXT) | instid1(VALU_DEP_1)
	v_sub_nc_u32_e32 v17, v17, v18
	v_mad_u64_u32 v[18:19], null, v17, s10, v[14:15]
	v_mad_u64_u32 v[19:20], null, v17, s11, v[15:16]
	s_delay_alu instid0(VALU_DEP_2) | instskip(NEXT) | instid1(VALU_DEP_2)
	v_dual_mov_b32 v17, v21 :: v_dual_mov_b32 v14, v18
	v_mov_b32_e32 v15, v19
	s_cbranch_scc1 .LBB359_116
.LBB359_117:
	s_and_not1_b32 vcc_lo, exec_lo, s6
	s_cbranch_vccnz .LBB359_120
; %bb.118:
	s_clause 0x1
	s_load_b128 s[4:7], s[0:1], 0x4
	s_load_b64 s[2:3], s[0:1], 0xc4
	s_cmp_lt_u32 s22, 2
	s_waitcnt lgkmcnt(0)
	v_mul_hi_u32 v14, s5, v16
	s_delay_alu instid0(VALU_DEP_1) | instskip(NEXT) | instid1(VALU_DEP_1)
	v_add_nc_u32_e32 v14, v16, v14
	v_lshrrev_b32_e32 v17, s6, v14
	s_delay_alu instid0(VALU_DEP_1) | instskip(NEXT) | instid1(VALU_DEP_1)
	v_mul_lo_u32 v14, v17, s4
	v_sub_nc_u32_e32 v15, v16, v14
	s_delay_alu instid0(VALU_DEP_1)
	v_mul_lo_u32 v14, v15, s2
	v_mul_lo_u32 v15, v15, s3
	s_cbranch_scc1 .LBB359_120
; %bb.119:
	s_clause 0x1
	s_load_b128 s[4:7], s[0:1], 0x10
	s_load_b64 s[2:3], s[0:1], 0xcc
	s_waitcnt lgkmcnt(0)
	v_mul_hi_u32 v16, s5, v17
	s_delay_alu instid0(VALU_DEP_1) | instskip(NEXT) | instid1(VALU_DEP_1)
	v_add_nc_u32_e32 v16, v17, v16
	v_lshrrev_b32_e32 v16, s6, v16
	s_delay_alu instid0(VALU_DEP_1) | instskip(NEXT) | instid1(VALU_DEP_1)
	v_mul_lo_u32 v16, v16, s4
	v_sub_nc_u32_e32 v19, v17, v16
	s_delay_alu instid0(VALU_DEP_1) | instskip(NEXT) | instid1(VALU_DEP_1)
	v_mad_u64_u32 v[16:17], null, v19, s2, v[14:15]
	v_mad_u64_u32 v[17:18], null, v19, s3, v[15:16]
	s_delay_alu instid0(VALU_DEP_1)
	v_dual_mov_b32 v14, v16 :: v_dual_mov_b32 v15, v17
.LBB359_120:
	s_clause 0x1
	s_load_b128 s[4:7], s[0:1], 0x148
	s_load_b32 s0, s[0:1], 0x158
	s_waitcnt lgkmcnt(0)
	s_clause 0x7
	global_load_i8 v1, v1, s[6:7]
	global_load_i8 v3, v3, s[6:7]
	;; [unrolled: 1-line block ×8, first 2 shown]
	s_sext_i32_i8 s0, s0
	s_waitcnt vmcnt(7)
	v_max_i16 v1, v1, s0
	s_waitcnt vmcnt(6)
	v_max_i16 v3, v3, s0
	;; [unrolled: 2-line block ×8, first 2 shown]
	s_clause 0x7
	global_store_b8 v0, v1, s[4:5]
	global_store_b8 v2, v3, s[4:5]
	;; [unrolled: 1-line block ×8, first 2 shown]
	s_nop 0
	s_sendmsg sendmsg(MSG_DEALLOC_VGPRS)
	s_endpgm
.LBB359_121:
	v_dual_mov_b32 v2, v12 :: v_dual_mov_b32 v1, 0
.LBB359_122:
	s_and_b32 s35, s35, 3
	s_delay_alu instid0(SALU_CYCLE_1)
	s_cmp_eq_u32 s35, 0
	s_cbranch_scc1 .LBB359_125
; %bb.123:
	s_lshl_b32 s18, s34, 3
	s_mul_i32 s20, s34, 12
	s_add_u32 s18, s18, s0
	s_addc_u32 s19, s1, 0
	s_add_u32 s18, s18, 0xc4
	s_addc_u32 s19, s19, 0
	;; [unrolled: 2-line block ×3, first 2 shown]
	.p2align	6
.LBB359_124:                            ; =>This Inner Loop Header: Depth=1
	s_clause 0x1
	s_load_b64 s[36:37], s[20:21], 0x4
	s_load_b32 s34, s[20:21], 0xc
	s_load_b64 s[38:39], s[18:19], 0x0
	s_add_u32 s20, s20, 12
	s_addc_u32 s21, s21, 0
	s_add_u32 s18, s18, 8
	s_addc_u32 s19, s19, 0
	s_add_i32 s35, s35, -1
	s_delay_alu instid0(SALU_CYCLE_1) | instskip(SKIP_2) | instid1(VALU_DEP_1)
	s_cmp_lg_u32 s35, 0
	s_waitcnt lgkmcnt(0)
	v_mul_hi_u32 v3, s37, v2
	v_add_nc_u32_e32 v3, v2, v3
	s_delay_alu instid0(VALU_DEP_1) | instskip(NEXT) | instid1(VALU_DEP_1)
	v_lshrrev_b32_e32 v6, s34, v3
	v_mul_lo_u32 v3, v6, s36
	s_delay_alu instid0(VALU_DEP_1) | instskip(NEXT) | instid1(VALU_DEP_1)
	v_sub_nc_u32_e32 v2, v2, v3
	v_mad_u64_u32 v[3:4], null, v2, s38, v[0:1]
	v_mad_u64_u32 v[4:5], null, v2, s39, v[1:2]
	v_mov_b32_e32 v2, v6
	s_delay_alu instid0(VALU_DEP_2)
	v_dual_mov_b32 v0, v3 :: v_dual_mov_b32 v1, v4
	s_cbranch_scc1 .LBB359_124
.LBB359_125:
	s_and_not1_b32 vcc_lo, exec_lo, s33
	s_cbranch_vccnz .LBB359_128
; %bb.126:
	s_waitcnt lgkmcnt(0)
	v_mul_hi_u32 v0, s13, v12
	s_and_not1_b32 vcc_lo, exec_lo, s27
	s_delay_alu instid0(VALU_DEP_1) | instskip(NEXT) | instid1(VALU_DEP_1)
	v_add_nc_u32_e32 v0, v12, v0
	v_lshrrev_b32_e32 v2, s14, v0
	s_delay_alu instid0(VALU_DEP_1) | instskip(NEXT) | instid1(VALU_DEP_1)
	v_mul_lo_u32 v0, v2, s12
	v_sub_nc_u32_e32 v1, v12, v0
	s_delay_alu instid0(VALU_DEP_1)
	v_mul_lo_u32 v0, v1, s8
	v_mul_lo_u32 v1, v1, s9
	s_cbranch_vccnz .LBB359_128
; %bb.127:
	v_mul_hi_u32 v3, s2, v2
	s_delay_alu instid0(VALU_DEP_1) | instskip(NEXT) | instid1(VALU_DEP_1)
	v_add_nc_u32_e32 v3, v2, v3
	v_lshrrev_b32_e32 v3, s3, v3
	s_delay_alu instid0(VALU_DEP_1) | instskip(NEXT) | instid1(VALU_DEP_1)
	v_mul_lo_u32 v3, v3, s15
	v_sub_nc_u32_e32 v5, v2, v3
	s_delay_alu instid0(VALU_DEP_1) | instskip(NEXT) | instid1(VALU_DEP_1)
	v_mad_u64_u32 v[2:3], null, v5, s10, v[0:1]
	v_mad_u64_u32 v[3:4], null, v5, s11, v[1:2]
	s_delay_alu instid0(VALU_DEP_1)
	v_dual_mov_b32 v0, v2 :: v_dual_mov_b32 v1, v3
.LBB359_128:
	s_waitcnt lgkmcnt(0)
	global_load_i8 v1, v1, s[6:7]
	s_bfe_i32 s18, s26, 0x80000
	v_add_nc_u32_e32 v12, 0x80, v12
	s_waitcnt vmcnt(0)
	v_max_i16 v1, v1, s18
	global_store_b8 v0, v1, s[4:5]
	s_or_b32 exec_lo, exec_lo, s31
	s_delay_alu instid0(SALU_CYCLE_1)
	s_mov_b32 s31, exec_lo
	v_cmpx_gt_i32_e64 s28, v12
	s_cbranch_execnz .LBB359_15
.LBB359_129:
	s_or_b32 exec_lo, exec_lo, s31
	s_delay_alu instid0(SALU_CYCLE_1)
	s_mov_b32 s31, exec_lo
	v_cmpx_gt_i32_e64 s28, v12
	s_cbranch_execz .LBB359_144
.LBB359_130:
	s_and_not1_b32 vcc_lo, exec_lo, s24
	s_cbranch_vccnz .LBB359_135
; %bb.131:
	v_dual_mov_b32 v0, 0 :: v_dual_mov_b32 v1, 0
	s_and_not1_b32 vcc_lo, exec_lo, s30
	s_mov_b32 s33, 0
	s_cbranch_vccnz .LBB359_155
; %bb.132:
	v_mov_b32_e32 v0, 0
	s_add_i32 s35, s29, 1
	s_cmp_eq_u32 s23, 2
	s_mov_b32 s34, 0
	s_cbranch_scc1 .LBB359_151
; %bb.133:
	v_dual_mov_b32 v1, 0 :: v_dual_mov_b32 v0, 0
	v_mov_b32_e32 v2, v12
	s_and_b32 s34, s35, 28
	s_mov_b32 s36, 0
	s_mov_b64 s[18:19], s[16:17]
	s_mov_b64 s[20:21], s[0:1]
.LBB359_134:                            ; =>This Inner Loop Header: Depth=1
	s_clause 0x1
	s_load_b256 s[40:47], s[20:21], 0x4
	s_load_b128 s[56:59], s[20:21], 0x24
	s_load_b256 s[48:55], s[18:19], 0x0
	s_add_u32 s20, s20, 48
	s_addc_u32 s21, s21, 0
	s_add_i32 s36, s36, 4
	s_add_u32 s18, s18, 32
	s_addc_u32 s19, s19, 0
	s_cmp_eq_u32 s34, s36
	s_waitcnt lgkmcnt(0)
	v_mul_hi_u32 v3, s41, v2
	s_delay_alu instid0(VALU_DEP_1) | instskip(NEXT) | instid1(VALU_DEP_1)
	v_add_nc_u32_e32 v3, v2, v3
	v_lshrrev_b32_e32 v3, s42, v3
	s_delay_alu instid0(VALU_DEP_1) | instskip(SKIP_1) | instid1(VALU_DEP_2)
	v_mul_hi_u32 v4, s44, v3
	v_mul_lo_u32 v6, v3, s40
	v_add_nc_u32_e32 v4, v3, v4
	s_delay_alu instid0(VALU_DEP_2) | instskip(NEXT) | instid1(VALU_DEP_2)
	v_sub_nc_u32_e32 v2, v2, v6
	v_lshrrev_b32_e32 v4, s45, v4
	s_delay_alu instid0(VALU_DEP_2) | instskip(SKIP_1) | instid1(VALU_DEP_3)
	v_mul_lo_u32 v6, v2, s48
	v_mul_lo_u32 v8, v2, s49
	v_mul_hi_u32 v5, s47, v4
	s_delay_alu instid0(VALU_DEP_1) | instskip(NEXT) | instid1(VALU_DEP_1)
	v_add_nc_u32_e32 v5, v4, v5
	v_lshrrev_b32_e32 v5, s56, v5
	s_delay_alu instid0(VALU_DEP_1) | instskip(SKIP_1) | instid1(VALU_DEP_2)
	v_mul_hi_u32 v7, s58, v5
	v_mul_lo_u32 v9, v5, s46
	v_add_nc_u32_e32 v2, v5, v7
	v_mul_lo_u32 v7, v4, s43
	s_delay_alu instid0(VALU_DEP_3) | instskip(NEXT) | instid1(VALU_DEP_3)
	v_sub_nc_u32_e32 v4, v4, v9
	v_lshrrev_b32_e32 v2, s59, v2
	s_delay_alu instid0(VALU_DEP_2) | instskip(SKIP_2) | instid1(VALU_DEP_4)
	v_mul_lo_u32 v9, v4, s52
	v_mul_lo_u32 v4, v4, s53
	v_sub_nc_u32_e32 v3, v3, v7
	v_mul_lo_u32 v10, v2, s57
	s_delay_alu instid0(VALU_DEP_2) | instskip(SKIP_1) | instid1(VALU_DEP_3)
	v_mul_lo_u32 v7, v3, s50
	v_mul_lo_u32 v3, v3, s51
	v_sub_nc_u32_e32 v5, v5, v10
	s_delay_alu instid0(VALU_DEP_3) | instskip(NEXT) | instid1(VALU_DEP_2)
	v_add3_u32 v0, v6, v0, v7
	v_mul_lo_u32 v10, v5, s54
	v_mul_lo_u32 v5, v5, s55
	v_add3_u32 v1, v8, v1, v3
	s_delay_alu instid0(VALU_DEP_3) | instskip(NEXT) | instid1(VALU_DEP_2)
	v_add3_u32 v0, v9, v0, v10
	v_add3_u32 v1, v4, v1, v5
	s_cbranch_scc0 .LBB359_134
	s_branch .LBB359_152
.LBB359_135:
	s_mov_b32 s33, -1
                                        ; implicit-def: $vgpr0
                                        ; implicit-def: $vgpr1
	s_branch .LBB359_155
.LBB359_136:
	v_dual_mov_b32 v2, v12 :: v_dual_mov_b32 v1, 0
.LBB359_137:
	s_and_b32 s35, s35, 3
	s_delay_alu instid0(SALU_CYCLE_1)
	s_cmp_eq_u32 s35, 0
	s_cbranch_scc1 .LBB359_140
; %bb.138:
	s_lshl_b32 s18, s34, 3
	s_mul_i32 s20, s34, 12
	s_add_u32 s18, s18, s0
	s_addc_u32 s19, s1, 0
	s_add_u32 s18, s18, 0xc4
	s_addc_u32 s19, s19, 0
	;; [unrolled: 2-line block ×3, first 2 shown]
	.p2align	6
.LBB359_139:                            ; =>This Inner Loop Header: Depth=1
	s_clause 0x1
	s_load_b64 s[36:37], s[20:21], 0x4
	s_load_b32 s34, s[20:21], 0xc
	s_load_b64 s[38:39], s[18:19], 0x0
	s_add_u32 s20, s20, 12
	s_addc_u32 s21, s21, 0
	s_add_u32 s18, s18, 8
	s_addc_u32 s19, s19, 0
	s_add_i32 s35, s35, -1
	s_delay_alu instid0(SALU_CYCLE_1) | instskip(SKIP_2) | instid1(VALU_DEP_1)
	s_cmp_lg_u32 s35, 0
	s_waitcnt lgkmcnt(0)
	v_mul_hi_u32 v3, s37, v2
	v_add_nc_u32_e32 v3, v2, v3
	s_delay_alu instid0(VALU_DEP_1) | instskip(NEXT) | instid1(VALU_DEP_1)
	v_lshrrev_b32_e32 v6, s34, v3
	v_mul_lo_u32 v3, v6, s36
	s_delay_alu instid0(VALU_DEP_1) | instskip(NEXT) | instid1(VALU_DEP_1)
	v_sub_nc_u32_e32 v2, v2, v3
	v_mad_u64_u32 v[3:4], null, v2, s38, v[0:1]
	v_mad_u64_u32 v[4:5], null, v2, s39, v[1:2]
	v_mov_b32_e32 v2, v6
	s_delay_alu instid0(VALU_DEP_2)
	v_dual_mov_b32 v0, v3 :: v_dual_mov_b32 v1, v4
	s_cbranch_scc1 .LBB359_139
.LBB359_140:
	s_and_not1_b32 vcc_lo, exec_lo, s33
	s_cbranch_vccnz .LBB359_143
; %bb.141:
	s_waitcnt lgkmcnt(0)
	v_mul_hi_u32 v0, s13, v12
	s_and_not1_b32 vcc_lo, exec_lo, s27
	s_delay_alu instid0(VALU_DEP_1) | instskip(NEXT) | instid1(VALU_DEP_1)
	v_add_nc_u32_e32 v0, v12, v0
	v_lshrrev_b32_e32 v2, s14, v0
	s_delay_alu instid0(VALU_DEP_1) | instskip(NEXT) | instid1(VALU_DEP_1)
	v_mul_lo_u32 v0, v2, s12
	v_sub_nc_u32_e32 v1, v12, v0
	s_delay_alu instid0(VALU_DEP_1)
	v_mul_lo_u32 v0, v1, s8
	v_mul_lo_u32 v1, v1, s9
	s_cbranch_vccnz .LBB359_143
; %bb.142:
	v_mul_hi_u32 v3, s2, v2
	s_delay_alu instid0(VALU_DEP_1) | instskip(NEXT) | instid1(VALU_DEP_1)
	v_add_nc_u32_e32 v3, v2, v3
	v_lshrrev_b32_e32 v3, s3, v3
	s_delay_alu instid0(VALU_DEP_1) | instskip(NEXT) | instid1(VALU_DEP_1)
	v_mul_lo_u32 v3, v3, s15
	v_sub_nc_u32_e32 v5, v2, v3
	s_delay_alu instid0(VALU_DEP_1) | instskip(NEXT) | instid1(VALU_DEP_1)
	v_mad_u64_u32 v[2:3], null, v5, s10, v[0:1]
	v_mad_u64_u32 v[3:4], null, v5, s11, v[1:2]
	s_delay_alu instid0(VALU_DEP_1)
	v_dual_mov_b32 v0, v2 :: v_dual_mov_b32 v1, v3
.LBB359_143:
	s_waitcnt lgkmcnt(0)
	global_load_i8 v1, v1, s[6:7]
	s_bfe_i32 s18, s26, 0x80000
	v_add_nc_u32_e32 v12, 0x80, v12
	s_waitcnt vmcnt(0)
	v_max_i16 v1, v1, s18
	global_store_b8 v0, v1, s[4:5]
	s_or_b32 exec_lo, exec_lo, s31
	s_delay_alu instid0(SALU_CYCLE_1)
	s_mov_b32 s31, exec_lo
	v_cmpx_gt_i32_e64 s28, v12
	s_cbranch_execnz .LBB359_130
.LBB359_144:
	s_or_b32 exec_lo, exec_lo, s31
	s_delay_alu instid0(SALU_CYCLE_1)
	s_mov_b32 s31, exec_lo
	v_cmpx_gt_i32_e64 s28, v12
	s_cbranch_execz .LBB359_159
.LBB359_145:
	s_and_not1_b32 vcc_lo, exec_lo, s24
	s_cbranch_vccnz .LBB359_150
; %bb.146:
	v_dual_mov_b32 v0, 0 :: v_dual_mov_b32 v1, 0
	s_and_not1_b32 vcc_lo, exec_lo, s30
	s_mov_b32 s33, 0
	s_cbranch_vccnz .LBB359_170
; %bb.147:
	v_mov_b32_e32 v0, 0
	s_add_i32 s35, s29, 1
	s_cmp_eq_u32 s23, 2
	s_mov_b32 s34, 0
	s_cbranch_scc1 .LBB359_166
; %bb.148:
	v_dual_mov_b32 v1, 0 :: v_dual_mov_b32 v0, 0
	v_mov_b32_e32 v2, v12
	s_and_b32 s34, s35, 28
	s_mov_b32 s36, 0
	s_mov_b64 s[18:19], s[16:17]
	s_mov_b64 s[20:21], s[0:1]
.LBB359_149:                            ; =>This Inner Loop Header: Depth=1
	s_clause 0x1
	s_load_b256 s[40:47], s[20:21], 0x4
	s_load_b128 s[56:59], s[20:21], 0x24
	s_load_b256 s[48:55], s[18:19], 0x0
	s_add_u32 s20, s20, 48
	s_addc_u32 s21, s21, 0
	s_add_i32 s36, s36, 4
	s_add_u32 s18, s18, 32
	s_addc_u32 s19, s19, 0
	s_cmp_eq_u32 s34, s36
	s_waitcnt lgkmcnt(0)
	v_mul_hi_u32 v3, s41, v2
	s_delay_alu instid0(VALU_DEP_1) | instskip(NEXT) | instid1(VALU_DEP_1)
	v_add_nc_u32_e32 v3, v2, v3
	v_lshrrev_b32_e32 v3, s42, v3
	s_delay_alu instid0(VALU_DEP_1) | instskip(SKIP_1) | instid1(VALU_DEP_2)
	v_mul_hi_u32 v4, s44, v3
	v_mul_lo_u32 v6, v3, s40
	v_add_nc_u32_e32 v4, v3, v4
	s_delay_alu instid0(VALU_DEP_2) | instskip(NEXT) | instid1(VALU_DEP_2)
	v_sub_nc_u32_e32 v2, v2, v6
	v_lshrrev_b32_e32 v4, s45, v4
	s_delay_alu instid0(VALU_DEP_2) | instskip(SKIP_1) | instid1(VALU_DEP_3)
	v_mul_lo_u32 v6, v2, s48
	v_mul_lo_u32 v8, v2, s49
	v_mul_hi_u32 v5, s47, v4
	s_delay_alu instid0(VALU_DEP_1) | instskip(NEXT) | instid1(VALU_DEP_1)
	v_add_nc_u32_e32 v5, v4, v5
	v_lshrrev_b32_e32 v5, s56, v5
	s_delay_alu instid0(VALU_DEP_1) | instskip(SKIP_1) | instid1(VALU_DEP_2)
	v_mul_hi_u32 v7, s58, v5
	v_mul_lo_u32 v9, v5, s46
	v_add_nc_u32_e32 v2, v5, v7
	v_mul_lo_u32 v7, v4, s43
	s_delay_alu instid0(VALU_DEP_3) | instskip(NEXT) | instid1(VALU_DEP_3)
	v_sub_nc_u32_e32 v4, v4, v9
	v_lshrrev_b32_e32 v2, s59, v2
	s_delay_alu instid0(VALU_DEP_2) | instskip(SKIP_2) | instid1(VALU_DEP_4)
	v_mul_lo_u32 v9, v4, s52
	v_mul_lo_u32 v4, v4, s53
	v_sub_nc_u32_e32 v3, v3, v7
	v_mul_lo_u32 v10, v2, s57
	s_delay_alu instid0(VALU_DEP_2) | instskip(SKIP_1) | instid1(VALU_DEP_3)
	v_mul_lo_u32 v7, v3, s50
	v_mul_lo_u32 v3, v3, s51
	v_sub_nc_u32_e32 v5, v5, v10
	s_delay_alu instid0(VALU_DEP_3) | instskip(NEXT) | instid1(VALU_DEP_2)
	v_add3_u32 v0, v6, v0, v7
	v_mul_lo_u32 v10, v5, s54
	v_mul_lo_u32 v5, v5, s55
	v_add3_u32 v1, v8, v1, v3
	s_delay_alu instid0(VALU_DEP_3) | instskip(NEXT) | instid1(VALU_DEP_2)
	v_add3_u32 v0, v9, v0, v10
	v_add3_u32 v1, v4, v1, v5
	s_cbranch_scc0 .LBB359_149
	s_branch .LBB359_167
.LBB359_150:
	s_mov_b32 s33, -1
                                        ; implicit-def: $vgpr0
                                        ; implicit-def: $vgpr1
	s_branch .LBB359_170
.LBB359_151:
	v_dual_mov_b32 v2, v12 :: v_dual_mov_b32 v1, 0
.LBB359_152:
	s_and_b32 s35, s35, 3
	s_delay_alu instid0(SALU_CYCLE_1)
	s_cmp_eq_u32 s35, 0
	s_cbranch_scc1 .LBB359_155
; %bb.153:
	s_lshl_b32 s18, s34, 3
	s_mul_i32 s20, s34, 12
	s_add_u32 s18, s18, s0
	s_addc_u32 s19, s1, 0
	s_add_u32 s18, s18, 0xc4
	s_addc_u32 s19, s19, 0
	;; [unrolled: 2-line block ×3, first 2 shown]
	.p2align	6
.LBB359_154:                            ; =>This Inner Loop Header: Depth=1
	s_clause 0x1
	s_load_b64 s[36:37], s[20:21], 0x4
	s_load_b32 s34, s[20:21], 0xc
	s_load_b64 s[38:39], s[18:19], 0x0
	s_add_u32 s20, s20, 12
	s_addc_u32 s21, s21, 0
	s_add_u32 s18, s18, 8
	s_addc_u32 s19, s19, 0
	s_add_i32 s35, s35, -1
	s_delay_alu instid0(SALU_CYCLE_1) | instskip(SKIP_2) | instid1(VALU_DEP_1)
	s_cmp_lg_u32 s35, 0
	s_waitcnt lgkmcnt(0)
	v_mul_hi_u32 v3, s37, v2
	v_add_nc_u32_e32 v3, v2, v3
	s_delay_alu instid0(VALU_DEP_1) | instskip(NEXT) | instid1(VALU_DEP_1)
	v_lshrrev_b32_e32 v6, s34, v3
	v_mul_lo_u32 v3, v6, s36
	s_delay_alu instid0(VALU_DEP_1) | instskip(NEXT) | instid1(VALU_DEP_1)
	v_sub_nc_u32_e32 v2, v2, v3
	v_mad_u64_u32 v[3:4], null, v2, s38, v[0:1]
	v_mad_u64_u32 v[4:5], null, v2, s39, v[1:2]
	v_mov_b32_e32 v2, v6
	s_delay_alu instid0(VALU_DEP_2)
	v_dual_mov_b32 v0, v3 :: v_dual_mov_b32 v1, v4
	s_cbranch_scc1 .LBB359_154
.LBB359_155:
	s_and_not1_b32 vcc_lo, exec_lo, s33
	s_cbranch_vccnz .LBB359_158
; %bb.156:
	s_waitcnt lgkmcnt(0)
	v_mul_hi_u32 v0, s13, v12
	s_and_not1_b32 vcc_lo, exec_lo, s27
	s_delay_alu instid0(VALU_DEP_1) | instskip(NEXT) | instid1(VALU_DEP_1)
	v_add_nc_u32_e32 v0, v12, v0
	v_lshrrev_b32_e32 v2, s14, v0
	s_delay_alu instid0(VALU_DEP_1) | instskip(NEXT) | instid1(VALU_DEP_1)
	v_mul_lo_u32 v0, v2, s12
	v_sub_nc_u32_e32 v1, v12, v0
	s_delay_alu instid0(VALU_DEP_1)
	v_mul_lo_u32 v0, v1, s8
	v_mul_lo_u32 v1, v1, s9
	s_cbranch_vccnz .LBB359_158
; %bb.157:
	v_mul_hi_u32 v3, s2, v2
	s_delay_alu instid0(VALU_DEP_1) | instskip(NEXT) | instid1(VALU_DEP_1)
	v_add_nc_u32_e32 v3, v2, v3
	v_lshrrev_b32_e32 v3, s3, v3
	s_delay_alu instid0(VALU_DEP_1) | instskip(NEXT) | instid1(VALU_DEP_1)
	v_mul_lo_u32 v3, v3, s15
	v_sub_nc_u32_e32 v5, v2, v3
	s_delay_alu instid0(VALU_DEP_1) | instskip(NEXT) | instid1(VALU_DEP_1)
	v_mad_u64_u32 v[2:3], null, v5, s10, v[0:1]
	v_mad_u64_u32 v[3:4], null, v5, s11, v[1:2]
	s_delay_alu instid0(VALU_DEP_1)
	v_dual_mov_b32 v0, v2 :: v_dual_mov_b32 v1, v3
.LBB359_158:
	s_waitcnt lgkmcnt(0)
	global_load_i8 v1, v1, s[6:7]
	s_bfe_i32 s18, s26, 0x80000
	v_add_nc_u32_e32 v12, 0x80, v12
	s_waitcnt vmcnt(0)
	v_max_i16 v1, v1, s18
	global_store_b8 v0, v1, s[4:5]
	s_or_b32 exec_lo, exec_lo, s31
	s_delay_alu instid0(SALU_CYCLE_1)
	s_mov_b32 s31, exec_lo
	v_cmpx_gt_i32_e64 s28, v12
	s_cbranch_execnz .LBB359_145
.LBB359_159:
	s_or_b32 exec_lo, exec_lo, s31
	s_delay_alu instid0(SALU_CYCLE_1)
	s_mov_b32 s31, exec_lo
	v_cmpx_gt_i32_e64 s28, v12
	s_cbranch_execz .LBB359_174
.LBB359_160:
	s_and_not1_b32 vcc_lo, exec_lo, s24
	s_cbranch_vccnz .LBB359_165
; %bb.161:
	v_dual_mov_b32 v0, 0 :: v_dual_mov_b32 v1, 0
	s_and_not1_b32 vcc_lo, exec_lo, s30
	s_mov_b32 s33, 0
	s_cbranch_vccnz .LBB359_185
; %bb.162:
	v_mov_b32_e32 v0, 0
	s_add_i32 s35, s29, 1
	s_cmp_eq_u32 s23, 2
	s_mov_b32 s34, 0
	s_cbranch_scc1 .LBB359_181
; %bb.163:
	v_dual_mov_b32 v1, 0 :: v_dual_mov_b32 v0, 0
	v_mov_b32_e32 v2, v12
	s_and_b32 s34, s35, 28
	s_mov_b32 s36, 0
	s_mov_b64 s[18:19], s[16:17]
	s_mov_b64 s[20:21], s[0:1]
.LBB359_164:                            ; =>This Inner Loop Header: Depth=1
	s_clause 0x1
	s_load_b256 s[40:47], s[20:21], 0x4
	s_load_b128 s[56:59], s[20:21], 0x24
	s_load_b256 s[48:55], s[18:19], 0x0
	s_add_u32 s20, s20, 48
	s_addc_u32 s21, s21, 0
	s_add_i32 s36, s36, 4
	s_add_u32 s18, s18, 32
	s_addc_u32 s19, s19, 0
	s_cmp_eq_u32 s34, s36
	s_waitcnt lgkmcnt(0)
	v_mul_hi_u32 v3, s41, v2
	s_delay_alu instid0(VALU_DEP_1) | instskip(NEXT) | instid1(VALU_DEP_1)
	v_add_nc_u32_e32 v3, v2, v3
	v_lshrrev_b32_e32 v3, s42, v3
	s_delay_alu instid0(VALU_DEP_1) | instskip(SKIP_1) | instid1(VALU_DEP_2)
	v_mul_hi_u32 v4, s44, v3
	v_mul_lo_u32 v6, v3, s40
	v_add_nc_u32_e32 v4, v3, v4
	s_delay_alu instid0(VALU_DEP_2) | instskip(NEXT) | instid1(VALU_DEP_2)
	v_sub_nc_u32_e32 v2, v2, v6
	v_lshrrev_b32_e32 v4, s45, v4
	s_delay_alu instid0(VALU_DEP_2) | instskip(SKIP_1) | instid1(VALU_DEP_3)
	v_mul_lo_u32 v6, v2, s48
	v_mul_lo_u32 v8, v2, s49
	v_mul_hi_u32 v5, s47, v4
	s_delay_alu instid0(VALU_DEP_1) | instskip(NEXT) | instid1(VALU_DEP_1)
	v_add_nc_u32_e32 v5, v4, v5
	v_lshrrev_b32_e32 v5, s56, v5
	s_delay_alu instid0(VALU_DEP_1) | instskip(SKIP_1) | instid1(VALU_DEP_2)
	v_mul_hi_u32 v7, s58, v5
	v_mul_lo_u32 v9, v5, s46
	v_add_nc_u32_e32 v2, v5, v7
	v_mul_lo_u32 v7, v4, s43
	s_delay_alu instid0(VALU_DEP_3) | instskip(NEXT) | instid1(VALU_DEP_3)
	v_sub_nc_u32_e32 v4, v4, v9
	v_lshrrev_b32_e32 v2, s59, v2
	s_delay_alu instid0(VALU_DEP_2) | instskip(SKIP_2) | instid1(VALU_DEP_4)
	v_mul_lo_u32 v9, v4, s52
	v_mul_lo_u32 v4, v4, s53
	v_sub_nc_u32_e32 v3, v3, v7
	v_mul_lo_u32 v10, v2, s57
	s_delay_alu instid0(VALU_DEP_2) | instskip(SKIP_1) | instid1(VALU_DEP_3)
	v_mul_lo_u32 v7, v3, s50
	v_mul_lo_u32 v3, v3, s51
	v_sub_nc_u32_e32 v5, v5, v10
	s_delay_alu instid0(VALU_DEP_3) | instskip(NEXT) | instid1(VALU_DEP_2)
	v_add3_u32 v0, v6, v0, v7
	v_mul_lo_u32 v10, v5, s54
	v_mul_lo_u32 v5, v5, s55
	v_add3_u32 v1, v8, v1, v3
	s_delay_alu instid0(VALU_DEP_3) | instskip(NEXT) | instid1(VALU_DEP_2)
	v_add3_u32 v0, v9, v0, v10
	v_add3_u32 v1, v4, v1, v5
	s_cbranch_scc0 .LBB359_164
	s_branch .LBB359_182
.LBB359_165:
	s_mov_b32 s33, -1
                                        ; implicit-def: $vgpr0
                                        ; implicit-def: $vgpr1
	s_branch .LBB359_185
.LBB359_166:
	v_dual_mov_b32 v2, v12 :: v_dual_mov_b32 v1, 0
.LBB359_167:
	s_and_b32 s35, s35, 3
	s_delay_alu instid0(SALU_CYCLE_1)
	s_cmp_eq_u32 s35, 0
	s_cbranch_scc1 .LBB359_170
; %bb.168:
	s_lshl_b32 s18, s34, 3
	s_mul_i32 s20, s34, 12
	s_add_u32 s18, s18, s0
	s_addc_u32 s19, s1, 0
	s_add_u32 s18, s18, 0xc4
	s_addc_u32 s19, s19, 0
	;; [unrolled: 2-line block ×3, first 2 shown]
	.p2align	6
.LBB359_169:                            ; =>This Inner Loop Header: Depth=1
	s_clause 0x1
	s_load_b64 s[36:37], s[20:21], 0x4
	s_load_b32 s34, s[20:21], 0xc
	s_load_b64 s[38:39], s[18:19], 0x0
	s_add_u32 s20, s20, 12
	s_addc_u32 s21, s21, 0
	s_add_u32 s18, s18, 8
	s_addc_u32 s19, s19, 0
	s_add_i32 s35, s35, -1
	s_delay_alu instid0(SALU_CYCLE_1) | instskip(SKIP_2) | instid1(VALU_DEP_1)
	s_cmp_lg_u32 s35, 0
	s_waitcnt lgkmcnt(0)
	v_mul_hi_u32 v3, s37, v2
	v_add_nc_u32_e32 v3, v2, v3
	s_delay_alu instid0(VALU_DEP_1) | instskip(NEXT) | instid1(VALU_DEP_1)
	v_lshrrev_b32_e32 v6, s34, v3
	v_mul_lo_u32 v3, v6, s36
	s_delay_alu instid0(VALU_DEP_1) | instskip(NEXT) | instid1(VALU_DEP_1)
	v_sub_nc_u32_e32 v2, v2, v3
	v_mad_u64_u32 v[3:4], null, v2, s38, v[0:1]
	v_mad_u64_u32 v[4:5], null, v2, s39, v[1:2]
	v_mov_b32_e32 v2, v6
	s_delay_alu instid0(VALU_DEP_2)
	v_dual_mov_b32 v0, v3 :: v_dual_mov_b32 v1, v4
	s_cbranch_scc1 .LBB359_169
.LBB359_170:
	s_and_not1_b32 vcc_lo, exec_lo, s33
	s_cbranch_vccnz .LBB359_173
; %bb.171:
	s_waitcnt lgkmcnt(0)
	v_mul_hi_u32 v0, s13, v12
	s_and_not1_b32 vcc_lo, exec_lo, s27
	s_delay_alu instid0(VALU_DEP_1) | instskip(NEXT) | instid1(VALU_DEP_1)
	v_add_nc_u32_e32 v0, v12, v0
	v_lshrrev_b32_e32 v2, s14, v0
	s_delay_alu instid0(VALU_DEP_1) | instskip(NEXT) | instid1(VALU_DEP_1)
	v_mul_lo_u32 v0, v2, s12
	v_sub_nc_u32_e32 v1, v12, v0
	s_delay_alu instid0(VALU_DEP_1)
	v_mul_lo_u32 v0, v1, s8
	v_mul_lo_u32 v1, v1, s9
	s_cbranch_vccnz .LBB359_173
; %bb.172:
	v_mul_hi_u32 v3, s2, v2
	s_delay_alu instid0(VALU_DEP_1) | instskip(NEXT) | instid1(VALU_DEP_1)
	v_add_nc_u32_e32 v3, v2, v3
	v_lshrrev_b32_e32 v3, s3, v3
	s_delay_alu instid0(VALU_DEP_1) | instskip(NEXT) | instid1(VALU_DEP_1)
	v_mul_lo_u32 v3, v3, s15
	v_sub_nc_u32_e32 v5, v2, v3
	s_delay_alu instid0(VALU_DEP_1) | instskip(NEXT) | instid1(VALU_DEP_1)
	v_mad_u64_u32 v[2:3], null, v5, s10, v[0:1]
	v_mad_u64_u32 v[3:4], null, v5, s11, v[1:2]
	s_delay_alu instid0(VALU_DEP_1)
	v_dual_mov_b32 v0, v2 :: v_dual_mov_b32 v1, v3
.LBB359_173:
	s_waitcnt lgkmcnt(0)
	global_load_i8 v1, v1, s[6:7]
	s_bfe_i32 s18, s26, 0x80000
	v_add_nc_u32_e32 v12, 0x80, v12
	s_waitcnt vmcnt(0)
	v_max_i16 v1, v1, s18
	global_store_b8 v0, v1, s[4:5]
	s_or_b32 exec_lo, exec_lo, s31
	s_delay_alu instid0(SALU_CYCLE_1)
	s_mov_b32 s31, exec_lo
	v_cmpx_gt_i32_e64 s28, v12
	s_cbranch_execnz .LBB359_160
.LBB359_174:
	s_or_b32 exec_lo, exec_lo, s31
	s_delay_alu instid0(SALU_CYCLE_1)
	s_mov_b32 s31, exec_lo
	v_cmpx_gt_i32_e64 s28, v12
	s_cbranch_execz .LBB359_189
.LBB359_175:
	s_and_not1_b32 vcc_lo, exec_lo, s24
	s_cbranch_vccnz .LBB359_180
; %bb.176:
	v_dual_mov_b32 v0, 0 :: v_dual_mov_b32 v1, 0
	s_and_not1_b32 vcc_lo, exec_lo, s30
	s_mov_b32 s33, 0
	s_cbranch_vccnz .LBB359_200
; %bb.177:
	v_mov_b32_e32 v0, 0
	s_add_i32 s35, s29, 1
	s_cmp_eq_u32 s23, 2
	s_mov_b32 s34, 0
	s_cbranch_scc1 .LBB359_196
; %bb.178:
	v_dual_mov_b32 v1, 0 :: v_dual_mov_b32 v0, 0
	v_mov_b32_e32 v2, v12
	s_and_b32 s34, s35, 28
	s_mov_b32 s36, 0
	s_mov_b64 s[18:19], s[16:17]
	s_mov_b64 s[20:21], s[0:1]
.LBB359_179:                            ; =>This Inner Loop Header: Depth=1
	s_clause 0x1
	s_load_b256 s[40:47], s[20:21], 0x4
	s_load_b128 s[56:59], s[20:21], 0x24
	s_load_b256 s[48:55], s[18:19], 0x0
	s_add_u32 s20, s20, 48
	s_addc_u32 s21, s21, 0
	s_add_i32 s36, s36, 4
	s_add_u32 s18, s18, 32
	s_addc_u32 s19, s19, 0
	s_cmp_eq_u32 s34, s36
	s_waitcnt lgkmcnt(0)
	v_mul_hi_u32 v3, s41, v2
	s_delay_alu instid0(VALU_DEP_1) | instskip(NEXT) | instid1(VALU_DEP_1)
	v_add_nc_u32_e32 v3, v2, v3
	v_lshrrev_b32_e32 v3, s42, v3
	s_delay_alu instid0(VALU_DEP_1) | instskip(SKIP_1) | instid1(VALU_DEP_2)
	v_mul_hi_u32 v4, s44, v3
	v_mul_lo_u32 v6, v3, s40
	v_add_nc_u32_e32 v4, v3, v4
	s_delay_alu instid0(VALU_DEP_2) | instskip(NEXT) | instid1(VALU_DEP_2)
	v_sub_nc_u32_e32 v2, v2, v6
	v_lshrrev_b32_e32 v4, s45, v4
	s_delay_alu instid0(VALU_DEP_2) | instskip(SKIP_1) | instid1(VALU_DEP_3)
	v_mul_lo_u32 v6, v2, s48
	v_mul_lo_u32 v8, v2, s49
	v_mul_hi_u32 v5, s47, v4
	s_delay_alu instid0(VALU_DEP_1) | instskip(NEXT) | instid1(VALU_DEP_1)
	v_add_nc_u32_e32 v5, v4, v5
	v_lshrrev_b32_e32 v5, s56, v5
	s_delay_alu instid0(VALU_DEP_1) | instskip(SKIP_1) | instid1(VALU_DEP_2)
	v_mul_hi_u32 v7, s58, v5
	v_mul_lo_u32 v9, v5, s46
	v_add_nc_u32_e32 v2, v5, v7
	v_mul_lo_u32 v7, v4, s43
	s_delay_alu instid0(VALU_DEP_3) | instskip(NEXT) | instid1(VALU_DEP_3)
	v_sub_nc_u32_e32 v4, v4, v9
	v_lshrrev_b32_e32 v2, s59, v2
	s_delay_alu instid0(VALU_DEP_2) | instskip(SKIP_2) | instid1(VALU_DEP_4)
	v_mul_lo_u32 v9, v4, s52
	v_mul_lo_u32 v4, v4, s53
	v_sub_nc_u32_e32 v3, v3, v7
	v_mul_lo_u32 v10, v2, s57
	s_delay_alu instid0(VALU_DEP_2) | instskip(SKIP_1) | instid1(VALU_DEP_3)
	v_mul_lo_u32 v7, v3, s50
	v_mul_lo_u32 v3, v3, s51
	v_sub_nc_u32_e32 v5, v5, v10
	s_delay_alu instid0(VALU_DEP_3) | instskip(NEXT) | instid1(VALU_DEP_2)
	v_add3_u32 v0, v6, v0, v7
	v_mul_lo_u32 v10, v5, s54
	v_mul_lo_u32 v5, v5, s55
	v_add3_u32 v1, v8, v1, v3
	s_delay_alu instid0(VALU_DEP_3) | instskip(NEXT) | instid1(VALU_DEP_2)
	v_add3_u32 v0, v9, v0, v10
	v_add3_u32 v1, v4, v1, v5
	s_cbranch_scc0 .LBB359_179
	s_branch .LBB359_197
.LBB359_180:
	s_mov_b32 s33, -1
                                        ; implicit-def: $vgpr0
                                        ; implicit-def: $vgpr1
	s_branch .LBB359_200
.LBB359_181:
	v_dual_mov_b32 v2, v12 :: v_dual_mov_b32 v1, 0
.LBB359_182:
	s_and_b32 s35, s35, 3
	s_delay_alu instid0(SALU_CYCLE_1)
	s_cmp_eq_u32 s35, 0
	s_cbranch_scc1 .LBB359_185
; %bb.183:
	s_lshl_b32 s18, s34, 3
	s_mul_i32 s20, s34, 12
	s_add_u32 s18, s18, s0
	s_addc_u32 s19, s1, 0
	s_add_u32 s18, s18, 0xc4
	s_addc_u32 s19, s19, 0
	;; [unrolled: 2-line block ×3, first 2 shown]
	.p2align	6
.LBB359_184:                            ; =>This Inner Loop Header: Depth=1
	s_clause 0x1
	s_load_b64 s[36:37], s[20:21], 0x4
	s_load_b32 s34, s[20:21], 0xc
	s_load_b64 s[38:39], s[18:19], 0x0
	s_add_u32 s20, s20, 12
	s_addc_u32 s21, s21, 0
	s_add_u32 s18, s18, 8
	s_addc_u32 s19, s19, 0
	s_add_i32 s35, s35, -1
	s_delay_alu instid0(SALU_CYCLE_1) | instskip(SKIP_2) | instid1(VALU_DEP_1)
	s_cmp_lg_u32 s35, 0
	s_waitcnt lgkmcnt(0)
	v_mul_hi_u32 v3, s37, v2
	v_add_nc_u32_e32 v3, v2, v3
	s_delay_alu instid0(VALU_DEP_1) | instskip(NEXT) | instid1(VALU_DEP_1)
	v_lshrrev_b32_e32 v6, s34, v3
	v_mul_lo_u32 v3, v6, s36
	s_delay_alu instid0(VALU_DEP_1) | instskip(NEXT) | instid1(VALU_DEP_1)
	v_sub_nc_u32_e32 v2, v2, v3
	v_mad_u64_u32 v[3:4], null, v2, s38, v[0:1]
	v_mad_u64_u32 v[4:5], null, v2, s39, v[1:2]
	v_mov_b32_e32 v2, v6
	s_delay_alu instid0(VALU_DEP_2)
	v_dual_mov_b32 v0, v3 :: v_dual_mov_b32 v1, v4
	s_cbranch_scc1 .LBB359_184
.LBB359_185:
	s_and_not1_b32 vcc_lo, exec_lo, s33
	s_cbranch_vccnz .LBB359_188
; %bb.186:
	s_waitcnt lgkmcnt(0)
	v_mul_hi_u32 v0, s13, v12
	s_and_not1_b32 vcc_lo, exec_lo, s27
	s_delay_alu instid0(VALU_DEP_1) | instskip(NEXT) | instid1(VALU_DEP_1)
	v_add_nc_u32_e32 v0, v12, v0
	v_lshrrev_b32_e32 v2, s14, v0
	s_delay_alu instid0(VALU_DEP_1) | instskip(NEXT) | instid1(VALU_DEP_1)
	v_mul_lo_u32 v0, v2, s12
	v_sub_nc_u32_e32 v1, v12, v0
	s_delay_alu instid0(VALU_DEP_1)
	v_mul_lo_u32 v0, v1, s8
	v_mul_lo_u32 v1, v1, s9
	s_cbranch_vccnz .LBB359_188
; %bb.187:
	v_mul_hi_u32 v3, s2, v2
	s_delay_alu instid0(VALU_DEP_1) | instskip(NEXT) | instid1(VALU_DEP_1)
	v_add_nc_u32_e32 v3, v2, v3
	v_lshrrev_b32_e32 v3, s3, v3
	s_delay_alu instid0(VALU_DEP_1) | instskip(NEXT) | instid1(VALU_DEP_1)
	v_mul_lo_u32 v3, v3, s15
	v_sub_nc_u32_e32 v5, v2, v3
	s_delay_alu instid0(VALU_DEP_1) | instskip(NEXT) | instid1(VALU_DEP_1)
	v_mad_u64_u32 v[2:3], null, v5, s10, v[0:1]
	v_mad_u64_u32 v[3:4], null, v5, s11, v[1:2]
	s_delay_alu instid0(VALU_DEP_1)
	v_dual_mov_b32 v0, v2 :: v_dual_mov_b32 v1, v3
.LBB359_188:
	s_waitcnt lgkmcnt(0)
	global_load_i8 v1, v1, s[6:7]
	s_bfe_i32 s18, s26, 0x80000
	v_add_nc_u32_e32 v12, 0x80, v12
	s_waitcnt vmcnt(0)
	v_max_i16 v1, v1, s18
	global_store_b8 v0, v1, s[4:5]
	s_or_b32 exec_lo, exec_lo, s31
	s_delay_alu instid0(SALU_CYCLE_1)
	s_mov_b32 s31, exec_lo
	v_cmpx_gt_i32_e64 s28, v12
	s_cbranch_execnz .LBB359_175
.LBB359_189:
	s_or_b32 exec_lo, exec_lo, s31
	s_delay_alu instid0(SALU_CYCLE_1)
	s_mov_b32 s31, exec_lo
	v_cmpx_gt_i32_e64 s28, v12
	s_cbranch_execz .LBB359_204
.LBB359_190:
	s_and_not1_b32 vcc_lo, exec_lo, s24
	s_cbranch_vccnz .LBB359_195
; %bb.191:
	v_dual_mov_b32 v0, 0 :: v_dual_mov_b32 v1, 0
	s_and_not1_b32 vcc_lo, exec_lo, s30
	s_mov_b32 s33, 0
	s_cbranch_vccnz .LBB359_211
; %bb.192:
	v_mov_b32_e32 v0, 0
	s_add_i32 s35, s29, 1
	s_cmp_eq_u32 s23, 2
	s_mov_b32 s34, 0
	s_cbranch_scc1 .LBB359_207
; %bb.193:
	v_dual_mov_b32 v1, 0 :: v_dual_mov_b32 v0, 0
	v_mov_b32_e32 v2, v12
	s_and_b32 s34, s35, 28
	s_mov_b32 s36, 0
	s_mov_b64 s[18:19], s[16:17]
	s_mov_b64 s[20:21], s[0:1]
.LBB359_194:                            ; =>This Inner Loop Header: Depth=1
	s_clause 0x1
	s_load_b256 s[40:47], s[20:21], 0x4
	s_load_b128 s[56:59], s[20:21], 0x24
	s_load_b256 s[48:55], s[18:19], 0x0
	s_add_u32 s20, s20, 48
	s_addc_u32 s21, s21, 0
	s_add_i32 s36, s36, 4
	s_add_u32 s18, s18, 32
	s_addc_u32 s19, s19, 0
	s_cmp_eq_u32 s34, s36
	s_waitcnt lgkmcnt(0)
	v_mul_hi_u32 v3, s41, v2
	s_delay_alu instid0(VALU_DEP_1) | instskip(NEXT) | instid1(VALU_DEP_1)
	v_add_nc_u32_e32 v3, v2, v3
	v_lshrrev_b32_e32 v3, s42, v3
	s_delay_alu instid0(VALU_DEP_1) | instskip(SKIP_1) | instid1(VALU_DEP_2)
	v_mul_hi_u32 v4, s44, v3
	v_mul_lo_u32 v6, v3, s40
	v_add_nc_u32_e32 v4, v3, v4
	s_delay_alu instid0(VALU_DEP_2) | instskip(NEXT) | instid1(VALU_DEP_2)
	v_sub_nc_u32_e32 v2, v2, v6
	v_lshrrev_b32_e32 v4, s45, v4
	s_delay_alu instid0(VALU_DEP_2) | instskip(SKIP_1) | instid1(VALU_DEP_3)
	v_mul_lo_u32 v6, v2, s48
	v_mul_lo_u32 v8, v2, s49
	v_mul_hi_u32 v5, s47, v4
	s_delay_alu instid0(VALU_DEP_1) | instskip(NEXT) | instid1(VALU_DEP_1)
	v_add_nc_u32_e32 v5, v4, v5
	v_lshrrev_b32_e32 v5, s56, v5
	s_delay_alu instid0(VALU_DEP_1) | instskip(SKIP_1) | instid1(VALU_DEP_2)
	v_mul_hi_u32 v7, s58, v5
	v_mul_lo_u32 v9, v5, s46
	v_add_nc_u32_e32 v2, v5, v7
	v_mul_lo_u32 v7, v4, s43
	s_delay_alu instid0(VALU_DEP_3) | instskip(NEXT) | instid1(VALU_DEP_3)
	v_sub_nc_u32_e32 v4, v4, v9
	v_lshrrev_b32_e32 v2, s59, v2
	s_delay_alu instid0(VALU_DEP_2) | instskip(SKIP_2) | instid1(VALU_DEP_4)
	v_mul_lo_u32 v9, v4, s52
	v_mul_lo_u32 v4, v4, s53
	v_sub_nc_u32_e32 v3, v3, v7
	v_mul_lo_u32 v10, v2, s57
	s_delay_alu instid0(VALU_DEP_2) | instskip(SKIP_1) | instid1(VALU_DEP_3)
	v_mul_lo_u32 v7, v3, s50
	v_mul_lo_u32 v3, v3, s51
	v_sub_nc_u32_e32 v5, v5, v10
	s_delay_alu instid0(VALU_DEP_3) | instskip(NEXT) | instid1(VALU_DEP_2)
	v_add3_u32 v0, v6, v0, v7
	v_mul_lo_u32 v10, v5, s54
	v_mul_lo_u32 v5, v5, s55
	v_add3_u32 v1, v8, v1, v3
	s_delay_alu instid0(VALU_DEP_3) | instskip(NEXT) | instid1(VALU_DEP_2)
	v_add3_u32 v0, v9, v0, v10
	v_add3_u32 v1, v4, v1, v5
	s_cbranch_scc0 .LBB359_194
	s_branch .LBB359_208
.LBB359_195:
	s_mov_b32 s33, -1
                                        ; implicit-def: $vgpr0
                                        ; implicit-def: $vgpr1
	s_branch .LBB359_211
.LBB359_196:
	v_dual_mov_b32 v2, v12 :: v_dual_mov_b32 v1, 0
.LBB359_197:
	s_and_b32 s35, s35, 3
	s_delay_alu instid0(SALU_CYCLE_1)
	s_cmp_eq_u32 s35, 0
	s_cbranch_scc1 .LBB359_200
; %bb.198:
	s_lshl_b32 s18, s34, 3
	s_mul_i32 s20, s34, 12
	s_add_u32 s18, s18, s0
	s_addc_u32 s19, s1, 0
	s_add_u32 s18, s18, 0xc4
	s_addc_u32 s19, s19, 0
	;; [unrolled: 2-line block ×3, first 2 shown]
	.p2align	6
.LBB359_199:                            ; =>This Inner Loop Header: Depth=1
	s_clause 0x1
	s_load_b64 s[36:37], s[20:21], 0x4
	s_load_b32 s34, s[20:21], 0xc
	s_load_b64 s[38:39], s[18:19], 0x0
	s_add_u32 s20, s20, 12
	s_addc_u32 s21, s21, 0
	s_add_u32 s18, s18, 8
	s_addc_u32 s19, s19, 0
	s_add_i32 s35, s35, -1
	s_delay_alu instid0(SALU_CYCLE_1) | instskip(SKIP_2) | instid1(VALU_DEP_1)
	s_cmp_lg_u32 s35, 0
	s_waitcnt lgkmcnt(0)
	v_mul_hi_u32 v3, s37, v2
	v_add_nc_u32_e32 v3, v2, v3
	s_delay_alu instid0(VALU_DEP_1) | instskip(NEXT) | instid1(VALU_DEP_1)
	v_lshrrev_b32_e32 v6, s34, v3
	v_mul_lo_u32 v3, v6, s36
	s_delay_alu instid0(VALU_DEP_1) | instskip(NEXT) | instid1(VALU_DEP_1)
	v_sub_nc_u32_e32 v2, v2, v3
	v_mad_u64_u32 v[3:4], null, v2, s38, v[0:1]
	v_mad_u64_u32 v[4:5], null, v2, s39, v[1:2]
	v_mov_b32_e32 v2, v6
	s_delay_alu instid0(VALU_DEP_2)
	v_dual_mov_b32 v0, v3 :: v_dual_mov_b32 v1, v4
	s_cbranch_scc1 .LBB359_199
.LBB359_200:
	s_and_not1_b32 vcc_lo, exec_lo, s33
	s_cbranch_vccnz .LBB359_203
; %bb.201:
	s_waitcnt lgkmcnt(0)
	v_mul_hi_u32 v0, s13, v12
	s_and_not1_b32 vcc_lo, exec_lo, s27
	s_delay_alu instid0(VALU_DEP_1) | instskip(NEXT) | instid1(VALU_DEP_1)
	v_add_nc_u32_e32 v0, v12, v0
	v_lshrrev_b32_e32 v2, s14, v0
	s_delay_alu instid0(VALU_DEP_1) | instskip(NEXT) | instid1(VALU_DEP_1)
	v_mul_lo_u32 v0, v2, s12
	v_sub_nc_u32_e32 v1, v12, v0
	s_delay_alu instid0(VALU_DEP_1)
	v_mul_lo_u32 v0, v1, s8
	v_mul_lo_u32 v1, v1, s9
	s_cbranch_vccnz .LBB359_203
; %bb.202:
	v_mul_hi_u32 v3, s2, v2
	s_delay_alu instid0(VALU_DEP_1) | instskip(NEXT) | instid1(VALU_DEP_1)
	v_add_nc_u32_e32 v3, v2, v3
	v_lshrrev_b32_e32 v3, s3, v3
	s_delay_alu instid0(VALU_DEP_1) | instskip(NEXT) | instid1(VALU_DEP_1)
	v_mul_lo_u32 v3, v3, s15
	v_sub_nc_u32_e32 v5, v2, v3
	s_delay_alu instid0(VALU_DEP_1) | instskip(NEXT) | instid1(VALU_DEP_1)
	v_mad_u64_u32 v[2:3], null, v5, s10, v[0:1]
	v_mad_u64_u32 v[3:4], null, v5, s11, v[1:2]
	s_delay_alu instid0(VALU_DEP_1)
	v_dual_mov_b32 v0, v2 :: v_dual_mov_b32 v1, v3
.LBB359_203:
	s_waitcnt lgkmcnt(0)
	global_load_i8 v1, v1, s[6:7]
	s_bfe_i32 s18, s26, 0x80000
	v_add_nc_u32_e32 v12, 0x80, v12
	s_waitcnt vmcnt(0)
	v_max_i16 v1, v1, s18
	global_store_b8 v0, v1, s[4:5]
	s_or_b32 exec_lo, exec_lo, s31
	s_delay_alu instid0(SALU_CYCLE_1)
	s_mov_b32 s31, exec_lo
	v_cmpx_gt_i32_e64 s28, v12
	s_cbranch_execnz .LBB359_190
.LBB359_204:
	s_or_b32 exec_lo, exec_lo, s31
	s_delay_alu instid0(SALU_CYCLE_1)
	s_mov_b32 s20, exec_lo
	v_cmpx_gt_i32_e64 s28, v12
	s_cbranch_execnz .LBB359_215
.LBB359_205:
	s_or_b32 exec_lo, exec_lo, s20
                                        ; implicit-def: $vgpr16
                                        ; implicit-def: $vgpr12
	s_waitcnt lgkmcnt(0)
	s_and_not1_saveexec_b32 s2, s25
	s_cbranch_execnz .LBB359_8
.LBB359_206:
	s_nop 0
	s_sendmsg sendmsg(MSG_DEALLOC_VGPRS)
	s_endpgm
.LBB359_207:
	v_dual_mov_b32 v2, v12 :: v_dual_mov_b32 v1, 0
.LBB359_208:
	s_and_b32 s35, s35, 3
	s_delay_alu instid0(SALU_CYCLE_1)
	s_cmp_eq_u32 s35, 0
	s_cbranch_scc1 .LBB359_211
; %bb.209:
	s_lshl_b32 s18, s34, 3
	s_mul_i32 s20, s34, 12
	s_add_u32 s18, s18, s0
	s_addc_u32 s19, s1, 0
	s_add_u32 s18, s18, 0xc4
	s_addc_u32 s19, s19, 0
	;; [unrolled: 2-line block ×3, first 2 shown]
	.p2align	6
.LBB359_210:                            ; =>This Inner Loop Header: Depth=1
	s_clause 0x1
	s_load_b64 s[36:37], s[20:21], 0x4
	s_load_b32 s34, s[20:21], 0xc
	s_load_b64 s[38:39], s[18:19], 0x0
	s_add_u32 s20, s20, 12
	s_addc_u32 s21, s21, 0
	s_add_u32 s18, s18, 8
	s_addc_u32 s19, s19, 0
	s_add_i32 s35, s35, -1
	s_delay_alu instid0(SALU_CYCLE_1) | instskip(SKIP_2) | instid1(VALU_DEP_1)
	s_cmp_lg_u32 s35, 0
	s_waitcnt lgkmcnt(0)
	v_mul_hi_u32 v3, s37, v2
	v_add_nc_u32_e32 v3, v2, v3
	s_delay_alu instid0(VALU_DEP_1) | instskip(NEXT) | instid1(VALU_DEP_1)
	v_lshrrev_b32_e32 v6, s34, v3
	v_mul_lo_u32 v3, v6, s36
	s_delay_alu instid0(VALU_DEP_1) | instskip(NEXT) | instid1(VALU_DEP_1)
	v_sub_nc_u32_e32 v2, v2, v3
	v_mad_u64_u32 v[3:4], null, v2, s38, v[0:1]
	v_mad_u64_u32 v[4:5], null, v2, s39, v[1:2]
	v_mov_b32_e32 v2, v6
	s_delay_alu instid0(VALU_DEP_2)
	v_dual_mov_b32 v0, v3 :: v_dual_mov_b32 v1, v4
	s_cbranch_scc1 .LBB359_210
.LBB359_211:
	s_and_not1_b32 vcc_lo, exec_lo, s33
	s_cbranch_vccnz .LBB359_214
; %bb.212:
	s_waitcnt lgkmcnt(0)
	v_mul_hi_u32 v0, s13, v12
	s_and_not1_b32 vcc_lo, exec_lo, s27
	s_delay_alu instid0(VALU_DEP_1) | instskip(NEXT) | instid1(VALU_DEP_1)
	v_add_nc_u32_e32 v0, v12, v0
	v_lshrrev_b32_e32 v2, s14, v0
	s_delay_alu instid0(VALU_DEP_1) | instskip(NEXT) | instid1(VALU_DEP_1)
	v_mul_lo_u32 v0, v2, s12
	v_sub_nc_u32_e32 v1, v12, v0
	s_delay_alu instid0(VALU_DEP_1)
	v_mul_lo_u32 v0, v1, s8
	v_mul_lo_u32 v1, v1, s9
	s_cbranch_vccnz .LBB359_214
; %bb.213:
	v_mul_hi_u32 v3, s2, v2
	s_delay_alu instid0(VALU_DEP_1) | instskip(NEXT) | instid1(VALU_DEP_1)
	v_add_nc_u32_e32 v3, v2, v3
	v_lshrrev_b32_e32 v3, s3, v3
	s_delay_alu instid0(VALU_DEP_1) | instskip(NEXT) | instid1(VALU_DEP_1)
	v_mul_lo_u32 v3, v3, s15
	v_sub_nc_u32_e32 v5, v2, v3
	s_delay_alu instid0(VALU_DEP_1) | instskip(NEXT) | instid1(VALU_DEP_1)
	v_mad_u64_u32 v[2:3], null, v5, s10, v[0:1]
	v_mad_u64_u32 v[3:4], null, v5, s11, v[1:2]
	s_delay_alu instid0(VALU_DEP_1)
	v_dual_mov_b32 v0, v2 :: v_dual_mov_b32 v1, v3
.LBB359_214:
	s_waitcnt lgkmcnt(0)
	global_load_i8 v1, v1, s[6:7]
	s_bfe_i32 s18, s26, 0x80000
	v_add_nc_u32_e32 v12, 0x80, v12
	s_waitcnt vmcnt(0)
	v_max_i16 v1, v1, s18
	global_store_b8 v0, v1, s[4:5]
	s_or_b32 exec_lo, exec_lo, s31
	s_delay_alu instid0(SALU_CYCLE_1)
	s_mov_b32 s20, exec_lo
	v_cmpx_gt_i32_e64 s28, v12
	s_cbranch_execz .LBB359_205
.LBB359_215:
	s_and_not1_b32 vcc_lo, exec_lo, s24
	s_cbranch_vccnz .LBB359_220
; %bb.216:
	v_dual_mov_b32 v0, 0 :: v_dual_mov_b32 v1, 0
	s_and_not1_b32 vcc_lo, exec_lo, s30
	s_mov_b32 s21, 0
	s_cbranch_vccnz .LBB359_225
; %bb.217:
	v_mov_b32_e32 v0, 0
	s_add_i32 s29, s29, 1
	s_cmp_eq_u32 s23, 2
	s_mov_b32 s28, 0
	s_cbranch_scc1 .LBB359_221
; %bb.218:
	v_dual_mov_b32 v1, 0 :: v_dual_mov_b32 v0, 0
	v_mov_b32_e32 v2, v12
	s_and_b32 s28, s29, 28
	s_mov_b32 s30, 0
	s_mov_b64 s[18:19], s[0:1]
.LBB359_219:                            ; =>This Inner Loop Header: Depth=1
	s_clause 0x1
	s_load_b256 s[36:43], s[18:19], 0x4
	s_load_b128 s[52:55], s[18:19], 0x24
	s_load_b256 s[44:51], s[16:17], 0x0
	s_add_u32 s18, s18, 48
	s_addc_u32 s19, s19, 0
	s_add_i32 s30, s30, 4
	s_add_u32 s16, s16, 32
	s_addc_u32 s17, s17, 0
	s_cmp_eq_u32 s28, s30
	s_waitcnt lgkmcnt(0)
	v_mul_hi_u32 v3, s37, v2
	s_delay_alu instid0(VALU_DEP_1) | instskip(NEXT) | instid1(VALU_DEP_1)
	v_add_nc_u32_e32 v3, v2, v3
	v_lshrrev_b32_e32 v3, s38, v3
	s_delay_alu instid0(VALU_DEP_1) | instskip(SKIP_1) | instid1(VALU_DEP_2)
	v_mul_hi_u32 v4, s40, v3
	v_mul_lo_u32 v6, v3, s36
	v_add_nc_u32_e32 v4, v3, v4
	s_delay_alu instid0(VALU_DEP_2) | instskip(NEXT) | instid1(VALU_DEP_2)
	v_sub_nc_u32_e32 v2, v2, v6
	v_lshrrev_b32_e32 v4, s41, v4
	s_delay_alu instid0(VALU_DEP_2) | instskip(SKIP_1) | instid1(VALU_DEP_3)
	v_mul_lo_u32 v6, v2, s44
	v_mul_lo_u32 v8, v2, s45
	v_mul_hi_u32 v5, s43, v4
	s_delay_alu instid0(VALU_DEP_1) | instskip(NEXT) | instid1(VALU_DEP_1)
	v_add_nc_u32_e32 v5, v4, v5
	v_lshrrev_b32_e32 v5, s52, v5
	s_delay_alu instid0(VALU_DEP_1) | instskip(SKIP_1) | instid1(VALU_DEP_2)
	v_mul_hi_u32 v7, s54, v5
	v_mul_lo_u32 v9, v5, s42
	v_add_nc_u32_e32 v2, v5, v7
	v_mul_lo_u32 v7, v4, s39
	s_delay_alu instid0(VALU_DEP_3) | instskip(NEXT) | instid1(VALU_DEP_3)
	v_sub_nc_u32_e32 v4, v4, v9
	v_lshrrev_b32_e32 v2, s55, v2
	s_delay_alu instid0(VALU_DEP_2) | instskip(SKIP_2) | instid1(VALU_DEP_4)
	v_mul_lo_u32 v9, v4, s48
	v_mul_lo_u32 v4, v4, s49
	v_sub_nc_u32_e32 v3, v3, v7
	v_mul_lo_u32 v10, v2, s53
	s_delay_alu instid0(VALU_DEP_2) | instskip(SKIP_1) | instid1(VALU_DEP_3)
	v_mul_lo_u32 v7, v3, s46
	v_mul_lo_u32 v3, v3, s47
	v_sub_nc_u32_e32 v5, v5, v10
	s_delay_alu instid0(VALU_DEP_3) | instskip(NEXT) | instid1(VALU_DEP_2)
	v_add3_u32 v0, v6, v0, v7
	v_mul_lo_u32 v10, v5, s50
	v_mul_lo_u32 v5, v5, s51
	v_add3_u32 v1, v8, v1, v3
	s_delay_alu instid0(VALU_DEP_3) | instskip(NEXT) | instid1(VALU_DEP_2)
	v_add3_u32 v0, v9, v0, v10
	v_add3_u32 v1, v4, v1, v5
	s_cbranch_scc0 .LBB359_219
	s_branch .LBB359_222
.LBB359_220:
	s_mov_b32 s21, -1
                                        ; implicit-def: $vgpr0
                                        ; implicit-def: $vgpr1
	s_branch .LBB359_225
.LBB359_221:
	v_dual_mov_b32 v2, v12 :: v_dual_mov_b32 v1, 0
.LBB359_222:
	s_and_b32 s29, s29, 3
	s_delay_alu instid0(SALU_CYCLE_1)
	s_cmp_eq_u32 s29, 0
	s_cbranch_scc1 .LBB359_225
; %bb.223:
	s_lshl_b32 s16, s28, 3
	s_mul_i32 s18, s28, 12
	s_add_u32 s16, s16, s0
	s_addc_u32 s17, s1, 0
	s_add_u32 s16, s16, 0xc4
	s_addc_u32 s17, s17, 0
	;; [unrolled: 2-line block ×3, first 2 shown]
	.p2align	6
.LBB359_224:                            ; =>This Inner Loop Header: Depth=1
	s_clause 0x1
	s_load_b64 s[30:31], s[18:19], 0x4
	s_load_b32 s28, s[18:19], 0xc
	s_load_b64 s[34:35], s[16:17], 0x0
	s_add_u32 s18, s18, 12
	s_addc_u32 s19, s19, 0
	s_add_u32 s16, s16, 8
	s_addc_u32 s17, s17, 0
	s_add_i32 s29, s29, -1
	s_delay_alu instid0(SALU_CYCLE_1) | instskip(SKIP_2) | instid1(VALU_DEP_1)
	s_cmp_lg_u32 s29, 0
	s_waitcnt lgkmcnt(0)
	v_mul_hi_u32 v3, s31, v2
	v_add_nc_u32_e32 v3, v2, v3
	s_delay_alu instid0(VALU_DEP_1) | instskip(NEXT) | instid1(VALU_DEP_1)
	v_lshrrev_b32_e32 v6, s28, v3
	v_mul_lo_u32 v3, v6, s30
	s_delay_alu instid0(VALU_DEP_1) | instskip(NEXT) | instid1(VALU_DEP_1)
	v_sub_nc_u32_e32 v2, v2, v3
	v_mad_u64_u32 v[3:4], null, v2, s34, v[0:1]
	v_mad_u64_u32 v[4:5], null, v2, s35, v[1:2]
	v_mov_b32_e32 v2, v6
	s_delay_alu instid0(VALU_DEP_2)
	v_dual_mov_b32 v0, v3 :: v_dual_mov_b32 v1, v4
	s_cbranch_scc1 .LBB359_224
.LBB359_225:
	s_and_not1_b32 vcc_lo, exec_lo, s21
	s_cbranch_vccnz .LBB359_228
; %bb.226:
	s_waitcnt lgkmcnt(0)
	v_mul_hi_u32 v0, s13, v12
	s_and_not1_b32 vcc_lo, exec_lo, s27
	s_delay_alu instid0(VALU_DEP_1) | instskip(NEXT) | instid1(VALU_DEP_1)
	v_add_nc_u32_e32 v0, v12, v0
	v_lshrrev_b32_e32 v2, s14, v0
	s_delay_alu instid0(VALU_DEP_1) | instskip(NEXT) | instid1(VALU_DEP_1)
	v_mul_lo_u32 v0, v2, s12
	v_sub_nc_u32_e32 v1, v12, v0
	s_delay_alu instid0(VALU_DEP_1)
	v_mul_lo_u32 v0, v1, s8
	v_mul_lo_u32 v1, v1, s9
	s_cbranch_vccnz .LBB359_228
; %bb.227:
	v_mul_hi_u32 v3, s2, v2
	s_delay_alu instid0(VALU_DEP_1) | instskip(NEXT) | instid1(VALU_DEP_1)
	v_add_nc_u32_e32 v3, v2, v3
	v_lshrrev_b32_e32 v3, s3, v3
	s_delay_alu instid0(VALU_DEP_1) | instskip(NEXT) | instid1(VALU_DEP_1)
	v_mul_lo_u32 v3, v3, s15
	v_sub_nc_u32_e32 v5, v2, v3
	s_delay_alu instid0(VALU_DEP_1) | instskip(NEXT) | instid1(VALU_DEP_1)
	v_mad_u64_u32 v[2:3], null, v5, s10, v[0:1]
	v_mad_u64_u32 v[3:4], null, v5, s11, v[1:2]
	s_delay_alu instid0(VALU_DEP_1)
	v_dual_mov_b32 v0, v2 :: v_dual_mov_b32 v1, v3
.LBB359_228:
	s_waitcnt lgkmcnt(0)
	global_load_i8 v1, v1, s[6:7]
	s_bfe_i32 s2, s26, 0x80000
	s_waitcnt vmcnt(0)
	v_max_i16 v1, v1, s2
	global_store_b8 v0, v1, s[4:5]
	s_or_b32 exec_lo, exec_lo, s20
                                        ; implicit-def: $vgpr16
                                        ; implicit-def: $vgpr12
	s_and_not1_saveexec_b32 s2, s25
	s_cbranch_execz .LBB359_206
	s_branch .LBB359_8
	.section	.rodata,"a",@progbits
	.p2align	6, 0x0
	.amdhsa_kernel _ZN2at6native32elementwise_kernel_manual_unrollILi128ELi8EZNS0_22gpu_kernel_impl_nocastIZZZNS0_21clamp_min_kernel_cudaERNS_18TensorIteratorBaseERKN3c106ScalarEENKUlvE_clEvENKUlvE0_clEvEUlaE_EEvS4_RKT_EUlibE_EEviT1_
		.amdhsa_group_segment_fixed_size 0
		.amdhsa_private_segment_fixed_size 0
		.amdhsa_kernarg_size 360
		.amdhsa_user_sgpr_count 15
		.amdhsa_user_sgpr_dispatch_ptr 0
		.amdhsa_user_sgpr_queue_ptr 0
		.amdhsa_user_sgpr_kernarg_segment_ptr 1
		.amdhsa_user_sgpr_dispatch_id 0
		.amdhsa_user_sgpr_private_segment_size 0
		.amdhsa_wavefront_size32 1
		.amdhsa_uses_dynamic_stack 0
		.amdhsa_enable_private_segment 0
		.amdhsa_system_sgpr_workgroup_id_x 1
		.amdhsa_system_sgpr_workgroup_id_y 0
		.amdhsa_system_sgpr_workgroup_id_z 0
		.amdhsa_system_sgpr_workgroup_info 0
		.amdhsa_system_vgpr_workitem_id 0
		.amdhsa_next_free_vgpr 26
		.amdhsa_next_free_sgpr 60
		.amdhsa_reserve_vcc 1
		.amdhsa_float_round_mode_32 0
		.amdhsa_float_round_mode_16_64 0
		.amdhsa_float_denorm_mode_32 3
		.amdhsa_float_denorm_mode_16_64 3
		.amdhsa_dx10_clamp 1
		.amdhsa_ieee_mode 1
		.amdhsa_fp16_overflow 0
		.amdhsa_workgroup_processor_mode 1
		.amdhsa_memory_ordered 1
		.amdhsa_forward_progress 0
		.amdhsa_shared_vgpr_count 0
		.amdhsa_exception_fp_ieee_invalid_op 0
		.amdhsa_exception_fp_denorm_src 0
		.amdhsa_exception_fp_ieee_div_zero 0
		.amdhsa_exception_fp_ieee_overflow 0
		.amdhsa_exception_fp_ieee_underflow 0
		.amdhsa_exception_fp_ieee_inexact 0
		.amdhsa_exception_int_div_zero 0
	.end_amdhsa_kernel
	.section	.text._ZN2at6native32elementwise_kernel_manual_unrollILi128ELi8EZNS0_22gpu_kernel_impl_nocastIZZZNS0_21clamp_min_kernel_cudaERNS_18TensorIteratorBaseERKN3c106ScalarEENKUlvE_clEvENKUlvE0_clEvEUlaE_EEvS4_RKT_EUlibE_EEviT1_,"axG",@progbits,_ZN2at6native32elementwise_kernel_manual_unrollILi128ELi8EZNS0_22gpu_kernel_impl_nocastIZZZNS0_21clamp_min_kernel_cudaERNS_18TensorIteratorBaseERKN3c106ScalarEENKUlvE_clEvENKUlvE0_clEvEUlaE_EEvS4_RKT_EUlibE_EEviT1_,comdat
.Lfunc_end359:
	.size	_ZN2at6native32elementwise_kernel_manual_unrollILi128ELi8EZNS0_22gpu_kernel_impl_nocastIZZZNS0_21clamp_min_kernel_cudaERNS_18TensorIteratorBaseERKN3c106ScalarEENKUlvE_clEvENKUlvE0_clEvEUlaE_EEvS4_RKT_EUlibE_EEviT1_, .Lfunc_end359-_ZN2at6native32elementwise_kernel_manual_unrollILi128ELi8EZNS0_22gpu_kernel_impl_nocastIZZZNS0_21clamp_min_kernel_cudaERNS_18TensorIteratorBaseERKN3c106ScalarEENKUlvE_clEvENKUlvE0_clEvEUlaE_EEvS4_RKT_EUlibE_EEviT1_
                                        ; -- End function
	.section	.AMDGPU.csdata,"",@progbits
; Kernel info:
; codeLenInByte = 13604
; NumSgprs: 62
; NumVgprs: 26
; ScratchSize: 0
; MemoryBound: 0
; FloatMode: 240
; IeeeMode: 1
; LDSByteSize: 0 bytes/workgroup (compile time only)
; SGPRBlocks: 7
; VGPRBlocks: 3
; NumSGPRsForWavesPerEU: 62
; NumVGPRsForWavesPerEU: 26
; Occupancy: 16
; WaveLimiterHint : 1
; COMPUTE_PGM_RSRC2:SCRATCH_EN: 0
; COMPUTE_PGM_RSRC2:USER_SGPR: 15
; COMPUTE_PGM_RSRC2:TRAP_HANDLER: 0
; COMPUTE_PGM_RSRC2:TGID_X_EN: 1
; COMPUTE_PGM_RSRC2:TGID_Y_EN: 0
; COMPUTE_PGM_RSRC2:TGID_Z_EN: 0
; COMPUTE_PGM_RSRC2:TIDIG_COMP_CNT: 0
	.section	.text._ZN2at6native32elementwise_kernel_manual_unrollILi128ELi4EZNS0_15gpu_kernel_implIZZZNS0_21clamp_min_kernel_cudaERNS_18TensorIteratorBaseERKN3c106ScalarEENKUlvE_clEvENKUlvE0_clEvEUlaE_EEvS4_RKT_EUlibE_EEviT1_,"axG",@progbits,_ZN2at6native32elementwise_kernel_manual_unrollILi128ELi4EZNS0_15gpu_kernel_implIZZZNS0_21clamp_min_kernel_cudaERNS_18TensorIteratorBaseERKN3c106ScalarEENKUlvE_clEvENKUlvE0_clEvEUlaE_EEvS4_RKT_EUlibE_EEviT1_,comdat
	.globl	_ZN2at6native32elementwise_kernel_manual_unrollILi128ELi4EZNS0_15gpu_kernel_implIZZZNS0_21clamp_min_kernel_cudaERNS_18TensorIteratorBaseERKN3c106ScalarEENKUlvE_clEvENKUlvE0_clEvEUlaE_EEvS4_RKT_EUlibE_EEviT1_ ; -- Begin function _ZN2at6native32elementwise_kernel_manual_unrollILi128ELi4EZNS0_15gpu_kernel_implIZZZNS0_21clamp_min_kernel_cudaERNS_18TensorIteratorBaseERKN3c106ScalarEENKUlvE_clEvENKUlvE0_clEvEUlaE_EEvS4_RKT_EUlibE_EEviT1_
	.p2align	8
	.type	_ZN2at6native32elementwise_kernel_manual_unrollILi128ELi4EZNS0_15gpu_kernel_implIZZZNS0_21clamp_min_kernel_cudaERNS_18TensorIteratorBaseERKN3c106ScalarEENKUlvE_clEvENKUlvE0_clEvEUlaE_EEvS4_RKT_EUlibE_EEviT1_,@function
_ZN2at6native32elementwise_kernel_manual_unrollILi128ELi4EZNS0_15gpu_kernel_implIZZZNS0_21clamp_min_kernel_cudaERNS_18TensorIteratorBaseERKN3c106ScalarEENKUlvE_clEvENKUlvE0_clEvEUlaE_EEvS4_RKT_EUlibE_EEviT1_: ; @_ZN2at6native32elementwise_kernel_manual_unrollILi128ELi4EZNS0_15gpu_kernel_implIZZZNS0_21clamp_min_kernel_cudaERNS_18TensorIteratorBaseERKN3c106ScalarEENKUlvE_clEvENKUlvE0_clEvEUlaE_EEvS4_RKT_EUlibE_EEviT1_
; %bb.0:
	s_clause 0x3
	s_load_b32 s8, s[0:1], 0x20
	s_load_b32 s13, s[0:1], 0x0
	s_load_b64 s[2:3], s[0:1], 0x18
	s_load_b128 s[4:7], s[0:1], 0x8
	v_lshl_or_b32 v9, s15, 9, v0
	s_mov_b32 s9, 0
	s_mov_b32 s12, 0
	s_mov_b32 s0, exec_lo
	s_delay_alu instid0(VALU_DEP_1) | instskip(SKIP_3) | instid1(VALU_DEP_1)
	v_or_b32_e32 v0, 0x180, v9
	s_waitcnt lgkmcnt(0)
	s_lshr_b32 s1, s8, 8
	s_lshr_b32 s10, s8, 16
	v_cmpx_le_i32_e64 s13, v0
	s_xor_b32 s11, exec_lo, s0
	s_cbranch_execz .LBB360_1017
; %bb.1:
	s_mov_b32 s18, -1
	s_mov_b32 s16, 0
	s_mov_b32 s14, 0
	s_mov_b32 s15, exec_lo
	v_cmpx_gt_i32_e64 s13, v9
	s_cbranch_execz .LBB360_248
; %bb.2:
	v_mul_lo_u32 v0, v9, s3
	v_and_b32_e64 v4, 0xff, s10
	s_delay_alu instid0(VALU_DEP_1) | instskip(NEXT) | instid1(VALU_DEP_3)
	v_cmp_gt_i16_e32 vcc_lo, 11, v4
	v_ashrrev_i32_e32 v1, 31, v0
	v_add_co_u32 v0, s0, s6, v0
	s_delay_alu instid0(VALU_DEP_1)
	v_add_co_ci_u32_e64 v1, s0, s7, v1, s0
	s_cbranch_vccnz .LBB360_9
; %bb.3:
	v_cmp_lt_i16_e32 vcc_lo, 25, v4
	s_cbranch_vccz .LBB360_18
; %bb.4:
	v_cmp_lt_i16_e32 vcc_lo, 28, v4
	s_cbranch_vccz .LBB360_21
	;; [unrolled: 3-line block ×4, first 2 shown]
; %bb.7:
	v_cmp_eq_u16_e32 vcc_lo, 46, v4
	s_cbranch_vccz .LBB360_27
; %bb.8:
	global_load_b32 v2, v[0:1], off
	s_mov_b32 s0, -1
	s_waitcnt vmcnt(0)
	v_lshlrev_b32_e32 v2, 16, v2
	s_delay_alu instid0(VALU_DEP_1)
	v_cvt_i32_f32_e32 v2, v2
	s_branch .LBB360_29
.LBB360_9:
	s_mov_b32 s0, 0
                                        ; implicit-def: $vgpr2
	s_cbranch_execnz .LBB360_198
.LBB360_10:
	s_and_not1_b32 vcc_lo, exec_lo, s0
	s_cbranch_vccnz .LBB360_245
.LBB360_11:
	v_mul_lo_u32 v0, v9, s2
	s_waitcnt vmcnt(0)
	s_delay_alu instid0(VALU_DEP_2)
	v_bfe_i32 v1, v2, 0, 8
	v_and_b32_e64 v3, 0xff, s1
	s_bfe_i32 s0, s8, 0x80000
	s_delay_alu instid0(VALU_DEP_2) | instid1(SALU_CYCLE_1)
	v_max_i16 v2, v1, s0
	s_delay_alu instid0(VALU_DEP_2) | instskip(SKIP_2) | instid1(VALU_DEP_1)
	v_cmp_gt_i16_e32 vcc_lo, 11, v3
	v_ashrrev_i32_e32 v1, 31, v0
	v_add_co_u32 v0, s0, s4, v0
	v_add_co_ci_u32_e64 v1, s0, s5, v1, s0
	s_cbranch_vccnz .LBB360_19
; %bb.12:
	v_cmp_lt_i16_e32 vcc_lo, 25, v3
	s_cbranch_vccz .LBB360_22
; %bb.13:
	v_cmp_lt_i16_e32 vcc_lo, 28, v3
	s_cbranch_vccz .LBB360_24
	;; [unrolled: 3-line block ×4, first 2 shown]
; %bb.16:
	v_cmp_eq_u16_e32 vcc_lo, 46, v3
	s_mov_b32 s17, 0
	s_mov_b32 s0, -1
	s_mov_b32 s12, 0
	s_cbranch_vccz .LBB360_33
; %bb.17:
	v_bfe_i32 v4, v2, 0, 16
	s_mov_b32 s12, -1
	s_mov_b32 s0, 0
	s_delay_alu instid0(VALU_DEP_1) | instskip(NEXT) | instid1(VALU_DEP_1)
	v_cvt_f32_i32_e32 v4, v4
	v_bfe_u32 v5, v4, 16, 1
	s_delay_alu instid0(VALU_DEP_1) | instskip(NEXT) | instid1(VALU_DEP_1)
	v_add3_u32 v4, v4, v5, 0x7fff
	v_lshrrev_b32_e32 v4, 16, v4
	global_store_b32 v[0:1], v4, off
	s_branch .LBB360_33
.LBB360_18:
	s_mov_b32 s0, 0
                                        ; implicit-def: $vgpr2
	s_cbranch_execnz .LBB360_165
	s_branch .LBB360_197
.LBB360_19:
	s_mov_b32 s0, 0
	s_mov_b32 s12, 0
	s_cbranch_execnz .LBB360_102
.LBB360_20:
	s_and_not1_b32 vcc_lo, exec_lo, s12
	s_cbranch_vccnz .LBB360_246
	s_branch .LBB360_140
.LBB360_21:
	s_mov_b32 s12, -1
	s_mov_b32 s0, 0
                                        ; implicit-def: $vgpr2
	s_branch .LBB360_148
.LBB360_22:
	s_mov_b32 s17, -1
	s_mov_b32 s0, 0
	s_mov_b32 s12, 0
	s_branch .LBB360_60
.LBB360_23:
	s_mov_b32 s12, -1
	s_mov_b32 s0, 0
                                        ; implicit-def: $vgpr2
	s_branch .LBB360_143
.LBB360_24:
	s_mov_b32 s17, -1
	s_mov_b32 s0, 0
	s_mov_b32 s12, 0
	s_branch .LBB360_43
.LBB360_25:
	s_mov_b32 s12, -1
	s_branch .LBB360_28
.LBB360_26:
	s_mov_b32 s17, -1
	s_mov_b32 s0, 0
	s_mov_b32 s12, 0
	s_branch .LBB360_39
.LBB360_27:
	s_mov_b32 s14, -1
.LBB360_28:
	s_mov_b32 s0, 0
                                        ; implicit-def: $vgpr2
.LBB360_29:
	s_and_b32 vcc_lo, exec_lo, s12
	s_cbranch_vccz .LBB360_142
; %bb.30:
	v_cmp_eq_u16_e32 vcc_lo, 44, v4
	s_cbranch_vccz .LBB360_141
; %bb.31:
	global_load_u8 v2, v[0:1], off
	s_mov_b32 s14, 0
	s_mov_b32 s0, -1
	s_waitcnt vmcnt(0)
	v_lshlrev_b32_e32 v3, 23, v2
	v_cmp_ne_u32_e32 vcc_lo, 0, v2
	s_delay_alu instid0(VALU_DEP_2) | instskip(NEXT) | instid1(VALU_DEP_1)
	v_cvt_i32_f32_e32 v3, v3
	v_cndmask_b32_e32 v2, 0, v3, vcc_lo
	s_branch .LBB360_142
.LBB360_32:
	s_mov_b32 s17, -1
	s_mov_b32 s0, 0
	s_mov_b32 s12, 0
.LBB360_33:
	s_and_b32 vcc_lo, exec_lo, s17
	s_cbranch_vccz .LBB360_38
; %bb.34:
	v_cmp_eq_u16_e32 vcc_lo, 44, v3
	s_mov_b32 s0, -1
	s_cbranch_vccz .LBB360_38
; %bb.35:
	v_bfe_i32 v4, v2, 0, 16
	v_mov_b32_e32 v5, 0xff
	s_mov_b32 s12, exec_lo
	s_delay_alu instid0(VALU_DEP_2) | instskip(NEXT) | instid1(VALU_DEP_1)
	v_cvt_f32_i32_e32 v4, v4
	v_bfe_u32 v6, v4, 23, 8
	s_delay_alu instid0(VALU_DEP_1)
	v_cmpx_ne_u32_e32 0xff, v6
; %bb.36:
	v_and_b32_e32 v5, 0x400000, v4
	v_and_or_b32 v6, 0x3fffff, v4, v6
	v_lshrrev_b32_e32 v4, 23, v4
	s_delay_alu instid0(VALU_DEP_3) | instskip(NEXT) | instid1(VALU_DEP_3)
	v_cmp_ne_u32_e32 vcc_lo, 0, v5
	v_cmp_ne_u32_e64 s0, 0, v6
	s_delay_alu instid0(VALU_DEP_1) | instskip(NEXT) | instid1(SALU_CYCLE_1)
	s_and_b32 s0, vcc_lo, s0
	v_cndmask_b32_e64 v5, 0, 1, s0
	s_delay_alu instid0(VALU_DEP_1)
	v_add_nc_u32_e32 v5, v4, v5
; %bb.37:
	s_or_b32 exec_lo, exec_lo, s12
	s_mov_b32 s12, -1
	s_mov_b32 s0, 0
	global_store_b8 v[0:1], v5, off
.LBB360_38:
	s_mov_b32 s17, 0
.LBB360_39:
	s_delay_alu instid0(SALU_CYCLE_1)
	s_and_b32 vcc_lo, exec_lo, s17
	s_cbranch_vccz .LBB360_42
; %bb.40:
	v_cmp_eq_u16_e32 vcc_lo, 29, v3
	s_mov_b32 s0, -1
	s_cbranch_vccz .LBB360_42
; %bb.41:
	v_bfe_i32 v4, v2, 0, 16
	s_mov_b32 s0, 0
	s_mov_b32 s12, -1
	s_mov_b32 s17, 0
	s_delay_alu instid0(VALU_DEP_1)
	v_ashrrev_i32_e32 v5, 31, v4
	global_store_b64 v[0:1], v[4:5], off
	s_branch .LBB360_43
.LBB360_42:
	s_mov_b32 s17, 0
.LBB360_43:
	s_delay_alu instid0(SALU_CYCLE_1)
	s_and_b32 vcc_lo, exec_lo, s17
	s_cbranch_vccz .LBB360_59
; %bb.44:
	v_cmp_gt_i16_e32 vcc_lo, 27, v3
	s_mov_b32 s12, -1
	s_cbranch_vccnz .LBB360_50
; %bb.45:
	v_cmp_lt_i16_e32 vcc_lo, 27, v3
	s_cbranch_vccz .LBB360_47
; %bb.46:
	v_bfe_i32 v4, v2, 0, 16
	s_mov_b32 s12, 0
	global_store_b32 v[0:1], v4, off
.LBB360_47:
	s_and_not1_b32 vcc_lo, exec_lo, s12
	s_cbranch_vccnz .LBB360_49
; %bb.48:
	global_store_b16 v[0:1], v2, off
.LBB360_49:
	s_mov_b32 s12, 0
.LBB360_50:
	s_delay_alu instid0(SALU_CYCLE_1)
	s_and_not1_b32 vcc_lo, exec_lo, s12
	s_cbranch_vccnz .LBB360_58
; %bb.51:
	v_bfe_i32 v4, v2, 0, 16
	v_mov_b32_e32 v6, 0x80
	s_mov_b32 s12, exec_lo
	s_delay_alu instid0(VALU_DEP_2) | instskip(NEXT) | instid1(VALU_DEP_1)
	v_cvt_f32_i32_e32 v4, v4
	v_and_b32_e32 v5, 0x7fffffff, v4
	s_delay_alu instid0(VALU_DEP_1)
	v_cmpx_gt_u32_e32 0x43800000, v5
	s_cbranch_execz .LBB360_57
; %bb.52:
	v_cmp_lt_u32_e32 vcc_lo, 0x3bffffff, v5
	s_mov_b32 s17, 0
                                        ; implicit-def: $vgpr5
	s_and_saveexec_b32 s18, vcc_lo
	s_delay_alu instid0(SALU_CYCLE_1)
	s_xor_b32 s18, exec_lo, s18
	s_cbranch_execz .LBB360_272
; %bb.53:
	v_bfe_u32 v5, v4, 20, 1
	s_mov_b32 s17, exec_lo
	s_delay_alu instid0(VALU_DEP_1) | instskip(NEXT) | instid1(VALU_DEP_1)
	v_add3_u32 v5, v4, v5, 0x487ffff
	v_lshrrev_b32_e32 v5, 20, v5
	s_or_saveexec_b32 s18, s18
                                        ; implicit-def: $sgpr19
	s_delay_alu instid0(SALU_CYCLE_1)
	s_xor_b32 exec_lo, exec_lo, s18
	s_cbranch_execnz .LBB360_273
.LBB360_54:
	s_or_b32 exec_lo, exec_lo, s18
	v_mov_b32_e32 v6, s19
	s_and_saveexec_b32 s18, s17
.LBB360_55:
	v_lshrrev_b32_e32 v4, 24, v4
	s_delay_alu instid0(VALU_DEP_1)
	v_and_or_b32 v6, 0x80, v4, v5
.LBB360_56:
	s_or_b32 exec_lo, exec_lo, s18
.LBB360_57:
	s_delay_alu instid0(SALU_CYCLE_1)
	s_or_b32 exec_lo, exec_lo, s12
	global_store_b8 v[0:1], v6, off
.LBB360_58:
	s_mov_b32 s12, -1
.LBB360_59:
	s_mov_b32 s17, 0
.LBB360_60:
	s_delay_alu instid0(SALU_CYCLE_1)
	s_and_b32 vcc_lo, exec_lo, s17
	s_cbranch_vccz .LBB360_101
; %bb.61:
	v_cmp_lt_i16_e32 vcc_lo, 22, v3
	s_mov_b32 s17, -1
	s_cbranch_vccz .LBB360_93
; %bb.62:
	v_cmp_gt_i16_e32 vcc_lo, 24, v3
	s_mov_b32 s12, -1
	s_cbranch_vccnz .LBB360_82
; %bb.63:
	v_cmp_lt_i16_e32 vcc_lo, 24, v3
	s_cbranch_vccz .LBB360_71
; %bb.64:
	v_bfe_i32 v4, v2, 0, 16
	v_mov_b32_e32 v6, 0x80
	s_mov_b32 s12, exec_lo
	s_delay_alu instid0(VALU_DEP_2) | instskip(NEXT) | instid1(VALU_DEP_1)
	v_cvt_f32_i32_e32 v4, v4
	v_and_b32_e32 v5, 0x7fffffff, v4
	s_delay_alu instid0(VALU_DEP_1)
	v_cmpx_gt_u32_e32 0x47800000, v5
	s_cbranch_execz .LBB360_70
; %bb.65:
	v_cmp_lt_u32_e32 vcc_lo, 0x37ffffff, v5
	s_mov_b32 s17, 0
                                        ; implicit-def: $vgpr5
	s_and_saveexec_b32 s18, vcc_lo
	s_delay_alu instid0(SALU_CYCLE_1)
	s_xor_b32 s18, exec_lo, s18
	s_cbranch_execz .LBB360_276
; %bb.66:
	v_bfe_u32 v5, v4, 21, 1
	s_mov_b32 s17, exec_lo
	s_delay_alu instid0(VALU_DEP_1) | instskip(NEXT) | instid1(VALU_DEP_1)
	v_add3_u32 v5, v4, v5, 0x88fffff
	v_lshrrev_b32_e32 v5, 21, v5
	s_or_saveexec_b32 s18, s18
                                        ; implicit-def: $sgpr19
	s_delay_alu instid0(SALU_CYCLE_1)
	s_xor_b32 exec_lo, exec_lo, s18
	s_cbranch_execnz .LBB360_277
.LBB360_67:
	s_or_b32 exec_lo, exec_lo, s18
	v_mov_b32_e32 v6, s19
	s_and_saveexec_b32 s18, s17
.LBB360_68:
	v_lshrrev_b32_e32 v4, 24, v4
	s_delay_alu instid0(VALU_DEP_1)
	v_and_or_b32 v6, 0x80, v4, v5
.LBB360_69:
	s_or_b32 exec_lo, exec_lo, s18
.LBB360_70:
	s_delay_alu instid0(SALU_CYCLE_1)
	s_or_b32 exec_lo, exec_lo, s12
	s_mov_b32 s12, 0
	global_store_b8 v[0:1], v6, off
.LBB360_71:
	s_and_b32 vcc_lo, exec_lo, s12
	s_cbranch_vccz .LBB360_81
; %bb.72:
	v_bfe_i32 v4, v2, 0, 16
	s_mov_b32 s12, exec_lo
                                        ; implicit-def: $vgpr5
	s_delay_alu instid0(VALU_DEP_1) | instskip(NEXT) | instid1(VALU_DEP_1)
	v_cvt_f32_i32_e32 v4, v4
	v_and_b32_e32 v6, 0x7fffffff, v4
	s_delay_alu instid0(VALU_DEP_1)
	v_cmpx_gt_u32_e32 0x43f00000, v6
	s_xor_b32 s12, exec_lo, s12
	s_cbranch_execz .LBB360_78
; %bb.73:
	s_mov_b32 s17, exec_lo
                                        ; implicit-def: $vgpr5
	v_cmpx_lt_u32_e32 0x3c7fffff, v6
	s_xor_b32 s17, exec_lo, s17
; %bb.74:
	v_bfe_u32 v5, v4, 20, 1
	s_delay_alu instid0(VALU_DEP_1) | instskip(NEXT) | instid1(VALU_DEP_1)
	v_add3_u32 v5, v4, v5, 0x407ffff
	v_and_b32_e32 v6, 0xff00000, v5
	v_lshrrev_b32_e32 v5, 20, v5
	s_delay_alu instid0(VALU_DEP_2) | instskip(NEXT) | instid1(VALU_DEP_2)
	v_cmp_ne_u32_e32 vcc_lo, 0x7f00000, v6
	v_cndmask_b32_e32 v5, 0x7e, v5, vcc_lo
; %bb.75:
	s_and_not1_saveexec_b32 s17, s17
; %bb.76:
	v_add_f32_e64 v5, 0x46800000, |v4|
; %bb.77:
	s_or_b32 exec_lo, exec_lo, s17
                                        ; implicit-def: $vgpr6
.LBB360_78:
	s_and_not1_saveexec_b32 s12, s12
; %bb.79:
	v_mov_b32_e32 v5, 0x7f
	v_cmp_lt_u32_e32 vcc_lo, 0x7f800000, v6
	s_delay_alu instid0(VALU_DEP_2)
	v_cndmask_b32_e32 v5, 0x7e, v5, vcc_lo
; %bb.80:
	s_or_b32 exec_lo, exec_lo, s12
	v_lshrrev_b32_e32 v4, 24, v4
	s_delay_alu instid0(VALU_DEP_1)
	v_and_or_b32 v4, 0x80, v4, v5
	global_store_b8 v[0:1], v4, off
.LBB360_81:
	s_mov_b32 s12, 0
.LBB360_82:
	s_delay_alu instid0(SALU_CYCLE_1)
	s_and_not1_b32 vcc_lo, exec_lo, s12
	s_cbranch_vccnz .LBB360_92
; %bb.83:
	v_bfe_i32 v4, v2, 0, 16
	s_mov_b32 s12, exec_lo
                                        ; implicit-def: $vgpr5
	s_delay_alu instid0(VALU_DEP_1) | instskip(NEXT) | instid1(VALU_DEP_1)
	v_cvt_f32_i32_e32 v4, v4
	v_and_b32_e32 v6, 0x7fffffff, v4
	s_delay_alu instid0(VALU_DEP_1)
	v_cmpx_gt_u32_e32 0x47800000, v6
	s_xor_b32 s12, exec_lo, s12
	s_cbranch_execz .LBB360_89
; %bb.84:
	s_mov_b32 s17, exec_lo
                                        ; implicit-def: $vgpr5
	v_cmpx_lt_u32_e32 0x387fffff, v6
	s_xor_b32 s17, exec_lo, s17
; %bb.85:
	v_bfe_u32 v5, v4, 21, 1
	s_delay_alu instid0(VALU_DEP_1) | instskip(NEXT) | instid1(VALU_DEP_1)
	v_add3_u32 v5, v4, v5, 0x80fffff
	v_lshrrev_b32_e32 v5, 21, v5
; %bb.86:
	s_and_not1_saveexec_b32 s17, s17
; %bb.87:
	v_add_f32_e64 v5, 0x43000000, |v4|
; %bb.88:
	s_or_b32 exec_lo, exec_lo, s17
                                        ; implicit-def: $vgpr6
.LBB360_89:
	s_and_not1_saveexec_b32 s12, s12
; %bb.90:
	v_mov_b32_e32 v5, 0x7f
	v_cmp_lt_u32_e32 vcc_lo, 0x7f800000, v6
	s_delay_alu instid0(VALU_DEP_2)
	v_cndmask_b32_e32 v5, 0x7c, v5, vcc_lo
; %bb.91:
	s_or_b32 exec_lo, exec_lo, s12
	v_lshrrev_b32_e32 v4, 24, v4
	s_delay_alu instid0(VALU_DEP_1)
	v_and_or_b32 v4, 0x80, v4, v5
	global_store_b8 v[0:1], v4, off
.LBB360_92:
	s_mov_b32 s17, 0
	s_mov_b32 s12, -1
.LBB360_93:
	s_and_not1_b32 vcc_lo, exec_lo, s17
	s_cbranch_vccnz .LBB360_101
; %bb.94:
	v_cmp_lt_i16_e32 vcc_lo, 14, v3
	s_mov_b32 s17, -1
	s_cbranch_vccz .LBB360_98
; %bb.95:
	v_cmp_eq_u16_e32 vcc_lo, 15, v3
	s_mov_b32 s0, -1
	s_cbranch_vccz .LBB360_97
; %bb.96:
	v_bfe_i32 v4, v2, 0, 16
	s_mov_b32 s12, -1
	s_mov_b32 s0, 0
	s_delay_alu instid0(VALU_DEP_1) | instskip(NEXT) | instid1(VALU_DEP_1)
	v_cvt_f32_i32_e32 v4, v4
	v_bfe_u32 v5, v4, 16, 1
	s_delay_alu instid0(VALU_DEP_1)
	v_add3_u32 v4, v4, v5, 0x7fff
	global_store_d16_hi_b16 v[0:1], v4, off
.LBB360_97:
	s_mov_b32 s17, 0
.LBB360_98:
	s_delay_alu instid0(SALU_CYCLE_1)
	s_and_b32 vcc_lo, exec_lo, s17
	s_cbranch_vccz .LBB360_101
; %bb.99:
	v_cmp_eq_u16_e32 vcc_lo, 11, v3
	s_mov_b32 s0, -1
	s_cbranch_vccz .LBB360_101
; %bb.100:
	v_cmp_ne_u16_e32 vcc_lo, 0, v2
	s_mov_b32 s0, 0
	s_mov_b32 s12, -1
	v_cndmask_b32_e64 v4, 0, 1, vcc_lo
	global_store_b8 v[0:1], v4, off
.LBB360_101:
	s_branch .LBB360_20
.LBB360_102:
	v_cmp_gt_i16_e32 vcc_lo, 5, v3
	s_mov_b32 s12, -1
	s_cbranch_vccnz .LBB360_123
; %bb.103:
	v_cmp_gt_i16_e32 vcc_lo, 8, v3
	s_cbranch_vccnz .LBB360_113
; %bb.104:
	v_cmp_gt_i16_e32 vcc_lo, 9, v3
	s_cbranch_vccnz .LBB360_110
; %bb.105:
	v_cmp_lt_i16_e32 vcc_lo, 9, v3
	s_cbranch_vccz .LBB360_107
; %bb.106:
	v_bfe_i32 v4, v2, 0, 16
	v_mov_b32_e32 v6, 0
	s_mov_b32 s12, 0
	s_delay_alu instid0(VALU_DEP_2) | instskip(NEXT) | instid1(VALU_DEP_2)
	v_cvt_f64_i32_e32 v[4:5], v4
	v_mov_b32_e32 v7, v6
	global_store_b128 v[0:1], v[4:7], off
.LBB360_107:
	s_and_not1_b32 vcc_lo, exec_lo, s12
	s_cbranch_vccnz .LBB360_109
; %bb.108:
	v_bfe_i32 v4, v2, 0, 16
	v_mov_b32_e32 v5, 0
	s_delay_alu instid0(VALU_DEP_2)
	v_cvt_f32_i32_e32 v4, v4
	global_store_b64 v[0:1], v[4:5], off
.LBB360_109:
	s_mov_b32 s12, 0
.LBB360_110:
	s_delay_alu instid0(SALU_CYCLE_1)
	s_and_not1_b32 vcc_lo, exec_lo, s12
	s_cbranch_vccnz .LBB360_112
; %bb.111:
	v_cvt_f16_i16_e32 v4, v2
	s_delay_alu instid0(VALU_DEP_1)
	v_and_b32_e32 v4, 0xffff, v4
	global_store_b32 v[0:1], v4, off
.LBB360_112:
	s_mov_b32 s12, 0
.LBB360_113:
	s_delay_alu instid0(SALU_CYCLE_1)
	s_and_not1_b32 vcc_lo, exec_lo, s12
	s_cbranch_vccnz .LBB360_122
; %bb.114:
	v_cmp_gt_i16_e32 vcc_lo, 6, v3
	s_mov_b32 s12, -1
	s_cbranch_vccnz .LBB360_120
; %bb.115:
	v_cmp_lt_i16_e32 vcc_lo, 6, v3
	s_cbranch_vccz .LBB360_117
; %bb.116:
	v_bfe_i32 v4, v2, 0, 16
	s_mov_b32 s12, 0
	s_delay_alu instid0(VALU_DEP_1)
	v_cvt_f64_i32_e32 v[4:5], v4
	global_store_b64 v[0:1], v[4:5], off
.LBB360_117:
	s_and_not1_b32 vcc_lo, exec_lo, s12
	s_cbranch_vccnz .LBB360_119
; %bb.118:
	v_bfe_i32 v4, v2, 0, 16
	s_delay_alu instid0(VALU_DEP_1)
	v_cvt_f32_i32_e32 v4, v4
	global_store_b32 v[0:1], v4, off
.LBB360_119:
	s_mov_b32 s12, 0
.LBB360_120:
	s_delay_alu instid0(SALU_CYCLE_1)
	s_and_not1_b32 vcc_lo, exec_lo, s12
	s_cbranch_vccnz .LBB360_122
; %bb.121:
	v_cvt_f16_i16_e32 v4, v2
	global_store_b16 v[0:1], v4, off
.LBB360_122:
	s_mov_b32 s12, 0
.LBB360_123:
	s_delay_alu instid0(SALU_CYCLE_1)
	s_and_not1_b32 vcc_lo, exec_lo, s12
	s_cbranch_vccnz .LBB360_139
; %bb.124:
	v_cmp_gt_i16_e32 vcc_lo, 2, v3
	s_mov_b32 s12, -1
	s_cbranch_vccnz .LBB360_134
; %bb.125:
	v_cmp_gt_i16_e32 vcc_lo, 3, v3
	s_cbranch_vccnz .LBB360_131
; %bb.126:
	v_cmp_lt_i16_e32 vcc_lo, 3, v3
	s_cbranch_vccz .LBB360_128
; %bb.127:
	v_bfe_i32 v4, v2, 0, 16
	s_mov_b32 s12, 0
	s_delay_alu instid0(VALU_DEP_1)
	v_ashrrev_i32_e32 v5, 31, v4
	global_store_b64 v[0:1], v[4:5], off
.LBB360_128:
	s_and_not1_b32 vcc_lo, exec_lo, s12
	s_cbranch_vccnz .LBB360_130
; %bb.129:
	v_bfe_i32 v4, v2, 0, 16
	global_store_b32 v[0:1], v4, off
.LBB360_130:
	s_mov_b32 s12, 0
.LBB360_131:
	s_delay_alu instid0(SALU_CYCLE_1)
	s_and_not1_b32 vcc_lo, exec_lo, s12
	s_cbranch_vccnz .LBB360_133
; %bb.132:
	global_store_b16 v[0:1], v2, off
.LBB360_133:
	s_mov_b32 s12, 0
.LBB360_134:
	s_delay_alu instid0(SALU_CYCLE_1)
	s_and_not1_b32 vcc_lo, exec_lo, s12
	s_cbranch_vccnz .LBB360_139
; %bb.135:
	v_cmp_lt_i16_e32 vcc_lo, 0, v3
	s_mov_b32 s12, -1
	s_cbranch_vccz .LBB360_137
; %bb.136:
	s_mov_b32 s12, 0
	global_store_b8 v[0:1], v2, off
.LBB360_137:
	s_and_not1_b32 vcc_lo, exec_lo, s12
	s_cbranch_vccnz .LBB360_139
; %bb.138:
	global_store_b8 v[0:1], v2, off
.LBB360_139:
.LBB360_140:
	v_add_nc_u32_e32 v9, 0x80, v9
	s_mov_b32 s17, -1
	s_branch .LBB360_247
.LBB360_141:
	s_mov_b32 s14, -1
                                        ; implicit-def: $vgpr2
.LBB360_142:
	s_mov_b32 s12, 0
.LBB360_143:
	s_delay_alu instid0(SALU_CYCLE_1)
	s_and_b32 vcc_lo, exec_lo, s12
	s_cbranch_vccz .LBB360_147
; %bb.144:
	v_cmp_eq_u16_e32 vcc_lo, 29, v4
	s_cbranch_vccz .LBB360_146
; %bb.145:
	global_load_b64 v[2:3], v[0:1], off
	s_mov_b32 s0, -1
	s_mov_b32 s14, 0
	s_branch .LBB360_147
.LBB360_146:
	s_mov_b32 s14, -1
                                        ; implicit-def: $vgpr2
.LBB360_147:
	s_mov_b32 s12, 0
.LBB360_148:
	s_delay_alu instid0(SALU_CYCLE_1)
	s_and_b32 vcc_lo, exec_lo, s12
	s_cbranch_vccz .LBB360_164
; %bb.149:
	v_cmp_gt_i16_e32 vcc_lo, 27, v4
	s_cbranch_vccnz .LBB360_152
; %bb.150:
	v_cmp_lt_i16_e32 vcc_lo, 27, v4
	s_cbranch_vccz .LBB360_153
; %bb.151:
	global_load_b32 v2, v[0:1], off
	s_mov_b32 s0, 0
	s_branch .LBB360_154
.LBB360_152:
	s_mov_b32 s0, -1
                                        ; implicit-def: $vgpr2
	s_branch .LBB360_157
.LBB360_153:
	s_mov_b32 s0, -1
                                        ; implicit-def: $vgpr2
.LBB360_154:
	s_delay_alu instid0(SALU_CYCLE_1)
	s_and_not1_b32 vcc_lo, exec_lo, s0
	s_cbranch_vccnz .LBB360_156
; %bb.155:
	global_load_u16 v2, v[0:1], off
.LBB360_156:
	s_mov_b32 s0, 0
.LBB360_157:
	s_delay_alu instid0(SALU_CYCLE_1)
	s_and_not1_b32 vcc_lo, exec_lo, s0
	s_cbranch_vccnz .LBB360_163
; %bb.158:
	global_load_u8 v3, v[0:1], off
	s_mov_b32 s0, 0
	s_mov_b32 s12, exec_lo
                                        ; implicit-def: $sgpr17
	s_waitcnt vmcnt(0)
	v_cmpx_lt_i16_e32 0x7f, v3
	s_xor_b32 s12, exec_lo, s12
	s_cbranch_execz .LBB360_174
; %bb.159:
	v_cmp_ne_u16_e32 vcc_lo, 0x80, v3
	s_mov_b32 s17, 0
	s_and_b32 s0, vcc_lo, exec_lo
	s_or_saveexec_b32 s12, s12
	v_mov_b32_e32 v2, s17
	s_xor_b32 exec_lo, exec_lo, s12
	s_cbranch_execnz .LBB360_175
.LBB360_160:
	s_or_b32 exec_lo, exec_lo, s12
	s_and_saveexec_b32 s12, s0
	s_cbranch_execz .LBB360_162
.LBB360_161:
	v_and_b32_e32 v2, 0xffff, v3
	v_lshlrev_b32_e32 v3, 24, v3
	s_delay_alu instid0(VALU_DEP_2) | instskip(NEXT) | instid1(VALU_DEP_2)
	v_and_b32_e32 v5, 7, v2
	v_and_b32_e32 v3, 0x80000000, v3
	s_delay_alu instid0(VALU_DEP_2) | instskip(NEXT) | instid1(VALU_DEP_1)
	v_clz_i32_u32_e32 v6, v5
	v_min_u32_e32 v6, 32, v6
	s_delay_alu instid0(VALU_DEP_1) | instskip(SKIP_1) | instid1(VALU_DEP_2)
	v_subrev_nc_u32_e32 v7, 28, v6
	v_sub_nc_u32_e32 v6, 29, v6
	v_lshlrev_b32_e32 v7, v7, v2
	v_bfe_u32 v2, v2, 3, 4
	s_delay_alu instid0(VALU_DEP_1) | instskip(NEXT) | instid1(VALU_DEP_3)
	v_cmp_eq_u32_e32 vcc_lo, 0, v2
	v_dual_cndmask_b32 v2, v2, v6 :: v_dual_and_b32 v7, 7, v7
	s_delay_alu instid0(VALU_DEP_1) | instskip(NEXT) | instid1(VALU_DEP_2)
	v_cndmask_b32_e32 v5, v5, v7, vcc_lo
	v_lshl_add_u32 v2, v2, 23, 0x3b800000
	s_delay_alu instid0(VALU_DEP_2) | instskip(NEXT) | instid1(VALU_DEP_1)
	v_lshlrev_b32_e32 v5, 20, v5
	v_or3_b32 v2, v3, v2, v5
	s_delay_alu instid0(VALU_DEP_1)
	v_cvt_i32_f32_e32 v2, v2
.LBB360_162:
	s_or_b32 exec_lo, exec_lo, s12
.LBB360_163:
	s_mov_b32 s0, -1
.LBB360_164:
	s_branch .LBB360_197
.LBB360_165:
	v_cmp_lt_i16_e32 vcc_lo, 22, v4
	s_cbranch_vccz .LBB360_173
; %bb.166:
	v_cmp_gt_i16_e32 vcc_lo, 24, v4
	s_cbranch_vccnz .LBB360_176
; %bb.167:
	v_cmp_lt_i16_e32 vcc_lo, 24, v4
	s_cbranch_vccz .LBB360_177
; %bb.168:
	global_load_u8 v3, v[0:1], off
	s_mov_b32 s0, 0
	s_mov_b32 s12, exec_lo
                                        ; implicit-def: $sgpr17
	s_waitcnt vmcnt(0)
	v_cmpx_lt_i16_e32 0x7f, v3
	s_xor_b32 s12, exec_lo, s12
	s_cbranch_execz .LBB360_189
; %bb.169:
	v_cmp_ne_u16_e32 vcc_lo, 0x80, v3
	s_mov_b32 s17, 0
	s_and_b32 s0, vcc_lo, exec_lo
	s_or_saveexec_b32 s12, s12
	v_mov_b32_e32 v2, s17
	s_xor_b32 exec_lo, exec_lo, s12
	s_cbranch_execnz .LBB360_190
.LBB360_170:
	s_or_b32 exec_lo, exec_lo, s12
	s_and_saveexec_b32 s12, s0
	s_cbranch_execz .LBB360_172
.LBB360_171:
	v_and_b32_e32 v2, 0xffff, v3
	v_lshlrev_b32_e32 v3, 24, v3
	s_delay_alu instid0(VALU_DEP_2) | instskip(NEXT) | instid1(VALU_DEP_2)
	v_and_b32_e32 v5, 3, v2
	v_and_b32_e32 v3, 0x80000000, v3
	s_delay_alu instid0(VALU_DEP_2) | instskip(NEXT) | instid1(VALU_DEP_1)
	v_clz_i32_u32_e32 v6, v5
	v_min_u32_e32 v6, 32, v6
	s_delay_alu instid0(VALU_DEP_1) | instskip(SKIP_1) | instid1(VALU_DEP_2)
	v_subrev_nc_u32_e32 v7, 29, v6
	v_sub_nc_u32_e32 v6, 30, v6
	v_lshlrev_b32_e32 v7, v7, v2
	v_bfe_u32 v2, v2, 2, 5
	s_delay_alu instid0(VALU_DEP_1) | instskip(NEXT) | instid1(VALU_DEP_3)
	v_cmp_eq_u32_e32 vcc_lo, 0, v2
	v_dual_cndmask_b32 v2, v2, v6 :: v_dual_and_b32 v7, 3, v7
	s_delay_alu instid0(VALU_DEP_1) | instskip(NEXT) | instid1(VALU_DEP_2)
	v_cndmask_b32_e32 v5, v5, v7, vcc_lo
	v_lshl_add_u32 v2, v2, 23, 0x37800000
	s_delay_alu instid0(VALU_DEP_2) | instskip(NEXT) | instid1(VALU_DEP_1)
	v_lshlrev_b32_e32 v5, 21, v5
	v_or3_b32 v2, v3, v2, v5
	s_delay_alu instid0(VALU_DEP_1)
	v_cvt_i32_f32_e32 v2, v2
.LBB360_172:
	s_or_b32 exec_lo, exec_lo, s12
	s_mov_b32 s0, 0
	s_branch .LBB360_178
.LBB360_173:
	s_mov_b32 s12, -1
                                        ; implicit-def: $vgpr2
	s_branch .LBB360_184
.LBB360_174:
	s_or_saveexec_b32 s12, s12
	v_mov_b32_e32 v2, s17
	s_xor_b32 exec_lo, exec_lo, s12
	s_cbranch_execz .LBB360_160
.LBB360_175:
	v_cmp_ne_u16_e32 vcc_lo, 0, v3
	v_mov_b32_e32 v2, 0
	s_and_not1_b32 s0, s0, exec_lo
	s_and_b32 s17, vcc_lo, exec_lo
	s_delay_alu instid0(SALU_CYCLE_1)
	s_or_b32 s0, s0, s17
	s_or_b32 exec_lo, exec_lo, s12
	s_and_saveexec_b32 s12, s0
	s_cbranch_execnz .LBB360_161
	s_branch .LBB360_162
.LBB360_176:
	s_mov_b32 s0, -1
                                        ; implicit-def: $vgpr2
	s_branch .LBB360_181
.LBB360_177:
	s_mov_b32 s0, -1
                                        ; implicit-def: $vgpr2
.LBB360_178:
	s_delay_alu instid0(SALU_CYCLE_1)
	s_and_b32 vcc_lo, exec_lo, s0
	s_cbranch_vccz .LBB360_180
; %bb.179:
	global_load_u8 v2, v[0:1], off
	s_waitcnt vmcnt(0)
	v_lshlrev_b32_e32 v2, 24, v2
	s_delay_alu instid0(VALU_DEP_1) | instskip(NEXT) | instid1(VALU_DEP_1)
	v_and_b32_e32 v3, 0x7f000000, v2
	v_clz_i32_u32_e32 v5, v3
	v_add_nc_u32_e32 v7, 0x1000000, v3
	v_cmp_ne_u32_e32 vcc_lo, 0, v3
	s_delay_alu instid0(VALU_DEP_3) | instskip(NEXT) | instid1(VALU_DEP_1)
	v_min_u32_e32 v5, 32, v5
	v_sub_nc_u32_e64 v5, v5, 4 clamp
	s_delay_alu instid0(VALU_DEP_1) | instskip(SKIP_1) | instid1(VALU_DEP_2)
	v_lshlrev_b32_e32 v6, v5, v3
	v_lshlrev_b32_e32 v5, 23, v5
	v_lshrrev_b32_e32 v6, 4, v6
	s_delay_alu instid0(VALU_DEP_1) | instskip(SKIP_1) | instid1(VALU_DEP_2)
	v_sub_nc_u32_e32 v5, v6, v5
	v_ashrrev_i32_e32 v6, 8, v7
	v_add_nc_u32_e32 v5, 0x3c000000, v5
	s_delay_alu instid0(VALU_DEP_1) | instskip(NEXT) | instid1(VALU_DEP_1)
	v_and_or_b32 v5, 0x7f800000, v6, v5
	v_cndmask_b32_e32 v3, 0, v5, vcc_lo
	s_delay_alu instid0(VALU_DEP_1) | instskip(NEXT) | instid1(VALU_DEP_1)
	v_and_or_b32 v2, 0x80000000, v2, v3
	v_cvt_i32_f32_e32 v2, v2
.LBB360_180:
	s_mov_b32 s0, 0
.LBB360_181:
	s_delay_alu instid0(SALU_CYCLE_1)
	s_and_not1_b32 vcc_lo, exec_lo, s0
	s_cbranch_vccnz .LBB360_183
; %bb.182:
	global_load_u8 v2, v[0:1], off
	s_waitcnt vmcnt(0)
	v_lshlrev_b32_e32 v3, 25, v2
	v_lshlrev_b16 v2, 8, v2
	s_delay_alu instid0(VALU_DEP_2) | instskip(NEXT) | instid1(VALU_DEP_2)
	v_lshrrev_b32_e32 v5, 4, v3
	v_and_or_b32 v6, 0x7f00, v2, 0.5
	v_cmp_gt_u32_e32 vcc_lo, 0x8000000, v3
	v_bfe_i32 v2, v2, 0, 16
	s_delay_alu instid0(VALU_DEP_4) | instskip(NEXT) | instid1(VALU_DEP_1)
	v_or_b32_e32 v5, 0x70000000, v5
	v_dual_add_f32 v6, -0.5, v6 :: v_dual_mul_f32 v5, 0x7800000, v5
	s_delay_alu instid0(VALU_DEP_1) | instskip(NEXT) | instid1(VALU_DEP_1)
	v_cndmask_b32_e32 v3, v5, v6, vcc_lo
	v_and_or_b32 v2, 0x80000000, v2, v3
	s_delay_alu instid0(VALU_DEP_1)
	v_cvt_i32_f32_e32 v2, v2
.LBB360_183:
	s_mov_b32 s12, 0
	s_mov_b32 s0, -1
.LBB360_184:
	s_and_not1_b32 vcc_lo, exec_lo, s12
	s_cbranch_vccnz .LBB360_197
; %bb.185:
	v_cmp_lt_i16_e32 vcc_lo, 14, v4
	s_cbranch_vccz .LBB360_188
; %bb.186:
	v_cmp_eq_u16_e32 vcc_lo, 15, v4
	s_cbranch_vccz .LBB360_191
; %bb.187:
	global_load_u16 v2, v[0:1], off
	s_mov_b32 s0, -1
	s_mov_b32 s14, 0
	s_waitcnt vmcnt(0)
	v_lshlrev_b32_e32 v2, 16, v2
	s_delay_alu instid0(VALU_DEP_1)
	v_cvt_i32_f32_e32 v2, v2
	s_branch .LBB360_192
.LBB360_188:
	s_mov_b32 s12, -1
                                        ; implicit-def: $vgpr2
	s_branch .LBB360_193
.LBB360_189:
	s_or_saveexec_b32 s12, s12
	v_mov_b32_e32 v2, s17
	s_xor_b32 exec_lo, exec_lo, s12
	s_cbranch_execz .LBB360_170
.LBB360_190:
	v_cmp_ne_u16_e32 vcc_lo, 0, v3
	v_mov_b32_e32 v2, 0
	s_and_not1_b32 s0, s0, exec_lo
	s_and_b32 s17, vcc_lo, exec_lo
	s_delay_alu instid0(SALU_CYCLE_1)
	s_or_b32 s0, s0, s17
	s_or_b32 exec_lo, exec_lo, s12
	s_and_saveexec_b32 s12, s0
	s_cbranch_execnz .LBB360_171
	s_branch .LBB360_172
.LBB360_191:
	s_mov_b32 s14, -1
                                        ; implicit-def: $vgpr2
.LBB360_192:
	s_mov_b32 s12, 0
.LBB360_193:
	s_delay_alu instid0(SALU_CYCLE_1)
	s_and_b32 vcc_lo, exec_lo, s12
	s_cbranch_vccz .LBB360_197
; %bb.194:
	v_cmp_eq_u16_e32 vcc_lo, 11, v4
	s_cbranch_vccz .LBB360_196
; %bb.195:
	global_load_u8 v2, v[0:1], off
	s_mov_b32 s14, 0
	s_mov_b32 s0, -1
	s_waitcnt vmcnt(0)
	v_cmp_ne_u16_e32 vcc_lo, 0, v2
	v_cndmask_b32_e64 v2, 0, 1, vcc_lo
	s_branch .LBB360_197
.LBB360_196:
	s_mov_b32 s14, -1
                                        ; implicit-def: $vgpr2
.LBB360_197:
	s_branch .LBB360_10
.LBB360_198:
	v_cmp_gt_i16_e32 vcc_lo, 5, v4
	s_cbranch_vccnz .LBB360_203
; %bb.199:
	v_cmp_gt_i16_e32 vcc_lo, 8, v4
	s_cbranch_vccnz .LBB360_204
; %bb.200:
	;; [unrolled: 3-line block ×3, first 2 shown]
	v_cmp_lt_i16_e32 vcc_lo, 9, v4
	s_cbranch_vccz .LBB360_206
; %bb.202:
	global_load_b64 v[2:3], v[0:1], off
	s_mov_b32 s0, 0
	s_waitcnt vmcnt(0)
	v_cvt_i32_f64_e32 v2, v[2:3]
	s_branch .LBB360_207
.LBB360_203:
                                        ; implicit-def: $vgpr2
	s_branch .LBB360_225
.LBB360_204:
	s_mov_b32 s0, -1
                                        ; implicit-def: $vgpr2
	s_branch .LBB360_213
.LBB360_205:
	s_mov_b32 s0, -1
                                        ; implicit-def: $vgpr2
	s_branch .LBB360_210
.LBB360_206:
	s_mov_b32 s0, -1
                                        ; implicit-def: $vgpr2
.LBB360_207:
	s_delay_alu instid0(SALU_CYCLE_1)
	s_and_not1_b32 vcc_lo, exec_lo, s0
	s_cbranch_vccnz .LBB360_209
; %bb.208:
	global_load_b32 v2, v[0:1], off
	s_waitcnt vmcnt(0)
	v_cvt_i32_f32_e32 v2, v2
.LBB360_209:
	s_mov_b32 s0, 0
.LBB360_210:
	s_delay_alu instid0(SALU_CYCLE_1)
	s_and_not1_b32 vcc_lo, exec_lo, s0
	s_cbranch_vccnz .LBB360_212
; %bb.211:
	global_load_b32 v2, v[0:1], off
	s_waitcnt vmcnt(0)
	v_cvt_i16_f16_e32 v2, v2
.LBB360_212:
	s_mov_b32 s0, 0
.LBB360_213:
	s_delay_alu instid0(SALU_CYCLE_1)
	s_and_not1_b32 vcc_lo, exec_lo, s0
	s_cbranch_vccnz .LBB360_224
; %bb.214:
	v_cmp_gt_i16_e32 vcc_lo, 6, v4
	s_cbranch_vccnz .LBB360_217
; %bb.215:
	v_cmp_lt_i16_e32 vcc_lo, 6, v4
	s_cbranch_vccz .LBB360_218
; %bb.216:
	global_load_b64 v[2:3], v[0:1], off
	s_mov_b32 s0, 0
	s_waitcnt vmcnt(0)
	v_cvt_i32_f64_e32 v2, v[2:3]
	s_branch .LBB360_219
.LBB360_217:
	s_mov_b32 s0, -1
                                        ; implicit-def: $vgpr2
	s_branch .LBB360_222
.LBB360_218:
	s_mov_b32 s0, -1
                                        ; implicit-def: $vgpr2
.LBB360_219:
	s_delay_alu instid0(SALU_CYCLE_1)
	s_and_not1_b32 vcc_lo, exec_lo, s0
	s_cbranch_vccnz .LBB360_221
; %bb.220:
	global_load_b32 v2, v[0:1], off
	s_waitcnt vmcnt(0)
	v_cvt_i32_f32_e32 v2, v2
.LBB360_221:
	s_mov_b32 s0, 0
.LBB360_222:
	s_delay_alu instid0(SALU_CYCLE_1)
	s_and_not1_b32 vcc_lo, exec_lo, s0
	s_cbranch_vccnz .LBB360_224
; %bb.223:
	global_load_u16 v2, v[0:1], off
	s_waitcnt vmcnt(0)
	v_cvt_i16_f16_e32 v2, v2
.LBB360_224:
	s_cbranch_execnz .LBB360_244
.LBB360_225:
	v_cmp_gt_i16_e32 vcc_lo, 2, v4
	s_cbranch_vccnz .LBB360_229
; %bb.226:
	v_cmp_gt_i16_e32 vcc_lo, 3, v4
	s_cbranch_vccnz .LBB360_230
; %bb.227:
	v_cmp_lt_i16_e32 vcc_lo, 3, v4
	s_cbranch_vccz .LBB360_231
; %bb.228:
	global_load_b64 v[2:3], v[0:1], off
	s_mov_b32 s0, 0
	s_branch .LBB360_232
.LBB360_229:
	s_mov_b32 s0, -1
                                        ; implicit-def: $vgpr2
	s_branch .LBB360_238
.LBB360_230:
	s_mov_b32 s0, -1
                                        ; implicit-def: $vgpr2
	s_branch .LBB360_235
.LBB360_231:
	s_mov_b32 s0, -1
                                        ; implicit-def: $vgpr2
.LBB360_232:
	s_delay_alu instid0(SALU_CYCLE_1)
	s_and_not1_b32 vcc_lo, exec_lo, s0
	s_cbranch_vccnz .LBB360_234
; %bb.233:
	global_load_b32 v2, v[0:1], off
.LBB360_234:
	s_mov_b32 s0, 0
.LBB360_235:
	s_delay_alu instid0(SALU_CYCLE_1)
	s_and_not1_b32 vcc_lo, exec_lo, s0
	s_cbranch_vccnz .LBB360_237
; %bb.236:
	global_load_u16 v2, v[0:1], off
.LBB360_237:
	s_mov_b32 s0, 0
.LBB360_238:
	s_delay_alu instid0(SALU_CYCLE_1)
	s_and_not1_b32 vcc_lo, exec_lo, s0
	s_cbranch_vccnz .LBB360_244
; %bb.239:
	v_cmp_lt_i16_e32 vcc_lo, 0, v4
	s_mov_b32 s0, 0
	s_cbranch_vccz .LBB360_241
; %bb.240:
	global_load_u8 v2, v[0:1], off
	s_branch .LBB360_242
.LBB360_241:
	s_mov_b32 s0, -1
                                        ; implicit-def: $vgpr2
.LBB360_242:
	s_delay_alu instid0(SALU_CYCLE_1)
	s_and_not1_b32 vcc_lo, exec_lo, s0
	s_cbranch_vccnz .LBB360_244
; %bb.243:
	global_load_u8 v2, v[0:1], off
.LBB360_244:
	s_branch .LBB360_11
.LBB360_245:
	s_mov_b32 s0, 0
.LBB360_246:
	s_mov_b32 s17, 0
                                        ; implicit-def: $vgpr9
.LBB360_247:
	s_and_b32 s12, s0, exec_lo
	s_and_b32 s14, s14, exec_lo
	s_or_not1_b32 s18, s17, exec_lo
.LBB360_248:
	s_or_b32 exec_lo, exec_lo, s15
	s_mov_b32 s17, 0
	s_mov_b32 s0, 0
                                        ; implicit-def: $vgpr4
                                        ; implicit-def: $vgpr0_vgpr1
                                        ; implicit-def: $vgpr2
	s_and_saveexec_b32 s15, s18
	s_cbranch_execz .LBB360_844
; %bb.249:
	s_mov_b32 s20, -1
	s_mov_b32 s16, s14
	s_mov_b32 s17, s12
	s_mov_b32 s18, exec_lo
	v_cmpx_gt_i32_e64 s13, v9
	s_cbranch_execz .LBB360_504
; %bb.250:
	v_mul_lo_u32 v0, v9, s3
	v_and_b32_e64 v4, 0xff, s10
	s_delay_alu instid0(VALU_DEP_1) | instskip(NEXT) | instid1(VALU_DEP_3)
	v_cmp_gt_i16_e32 vcc_lo, 11, v4
	v_ashrrev_i32_e32 v1, 31, v0
	v_add_co_u32 v0, s0, s6, v0
	s_delay_alu instid0(VALU_DEP_1)
	v_add_co_ci_u32_e64 v1, s0, s7, v1, s0
	s_cbranch_vccnz .LBB360_257
; %bb.251:
	v_cmp_lt_i16_e32 vcc_lo, 25, v4
	s_cbranch_vccz .LBB360_266
; %bb.252:
	v_cmp_lt_i16_e32 vcc_lo, 28, v4
	s_cbranch_vccz .LBB360_268
	;; [unrolled: 3-line block ×4, first 2 shown]
; %bb.255:
	v_cmp_eq_u16_e32 vcc_lo, 46, v4
	s_mov_b32 s17, 0
	s_cbranch_vccz .LBB360_278
; %bb.256:
	global_load_b32 v2, v[0:1], off
	s_mov_b32 s0, -1
	s_mov_b32 s16, 0
	s_waitcnt vmcnt(0)
	v_lshlrev_b32_e32 v2, 16, v2
	s_delay_alu instid0(VALU_DEP_1)
	v_cvt_i32_f32_e32 v2, v2
	s_branch .LBB360_280
.LBB360_257:
	s_mov_b32 s0, 0
	s_mov_b32 s16, s14
                                        ; implicit-def: $vgpr2
	s_cbranch_execnz .LBB360_453
.LBB360_258:
	s_and_not1_b32 vcc_lo, exec_lo, s0
	s_cbranch_vccnz .LBB360_501
.LBB360_259:
	v_mul_lo_u32 v0, v9, s2
	s_waitcnt vmcnt(0)
	s_delay_alu instid0(VALU_DEP_2)
	v_bfe_i32 v1, v2, 0, 8
	v_and_b32_e64 v3, 0xff, s1
	s_bfe_i32 s0, s8, 0x80000
	s_delay_alu instid0(VALU_DEP_2) | instid1(SALU_CYCLE_1)
	v_max_i16 v2, v1, s0
	s_delay_alu instid0(VALU_DEP_2) | instskip(SKIP_2) | instid1(VALU_DEP_1)
	v_cmp_gt_i16_e32 vcc_lo, 11, v3
	v_ashrrev_i32_e32 v1, 31, v0
	v_add_co_u32 v0, s0, s4, v0
	v_add_co_ci_u32_e64 v1, s0, s5, v1, s0
	s_cbranch_vccnz .LBB360_267
; %bb.260:
	v_cmp_lt_i16_e32 vcc_lo, 25, v3
	s_cbranch_vccz .LBB360_269
; %bb.261:
	v_cmp_lt_i16_e32 vcc_lo, 28, v3
	s_cbranch_vccz .LBB360_271
	;; [unrolled: 3-line block ×4, first 2 shown]
; %bb.264:
	v_cmp_eq_u16_e32 vcc_lo, 46, v3
	s_mov_b32 s19, 0
	s_mov_b32 s0, -1
	s_mov_b32 s17, 0
	s_cbranch_vccz .LBB360_284
; %bb.265:
	v_bfe_i32 v4, v2, 0, 16
	s_mov_b32 s17, -1
	s_mov_b32 s0, 0
	s_delay_alu instid0(VALU_DEP_1) | instskip(NEXT) | instid1(VALU_DEP_1)
	v_cvt_f32_i32_e32 v4, v4
	v_bfe_u32 v5, v4, 16, 1
	s_delay_alu instid0(VALU_DEP_1) | instskip(NEXT) | instid1(VALU_DEP_1)
	v_add3_u32 v4, v4, v5, 0x7fff
	v_lshrrev_b32_e32 v4, 16, v4
	global_store_b32 v[0:1], v4, off
	s_branch .LBB360_284
.LBB360_266:
	s_mov_b32 s17, -1
	s_mov_b32 s0, 0
	s_mov_b32 s16, s14
                                        ; implicit-def: $vgpr2
	s_branch .LBB360_419
.LBB360_267:
	s_mov_b32 s19, -1
	s_mov_b32 s17, 0
	s_mov_b32 s0, s12
	s_branch .LBB360_353
.LBB360_268:
	s_mov_b32 s17, -1
	s_mov_b32 s0, 0
	s_mov_b32 s16, s14
                                        ; implicit-def: $vgpr2
	s_branch .LBB360_402
.LBB360_269:
	s_mov_b32 s19, -1
	s_mov_b32 s17, 0
	s_mov_b32 s0, s12
	s_branch .LBB360_311
.LBB360_270:
	s_mov_b32 s17, -1
	s_mov_b32 s0, 0
	s_mov_b32 s16, s14
                                        ; implicit-def: $vgpr2
	s_branch .LBB360_397
.LBB360_271:
	s_mov_b32 s19, -1
	s_mov_b32 s17, 0
	s_mov_b32 s0, s12
	s_branch .LBB360_294
.LBB360_272:
	s_or_saveexec_b32 s18, s18
                                        ; implicit-def: $sgpr19
	s_delay_alu instid0(SALU_CYCLE_1)
	s_xor_b32 exec_lo, exec_lo, s18
	s_cbranch_execz .LBB360_54
.LBB360_273:
	v_add_f32_e64 v5, 0x46000000, |v4|
	s_and_not1_b32 s17, s17, exec_lo
	s_mov_b32 s19, 0
	s_delay_alu instid0(VALU_DEP_1) | instskip(NEXT) | instid1(VALU_DEP_1)
	v_and_b32_e32 v5, 0xff, v5
	v_cmp_ne_u32_e32 vcc_lo, 0, v5
	s_and_b32 s20, vcc_lo, exec_lo
	s_delay_alu instid0(SALU_CYCLE_1)
	s_or_b32 s17, s17, s20
	s_or_b32 exec_lo, exec_lo, s18
	v_mov_b32_e32 v6, s19
	s_and_saveexec_b32 s18, s17
	s_cbranch_execnz .LBB360_55
	s_branch .LBB360_56
.LBB360_274:
	s_mov_b32 s17, -1
	s_mov_b32 s0, 0
	s_mov_b32 s16, s14
	s_branch .LBB360_279
.LBB360_275:
	s_mov_b32 s19, -1
	s_mov_b32 s17, 0
	s_mov_b32 s0, s12
	s_branch .LBB360_290
.LBB360_276:
	s_or_saveexec_b32 s18, s18
                                        ; implicit-def: $sgpr19
	s_delay_alu instid0(SALU_CYCLE_1)
	s_xor_b32 exec_lo, exec_lo, s18
	s_cbranch_execz .LBB360_67
.LBB360_277:
	v_add_f32_e64 v5, 0x42800000, |v4|
	s_and_not1_b32 s17, s17, exec_lo
	s_mov_b32 s19, 0
	s_delay_alu instid0(VALU_DEP_1) | instskip(NEXT) | instid1(VALU_DEP_1)
	v_and_b32_e32 v5, 0xff, v5
	v_cmp_ne_u32_e32 vcc_lo, 0, v5
	s_and_b32 s20, vcc_lo, exec_lo
	s_delay_alu instid0(SALU_CYCLE_1)
	s_or_b32 s17, s17, s20
	s_or_b32 exec_lo, exec_lo, s18
	v_mov_b32_e32 v6, s19
	s_and_saveexec_b32 s18, s17
	s_cbranch_execnz .LBB360_68
	s_branch .LBB360_69
.LBB360_278:
	s_mov_b32 s16, -1
	s_mov_b32 s0, 0
.LBB360_279:
                                        ; implicit-def: $vgpr2
.LBB360_280:
	s_and_b32 vcc_lo, exec_lo, s17
	s_cbranch_vccz .LBB360_396
; %bb.281:
	v_cmp_eq_u16_e32 vcc_lo, 44, v4
	s_cbranch_vccz .LBB360_395
; %bb.282:
	global_load_u8 v2, v[0:1], off
	s_mov_b32 s16, 0
	s_mov_b32 s0, -1
	s_waitcnt vmcnt(0)
	v_lshlrev_b32_e32 v3, 23, v2
	v_cmp_ne_u32_e32 vcc_lo, 0, v2
	s_delay_alu instid0(VALU_DEP_2) | instskip(NEXT) | instid1(VALU_DEP_1)
	v_cvt_i32_f32_e32 v3, v3
	v_cndmask_b32_e32 v2, 0, v3, vcc_lo
	s_branch .LBB360_396
.LBB360_283:
	s_mov_b32 s19, -1
	s_mov_b32 s17, 0
	s_mov_b32 s0, s12
.LBB360_284:
	s_and_b32 vcc_lo, exec_lo, s19
	s_cbranch_vccz .LBB360_289
; %bb.285:
	v_cmp_eq_u16_e32 vcc_lo, 44, v3
	s_mov_b32 s0, -1
	s_cbranch_vccz .LBB360_289
; %bb.286:
	v_bfe_i32 v4, v2, 0, 16
	v_mov_b32_e32 v5, 0xff
	s_mov_b32 s17, exec_lo
	s_delay_alu instid0(VALU_DEP_2) | instskip(NEXT) | instid1(VALU_DEP_1)
	v_cvt_f32_i32_e32 v4, v4
	v_bfe_u32 v6, v4, 23, 8
	s_delay_alu instid0(VALU_DEP_1)
	v_cmpx_ne_u32_e32 0xff, v6
; %bb.287:
	v_and_b32_e32 v5, 0x400000, v4
	v_and_or_b32 v6, 0x3fffff, v4, v6
	v_lshrrev_b32_e32 v4, 23, v4
	s_delay_alu instid0(VALU_DEP_3) | instskip(NEXT) | instid1(VALU_DEP_3)
	v_cmp_ne_u32_e32 vcc_lo, 0, v5
	v_cmp_ne_u32_e64 s0, 0, v6
	s_delay_alu instid0(VALU_DEP_1) | instskip(NEXT) | instid1(SALU_CYCLE_1)
	s_and_b32 s0, vcc_lo, s0
	v_cndmask_b32_e64 v5, 0, 1, s0
	s_delay_alu instid0(VALU_DEP_1)
	v_add_nc_u32_e32 v5, v4, v5
; %bb.288:
	s_or_b32 exec_lo, exec_lo, s17
	s_mov_b32 s17, -1
	s_mov_b32 s0, 0
	global_store_b8 v[0:1], v5, off
.LBB360_289:
	s_mov_b32 s19, 0
.LBB360_290:
	s_delay_alu instid0(SALU_CYCLE_1)
	s_and_b32 vcc_lo, exec_lo, s19
	s_cbranch_vccz .LBB360_293
; %bb.291:
	v_cmp_eq_u16_e32 vcc_lo, 29, v3
	s_mov_b32 s0, -1
	s_cbranch_vccz .LBB360_293
; %bb.292:
	v_bfe_i32 v4, v2, 0, 16
	s_mov_b32 s0, 0
	s_mov_b32 s17, -1
	s_mov_b32 s19, 0
	s_delay_alu instid0(VALU_DEP_1)
	v_ashrrev_i32_e32 v5, 31, v4
	global_store_b64 v[0:1], v[4:5], off
	s_branch .LBB360_294
.LBB360_293:
	s_mov_b32 s19, 0
.LBB360_294:
	s_delay_alu instid0(SALU_CYCLE_1)
	s_and_b32 vcc_lo, exec_lo, s19
	s_cbranch_vccz .LBB360_310
; %bb.295:
	v_cmp_gt_i16_e32 vcc_lo, 27, v3
	s_mov_b32 s17, -1
	s_cbranch_vccnz .LBB360_301
; %bb.296:
	v_cmp_lt_i16_e32 vcc_lo, 27, v3
	s_cbranch_vccz .LBB360_298
; %bb.297:
	v_bfe_i32 v4, v2, 0, 16
	s_mov_b32 s17, 0
	global_store_b32 v[0:1], v4, off
.LBB360_298:
	s_and_not1_b32 vcc_lo, exec_lo, s17
	s_cbranch_vccnz .LBB360_300
; %bb.299:
	global_store_b16 v[0:1], v2, off
.LBB360_300:
	s_mov_b32 s17, 0
.LBB360_301:
	s_delay_alu instid0(SALU_CYCLE_1)
	s_and_not1_b32 vcc_lo, exec_lo, s17
	s_cbranch_vccnz .LBB360_309
; %bb.302:
	v_bfe_i32 v4, v2, 0, 16
	v_mov_b32_e32 v6, 0x80
	s_mov_b32 s17, exec_lo
	s_delay_alu instid0(VALU_DEP_2) | instskip(NEXT) | instid1(VALU_DEP_1)
	v_cvt_f32_i32_e32 v4, v4
	v_and_b32_e32 v5, 0x7fffffff, v4
	s_delay_alu instid0(VALU_DEP_1)
	v_cmpx_gt_u32_e32 0x43800000, v5
	s_cbranch_execz .LBB360_308
; %bb.303:
	v_cmp_lt_u32_e32 vcc_lo, 0x3bffffff, v5
	s_mov_b32 s19, 0
                                        ; implicit-def: $vgpr5
	s_and_saveexec_b32 s20, vcc_lo
	s_delay_alu instid0(SALU_CYCLE_1)
	s_xor_b32 s20, exec_lo, s20
	s_cbranch_execz .LBB360_517
; %bb.304:
	v_bfe_u32 v5, v4, 20, 1
	s_mov_b32 s19, exec_lo
	s_delay_alu instid0(VALU_DEP_1) | instskip(NEXT) | instid1(VALU_DEP_1)
	v_add3_u32 v5, v4, v5, 0x487ffff
	v_lshrrev_b32_e32 v5, 20, v5
	s_or_saveexec_b32 s20, s20
                                        ; implicit-def: $sgpr21
	s_delay_alu instid0(SALU_CYCLE_1)
	s_xor_b32 exec_lo, exec_lo, s20
	s_cbranch_execnz .LBB360_518
.LBB360_305:
	s_or_b32 exec_lo, exec_lo, s20
	v_mov_b32_e32 v6, s21
	s_and_saveexec_b32 s20, s19
.LBB360_306:
	v_lshrrev_b32_e32 v4, 24, v4
	s_delay_alu instid0(VALU_DEP_1)
	v_and_or_b32 v6, 0x80, v4, v5
.LBB360_307:
	s_or_b32 exec_lo, exec_lo, s20
.LBB360_308:
	s_delay_alu instid0(SALU_CYCLE_1)
	s_or_b32 exec_lo, exec_lo, s17
	global_store_b8 v[0:1], v6, off
.LBB360_309:
	s_mov_b32 s17, -1
.LBB360_310:
	s_mov_b32 s19, 0
.LBB360_311:
	s_delay_alu instid0(SALU_CYCLE_1)
	s_and_b32 vcc_lo, exec_lo, s19
	s_cbranch_vccz .LBB360_352
; %bb.312:
	v_cmp_lt_i16_e32 vcc_lo, 22, v3
	s_mov_b32 s19, -1
	s_cbranch_vccz .LBB360_344
; %bb.313:
	v_cmp_gt_i16_e32 vcc_lo, 24, v3
	s_mov_b32 s17, -1
	s_cbranch_vccnz .LBB360_333
; %bb.314:
	v_cmp_lt_i16_e32 vcc_lo, 24, v3
	s_cbranch_vccz .LBB360_322
; %bb.315:
	v_bfe_i32 v4, v2, 0, 16
	v_mov_b32_e32 v6, 0x80
	s_mov_b32 s17, exec_lo
	s_delay_alu instid0(VALU_DEP_2) | instskip(NEXT) | instid1(VALU_DEP_1)
	v_cvt_f32_i32_e32 v4, v4
	v_and_b32_e32 v5, 0x7fffffff, v4
	s_delay_alu instid0(VALU_DEP_1)
	v_cmpx_gt_u32_e32 0x47800000, v5
	s_cbranch_execz .LBB360_321
; %bb.316:
	v_cmp_lt_u32_e32 vcc_lo, 0x37ffffff, v5
	s_mov_b32 s19, 0
                                        ; implicit-def: $vgpr5
	s_and_saveexec_b32 s20, vcc_lo
	s_delay_alu instid0(SALU_CYCLE_1)
	s_xor_b32 s20, exec_lo, s20
	s_cbranch_execz .LBB360_520
; %bb.317:
	v_bfe_u32 v5, v4, 21, 1
	s_mov_b32 s19, exec_lo
	s_delay_alu instid0(VALU_DEP_1) | instskip(NEXT) | instid1(VALU_DEP_1)
	v_add3_u32 v5, v4, v5, 0x88fffff
	v_lshrrev_b32_e32 v5, 21, v5
	s_or_saveexec_b32 s20, s20
                                        ; implicit-def: $sgpr21
	s_delay_alu instid0(SALU_CYCLE_1)
	s_xor_b32 exec_lo, exec_lo, s20
	s_cbranch_execnz .LBB360_521
.LBB360_318:
	s_or_b32 exec_lo, exec_lo, s20
	v_mov_b32_e32 v6, s21
	s_and_saveexec_b32 s20, s19
.LBB360_319:
	v_lshrrev_b32_e32 v4, 24, v4
	s_delay_alu instid0(VALU_DEP_1)
	v_and_or_b32 v6, 0x80, v4, v5
.LBB360_320:
	s_or_b32 exec_lo, exec_lo, s20
.LBB360_321:
	s_delay_alu instid0(SALU_CYCLE_1)
	s_or_b32 exec_lo, exec_lo, s17
	s_mov_b32 s17, 0
	global_store_b8 v[0:1], v6, off
.LBB360_322:
	s_and_b32 vcc_lo, exec_lo, s17
	s_cbranch_vccz .LBB360_332
; %bb.323:
	v_bfe_i32 v4, v2, 0, 16
	s_mov_b32 s17, exec_lo
                                        ; implicit-def: $vgpr5
	s_delay_alu instid0(VALU_DEP_1) | instskip(NEXT) | instid1(VALU_DEP_1)
	v_cvt_f32_i32_e32 v4, v4
	v_and_b32_e32 v6, 0x7fffffff, v4
	s_delay_alu instid0(VALU_DEP_1)
	v_cmpx_gt_u32_e32 0x43f00000, v6
	s_xor_b32 s17, exec_lo, s17
	s_cbranch_execz .LBB360_329
; %bb.324:
	s_mov_b32 s19, exec_lo
                                        ; implicit-def: $vgpr5
	v_cmpx_lt_u32_e32 0x3c7fffff, v6
	s_xor_b32 s19, exec_lo, s19
; %bb.325:
	v_bfe_u32 v5, v4, 20, 1
	s_delay_alu instid0(VALU_DEP_1) | instskip(NEXT) | instid1(VALU_DEP_1)
	v_add3_u32 v5, v4, v5, 0x407ffff
	v_and_b32_e32 v6, 0xff00000, v5
	v_lshrrev_b32_e32 v5, 20, v5
	s_delay_alu instid0(VALU_DEP_2) | instskip(NEXT) | instid1(VALU_DEP_2)
	v_cmp_ne_u32_e32 vcc_lo, 0x7f00000, v6
	v_cndmask_b32_e32 v5, 0x7e, v5, vcc_lo
; %bb.326:
	s_and_not1_saveexec_b32 s19, s19
; %bb.327:
	v_add_f32_e64 v5, 0x46800000, |v4|
; %bb.328:
	s_or_b32 exec_lo, exec_lo, s19
                                        ; implicit-def: $vgpr6
.LBB360_329:
	s_and_not1_saveexec_b32 s17, s17
; %bb.330:
	v_mov_b32_e32 v5, 0x7f
	v_cmp_lt_u32_e32 vcc_lo, 0x7f800000, v6
	s_delay_alu instid0(VALU_DEP_2)
	v_cndmask_b32_e32 v5, 0x7e, v5, vcc_lo
; %bb.331:
	s_or_b32 exec_lo, exec_lo, s17
	v_lshrrev_b32_e32 v4, 24, v4
	s_delay_alu instid0(VALU_DEP_1)
	v_and_or_b32 v4, 0x80, v4, v5
	global_store_b8 v[0:1], v4, off
.LBB360_332:
	s_mov_b32 s17, 0
.LBB360_333:
	s_delay_alu instid0(SALU_CYCLE_1)
	s_and_not1_b32 vcc_lo, exec_lo, s17
	s_cbranch_vccnz .LBB360_343
; %bb.334:
	v_bfe_i32 v4, v2, 0, 16
	s_mov_b32 s17, exec_lo
                                        ; implicit-def: $vgpr5
	s_delay_alu instid0(VALU_DEP_1) | instskip(NEXT) | instid1(VALU_DEP_1)
	v_cvt_f32_i32_e32 v4, v4
	v_and_b32_e32 v6, 0x7fffffff, v4
	s_delay_alu instid0(VALU_DEP_1)
	v_cmpx_gt_u32_e32 0x47800000, v6
	s_xor_b32 s17, exec_lo, s17
	s_cbranch_execz .LBB360_340
; %bb.335:
	s_mov_b32 s19, exec_lo
                                        ; implicit-def: $vgpr5
	v_cmpx_lt_u32_e32 0x387fffff, v6
	s_xor_b32 s19, exec_lo, s19
; %bb.336:
	v_bfe_u32 v5, v4, 21, 1
	s_delay_alu instid0(VALU_DEP_1) | instskip(NEXT) | instid1(VALU_DEP_1)
	v_add3_u32 v5, v4, v5, 0x80fffff
	v_lshrrev_b32_e32 v5, 21, v5
; %bb.337:
	s_and_not1_saveexec_b32 s19, s19
; %bb.338:
	v_add_f32_e64 v5, 0x43000000, |v4|
; %bb.339:
	s_or_b32 exec_lo, exec_lo, s19
                                        ; implicit-def: $vgpr6
.LBB360_340:
	s_and_not1_saveexec_b32 s17, s17
; %bb.341:
	v_mov_b32_e32 v5, 0x7f
	v_cmp_lt_u32_e32 vcc_lo, 0x7f800000, v6
	s_delay_alu instid0(VALU_DEP_2)
	v_cndmask_b32_e32 v5, 0x7c, v5, vcc_lo
; %bb.342:
	s_or_b32 exec_lo, exec_lo, s17
	v_lshrrev_b32_e32 v4, 24, v4
	s_delay_alu instid0(VALU_DEP_1)
	v_and_or_b32 v4, 0x80, v4, v5
	global_store_b8 v[0:1], v4, off
.LBB360_343:
	s_mov_b32 s19, 0
	s_mov_b32 s17, -1
.LBB360_344:
	s_and_not1_b32 vcc_lo, exec_lo, s19
	s_cbranch_vccnz .LBB360_352
; %bb.345:
	v_cmp_lt_i16_e32 vcc_lo, 14, v3
	s_mov_b32 s19, -1
	s_cbranch_vccz .LBB360_349
; %bb.346:
	v_cmp_eq_u16_e32 vcc_lo, 15, v3
	s_mov_b32 s0, -1
	s_cbranch_vccz .LBB360_348
; %bb.347:
	v_bfe_i32 v4, v2, 0, 16
	s_mov_b32 s17, -1
	s_mov_b32 s0, 0
	s_delay_alu instid0(VALU_DEP_1) | instskip(NEXT) | instid1(VALU_DEP_1)
	v_cvt_f32_i32_e32 v4, v4
	v_bfe_u32 v5, v4, 16, 1
	s_delay_alu instid0(VALU_DEP_1)
	v_add3_u32 v4, v4, v5, 0x7fff
	global_store_d16_hi_b16 v[0:1], v4, off
.LBB360_348:
	s_mov_b32 s19, 0
.LBB360_349:
	s_delay_alu instid0(SALU_CYCLE_1)
	s_and_b32 vcc_lo, exec_lo, s19
	s_cbranch_vccz .LBB360_352
; %bb.350:
	v_cmp_eq_u16_e32 vcc_lo, 11, v3
	s_mov_b32 s0, -1
	s_cbranch_vccz .LBB360_352
; %bb.351:
	v_cmp_ne_u16_e32 vcc_lo, 0, v2
	s_mov_b32 s0, 0
	s_mov_b32 s17, -1
	v_cndmask_b32_e64 v4, 0, 1, vcc_lo
	global_store_b8 v[0:1], v4, off
.LBB360_352:
	s_mov_b32 s19, 0
.LBB360_353:
	s_delay_alu instid0(SALU_CYCLE_1)
	s_and_b32 vcc_lo, exec_lo, s19
	s_cbranch_vccz .LBB360_392
; %bb.354:
	v_cmp_gt_i16_e32 vcc_lo, 5, v3
	s_mov_b32 s17, -1
	s_cbranch_vccnz .LBB360_375
; %bb.355:
	v_cmp_gt_i16_e32 vcc_lo, 8, v3
	s_cbranch_vccnz .LBB360_365
; %bb.356:
	v_cmp_gt_i16_e32 vcc_lo, 9, v3
	s_cbranch_vccnz .LBB360_362
; %bb.357:
	v_cmp_lt_i16_e32 vcc_lo, 9, v3
	s_cbranch_vccz .LBB360_359
; %bb.358:
	v_bfe_i32 v4, v2, 0, 16
	v_mov_b32_e32 v6, 0
	s_mov_b32 s17, 0
	s_delay_alu instid0(VALU_DEP_2) | instskip(NEXT) | instid1(VALU_DEP_2)
	v_cvt_f64_i32_e32 v[4:5], v4
	v_mov_b32_e32 v7, v6
	global_store_b128 v[0:1], v[4:7], off
.LBB360_359:
	s_and_not1_b32 vcc_lo, exec_lo, s17
	s_cbranch_vccnz .LBB360_361
; %bb.360:
	v_bfe_i32 v4, v2, 0, 16
	v_mov_b32_e32 v5, 0
	s_delay_alu instid0(VALU_DEP_2)
	v_cvt_f32_i32_e32 v4, v4
	global_store_b64 v[0:1], v[4:5], off
.LBB360_361:
	s_mov_b32 s17, 0
.LBB360_362:
	s_delay_alu instid0(SALU_CYCLE_1)
	s_and_not1_b32 vcc_lo, exec_lo, s17
	s_cbranch_vccnz .LBB360_364
; %bb.363:
	v_cvt_f16_i16_e32 v4, v2
	s_delay_alu instid0(VALU_DEP_1)
	v_and_b32_e32 v4, 0xffff, v4
	global_store_b32 v[0:1], v4, off
.LBB360_364:
	s_mov_b32 s17, 0
.LBB360_365:
	s_delay_alu instid0(SALU_CYCLE_1)
	s_and_not1_b32 vcc_lo, exec_lo, s17
	s_cbranch_vccnz .LBB360_374
; %bb.366:
	v_cmp_gt_i16_e32 vcc_lo, 6, v3
	s_mov_b32 s17, -1
	s_cbranch_vccnz .LBB360_372
; %bb.367:
	v_cmp_lt_i16_e32 vcc_lo, 6, v3
	s_cbranch_vccz .LBB360_369
; %bb.368:
	v_bfe_i32 v4, v2, 0, 16
	s_mov_b32 s17, 0
	s_delay_alu instid0(VALU_DEP_1)
	v_cvt_f64_i32_e32 v[4:5], v4
	global_store_b64 v[0:1], v[4:5], off
.LBB360_369:
	s_and_not1_b32 vcc_lo, exec_lo, s17
	s_cbranch_vccnz .LBB360_371
; %bb.370:
	v_bfe_i32 v4, v2, 0, 16
	s_delay_alu instid0(VALU_DEP_1)
	v_cvt_f32_i32_e32 v4, v4
	global_store_b32 v[0:1], v4, off
.LBB360_371:
	s_mov_b32 s17, 0
.LBB360_372:
	s_delay_alu instid0(SALU_CYCLE_1)
	s_and_not1_b32 vcc_lo, exec_lo, s17
	s_cbranch_vccnz .LBB360_374
; %bb.373:
	v_cvt_f16_i16_e32 v4, v2
	global_store_b16 v[0:1], v4, off
.LBB360_374:
	s_mov_b32 s17, 0
.LBB360_375:
	s_delay_alu instid0(SALU_CYCLE_1)
	s_and_not1_b32 vcc_lo, exec_lo, s17
	s_cbranch_vccnz .LBB360_391
; %bb.376:
	v_cmp_gt_i16_e32 vcc_lo, 2, v3
	s_mov_b32 s17, -1
	s_cbranch_vccnz .LBB360_386
; %bb.377:
	v_cmp_gt_i16_e32 vcc_lo, 3, v3
	s_cbranch_vccnz .LBB360_383
; %bb.378:
	v_cmp_lt_i16_e32 vcc_lo, 3, v3
	s_cbranch_vccz .LBB360_380
; %bb.379:
	v_bfe_i32 v4, v2, 0, 16
	s_mov_b32 s17, 0
	s_delay_alu instid0(VALU_DEP_1)
	v_ashrrev_i32_e32 v5, 31, v4
	global_store_b64 v[0:1], v[4:5], off
.LBB360_380:
	s_and_not1_b32 vcc_lo, exec_lo, s17
	s_cbranch_vccnz .LBB360_382
; %bb.381:
	v_bfe_i32 v4, v2, 0, 16
	global_store_b32 v[0:1], v4, off
.LBB360_382:
	s_mov_b32 s17, 0
.LBB360_383:
	s_delay_alu instid0(SALU_CYCLE_1)
	s_and_not1_b32 vcc_lo, exec_lo, s17
	s_cbranch_vccnz .LBB360_385
; %bb.384:
	global_store_b16 v[0:1], v2, off
.LBB360_385:
	s_mov_b32 s17, 0
.LBB360_386:
	s_delay_alu instid0(SALU_CYCLE_1)
	s_and_not1_b32 vcc_lo, exec_lo, s17
	s_cbranch_vccnz .LBB360_391
; %bb.387:
	v_cmp_lt_i16_e32 vcc_lo, 0, v3
	s_mov_b32 s17, -1
	s_cbranch_vccz .LBB360_389
; %bb.388:
	s_mov_b32 s17, 0
	global_store_b8 v[0:1], v2, off
.LBB360_389:
	s_and_not1_b32 vcc_lo, exec_lo, s17
	s_cbranch_vccnz .LBB360_391
; %bb.390:
	global_store_b8 v[0:1], v2, off
.LBB360_391:
	s_mov_b32 s17, -1
.LBB360_392:
	s_delay_alu instid0(SALU_CYCLE_1)
	s_and_not1_b32 vcc_lo, exec_lo, s17
	s_cbranch_vccnz .LBB360_394
; %bb.393:
	v_add_nc_u32_e32 v9, 0x80, v9
	s_mov_b32 s19, -1
	s_branch .LBB360_503
.LBB360_394:
	s_mov_b32 s19, 0
	s_branch .LBB360_502
.LBB360_395:
	s_mov_b32 s16, -1
                                        ; implicit-def: $vgpr2
.LBB360_396:
	s_mov_b32 s17, 0
.LBB360_397:
	s_delay_alu instid0(SALU_CYCLE_1)
	s_and_b32 vcc_lo, exec_lo, s17
	s_cbranch_vccz .LBB360_401
; %bb.398:
	v_cmp_eq_u16_e32 vcc_lo, 29, v4
	s_cbranch_vccz .LBB360_400
; %bb.399:
	global_load_b64 v[2:3], v[0:1], off
	s_mov_b32 s0, -1
	s_mov_b32 s16, 0
	s_branch .LBB360_401
.LBB360_400:
	s_mov_b32 s16, -1
                                        ; implicit-def: $vgpr2
.LBB360_401:
	s_mov_b32 s17, 0
.LBB360_402:
	s_delay_alu instid0(SALU_CYCLE_1)
	s_and_b32 vcc_lo, exec_lo, s17
	s_cbranch_vccz .LBB360_418
; %bb.403:
	v_cmp_gt_i16_e32 vcc_lo, 27, v4
	s_cbranch_vccnz .LBB360_406
; %bb.404:
	v_cmp_lt_i16_e32 vcc_lo, 27, v4
	s_cbranch_vccz .LBB360_407
; %bb.405:
	global_load_b32 v2, v[0:1], off
	s_mov_b32 s0, 0
	s_branch .LBB360_408
.LBB360_406:
	s_mov_b32 s0, -1
                                        ; implicit-def: $vgpr2
	s_branch .LBB360_411
.LBB360_407:
	s_mov_b32 s0, -1
                                        ; implicit-def: $vgpr2
.LBB360_408:
	s_delay_alu instid0(SALU_CYCLE_1)
	s_and_not1_b32 vcc_lo, exec_lo, s0
	s_cbranch_vccnz .LBB360_410
; %bb.409:
	global_load_u16 v2, v[0:1], off
.LBB360_410:
	s_mov_b32 s0, 0
.LBB360_411:
	s_delay_alu instid0(SALU_CYCLE_1)
	s_and_not1_b32 vcc_lo, exec_lo, s0
	s_cbranch_vccnz .LBB360_417
; %bb.412:
	global_load_u8 v3, v[0:1], off
	s_mov_b32 s0, 0
	s_mov_b32 s17, exec_lo
                                        ; implicit-def: $sgpr19
	s_waitcnt vmcnt(0)
	v_cmpx_lt_i16_e32 0x7f, v3
	s_xor_b32 s17, exec_lo, s17
	s_cbranch_execz .LBB360_429
; %bb.413:
	v_cmp_ne_u16_e32 vcc_lo, 0x80, v3
	s_mov_b32 s19, 0
	s_and_b32 s0, vcc_lo, exec_lo
	s_or_saveexec_b32 s17, s17
	v_mov_b32_e32 v2, s19
	s_xor_b32 exec_lo, exec_lo, s17
	s_cbranch_execnz .LBB360_430
.LBB360_414:
	s_or_b32 exec_lo, exec_lo, s17
	s_and_saveexec_b32 s17, s0
	s_cbranch_execz .LBB360_416
.LBB360_415:
	v_and_b32_e32 v2, 0xffff, v3
	v_lshlrev_b32_e32 v3, 24, v3
	s_delay_alu instid0(VALU_DEP_2) | instskip(NEXT) | instid1(VALU_DEP_2)
	v_and_b32_e32 v5, 7, v2
	v_and_b32_e32 v3, 0x80000000, v3
	s_delay_alu instid0(VALU_DEP_2) | instskip(NEXT) | instid1(VALU_DEP_1)
	v_clz_i32_u32_e32 v6, v5
	v_min_u32_e32 v6, 32, v6
	s_delay_alu instid0(VALU_DEP_1) | instskip(SKIP_1) | instid1(VALU_DEP_2)
	v_subrev_nc_u32_e32 v7, 28, v6
	v_sub_nc_u32_e32 v6, 29, v6
	v_lshlrev_b32_e32 v7, v7, v2
	v_bfe_u32 v2, v2, 3, 4
	s_delay_alu instid0(VALU_DEP_1) | instskip(NEXT) | instid1(VALU_DEP_3)
	v_cmp_eq_u32_e32 vcc_lo, 0, v2
	v_dual_cndmask_b32 v2, v2, v6 :: v_dual_and_b32 v7, 7, v7
	s_delay_alu instid0(VALU_DEP_1) | instskip(NEXT) | instid1(VALU_DEP_2)
	v_cndmask_b32_e32 v5, v5, v7, vcc_lo
	v_lshl_add_u32 v2, v2, 23, 0x3b800000
	s_delay_alu instid0(VALU_DEP_2) | instskip(NEXT) | instid1(VALU_DEP_1)
	v_lshlrev_b32_e32 v5, 20, v5
	v_or3_b32 v2, v3, v2, v5
	s_delay_alu instid0(VALU_DEP_1)
	v_cvt_i32_f32_e32 v2, v2
.LBB360_416:
	s_or_b32 exec_lo, exec_lo, s17
.LBB360_417:
	s_mov_b32 s0, -1
.LBB360_418:
	s_mov_b32 s17, 0
.LBB360_419:
	s_delay_alu instid0(SALU_CYCLE_1)
	s_and_b32 vcc_lo, exec_lo, s17
	s_cbranch_vccz .LBB360_452
; %bb.420:
	v_cmp_lt_i16_e32 vcc_lo, 22, v4
	s_cbranch_vccz .LBB360_428
; %bb.421:
	v_cmp_gt_i16_e32 vcc_lo, 24, v4
	s_cbranch_vccnz .LBB360_431
; %bb.422:
	v_cmp_lt_i16_e32 vcc_lo, 24, v4
	s_cbranch_vccz .LBB360_432
; %bb.423:
	global_load_u8 v3, v[0:1], off
	s_mov_b32 s0, 0
	s_mov_b32 s17, exec_lo
                                        ; implicit-def: $sgpr19
	s_waitcnt vmcnt(0)
	v_cmpx_lt_i16_e32 0x7f, v3
	s_xor_b32 s17, exec_lo, s17
	s_cbranch_execz .LBB360_444
; %bb.424:
	v_cmp_ne_u16_e32 vcc_lo, 0x80, v3
	s_mov_b32 s19, 0
	s_and_b32 s0, vcc_lo, exec_lo
	s_or_saveexec_b32 s17, s17
	v_mov_b32_e32 v2, s19
	s_xor_b32 exec_lo, exec_lo, s17
	s_cbranch_execnz .LBB360_445
.LBB360_425:
	s_or_b32 exec_lo, exec_lo, s17
	s_and_saveexec_b32 s17, s0
	s_cbranch_execz .LBB360_427
.LBB360_426:
	v_and_b32_e32 v2, 0xffff, v3
	v_lshlrev_b32_e32 v3, 24, v3
	s_delay_alu instid0(VALU_DEP_2) | instskip(NEXT) | instid1(VALU_DEP_2)
	v_and_b32_e32 v5, 3, v2
	v_and_b32_e32 v3, 0x80000000, v3
	s_delay_alu instid0(VALU_DEP_2) | instskip(NEXT) | instid1(VALU_DEP_1)
	v_clz_i32_u32_e32 v6, v5
	v_min_u32_e32 v6, 32, v6
	s_delay_alu instid0(VALU_DEP_1) | instskip(SKIP_1) | instid1(VALU_DEP_2)
	v_subrev_nc_u32_e32 v7, 29, v6
	v_sub_nc_u32_e32 v6, 30, v6
	v_lshlrev_b32_e32 v7, v7, v2
	v_bfe_u32 v2, v2, 2, 5
	s_delay_alu instid0(VALU_DEP_1) | instskip(NEXT) | instid1(VALU_DEP_3)
	v_cmp_eq_u32_e32 vcc_lo, 0, v2
	v_dual_cndmask_b32 v2, v2, v6 :: v_dual_and_b32 v7, 3, v7
	s_delay_alu instid0(VALU_DEP_1) | instskip(NEXT) | instid1(VALU_DEP_2)
	v_cndmask_b32_e32 v5, v5, v7, vcc_lo
	v_lshl_add_u32 v2, v2, 23, 0x37800000
	s_delay_alu instid0(VALU_DEP_2) | instskip(NEXT) | instid1(VALU_DEP_1)
	v_lshlrev_b32_e32 v5, 21, v5
	v_or3_b32 v2, v3, v2, v5
	s_delay_alu instid0(VALU_DEP_1)
	v_cvt_i32_f32_e32 v2, v2
.LBB360_427:
	s_or_b32 exec_lo, exec_lo, s17
	s_mov_b32 s0, 0
	s_branch .LBB360_433
.LBB360_428:
	s_mov_b32 s17, -1
                                        ; implicit-def: $vgpr2
	s_branch .LBB360_439
.LBB360_429:
	s_or_saveexec_b32 s17, s17
	v_mov_b32_e32 v2, s19
	s_xor_b32 exec_lo, exec_lo, s17
	s_cbranch_execz .LBB360_414
.LBB360_430:
	v_cmp_ne_u16_e32 vcc_lo, 0, v3
	v_mov_b32_e32 v2, 0
	s_and_not1_b32 s0, s0, exec_lo
	s_and_b32 s19, vcc_lo, exec_lo
	s_delay_alu instid0(SALU_CYCLE_1)
	s_or_b32 s0, s0, s19
	s_or_b32 exec_lo, exec_lo, s17
	s_and_saveexec_b32 s17, s0
	s_cbranch_execnz .LBB360_415
	s_branch .LBB360_416
.LBB360_431:
	s_mov_b32 s0, -1
                                        ; implicit-def: $vgpr2
	s_branch .LBB360_436
.LBB360_432:
	s_mov_b32 s0, -1
                                        ; implicit-def: $vgpr2
.LBB360_433:
	s_delay_alu instid0(SALU_CYCLE_1)
	s_and_b32 vcc_lo, exec_lo, s0
	s_cbranch_vccz .LBB360_435
; %bb.434:
	global_load_u8 v2, v[0:1], off
	s_waitcnt vmcnt(0)
	v_lshlrev_b32_e32 v2, 24, v2
	s_delay_alu instid0(VALU_DEP_1) | instskip(NEXT) | instid1(VALU_DEP_1)
	v_and_b32_e32 v3, 0x7f000000, v2
	v_clz_i32_u32_e32 v5, v3
	v_add_nc_u32_e32 v7, 0x1000000, v3
	v_cmp_ne_u32_e32 vcc_lo, 0, v3
	s_delay_alu instid0(VALU_DEP_3) | instskip(NEXT) | instid1(VALU_DEP_1)
	v_min_u32_e32 v5, 32, v5
	v_sub_nc_u32_e64 v5, v5, 4 clamp
	s_delay_alu instid0(VALU_DEP_1) | instskip(SKIP_1) | instid1(VALU_DEP_2)
	v_lshlrev_b32_e32 v6, v5, v3
	v_lshlrev_b32_e32 v5, 23, v5
	v_lshrrev_b32_e32 v6, 4, v6
	s_delay_alu instid0(VALU_DEP_1) | instskip(SKIP_1) | instid1(VALU_DEP_2)
	v_sub_nc_u32_e32 v5, v6, v5
	v_ashrrev_i32_e32 v6, 8, v7
	v_add_nc_u32_e32 v5, 0x3c000000, v5
	s_delay_alu instid0(VALU_DEP_1) | instskip(NEXT) | instid1(VALU_DEP_1)
	v_and_or_b32 v5, 0x7f800000, v6, v5
	v_cndmask_b32_e32 v3, 0, v5, vcc_lo
	s_delay_alu instid0(VALU_DEP_1) | instskip(NEXT) | instid1(VALU_DEP_1)
	v_and_or_b32 v2, 0x80000000, v2, v3
	v_cvt_i32_f32_e32 v2, v2
.LBB360_435:
	s_mov_b32 s0, 0
.LBB360_436:
	s_delay_alu instid0(SALU_CYCLE_1)
	s_and_not1_b32 vcc_lo, exec_lo, s0
	s_cbranch_vccnz .LBB360_438
; %bb.437:
	global_load_u8 v2, v[0:1], off
	s_waitcnt vmcnt(0)
	v_lshlrev_b32_e32 v3, 25, v2
	v_lshlrev_b16 v2, 8, v2
	s_delay_alu instid0(VALU_DEP_2) | instskip(NEXT) | instid1(VALU_DEP_2)
	v_lshrrev_b32_e32 v5, 4, v3
	v_and_or_b32 v6, 0x7f00, v2, 0.5
	v_cmp_gt_u32_e32 vcc_lo, 0x8000000, v3
	v_bfe_i32 v2, v2, 0, 16
	s_delay_alu instid0(VALU_DEP_4) | instskip(NEXT) | instid1(VALU_DEP_1)
	v_or_b32_e32 v5, 0x70000000, v5
	v_dual_add_f32 v6, -0.5, v6 :: v_dual_mul_f32 v5, 0x7800000, v5
	s_delay_alu instid0(VALU_DEP_1) | instskip(NEXT) | instid1(VALU_DEP_1)
	v_cndmask_b32_e32 v3, v5, v6, vcc_lo
	v_and_or_b32 v2, 0x80000000, v2, v3
	s_delay_alu instid0(VALU_DEP_1)
	v_cvt_i32_f32_e32 v2, v2
.LBB360_438:
	s_mov_b32 s17, 0
	s_mov_b32 s0, -1
.LBB360_439:
	s_and_not1_b32 vcc_lo, exec_lo, s17
	s_cbranch_vccnz .LBB360_452
; %bb.440:
	v_cmp_lt_i16_e32 vcc_lo, 14, v4
	s_cbranch_vccz .LBB360_443
; %bb.441:
	v_cmp_eq_u16_e32 vcc_lo, 15, v4
	s_cbranch_vccz .LBB360_446
; %bb.442:
	global_load_u16 v2, v[0:1], off
	s_mov_b32 s0, -1
	s_mov_b32 s16, 0
	s_waitcnt vmcnt(0)
	v_lshlrev_b32_e32 v2, 16, v2
	s_delay_alu instid0(VALU_DEP_1)
	v_cvt_i32_f32_e32 v2, v2
	s_branch .LBB360_447
.LBB360_443:
	s_mov_b32 s17, -1
                                        ; implicit-def: $vgpr2
	s_branch .LBB360_448
.LBB360_444:
	s_or_saveexec_b32 s17, s17
	v_mov_b32_e32 v2, s19
	s_xor_b32 exec_lo, exec_lo, s17
	s_cbranch_execz .LBB360_425
.LBB360_445:
	v_cmp_ne_u16_e32 vcc_lo, 0, v3
	v_mov_b32_e32 v2, 0
	s_and_not1_b32 s0, s0, exec_lo
	s_and_b32 s19, vcc_lo, exec_lo
	s_delay_alu instid0(SALU_CYCLE_1)
	s_or_b32 s0, s0, s19
	s_or_b32 exec_lo, exec_lo, s17
	s_and_saveexec_b32 s17, s0
	s_cbranch_execnz .LBB360_426
	s_branch .LBB360_427
.LBB360_446:
	s_mov_b32 s16, -1
                                        ; implicit-def: $vgpr2
.LBB360_447:
	s_mov_b32 s17, 0
.LBB360_448:
	s_delay_alu instid0(SALU_CYCLE_1)
	s_and_b32 vcc_lo, exec_lo, s17
	s_cbranch_vccz .LBB360_452
; %bb.449:
	v_cmp_eq_u16_e32 vcc_lo, 11, v4
	s_cbranch_vccz .LBB360_451
; %bb.450:
	global_load_u8 v2, v[0:1], off
	s_mov_b32 s16, 0
	s_mov_b32 s0, -1
	s_waitcnt vmcnt(0)
	v_cmp_ne_u16_e32 vcc_lo, 0, v2
	v_cndmask_b32_e64 v2, 0, 1, vcc_lo
	s_branch .LBB360_452
.LBB360_451:
	s_mov_b32 s16, -1
                                        ; implicit-def: $vgpr2
.LBB360_452:
	s_branch .LBB360_258
.LBB360_453:
	v_cmp_gt_i16_e32 vcc_lo, 5, v4
	s_cbranch_vccnz .LBB360_458
; %bb.454:
	v_cmp_gt_i16_e32 vcc_lo, 8, v4
	s_cbranch_vccnz .LBB360_459
; %bb.455:
	;; [unrolled: 3-line block ×3, first 2 shown]
	v_cmp_lt_i16_e32 vcc_lo, 9, v4
	s_cbranch_vccz .LBB360_461
; %bb.457:
	global_load_b64 v[2:3], v[0:1], off
	s_mov_b32 s0, 0
	s_waitcnt vmcnt(0)
	v_cvt_i32_f64_e32 v2, v[2:3]
	s_branch .LBB360_462
.LBB360_458:
	s_mov_b32 s0, -1
                                        ; implicit-def: $vgpr2
	s_branch .LBB360_480
.LBB360_459:
	s_mov_b32 s0, -1
                                        ; implicit-def: $vgpr2
	s_branch .LBB360_468
.LBB360_460:
	s_mov_b32 s0, -1
                                        ; implicit-def: $vgpr2
	s_branch .LBB360_465
.LBB360_461:
	s_mov_b32 s0, -1
                                        ; implicit-def: $vgpr2
.LBB360_462:
	s_delay_alu instid0(SALU_CYCLE_1)
	s_and_not1_b32 vcc_lo, exec_lo, s0
	s_cbranch_vccnz .LBB360_464
; %bb.463:
	global_load_b32 v2, v[0:1], off
	s_waitcnt vmcnt(0)
	v_cvt_i32_f32_e32 v2, v2
.LBB360_464:
	s_mov_b32 s0, 0
.LBB360_465:
	s_delay_alu instid0(SALU_CYCLE_1)
	s_and_not1_b32 vcc_lo, exec_lo, s0
	s_cbranch_vccnz .LBB360_467
; %bb.466:
	global_load_b32 v2, v[0:1], off
	s_waitcnt vmcnt(0)
	v_cvt_i16_f16_e32 v2, v2
.LBB360_467:
	s_mov_b32 s0, 0
.LBB360_468:
	s_delay_alu instid0(SALU_CYCLE_1)
	s_and_not1_b32 vcc_lo, exec_lo, s0
	s_cbranch_vccnz .LBB360_479
; %bb.469:
	v_cmp_gt_i16_e32 vcc_lo, 6, v4
	s_cbranch_vccnz .LBB360_472
; %bb.470:
	v_cmp_lt_i16_e32 vcc_lo, 6, v4
	s_cbranch_vccz .LBB360_473
; %bb.471:
	global_load_b64 v[2:3], v[0:1], off
	s_mov_b32 s0, 0
	s_waitcnt vmcnt(0)
	v_cvt_i32_f64_e32 v2, v[2:3]
	s_branch .LBB360_474
.LBB360_472:
	s_mov_b32 s0, -1
                                        ; implicit-def: $vgpr2
	s_branch .LBB360_477
.LBB360_473:
	s_mov_b32 s0, -1
                                        ; implicit-def: $vgpr2
.LBB360_474:
	s_delay_alu instid0(SALU_CYCLE_1)
	s_and_not1_b32 vcc_lo, exec_lo, s0
	s_cbranch_vccnz .LBB360_476
; %bb.475:
	global_load_b32 v2, v[0:1], off
	s_waitcnt vmcnt(0)
	v_cvt_i32_f32_e32 v2, v2
.LBB360_476:
	s_mov_b32 s0, 0
.LBB360_477:
	s_delay_alu instid0(SALU_CYCLE_1)
	s_and_not1_b32 vcc_lo, exec_lo, s0
	s_cbranch_vccnz .LBB360_479
; %bb.478:
	global_load_u16 v2, v[0:1], off
	s_waitcnt vmcnt(0)
	v_cvt_i16_f16_e32 v2, v2
.LBB360_479:
	s_mov_b32 s0, 0
.LBB360_480:
	s_delay_alu instid0(SALU_CYCLE_1)
	s_and_not1_b32 vcc_lo, exec_lo, s0
	s_cbranch_vccnz .LBB360_500
; %bb.481:
	v_cmp_gt_i16_e32 vcc_lo, 2, v4
	s_cbranch_vccnz .LBB360_485
; %bb.482:
	v_cmp_gt_i16_e32 vcc_lo, 3, v4
	s_cbranch_vccnz .LBB360_486
; %bb.483:
	v_cmp_lt_i16_e32 vcc_lo, 3, v4
	s_cbranch_vccz .LBB360_487
; %bb.484:
	global_load_b64 v[2:3], v[0:1], off
	s_mov_b32 s0, 0
	s_branch .LBB360_488
.LBB360_485:
	s_mov_b32 s0, -1
                                        ; implicit-def: $vgpr2
	s_branch .LBB360_494
.LBB360_486:
	s_mov_b32 s0, -1
                                        ; implicit-def: $vgpr2
	s_branch .LBB360_491
.LBB360_487:
	s_mov_b32 s0, -1
                                        ; implicit-def: $vgpr2
.LBB360_488:
	s_delay_alu instid0(SALU_CYCLE_1)
	s_and_not1_b32 vcc_lo, exec_lo, s0
	s_cbranch_vccnz .LBB360_490
; %bb.489:
	global_load_b32 v2, v[0:1], off
.LBB360_490:
	s_mov_b32 s0, 0
.LBB360_491:
	s_delay_alu instid0(SALU_CYCLE_1)
	s_and_not1_b32 vcc_lo, exec_lo, s0
	s_cbranch_vccnz .LBB360_493
; %bb.492:
	global_load_u16 v2, v[0:1], off
.LBB360_493:
	s_mov_b32 s0, 0
.LBB360_494:
	s_delay_alu instid0(SALU_CYCLE_1)
	s_and_not1_b32 vcc_lo, exec_lo, s0
	s_cbranch_vccnz .LBB360_500
; %bb.495:
	v_cmp_lt_i16_e32 vcc_lo, 0, v4
	s_mov_b32 s0, 0
	s_cbranch_vccz .LBB360_497
; %bb.496:
	global_load_u8 v2, v[0:1], off
	s_branch .LBB360_498
.LBB360_497:
	s_mov_b32 s0, -1
                                        ; implicit-def: $vgpr2
.LBB360_498:
	s_delay_alu instid0(SALU_CYCLE_1)
	s_and_not1_b32 vcc_lo, exec_lo, s0
	s_cbranch_vccnz .LBB360_500
; %bb.499:
	global_load_u8 v2, v[0:1], off
.LBB360_500:
	s_branch .LBB360_259
.LBB360_501:
	s_mov_b32 s19, 0
	s_mov_b32 s0, s12
.LBB360_502:
                                        ; implicit-def: $vgpr9
.LBB360_503:
	s_and_not1_b32 s17, s12, exec_lo
	s_and_b32 s0, s0, exec_lo
	s_and_not1_b32 s20, s14, exec_lo
	s_and_b32 s16, s16, exec_lo
	s_or_b32 s17, s17, s0
	s_or_b32 s16, s20, s16
	s_or_not1_b32 s20, s19, exec_lo
.LBB360_504:
	s_or_b32 exec_lo, exec_lo, s18
	s_mov_b32 s19, 0
	s_mov_b32 s21, 0
	;; [unrolled: 1-line block ×3, first 2 shown]
                                        ; implicit-def: $vgpr4
                                        ; implicit-def: $vgpr0_vgpr1
                                        ; implicit-def: $vgpr2
	s_and_saveexec_b32 s18, s20
	s_cbranch_execz .LBB360_843
; %bb.505:
	s_mov_b32 s0, -1
	s_mov_b32 s20, s16
	s_mov_b32 s21, s17
	s_mov_b32 s19, exec_lo
	v_cmpx_gt_i32_e64 s13, v9
	s_cbranch_execz .LBB360_761
; %bb.506:
	v_mul_lo_u32 v0, v9, s3
	v_and_b32_e64 v4, 0xff, s10
	s_delay_alu instid0(VALU_DEP_1) | instskip(NEXT) | instid1(VALU_DEP_3)
	v_cmp_gt_i16_e32 vcc_lo, 11, v4
	v_ashrrev_i32_e32 v1, 31, v0
	v_add_co_u32 v0, s0, s6, v0
	s_delay_alu instid0(VALU_DEP_1)
	v_add_co_ci_u32_e64 v1, s0, s7, v1, s0
	s_cbranch_vccnz .LBB360_513
; %bb.507:
	v_cmp_lt_i16_e32 vcc_lo, 25, v4
	s_cbranch_vccz .LBB360_514
; %bb.508:
	v_cmp_lt_i16_e32 vcc_lo, 28, v4
	s_cbranch_vccz .LBB360_515
	;; [unrolled: 3-line block ×4, first 2 shown]
; %bb.511:
	v_cmp_eq_u16_e32 vcc_lo, 46, v4
	s_mov_b32 s21, 0
	s_cbranch_vccz .LBB360_522
; %bb.512:
	global_load_b32 v2, v[0:1], off
	s_mov_b32 s0, -1
	s_mov_b32 s20, 0
	s_waitcnt vmcnt(0)
	v_lshlrev_b32_e32 v2, 16, v2
	s_delay_alu instid0(VALU_DEP_1)
	v_cvt_i32_f32_e32 v2, v2
	s_branch .LBB360_524
.LBB360_513:
	s_mov_b32 s21, -1
	s_mov_b32 s0, 0
	s_mov_b32 s20, s16
                                        ; implicit-def: $vgpr2
	s_branch .LBB360_585
.LBB360_514:
	s_mov_b32 s21, -1
	s_mov_b32 s0, 0
	s_mov_b32 s20, s16
                                        ; implicit-def: $vgpr2
	s_branch .LBB360_551
.LBB360_515:
	s_mov_b32 s21, -1
	s_mov_b32 s0, 0
	s_mov_b32 s20, s16
                                        ; implicit-def: $vgpr2
	s_branch .LBB360_534
.LBB360_516:
	s_mov_b32 s21, -1
	s_mov_b32 s0, 0
	s_mov_b32 s20, s16
                                        ; implicit-def: $vgpr2
	s_branch .LBB360_529
.LBB360_517:
	s_or_saveexec_b32 s20, s20
                                        ; implicit-def: $sgpr21
	s_delay_alu instid0(SALU_CYCLE_1)
	s_xor_b32 exec_lo, exec_lo, s20
	s_cbranch_execz .LBB360_305
.LBB360_518:
	v_add_f32_e64 v5, 0x46000000, |v4|
	s_and_not1_b32 s19, s19, exec_lo
	s_mov_b32 s21, 0
	s_delay_alu instid0(VALU_DEP_1) | instskip(NEXT) | instid1(VALU_DEP_1)
	v_and_b32_e32 v5, 0xff, v5
	v_cmp_ne_u32_e32 vcc_lo, 0, v5
	s_and_b32 s22, vcc_lo, exec_lo
	s_delay_alu instid0(SALU_CYCLE_1)
	s_or_b32 s19, s19, s22
	s_or_b32 exec_lo, exec_lo, s20
	v_mov_b32_e32 v6, s21
	s_and_saveexec_b32 s20, s19
	s_cbranch_execnz .LBB360_306
	s_branch .LBB360_307
.LBB360_519:
	s_mov_b32 s21, -1
	s_mov_b32 s0, 0
	s_mov_b32 s20, s16
	s_branch .LBB360_523
.LBB360_520:
	s_or_saveexec_b32 s20, s20
                                        ; implicit-def: $sgpr21
	s_delay_alu instid0(SALU_CYCLE_1)
	s_xor_b32 exec_lo, exec_lo, s20
	s_cbranch_execz .LBB360_318
.LBB360_521:
	v_add_f32_e64 v5, 0x42800000, |v4|
	s_and_not1_b32 s19, s19, exec_lo
	s_mov_b32 s21, 0
	s_delay_alu instid0(VALU_DEP_1) | instskip(NEXT) | instid1(VALU_DEP_1)
	v_and_b32_e32 v5, 0xff, v5
	v_cmp_ne_u32_e32 vcc_lo, 0, v5
	s_and_b32 s22, vcc_lo, exec_lo
	s_delay_alu instid0(SALU_CYCLE_1)
	s_or_b32 s19, s19, s22
	s_or_b32 exec_lo, exec_lo, s20
	v_mov_b32_e32 v6, s21
	s_and_saveexec_b32 s20, s19
	s_cbranch_execnz .LBB360_319
	s_branch .LBB360_320
.LBB360_522:
	s_mov_b32 s20, -1
	s_mov_b32 s0, 0
.LBB360_523:
                                        ; implicit-def: $vgpr2
.LBB360_524:
	s_and_b32 vcc_lo, exec_lo, s21
	s_cbranch_vccz .LBB360_528
; %bb.525:
	v_cmp_eq_u16_e32 vcc_lo, 44, v4
	s_cbranch_vccz .LBB360_527
; %bb.526:
	global_load_u8 v2, v[0:1], off
	s_mov_b32 s20, 0
	s_mov_b32 s0, -1
	s_waitcnt vmcnt(0)
	v_lshlrev_b32_e32 v3, 23, v2
	v_cmp_ne_u32_e32 vcc_lo, 0, v2
	s_delay_alu instid0(VALU_DEP_2) | instskip(NEXT) | instid1(VALU_DEP_1)
	v_cvt_i32_f32_e32 v3, v3
	v_cndmask_b32_e32 v2, 0, v3, vcc_lo
	s_branch .LBB360_528
.LBB360_527:
	s_mov_b32 s20, -1
                                        ; implicit-def: $vgpr2
.LBB360_528:
	s_mov_b32 s21, 0
.LBB360_529:
	s_delay_alu instid0(SALU_CYCLE_1)
	s_and_b32 vcc_lo, exec_lo, s21
	s_cbranch_vccz .LBB360_533
; %bb.530:
	v_cmp_eq_u16_e32 vcc_lo, 29, v4
	s_cbranch_vccz .LBB360_532
; %bb.531:
	global_load_b64 v[2:3], v[0:1], off
	s_mov_b32 s0, -1
	s_mov_b32 s20, 0
	s_branch .LBB360_533
.LBB360_532:
	s_mov_b32 s20, -1
                                        ; implicit-def: $vgpr2
.LBB360_533:
	s_mov_b32 s21, 0
.LBB360_534:
	s_delay_alu instid0(SALU_CYCLE_1)
	s_and_b32 vcc_lo, exec_lo, s21
	s_cbranch_vccz .LBB360_550
; %bb.535:
	v_cmp_gt_i16_e32 vcc_lo, 27, v4
	s_cbranch_vccnz .LBB360_538
; %bb.536:
	v_cmp_lt_i16_e32 vcc_lo, 27, v4
	s_cbranch_vccz .LBB360_539
; %bb.537:
	global_load_b32 v2, v[0:1], off
	s_mov_b32 s0, 0
	s_branch .LBB360_540
.LBB360_538:
	s_mov_b32 s0, -1
                                        ; implicit-def: $vgpr2
	s_branch .LBB360_543
.LBB360_539:
	s_mov_b32 s0, -1
                                        ; implicit-def: $vgpr2
.LBB360_540:
	s_delay_alu instid0(SALU_CYCLE_1)
	s_and_not1_b32 vcc_lo, exec_lo, s0
	s_cbranch_vccnz .LBB360_542
; %bb.541:
	global_load_u16 v2, v[0:1], off
.LBB360_542:
	s_mov_b32 s0, 0
.LBB360_543:
	s_delay_alu instid0(SALU_CYCLE_1)
	s_and_not1_b32 vcc_lo, exec_lo, s0
	s_cbranch_vccnz .LBB360_549
; %bb.544:
	global_load_u8 v3, v[0:1], off
	s_mov_b32 s0, 0
	s_mov_b32 s21, exec_lo
                                        ; implicit-def: $sgpr22
	s_waitcnt vmcnt(0)
	v_cmpx_lt_i16_e32 0x7f, v3
	s_xor_b32 s21, exec_lo, s21
	s_cbranch_execz .LBB360_561
; %bb.545:
	v_cmp_ne_u16_e32 vcc_lo, 0x80, v3
	s_mov_b32 s22, 0
	s_and_b32 s0, vcc_lo, exec_lo
	s_or_saveexec_b32 s21, s21
	v_mov_b32_e32 v2, s22
	s_xor_b32 exec_lo, exec_lo, s21
	s_cbranch_execnz .LBB360_562
.LBB360_546:
	s_or_b32 exec_lo, exec_lo, s21
	s_and_saveexec_b32 s21, s0
	s_cbranch_execz .LBB360_548
.LBB360_547:
	v_and_b32_e32 v2, 0xffff, v3
	v_lshlrev_b32_e32 v3, 24, v3
	s_delay_alu instid0(VALU_DEP_2) | instskip(NEXT) | instid1(VALU_DEP_2)
	v_and_b32_e32 v5, 7, v2
	v_and_b32_e32 v3, 0x80000000, v3
	s_delay_alu instid0(VALU_DEP_2) | instskip(NEXT) | instid1(VALU_DEP_1)
	v_clz_i32_u32_e32 v6, v5
	v_min_u32_e32 v6, 32, v6
	s_delay_alu instid0(VALU_DEP_1) | instskip(SKIP_1) | instid1(VALU_DEP_2)
	v_subrev_nc_u32_e32 v7, 28, v6
	v_sub_nc_u32_e32 v6, 29, v6
	v_lshlrev_b32_e32 v7, v7, v2
	v_bfe_u32 v2, v2, 3, 4
	s_delay_alu instid0(VALU_DEP_1) | instskip(NEXT) | instid1(VALU_DEP_3)
	v_cmp_eq_u32_e32 vcc_lo, 0, v2
	v_dual_cndmask_b32 v2, v2, v6 :: v_dual_and_b32 v7, 7, v7
	s_delay_alu instid0(VALU_DEP_1) | instskip(NEXT) | instid1(VALU_DEP_2)
	v_cndmask_b32_e32 v5, v5, v7, vcc_lo
	v_lshl_add_u32 v2, v2, 23, 0x3b800000
	s_delay_alu instid0(VALU_DEP_2) | instskip(NEXT) | instid1(VALU_DEP_1)
	v_lshlrev_b32_e32 v5, 20, v5
	v_or3_b32 v2, v3, v2, v5
	s_delay_alu instid0(VALU_DEP_1)
	v_cvt_i32_f32_e32 v2, v2
.LBB360_548:
	s_or_b32 exec_lo, exec_lo, s21
.LBB360_549:
	s_mov_b32 s0, -1
.LBB360_550:
	s_mov_b32 s21, 0
.LBB360_551:
	s_delay_alu instid0(SALU_CYCLE_1)
	s_and_b32 vcc_lo, exec_lo, s21
	s_cbranch_vccz .LBB360_584
; %bb.552:
	v_cmp_lt_i16_e32 vcc_lo, 22, v4
	s_cbranch_vccz .LBB360_560
; %bb.553:
	v_cmp_gt_i16_e32 vcc_lo, 24, v4
	s_cbranch_vccnz .LBB360_563
; %bb.554:
	v_cmp_lt_i16_e32 vcc_lo, 24, v4
	s_cbranch_vccz .LBB360_564
; %bb.555:
	global_load_u8 v3, v[0:1], off
	s_mov_b32 s0, 0
	s_mov_b32 s21, exec_lo
                                        ; implicit-def: $sgpr22
	s_waitcnt vmcnt(0)
	v_cmpx_lt_i16_e32 0x7f, v3
	s_xor_b32 s21, exec_lo, s21
	s_cbranch_execz .LBB360_576
; %bb.556:
	v_cmp_ne_u16_e32 vcc_lo, 0x80, v3
	s_mov_b32 s22, 0
	s_and_b32 s0, vcc_lo, exec_lo
	s_or_saveexec_b32 s21, s21
	v_mov_b32_e32 v2, s22
	s_xor_b32 exec_lo, exec_lo, s21
	s_cbranch_execnz .LBB360_577
.LBB360_557:
	s_or_b32 exec_lo, exec_lo, s21
	s_and_saveexec_b32 s21, s0
	s_cbranch_execz .LBB360_559
.LBB360_558:
	v_and_b32_e32 v2, 0xffff, v3
	v_lshlrev_b32_e32 v3, 24, v3
	s_delay_alu instid0(VALU_DEP_2) | instskip(NEXT) | instid1(VALU_DEP_2)
	v_and_b32_e32 v5, 3, v2
	v_and_b32_e32 v3, 0x80000000, v3
	s_delay_alu instid0(VALU_DEP_2) | instskip(NEXT) | instid1(VALU_DEP_1)
	v_clz_i32_u32_e32 v6, v5
	v_min_u32_e32 v6, 32, v6
	s_delay_alu instid0(VALU_DEP_1) | instskip(SKIP_1) | instid1(VALU_DEP_2)
	v_subrev_nc_u32_e32 v7, 29, v6
	v_sub_nc_u32_e32 v6, 30, v6
	v_lshlrev_b32_e32 v7, v7, v2
	v_bfe_u32 v2, v2, 2, 5
	s_delay_alu instid0(VALU_DEP_1) | instskip(NEXT) | instid1(VALU_DEP_3)
	v_cmp_eq_u32_e32 vcc_lo, 0, v2
	v_dual_cndmask_b32 v2, v2, v6 :: v_dual_and_b32 v7, 3, v7
	s_delay_alu instid0(VALU_DEP_1) | instskip(NEXT) | instid1(VALU_DEP_2)
	v_cndmask_b32_e32 v5, v5, v7, vcc_lo
	v_lshl_add_u32 v2, v2, 23, 0x37800000
	s_delay_alu instid0(VALU_DEP_2) | instskip(NEXT) | instid1(VALU_DEP_1)
	v_lshlrev_b32_e32 v5, 21, v5
	v_or3_b32 v2, v3, v2, v5
	s_delay_alu instid0(VALU_DEP_1)
	v_cvt_i32_f32_e32 v2, v2
.LBB360_559:
	s_or_b32 exec_lo, exec_lo, s21
	s_mov_b32 s0, 0
	s_branch .LBB360_565
.LBB360_560:
	s_mov_b32 s21, -1
                                        ; implicit-def: $vgpr2
	s_branch .LBB360_571
.LBB360_561:
	s_or_saveexec_b32 s21, s21
	v_mov_b32_e32 v2, s22
	s_xor_b32 exec_lo, exec_lo, s21
	s_cbranch_execz .LBB360_546
.LBB360_562:
	v_cmp_ne_u16_e32 vcc_lo, 0, v3
	v_mov_b32_e32 v2, 0
	s_and_not1_b32 s0, s0, exec_lo
	s_and_b32 s22, vcc_lo, exec_lo
	s_delay_alu instid0(SALU_CYCLE_1)
	s_or_b32 s0, s0, s22
	s_or_b32 exec_lo, exec_lo, s21
	s_and_saveexec_b32 s21, s0
	s_cbranch_execnz .LBB360_547
	s_branch .LBB360_548
.LBB360_563:
	s_mov_b32 s0, -1
                                        ; implicit-def: $vgpr2
	s_branch .LBB360_568
.LBB360_564:
	s_mov_b32 s0, -1
                                        ; implicit-def: $vgpr2
.LBB360_565:
	s_delay_alu instid0(SALU_CYCLE_1)
	s_and_b32 vcc_lo, exec_lo, s0
	s_cbranch_vccz .LBB360_567
; %bb.566:
	global_load_u8 v2, v[0:1], off
	s_waitcnt vmcnt(0)
	v_lshlrev_b32_e32 v2, 24, v2
	s_delay_alu instid0(VALU_DEP_1) | instskip(NEXT) | instid1(VALU_DEP_1)
	v_and_b32_e32 v3, 0x7f000000, v2
	v_clz_i32_u32_e32 v5, v3
	v_add_nc_u32_e32 v7, 0x1000000, v3
	v_cmp_ne_u32_e32 vcc_lo, 0, v3
	s_delay_alu instid0(VALU_DEP_3) | instskip(NEXT) | instid1(VALU_DEP_1)
	v_min_u32_e32 v5, 32, v5
	v_sub_nc_u32_e64 v5, v5, 4 clamp
	s_delay_alu instid0(VALU_DEP_1) | instskip(SKIP_1) | instid1(VALU_DEP_2)
	v_lshlrev_b32_e32 v6, v5, v3
	v_lshlrev_b32_e32 v5, 23, v5
	v_lshrrev_b32_e32 v6, 4, v6
	s_delay_alu instid0(VALU_DEP_1) | instskip(SKIP_1) | instid1(VALU_DEP_2)
	v_sub_nc_u32_e32 v5, v6, v5
	v_ashrrev_i32_e32 v6, 8, v7
	v_add_nc_u32_e32 v5, 0x3c000000, v5
	s_delay_alu instid0(VALU_DEP_1) | instskip(NEXT) | instid1(VALU_DEP_1)
	v_and_or_b32 v5, 0x7f800000, v6, v5
	v_cndmask_b32_e32 v3, 0, v5, vcc_lo
	s_delay_alu instid0(VALU_DEP_1) | instskip(NEXT) | instid1(VALU_DEP_1)
	v_and_or_b32 v2, 0x80000000, v2, v3
	v_cvt_i32_f32_e32 v2, v2
.LBB360_567:
	s_mov_b32 s0, 0
.LBB360_568:
	s_delay_alu instid0(SALU_CYCLE_1)
	s_and_not1_b32 vcc_lo, exec_lo, s0
	s_cbranch_vccnz .LBB360_570
; %bb.569:
	global_load_u8 v2, v[0:1], off
	s_waitcnt vmcnt(0)
	v_lshlrev_b32_e32 v3, 25, v2
	v_lshlrev_b16 v2, 8, v2
	s_delay_alu instid0(VALU_DEP_2) | instskip(NEXT) | instid1(VALU_DEP_2)
	v_lshrrev_b32_e32 v5, 4, v3
	v_and_or_b32 v6, 0x7f00, v2, 0.5
	v_cmp_gt_u32_e32 vcc_lo, 0x8000000, v3
	v_bfe_i32 v2, v2, 0, 16
	s_delay_alu instid0(VALU_DEP_4) | instskip(NEXT) | instid1(VALU_DEP_1)
	v_or_b32_e32 v5, 0x70000000, v5
	v_dual_add_f32 v6, -0.5, v6 :: v_dual_mul_f32 v5, 0x7800000, v5
	s_delay_alu instid0(VALU_DEP_1) | instskip(NEXT) | instid1(VALU_DEP_1)
	v_cndmask_b32_e32 v3, v5, v6, vcc_lo
	v_and_or_b32 v2, 0x80000000, v2, v3
	s_delay_alu instid0(VALU_DEP_1)
	v_cvt_i32_f32_e32 v2, v2
.LBB360_570:
	s_mov_b32 s21, 0
	s_mov_b32 s0, -1
.LBB360_571:
	s_and_not1_b32 vcc_lo, exec_lo, s21
	s_cbranch_vccnz .LBB360_584
; %bb.572:
	v_cmp_lt_i16_e32 vcc_lo, 14, v4
	s_cbranch_vccz .LBB360_575
; %bb.573:
	v_cmp_eq_u16_e32 vcc_lo, 15, v4
	s_cbranch_vccz .LBB360_578
; %bb.574:
	global_load_u16 v2, v[0:1], off
	s_mov_b32 s0, -1
	s_mov_b32 s20, 0
	s_waitcnt vmcnt(0)
	v_lshlrev_b32_e32 v2, 16, v2
	s_delay_alu instid0(VALU_DEP_1)
	v_cvt_i32_f32_e32 v2, v2
	s_branch .LBB360_579
.LBB360_575:
	s_mov_b32 s21, -1
                                        ; implicit-def: $vgpr2
	s_branch .LBB360_580
.LBB360_576:
	s_or_saveexec_b32 s21, s21
	v_mov_b32_e32 v2, s22
	s_xor_b32 exec_lo, exec_lo, s21
	s_cbranch_execz .LBB360_557
.LBB360_577:
	v_cmp_ne_u16_e32 vcc_lo, 0, v3
	v_mov_b32_e32 v2, 0
	s_and_not1_b32 s0, s0, exec_lo
	s_and_b32 s22, vcc_lo, exec_lo
	s_delay_alu instid0(SALU_CYCLE_1)
	s_or_b32 s0, s0, s22
	s_or_b32 exec_lo, exec_lo, s21
	s_and_saveexec_b32 s21, s0
	s_cbranch_execnz .LBB360_558
	s_branch .LBB360_559
.LBB360_578:
	s_mov_b32 s20, -1
                                        ; implicit-def: $vgpr2
.LBB360_579:
	s_mov_b32 s21, 0
.LBB360_580:
	s_delay_alu instid0(SALU_CYCLE_1)
	s_and_b32 vcc_lo, exec_lo, s21
	s_cbranch_vccz .LBB360_584
; %bb.581:
	v_cmp_eq_u16_e32 vcc_lo, 11, v4
	s_cbranch_vccz .LBB360_583
; %bb.582:
	global_load_u8 v2, v[0:1], off
	s_mov_b32 s20, 0
	s_mov_b32 s0, -1
	s_waitcnt vmcnt(0)
	v_cmp_ne_u16_e32 vcc_lo, 0, v2
	v_cndmask_b32_e64 v2, 0, 1, vcc_lo
	s_branch .LBB360_584
.LBB360_583:
	s_mov_b32 s20, -1
                                        ; implicit-def: $vgpr2
.LBB360_584:
	s_mov_b32 s21, 0
.LBB360_585:
	s_delay_alu instid0(SALU_CYCLE_1)
	s_and_b32 vcc_lo, exec_lo, s21
	s_cbranch_vccz .LBB360_634
; %bb.586:
	v_cmp_gt_i16_e32 vcc_lo, 5, v4
	s_cbranch_vccnz .LBB360_591
; %bb.587:
	v_cmp_gt_i16_e32 vcc_lo, 8, v4
	s_cbranch_vccnz .LBB360_592
	;; [unrolled: 3-line block ×3, first 2 shown]
; %bb.589:
	v_cmp_lt_i16_e32 vcc_lo, 9, v4
	s_cbranch_vccz .LBB360_594
; %bb.590:
	global_load_b64 v[2:3], v[0:1], off
	s_mov_b32 s0, 0
	s_waitcnt vmcnt(0)
	v_cvt_i32_f64_e32 v2, v[2:3]
	s_branch .LBB360_595
.LBB360_591:
	s_mov_b32 s0, -1
                                        ; implicit-def: $vgpr2
	s_branch .LBB360_613
.LBB360_592:
	s_mov_b32 s0, -1
                                        ; implicit-def: $vgpr2
	s_branch .LBB360_601
.LBB360_593:
	s_mov_b32 s0, -1
                                        ; implicit-def: $vgpr2
	s_branch .LBB360_598
.LBB360_594:
	s_mov_b32 s0, -1
                                        ; implicit-def: $vgpr2
.LBB360_595:
	s_delay_alu instid0(SALU_CYCLE_1)
	s_and_not1_b32 vcc_lo, exec_lo, s0
	s_cbranch_vccnz .LBB360_597
; %bb.596:
	global_load_b32 v2, v[0:1], off
	s_waitcnt vmcnt(0)
	v_cvt_i32_f32_e32 v2, v2
.LBB360_597:
	s_mov_b32 s0, 0
.LBB360_598:
	s_delay_alu instid0(SALU_CYCLE_1)
	s_and_not1_b32 vcc_lo, exec_lo, s0
	s_cbranch_vccnz .LBB360_600
; %bb.599:
	global_load_b32 v2, v[0:1], off
	s_waitcnt vmcnt(0)
	v_cvt_i16_f16_e32 v2, v2
.LBB360_600:
	s_mov_b32 s0, 0
.LBB360_601:
	s_delay_alu instid0(SALU_CYCLE_1)
	s_and_not1_b32 vcc_lo, exec_lo, s0
	s_cbranch_vccnz .LBB360_612
; %bb.602:
	v_cmp_gt_i16_e32 vcc_lo, 6, v4
	s_cbranch_vccnz .LBB360_605
; %bb.603:
	v_cmp_lt_i16_e32 vcc_lo, 6, v4
	s_cbranch_vccz .LBB360_606
; %bb.604:
	global_load_b64 v[2:3], v[0:1], off
	s_mov_b32 s0, 0
	s_waitcnt vmcnt(0)
	v_cvt_i32_f64_e32 v2, v[2:3]
	s_branch .LBB360_607
.LBB360_605:
	s_mov_b32 s0, -1
                                        ; implicit-def: $vgpr2
	s_branch .LBB360_610
.LBB360_606:
	s_mov_b32 s0, -1
                                        ; implicit-def: $vgpr2
.LBB360_607:
	s_delay_alu instid0(SALU_CYCLE_1)
	s_and_not1_b32 vcc_lo, exec_lo, s0
	s_cbranch_vccnz .LBB360_609
; %bb.608:
	global_load_b32 v2, v[0:1], off
	s_waitcnt vmcnt(0)
	v_cvt_i32_f32_e32 v2, v2
.LBB360_609:
	s_mov_b32 s0, 0
.LBB360_610:
	s_delay_alu instid0(SALU_CYCLE_1)
	s_and_not1_b32 vcc_lo, exec_lo, s0
	s_cbranch_vccnz .LBB360_612
; %bb.611:
	global_load_u16 v2, v[0:1], off
	s_waitcnt vmcnt(0)
	v_cvt_i16_f16_e32 v2, v2
.LBB360_612:
	s_mov_b32 s0, 0
.LBB360_613:
	s_delay_alu instid0(SALU_CYCLE_1)
	s_and_not1_b32 vcc_lo, exec_lo, s0
	s_cbranch_vccnz .LBB360_633
; %bb.614:
	v_cmp_gt_i16_e32 vcc_lo, 2, v4
	s_cbranch_vccnz .LBB360_618
; %bb.615:
	v_cmp_gt_i16_e32 vcc_lo, 3, v4
	s_cbranch_vccnz .LBB360_619
; %bb.616:
	v_cmp_lt_i16_e32 vcc_lo, 3, v4
	s_cbranch_vccz .LBB360_620
; %bb.617:
	global_load_b64 v[2:3], v[0:1], off
	s_mov_b32 s0, 0
	s_branch .LBB360_621
.LBB360_618:
	s_mov_b32 s0, -1
                                        ; implicit-def: $vgpr2
	s_branch .LBB360_627
.LBB360_619:
	s_mov_b32 s0, -1
                                        ; implicit-def: $vgpr2
	s_branch .LBB360_624
.LBB360_620:
	s_mov_b32 s0, -1
                                        ; implicit-def: $vgpr2
.LBB360_621:
	s_delay_alu instid0(SALU_CYCLE_1)
	s_and_not1_b32 vcc_lo, exec_lo, s0
	s_cbranch_vccnz .LBB360_623
; %bb.622:
	global_load_b32 v2, v[0:1], off
.LBB360_623:
	s_mov_b32 s0, 0
.LBB360_624:
	s_delay_alu instid0(SALU_CYCLE_1)
	s_and_not1_b32 vcc_lo, exec_lo, s0
	s_cbranch_vccnz .LBB360_626
; %bb.625:
	global_load_u16 v2, v[0:1], off
.LBB360_626:
	s_mov_b32 s0, 0
.LBB360_627:
	s_delay_alu instid0(SALU_CYCLE_1)
	s_and_not1_b32 vcc_lo, exec_lo, s0
	s_cbranch_vccnz .LBB360_633
; %bb.628:
	v_cmp_lt_i16_e32 vcc_lo, 0, v4
	s_mov_b32 s0, 0
	s_cbranch_vccz .LBB360_630
; %bb.629:
	global_load_u8 v2, v[0:1], off
	s_branch .LBB360_631
.LBB360_630:
	s_mov_b32 s0, -1
                                        ; implicit-def: $vgpr2
.LBB360_631:
	s_delay_alu instid0(SALU_CYCLE_1)
	s_and_not1_b32 vcc_lo, exec_lo, s0
	s_cbranch_vccnz .LBB360_633
; %bb.632:
	global_load_u8 v2, v[0:1], off
.LBB360_633:
	s_mov_b32 s0, -1
.LBB360_634:
	s_delay_alu instid0(SALU_CYCLE_1)
	s_and_not1_b32 vcc_lo, exec_lo, s0
	s_cbranch_vccnz .LBB360_642
; %bb.635:
	v_mul_lo_u32 v0, v9, s2
	s_waitcnt vmcnt(0)
	s_delay_alu instid0(VALU_DEP_2)
	v_bfe_i32 v1, v2, 0, 8
	v_and_b32_e64 v3, 0xff, s1
	s_bfe_i32 s0, s8, 0x80000
	s_delay_alu instid0(VALU_DEP_2) | instid1(SALU_CYCLE_1)
	v_max_i16 v2, v1, s0
	s_delay_alu instid0(VALU_DEP_2) | instskip(SKIP_2) | instid1(VALU_DEP_1)
	v_cmp_gt_i16_e32 vcc_lo, 11, v3
	v_ashrrev_i32_e32 v1, 31, v0
	v_add_co_u32 v0, s0, s4, v0
	v_add_co_ci_u32_e64 v1, s0, s5, v1, s0
	s_cbranch_vccnz .LBB360_643
; %bb.636:
	v_cmp_lt_i16_e32 vcc_lo, 25, v3
	s_cbranch_vccz .LBB360_644
; %bb.637:
	v_cmp_lt_i16_e32 vcc_lo, 28, v3
	s_cbranch_vccz .LBB360_645
	;; [unrolled: 3-line block ×4, first 2 shown]
; %bb.640:
	v_cmp_eq_u16_e32 vcc_lo, 46, v3
	s_mov_b32 s22, 0
	s_mov_b32 s0, -1
	s_mov_b32 s21, 0
	s_cbranch_vccz .LBB360_648
; %bb.641:
	v_bfe_i32 v4, v2, 0, 16
	s_mov_b32 s21, -1
	s_mov_b32 s0, 0
	s_delay_alu instid0(VALU_DEP_1) | instskip(NEXT) | instid1(VALU_DEP_1)
	v_cvt_f32_i32_e32 v4, v4
	v_bfe_u32 v5, v4, 16, 1
	s_delay_alu instid0(VALU_DEP_1) | instskip(NEXT) | instid1(VALU_DEP_1)
	v_add3_u32 v4, v4, v5, 0x7fff
	v_lshrrev_b32_e32 v4, 16, v4
	global_store_b32 v[0:1], v4, off
	s_branch .LBB360_648
.LBB360_642:
	s_mov_b32 s22, 0
	s_mov_b32 s0, s17
	s_branch .LBB360_759
.LBB360_643:
	s_mov_b32 s22, -1
	s_mov_b32 s21, 0
	s_mov_b32 s0, s17
	s_branch .LBB360_717
.LBB360_644:
	s_mov_b32 s22, -1
	s_mov_b32 s21, 0
	s_mov_b32 s0, s17
	s_branch .LBB360_675
.LBB360_645:
	s_mov_b32 s22, -1
	s_mov_b32 s21, 0
	s_mov_b32 s0, s17
	s_branch .LBB360_658
.LBB360_646:
	s_mov_b32 s22, -1
	s_mov_b32 s21, 0
	s_mov_b32 s0, s17
	s_branch .LBB360_654
.LBB360_647:
	s_mov_b32 s22, -1
	s_mov_b32 s21, 0
	s_mov_b32 s0, s17
.LBB360_648:
	s_and_b32 vcc_lo, exec_lo, s22
	s_cbranch_vccz .LBB360_653
; %bb.649:
	v_cmp_eq_u16_e32 vcc_lo, 44, v3
	s_mov_b32 s0, -1
	s_cbranch_vccz .LBB360_653
; %bb.650:
	v_bfe_i32 v4, v2, 0, 16
	v_mov_b32_e32 v5, 0xff
	s_mov_b32 s21, exec_lo
	s_delay_alu instid0(VALU_DEP_2) | instskip(NEXT) | instid1(VALU_DEP_1)
	v_cvt_f32_i32_e32 v4, v4
	v_bfe_u32 v6, v4, 23, 8
	s_delay_alu instid0(VALU_DEP_1)
	v_cmpx_ne_u32_e32 0xff, v6
; %bb.651:
	v_and_b32_e32 v5, 0x400000, v4
	v_and_or_b32 v6, 0x3fffff, v4, v6
	v_lshrrev_b32_e32 v4, 23, v4
	s_delay_alu instid0(VALU_DEP_3) | instskip(NEXT) | instid1(VALU_DEP_3)
	v_cmp_ne_u32_e32 vcc_lo, 0, v5
	v_cmp_ne_u32_e64 s0, 0, v6
	s_delay_alu instid0(VALU_DEP_1) | instskip(NEXT) | instid1(SALU_CYCLE_1)
	s_and_b32 s0, vcc_lo, s0
	v_cndmask_b32_e64 v5, 0, 1, s0
	s_delay_alu instid0(VALU_DEP_1)
	v_add_nc_u32_e32 v5, v4, v5
; %bb.652:
	s_or_b32 exec_lo, exec_lo, s21
	s_mov_b32 s21, -1
	s_mov_b32 s0, 0
	global_store_b8 v[0:1], v5, off
.LBB360_653:
	s_mov_b32 s22, 0
.LBB360_654:
	s_delay_alu instid0(SALU_CYCLE_1)
	s_and_b32 vcc_lo, exec_lo, s22
	s_cbranch_vccz .LBB360_657
; %bb.655:
	v_cmp_eq_u16_e32 vcc_lo, 29, v3
	s_mov_b32 s0, -1
	s_cbranch_vccz .LBB360_657
; %bb.656:
	v_bfe_i32 v4, v2, 0, 16
	s_mov_b32 s0, 0
	s_mov_b32 s21, -1
	s_mov_b32 s22, 0
	s_delay_alu instid0(VALU_DEP_1)
	v_ashrrev_i32_e32 v5, 31, v4
	global_store_b64 v[0:1], v[4:5], off
	s_branch .LBB360_658
.LBB360_657:
	s_mov_b32 s22, 0
.LBB360_658:
	s_delay_alu instid0(SALU_CYCLE_1)
	s_and_b32 vcc_lo, exec_lo, s22
	s_cbranch_vccz .LBB360_674
; %bb.659:
	v_cmp_gt_i16_e32 vcc_lo, 27, v3
	s_mov_b32 s21, -1
	s_cbranch_vccnz .LBB360_665
; %bb.660:
	v_cmp_lt_i16_e32 vcc_lo, 27, v3
	s_cbranch_vccz .LBB360_662
; %bb.661:
	v_bfe_i32 v4, v2, 0, 16
	s_mov_b32 s21, 0
	global_store_b32 v[0:1], v4, off
.LBB360_662:
	s_and_not1_b32 vcc_lo, exec_lo, s21
	s_cbranch_vccnz .LBB360_664
; %bb.663:
	global_store_b16 v[0:1], v2, off
.LBB360_664:
	s_mov_b32 s21, 0
.LBB360_665:
	s_delay_alu instid0(SALU_CYCLE_1)
	s_and_not1_b32 vcc_lo, exec_lo, s21
	s_cbranch_vccnz .LBB360_673
; %bb.666:
	v_bfe_i32 v4, v2, 0, 16
	v_mov_b32_e32 v6, 0x80
	s_mov_b32 s21, exec_lo
	s_delay_alu instid0(VALU_DEP_2) | instskip(NEXT) | instid1(VALU_DEP_1)
	v_cvt_f32_i32_e32 v4, v4
	v_and_b32_e32 v5, 0x7fffffff, v4
	s_delay_alu instid0(VALU_DEP_1)
	v_cmpx_gt_u32_e32 0x43800000, v5
	s_cbranch_execz .LBB360_672
; %bb.667:
	v_cmp_lt_u32_e32 vcc_lo, 0x3bffffff, v5
	s_mov_b32 s22, 0
                                        ; implicit-def: $vgpr5
	s_and_saveexec_b32 s23, vcc_lo
	s_delay_alu instid0(SALU_CYCLE_1)
	s_xor_b32 s23, exec_lo, s23
	s_cbranch_execz .LBB360_774
; %bb.668:
	v_bfe_u32 v5, v4, 20, 1
	s_mov_b32 s22, exec_lo
	s_delay_alu instid0(VALU_DEP_1) | instskip(NEXT) | instid1(VALU_DEP_1)
	v_add3_u32 v5, v4, v5, 0x487ffff
	v_lshrrev_b32_e32 v5, 20, v5
	s_or_saveexec_b32 s23, s23
                                        ; implicit-def: $sgpr24
	s_delay_alu instid0(SALU_CYCLE_1)
	s_xor_b32 exec_lo, exec_lo, s23
	s_cbranch_execnz .LBB360_775
.LBB360_669:
	s_or_b32 exec_lo, exec_lo, s23
	v_mov_b32_e32 v6, s24
	s_and_saveexec_b32 s23, s22
.LBB360_670:
	v_lshrrev_b32_e32 v4, 24, v4
	s_delay_alu instid0(VALU_DEP_1)
	v_and_or_b32 v6, 0x80, v4, v5
.LBB360_671:
	s_or_b32 exec_lo, exec_lo, s23
.LBB360_672:
	s_delay_alu instid0(SALU_CYCLE_1)
	s_or_b32 exec_lo, exec_lo, s21
	global_store_b8 v[0:1], v6, off
.LBB360_673:
	s_mov_b32 s21, -1
.LBB360_674:
	s_mov_b32 s22, 0
.LBB360_675:
	s_delay_alu instid0(SALU_CYCLE_1)
	s_and_b32 vcc_lo, exec_lo, s22
	s_cbranch_vccz .LBB360_716
; %bb.676:
	v_cmp_lt_i16_e32 vcc_lo, 22, v3
	s_mov_b32 s22, -1
	s_cbranch_vccz .LBB360_708
; %bb.677:
	v_cmp_gt_i16_e32 vcc_lo, 24, v3
	s_mov_b32 s21, -1
	s_cbranch_vccnz .LBB360_697
; %bb.678:
	v_cmp_lt_i16_e32 vcc_lo, 24, v3
	s_cbranch_vccz .LBB360_686
; %bb.679:
	v_bfe_i32 v4, v2, 0, 16
	v_mov_b32_e32 v6, 0x80
	s_mov_b32 s21, exec_lo
	s_delay_alu instid0(VALU_DEP_2) | instskip(NEXT) | instid1(VALU_DEP_1)
	v_cvt_f32_i32_e32 v4, v4
	v_and_b32_e32 v5, 0x7fffffff, v4
	s_delay_alu instid0(VALU_DEP_1)
	v_cmpx_gt_u32_e32 0x47800000, v5
	s_cbranch_execz .LBB360_685
; %bb.680:
	v_cmp_lt_u32_e32 vcc_lo, 0x37ffffff, v5
	s_mov_b32 s22, 0
                                        ; implicit-def: $vgpr5
	s_and_saveexec_b32 s23, vcc_lo
	s_delay_alu instid0(SALU_CYCLE_1)
	s_xor_b32 s23, exec_lo, s23
	s_cbranch_execz .LBB360_777
; %bb.681:
	v_bfe_u32 v5, v4, 21, 1
	s_mov_b32 s22, exec_lo
	s_delay_alu instid0(VALU_DEP_1) | instskip(NEXT) | instid1(VALU_DEP_1)
	v_add3_u32 v5, v4, v5, 0x88fffff
	v_lshrrev_b32_e32 v5, 21, v5
	s_or_saveexec_b32 s23, s23
                                        ; implicit-def: $sgpr24
	s_delay_alu instid0(SALU_CYCLE_1)
	s_xor_b32 exec_lo, exec_lo, s23
	s_cbranch_execnz .LBB360_778
.LBB360_682:
	s_or_b32 exec_lo, exec_lo, s23
	v_mov_b32_e32 v6, s24
	s_and_saveexec_b32 s23, s22
.LBB360_683:
	v_lshrrev_b32_e32 v4, 24, v4
	s_delay_alu instid0(VALU_DEP_1)
	v_and_or_b32 v6, 0x80, v4, v5
.LBB360_684:
	s_or_b32 exec_lo, exec_lo, s23
.LBB360_685:
	s_delay_alu instid0(SALU_CYCLE_1)
	s_or_b32 exec_lo, exec_lo, s21
	s_mov_b32 s21, 0
	global_store_b8 v[0:1], v6, off
.LBB360_686:
	s_and_b32 vcc_lo, exec_lo, s21
	s_cbranch_vccz .LBB360_696
; %bb.687:
	v_bfe_i32 v4, v2, 0, 16
	s_mov_b32 s21, exec_lo
                                        ; implicit-def: $vgpr5
	s_delay_alu instid0(VALU_DEP_1) | instskip(NEXT) | instid1(VALU_DEP_1)
	v_cvt_f32_i32_e32 v4, v4
	v_and_b32_e32 v6, 0x7fffffff, v4
	s_delay_alu instid0(VALU_DEP_1)
	v_cmpx_gt_u32_e32 0x43f00000, v6
	s_xor_b32 s21, exec_lo, s21
	s_cbranch_execz .LBB360_693
; %bb.688:
	s_mov_b32 s22, exec_lo
                                        ; implicit-def: $vgpr5
	v_cmpx_lt_u32_e32 0x3c7fffff, v6
	s_xor_b32 s22, exec_lo, s22
; %bb.689:
	v_bfe_u32 v5, v4, 20, 1
	s_delay_alu instid0(VALU_DEP_1) | instskip(NEXT) | instid1(VALU_DEP_1)
	v_add3_u32 v5, v4, v5, 0x407ffff
	v_and_b32_e32 v6, 0xff00000, v5
	v_lshrrev_b32_e32 v5, 20, v5
	s_delay_alu instid0(VALU_DEP_2) | instskip(NEXT) | instid1(VALU_DEP_2)
	v_cmp_ne_u32_e32 vcc_lo, 0x7f00000, v6
	v_cndmask_b32_e32 v5, 0x7e, v5, vcc_lo
; %bb.690:
	s_and_not1_saveexec_b32 s22, s22
; %bb.691:
	v_add_f32_e64 v5, 0x46800000, |v4|
; %bb.692:
	s_or_b32 exec_lo, exec_lo, s22
                                        ; implicit-def: $vgpr6
.LBB360_693:
	s_and_not1_saveexec_b32 s21, s21
; %bb.694:
	v_mov_b32_e32 v5, 0x7f
	v_cmp_lt_u32_e32 vcc_lo, 0x7f800000, v6
	s_delay_alu instid0(VALU_DEP_2)
	v_cndmask_b32_e32 v5, 0x7e, v5, vcc_lo
; %bb.695:
	s_or_b32 exec_lo, exec_lo, s21
	v_lshrrev_b32_e32 v4, 24, v4
	s_delay_alu instid0(VALU_DEP_1)
	v_and_or_b32 v4, 0x80, v4, v5
	global_store_b8 v[0:1], v4, off
.LBB360_696:
	s_mov_b32 s21, 0
.LBB360_697:
	s_delay_alu instid0(SALU_CYCLE_1)
	s_and_not1_b32 vcc_lo, exec_lo, s21
	s_cbranch_vccnz .LBB360_707
; %bb.698:
	v_bfe_i32 v4, v2, 0, 16
	s_mov_b32 s21, exec_lo
                                        ; implicit-def: $vgpr5
	s_delay_alu instid0(VALU_DEP_1) | instskip(NEXT) | instid1(VALU_DEP_1)
	v_cvt_f32_i32_e32 v4, v4
	v_and_b32_e32 v6, 0x7fffffff, v4
	s_delay_alu instid0(VALU_DEP_1)
	v_cmpx_gt_u32_e32 0x47800000, v6
	s_xor_b32 s21, exec_lo, s21
	s_cbranch_execz .LBB360_704
; %bb.699:
	s_mov_b32 s22, exec_lo
                                        ; implicit-def: $vgpr5
	v_cmpx_lt_u32_e32 0x387fffff, v6
	s_xor_b32 s22, exec_lo, s22
; %bb.700:
	v_bfe_u32 v5, v4, 21, 1
	s_delay_alu instid0(VALU_DEP_1) | instskip(NEXT) | instid1(VALU_DEP_1)
	v_add3_u32 v5, v4, v5, 0x80fffff
	v_lshrrev_b32_e32 v5, 21, v5
; %bb.701:
	s_and_not1_saveexec_b32 s22, s22
; %bb.702:
	v_add_f32_e64 v5, 0x43000000, |v4|
; %bb.703:
	s_or_b32 exec_lo, exec_lo, s22
                                        ; implicit-def: $vgpr6
.LBB360_704:
	s_and_not1_saveexec_b32 s21, s21
; %bb.705:
	v_mov_b32_e32 v5, 0x7f
	v_cmp_lt_u32_e32 vcc_lo, 0x7f800000, v6
	s_delay_alu instid0(VALU_DEP_2)
	v_cndmask_b32_e32 v5, 0x7c, v5, vcc_lo
; %bb.706:
	s_or_b32 exec_lo, exec_lo, s21
	v_lshrrev_b32_e32 v4, 24, v4
	s_delay_alu instid0(VALU_DEP_1)
	v_and_or_b32 v4, 0x80, v4, v5
	global_store_b8 v[0:1], v4, off
.LBB360_707:
	s_mov_b32 s22, 0
	s_mov_b32 s21, -1
.LBB360_708:
	s_and_not1_b32 vcc_lo, exec_lo, s22
	s_cbranch_vccnz .LBB360_716
; %bb.709:
	v_cmp_lt_i16_e32 vcc_lo, 14, v3
	s_mov_b32 s22, -1
	s_cbranch_vccz .LBB360_713
; %bb.710:
	v_cmp_eq_u16_e32 vcc_lo, 15, v3
	s_mov_b32 s0, -1
	s_cbranch_vccz .LBB360_712
; %bb.711:
	v_bfe_i32 v4, v2, 0, 16
	s_mov_b32 s21, -1
	s_mov_b32 s0, 0
	s_delay_alu instid0(VALU_DEP_1) | instskip(NEXT) | instid1(VALU_DEP_1)
	v_cvt_f32_i32_e32 v4, v4
	v_bfe_u32 v5, v4, 16, 1
	s_delay_alu instid0(VALU_DEP_1)
	v_add3_u32 v4, v4, v5, 0x7fff
	global_store_d16_hi_b16 v[0:1], v4, off
.LBB360_712:
	s_mov_b32 s22, 0
.LBB360_713:
	s_delay_alu instid0(SALU_CYCLE_1)
	s_and_b32 vcc_lo, exec_lo, s22
	s_cbranch_vccz .LBB360_716
; %bb.714:
	v_cmp_eq_u16_e32 vcc_lo, 11, v3
	s_mov_b32 s0, -1
	s_cbranch_vccz .LBB360_716
; %bb.715:
	v_cmp_ne_u16_e32 vcc_lo, 0, v2
	s_mov_b32 s0, 0
	s_mov_b32 s21, -1
	v_cndmask_b32_e64 v4, 0, 1, vcc_lo
	global_store_b8 v[0:1], v4, off
.LBB360_716:
	s_mov_b32 s22, 0
.LBB360_717:
	s_delay_alu instid0(SALU_CYCLE_1)
	s_and_b32 vcc_lo, exec_lo, s22
	s_cbranch_vccz .LBB360_756
; %bb.718:
	v_cmp_gt_i16_e32 vcc_lo, 5, v3
	s_mov_b32 s21, -1
	s_cbranch_vccnz .LBB360_739
; %bb.719:
	v_cmp_gt_i16_e32 vcc_lo, 8, v3
	s_cbranch_vccnz .LBB360_729
; %bb.720:
	v_cmp_gt_i16_e32 vcc_lo, 9, v3
	s_cbranch_vccnz .LBB360_726
; %bb.721:
	v_cmp_lt_i16_e32 vcc_lo, 9, v3
	s_cbranch_vccz .LBB360_723
; %bb.722:
	v_bfe_i32 v4, v2, 0, 16
	v_mov_b32_e32 v6, 0
	s_mov_b32 s21, 0
	s_delay_alu instid0(VALU_DEP_2) | instskip(NEXT) | instid1(VALU_DEP_2)
	v_cvt_f64_i32_e32 v[4:5], v4
	v_mov_b32_e32 v7, v6
	global_store_b128 v[0:1], v[4:7], off
.LBB360_723:
	s_and_not1_b32 vcc_lo, exec_lo, s21
	s_cbranch_vccnz .LBB360_725
; %bb.724:
	v_bfe_i32 v4, v2, 0, 16
	v_mov_b32_e32 v5, 0
	s_delay_alu instid0(VALU_DEP_2)
	v_cvt_f32_i32_e32 v4, v4
	global_store_b64 v[0:1], v[4:5], off
.LBB360_725:
	s_mov_b32 s21, 0
.LBB360_726:
	s_delay_alu instid0(SALU_CYCLE_1)
	s_and_not1_b32 vcc_lo, exec_lo, s21
	s_cbranch_vccnz .LBB360_728
; %bb.727:
	v_cvt_f16_i16_e32 v4, v2
	s_delay_alu instid0(VALU_DEP_1)
	v_and_b32_e32 v4, 0xffff, v4
	global_store_b32 v[0:1], v4, off
.LBB360_728:
	s_mov_b32 s21, 0
.LBB360_729:
	s_delay_alu instid0(SALU_CYCLE_1)
	s_and_not1_b32 vcc_lo, exec_lo, s21
	s_cbranch_vccnz .LBB360_738
; %bb.730:
	v_cmp_gt_i16_e32 vcc_lo, 6, v3
	s_mov_b32 s21, -1
	s_cbranch_vccnz .LBB360_736
; %bb.731:
	v_cmp_lt_i16_e32 vcc_lo, 6, v3
	s_cbranch_vccz .LBB360_733
; %bb.732:
	v_bfe_i32 v4, v2, 0, 16
	s_mov_b32 s21, 0
	s_delay_alu instid0(VALU_DEP_1)
	v_cvt_f64_i32_e32 v[4:5], v4
	global_store_b64 v[0:1], v[4:5], off
.LBB360_733:
	s_and_not1_b32 vcc_lo, exec_lo, s21
	s_cbranch_vccnz .LBB360_735
; %bb.734:
	v_bfe_i32 v4, v2, 0, 16
	s_delay_alu instid0(VALU_DEP_1)
	v_cvt_f32_i32_e32 v4, v4
	global_store_b32 v[0:1], v4, off
.LBB360_735:
	s_mov_b32 s21, 0
.LBB360_736:
	s_delay_alu instid0(SALU_CYCLE_1)
	s_and_not1_b32 vcc_lo, exec_lo, s21
	s_cbranch_vccnz .LBB360_738
; %bb.737:
	v_cvt_f16_i16_e32 v4, v2
	global_store_b16 v[0:1], v4, off
.LBB360_738:
	s_mov_b32 s21, 0
.LBB360_739:
	s_delay_alu instid0(SALU_CYCLE_1)
	s_and_not1_b32 vcc_lo, exec_lo, s21
	s_cbranch_vccnz .LBB360_755
; %bb.740:
	v_cmp_gt_i16_e32 vcc_lo, 2, v3
	s_mov_b32 s21, -1
	s_cbranch_vccnz .LBB360_750
; %bb.741:
	v_cmp_gt_i16_e32 vcc_lo, 3, v3
	s_cbranch_vccnz .LBB360_747
; %bb.742:
	v_cmp_lt_i16_e32 vcc_lo, 3, v3
	s_cbranch_vccz .LBB360_744
; %bb.743:
	v_bfe_i32 v4, v2, 0, 16
	s_mov_b32 s21, 0
	s_delay_alu instid0(VALU_DEP_1)
	v_ashrrev_i32_e32 v5, 31, v4
	global_store_b64 v[0:1], v[4:5], off
.LBB360_744:
	s_and_not1_b32 vcc_lo, exec_lo, s21
	s_cbranch_vccnz .LBB360_746
; %bb.745:
	v_bfe_i32 v4, v2, 0, 16
	global_store_b32 v[0:1], v4, off
.LBB360_746:
	s_mov_b32 s21, 0
.LBB360_747:
	s_delay_alu instid0(SALU_CYCLE_1)
	s_and_not1_b32 vcc_lo, exec_lo, s21
	s_cbranch_vccnz .LBB360_749
; %bb.748:
	global_store_b16 v[0:1], v2, off
.LBB360_749:
	s_mov_b32 s21, 0
.LBB360_750:
	s_delay_alu instid0(SALU_CYCLE_1)
	s_and_not1_b32 vcc_lo, exec_lo, s21
	s_cbranch_vccnz .LBB360_755
; %bb.751:
	v_cmp_lt_i16_e32 vcc_lo, 0, v3
	s_mov_b32 s21, -1
	s_cbranch_vccz .LBB360_753
; %bb.752:
	s_mov_b32 s21, 0
	global_store_b8 v[0:1], v2, off
.LBB360_753:
	s_and_not1_b32 vcc_lo, exec_lo, s21
	s_cbranch_vccnz .LBB360_755
; %bb.754:
	global_store_b8 v[0:1], v2, off
.LBB360_755:
	s_mov_b32 s21, -1
.LBB360_756:
	s_delay_alu instid0(SALU_CYCLE_1)
	s_and_not1_b32 vcc_lo, exec_lo, s21
	s_cbranch_vccnz .LBB360_758
; %bb.757:
	v_add_nc_u32_e32 v9, 0x80, v9
	s_mov_b32 s22, -1
	s_branch .LBB360_760
.LBB360_758:
	s_mov_b32 s22, 0
.LBB360_759:
                                        ; implicit-def: $vgpr9
.LBB360_760:
	s_and_not1_b32 s21, s17, exec_lo
	s_and_b32 s0, s0, exec_lo
	s_and_not1_b32 s23, s16, exec_lo
	s_and_b32 s20, s20, exec_lo
	s_or_b32 s21, s21, s0
	s_or_b32 s20, s23, s20
	s_or_not1_b32 s0, s22, exec_lo
.LBB360_761:
	s_or_b32 exec_lo, exec_lo, s19
	s_mov_b32 s22, 0
	s_mov_b32 s23, 0
	;; [unrolled: 1-line block ×3, first 2 shown]
                                        ; implicit-def: $vgpr4
                                        ; implicit-def: $vgpr0_vgpr1
                                        ; implicit-def: $vgpr2
	s_and_saveexec_b32 s19, s0
	s_cbranch_execz .LBB360_842
; %bb.762:
	v_cmp_gt_i32_e32 vcc_lo, s13, v9
	s_mov_b32 s0, 0
	s_mov_b32 s22, s20
                                        ; implicit-def: $vgpr4
                                        ; implicit-def: $vgpr0_vgpr1
                                        ; implicit-def: $vgpr2
	s_and_saveexec_b32 s13, vcc_lo
	s_cbranch_execz .LBB360_841
; %bb.763:
	v_mul_lo_u32 v0, v9, s3
	v_and_b32_e64 v4, 0xff, s10
	s_delay_alu instid0(VALU_DEP_1) | instskip(NEXT) | instid1(VALU_DEP_3)
	v_cmp_gt_i16_e32 vcc_lo, 11, v4
	v_ashrrev_i32_e32 v1, 31, v0
	v_add_co_u32 v0, s0, s6, v0
	s_delay_alu instid0(VALU_DEP_1)
	v_add_co_ci_u32_e64 v1, s0, s7, v1, s0
	s_cbranch_vccnz .LBB360_770
; %bb.764:
	v_cmp_lt_i16_e32 vcc_lo, 25, v4
	s_mov_b32 s22, 0
	s_cbranch_vccz .LBB360_771
; %bb.765:
	v_cmp_lt_i16_e32 vcc_lo, 28, v4
	s_cbranch_vccz .LBB360_772
; %bb.766:
	v_cmp_lt_i16_e32 vcc_lo, 43, v4
	;; [unrolled: 3-line block ×3, first 2 shown]
	s_cbranch_vccz .LBB360_776
; %bb.768:
	v_cmp_eq_u16_e32 vcc_lo, 46, v4
	s_cbranch_vccz .LBB360_779
; %bb.769:
	global_load_b32 v2, v[0:1], off
	s_mov_b32 s0, 0
	s_mov_b32 s23, -1
	s_waitcnt vmcnt(0)
	v_lshlrev_b32_e32 v2, 16, v2
	s_delay_alu instid0(VALU_DEP_1)
	v_cvt_i32_f32_e32 v2, v2
	s_branch .LBB360_781
.LBB360_770:
	s_mov_b32 s25, -1
	s_mov_b32 s22, 0
	s_mov_b32 s0, s20
                                        ; implicit-def: $vgpr2
	s_branch .LBB360_840
.LBB360_771:
	s_mov_b32 s24, -1
	s_mov_b32 s0, s20
                                        ; implicit-def: $vgpr2
	s_branch .LBB360_808
.LBB360_772:
	s_mov_b32 s24, -1
	s_mov_b32 s0, s20
                                        ; implicit-def: $vgpr2
	s_branch .LBB360_791
.LBB360_773:
	s_mov_b32 s24, -1
	s_mov_b32 s0, s20
                                        ; implicit-def: $vgpr2
	s_branch .LBB360_786
.LBB360_774:
	s_or_saveexec_b32 s23, s23
                                        ; implicit-def: $sgpr24
	s_delay_alu instid0(SALU_CYCLE_1)
	s_xor_b32 exec_lo, exec_lo, s23
	s_cbranch_execz .LBB360_669
.LBB360_775:
	v_add_f32_e64 v5, 0x46000000, |v4|
	s_and_not1_b32 s22, s22, exec_lo
	s_mov_b32 s24, 0
	s_delay_alu instid0(VALU_DEP_1) | instskip(NEXT) | instid1(VALU_DEP_1)
	v_and_b32_e32 v5, 0xff, v5
	v_cmp_ne_u32_e32 vcc_lo, 0, v5
	s_and_b32 s25, vcc_lo, exec_lo
	s_delay_alu instid0(SALU_CYCLE_1)
	s_or_b32 s22, s22, s25
	s_or_b32 exec_lo, exec_lo, s23
	v_mov_b32_e32 v6, s24
	s_and_saveexec_b32 s23, s22
	s_cbranch_execnz .LBB360_670
	s_branch .LBB360_671
.LBB360_776:
	s_mov_b32 s24, -1
	s_mov_b32 s0, s20
	s_branch .LBB360_780
.LBB360_777:
	s_or_saveexec_b32 s23, s23
                                        ; implicit-def: $sgpr24
	s_delay_alu instid0(SALU_CYCLE_1)
	s_xor_b32 exec_lo, exec_lo, s23
	s_cbranch_execz .LBB360_682
.LBB360_778:
	v_add_f32_e64 v5, 0x42800000, |v4|
	s_and_not1_b32 s22, s22, exec_lo
	s_mov_b32 s24, 0
	s_delay_alu instid0(VALU_DEP_1) | instskip(NEXT) | instid1(VALU_DEP_1)
	v_and_b32_e32 v5, 0xff, v5
	v_cmp_ne_u32_e32 vcc_lo, 0, v5
	s_and_b32 s25, vcc_lo, exec_lo
	s_delay_alu instid0(SALU_CYCLE_1)
	s_or_b32 s22, s22, s25
	s_or_b32 exec_lo, exec_lo, s23
	v_mov_b32_e32 v6, s24
	s_and_saveexec_b32 s23, s22
	s_cbranch_execnz .LBB360_683
	s_branch .LBB360_684
.LBB360_779:
	s_mov_b32 s0, -1
.LBB360_780:
                                        ; implicit-def: $vgpr2
.LBB360_781:
	s_and_b32 vcc_lo, exec_lo, s24
	s_cbranch_vccz .LBB360_785
; %bb.782:
	v_cmp_eq_u16_e32 vcc_lo, 44, v4
	s_cbranch_vccz .LBB360_784
; %bb.783:
	global_load_u8 v2, v[0:1], off
	s_mov_b32 s0, 0
	s_mov_b32 s23, -1
	s_waitcnt vmcnt(0)
	v_lshlrev_b32_e32 v3, 23, v2
	v_cmp_ne_u32_e32 vcc_lo, 0, v2
	s_delay_alu instid0(VALU_DEP_2) | instskip(NEXT) | instid1(VALU_DEP_1)
	v_cvt_i32_f32_e32 v3, v3
	v_cndmask_b32_e32 v2, 0, v3, vcc_lo
	s_branch .LBB360_785
.LBB360_784:
	s_mov_b32 s0, -1
                                        ; implicit-def: $vgpr2
.LBB360_785:
	s_mov_b32 s24, 0
.LBB360_786:
	s_delay_alu instid0(SALU_CYCLE_1)
	s_and_b32 vcc_lo, exec_lo, s24
	s_cbranch_vccz .LBB360_790
; %bb.787:
	v_cmp_eq_u16_e32 vcc_lo, 29, v4
	s_cbranch_vccz .LBB360_789
; %bb.788:
	global_load_b64 v[2:3], v[0:1], off
	s_mov_b32 s0, 0
	s_mov_b32 s23, -1
	s_branch .LBB360_790
.LBB360_789:
	s_mov_b32 s0, -1
                                        ; implicit-def: $vgpr2
.LBB360_790:
	s_mov_b32 s24, 0
.LBB360_791:
	s_delay_alu instid0(SALU_CYCLE_1)
	s_and_b32 vcc_lo, exec_lo, s24
	s_cbranch_vccz .LBB360_807
; %bb.792:
	v_cmp_gt_i16_e32 vcc_lo, 27, v4
	s_cbranch_vccnz .LBB360_795
; %bb.793:
	v_cmp_lt_i16_e32 vcc_lo, 27, v4
	s_cbranch_vccz .LBB360_796
; %bb.794:
	global_load_b32 v2, v[0:1], off
	s_mov_b32 s23, 0
	s_branch .LBB360_797
.LBB360_795:
	s_mov_b32 s23, -1
                                        ; implicit-def: $vgpr2
	s_branch .LBB360_800
.LBB360_796:
	s_mov_b32 s23, -1
                                        ; implicit-def: $vgpr2
.LBB360_797:
	s_delay_alu instid0(SALU_CYCLE_1)
	s_and_not1_b32 vcc_lo, exec_lo, s23
	s_cbranch_vccnz .LBB360_799
; %bb.798:
	global_load_u16 v2, v[0:1], off
.LBB360_799:
	s_mov_b32 s23, 0
.LBB360_800:
	s_delay_alu instid0(SALU_CYCLE_1)
	s_and_not1_b32 vcc_lo, exec_lo, s23
	s_cbranch_vccnz .LBB360_806
; %bb.801:
	global_load_u8 v3, v[0:1], off
	s_mov_b32 s23, 0
	s_mov_b32 s24, exec_lo
                                        ; implicit-def: $sgpr25
	s_waitcnt vmcnt(0)
	v_cmpx_lt_i16_e32 0x7f, v3
	s_xor_b32 s24, exec_lo, s24
	s_cbranch_execz .LBB360_818
; %bb.802:
	v_cmp_ne_u16_e32 vcc_lo, 0x80, v3
	s_mov_b32 s25, 0
	s_and_b32 s23, vcc_lo, exec_lo
	s_or_saveexec_b32 s24, s24
	v_mov_b32_e32 v2, s25
	s_xor_b32 exec_lo, exec_lo, s24
	s_cbranch_execnz .LBB360_819
.LBB360_803:
	s_or_b32 exec_lo, exec_lo, s24
	s_and_saveexec_b32 s24, s23
	s_cbranch_execz .LBB360_805
.LBB360_804:
	v_and_b32_e32 v2, 0xffff, v3
	v_lshlrev_b32_e32 v3, 24, v3
	s_delay_alu instid0(VALU_DEP_2) | instskip(NEXT) | instid1(VALU_DEP_2)
	v_and_b32_e32 v5, 7, v2
	v_and_b32_e32 v3, 0x80000000, v3
	s_delay_alu instid0(VALU_DEP_2) | instskip(NEXT) | instid1(VALU_DEP_1)
	v_clz_i32_u32_e32 v6, v5
	v_min_u32_e32 v6, 32, v6
	s_delay_alu instid0(VALU_DEP_1) | instskip(SKIP_1) | instid1(VALU_DEP_2)
	v_subrev_nc_u32_e32 v7, 28, v6
	v_sub_nc_u32_e32 v6, 29, v6
	v_lshlrev_b32_e32 v7, v7, v2
	v_bfe_u32 v2, v2, 3, 4
	s_delay_alu instid0(VALU_DEP_1) | instskip(NEXT) | instid1(VALU_DEP_3)
	v_cmp_eq_u32_e32 vcc_lo, 0, v2
	v_dual_cndmask_b32 v2, v2, v6 :: v_dual_and_b32 v7, 7, v7
	s_delay_alu instid0(VALU_DEP_1) | instskip(NEXT) | instid1(VALU_DEP_2)
	v_cndmask_b32_e32 v5, v5, v7, vcc_lo
	v_lshl_add_u32 v2, v2, 23, 0x3b800000
	s_delay_alu instid0(VALU_DEP_2) | instskip(NEXT) | instid1(VALU_DEP_1)
	v_lshlrev_b32_e32 v5, 20, v5
	v_or3_b32 v2, v3, v2, v5
	s_delay_alu instid0(VALU_DEP_1)
	v_cvt_i32_f32_e32 v2, v2
.LBB360_805:
	s_or_b32 exec_lo, exec_lo, s24
.LBB360_806:
	s_mov_b32 s23, -1
.LBB360_807:
	s_mov_b32 s24, 0
.LBB360_808:
	s_delay_alu instid0(SALU_CYCLE_1)
	s_and_b32 vcc_lo, exec_lo, s24
	s_cbranch_vccz .LBB360_839
; %bb.809:
	v_cmp_lt_i16_e32 vcc_lo, 22, v4
	s_cbranch_vccz .LBB360_817
; %bb.810:
	v_cmp_gt_i16_e32 vcc_lo, 24, v4
	s_cbranch_vccnz .LBB360_820
; %bb.811:
	v_cmp_lt_i16_e32 vcc_lo, 24, v4
	s_cbranch_vccz .LBB360_821
; %bb.812:
	global_load_u8 v3, v[0:1], off
	s_mov_b32 s23, exec_lo
                                        ; implicit-def: $sgpr24
	s_waitcnt vmcnt(0)
	v_cmpx_lt_i16_e32 0x7f, v3
	s_xor_b32 s23, exec_lo, s23
	s_cbranch_execz .LBB360_833
; %bb.813:
	v_cmp_ne_u16_e32 vcc_lo, 0x80, v3
	s_mov_b32 s24, 0
	s_and_b32 s22, vcc_lo, exec_lo
	s_or_saveexec_b32 s23, s23
	v_mov_b32_e32 v2, s24
	s_xor_b32 exec_lo, exec_lo, s23
	s_cbranch_execnz .LBB360_834
.LBB360_814:
	s_or_b32 exec_lo, exec_lo, s23
	s_and_saveexec_b32 s23, s22
	s_cbranch_execz .LBB360_816
.LBB360_815:
	v_and_b32_e32 v2, 0xffff, v3
	v_lshlrev_b32_e32 v3, 24, v3
	s_delay_alu instid0(VALU_DEP_2) | instskip(NEXT) | instid1(VALU_DEP_2)
	v_and_b32_e32 v5, 3, v2
	v_and_b32_e32 v3, 0x80000000, v3
	s_delay_alu instid0(VALU_DEP_2) | instskip(NEXT) | instid1(VALU_DEP_1)
	v_clz_i32_u32_e32 v6, v5
	v_min_u32_e32 v6, 32, v6
	s_delay_alu instid0(VALU_DEP_1) | instskip(SKIP_1) | instid1(VALU_DEP_2)
	v_subrev_nc_u32_e32 v7, 29, v6
	v_sub_nc_u32_e32 v6, 30, v6
	v_lshlrev_b32_e32 v7, v7, v2
	v_bfe_u32 v2, v2, 2, 5
	s_delay_alu instid0(VALU_DEP_1) | instskip(NEXT) | instid1(VALU_DEP_3)
	v_cmp_eq_u32_e32 vcc_lo, 0, v2
	v_dual_cndmask_b32 v2, v2, v6 :: v_dual_and_b32 v7, 3, v7
	s_delay_alu instid0(VALU_DEP_1) | instskip(NEXT) | instid1(VALU_DEP_2)
	v_cndmask_b32_e32 v5, v5, v7, vcc_lo
	v_lshl_add_u32 v2, v2, 23, 0x37800000
	s_delay_alu instid0(VALU_DEP_2) | instskip(NEXT) | instid1(VALU_DEP_1)
	v_lshlrev_b32_e32 v5, 21, v5
	v_or3_b32 v2, v3, v2, v5
	s_delay_alu instid0(VALU_DEP_1)
	v_cvt_i32_f32_e32 v2, v2
.LBB360_816:
	s_or_b32 exec_lo, exec_lo, s23
	s_mov_b32 s22, 0
	s_branch .LBB360_822
.LBB360_817:
	s_mov_b32 s22, -1
                                        ; implicit-def: $vgpr2
	s_branch .LBB360_828
.LBB360_818:
	s_or_saveexec_b32 s24, s24
	v_mov_b32_e32 v2, s25
	s_xor_b32 exec_lo, exec_lo, s24
	s_cbranch_execz .LBB360_803
.LBB360_819:
	v_cmp_ne_u16_e32 vcc_lo, 0, v3
	v_mov_b32_e32 v2, 0
	s_and_not1_b32 s23, s23, exec_lo
	s_and_b32 s25, vcc_lo, exec_lo
	s_delay_alu instid0(SALU_CYCLE_1)
	s_or_b32 s23, s23, s25
	s_or_b32 exec_lo, exec_lo, s24
	s_and_saveexec_b32 s24, s23
	s_cbranch_execnz .LBB360_804
	s_branch .LBB360_805
.LBB360_820:
	s_mov_b32 s22, -1
                                        ; implicit-def: $vgpr2
	s_branch .LBB360_825
.LBB360_821:
	s_mov_b32 s22, -1
                                        ; implicit-def: $vgpr2
.LBB360_822:
	s_delay_alu instid0(SALU_CYCLE_1)
	s_and_b32 vcc_lo, exec_lo, s22
	s_cbranch_vccz .LBB360_824
; %bb.823:
	global_load_u8 v2, v[0:1], off
	s_waitcnt vmcnt(0)
	v_lshlrev_b32_e32 v2, 24, v2
	s_delay_alu instid0(VALU_DEP_1) | instskip(NEXT) | instid1(VALU_DEP_1)
	v_and_b32_e32 v3, 0x7f000000, v2
	v_clz_i32_u32_e32 v5, v3
	v_add_nc_u32_e32 v7, 0x1000000, v3
	v_cmp_ne_u32_e32 vcc_lo, 0, v3
	s_delay_alu instid0(VALU_DEP_3) | instskip(NEXT) | instid1(VALU_DEP_1)
	v_min_u32_e32 v5, 32, v5
	v_sub_nc_u32_e64 v5, v5, 4 clamp
	s_delay_alu instid0(VALU_DEP_1) | instskip(SKIP_1) | instid1(VALU_DEP_2)
	v_lshlrev_b32_e32 v6, v5, v3
	v_lshlrev_b32_e32 v5, 23, v5
	v_lshrrev_b32_e32 v6, 4, v6
	s_delay_alu instid0(VALU_DEP_1) | instskip(SKIP_1) | instid1(VALU_DEP_2)
	v_sub_nc_u32_e32 v5, v6, v5
	v_ashrrev_i32_e32 v6, 8, v7
	v_add_nc_u32_e32 v5, 0x3c000000, v5
	s_delay_alu instid0(VALU_DEP_1) | instskip(NEXT) | instid1(VALU_DEP_1)
	v_and_or_b32 v5, 0x7f800000, v6, v5
	v_cndmask_b32_e32 v3, 0, v5, vcc_lo
	s_delay_alu instid0(VALU_DEP_1) | instskip(NEXT) | instid1(VALU_DEP_1)
	v_and_or_b32 v2, 0x80000000, v2, v3
	v_cvt_i32_f32_e32 v2, v2
.LBB360_824:
	s_mov_b32 s22, 0
.LBB360_825:
	s_delay_alu instid0(SALU_CYCLE_1)
	s_and_not1_b32 vcc_lo, exec_lo, s22
	s_cbranch_vccnz .LBB360_827
; %bb.826:
	global_load_u8 v2, v[0:1], off
	s_waitcnt vmcnt(0)
	v_lshlrev_b32_e32 v3, 25, v2
	v_lshlrev_b16 v2, 8, v2
	s_delay_alu instid0(VALU_DEP_2) | instskip(NEXT) | instid1(VALU_DEP_2)
	v_lshrrev_b32_e32 v5, 4, v3
	v_and_or_b32 v6, 0x7f00, v2, 0.5
	v_cmp_gt_u32_e32 vcc_lo, 0x8000000, v3
	v_bfe_i32 v2, v2, 0, 16
	s_delay_alu instid0(VALU_DEP_4) | instskip(NEXT) | instid1(VALU_DEP_1)
	v_or_b32_e32 v5, 0x70000000, v5
	v_dual_add_f32 v6, -0.5, v6 :: v_dual_mul_f32 v5, 0x7800000, v5
	s_delay_alu instid0(VALU_DEP_1) | instskip(NEXT) | instid1(VALU_DEP_1)
	v_cndmask_b32_e32 v3, v5, v6, vcc_lo
	v_and_or_b32 v2, 0x80000000, v2, v3
	s_delay_alu instid0(VALU_DEP_1)
	v_cvt_i32_f32_e32 v2, v2
.LBB360_827:
	s_mov_b32 s22, 0
	s_mov_b32 s23, -1
.LBB360_828:
	s_and_not1_b32 vcc_lo, exec_lo, s22
	s_mov_b32 s22, 0
	s_cbranch_vccnz .LBB360_839
; %bb.829:
	v_cmp_lt_i16_e32 vcc_lo, 14, v4
	s_cbranch_vccz .LBB360_832
; %bb.830:
	v_cmp_eq_u16_e32 vcc_lo, 15, v4
	s_cbranch_vccz .LBB360_835
; %bb.831:
	global_load_u16 v2, v[0:1], off
	s_mov_b32 s0, 0
	s_mov_b32 s23, -1
	s_waitcnt vmcnt(0)
	v_lshlrev_b32_e32 v2, 16, v2
	s_delay_alu instid0(VALU_DEP_1)
	v_cvt_i32_f32_e32 v2, v2
	s_branch .LBB360_837
.LBB360_832:
	s_mov_b32 s22, -1
	s_branch .LBB360_836
.LBB360_833:
	s_or_saveexec_b32 s23, s23
	v_mov_b32_e32 v2, s24
	s_xor_b32 exec_lo, exec_lo, s23
	s_cbranch_execz .LBB360_814
.LBB360_834:
	v_cmp_ne_u16_e32 vcc_lo, 0, v3
	v_mov_b32_e32 v2, 0
	s_and_not1_b32 s22, s22, exec_lo
	s_and_b32 s24, vcc_lo, exec_lo
	s_delay_alu instid0(SALU_CYCLE_1)
	s_or_b32 s22, s22, s24
	s_or_b32 exec_lo, exec_lo, s23
	s_and_saveexec_b32 s23, s22
	s_cbranch_execnz .LBB360_815
	s_branch .LBB360_816
.LBB360_835:
	s_mov_b32 s0, -1
.LBB360_836:
                                        ; implicit-def: $vgpr2
.LBB360_837:
	s_and_b32 vcc_lo, exec_lo, s22
	s_mov_b32 s22, 0
	s_cbranch_vccz .LBB360_839
; %bb.838:
	v_cmp_ne_u16_e32 vcc_lo, 11, v4
	s_and_not1_b32 s0, s0, exec_lo
	s_mov_b32 s22, -1
                                        ; implicit-def: $vgpr2
	s_and_b32 s24, vcc_lo, exec_lo
	s_delay_alu instid0(SALU_CYCLE_1)
	s_or_b32 s0, s0, s24
.LBB360_839:
	s_mov_b32 s25, 0
.LBB360_840:
	s_and_b32 s24, s23, exec_lo
	s_and_b32 s23, s25, exec_lo
	s_and_not1_b32 s25, s20, exec_lo
	s_and_b32 s26, s0, exec_lo
	s_and_b32 s0, s22, exec_lo
	s_or_b32 s22, s25, s26
.LBB360_841:
	s_or_b32 exec_lo, exec_lo, s13
	s_delay_alu instid0(SALU_CYCLE_1)
	s_and_not1_b32 s13, s20, exec_lo
	s_and_b32 s20, s22, exec_lo
	s_and_b32 s24, s24, exec_lo
	;; [unrolled: 1-line block ×4, first 2 shown]
	s_or_b32 s20, s13, s20
.LBB360_842:
	s_or_b32 exec_lo, exec_lo, s19
	s_delay_alu instid0(SALU_CYCLE_1)
	s_and_not1_b32 s0, s17, exec_lo
	s_and_b32 s13, s21, exec_lo
	s_and_b32 s21, s23, exec_lo
	s_or_b32 s17, s0, s13
	s_and_not1_b32 s13, s16, exec_lo
	s_and_b32 s16, s20, exec_lo
	s_and_b32 s0, s24, exec_lo
	;; [unrolled: 1-line block ×3, first 2 shown]
	s_or_b32 s16, s13, s16
.LBB360_843:
	s_or_b32 exec_lo, exec_lo, s18
	s_delay_alu instid0(SALU_CYCLE_1)
	s_and_not1_b32 s12, s12, exec_lo
	s_and_b32 s13, s17, exec_lo
	s_and_b32 s0, s0, exec_lo
	s_or_b32 s12, s12, s13
	s_and_not1_b32 s13, s14, exec_lo
	s_and_b32 s14, s16, exec_lo
	s_and_b32 s17, s21, exec_lo
	;; [unrolled: 1-line block ×3, first 2 shown]
	s_or_b32 s14, s13, s14
.LBB360_844:
	s_or_b32 exec_lo, exec_lo, s15
	s_mov_b32 s13, 0
	s_and_saveexec_b32 s15, s14
	s_cbranch_execnz .LBB360_856
; %bb.845:
	s_or_b32 exec_lo, exec_lo, s15
	s_and_saveexec_b32 s14, s16
	s_delay_alu instid0(SALU_CYCLE_1)
	s_xor_b32 s14, exec_lo, s14
	s_cbranch_execz .LBB360_847
.LBB360_846:
	global_load_u8 v2, v[0:1], off
	s_or_b32 s0, s0, exec_lo
	s_waitcnt vmcnt(0)
	v_cmp_ne_u16_e32 vcc_lo, 0, v2
	v_cndmask_b32_e64 v2, 0, 1, vcc_lo
.LBB360_847:
	s_or_b32 exec_lo, exec_lo, s14
	s_and_saveexec_b32 s14, s17
	s_cbranch_execz .LBB360_895
; %bb.848:
	v_cmp_gt_i16_e32 vcc_lo, 5, v4
	s_cbranch_vccnz .LBB360_853
; %bb.849:
	v_cmp_gt_i16_e32 vcc_lo, 8, v4
	s_cbranch_vccnz .LBB360_854
	;; [unrolled: 3-line block ×3, first 2 shown]
; %bb.851:
	v_cmp_lt_i16_e32 vcc_lo, 9, v4
	s_cbranch_vccz .LBB360_858
; %bb.852:
	global_load_b64 v[2:3], v[0:1], off
	s_mov_b32 s15, 0
	s_waitcnt vmcnt(0)
	v_cvt_i32_f64_e32 v2, v[2:3]
	s_branch .LBB360_859
.LBB360_853:
                                        ; implicit-def: $vgpr2
	s_branch .LBB360_876
.LBB360_854:
                                        ; implicit-def: $vgpr2
	s_branch .LBB360_865
.LBB360_855:
	s_mov_b32 s15, -1
                                        ; implicit-def: $vgpr2
	s_branch .LBB360_862
.LBB360_856:
	s_cbranch_execnz .LBB360_904
; %bb.857:
	s_mov_b32 s13, exec_lo
	s_and_not1_b32 s16, s16, exec_lo
                                        ; implicit-def: $vgpr2
	s_or_b32 exec_lo, exec_lo, s15
	s_and_saveexec_b32 s14, s16
	s_delay_alu instid0(SALU_CYCLE_1)
	s_xor_b32 s14, exec_lo, s14
	s_cbranch_execnz .LBB360_846
	s_branch .LBB360_847
.LBB360_858:
	s_mov_b32 s15, -1
                                        ; implicit-def: $vgpr2
.LBB360_859:
	s_delay_alu instid0(SALU_CYCLE_1)
	s_and_not1_b32 vcc_lo, exec_lo, s15
	s_cbranch_vccnz .LBB360_861
; %bb.860:
	global_load_b32 v2, v[0:1], off
	s_waitcnt vmcnt(0)
	v_cvt_i32_f32_e32 v2, v2
.LBB360_861:
	s_mov_b32 s15, 0
.LBB360_862:
	s_delay_alu instid0(SALU_CYCLE_1)
	s_and_not1_b32 vcc_lo, exec_lo, s15
	s_cbranch_vccnz .LBB360_864
; %bb.863:
	global_load_b32 v2, v[0:1], off
	s_waitcnt vmcnt(0)
	v_cvt_i16_f16_e32 v2, v2
.LBB360_864:
	s_cbranch_execnz .LBB360_875
.LBB360_865:
	v_cmp_gt_i16_e32 vcc_lo, 6, v4
	s_cbranch_vccnz .LBB360_868
; %bb.866:
	v_cmp_lt_i16_e32 vcc_lo, 6, v4
	s_cbranch_vccz .LBB360_869
; %bb.867:
	global_load_b64 v[2:3], v[0:1], off
	s_mov_b32 s15, 0
	s_waitcnt vmcnt(0)
	v_cvt_i32_f64_e32 v2, v[2:3]
	s_branch .LBB360_870
.LBB360_868:
	s_mov_b32 s15, -1
                                        ; implicit-def: $vgpr2
	s_branch .LBB360_873
.LBB360_869:
	s_mov_b32 s15, -1
                                        ; implicit-def: $vgpr2
.LBB360_870:
	s_delay_alu instid0(SALU_CYCLE_1)
	s_and_not1_b32 vcc_lo, exec_lo, s15
	s_cbranch_vccnz .LBB360_872
; %bb.871:
	global_load_b32 v2, v[0:1], off
	s_waitcnt vmcnt(0)
	v_cvt_i32_f32_e32 v2, v2
.LBB360_872:
	s_mov_b32 s15, 0
.LBB360_873:
	s_delay_alu instid0(SALU_CYCLE_1)
	s_and_not1_b32 vcc_lo, exec_lo, s15
	s_cbranch_vccnz .LBB360_875
; %bb.874:
	global_load_u16 v2, v[0:1], off
	s_waitcnt vmcnt(0)
	v_cvt_i16_f16_e32 v2, v2
.LBB360_875:
	s_cbranch_execnz .LBB360_894
.LBB360_876:
	v_cmp_gt_i16_e32 vcc_lo, 2, v4
	s_cbranch_vccnz .LBB360_880
; %bb.877:
	v_cmp_gt_i16_e32 vcc_lo, 3, v4
	s_cbranch_vccnz .LBB360_881
; %bb.878:
	v_cmp_lt_i16_e32 vcc_lo, 3, v4
	s_cbranch_vccz .LBB360_882
; %bb.879:
	global_load_b64 v[2:3], v[0:1], off
	s_mov_b32 s15, 0
	s_branch .LBB360_883
.LBB360_880:
                                        ; implicit-def: $vgpr2
	s_branch .LBB360_889
.LBB360_881:
	s_mov_b32 s15, -1
                                        ; implicit-def: $vgpr2
	s_branch .LBB360_886
.LBB360_882:
	s_mov_b32 s15, -1
                                        ; implicit-def: $vgpr2
.LBB360_883:
	s_delay_alu instid0(SALU_CYCLE_1)
	s_and_not1_b32 vcc_lo, exec_lo, s15
	s_cbranch_vccnz .LBB360_885
; %bb.884:
	global_load_b32 v2, v[0:1], off
.LBB360_885:
	s_mov_b32 s15, 0
.LBB360_886:
	s_delay_alu instid0(SALU_CYCLE_1)
	s_and_not1_b32 vcc_lo, exec_lo, s15
	s_cbranch_vccnz .LBB360_888
; %bb.887:
	global_load_u16 v2, v[0:1], off
.LBB360_888:
	s_cbranch_execnz .LBB360_894
.LBB360_889:
	v_cmp_lt_i16_e32 vcc_lo, 0, v4
	s_mov_b32 s15, 0
	s_cbranch_vccz .LBB360_891
; %bb.890:
	global_load_u8 v2, v[0:1], off
	s_branch .LBB360_892
.LBB360_891:
	s_mov_b32 s15, -1
                                        ; implicit-def: $vgpr2
.LBB360_892:
	s_delay_alu instid0(SALU_CYCLE_1)
	s_and_not1_b32 vcc_lo, exec_lo, s15
	s_cbranch_vccnz .LBB360_894
; %bb.893:
	global_load_u8 v2, v[0:1], off
.LBB360_894:
	s_or_b32 s0, s0, exec_lo
.LBB360_895:
	s_or_b32 exec_lo, exec_lo, s14
	s_mov_b32 s16, 0
	s_mov_b32 s15, 0
                                        ; implicit-def: $vgpr4
                                        ; implicit-def: $vgpr0_vgpr1
                                        ; implicit-def: $vgpr3
	s_and_saveexec_b32 s14, s0
	s_cbranch_execz .LBB360_975
; %bb.896:
	v_mul_lo_u32 v0, v9, s2
	s_waitcnt vmcnt(0)
	s_delay_alu instid0(VALU_DEP_2)
	v_bfe_i32 v1, v2, 0, 8
	v_and_b32_e64 v4, 0xff, s1
	s_bfe_i32 s0, s8, 0x80000
	s_delay_alu instid0(VALU_DEP_2) | instid1(SALU_CYCLE_1)
	v_max_i16 v3, v1, s0
	s_delay_alu instid0(VALU_DEP_2) | instskip(SKIP_2) | instid1(VALU_DEP_1)
	v_cmp_gt_i16_e32 vcc_lo, 11, v4
	v_ashrrev_i32_e32 v1, 31, v0
	v_add_co_u32 v0, s0, s4, v0
	v_add_co_ci_u32_e64 v1, s0, s5, v1, s0
	s_cbranch_vccnz .LBB360_903
; %bb.897:
	v_cmp_lt_i16_e32 vcc_lo, 25, v4
	s_mov_b32 s15, -1
	s_mov_b32 s0, s12
	s_cbranch_vccz .LBB360_933
; %bb.898:
	v_cmp_lt_i16_e32 vcc_lo, 28, v4
	s_mov_b32 s0, s12
	s_cbranch_vccz .LBB360_917
; %bb.899:
	v_cmp_lt_i16_e32 vcc_lo, 43, v4
	;; [unrolled: 4-line block ×3, first 2 shown]
	s_mov_b32 s0, s12
	s_cbranch_vccz .LBB360_907
; %bb.901:
	v_cmp_eq_u16_e32 vcc_lo, 46, v4
	s_mov_b32 s0, -1
	s_cbranch_vccz .LBB360_906
; %bb.902:
	v_bfe_i32 v2, v3, 0, 16
	s_mov_b32 s0, 0
	s_mov_b32 s15, 0
	s_delay_alu instid0(VALU_DEP_1) | instskip(NEXT) | instid1(VALU_DEP_1)
	v_cvt_f32_i32_e32 v2, v2
	v_bfe_u32 v5, v2, 16, 1
	s_delay_alu instid0(VALU_DEP_1) | instskip(NEXT) | instid1(VALU_DEP_1)
	v_add3_u32 v2, v2, v5, 0x7fff
	v_lshrrev_b32_e32 v2, 16, v2
	global_store_b32 v[0:1], v2, off
	s_branch .LBB360_907
.LBB360_903:
	s_mov_b32 s15, -1
	s_mov_b32 s0, s12
	s_branch .LBB360_974
.LBB360_904:
	s_trap 2
	s_sendmsg_rtn_b32 s0, sendmsg(MSG_RTN_GET_DOORBELL)
	s_mov_b32 ttmp2, m0
	s_waitcnt lgkmcnt(0)
	s_and_b32 s0, s0, 0x3ff
	s_delay_alu instid0(SALU_CYCLE_1) | instskip(NEXT) | instid1(SALU_CYCLE_1)
	s_bitset1_b32 s0, 10
	s_mov_b32 m0, s0
	s_sendmsg sendmsg(MSG_INTERRUPT)
	s_mov_b32 m0, ttmp2
.LBB360_905:                            ; =>This Inner Loop Header: Depth=1
	s_sethalt 5
	s_branch .LBB360_905
.LBB360_906:
	s_mov_b32 s15, 0
.LBB360_907:
	s_delay_alu instid0(SALU_CYCLE_1)
	s_and_b32 vcc_lo, exec_lo, s15
	s_cbranch_vccz .LBB360_912
; %bb.908:
	v_cmp_eq_u16_e32 vcc_lo, 44, v4
	s_mov_b32 s0, -1
	s_cbranch_vccz .LBB360_912
; %bb.909:
	v_bfe_i32 v2, v3, 0, 16
	v_mov_b32_e32 v5, 0xff
	s_mov_b32 s15, exec_lo
	s_delay_alu instid0(VALU_DEP_2) | instskip(NEXT) | instid1(VALU_DEP_1)
	v_cvt_f32_i32_e32 v2, v2
	v_bfe_u32 v6, v2, 23, 8
	s_delay_alu instid0(VALU_DEP_1)
	v_cmpx_ne_u32_e32 0xff, v6
; %bb.910:
	v_and_b32_e32 v5, 0x400000, v2
	v_and_or_b32 v6, 0x3fffff, v2, v6
	v_lshrrev_b32_e32 v2, 23, v2
	s_delay_alu instid0(VALU_DEP_3) | instskip(NEXT) | instid1(VALU_DEP_3)
	v_cmp_ne_u32_e32 vcc_lo, 0, v5
	v_cmp_ne_u32_e64 s0, 0, v6
	s_delay_alu instid0(VALU_DEP_1) | instskip(NEXT) | instid1(SALU_CYCLE_1)
	s_and_b32 s0, vcc_lo, s0
	v_cndmask_b32_e64 v5, 0, 1, s0
	s_delay_alu instid0(VALU_DEP_1)
	v_add_nc_u32_e32 v5, v2, v5
; %bb.911:
	s_or_b32 exec_lo, exec_lo, s15
	s_mov_b32 s0, 0
	global_store_b8 v[0:1], v5, off
.LBB360_912:
	s_mov_b32 s15, 0
.LBB360_913:
	s_delay_alu instid0(SALU_CYCLE_1)
	s_and_b32 vcc_lo, exec_lo, s15
	s_cbranch_vccz .LBB360_916
; %bb.914:
	v_cmp_eq_u16_e32 vcc_lo, 29, v4
	s_mov_b32 s0, -1
	s_cbranch_vccz .LBB360_916
; %bb.915:
	v_bfe_i32 v5, v3, 0, 16
	s_mov_b32 s0, 0
	s_mov_b32 s15, 0
	s_delay_alu instid0(VALU_DEP_1)
	v_ashrrev_i32_e32 v6, 31, v5
	global_store_b64 v[0:1], v[5:6], off
	s_branch .LBB360_917
.LBB360_916:
	s_mov_b32 s15, 0
.LBB360_917:
	s_delay_alu instid0(SALU_CYCLE_1)
	s_and_b32 vcc_lo, exec_lo, s15
	s_cbranch_vccz .LBB360_932
; %bb.918:
	v_cmp_gt_i16_e32 vcc_lo, 27, v4
	s_mov_b32 s15, -1
	s_cbranch_vccnz .LBB360_924
; %bb.919:
	v_cmp_lt_i16_e32 vcc_lo, 27, v4
	s_cbranch_vccz .LBB360_921
; %bb.920:
	v_bfe_i32 v2, v3, 0, 16
	s_mov_b32 s15, 0
	global_store_b32 v[0:1], v2, off
.LBB360_921:
	s_and_not1_b32 vcc_lo, exec_lo, s15
	s_cbranch_vccnz .LBB360_923
; %bb.922:
	global_store_b16 v[0:1], v3, off
.LBB360_923:
	s_mov_b32 s15, 0
.LBB360_924:
	s_delay_alu instid0(SALU_CYCLE_1)
	s_and_not1_b32 vcc_lo, exec_lo, s15
	s_cbranch_vccnz .LBB360_932
; %bb.925:
	v_bfe_i32 v2, v3, 0, 16
	v_mov_b32_e32 v6, 0x80
	s_mov_b32 s15, exec_lo
	s_delay_alu instid0(VALU_DEP_2) | instskip(NEXT) | instid1(VALU_DEP_1)
	v_cvt_f32_i32_e32 v2, v2
	v_and_b32_e32 v5, 0x7fffffff, v2
	s_delay_alu instid0(VALU_DEP_1)
	v_cmpx_gt_u32_e32 0x43800000, v5
	s_cbranch_execz .LBB360_931
; %bb.926:
	v_cmp_lt_u32_e32 vcc_lo, 0x3bffffff, v5
                                        ; implicit-def: $vgpr5
	s_and_saveexec_b32 s17, vcc_lo
	s_delay_alu instid0(SALU_CYCLE_1)
	s_xor_b32 s17, exec_lo, s17
	s_cbranch_execz .LBB360_1161
; %bb.927:
	v_bfe_u32 v5, v2, 20, 1
	s_mov_b32 s16, exec_lo
	s_delay_alu instid0(VALU_DEP_1) | instskip(NEXT) | instid1(VALU_DEP_1)
	v_add3_u32 v5, v2, v5, 0x487ffff
	v_lshrrev_b32_e32 v5, 20, v5
	s_or_saveexec_b32 s17, s17
                                        ; implicit-def: $sgpr18
	s_delay_alu instid0(SALU_CYCLE_1)
	s_xor_b32 exec_lo, exec_lo, s17
	s_cbranch_execnz .LBB360_1162
.LBB360_928:
	s_or_b32 exec_lo, exec_lo, s17
	v_mov_b32_e32 v6, s18
	s_and_saveexec_b32 s17, s16
.LBB360_929:
	v_lshrrev_b32_e32 v2, 24, v2
	s_delay_alu instid0(VALU_DEP_1)
	v_and_or_b32 v6, 0x80, v2, v5
.LBB360_930:
	s_or_b32 exec_lo, exec_lo, s17
.LBB360_931:
	s_delay_alu instid0(SALU_CYCLE_1)
	s_or_b32 exec_lo, exec_lo, s15
	global_store_b8 v[0:1], v6, off
.LBB360_932:
	s_mov_b32 s15, 0
.LBB360_933:
	s_delay_alu instid0(SALU_CYCLE_1)
	s_and_b32 vcc_lo, exec_lo, s15
	s_mov_b32 s15, 0
	s_cbranch_vccz .LBB360_973
; %bb.934:
	v_cmp_lt_i16_e32 vcc_lo, 22, v4
	s_mov_b32 s16, -1
	s_cbranch_vccz .LBB360_966
; %bb.935:
	v_cmp_gt_i16_e32 vcc_lo, 24, v4
	s_cbranch_vccnz .LBB360_955
; %bb.936:
	v_cmp_lt_i16_e32 vcc_lo, 24, v4
	s_cbranch_vccz .LBB360_944
; %bb.937:
	v_bfe_i32 v2, v3, 0, 16
	v_mov_b32_e32 v6, 0x80
	s_mov_b32 s16, exec_lo
	s_delay_alu instid0(VALU_DEP_2) | instskip(NEXT) | instid1(VALU_DEP_1)
	v_cvt_f32_i32_e32 v2, v2
	v_and_b32_e32 v5, 0x7fffffff, v2
	s_delay_alu instid0(VALU_DEP_1)
	v_cmpx_gt_u32_e32 0x47800000, v5
	s_cbranch_execz .LBB360_943
; %bb.938:
	v_cmp_lt_u32_e32 vcc_lo, 0x37ffffff, v5
	s_mov_b32 s17, 0
                                        ; implicit-def: $vgpr5
	s_and_saveexec_b32 s18, vcc_lo
	s_delay_alu instid0(SALU_CYCLE_1)
	s_xor_b32 s18, exec_lo, s18
	s_cbranch_execz .LBB360_1205
; %bb.939:
	v_bfe_u32 v5, v2, 21, 1
	s_mov_b32 s17, exec_lo
	s_delay_alu instid0(VALU_DEP_1) | instskip(NEXT) | instid1(VALU_DEP_1)
	v_add3_u32 v5, v2, v5, 0x88fffff
	v_lshrrev_b32_e32 v5, 21, v5
	s_or_saveexec_b32 s18, s18
                                        ; implicit-def: $sgpr19
	s_delay_alu instid0(SALU_CYCLE_1)
	s_xor_b32 exec_lo, exec_lo, s18
	s_cbranch_execnz .LBB360_1206
.LBB360_940:
	s_or_b32 exec_lo, exec_lo, s18
	v_mov_b32_e32 v6, s19
	s_and_saveexec_b32 s18, s17
.LBB360_941:
	v_lshrrev_b32_e32 v2, 24, v2
	s_delay_alu instid0(VALU_DEP_1)
	v_and_or_b32 v6, 0x80, v2, v5
.LBB360_942:
	s_or_b32 exec_lo, exec_lo, s18
.LBB360_943:
	s_delay_alu instid0(SALU_CYCLE_1)
	s_or_b32 exec_lo, exec_lo, s16
	s_mov_b32 s16, 0
	global_store_b8 v[0:1], v6, off
.LBB360_944:
	s_and_b32 vcc_lo, exec_lo, s16
	s_cbranch_vccz .LBB360_954
; %bb.945:
	v_bfe_i32 v2, v3, 0, 16
	s_mov_b32 s16, exec_lo
                                        ; implicit-def: $vgpr5
	s_delay_alu instid0(VALU_DEP_1) | instskip(NEXT) | instid1(VALU_DEP_1)
	v_cvt_f32_i32_e32 v2, v2
	v_and_b32_e32 v6, 0x7fffffff, v2
	s_delay_alu instid0(VALU_DEP_1)
	v_cmpx_gt_u32_e32 0x43f00000, v6
	s_xor_b32 s16, exec_lo, s16
	s_cbranch_execz .LBB360_951
; %bb.946:
	s_mov_b32 s17, exec_lo
                                        ; implicit-def: $vgpr5
	v_cmpx_lt_u32_e32 0x3c7fffff, v6
	s_xor_b32 s17, exec_lo, s17
; %bb.947:
	v_bfe_u32 v5, v2, 20, 1
	s_delay_alu instid0(VALU_DEP_1) | instskip(NEXT) | instid1(VALU_DEP_1)
	v_add3_u32 v5, v2, v5, 0x407ffff
	v_and_b32_e32 v6, 0xff00000, v5
	v_lshrrev_b32_e32 v5, 20, v5
	s_delay_alu instid0(VALU_DEP_2) | instskip(NEXT) | instid1(VALU_DEP_2)
	v_cmp_ne_u32_e32 vcc_lo, 0x7f00000, v6
	v_cndmask_b32_e32 v5, 0x7e, v5, vcc_lo
; %bb.948:
	s_and_not1_saveexec_b32 s17, s17
; %bb.949:
	v_add_f32_e64 v5, 0x46800000, |v2|
; %bb.950:
	s_or_b32 exec_lo, exec_lo, s17
                                        ; implicit-def: $vgpr6
.LBB360_951:
	s_and_not1_saveexec_b32 s16, s16
; %bb.952:
	v_mov_b32_e32 v5, 0x7f
	v_cmp_lt_u32_e32 vcc_lo, 0x7f800000, v6
	s_delay_alu instid0(VALU_DEP_2)
	v_cndmask_b32_e32 v5, 0x7e, v5, vcc_lo
; %bb.953:
	s_or_b32 exec_lo, exec_lo, s16
	v_lshrrev_b32_e32 v2, 24, v2
	s_delay_alu instid0(VALU_DEP_1)
	v_and_or_b32 v2, 0x80, v2, v5
	global_store_b8 v[0:1], v2, off
.LBB360_954:
	s_mov_b32 s16, 0
.LBB360_955:
	s_delay_alu instid0(SALU_CYCLE_1)
	s_and_not1_b32 vcc_lo, exec_lo, s16
	s_cbranch_vccnz .LBB360_965
; %bb.956:
	v_bfe_i32 v2, v3, 0, 16
	s_mov_b32 s16, exec_lo
                                        ; implicit-def: $vgpr5
	s_delay_alu instid0(VALU_DEP_1) | instskip(NEXT) | instid1(VALU_DEP_1)
	v_cvt_f32_i32_e32 v2, v2
	v_and_b32_e32 v6, 0x7fffffff, v2
	s_delay_alu instid0(VALU_DEP_1)
	v_cmpx_gt_u32_e32 0x47800000, v6
	s_xor_b32 s16, exec_lo, s16
	s_cbranch_execz .LBB360_962
; %bb.957:
	s_mov_b32 s17, exec_lo
                                        ; implicit-def: $vgpr5
	v_cmpx_lt_u32_e32 0x387fffff, v6
	s_xor_b32 s17, exec_lo, s17
; %bb.958:
	v_bfe_u32 v5, v2, 21, 1
	s_delay_alu instid0(VALU_DEP_1) | instskip(NEXT) | instid1(VALU_DEP_1)
	v_add3_u32 v5, v2, v5, 0x80fffff
	v_lshrrev_b32_e32 v5, 21, v5
; %bb.959:
	s_and_not1_saveexec_b32 s17, s17
; %bb.960:
	v_add_f32_e64 v5, 0x43000000, |v2|
; %bb.961:
	s_or_b32 exec_lo, exec_lo, s17
                                        ; implicit-def: $vgpr6
.LBB360_962:
	s_and_not1_saveexec_b32 s16, s16
; %bb.963:
	v_mov_b32_e32 v5, 0x7f
	v_cmp_lt_u32_e32 vcc_lo, 0x7f800000, v6
	s_delay_alu instid0(VALU_DEP_2)
	v_cndmask_b32_e32 v5, 0x7c, v5, vcc_lo
; %bb.964:
	s_or_b32 exec_lo, exec_lo, s16
	v_lshrrev_b32_e32 v2, 24, v2
	s_delay_alu instid0(VALU_DEP_1)
	v_and_or_b32 v2, 0x80, v2, v5
	global_store_b8 v[0:1], v2, off
.LBB360_965:
	s_mov_b32 s16, 0
.LBB360_966:
	s_delay_alu instid0(SALU_CYCLE_1)
	s_and_not1_b32 vcc_lo, exec_lo, s16
	s_mov_b32 s16, 0
	s_cbranch_vccnz .LBB360_974
; %bb.967:
	v_cmp_lt_i16_e32 vcc_lo, 14, v4
	s_mov_b32 s16, -1
	s_cbranch_vccz .LBB360_971
; %bb.968:
	v_cmp_eq_u16_e32 vcc_lo, 15, v4
	s_mov_b32 s0, -1
	s_cbranch_vccz .LBB360_970
; %bb.969:
	v_bfe_i32 v2, v3, 0, 16
	s_mov_b32 s0, 0
	s_delay_alu instid0(VALU_DEP_1) | instskip(NEXT) | instid1(VALU_DEP_1)
	v_cvt_f32_i32_e32 v2, v2
	v_bfe_u32 v5, v2, 16, 1
	s_delay_alu instid0(VALU_DEP_1)
	v_add3_u32 v2, v2, v5, 0x7fff
	global_store_d16_hi_b16 v[0:1], v2, off
.LBB360_970:
	s_mov_b32 s16, 0
.LBB360_971:
	s_delay_alu instid0(SALU_CYCLE_1)
	s_and_b32 vcc_lo, exec_lo, s16
	s_mov_b32 s16, 0
	s_cbranch_vccz .LBB360_974
; %bb.972:
	v_cmp_ne_u16_e32 vcc_lo, 11, v4
	s_and_not1_b32 s0, s0, exec_lo
	s_mov_b32 s16, -1
	s_and_b32 s17, vcc_lo, exec_lo
	s_delay_alu instid0(SALU_CYCLE_1)
	s_or_b32 s0, s0, s17
	s_branch .LBB360_974
.LBB360_973:
	s_mov_b32 s16, 0
.LBB360_974:
	s_and_not1_b32 s12, s12, exec_lo
	s_and_b32 s0, s0, exec_lo
	s_and_b32 s15, s15, exec_lo
	;; [unrolled: 1-line block ×3, first 2 shown]
	s_or_b32 s12, s12, s0
.LBB360_975:
	s_or_b32 exec_lo, exec_lo, s14
	s_and_saveexec_b32 s0, s12
	s_cbranch_execnz .LBB360_1037
; %bb.976:
	s_or_b32 exec_lo, exec_lo, s0
	s_and_saveexec_b32 s0, s16
	s_delay_alu instid0(SALU_CYCLE_1)
	s_xor_b32 s0, exec_lo, s0
	s_cbranch_execz .LBB360_978
.LBB360_977:
	s_waitcnt vmcnt(0)
	v_and_b32_e32 v2, 0xff, v3
	s_delay_alu instid0(VALU_DEP_1)
	v_cmp_ne_u16_e32 vcc_lo, 0, v2
	v_cndmask_b32_e64 v2, 0, 1, vcc_lo
	global_store_b8 v[0:1], v2, off
.LBB360_978:
	s_or_b32 exec_lo, exec_lo, s0
	s_and_saveexec_b32 s0, s15
	s_delay_alu instid0(SALU_CYCLE_1)
	s_xor_b32 s0, exec_lo, s0
	s_cbranch_execz .LBB360_1016
; %bb.979:
	v_cmp_gt_i16_e32 vcc_lo, 5, v4
	s_mov_b32 s12, -1
	s_cbranch_vccnz .LBB360_1000
; %bb.980:
	v_cmp_gt_i16_e32 vcc_lo, 8, v4
	s_cbranch_vccnz .LBB360_990
; %bb.981:
	v_cmp_gt_i16_e32 vcc_lo, 9, v4
	s_cbranch_vccnz .LBB360_987
; %bb.982:
	v_cmp_lt_i16_e32 vcc_lo, 9, v4
	s_cbranch_vccz .LBB360_984
; %bb.983:
	s_waitcnt vmcnt(0)
	v_bfe_i32 v2, v3, 0, 8
	v_mov_b32_e32 v7, 0
	s_mov_b32 s12, 0
	s_delay_alu instid0(VALU_DEP_2) | instskip(NEXT) | instid1(VALU_DEP_2)
	v_bfe_i32 v2, v2, 0, 16
	v_mov_b32_e32 v8, v7
	s_delay_alu instid0(VALU_DEP_2)
	v_cvt_f64_i32_e32 v[5:6], v2
	global_store_b128 v[0:1], v[5:8], off
.LBB360_984:
	s_and_not1_b32 vcc_lo, exec_lo, s12
	s_cbranch_vccnz .LBB360_986
; %bb.985:
	s_waitcnt vmcnt(0)
	v_bfe_i32 v2, v3, 0, 8
	v_mov_b32_e32 v6, 0
	s_delay_alu instid0(VALU_DEP_2) | instskip(NEXT) | instid1(VALU_DEP_1)
	v_bfe_i32 v2, v2, 0, 16
	v_cvt_f32_i32_e32 v5, v2
	global_store_b64 v[0:1], v[5:6], off
.LBB360_986:
	s_mov_b32 s12, 0
.LBB360_987:
	s_delay_alu instid0(SALU_CYCLE_1)
	s_and_not1_b32 vcc_lo, exec_lo, s12
	s_cbranch_vccnz .LBB360_989
; %bb.988:
	s_waitcnt vmcnt(0)
	v_bfe_i32 v2, v3, 0, 8
	s_delay_alu instid0(VALU_DEP_1) | instskip(NEXT) | instid1(VALU_DEP_1)
	v_cvt_f16_i16_e32 v2, v2
	v_and_b32_e32 v2, 0xffff, v2
	global_store_b32 v[0:1], v2, off
.LBB360_989:
	s_mov_b32 s12, 0
.LBB360_990:
	s_delay_alu instid0(SALU_CYCLE_1)
	s_and_not1_b32 vcc_lo, exec_lo, s12
	s_cbranch_vccnz .LBB360_999
; %bb.991:
	v_cmp_gt_i16_e32 vcc_lo, 6, v4
	s_mov_b32 s12, -1
	s_cbranch_vccnz .LBB360_997
; %bb.992:
	v_cmp_lt_i16_e32 vcc_lo, 6, v4
	s_cbranch_vccz .LBB360_994
; %bb.993:
	s_waitcnt vmcnt(0)
	v_bfe_i32 v2, v3, 0, 8
	s_mov_b32 s12, 0
	s_delay_alu instid0(VALU_DEP_1) | instskip(NEXT) | instid1(VALU_DEP_1)
	v_bfe_i32 v2, v2, 0, 16
	v_cvt_f64_i32_e32 v[5:6], v2
	global_store_b64 v[0:1], v[5:6], off
.LBB360_994:
	s_and_not1_b32 vcc_lo, exec_lo, s12
	s_cbranch_vccnz .LBB360_996
; %bb.995:
	s_waitcnt vmcnt(0)
	v_bfe_i32 v2, v3, 0, 8
	s_delay_alu instid0(VALU_DEP_1) | instskip(NEXT) | instid1(VALU_DEP_1)
	v_bfe_i32 v2, v2, 0, 16
	v_cvt_f32_i32_e32 v2, v2
	global_store_b32 v[0:1], v2, off
.LBB360_996:
	s_mov_b32 s12, 0
.LBB360_997:
	s_delay_alu instid0(SALU_CYCLE_1)
	s_and_not1_b32 vcc_lo, exec_lo, s12
	s_cbranch_vccnz .LBB360_999
; %bb.998:
	s_waitcnt vmcnt(0)
	v_bfe_i32 v2, v3, 0, 8
	s_delay_alu instid0(VALU_DEP_1)
	v_cvt_f16_i16_e32 v2, v2
	global_store_b16 v[0:1], v2, off
.LBB360_999:
	s_mov_b32 s12, 0
.LBB360_1000:
	s_delay_alu instid0(SALU_CYCLE_1)
	s_and_not1_b32 vcc_lo, exec_lo, s12
	s_cbranch_vccnz .LBB360_1016
; %bb.1001:
	v_cmp_gt_i16_e32 vcc_lo, 2, v4
	s_mov_b32 s12, -1
	s_cbranch_vccnz .LBB360_1011
; %bb.1002:
	v_cmp_gt_i16_e32 vcc_lo, 3, v4
	s_cbranch_vccnz .LBB360_1008
; %bb.1003:
	v_cmp_lt_i16_e32 vcc_lo, 3, v4
	s_cbranch_vccz .LBB360_1005
; %bb.1004:
	s_waitcnt vmcnt(0)
	v_bfe_i32 v5, v3, 0, 8
	s_mov_b32 s12, 0
	s_delay_alu instid0(VALU_DEP_1)
	v_ashrrev_i32_e32 v6, 31, v5
	global_store_b64 v[0:1], v[5:6], off
.LBB360_1005:
	s_and_not1_b32 vcc_lo, exec_lo, s12
	s_cbranch_vccnz .LBB360_1007
; %bb.1006:
	s_waitcnt vmcnt(0)
	v_bfe_i32 v2, v3, 0, 8
	global_store_b32 v[0:1], v2, off
.LBB360_1007:
	s_mov_b32 s12, 0
.LBB360_1008:
	s_delay_alu instid0(SALU_CYCLE_1)
	s_and_not1_b32 vcc_lo, exec_lo, s12
	s_cbranch_vccnz .LBB360_1010
; %bb.1009:
	s_waitcnt vmcnt(0)
	v_bfe_i32 v2, v3, 0, 8
	global_store_b16 v[0:1], v2, off
.LBB360_1010:
	s_mov_b32 s12, 0
.LBB360_1011:
	s_delay_alu instid0(SALU_CYCLE_1)
	s_and_not1_b32 vcc_lo, exec_lo, s12
	s_cbranch_vccnz .LBB360_1016
; %bb.1012:
	v_cmp_lt_i16_e32 vcc_lo, 0, v4
	s_mov_b32 s12, -1
	s_cbranch_vccz .LBB360_1014
; %bb.1013:
	s_mov_b32 s12, 0
	s_waitcnt vmcnt(0)
	global_store_b8 v[0:1], v3, off
.LBB360_1014:
	s_and_not1_b32 vcc_lo, exec_lo, s12
	s_cbranch_vccnz .LBB360_1016
; %bb.1015:
	s_waitcnt vmcnt(0)
	global_store_b8 v[0:1], v3, off
.LBB360_1016:
	s_or_b32 exec_lo, exec_lo, s0
	s_delay_alu instid0(SALU_CYCLE_1)
	s_and_b32 s12, s13, exec_lo
                                        ; implicit-def: $vgpr9
.LBB360_1017:
	s_or_saveexec_b32 s11, s11
	s_mov_b32 s0, 0
                                        ; implicit-def: $vgpr7
                                        ; implicit-def: $vgpr0_vgpr1
                                        ; implicit-def: $vgpr2
	s_xor_b32 exec_lo, exec_lo, s11
	s_cbranch_execz .LBB360_1965
; %bb.1018:
	s_waitcnt vmcnt(0)
	v_mul_lo_u32 v2, s3, v9
	v_and_b32_e64 v10, 0xff, s10
	s_delay_alu instid0(VALU_DEP_1) | instskip(NEXT) | instid1(VALU_DEP_3)
	v_cmp_gt_i16_e32 vcc_lo, 11, v10
	v_ashrrev_i32_e32 v1, 31, v2
	v_add_co_u32 v0, s0, s6, v2
	s_delay_alu instid0(VALU_DEP_1)
	v_add_co_ci_u32_e64 v1, s0, s7, v1, s0
	s_cbranch_vccnz .LBB360_1025
; %bb.1019:
	v_cmp_lt_i16_e32 vcc_lo, 25, v10
	s_mov_b32 s10, 0
	s_cbranch_vccz .LBB360_1031
; %bb.1020:
	v_cmp_lt_i16_e32 vcc_lo, 28, v10
	s_cbranch_vccz .LBB360_1033
; %bb.1021:
	v_cmp_lt_i16_e32 vcc_lo, 43, v10
	;; [unrolled: 3-line block ×3, first 2 shown]
	s_cbranch_vccz .LBB360_1039
; %bb.1023:
	v_cmp_eq_u16_e32 vcc_lo, 46, v10
	s_cbranch_vccz .LBB360_1079
; %bb.1024:
	global_load_b32 v3, v[0:1], off
	s_mov_b32 s0, 0
	s_mov_b32 s13, -1
	s_waitcnt vmcnt(0)
	v_lshlrev_b32_e32 v3, 16, v3
	s_delay_alu instid0(VALU_DEP_1)
	v_cvt_i32_f32_e32 v6, v3
	s_branch .LBB360_1081
.LBB360_1025:
	s_mov_b32 s13, 0
	s_mov_b32 s9, s12
                                        ; implicit-def: $vgpr6
	s_cbranch_execz .LBB360_1139
; %bb.1026:
	v_cmp_gt_i16_e32 vcc_lo, 5, v10
	s_cbranch_vccnz .LBB360_1032
; %bb.1027:
	v_cmp_gt_i16_e32 vcc_lo, 8, v10
	s_cbranch_vccnz .LBB360_1034
	;; [unrolled: 3-line block ×3, first 2 shown]
; %bb.1029:
	v_cmp_lt_i16_e32 vcc_lo, 9, v10
	s_cbranch_vccz .LBB360_1040
; %bb.1030:
	global_load_b64 v[3:4], v[0:1], off
	s_mov_b32 s0, 0
	s_waitcnt vmcnt(0)
	v_cvt_i32_f64_e32 v6, v[3:4]
	s_branch .LBB360_1041
.LBB360_1031:
	s_mov_b32 s13, 0
	s_mov_b32 s0, 0
                                        ; implicit-def: $vgpr6
	s_cbranch_execnz .LBB360_1106
	s_branch .LBB360_1135
.LBB360_1032:
                                        ; implicit-def: $vgpr6
	s_branch .LBB360_1058
.LBB360_1033:
	s_mov_b32 s13, 0
	s_mov_b32 s0, 0
                                        ; implicit-def: $vgpr6
	s_cbranch_execz .LBB360_1105
	s_branch .LBB360_1090
.LBB360_1034:
                                        ; implicit-def: $vgpr6
	s_branch .LBB360_1047
.LBB360_1035:
	s_mov_b32 s13, 0
	s_mov_b32 s0, 0
                                        ; implicit-def: $vgpr6
	s_cbranch_execnz .LBB360_1086
	s_branch .LBB360_1089
.LBB360_1036:
	s_mov_b32 s0, -1
                                        ; implicit-def: $vgpr6
	s_branch .LBB360_1044
.LBB360_1037:
	s_cbranch_execnz .LBB360_1077
; %bb.1038:
	s_or_b32 s13, s13, exec_lo
	s_and_not1_b32 s16, s16, exec_lo
	s_or_b32 exec_lo, exec_lo, s0
	s_and_saveexec_b32 s0, s16
	s_delay_alu instid0(SALU_CYCLE_1)
	s_xor_b32 s0, exec_lo, s0
	s_cbranch_execnz .LBB360_977
	s_branch .LBB360_978
.LBB360_1039:
	s_mov_b32 s9, -1
	s_mov_b32 s13, 0
	s_mov_b32 s0, 0
	s_branch .LBB360_1080
.LBB360_1040:
	s_mov_b32 s0, -1
                                        ; implicit-def: $vgpr6
.LBB360_1041:
	s_delay_alu instid0(SALU_CYCLE_1)
	s_and_not1_b32 vcc_lo, exec_lo, s0
	s_cbranch_vccnz .LBB360_1043
; %bb.1042:
	global_load_b32 v3, v[0:1], off
	s_waitcnt vmcnt(0)
	v_cvt_i32_f32_e32 v6, v3
.LBB360_1043:
	s_mov_b32 s0, 0
.LBB360_1044:
	s_delay_alu instid0(SALU_CYCLE_1)
	s_and_not1_b32 vcc_lo, exec_lo, s0
	s_cbranch_vccnz .LBB360_1046
; %bb.1045:
	global_load_b32 v3, v[0:1], off
	s_waitcnt vmcnt(0)
	v_cvt_i16_f16_e32 v6, v3
.LBB360_1046:
	s_cbranch_execnz .LBB360_1057
.LBB360_1047:
	v_cmp_gt_i16_e32 vcc_lo, 6, v10
	s_cbranch_vccnz .LBB360_1050
; %bb.1048:
	v_cmp_lt_i16_e32 vcc_lo, 6, v10
	s_cbranch_vccz .LBB360_1051
; %bb.1049:
	global_load_b64 v[3:4], v[0:1], off
	s_mov_b32 s0, 0
	s_waitcnt vmcnt(0)
	v_cvt_i32_f64_e32 v6, v[3:4]
	s_branch .LBB360_1052
.LBB360_1050:
	s_mov_b32 s0, -1
                                        ; implicit-def: $vgpr6
	s_branch .LBB360_1055
.LBB360_1051:
	s_mov_b32 s0, -1
                                        ; implicit-def: $vgpr6
.LBB360_1052:
	s_delay_alu instid0(SALU_CYCLE_1)
	s_and_not1_b32 vcc_lo, exec_lo, s0
	s_cbranch_vccnz .LBB360_1054
; %bb.1053:
	global_load_b32 v3, v[0:1], off
	s_waitcnt vmcnt(0)
	v_cvt_i32_f32_e32 v6, v3
.LBB360_1054:
	s_mov_b32 s0, 0
.LBB360_1055:
	s_delay_alu instid0(SALU_CYCLE_1)
	s_and_not1_b32 vcc_lo, exec_lo, s0
	s_cbranch_vccnz .LBB360_1057
; %bb.1056:
	global_load_u16 v3, v[0:1], off
	s_waitcnt vmcnt(0)
	v_cvt_i16_f16_e32 v6, v3
.LBB360_1057:
	s_cbranch_execnz .LBB360_1076
.LBB360_1058:
	v_cmp_gt_i16_e32 vcc_lo, 2, v10
	s_cbranch_vccnz .LBB360_1062
; %bb.1059:
	v_cmp_gt_i16_e32 vcc_lo, 3, v10
	s_cbranch_vccnz .LBB360_1063
; %bb.1060:
	v_cmp_lt_i16_e32 vcc_lo, 3, v10
	s_cbranch_vccz .LBB360_1064
; %bb.1061:
	global_load_b64 v[6:7], v[0:1], off
	s_mov_b32 s0, 0
	s_branch .LBB360_1065
.LBB360_1062:
                                        ; implicit-def: $vgpr6
	s_branch .LBB360_1071
.LBB360_1063:
	s_mov_b32 s0, -1
                                        ; implicit-def: $vgpr6
	s_branch .LBB360_1068
.LBB360_1064:
	s_mov_b32 s0, -1
                                        ; implicit-def: $vgpr6
.LBB360_1065:
	s_delay_alu instid0(SALU_CYCLE_1)
	s_and_not1_b32 vcc_lo, exec_lo, s0
	s_cbranch_vccnz .LBB360_1067
; %bb.1066:
	global_load_b32 v6, v[0:1], off
.LBB360_1067:
	s_mov_b32 s0, 0
.LBB360_1068:
	s_delay_alu instid0(SALU_CYCLE_1)
	s_and_not1_b32 vcc_lo, exec_lo, s0
	s_cbranch_vccnz .LBB360_1070
; %bb.1069:
	global_load_u16 v6, v[0:1], off
.LBB360_1070:
	s_cbranch_execnz .LBB360_1076
.LBB360_1071:
	v_cmp_lt_i16_e32 vcc_lo, 0, v10
	s_mov_b32 s0, 0
	s_cbranch_vccz .LBB360_1073
; %bb.1072:
	global_load_u8 v6, v[0:1], off
	s_branch .LBB360_1074
.LBB360_1073:
	s_mov_b32 s0, -1
                                        ; implicit-def: $vgpr6
.LBB360_1074:
	s_delay_alu instid0(SALU_CYCLE_1)
	s_and_not1_b32 vcc_lo, exec_lo, s0
	s_cbranch_vccnz .LBB360_1076
; %bb.1075:
	global_load_u8 v6, v[0:1], off
.LBB360_1076:
	s_branch .LBB360_1140
.LBB360_1077:
	s_trap 2
	s_sendmsg_rtn_b32 s0, sendmsg(MSG_RTN_GET_DOORBELL)
	s_mov_b32 ttmp2, m0
	s_waitcnt lgkmcnt(0)
	s_and_b32 s0, s0, 0x3ff
	s_delay_alu instid0(SALU_CYCLE_1) | instskip(NEXT) | instid1(SALU_CYCLE_1)
	s_bitset1_b32 s0, 10
	s_mov_b32 m0, s0
	s_sendmsg sendmsg(MSG_INTERRUPT)
	s_mov_b32 m0, ttmp2
.LBB360_1078:                           ; =>This Inner Loop Header: Depth=1
	s_sethalt 5
	s_branch .LBB360_1078
.LBB360_1079:
	s_mov_b32 s0, -1
	s_mov_b32 s13, 0
.LBB360_1080:
                                        ; implicit-def: $vgpr6
.LBB360_1081:
	s_and_b32 vcc_lo, exec_lo, s9
	s_cbranch_vccz .LBB360_1084
; %bb.1082:
	v_cmp_eq_u16_e32 vcc_lo, 44, v10
	s_cbranch_vccz .LBB360_1085
; %bb.1083:
	global_load_u8 v3, v[0:1], off
	s_mov_b32 s0, 0
	s_mov_b32 s13, -1
	s_waitcnt vmcnt(0)
	v_lshlrev_b32_e32 v4, 23, v3
	v_cmp_ne_u32_e32 vcc_lo, 0, v3
	s_delay_alu instid0(VALU_DEP_2) | instskip(NEXT) | instid1(VALU_DEP_1)
	v_cvt_i32_f32_e32 v4, v4
	v_cndmask_b32_e32 v6, 0, v4, vcc_lo
.LBB360_1084:
	s_branch .LBB360_1089
.LBB360_1085:
	s_mov_b32 s0, -1
                                        ; implicit-def: $vgpr6
	s_branch .LBB360_1089
.LBB360_1086:
	v_cmp_eq_u16_e32 vcc_lo, 29, v10
	s_cbranch_vccz .LBB360_1088
; %bb.1087:
	global_load_b64 v[6:7], v[0:1], off
	s_mov_b32 s0, 0
	s_mov_b32 s13, -1
	s_branch .LBB360_1089
.LBB360_1088:
	s_mov_b32 s0, -1
                                        ; implicit-def: $vgpr6
.LBB360_1089:
	s_branch .LBB360_1105
.LBB360_1090:
	v_cmp_gt_i16_e32 vcc_lo, 27, v10
	s_cbranch_vccnz .LBB360_1093
; %bb.1091:
	v_cmp_lt_i16_e32 vcc_lo, 27, v10
	s_cbranch_vccz .LBB360_1094
; %bb.1092:
	global_load_b32 v6, v[0:1], off
	s_mov_b32 s9, 0
	s_branch .LBB360_1095
.LBB360_1093:
	s_mov_b32 s9, -1
                                        ; implicit-def: $vgpr6
	s_branch .LBB360_1098
.LBB360_1094:
	s_mov_b32 s9, -1
                                        ; implicit-def: $vgpr6
.LBB360_1095:
	s_delay_alu instid0(SALU_CYCLE_1)
	s_and_not1_b32 vcc_lo, exec_lo, s9
	s_cbranch_vccnz .LBB360_1097
; %bb.1096:
	global_load_u16 v6, v[0:1], off
.LBB360_1097:
	s_mov_b32 s9, 0
.LBB360_1098:
	s_delay_alu instid0(SALU_CYCLE_1)
	s_and_not1_b32 vcc_lo, exec_lo, s9
	s_cbranch_vccnz .LBB360_1104
; %bb.1099:
	global_load_u8 v3, v[0:1], off
	s_mov_b32 s9, 0
	s_mov_b32 s13, exec_lo
                                        ; implicit-def: $sgpr14
	s_waitcnt vmcnt(0)
	v_cmpx_lt_i16_e32 0x7f, v3
	s_xor_b32 s13, exec_lo, s13
	s_cbranch_execz .LBB360_1115
; %bb.1100:
	v_cmp_ne_u16_e32 vcc_lo, 0x80, v3
	s_mov_b32 s14, 0
	s_and_b32 s9, vcc_lo, exec_lo
	s_or_saveexec_b32 s13, s13
	v_mov_b32_e32 v6, s14
	s_xor_b32 exec_lo, exec_lo, s13
	s_cbranch_execnz .LBB360_1116
.LBB360_1101:
	s_or_b32 exec_lo, exec_lo, s13
	s_and_saveexec_b32 s13, s9
	s_cbranch_execz .LBB360_1103
.LBB360_1102:
	v_and_b32_e32 v4, 0xffff, v3
	v_lshlrev_b32_e32 v3, 24, v3
	s_delay_alu instid0(VALU_DEP_2) | instskip(NEXT) | instid1(VALU_DEP_2)
	v_and_b32_e32 v5, 7, v4
	v_and_b32_e32 v3, 0x80000000, v3
	s_delay_alu instid0(VALU_DEP_2) | instskip(NEXT) | instid1(VALU_DEP_1)
	v_clz_i32_u32_e32 v6, v5
	v_min_u32_e32 v6, 32, v6
	s_delay_alu instid0(VALU_DEP_1) | instskip(SKIP_1) | instid1(VALU_DEP_2)
	v_subrev_nc_u32_e32 v7, 28, v6
	v_sub_nc_u32_e32 v6, 29, v6
	v_lshlrev_b32_e32 v7, v7, v4
	v_bfe_u32 v4, v4, 3, 4
	s_delay_alu instid0(VALU_DEP_2) | instskip(NEXT) | instid1(VALU_DEP_2)
	v_and_b32_e32 v7, 7, v7
	v_cmp_eq_u32_e32 vcc_lo, 0, v4
	s_delay_alu instid0(VALU_DEP_2) | instskip(NEXT) | instid1(VALU_DEP_1)
	v_dual_cndmask_b32 v4, v4, v6 :: v_dual_cndmask_b32 v5, v5, v7
	v_lshl_add_u32 v4, v4, 23, 0x3b800000
	s_delay_alu instid0(VALU_DEP_2) | instskip(NEXT) | instid1(VALU_DEP_1)
	v_lshlrev_b32_e32 v5, 20, v5
	v_or3_b32 v3, v3, v4, v5
	s_delay_alu instid0(VALU_DEP_1)
	v_cvt_i32_f32_e32 v6, v3
.LBB360_1103:
	s_or_b32 exec_lo, exec_lo, s13
.LBB360_1104:
	s_mov_b32 s13, -1
.LBB360_1105:
	s_branch .LBB360_1135
.LBB360_1106:
	v_cmp_lt_i16_e32 vcc_lo, 22, v10
	s_cbranch_vccz .LBB360_1114
; %bb.1107:
	v_cmp_gt_i16_e32 vcc_lo, 24, v10
	s_cbranch_vccnz .LBB360_1117
; %bb.1108:
	v_cmp_lt_i16_e32 vcc_lo, 24, v10
	s_cbranch_vccz .LBB360_1118
; %bb.1109:
	global_load_u8 v3, v[0:1], off
	s_mov_b32 s9, 0
	s_mov_b32 s10, exec_lo
                                        ; implicit-def: $sgpr13
	s_waitcnt vmcnt(0)
	v_cmpx_lt_i16_e32 0x7f, v3
	s_xor_b32 s10, exec_lo, s10
	s_cbranch_execz .LBB360_1129
; %bb.1110:
	v_cmp_ne_u16_e32 vcc_lo, 0x80, v3
	s_mov_b32 s13, 0
	s_and_b32 s9, vcc_lo, exec_lo
	s_or_saveexec_b32 s10, s10
	v_mov_b32_e32 v6, s13
	s_xor_b32 exec_lo, exec_lo, s10
	s_cbranch_execnz .LBB360_1130
.LBB360_1111:
	s_or_b32 exec_lo, exec_lo, s10
	s_and_saveexec_b32 s10, s9
	s_cbranch_execz .LBB360_1113
.LBB360_1112:
	v_and_b32_e32 v4, 0xffff, v3
	v_lshlrev_b32_e32 v3, 24, v3
	s_delay_alu instid0(VALU_DEP_2) | instskip(NEXT) | instid1(VALU_DEP_2)
	v_and_b32_e32 v5, 3, v4
	v_and_b32_e32 v3, 0x80000000, v3
	s_delay_alu instid0(VALU_DEP_2) | instskip(NEXT) | instid1(VALU_DEP_1)
	v_clz_i32_u32_e32 v6, v5
	v_min_u32_e32 v6, 32, v6
	s_delay_alu instid0(VALU_DEP_1) | instskip(SKIP_1) | instid1(VALU_DEP_2)
	v_subrev_nc_u32_e32 v7, 29, v6
	v_sub_nc_u32_e32 v6, 30, v6
	v_lshlrev_b32_e32 v7, v7, v4
	v_bfe_u32 v4, v4, 2, 5
	s_delay_alu instid0(VALU_DEP_2) | instskip(NEXT) | instid1(VALU_DEP_2)
	v_and_b32_e32 v7, 3, v7
	v_cmp_eq_u32_e32 vcc_lo, 0, v4
	s_delay_alu instid0(VALU_DEP_2) | instskip(NEXT) | instid1(VALU_DEP_1)
	v_dual_cndmask_b32 v4, v4, v6 :: v_dual_cndmask_b32 v5, v5, v7
	v_lshl_add_u32 v4, v4, 23, 0x37800000
	s_delay_alu instid0(VALU_DEP_2) | instskip(NEXT) | instid1(VALU_DEP_1)
	v_lshlrev_b32_e32 v5, 21, v5
	v_or3_b32 v3, v3, v4, v5
	s_delay_alu instid0(VALU_DEP_1)
	v_cvt_i32_f32_e32 v6, v3
.LBB360_1113:
	s_or_b32 exec_lo, exec_lo, s10
	s_mov_b32 s9, 0
	s_branch .LBB360_1119
.LBB360_1114:
                                        ; implicit-def: $vgpr6
	s_mov_b32 s10, 0
	s_branch .LBB360_1125
.LBB360_1115:
	s_or_saveexec_b32 s13, s13
	v_mov_b32_e32 v6, s14
	s_xor_b32 exec_lo, exec_lo, s13
	s_cbranch_execz .LBB360_1101
.LBB360_1116:
	v_cmp_ne_u16_e32 vcc_lo, 0, v3
	v_mov_b32_e32 v6, 0
	s_and_not1_b32 s9, s9, exec_lo
	s_and_b32 s14, vcc_lo, exec_lo
	s_delay_alu instid0(SALU_CYCLE_1)
	s_or_b32 s9, s9, s14
	s_or_b32 exec_lo, exec_lo, s13
	s_and_saveexec_b32 s13, s9
	s_cbranch_execnz .LBB360_1102
	s_branch .LBB360_1103
.LBB360_1117:
	s_mov_b32 s9, -1
                                        ; implicit-def: $vgpr6
	s_branch .LBB360_1122
.LBB360_1118:
	s_mov_b32 s9, -1
                                        ; implicit-def: $vgpr6
.LBB360_1119:
	s_delay_alu instid0(SALU_CYCLE_1)
	s_and_b32 vcc_lo, exec_lo, s9
	s_cbranch_vccz .LBB360_1121
; %bb.1120:
	global_load_u8 v3, v[0:1], off
	s_waitcnt vmcnt(0)
	v_lshlrev_b32_e32 v3, 24, v3
	s_delay_alu instid0(VALU_DEP_1) | instskip(NEXT) | instid1(VALU_DEP_1)
	v_and_b32_e32 v4, 0x7f000000, v3
	v_clz_i32_u32_e32 v5, v4
	v_add_nc_u32_e32 v7, 0x1000000, v4
	v_cmp_ne_u32_e32 vcc_lo, 0, v4
	s_delay_alu instid0(VALU_DEP_3) | instskip(NEXT) | instid1(VALU_DEP_1)
	v_min_u32_e32 v5, 32, v5
	v_sub_nc_u32_e64 v5, v5, 4 clamp
	s_delay_alu instid0(VALU_DEP_1) | instskip(SKIP_1) | instid1(VALU_DEP_2)
	v_lshlrev_b32_e32 v6, v5, v4
	v_lshlrev_b32_e32 v5, 23, v5
	v_lshrrev_b32_e32 v6, 4, v6
	s_delay_alu instid0(VALU_DEP_1) | instskip(SKIP_1) | instid1(VALU_DEP_2)
	v_sub_nc_u32_e32 v5, v6, v5
	v_ashrrev_i32_e32 v6, 8, v7
	v_add_nc_u32_e32 v5, 0x3c000000, v5
	s_delay_alu instid0(VALU_DEP_1) | instskip(NEXT) | instid1(VALU_DEP_1)
	v_and_or_b32 v5, 0x7f800000, v6, v5
	v_cndmask_b32_e32 v4, 0, v5, vcc_lo
	s_delay_alu instid0(VALU_DEP_1) | instskip(NEXT) | instid1(VALU_DEP_1)
	v_and_or_b32 v3, 0x80000000, v3, v4
	v_cvt_i32_f32_e32 v6, v3
.LBB360_1121:
	s_mov_b32 s9, 0
.LBB360_1122:
	s_delay_alu instid0(SALU_CYCLE_1)
	s_and_not1_b32 vcc_lo, exec_lo, s9
	s_cbranch_vccnz .LBB360_1124
; %bb.1123:
	global_load_u8 v3, v[0:1], off
	s_waitcnt vmcnt(0)
	v_lshlrev_b32_e32 v4, 25, v3
	v_lshlrev_b16 v3, 8, v3
	s_delay_alu instid0(VALU_DEP_2) | instskip(NEXT) | instid1(VALU_DEP_2)
	v_lshrrev_b32_e32 v5, 4, v4
	v_and_or_b32 v6, 0x7f00, v3, 0.5
	v_bfe_i32 v3, v3, 0, 16
	s_delay_alu instid0(VALU_DEP_3) | instskip(NEXT) | instid1(VALU_DEP_1)
	v_or_b32_e32 v5, 0x70000000, v5
	v_dual_add_f32 v6, -0.5, v6 :: v_dual_mul_f32 v5, 0x7800000, v5
	v_cmp_gt_u32_e32 vcc_lo, 0x8000000, v4
	s_delay_alu instid0(VALU_DEP_2) | instskip(NEXT) | instid1(VALU_DEP_1)
	v_cndmask_b32_e32 v4, v5, v6, vcc_lo
	v_and_or_b32 v3, 0x80000000, v3, v4
	s_delay_alu instid0(VALU_DEP_1)
	v_cvt_i32_f32_e32 v6, v3
.LBB360_1124:
	s_mov_b32 s13, -1
	s_mov_b32 s10, 0
	s_cbranch_execnz .LBB360_1135
.LBB360_1125:
	v_cmp_lt_i16_e32 vcc_lo, 14, v10
	s_cbranch_vccz .LBB360_1128
; %bb.1126:
	v_cmp_eq_u16_e32 vcc_lo, 15, v10
	s_cbranch_vccz .LBB360_1131
; %bb.1127:
	global_load_u16 v3, v[0:1], off
	s_mov_b32 s0, 0
	s_mov_b32 s13, -1
	s_waitcnt vmcnt(0)
	v_lshlrev_b32_e32 v3, 16, v3
	s_delay_alu instid0(VALU_DEP_1)
	v_cvt_i32_f32_e32 v6, v3
	s_branch .LBB360_1132
.LBB360_1128:
	s_mov_b32 s9, -1
                                        ; implicit-def: $vgpr6
	s_branch .LBB360_1133
.LBB360_1129:
	s_or_saveexec_b32 s10, s10
	v_mov_b32_e32 v6, s13
	s_xor_b32 exec_lo, exec_lo, s10
	s_cbranch_execz .LBB360_1111
.LBB360_1130:
	v_cmp_ne_u16_e32 vcc_lo, 0, v3
	v_mov_b32_e32 v6, 0
	s_and_not1_b32 s9, s9, exec_lo
	s_and_b32 s13, vcc_lo, exec_lo
	s_delay_alu instid0(SALU_CYCLE_1)
	s_or_b32 s9, s9, s13
	s_or_b32 exec_lo, exec_lo, s10
	s_and_saveexec_b32 s10, s9
	s_cbranch_execnz .LBB360_1112
	s_branch .LBB360_1113
.LBB360_1131:
	s_mov_b32 s0, -1
                                        ; implicit-def: $vgpr6
.LBB360_1132:
	s_mov_b32 s9, 0
.LBB360_1133:
	s_delay_alu instid0(SALU_CYCLE_1)
	s_and_b32 vcc_lo, exec_lo, s9
	s_cbranch_vccz .LBB360_1135
; %bb.1134:
	v_cmp_ne_u16_e64 s0, 11, v10
	s_mov_b32 s10, -1
                                        ; implicit-def: $vgpr6
.LBB360_1135:
	s_delay_alu instid0(VALU_DEP_1)
	s_and_b32 vcc_lo, exec_lo, s0
	s_mov_b32 s9, s12
	s_cbranch_vccnz .LBB360_1159
; %bb.1136:
	s_and_not1_b32 vcc_lo, exec_lo, s10
	s_cbranch_vccnz .LBB360_1138
.LBB360_1137:
	global_load_u8 v3, v[0:1], off
	s_mov_b32 s13, -1
	s_waitcnt vmcnt(0)
	v_cmp_ne_u16_e32 vcc_lo, 0, v3
	v_cndmask_b32_e64 v6, 0, 1, vcc_lo
.LBB360_1138:
.LBB360_1139:
	s_and_not1_b32 vcc_lo, exec_lo, s13
	s_cbranch_vccnz .LBB360_1963
.LBB360_1140:
	s_lshl_b32 s3, s3, 7
	v_cmp_gt_i16_e32 vcc_lo, 11, v10
	v_add_nc_u32_e32 v2, s3, v2
	s_delay_alu instid0(VALU_DEP_1) | instskip(SKIP_1) | instid1(VALU_DEP_1)
	v_ashrrev_i32_e32 v1, 31, v2
	v_add_co_u32 v0, s0, s6, v2
	v_add_co_ci_u32_e64 v1, s0, s7, v1, s0
	s_cbranch_vccnz .LBB360_1147
; %bb.1141:
	v_cmp_lt_i16_e32 vcc_lo, 25, v10
	s_mov_b32 s10, 0
	s_cbranch_vccz .LBB360_1153
; %bb.1142:
	v_cmp_lt_i16_e32 vcc_lo, 28, v10
	s_cbranch_vccz .LBB360_1155
; %bb.1143:
	v_cmp_lt_i16_e32 vcc_lo, 43, v10
	s_cbranch_vccz .LBB360_1157
; %bb.1144:
	v_cmp_lt_i16_e32 vcc_lo, 45, v10
	s_cbranch_vccz .LBB360_1163
; %bb.1145:
	v_cmp_eq_u16_e32 vcc_lo, 46, v10
	s_mov_b32 s14, 0
	s_cbranch_vccz .LBB360_1207
; %bb.1146:
	global_load_b32 v3, v[0:1], off
	s_mov_b32 s0, 0
	s_mov_b32 s13, -1
	s_waitcnt vmcnt(0)
	v_lshlrev_b32_e32 v3, 16, v3
	s_delay_alu instid0(VALU_DEP_1)
	v_cvt_i32_f32_e32 v4, v3
	s_branch .LBB360_1209
.LBB360_1147:
	s_mov_b32 s13, 0
                                        ; implicit-def: $vgpr4
	s_cbranch_execz .LBB360_1270
; %bb.1148:
	v_cmp_gt_i16_e32 vcc_lo, 5, v10
	s_cbranch_vccnz .LBB360_1154
; %bb.1149:
	v_cmp_gt_i16_e32 vcc_lo, 8, v10
	s_cbranch_vccnz .LBB360_1156
	;; [unrolled: 3-line block ×3, first 2 shown]
; %bb.1151:
	v_cmp_lt_i16_e32 vcc_lo, 9, v10
	s_cbranch_vccz .LBB360_1164
; %bb.1152:
	global_load_b64 v[3:4], v[0:1], off
	s_mov_b32 s0, 0
	s_waitcnt vmcnt(0)
	v_cvt_i32_f64_e32 v4, v[3:4]
	s_branch .LBB360_1165
.LBB360_1153:
	s_mov_b32 s13, 0
	s_mov_b32 s0, 0
                                        ; implicit-def: $vgpr4
	s_cbranch_execnz .LBB360_1236
	s_branch .LBB360_1266
.LBB360_1154:
                                        ; implicit-def: $vgpr4
	s_branch .LBB360_1183
.LBB360_1155:
	s_mov_b32 s14, -1
	s_mov_b32 s13, 0
	s_mov_b32 s0, 0
                                        ; implicit-def: $vgpr4
	s_branch .LBB360_1219
.LBB360_1156:
	s_mov_b32 s0, -1
                                        ; implicit-def: $vgpr4
	s_branch .LBB360_1171
.LBB360_1157:
	s_mov_b32 s14, -1
	s_mov_b32 s13, 0
	s_mov_b32 s0, 0
                                        ; implicit-def: $vgpr4
	s_branch .LBB360_1214
.LBB360_1158:
	s_mov_b32 s0, -1
                                        ; implicit-def: $vgpr4
	s_branch .LBB360_1168
.LBB360_1159:
	s_cbranch_execnz .LBB360_1203
; %bb.1160:
	s_or_b32 s9, s12, exec_lo
                                        ; implicit-def: $vgpr6
	s_cbranch_execz .LBB360_1137
	s_branch .LBB360_1138
.LBB360_1161:
	s_or_saveexec_b32 s17, s17
                                        ; implicit-def: $sgpr18
	s_delay_alu instid0(SALU_CYCLE_1)
	s_xor_b32 exec_lo, exec_lo, s17
	s_cbranch_execz .LBB360_928
.LBB360_1162:
	v_add_f32_e64 v5, 0x46000000, |v2|
	s_and_not1_b32 s16, s16, exec_lo
	s_mov_b32 s18, 0
	s_delay_alu instid0(VALU_DEP_1) | instskip(NEXT) | instid1(VALU_DEP_1)
	v_and_b32_e32 v5, 0xff, v5
	v_cmp_ne_u32_e32 vcc_lo, 0, v5
	s_and_b32 s19, vcc_lo, exec_lo
	s_delay_alu instid0(SALU_CYCLE_1)
	s_or_b32 s16, s16, s19
	s_or_b32 exec_lo, exec_lo, s17
	v_mov_b32_e32 v6, s18
	s_and_saveexec_b32 s17, s16
	s_cbranch_execnz .LBB360_929
	s_branch .LBB360_930
.LBB360_1163:
	s_mov_b32 s14, -1
	s_mov_b32 s13, 0
	s_mov_b32 s0, 0
	s_branch .LBB360_1208
.LBB360_1164:
	s_mov_b32 s0, -1
                                        ; implicit-def: $vgpr4
.LBB360_1165:
	s_delay_alu instid0(SALU_CYCLE_1)
	s_and_not1_b32 vcc_lo, exec_lo, s0
	s_cbranch_vccnz .LBB360_1167
; %bb.1166:
	global_load_b32 v3, v[0:1], off
	s_waitcnt vmcnt(0)
	v_cvt_i32_f32_e32 v4, v3
.LBB360_1167:
	s_mov_b32 s0, 0
.LBB360_1168:
	s_delay_alu instid0(SALU_CYCLE_1)
	s_and_not1_b32 vcc_lo, exec_lo, s0
	s_cbranch_vccnz .LBB360_1170
; %bb.1169:
	global_load_b32 v3, v[0:1], off
	s_waitcnt vmcnt(0)
	v_cvt_i16_f16_e32 v4, v3
.LBB360_1170:
	s_mov_b32 s0, 0
.LBB360_1171:
	s_delay_alu instid0(SALU_CYCLE_1)
	s_and_not1_b32 vcc_lo, exec_lo, s0
	s_cbranch_vccnz .LBB360_1182
; %bb.1172:
	v_cmp_gt_i16_e32 vcc_lo, 6, v10
	s_cbranch_vccnz .LBB360_1175
; %bb.1173:
	v_cmp_lt_i16_e32 vcc_lo, 6, v10
	s_cbranch_vccz .LBB360_1176
; %bb.1174:
	global_load_b64 v[3:4], v[0:1], off
	s_mov_b32 s0, 0
	s_waitcnt vmcnt(0)
	v_cvt_i32_f64_e32 v4, v[3:4]
	s_branch .LBB360_1177
.LBB360_1175:
	s_mov_b32 s0, -1
                                        ; implicit-def: $vgpr4
	s_branch .LBB360_1180
.LBB360_1176:
	s_mov_b32 s0, -1
                                        ; implicit-def: $vgpr4
.LBB360_1177:
	s_delay_alu instid0(SALU_CYCLE_1)
	s_and_not1_b32 vcc_lo, exec_lo, s0
	s_cbranch_vccnz .LBB360_1179
; %bb.1178:
	global_load_b32 v3, v[0:1], off
	s_waitcnt vmcnt(0)
	v_cvt_i32_f32_e32 v4, v3
.LBB360_1179:
	s_mov_b32 s0, 0
.LBB360_1180:
	s_delay_alu instid0(SALU_CYCLE_1)
	s_and_not1_b32 vcc_lo, exec_lo, s0
	s_cbranch_vccnz .LBB360_1182
; %bb.1181:
	global_load_u16 v3, v[0:1], off
	s_waitcnt vmcnt(0)
	v_cvt_i16_f16_e32 v4, v3
.LBB360_1182:
	s_cbranch_execnz .LBB360_1202
.LBB360_1183:
	v_cmp_gt_i16_e32 vcc_lo, 2, v10
	s_cbranch_vccnz .LBB360_1187
; %bb.1184:
	v_cmp_gt_i16_e32 vcc_lo, 3, v10
	s_cbranch_vccnz .LBB360_1188
; %bb.1185:
	v_cmp_lt_i16_e32 vcc_lo, 3, v10
	s_cbranch_vccz .LBB360_1189
; %bb.1186:
	global_load_b64 v[4:5], v[0:1], off
	s_mov_b32 s0, 0
	s_branch .LBB360_1190
.LBB360_1187:
	s_mov_b32 s0, -1
                                        ; implicit-def: $vgpr4
	s_branch .LBB360_1196
.LBB360_1188:
	s_mov_b32 s0, -1
                                        ; implicit-def: $vgpr4
	s_branch .LBB360_1193
.LBB360_1189:
	s_mov_b32 s0, -1
                                        ; implicit-def: $vgpr4
.LBB360_1190:
	s_delay_alu instid0(SALU_CYCLE_1)
	s_and_not1_b32 vcc_lo, exec_lo, s0
	s_cbranch_vccnz .LBB360_1192
; %bb.1191:
	global_load_b32 v4, v[0:1], off
.LBB360_1192:
	s_mov_b32 s0, 0
.LBB360_1193:
	s_delay_alu instid0(SALU_CYCLE_1)
	s_and_not1_b32 vcc_lo, exec_lo, s0
	s_cbranch_vccnz .LBB360_1195
; %bb.1194:
	global_load_u16 v4, v[0:1], off
.LBB360_1195:
	s_mov_b32 s0, 0
.LBB360_1196:
	s_delay_alu instid0(SALU_CYCLE_1)
	s_and_not1_b32 vcc_lo, exec_lo, s0
	s_cbranch_vccnz .LBB360_1202
; %bb.1197:
	v_cmp_lt_i16_e32 vcc_lo, 0, v10
	s_mov_b32 s0, 0
	s_cbranch_vccz .LBB360_1199
; %bb.1198:
	global_load_u8 v4, v[0:1], off
	s_branch .LBB360_1200
.LBB360_1199:
	s_mov_b32 s0, -1
                                        ; implicit-def: $vgpr4
.LBB360_1200:
	s_delay_alu instid0(SALU_CYCLE_1)
	s_and_not1_b32 vcc_lo, exec_lo, s0
	s_cbranch_vccnz .LBB360_1202
; %bb.1201:
	global_load_u8 v4, v[0:1], off
.LBB360_1202:
	s_branch .LBB360_1271
.LBB360_1203:
	s_trap 2
	s_sendmsg_rtn_b32 s0, sendmsg(MSG_RTN_GET_DOORBELL)
	s_mov_b32 ttmp2, m0
	s_waitcnt lgkmcnt(0)
	s_and_b32 s0, s0, 0x3ff
	s_delay_alu instid0(SALU_CYCLE_1) | instskip(NEXT) | instid1(SALU_CYCLE_1)
	s_bitset1_b32 s0, 10
	s_mov_b32 m0, s0
	s_sendmsg sendmsg(MSG_INTERRUPT)
	s_mov_b32 m0, ttmp2
.LBB360_1204:                           ; =>This Inner Loop Header: Depth=1
	s_sethalt 5
	s_branch .LBB360_1204
.LBB360_1205:
	s_or_saveexec_b32 s18, s18
                                        ; implicit-def: $sgpr19
	s_delay_alu instid0(SALU_CYCLE_1)
	s_xor_b32 exec_lo, exec_lo, s18
	s_cbranch_execz .LBB360_940
.LBB360_1206:
	v_add_f32_e64 v5, 0x42800000, |v2|
	s_and_not1_b32 s17, s17, exec_lo
	s_mov_b32 s19, 0
	s_delay_alu instid0(VALU_DEP_1) | instskip(NEXT) | instid1(VALU_DEP_1)
	v_and_b32_e32 v5, 0xff, v5
	v_cmp_ne_u32_e32 vcc_lo, 0, v5
	s_and_b32 s20, vcc_lo, exec_lo
	s_delay_alu instid0(SALU_CYCLE_1)
	s_or_b32 s17, s17, s20
	s_or_b32 exec_lo, exec_lo, s18
	v_mov_b32_e32 v6, s19
	s_and_saveexec_b32 s18, s17
	s_cbranch_execnz .LBB360_941
	s_branch .LBB360_942
.LBB360_1207:
	s_mov_b32 s0, -1
	s_mov_b32 s13, 0
.LBB360_1208:
                                        ; implicit-def: $vgpr4
.LBB360_1209:
	s_and_b32 vcc_lo, exec_lo, s14
	s_cbranch_vccz .LBB360_1213
; %bb.1210:
	v_cmp_eq_u16_e32 vcc_lo, 44, v10
	s_cbranch_vccz .LBB360_1212
; %bb.1211:
	global_load_u8 v3, v[0:1], off
	s_mov_b32 s0, 0
	s_mov_b32 s13, -1
	s_waitcnt vmcnt(0)
	v_lshlrev_b32_e32 v4, 23, v3
	v_cmp_ne_u32_e32 vcc_lo, 0, v3
	s_delay_alu instid0(VALU_DEP_2) | instskip(NEXT) | instid1(VALU_DEP_1)
	v_cvt_i32_f32_e32 v4, v4
	v_cndmask_b32_e32 v4, 0, v4, vcc_lo
	s_branch .LBB360_1213
.LBB360_1212:
	s_mov_b32 s0, -1
                                        ; implicit-def: $vgpr4
.LBB360_1213:
	s_mov_b32 s14, 0
.LBB360_1214:
	s_delay_alu instid0(SALU_CYCLE_1)
	s_and_b32 vcc_lo, exec_lo, s14
	s_cbranch_vccz .LBB360_1218
; %bb.1215:
	v_cmp_eq_u16_e32 vcc_lo, 29, v10
	s_cbranch_vccz .LBB360_1217
; %bb.1216:
	global_load_b64 v[4:5], v[0:1], off
	s_mov_b32 s0, 0
	s_mov_b32 s13, -1
	s_branch .LBB360_1218
.LBB360_1217:
	s_mov_b32 s0, -1
                                        ; implicit-def: $vgpr4
.LBB360_1218:
	s_mov_b32 s14, 0
.LBB360_1219:
	s_delay_alu instid0(SALU_CYCLE_1)
	s_and_b32 vcc_lo, exec_lo, s14
	s_cbranch_vccz .LBB360_1235
; %bb.1220:
	v_cmp_gt_i16_e32 vcc_lo, 27, v10
	s_cbranch_vccnz .LBB360_1223
; %bb.1221:
	v_cmp_lt_i16_e32 vcc_lo, 27, v10
	s_cbranch_vccz .LBB360_1224
; %bb.1222:
	global_load_b32 v4, v[0:1], off
	s_mov_b32 s13, 0
	s_branch .LBB360_1225
.LBB360_1223:
	s_mov_b32 s13, -1
                                        ; implicit-def: $vgpr4
	s_branch .LBB360_1228
.LBB360_1224:
	s_mov_b32 s13, -1
                                        ; implicit-def: $vgpr4
.LBB360_1225:
	s_delay_alu instid0(SALU_CYCLE_1)
	s_and_not1_b32 vcc_lo, exec_lo, s13
	s_cbranch_vccnz .LBB360_1227
; %bb.1226:
	global_load_u16 v4, v[0:1], off
.LBB360_1227:
	s_mov_b32 s13, 0
.LBB360_1228:
	s_delay_alu instid0(SALU_CYCLE_1)
	s_and_not1_b32 vcc_lo, exec_lo, s13
	s_cbranch_vccnz .LBB360_1234
; %bb.1229:
	global_load_u8 v3, v[0:1], off
	s_mov_b32 s13, 0
	s_mov_b32 s14, exec_lo
                                        ; implicit-def: $sgpr15
	s_waitcnt vmcnt(0)
	v_cmpx_lt_i16_e32 0x7f, v3
	s_xor_b32 s14, exec_lo, s14
	s_cbranch_execz .LBB360_1245
; %bb.1230:
	v_cmp_ne_u16_e32 vcc_lo, 0x80, v3
	s_mov_b32 s15, 0
	s_and_b32 s13, vcc_lo, exec_lo
	s_or_saveexec_b32 s14, s14
	v_mov_b32_e32 v4, s15
	s_xor_b32 exec_lo, exec_lo, s14
	s_cbranch_execnz .LBB360_1246
.LBB360_1231:
	s_or_b32 exec_lo, exec_lo, s14
	s_and_saveexec_b32 s14, s13
	s_cbranch_execz .LBB360_1233
.LBB360_1232:
	v_and_b32_e32 v4, 0xffff, v3
	v_lshlrev_b32_e32 v3, 24, v3
	s_delay_alu instid0(VALU_DEP_2) | instskip(NEXT) | instid1(VALU_DEP_2)
	v_and_b32_e32 v5, 7, v4
	v_and_b32_e32 v3, 0x80000000, v3
	s_delay_alu instid0(VALU_DEP_2) | instskip(NEXT) | instid1(VALU_DEP_1)
	v_clz_i32_u32_e32 v7, v5
	v_min_u32_e32 v7, 32, v7
	s_delay_alu instid0(VALU_DEP_1) | instskip(SKIP_1) | instid1(VALU_DEP_2)
	v_subrev_nc_u32_e32 v8, 28, v7
	v_sub_nc_u32_e32 v7, 29, v7
	v_lshlrev_b32_e32 v8, v8, v4
	v_bfe_u32 v4, v4, 3, 4
	s_delay_alu instid0(VALU_DEP_2) | instskip(NEXT) | instid1(VALU_DEP_2)
	v_and_b32_e32 v8, 7, v8
	v_cmp_eq_u32_e32 vcc_lo, 0, v4
	s_delay_alu instid0(VALU_DEP_2) | instskip(NEXT) | instid1(VALU_DEP_1)
	v_dual_cndmask_b32 v4, v4, v7 :: v_dual_cndmask_b32 v5, v5, v8
	v_lshl_add_u32 v4, v4, 23, 0x3b800000
	s_delay_alu instid0(VALU_DEP_2) | instskip(NEXT) | instid1(VALU_DEP_1)
	v_lshlrev_b32_e32 v5, 20, v5
	v_or3_b32 v3, v3, v4, v5
	s_delay_alu instid0(VALU_DEP_1)
	v_cvt_i32_f32_e32 v4, v3
.LBB360_1233:
	s_or_b32 exec_lo, exec_lo, s14
.LBB360_1234:
	s_mov_b32 s13, -1
.LBB360_1235:
	s_branch .LBB360_1266
.LBB360_1236:
	v_cmp_lt_i16_e32 vcc_lo, 22, v10
	s_cbranch_vccz .LBB360_1244
; %bb.1237:
	v_cmp_gt_i16_e32 vcc_lo, 24, v10
	s_cbranch_vccnz .LBB360_1247
; %bb.1238:
	v_cmp_lt_i16_e32 vcc_lo, 24, v10
	s_cbranch_vccz .LBB360_1248
; %bb.1239:
	global_load_u8 v3, v[0:1], off
	s_mov_b32 s13, exec_lo
                                        ; implicit-def: $sgpr14
	s_waitcnt vmcnt(0)
	v_cmpx_lt_i16_e32 0x7f, v3
	s_xor_b32 s13, exec_lo, s13
	s_cbranch_execz .LBB360_1260
; %bb.1240:
	v_cmp_ne_u16_e32 vcc_lo, 0x80, v3
	s_mov_b32 s14, 0
	s_and_b32 s10, vcc_lo, exec_lo
	s_or_saveexec_b32 s13, s13
	v_mov_b32_e32 v4, s14
	s_xor_b32 exec_lo, exec_lo, s13
	s_cbranch_execnz .LBB360_1261
.LBB360_1241:
	s_or_b32 exec_lo, exec_lo, s13
	s_and_saveexec_b32 s13, s10
	s_cbranch_execz .LBB360_1243
.LBB360_1242:
	v_and_b32_e32 v4, 0xffff, v3
	v_lshlrev_b32_e32 v3, 24, v3
	s_delay_alu instid0(VALU_DEP_2) | instskip(NEXT) | instid1(VALU_DEP_2)
	v_and_b32_e32 v5, 3, v4
	v_and_b32_e32 v3, 0x80000000, v3
	s_delay_alu instid0(VALU_DEP_2) | instskip(NEXT) | instid1(VALU_DEP_1)
	v_clz_i32_u32_e32 v7, v5
	v_min_u32_e32 v7, 32, v7
	s_delay_alu instid0(VALU_DEP_1) | instskip(SKIP_1) | instid1(VALU_DEP_2)
	v_subrev_nc_u32_e32 v8, 29, v7
	v_sub_nc_u32_e32 v7, 30, v7
	v_lshlrev_b32_e32 v8, v8, v4
	v_bfe_u32 v4, v4, 2, 5
	s_delay_alu instid0(VALU_DEP_2) | instskip(NEXT) | instid1(VALU_DEP_2)
	v_and_b32_e32 v8, 3, v8
	v_cmp_eq_u32_e32 vcc_lo, 0, v4
	s_delay_alu instid0(VALU_DEP_2) | instskip(NEXT) | instid1(VALU_DEP_1)
	v_dual_cndmask_b32 v4, v4, v7 :: v_dual_cndmask_b32 v5, v5, v8
	v_lshl_add_u32 v4, v4, 23, 0x37800000
	s_delay_alu instid0(VALU_DEP_2) | instskip(NEXT) | instid1(VALU_DEP_1)
	v_lshlrev_b32_e32 v5, 21, v5
	v_or3_b32 v3, v3, v4, v5
	s_delay_alu instid0(VALU_DEP_1)
	v_cvt_i32_f32_e32 v4, v3
.LBB360_1243:
	s_or_b32 exec_lo, exec_lo, s13
	s_mov_b32 s10, 0
	s_branch .LBB360_1249
.LBB360_1244:
	s_mov_b32 s10, -1
                                        ; implicit-def: $vgpr4
	s_branch .LBB360_1255
.LBB360_1245:
	s_or_saveexec_b32 s14, s14
	v_mov_b32_e32 v4, s15
	s_xor_b32 exec_lo, exec_lo, s14
	s_cbranch_execz .LBB360_1231
.LBB360_1246:
	v_cmp_ne_u16_e32 vcc_lo, 0, v3
	v_mov_b32_e32 v4, 0
	s_and_not1_b32 s13, s13, exec_lo
	s_and_b32 s15, vcc_lo, exec_lo
	s_delay_alu instid0(SALU_CYCLE_1)
	s_or_b32 s13, s13, s15
	s_or_b32 exec_lo, exec_lo, s14
	s_and_saveexec_b32 s14, s13
	s_cbranch_execnz .LBB360_1232
	s_branch .LBB360_1233
.LBB360_1247:
	s_mov_b32 s10, -1
                                        ; implicit-def: $vgpr4
	s_branch .LBB360_1252
.LBB360_1248:
	s_mov_b32 s10, -1
                                        ; implicit-def: $vgpr4
.LBB360_1249:
	s_delay_alu instid0(SALU_CYCLE_1)
	s_and_b32 vcc_lo, exec_lo, s10
	s_cbranch_vccz .LBB360_1251
; %bb.1250:
	global_load_u8 v3, v[0:1], off
	s_waitcnt vmcnt(0)
	v_lshlrev_b32_e32 v3, 24, v3
	s_delay_alu instid0(VALU_DEP_1) | instskip(NEXT) | instid1(VALU_DEP_1)
	v_and_b32_e32 v4, 0x7f000000, v3
	v_clz_i32_u32_e32 v5, v4
	v_add_nc_u32_e32 v8, 0x1000000, v4
	v_cmp_ne_u32_e32 vcc_lo, 0, v4
	s_delay_alu instid0(VALU_DEP_3) | instskip(NEXT) | instid1(VALU_DEP_1)
	v_min_u32_e32 v5, 32, v5
	v_sub_nc_u32_e64 v5, v5, 4 clamp
	s_delay_alu instid0(VALU_DEP_1) | instskip(SKIP_1) | instid1(VALU_DEP_2)
	v_lshlrev_b32_e32 v7, v5, v4
	v_lshlrev_b32_e32 v5, 23, v5
	v_lshrrev_b32_e32 v7, 4, v7
	s_delay_alu instid0(VALU_DEP_1) | instskip(SKIP_1) | instid1(VALU_DEP_2)
	v_sub_nc_u32_e32 v5, v7, v5
	v_ashrrev_i32_e32 v7, 8, v8
	v_add_nc_u32_e32 v5, 0x3c000000, v5
	s_delay_alu instid0(VALU_DEP_1) | instskip(NEXT) | instid1(VALU_DEP_1)
	v_and_or_b32 v5, 0x7f800000, v7, v5
	v_cndmask_b32_e32 v4, 0, v5, vcc_lo
	s_delay_alu instid0(VALU_DEP_1) | instskip(NEXT) | instid1(VALU_DEP_1)
	v_and_or_b32 v3, 0x80000000, v3, v4
	v_cvt_i32_f32_e32 v4, v3
.LBB360_1251:
	s_mov_b32 s10, 0
.LBB360_1252:
	s_delay_alu instid0(SALU_CYCLE_1)
	s_and_not1_b32 vcc_lo, exec_lo, s10
	s_cbranch_vccnz .LBB360_1254
; %bb.1253:
	global_load_u8 v3, v[0:1], off
	s_waitcnt vmcnt(0)
	v_lshlrev_b32_e32 v4, 25, v3
	v_lshlrev_b16 v3, 8, v3
	s_delay_alu instid0(VALU_DEP_2) | instskip(NEXT) | instid1(VALU_DEP_2)
	v_lshrrev_b32_e32 v5, 4, v4
	v_and_or_b32 v7, 0x7f00, v3, 0.5
	v_bfe_i32 v3, v3, 0, 16
	s_delay_alu instid0(VALU_DEP_3) | instskip(NEXT) | instid1(VALU_DEP_3)
	v_or_b32_e32 v5, 0x70000000, v5
	v_add_f32_e32 v7, -0.5, v7
	s_delay_alu instid0(VALU_DEP_2) | instskip(SKIP_1) | instid1(VALU_DEP_2)
	v_mul_f32_e32 v5, 0x7800000, v5
	v_cmp_gt_u32_e32 vcc_lo, 0x8000000, v4
	v_cndmask_b32_e32 v4, v5, v7, vcc_lo
	s_delay_alu instid0(VALU_DEP_1) | instskip(NEXT) | instid1(VALU_DEP_1)
	v_and_or_b32 v3, 0x80000000, v3, v4
	v_cvt_i32_f32_e32 v4, v3
.LBB360_1254:
	s_mov_b32 s10, 0
	s_mov_b32 s13, -1
.LBB360_1255:
	s_and_not1_b32 vcc_lo, exec_lo, s10
	s_mov_b32 s10, 0
	s_cbranch_vccnz .LBB360_1266
; %bb.1256:
	v_cmp_lt_i16_e32 vcc_lo, 14, v10
	s_cbranch_vccz .LBB360_1259
; %bb.1257:
	v_cmp_eq_u16_e32 vcc_lo, 15, v10
	s_cbranch_vccz .LBB360_1262
; %bb.1258:
	global_load_u16 v3, v[0:1], off
	s_mov_b32 s0, 0
	s_mov_b32 s13, -1
	s_waitcnt vmcnt(0)
	v_lshlrev_b32_e32 v3, 16, v3
	s_delay_alu instid0(VALU_DEP_1)
	v_cvt_i32_f32_e32 v4, v3
	s_branch .LBB360_1264
.LBB360_1259:
	s_mov_b32 s10, -1
	s_branch .LBB360_1263
.LBB360_1260:
	s_or_saveexec_b32 s13, s13
	v_mov_b32_e32 v4, s14
	s_xor_b32 exec_lo, exec_lo, s13
	s_cbranch_execz .LBB360_1241
.LBB360_1261:
	v_cmp_ne_u16_e32 vcc_lo, 0, v3
	v_mov_b32_e32 v4, 0
	s_and_not1_b32 s10, s10, exec_lo
	s_and_b32 s14, vcc_lo, exec_lo
	s_delay_alu instid0(SALU_CYCLE_1)
	s_or_b32 s10, s10, s14
	s_or_b32 exec_lo, exec_lo, s13
	s_and_saveexec_b32 s13, s10
	s_cbranch_execnz .LBB360_1242
	s_branch .LBB360_1243
.LBB360_1262:
	s_mov_b32 s0, -1
.LBB360_1263:
                                        ; implicit-def: $vgpr4
.LBB360_1264:
	s_and_b32 vcc_lo, exec_lo, s10
	s_mov_b32 s10, 0
	s_cbranch_vccz .LBB360_1266
; %bb.1265:
	v_cmp_ne_u16_e64 s0, 11, v10
	s_mov_b32 s10, -1
                                        ; implicit-def: $vgpr4
.LBB360_1266:
	s_delay_alu instid0(VALU_DEP_1)
	s_and_b32 vcc_lo, exec_lo, s0
	s_cbranch_vccnz .LBB360_1290
; %bb.1267:
	s_and_not1_b32 vcc_lo, exec_lo, s10
	s_cbranch_vccnz .LBB360_1269
.LBB360_1268:
	global_load_u8 v3, v[0:1], off
	s_mov_b32 s13, -1
	s_waitcnt vmcnt(0)
	v_cmp_ne_u16_e32 vcc_lo, 0, v3
	v_cndmask_b32_e64 v4, 0, 1, vcc_lo
.LBB360_1269:
.LBB360_1270:
	s_and_not1_b32 vcc_lo, exec_lo, s13
	s_cbranch_vccnz .LBB360_1963
.LBB360_1271:
	s_waitcnt vmcnt(0)
	v_add_nc_u32_e32 v5, s3, v2
	v_cmp_gt_i16_e32 vcc_lo, 11, v10
	s_delay_alu instid0(VALU_DEP_2) | instskip(SKIP_1) | instid1(VALU_DEP_1)
	v_ashrrev_i32_e32 v1, 31, v5
	v_add_co_u32 v0, s0, s6, v5
	v_add_co_ci_u32_e64 v1, s0, s7, v1, s0
	s_cbranch_vccnz .LBB360_1278
; %bb.1272:
	v_cmp_lt_i16_e32 vcc_lo, 25, v10
	s_mov_b32 s10, 0
	s_cbranch_vccz .LBB360_1284
; %bb.1273:
	v_cmp_lt_i16_e32 vcc_lo, 28, v10
	s_cbranch_vccz .LBB360_1286
; %bb.1274:
	v_cmp_lt_i16_e32 vcc_lo, 43, v10
	;; [unrolled: 3-line block ×3, first 2 shown]
	s_cbranch_vccz .LBB360_1292
; %bb.1276:
	v_cmp_eq_u16_e32 vcc_lo, 46, v10
	s_mov_b32 s14, 0
	s_cbranch_vccz .LBB360_1335
; %bb.1277:
	global_load_b32 v2, v[0:1], off
	s_mov_b32 s0, 0
	s_mov_b32 s13, -1
	s_waitcnt vmcnt(0)
	v_lshlrev_b32_e32 v2, 16, v2
	s_delay_alu instid0(VALU_DEP_1)
	v_cvt_i32_f32_e32 v2, v2
	s_branch .LBB360_1337
.LBB360_1278:
	s_mov_b32 s13, 0
                                        ; implicit-def: $vgpr2
	s_cbranch_execz .LBB360_1399
; %bb.1279:
	v_cmp_gt_i16_e32 vcc_lo, 5, v10
	s_cbranch_vccnz .LBB360_1285
; %bb.1280:
	v_cmp_gt_i16_e32 vcc_lo, 8, v10
	s_cbranch_vccnz .LBB360_1287
	;; [unrolled: 3-line block ×3, first 2 shown]
; %bb.1282:
	v_cmp_lt_i16_e32 vcc_lo, 9, v10
	s_cbranch_vccz .LBB360_1293
; %bb.1283:
	global_load_b64 v[2:3], v[0:1], off
	s_mov_b32 s0, 0
	s_waitcnt vmcnt(0)
	v_cvt_i32_f64_e32 v2, v[2:3]
	s_branch .LBB360_1294
.LBB360_1284:
	s_mov_b32 s14, -1
	s_mov_b32 s13, 0
	s_mov_b32 s0, 0
                                        ; implicit-def: $vgpr2
	s_branch .LBB360_1364
.LBB360_1285:
	s_mov_b32 s0, -1
                                        ; implicit-def: $vgpr2
	s_branch .LBB360_1312
.LBB360_1286:
	s_mov_b32 s14, -1
	s_mov_b32 s13, 0
	s_mov_b32 s0, 0
                                        ; implicit-def: $vgpr2
	s_branch .LBB360_1347
.LBB360_1287:
	s_mov_b32 s0, -1
                                        ; implicit-def: $vgpr2
	s_branch .LBB360_1300
.LBB360_1288:
	s_mov_b32 s14, -1
	s_mov_b32 s13, 0
	s_mov_b32 s0, 0
                                        ; implicit-def: $vgpr2
	s_branch .LBB360_1342
.LBB360_1289:
	s_mov_b32 s0, -1
                                        ; implicit-def: $vgpr2
	s_branch .LBB360_1297
.LBB360_1290:
	s_cbranch_execnz .LBB360_1333
; %bb.1291:
	s_or_b32 s9, s9, exec_lo
                                        ; implicit-def: $vgpr4
	s_cbranch_execz .LBB360_1268
	s_branch .LBB360_1269
.LBB360_1292:
	s_mov_b32 s14, -1
	s_mov_b32 s13, 0
	s_mov_b32 s0, 0
	s_branch .LBB360_1336
.LBB360_1293:
	s_mov_b32 s0, -1
                                        ; implicit-def: $vgpr2
.LBB360_1294:
	s_delay_alu instid0(SALU_CYCLE_1)
	s_and_not1_b32 vcc_lo, exec_lo, s0
	s_cbranch_vccnz .LBB360_1296
; %bb.1295:
	global_load_b32 v2, v[0:1], off
	s_waitcnt vmcnt(0)
	v_cvt_i32_f32_e32 v2, v2
.LBB360_1296:
	s_mov_b32 s0, 0
.LBB360_1297:
	s_delay_alu instid0(SALU_CYCLE_1)
	s_and_not1_b32 vcc_lo, exec_lo, s0
	s_cbranch_vccnz .LBB360_1299
; %bb.1298:
	global_load_b32 v2, v[0:1], off
	s_waitcnt vmcnt(0)
	v_cvt_i16_f16_e32 v2, v2
.LBB360_1299:
	s_mov_b32 s0, 0
.LBB360_1300:
	s_delay_alu instid0(SALU_CYCLE_1)
	s_and_not1_b32 vcc_lo, exec_lo, s0
	s_cbranch_vccnz .LBB360_1311
; %bb.1301:
	v_cmp_gt_i16_e32 vcc_lo, 6, v10
	s_cbranch_vccnz .LBB360_1304
; %bb.1302:
	v_cmp_lt_i16_e32 vcc_lo, 6, v10
	s_cbranch_vccz .LBB360_1305
; %bb.1303:
	global_load_b64 v[2:3], v[0:1], off
	s_mov_b32 s0, 0
	s_waitcnt vmcnt(0)
	v_cvt_i32_f64_e32 v2, v[2:3]
	s_branch .LBB360_1306
.LBB360_1304:
	s_mov_b32 s0, -1
                                        ; implicit-def: $vgpr2
	s_branch .LBB360_1309
.LBB360_1305:
	s_mov_b32 s0, -1
                                        ; implicit-def: $vgpr2
.LBB360_1306:
	s_delay_alu instid0(SALU_CYCLE_1)
	s_and_not1_b32 vcc_lo, exec_lo, s0
	s_cbranch_vccnz .LBB360_1308
; %bb.1307:
	global_load_b32 v2, v[0:1], off
	s_waitcnt vmcnt(0)
	v_cvt_i32_f32_e32 v2, v2
.LBB360_1308:
	s_mov_b32 s0, 0
.LBB360_1309:
	s_delay_alu instid0(SALU_CYCLE_1)
	s_and_not1_b32 vcc_lo, exec_lo, s0
	s_cbranch_vccnz .LBB360_1311
; %bb.1310:
	global_load_u16 v2, v[0:1], off
	s_waitcnt vmcnt(0)
	v_cvt_i16_f16_e32 v2, v2
.LBB360_1311:
	s_mov_b32 s0, 0
.LBB360_1312:
	s_delay_alu instid0(SALU_CYCLE_1)
	s_and_not1_b32 vcc_lo, exec_lo, s0
	s_cbranch_vccnz .LBB360_1332
; %bb.1313:
	v_cmp_gt_i16_e32 vcc_lo, 2, v10
	s_cbranch_vccnz .LBB360_1317
; %bb.1314:
	v_cmp_gt_i16_e32 vcc_lo, 3, v10
	s_cbranch_vccnz .LBB360_1318
; %bb.1315:
	v_cmp_lt_i16_e32 vcc_lo, 3, v10
	s_cbranch_vccz .LBB360_1319
; %bb.1316:
	global_load_b64 v[2:3], v[0:1], off
	s_mov_b32 s0, 0
	s_branch .LBB360_1320
.LBB360_1317:
	s_mov_b32 s0, -1
                                        ; implicit-def: $vgpr2
	s_branch .LBB360_1326
.LBB360_1318:
	s_mov_b32 s0, -1
                                        ; implicit-def: $vgpr2
	s_branch .LBB360_1323
.LBB360_1319:
	s_mov_b32 s0, -1
                                        ; implicit-def: $vgpr2
.LBB360_1320:
	s_delay_alu instid0(SALU_CYCLE_1)
	s_and_not1_b32 vcc_lo, exec_lo, s0
	s_cbranch_vccnz .LBB360_1322
; %bb.1321:
	global_load_b32 v2, v[0:1], off
.LBB360_1322:
	s_mov_b32 s0, 0
.LBB360_1323:
	s_delay_alu instid0(SALU_CYCLE_1)
	s_and_not1_b32 vcc_lo, exec_lo, s0
	s_cbranch_vccnz .LBB360_1325
; %bb.1324:
	global_load_u16 v2, v[0:1], off
.LBB360_1325:
	s_mov_b32 s0, 0
.LBB360_1326:
	s_delay_alu instid0(SALU_CYCLE_1)
	s_and_not1_b32 vcc_lo, exec_lo, s0
	s_cbranch_vccnz .LBB360_1332
; %bb.1327:
	v_cmp_lt_i16_e32 vcc_lo, 0, v10
	s_mov_b32 s0, 0
	s_cbranch_vccz .LBB360_1329
; %bb.1328:
	global_load_u8 v2, v[0:1], off
	s_branch .LBB360_1330
.LBB360_1329:
	s_mov_b32 s0, -1
                                        ; implicit-def: $vgpr2
.LBB360_1330:
	s_delay_alu instid0(SALU_CYCLE_1)
	s_and_not1_b32 vcc_lo, exec_lo, s0
	s_cbranch_vccnz .LBB360_1332
; %bb.1331:
	global_load_u8 v2, v[0:1], off
.LBB360_1332:
	s_branch .LBB360_1400
.LBB360_1333:
	s_trap 2
	s_sendmsg_rtn_b32 s0, sendmsg(MSG_RTN_GET_DOORBELL)
	s_mov_b32 ttmp2, m0
	s_waitcnt lgkmcnt(0)
	s_and_b32 s0, s0, 0x3ff
	s_delay_alu instid0(SALU_CYCLE_1) | instskip(NEXT) | instid1(SALU_CYCLE_1)
	s_bitset1_b32 s0, 10
	s_mov_b32 m0, s0
	s_sendmsg sendmsg(MSG_INTERRUPT)
	s_mov_b32 m0, ttmp2
.LBB360_1334:                           ; =>This Inner Loop Header: Depth=1
	s_sethalt 5
	s_branch .LBB360_1334
.LBB360_1335:
	s_mov_b32 s0, -1
	s_mov_b32 s13, 0
.LBB360_1336:
                                        ; implicit-def: $vgpr2
.LBB360_1337:
	s_and_b32 vcc_lo, exec_lo, s14
	s_cbranch_vccz .LBB360_1341
; %bb.1338:
	v_cmp_eq_u16_e32 vcc_lo, 44, v10
	s_cbranch_vccz .LBB360_1340
; %bb.1339:
	global_load_u8 v2, v[0:1], off
	s_mov_b32 s0, 0
	s_mov_b32 s13, -1
	s_waitcnt vmcnt(0)
	v_lshlrev_b32_e32 v3, 23, v2
	v_cmp_ne_u32_e32 vcc_lo, 0, v2
	s_delay_alu instid0(VALU_DEP_2) | instskip(NEXT) | instid1(VALU_DEP_1)
	v_cvt_i32_f32_e32 v3, v3
	v_cndmask_b32_e32 v2, 0, v3, vcc_lo
	s_branch .LBB360_1341
.LBB360_1340:
	s_mov_b32 s0, -1
                                        ; implicit-def: $vgpr2
.LBB360_1341:
	s_mov_b32 s14, 0
.LBB360_1342:
	s_delay_alu instid0(SALU_CYCLE_1)
	s_and_b32 vcc_lo, exec_lo, s14
	s_cbranch_vccz .LBB360_1346
; %bb.1343:
	v_cmp_eq_u16_e32 vcc_lo, 29, v10
	s_cbranch_vccz .LBB360_1345
; %bb.1344:
	global_load_b64 v[2:3], v[0:1], off
	s_mov_b32 s0, 0
	s_mov_b32 s13, -1
	s_branch .LBB360_1346
.LBB360_1345:
	s_mov_b32 s0, -1
                                        ; implicit-def: $vgpr2
.LBB360_1346:
	s_mov_b32 s14, 0
.LBB360_1347:
	s_delay_alu instid0(SALU_CYCLE_1)
	s_and_b32 vcc_lo, exec_lo, s14
	s_cbranch_vccz .LBB360_1363
; %bb.1348:
	v_cmp_gt_i16_e32 vcc_lo, 27, v10
	s_cbranch_vccnz .LBB360_1351
; %bb.1349:
	v_cmp_lt_i16_e32 vcc_lo, 27, v10
	s_cbranch_vccz .LBB360_1352
; %bb.1350:
	global_load_b32 v2, v[0:1], off
	s_mov_b32 s13, 0
	s_branch .LBB360_1353
.LBB360_1351:
	s_mov_b32 s13, -1
                                        ; implicit-def: $vgpr2
	s_branch .LBB360_1356
.LBB360_1352:
	s_mov_b32 s13, -1
                                        ; implicit-def: $vgpr2
.LBB360_1353:
	s_delay_alu instid0(SALU_CYCLE_1)
	s_and_not1_b32 vcc_lo, exec_lo, s13
	s_cbranch_vccnz .LBB360_1355
; %bb.1354:
	global_load_u16 v2, v[0:1], off
.LBB360_1355:
	s_mov_b32 s13, 0
.LBB360_1356:
	s_delay_alu instid0(SALU_CYCLE_1)
	s_and_not1_b32 vcc_lo, exec_lo, s13
	s_cbranch_vccnz .LBB360_1362
; %bb.1357:
	global_load_u8 v3, v[0:1], off
	s_mov_b32 s13, 0
	s_mov_b32 s14, exec_lo
                                        ; implicit-def: $sgpr15
	s_waitcnt vmcnt(0)
	v_cmpx_lt_i16_e32 0x7f, v3
	s_xor_b32 s14, exec_lo, s14
	s_cbranch_execz .LBB360_1374
; %bb.1358:
	v_cmp_ne_u16_e32 vcc_lo, 0x80, v3
	s_mov_b32 s15, 0
	s_and_b32 s13, vcc_lo, exec_lo
	s_or_saveexec_b32 s14, s14
	v_mov_b32_e32 v2, s15
	s_xor_b32 exec_lo, exec_lo, s14
	s_cbranch_execnz .LBB360_1375
.LBB360_1359:
	s_or_b32 exec_lo, exec_lo, s14
	s_and_saveexec_b32 s14, s13
	s_cbranch_execz .LBB360_1361
.LBB360_1360:
	v_and_b32_e32 v2, 0xffff, v3
	v_lshlrev_b32_e32 v3, 24, v3
	s_delay_alu instid0(VALU_DEP_2) | instskip(NEXT) | instid1(VALU_DEP_2)
	v_and_b32_e32 v7, 7, v2
	v_and_b32_e32 v3, 0x80000000, v3
	s_delay_alu instid0(VALU_DEP_2) | instskip(NEXT) | instid1(VALU_DEP_1)
	v_clz_i32_u32_e32 v8, v7
	v_min_u32_e32 v8, 32, v8
	s_delay_alu instid0(VALU_DEP_1) | instskip(SKIP_1) | instid1(VALU_DEP_2)
	v_subrev_nc_u32_e32 v11, 28, v8
	v_sub_nc_u32_e32 v8, 29, v8
	v_lshlrev_b32_e32 v11, v11, v2
	v_bfe_u32 v2, v2, 3, 4
	s_delay_alu instid0(VALU_DEP_2) | instskip(NEXT) | instid1(VALU_DEP_2)
	v_and_b32_e32 v11, 7, v11
	v_cmp_eq_u32_e32 vcc_lo, 0, v2
	s_delay_alu instid0(VALU_DEP_2) | instskip(NEXT) | instid1(VALU_DEP_1)
	v_dual_cndmask_b32 v2, v2, v8 :: v_dual_cndmask_b32 v7, v7, v11
	v_lshl_add_u32 v2, v2, 23, 0x3b800000
	s_delay_alu instid0(VALU_DEP_2) | instskip(NEXT) | instid1(VALU_DEP_1)
	v_lshlrev_b32_e32 v7, 20, v7
	v_or3_b32 v2, v3, v2, v7
	s_delay_alu instid0(VALU_DEP_1)
	v_cvt_i32_f32_e32 v2, v2
.LBB360_1361:
	s_or_b32 exec_lo, exec_lo, s14
.LBB360_1362:
	s_mov_b32 s13, -1
.LBB360_1363:
	s_mov_b32 s14, 0
.LBB360_1364:
	s_delay_alu instid0(SALU_CYCLE_1)
	s_and_b32 vcc_lo, exec_lo, s14
	s_cbranch_vccz .LBB360_1395
; %bb.1365:
	v_cmp_lt_i16_e32 vcc_lo, 22, v10
	s_cbranch_vccz .LBB360_1373
; %bb.1366:
	v_cmp_gt_i16_e32 vcc_lo, 24, v10
	s_cbranch_vccnz .LBB360_1376
; %bb.1367:
	v_cmp_lt_i16_e32 vcc_lo, 24, v10
	s_cbranch_vccz .LBB360_1377
; %bb.1368:
	global_load_u8 v3, v[0:1], off
	s_mov_b32 s13, exec_lo
                                        ; implicit-def: $sgpr14
	s_waitcnt vmcnt(0)
	v_cmpx_lt_i16_e32 0x7f, v3
	s_xor_b32 s13, exec_lo, s13
	s_cbranch_execz .LBB360_1389
; %bb.1369:
	v_cmp_ne_u16_e32 vcc_lo, 0x80, v3
	s_mov_b32 s14, 0
	s_and_b32 s10, vcc_lo, exec_lo
	s_or_saveexec_b32 s13, s13
	v_mov_b32_e32 v2, s14
	s_xor_b32 exec_lo, exec_lo, s13
	s_cbranch_execnz .LBB360_1390
.LBB360_1370:
	s_or_b32 exec_lo, exec_lo, s13
	s_and_saveexec_b32 s13, s10
	s_cbranch_execz .LBB360_1372
.LBB360_1371:
	v_and_b32_e32 v2, 0xffff, v3
	v_lshlrev_b32_e32 v3, 24, v3
	s_delay_alu instid0(VALU_DEP_2) | instskip(NEXT) | instid1(VALU_DEP_2)
	v_and_b32_e32 v7, 3, v2
	v_and_b32_e32 v3, 0x80000000, v3
	s_delay_alu instid0(VALU_DEP_2) | instskip(NEXT) | instid1(VALU_DEP_1)
	v_clz_i32_u32_e32 v8, v7
	v_min_u32_e32 v8, 32, v8
	s_delay_alu instid0(VALU_DEP_1) | instskip(SKIP_1) | instid1(VALU_DEP_2)
	v_subrev_nc_u32_e32 v11, 29, v8
	v_sub_nc_u32_e32 v8, 30, v8
	v_lshlrev_b32_e32 v11, v11, v2
	v_bfe_u32 v2, v2, 2, 5
	s_delay_alu instid0(VALU_DEP_2) | instskip(NEXT) | instid1(VALU_DEP_2)
	v_and_b32_e32 v11, 3, v11
	v_cmp_eq_u32_e32 vcc_lo, 0, v2
	s_delay_alu instid0(VALU_DEP_2) | instskip(NEXT) | instid1(VALU_DEP_1)
	v_dual_cndmask_b32 v2, v2, v8 :: v_dual_cndmask_b32 v7, v7, v11
	v_lshl_add_u32 v2, v2, 23, 0x37800000
	s_delay_alu instid0(VALU_DEP_2) | instskip(NEXT) | instid1(VALU_DEP_1)
	v_lshlrev_b32_e32 v7, 21, v7
	v_or3_b32 v2, v3, v2, v7
	s_delay_alu instid0(VALU_DEP_1)
	v_cvt_i32_f32_e32 v2, v2
.LBB360_1372:
	s_or_b32 exec_lo, exec_lo, s13
	s_mov_b32 s10, 0
	s_branch .LBB360_1378
.LBB360_1373:
	s_mov_b32 s10, -1
                                        ; implicit-def: $vgpr2
	s_branch .LBB360_1384
.LBB360_1374:
	s_or_saveexec_b32 s14, s14
	v_mov_b32_e32 v2, s15
	s_xor_b32 exec_lo, exec_lo, s14
	s_cbranch_execz .LBB360_1359
.LBB360_1375:
	v_cmp_ne_u16_e32 vcc_lo, 0, v3
	v_mov_b32_e32 v2, 0
	s_and_not1_b32 s13, s13, exec_lo
	s_and_b32 s15, vcc_lo, exec_lo
	s_delay_alu instid0(SALU_CYCLE_1)
	s_or_b32 s13, s13, s15
	s_or_b32 exec_lo, exec_lo, s14
	s_and_saveexec_b32 s14, s13
	s_cbranch_execnz .LBB360_1360
	s_branch .LBB360_1361
.LBB360_1376:
	s_mov_b32 s10, -1
                                        ; implicit-def: $vgpr2
	s_branch .LBB360_1381
.LBB360_1377:
	s_mov_b32 s10, -1
                                        ; implicit-def: $vgpr2
.LBB360_1378:
	s_delay_alu instid0(SALU_CYCLE_1)
	s_and_b32 vcc_lo, exec_lo, s10
	s_cbranch_vccz .LBB360_1380
; %bb.1379:
	global_load_u8 v2, v[0:1], off
	s_waitcnt vmcnt(0)
	v_lshlrev_b32_e32 v2, 24, v2
	s_delay_alu instid0(VALU_DEP_1) | instskip(NEXT) | instid1(VALU_DEP_1)
	v_and_b32_e32 v3, 0x7f000000, v2
	v_clz_i32_u32_e32 v7, v3
	v_add_nc_u32_e32 v11, 0x1000000, v3
	v_cmp_ne_u32_e32 vcc_lo, 0, v3
	s_delay_alu instid0(VALU_DEP_3) | instskip(NEXT) | instid1(VALU_DEP_1)
	v_min_u32_e32 v7, 32, v7
	v_sub_nc_u32_e64 v7, v7, 4 clamp
	s_delay_alu instid0(VALU_DEP_1) | instskip(SKIP_1) | instid1(VALU_DEP_2)
	v_lshlrev_b32_e32 v8, v7, v3
	v_lshlrev_b32_e32 v7, 23, v7
	v_lshrrev_b32_e32 v8, 4, v8
	s_delay_alu instid0(VALU_DEP_1) | instskip(SKIP_1) | instid1(VALU_DEP_2)
	v_sub_nc_u32_e32 v7, v8, v7
	v_ashrrev_i32_e32 v8, 8, v11
	v_add_nc_u32_e32 v7, 0x3c000000, v7
	s_delay_alu instid0(VALU_DEP_1) | instskip(NEXT) | instid1(VALU_DEP_1)
	v_and_or_b32 v7, 0x7f800000, v8, v7
	v_cndmask_b32_e32 v3, 0, v7, vcc_lo
	s_delay_alu instid0(VALU_DEP_1) | instskip(NEXT) | instid1(VALU_DEP_1)
	v_and_or_b32 v2, 0x80000000, v2, v3
	v_cvt_i32_f32_e32 v2, v2
.LBB360_1380:
	s_mov_b32 s10, 0
.LBB360_1381:
	s_delay_alu instid0(SALU_CYCLE_1)
	s_and_not1_b32 vcc_lo, exec_lo, s10
	s_cbranch_vccnz .LBB360_1383
; %bb.1382:
	global_load_u8 v2, v[0:1], off
	s_waitcnt vmcnt(0)
	v_lshlrev_b32_e32 v3, 25, v2
	v_lshlrev_b16 v2, 8, v2
	s_delay_alu instid0(VALU_DEP_1) | instskip(SKIP_1) | instid1(VALU_DEP_2)
	v_and_or_b32 v8, 0x7f00, v2, 0.5
	v_bfe_i32 v2, v2, 0, 16
	v_add_f32_e32 v8, -0.5, v8
	v_lshrrev_b32_e32 v7, 4, v3
	v_cmp_gt_u32_e32 vcc_lo, 0x8000000, v3
	s_delay_alu instid0(VALU_DEP_2) | instskip(NEXT) | instid1(VALU_DEP_1)
	v_or_b32_e32 v7, 0x70000000, v7
	v_mul_f32_e32 v7, 0x7800000, v7
	s_delay_alu instid0(VALU_DEP_1) | instskip(NEXT) | instid1(VALU_DEP_1)
	v_cndmask_b32_e32 v3, v7, v8, vcc_lo
	v_and_or_b32 v2, 0x80000000, v2, v3
	s_delay_alu instid0(VALU_DEP_1)
	v_cvt_i32_f32_e32 v2, v2
.LBB360_1383:
	s_mov_b32 s10, 0
	s_mov_b32 s13, -1
.LBB360_1384:
	s_and_not1_b32 vcc_lo, exec_lo, s10
	s_mov_b32 s10, 0
	s_cbranch_vccnz .LBB360_1395
; %bb.1385:
	v_cmp_lt_i16_e32 vcc_lo, 14, v10
	s_cbranch_vccz .LBB360_1388
; %bb.1386:
	v_cmp_eq_u16_e32 vcc_lo, 15, v10
	s_cbranch_vccz .LBB360_1391
; %bb.1387:
	global_load_u16 v2, v[0:1], off
	s_mov_b32 s0, 0
	s_mov_b32 s13, -1
	s_waitcnt vmcnt(0)
	v_lshlrev_b32_e32 v2, 16, v2
	s_delay_alu instid0(VALU_DEP_1)
	v_cvt_i32_f32_e32 v2, v2
	s_branch .LBB360_1393
.LBB360_1388:
	s_mov_b32 s10, -1
	s_branch .LBB360_1392
.LBB360_1389:
	s_or_saveexec_b32 s13, s13
	v_mov_b32_e32 v2, s14
	s_xor_b32 exec_lo, exec_lo, s13
	s_cbranch_execz .LBB360_1370
.LBB360_1390:
	v_cmp_ne_u16_e32 vcc_lo, 0, v3
	v_mov_b32_e32 v2, 0
	s_and_not1_b32 s10, s10, exec_lo
	s_and_b32 s14, vcc_lo, exec_lo
	s_delay_alu instid0(SALU_CYCLE_1)
	s_or_b32 s10, s10, s14
	s_or_b32 exec_lo, exec_lo, s13
	s_and_saveexec_b32 s13, s10
	s_cbranch_execnz .LBB360_1371
	s_branch .LBB360_1372
.LBB360_1391:
	s_mov_b32 s0, -1
.LBB360_1392:
                                        ; implicit-def: $vgpr2
.LBB360_1393:
	s_and_b32 vcc_lo, exec_lo, s10
	s_mov_b32 s10, 0
	s_cbranch_vccz .LBB360_1395
; %bb.1394:
	v_cmp_ne_u16_e64 s0, 11, v10
	s_mov_b32 s10, -1
                                        ; implicit-def: $vgpr2
.LBB360_1395:
	s_delay_alu instid0(VALU_DEP_1)
	s_and_b32 vcc_lo, exec_lo, s0
	s_cbranch_vccnz .LBB360_1411
; %bb.1396:
	s_and_not1_b32 vcc_lo, exec_lo, s10
	s_cbranch_vccnz .LBB360_1398
.LBB360_1397:
	global_load_u8 v2, v[0:1], off
	s_mov_b32 s13, -1
	s_waitcnt vmcnt(0)
	v_cmp_ne_u16_e32 vcc_lo, 0, v2
	v_cndmask_b32_e64 v2, 0, 1, vcc_lo
.LBB360_1398:
.LBB360_1399:
	s_and_not1_b32 vcc_lo, exec_lo, s13
	s_cbranch_vccnz .LBB360_1963
.LBB360_1400:
	v_add_nc_u32_e32 v0, s3, v5
	v_cmp_gt_i16_e32 vcc_lo, 11, v10
	s_delay_alu instid0(VALU_DEP_2) | instskip(SKIP_1) | instid1(VALU_DEP_1)
	v_ashrrev_i32_e32 v1, 31, v0
	v_add_co_u32 v7, s0, s6, v0
	v_add_co_ci_u32_e64 v8, s0, s7, v1, s0
	s_cbranch_vccnz .LBB360_1407
; %bb.1401:
	v_cmp_lt_i16_e32 vcc_lo, 25, v10
	s_mov_b32 s3, 0
	s_cbranch_vccz .LBB360_1408
; %bb.1402:
	v_cmp_lt_i16_e32 vcc_lo, 28, v10
	s_cbranch_vccz .LBB360_1409
; %bb.1403:
	v_cmp_lt_i16_e32 vcc_lo, 43, v10
	;; [unrolled: 3-line block ×3, first 2 shown]
	s_cbranch_vccz .LBB360_1413
; %bb.1405:
	v_cmp_eq_u16_e32 vcc_lo, 46, v10
	s_mov_b32 s7, 0
	s_cbranch_vccz .LBB360_1416
; %bb.1406:
	global_load_b32 v0, v[7:8], off
	s_mov_b32 s0, 0
	s_mov_b32 s6, -1
	s_waitcnt vmcnt(0)
	v_lshlrev_b32_e32 v0, 16, v0
	s_delay_alu instid0(VALU_DEP_1)
	v_cvt_i32_f32_e32 v0, v0
	s_branch .LBB360_1418
.LBB360_1407:
	s_mov_b32 s0, -1
	s_mov_b32 s6, 0
                                        ; implicit-def: $vgpr0
	s_branch .LBB360_1480
.LBB360_1408:
	s_mov_b32 s7, -1
	s_mov_b32 s6, 0
	s_mov_b32 s0, 0
                                        ; implicit-def: $vgpr0
	s_branch .LBB360_1445
.LBB360_1409:
	s_mov_b32 s7, -1
	s_mov_b32 s6, 0
	s_mov_b32 s0, 0
                                        ; implicit-def: $vgpr0
	s_branch .LBB360_1428
.LBB360_1410:
	s_mov_b32 s7, -1
	s_mov_b32 s6, 0
	s_mov_b32 s0, 0
                                        ; implicit-def: $vgpr0
	s_branch .LBB360_1423
.LBB360_1411:
	s_cbranch_execnz .LBB360_1414
; %bb.1412:
	s_or_b32 s9, s9, exec_lo
                                        ; implicit-def: $vgpr2
	s_cbranch_execz .LBB360_1397
	s_branch .LBB360_1398
.LBB360_1413:
	s_mov_b32 s7, -1
	s_mov_b32 s6, 0
	s_mov_b32 s0, 0
	s_branch .LBB360_1417
.LBB360_1414:
	s_trap 2
	s_sendmsg_rtn_b32 s0, sendmsg(MSG_RTN_GET_DOORBELL)
	s_mov_b32 ttmp2, m0
	s_waitcnt lgkmcnt(0)
	s_and_b32 s0, s0, 0x3ff
	s_delay_alu instid0(SALU_CYCLE_1) | instskip(NEXT) | instid1(SALU_CYCLE_1)
	s_bitset1_b32 s0, 10
	s_mov_b32 m0, s0
	s_sendmsg sendmsg(MSG_INTERRUPT)
	s_mov_b32 m0, ttmp2
.LBB360_1415:                           ; =>This Inner Loop Header: Depth=1
	s_sethalt 5
	s_branch .LBB360_1415
.LBB360_1416:
	s_mov_b32 s0, -1
	s_mov_b32 s6, 0
.LBB360_1417:
                                        ; implicit-def: $vgpr0
.LBB360_1418:
	s_and_b32 vcc_lo, exec_lo, s7
	s_cbranch_vccz .LBB360_1422
; %bb.1419:
	v_cmp_eq_u16_e32 vcc_lo, 44, v10
	s_cbranch_vccz .LBB360_1421
; %bb.1420:
	global_load_u8 v0, v[7:8], off
	s_mov_b32 s0, 0
	s_mov_b32 s6, -1
	s_waitcnt vmcnt(0)
	v_lshlrev_b32_e32 v1, 23, v0
	v_cmp_ne_u32_e32 vcc_lo, 0, v0
	s_delay_alu instid0(VALU_DEP_2) | instskip(NEXT) | instid1(VALU_DEP_1)
	v_cvt_i32_f32_e32 v1, v1
	v_cndmask_b32_e32 v0, 0, v1, vcc_lo
	s_branch .LBB360_1422
.LBB360_1421:
	s_mov_b32 s0, -1
                                        ; implicit-def: $vgpr0
.LBB360_1422:
	s_mov_b32 s7, 0
.LBB360_1423:
	s_delay_alu instid0(SALU_CYCLE_1)
	s_and_b32 vcc_lo, exec_lo, s7
	s_cbranch_vccz .LBB360_1427
; %bb.1424:
	v_cmp_eq_u16_e32 vcc_lo, 29, v10
	s_cbranch_vccz .LBB360_1426
; %bb.1425:
	global_load_b64 v[0:1], v[7:8], off
	s_mov_b32 s0, 0
	s_mov_b32 s6, -1
	s_branch .LBB360_1427
.LBB360_1426:
	s_mov_b32 s0, -1
                                        ; implicit-def: $vgpr0
.LBB360_1427:
	s_mov_b32 s7, 0
.LBB360_1428:
	s_delay_alu instid0(SALU_CYCLE_1)
	s_and_b32 vcc_lo, exec_lo, s7
	s_cbranch_vccz .LBB360_1444
; %bb.1429:
	v_cmp_gt_i16_e32 vcc_lo, 27, v10
	s_cbranch_vccnz .LBB360_1432
; %bb.1430:
	v_cmp_lt_i16_e32 vcc_lo, 27, v10
	s_cbranch_vccz .LBB360_1433
; %bb.1431:
	global_load_b32 v0, v[7:8], off
	s_mov_b32 s6, 0
	s_branch .LBB360_1434
.LBB360_1432:
	s_mov_b32 s6, -1
                                        ; implicit-def: $vgpr0
	s_branch .LBB360_1437
.LBB360_1433:
	s_mov_b32 s6, -1
                                        ; implicit-def: $vgpr0
.LBB360_1434:
	s_delay_alu instid0(SALU_CYCLE_1)
	s_and_not1_b32 vcc_lo, exec_lo, s6
	s_cbranch_vccnz .LBB360_1436
; %bb.1435:
	global_load_u16 v0, v[7:8], off
.LBB360_1436:
	s_mov_b32 s6, 0
.LBB360_1437:
	s_delay_alu instid0(SALU_CYCLE_1)
	s_and_not1_b32 vcc_lo, exec_lo, s6
	s_cbranch_vccnz .LBB360_1443
; %bb.1438:
	global_load_u8 v1, v[7:8], off
	s_mov_b32 s6, 0
	s_mov_b32 s7, exec_lo
                                        ; implicit-def: $sgpr10
	s_waitcnt vmcnt(0)
	v_cmpx_lt_i16_e32 0x7f, v1
	s_xor_b32 s7, exec_lo, s7
	s_cbranch_execz .LBB360_1455
; %bb.1439:
	v_cmp_ne_u16_e32 vcc_lo, 0x80, v1
	s_mov_b32 s10, 0
	s_and_b32 s6, vcc_lo, exec_lo
	s_or_saveexec_b32 s7, s7
	v_mov_b32_e32 v0, s10
	s_xor_b32 exec_lo, exec_lo, s7
	s_cbranch_execnz .LBB360_1456
.LBB360_1440:
	s_or_b32 exec_lo, exec_lo, s7
	s_and_saveexec_b32 s7, s6
	s_cbranch_execz .LBB360_1442
.LBB360_1441:
	v_and_b32_e32 v0, 0xffff, v1
	v_lshlrev_b32_e32 v1, 24, v1
	s_delay_alu instid0(VALU_DEP_2) | instskip(NEXT) | instid1(VALU_DEP_2)
	v_and_b32_e32 v3, 7, v0
	v_and_b32_e32 v1, 0x80000000, v1
	s_delay_alu instid0(VALU_DEP_2) | instskip(NEXT) | instid1(VALU_DEP_1)
	v_clz_i32_u32_e32 v5, v3
	v_min_u32_e32 v5, 32, v5
	s_delay_alu instid0(VALU_DEP_1) | instskip(SKIP_1) | instid1(VALU_DEP_2)
	v_subrev_nc_u32_e32 v11, 28, v5
	v_sub_nc_u32_e32 v5, 29, v5
	v_lshlrev_b32_e32 v11, v11, v0
	v_bfe_u32 v0, v0, 3, 4
	s_delay_alu instid0(VALU_DEP_2) | instskip(NEXT) | instid1(VALU_DEP_2)
	v_and_b32_e32 v11, 7, v11
	v_cmp_eq_u32_e32 vcc_lo, 0, v0
	s_delay_alu instid0(VALU_DEP_2) | instskip(NEXT) | instid1(VALU_DEP_1)
	v_dual_cndmask_b32 v0, v0, v5 :: v_dual_cndmask_b32 v3, v3, v11
	v_lshl_add_u32 v0, v0, 23, 0x3b800000
	s_delay_alu instid0(VALU_DEP_2) | instskip(NEXT) | instid1(VALU_DEP_1)
	v_lshlrev_b32_e32 v3, 20, v3
	v_or3_b32 v0, v1, v0, v3
	s_delay_alu instid0(VALU_DEP_1)
	v_cvt_i32_f32_e32 v0, v0
.LBB360_1442:
	s_or_b32 exec_lo, exec_lo, s7
.LBB360_1443:
	s_mov_b32 s6, -1
.LBB360_1444:
	s_mov_b32 s7, 0
.LBB360_1445:
	s_delay_alu instid0(SALU_CYCLE_1)
	s_and_b32 vcc_lo, exec_lo, s7
	s_cbranch_vccz .LBB360_1476
; %bb.1446:
	v_cmp_lt_i16_e32 vcc_lo, 22, v10
	s_cbranch_vccz .LBB360_1454
; %bb.1447:
	v_cmp_gt_i16_e32 vcc_lo, 24, v10
	s_cbranch_vccnz .LBB360_1457
; %bb.1448:
	v_cmp_lt_i16_e32 vcc_lo, 24, v10
	s_cbranch_vccz .LBB360_1458
; %bb.1449:
	global_load_u8 v1, v[7:8], off
	s_mov_b32 s6, exec_lo
                                        ; implicit-def: $sgpr7
	s_waitcnt vmcnt(0)
	v_cmpx_lt_i16_e32 0x7f, v1
	s_xor_b32 s6, exec_lo, s6
	s_cbranch_execz .LBB360_1470
; %bb.1450:
	v_cmp_ne_u16_e32 vcc_lo, 0x80, v1
	s_mov_b32 s7, 0
	s_and_b32 s3, vcc_lo, exec_lo
	s_or_saveexec_b32 s6, s6
	v_mov_b32_e32 v0, s7
	s_xor_b32 exec_lo, exec_lo, s6
	s_cbranch_execnz .LBB360_1471
.LBB360_1451:
	s_or_b32 exec_lo, exec_lo, s6
	s_and_saveexec_b32 s6, s3
	s_cbranch_execz .LBB360_1453
.LBB360_1452:
	v_and_b32_e32 v0, 0xffff, v1
	v_lshlrev_b32_e32 v1, 24, v1
	s_delay_alu instid0(VALU_DEP_2) | instskip(NEXT) | instid1(VALU_DEP_2)
	v_and_b32_e32 v3, 3, v0
	v_and_b32_e32 v1, 0x80000000, v1
	s_delay_alu instid0(VALU_DEP_2) | instskip(NEXT) | instid1(VALU_DEP_1)
	v_clz_i32_u32_e32 v5, v3
	v_min_u32_e32 v5, 32, v5
	s_delay_alu instid0(VALU_DEP_1) | instskip(SKIP_1) | instid1(VALU_DEP_2)
	v_subrev_nc_u32_e32 v11, 29, v5
	v_sub_nc_u32_e32 v5, 30, v5
	v_lshlrev_b32_e32 v11, v11, v0
	v_bfe_u32 v0, v0, 2, 5
	s_delay_alu instid0(VALU_DEP_2) | instskip(NEXT) | instid1(VALU_DEP_2)
	v_and_b32_e32 v11, 3, v11
	v_cmp_eq_u32_e32 vcc_lo, 0, v0
	s_delay_alu instid0(VALU_DEP_2) | instskip(NEXT) | instid1(VALU_DEP_1)
	v_dual_cndmask_b32 v0, v0, v5 :: v_dual_cndmask_b32 v3, v3, v11
	v_lshl_add_u32 v0, v0, 23, 0x37800000
	s_delay_alu instid0(VALU_DEP_2) | instskip(NEXT) | instid1(VALU_DEP_1)
	v_lshlrev_b32_e32 v3, 21, v3
	v_or3_b32 v0, v1, v0, v3
	s_delay_alu instid0(VALU_DEP_1)
	v_cvt_i32_f32_e32 v0, v0
.LBB360_1453:
	s_or_b32 exec_lo, exec_lo, s6
	s_mov_b32 s3, 0
	s_branch .LBB360_1459
.LBB360_1454:
	s_mov_b32 s3, -1
                                        ; implicit-def: $vgpr0
	s_branch .LBB360_1465
.LBB360_1455:
	s_or_saveexec_b32 s7, s7
	v_mov_b32_e32 v0, s10
	s_xor_b32 exec_lo, exec_lo, s7
	s_cbranch_execz .LBB360_1440
.LBB360_1456:
	v_cmp_ne_u16_e32 vcc_lo, 0, v1
	v_mov_b32_e32 v0, 0
	s_and_not1_b32 s6, s6, exec_lo
	s_and_b32 s10, vcc_lo, exec_lo
	s_delay_alu instid0(SALU_CYCLE_1)
	s_or_b32 s6, s6, s10
	s_or_b32 exec_lo, exec_lo, s7
	s_and_saveexec_b32 s7, s6
	s_cbranch_execnz .LBB360_1441
	s_branch .LBB360_1442
.LBB360_1457:
	s_mov_b32 s3, -1
                                        ; implicit-def: $vgpr0
	s_branch .LBB360_1462
.LBB360_1458:
	s_mov_b32 s3, -1
                                        ; implicit-def: $vgpr0
.LBB360_1459:
	s_delay_alu instid0(SALU_CYCLE_1)
	s_and_b32 vcc_lo, exec_lo, s3
	s_cbranch_vccz .LBB360_1461
; %bb.1460:
	global_load_u8 v0, v[7:8], off
	s_waitcnt vmcnt(0)
	v_lshlrev_b32_e32 v0, 24, v0
	s_delay_alu instid0(VALU_DEP_1) | instskip(NEXT) | instid1(VALU_DEP_1)
	v_and_b32_e32 v1, 0x7f000000, v0
	v_clz_i32_u32_e32 v3, v1
	v_add_nc_u32_e32 v11, 0x1000000, v1
	v_cmp_ne_u32_e32 vcc_lo, 0, v1
	s_delay_alu instid0(VALU_DEP_3) | instskip(NEXT) | instid1(VALU_DEP_1)
	v_min_u32_e32 v3, 32, v3
	v_sub_nc_u32_e64 v3, v3, 4 clamp
	s_delay_alu instid0(VALU_DEP_1) | instskip(SKIP_1) | instid1(VALU_DEP_2)
	v_lshlrev_b32_e32 v5, v3, v1
	v_lshlrev_b32_e32 v3, 23, v3
	v_lshrrev_b32_e32 v5, 4, v5
	s_delay_alu instid0(VALU_DEP_1) | instskip(SKIP_1) | instid1(VALU_DEP_2)
	v_sub_nc_u32_e32 v3, v5, v3
	v_ashrrev_i32_e32 v5, 8, v11
	v_add_nc_u32_e32 v3, 0x3c000000, v3
	s_delay_alu instid0(VALU_DEP_1) | instskip(NEXT) | instid1(VALU_DEP_1)
	v_and_or_b32 v3, 0x7f800000, v5, v3
	v_cndmask_b32_e32 v1, 0, v3, vcc_lo
	s_delay_alu instid0(VALU_DEP_1) | instskip(NEXT) | instid1(VALU_DEP_1)
	v_and_or_b32 v0, 0x80000000, v0, v1
	v_cvt_i32_f32_e32 v0, v0
.LBB360_1461:
	s_mov_b32 s3, 0
.LBB360_1462:
	s_delay_alu instid0(SALU_CYCLE_1)
	s_and_not1_b32 vcc_lo, exec_lo, s3
	s_cbranch_vccnz .LBB360_1464
; %bb.1463:
	global_load_u8 v0, v[7:8], off
	s_waitcnt vmcnt(0)
	v_lshlrev_b32_e32 v1, 25, v0
	v_lshlrev_b16 v0, 8, v0
	s_delay_alu instid0(VALU_DEP_2) | instskip(NEXT) | instid1(VALU_DEP_2)
	v_lshrrev_b32_e32 v3, 4, v1
	v_and_or_b32 v5, 0x7f00, v0, 0.5
	v_cmp_gt_u32_e32 vcc_lo, 0x8000000, v1
	v_bfe_i32 v0, v0, 0, 16
	s_delay_alu instid0(VALU_DEP_4) | instskip(NEXT) | instid1(VALU_DEP_4)
	v_or_b32_e32 v3, 0x70000000, v3
	v_add_f32_e32 v5, -0.5, v5
	s_delay_alu instid0(VALU_DEP_2) | instskip(NEXT) | instid1(VALU_DEP_1)
	v_mul_f32_e32 v3, 0x7800000, v3
	v_cndmask_b32_e32 v1, v3, v5, vcc_lo
	s_delay_alu instid0(VALU_DEP_1) | instskip(NEXT) | instid1(VALU_DEP_1)
	v_and_or_b32 v0, 0x80000000, v0, v1
	v_cvt_i32_f32_e32 v0, v0
.LBB360_1464:
	s_mov_b32 s3, 0
	s_mov_b32 s6, -1
.LBB360_1465:
	s_and_not1_b32 vcc_lo, exec_lo, s3
	s_mov_b32 s3, 0
	s_cbranch_vccnz .LBB360_1476
; %bb.1466:
	v_cmp_lt_i16_e32 vcc_lo, 14, v10
	s_cbranch_vccz .LBB360_1469
; %bb.1467:
	v_cmp_eq_u16_e32 vcc_lo, 15, v10
	s_cbranch_vccz .LBB360_1472
; %bb.1468:
	global_load_u16 v0, v[7:8], off
	s_mov_b32 s0, 0
	s_mov_b32 s6, -1
	s_waitcnt vmcnt(0)
	v_lshlrev_b32_e32 v0, 16, v0
	s_delay_alu instid0(VALU_DEP_1)
	v_cvt_i32_f32_e32 v0, v0
	s_branch .LBB360_1474
.LBB360_1469:
	s_mov_b32 s3, -1
	s_branch .LBB360_1473
.LBB360_1470:
	s_or_saveexec_b32 s6, s6
	v_mov_b32_e32 v0, s7
	s_xor_b32 exec_lo, exec_lo, s6
	s_cbranch_execz .LBB360_1451
.LBB360_1471:
	v_cmp_ne_u16_e32 vcc_lo, 0, v1
	v_mov_b32_e32 v0, 0
	s_and_not1_b32 s3, s3, exec_lo
	s_and_b32 s7, vcc_lo, exec_lo
	s_delay_alu instid0(SALU_CYCLE_1)
	s_or_b32 s3, s3, s7
	s_or_b32 exec_lo, exec_lo, s6
	s_and_saveexec_b32 s6, s3
	s_cbranch_execnz .LBB360_1452
	s_branch .LBB360_1453
.LBB360_1472:
	s_mov_b32 s0, -1
.LBB360_1473:
                                        ; implicit-def: $vgpr0
.LBB360_1474:
	s_and_b32 vcc_lo, exec_lo, s3
	s_mov_b32 s3, 0
	s_cbranch_vccz .LBB360_1476
; %bb.1475:
	v_cmp_ne_u16_e64 s0, 11, v10
	s_mov_b32 s3, -1
                                        ; implicit-def: $vgpr0
.LBB360_1476:
	s_delay_alu instid0(VALU_DEP_1)
	s_and_b32 vcc_lo, exec_lo, s0
	s_cbranch_vccnz .LBB360_2009
; %bb.1477:
	s_and_not1_b32 vcc_lo, exec_lo, s3
	s_cbranch_vccnz .LBB360_1479
.LBB360_1478:
	global_load_u8 v0, v[7:8], off
	s_mov_b32 s6, -1
	s_waitcnt vmcnt(0)
	v_cmp_ne_u16_e32 vcc_lo, 0, v0
	v_cndmask_b32_e64 v0, 0, 1, vcc_lo
.LBB360_1479:
	s_mov_b32 s0, 0
.LBB360_1480:
	s_delay_alu instid0(SALU_CYCLE_1)
	s_and_b32 vcc_lo, exec_lo, s0
	s_cbranch_vccz .LBB360_1529
; %bb.1481:
	v_cmp_gt_i16_e32 vcc_lo, 5, v10
	s_cbranch_vccnz .LBB360_1486
; %bb.1482:
	v_cmp_gt_i16_e32 vcc_lo, 8, v10
	s_cbranch_vccnz .LBB360_1487
; %bb.1483:
	v_cmp_gt_i16_e32 vcc_lo, 9, v10
	s_cbranch_vccnz .LBB360_1488
; %bb.1484:
	v_cmp_lt_i16_e32 vcc_lo, 9, v10
	s_cbranch_vccz .LBB360_1489
; %bb.1485:
	global_load_b64 v[0:1], v[7:8], off
	s_mov_b32 s0, 0
	s_waitcnt vmcnt(0)
	v_cvt_i32_f64_e32 v0, v[0:1]
	s_branch .LBB360_1490
.LBB360_1486:
	s_mov_b32 s0, -1
                                        ; implicit-def: $vgpr0
	s_branch .LBB360_1508
.LBB360_1487:
	s_mov_b32 s0, -1
                                        ; implicit-def: $vgpr0
	s_branch .LBB360_1496
.LBB360_1488:
	s_mov_b32 s0, -1
                                        ; implicit-def: $vgpr0
	s_branch .LBB360_1493
.LBB360_1489:
	s_mov_b32 s0, -1
                                        ; implicit-def: $vgpr0
.LBB360_1490:
	s_delay_alu instid0(SALU_CYCLE_1)
	s_and_not1_b32 vcc_lo, exec_lo, s0
	s_cbranch_vccnz .LBB360_1492
; %bb.1491:
	global_load_b32 v0, v[7:8], off
	s_waitcnt vmcnt(0)
	v_cvt_i32_f32_e32 v0, v0
.LBB360_1492:
	s_mov_b32 s0, 0
.LBB360_1493:
	s_delay_alu instid0(SALU_CYCLE_1)
	s_and_not1_b32 vcc_lo, exec_lo, s0
	s_cbranch_vccnz .LBB360_1495
; %bb.1494:
	global_load_b32 v0, v[7:8], off
	s_waitcnt vmcnt(0)
	v_cvt_i16_f16_e32 v0, v0
.LBB360_1495:
	s_mov_b32 s0, 0
.LBB360_1496:
	s_delay_alu instid0(SALU_CYCLE_1)
	s_and_not1_b32 vcc_lo, exec_lo, s0
	s_cbranch_vccnz .LBB360_1507
; %bb.1497:
	v_cmp_gt_i16_e32 vcc_lo, 6, v10
	s_cbranch_vccnz .LBB360_1500
; %bb.1498:
	v_cmp_lt_i16_e32 vcc_lo, 6, v10
	s_cbranch_vccz .LBB360_1501
; %bb.1499:
	global_load_b64 v[0:1], v[7:8], off
	s_mov_b32 s0, 0
	s_waitcnt vmcnt(0)
	v_cvt_i32_f64_e32 v0, v[0:1]
	s_branch .LBB360_1502
.LBB360_1500:
	s_mov_b32 s0, -1
                                        ; implicit-def: $vgpr0
	s_branch .LBB360_1505
.LBB360_1501:
	s_mov_b32 s0, -1
                                        ; implicit-def: $vgpr0
.LBB360_1502:
	s_delay_alu instid0(SALU_CYCLE_1)
	s_and_not1_b32 vcc_lo, exec_lo, s0
	s_cbranch_vccnz .LBB360_1504
; %bb.1503:
	global_load_b32 v0, v[7:8], off
	s_waitcnt vmcnt(0)
	v_cvt_i32_f32_e32 v0, v0
.LBB360_1504:
	s_mov_b32 s0, 0
.LBB360_1505:
	s_delay_alu instid0(SALU_CYCLE_1)
	s_and_not1_b32 vcc_lo, exec_lo, s0
	s_cbranch_vccnz .LBB360_1507
; %bb.1506:
	global_load_u16 v0, v[7:8], off
	s_waitcnt vmcnt(0)
	v_cvt_i16_f16_e32 v0, v0
.LBB360_1507:
	s_mov_b32 s0, 0
.LBB360_1508:
	s_delay_alu instid0(SALU_CYCLE_1)
	s_and_not1_b32 vcc_lo, exec_lo, s0
	s_cbranch_vccnz .LBB360_1528
; %bb.1509:
	v_cmp_gt_i16_e32 vcc_lo, 2, v10
	s_cbranch_vccnz .LBB360_1513
; %bb.1510:
	v_cmp_gt_i16_e32 vcc_lo, 3, v10
	s_cbranch_vccnz .LBB360_1514
; %bb.1511:
	v_cmp_lt_i16_e32 vcc_lo, 3, v10
	s_cbranch_vccz .LBB360_1515
; %bb.1512:
	global_load_b64 v[0:1], v[7:8], off
	s_mov_b32 s0, 0
	s_branch .LBB360_1516
.LBB360_1513:
	s_mov_b32 s0, -1
                                        ; implicit-def: $vgpr0
	s_branch .LBB360_1522
.LBB360_1514:
	s_mov_b32 s0, -1
                                        ; implicit-def: $vgpr0
	s_branch .LBB360_1519
.LBB360_1515:
	s_mov_b32 s0, -1
                                        ; implicit-def: $vgpr0
.LBB360_1516:
	s_delay_alu instid0(SALU_CYCLE_1)
	s_and_not1_b32 vcc_lo, exec_lo, s0
	s_cbranch_vccnz .LBB360_1518
; %bb.1517:
	global_load_b32 v0, v[7:8], off
.LBB360_1518:
	s_mov_b32 s0, 0
.LBB360_1519:
	s_delay_alu instid0(SALU_CYCLE_1)
	s_and_not1_b32 vcc_lo, exec_lo, s0
	s_cbranch_vccnz .LBB360_1521
; %bb.1520:
	global_load_u16 v0, v[7:8], off
.LBB360_1521:
	s_mov_b32 s0, 0
.LBB360_1522:
	s_delay_alu instid0(SALU_CYCLE_1)
	s_and_not1_b32 vcc_lo, exec_lo, s0
	s_cbranch_vccnz .LBB360_1528
; %bb.1523:
	v_cmp_lt_i16_e32 vcc_lo, 0, v10
	s_mov_b32 s0, 0
	s_cbranch_vccz .LBB360_1525
; %bb.1524:
	global_load_u8 v0, v[7:8], off
	s_branch .LBB360_1526
.LBB360_1525:
	s_mov_b32 s0, -1
                                        ; implicit-def: $vgpr0
.LBB360_1526:
	s_delay_alu instid0(SALU_CYCLE_1)
	s_and_not1_b32 vcc_lo, exec_lo, s0
	s_cbranch_vccnz .LBB360_1528
; %bb.1527:
	global_load_u8 v0, v[7:8], off
.LBB360_1528:
	s_mov_b32 s6, -1
.LBB360_1529:
	s_delay_alu instid0(SALU_CYCLE_1)
	s_and_not1_b32 vcc_lo, exec_lo, s6
	s_cbranch_vccnz .LBB360_1963
; %bb.1530:
	s_waitcnt vmcnt(0)
	v_mul_lo_u32 v1, s2, v9
	v_and_b32_e64 v7, 0xff, s1
	v_bfe_i32 v3, v6, 0, 8
	s_bfe_i32 s1, s8, 0x80000
	s_delay_alu instid0(VALU_DEP_2) | instskip(NEXT) | instid1(VALU_DEP_2)
	v_cmp_gt_i16_e32 vcc_lo, 11, v7
	v_max_i16 v3, v3, s1
	v_ashrrev_i32_e32 v6, 31, v1
	v_add_co_u32 v5, s0, s4, v1
	s_delay_alu instid0(VALU_DEP_1)
	v_add_co_ci_u32_e64 v6, s0, s5, v6, s0
	s_cbranch_vccnz .LBB360_1608
; %bb.1531:
	v_cmp_lt_i16_e32 vcc_lo, 25, v7
	s_mov_b32 s7, -1
	s_mov_b32 s3, 0
	s_mov_b32 s6, 0
	;; [unrolled: 1-line block ×3, first 2 shown]
	s_cbranch_vccz .LBB360_1564
; %bb.1532:
	v_cmp_lt_i16_e32 vcc_lo, 28, v7
	s_cbranch_vccz .LBB360_1547
; %bb.1533:
	v_cmp_lt_i16_e32 vcc_lo, 43, v7
	;; [unrolled: 3-line block ×3, first 2 shown]
	s_cbranch_vccz .LBB360_1537
; %bb.1535:
	v_cmp_eq_u16_e32 vcc_lo, 46, v7
	s_mov_b32 s0, -1
	s_mov_b32 s7, 0
	s_cbranch_vccz .LBB360_1537
; %bb.1536:
	v_bfe_i32 v8, v3, 0, 16
	s_mov_b32 s0, 0
	s_mov_b32 s6, -1
	s_delay_alu instid0(VALU_DEP_1) | instskip(NEXT) | instid1(VALU_DEP_1)
	v_cvt_f32_i32_e32 v8, v8
	v_bfe_u32 v9, v8, 16, 1
	s_delay_alu instid0(VALU_DEP_1) | instskip(NEXT) | instid1(VALU_DEP_1)
	v_add3_u32 v8, v8, v9, 0x7fff
	v_lshrrev_b32_e32 v8, 16, v8
	global_store_b32 v[5:6], v8, off
.LBB360_1537:
	s_and_b32 vcc_lo, exec_lo, s7
	s_cbranch_vccz .LBB360_1542
; %bb.1538:
	v_cmp_eq_u16_e32 vcc_lo, 44, v7
	s_mov_b32 s0, -1
	s_cbranch_vccz .LBB360_1542
; %bb.1539:
	v_bfe_i32 v8, v3, 0, 16
	v_mov_b32_e32 v9, 0xff
	s_mov_b32 s6, exec_lo
	s_delay_alu instid0(VALU_DEP_2) | instskip(NEXT) | instid1(VALU_DEP_1)
	v_cvt_f32_i32_e32 v8, v8
	v_bfe_u32 v10, v8, 23, 8
	s_delay_alu instid0(VALU_DEP_1)
	v_cmpx_ne_u32_e32 0xff, v10
; %bb.1540:
	v_and_b32_e32 v9, 0x400000, v8
	v_and_or_b32 v10, 0x3fffff, v8, v10
	v_lshrrev_b32_e32 v8, 23, v8
	s_delay_alu instid0(VALU_DEP_3) | instskip(NEXT) | instid1(VALU_DEP_3)
	v_cmp_ne_u32_e32 vcc_lo, 0, v9
	v_cmp_ne_u32_e64 s0, 0, v10
	s_delay_alu instid0(VALU_DEP_1) | instskip(NEXT) | instid1(SALU_CYCLE_1)
	s_and_b32 s0, vcc_lo, s0
	v_cndmask_b32_e64 v9, 0, 1, s0
	s_delay_alu instid0(VALU_DEP_1)
	v_add_nc_u32_e32 v9, v8, v9
; %bb.1541:
	s_or_b32 exec_lo, exec_lo, s6
	s_mov_b32 s0, 0
	s_mov_b32 s6, -1
	global_store_b8 v[5:6], v9, off
.LBB360_1542:
	s_mov_b32 s7, 0
.LBB360_1543:
	s_delay_alu instid0(SALU_CYCLE_1)
	s_and_b32 vcc_lo, exec_lo, s7
	s_cbranch_vccz .LBB360_1546
; %bb.1544:
	v_cmp_eq_u16_e32 vcc_lo, 29, v7
	s_mov_b32 s0, -1
	s_cbranch_vccz .LBB360_1546
; %bb.1545:
	v_bfe_i32 v8, v3, 0, 16
	s_mov_b32 s0, 0
	s_mov_b32 s6, -1
	s_delay_alu instid0(VALU_DEP_1)
	v_ashrrev_i32_e32 v9, 31, v8
	global_store_b64 v[5:6], v[8:9], off
.LBB360_1546:
	s_mov_b32 s7, 0
.LBB360_1547:
	s_delay_alu instid0(SALU_CYCLE_1)
	s_and_b32 vcc_lo, exec_lo, s7
	s_cbranch_vccz .LBB360_1563
; %bb.1548:
	v_cmp_gt_i16_e32 vcc_lo, 27, v7
	s_mov_b32 s6, -1
	s_cbranch_vccnz .LBB360_1554
; %bb.1549:
	v_cmp_lt_i16_e32 vcc_lo, 27, v7
	s_cbranch_vccz .LBB360_1551
; %bb.1550:
	v_bfe_i32 v8, v3, 0, 16
	s_mov_b32 s6, 0
	global_store_b32 v[5:6], v8, off
.LBB360_1551:
	s_and_not1_b32 vcc_lo, exec_lo, s6
	s_cbranch_vccnz .LBB360_1553
; %bb.1552:
	global_store_b16 v[5:6], v3, off
.LBB360_1553:
	s_mov_b32 s6, 0
.LBB360_1554:
	s_delay_alu instid0(SALU_CYCLE_1)
	s_and_not1_b32 vcc_lo, exec_lo, s6
	s_cbranch_vccnz .LBB360_1562
; %bb.1555:
	v_bfe_i32 v8, v3, 0, 16
	v_mov_b32_e32 v10, 0x80
	s_mov_b32 s6, exec_lo
	s_delay_alu instid0(VALU_DEP_2) | instskip(NEXT) | instid1(VALU_DEP_1)
	v_cvt_f32_i32_e32 v8, v8
	v_and_b32_e32 v9, 0x7fffffff, v8
	s_delay_alu instid0(VALU_DEP_1)
	v_cmpx_gt_u32_e32 0x43800000, v9
	s_cbranch_execz .LBB360_1561
; %bb.1556:
	v_cmp_lt_u32_e32 vcc_lo, 0x3bffffff, v9
	s_mov_b32 s7, 0
                                        ; implicit-def: $vgpr9
	s_and_saveexec_b32 s8, vcc_lo
	s_delay_alu instid0(SALU_CYCLE_1)
	s_xor_b32 s8, exec_lo, s8
	s_cbranch_execz .LBB360_2011
; %bb.1557:
	v_bfe_u32 v9, v8, 20, 1
	s_mov_b32 s7, exec_lo
	s_delay_alu instid0(VALU_DEP_1) | instskip(NEXT) | instid1(VALU_DEP_1)
	v_add3_u32 v9, v8, v9, 0x487ffff
	v_lshrrev_b32_e32 v9, 20, v9
	s_or_saveexec_b32 s8, s8
                                        ; implicit-def: $sgpr10
	s_delay_alu instid0(SALU_CYCLE_1)
	s_xor_b32 exec_lo, exec_lo, s8
	s_cbranch_execnz .LBB360_2012
.LBB360_1558:
	s_or_b32 exec_lo, exec_lo, s8
	v_mov_b32_e32 v10, s10
	s_and_saveexec_b32 s8, s7
.LBB360_1559:
	v_lshrrev_b32_e32 v8, 24, v8
	s_delay_alu instid0(VALU_DEP_1)
	v_and_or_b32 v10, 0x80, v8, v9
.LBB360_1560:
	s_or_b32 exec_lo, exec_lo, s8
.LBB360_1561:
	s_delay_alu instid0(SALU_CYCLE_1)
	s_or_b32 exec_lo, exec_lo, s6
	global_store_b8 v[5:6], v10, off
.LBB360_1562:
	s_mov_b32 s6, -1
.LBB360_1563:
	s_mov_b32 s7, 0
.LBB360_1564:
	s_delay_alu instid0(SALU_CYCLE_1)
	s_and_b32 vcc_lo, exec_lo, s7
	s_cbranch_vccz .LBB360_1604
; %bb.1565:
	v_cmp_lt_i16_e32 vcc_lo, 22, v7
	s_mov_b32 s3, -1
	s_cbranch_vccz .LBB360_1597
; %bb.1566:
	v_cmp_gt_i16_e32 vcc_lo, 24, v7
	s_cbranch_vccnz .LBB360_1586
; %bb.1567:
	v_cmp_lt_i16_e32 vcc_lo, 24, v7
	s_cbranch_vccz .LBB360_1575
; %bb.1568:
	v_bfe_i32 v8, v3, 0, 16
	v_mov_b32_e32 v10, 0x80
	s_mov_b32 s3, exec_lo
	s_delay_alu instid0(VALU_DEP_2) | instskip(NEXT) | instid1(VALU_DEP_1)
	v_cvt_f32_i32_e32 v8, v8
	v_and_b32_e32 v9, 0x7fffffff, v8
	s_delay_alu instid0(VALU_DEP_1)
	v_cmpx_gt_u32_e32 0x47800000, v9
	s_cbranch_execz .LBB360_1574
; %bb.1569:
	v_cmp_lt_u32_e32 vcc_lo, 0x37ffffff, v9
	s_mov_b32 s6, 0
                                        ; implicit-def: $vgpr9
	s_and_saveexec_b32 s7, vcc_lo
	s_delay_alu instid0(SALU_CYCLE_1)
	s_xor_b32 s7, exec_lo, s7
	s_cbranch_execz .LBB360_2017
; %bb.1570:
	v_bfe_u32 v9, v8, 21, 1
	s_mov_b32 s6, exec_lo
	s_delay_alu instid0(VALU_DEP_1) | instskip(NEXT) | instid1(VALU_DEP_1)
	v_add3_u32 v9, v8, v9, 0x88fffff
	v_lshrrev_b32_e32 v9, 21, v9
	s_or_saveexec_b32 s7, s7
                                        ; implicit-def: $sgpr8
	s_delay_alu instid0(SALU_CYCLE_1)
	s_xor_b32 exec_lo, exec_lo, s7
	s_cbranch_execnz .LBB360_2018
.LBB360_1571:
	s_or_b32 exec_lo, exec_lo, s7
	v_mov_b32_e32 v10, s8
	s_and_saveexec_b32 s7, s6
.LBB360_1572:
	v_lshrrev_b32_e32 v8, 24, v8
	s_delay_alu instid0(VALU_DEP_1)
	v_and_or_b32 v10, 0x80, v8, v9
.LBB360_1573:
	s_or_b32 exec_lo, exec_lo, s7
.LBB360_1574:
	s_delay_alu instid0(SALU_CYCLE_1)
	s_or_b32 exec_lo, exec_lo, s3
	s_mov_b32 s3, 0
	global_store_b8 v[5:6], v10, off
.LBB360_1575:
	s_and_b32 vcc_lo, exec_lo, s3
	s_cbranch_vccz .LBB360_1585
; %bb.1576:
	v_bfe_i32 v8, v3, 0, 16
	s_mov_b32 s3, exec_lo
                                        ; implicit-def: $vgpr9
	s_delay_alu instid0(VALU_DEP_1) | instskip(NEXT) | instid1(VALU_DEP_1)
	v_cvt_f32_i32_e32 v8, v8
	v_and_b32_e32 v10, 0x7fffffff, v8
	s_delay_alu instid0(VALU_DEP_1)
	v_cmpx_gt_u32_e32 0x43f00000, v10
	s_xor_b32 s3, exec_lo, s3
	s_cbranch_execz .LBB360_1582
; %bb.1577:
	s_mov_b32 s6, exec_lo
                                        ; implicit-def: $vgpr9
	v_cmpx_lt_u32_e32 0x3c7fffff, v10
	s_xor_b32 s6, exec_lo, s6
; %bb.1578:
	v_bfe_u32 v9, v8, 20, 1
	s_delay_alu instid0(VALU_DEP_1) | instskip(NEXT) | instid1(VALU_DEP_1)
	v_add3_u32 v9, v8, v9, 0x407ffff
	v_and_b32_e32 v10, 0xff00000, v9
	v_lshrrev_b32_e32 v9, 20, v9
	s_delay_alu instid0(VALU_DEP_2) | instskip(NEXT) | instid1(VALU_DEP_2)
	v_cmp_ne_u32_e32 vcc_lo, 0x7f00000, v10
	v_cndmask_b32_e32 v9, 0x7e, v9, vcc_lo
; %bb.1579:
	s_and_not1_saveexec_b32 s6, s6
; %bb.1580:
	v_add_f32_e64 v9, 0x46800000, |v8|
; %bb.1581:
	s_or_b32 exec_lo, exec_lo, s6
                                        ; implicit-def: $vgpr10
.LBB360_1582:
	s_and_not1_saveexec_b32 s3, s3
; %bb.1583:
	v_mov_b32_e32 v9, 0x7f
	v_cmp_lt_u32_e32 vcc_lo, 0x7f800000, v10
	s_delay_alu instid0(VALU_DEP_2)
	v_cndmask_b32_e32 v9, 0x7e, v9, vcc_lo
; %bb.1584:
	s_or_b32 exec_lo, exec_lo, s3
	v_lshrrev_b32_e32 v8, 24, v8
	s_delay_alu instid0(VALU_DEP_1)
	v_and_or_b32 v8, 0x80, v8, v9
	global_store_b8 v[5:6], v8, off
.LBB360_1585:
	s_mov_b32 s3, 0
.LBB360_1586:
	s_delay_alu instid0(SALU_CYCLE_1)
	s_and_not1_b32 vcc_lo, exec_lo, s3
	s_cbranch_vccnz .LBB360_1596
; %bb.1587:
	v_bfe_i32 v8, v3, 0, 16
	s_mov_b32 s3, exec_lo
                                        ; implicit-def: $vgpr9
	s_delay_alu instid0(VALU_DEP_1) | instskip(NEXT) | instid1(VALU_DEP_1)
	v_cvt_f32_i32_e32 v8, v8
	v_and_b32_e32 v10, 0x7fffffff, v8
	s_delay_alu instid0(VALU_DEP_1)
	v_cmpx_gt_u32_e32 0x47800000, v10
	s_xor_b32 s3, exec_lo, s3
	s_cbranch_execz .LBB360_1593
; %bb.1588:
	s_mov_b32 s6, exec_lo
                                        ; implicit-def: $vgpr9
	v_cmpx_lt_u32_e32 0x387fffff, v10
	s_xor_b32 s6, exec_lo, s6
; %bb.1589:
	v_bfe_u32 v9, v8, 21, 1
	s_delay_alu instid0(VALU_DEP_1) | instskip(NEXT) | instid1(VALU_DEP_1)
	v_add3_u32 v9, v8, v9, 0x80fffff
	v_lshrrev_b32_e32 v9, 21, v9
; %bb.1590:
	s_and_not1_saveexec_b32 s6, s6
; %bb.1591:
	v_add_f32_e64 v9, 0x43000000, |v8|
; %bb.1592:
	s_or_b32 exec_lo, exec_lo, s6
                                        ; implicit-def: $vgpr10
.LBB360_1593:
	s_and_not1_saveexec_b32 s3, s3
; %bb.1594:
	v_mov_b32_e32 v9, 0x7f
	v_cmp_lt_u32_e32 vcc_lo, 0x7f800000, v10
	s_delay_alu instid0(VALU_DEP_2)
	v_cndmask_b32_e32 v9, 0x7c, v9, vcc_lo
; %bb.1595:
	s_or_b32 exec_lo, exec_lo, s3
	v_lshrrev_b32_e32 v8, 24, v8
	s_delay_alu instid0(VALU_DEP_1)
	v_and_or_b32 v8, 0x80, v8, v9
	global_store_b8 v[5:6], v8, off
.LBB360_1596:
	s_mov_b32 s3, 0
	s_mov_b32 s6, -1
.LBB360_1597:
	s_and_not1_b32 vcc_lo, exec_lo, s3
	s_mov_b32 s3, 0
	s_cbranch_vccnz .LBB360_1604
; %bb.1598:
	v_cmp_lt_i16_e32 vcc_lo, 14, v7
	s_mov_b32 s3, -1
	s_cbranch_vccz .LBB360_1602
; %bb.1599:
	v_cmp_eq_u16_e32 vcc_lo, 15, v7
	s_mov_b32 s0, -1
	s_cbranch_vccz .LBB360_1601
; %bb.1600:
	v_bfe_i32 v8, v3, 0, 16
	s_mov_b32 s0, 0
	s_mov_b32 s6, -1
	s_delay_alu instid0(VALU_DEP_1) | instskip(NEXT) | instid1(VALU_DEP_1)
	v_cvt_f32_i32_e32 v8, v8
	v_bfe_u32 v9, v8, 16, 1
	s_delay_alu instid0(VALU_DEP_1)
	v_add3_u32 v8, v8, v9, 0x7fff
	global_store_d16_hi_b16 v[5:6], v8, off
.LBB360_1601:
	s_mov_b32 s3, 0
.LBB360_1602:
	s_delay_alu instid0(SALU_CYCLE_1)
	s_and_b32 vcc_lo, exec_lo, s3
	s_mov_b32 s3, 0
	s_cbranch_vccz .LBB360_1604
; %bb.1603:
	v_cmp_ne_u16_e64 s0, 11, v7
	s_mov_b32 s3, -1
.LBB360_1604:
	s_delay_alu instid0(VALU_DEP_1)
	s_and_b32 vcc_lo, exec_lo, s0
	s_cbranch_vccnz .LBB360_2015
; %bb.1605:
	s_and_not1_b32 vcc_lo, exec_lo, s3
	s_cbranch_vccnz .LBB360_1607
.LBB360_1606:
	v_cmp_ne_u16_e32 vcc_lo, 0, v3
	s_mov_b32 s6, -1
	v_cndmask_b32_e64 v8, 0, 1, vcc_lo
	global_store_b8 v[5:6], v8, off
.LBB360_1607:
	s_mov_b32 s0, 0
	s_branch .LBB360_1609
.LBB360_1608:
	s_mov_b32 s0, -1
	s_mov_b32 s6, 0
.LBB360_1609:
	s_and_b32 vcc_lo, exec_lo, s0
	s_cbranch_vccz .LBB360_1648
; %bb.1610:
	v_cmp_gt_i16_e32 vcc_lo, 5, v7
	s_mov_b32 s0, -1
	s_cbranch_vccnz .LBB360_1631
; %bb.1611:
	v_cmp_gt_i16_e32 vcc_lo, 8, v7
	s_cbranch_vccnz .LBB360_1621
; %bb.1612:
	v_cmp_gt_i16_e32 vcc_lo, 9, v7
	s_cbranch_vccnz .LBB360_1618
; %bb.1613:
	v_cmp_lt_i16_e32 vcc_lo, 9, v7
	s_cbranch_vccz .LBB360_1615
; %bb.1614:
	v_bfe_i32 v8, v3, 0, 16
	v_mov_b32_e32 v10, 0
	s_mov_b32 s0, 0
	s_delay_alu instid0(VALU_DEP_2) | instskip(NEXT) | instid1(VALU_DEP_2)
	v_cvt_f64_i32_e32 v[8:9], v8
	v_mov_b32_e32 v11, v10
	global_store_b128 v[5:6], v[8:11], off
.LBB360_1615:
	s_and_not1_b32 vcc_lo, exec_lo, s0
	s_cbranch_vccnz .LBB360_1617
; %bb.1616:
	v_bfe_i32 v8, v3, 0, 16
	v_mov_b32_e32 v9, 0
	s_delay_alu instid0(VALU_DEP_2)
	v_cvt_f32_i32_e32 v8, v8
	global_store_b64 v[5:6], v[8:9], off
.LBB360_1617:
	s_mov_b32 s0, 0
.LBB360_1618:
	s_delay_alu instid0(SALU_CYCLE_1)
	s_and_not1_b32 vcc_lo, exec_lo, s0
	s_cbranch_vccnz .LBB360_1620
; %bb.1619:
	v_cvt_f16_i16_e32 v8, v3
	s_delay_alu instid0(VALU_DEP_1)
	v_and_b32_e32 v8, 0xffff, v8
	global_store_b32 v[5:6], v8, off
.LBB360_1620:
	s_mov_b32 s0, 0
.LBB360_1621:
	s_delay_alu instid0(SALU_CYCLE_1)
	s_and_not1_b32 vcc_lo, exec_lo, s0
	s_cbranch_vccnz .LBB360_1630
; %bb.1622:
	v_cmp_gt_i16_e32 vcc_lo, 6, v7
	s_mov_b32 s0, -1
	s_cbranch_vccnz .LBB360_1628
; %bb.1623:
	v_cmp_lt_i16_e32 vcc_lo, 6, v7
	s_cbranch_vccz .LBB360_1625
; %bb.1624:
	v_bfe_i32 v8, v3, 0, 16
	s_mov_b32 s0, 0
	s_delay_alu instid0(VALU_DEP_1)
	v_cvt_f64_i32_e32 v[8:9], v8
	global_store_b64 v[5:6], v[8:9], off
.LBB360_1625:
	s_and_not1_b32 vcc_lo, exec_lo, s0
	s_cbranch_vccnz .LBB360_1627
; %bb.1626:
	v_bfe_i32 v8, v3, 0, 16
	s_delay_alu instid0(VALU_DEP_1)
	v_cvt_f32_i32_e32 v8, v8
	global_store_b32 v[5:6], v8, off
.LBB360_1627:
	s_mov_b32 s0, 0
.LBB360_1628:
	s_delay_alu instid0(SALU_CYCLE_1)
	s_and_not1_b32 vcc_lo, exec_lo, s0
	s_cbranch_vccnz .LBB360_1630
; %bb.1629:
	v_cvt_f16_i16_e32 v8, v3
	global_store_b16 v[5:6], v8, off
.LBB360_1630:
	s_mov_b32 s0, 0
.LBB360_1631:
	s_delay_alu instid0(SALU_CYCLE_1)
	s_and_not1_b32 vcc_lo, exec_lo, s0
	s_cbranch_vccnz .LBB360_1647
; %bb.1632:
	v_cmp_gt_i16_e32 vcc_lo, 2, v7
	s_mov_b32 s0, -1
	s_cbranch_vccnz .LBB360_1642
; %bb.1633:
	v_cmp_gt_i16_e32 vcc_lo, 3, v7
	s_cbranch_vccnz .LBB360_1639
; %bb.1634:
	v_cmp_lt_i16_e32 vcc_lo, 3, v7
	s_cbranch_vccz .LBB360_1636
; %bb.1635:
	v_bfe_i32 v8, v3, 0, 16
	s_mov_b32 s0, 0
	s_delay_alu instid0(VALU_DEP_1)
	v_ashrrev_i32_e32 v9, 31, v8
	global_store_b64 v[5:6], v[8:9], off
.LBB360_1636:
	s_and_not1_b32 vcc_lo, exec_lo, s0
	s_cbranch_vccnz .LBB360_1638
; %bb.1637:
	v_bfe_i32 v8, v3, 0, 16
	global_store_b32 v[5:6], v8, off
.LBB360_1638:
	s_mov_b32 s0, 0
.LBB360_1639:
	s_delay_alu instid0(SALU_CYCLE_1)
	s_and_not1_b32 vcc_lo, exec_lo, s0
	s_cbranch_vccnz .LBB360_1641
; %bb.1640:
	global_store_b16 v[5:6], v3, off
.LBB360_1641:
	s_mov_b32 s0, 0
.LBB360_1642:
	s_delay_alu instid0(SALU_CYCLE_1)
	s_and_not1_b32 vcc_lo, exec_lo, s0
	s_cbranch_vccnz .LBB360_1647
; %bb.1643:
	v_cmp_lt_i16_e32 vcc_lo, 0, v7
	s_mov_b32 s0, -1
	s_cbranch_vccz .LBB360_1645
; %bb.1644:
	s_mov_b32 s0, 0
	global_store_b8 v[5:6], v3, off
.LBB360_1645:
	s_and_not1_b32 vcc_lo, exec_lo, s0
	s_cbranch_vccnz .LBB360_1647
; %bb.1646:
	global_store_b8 v[5:6], v3, off
.LBB360_1647:
	s_mov_b32 s6, -1
.LBB360_1648:
	s_delay_alu instid0(SALU_CYCLE_1)
	s_and_not1_b32 vcc_lo, exec_lo, s6
	s_cbranch_vccnz .LBB360_1963
; %bb.1649:
	s_lshl_b32 s2, s2, 7
	v_bfe_i32 v3, v4, 0, 8
	v_add_nc_u32_e32 v1, s2, v1
	v_cmp_gt_i16_e32 vcc_lo, 11, v7
	s_delay_alu instid0(VALU_DEP_3) | instskip(NEXT) | instid1(VALU_DEP_3)
	v_max_i16 v8, v3, s1
	v_ashrrev_i32_e32 v4, 31, v1
	v_add_co_u32 v3, s0, s4, v1
	s_delay_alu instid0(VALU_DEP_1)
	v_add_co_ci_u32_e64 v4, s0, s5, v4, s0
	s_cbranch_vccnz .LBB360_1727
; %bb.1650:
	v_cmp_lt_i16_e32 vcc_lo, 25, v7
	s_mov_b32 s7, -1
	s_mov_b32 s3, 0
	s_mov_b32 s6, 0
	;; [unrolled: 1-line block ×3, first 2 shown]
	s_cbranch_vccz .LBB360_1683
; %bb.1651:
	v_cmp_lt_i16_e32 vcc_lo, 28, v7
	s_cbranch_vccz .LBB360_1666
; %bb.1652:
	v_cmp_lt_i16_e32 vcc_lo, 43, v7
	;; [unrolled: 3-line block ×3, first 2 shown]
	s_cbranch_vccz .LBB360_1656
; %bb.1654:
	v_cmp_eq_u16_e32 vcc_lo, 46, v7
	s_mov_b32 s0, -1
	s_mov_b32 s7, 0
	s_cbranch_vccz .LBB360_1656
; %bb.1655:
	v_bfe_i32 v5, v8, 0, 16
	s_mov_b32 s0, 0
	s_mov_b32 s6, -1
	s_delay_alu instid0(VALU_DEP_1) | instskip(NEXT) | instid1(VALU_DEP_1)
	v_cvt_f32_i32_e32 v5, v5
	v_bfe_u32 v6, v5, 16, 1
	s_delay_alu instid0(VALU_DEP_1) | instskip(NEXT) | instid1(VALU_DEP_1)
	v_add3_u32 v5, v5, v6, 0x7fff
	v_lshrrev_b32_e32 v5, 16, v5
	global_store_b32 v[3:4], v5, off
.LBB360_1656:
	s_and_b32 vcc_lo, exec_lo, s7
	s_cbranch_vccz .LBB360_1661
; %bb.1657:
	v_cmp_eq_u16_e32 vcc_lo, 44, v7
	s_mov_b32 s0, -1
	s_cbranch_vccz .LBB360_1661
; %bb.1658:
	v_bfe_i32 v5, v8, 0, 16
	v_mov_b32_e32 v6, 0xff
	s_mov_b32 s6, exec_lo
	s_delay_alu instid0(VALU_DEP_2) | instskip(NEXT) | instid1(VALU_DEP_1)
	v_cvt_f32_i32_e32 v5, v5
	v_bfe_u32 v9, v5, 23, 8
	s_delay_alu instid0(VALU_DEP_1)
	v_cmpx_ne_u32_e32 0xff, v9
; %bb.1659:
	v_and_b32_e32 v6, 0x400000, v5
	v_and_or_b32 v9, 0x3fffff, v5, v9
	v_lshrrev_b32_e32 v5, 23, v5
	s_delay_alu instid0(VALU_DEP_3) | instskip(NEXT) | instid1(VALU_DEP_3)
	v_cmp_ne_u32_e32 vcc_lo, 0, v6
	v_cmp_ne_u32_e64 s0, 0, v9
	s_delay_alu instid0(VALU_DEP_1) | instskip(NEXT) | instid1(SALU_CYCLE_1)
	s_and_b32 s0, vcc_lo, s0
	v_cndmask_b32_e64 v6, 0, 1, s0
	s_delay_alu instid0(VALU_DEP_1)
	v_add_nc_u32_e32 v6, v5, v6
; %bb.1660:
	s_or_b32 exec_lo, exec_lo, s6
	s_mov_b32 s0, 0
	s_mov_b32 s6, -1
	global_store_b8 v[3:4], v6, off
.LBB360_1661:
	s_mov_b32 s7, 0
.LBB360_1662:
	s_delay_alu instid0(SALU_CYCLE_1)
	s_and_b32 vcc_lo, exec_lo, s7
	s_cbranch_vccz .LBB360_1665
; %bb.1663:
	v_cmp_eq_u16_e32 vcc_lo, 29, v7
	s_mov_b32 s0, -1
	s_cbranch_vccz .LBB360_1665
; %bb.1664:
	v_bfe_i32 v5, v8, 0, 16
	s_mov_b32 s0, 0
	s_mov_b32 s6, -1
	s_delay_alu instid0(VALU_DEP_1)
	v_ashrrev_i32_e32 v6, 31, v5
	global_store_b64 v[3:4], v[5:6], off
.LBB360_1665:
	s_mov_b32 s7, 0
.LBB360_1666:
	s_delay_alu instid0(SALU_CYCLE_1)
	s_and_b32 vcc_lo, exec_lo, s7
	s_cbranch_vccz .LBB360_1682
; %bb.1667:
	v_cmp_gt_i16_e32 vcc_lo, 27, v7
	s_mov_b32 s6, -1
	s_cbranch_vccnz .LBB360_1673
; %bb.1668:
	v_cmp_lt_i16_e32 vcc_lo, 27, v7
	s_cbranch_vccz .LBB360_1670
; %bb.1669:
	v_bfe_i32 v5, v8, 0, 16
	s_mov_b32 s6, 0
	global_store_b32 v[3:4], v5, off
.LBB360_1670:
	s_and_not1_b32 vcc_lo, exec_lo, s6
	s_cbranch_vccnz .LBB360_1672
; %bb.1671:
	global_store_b16 v[3:4], v8, off
.LBB360_1672:
	s_mov_b32 s6, 0
.LBB360_1673:
	s_delay_alu instid0(SALU_CYCLE_1)
	s_and_not1_b32 vcc_lo, exec_lo, s6
	s_cbranch_vccnz .LBB360_1681
; %bb.1674:
	v_bfe_i32 v5, v8, 0, 16
	v_mov_b32_e32 v9, 0x80
	s_mov_b32 s6, exec_lo
	s_delay_alu instid0(VALU_DEP_2) | instskip(NEXT) | instid1(VALU_DEP_1)
	v_cvt_f32_i32_e32 v5, v5
	v_and_b32_e32 v6, 0x7fffffff, v5
	s_delay_alu instid0(VALU_DEP_1)
	v_cmpx_gt_u32_e32 0x43800000, v6
	s_cbranch_execz .LBB360_1680
; %bb.1675:
	v_cmp_lt_u32_e32 vcc_lo, 0x3bffffff, v6
	s_mov_b32 s7, 0
                                        ; implicit-def: $vgpr6
	s_and_saveexec_b32 s8, vcc_lo
	s_delay_alu instid0(SALU_CYCLE_1)
	s_xor_b32 s8, exec_lo, s8
	s_cbranch_execz .LBB360_2019
; %bb.1676:
	v_bfe_u32 v6, v5, 20, 1
	s_mov_b32 s7, exec_lo
	s_delay_alu instid0(VALU_DEP_1) | instskip(NEXT) | instid1(VALU_DEP_1)
	v_add3_u32 v6, v5, v6, 0x487ffff
	v_lshrrev_b32_e32 v6, 20, v6
	s_or_saveexec_b32 s8, s8
                                        ; implicit-def: $sgpr10
	s_delay_alu instid0(SALU_CYCLE_1)
	s_xor_b32 exec_lo, exec_lo, s8
	s_cbranch_execnz .LBB360_2020
.LBB360_1677:
	s_or_b32 exec_lo, exec_lo, s8
	v_mov_b32_e32 v9, s10
	s_and_saveexec_b32 s8, s7
.LBB360_1678:
	v_lshrrev_b32_e32 v5, 24, v5
	s_delay_alu instid0(VALU_DEP_1)
	v_and_or_b32 v9, 0x80, v5, v6
.LBB360_1679:
	s_or_b32 exec_lo, exec_lo, s8
.LBB360_1680:
	s_delay_alu instid0(SALU_CYCLE_1)
	s_or_b32 exec_lo, exec_lo, s6
	global_store_b8 v[3:4], v9, off
.LBB360_1681:
	s_mov_b32 s6, -1
.LBB360_1682:
	s_mov_b32 s7, 0
.LBB360_1683:
	s_delay_alu instid0(SALU_CYCLE_1)
	s_and_b32 vcc_lo, exec_lo, s7
	s_cbranch_vccz .LBB360_1723
; %bb.1684:
	v_cmp_lt_i16_e32 vcc_lo, 22, v7
	s_mov_b32 s3, -1
	s_cbranch_vccz .LBB360_1716
; %bb.1685:
	v_cmp_gt_i16_e32 vcc_lo, 24, v7
	s_cbranch_vccnz .LBB360_1705
; %bb.1686:
	v_cmp_lt_i16_e32 vcc_lo, 24, v7
	s_cbranch_vccz .LBB360_1694
; %bb.1687:
	v_bfe_i32 v5, v8, 0, 16
	v_mov_b32_e32 v9, 0x80
	s_mov_b32 s3, exec_lo
	s_delay_alu instid0(VALU_DEP_2) | instskip(NEXT) | instid1(VALU_DEP_1)
	v_cvt_f32_i32_e32 v5, v5
	v_and_b32_e32 v6, 0x7fffffff, v5
	s_delay_alu instid0(VALU_DEP_1)
	v_cmpx_gt_u32_e32 0x47800000, v6
	s_cbranch_execz .LBB360_1693
; %bb.1688:
	v_cmp_lt_u32_e32 vcc_lo, 0x37ffffff, v6
	s_mov_b32 s6, 0
                                        ; implicit-def: $vgpr6
	s_and_saveexec_b32 s7, vcc_lo
	s_delay_alu instid0(SALU_CYCLE_1)
	s_xor_b32 s7, exec_lo, s7
	s_cbranch_execz .LBB360_2025
; %bb.1689:
	v_bfe_u32 v6, v5, 21, 1
	s_mov_b32 s6, exec_lo
	s_delay_alu instid0(VALU_DEP_1) | instskip(NEXT) | instid1(VALU_DEP_1)
	v_add3_u32 v6, v5, v6, 0x88fffff
	v_lshrrev_b32_e32 v6, 21, v6
	s_or_saveexec_b32 s7, s7
                                        ; implicit-def: $sgpr8
	s_delay_alu instid0(SALU_CYCLE_1)
	s_xor_b32 exec_lo, exec_lo, s7
	s_cbranch_execnz .LBB360_2026
.LBB360_1690:
	s_or_b32 exec_lo, exec_lo, s7
	v_mov_b32_e32 v9, s8
	s_and_saveexec_b32 s7, s6
.LBB360_1691:
	v_lshrrev_b32_e32 v5, 24, v5
	s_delay_alu instid0(VALU_DEP_1)
	v_and_or_b32 v9, 0x80, v5, v6
.LBB360_1692:
	s_or_b32 exec_lo, exec_lo, s7
.LBB360_1693:
	s_delay_alu instid0(SALU_CYCLE_1)
	s_or_b32 exec_lo, exec_lo, s3
	s_mov_b32 s3, 0
	global_store_b8 v[3:4], v9, off
.LBB360_1694:
	s_and_b32 vcc_lo, exec_lo, s3
	s_cbranch_vccz .LBB360_1704
; %bb.1695:
	v_bfe_i32 v5, v8, 0, 16
	s_mov_b32 s3, exec_lo
                                        ; implicit-def: $vgpr6
	s_delay_alu instid0(VALU_DEP_1) | instskip(NEXT) | instid1(VALU_DEP_1)
	v_cvt_f32_i32_e32 v5, v5
	v_and_b32_e32 v9, 0x7fffffff, v5
	s_delay_alu instid0(VALU_DEP_1)
	v_cmpx_gt_u32_e32 0x43f00000, v9
	s_xor_b32 s3, exec_lo, s3
	s_cbranch_execz .LBB360_1701
; %bb.1696:
	s_mov_b32 s6, exec_lo
                                        ; implicit-def: $vgpr6
	v_cmpx_lt_u32_e32 0x3c7fffff, v9
	s_xor_b32 s6, exec_lo, s6
; %bb.1697:
	v_bfe_u32 v6, v5, 20, 1
	s_delay_alu instid0(VALU_DEP_1) | instskip(NEXT) | instid1(VALU_DEP_1)
	v_add3_u32 v6, v5, v6, 0x407ffff
	v_and_b32_e32 v9, 0xff00000, v6
	v_lshrrev_b32_e32 v6, 20, v6
	s_delay_alu instid0(VALU_DEP_2) | instskip(NEXT) | instid1(VALU_DEP_2)
	v_cmp_ne_u32_e32 vcc_lo, 0x7f00000, v9
	v_cndmask_b32_e32 v6, 0x7e, v6, vcc_lo
; %bb.1698:
	s_and_not1_saveexec_b32 s6, s6
; %bb.1699:
	v_add_f32_e64 v6, 0x46800000, |v5|
; %bb.1700:
	s_or_b32 exec_lo, exec_lo, s6
                                        ; implicit-def: $vgpr9
.LBB360_1701:
	s_and_not1_saveexec_b32 s3, s3
; %bb.1702:
	v_mov_b32_e32 v6, 0x7f
	v_cmp_lt_u32_e32 vcc_lo, 0x7f800000, v9
	s_delay_alu instid0(VALU_DEP_2)
	v_cndmask_b32_e32 v6, 0x7e, v6, vcc_lo
; %bb.1703:
	s_or_b32 exec_lo, exec_lo, s3
	v_lshrrev_b32_e32 v5, 24, v5
	s_delay_alu instid0(VALU_DEP_1)
	v_and_or_b32 v5, 0x80, v5, v6
	global_store_b8 v[3:4], v5, off
.LBB360_1704:
	s_mov_b32 s3, 0
.LBB360_1705:
	s_delay_alu instid0(SALU_CYCLE_1)
	s_and_not1_b32 vcc_lo, exec_lo, s3
	s_cbranch_vccnz .LBB360_1715
; %bb.1706:
	v_bfe_i32 v5, v8, 0, 16
	s_mov_b32 s3, exec_lo
                                        ; implicit-def: $vgpr6
	s_delay_alu instid0(VALU_DEP_1) | instskip(NEXT) | instid1(VALU_DEP_1)
	v_cvt_f32_i32_e32 v5, v5
	v_and_b32_e32 v9, 0x7fffffff, v5
	s_delay_alu instid0(VALU_DEP_1)
	v_cmpx_gt_u32_e32 0x47800000, v9
	s_xor_b32 s3, exec_lo, s3
	s_cbranch_execz .LBB360_1712
; %bb.1707:
	s_mov_b32 s6, exec_lo
                                        ; implicit-def: $vgpr6
	v_cmpx_lt_u32_e32 0x387fffff, v9
	s_xor_b32 s6, exec_lo, s6
; %bb.1708:
	v_bfe_u32 v6, v5, 21, 1
	s_delay_alu instid0(VALU_DEP_1) | instskip(NEXT) | instid1(VALU_DEP_1)
	v_add3_u32 v6, v5, v6, 0x80fffff
	v_lshrrev_b32_e32 v6, 21, v6
; %bb.1709:
	s_and_not1_saveexec_b32 s6, s6
; %bb.1710:
	v_add_f32_e64 v6, 0x43000000, |v5|
; %bb.1711:
	s_or_b32 exec_lo, exec_lo, s6
                                        ; implicit-def: $vgpr9
.LBB360_1712:
	s_and_not1_saveexec_b32 s3, s3
; %bb.1713:
	v_mov_b32_e32 v6, 0x7f
	v_cmp_lt_u32_e32 vcc_lo, 0x7f800000, v9
	s_delay_alu instid0(VALU_DEP_2)
	v_cndmask_b32_e32 v6, 0x7c, v6, vcc_lo
; %bb.1714:
	s_or_b32 exec_lo, exec_lo, s3
	v_lshrrev_b32_e32 v5, 24, v5
	s_delay_alu instid0(VALU_DEP_1)
	v_and_or_b32 v5, 0x80, v5, v6
	global_store_b8 v[3:4], v5, off
.LBB360_1715:
	s_mov_b32 s3, 0
	s_mov_b32 s6, -1
.LBB360_1716:
	s_and_not1_b32 vcc_lo, exec_lo, s3
	s_mov_b32 s3, 0
	s_cbranch_vccnz .LBB360_1723
; %bb.1717:
	v_cmp_lt_i16_e32 vcc_lo, 14, v7
	s_mov_b32 s3, -1
	s_cbranch_vccz .LBB360_1721
; %bb.1718:
	v_cmp_eq_u16_e32 vcc_lo, 15, v7
	s_mov_b32 s0, -1
	s_cbranch_vccz .LBB360_1720
; %bb.1719:
	v_bfe_i32 v5, v8, 0, 16
	s_mov_b32 s0, 0
	s_mov_b32 s6, -1
	s_delay_alu instid0(VALU_DEP_1) | instskip(NEXT) | instid1(VALU_DEP_1)
	v_cvt_f32_i32_e32 v5, v5
	v_bfe_u32 v6, v5, 16, 1
	s_delay_alu instid0(VALU_DEP_1)
	v_add3_u32 v5, v5, v6, 0x7fff
	global_store_d16_hi_b16 v[3:4], v5, off
.LBB360_1720:
	s_mov_b32 s3, 0
.LBB360_1721:
	s_delay_alu instid0(SALU_CYCLE_1)
	s_and_b32 vcc_lo, exec_lo, s3
	s_mov_b32 s3, 0
	s_cbranch_vccz .LBB360_1723
; %bb.1722:
	v_cmp_ne_u16_e64 s0, 11, v7
	s_mov_b32 s3, -1
.LBB360_1723:
	s_delay_alu instid0(VALU_DEP_1)
	s_and_b32 vcc_lo, exec_lo, s0
	s_cbranch_vccnz .LBB360_2023
; %bb.1724:
	s_and_not1_b32 vcc_lo, exec_lo, s3
	s_cbranch_vccnz .LBB360_1726
.LBB360_1725:
	v_cmp_ne_u16_e32 vcc_lo, 0, v8
	s_mov_b32 s6, -1
	v_cndmask_b32_e64 v5, 0, 1, vcc_lo
	global_store_b8 v[3:4], v5, off
.LBB360_1726:
	s_mov_b32 s0, 0
	s_branch .LBB360_1728
.LBB360_1727:
	s_mov_b32 s0, -1
	s_mov_b32 s6, 0
.LBB360_1728:
	s_and_b32 vcc_lo, exec_lo, s0
	s_cbranch_vccz .LBB360_1767
; %bb.1729:
	v_cmp_gt_i16_e32 vcc_lo, 5, v7
	s_mov_b32 s0, -1
	s_cbranch_vccnz .LBB360_1750
; %bb.1730:
	v_cmp_gt_i16_e32 vcc_lo, 8, v7
	s_cbranch_vccnz .LBB360_1740
; %bb.1731:
	v_cmp_gt_i16_e32 vcc_lo, 9, v7
	s_cbranch_vccnz .LBB360_1737
; %bb.1732:
	v_cmp_lt_i16_e32 vcc_lo, 9, v7
	s_cbranch_vccz .LBB360_1734
; %bb.1733:
	v_bfe_i32 v5, v8, 0, 16
	v_mov_b32_e32 v11, 0
	s_mov_b32 s0, 0
	s_delay_alu instid0(VALU_DEP_2) | instskip(NEXT) | instid1(VALU_DEP_2)
	v_cvt_f64_i32_e32 v[9:10], v5
	v_mov_b32_e32 v12, v11
	global_store_b128 v[3:4], v[9:12], off
.LBB360_1734:
	s_and_not1_b32 vcc_lo, exec_lo, s0
	s_cbranch_vccnz .LBB360_1736
; %bb.1735:
	v_bfe_i32 v5, v8, 0, 16
	v_mov_b32_e32 v6, 0
	s_delay_alu instid0(VALU_DEP_2)
	v_cvt_f32_i32_e32 v5, v5
	global_store_b64 v[3:4], v[5:6], off
.LBB360_1736:
	s_mov_b32 s0, 0
.LBB360_1737:
	s_delay_alu instid0(SALU_CYCLE_1)
	s_and_not1_b32 vcc_lo, exec_lo, s0
	s_cbranch_vccnz .LBB360_1739
; %bb.1738:
	v_cvt_f16_i16_e32 v5, v8
	s_delay_alu instid0(VALU_DEP_1)
	v_and_b32_e32 v5, 0xffff, v5
	global_store_b32 v[3:4], v5, off
.LBB360_1739:
	s_mov_b32 s0, 0
.LBB360_1740:
	s_delay_alu instid0(SALU_CYCLE_1)
	s_and_not1_b32 vcc_lo, exec_lo, s0
	s_cbranch_vccnz .LBB360_1749
; %bb.1741:
	v_cmp_gt_i16_e32 vcc_lo, 6, v7
	s_mov_b32 s0, -1
	s_cbranch_vccnz .LBB360_1747
; %bb.1742:
	v_cmp_lt_i16_e32 vcc_lo, 6, v7
	s_cbranch_vccz .LBB360_1744
; %bb.1743:
	v_bfe_i32 v5, v8, 0, 16
	s_mov_b32 s0, 0
	s_delay_alu instid0(VALU_DEP_1)
	v_cvt_f64_i32_e32 v[5:6], v5
	global_store_b64 v[3:4], v[5:6], off
.LBB360_1744:
	s_and_not1_b32 vcc_lo, exec_lo, s0
	s_cbranch_vccnz .LBB360_1746
; %bb.1745:
	v_bfe_i32 v5, v8, 0, 16
	s_delay_alu instid0(VALU_DEP_1)
	v_cvt_f32_i32_e32 v5, v5
	global_store_b32 v[3:4], v5, off
.LBB360_1746:
	s_mov_b32 s0, 0
.LBB360_1747:
	s_delay_alu instid0(SALU_CYCLE_1)
	s_and_not1_b32 vcc_lo, exec_lo, s0
	s_cbranch_vccnz .LBB360_1749
; %bb.1748:
	v_cvt_f16_i16_e32 v5, v8
	global_store_b16 v[3:4], v5, off
.LBB360_1749:
	s_mov_b32 s0, 0
.LBB360_1750:
	s_delay_alu instid0(SALU_CYCLE_1)
	s_and_not1_b32 vcc_lo, exec_lo, s0
	s_cbranch_vccnz .LBB360_1766
; %bb.1751:
	v_cmp_gt_i16_e32 vcc_lo, 2, v7
	s_mov_b32 s0, -1
	s_cbranch_vccnz .LBB360_1761
; %bb.1752:
	v_cmp_gt_i16_e32 vcc_lo, 3, v7
	s_cbranch_vccnz .LBB360_1758
; %bb.1753:
	v_cmp_lt_i16_e32 vcc_lo, 3, v7
	v_bfe_i32 v5, v8, 0, 16
	s_cbranch_vccz .LBB360_1755
; %bb.1754:
	s_delay_alu instid0(VALU_DEP_1)
	v_ashrrev_i32_e32 v6, 31, v5
	s_mov_b32 s0, 0
	global_store_b64 v[3:4], v[5:6], off
.LBB360_1755:
	s_and_not1_b32 vcc_lo, exec_lo, s0
	s_cbranch_vccnz .LBB360_1757
; %bb.1756:
	global_store_b32 v[3:4], v5, off
.LBB360_1757:
	s_mov_b32 s0, 0
.LBB360_1758:
	s_delay_alu instid0(SALU_CYCLE_1)
	s_and_not1_b32 vcc_lo, exec_lo, s0
	s_cbranch_vccnz .LBB360_1760
; %bb.1759:
	global_store_b16 v[3:4], v8, off
.LBB360_1760:
	s_mov_b32 s0, 0
.LBB360_1761:
	s_delay_alu instid0(SALU_CYCLE_1)
	s_and_not1_b32 vcc_lo, exec_lo, s0
	s_cbranch_vccnz .LBB360_1766
; %bb.1762:
	v_cmp_lt_i16_e32 vcc_lo, 0, v7
	s_mov_b32 s0, -1
	s_cbranch_vccz .LBB360_1764
; %bb.1763:
	s_mov_b32 s0, 0
	global_store_b8 v[3:4], v8, off
.LBB360_1764:
	s_and_not1_b32 vcc_lo, exec_lo, s0
	s_cbranch_vccnz .LBB360_1766
; %bb.1765:
	global_store_b8 v[3:4], v8, off
.LBB360_1766:
	s_mov_b32 s6, -1
.LBB360_1767:
	s_delay_alu instid0(SALU_CYCLE_1)
	s_and_not1_b32 vcc_lo, exec_lo, s6
	s_cbranch_vccnz .LBB360_1963
; %bb.1768:
	v_add_nc_u32_e32 v5, s2, v1
	v_bfe_i32 v1, v2, 0, 8
	v_cmp_gt_i16_e32 vcc_lo, 11, v7
	s_delay_alu instid0(VALU_DEP_3) | instskip(NEXT) | instid1(VALU_DEP_3)
	v_ashrrev_i32_e32 v2, 31, v5
	v_max_i16 v6, v1, s1
	v_add_co_u32 v1, s0, s4, v5
	s_delay_alu instid0(VALU_DEP_1)
	v_add_co_ci_u32_e64 v2, s0, s5, v2, s0
	s_cbranch_vccnz .LBB360_1846
; %bb.1769:
	v_cmp_lt_i16_e32 vcc_lo, 25, v7
	s_mov_b32 s7, -1
	s_mov_b32 s3, 0
	s_mov_b32 s6, 0
	s_mov_b32 s0, 0
	s_cbranch_vccz .LBB360_1802
; %bb.1770:
	v_cmp_lt_i16_e32 vcc_lo, 28, v7
	s_cbranch_vccz .LBB360_1785
; %bb.1771:
	v_cmp_lt_i16_e32 vcc_lo, 43, v7
	;; [unrolled: 3-line block ×3, first 2 shown]
	s_cbranch_vccz .LBB360_1775
; %bb.1773:
	v_cmp_eq_u16_e32 vcc_lo, 46, v7
	s_mov_b32 s0, -1
	s_mov_b32 s7, 0
	s_cbranch_vccz .LBB360_1775
; %bb.1774:
	v_bfe_i32 v3, v6, 0, 16
	s_mov_b32 s0, 0
	s_mov_b32 s6, -1
	s_delay_alu instid0(VALU_DEP_1) | instskip(NEXT) | instid1(VALU_DEP_1)
	v_cvt_f32_i32_e32 v3, v3
	v_bfe_u32 v4, v3, 16, 1
	s_delay_alu instid0(VALU_DEP_1) | instskip(NEXT) | instid1(VALU_DEP_1)
	v_add3_u32 v3, v3, v4, 0x7fff
	v_lshrrev_b32_e32 v3, 16, v3
	global_store_b32 v[1:2], v3, off
.LBB360_1775:
	s_and_b32 vcc_lo, exec_lo, s7
	s_cbranch_vccz .LBB360_1780
; %bb.1776:
	v_cmp_eq_u16_e32 vcc_lo, 44, v7
	s_mov_b32 s0, -1
	s_cbranch_vccz .LBB360_1780
; %bb.1777:
	v_bfe_i32 v3, v6, 0, 16
	v_mov_b32_e32 v4, 0xff
	s_mov_b32 s6, exec_lo
	s_delay_alu instid0(VALU_DEP_2) | instskip(NEXT) | instid1(VALU_DEP_1)
	v_cvt_f32_i32_e32 v3, v3
	v_bfe_u32 v8, v3, 23, 8
	s_delay_alu instid0(VALU_DEP_1)
	v_cmpx_ne_u32_e32 0xff, v8
; %bb.1778:
	v_and_b32_e32 v4, 0x400000, v3
	v_and_or_b32 v8, 0x3fffff, v3, v8
	v_lshrrev_b32_e32 v3, 23, v3
	s_delay_alu instid0(VALU_DEP_3) | instskip(NEXT) | instid1(VALU_DEP_3)
	v_cmp_ne_u32_e32 vcc_lo, 0, v4
	v_cmp_ne_u32_e64 s0, 0, v8
	s_delay_alu instid0(VALU_DEP_1) | instskip(NEXT) | instid1(SALU_CYCLE_1)
	s_and_b32 s0, vcc_lo, s0
	v_cndmask_b32_e64 v4, 0, 1, s0
	s_delay_alu instid0(VALU_DEP_1)
	v_add_nc_u32_e32 v4, v3, v4
; %bb.1779:
	s_or_b32 exec_lo, exec_lo, s6
	s_mov_b32 s0, 0
	s_mov_b32 s6, -1
	global_store_b8 v[1:2], v4, off
.LBB360_1780:
	s_mov_b32 s7, 0
.LBB360_1781:
	s_delay_alu instid0(SALU_CYCLE_1)
	s_and_b32 vcc_lo, exec_lo, s7
	s_cbranch_vccz .LBB360_1784
; %bb.1782:
	v_cmp_eq_u16_e32 vcc_lo, 29, v7
	s_mov_b32 s0, -1
	s_cbranch_vccz .LBB360_1784
; %bb.1783:
	v_bfe_i32 v3, v6, 0, 16
	s_mov_b32 s0, 0
	s_mov_b32 s6, -1
	s_delay_alu instid0(VALU_DEP_1)
	v_ashrrev_i32_e32 v4, 31, v3
	global_store_b64 v[1:2], v[3:4], off
.LBB360_1784:
	s_mov_b32 s7, 0
.LBB360_1785:
	s_delay_alu instid0(SALU_CYCLE_1)
	s_and_b32 vcc_lo, exec_lo, s7
	s_cbranch_vccz .LBB360_1801
; %bb.1786:
	v_cmp_gt_i16_e32 vcc_lo, 27, v7
	s_mov_b32 s6, -1
	s_cbranch_vccnz .LBB360_1792
; %bb.1787:
	v_cmp_lt_i16_e32 vcc_lo, 27, v7
	s_cbranch_vccz .LBB360_1789
; %bb.1788:
	v_bfe_i32 v3, v6, 0, 16
	s_mov_b32 s6, 0
	global_store_b32 v[1:2], v3, off
.LBB360_1789:
	s_and_not1_b32 vcc_lo, exec_lo, s6
	s_cbranch_vccnz .LBB360_1791
; %bb.1790:
	global_store_b16 v[1:2], v6, off
.LBB360_1791:
	s_mov_b32 s6, 0
.LBB360_1792:
	s_delay_alu instid0(SALU_CYCLE_1)
	s_and_not1_b32 vcc_lo, exec_lo, s6
	s_cbranch_vccnz .LBB360_1800
; %bb.1793:
	v_bfe_i32 v3, v6, 0, 16
	v_mov_b32_e32 v8, 0x80
	s_mov_b32 s6, exec_lo
	s_delay_alu instid0(VALU_DEP_2) | instskip(NEXT) | instid1(VALU_DEP_1)
	v_cvt_f32_i32_e32 v3, v3
	v_and_b32_e32 v4, 0x7fffffff, v3
	s_delay_alu instid0(VALU_DEP_1)
	v_cmpx_gt_u32_e32 0x43800000, v4
	s_cbranch_execz .LBB360_1799
; %bb.1794:
	v_cmp_lt_u32_e32 vcc_lo, 0x3bffffff, v4
	s_mov_b32 s7, 0
                                        ; implicit-def: $vgpr4
	s_and_saveexec_b32 s8, vcc_lo
	s_delay_alu instid0(SALU_CYCLE_1)
	s_xor_b32 s8, exec_lo, s8
	s_cbranch_execz .LBB360_2027
; %bb.1795:
	v_bfe_u32 v4, v3, 20, 1
	s_mov_b32 s7, exec_lo
	s_delay_alu instid0(VALU_DEP_1) | instskip(NEXT) | instid1(VALU_DEP_1)
	v_add3_u32 v4, v3, v4, 0x487ffff
	v_lshrrev_b32_e32 v4, 20, v4
	s_or_saveexec_b32 s8, s8
                                        ; implicit-def: $sgpr10
	s_delay_alu instid0(SALU_CYCLE_1)
	s_xor_b32 exec_lo, exec_lo, s8
	s_cbranch_execnz .LBB360_2028
.LBB360_1796:
	s_or_b32 exec_lo, exec_lo, s8
	v_mov_b32_e32 v8, s10
	s_and_saveexec_b32 s8, s7
.LBB360_1797:
	v_lshrrev_b32_e32 v3, 24, v3
	s_delay_alu instid0(VALU_DEP_1)
	v_and_or_b32 v8, 0x80, v3, v4
.LBB360_1798:
	s_or_b32 exec_lo, exec_lo, s8
.LBB360_1799:
	s_delay_alu instid0(SALU_CYCLE_1)
	s_or_b32 exec_lo, exec_lo, s6
	global_store_b8 v[1:2], v8, off
.LBB360_1800:
	s_mov_b32 s6, -1
.LBB360_1801:
	s_mov_b32 s7, 0
.LBB360_1802:
	s_delay_alu instid0(SALU_CYCLE_1)
	s_and_b32 vcc_lo, exec_lo, s7
	s_cbranch_vccz .LBB360_1842
; %bb.1803:
	v_cmp_lt_i16_e32 vcc_lo, 22, v7
	s_mov_b32 s3, -1
	s_cbranch_vccz .LBB360_1835
; %bb.1804:
	v_cmp_gt_i16_e32 vcc_lo, 24, v7
	s_cbranch_vccnz .LBB360_1824
; %bb.1805:
	v_cmp_lt_i16_e32 vcc_lo, 24, v7
	s_cbranch_vccz .LBB360_1813
; %bb.1806:
	v_bfe_i32 v3, v6, 0, 16
	v_mov_b32_e32 v8, 0x80
	s_mov_b32 s3, exec_lo
	s_delay_alu instid0(VALU_DEP_2) | instskip(NEXT) | instid1(VALU_DEP_1)
	v_cvt_f32_i32_e32 v3, v3
	v_and_b32_e32 v4, 0x7fffffff, v3
	s_delay_alu instid0(VALU_DEP_1)
	v_cmpx_gt_u32_e32 0x47800000, v4
	s_cbranch_execz .LBB360_1812
; %bb.1807:
	v_cmp_lt_u32_e32 vcc_lo, 0x37ffffff, v4
	s_mov_b32 s6, 0
                                        ; implicit-def: $vgpr4
	s_and_saveexec_b32 s7, vcc_lo
	s_delay_alu instid0(SALU_CYCLE_1)
	s_xor_b32 s7, exec_lo, s7
	s_cbranch_execz .LBB360_2033
; %bb.1808:
	v_bfe_u32 v4, v3, 21, 1
	s_mov_b32 s6, exec_lo
	s_delay_alu instid0(VALU_DEP_1) | instskip(NEXT) | instid1(VALU_DEP_1)
	v_add3_u32 v4, v3, v4, 0x88fffff
	v_lshrrev_b32_e32 v4, 21, v4
	s_or_saveexec_b32 s7, s7
                                        ; implicit-def: $sgpr8
	s_delay_alu instid0(SALU_CYCLE_1)
	s_xor_b32 exec_lo, exec_lo, s7
	s_cbranch_execnz .LBB360_2034
.LBB360_1809:
	s_or_b32 exec_lo, exec_lo, s7
	v_mov_b32_e32 v8, s8
	s_and_saveexec_b32 s7, s6
.LBB360_1810:
	v_lshrrev_b32_e32 v3, 24, v3
	s_delay_alu instid0(VALU_DEP_1)
	v_and_or_b32 v8, 0x80, v3, v4
.LBB360_1811:
	s_or_b32 exec_lo, exec_lo, s7
.LBB360_1812:
	s_delay_alu instid0(SALU_CYCLE_1)
	s_or_b32 exec_lo, exec_lo, s3
	s_mov_b32 s3, 0
	global_store_b8 v[1:2], v8, off
.LBB360_1813:
	s_and_b32 vcc_lo, exec_lo, s3
	s_cbranch_vccz .LBB360_1823
; %bb.1814:
	v_bfe_i32 v3, v6, 0, 16
	s_mov_b32 s3, exec_lo
                                        ; implicit-def: $vgpr4
	s_delay_alu instid0(VALU_DEP_1) | instskip(NEXT) | instid1(VALU_DEP_1)
	v_cvt_f32_i32_e32 v3, v3
	v_and_b32_e32 v8, 0x7fffffff, v3
	s_delay_alu instid0(VALU_DEP_1)
	v_cmpx_gt_u32_e32 0x43f00000, v8
	s_xor_b32 s3, exec_lo, s3
	s_cbranch_execz .LBB360_1820
; %bb.1815:
	s_mov_b32 s6, exec_lo
                                        ; implicit-def: $vgpr4
	v_cmpx_lt_u32_e32 0x3c7fffff, v8
	s_xor_b32 s6, exec_lo, s6
; %bb.1816:
	v_bfe_u32 v4, v3, 20, 1
	s_delay_alu instid0(VALU_DEP_1) | instskip(NEXT) | instid1(VALU_DEP_1)
	v_add3_u32 v4, v3, v4, 0x407ffff
	v_and_b32_e32 v8, 0xff00000, v4
	v_lshrrev_b32_e32 v4, 20, v4
	s_delay_alu instid0(VALU_DEP_2) | instskip(NEXT) | instid1(VALU_DEP_2)
	v_cmp_ne_u32_e32 vcc_lo, 0x7f00000, v8
	v_cndmask_b32_e32 v4, 0x7e, v4, vcc_lo
; %bb.1817:
	s_and_not1_saveexec_b32 s6, s6
; %bb.1818:
	v_add_f32_e64 v4, 0x46800000, |v3|
; %bb.1819:
	s_or_b32 exec_lo, exec_lo, s6
                                        ; implicit-def: $vgpr8
.LBB360_1820:
	s_and_not1_saveexec_b32 s3, s3
; %bb.1821:
	v_mov_b32_e32 v4, 0x7f
	v_cmp_lt_u32_e32 vcc_lo, 0x7f800000, v8
	s_delay_alu instid0(VALU_DEP_2)
	v_cndmask_b32_e32 v4, 0x7e, v4, vcc_lo
; %bb.1822:
	s_or_b32 exec_lo, exec_lo, s3
	v_lshrrev_b32_e32 v3, 24, v3
	s_delay_alu instid0(VALU_DEP_1)
	v_and_or_b32 v3, 0x80, v3, v4
	global_store_b8 v[1:2], v3, off
.LBB360_1823:
	s_mov_b32 s3, 0
.LBB360_1824:
	s_delay_alu instid0(SALU_CYCLE_1)
	s_and_not1_b32 vcc_lo, exec_lo, s3
	s_cbranch_vccnz .LBB360_1834
; %bb.1825:
	v_bfe_i32 v3, v6, 0, 16
	s_mov_b32 s3, exec_lo
                                        ; implicit-def: $vgpr4
	s_delay_alu instid0(VALU_DEP_1) | instskip(NEXT) | instid1(VALU_DEP_1)
	v_cvt_f32_i32_e32 v3, v3
	v_and_b32_e32 v8, 0x7fffffff, v3
	s_delay_alu instid0(VALU_DEP_1)
	v_cmpx_gt_u32_e32 0x47800000, v8
	s_xor_b32 s3, exec_lo, s3
	s_cbranch_execz .LBB360_1831
; %bb.1826:
	s_mov_b32 s6, exec_lo
                                        ; implicit-def: $vgpr4
	v_cmpx_lt_u32_e32 0x387fffff, v8
	s_xor_b32 s6, exec_lo, s6
; %bb.1827:
	v_bfe_u32 v4, v3, 21, 1
	s_delay_alu instid0(VALU_DEP_1) | instskip(NEXT) | instid1(VALU_DEP_1)
	v_add3_u32 v4, v3, v4, 0x80fffff
	v_lshrrev_b32_e32 v4, 21, v4
; %bb.1828:
	s_and_not1_saveexec_b32 s6, s6
; %bb.1829:
	v_add_f32_e64 v4, 0x43000000, |v3|
; %bb.1830:
	s_or_b32 exec_lo, exec_lo, s6
                                        ; implicit-def: $vgpr8
.LBB360_1831:
	s_and_not1_saveexec_b32 s3, s3
; %bb.1832:
	v_mov_b32_e32 v4, 0x7f
	v_cmp_lt_u32_e32 vcc_lo, 0x7f800000, v8
	s_delay_alu instid0(VALU_DEP_2)
	v_cndmask_b32_e32 v4, 0x7c, v4, vcc_lo
; %bb.1833:
	s_or_b32 exec_lo, exec_lo, s3
	v_lshrrev_b32_e32 v3, 24, v3
	s_delay_alu instid0(VALU_DEP_1)
	v_and_or_b32 v3, 0x80, v3, v4
	global_store_b8 v[1:2], v3, off
.LBB360_1834:
	s_mov_b32 s3, 0
	s_mov_b32 s6, -1
.LBB360_1835:
	s_and_not1_b32 vcc_lo, exec_lo, s3
	s_mov_b32 s3, 0
	s_cbranch_vccnz .LBB360_1842
; %bb.1836:
	v_cmp_lt_i16_e32 vcc_lo, 14, v7
	s_mov_b32 s3, -1
	s_cbranch_vccz .LBB360_1840
; %bb.1837:
	v_cmp_eq_u16_e32 vcc_lo, 15, v7
	s_mov_b32 s0, -1
	s_cbranch_vccz .LBB360_1839
; %bb.1838:
	v_bfe_i32 v3, v6, 0, 16
	s_mov_b32 s0, 0
	s_mov_b32 s6, -1
	s_delay_alu instid0(VALU_DEP_1) | instskip(NEXT) | instid1(VALU_DEP_1)
	v_cvt_f32_i32_e32 v3, v3
	v_bfe_u32 v4, v3, 16, 1
	s_delay_alu instid0(VALU_DEP_1)
	v_add3_u32 v3, v3, v4, 0x7fff
	global_store_d16_hi_b16 v[1:2], v3, off
.LBB360_1839:
	s_mov_b32 s3, 0
.LBB360_1840:
	s_delay_alu instid0(SALU_CYCLE_1)
	s_and_b32 vcc_lo, exec_lo, s3
	s_mov_b32 s3, 0
	s_cbranch_vccz .LBB360_1842
; %bb.1841:
	v_cmp_ne_u16_e64 s0, 11, v7
	s_mov_b32 s3, -1
.LBB360_1842:
	s_delay_alu instid0(VALU_DEP_1)
	s_and_b32 vcc_lo, exec_lo, s0
	s_cbranch_vccnz .LBB360_2031
; %bb.1843:
	s_and_not1_b32 vcc_lo, exec_lo, s3
	s_cbranch_vccnz .LBB360_1845
.LBB360_1844:
	v_cmp_ne_u16_e32 vcc_lo, 0, v6
	s_mov_b32 s6, -1
	v_cndmask_b32_e64 v3, 0, 1, vcc_lo
	global_store_b8 v[1:2], v3, off
.LBB360_1845:
	s_mov_b32 s0, 0
	s_branch .LBB360_1847
.LBB360_1846:
	s_mov_b32 s0, -1
	s_mov_b32 s6, 0
.LBB360_1847:
	s_and_b32 vcc_lo, exec_lo, s0
	s_cbranch_vccz .LBB360_1886
; %bb.1848:
	v_cmp_gt_i16_e32 vcc_lo, 5, v7
	s_mov_b32 s0, -1
	s_cbranch_vccnz .LBB360_1869
; %bb.1849:
	v_cmp_gt_i16_e32 vcc_lo, 8, v7
	s_cbranch_vccnz .LBB360_1859
; %bb.1850:
	v_cmp_gt_i16_e32 vcc_lo, 9, v7
	s_cbranch_vccnz .LBB360_1856
; %bb.1851:
	v_cmp_lt_i16_e32 vcc_lo, 9, v7
	s_cbranch_vccz .LBB360_1853
; %bb.1852:
	v_bfe_i32 v3, v6, 0, 16
	v_mov_b32_e32 v10, 0
	s_mov_b32 s0, 0
	s_delay_alu instid0(VALU_DEP_2) | instskip(NEXT) | instid1(VALU_DEP_2)
	v_cvt_f64_i32_e32 v[8:9], v3
	v_mov_b32_e32 v11, v10
	global_store_b128 v[1:2], v[8:11], off
.LBB360_1853:
	s_and_not1_b32 vcc_lo, exec_lo, s0
	s_cbranch_vccnz .LBB360_1855
; %bb.1854:
	v_bfe_i32 v3, v6, 0, 16
	v_mov_b32_e32 v4, 0
	s_delay_alu instid0(VALU_DEP_2)
	v_cvt_f32_i32_e32 v3, v3
	global_store_b64 v[1:2], v[3:4], off
.LBB360_1855:
	s_mov_b32 s0, 0
.LBB360_1856:
	s_delay_alu instid0(SALU_CYCLE_1)
	s_and_not1_b32 vcc_lo, exec_lo, s0
	s_cbranch_vccnz .LBB360_1858
; %bb.1857:
	v_cvt_f16_i16_e32 v3, v6
	s_delay_alu instid0(VALU_DEP_1)
	v_and_b32_e32 v3, 0xffff, v3
	global_store_b32 v[1:2], v3, off
.LBB360_1858:
	s_mov_b32 s0, 0
.LBB360_1859:
	s_delay_alu instid0(SALU_CYCLE_1)
	s_and_not1_b32 vcc_lo, exec_lo, s0
	s_cbranch_vccnz .LBB360_1868
; %bb.1860:
	v_cmp_gt_i16_e32 vcc_lo, 6, v7
	s_mov_b32 s0, -1
	s_cbranch_vccnz .LBB360_1866
; %bb.1861:
	v_cmp_lt_i16_e32 vcc_lo, 6, v7
	s_cbranch_vccz .LBB360_1863
; %bb.1862:
	v_bfe_i32 v3, v6, 0, 16
	s_mov_b32 s0, 0
	s_delay_alu instid0(VALU_DEP_1)
	v_cvt_f64_i32_e32 v[3:4], v3
	global_store_b64 v[1:2], v[3:4], off
.LBB360_1863:
	s_and_not1_b32 vcc_lo, exec_lo, s0
	s_cbranch_vccnz .LBB360_1865
; %bb.1864:
	v_bfe_i32 v3, v6, 0, 16
	s_delay_alu instid0(VALU_DEP_1)
	v_cvt_f32_i32_e32 v3, v3
	global_store_b32 v[1:2], v3, off
.LBB360_1865:
	s_mov_b32 s0, 0
.LBB360_1866:
	s_delay_alu instid0(SALU_CYCLE_1)
	s_and_not1_b32 vcc_lo, exec_lo, s0
	s_cbranch_vccnz .LBB360_1868
; %bb.1867:
	v_cvt_f16_i16_e32 v3, v6
	global_store_b16 v[1:2], v3, off
.LBB360_1868:
	s_mov_b32 s0, 0
.LBB360_1869:
	s_delay_alu instid0(SALU_CYCLE_1)
	s_and_not1_b32 vcc_lo, exec_lo, s0
	s_cbranch_vccnz .LBB360_1885
; %bb.1870:
	v_cmp_gt_i16_e32 vcc_lo, 2, v7
	s_mov_b32 s0, -1
	s_cbranch_vccnz .LBB360_1880
; %bb.1871:
	v_cmp_gt_i16_e32 vcc_lo, 3, v7
	s_cbranch_vccnz .LBB360_1877
; %bb.1872:
	v_cmp_lt_i16_e32 vcc_lo, 3, v7
	v_bfe_i32 v3, v6, 0, 16
	s_cbranch_vccz .LBB360_1874
; %bb.1873:
	s_delay_alu instid0(VALU_DEP_1)
	v_ashrrev_i32_e32 v4, 31, v3
	s_mov_b32 s0, 0
	global_store_b64 v[1:2], v[3:4], off
.LBB360_1874:
	s_and_not1_b32 vcc_lo, exec_lo, s0
	s_cbranch_vccnz .LBB360_1876
; %bb.1875:
	global_store_b32 v[1:2], v3, off
.LBB360_1876:
	s_mov_b32 s0, 0
.LBB360_1877:
	s_delay_alu instid0(SALU_CYCLE_1)
	s_and_not1_b32 vcc_lo, exec_lo, s0
	s_cbranch_vccnz .LBB360_1879
; %bb.1878:
	global_store_b16 v[1:2], v6, off
.LBB360_1879:
	s_mov_b32 s0, 0
.LBB360_1880:
	s_delay_alu instid0(SALU_CYCLE_1)
	s_and_not1_b32 vcc_lo, exec_lo, s0
	s_cbranch_vccnz .LBB360_1885
; %bb.1881:
	v_cmp_lt_i16_e32 vcc_lo, 0, v7
	s_mov_b32 s0, -1
	s_cbranch_vccz .LBB360_1883
; %bb.1882:
	s_mov_b32 s0, 0
	global_store_b8 v[1:2], v6, off
.LBB360_1883:
	s_and_not1_b32 vcc_lo, exec_lo, s0
	s_cbranch_vccnz .LBB360_1885
; %bb.1884:
	global_store_b8 v[1:2], v6, off
.LBB360_1885:
	s_mov_b32 s6, -1
.LBB360_1886:
	s_delay_alu instid0(SALU_CYCLE_1)
	s_and_not1_b32 vcc_lo, exec_lo, s6
	s_cbranch_vccnz .LBB360_1963
; %bb.1887:
	v_add_nc_u32_e32 v1, s2, v5
	v_bfe_i32 v0, v0, 0, 8
	v_cmp_gt_i16_e32 vcc_lo, 11, v7
	s_delay_alu instid0(VALU_DEP_3) | instskip(NEXT) | instid1(VALU_DEP_3)
	v_ashrrev_i32_e32 v3, 31, v1
	v_max_i16 v2, v0, s1
	v_add_co_u32 v0, s0, s4, v1
	s_delay_alu instid0(VALU_DEP_1)
	v_add_co_ci_u32_e64 v1, s0, s5, v3, s0
	s_cbranch_vccnz .LBB360_2008
; %bb.1888:
	v_cmp_lt_i16_e32 vcc_lo, 25, v7
	s_mov_b32 s2, -1
	s_mov_b32 s1, 0
	s_mov_b32 s0, 0
	s_cbranch_vccz .LBB360_1921
; %bb.1889:
	v_cmp_lt_i16_e32 vcc_lo, 28, v7
	s_cbranch_vccz .LBB360_1905
; %bb.1890:
	v_cmp_lt_i16_e32 vcc_lo, 43, v7
	;; [unrolled: 3-line block ×3, first 2 shown]
	s_cbranch_vccz .LBB360_1895
; %bb.1892:
	v_cmp_eq_u16_e32 vcc_lo, 46, v7
	s_mov_b32 s0, -1
	s_cbranch_vccz .LBB360_1894
; %bb.1893:
	v_bfe_i32 v3, v2, 0, 16
	s_mov_b32 s0, 0
	s_delay_alu instid0(VALU_DEP_1) | instskip(NEXT) | instid1(VALU_DEP_1)
	v_cvt_f32_i32_e32 v3, v3
	v_bfe_u32 v4, v3, 16, 1
	s_delay_alu instid0(VALU_DEP_1) | instskip(NEXT) | instid1(VALU_DEP_1)
	v_add3_u32 v3, v3, v4, 0x7fff
	v_lshrrev_b32_e32 v3, 16, v3
	global_store_b32 v[0:1], v3, off
.LBB360_1894:
	s_mov_b32 s2, 0
.LBB360_1895:
	s_delay_alu instid0(SALU_CYCLE_1)
	s_and_b32 vcc_lo, exec_lo, s2
	s_cbranch_vccz .LBB360_1900
; %bb.1896:
	v_cmp_eq_u16_e32 vcc_lo, 44, v7
	s_mov_b32 s0, -1
	s_cbranch_vccz .LBB360_1900
; %bb.1897:
	v_bfe_i32 v3, v2, 0, 16
	v_mov_b32_e32 v4, 0xff
	s_mov_b32 s2, exec_lo
	s_delay_alu instid0(VALU_DEP_2) | instskip(NEXT) | instid1(VALU_DEP_1)
	v_cvt_f32_i32_e32 v3, v3
	v_bfe_u32 v5, v3, 23, 8
	s_delay_alu instid0(VALU_DEP_1)
	v_cmpx_ne_u32_e32 0xff, v5
; %bb.1898:
	v_and_b32_e32 v4, 0x400000, v3
	v_and_or_b32 v5, 0x3fffff, v3, v5
	v_lshrrev_b32_e32 v3, 23, v3
	s_delay_alu instid0(VALU_DEP_3) | instskip(NEXT) | instid1(VALU_DEP_3)
	v_cmp_ne_u32_e32 vcc_lo, 0, v4
	v_cmp_ne_u32_e64 s0, 0, v5
	s_delay_alu instid0(VALU_DEP_1) | instskip(NEXT) | instid1(SALU_CYCLE_1)
	s_and_b32 s0, vcc_lo, s0
	v_cndmask_b32_e64 v4, 0, 1, s0
	s_delay_alu instid0(VALU_DEP_1)
	v_add_nc_u32_e32 v4, v3, v4
; %bb.1899:
	s_or_b32 exec_lo, exec_lo, s2
	s_mov_b32 s0, 0
	global_store_b8 v[0:1], v4, off
.LBB360_1900:
	s_mov_b32 s2, 0
.LBB360_1901:
	s_delay_alu instid0(SALU_CYCLE_1)
	s_and_b32 vcc_lo, exec_lo, s2
	s_cbranch_vccz .LBB360_1904
; %bb.1902:
	v_cmp_eq_u16_e32 vcc_lo, 29, v7
	s_mov_b32 s0, -1
	s_cbranch_vccz .LBB360_1904
; %bb.1903:
	v_bfe_i32 v3, v2, 0, 16
	s_mov_b32 s0, 0
	s_delay_alu instid0(VALU_DEP_1)
	v_ashrrev_i32_e32 v4, 31, v3
	global_store_b64 v[0:1], v[3:4], off
.LBB360_1904:
	s_mov_b32 s2, 0
.LBB360_1905:
	s_delay_alu instid0(SALU_CYCLE_1)
	s_and_b32 vcc_lo, exec_lo, s2
	s_cbranch_vccz .LBB360_1920
; %bb.1906:
	v_cmp_gt_i16_e32 vcc_lo, 27, v7
	s_mov_b32 s2, -1
	s_cbranch_vccnz .LBB360_1912
; %bb.1907:
	v_cmp_lt_i16_e32 vcc_lo, 27, v7
	s_cbranch_vccz .LBB360_1909
; %bb.1908:
	v_bfe_i32 v3, v2, 0, 16
	s_mov_b32 s2, 0
	global_store_b32 v[0:1], v3, off
.LBB360_1909:
	s_and_not1_b32 vcc_lo, exec_lo, s2
	s_cbranch_vccnz .LBB360_1911
; %bb.1910:
	global_store_b16 v[0:1], v2, off
.LBB360_1911:
	s_mov_b32 s2, 0
.LBB360_1912:
	s_delay_alu instid0(SALU_CYCLE_1)
	s_and_not1_b32 vcc_lo, exec_lo, s2
	s_cbranch_vccnz .LBB360_1920
; %bb.1913:
	v_bfe_i32 v3, v2, 0, 16
	v_mov_b32_e32 v5, 0x80
	s_mov_b32 s2, exec_lo
	s_delay_alu instid0(VALU_DEP_2) | instskip(NEXT) | instid1(VALU_DEP_1)
	v_cvt_f32_i32_e32 v3, v3
	v_and_b32_e32 v4, 0x7fffffff, v3
	s_delay_alu instid0(VALU_DEP_1)
	v_cmpx_gt_u32_e32 0x43800000, v4
	s_cbranch_execz .LBB360_1919
; %bb.1914:
	v_cmp_lt_u32_e32 vcc_lo, 0x3bffffff, v4
	s_mov_b32 s3, 0
                                        ; implicit-def: $vgpr4
	s_and_saveexec_b32 s4, vcc_lo
	s_delay_alu instid0(SALU_CYCLE_1)
	s_xor_b32 s4, exec_lo, s4
	s_cbranch_execz .LBB360_2035
; %bb.1915:
	v_bfe_u32 v4, v3, 20, 1
	s_mov_b32 s3, exec_lo
	s_delay_alu instid0(VALU_DEP_1) | instskip(NEXT) | instid1(VALU_DEP_1)
	v_add3_u32 v4, v3, v4, 0x487ffff
	v_lshrrev_b32_e32 v4, 20, v4
	s_or_saveexec_b32 s4, s4
                                        ; implicit-def: $sgpr5
	s_delay_alu instid0(SALU_CYCLE_1)
	s_xor_b32 exec_lo, exec_lo, s4
	s_cbranch_execnz .LBB360_2036
.LBB360_1916:
	s_or_b32 exec_lo, exec_lo, s4
	v_mov_b32_e32 v5, s5
	s_and_saveexec_b32 s4, s3
.LBB360_1917:
	v_lshrrev_b32_e32 v3, 24, v3
	s_delay_alu instid0(VALU_DEP_1)
	v_and_or_b32 v5, 0x80, v3, v4
.LBB360_1918:
	s_or_b32 exec_lo, exec_lo, s4
.LBB360_1919:
	s_delay_alu instid0(SALU_CYCLE_1)
	s_or_b32 exec_lo, exec_lo, s2
	global_store_b8 v[0:1], v5, off
.LBB360_1920:
	s_mov_b32 s2, 0
.LBB360_1921:
	s_delay_alu instid0(SALU_CYCLE_1)
	s_and_b32 vcc_lo, exec_lo, s2
	s_cbranch_vccz .LBB360_1961
; %bb.1922:
	v_cmp_lt_i16_e32 vcc_lo, 22, v7
	s_mov_b32 s1, -1
	s_cbranch_vccz .LBB360_1954
; %bb.1923:
	v_cmp_gt_i16_e32 vcc_lo, 24, v7
	s_cbranch_vccnz .LBB360_1943
; %bb.1924:
	v_cmp_lt_i16_e32 vcc_lo, 24, v7
	s_cbranch_vccz .LBB360_1932
; %bb.1925:
	v_bfe_i32 v3, v2, 0, 16
	v_mov_b32_e32 v5, 0x80
	s_mov_b32 s1, exec_lo
	s_delay_alu instid0(VALU_DEP_2) | instskip(NEXT) | instid1(VALU_DEP_1)
	v_cvt_f32_i32_e32 v3, v3
	v_and_b32_e32 v4, 0x7fffffff, v3
	s_delay_alu instid0(VALU_DEP_1)
	v_cmpx_gt_u32_e32 0x47800000, v4
	s_cbranch_execz .LBB360_1931
; %bb.1926:
	v_cmp_lt_u32_e32 vcc_lo, 0x37ffffff, v4
	s_mov_b32 s2, 0
                                        ; implicit-def: $vgpr4
	s_and_saveexec_b32 s3, vcc_lo
	s_delay_alu instid0(SALU_CYCLE_1)
	s_xor_b32 s3, exec_lo, s3
	s_cbranch_execz .LBB360_2041
; %bb.1927:
	v_bfe_u32 v4, v3, 21, 1
	s_mov_b32 s2, exec_lo
	s_delay_alu instid0(VALU_DEP_1) | instskip(NEXT) | instid1(VALU_DEP_1)
	v_add3_u32 v4, v3, v4, 0x88fffff
	v_lshrrev_b32_e32 v4, 21, v4
	s_or_saveexec_b32 s3, s3
                                        ; implicit-def: $sgpr4
	s_delay_alu instid0(SALU_CYCLE_1)
	s_xor_b32 exec_lo, exec_lo, s3
	s_cbranch_execnz .LBB360_2042
.LBB360_1928:
	s_or_b32 exec_lo, exec_lo, s3
	v_mov_b32_e32 v5, s4
	s_and_saveexec_b32 s3, s2
.LBB360_1929:
	v_lshrrev_b32_e32 v3, 24, v3
	s_delay_alu instid0(VALU_DEP_1)
	v_and_or_b32 v5, 0x80, v3, v4
.LBB360_1930:
	s_or_b32 exec_lo, exec_lo, s3
.LBB360_1931:
	s_delay_alu instid0(SALU_CYCLE_1)
	s_or_b32 exec_lo, exec_lo, s1
	s_mov_b32 s1, 0
	global_store_b8 v[0:1], v5, off
.LBB360_1932:
	s_and_b32 vcc_lo, exec_lo, s1
	s_cbranch_vccz .LBB360_1942
; %bb.1933:
	v_bfe_i32 v3, v2, 0, 16
	s_mov_b32 s1, exec_lo
                                        ; implicit-def: $vgpr4
	s_delay_alu instid0(VALU_DEP_1) | instskip(NEXT) | instid1(VALU_DEP_1)
	v_cvt_f32_i32_e32 v3, v3
	v_and_b32_e32 v5, 0x7fffffff, v3
	s_delay_alu instid0(VALU_DEP_1)
	v_cmpx_gt_u32_e32 0x43f00000, v5
	s_xor_b32 s1, exec_lo, s1
	s_cbranch_execz .LBB360_1939
; %bb.1934:
	s_mov_b32 s2, exec_lo
                                        ; implicit-def: $vgpr4
	v_cmpx_lt_u32_e32 0x3c7fffff, v5
	s_xor_b32 s2, exec_lo, s2
; %bb.1935:
	v_bfe_u32 v4, v3, 20, 1
	s_delay_alu instid0(VALU_DEP_1) | instskip(NEXT) | instid1(VALU_DEP_1)
	v_add3_u32 v4, v3, v4, 0x407ffff
	v_and_b32_e32 v5, 0xff00000, v4
	v_lshrrev_b32_e32 v4, 20, v4
	s_delay_alu instid0(VALU_DEP_2) | instskip(NEXT) | instid1(VALU_DEP_2)
	v_cmp_ne_u32_e32 vcc_lo, 0x7f00000, v5
	v_cndmask_b32_e32 v4, 0x7e, v4, vcc_lo
; %bb.1936:
	s_and_not1_saveexec_b32 s2, s2
; %bb.1937:
	v_add_f32_e64 v4, 0x46800000, |v3|
; %bb.1938:
	s_or_b32 exec_lo, exec_lo, s2
                                        ; implicit-def: $vgpr5
.LBB360_1939:
	s_and_not1_saveexec_b32 s1, s1
; %bb.1940:
	v_mov_b32_e32 v4, 0x7f
	v_cmp_lt_u32_e32 vcc_lo, 0x7f800000, v5
	s_delay_alu instid0(VALU_DEP_2)
	v_cndmask_b32_e32 v4, 0x7e, v4, vcc_lo
; %bb.1941:
	s_or_b32 exec_lo, exec_lo, s1
	v_lshrrev_b32_e32 v3, 24, v3
	s_delay_alu instid0(VALU_DEP_1)
	v_and_or_b32 v3, 0x80, v3, v4
	global_store_b8 v[0:1], v3, off
.LBB360_1942:
	s_mov_b32 s1, 0
.LBB360_1943:
	s_delay_alu instid0(SALU_CYCLE_1)
	s_and_not1_b32 vcc_lo, exec_lo, s1
	s_cbranch_vccnz .LBB360_1953
; %bb.1944:
	v_bfe_i32 v3, v2, 0, 16
	s_mov_b32 s1, exec_lo
                                        ; implicit-def: $vgpr4
	s_delay_alu instid0(VALU_DEP_1) | instskip(NEXT) | instid1(VALU_DEP_1)
	v_cvt_f32_i32_e32 v3, v3
	v_and_b32_e32 v5, 0x7fffffff, v3
	s_delay_alu instid0(VALU_DEP_1)
	v_cmpx_gt_u32_e32 0x47800000, v5
	s_xor_b32 s1, exec_lo, s1
	s_cbranch_execz .LBB360_1950
; %bb.1945:
	s_mov_b32 s2, exec_lo
                                        ; implicit-def: $vgpr4
	v_cmpx_lt_u32_e32 0x387fffff, v5
	s_xor_b32 s2, exec_lo, s2
; %bb.1946:
	v_bfe_u32 v4, v3, 21, 1
	s_delay_alu instid0(VALU_DEP_1) | instskip(NEXT) | instid1(VALU_DEP_1)
	v_add3_u32 v4, v3, v4, 0x80fffff
	v_lshrrev_b32_e32 v4, 21, v4
; %bb.1947:
	s_and_not1_saveexec_b32 s2, s2
; %bb.1948:
	v_add_f32_e64 v4, 0x43000000, |v3|
; %bb.1949:
	s_or_b32 exec_lo, exec_lo, s2
                                        ; implicit-def: $vgpr5
.LBB360_1950:
	s_and_not1_saveexec_b32 s1, s1
; %bb.1951:
	v_mov_b32_e32 v4, 0x7f
	v_cmp_lt_u32_e32 vcc_lo, 0x7f800000, v5
	s_delay_alu instid0(VALU_DEP_2)
	v_cndmask_b32_e32 v4, 0x7c, v4, vcc_lo
; %bb.1952:
	s_or_b32 exec_lo, exec_lo, s1
	v_lshrrev_b32_e32 v3, 24, v3
	s_delay_alu instid0(VALU_DEP_1)
	v_and_or_b32 v3, 0x80, v3, v4
	global_store_b8 v[0:1], v3, off
.LBB360_1953:
	s_mov_b32 s1, 0
.LBB360_1954:
	s_delay_alu instid0(SALU_CYCLE_1)
	s_and_not1_b32 vcc_lo, exec_lo, s1
	s_mov_b32 s1, 0
	s_cbranch_vccnz .LBB360_1961
; %bb.1955:
	v_cmp_lt_i16_e32 vcc_lo, 14, v7
	s_mov_b32 s1, -1
	s_cbranch_vccz .LBB360_1959
; %bb.1956:
	v_cmp_eq_u16_e32 vcc_lo, 15, v7
	s_mov_b32 s0, -1
	s_cbranch_vccz .LBB360_1958
; %bb.1957:
	v_bfe_i32 v3, v2, 0, 16
	s_mov_b32 s0, 0
	s_delay_alu instid0(VALU_DEP_1) | instskip(NEXT) | instid1(VALU_DEP_1)
	v_cvt_f32_i32_e32 v3, v3
	v_bfe_u32 v4, v3, 16, 1
	s_delay_alu instid0(VALU_DEP_1)
	v_add3_u32 v3, v3, v4, 0x7fff
	global_store_d16_hi_b16 v[0:1], v3, off
.LBB360_1958:
	s_mov_b32 s1, 0
.LBB360_1959:
	s_delay_alu instid0(SALU_CYCLE_1)
	s_and_b32 vcc_lo, exec_lo, s1
	s_mov_b32 s1, 0
	s_cbranch_vccz .LBB360_1961
; %bb.1960:
	v_cmp_ne_u16_e64 s0, 11, v7
	s_mov_b32 s1, -1
.LBB360_1961:
	s_delay_alu instid0(VALU_DEP_1)
	s_and_b32 vcc_lo, exec_lo, s0
	s_cbranch_vccnz .LBB360_2039
.LBB360_1962:
	s_mov_b32 s0, 0
	s_branch .LBB360_1964
.LBB360_1963:
	s_mov_b32 s0, 0
	s_mov_b32 s1, 0
                                        ; implicit-def: $vgpr7
                                        ; implicit-def: $vgpr0_vgpr1
                                        ; implicit-def: $vgpr2
.LBB360_1964:
	s_and_not1_b32 s2, s12, exec_lo
	s_and_b32 s3, s9, exec_lo
	s_and_b32 s0, s0, exec_lo
	;; [unrolled: 1-line block ×3, first 2 shown]
	s_or_b32 s12, s2, s3
.LBB360_1965:
	s_or_b32 exec_lo, exec_lo, s11
	s_and_saveexec_b32 s1, s12
	s_cbranch_execz .LBB360_1968
; %bb.1966:
	; divergent unreachable
	s_or_b32 exec_lo, exec_lo, s1
	s_and_saveexec_b32 s1, s9
	s_delay_alu instid0(SALU_CYCLE_1)
	s_xor_b32 s1, exec_lo, s1
	s_cbranch_execnz .LBB360_1969
.LBB360_1967:
	s_or_b32 exec_lo, exec_lo, s1
	s_and_saveexec_b32 s1, s0
	s_cbranch_execnz .LBB360_1970
	s_branch .LBB360_2007
.LBB360_1968:
	s_or_b32 exec_lo, exec_lo, s1
	s_and_saveexec_b32 s1, s9
	s_delay_alu instid0(SALU_CYCLE_1)
	s_xor_b32 s1, exec_lo, s1
	s_cbranch_execz .LBB360_1967
.LBB360_1969:
	s_waitcnt vmcnt(0)
	v_and_b32_e32 v3, 0xff, v2
	s_delay_alu instid0(VALU_DEP_1)
	v_cmp_ne_u16_e32 vcc_lo, 0, v3
	v_cndmask_b32_e64 v3, 0, 1, vcc_lo
	global_store_b8 v[0:1], v3, off
	s_or_b32 exec_lo, exec_lo, s1
	s_and_saveexec_b32 s1, s0
	s_cbranch_execz .LBB360_2007
.LBB360_1970:
	s_waitcnt vmcnt(0)
	v_cmp_gt_i16_e32 vcc_lo, 5, v7
	s_mov_b32 s0, -1
	s_cbranch_vccnz .LBB360_1991
; %bb.1971:
	v_cmp_gt_i16_e32 vcc_lo, 8, v7
	s_cbranch_vccnz .LBB360_1981
; %bb.1972:
	v_cmp_gt_i16_e32 vcc_lo, 9, v7
	s_cbranch_vccnz .LBB360_1978
; %bb.1973:
	v_cmp_lt_i16_e32 vcc_lo, 9, v7
	s_cbranch_vccz .LBB360_1975
; %bb.1974:
	v_bfe_i32 v3, v2, 0, 8
	v_mov_b32_e32 v5, 0
	s_mov_b32 s0, 0
	s_delay_alu instid0(VALU_DEP_2) | instskip(NEXT) | instid1(VALU_DEP_2)
	v_bfe_i32 v3, v3, 0, 16
	v_mov_b32_e32 v6, v5
	s_delay_alu instid0(VALU_DEP_2)
	v_cvt_f64_i32_e32 v[3:4], v3
	global_store_b128 v[0:1], v[3:6], off
.LBB360_1975:
	s_and_not1_b32 vcc_lo, exec_lo, s0
	s_cbranch_vccnz .LBB360_1977
; %bb.1976:
	v_bfe_i32 v3, v2, 0, 8
	v_mov_b32_e32 v4, 0
	s_delay_alu instid0(VALU_DEP_2) | instskip(NEXT) | instid1(VALU_DEP_1)
	v_bfe_i32 v3, v3, 0, 16
	v_cvt_f32_i32_e32 v3, v3
	global_store_b64 v[0:1], v[3:4], off
.LBB360_1977:
	s_mov_b32 s0, 0
.LBB360_1978:
	s_delay_alu instid0(SALU_CYCLE_1)
	s_and_not1_b32 vcc_lo, exec_lo, s0
	s_cbranch_vccnz .LBB360_1980
; %bb.1979:
	v_bfe_i32 v3, v2, 0, 8
	s_delay_alu instid0(VALU_DEP_1) | instskip(NEXT) | instid1(VALU_DEP_1)
	v_cvt_f16_i16_e32 v3, v3
	v_and_b32_e32 v3, 0xffff, v3
	global_store_b32 v[0:1], v3, off
.LBB360_1980:
	s_mov_b32 s0, 0
.LBB360_1981:
	s_delay_alu instid0(SALU_CYCLE_1)
	s_and_not1_b32 vcc_lo, exec_lo, s0
	s_cbranch_vccnz .LBB360_1990
; %bb.1982:
	v_cmp_gt_i16_e32 vcc_lo, 6, v7
	s_mov_b32 s0, -1
	s_cbranch_vccnz .LBB360_1988
; %bb.1983:
	v_cmp_lt_i16_e32 vcc_lo, 6, v7
	s_cbranch_vccz .LBB360_1985
; %bb.1984:
	v_bfe_i32 v3, v2, 0, 8
	s_mov_b32 s0, 0
	s_delay_alu instid0(VALU_DEP_1) | instskip(NEXT) | instid1(VALU_DEP_1)
	v_bfe_i32 v3, v3, 0, 16
	v_cvt_f64_i32_e32 v[3:4], v3
	global_store_b64 v[0:1], v[3:4], off
.LBB360_1985:
	s_and_not1_b32 vcc_lo, exec_lo, s0
	s_cbranch_vccnz .LBB360_1987
; %bb.1986:
	v_bfe_i32 v3, v2, 0, 8
	s_delay_alu instid0(VALU_DEP_1) | instskip(NEXT) | instid1(VALU_DEP_1)
	v_bfe_i32 v3, v3, 0, 16
	v_cvt_f32_i32_e32 v3, v3
	global_store_b32 v[0:1], v3, off
.LBB360_1987:
	s_mov_b32 s0, 0
.LBB360_1988:
	s_delay_alu instid0(SALU_CYCLE_1)
	s_and_not1_b32 vcc_lo, exec_lo, s0
	s_cbranch_vccnz .LBB360_1990
; %bb.1989:
	v_bfe_i32 v3, v2, 0, 8
	s_delay_alu instid0(VALU_DEP_1)
	v_cvt_f16_i16_e32 v3, v3
	global_store_b16 v[0:1], v3, off
.LBB360_1990:
	s_mov_b32 s0, 0
.LBB360_1991:
	s_delay_alu instid0(SALU_CYCLE_1)
	s_and_not1_b32 vcc_lo, exec_lo, s0
	s_cbranch_vccnz .LBB360_2007
; %bb.1992:
	v_cmp_gt_i16_e32 vcc_lo, 2, v7
	s_mov_b32 s0, -1
	s_cbranch_vccnz .LBB360_2002
; %bb.1993:
	v_cmp_gt_i16_e32 vcc_lo, 3, v7
	s_cbranch_vccnz .LBB360_1999
; %bb.1994:
	v_cmp_lt_i16_e32 vcc_lo, 3, v7
	s_cbranch_vccz .LBB360_1996
; %bb.1995:
	v_bfe_i32 v3, v2, 0, 8
	s_mov_b32 s0, 0
	s_delay_alu instid0(VALU_DEP_1)
	v_ashrrev_i32_e32 v4, 31, v3
	global_store_b64 v[0:1], v[3:4], off
.LBB360_1996:
	s_and_not1_b32 vcc_lo, exec_lo, s0
	s_cbranch_vccnz .LBB360_1998
; %bb.1997:
	v_bfe_i32 v3, v2, 0, 8
	global_store_b32 v[0:1], v3, off
.LBB360_1998:
	s_mov_b32 s0, 0
.LBB360_1999:
	s_delay_alu instid0(SALU_CYCLE_1)
	s_and_not1_b32 vcc_lo, exec_lo, s0
	s_cbranch_vccnz .LBB360_2001
; %bb.2000:
	v_bfe_i32 v3, v2, 0, 8
	global_store_b16 v[0:1], v3, off
.LBB360_2001:
	s_mov_b32 s0, 0
.LBB360_2002:
	s_delay_alu instid0(SALU_CYCLE_1)
	s_and_not1_b32 vcc_lo, exec_lo, s0
	s_cbranch_vccnz .LBB360_2007
; %bb.2003:
	v_cmp_lt_i16_e32 vcc_lo, 0, v7
	s_mov_b32 s0, -1
	s_cbranch_vccz .LBB360_2005
; %bb.2004:
	s_mov_b32 s0, 0
	global_store_b8 v[0:1], v2, off
.LBB360_2005:
	s_and_not1_b32 vcc_lo, exec_lo, s0
	s_cbranch_vccnz .LBB360_2007
; %bb.2006:
	global_store_b8 v[0:1], v2, off
	s_nop 0
	s_sendmsg sendmsg(MSG_DEALLOC_VGPRS)
	s_endpgm
.LBB360_2007:
	s_nop 0
	s_sendmsg sendmsg(MSG_DEALLOC_VGPRS)
	s_endpgm
.LBB360_2008:
	s_mov_b32 s1, 0
	s_mov_b32 s0, -1
	s_branch .LBB360_1964
.LBB360_2009:
	s_cbranch_execnz .LBB360_2013
; %bb.2010:
	s_or_b32 s9, s9, exec_lo
                                        ; implicit-def: $vgpr0
	s_cbranch_execz .LBB360_1478
	s_branch .LBB360_1479
.LBB360_2011:
	s_or_saveexec_b32 s8, s8
                                        ; implicit-def: $sgpr10
	s_delay_alu instid0(SALU_CYCLE_1)
	s_xor_b32 exec_lo, exec_lo, s8
	s_cbranch_execz .LBB360_1558
.LBB360_2012:
	v_add_f32_e64 v9, 0x46000000, |v8|
	s_and_not1_b32 s7, s7, exec_lo
	s_mov_b32 s10, 0
	s_delay_alu instid0(VALU_DEP_1) | instskip(NEXT) | instid1(VALU_DEP_1)
	v_and_b32_e32 v9, 0xff, v9
	v_cmp_ne_u32_e32 vcc_lo, 0, v9
	s_and_b32 s13, vcc_lo, exec_lo
	s_delay_alu instid0(SALU_CYCLE_1)
	s_or_b32 s7, s7, s13
	s_or_b32 exec_lo, exec_lo, s8
	v_mov_b32_e32 v10, s10
	s_and_saveexec_b32 s8, s7
	s_cbranch_execnz .LBB360_1559
	s_branch .LBB360_1560
.LBB360_2013:
	s_trap 2
	s_sendmsg_rtn_b32 s0, sendmsg(MSG_RTN_GET_DOORBELL)
	s_mov_b32 ttmp2, m0
	s_waitcnt lgkmcnt(0)
	s_and_b32 s0, s0, 0x3ff
	s_delay_alu instid0(SALU_CYCLE_1) | instskip(NEXT) | instid1(SALU_CYCLE_1)
	s_bitset1_b32 s0, 10
	s_mov_b32 m0, s0
	s_sendmsg sendmsg(MSG_INTERRUPT)
	s_mov_b32 m0, ttmp2
.LBB360_2014:                           ; =>This Inner Loop Header: Depth=1
	s_sethalt 5
	s_branch .LBB360_2014
.LBB360_2015:
	s_cbranch_execnz .LBB360_2021
; %bb.2016:
	s_or_b32 s9, s9, exec_lo
	s_cbranch_execz .LBB360_1606
	s_branch .LBB360_1607
.LBB360_2017:
	s_or_saveexec_b32 s7, s7
                                        ; implicit-def: $sgpr8
	s_delay_alu instid0(SALU_CYCLE_1)
	s_xor_b32 exec_lo, exec_lo, s7
	s_cbranch_execz .LBB360_1571
.LBB360_2018:
	v_add_f32_e64 v9, 0x42800000, |v8|
	s_and_not1_b32 s6, s6, exec_lo
	s_mov_b32 s8, 0
	s_delay_alu instid0(VALU_DEP_1) | instskip(NEXT) | instid1(VALU_DEP_1)
	v_and_b32_e32 v9, 0xff, v9
	v_cmp_ne_u32_e32 vcc_lo, 0, v9
	s_and_b32 s10, vcc_lo, exec_lo
	s_delay_alu instid0(SALU_CYCLE_1)
	s_or_b32 s6, s6, s10
	s_or_b32 exec_lo, exec_lo, s7
	v_mov_b32_e32 v10, s8
	s_and_saveexec_b32 s7, s6
	s_cbranch_execnz .LBB360_1572
	s_branch .LBB360_1573
.LBB360_2019:
	s_or_saveexec_b32 s8, s8
                                        ; implicit-def: $sgpr10
	s_delay_alu instid0(SALU_CYCLE_1)
	s_xor_b32 exec_lo, exec_lo, s8
	s_cbranch_execz .LBB360_1677
.LBB360_2020:
	v_add_f32_e64 v6, 0x46000000, |v5|
	s_and_not1_b32 s7, s7, exec_lo
	s_mov_b32 s10, 0
	s_delay_alu instid0(VALU_DEP_1) | instskip(NEXT) | instid1(VALU_DEP_1)
	v_and_b32_e32 v6, 0xff, v6
	v_cmp_ne_u32_e32 vcc_lo, 0, v6
	s_and_b32 s13, vcc_lo, exec_lo
	s_delay_alu instid0(SALU_CYCLE_1)
	s_or_b32 s7, s7, s13
	s_or_b32 exec_lo, exec_lo, s8
	v_mov_b32_e32 v9, s10
	s_and_saveexec_b32 s8, s7
	s_cbranch_execnz .LBB360_1678
	s_branch .LBB360_1679
.LBB360_2021:
	s_trap 2
	s_sendmsg_rtn_b32 s0, sendmsg(MSG_RTN_GET_DOORBELL)
	s_mov_b32 ttmp2, m0
	s_waitcnt lgkmcnt(0)
	s_and_b32 s0, s0, 0x3ff
	s_delay_alu instid0(SALU_CYCLE_1) | instskip(NEXT) | instid1(SALU_CYCLE_1)
	s_bitset1_b32 s0, 10
	s_mov_b32 m0, s0
	s_sendmsg sendmsg(MSG_INTERRUPT)
	s_mov_b32 m0, ttmp2
.LBB360_2022:                           ; =>This Inner Loop Header: Depth=1
	s_sethalt 5
	s_branch .LBB360_2022
.LBB360_2023:
	s_cbranch_execnz .LBB360_2029
; %bb.2024:
	s_or_b32 s9, s9, exec_lo
	s_cbranch_execz .LBB360_1725
	s_branch .LBB360_1726
.LBB360_2025:
	s_or_saveexec_b32 s7, s7
                                        ; implicit-def: $sgpr8
	s_delay_alu instid0(SALU_CYCLE_1)
	s_xor_b32 exec_lo, exec_lo, s7
	s_cbranch_execz .LBB360_1690
.LBB360_2026:
	v_add_f32_e64 v6, 0x42800000, |v5|
	s_and_not1_b32 s6, s6, exec_lo
	s_mov_b32 s8, 0
	s_delay_alu instid0(VALU_DEP_1) | instskip(NEXT) | instid1(VALU_DEP_1)
	v_and_b32_e32 v6, 0xff, v6
	v_cmp_ne_u32_e32 vcc_lo, 0, v6
	s_and_b32 s10, vcc_lo, exec_lo
	s_delay_alu instid0(SALU_CYCLE_1)
	s_or_b32 s6, s6, s10
	s_or_b32 exec_lo, exec_lo, s7
	v_mov_b32_e32 v9, s8
	s_and_saveexec_b32 s7, s6
	s_cbranch_execnz .LBB360_1691
	s_branch .LBB360_1692
.LBB360_2027:
	s_or_saveexec_b32 s8, s8
                                        ; implicit-def: $sgpr10
	s_delay_alu instid0(SALU_CYCLE_1)
	s_xor_b32 exec_lo, exec_lo, s8
	s_cbranch_execz .LBB360_1796
.LBB360_2028:
	v_add_f32_e64 v4, 0x46000000, |v3|
	s_and_not1_b32 s7, s7, exec_lo
	s_mov_b32 s10, 0
	s_delay_alu instid0(VALU_DEP_1) | instskip(NEXT) | instid1(VALU_DEP_1)
	v_and_b32_e32 v4, 0xff, v4
	v_cmp_ne_u32_e32 vcc_lo, 0, v4
	s_and_b32 s13, vcc_lo, exec_lo
	s_delay_alu instid0(SALU_CYCLE_1)
	s_or_b32 s7, s7, s13
	s_or_b32 exec_lo, exec_lo, s8
	v_mov_b32_e32 v8, s10
	s_and_saveexec_b32 s8, s7
	s_cbranch_execnz .LBB360_1797
	s_branch .LBB360_1798
.LBB360_2029:
	s_trap 2
	s_sendmsg_rtn_b32 s0, sendmsg(MSG_RTN_GET_DOORBELL)
	s_mov_b32 ttmp2, m0
	s_waitcnt lgkmcnt(0)
	s_and_b32 s0, s0, 0x3ff
	s_delay_alu instid0(SALU_CYCLE_1) | instskip(NEXT) | instid1(SALU_CYCLE_1)
	s_bitset1_b32 s0, 10
	s_mov_b32 m0, s0
	s_sendmsg sendmsg(MSG_INTERRUPT)
	s_mov_b32 m0, ttmp2
.LBB360_2030:                           ; =>This Inner Loop Header: Depth=1
	s_sethalt 5
	s_branch .LBB360_2030
.LBB360_2031:
	s_cbranch_execnz .LBB360_2037
; %bb.2032:
	s_or_b32 s9, s9, exec_lo
	s_cbranch_execz .LBB360_1844
	s_branch .LBB360_1845
.LBB360_2033:
	s_or_saveexec_b32 s7, s7
                                        ; implicit-def: $sgpr8
	s_delay_alu instid0(SALU_CYCLE_1)
	s_xor_b32 exec_lo, exec_lo, s7
	s_cbranch_execz .LBB360_1809
.LBB360_2034:
	v_add_f32_e64 v4, 0x42800000, |v3|
	s_and_not1_b32 s6, s6, exec_lo
	s_mov_b32 s8, 0
	s_delay_alu instid0(VALU_DEP_1) | instskip(NEXT) | instid1(VALU_DEP_1)
	v_and_b32_e32 v4, 0xff, v4
	v_cmp_ne_u32_e32 vcc_lo, 0, v4
	s_and_b32 s10, vcc_lo, exec_lo
	s_delay_alu instid0(SALU_CYCLE_1)
	s_or_b32 s6, s6, s10
	s_or_b32 exec_lo, exec_lo, s7
	v_mov_b32_e32 v8, s8
	s_and_saveexec_b32 s7, s6
	s_cbranch_execnz .LBB360_1810
	s_branch .LBB360_1811
.LBB360_2035:
	s_or_saveexec_b32 s4, s4
                                        ; implicit-def: $sgpr5
	s_delay_alu instid0(SALU_CYCLE_1)
	s_xor_b32 exec_lo, exec_lo, s4
	s_cbranch_execz .LBB360_1916
.LBB360_2036:
	v_add_f32_e64 v4, 0x46000000, |v3|
	s_and_not1_b32 s3, s3, exec_lo
	s_mov_b32 s5, 0
	s_delay_alu instid0(VALU_DEP_1) | instskip(NEXT) | instid1(VALU_DEP_1)
	v_and_b32_e32 v4, 0xff, v4
	v_cmp_ne_u32_e32 vcc_lo, 0, v4
	s_and_b32 s6, vcc_lo, exec_lo
	s_delay_alu instid0(SALU_CYCLE_1)
	s_or_b32 s3, s3, s6
	s_or_b32 exec_lo, exec_lo, s4
	v_mov_b32_e32 v5, s5
	s_and_saveexec_b32 s4, s3
	s_cbranch_execnz .LBB360_1917
	s_branch .LBB360_1918
.LBB360_2037:
	s_trap 2
	s_sendmsg_rtn_b32 s0, sendmsg(MSG_RTN_GET_DOORBELL)
	s_mov_b32 ttmp2, m0
	s_waitcnt lgkmcnt(0)
	s_and_b32 s0, s0, 0x3ff
	s_delay_alu instid0(SALU_CYCLE_1) | instskip(NEXT) | instid1(SALU_CYCLE_1)
	s_bitset1_b32 s0, 10
	s_mov_b32 m0, s0
	s_sendmsg sendmsg(MSG_INTERRUPT)
	s_mov_b32 m0, ttmp2
.LBB360_2038:                           ; =>This Inner Loop Header: Depth=1
	s_sethalt 5
	s_branch .LBB360_2038
.LBB360_2039:
	s_cbranch_execnz .LBB360_2043
; %bb.2040:
	s_mov_b32 s1, 0
	s_or_b32 s9, s9, exec_lo
	s_branch .LBB360_1962
.LBB360_2041:
	s_or_saveexec_b32 s3, s3
                                        ; implicit-def: $sgpr4
	s_delay_alu instid0(SALU_CYCLE_1)
	s_xor_b32 exec_lo, exec_lo, s3
	s_cbranch_execz .LBB360_1928
.LBB360_2042:
	v_add_f32_e64 v4, 0x42800000, |v3|
	s_and_not1_b32 s2, s2, exec_lo
	s_mov_b32 s4, 0
	s_delay_alu instid0(VALU_DEP_1) | instskip(NEXT) | instid1(VALU_DEP_1)
	v_and_b32_e32 v4, 0xff, v4
	v_cmp_ne_u32_e32 vcc_lo, 0, v4
	s_and_b32 s5, vcc_lo, exec_lo
	s_delay_alu instid0(SALU_CYCLE_1)
	s_or_b32 s2, s2, s5
	s_or_b32 exec_lo, exec_lo, s3
	v_mov_b32_e32 v5, s4
	s_and_saveexec_b32 s3, s2
	s_cbranch_execnz .LBB360_1929
	s_branch .LBB360_1930
.LBB360_2043:
	s_trap 2
	s_sendmsg_rtn_b32 s0, sendmsg(MSG_RTN_GET_DOORBELL)
	s_mov_b32 ttmp2, m0
	s_waitcnt lgkmcnt(0)
	s_and_b32 s0, s0, 0x3ff
	s_delay_alu instid0(SALU_CYCLE_1) | instskip(NEXT) | instid1(SALU_CYCLE_1)
	s_bitset1_b32 s0, 10
	s_mov_b32 m0, s0
	s_sendmsg sendmsg(MSG_INTERRUPT)
	s_mov_b32 m0, ttmp2
.LBB360_2044:                           ; =>This Inner Loop Header: Depth=1
	s_sethalt 5
	s_branch .LBB360_2044
	.section	.rodata,"a",@progbits
	.p2align	6, 0x0
	.amdhsa_kernel _ZN2at6native32elementwise_kernel_manual_unrollILi128ELi4EZNS0_15gpu_kernel_implIZZZNS0_21clamp_min_kernel_cudaERNS_18TensorIteratorBaseERKN3c106ScalarEENKUlvE_clEvENKUlvE0_clEvEUlaE_EEvS4_RKT_EUlibE_EEviT1_
		.amdhsa_group_segment_fixed_size 0
		.amdhsa_private_segment_fixed_size 0
		.amdhsa_kernarg_size 40
		.amdhsa_user_sgpr_count 15
		.amdhsa_user_sgpr_dispatch_ptr 0
		.amdhsa_user_sgpr_queue_ptr 0
		.amdhsa_user_sgpr_kernarg_segment_ptr 1
		.amdhsa_user_sgpr_dispatch_id 0
		.amdhsa_user_sgpr_private_segment_size 0
		.amdhsa_wavefront_size32 1
		.amdhsa_uses_dynamic_stack 0
		.amdhsa_enable_private_segment 0
		.amdhsa_system_sgpr_workgroup_id_x 1
		.amdhsa_system_sgpr_workgroup_id_y 0
		.amdhsa_system_sgpr_workgroup_id_z 0
		.amdhsa_system_sgpr_workgroup_info 0
		.amdhsa_system_vgpr_workitem_id 0
		.amdhsa_next_free_vgpr 13
		.amdhsa_next_free_sgpr 27
		.amdhsa_reserve_vcc 1
		.amdhsa_float_round_mode_32 0
		.amdhsa_float_round_mode_16_64 0
		.amdhsa_float_denorm_mode_32 3
		.amdhsa_float_denorm_mode_16_64 3
		.amdhsa_dx10_clamp 1
		.amdhsa_ieee_mode 1
		.amdhsa_fp16_overflow 0
		.amdhsa_workgroup_processor_mode 1
		.amdhsa_memory_ordered 1
		.amdhsa_forward_progress 0
		.amdhsa_shared_vgpr_count 0
		.amdhsa_exception_fp_ieee_invalid_op 0
		.amdhsa_exception_fp_denorm_src 0
		.amdhsa_exception_fp_ieee_div_zero 0
		.amdhsa_exception_fp_ieee_overflow 0
		.amdhsa_exception_fp_ieee_underflow 0
		.amdhsa_exception_fp_ieee_inexact 0
		.amdhsa_exception_int_div_zero 0
	.end_amdhsa_kernel
	.section	.text._ZN2at6native32elementwise_kernel_manual_unrollILi128ELi4EZNS0_15gpu_kernel_implIZZZNS0_21clamp_min_kernel_cudaERNS_18TensorIteratorBaseERKN3c106ScalarEENKUlvE_clEvENKUlvE0_clEvEUlaE_EEvS4_RKT_EUlibE_EEviT1_,"axG",@progbits,_ZN2at6native32elementwise_kernel_manual_unrollILi128ELi4EZNS0_15gpu_kernel_implIZZZNS0_21clamp_min_kernel_cudaERNS_18TensorIteratorBaseERKN3c106ScalarEENKUlvE_clEvENKUlvE0_clEvEUlaE_EEvS4_RKT_EUlibE_EEviT1_,comdat
.Lfunc_end360:
	.size	_ZN2at6native32elementwise_kernel_manual_unrollILi128ELi4EZNS0_15gpu_kernel_implIZZZNS0_21clamp_min_kernel_cudaERNS_18TensorIteratorBaseERKN3c106ScalarEENKUlvE_clEvENKUlvE0_clEvEUlaE_EEvS4_RKT_EUlibE_EEviT1_, .Lfunc_end360-_ZN2at6native32elementwise_kernel_manual_unrollILi128ELi4EZNS0_15gpu_kernel_implIZZZNS0_21clamp_min_kernel_cudaERNS_18TensorIteratorBaseERKN3c106ScalarEENKUlvE_clEvENKUlvE0_clEvEUlaE_EEvS4_RKT_EUlibE_EEviT1_
                                        ; -- End function
	.section	.AMDGPU.csdata,"",@progbits
; Kernel info:
; codeLenInByte = 34140
; NumSgprs: 29
; NumVgprs: 13
; ScratchSize: 0
; MemoryBound: 1
; FloatMode: 240
; IeeeMode: 1
; LDSByteSize: 0 bytes/workgroup (compile time only)
; SGPRBlocks: 3
; VGPRBlocks: 1
; NumSGPRsForWavesPerEU: 29
; NumVGPRsForWavesPerEU: 13
; Occupancy: 16
; WaveLimiterHint : 0
; COMPUTE_PGM_RSRC2:SCRATCH_EN: 0
; COMPUTE_PGM_RSRC2:USER_SGPR: 15
; COMPUTE_PGM_RSRC2:TRAP_HANDLER: 0
; COMPUTE_PGM_RSRC2:TGID_X_EN: 1
; COMPUTE_PGM_RSRC2:TGID_Y_EN: 0
; COMPUTE_PGM_RSRC2:TGID_Z_EN: 0
; COMPUTE_PGM_RSRC2:TIDIG_COMP_CNT: 0
	.section	.text._ZN2at6native32elementwise_kernel_manual_unrollILi128ELi4EZNS0_15gpu_kernel_implIZZZNS0_21clamp_min_kernel_cudaERNS_18TensorIteratorBaseERKN3c106ScalarEENKUlvE_clEvENKUlvE0_clEvEUlaE_EEvS4_RKT_EUlibE0_EEviT1_,"axG",@progbits,_ZN2at6native32elementwise_kernel_manual_unrollILi128ELi4EZNS0_15gpu_kernel_implIZZZNS0_21clamp_min_kernel_cudaERNS_18TensorIteratorBaseERKN3c106ScalarEENKUlvE_clEvENKUlvE0_clEvEUlaE_EEvS4_RKT_EUlibE0_EEviT1_,comdat
	.globl	_ZN2at6native32elementwise_kernel_manual_unrollILi128ELi4EZNS0_15gpu_kernel_implIZZZNS0_21clamp_min_kernel_cudaERNS_18TensorIteratorBaseERKN3c106ScalarEENKUlvE_clEvENKUlvE0_clEvEUlaE_EEvS4_RKT_EUlibE0_EEviT1_ ; -- Begin function _ZN2at6native32elementwise_kernel_manual_unrollILi128ELi4EZNS0_15gpu_kernel_implIZZZNS0_21clamp_min_kernel_cudaERNS_18TensorIteratorBaseERKN3c106ScalarEENKUlvE_clEvENKUlvE0_clEvEUlaE_EEvS4_RKT_EUlibE0_EEviT1_
	.p2align	8
	.type	_ZN2at6native32elementwise_kernel_manual_unrollILi128ELi4EZNS0_15gpu_kernel_implIZZZNS0_21clamp_min_kernel_cudaERNS_18TensorIteratorBaseERKN3c106ScalarEENKUlvE_clEvENKUlvE0_clEvEUlaE_EEvS4_RKT_EUlibE0_EEviT1_,@function
_ZN2at6native32elementwise_kernel_manual_unrollILi128ELi4EZNS0_15gpu_kernel_implIZZZNS0_21clamp_min_kernel_cudaERNS_18TensorIteratorBaseERKN3c106ScalarEENKUlvE_clEvENKUlvE0_clEvEUlaE_EEvS4_RKT_EUlibE0_EEviT1_: ; @_ZN2at6native32elementwise_kernel_manual_unrollILi128ELi4EZNS0_15gpu_kernel_implIZZZNS0_21clamp_min_kernel_cudaERNS_18TensorIteratorBaseERKN3c106ScalarEENKUlvE_clEvENKUlvE0_clEvEUlaE_EEvS4_RKT_EUlibE0_EEviT1_
; %bb.0:
	s_clause 0x1
	s_load_b32 s24, s[0:1], 0x8
	s_load_b32 s34, s[0:1], 0x0
	v_lshl_or_b32 v5, s15, 9, v0
	s_or_b32 s16, s0, 8
	s_mov_b32 s3, -1
	s_mov_b32 s26, 0
	s_mov_b32 s17, s1
	v_or_b32_e32 v8, 0x180, v5
	s_mov_b32 s8, 0
	s_mov_b32 s2, exec_lo
	s_waitcnt lgkmcnt(0)
	s_add_i32 s25, s24, -1
	s_delay_alu instid0(SALU_CYCLE_1)
	s_cmp_gt_u32 s25, 1
	s_cselect_b32 s27, -1, 0
	v_cmpx_le_i32_e64 s34, v8
	s_xor_b32 s28, exec_lo, s2
	s_cbranch_execz .LBB361_1060
; %bb.1:
	s_clause 0x4
	s_load_b32 s29, s[16:17], 0x158
	s_load_b128 s[12:15], s[16:17], 0x4
	s_load_b64 s[18:19], s[16:17], 0x14
	s_load_b128 s[8:11], s[16:17], 0xc4
	s_load_b128 s[4:7], s[16:17], 0x148
	s_cmp_lg_u32 s24, 0
	s_mov_b32 s40, 0
	s_cselect_b32 s36, -1, 0
	s_add_u32 s20, s16, 0xc4
	s_addc_u32 s21, s17, 0
	s_min_u32 s35, s25, 15
	s_cmp_gt_u32 s24, 1
	s_mov_b32 s38, 0
	s_cselect_b32 s33, -1, 0
	s_mov_b32 s37, 0
	s_mov_b32 s39, exec_lo
	s_waitcnt lgkmcnt(0)
	s_lshr_b32 s30, s29, 8
	s_lshr_b32 s31, s29, 16
	v_cmpx_gt_i32_e64 s34, v5
	s_cbranch_execz .LBB361_259
; %bb.2:
	s_and_not1_b32 vcc_lo, exec_lo, s27
	s_cbranch_vccnz .LBB361_7
; %bb.3:
	v_dual_mov_b32 v0, 0 :: v_dual_mov_b32 v1, 0
	s_and_not1_b32 vcc_lo, exec_lo, s36
	s_cbranch_vccnz .LBB361_12
; %bb.4:
	v_mov_b32_e32 v0, 0
	s_add_i32 s41, s35, 1
	s_cmp_eq_u32 s25, 2
	s_cbranch_scc1 .LBB361_8
; %bb.5:
	v_dual_mov_b32 v1, 0 :: v_dual_mov_b32 v0, 0
	v_mov_b32_e32 v2, v5
	s_and_b32 s38, s41, 28
	s_mov_b32 s42, 0
	s_mov_b64 s[2:3], s[20:21]
	s_mov_b64 s[22:23], s[16:17]
.LBB361_6:                              ; =>This Inner Loop Header: Depth=1
	s_clause 0x1
	s_load_b256 s[44:51], s[22:23], 0x4
	s_load_b128 s[60:63], s[22:23], 0x24
	s_load_b256 s[52:59], s[2:3], 0x0
	s_add_u32 s22, s22, 48
	s_addc_u32 s23, s23, 0
	s_add_i32 s42, s42, 4
	s_add_u32 s2, s2, 32
	s_addc_u32 s3, s3, 0
	s_cmp_lg_u32 s38, s42
	s_waitcnt lgkmcnt(0)
	v_mul_hi_u32 v3, s45, v2
	s_delay_alu instid0(VALU_DEP_1) | instskip(NEXT) | instid1(VALU_DEP_1)
	v_add_nc_u32_e32 v3, v2, v3
	v_lshrrev_b32_e32 v3, s46, v3
	s_delay_alu instid0(VALU_DEP_1) | instskip(SKIP_1) | instid1(VALU_DEP_2)
	v_mul_hi_u32 v4, s48, v3
	v_mul_lo_u32 v7, v3, s44
	v_add_nc_u32_e32 v4, v3, v4
	s_delay_alu instid0(VALU_DEP_2) | instskip(NEXT) | instid1(VALU_DEP_2)
	v_sub_nc_u32_e32 v2, v2, v7
	v_lshrrev_b32_e32 v4, s49, v4
	s_delay_alu instid0(VALU_DEP_2) | instskip(SKIP_1) | instid1(VALU_DEP_3)
	v_mul_lo_u32 v7, v2, s52
	v_mul_lo_u32 v9, v2, s53
	v_mul_hi_u32 v6, s51, v4
	s_delay_alu instid0(VALU_DEP_1) | instskip(NEXT) | instid1(VALU_DEP_1)
	v_add_nc_u32_e32 v6, v4, v6
	v_lshrrev_b32_e32 v6, s60, v6
	s_delay_alu instid0(VALU_DEP_1) | instskip(SKIP_1) | instid1(VALU_DEP_2)
	v_mul_hi_u32 v8, s62, v6
	v_mul_lo_u32 v10, v6, s50
	v_add_nc_u32_e32 v2, v6, v8
	v_mul_lo_u32 v8, v4, s47
	s_delay_alu instid0(VALU_DEP_3) | instskip(NEXT) | instid1(VALU_DEP_3)
	v_sub_nc_u32_e32 v4, v4, v10
	v_lshrrev_b32_e32 v2, s63, v2
	s_delay_alu instid0(VALU_DEP_2) | instskip(SKIP_2) | instid1(VALU_DEP_4)
	v_mul_lo_u32 v10, v4, s56
	v_mul_lo_u32 v4, v4, s57
	v_sub_nc_u32_e32 v3, v3, v8
	v_mul_lo_u32 v11, v2, s61
	s_delay_alu instid0(VALU_DEP_2) | instskip(SKIP_1) | instid1(VALU_DEP_3)
	v_mul_lo_u32 v8, v3, s54
	v_mul_lo_u32 v3, v3, s55
	v_sub_nc_u32_e32 v6, v6, v11
	s_delay_alu instid0(VALU_DEP_3) | instskip(NEXT) | instid1(VALU_DEP_2)
	v_add3_u32 v0, v7, v0, v8
	v_mul_lo_u32 v11, v6, s58
	v_mul_lo_u32 v6, v6, s59
	v_add3_u32 v1, v9, v1, v3
	s_delay_alu instid0(VALU_DEP_3) | instskip(NEXT) | instid1(VALU_DEP_2)
	v_add3_u32 v0, v10, v0, v11
	v_add3_u32 v1, v4, v1, v6
	s_cbranch_scc1 .LBB361_6
	s_branch .LBB361_9
.LBB361_7:
	s_mov_b32 s37, -1
                                        ; implicit-def: $vgpr0
                                        ; implicit-def: $vgpr1
	s_branch .LBB361_12
.LBB361_8:
	v_dual_mov_b32 v2, v5 :: v_dual_mov_b32 v1, 0
.LBB361_9:
	s_and_b32 s41, s41, 3
	s_delay_alu instid0(SALU_CYCLE_1)
	s_cmp_eq_u32 s41, 0
	s_cbranch_scc1 .LBB361_12
; %bb.10:
	s_lshl_b32 s2, s38, 3
	s_mul_i32 s22, s38, 12
	s_add_u32 s2, s2, s16
	s_addc_u32 s3, s17, 0
	s_add_u32 s2, s2, 0xc4
	s_addc_u32 s3, s3, 0
	;; [unrolled: 2-line block ×3, first 2 shown]
	.p2align	6
.LBB361_11:                             ; =>This Inner Loop Header: Depth=1
	s_clause 0x1
	s_load_b64 s[42:43], s[22:23], 0x4
	s_load_b32 s38, s[22:23], 0xc
	s_load_b64 s[44:45], s[2:3], 0x0
	s_add_u32 s22, s22, 12
	s_addc_u32 s23, s23, 0
	s_add_u32 s2, s2, 8
	s_addc_u32 s3, s3, 0
	s_add_i32 s41, s41, -1
	s_delay_alu instid0(SALU_CYCLE_1) | instskip(SKIP_2) | instid1(VALU_DEP_1)
	s_cmp_lg_u32 s41, 0
	s_waitcnt lgkmcnt(0)
	v_mul_hi_u32 v3, s43, v2
	v_add_nc_u32_e32 v3, v2, v3
	s_delay_alu instid0(VALU_DEP_1) | instskip(NEXT) | instid1(VALU_DEP_1)
	v_lshrrev_b32_e32 v8, s38, v3
	v_mul_lo_u32 v3, v8, s42
	s_delay_alu instid0(VALU_DEP_1) | instskip(NEXT) | instid1(VALU_DEP_1)
	v_sub_nc_u32_e32 v2, v2, v3
	v_mad_u64_u32 v[3:4], null, v2, s44, v[0:1]
	v_mad_u64_u32 v[6:7], null, v2, s45, v[1:2]
	v_mov_b32_e32 v2, v8
	s_delay_alu instid0(VALU_DEP_2)
	v_dual_mov_b32 v0, v3 :: v_dual_mov_b32 v1, v6
	s_cbranch_scc1 .LBB361_11
.LBB361_12:
	s_and_not1_b32 vcc_lo, exec_lo, s37
	s_cbranch_vccnz .LBB361_15
; %bb.13:
	v_mul_hi_u32 v0, s13, v5
	s_and_not1_b32 vcc_lo, exec_lo, s33
	s_delay_alu instid0(VALU_DEP_1) | instskip(NEXT) | instid1(VALU_DEP_1)
	v_add_nc_u32_e32 v0, v5, v0
	v_lshrrev_b32_e32 v2, s14, v0
	s_delay_alu instid0(VALU_DEP_1) | instskip(NEXT) | instid1(VALU_DEP_1)
	v_mul_lo_u32 v0, v2, s12
	v_sub_nc_u32_e32 v1, v5, v0
	s_delay_alu instid0(VALU_DEP_1)
	v_mul_lo_u32 v0, v1, s8
	v_mul_lo_u32 v1, v1, s9
	s_cbranch_vccnz .LBB361_15
; %bb.14:
	v_mul_hi_u32 v3, s18, v2
	s_delay_alu instid0(VALU_DEP_1) | instskip(NEXT) | instid1(VALU_DEP_1)
	v_add_nc_u32_e32 v3, v2, v3
	v_lshrrev_b32_e32 v3, s19, v3
	s_delay_alu instid0(VALU_DEP_1) | instskip(NEXT) | instid1(VALU_DEP_1)
	v_mul_lo_u32 v3, v3, s15
	v_sub_nc_u32_e32 v6, v2, v3
	s_delay_alu instid0(VALU_DEP_1) | instskip(NEXT) | instid1(VALU_DEP_1)
	v_mad_u64_u32 v[2:3], null, v6, s10, v[0:1]
	v_mad_u64_u32 v[3:4], null, v6, s11, v[1:2]
	s_delay_alu instid0(VALU_DEP_1)
	v_dual_mov_b32 v0, v2 :: v_dual_mov_b32 v1, v3
.LBB361_15:
	v_and_b32_e64 v6, 0xff, s31
	s_delay_alu instid0(VALU_DEP_2) | instskip(NEXT) | instid1(VALU_DEP_1)
	v_add_co_u32 v1, s2, s6, v1
	v_add_co_ci_u32_e64 v2, null, s7, 0, s2
	s_delay_alu instid0(VALU_DEP_3)
	v_cmp_gt_i16_e32 vcc_lo, 11, v6
	s_mov_b32 s3, 0
	s_cbranch_vccnz .LBB361_22
; %bb.16:
	v_cmp_lt_i16_e32 vcc_lo, 25, v6
	s_cbranch_vccz .LBB361_141
; %bb.17:
	v_cmp_lt_i16_e32 vcc_lo, 28, v6
	s_cbranch_vccz .LBB361_142
	;; [unrolled: 3-line block ×4, first 2 shown]
; %bb.20:
	v_cmp_eq_u16_e32 vcc_lo, 46, v6
	s_mov_b32 s22, 0
	s_cbranch_vccz .LBB361_145
; %bb.21:
	global_load_b32 v3, v[1:2], off
	s_mov_b32 s2, -1
	s_waitcnt vmcnt(0)
	v_lshlrev_b32_e32 v3, 16, v3
	s_delay_alu instid0(VALU_DEP_1)
	v_cvt_i32_f32_e32 v3, v3
	s_branch .LBB361_147
.LBB361_22:
	s_mov_b32 s2, 0
                                        ; implicit-def: $vgpr3
	s_cbranch_execnz .LBB361_209
.LBB361_23:
	s_and_not1_b32 vcc_lo, exec_lo, s2
	s_cbranch_vccnz .LBB361_256
.LBB361_24:
	s_waitcnt vmcnt(0)
	s_delay_alu instid0(VALU_DEP_1)
	v_bfe_i32 v1, v3, 0, 8
	v_and_b32_e64 v3, 0xff, s30
	s_bfe_i32 s22, s29, 0x80000
	s_mov_b32 s2, 0
	s_mov_b32 s23, -1
	v_max_i16 v2, v1, s22
	v_cmp_gt_i16_e32 vcc_lo, 11, v3
	v_add_co_u32 v0, s22, s4, v0
	s_delay_alu instid0(VALU_DEP_1)
	v_add_co_ci_u32_e64 v1, null, s5, 0, s22
	s_mov_b32 s22, 0
	s_cbranch_vccnz .LBB361_101
; %bb.25:
	v_cmp_lt_i16_e32 vcc_lo, 25, v3
	s_cbranch_vccz .LBB361_58
; %bb.26:
	v_cmp_lt_i16_e32 vcc_lo, 28, v3
	s_cbranch_vccz .LBB361_41
	;; [unrolled: 3-line block ×4, first 2 shown]
; %bb.29:
	v_cmp_eq_u16_e32 vcc_lo, 46, v3
	s_mov_b32 s23, 0
	s_mov_b32 s2, -1
	s_cbranch_vccz .LBB361_31
; %bb.30:
	v_bfe_i32 v4, v2, 0, 16
	s_mov_b32 s22, -1
	s_mov_b32 s2, 0
	s_delay_alu instid0(VALU_DEP_1) | instskip(NEXT) | instid1(VALU_DEP_1)
	v_cvt_f32_i32_e32 v4, v4
	v_bfe_u32 v6, v4, 16, 1
	s_delay_alu instid0(VALU_DEP_1) | instskip(NEXT) | instid1(VALU_DEP_1)
	v_add3_u32 v4, v4, v6, 0x7fff
	v_lshrrev_b32_e32 v4, 16, v4
	global_store_b32 v[0:1], v4, off
.LBB361_31:
	s_and_b32 vcc_lo, exec_lo, s23
	s_cbranch_vccz .LBB361_36
; %bb.32:
	v_cmp_eq_u16_e32 vcc_lo, 44, v3
	s_mov_b32 s2, -1
	s_cbranch_vccz .LBB361_36
; %bb.33:
	v_bfe_i32 v4, v2, 0, 16
	v_mov_b32_e32 v6, 0xff
	s_mov_b32 s22, exec_lo
	s_delay_alu instid0(VALU_DEP_2) | instskip(NEXT) | instid1(VALU_DEP_1)
	v_cvt_f32_i32_e32 v4, v4
	v_bfe_u32 v7, v4, 23, 8
	s_delay_alu instid0(VALU_DEP_1)
	v_cmpx_ne_u32_e32 0xff, v7
; %bb.34:
	v_and_b32_e32 v6, 0x400000, v4
	v_and_or_b32 v7, 0x3fffff, v4, v7
	v_lshrrev_b32_e32 v4, 23, v4
	s_delay_alu instid0(VALU_DEP_3) | instskip(NEXT) | instid1(VALU_DEP_3)
	v_cmp_ne_u32_e32 vcc_lo, 0, v6
	v_cmp_ne_u32_e64 s2, 0, v7
	s_delay_alu instid0(VALU_DEP_1) | instskip(NEXT) | instid1(SALU_CYCLE_1)
	s_and_b32 s2, vcc_lo, s2
	v_cndmask_b32_e64 v6, 0, 1, s2
	s_delay_alu instid0(VALU_DEP_1)
	v_add_nc_u32_e32 v6, v4, v6
; %bb.35:
	s_or_b32 exec_lo, exec_lo, s22
	s_mov_b32 s22, -1
	s_mov_b32 s2, 0
	global_store_b8 v[0:1], v6, off
.LBB361_36:
	s_mov_b32 s23, 0
.LBB361_37:
	s_delay_alu instid0(SALU_CYCLE_1)
	s_and_b32 vcc_lo, exec_lo, s23
	s_cbranch_vccz .LBB361_40
; %bb.38:
	v_cmp_eq_u16_e32 vcc_lo, 29, v3
	s_mov_b32 s2, -1
	s_cbranch_vccz .LBB361_40
; %bb.39:
	v_bfe_i32 v6, v2, 0, 16
	s_mov_b32 s2, 0
	s_mov_b32 s22, -1
	s_delay_alu instid0(VALU_DEP_1)
	v_ashrrev_i32_e32 v7, 31, v6
	global_store_b64 v[0:1], v[6:7], off
.LBB361_40:
	s_mov_b32 s23, 0
.LBB361_41:
	s_delay_alu instid0(SALU_CYCLE_1)
	s_and_b32 vcc_lo, exec_lo, s23
	s_cbranch_vccz .LBB361_57
; %bb.42:
	v_cmp_gt_i16_e32 vcc_lo, 27, v3
	s_mov_b32 s22, -1
	s_cbranch_vccnz .LBB361_48
; %bb.43:
	v_cmp_lt_i16_e32 vcc_lo, 27, v3
	s_cbranch_vccz .LBB361_45
; %bb.44:
	v_bfe_i32 v4, v2, 0, 16
	s_mov_b32 s22, 0
	global_store_b32 v[0:1], v4, off
.LBB361_45:
	s_and_not1_b32 vcc_lo, exec_lo, s22
	s_cbranch_vccnz .LBB361_47
; %bb.46:
	global_store_b16 v[0:1], v2, off
.LBB361_47:
	s_mov_b32 s22, 0
.LBB361_48:
	s_delay_alu instid0(SALU_CYCLE_1)
	s_and_not1_b32 vcc_lo, exec_lo, s22
	s_cbranch_vccnz .LBB361_56
; %bb.49:
	v_bfe_i32 v4, v2, 0, 16
	v_mov_b32_e32 v7, 0x80
	s_mov_b32 s22, exec_lo
	s_delay_alu instid0(VALU_DEP_2) | instskip(NEXT) | instid1(VALU_DEP_1)
	v_cvt_f32_i32_e32 v4, v4
	v_and_b32_e32 v6, 0x7fffffff, v4
	s_delay_alu instid0(VALU_DEP_1)
	v_cmpx_gt_u32_e32 0x43800000, v6
	s_cbranch_execz .LBB361_55
; %bb.50:
	v_cmp_lt_u32_e32 vcc_lo, 0x3bffffff, v6
	s_mov_b32 s23, 0
                                        ; implicit-def: $vgpr6
	s_and_saveexec_b32 s37, vcc_lo
	s_delay_alu instid0(SALU_CYCLE_1)
	s_xor_b32 s37, exec_lo, s37
	s_cbranch_execz .LBB361_150
; %bb.51:
	v_bfe_u32 v6, v4, 20, 1
	s_mov_b32 s23, exec_lo
	s_delay_alu instid0(VALU_DEP_1) | instskip(NEXT) | instid1(VALU_DEP_1)
	v_add3_u32 v6, v4, v6, 0x487ffff
	v_lshrrev_b32_e32 v6, 20, v6
	s_or_saveexec_b32 s37, s37
                                        ; implicit-def: $sgpr38
	s_delay_alu instid0(SALU_CYCLE_1)
	s_xor_b32 exec_lo, exec_lo, s37
	s_cbranch_execnz .LBB361_151
.LBB361_52:
	s_or_b32 exec_lo, exec_lo, s37
	v_mov_b32_e32 v7, s38
	s_and_saveexec_b32 s37, s23
.LBB361_53:
	v_lshrrev_b32_e32 v4, 24, v4
	s_delay_alu instid0(VALU_DEP_1)
	v_and_or_b32 v7, 0x80, v4, v6
.LBB361_54:
	s_or_b32 exec_lo, exec_lo, s37
.LBB361_55:
	s_delay_alu instid0(SALU_CYCLE_1)
	s_or_b32 exec_lo, exec_lo, s22
	global_store_b8 v[0:1], v7, off
.LBB361_56:
	s_mov_b32 s22, -1
.LBB361_57:
	s_mov_b32 s23, 0
.LBB361_58:
	s_delay_alu instid0(SALU_CYCLE_1)
	s_and_b32 vcc_lo, exec_lo, s23
	s_cbranch_vccz .LBB361_99
; %bb.59:
	v_cmp_lt_i16_e32 vcc_lo, 22, v3
	s_mov_b32 s23, -1
	s_cbranch_vccz .LBB361_91
; %bb.60:
	v_cmp_gt_i16_e32 vcc_lo, 24, v3
	s_mov_b32 s22, -1
	s_cbranch_vccnz .LBB361_80
; %bb.61:
	v_cmp_lt_i16_e32 vcc_lo, 24, v3
	s_cbranch_vccz .LBB361_69
; %bb.62:
	v_bfe_i32 v4, v2, 0, 16
	v_mov_b32_e32 v7, 0x80
	s_mov_b32 s22, exec_lo
	s_delay_alu instid0(VALU_DEP_2) | instskip(NEXT) | instid1(VALU_DEP_1)
	v_cvt_f32_i32_e32 v4, v4
	v_and_b32_e32 v6, 0x7fffffff, v4
	s_delay_alu instid0(VALU_DEP_1)
	v_cmpx_gt_u32_e32 0x47800000, v6
	s_cbranch_execz .LBB361_68
; %bb.63:
	v_cmp_lt_u32_e32 vcc_lo, 0x37ffffff, v6
	s_mov_b32 s23, 0
                                        ; implicit-def: $vgpr6
	s_and_saveexec_b32 s37, vcc_lo
	s_delay_alu instid0(SALU_CYCLE_1)
	s_xor_b32 s37, exec_lo, s37
	s_cbranch_execz .LBB361_337
; %bb.64:
	v_bfe_u32 v6, v4, 21, 1
	s_mov_b32 s23, exec_lo
	s_delay_alu instid0(VALU_DEP_1) | instskip(NEXT) | instid1(VALU_DEP_1)
	v_add3_u32 v6, v4, v6, 0x88fffff
	v_lshrrev_b32_e32 v6, 21, v6
	s_or_saveexec_b32 s37, s37
                                        ; implicit-def: $sgpr38
	s_delay_alu instid0(SALU_CYCLE_1)
	s_xor_b32 exec_lo, exec_lo, s37
	s_cbranch_execnz .LBB361_338
.LBB361_65:
	s_or_b32 exec_lo, exec_lo, s37
	v_mov_b32_e32 v7, s38
	s_and_saveexec_b32 s37, s23
.LBB361_66:
	v_lshrrev_b32_e32 v4, 24, v4
	s_delay_alu instid0(VALU_DEP_1)
	v_and_or_b32 v7, 0x80, v4, v6
.LBB361_67:
	s_or_b32 exec_lo, exec_lo, s37
.LBB361_68:
	s_delay_alu instid0(SALU_CYCLE_1)
	s_or_b32 exec_lo, exec_lo, s22
	s_mov_b32 s22, 0
	global_store_b8 v[0:1], v7, off
.LBB361_69:
	s_and_b32 vcc_lo, exec_lo, s22
	s_cbranch_vccz .LBB361_79
; %bb.70:
	v_bfe_i32 v4, v2, 0, 16
	s_mov_b32 s22, exec_lo
                                        ; implicit-def: $vgpr6
	s_delay_alu instid0(VALU_DEP_1) | instskip(NEXT) | instid1(VALU_DEP_1)
	v_cvt_f32_i32_e32 v4, v4
	v_and_b32_e32 v7, 0x7fffffff, v4
	s_delay_alu instid0(VALU_DEP_1)
	v_cmpx_gt_u32_e32 0x43f00000, v7
	s_xor_b32 s22, exec_lo, s22
	s_cbranch_execz .LBB361_76
; %bb.71:
	s_mov_b32 s23, exec_lo
                                        ; implicit-def: $vgpr6
	v_cmpx_lt_u32_e32 0x3c7fffff, v7
	s_xor_b32 s23, exec_lo, s23
; %bb.72:
	v_bfe_u32 v6, v4, 20, 1
	s_delay_alu instid0(VALU_DEP_1) | instskip(NEXT) | instid1(VALU_DEP_1)
	v_add3_u32 v6, v4, v6, 0x407ffff
	v_and_b32_e32 v7, 0xff00000, v6
	v_lshrrev_b32_e32 v6, 20, v6
	s_delay_alu instid0(VALU_DEP_2) | instskip(NEXT) | instid1(VALU_DEP_2)
	v_cmp_ne_u32_e32 vcc_lo, 0x7f00000, v7
	v_cndmask_b32_e32 v6, 0x7e, v6, vcc_lo
; %bb.73:
	s_and_not1_saveexec_b32 s23, s23
; %bb.74:
	v_add_f32_e64 v6, 0x46800000, |v4|
; %bb.75:
	s_or_b32 exec_lo, exec_lo, s23
                                        ; implicit-def: $vgpr7
.LBB361_76:
	s_and_not1_saveexec_b32 s22, s22
; %bb.77:
	v_mov_b32_e32 v6, 0x7f
	v_cmp_lt_u32_e32 vcc_lo, 0x7f800000, v7
	s_delay_alu instid0(VALU_DEP_2)
	v_cndmask_b32_e32 v6, 0x7e, v6, vcc_lo
; %bb.78:
	s_or_b32 exec_lo, exec_lo, s22
	v_lshrrev_b32_e32 v4, 24, v4
	s_delay_alu instid0(VALU_DEP_1)
	v_and_or_b32 v4, 0x80, v4, v6
	global_store_b8 v[0:1], v4, off
.LBB361_79:
	s_mov_b32 s22, 0
.LBB361_80:
	s_delay_alu instid0(SALU_CYCLE_1)
	s_and_not1_b32 vcc_lo, exec_lo, s22
	s_cbranch_vccnz .LBB361_90
; %bb.81:
	v_bfe_i32 v4, v2, 0, 16
	s_mov_b32 s22, exec_lo
                                        ; implicit-def: $vgpr6
	s_delay_alu instid0(VALU_DEP_1) | instskip(NEXT) | instid1(VALU_DEP_1)
	v_cvt_f32_i32_e32 v4, v4
	v_and_b32_e32 v7, 0x7fffffff, v4
	s_delay_alu instid0(VALU_DEP_1)
	v_cmpx_gt_u32_e32 0x47800000, v7
	s_xor_b32 s22, exec_lo, s22
	s_cbranch_execz .LBB361_87
; %bb.82:
	s_mov_b32 s23, exec_lo
                                        ; implicit-def: $vgpr6
	v_cmpx_lt_u32_e32 0x387fffff, v7
	s_xor_b32 s23, exec_lo, s23
; %bb.83:
	v_bfe_u32 v6, v4, 21, 1
	s_delay_alu instid0(VALU_DEP_1) | instskip(NEXT) | instid1(VALU_DEP_1)
	v_add3_u32 v6, v4, v6, 0x80fffff
	v_lshrrev_b32_e32 v6, 21, v6
; %bb.84:
	s_and_not1_saveexec_b32 s23, s23
; %bb.85:
	v_add_f32_e64 v6, 0x43000000, |v4|
; %bb.86:
	s_or_b32 exec_lo, exec_lo, s23
                                        ; implicit-def: $vgpr7
.LBB361_87:
	s_and_not1_saveexec_b32 s22, s22
; %bb.88:
	v_mov_b32_e32 v6, 0x7f
	v_cmp_lt_u32_e32 vcc_lo, 0x7f800000, v7
	s_delay_alu instid0(VALU_DEP_2)
	v_cndmask_b32_e32 v6, 0x7c, v6, vcc_lo
; %bb.89:
	s_or_b32 exec_lo, exec_lo, s22
	v_lshrrev_b32_e32 v4, 24, v4
	s_delay_alu instid0(VALU_DEP_1)
	v_and_or_b32 v4, 0x80, v4, v6
	global_store_b8 v[0:1], v4, off
.LBB361_90:
	s_mov_b32 s23, 0
	s_mov_b32 s22, -1
.LBB361_91:
	s_and_not1_b32 vcc_lo, exec_lo, s23
	s_cbranch_vccnz .LBB361_99
; %bb.92:
	v_cmp_lt_i16_e32 vcc_lo, 14, v3
	s_mov_b32 s23, -1
	s_cbranch_vccz .LBB361_96
; %bb.93:
	v_cmp_eq_u16_e32 vcc_lo, 15, v3
	s_mov_b32 s2, -1
	s_cbranch_vccz .LBB361_95
; %bb.94:
	v_bfe_i32 v4, v2, 0, 16
	s_mov_b32 s22, -1
	s_mov_b32 s2, 0
	s_delay_alu instid0(VALU_DEP_1) | instskip(NEXT) | instid1(VALU_DEP_1)
	v_cvt_f32_i32_e32 v4, v4
	v_bfe_u32 v6, v4, 16, 1
	s_delay_alu instid0(VALU_DEP_1)
	v_add3_u32 v4, v4, v6, 0x7fff
	global_store_d16_hi_b16 v[0:1], v4, off
.LBB361_95:
	s_mov_b32 s23, 0
.LBB361_96:
	s_delay_alu instid0(SALU_CYCLE_1)
	s_and_b32 vcc_lo, exec_lo, s23
	s_cbranch_vccz .LBB361_99
; %bb.97:
	v_cmp_eq_u16_e32 vcc_lo, 11, v3
	s_mov_b32 s2, -1
	s_cbranch_vccz .LBB361_99
; %bb.98:
	v_cmp_ne_u16_e32 vcc_lo, 0, v2
	s_mov_b32 s2, 0
	s_mov_b32 s22, -1
	v_cndmask_b32_e64 v4, 0, 1, vcc_lo
	global_store_b8 v[0:1], v4, off
.LBB361_99:
.LBB361_100:
	s_and_not1_b32 vcc_lo, exec_lo, s22
	s_cbranch_vccz .LBB361_140
	s_branch .LBB361_257
.LBB361_101:
	s_and_b32 vcc_lo, exec_lo, s23
	s_cbranch_vccz .LBB361_100
; %bb.102:
	v_cmp_gt_i16_e32 vcc_lo, 5, v3
	s_mov_b32 s22, -1
	s_cbranch_vccnz .LBB361_123
; %bb.103:
	v_cmp_gt_i16_e32 vcc_lo, 8, v3
	s_cbranch_vccnz .LBB361_113
; %bb.104:
	v_cmp_gt_i16_e32 vcc_lo, 9, v3
	s_cbranch_vccnz .LBB361_110
; %bb.105:
	v_cmp_lt_i16_e32 vcc_lo, 9, v3
	s_cbranch_vccz .LBB361_107
; %bb.106:
	v_bfe_i32 v4, v2, 0, 16
	v_mov_b32_e32 v8, 0
	s_mov_b32 s22, 0
	s_delay_alu instid0(VALU_DEP_2) | instskip(NEXT) | instid1(VALU_DEP_2)
	v_cvt_f64_i32_e32 v[6:7], v4
	v_mov_b32_e32 v9, v8
	global_store_b128 v[0:1], v[6:9], off
.LBB361_107:
	s_and_not1_b32 vcc_lo, exec_lo, s22
	s_cbranch_vccnz .LBB361_109
; %bb.108:
	v_bfe_i32 v4, v2, 0, 16
	v_mov_b32_e32 v7, 0
	s_delay_alu instid0(VALU_DEP_2)
	v_cvt_f32_i32_e32 v6, v4
	global_store_b64 v[0:1], v[6:7], off
.LBB361_109:
	s_mov_b32 s22, 0
.LBB361_110:
	s_delay_alu instid0(SALU_CYCLE_1)
	s_and_not1_b32 vcc_lo, exec_lo, s22
	s_cbranch_vccnz .LBB361_112
; %bb.111:
	v_cvt_f16_i16_e32 v4, v2
	s_delay_alu instid0(VALU_DEP_1)
	v_and_b32_e32 v4, 0xffff, v4
	global_store_b32 v[0:1], v4, off
.LBB361_112:
	s_mov_b32 s22, 0
.LBB361_113:
	s_delay_alu instid0(SALU_CYCLE_1)
	s_and_not1_b32 vcc_lo, exec_lo, s22
	s_cbranch_vccnz .LBB361_122
; %bb.114:
	v_cmp_gt_i16_e32 vcc_lo, 6, v3
	s_mov_b32 s22, -1
	s_cbranch_vccnz .LBB361_120
; %bb.115:
	v_cmp_lt_i16_e32 vcc_lo, 6, v3
	s_cbranch_vccz .LBB361_117
; %bb.116:
	v_bfe_i32 v4, v2, 0, 16
	s_mov_b32 s22, 0
	s_delay_alu instid0(VALU_DEP_1)
	v_cvt_f64_i32_e32 v[6:7], v4
	global_store_b64 v[0:1], v[6:7], off
.LBB361_117:
	s_and_not1_b32 vcc_lo, exec_lo, s22
	s_cbranch_vccnz .LBB361_119
; %bb.118:
	v_bfe_i32 v4, v2, 0, 16
	s_delay_alu instid0(VALU_DEP_1)
	v_cvt_f32_i32_e32 v4, v4
	global_store_b32 v[0:1], v4, off
.LBB361_119:
	s_mov_b32 s22, 0
.LBB361_120:
	s_delay_alu instid0(SALU_CYCLE_1)
	s_and_not1_b32 vcc_lo, exec_lo, s22
	s_cbranch_vccnz .LBB361_122
; %bb.121:
	v_cvt_f16_i16_e32 v4, v2
	global_store_b16 v[0:1], v4, off
.LBB361_122:
	s_mov_b32 s22, 0
.LBB361_123:
	s_delay_alu instid0(SALU_CYCLE_1)
	s_and_not1_b32 vcc_lo, exec_lo, s22
	s_cbranch_vccnz .LBB361_139
; %bb.124:
	v_cmp_gt_i16_e32 vcc_lo, 2, v3
	s_mov_b32 s22, -1
	s_cbranch_vccnz .LBB361_134
; %bb.125:
	v_cmp_gt_i16_e32 vcc_lo, 3, v3
	s_cbranch_vccnz .LBB361_131
; %bb.126:
	v_cmp_lt_i16_e32 vcc_lo, 3, v3
	s_cbranch_vccz .LBB361_128
; %bb.127:
	v_bfe_i32 v6, v2, 0, 16
	s_mov_b32 s22, 0
	s_delay_alu instid0(VALU_DEP_1)
	v_ashrrev_i32_e32 v7, 31, v6
	global_store_b64 v[0:1], v[6:7], off
.LBB361_128:
	s_and_not1_b32 vcc_lo, exec_lo, s22
	s_cbranch_vccnz .LBB361_130
; %bb.129:
	v_bfe_i32 v4, v2, 0, 16
	global_store_b32 v[0:1], v4, off
.LBB361_130:
	s_mov_b32 s22, 0
.LBB361_131:
	s_delay_alu instid0(SALU_CYCLE_1)
	s_and_not1_b32 vcc_lo, exec_lo, s22
	s_cbranch_vccnz .LBB361_133
; %bb.132:
	global_store_b16 v[0:1], v2, off
.LBB361_133:
	s_mov_b32 s22, 0
.LBB361_134:
	s_delay_alu instid0(SALU_CYCLE_1)
	s_and_not1_b32 vcc_lo, exec_lo, s22
	s_cbranch_vccnz .LBB361_139
; %bb.135:
	v_cmp_lt_i16_e32 vcc_lo, 0, v3
	s_mov_b32 s22, -1
	s_cbranch_vccz .LBB361_137
; %bb.136:
	s_mov_b32 s22, 0
	global_store_b8 v[0:1], v2, off
.LBB361_137:
	s_and_not1_b32 vcc_lo, exec_lo, s22
	s_cbranch_vccnz .LBB361_139
; %bb.138:
	global_store_b8 v[0:1], v2, off
.LBB361_139:
.LBB361_140:
	v_add_nc_u32_e32 v5, 0x80, v5
	s_mov_b32 s22, -1
	s_branch .LBB361_258
.LBB361_141:
	s_mov_b32 s2, 0
                                        ; implicit-def: $vgpr3
	s_cbranch_execnz .LBB361_176
	s_branch .LBB361_208
.LBB361_142:
	s_mov_b32 s22, -1
	s_mov_b32 s2, 0
                                        ; implicit-def: $vgpr3
	s_branch .LBB361_159
.LBB361_143:
	s_mov_b32 s22, -1
	s_mov_b32 s2, 0
                                        ; implicit-def: $vgpr3
	s_branch .LBB361_154
.LBB361_144:
	s_mov_b32 s22, -1
	s_branch .LBB361_146
.LBB361_145:
	s_mov_b32 s3, -1
.LBB361_146:
	s_mov_b32 s2, 0
                                        ; implicit-def: $vgpr3
.LBB361_147:
	s_and_b32 vcc_lo, exec_lo, s22
	s_cbranch_vccz .LBB361_153
; %bb.148:
	v_cmp_eq_u16_e32 vcc_lo, 44, v6
	s_cbranch_vccz .LBB361_152
; %bb.149:
	global_load_u8 v3, v[1:2], off
	s_mov_b32 s3, 0
	s_mov_b32 s2, -1
	s_waitcnt vmcnt(0)
	v_lshlrev_b32_e32 v4, 23, v3
	v_cmp_ne_u32_e32 vcc_lo, 0, v3
	s_delay_alu instid0(VALU_DEP_2) | instskip(NEXT) | instid1(VALU_DEP_1)
	v_cvt_i32_f32_e32 v4, v4
	v_cndmask_b32_e32 v3, 0, v4, vcc_lo
	s_branch .LBB361_153
.LBB361_150:
	s_or_saveexec_b32 s37, s37
                                        ; implicit-def: $sgpr38
	s_delay_alu instid0(SALU_CYCLE_1)
	s_xor_b32 exec_lo, exec_lo, s37
	s_cbranch_execz .LBB361_52
.LBB361_151:
	v_add_f32_e64 v6, 0x46000000, |v4|
	s_and_not1_b32 s23, s23, exec_lo
	s_mov_b32 s38, 0
	s_delay_alu instid0(VALU_DEP_1) | instskip(NEXT) | instid1(VALU_DEP_1)
	v_and_b32_e32 v6, 0xff, v6
	v_cmp_ne_u32_e32 vcc_lo, 0, v6
	s_and_b32 s41, vcc_lo, exec_lo
	s_delay_alu instid0(SALU_CYCLE_1)
	s_or_b32 s23, s23, s41
	s_or_b32 exec_lo, exec_lo, s37
	v_mov_b32_e32 v7, s38
	s_and_saveexec_b32 s37, s23
	s_cbranch_execnz .LBB361_53
	s_branch .LBB361_54
.LBB361_152:
	s_mov_b32 s3, -1
                                        ; implicit-def: $vgpr3
.LBB361_153:
	s_mov_b32 s22, 0
.LBB361_154:
	s_delay_alu instid0(SALU_CYCLE_1)
	s_and_b32 vcc_lo, exec_lo, s22
	s_cbranch_vccz .LBB361_158
; %bb.155:
	v_cmp_eq_u16_e32 vcc_lo, 29, v6
	s_cbranch_vccz .LBB361_157
; %bb.156:
	global_load_b64 v[3:4], v[1:2], off
	s_mov_b32 s2, -1
	s_mov_b32 s3, 0
	s_branch .LBB361_158
.LBB361_157:
	s_mov_b32 s3, -1
                                        ; implicit-def: $vgpr3
.LBB361_158:
	s_mov_b32 s22, 0
.LBB361_159:
	s_delay_alu instid0(SALU_CYCLE_1)
	s_and_b32 vcc_lo, exec_lo, s22
	s_cbranch_vccz .LBB361_175
; %bb.160:
	v_cmp_gt_i16_e32 vcc_lo, 27, v6
	s_cbranch_vccnz .LBB361_163
; %bb.161:
	v_cmp_lt_i16_e32 vcc_lo, 27, v6
	s_cbranch_vccz .LBB361_164
; %bb.162:
	global_load_b32 v3, v[1:2], off
	s_mov_b32 s2, 0
	s_branch .LBB361_165
.LBB361_163:
	s_mov_b32 s2, -1
                                        ; implicit-def: $vgpr3
	s_branch .LBB361_168
.LBB361_164:
	s_mov_b32 s2, -1
                                        ; implicit-def: $vgpr3
.LBB361_165:
	s_delay_alu instid0(SALU_CYCLE_1)
	s_and_not1_b32 vcc_lo, exec_lo, s2
	s_cbranch_vccnz .LBB361_167
; %bb.166:
	global_load_u16 v3, v[1:2], off
.LBB361_167:
	s_mov_b32 s2, 0
.LBB361_168:
	s_delay_alu instid0(SALU_CYCLE_1)
	s_and_not1_b32 vcc_lo, exec_lo, s2
	s_cbranch_vccnz .LBB361_174
; %bb.169:
	global_load_u8 v4, v[1:2], off
	s_mov_b32 s2, 0
	s_mov_b32 s22, exec_lo
                                        ; implicit-def: $sgpr23
	s_waitcnt vmcnt(0)
	v_cmpx_lt_i16_e32 0x7f, v4
	s_xor_b32 s22, exec_lo, s22
	s_cbranch_execz .LBB361_185
; %bb.170:
	v_cmp_ne_u16_e32 vcc_lo, 0x80, v4
	s_mov_b32 s23, 0
	s_and_b32 s2, vcc_lo, exec_lo
	s_or_saveexec_b32 s22, s22
	v_mov_b32_e32 v3, s23
	s_xor_b32 exec_lo, exec_lo, s22
	s_cbranch_execnz .LBB361_186
.LBB361_171:
	s_or_b32 exec_lo, exec_lo, s22
	s_and_saveexec_b32 s22, s2
	s_cbranch_execz .LBB361_173
.LBB361_172:
	v_and_b32_e32 v3, 0xffff, v4
	s_delay_alu instid0(VALU_DEP_1) | instskip(NEXT) | instid1(VALU_DEP_1)
	v_and_b32_e32 v7, 7, v3
	v_clz_i32_u32_e32 v8, v7
	s_delay_alu instid0(VALU_DEP_1) | instskip(NEXT) | instid1(VALU_DEP_1)
	v_min_u32_e32 v8, 32, v8
	v_subrev_nc_u32_e32 v9, 28, v8
	v_sub_nc_u32_e32 v8, 29, v8
	s_delay_alu instid0(VALU_DEP_2) | instskip(SKIP_1) | instid1(VALU_DEP_2)
	v_lshlrev_b32_e32 v9, v9, v3
	v_bfe_u32 v3, v3, 3, 4
	v_and_b32_e32 v9, 7, v9
	s_delay_alu instid0(VALU_DEP_2) | instskip(NEXT) | instid1(VALU_DEP_2)
	v_cmp_eq_u32_e32 vcc_lo, 0, v3
	v_dual_cndmask_b32 v7, v7, v9 :: v_dual_lshlrev_b32 v4, 24, v4
	v_cndmask_b32_e32 v3, v3, v8, vcc_lo
	s_delay_alu instid0(VALU_DEP_2) | instskip(NEXT) | instid1(VALU_DEP_3)
	v_and_b32_e32 v4, 0x80000000, v4
	v_lshlrev_b32_e32 v7, 20, v7
	s_delay_alu instid0(VALU_DEP_3) | instskip(NEXT) | instid1(VALU_DEP_1)
	v_lshl_add_u32 v3, v3, 23, 0x3b800000
	v_or3_b32 v3, v4, v3, v7
	s_delay_alu instid0(VALU_DEP_1)
	v_cvt_i32_f32_e32 v3, v3
.LBB361_173:
	s_or_b32 exec_lo, exec_lo, s22
.LBB361_174:
	s_mov_b32 s2, -1
.LBB361_175:
	s_branch .LBB361_208
.LBB361_176:
	v_cmp_lt_i16_e32 vcc_lo, 22, v6
	s_cbranch_vccz .LBB361_184
; %bb.177:
	v_cmp_gt_i16_e32 vcc_lo, 24, v6
	s_cbranch_vccnz .LBB361_187
; %bb.178:
	v_cmp_lt_i16_e32 vcc_lo, 24, v6
	s_cbranch_vccz .LBB361_188
; %bb.179:
	global_load_u8 v4, v[1:2], off
	s_mov_b32 s2, 0
	s_mov_b32 s22, exec_lo
                                        ; implicit-def: $sgpr23
	s_waitcnt vmcnt(0)
	v_cmpx_lt_i16_e32 0x7f, v4
	s_xor_b32 s22, exec_lo, s22
	s_cbranch_execz .LBB361_200
; %bb.180:
	v_cmp_ne_u16_e32 vcc_lo, 0x80, v4
	s_mov_b32 s23, 0
	s_and_b32 s2, vcc_lo, exec_lo
	s_or_saveexec_b32 s22, s22
	v_mov_b32_e32 v3, s23
	s_xor_b32 exec_lo, exec_lo, s22
	s_cbranch_execnz .LBB361_201
.LBB361_181:
	s_or_b32 exec_lo, exec_lo, s22
	s_and_saveexec_b32 s22, s2
	s_cbranch_execz .LBB361_183
.LBB361_182:
	v_and_b32_e32 v3, 0xffff, v4
	s_delay_alu instid0(VALU_DEP_1) | instskip(NEXT) | instid1(VALU_DEP_1)
	v_and_b32_e32 v7, 3, v3
	v_clz_i32_u32_e32 v8, v7
	s_delay_alu instid0(VALU_DEP_1) | instskip(NEXT) | instid1(VALU_DEP_1)
	v_min_u32_e32 v8, 32, v8
	v_subrev_nc_u32_e32 v9, 29, v8
	v_sub_nc_u32_e32 v8, 30, v8
	s_delay_alu instid0(VALU_DEP_2) | instskip(SKIP_1) | instid1(VALU_DEP_2)
	v_lshlrev_b32_e32 v9, v9, v3
	v_bfe_u32 v3, v3, 2, 5
	v_and_b32_e32 v9, 3, v9
	s_delay_alu instid0(VALU_DEP_2) | instskip(NEXT) | instid1(VALU_DEP_2)
	v_cmp_eq_u32_e32 vcc_lo, 0, v3
	v_dual_cndmask_b32 v7, v7, v9 :: v_dual_lshlrev_b32 v4, 24, v4
	v_cndmask_b32_e32 v3, v3, v8, vcc_lo
	s_delay_alu instid0(VALU_DEP_2) | instskip(NEXT) | instid1(VALU_DEP_3)
	v_and_b32_e32 v4, 0x80000000, v4
	v_lshlrev_b32_e32 v7, 21, v7
	s_delay_alu instid0(VALU_DEP_3) | instskip(NEXT) | instid1(VALU_DEP_1)
	v_lshl_add_u32 v3, v3, 23, 0x37800000
	v_or3_b32 v3, v4, v3, v7
	s_delay_alu instid0(VALU_DEP_1)
	v_cvt_i32_f32_e32 v3, v3
.LBB361_183:
	s_or_b32 exec_lo, exec_lo, s22
	s_mov_b32 s2, 0
	s_branch .LBB361_189
.LBB361_184:
	s_mov_b32 s22, -1
                                        ; implicit-def: $vgpr3
	s_branch .LBB361_195
.LBB361_185:
	s_or_saveexec_b32 s22, s22
	v_mov_b32_e32 v3, s23
	s_xor_b32 exec_lo, exec_lo, s22
	s_cbranch_execz .LBB361_171
.LBB361_186:
	v_cmp_ne_u16_e32 vcc_lo, 0, v4
	v_mov_b32_e32 v3, 0
	s_and_not1_b32 s2, s2, exec_lo
	s_and_b32 s23, vcc_lo, exec_lo
	s_delay_alu instid0(SALU_CYCLE_1)
	s_or_b32 s2, s2, s23
	s_or_b32 exec_lo, exec_lo, s22
	s_and_saveexec_b32 s22, s2
	s_cbranch_execnz .LBB361_172
	s_branch .LBB361_173
.LBB361_187:
	s_mov_b32 s2, -1
                                        ; implicit-def: $vgpr3
	s_branch .LBB361_192
.LBB361_188:
	s_mov_b32 s2, -1
                                        ; implicit-def: $vgpr3
.LBB361_189:
	s_delay_alu instid0(SALU_CYCLE_1)
	s_and_b32 vcc_lo, exec_lo, s2
	s_cbranch_vccz .LBB361_191
; %bb.190:
	global_load_u8 v3, v[1:2], off
	s_waitcnt vmcnt(0)
	v_lshlrev_b32_e32 v3, 24, v3
	s_delay_alu instid0(VALU_DEP_1) | instskip(NEXT) | instid1(VALU_DEP_1)
	v_and_b32_e32 v4, 0x7f000000, v3
	v_clz_i32_u32_e32 v7, v4
	v_cmp_ne_u32_e32 vcc_lo, 0, v4
	v_add_nc_u32_e32 v9, 0x1000000, v4
	s_delay_alu instid0(VALU_DEP_3) | instskip(NEXT) | instid1(VALU_DEP_1)
	v_min_u32_e32 v7, 32, v7
	v_sub_nc_u32_e64 v7, v7, 4 clamp
	s_delay_alu instid0(VALU_DEP_1) | instskip(SKIP_1) | instid1(VALU_DEP_2)
	v_lshlrev_b32_e32 v8, v7, v4
	v_lshlrev_b32_e32 v7, 23, v7
	v_lshrrev_b32_e32 v8, 4, v8
	s_delay_alu instid0(VALU_DEP_1) | instskip(SKIP_1) | instid1(VALU_DEP_2)
	v_sub_nc_u32_e32 v7, v8, v7
	v_ashrrev_i32_e32 v8, 8, v9
	v_add_nc_u32_e32 v7, 0x3c000000, v7
	s_delay_alu instid0(VALU_DEP_1) | instskip(NEXT) | instid1(VALU_DEP_1)
	v_and_or_b32 v7, 0x7f800000, v8, v7
	v_cndmask_b32_e32 v4, 0, v7, vcc_lo
	s_delay_alu instid0(VALU_DEP_1) | instskip(NEXT) | instid1(VALU_DEP_1)
	v_and_or_b32 v3, 0x80000000, v3, v4
	v_cvt_i32_f32_e32 v3, v3
.LBB361_191:
	s_mov_b32 s2, 0
.LBB361_192:
	s_delay_alu instid0(SALU_CYCLE_1)
	s_and_not1_b32 vcc_lo, exec_lo, s2
	s_cbranch_vccnz .LBB361_194
; %bb.193:
	global_load_u8 v3, v[1:2], off
	s_waitcnt vmcnt(0)
	v_lshlrev_b32_e32 v4, 25, v3
	v_lshlrev_b16 v3, 8, v3
	s_delay_alu instid0(VALU_DEP_2) | instskip(NEXT) | instid1(VALU_DEP_2)
	v_lshrrev_b32_e32 v7, 4, v4
	v_and_or_b32 v8, 0x7f00, v3, 0.5
	v_cmp_gt_u32_e32 vcc_lo, 0x8000000, v4
	v_bfe_i32 v3, v3, 0, 16
	s_delay_alu instid0(VALU_DEP_4) | instskip(NEXT) | instid1(VALU_DEP_1)
	v_or_b32_e32 v7, 0x70000000, v7
	v_dual_add_f32 v8, -0.5, v8 :: v_dual_mul_f32 v7, 0x7800000, v7
	s_delay_alu instid0(VALU_DEP_1) | instskip(NEXT) | instid1(VALU_DEP_1)
	v_cndmask_b32_e32 v4, v7, v8, vcc_lo
	v_and_or_b32 v3, 0x80000000, v3, v4
	s_delay_alu instid0(VALU_DEP_1)
	v_cvt_i32_f32_e32 v3, v3
.LBB361_194:
	s_mov_b32 s22, 0
	s_mov_b32 s2, -1
.LBB361_195:
	s_and_not1_b32 vcc_lo, exec_lo, s22
	s_cbranch_vccnz .LBB361_208
; %bb.196:
	v_cmp_lt_i16_e32 vcc_lo, 14, v6
	s_cbranch_vccz .LBB361_199
; %bb.197:
	v_cmp_eq_u16_e32 vcc_lo, 15, v6
	s_cbranch_vccz .LBB361_202
; %bb.198:
	global_load_u16 v3, v[1:2], off
	s_mov_b32 s2, -1
	s_mov_b32 s3, 0
	s_waitcnt vmcnt(0)
	v_lshlrev_b32_e32 v3, 16, v3
	s_delay_alu instid0(VALU_DEP_1)
	v_cvt_i32_f32_e32 v3, v3
	s_branch .LBB361_203
.LBB361_199:
	s_mov_b32 s22, -1
                                        ; implicit-def: $vgpr3
	s_branch .LBB361_204
.LBB361_200:
	s_or_saveexec_b32 s22, s22
	v_mov_b32_e32 v3, s23
	s_xor_b32 exec_lo, exec_lo, s22
	s_cbranch_execz .LBB361_181
.LBB361_201:
	v_cmp_ne_u16_e32 vcc_lo, 0, v4
	v_mov_b32_e32 v3, 0
	s_and_not1_b32 s2, s2, exec_lo
	s_and_b32 s23, vcc_lo, exec_lo
	s_delay_alu instid0(SALU_CYCLE_1)
	s_or_b32 s2, s2, s23
	s_or_b32 exec_lo, exec_lo, s22
	s_and_saveexec_b32 s22, s2
	s_cbranch_execnz .LBB361_182
	s_branch .LBB361_183
.LBB361_202:
	s_mov_b32 s3, -1
                                        ; implicit-def: $vgpr3
.LBB361_203:
	s_mov_b32 s22, 0
.LBB361_204:
	s_delay_alu instid0(SALU_CYCLE_1)
	s_and_b32 vcc_lo, exec_lo, s22
	s_cbranch_vccz .LBB361_208
; %bb.205:
	v_cmp_eq_u16_e32 vcc_lo, 11, v6
	s_cbranch_vccz .LBB361_207
; %bb.206:
	global_load_u8 v3, v[1:2], off
	s_mov_b32 s3, 0
	s_mov_b32 s2, -1
	s_waitcnt vmcnt(0)
	v_cmp_ne_u16_e32 vcc_lo, 0, v3
	v_cndmask_b32_e64 v3, 0, 1, vcc_lo
	s_branch .LBB361_208
.LBB361_207:
	s_mov_b32 s3, -1
                                        ; implicit-def: $vgpr3
.LBB361_208:
	s_branch .LBB361_23
.LBB361_209:
	v_cmp_gt_i16_e32 vcc_lo, 5, v6
	s_cbranch_vccnz .LBB361_214
; %bb.210:
	v_cmp_gt_i16_e32 vcc_lo, 8, v6
	s_cbranch_vccnz .LBB361_215
; %bb.211:
	;; [unrolled: 3-line block ×3, first 2 shown]
	v_cmp_lt_i16_e32 vcc_lo, 9, v6
	s_cbranch_vccz .LBB361_217
; %bb.213:
	global_load_b64 v[3:4], v[1:2], off
	s_mov_b32 s2, 0
	s_waitcnt vmcnt(0)
	v_cvt_i32_f64_e32 v3, v[3:4]
	s_branch .LBB361_218
.LBB361_214:
                                        ; implicit-def: $vgpr3
	s_branch .LBB361_236
.LBB361_215:
	s_mov_b32 s2, -1
                                        ; implicit-def: $vgpr3
	s_branch .LBB361_224
.LBB361_216:
	s_mov_b32 s2, -1
                                        ; implicit-def: $vgpr3
	s_branch .LBB361_221
.LBB361_217:
	s_mov_b32 s2, -1
                                        ; implicit-def: $vgpr3
.LBB361_218:
	s_delay_alu instid0(SALU_CYCLE_1)
	s_and_not1_b32 vcc_lo, exec_lo, s2
	s_cbranch_vccnz .LBB361_220
; %bb.219:
	global_load_b32 v3, v[1:2], off
	s_waitcnt vmcnt(0)
	v_cvt_i32_f32_e32 v3, v3
.LBB361_220:
	s_mov_b32 s2, 0
.LBB361_221:
	s_delay_alu instid0(SALU_CYCLE_1)
	s_and_not1_b32 vcc_lo, exec_lo, s2
	s_cbranch_vccnz .LBB361_223
; %bb.222:
	global_load_b32 v3, v[1:2], off
	s_waitcnt vmcnt(0)
	v_cvt_i16_f16_e32 v3, v3
.LBB361_223:
	s_mov_b32 s2, 0
.LBB361_224:
	s_delay_alu instid0(SALU_CYCLE_1)
	s_and_not1_b32 vcc_lo, exec_lo, s2
	s_cbranch_vccnz .LBB361_235
; %bb.225:
	v_cmp_gt_i16_e32 vcc_lo, 6, v6
	s_cbranch_vccnz .LBB361_228
; %bb.226:
	v_cmp_lt_i16_e32 vcc_lo, 6, v6
	s_cbranch_vccz .LBB361_229
; %bb.227:
	global_load_b64 v[3:4], v[1:2], off
	s_mov_b32 s2, 0
	s_waitcnt vmcnt(0)
	v_cvt_i32_f64_e32 v3, v[3:4]
	s_branch .LBB361_230
.LBB361_228:
	s_mov_b32 s2, -1
                                        ; implicit-def: $vgpr3
	s_branch .LBB361_233
.LBB361_229:
	s_mov_b32 s2, -1
                                        ; implicit-def: $vgpr3
.LBB361_230:
	s_delay_alu instid0(SALU_CYCLE_1)
	s_and_not1_b32 vcc_lo, exec_lo, s2
	s_cbranch_vccnz .LBB361_232
; %bb.231:
	global_load_b32 v3, v[1:2], off
	s_waitcnt vmcnt(0)
	v_cvt_i32_f32_e32 v3, v3
.LBB361_232:
	s_mov_b32 s2, 0
.LBB361_233:
	s_delay_alu instid0(SALU_CYCLE_1)
	s_and_not1_b32 vcc_lo, exec_lo, s2
	s_cbranch_vccnz .LBB361_235
; %bb.234:
	global_load_u16 v3, v[1:2], off
	s_waitcnt vmcnt(0)
	v_cvt_i16_f16_e32 v3, v3
.LBB361_235:
	s_cbranch_execnz .LBB361_255
.LBB361_236:
	v_cmp_gt_i16_e32 vcc_lo, 2, v6
	s_cbranch_vccnz .LBB361_240
; %bb.237:
	v_cmp_gt_i16_e32 vcc_lo, 3, v6
	s_cbranch_vccnz .LBB361_241
; %bb.238:
	v_cmp_lt_i16_e32 vcc_lo, 3, v6
	s_cbranch_vccz .LBB361_242
; %bb.239:
	global_load_b64 v[3:4], v[1:2], off
	s_mov_b32 s2, 0
	s_branch .LBB361_243
.LBB361_240:
	s_mov_b32 s2, -1
                                        ; implicit-def: $vgpr3
	s_branch .LBB361_249
.LBB361_241:
	s_mov_b32 s2, -1
                                        ; implicit-def: $vgpr3
	s_branch .LBB361_246
.LBB361_242:
	s_mov_b32 s2, -1
                                        ; implicit-def: $vgpr3
.LBB361_243:
	s_delay_alu instid0(SALU_CYCLE_1)
	s_and_not1_b32 vcc_lo, exec_lo, s2
	s_cbranch_vccnz .LBB361_245
; %bb.244:
	global_load_b32 v3, v[1:2], off
.LBB361_245:
	s_mov_b32 s2, 0
.LBB361_246:
	s_delay_alu instid0(SALU_CYCLE_1)
	s_and_not1_b32 vcc_lo, exec_lo, s2
	s_cbranch_vccnz .LBB361_248
; %bb.247:
	global_load_u16 v3, v[1:2], off
.LBB361_248:
	s_mov_b32 s2, 0
.LBB361_249:
	s_delay_alu instid0(SALU_CYCLE_1)
	s_and_not1_b32 vcc_lo, exec_lo, s2
	s_cbranch_vccnz .LBB361_255
; %bb.250:
	v_cmp_lt_i16_e32 vcc_lo, 0, v6
	s_mov_b32 s2, 0
	s_cbranch_vccz .LBB361_252
; %bb.251:
	global_load_u8 v3, v[1:2], off
	s_branch .LBB361_253
.LBB361_252:
	s_mov_b32 s2, -1
                                        ; implicit-def: $vgpr3
.LBB361_253:
	s_delay_alu instid0(SALU_CYCLE_1)
	s_and_not1_b32 vcc_lo, exec_lo, s2
	s_cbranch_vccnz .LBB361_255
; %bb.254:
	global_load_u8 v3, v[1:2], off
.LBB361_255:
	s_branch .LBB361_24
.LBB361_256:
	s_mov_b32 s2, 0
.LBB361_257:
	s_mov_b32 s22, 0
                                        ; implicit-def: $vgpr5
.LBB361_258:
	s_and_b32 s37, s2, exec_lo
	s_and_b32 s38, s3, exec_lo
	s_or_not1_b32 s3, s22, exec_lo
.LBB361_259:
	s_or_b32 exec_lo, exec_lo, s39
	s_mov_b32 s22, 0
	s_mov_b32 s2, 0
                                        ; implicit-def: $vgpr6
                                        ; implicit-def: $vgpr1_vgpr2
                                        ; implicit-def: $vgpr0
                                        ; implicit-def: $vgpr3
	s_and_saveexec_b32 s39, s3
	s_cbranch_execz .LBB361_890
; %bb.260:
	s_mov_b32 s2, -1
	s_mov_b32 s40, s38
	s_mov_b32 s41, s37
	s_mov_b32 s42, exec_lo
	v_cmpx_gt_i32_e64 s34, v5
	s_cbranch_execz .LBB361_525
; %bb.261:
	s_and_not1_b32 vcc_lo, exec_lo, s27
	s_cbranch_vccnz .LBB361_266
; %bb.262:
	v_dual_mov_b32 v0, 0 :: v_dual_mov_b32 v1, 0
	s_and_not1_b32 vcc_lo, exec_lo, s36
	s_mov_b32 s40, 0
	s_cbranch_vccnz .LBB361_271
; %bb.263:
	v_mov_b32_e32 v0, 0
	s_add_i32 s43, s35, 1
	s_cmp_eq_u32 s25, 2
	s_mov_b32 s41, 0
	s_cbranch_scc1 .LBB361_267
; %bb.264:
	v_dual_mov_b32 v1, 0 :: v_dual_mov_b32 v0, 0
	v_mov_b32_e32 v2, v5
	s_and_b32 s41, s43, 28
	s_mov_b32 s44, 0
	s_mov_b64 s[2:3], s[20:21]
	s_mov_b64 s[22:23], s[16:17]
.LBB361_265:                            ; =>This Inner Loop Header: Depth=1
	s_clause 0x1
	s_load_b256 s[48:55], s[22:23], 0x4
	s_load_b128 s[64:67], s[22:23], 0x24
	s_load_b256 s[56:63], s[2:3], 0x0
	s_add_u32 s22, s22, 48
	s_addc_u32 s23, s23, 0
	s_add_i32 s44, s44, 4
	s_add_u32 s2, s2, 32
	s_addc_u32 s3, s3, 0
	s_cmp_eq_u32 s41, s44
	s_waitcnt vmcnt(0) lgkmcnt(0)
	v_mul_hi_u32 v3, s49, v2
	s_delay_alu instid0(VALU_DEP_1) | instskip(NEXT) | instid1(VALU_DEP_1)
	v_add_nc_u32_e32 v3, v2, v3
	v_lshrrev_b32_e32 v3, s50, v3
	s_delay_alu instid0(VALU_DEP_1) | instskip(SKIP_1) | instid1(VALU_DEP_2)
	v_mul_hi_u32 v4, s52, v3
	v_mul_lo_u32 v7, v3, s48
	v_add_nc_u32_e32 v4, v3, v4
	s_delay_alu instid0(VALU_DEP_2) | instskip(NEXT) | instid1(VALU_DEP_2)
	v_sub_nc_u32_e32 v2, v2, v7
	v_lshrrev_b32_e32 v4, s53, v4
	s_delay_alu instid0(VALU_DEP_2) | instskip(SKIP_1) | instid1(VALU_DEP_3)
	v_mul_lo_u32 v7, v2, s56
	v_mul_lo_u32 v9, v2, s57
	v_mul_hi_u32 v6, s55, v4
	s_delay_alu instid0(VALU_DEP_1) | instskip(NEXT) | instid1(VALU_DEP_1)
	v_add_nc_u32_e32 v6, v4, v6
	v_lshrrev_b32_e32 v6, s64, v6
	s_delay_alu instid0(VALU_DEP_1) | instskip(SKIP_1) | instid1(VALU_DEP_2)
	v_mul_hi_u32 v8, s66, v6
	v_mul_lo_u32 v10, v6, s54
	v_add_nc_u32_e32 v2, v6, v8
	v_mul_lo_u32 v8, v4, s51
	s_delay_alu instid0(VALU_DEP_3) | instskip(NEXT) | instid1(VALU_DEP_3)
	v_sub_nc_u32_e32 v4, v4, v10
	v_lshrrev_b32_e32 v2, s67, v2
	s_delay_alu instid0(VALU_DEP_2) | instskip(SKIP_2) | instid1(VALU_DEP_4)
	v_mul_lo_u32 v10, v4, s60
	v_mul_lo_u32 v4, v4, s61
	v_sub_nc_u32_e32 v3, v3, v8
	v_mul_lo_u32 v11, v2, s65
	s_delay_alu instid0(VALU_DEP_2) | instskip(SKIP_1) | instid1(VALU_DEP_3)
	v_mul_lo_u32 v8, v3, s58
	v_mul_lo_u32 v3, v3, s59
	v_sub_nc_u32_e32 v6, v6, v11
	s_delay_alu instid0(VALU_DEP_3) | instskip(NEXT) | instid1(VALU_DEP_2)
	v_add3_u32 v0, v7, v0, v8
	v_mul_lo_u32 v11, v6, s62
	v_mul_lo_u32 v6, v6, s63
	v_add3_u32 v1, v9, v1, v3
	s_delay_alu instid0(VALU_DEP_3) | instskip(NEXT) | instid1(VALU_DEP_2)
	v_add3_u32 v0, v10, v0, v11
	v_add3_u32 v1, v4, v1, v6
	s_cbranch_scc0 .LBB361_265
	s_branch .LBB361_268
.LBB361_266:
	s_mov_b32 s40, -1
                                        ; implicit-def: $vgpr0
                                        ; implicit-def: $vgpr1
	s_branch .LBB361_271
.LBB361_267:
	v_dual_mov_b32 v2, v5 :: v_dual_mov_b32 v1, 0
.LBB361_268:
	s_and_b32 s43, s43, 3
	s_delay_alu instid0(SALU_CYCLE_1)
	s_cmp_eq_u32 s43, 0
	s_cbranch_scc1 .LBB361_271
; %bb.269:
	s_lshl_b32 s2, s41, 3
	s_mul_i32 s22, s41, 12
	s_add_u32 s2, s2, s16
	s_addc_u32 s3, s17, 0
	s_add_u32 s2, s2, 0xc4
	s_addc_u32 s3, s3, 0
	;; [unrolled: 2-line block ×3, first 2 shown]
	.p2align	6
.LBB361_270:                            ; =>This Inner Loop Header: Depth=1
	s_clause 0x1
	s_load_b64 s[44:45], s[22:23], 0x4
	s_load_b32 s41, s[22:23], 0xc
	s_load_b64 s[46:47], s[2:3], 0x0
	s_add_u32 s22, s22, 12
	s_addc_u32 s23, s23, 0
	s_add_u32 s2, s2, 8
	s_addc_u32 s3, s3, 0
	s_add_i32 s43, s43, -1
	s_delay_alu instid0(SALU_CYCLE_1) | instskip(SKIP_2) | instid1(VALU_DEP_1)
	s_cmp_lg_u32 s43, 0
	s_waitcnt vmcnt(0) lgkmcnt(0)
	v_mul_hi_u32 v3, s45, v2
	v_add_nc_u32_e32 v3, v2, v3
	s_delay_alu instid0(VALU_DEP_1) | instskip(NEXT) | instid1(VALU_DEP_1)
	v_lshrrev_b32_e32 v8, s41, v3
	v_mul_lo_u32 v3, v8, s44
	s_delay_alu instid0(VALU_DEP_1) | instskip(NEXT) | instid1(VALU_DEP_1)
	v_sub_nc_u32_e32 v2, v2, v3
	v_mad_u64_u32 v[3:4], null, v2, s46, v[0:1]
	v_mad_u64_u32 v[6:7], null, v2, s47, v[1:2]
	v_mov_b32_e32 v2, v8
	s_delay_alu instid0(VALU_DEP_2)
	v_dual_mov_b32 v0, v3 :: v_dual_mov_b32 v1, v6
	s_cbranch_scc1 .LBB361_270
.LBB361_271:
	s_and_not1_b32 vcc_lo, exec_lo, s40
	s_cbranch_vccnz .LBB361_274
; %bb.272:
	v_mul_hi_u32 v0, s13, v5
	s_and_not1_b32 vcc_lo, exec_lo, s33
	s_delay_alu instid0(VALU_DEP_1) | instskip(NEXT) | instid1(VALU_DEP_1)
	v_add_nc_u32_e32 v0, v5, v0
	v_lshrrev_b32_e32 v2, s14, v0
	s_delay_alu instid0(VALU_DEP_1) | instskip(NEXT) | instid1(VALU_DEP_1)
	v_mul_lo_u32 v0, v2, s12
	v_sub_nc_u32_e32 v1, v5, v0
	s_delay_alu instid0(VALU_DEP_1)
	v_mul_lo_u32 v0, v1, s8
	v_mul_lo_u32 v1, v1, s9
	s_cbranch_vccnz .LBB361_274
; %bb.273:
	s_waitcnt vmcnt(0)
	v_mul_hi_u32 v3, s18, v2
	s_delay_alu instid0(VALU_DEP_1) | instskip(NEXT) | instid1(VALU_DEP_1)
	v_add_nc_u32_e32 v3, v2, v3
	v_lshrrev_b32_e32 v3, s19, v3
	s_delay_alu instid0(VALU_DEP_1) | instskip(NEXT) | instid1(VALU_DEP_1)
	v_mul_lo_u32 v3, v3, s15
	v_sub_nc_u32_e32 v6, v2, v3
	s_delay_alu instid0(VALU_DEP_1) | instskip(NEXT) | instid1(VALU_DEP_1)
	v_mad_u64_u32 v[2:3], null, v6, s10, v[0:1]
	v_mad_u64_u32 v[3:4], null, v6, s11, v[1:2]
	s_delay_alu instid0(VALU_DEP_1)
	v_dual_mov_b32 v0, v2 :: v_dual_mov_b32 v1, v3
.LBB361_274:
	v_and_b32_e64 v6, 0xff, s31
	s_delay_alu instid0(VALU_DEP_2) | instskip(NEXT) | instid1(VALU_DEP_1)
	v_add_co_u32 v1, s2, s6, v1
	v_add_co_ci_u32_e64 v2, null, s7, 0, s2
	s_delay_alu instid0(VALU_DEP_3)
	v_cmp_gt_i16_e32 vcc_lo, 11, v6
	s_mov_b32 s2, 0
	s_cbranch_vccnz .LBB361_281
; %bb.275:
	v_cmp_lt_i16_e32 vcc_lo, 25, v6
	s_cbranch_vccz .LBB361_330
; %bb.276:
	v_cmp_lt_i16_e32 vcc_lo, 28, v6
	s_cbranch_vccz .LBB361_331
	;; [unrolled: 3-line block ×4, first 2 shown]
; %bb.279:
	v_cmp_eq_u16_e32 vcc_lo, 46, v6
	s_mov_b32 s22, 0
	s_cbranch_vccz .LBB361_339
; %bb.280:
	global_load_b32 v3, v[1:2], off
	s_mov_b32 s2, -1
	s_mov_b32 s3, 0
	s_waitcnt vmcnt(0)
	v_lshlrev_b32_e32 v3, 16, v3
	s_delay_alu instid0(VALU_DEP_1)
	v_cvt_i32_f32_e32 v3, v3
	s_branch .LBB361_341
.LBB361_281:
	s_mov_b32 s3, s38
                                        ; implicit-def: $vgpr3
	s_cbranch_execnz .LBB361_474
.LBB361_282:
	s_and_not1_b32 vcc_lo, exec_lo, s2
	s_cbranch_vccnz .LBB361_522
.LBB361_283:
	s_waitcnt vmcnt(0)
	s_delay_alu instid0(VALU_DEP_1)
	v_bfe_i32 v1, v3, 0, 8
	v_and_b32_e64 v3, 0xff, s30
	s_bfe_i32 s2, s29, 0x80000
	s_mov_b32 s22, 0
	s_mov_b32 s23, -1
	v_max_i16 v2, v1, s2
	v_cmp_gt_i16_e32 vcc_lo, 11, v3
	v_add_co_u32 v0, s2, s4, v0
	s_delay_alu instid0(VALU_DEP_1)
	v_add_co_ci_u32_e64 v1, null, s5, 0, s2
	s_mov_b32 s2, s37
	s_cbranch_vccnz .LBB361_290
; %bb.284:
	v_cmp_lt_i16_e32 vcc_lo, 25, v3
	s_cbranch_vccz .LBB361_332
; %bb.285:
	v_cmp_lt_i16_e32 vcc_lo, 28, v3
	s_cbranch_vccz .LBB361_334
	;; [unrolled: 3-line block ×4, first 2 shown]
; %bb.288:
	v_cmp_eq_u16_e32 vcc_lo, 46, v3
	s_mov_b32 s23, 0
	s_mov_b32 s2, -1
	s_cbranch_vccz .LBB361_345
; %bb.289:
	v_bfe_i32 v4, v2, 0, 16
	s_mov_b32 s22, -1
	s_mov_b32 s2, 0
	s_delay_alu instid0(VALU_DEP_1) | instskip(NEXT) | instid1(VALU_DEP_1)
	v_cvt_f32_i32_e32 v4, v4
	v_bfe_u32 v6, v4, 16, 1
	s_delay_alu instid0(VALU_DEP_1) | instskip(NEXT) | instid1(VALU_DEP_1)
	v_add3_u32 v4, v4, v6, 0x7fff
	v_lshrrev_b32_e32 v4, 16, v4
	global_store_b32 v[0:1], v4, off
	s_branch .LBB361_345
.LBB361_290:
	s_and_b32 vcc_lo, exec_lo, s23
	s_cbranch_vccz .LBB361_414
; %bb.291:
	v_cmp_gt_i16_e32 vcc_lo, 5, v3
	s_mov_b32 s22, -1
	s_cbranch_vccnz .LBB361_312
; %bb.292:
	v_cmp_gt_i16_e32 vcc_lo, 8, v3
	s_cbranch_vccnz .LBB361_302
; %bb.293:
	v_cmp_gt_i16_e32 vcc_lo, 9, v3
	s_cbranch_vccnz .LBB361_299
; %bb.294:
	v_cmp_lt_i16_e32 vcc_lo, 9, v3
	s_cbranch_vccz .LBB361_296
; %bb.295:
	v_bfe_i32 v4, v2, 0, 16
	v_mov_b32_e32 v8, 0
	s_mov_b32 s22, 0
	s_delay_alu instid0(VALU_DEP_2) | instskip(NEXT) | instid1(VALU_DEP_2)
	v_cvt_f64_i32_e32 v[6:7], v4
	v_mov_b32_e32 v9, v8
	global_store_b128 v[0:1], v[6:9], off
.LBB361_296:
	s_and_not1_b32 vcc_lo, exec_lo, s22
	s_cbranch_vccnz .LBB361_298
; %bb.297:
	v_bfe_i32 v4, v2, 0, 16
	v_mov_b32_e32 v7, 0
	s_delay_alu instid0(VALU_DEP_2)
	v_cvt_f32_i32_e32 v6, v4
	global_store_b64 v[0:1], v[6:7], off
.LBB361_298:
	s_mov_b32 s22, 0
.LBB361_299:
	s_delay_alu instid0(SALU_CYCLE_1)
	s_and_not1_b32 vcc_lo, exec_lo, s22
	s_cbranch_vccnz .LBB361_301
; %bb.300:
	v_cvt_f16_i16_e32 v4, v2
	s_delay_alu instid0(VALU_DEP_1)
	v_and_b32_e32 v4, 0xffff, v4
	global_store_b32 v[0:1], v4, off
.LBB361_301:
	s_mov_b32 s22, 0
.LBB361_302:
	s_delay_alu instid0(SALU_CYCLE_1)
	s_and_not1_b32 vcc_lo, exec_lo, s22
	s_cbranch_vccnz .LBB361_311
; %bb.303:
	v_cmp_gt_i16_e32 vcc_lo, 6, v3
	s_mov_b32 s22, -1
	s_cbranch_vccnz .LBB361_309
; %bb.304:
	v_cmp_lt_i16_e32 vcc_lo, 6, v3
	s_cbranch_vccz .LBB361_306
; %bb.305:
	v_bfe_i32 v4, v2, 0, 16
	s_mov_b32 s22, 0
	s_delay_alu instid0(VALU_DEP_1)
	v_cvt_f64_i32_e32 v[6:7], v4
	global_store_b64 v[0:1], v[6:7], off
.LBB361_306:
	s_and_not1_b32 vcc_lo, exec_lo, s22
	s_cbranch_vccnz .LBB361_308
; %bb.307:
	v_bfe_i32 v4, v2, 0, 16
	s_delay_alu instid0(VALU_DEP_1)
	v_cvt_f32_i32_e32 v4, v4
	global_store_b32 v[0:1], v4, off
.LBB361_308:
	s_mov_b32 s22, 0
.LBB361_309:
	s_delay_alu instid0(SALU_CYCLE_1)
	s_and_not1_b32 vcc_lo, exec_lo, s22
	s_cbranch_vccnz .LBB361_311
; %bb.310:
	v_cvt_f16_i16_e32 v4, v2
	global_store_b16 v[0:1], v4, off
.LBB361_311:
	s_mov_b32 s22, 0
.LBB361_312:
	s_delay_alu instid0(SALU_CYCLE_1)
	s_and_not1_b32 vcc_lo, exec_lo, s22
	s_cbranch_vccnz .LBB361_328
; %bb.313:
	v_cmp_gt_i16_e32 vcc_lo, 2, v3
	s_mov_b32 s22, -1
	s_cbranch_vccnz .LBB361_323
; %bb.314:
	v_cmp_gt_i16_e32 vcc_lo, 3, v3
	s_cbranch_vccnz .LBB361_320
; %bb.315:
	v_cmp_lt_i16_e32 vcc_lo, 3, v3
	s_cbranch_vccz .LBB361_317
; %bb.316:
	v_bfe_i32 v6, v2, 0, 16
	s_mov_b32 s22, 0
	s_delay_alu instid0(VALU_DEP_1)
	v_ashrrev_i32_e32 v7, 31, v6
	global_store_b64 v[0:1], v[6:7], off
.LBB361_317:
	s_and_not1_b32 vcc_lo, exec_lo, s22
	s_cbranch_vccnz .LBB361_319
; %bb.318:
	v_bfe_i32 v4, v2, 0, 16
	global_store_b32 v[0:1], v4, off
.LBB361_319:
	s_mov_b32 s22, 0
.LBB361_320:
	s_delay_alu instid0(SALU_CYCLE_1)
	s_and_not1_b32 vcc_lo, exec_lo, s22
	s_cbranch_vccnz .LBB361_322
; %bb.321:
	global_store_b16 v[0:1], v2, off
.LBB361_322:
	s_mov_b32 s22, 0
.LBB361_323:
	s_delay_alu instid0(SALU_CYCLE_1)
	s_and_not1_b32 vcc_lo, exec_lo, s22
	s_cbranch_vccnz .LBB361_328
; %bb.324:
	v_cmp_lt_i16_e32 vcc_lo, 0, v3
	s_mov_b32 s22, -1
	s_cbranch_vccz .LBB361_326
; %bb.325:
	s_mov_b32 s22, 0
	global_store_b8 v[0:1], v2, off
.LBB361_326:
	s_and_not1_b32 vcc_lo, exec_lo, s22
	s_cbranch_vccnz .LBB361_328
; %bb.327:
	global_store_b8 v[0:1], v2, off
.LBB361_328:
	s_branch .LBB361_415
.LBB361_329:
	s_mov_b32 s22, 0
	s_branch .LBB361_523
.LBB361_330:
	s_mov_b32 s22, -1
	s_mov_b32 s3, s38
                                        ; implicit-def: $vgpr3
	s_branch .LBB361_440
.LBB361_331:
	s_mov_b32 s22, -1
	s_mov_b32 s3, s38
                                        ; implicit-def: $vgpr3
	s_branch .LBB361_423
.LBB361_332:
	s_mov_b32 s2, s37
	s_branch .LBB361_372
.LBB361_333:
	s_mov_b32 s22, -1
	s_mov_b32 s3, s38
                                        ; implicit-def: $vgpr3
	s_branch .LBB361_418
.LBB361_334:
	s_mov_b32 s2, s37
	s_branch .LBB361_355
.LBB361_335:
	s_mov_b32 s22, -1
	s_mov_b32 s3, s38
	s_branch .LBB361_340
.LBB361_336:
	s_mov_b32 s2, s37
	s_branch .LBB361_351
.LBB361_337:
	s_or_saveexec_b32 s37, s37
                                        ; implicit-def: $sgpr38
	s_delay_alu instid0(SALU_CYCLE_1)
	s_xor_b32 exec_lo, exec_lo, s37
	s_cbranch_execz .LBB361_65
.LBB361_338:
	v_add_f32_e64 v6, 0x42800000, |v4|
	s_and_not1_b32 s23, s23, exec_lo
	s_mov_b32 s38, 0
	s_delay_alu instid0(VALU_DEP_1) | instskip(NEXT) | instid1(VALU_DEP_1)
	v_and_b32_e32 v6, 0xff, v6
	v_cmp_ne_u32_e32 vcc_lo, 0, v6
	s_and_b32 s41, vcc_lo, exec_lo
	s_delay_alu instid0(SALU_CYCLE_1)
	s_or_b32 s23, s23, s41
	s_or_b32 exec_lo, exec_lo, s37
	v_mov_b32_e32 v7, s38
	s_and_saveexec_b32 s37, s23
	s_cbranch_execnz .LBB361_66
	s_branch .LBB361_67
.LBB361_339:
	s_mov_b32 s3, -1
.LBB361_340:
                                        ; implicit-def: $vgpr3
.LBB361_341:
	s_and_b32 vcc_lo, exec_lo, s22
	s_cbranch_vccz .LBB361_417
; %bb.342:
	v_cmp_eq_u16_e32 vcc_lo, 44, v6
	s_cbranch_vccz .LBB361_416
; %bb.343:
	global_load_u8 v3, v[1:2], off
	s_mov_b32 s3, 0
	s_mov_b32 s2, -1
	s_waitcnt vmcnt(0)
	v_lshlrev_b32_e32 v4, 23, v3
	v_cmp_ne_u32_e32 vcc_lo, 0, v3
	s_delay_alu instid0(VALU_DEP_2) | instskip(NEXT) | instid1(VALU_DEP_1)
	v_cvt_i32_f32_e32 v4, v4
	v_cndmask_b32_e32 v3, 0, v4, vcc_lo
	s_branch .LBB361_417
.LBB361_344:
	s_mov_b32 s2, s37
.LBB361_345:
	s_and_b32 vcc_lo, exec_lo, s23
	s_cbranch_vccz .LBB361_350
; %bb.346:
	v_cmp_eq_u16_e32 vcc_lo, 44, v3
	s_mov_b32 s2, -1
	s_cbranch_vccz .LBB361_350
; %bb.347:
	v_bfe_i32 v4, v2, 0, 16
	v_mov_b32_e32 v6, 0xff
	s_mov_b32 s22, exec_lo
	s_delay_alu instid0(VALU_DEP_2) | instskip(NEXT) | instid1(VALU_DEP_1)
	v_cvt_f32_i32_e32 v4, v4
	v_bfe_u32 v7, v4, 23, 8
	s_delay_alu instid0(VALU_DEP_1)
	v_cmpx_ne_u32_e32 0xff, v7
; %bb.348:
	v_and_b32_e32 v6, 0x400000, v4
	v_and_or_b32 v7, 0x3fffff, v4, v7
	v_lshrrev_b32_e32 v4, 23, v4
	s_delay_alu instid0(VALU_DEP_3) | instskip(NEXT) | instid1(VALU_DEP_3)
	v_cmp_ne_u32_e32 vcc_lo, 0, v6
	v_cmp_ne_u32_e64 s2, 0, v7
	s_delay_alu instid0(VALU_DEP_1) | instskip(NEXT) | instid1(SALU_CYCLE_1)
	s_and_b32 s2, vcc_lo, s2
	v_cndmask_b32_e64 v6, 0, 1, s2
	s_delay_alu instid0(VALU_DEP_1)
	v_add_nc_u32_e32 v6, v4, v6
; %bb.349:
	s_or_b32 exec_lo, exec_lo, s22
	s_mov_b32 s22, -1
	s_mov_b32 s2, 0
	global_store_b8 v[0:1], v6, off
.LBB361_350:
	s_mov_b32 s23, 0
.LBB361_351:
	s_delay_alu instid0(SALU_CYCLE_1)
	s_and_b32 vcc_lo, exec_lo, s23
	s_cbranch_vccz .LBB361_354
; %bb.352:
	v_cmp_eq_u16_e32 vcc_lo, 29, v3
	s_mov_b32 s2, -1
	s_cbranch_vccz .LBB361_354
; %bb.353:
	v_bfe_i32 v6, v2, 0, 16
	s_mov_b32 s2, 0
	s_mov_b32 s22, -1
	s_mov_b32 s23, 0
	s_delay_alu instid0(VALU_DEP_1)
	v_ashrrev_i32_e32 v7, 31, v6
	global_store_b64 v[0:1], v[6:7], off
	s_branch .LBB361_355
.LBB361_354:
	s_mov_b32 s23, 0
.LBB361_355:
	s_delay_alu instid0(SALU_CYCLE_1)
	s_and_b32 vcc_lo, exec_lo, s23
	s_cbranch_vccz .LBB361_371
; %bb.356:
	v_cmp_gt_i16_e32 vcc_lo, 27, v3
	s_mov_b32 s22, -1
	s_cbranch_vccnz .LBB361_362
; %bb.357:
	v_cmp_lt_i16_e32 vcc_lo, 27, v3
	s_cbranch_vccz .LBB361_359
; %bb.358:
	v_bfe_i32 v4, v2, 0, 16
	s_mov_b32 s22, 0
	global_store_b32 v[0:1], v4, off
.LBB361_359:
	s_and_not1_b32 vcc_lo, exec_lo, s22
	s_cbranch_vccnz .LBB361_361
; %bb.360:
	global_store_b16 v[0:1], v2, off
.LBB361_361:
	s_mov_b32 s22, 0
.LBB361_362:
	s_delay_alu instid0(SALU_CYCLE_1)
	s_and_not1_b32 vcc_lo, exec_lo, s22
	s_cbranch_vccnz .LBB361_370
; %bb.363:
	v_bfe_i32 v4, v2, 0, 16
	v_mov_b32_e32 v7, 0x80
	s_mov_b32 s22, exec_lo
	s_delay_alu instid0(VALU_DEP_2) | instskip(NEXT) | instid1(VALU_DEP_1)
	v_cvt_f32_i32_e32 v4, v4
	v_and_b32_e32 v6, 0x7fffffff, v4
	s_delay_alu instid0(VALU_DEP_1)
	v_cmpx_gt_u32_e32 0x43800000, v6
	s_cbranch_execz .LBB361_369
; %bb.364:
	v_cmp_lt_u32_e32 vcc_lo, 0x3bffffff, v6
	s_mov_b32 s23, 0
                                        ; implicit-def: $vgpr6
	s_and_saveexec_b32 s40, vcc_lo
	s_delay_alu instid0(SALU_CYCLE_1)
	s_xor_b32 s40, exec_lo, s40
	s_cbranch_execz .LBB361_551
; %bb.365:
	v_bfe_u32 v6, v4, 20, 1
	s_mov_b32 s23, exec_lo
	s_delay_alu instid0(VALU_DEP_1) | instskip(NEXT) | instid1(VALU_DEP_1)
	v_add3_u32 v6, v4, v6, 0x487ffff
	v_lshrrev_b32_e32 v6, 20, v6
	s_or_saveexec_b32 s40, s40
                                        ; implicit-def: $sgpr41
	s_delay_alu instid0(SALU_CYCLE_1)
	s_xor_b32 exec_lo, exec_lo, s40
	s_cbranch_execnz .LBB361_552
.LBB361_366:
	s_or_b32 exec_lo, exec_lo, s40
	v_mov_b32_e32 v7, s41
	s_and_saveexec_b32 s40, s23
.LBB361_367:
	v_lshrrev_b32_e32 v4, 24, v4
	s_delay_alu instid0(VALU_DEP_1)
	v_and_or_b32 v7, 0x80, v4, v6
.LBB361_368:
	s_or_b32 exec_lo, exec_lo, s40
.LBB361_369:
	s_delay_alu instid0(SALU_CYCLE_1)
	s_or_b32 exec_lo, exec_lo, s22
	global_store_b8 v[0:1], v7, off
.LBB361_370:
	s_mov_b32 s22, -1
.LBB361_371:
	s_mov_b32 s23, 0
.LBB361_372:
	s_delay_alu instid0(SALU_CYCLE_1)
	s_and_b32 vcc_lo, exec_lo, s23
	s_cbranch_vccz .LBB361_413
; %bb.373:
	v_cmp_lt_i16_e32 vcc_lo, 22, v3
	s_mov_b32 s23, -1
	s_cbranch_vccz .LBB361_405
; %bb.374:
	v_cmp_gt_i16_e32 vcc_lo, 24, v3
	s_mov_b32 s22, -1
	s_cbranch_vccnz .LBB361_394
; %bb.375:
	v_cmp_lt_i16_e32 vcc_lo, 24, v3
	s_cbranch_vccz .LBB361_383
; %bb.376:
	v_bfe_i32 v4, v2, 0, 16
	v_mov_b32_e32 v7, 0x80
	s_mov_b32 s22, exec_lo
	s_delay_alu instid0(VALU_DEP_2) | instskip(NEXT) | instid1(VALU_DEP_1)
	v_cvt_f32_i32_e32 v4, v4
	v_and_b32_e32 v6, 0x7fffffff, v4
	s_delay_alu instid0(VALU_DEP_1)
	v_cmpx_gt_u32_e32 0x47800000, v6
	s_cbranch_execz .LBB361_382
; %bb.377:
	v_cmp_lt_u32_e32 vcc_lo, 0x37ffffff, v6
	s_mov_b32 s23, 0
                                        ; implicit-def: $vgpr6
	s_and_saveexec_b32 s40, vcc_lo
	s_delay_alu instid0(SALU_CYCLE_1)
	s_xor_b32 s40, exec_lo, s40
	s_cbranch_execz .LBB361_554
; %bb.378:
	v_bfe_u32 v6, v4, 21, 1
	s_mov_b32 s23, exec_lo
	s_delay_alu instid0(VALU_DEP_1) | instskip(NEXT) | instid1(VALU_DEP_1)
	v_add3_u32 v6, v4, v6, 0x88fffff
	v_lshrrev_b32_e32 v6, 21, v6
	s_or_saveexec_b32 s40, s40
                                        ; implicit-def: $sgpr41
	s_delay_alu instid0(SALU_CYCLE_1)
	s_xor_b32 exec_lo, exec_lo, s40
	s_cbranch_execnz .LBB361_555
.LBB361_379:
	s_or_b32 exec_lo, exec_lo, s40
	v_mov_b32_e32 v7, s41
	s_and_saveexec_b32 s40, s23
.LBB361_380:
	v_lshrrev_b32_e32 v4, 24, v4
	s_delay_alu instid0(VALU_DEP_1)
	v_and_or_b32 v7, 0x80, v4, v6
.LBB361_381:
	s_or_b32 exec_lo, exec_lo, s40
.LBB361_382:
	s_delay_alu instid0(SALU_CYCLE_1)
	s_or_b32 exec_lo, exec_lo, s22
	s_mov_b32 s22, 0
	global_store_b8 v[0:1], v7, off
.LBB361_383:
	s_and_b32 vcc_lo, exec_lo, s22
	s_cbranch_vccz .LBB361_393
; %bb.384:
	v_bfe_i32 v4, v2, 0, 16
	s_mov_b32 s22, exec_lo
                                        ; implicit-def: $vgpr6
	s_delay_alu instid0(VALU_DEP_1) | instskip(NEXT) | instid1(VALU_DEP_1)
	v_cvt_f32_i32_e32 v4, v4
	v_and_b32_e32 v7, 0x7fffffff, v4
	s_delay_alu instid0(VALU_DEP_1)
	v_cmpx_gt_u32_e32 0x43f00000, v7
	s_xor_b32 s22, exec_lo, s22
	s_cbranch_execz .LBB361_390
; %bb.385:
	s_mov_b32 s23, exec_lo
                                        ; implicit-def: $vgpr6
	v_cmpx_lt_u32_e32 0x3c7fffff, v7
	s_xor_b32 s23, exec_lo, s23
; %bb.386:
	v_bfe_u32 v6, v4, 20, 1
	s_delay_alu instid0(VALU_DEP_1) | instskip(NEXT) | instid1(VALU_DEP_1)
	v_add3_u32 v6, v4, v6, 0x407ffff
	v_and_b32_e32 v7, 0xff00000, v6
	v_lshrrev_b32_e32 v6, 20, v6
	s_delay_alu instid0(VALU_DEP_2) | instskip(NEXT) | instid1(VALU_DEP_2)
	v_cmp_ne_u32_e32 vcc_lo, 0x7f00000, v7
	v_cndmask_b32_e32 v6, 0x7e, v6, vcc_lo
; %bb.387:
	s_and_not1_saveexec_b32 s23, s23
; %bb.388:
	v_add_f32_e64 v6, 0x46800000, |v4|
; %bb.389:
	s_or_b32 exec_lo, exec_lo, s23
                                        ; implicit-def: $vgpr7
.LBB361_390:
	s_and_not1_saveexec_b32 s22, s22
; %bb.391:
	v_mov_b32_e32 v6, 0x7f
	v_cmp_lt_u32_e32 vcc_lo, 0x7f800000, v7
	s_delay_alu instid0(VALU_DEP_2)
	v_cndmask_b32_e32 v6, 0x7e, v6, vcc_lo
; %bb.392:
	s_or_b32 exec_lo, exec_lo, s22
	v_lshrrev_b32_e32 v4, 24, v4
	s_delay_alu instid0(VALU_DEP_1)
	v_and_or_b32 v4, 0x80, v4, v6
	global_store_b8 v[0:1], v4, off
.LBB361_393:
	s_mov_b32 s22, 0
.LBB361_394:
	s_delay_alu instid0(SALU_CYCLE_1)
	s_and_not1_b32 vcc_lo, exec_lo, s22
	s_cbranch_vccnz .LBB361_404
; %bb.395:
	v_bfe_i32 v4, v2, 0, 16
	s_mov_b32 s22, exec_lo
                                        ; implicit-def: $vgpr6
	s_delay_alu instid0(VALU_DEP_1) | instskip(NEXT) | instid1(VALU_DEP_1)
	v_cvt_f32_i32_e32 v4, v4
	v_and_b32_e32 v7, 0x7fffffff, v4
	s_delay_alu instid0(VALU_DEP_1)
	v_cmpx_gt_u32_e32 0x47800000, v7
	s_xor_b32 s22, exec_lo, s22
	s_cbranch_execz .LBB361_401
; %bb.396:
	s_mov_b32 s23, exec_lo
                                        ; implicit-def: $vgpr6
	v_cmpx_lt_u32_e32 0x387fffff, v7
	s_xor_b32 s23, exec_lo, s23
; %bb.397:
	v_bfe_u32 v6, v4, 21, 1
	s_delay_alu instid0(VALU_DEP_1) | instskip(NEXT) | instid1(VALU_DEP_1)
	v_add3_u32 v6, v4, v6, 0x80fffff
	v_lshrrev_b32_e32 v6, 21, v6
; %bb.398:
	s_and_not1_saveexec_b32 s23, s23
; %bb.399:
	v_add_f32_e64 v6, 0x43000000, |v4|
; %bb.400:
	s_or_b32 exec_lo, exec_lo, s23
                                        ; implicit-def: $vgpr7
.LBB361_401:
	s_and_not1_saveexec_b32 s22, s22
; %bb.402:
	v_mov_b32_e32 v6, 0x7f
	v_cmp_lt_u32_e32 vcc_lo, 0x7f800000, v7
	s_delay_alu instid0(VALU_DEP_2)
	v_cndmask_b32_e32 v6, 0x7c, v6, vcc_lo
; %bb.403:
	s_or_b32 exec_lo, exec_lo, s22
	v_lshrrev_b32_e32 v4, 24, v4
	s_delay_alu instid0(VALU_DEP_1)
	v_and_or_b32 v4, 0x80, v4, v6
	global_store_b8 v[0:1], v4, off
.LBB361_404:
	s_mov_b32 s23, 0
	s_mov_b32 s22, -1
.LBB361_405:
	s_and_not1_b32 vcc_lo, exec_lo, s23
	s_cbranch_vccnz .LBB361_413
; %bb.406:
	v_cmp_lt_i16_e32 vcc_lo, 14, v3
	s_mov_b32 s23, -1
	s_cbranch_vccz .LBB361_410
; %bb.407:
	v_cmp_eq_u16_e32 vcc_lo, 15, v3
	s_mov_b32 s2, -1
	s_cbranch_vccz .LBB361_409
; %bb.408:
	v_bfe_i32 v4, v2, 0, 16
	s_mov_b32 s22, -1
	s_mov_b32 s2, 0
	s_delay_alu instid0(VALU_DEP_1) | instskip(NEXT) | instid1(VALU_DEP_1)
	v_cvt_f32_i32_e32 v4, v4
	v_bfe_u32 v6, v4, 16, 1
	s_delay_alu instid0(VALU_DEP_1)
	v_add3_u32 v4, v4, v6, 0x7fff
	global_store_d16_hi_b16 v[0:1], v4, off
.LBB361_409:
	s_mov_b32 s23, 0
.LBB361_410:
	s_delay_alu instid0(SALU_CYCLE_1)
	s_and_b32 vcc_lo, exec_lo, s23
	s_cbranch_vccz .LBB361_413
; %bb.411:
	v_cmp_eq_u16_e32 vcc_lo, 11, v3
	s_mov_b32 s2, -1
	s_cbranch_vccz .LBB361_413
; %bb.412:
	v_cmp_ne_u16_e32 vcc_lo, 0, v2
	s_mov_b32 s2, 0
	s_mov_b32 s22, -1
	v_cndmask_b32_e64 v4, 0, 1, vcc_lo
	global_store_b8 v[0:1], v4, off
.LBB361_413:
.LBB361_414:
	s_and_not1_b32 vcc_lo, exec_lo, s22
	s_cbranch_vccnz .LBB361_329
.LBB361_415:
	v_add_nc_u32_e32 v5, 0x80, v5
	s_mov_b32 s22, -1
	s_branch .LBB361_524
.LBB361_416:
	s_mov_b32 s3, -1
                                        ; implicit-def: $vgpr3
.LBB361_417:
	s_mov_b32 s22, 0
.LBB361_418:
	s_delay_alu instid0(SALU_CYCLE_1)
	s_and_b32 vcc_lo, exec_lo, s22
	s_cbranch_vccz .LBB361_422
; %bb.419:
	v_cmp_eq_u16_e32 vcc_lo, 29, v6
	s_cbranch_vccz .LBB361_421
; %bb.420:
	global_load_b64 v[3:4], v[1:2], off
	s_mov_b32 s2, -1
	s_mov_b32 s3, 0
	s_branch .LBB361_422
.LBB361_421:
	s_mov_b32 s3, -1
                                        ; implicit-def: $vgpr3
.LBB361_422:
	s_mov_b32 s22, 0
.LBB361_423:
	s_delay_alu instid0(SALU_CYCLE_1)
	s_and_b32 vcc_lo, exec_lo, s22
	s_cbranch_vccz .LBB361_439
; %bb.424:
	v_cmp_gt_i16_e32 vcc_lo, 27, v6
	s_cbranch_vccnz .LBB361_427
; %bb.425:
	v_cmp_lt_i16_e32 vcc_lo, 27, v6
	s_cbranch_vccz .LBB361_428
; %bb.426:
	global_load_b32 v3, v[1:2], off
	s_mov_b32 s2, 0
	s_branch .LBB361_429
.LBB361_427:
	s_mov_b32 s2, -1
                                        ; implicit-def: $vgpr3
	s_branch .LBB361_432
.LBB361_428:
	s_mov_b32 s2, -1
                                        ; implicit-def: $vgpr3
.LBB361_429:
	s_delay_alu instid0(SALU_CYCLE_1)
	s_and_not1_b32 vcc_lo, exec_lo, s2
	s_cbranch_vccnz .LBB361_431
; %bb.430:
	global_load_u16 v3, v[1:2], off
.LBB361_431:
	s_mov_b32 s2, 0
.LBB361_432:
	s_delay_alu instid0(SALU_CYCLE_1)
	s_and_not1_b32 vcc_lo, exec_lo, s2
	s_cbranch_vccnz .LBB361_438
; %bb.433:
	global_load_u8 v4, v[1:2], off
	s_mov_b32 s2, 0
	s_mov_b32 s22, exec_lo
                                        ; implicit-def: $sgpr23
	s_waitcnt vmcnt(0)
	v_cmpx_lt_i16_e32 0x7f, v4
	s_xor_b32 s22, exec_lo, s22
	s_cbranch_execz .LBB361_450
; %bb.434:
	v_cmp_ne_u16_e32 vcc_lo, 0x80, v4
	s_mov_b32 s23, 0
	s_and_b32 s2, vcc_lo, exec_lo
	s_or_saveexec_b32 s22, s22
	v_mov_b32_e32 v3, s23
	s_xor_b32 exec_lo, exec_lo, s22
	s_cbranch_execnz .LBB361_451
.LBB361_435:
	s_or_b32 exec_lo, exec_lo, s22
	s_and_saveexec_b32 s22, s2
	s_cbranch_execz .LBB361_437
.LBB361_436:
	v_and_b32_e32 v3, 0xffff, v4
	s_delay_alu instid0(VALU_DEP_1) | instskip(NEXT) | instid1(VALU_DEP_1)
	v_and_b32_e32 v7, 7, v3
	v_clz_i32_u32_e32 v8, v7
	s_delay_alu instid0(VALU_DEP_1) | instskip(NEXT) | instid1(VALU_DEP_1)
	v_min_u32_e32 v8, 32, v8
	v_subrev_nc_u32_e32 v9, 28, v8
	v_sub_nc_u32_e32 v8, 29, v8
	s_delay_alu instid0(VALU_DEP_2) | instskip(SKIP_1) | instid1(VALU_DEP_2)
	v_lshlrev_b32_e32 v9, v9, v3
	v_bfe_u32 v3, v3, 3, 4
	v_and_b32_e32 v9, 7, v9
	s_delay_alu instid0(VALU_DEP_2) | instskip(NEXT) | instid1(VALU_DEP_2)
	v_cmp_eq_u32_e32 vcc_lo, 0, v3
	v_dual_cndmask_b32 v7, v7, v9 :: v_dual_lshlrev_b32 v4, 24, v4
	v_cndmask_b32_e32 v3, v3, v8, vcc_lo
	s_delay_alu instid0(VALU_DEP_2) | instskip(NEXT) | instid1(VALU_DEP_3)
	v_and_b32_e32 v4, 0x80000000, v4
	v_lshlrev_b32_e32 v7, 20, v7
	s_delay_alu instid0(VALU_DEP_3) | instskip(NEXT) | instid1(VALU_DEP_1)
	v_lshl_add_u32 v3, v3, 23, 0x3b800000
	v_or3_b32 v3, v4, v3, v7
	s_delay_alu instid0(VALU_DEP_1)
	v_cvt_i32_f32_e32 v3, v3
.LBB361_437:
	s_or_b32 exec_lo, exec_lo, s22
.LBB361_438:
	s_mov_b32 s2, -1
.LBB361_439:
	s_mov_b32 s22, 0
.LBB361_440:
	s_delay_alu instid0(SALU_CYCLE_1)
	s_and_b32 vcc_lo, exec_lo, s22
	s_cbranch_vccz .LBB361_473
; %bb.441:
	v_cmp_lt_i16_e32 vcc_lo, 22, v6
	s_cbranch_vccz .LBB361_449
; %bb.442:
	v_cmp_gt_i16_e32 vcc_lo, 24, v6
	s_cbranch_vccnz .LBB361_452
; %bb.443:
	v_cmp_lt_i16_e32 vcc_lo, 24, v6
	s_cbranch_vccz .LBB361_453
; %bb.444:
	global_load_u8 v4, v[1:2], off
	s_mov_b32 s2, 0
	s_mov_b32 s22, exec_lo
                                        ; implicit-def: $sgpr23
	s_waitcnt vmcnt(0)
	v_cmpx_lt_i16_e32 0x7f, v4
	s_xor_b32 s22, exec_lo, s22
	s_cbranch_execz .LBB361_465
; %bb.445:
	v_cmp_ne_u16_e32 vcc_lo, 0x80, v4
	s_mov_b32 s23, 0
	s_and_b32 s2, vcc_lo, exec_lo
	s_or_saveexec_b32 s22, s22
	v_mov_b32_e32 v3, s23
	s_xor_b32 exec_lo, exec_lo, s22
	s_cbranch_execnz .LBB361_466
.LBB361_446:
	s_or_b32 exec_lo, exec_lo, s22
	s_and_saveexec_b32 s22, s2
	s_cbranch_execz .LBB361_448
.LBB361_447:
	v_and_b32_e32 v3, 0xffff, v4
	s_delay_alu instid0(VALU_DEP_1) | instskip(NEXT) | instid1(VALU_DEP_1)
	v_and_b32_e32 v7, 3, v3
	v_clz_i32_u32_e32 v8, v7
	s_delay_alu instid0(VALU_DEP_1) | instskip(NEXT) | instid1(VALU_DEP_1)
	v_min_u32_e32 v8, 32, v8
	v_subrev_nc_u32_e32 v9, 29, v8
	v_sub_nc_u32_e32 v8, 30, v8
	s_delay_alu instid0(VALU_DEP_2) | instskip(SKIP_1) | instid1(VALU_DEP_2)
	v_lshlrev_b32_e32 v9, v9, v3
	v_bfe_u32 v3, v3, 2, 5
	v_and_b32_e32 v9, 3, v9
	s_delay_alu instid0(VALU_DEP_2) | instskip(NEXT) | instid1(VALU_DEP_2)
	v_cmp_eq_u32_e32 vcc_lo, 0, v3
	v_dual_cndmask_b32 v7, v7, v9 :: v_dual_lshlrev_b32 v4, 24, v4
	v_cndmask_b32_e32 v3, v3, v8, vcc_lo
	s_delay_alu instid0(VALU_DEP_2) | instskip(NEXT) | instid1(VALU_DEP_3)
	v_and_b32_e32 v4, 0x80000000, v4
	v_lshlrev_b32_e32 v7, 21, v7
	s_delay_alu instid0(VALU_DEP_3) | instskip(NEXT) | instid1(VALU_DEP_1)
	v_lshl_add_u32 v3, v3, 23, 0x37800000
	v_or3_b32 v3, v4, v3, v7
	s_delay_alu instid0(VALU_DEP_1)
	v_cvt_i32_f32_e32 v3, v3
.LBB361_448:
	s_or_b32 exec_lo, exec_lo, s22
	s_mov_b32 s2, 0
	s_branch .LBB361_454
.LBB361_449:
	s_mov_b32 s22, -1
                                        ; implicit-def: $vgpr3
	s_branch .LBB361_460
.LBB361_450:
	s_or_saveexec_b32 s22, s22
	v_mov_b32_e32 v3, s23
	s_xor_b32 exec_lo, exec_lo, s22
	s_cbranch_execz .LBB361_435
.LBB361_451:
	v_cmp_ne_u16_e32 vcc_lo, 0, v4
	v_mov_b32_e32 v3, 0
	s_and_not1_b32 s2, s2, exec_lo
	s_and_b32 s23, vcc_lo, exec_lo
	s_delay_alu instid0(SALU_CYCLE_1)
	s_or_b32 s2, s2, s23
	s_or_b32 exec_lo, exec_lo, s22
	s_and_saveexec_b32 s22, s2
	s_cbranch_execnz .LBB361_436
	s_branch .LBB361_437
.LBB361_452:
	s_mov_b32 s2, -1
                                        ; implicit-def: $vgpr3
	s_branch .LBB361_457
.LBB361_453:
	s_mov_b32 s2, -1
                                        ; implicit-def: $vgpr3
.LBB361_454:
	s_delay_alu instid0(SALU_CYCLE_1)
	s_and_b32 vcc_lo, exec_lo, s2
	s_cbranch_vccz .LBB361_456
; %bb.455:
	global_load_u8 v3, v[1:2], off
	s_waitcnt vmcnt(0)
	v_lshlrev_b32_e32 v3, 24, v3
	s_delay_alu instid0(VALU_DEP_1) | instskip(NEXT) | instid1(VALU_DEP_1)
	v_and_b32_e32 v4, 0x7f000000, v3
	v_clz_i32_u32_e32 v7, v4
	v_cmp_ne_u32_e32 vcc_lo, 0, v4
	v_add_nc_u32_e32 v9, 0x1000000, v4
	s_delay_alu instid0(VALU_DEP_3) | instskip(NEXT) | instid1(VALU_DEP_1)
	v_min_u32_e32 v7, 32, v7
	v_sub_nc_u32_e64 v7, v7, 4 clamp
	s_delay_alu instid0(VALU_DEP_1) | instskip(SKIP_1) | instid1(VALU_DEP_2)
	v_lshlrev_b32_e32 v8, v7, v4
	v_lshlrev_b32_e32 v7, 23, v7
	v_lshrrev_b32_e32 v8, 4, v8
	s_delay_alu instid0(VALU_DEP_1) | instskip(SKIP_1) | instid1(VALU_DEP_2)
	v_sub_nc_u32_e32 v7, v8, v7
	v_ashrrev_i32_e32 v8, 8, v9
	v_add_nc_u32_e32 v7, 0x3c000000, v7
	s_delay_alu instid0(VALU_DEP_1) | instskip(NEXT) | instid1(VALU_DEP_1)
	v_and_or_b32 v7, 0x7f800000, v8, v7
	v_cndmask_b32_e32 v4, 0, v7, vcc_lo
	s_delay_alu instid0(VALU_DEP_1) | instskip(NEXT) | instid1(VALU_DEP_1)
	v_and_or_b32 v3, 0x80000000, v3, v4
	v_cvt_i32_f32_e32 v3, v3
.LBB361_456:
	s_mov_b32 s2, 0
.LBB361_457:
	s_delay_alu instid0(SALU_CYCLE_1)
	s_and_not1_b32 vcc_lo, exec_lo, s2
	s_cbranch_vccnz .LBB361_459
; %bb.458:
	global_load_u8 v3, v[1:2], off
	s_waitcnt vmcnt(0)
	v_lshlrev_b32_e32 v4, 25, v3
	v_lshlrev_b16 v3, 8, v3
	s_delay_alu instid0(VALU_DEP_2) | instskip(NEXT) | instid1(VALU_DEP_2)
	v_lshrrev_b32_e32 v7, 4, v4
	v_and_or_b32 v8, 0x7f00, v3, 0.5
	v_cmp_gt_u32_e32 vcc_lo, 0x8000000, v4
	v_bfe_i32 v3, v3, 0, 16
	s_delay_alu instid0(VALU_DEP_4) | instskip(NEXT) | instid1(VALU_DEP_1)
	v_or_b32_e32 v7, 0x70000000, v7
	v_dual_add_f32 v8, -0.5, v8 :: v_dual_mul_f32 v7, 0x7800000, v7
	s_delay_alu instid0(VALU_DEP_1) | instskip(NEXT) | instid1(VALU_DEP_1)
	v_cndmask_b32_e32 v4, v7, v8, vcc_lo
	v_and_or_b32 v3, 0x80000000, v3, v4
	s_delay_alu instid0(VALU_DEP_1)
	v_cvt_i32_f32_e32 v3, v3
.LBB361_459:
	s_mov_b32 s22, 0
	s_mov_b32 s2, -1
.LBB361_460:
	s_and_not1_b32 vcc_lo, exec_lo, s22
	s_cbranch_vccnz .LBB361_473
; %bb.461:
	v_cmp_lt_i16_e32 vcc_lo, 14, v6
	s_cbranch_vccz .LBB361_464
; %bb.462:
	v_cmp_eq_u16_e32 vcc_lo, 15, v6
	s_cbranch_vccz .LBB361_467
; %bb.463:
	global_load_u16 v3, v[1:2], off
	s_mov_b32 s2, -1
	s_mov_b32 s3, 0
	s_waitcnt vmcnt(0)
	v_lshlrev_b32_e32 v3, 16, v3
	s_delay_alu instid0(VALU_DEP_1)
	v_cvt_i32_f32_e32 v3, v3
	s_branch .LBB361_468
.LBB361_464:
	s_mov_b32 s22, -1
                                        ; implicit-def: $vgpr3
	s_branch .LBB361_469
.LBB361_465:
	s_or_saveexec_b32 s22, s22
	v_mov_b32_e32 v3, s23
	s_xor_b32 exec_lo, exec_lo, s22
	s_cbranch_execz .LBB361_446
.LBB361_466:
	v_cmp_ne_u16_e32 vcc_lo, 0, v4
	v_mov_b32_e32 v3, 0
	s_and_not1_b32 s2, s2, exec_lo
	s_and_b32 s23, vcc_lo, exec_lo
	s_delay_alu instid0(SALU_CYCLE_1)
	s_or_b32 s2, s2, s23
	s_or_b32 exec_lo, exec_lo, s22
	s_and_saveexec_b32 s22, s2
	s_cbranch_execnz .LBB361_447
	s_branch .LBB361_448
.LBB361_467:
	s_mov_b32 s3, -1
                                        ; implicit-def: $vgpr3
.LBB361_468:
	s_mov_b32 s22, 0
.LBB361_469:
	s_delay_alu instid0(SALU_CYCLE_1)
	s_and_b32 vcc_lo, exec_lo, s22
	s_cbranch_vccz .LBB361_473
; %bb.470:
	v_cmp_eq_u16_e32 vcc_lo, 11, v6
	s_cbranch_vccz .LBB361_472
; %bb.471:
	global_load_u8 v3, v[1:2], off
	s_mov_b32 s3, 0
	s_mov_b32 s2, -1
	s_waitcnt vmcnt(0)
	v_cmp_ne_u16_e32 vcc_lo, 0, v3
	v_cndmask_b32_e64 v3, 0, 1, vcc_lo
	s_branch .LBB361_473
.LBB361_472:
	s_mov_b32 s3, -1
                                        ; implicit-def: $vgpr3
.LBB361_473:
	s_branch .LBB361_282
.LBB361_474:
	v_cmp_gt_i16_e32 vcc_lo, 5, v6
	s_cbranch_vccnz .LBB361_479
; %bb.475:
	v_cmp_gt_i16_e32 vcc_lo, 8, v6
	s_cbranch_vccnz .LBB361_480
; %bb.476:
	;; [unrolled: 3-line block ×3, first 2 shown]
	v_cmp_lt_i16_e32 vcc_lo, 9, v6
	s_cbranch_vccz .LBB361_482
; %bb.478:
	global_load_b64 v[3:4], v[1:2], off
	s_mov_b32 s2, 0
	s_waitcnt vmcnt(0)
	v_cvt_i32_f64_e32 v3, v[3:4]
	s_branch .LBB361_483
.LBB361_479:
	s_mov_b32 s2, -1
                                        ; implicit-def: $vgpr3
	s_branch .LBB361_501
.LBB361_480:
	s_mov_b32 s2, -1
                                        ; implicit-def: $vgpr3
	s_branch .LBB361_489
.LBB361_481:
	s_mov_b32 s2, -1
                                        ; implicit-def: $vgpr3
	s_branch .LBB361_486
.LBB361_482:
	s_mov_b32 s2, -1
                                        ; implicit-def: $vgpr3
.LBB361_483:
	s_delay_alu instid0(SALU_CYCLE_1)
	s_and_not1_b32 vcc_lo, exec_lo, s2
	s_cbranch_vccnz .LBB361_485
; %bb.484:
	global_load_b32 v3, v[1:2], off
	s_waitcnt vmcnt(0)
	v_cvt_i32_f32_e32 v3, v3
.LBB361_485:
	s_mov_b32 s2, 0
.LBB361_486:
	s_delay_alu instid0(SALU_CYCLE_1)
	s_and_not1_b32 vcc_lo, exec_lo, s2
	s_cbranch_vccnz .LBB361_488
; %bb.487:
	global_load_b32 v3, v[1:2], off
	s_waitcnt vmcnt(0)
	v_cvt_i16_f16_e32 v3, v3
.LBB361_488:
	s_mov_b32 s2, 0
.LBB361_489:
	s_delay_alu instid0(SALU_CYCLE_1)
	s_and_not1_b32 vcc_lo, exec_lo, s2
	s_cbranch_vccnz .LBB361_500
; %bb.490:
	v_cmp_gt_i16_e32 vcc_lo, 6, v6
	s_cbranch_vccnz .LBB361_493
; %bb.491:
	v_cmp_lt_i16_e32 vcc_lo, 6, v6
	s_cbranch_vccz .LBB361_494
; %bb.492:
	global_load_b64 v[3:4], v[1:2], off
	s_mov_b32 s2, 0
	s_waitcnt vmcnt(0)
	v_cvt_i32_f64_e32 v3, v[3:4]
	s_branch .LBB361_495
.LBB361_493:
	s_mov_b32 s2, -1
                                        ; implicit-def: $vgpr3
	s_branch .LBB361_498
.LBB361_494:
	s_mov_b32 s2, -1
                                        ; implicit-def: $vgpr3
.LBB361_495:
	s_delay_alu instid0(SALU_CYCLE_1)
	s_and_not1_b32 vcc_lo, exec_lo, s2
	s_cbranch_vccnz .LBB361_497
; %bb.496:
	global_load_b32 v3, v[1:2], off
	s_waitcnt vmcnt(0)
	v_cvt_i32_f32_e32 v3, v3
.LBB361_497:
	s_mov_b32 s2, 0
.LBB361_498:
	s_delay_alu instid0(SALU_CYCLE_1)
	s_and_not1_b32 vcc_lo, exec_lo, s2
	s_cbranch_vccnz .LBB361_500
; %bb.499:
	global_load_u16 v3, v[1:2], off
	s_waitcnt vmcnt(0)
	v_cvt_i16_f16_e32 v3, v3
.LBB361_500:
	s_mov_b32 s2, 0
.LBB361_501:
	s_delay_alu instid0(SALU_CYCLE_1)
	s_and_not1_b32 vcc_lo, exec_lo, s2
	s_cbranch_vccnz .LBB361_521
; %bb.502:
	v_cmp_gt_i16_e32 vcc_lo, 2, v6
	s_cbranch_vccnz .LBB361_506
; %bb.503:
	v_cmp_gt_i16_e32 vcc_lo, 3, v6
	s_cbranch_vccnz .LBB361_507
; %bb.504:
	v_cmp_lt_i16_e32 vcc_lo, 3, v6
	s_cbranch_vccz .LBB361_508
; %bb.505:
	global_load_b64 v[3:4], v[1:2], off
	s_mov_b32 s2, 0
	s_branch .LBB361_509
.LBB361_506:
	s_mov_b32 s2, -1
                                        ; implicit-def: $vgpr3
	s_branch .LBB361_515
.LBB361_507:
	s_mov_b32 s2, -1
                                        ; implicit-def: $vgpr3
	s_branch .LBB361_512
.LBB361_508:
	s_mov_b32 s2, -1
                                        ; implicit-def: $vgpr3
.LBB361_509:
	s_delay_alu instid0(SALU_CYCLE_1)
	s_and_not1_b32 vcc_lo, exec_lo, s2
	s_cbranch_vccnz .LBB361_511
; %bb.510:
	global_load_b32 v3, v[1:2], off
.LBB361_511:
	s_mov_b32 s2, 0
.LBB361_512:
	s_delay_alu instid0(SALU_CYCLE_1)
	s_and_not1_b32 vcc_lo, exec_lo, s2
	s_cbranch_vccnz .LBB361_514
; %bb.513:
	global_load_u16 v3, v[1:2], off
.LBB361_514:
	s_mov_b32 s2, 0
.LBB361_515:
	s_delay_alu instid0(SALU_CYCLE_1)
	s_and_not1_b32 vcc_lo, exec_lo, s2
	s_cbranch_vccnz .LBB361_521
; %bb.516:
	v_cmp_lt_i16_e32 vcc_lo, 0, v6
	s_mov_b32 s2, 0
	s_cbranch_vccz .LBB361_518
; %bb.517:
	global_load_u8 v3, v[1:2], off
	s_branch .LBB361_519
.LBB361_518:
	s_mov_b32 s2, -1
                                        ; implicit-def: $vgpr3
.LBB361_519:
	s_delay_alu instid0(SALU_CYCLE_1)
	s_and_not1_b32 vcc_lo, exec_lo, s2
	s_cbranch_vccnz .LBB361_521
; %bb.520:
	global_load_u8 v3, v[1:2], off
.LBB361_521:
	s_branch .LBB361_283
.LBB361_522:
	s_mov_b32 s22, 0
	s_mov_b32 s2, s37
.LBB361_523:
                                        ; implicit-def: $vgpr5
.LBB361_524:
	s_and_not1_b32 s23, s37, exec_lo
	s_and_b32 s2, s2, exec_lo
	s_and_not1_b32 s40, s38, exec_lo
	s_and_b32 s3, s3, exec_lo
	s_or_b32 s41, s23, s2
	s_or_b32 s40, s40, s3
	s_or_not1_b32 s2, s22, exec_lo
.LBB361_525:
	s_or_b32 exec_lo, exec_lo, s42
	s_mov_b32 s3, 0
	s_mov_b32 s23, 0
	s_mov_b32 s43, 0
                                        ; implicit-def: $vgpr6
                                        ; implicit-def: $vgpr1_vgpr2
                                        ; implicit-def: $vgpr0
                                        ; implicit-def: $vgpr3
	s_and_saveexec_b32 s42, s2
	s_cbranch_execz .LBB361_889
; %bb.526:
	s_mov_b32 s45, -1
	s_mov_b32 s22, s40
	s_mov_b32 s23, s41
	s_mov_b32 s43, exec_lo
	v_cmpx_gt_i32_e64 s34, v5
	s_cbranch_execz .LBB361_794
; %bb.527:
	s_and_not1_b32 vcc_lo, exec_lo, s27
	s_cbranch_vccnz .LBB361_532
; %bb.528:
	v_dual_mov_b32 v0, 0 :: v_dual_mov_b32 v1, 0
	s_and_not1_b32 vcc_lo, exec_lo, s36
	s_mov_b32 s44, 0
	s_cbranch_vccnz .LBB361_537
; %bb.529:
	v_mov_b32_e32 v0, 0
	s_add_i32 s46, s35, 1
	s_cmp_eq_u32 s25, 2
	s_mov_b32 s45, 0
	s_cbranch_scc1 .LBB361_533
; %bb.530:
	v_dual_mov_b32 v1, 0 :: v_dual_mov_b32 v0, 0
	v_mov_b32_e32 v2, v5
	s_and_b32 s45, s46, 28
	s_mov_b32 s47, 0
	s_mov_b64 s[2:3], s[20:21]
	s_mov_b64 s[22:23], s[16:17]
.LBB361_531:                            ; =>This Inner Loop Header: Depth=1
	s_clause 0x1
	s_load_b256 s[48:55], s[22:23], 0x4
	s_load_b128 s[64:67], s[22:23], 0x24
	s_load_b256 s[56:63], s[2:3], 0x0
	s_add_u32 s22, s22, 48
	s_addc_u32 s23, s23, 0
	s_add_i32 s47, s47, 4
	s_add_u32 s2, s2, 32
	s_addc_u32 s3, s3, 0
	s_cmp_eq_u32 s45, s47
	s_waitcnt vmcnt(0) lgkmcnt(0)
	v_mul_hi_u32 v3, s49, v2
	s_delay_alu instid0(VALU_DEP_1) | instskip(NEXT) | instid1(VALU_DEP_1)
	v_add_nc_u32_e32 v3, v2, v3
	v_lshrrev_b32_e32 v3, s50, v3
	s_delay_alu instid0(VALU_DEP_1) | instskip(SKIP_1) | instid1(VALU_DEP_2)
	v_mul_hi_u32 v4, s52, v3
	v_mul_lo_u32 v7, v3, s48
	v_add_nc_u32_e32 v4, v3, v4
	s_delay_alu instid0(VALU_DEP_2) | instskip(NEXT) | instid1(VALU_DEP_2)
	v_sub_nc_u32_e32 v2, v2, v7
	v_lshrrev_b32_e32 v4, s53, v4
	s_delay_alu instid0(VALU_DEP_2) | instskip(SKIP_1) | instid1(VALU_DEP_3)
	v_mul_lo_u32 v7, v2, s56
	v_mul_lo_u32 v9, v2, s57
	v_mul_hi_u32 v6, s55, v4
	s_delay_alu instid0(VALU_DEP_1) | instskip(NEXT) | instid1(VALU_DEP_1)
	v_add_nc_u32_e32 v6, v4, v6
	v_lshrrev_b32_e32 v6, s64, v6
	s_delay_alu instid0(VALU_DEP_1) | instskip(SKIP_1) | instid1(VALU_DEP_2)
	v_mul_hi_u32 v8, s66, v6
	v_mul_lo_u32 v10, v6, s54
	v_add_nc_u32_e32 v2, v6, v8
	v_mul_lo_u32 v8, v4, s51
	s_delay_alu instid0(VALU_DEP_3) | instskip(NEXT) | instid1(VALU_DEP_3)
	v_sub_nc_u32_e32 v4, v4, v10
	v_lshrrev_b32_e32 v2, s67, v2
	s_delay_alu instid0(VALU_DEP_2) | instskip(SKIP_2) | instid1(VALU_DEP_4)
	v_mul_lo_u32 v10, v4, s60
	v_mul_lo_u32 v4, v4, s61
	v_sub_nc_u32_e32 v3, v3, v8
	v_mul_lo_u32 v11, v2, s65
	s_delay_alu instid0(VALU_DEP_2) | instskip(SKIP_1) | instid1(VALU_DEP_3)
	v_mul_lo_u32 v8, v3, s58
	v_mul_lo_u32 v3, v3, s59
	v_sub_nc_u32_e32 v6, v6, v11
	s_delay_alu instid0(VALU_DEP_3) | instskip(NEXT) | instid1(VALU_DEP_2)
	v_add3_u32 v0, v7, v0, v8
	v_mul_lo_u32 v11, v6, s62
	v_mul_lo_u32 v6, v6, s63
	v_add3_u32 v1, v9, v1, v3
	s_delay_alu instid0(VALU_DEP_3) | instskip(NEXT) | instid1(VALU_DEP_2)
	v_add3_u32 v0, v10, v0, v11
	v_add3_u32 v1, v4, v1, v6
	s_cbranch_scc0 .LBB361_531
	s_branch .LBB361_534
.LBB361_532:
	s_mov_b32 s44, -1
                                        ; implicit-def: $vgpr0
                                        ; implicit-def: $vgpr1
	s_branch .LBB361_537
.LBB361_533:
	v_dual_mov_b32 v2, v5 :: v_dual_mov_b32 v1, 0
.LBB361_534:
	s_and_b32 s46, s46, 3
	s_delay_alu instid0(SALU_CYCLE_1)
	s_cmp_eq_u32 s46, 0
	s_cbranch_scc1 .LBB361_537
; %bb.535:
	s_lshl_b32 s2, s45, 3
	s_mul_i32 s22, s45, 12
	s_add_u32 s2, s2, s16
	s_addc_u32 s3, s17, 0
	s_add_u32 s2, s2, 0xc4
	s_addc_u32 s3, s3, 0
	;; [unrolled: 2-line block ×3, first 2 shown]
	.p2align	6
.LBB361_536:                            ; =>This Inner Loop Header: Depth=1
	s_clause 0x1
	s_load_b64 s[48:49], s[22:23], 0x4
	s_load_b32 s45, s[22:23], 0xc
	s_load_b64 s[50:51], s[2:3], 0x0
	s_add_u32 s22, s22, 12
	s_addc_u32 s23, s23, 0
	s_add_u32 s2, s2, 8
	s_addc_u32 s3, s3, 0
	s_add_i32 s46, s46, -1
	s_delay_alu instid0(SALU_CYCLE_1) | instskip(SKIP_2) | instid1(VALU_DEP_1)
	s_cmp_lg_u32 s46, 0
	s_waitcnt vmcnt(0) lgkmcnt(0)
	v_mul_hi_u32 v3, s49, v2
	v_add_nc_u32_e32 v3, v2, v3
	s_delay_alu instid0(VALU_DEP_1) | instskip(NEXT) | instid1(VALU_DEP_1)
	v_lshrrev_b32_e32 v8, s45, v3
	v_mul_lo_u32 v3, v8, s48
	s_delay_alu instid0(VALU_DEP_1) | instskip(NEXT) | instid1(VALU_DEP_1)
	v_sub_nc_u32_e32 v2, v2, v3
	v_mad_u64_u32 v[3:4], null, v2, s50, v[0:1]
	v_mad_u64_u32 v[6:7], null, v2, s51, v[1:2]
	v_mov_b32_e32 v2, v8
	s_delay_alu instid0(VALU_DEP_2)
	v_dual_mov_b32 v0, v3 :: v_dual_mov_b32 v1, v6
	s_cbranch_scc1 .LBB361_536
.LBB361_537:
	s_and_not1_b32 vcc_lo, exec_lo, s44
	s_cbranch_vccnz .LBB361_540
; %bb.538:
	v_mul_hi_u32 v0, s13, v5
	s_and_not1_b32 vcc_lo, exec_lo, s33
	s_delay_alu instid0(VALU_DEP_1) | instskip(NEXT) | instid1(VALU_DEP_1)
	v_add_nc_u32_e32 v0, v5, v0
	v_lshrrev_b32_e32 v2, s14, v0
	s_delay_alu instid0(VALU_DEP_1) | instskip(NEXT) | instid1(VALU_DEP_1)
	v_mul_lo_u32 v0, v2, s12
	v_sub_nc_u32_e32 v1, v5, v0
	s_delay_alu instid0(VALU_DEP_1)
	v_mul_lo_u32 v0, v1, s8
	v_mul_lo_u32 v1, v1, s9
	s_cbranch_vccnz .LBB361_540
; %bb.539:
	s_waitcnt vmcnt(0)
	v_mul_hi_u32 v3, s18, v2
	s_delay_alu instid0(VALU_DEP_1) | instskip(NEXT) | instid1(VALU_DEP_1)
	v_add_nc_u32_e32 v3, v2, v3
	v_lshrrev_b32_e32 v3, s19, v3
	s_delay_alu instid0(VALU_DEP_1) | instskip(NEXT) | instid1(VALU_DEP_1)
	v_mul_lo_u32 v3, v3, s15
	v_sub_nc_u32_e32 v6, v2, v3
	s_delay_alu instid0(VALU_DEP_1) | instskip(NEXT) | instid1(VALU_DEP_1)
	v_mad_u64_u32 v[2:3], null, v6, s10, v[0:1]
	v_mad_u64_u32 v[3:4], null, v6, s11, v[1:2]
	s_delay_alu instid0(VALU_DEP_1)
	v_dual_mov_b32 v0, v2 :: v_dual_mov_b32 v1, v3
.LBB361_540:
	v_and_b32_e64 v6, 0xff, s31
	s_delay_alu instid0(VALU_DEP_2) | instskip(NEXT) | instid1(VALU_DEP_1)
	v_add_co_u32 v1, s2, s6, v1
	v_add_co_ci_u32_e64 v2, null, s7, 0, s2
	s_delay_alu instid0(VALU_DEP_3)
	v_cmp_gt_i16_e32 vcc_lo, 11, v6
	s_mov_b32 s2, 0
	s_cbranch_vccnz .LBB361_547
; %bb.541:
	v_cmp_lt_i16_e32 vcc_lo, 25, v6
	s_cbranch_vccz .LBB361_548
; %bb.542:
	v_cmp_lt_i16_e32 vcc_lo, 28, v6
	s_cbranch_vccz .LBB361_549
	;; [unrolled: 3-line block ×4, first 2 shown]
; %bb.545:
	v_cmp_eq_u16_e32 vcc_lo, 46, v6
	s_mov_b32 s22, 0
	s_cbranch_vccz .LBB361_556
; %bb.546:
	global_load_b32 v3, v[1:2], off
	s_mov_b32 s2, -1
	s_mov_b32 s3, 0
	s_waitcnt vmcnt(0)
	v_lshlrev_b32_e32 v3, 16, v3
	s_delay_alu instid0(VALU_DEP_1)
	v_cvt_i32_f32_e32 v3, v3
	s_branch .LBB361_558
.LBB361_547:
	s_mov_b32 s22, -1
	s_mov_b32 s3, s40
                                        ; implicit-def: $vgpr3
	s_branch .LBB361_619
.LBB361_548:
	s_mov_b32 s22, -1
	s_mov_b32 s3, s40
                                        ; implicit-def: $vgpr3
	s_branch .LBB361_585
.LBB361_549:
	s_mov_b32 s22, -1
	s_mov_b32 s3, s40
                                        ; implicit-def: $vgpr3
	s_branch .LBB361_568
.LBB361_550:
	s_mov_b32 s22, -1
	s_mov_b32 s3, s40
                                        ; implicit-def: $vgpr3
	s_branch .LBB361_563
.LBB361_551:
	s_or_saveexec_b32 s40, s40
                                        ; implicit-def: $sgpr41
	s_delay_alu instid0(SALU_CYCLE_1)
	s_xor_b32 exec_lo, exec_lo, s40
	s_cbranch_execz .LBB361_366
.LBB361_552:
	v_add_f32_e64 v6, 0x46000000, |v4|
	s_and_not1_b32 s23, s23, exec_lo
	s_mov_b32 s41, 0
	s_delay_alu instid0(VALU_DEP_1) | instskip(NEXT) | instid1(VALU_DEP_1)
	v_and_b32_e32 v6, 0xff, v6
	v_cmp_ne_u32_e32 vcc_lo, 0, v6
	s_and_b32 s43, vcc_lo, exec_lo
	s_delay_alu instid0(SALU_CYCLE_1)
	s_or_b32 s23, s23, s43
	s_or_b32 exec_lo, exec_lo, s40
	v_mov_b32_e32 v7, s41
	s_and_saveexec_b32 s40, s23
	s_cbranch_execnz .LBB361_367
	s_branch .LBB361_368
.LBB361_553:
	s_mov_b32 s22, -1
	s_mov_b32 s3, s40
	s_branch .LBB361_557
.LBB361_554:
	s_or_saveexec_b32 s40, s40
                                        ; implicit-def: $sgpr41
	s_delay_alu instid0(SALU_CYCLE_1)
	s_xor_b32 exec_lo, exec_lo, s40
	s_cbranch_execz .LBB361_379
.LBB361_555:
	v_add_f32_e64 v6, 0x42800000, |v4|
	s_and_not1_b32 s23, s23, exec_lo
	s_mov_b32 s41, 0
	s_delay_alu instid0(VALU_DEP_1) | instskip(NEXT) | instid1(VALU_DEP_1)
	v_and_b32_e32 v6, 0xff, v6
	v_cmp_ne_u32_e32 vcc_lo, 0, v6
	s_and_b32 s43, vcc_lo, exec_lo
	s_delay_alu instid0(SALU_CYCLE_1)
	s_or_b32 s23, s23, s43
	s_or_b32 exec_lo, exec_lo, s40
	v_mov_b32_e32 v7, s41
	s_and_saveexec_b32 s40, s23
	s_cbranch_execnz .LBB361_380
	s_branch .LBB361_381
.LBB361_556:
	s_mov_b32 s3, -1
.LBB361_557:
                                        ; implicit-def: $vgpr3
.LBB361_558:
	s_and_b32 vcc_lo, exec_lo, s22
	s_cbranch_vccz .LBB361_562
; %bb.559:
	v_cmp_eq_u16_e32 vcc_lo, 44, v6
	s_cbranch_vccz .LBB361_561
; %bb.560:
	global_load_u8 v3, v[1:2], off
	s_mov_b32 s3, 0
	s_mov_b32 s2, -1
	s_waitcnt vmcnt(0)
	v_lshlrev_b32_e32 v4, 23, v3
	v_cmp_ne_u32_e32 vcc_lo, 0, v3
	s_delay_alu instid0(VALU_DEP_2) | instskip(NEXT) | instid1(VALU_DEP_1)
	v_cvt_i32_f32_e32 v4, v4
	v_cndmask_b32_e32 v3, 0, v4, vcc_lo
	s_branch .LBB361_562
.LBB361_561:
	s_mov_b32 s3, -1
                                        ; implicit-def: $vgpr3
.LBB361_562:
	s_mov_b32 s22, 0
.LBB361_563:
	s_delay_alu instid0(SALU_CYCLE_1)
	s_and_b32 vcc_lo, exec_lo, s22
	s_cbranch_vccz .LBB361_567
; %bb.564:
	v_cmp_eq_u16_e32 vcc_lo, 29, v6
	s_cbranch_vccz .LBB361_566
; %bb.565:
	global_load_b64 v[3:4], v[1:2], off
	s_mov_b32 s2, -1
	s_mov_b32 s3, 0
	s_branch .LBB361_567
.LBB361_566:
	s_mov_b32 s3, -1
                                        ; implicit-def: $vgpr3
.LBB361_567:
	s_mov_b32 s22, 0
.LBB361_568:
	s_delay_alu instid0(SALU_CYCLE_1)
	s_and_b32 vcc_lo, exec_lo, s22
	s_cbranch_vccz .LBB361_584
; %bb.569:
	v_cmp_gt_i16_e32 vcc_lo, 27, v6
	s_cbranch_vccnz .LBB361_572
; %bb.570:
	v_cmp_lt_i16_e32 vcc_lo, 27, v6
	s_cbranch_vccz .LBB361_573
; %bb.571:
	global_load_b32 v3, v[1:2], off
	s_mov_b32 s2, 0
	s_branch .LBB361_574
.LBB361_572:
	s_mov_b32 s2, -1
                                        ; implicit-def: $vgpr3
	s_branch .LBB361_577
.LBB361_573:
	s_mov_b32 s2, -1
                                        ; implicit-def: $vgpr3
.LBB361_574:
	s_delay_alu instid0(SALU_CYCLE_1)
	s_and_not1_b32 vcc_lo, exec_lo, s2
	s_cbranch_vccnz .LBB361_576
; %bb.575:
	global_load_u16 v3, v[1:2], off
.LBB361_576:
	s_mov_b32 s2, 0
.LBB361_577:
	s_delay_alu instid0(SALU_CYCLE_1)
	s_and_not1_b32 vcc_lo, exec_lo, s2
	s_cbranch_vccnz .LBB361_583
; %bb.578:
	global_load_u8 v4, v[1:2], off
	s_mov_b32 s2, 0
	s_mov_b32 s22, exec_lo
                                        ; implicit-def: $sgpr23
	s_waitcnt vmcnt(0)
	v_cmpx_lt_i16_e32 0x7f, v4
	s_xor_b32 s22, exec_lo, s22
	s_cbranch_execz .LBB361_595
; %bb.579:
	v_cmp_ne_u16_e32 vcc_lo, 0x80, v4
	s_mov_b32 s23, 0
	s_and_b32 s2, vcc_lo, exec_lo
	s_or_saveexec_b32 s22, s22
	v_mov_b32_e32 v3, s23
	s_xor_b32 exec_lo, exec_lo, s22
	s_cbranch_execnz .LBB361_596
.LBB361_580:
	s_or_b32 exec_lo, exec_lo, s22
	s_and_saveexec_b32 s22, s2
	s_cbranch_execz .LBB361_582
.LBB361_581:
	v_and_b32_e32 v3, 0xffff, v4
	s_delay_alu instid0(VALU_DEP_1) | instskip(NEXT) | instid1(VALU_DEP_1)
	v_and_b32_e32 v7, 7, v3
	v_clz_i32_u32_e32 v8, v7
	s_delay_alu instid0(VALU_DEP_1) | instskip(NEXT) | instid1(VALU_DEP_1)
	v_min_u32_e32 v8, 32, v8
	v_subrev_nc_u32_e32 v9, 28, v8
	v_sub_nc_u32_e32 v8, 29, v8
	s_delay_alu instid0(VALU_DEP_2) | instskip(SKIP_1) | instid1(VALU_DEP_2)
	v_lshlrev_b32_e32 v9, v9, v3
	v_bfe_u32 v3, v3, 3, 4
	v_and_b32_e32 v9, 7, v9
	s_delay_alu instid0(VALU_DEP_2) | instskip(NEXT) | instid1(VALU_DEP_2)
	v_cmp_eq_u32_e32 vcc_lo, 0, v3
	v_dual_cndmask_b32 v7, v7, v9 :: v_dual_lshlrev_b32 v4, 24, v4
	v_cndmask_b32_e32 v3, v3, v8, vcc_lo
	s_delay_alu instid0(VALU_DEP_2) | instskip(NEXT) | instid1(VALU_DEP_3)
	v_and_b32_e32 v4, 0x80000000, v4
	v_lshlrev_b32_e32 v7, 20, v7
	s_delay_alu instid0(VALU_DEP_3) | instskip(NEXT) | instid1(VALU_DEP_1)
	v_lshl_add_u32 v3, v3, 23, 0x3b800000
	v_or3_b32 v3, v4, v3, v7
	s_delay_alu instid0(VALU_DEP_1)
	v_cvt_i32_f32_e32 v3, v3
.LBB361_582:
	s_or_b32 exec_lo, exec_lo, s22
.LBB361_583:
	s_mov_b32 s2, -1
.LBB361_584:
	s_mov_b32 s22, 0
.LBB361_585:
	s_delay_alu instid0(SALU_CYCLE_1)
	s_and_b32 vcc_lo, exec_lo, s22
	s_cbranch_vccz .LBB361_618
; %bb.586:
	v_cmp_lt_i16_e32 vcc_lo, 22, v6
	s_cbranch_vccz .LBB361_594
; %bb.587:
	v_cmp_gt_i16_e32 vcc_lo, 24, v6
	s_cbranch_vccnz .LBB361_597
; %bb.588:
	v_cmp_lt_i16_e32 vcc_lo, 24, v6
	s_cbranch_vccz .LBB361_598
; %bb.589:
	global_load_u8 v4, v[1:2], off
	s_mov_b32 s2, 0
	s_mov_b32 s22, exec_lo
                                        ; implicit-def: $sgpr23
	s_waitcnt vmcnt(0)
	v_cmpx_lt_i16_e32 0x7f, v4
	s_xor_b32 s22, exec_lo, s22
	s_cbranch_execz .LBB361_610
; %bb.590:
	v_cmp_ne_u16_e32 vcc_lo, 0x80, v4
	s_mov_b32 s23, 0
	s_and_b32 s2, vcc_lo, exec_lo
	s_or_saveexec_b32 s22, s22
	v_mov_b32_e32 v3, s23
	s_xor_b32 exec_lo, exec_lo, s22
	s_cbranch_execnz .LBB361_611
.LBB361_591:
	s_or_b32 exec_lo, exec_lo, s22
	s_and_saveexec_b32 s22, s2
	s_cbranch_execz .LBB361_593
.LBB361_592:
	v_and_b32_e32 v3, 0xffff, v4
	s_delay_alu instid0(VALU_DEP_1) | instskip(NEXT) | instid1(VALU_DEP_1)
	v_and_b32_e32 v7, 3, v3
	v_clz_i32_u32_e32 v8, v7
	s_delay_alu instid0(VALU_DEP_1) | instskip(NEXT) | instid1(VALU_DEP_1)
	v_min_u32_e32 v8, 32, v8
	v_subrev_nc_u32_e32 v9, 29, v8
	v_sub_nc_u32_e32 v8, 30, v8
	s_delay_alu instid0(VALU_DEP_2) | instskip(SKIP_1) | instid1(VALU_DEP_2)
	v_lshlrev_b32_e32 v9, v9, v3
	v_bfe_u32 v3, v3, 2, 5
	v_and_b32_e32 v9, 3, v9
	s_delay_alu instid0(VALU_DEP_2) | instskip(NEXT) | instid1(VALU_DEP_2)
	v_cmp_eq_u32_e32 vcc_lo, 0, v3
	v_dual_cndmask_b32 v7, v7, v9 :: v_dual_lshlrev_b32 v4, 24, v4
	v_cndmask_b32_e32 v3, v3, v8, vcc_lo
	s_delay_alu instid0(VALU_DEP_2) | instskip(NEXT) | instid1(VALU_DEP_3)
	v_and_b32_e32 v4, 0x80000000, v4
	v_lshlrev_b32_e32 v7, 21, v7
	s_delay_alu instid0(VALU_DEP_3) | instskip(NEXT) | instid1(VALU_DEP_1)
	v_lshl_add_u32 v3, v3, 23, 0x37800000
	v_or3_b32 v3, v4, v3, v7
	s_delay_alu instid0(VALU_DEP_1)
	v_cvt_i32_f32_e32 v3, v3
.LBB361_593:
	s_or_b32 exec_lo, exec_lo, s22
	s_mov_b32 s2, 0
	s_branch .LBB361_599
.LBB361_594:
	s_mov_b32 s22, -1
                                        ; implicit-def: $vgpr3
	s_branch .LBB361_605
.LBB361_595:
	s_or_saveexec_b32 s22, s22
	v_mov_b32_e32 v3, s23
	s_xor_b32 exec_lo, exec_lo, s22
	s_cbranch_execz .LBB361_580
.LBB361_596:
	v_cmp_ne_u16_e32 vcc_lo, 0, v4
	v_mov_b32_e32 v3, 0
	s_and_not1_b32 s2, s2, exec_lo
	s_and_b32 s23, vcc_lo, exec_lo
	s_delay_alu instid0(SALU_CYCLE_1)
	s_or_b32 s2, s2, s23
	s_or_b32 exec_lo, exec_lo, s22
	s_and_saveexec_b32 s22, s2
	s_cbranch_execnz .LBB361_581
	s_branch .LBB361_582
.LBB361_597:
	s_mov_b32 s2, -1
                                        ; implicit-def: $vgpr3
	s_branch .LBB361_602
.LBB361_598:
	s_mov_b32 s2, -1
                                        ; implicit-def: $vgpr3
.LBB361_599:
	s_delay_alu instid0(SALU_CYCLE_1)
	s_and_b32 vcc_lo, exec_lo, s2
	s_cbranch_vccz .LBB361_601
; %bb.600:
	global_load_u8 v3, v[1:2], off
	s_waitcnt vmcnt(0)
	v_lshlrev_b32_e32 v3, 24, v3
	s_delay_alu instid0(VALU_DEP_1) | instskip(NEXT) | instid1(VALU_DEP_1)
	v_and_b32_e32 v4, 0x7f000000, v3
	v_clz_i32_u32_e32 v7, v4
	v_cmp_ne_u32_e32 vcc_lo, 0, v4
	v_add_nc_u32_e32 v9, 0x1000000, v4
	s_delay_alu instid0(VALU_DEP_3) | instskip(NEXT) | instid1(VALU_DEP_1)
	v_min_u32_e32 v7, 32, v7
	v_sub_nc_u32_e64 v7, v7, 4 clamp
	s_delay_alu instid0(VALU_DEP_1) | instskip(SKIP_1) | instid1(VALU_DEP_2)
	v_lshlrev_b32_e32 v8, v7, v4
	v_lshlrev_b32_e32 v7, 23, v7
	v_lshrrev_b32_e32 v8, 4, v8
	s_delay_alu instid0(VALU_DEP_1) | instskip(SKIP_1) | instid1(VALU_DEP_2)
	v_sub_nc_u32_e32 v7, v8, v7
	v_ashrrev_i32_e32 v8, 8, v9
	v_add_nc_u32_e32 v7, 0x3c000000, v7
	s_delay_alu instid0(VALU_DEP_1) | instskip(NEXT) | instid1(VALU_DEP_1)
	v_and_or_b32 v7, 0x7f800000, v8, v7
	v_cndmask_b32_e32 v4, 0, v7, vcc_lo
	s_delay_alu instid0(VALU_DEP_1) | instskip(NEXT) | instid1(VALU_DEP_1)
	v_and_or_b32 v3, 0x80000000, v3, v4
	v_cvt_i32_f32_e32 v3, v3
.LBB361_601:
	s_mov_b32 s2, 0
.LBB361_602:
	s_delay_alu instid0(SALU_CYCLE_1)
	s_and_not1_b32 vcc_lo, exec_lo, s2
	s_cbranch_vccnz .LBB361_604
; %bb.603:
	global_load_u8 v3, v[1:2], off
	s_waitcnt vmcnt(0)
	v_lshlrev_b32_e32 v4, 25, v3
	v_lshlrev_b16 v3, 8, v3
	s_delay_alu instid0(VALU_DEP_2) | instskip(NEXT) | instid1(VALU_DEP_2)
	v_lshrrev_b32_e32 v7, 4, v4
	v_and_or_b32 v8, 0x7f00, v3, 0.5
	v_cmp_gt_u32_e32 vcc_lo, 0x8000000, v4
	v_bfe_i32 v3, v3, 0, 16
	s_delay_alu instid0(VALU_DEP_4) | instskip(NEXT) | instid1(VALU_DEP_1)
	v_or_b32_e32 v7, 0x70000000, v7
	v_dual_add_f32 v8, -0.5, v8 :: v_dual_mul_f32 v7, 0x7800000, v7
	s_delay_alu instid0(VALU_DEP_1) | instskip(NEXT) | instid1(VALU_DEP_1)
	v_cndmask_b32_e32 v4, v7, v8, vcc_lo
	v_and_or_b32 v3, 0x80000000, v3, v4
	s_delay_alu instid0(VALU_DEP_1)
	v_cvt_i32_f32_e32 v3, v3
.LBB361_604:
	s_mov_b32 s22, 0
	s_mov_b32 s2, -1
.LBB361_605:
	s_and_not1_b32 vcc_lo, exec_lo, s22
	s_cbranch_vccnz .LBB361_618
; %bb.606:
	v_cmp_lt_i16_e32 vcc_lo, 14, v6
	s_cbranch_vccz .LBB361_609
; %bb.607:
	v_cmp_eq_u16_e32 vcc_lo, 15, v6
	s_cbranch_vccz .LBB361_612
; %bb.608:
	global_load_u16 v3, v[1:2], off
	s_mov_b32 s2, -1
	s_mov_b32 s3, 0
	s_waitcnt vmcnt(0)
	v_lshlrev_b32_e32 v3, 16, v3
	s_delay_alu instid0(VALU_DEP_1)
	v_cvt_i32_f32_e32 v3, v3
	s_branch .LBB361_613
.LBB361_609:
	s_mov_b32 s22, -1
                                        ; implicit-def: $vgpr3
	s_branch .LBB361_614
.LBB361_610:
	s_or_saveexec_b32 s22, s22
	v_mov_b32_e32 v3, s23
	s_xor_b32 exec_lo, exec_lo, s22
	s_cbranch_execz .LBB361_591
.LBB361_611:
	v_cmp_ne_u16_e32 vcc_lo, 0, v4
	v_mov_b32_e32 v3, 0
	s_and_not1_b32 s2, s2, exec_lo
	s_and_b32 s23, vcc_lo, exec_lo
	s_delay_alu instid0(SALU_CYCLE_1)
	s_or_b32 s2, s2, s23
	s_or_b32 exec_lo, exec_lo, s22
	s_and_saveexec_b32 s22, s2
	s_cbranch_execnz .LBB361_592
	s_branch .LBB361_593
.LBB361_612:
	s_mov_b32 s3, -1
                                        ; implicit-def: $vgpr3
.LBB361_613:
	s_mov_b32 s22, 0
.LBB361_614:
	s_delay_alu instid0(SALU_CYCLE_1)
	s_and_b32 vcc_lo, exec_lo, s22
	s_cbranch_vccz .LBB361_618
; %bb.615:
	v_cmp_eq_u16_e32 vcc_lo, 11, v6
	s_cbranch_vccz .LBB361_617
; %bb.616:
	global_load_u8 v3, v[1:2], off
	s_mov_b32 s3, 0
	s_mov_b32 s2, -1
	s_waitcnt vmcnt(0)
	v_cmp_ne_u16_e32 vcc_lo, 0, v3
	v_cndmask_b32_e64 v3, 0, 1, vcc_lo
	s_branch .LBB361_618
.LBB361_617:
	s_mov_b32 s3, -1
                                        ; implicit-def: $vgpr3
.LBB361_618:
	s_mov_b32 s22, 0
.LBB361_619:
	s_delay_alu instid0(SALU_CYCLE_1)
	s_and_b32 vcc_lo, exec_lo, s22
	s_cbranch_vccz .LBB361_668
; %bb.620:
	v_cmp_gt_i16_e32 vcc_lo, 5, v6
	s_cbranch_vccnz .LBB361_625
; %bb.621:
	v_cmp_gt_i16_e32 vcc_lo, 8, v6
	s_cbranch_vccnz .LBB361_626
	;; [unrolled: 3-line block ×3, first 2 shown]
; %bb.623:
	v_cmp_lt_i16_e32 vcc_lo, 9, v6
	s_cbranch_vccz .LBB361_628
; %bb.624:
	global_load_b64 v[3:4], v[1:2], off
	s_mov_b32 s2, 0
	s_waitcnt vmcnt(0)
	v_cvt_i32_f64_e32 v3, v[3:4]
	s_branch .LBB361_629
.LBB361_625:
	s_mov_b32 s2, -1
                                        ; implicit-def: $vgpr3
	s_branch .LBB361_647
.LBB361_626:
	s_mov_b32 s2, -1
                                        ; implicit-def: $vgpr3
	s_branch .LBB361_635
.LBB361_627:
	s_mov_b32 s2, -1
                                        ; implicit-def: $vgpr3
	s_branch .LBB361_632
.LBB361_628:
	s_mov_b32 s2, -1
                                        ; implicit-def: $vgpr3
.LBB361_629:
	s_delay_alu instid0(SALU_CYCLE_1)
	s_and_not1_b32 vcc_lo, exec_lo, s2
	s_cbranch_vccnz .LBB361_631
; %bb.630:
	global_load_b32 v3, v[1:2], off
	s_waitcnt vmcnt(0)
	v_cvt_i32_f32_e32 v3, v3
.LBB361_631:
	s_mov_b32 s2, 0
.LBB361_632:
	s_delay_alu instid0(SALU_CYCLE_1)
	s_and_not1_b32 vcc_lo, exec_lo, s2
	s_cbranch_vccnz .LBB361_634
; %bb.633:
	global_load_b32 v3, v[1:2], off
	s_waitcnt vmcnt(0)
	v_cvt_i16_f16_e32 v3, v3
.LBB361_634:
	s_mov_b32 s2, 0
.LBB361_635:
	s_delay_alu instid0(SALU_CYCLE_1)
	s_and_not1_b32 vcc_lo, exec_lo, s2
	s_cbranch_vccnz .LBB361_646
; %bb.636:
	v_cmp_gt_i16_e32 vcc_lo, 6, v6
	s_cbranch_vccnz .LBB361_639
; %bb.637:
	v_cmp_lt_i16_e32 vcc_lo, 6, v6
	s_cbranch_vccz .LBB361_640
; %bb.638:
	global_load_b64 v[3:4], v[1:2], off
	s_mov_b32 s2, 0
	s_waitcnt vmcnt(0)
	v_cvt_i32_f64_e32 v3, v[3:4]
	s_branch .LBB361_641
.LBB361_639:
	s_mov_b32 s2, -1
                                        ; implicit-def: $vgpr3
	s_branch .LBB361_644
.LBB361_640:
	s_mov_b32 s2, -1
                                        ; implicit-def: $vgpr3
.LBB361_641:
	s_delay_alu instid0(SALU_CYCLE_1)
	s_and_not1_b32 vcc_lo, exec_lo, s2
	s_cbranch_vccnz .LBB361_643
; %bb.642:
	global_load_b32 v3, v[1:2], off
	s_waitcnt vmcnt(0)
	v_cvt_i32_f32_e32 v3, v3
.LBB361_643:
	s_mov_b32 s2, 0
.LBB361_644:
	s_delay_alu instid0(SALU_CYCLE_1)
	s_and_not1_b32 vcc_lo, exec_lo, s2
	s_cbranch_vccnz .LBB361_646
; %bb.645:
	global_load_u16 v3, v[1:2], off
	s_waitcnt vmcnt(0)
	v_cvt_i16_f16_e32 v3, v3
.LBB361_646:
	s_mov_b32 s2, 0
.LBB361_647:
	s_delay_alu instid0(SALU_CYCLE_1)
	s_and_not1_b32 vcc_lo, exec_lo, s2
	s_cbranch_vccnz .LBB361_667
; %bb.648:
	v_cmp_gt_i16_e32 vcc_lo, 2, v6
	s_cbranch_vccnz .LBB361_652
; %bb.649:
	v_cmp_gt_i16_e32 vcc_lo, 3, v6
	s_cbranch_vccnz .LBB361_653
; %bb.650:
	v_cmp_lt_i16_e32 vcc_lo, 3, v6
	s_cbranch_vccz .LBB361_654
; %bb.651:
	global_load_b64 v[3:4], v[1:2], off
	s_mov_b32 s2, 0
	s_branch .LBB361_655
.LBB361_652:
	s_mov_b32 s2, -1
                                        ; implicit-def: $vgpr3
	s_branch .LBB361_661
.LBB361_653:
	s_mov_b32 s2, -1
                                        ; implicit-def: $vgpr3
	s_branch .LBB361_658
.LBB361_654:
	s_mov_b32 s2, -1
                                        ; implicit-def: $vgpr3
.LBB361_655:
	s_delay_alu instid0(SALU_CYCLE_1)
	s_and_not1_b32 vcc_lo, exec_lo, s2
	s_cbranch_vccnz .LBB361_657
; %bb.656:
	global_load_b32 v3, v[1:2], off
.LBB361_657:
	s_mov_b32 s2, 0
.LBB361_658:
	s_delay_alu instid0(SALU_CYCLE_1)
	s_and_not1_b32 vcc_lo, exec_lo, s2
	s_cbranch_vccnz .LBB361_660
; %bb.659:
	global_load_u16 v3, v[1:2], off
.LBB361_660:
	s_mov_b32 s2, 0
.LBB361_661:
	s_delay_alu instid0(SALU_CYCLE_1)
	s_and_not1_b32 vcc_lo, exec_lo, s2
	s_cbranch_vccnz .LBB361_667
; %bb.662:
	v_cmp_lt_i16_e32 vcc_lo, 0, v6
	s_mov_b32 s2, 0
	s_cbranch_vccz .LBB361_664
; %bb.663:
	global_load_u8 v3, v[1:2], off
	s_branch .LBB361_665
.LBB361_664:
	s_mov_b32 s2, -1
                                        ; implicit-def: $vgpr3
.LBB361_665:
	s_delay_alu instid0(SALU_CYCLE_1)
	s_and_not1_b32 vcc_lo, exec_lo, s2
	s_cbranch_vccnz .LBB361_667
; %bb.666:
	global_load_u8 v3, v[1:2], off
.LBB361_667:
	s_mov_b32 s2, -1
.LBB361_668:
	s_delay_alu instid0(SALU_CYCLE_1)
	s_and_not1_b32 vcc_lo, exec_lo, s2
	s_cbranch_vccnz .LBB361_676
; %bb.669:
	s_waitcnt vmcnt(0)
	s_delay_alu instid0(VALU_DEP_1)
	v_bfe_i32 v1, v3, 0, 8
	v_and_b32_e64 v3, 0xff, s30
	s_bfe_i32 s2, s29, 0x80000
	s_mov_b32 s22, 0
	s_mov_b32 s23, -1
	v_max_i16 v2, v1, s2
	v_cmp_gt_i16_e32 vcc_lo, 11, v3
	v_add_co_u32 v0, s2, s4, v0
	s_delay_alu instid0(VALU_DEP_1)
	v_add_co_ci_u32_e64 v1, null, s5, 0, s2
	s_mov_b32 s2, s41
	s_cbranch_vccnz .LBB361_677
; %bb.670:
	v_cmp_lt_i16_e32 vcc_lo, 25, v3
	s_cbranch_vccz .LBB361_718
; %bb.671:
	v_cmp_lt_i16_e32 vcc_lo, 28, v3
	s_cbranch_vccz .LBB361_719
	;; [unrolled: 3-line block ×4, first 2 shown]
; %bb.674:
	v_cmp_eq_u16_e32 vcc_lo, 46, v3
	s_mov_b32 s23, 0
	s_mov_b32 s2, -1
	s_cbranch_vccz .LBB361_722
; %bb.675:
	v_bfe_i32 v4, v2, 0, 16
	s_mov_b32 s22, -1
	s_mov_b32 s2, 0
	s_delay_alu instid0(VALU_DEP_1) | instskip(NEXT) | instid1(VALU_DEP_1)
	v_cvt_f32_i32_e32 v4, v4
	v_bfe_u32 v6, v4, 16, 1
	s_delay_alu instid0(VALU_DEP_1) | instskip(NEXT) | instid1(VALU_DEP_1)
	v_add3_u32 v4, v4, v6, 0x7fff
	v_lshrrev_b32_e32 v4, 16, v4
	global_store_b32 v[0:1], v4, off
	s_branch .LBB361_722
.LBB361_676:
	s_mov_b32 s44, 0
	s_mov_b32 s2, s41
	s_branch .LBB361_717
.LBB361_677:
	s_and_b32 vcc_lo, exec_lo, s23
	s_cbranch_vccz .LBB361_791
; %bb.678:
	v_cmp_gt_i16_e32 vcc_lo, 5, v3
	s_mov_b32 s22, -1
	s_cbranch_vccnz .LBB361_699
; %bb.679:
	v_cmp_gt_i16_e32 vcc_lo, 8, v3
	s_cbranch_vccnz .LBB361_689
; %bb.680:
	v_cmp_gt_i16_e32 vcc_lo, 9, v3
	s_cbranch_vccnz .LBB361_686
; %bb.681:
	v_cmp_lt_i16_e32 vcc_lo, 9, v3
	s_cbranch_vccz .LBB361_683
; %bb.682:
	v_bfe_i32 v4, v2, 0, 16
	v_mov_b32_e32 v8, 0
	s_mov_b32 s22, 0
	s_delay_alu instid0(VALU_DEP_2) | instskip(NEXT) | instid1(VALU_DEP_2)
	v_cvt_f64_i32_e32 v[6:7], v4
	v_mov_b32_e32 v9, v8
	global_store_b128 v[0:1], v[6:9], off
.LBB361_683:
	s_and_not1_b32 vcc_lo, exec_lo, s22
	s_cbranch_vccnz .LBB361_685
; %bb.684:
	v_bfe_i32 v4, v2, 0, 16
	v_mov_b32_e32 v7, 0
	s_delay_alu instid0(VALU_DEP_2)
	v_cvt_f32_i32_e32 v6, v4
	global_store_b64 v[0:1], v[6:7], off
.LBB361_685:
	s_mov_b32 s22, 0
.LBB361_686:
	s_delay_alu instid0(SALU_CYCLE_1)
	s_and_not1_b32 vcc_lo, exec_lo, s22
	s_cbranch_vccnz .LBB361_688
; %bb.687:
	v_cvt_f16_i16_e32 v4, v2
	s_delay_alu instid0(VALU_DEP_1)
	v_and_b32_e32 v4, 0xffff, v4
	global_store_b32 v[0:1], v4, off
.LBB361_688:
	s_mov_b32 s22, 0
.LBB361_689:
	s_delay_alu instid0(SALU_CYCLE_1)
	s_and_not1_b32 vcc_lo, exec_lo, s22
	s_cbranch_vccnz .LBB361_698
; %bb.690:
	v_cmp_gt_i16_e32 vcc_lo, 6, v3
	s_mov_b32 s22, -1
	s_cbranch_vccnz .LBB361_696
; %bb.691:
	v_cmp_lt_i16_e32 vcc_lo, 6, v3
	s_cbranch_vccz .LBB361_693
; %bb.692:
	v_bfe_i32 v4, v2, 0, 16
	s_mov_b32 s22, 0
	s_delay_alu instid0(VALU_DEP_1)
	v_cvt_f64_i32_e32 v[6:7], v4
	global_store_b64 v[0:1], v[6:7], off
.LBB361_693:
	s_and_not1_b32 vcc_lo, exec_lo, s22
	s_cbranch_vccnz .LBB361_695
; %bb.694:
	v_bfe_i32 v4, v2, 0, 16
	s_delay_alu instid0(VALU_DEP_1)
	v_cvt_f32_i32_e32 v4, v4
	global_store_b32 v[0:1], v4, off
.LBB361_695:
	s_mov_b32 s22, 0
.LBB361_696:
	s_delay_alu instid0(SALU_CYCLE_1)
	s_and_not1_b32 vcc_lo, exec_lo, s22
	s_cbranch_vccnz .LBB361_698
; %bb.697:
	v_cvt_f16_i16_e32 v4, v2
	global_store_b16 v[0:1], v4, off
.LBB361_698:
	s_mov_b32 s22, 0
.LBB361_699:
	s_delay_alu instid0(SALU_CYCLE_1)
	s_and_not1_b32 vcc_lo, exec_lo, s22
	s_cbranch_vccnz .LBB361_715
; %bb.700:
	v_cmp_gt_i16_e32 vcc_lo, 2, v3
	s_mov_b32 s22, -1
	s_cbranch_vccnz .LBB361_710
; %bb.701:
	v_cmp_gt_i16_e32 vcc_lo, 3, v3
	s_cbranch_vccnz .LBB361_707
; %bb.702:
	v_cmp_lt_i16_e32 vcc_lo, 3, v3
	s_cbranch_vccz .LBB361_704
; %bb.703:
	v_bfe_i32 v6, v2, 0, 16
	s_mov_b32 s22, 0
	s_delay_alu instid0(VALU_DEP_1)
	v_ashrrev_i32_e32 v7, 31, v6
	global_store_b64 v[0:1], v[6:7], off
.LBB361_704:
	s_and_not1_b32 vcc_lo, exec_lo, s22
	s_cbranch_vccnz .LBB361_706
; %bb.705:
	v_bfe_i32 v4, v2, 0, 16
	global_store_b32 v[0:1], v4, off
.LBB361_706:
	s_mov_b32 s22, 0
.LBB361_707:
	s_delay_alu instid0(SALU_CYCLE_1)
	s_and_not1_b32 vcc_lo, exec_lo, s22
	s_cbranch_vccnz .LBB361_709
; %bb.708:
	global_store_b16 v[0:1], v2, off
.LBB361_709:
	s_mov_b32 s22, 0
.LBB361_710:
	s_delay_alu instid0(SALU_CYCLE_1)
	s_and_not1_b32 vcc_lo, exec_lo, s22
	s_cbranch_vccnz .LBB361_715
; %bb.711:
	v_cmp_lt_i16_e32 vcc_lo, 0, v3
	s_mov_b32 s22, -1
	s_cbranch_vccz .LBB361_713
; %bb.712:
	s_mov_b32 s22, 0
	global_store_b8 v[0:1], v2, off
.LBB361_713:
	s_and_not1_b32 vcc_lo, exec_lo, s22
	s_cbranch_vccnz .LBB361_715
; %bb.714:
	global_store_b8 v[0:1], v2, off
.LBB361_715:
	s_branch .LBB361_792
.LBB361_716:
	s_mov_b32 s44, 0
.LBB361_717:
                                        ; implicit-def: $vgpr5
	s_branch .LBB361_793
.LBB361_718:
	s_mov_b32 s2, s41
	s_branch .LBB361_749
.LBB361_719:
	s_mov_b32 s2, s41
	s_branch .LBB361_732
.LBB361_720:
	s_mov_b32 s2, s41
	s_branch .LBB361_728
.LBB361_721:
	s_mov_b32 s2, s41
.LBB361_722:
	s_and_b32 vcc_lo, exec_lo, s23
	s_cbranch_vccz .LBB361_727
; %bb.723:
	v_cmp_eq_u16_e32 vcc_lo, 44, v3
	s_mov_b32 s2, -1
	s_cbranch_vccz .LBB361_727
; %bb.724:
	v_bfe_i32 v4, v2, 0, 16
	v_mov_b32_e32 v6, 0xff
	s_mov_b32 s22, exec_lo
	s_delay_alu instid0(VALU_DEP_2) | instskip(NEXT) | instid1(VALU_DEP_1)
	v_cvt_f32_i32_e32 v4, v4
	v_bfe_u32 v7, v4, 23, 8
	s_delay_alu instid0(VALU_DEP_1)
	v_cmpx_ne_u32_e32 0xff, v7
; %bb.725:
	v_and_b32_e32 v6, 0x400000, v4
	v_and_or_b32 v7, 0x3fffff, v4, v7
	v_lshrrev_b32_e32 v4, 23, v4
	s_delay_alu instid0(VALU_DEP_3) | instskip(NEXT) | instid1(VALU_DEP_3)
	v_cmp_ne_u32_e32 vcc_lo, 0, v6
	v_cmp_ne_u32_e64 s2, 0, v7
	s_delay_alu instid0(VALU_DEP_1) | instskip(NEXT) | instid1(SALU_CYCLE_1)
	s_and_b32 s2, vcc_lo, s2
	v_cndmask_b32_e64 v6, 0, 1, s2
	s_delay_alu instid0(VALU_DEP_1)
	v_add_nc_u32_e32 v6, v4, v6
; %bb.726:
	s_or_b32 exec_lo, exec_lo, s22
	s_mov_b32 s22, -1
	s_mov_b32 s2, 0
	global_store_b8 v[0:1], v6, off
.LBB361_727:
	s_mov_b32 s23, 0
.LBB361_728:
	s_delay_alu instid0(SALU_CYCLE_1)
	s_and_b32 vcc_lo, exec_lo, s23
	s_cbranch_vccz .LBB361_731
; %bb.729:
	v_cmp_eq_u16_e32 vcc_lo, 29, v3
	s_mov_b32 s2, -1
	s_cbranch_vccz .LBB361_731
; %bb.730:
	v_bfe_i32 v6, v2, 0, 16
	s_mov_b32 s2, 0
	s_mov_b32 s22, -1
	s_mov_b32 s23, 0
	s_delay_alu instid0(VALU_DEP_1)
	v_ashrrev_i32_e32 v7, 31, v6
	global_store_b64 v[0:1], v[6:7], off
	s_branch .LBB361_732
.LBB361_731:
	s_mov_b32 s23, 0
.LBB361_732:
	s_delay_alu instid0(SALU_CYCLE_1)
	s_and_b32 vcc_lo, exec_lo, s23
	s_cbranch_vccz .LBB361_748
; %bb.733:
	v_cmp_gt_i16_e32 vcc_lo, 27, v3
	s_mov_b32 s22, -1
	s_cbranch_vccnz .LBB361_739
; %bb.734:
	v_cmp_lt_i16_e32 vcc_lo, 27, v3
	s_cbranch_vccz .LBB361_736
; %bb.735:
	v_bfe_i32 v4, v2, 0, 16
	s_mov_b32 s22, 0
	global_store_b32 v[0:1], v4, off
.LBB361_736:
	s_and_not1_b32 vcc_lo, exec_lo, s22
	s_cbranch_vccnz .LBB361_738
; %bb.737:
	global_store_b16 v[0:1], v2, off
.LBB361_738:
	s_mov_b32 s22, 0
.LBB361_739:
	s_delay_alu instid0(SALU_CYCLE_1)
	s_and_not1_b32 vcc_lo, exec_lo, s22
	s_cbranch_vccnz .LBB361_747
; %bb.740:
	v_bfe_i32 v4, v2, 0, 16
	v_mov_b32_e32 v7, 0x80
	s_mov_b32 s22, exec_lo
	s_delay_alu instid0(VALU_DEP_2) | instskip(NEXT) | instid1(VALU_DEP_1)
	v_cvt_f32_i32_e32 v4, v4
	v_and_b32_e32 v6, 0x7fffffff, v4
	s_delay_alu instid0(VALU_DEP_1)
	v_cmpx_gt_u32_e32 0x43800000, v6
	s_cbranch_execz .LBB361_746
; %bb.741:
	v_cmp_lt_u32_e32 vcc_lo, 0x3bffffff, v6
	s_mov_b32 s23, 0
                                        ; implicit-def: $vgpr6
	s_and_saveexec_b32 s44, vcc_lo
	s_delay_alu instid0(SALU_CYCLE_1)
	s_xor_b32 s44, exec_lo, s44
	s_cbranch_execz .LBB361_820
; %bb.742:
	v_bfe_u32 v6, v4, 20, 1
	s_mov_b32 s23, exec_lo
	s_delay_alu instid0(VALU_DEP_1) | instskip(NEXT) | instid1(VALU_DEP_1)
	v_add3_u32 v6, v4, v6, 0x487ffff
	v_lshrrev_b32_e32 v6, 20, v6
	s_or_saveexec_b32 s44, s44
                                        ; implicit-def: $sgpr45
	s_delay_alu instid0(SALU_CYCLE_1)
	s_xor_b32 exec_lo, exec_lo, s44
	s_cbranch_execnz .LBB361_821
.LBB361_743:
	s_or_b32 exec_lo, exec_lo, s44
	v_mov_b32_e32 v7, s45
	s_and_saveexec_b32 s44, s23
.LBB361_744:
	v_lshrrev_b32_e32 v4, 24, v4
	s_delay_alu instid0(VALU_DEP_1)
	v_and_or_b32 v7, 0x80, v4, v6
.LBB361_745:
	s_or_b32 exec_lo, exec_lo, s44
.LBB361_746:
	s_delay_alu instid0(SALU_CYCLE_1)
	s_or_b32 exec_lo, exec_lo, s22
	global_store_b8 v[0:1], v7, off
.LBB361_747:
	s_mov_b32 s22, -1
.LBB361_748:
	s_mov_b32 s23, 0
.LBB361_749:
	s_delay_alu instid0(SALU_CYCLE_1)
	s_and_b32 vcc_lo, exec_lo, s23
	s_cbranch_vccz .LBB361_790
; %bb.750:
	v_cmp_lt_i16_e32 vcc_lo, 22, v3
	s_mov_b32 s23, -1
	s_cbranch_vccz .LBB361_782
; %bb.751:
	v_cmp_gt_i16_e32 vcc_lo, 24, v3
	s_mov_b32 s22, -1
	s_cbranch_vccnz .LBB361_771
; %bb.752:
	v_cmp_lt_i16_e32 vcc_lo, 24, v3
	s_cbranch_vccz .LBB361_760
; %bb.753:
	v_bfe_i32 v4, v2, 0, 16
	v_mov_b32_e32 v7, 0x80
	s_mov_b32 s22, exec_lo
	s_delay_alu instid0(VALU_DEP_2) | instskip(NEXT) | instid1(VALU_DEP_1)
	v_cvt_f32_i32_e32 v4, v4
	v_and_b32_e32 v6, 0x7fffffff, v4
	s_delay_alu instid0(VALU_DEP_1)
	v_cmpx_gt_u32_e32 0x47800000, v6
	s_cbranch_execz .LBB361_759
; %bb.754:
	v_cmp_lt_u32_e32 vcc_lo, 0x37ffffff, v6
	s_mov_b32 s23, 0
                                        ; implicit-def: $vgpr6
	s_and_saveexec_b32 s44, vcc_lo
	s_delay_alu instid0(SALU_CYCLE_1)
	s_xor_b32 s44, exec_lo, s44
	s_cbranch_execz .LBB361_823
; %bb.755:
	v_bfe_u32 v6, v4, 21, 1
	s_mov_b32 s23, exec_lo
	s_delay_alu instid0(VALU_DEP_1) | instskip(NEXT) | instid1(VALU_DEP_1)
	v_add3_u32 v6, v4, v6, 0x88fffff
	v_lshrrev_b32_e32 v6, 21, v6
	s_or_saveexec_b32 s44, s44
                                        ; implicit-def: $sgpr45
	s_delay_alu instid0(SALU_CYCLE_1)
	s_xor_b32 exec_lo, exec_lo, s44
	s_cbranch_execnz .LBB361_824
.LBB361_756:
	s_or_b32 exec_lo, exec_lo, s44
	v_mov_b32_e32 v7, s45
	s_and_saveexec_b32 s44, s23
.LBB361_757:
	v_lshrrev_b32_e32 v4, 24, v4
	s_delay_alu instid0(VALU_DEP_1)
	v_and_or_b32 v7, 0x80, v4, v6
.LBB361_758:
	s_or_b32 exec_lo, exec_lo, s44
.LBB361_759:
	s_delay_alu instid0(SALU_CYCLE_1)
	s_or_b32 exec_lo, exec_lo, s22
	s_mov_b32 s22, 0
	global_store_b8 v[0:1], v7, off
.LBB361_760:
	s_and_b32 vcc_lo, exec_lo, s22
	s_cbranch_vccz .LBB361_770
; %bb.761:
	v_bfe_i32 v4, v2, 0, 16
	s_mov_b32 s22, exec_lo
                                        ; implicit-def: $vgpr6
	s_delay_alu instid0(VALU_DEP_1) | instskip(NEXT) | instid1(VALU_DEP_1)
	v_cvt_f32_i32_e32 v4, v4
	v_and_b32_e32 v7, 0x7fffffff, v4
	s_delay_alu instid0(VALU_DEP_1)
	v_cmpx_gt_u32_e32 0x43f00000, v7
	s_xor_b32 s22, exec_lo, s22
	s_cbranch_execz .LBB361_767
; %bb.762:
	s_mov_b32 s23, exec_lo
                                        ; implicit-def: $vgpr6
	v_cmpx_lt_u32_e32 0x3c7fffff, v7
	s_xor_b32 s23, exec_lo, s23
; %bb.763:
	v_bfe_u32 v6, v4, 20, 1
	s_delay_alu instid0(VALU_DEP_1) | instskip(NEXT) | instid1(VALU_DEP_1)
	v_add3_u32 v6, v4, v6, 0x407ffff
	v_and_b32_e32 v7, 0xff00000, v6
	v_lshrrev_b32_e32 v6, 20, v6
	s_delay_alu instid0(VALU_DEP_2) | instskip(NEXT) | instid1(VALU_DEP_2)
	v_cmp_ne_u32_e32 vcc_lo, 0x7f00000, v7
	v_cndmask_b32_e32 v6, 0x7e, v6, vcc_lo
; %bb.764:
	s_and_not1_saveexec_b32 s23, s23
; %bb.765:
	v_add_f32_e64 v6, 0x46800000, |v4|
; %bb.766:
	s_or_b32 exec_lo, exec_lo, s23
                                        ; implicit-def: $vgpr7
.LBB361_767:
	s_and_not1_saveexec_b32 s22, s22
; %bb.768:
	v_mov_b32_e32 v6, 0x7f
	v_cmp_lt_u32_e32 vcc_lo, 0x7f800000, v7
	s_delay_alu instid0(VALU_DEP_2)
	v_cndmask_b32_e32 v6, 0x7e, v6, vcc_lo
; %bb.769:
	s_or_b32 exec_lo, exec_lo, s22
	v_lshrrev_b32_e32 v4, 24, v4
	s_delay_alu instid0(VALU_DEP_1)
	v_and_or_b32 v4, 0x80, v4, v6
	global_store_b8 v[0:1], v4, off
.LBB361_770:
	s_mov_b32 s22, 0
.LBB361_771:
	s_delay_alu instid0(SALU_CYCLE_1)
	s_and_not1_b32 vcc_lo, exec_lo, s22
	s_cbranch_vccnz .LBB361_781
; %bb.772:
	v_bfe_i32 v4, v2, 0, 16
	s_mov_b32 s22, exec_lo
                                        ; implicit-def: $vgpr6
	s_delay_alu instid0(VALU_DEP_1) | instskip(NEXT) | instid1(VALU_DEP_1)
	v_cvt_f32_i32_e32 v4, v4
	v_and_b32_e32 v7, 0x7fffffff, v4
	s_delay_alu instid0(VALU_DEP_1)
	v_cmpx_gt_u32_e32 0x47800000, v7
	s_xor_b32 s22, exec_lo, s22
	s_cbranch_execz .LBB361_778
; %bb.773:
	s_mov_b32 s23, exec_lo
                                        ; implicit-def: $vgpr6
	v_cmpx_lt_u32_e32 0x387fffff, v7
	s_xor_b32 s23, exec_lo, s23
; %bb.774:
	v_bfe_u32 v6, v4, 21, 1
	s_delay_alu instid0(VALU_DEP_1) | instskip(NEXT) | instid1(VALU_DEP_1)
	v_add3_u32 v6, v4, v6, 0x80fffff
	v_lshrrev_b32_e32 v6, 21, v6
; %bb.775:
	s_and_not1_saveexec_b32 s23, s23
; %bb.776:
	v_add_f32_e64 v6, 0x43000000, |v4|
; %bb.777:
	s_or_b32 exec_lo, exec_lo, s23
                                        ; implicit-def: $vgpr7
.LBB361_778:
	s_and_not1_saveexec_b32 s22, s22
; %bb.779:
	v_mov_b32_e32 v6, 0x7f
	v_cmp_lt_u32_e32 vcc_lo, 0x7f800000, v7
	s_delay_alu instid0(VALU_DEP_2)
	v_cndmask_b32_e32 v6, 0x7c, v6, vcc_lo
; %bb.780:
	s_or_b32 exec_lo, exec_lo, s22
	v_lshrrev_b32_e32 v4, 24, v4
	s_delay_alu instid0(VALU_DEP_1)
	v_and_or_b32 v4, 0x80, v4, v6
	global_store_b8 v[0:1], v4, off
.LBB361_781:
	s_mov_b32 s23, 0
	s_mov_b32 s22, -1
.LBB361_782:
	s_and_not1_b32 vcc_lo, exec_lo, s23
	s_cbranch_vccnz .LBB361_790
; %bb.783:
	v_cmp_lt_i16_e32 vcc_lo, 14, v3
	s_mov_b32 s23, -1
	s_cbranch_vccz .LBB361_787
; %bb.784:
	v_cmp_eq_u16_e32 vcc_lo, 15, v3
	s_mov_b32 s2, -1
	s_cbranch_vccz .LBB361_786
; %bb.785:
	v_bfe_i32 v4, v2, 0, 16
	s_mov_b32 s22, -1
	s_mov_b32 s2, 0
	s_delay_alu instid0(VALU_DEP_1) | instskip(NEXT) | instid1(VALU_DEP_1)
	v_cvt_f32_i32_e32 v4, v4
	v_bfe_u32 v6, v4, 16, 1
	s_delay_alu instid0(VALU_DEP_1)
	v_add3_u32 v4, v4, v6, 0x7fff
	global_store_d16_hi_b16 v[0:1], v4, off
.LBB361_786:
	s_mov_b32 s23, 0
.LBB361_787:
	s_delay_alu instid0(SALU_CYCLE_1)
	s_and_b32 vcc_lo, exec_lo, s23
	s_cbranch_vccz .LBB361_790
; %bb.788:
	v_cmp_eq_u16_e32 vcc_lo, 11, v3
	s_mov_b32 s2, -1
	s_cbranch_vccz .LBB361_790
; %bb.789:
	v_cmp_ne_u16_e32 vcc_lo, 0, v2
	s_mov_b32 s2, 0
	s_mov_b32 s22, -1
	v_cndmask_b32_e64 v4, 0, 1, vcc_lo
	global_store_b8 v[0:1], v4, off
.LBB361_790:
.LBB361_791:
	s_and_not1_b32 vcc_lo, exec_lo, s22
	s_cbranch_vccnz .LBB361_716
.LBB361_792:
	v_add_nc_u32_e32 v5, 0x80, v5
	s_mov_b32 s44, -1
.LBB361_793:
	s_and_not1_b32 s22, s41, exec_lo
	s_and_b32 s2, s2, exec_lo
	s_and_not1_b32 s45, s40, exec_lo
	s_and_b32 s3, s3, exec_lo
	s_or_b32 s23, s22, s2
	s_or_b32 s22, s45, s3
	s_or_not1_b32 s45, s44, exec_lo
.LBB361_794:
	s_or_b32 exec_lo, exec_lo, s43
	s_mov_b32 s2, 0
	s_mov_b32 s3, 0
	;; [unrolled: 1-line block ×3, first 2 shown]
                                        ; implicit-def: $vgpr6
                                        ; implicit-def: $vgpr1_vgpr2
                                        ; implicit-def: $vgpr0
                                        ; implicit-def: $vgpr3
	s_and_saveexec_b32 s43, s45
	s_cbranch_execz .LBB361_888
; %bb.795:
	v_cmp_gt_i32_e32 vcc_lo, s34, v5
	s_mov_b32 s46, s22
	s_mov_b32 s45, 0
                                        ; implicit-def: $vgpr6
                                        ; implicit-def: $vgpr1_vgpr2
                                        ; implicit-def: $vgpr0
                                        ; implicit-def: $vgpr3
	s_and_saveexec_b32 s34, vcc_lo
	s_cbranch_execz .LBB361_887
; %bb.796:
	s_and_not1_b32 vcc_lo, exec_lo, s27
	s_cbranch_vccnz .LBB361_801
; %bb.797:
	v_dual_mov_b32 v0, 0 :: v_dual_mov_b32 v1, 0
	s_and_not1_b32 vcc_lo, exec_lo, s36
	s_mov_b32 s36, 0
	s_cbranch_vccnz .LBB361_806
; %bb.798:
	v_mov_b32_e32 v0, 0
	s_add_i32 s44, s35, 1
	s_cmp_eq_u32 s25, 2
	s_mov_b32 s35, 0
	s_cbranch_scc1 .LBB361_802
; %bb.799:
	v_dual_mov_b32 v1, 0 :: v_dual_mov_b32 v0, 0
	v_mov_b32_e32 v2, v5
	s_and_b32 s35, s44, 28
	s_mov_b64 s[2:3], s[16:17]
.LBB361_800:                            ; =>This Inner Loop Header: Depth=1
	s_clause 0x1
	s_load_b256 s[48:55], s[2:3], 0x4
	s_load_b128 s[64:67], s[2:3], 0x24
	s_load_b256 s[56:63], s[20:21], 0x0
	s_add_u32 s2, s2, 48
	s_addc_u32 s3, s3, 0
	s_add_i32 s45, s45, 4
	s_add_u32 s20, s20, 32
	s_addc_u32 s21, s21, 0
	s_cmp_eq_u32 s35, s45
	s_waitcnt vmcnt(0) lgkmcnt(0)
	v_mul_hi_u32 v3, s49, v2
	s_delay_alu instid0(VALU_DEP_1) | instskip(NEXT) | instid1(VALU_DEP_1)
	v_add_nc_u32_e32 v3, v2, v3
	v_lshrrev_b32_e32 v3, s50, v3
	s_delay_alu instid0(VALU_DEP_1) | instskip(SKIP_1) | instid1(VALU_DEP_2)
	v_mul_hi_u32 v4, s52, v3
	v_mul_lo_u32 v7, v3, s48
	v_add_nc_u32_e32 v4, v3, v4
	s_delay_alu instid0(VALU_DEP_2) | instskip(NEXT) | instid1(VALU_DEP_2)
	v_sub_nc_u32_e32 v2, v2, v7
	v_lshrrev_b32_e32 v4, s53, v4
	s_delay_alu instid0(VALU_DEP_2) | instskip(SKIP_1) | instid1(VALU_DEP_3)
	v_mul_lo_u32 v7, v2, s56
	v_mul_lo_u32 v9, v2, s57
	v_mul_hi_u32 v6, s55, v4
	s_delay_alu instid0(VALU_DEP_1) | instskip(NEXT) | instid1(VALU_DEP_1)
	v_add_nc_u32_e32 v6, v4, v6
	v_lshrrev_b32_e32 v6, s64, v6
	s_delay_alu instid0(VALU_DEP_1) | instskip(SKIP_1) | instid1(VALU_DEP_2)
	v_mul_hi_u32 v8, s66, v6
	v_mul_lo_u32 v10, v6, s54
	v_add_nc_u32_e32 v2, v6, v8
	v_mul_lo_u32 v8, v4, s51
	s_delay_alu instid0(VALU_DEP_3) | instskip(NEXT) | instid1(VALU_DEP_3)
	v_sub_nc_u32_e32 v4, v4, v10
	v_lshrrev_b32_e32 v2, s67, v2
	s_delay_alu instid0(VALU_DEP_2) | instskip(SKIP_2) | instid1(VALU_DEP_4)
	v_mul_lo_u32 v10, v4, s60
	v_mul_lo_u32 v4, v4, s61
	v_sub_nc_u32_e32 v3, v3, v8
	v_mul_lo_u32 v11, v2, s65
	s_delay_alu instid0(VALU_DEP_2) | instskip(SKIP_1) | instid1(VALU_DEP_3)
	v_mul_lo_u32 v8, v3, s58
	v_mul_lo_u32 v3, v3, s59
	v_sub_nc_u32_e32 v6, v6, v11
	s_delay_alu instid0(VALU_DEP_3) | instskip(NEXT) | instid1(VALU_DEP_2)
	v_add3_u32 v0, v7, v0, v8
	v_mul_lo_u32 v11, v6, s62
	v_mul_lo_u32 v6, v6, s63
	v_add3_u32 v1, v9, v1, v3
	s_delay_alu instid0(VALU_DEP_3) | instskip(NEXT) | instid1(VALU_DEP_2)
	v_add3_u32 v0, v10, v0, v11
	v_add3_u32 v1, v4, v1, v6
	s_cbranch_scc0 .LBB361_800
	s_branch .LBB361_803
.LBB361_801:
	s_mov_b32 s36, -1
                                        ; implicit-def: $vgpr0
                                        ; implicit-def: $vgpr1
	s_branch .LBB361_806
.LBB361_802:
	v_dual_mov_b32 v2, v5 :: v_dual_mov_b32 v1, 0
.LBB361_803:
	s_and_b32 s44, s44, 3
	s_delay_alu instid0(SALU_CYCLE_1)
	s_cmp_eq_u32 s44, 0
	s_cbranch_scc1 .LBB361_806
; %bb.804:
	s_lshl_b32 s2, s35, 3
	s_mul_i32 s20, s35, 12
	s_add_u32 s2, s2, s16
	s_addc_u32 s3, s17, 0
	s_add_u32 s2, s2, 0xc4
	s_addc_u32 s3, s3, 0
	;; [unrolled: 2-line block ×3, first 2 shown]
.LBB361_805:                            ; =>This Inner Loop Header: Depth=1
	s_clause 0x1
	s_load_b64 s[46:47], s[20:21], 0x4
	s_load_b32 s35, s[20:21], 0xc
	s_load_b64 s[48:49], s[2:3], 0x0
	s_add_u32 s20, s20, 12
	s_addc_u32 s21, s21, 0
	s_add_u32 s2, s2, 8
	s_addc_u32 s3, s3, 0
	s_add_i32 s44, s44, -1
	s_delay_alu instid0(SALU_CYCLE_1) | instskip(SKIP_2) | instid1(VALU_DEP_1)
	s_cmp_lg_u32 s44, 0
	s_waitcnt vmcnt(0) lgkmcnt(0)
	v_mul_hi_u32 v3, s47, v2
	v_add_nc_u32_e32 v3, v2, v3
	s_delay_alu instid0(VALU_DEP_1) | instskip(NEXT) | instid1(VALU_DEP_1)
	v_lshrrev_b32_e32 v8, s35, v3
	v_mul_lo_u32 v3, v8, s46
	s_delay_alu instid0(VALU_DEP_1) | instskip(NEXT) | instid1(VALU_DEP_1)
	v_sub_nc_u32_e32 v2, v2, v3
	v_mad_u64_u32 v[3:4], null, v2, s48, v[0:1]
	v_mad_u64_u32 v[6:7], null, v2, s49, v[1:2]
	v_mov_b32_e32 v2, v8
	s_delay_alu instid0(VALU_DEP_2)
	v_dual_mov_b32 v0, v3 :: v_dual_mov_b32 v1, v6
	s_cbranch_scc1 .LBB361_805
.LBB361_806:
	s_and_not1_b32 vcc_lo, exec_lo, s36
	s_cbranch_vccnz .LBB361_809
; %bb.807:
	v_mul_hi_u32 v0, s13, v5
	s_and_not1_b32 vcc_lo, exec_lo, s33
	s_delay_alu instid0(VALU_DEP_1) | instskip(NEXT) | instid1(VALU_DEP_1)
	v_add_nc_u32_e32 v0, v5, v0
	v_lshrrev_b32_e32 v2, s14, v0
	s_delay_alu instid0(VALU_DEP_1) | instskip(NEXT) | instid1(VALU_DEP_1)
	v_mul_lo_u32 v0, v2, s12
	v_sub_nc_u32_e32 v1, v5, v0
	s_delay_alu instid0(VALU_DEP_1)
	v_mul_lo_u32 v0, v1, s8
	v_mul_lo_u32 v1, v1, s9
	s_cbranch_vccnz .LBB361_809
; %bb.808:
	s_waitcnt vmcnt(0)
	v_mul_hi_u32 v3, s18, v2
	s_delay_alu instid0(VALU_DEP_1) | instskip(NEXT) | instid1(VALU_DEP_1)
	v_add_nc_u32_e32 v3, v2, v3
	v_lshrrev_b32_e32 v3, s19, v3
	s_delay_alu instid0(VALU_DEP_1) | instskip(NEXT) | instid1(VALU_DEP_1)
	v_mul_lo_u32 v3, v3, s15
	v_sub_nc_u32_e32 v5, v2, v3
	s_delay_alu instid0(VALU_DEP_1) | instskip(NEXT) | instid1(VALU_DEP_1)
	v_mad_u64_u32 v[2:3], null, v5, s10, v[0:1]
	v_mad_u64_u32 v[3:4], null, v5, s11, v[1:2]
	s_delay_alu instid0(VALU_DEP_1)
	v_dual_mov_b32 v0, v2 :: v_dual_mov_b32 v1, v3
.LBB361_809:
	v_and_b32_e64 v6, 0xff, s31
	s_delay_alu instid0(VALU_DEP_2) | instskip(NEXT) | instid1(VALU_DEP_1)
	v_add_co_u32 v1, s2, s6, v1
	v_add_co_ci_u32_e64 v2, null, s7, 0, s2
	s_delay_alu instid0(VALU_DEP_3)
	v_cmp_gt_i16_e32 vcc_lo, 11, v6
	s_mov_b32 s6, 0
	s_cbranch_vccnz .LBB361_816
; %bb.810:
	v_cmp_lt_i16_e32 vcc_lo, 25, v6
	s_mov_b32 s3, 0
	s_cbranch_vccz .LBB361_817
; %bb.811:
	v_cmp_lt_i16_e32 vcc_lo, 28, v6
	s_cbranch_vccz .LBB361_818
; %bb.812:
	v_cmp_lt_i16_e32 vcc_lo, 43, v6
	;; [unrolled: 3-line block ×3, first 2 shown]
	s_cbranch_vccz .LBB361_822
; %bb.814:
	v_cmp_eq_u16_e32 vcc_lo, 46, v6
	s_mov_b32 s7, 0
	s_cbranch_vccz .LBB361_825
; %bb.815:
	global_load_b32 v3, v[1:2], off
	s_mov_b32 s2, 0
	s_mov_b32 s6, -1
	s_waitcnt vmcnt(0)
	v_lshlrev_b32_e32 v3, 16, v3
	s_delay_alu instid0(VALU_DEP_1)
	v_cvt_i32_f32_e32 v3, v3
	s_branch .LBB361_827
.LBB361_816:
	s_mov_b32 s7, -1
	s_mov_b32 s3, 0
	s_mov_b32 s2, s22
                                        ; implicit-def: $vgpr3
	s_branch .LBB361_886
.LBB361_817:
	s_mov_b32 s7, -1
	s_mov_b32 s2, s22
                                        ; implicit-def: $vgpr3
	s_branch .LBB361_854
.LBB361_818:
	s_mov_b32 s7, -1
	s_mov_b32 s2, s22
                                        ; implicit-def: $vgpr3
	s_branch .LBB361_837
.LBB361_819:
	s_mov_b32 s7, -1
	s_mov_b32 s2, s22
                                        ; implicit-def: $vgpr3
	s_branch .LBB361_832
.LBB361_820:
	s_or_saveexec_b32 s44, s44
                                        ; implicit-def: $sgpr45
	s_delay_alu instid0(SALU_CYCLE_1)
	s_xor_b32 exec_lo, exec_lo, s44
	s_cbranch_execz .LBB361_743
.LBB361_821:
	v_add_f32_e64 v6, 0x46000000, |v4|
	s_and_not1_b32 s23, s23, exec_lo
	s_mov_b32 s45, 0
	s_delay_alu instid0(VALU_DEP_1) | instskip(NEXT) | instid1(VALU_DEP_1)
	v_and_b32_e32 v6, 0xff, v6
	v_cmp_ne_u32_e32 vcc_lo, 0, v6
	s_and_b32 s46, vcc_lo, exec_lo
	s_delay_alu instid0(SALU_CYCLE_1)
	s_or_b32 s23, s23, s46
	s_or_b32 exec_lo, exec_lo, s44
	v_mov_b32_e32 v7, s45
	s_and_saveexec_b32 s44, s23
	s_cbranch_execnz .LBB361_744
	s_branch .LBB361_745
.LBB361_822:
	s_mov_b32 s7, -1
	s_mov_b32 s2, s22
	s_branch .LBB361_826
.LBB361_823:
	s_or_saveexec_b32 s44, s44
                                        ; implicit-def: $sgpr45
	s_delay_alu instid0(SALU_CYCLE_1)
	s_xor_b32 exec_lo, exec_lo, s44
	s_cbranch_execz .LBB361_756
.LBB361_824:
	v_add_f32_e64 v6, 0x42800000, |v4|
	s_and_not1_b32 s23, s23, exec_lo
	s_mov_b32 s45, 0
	s_delay_alu instid0(VALU_DEP_1) | instskip(NEXT) | instid1(VALU_DEP_1)
	v_and_b32_e32 v6, 0xff, v6
	v_cmp_ne_u32_e32 vcc_lo, 0, v6
	s_and_b32 s46, vcc_lo, exec_lo
	s_delay_alu instid0(SALU_CYCLE_1)
	s_or_b32 s23, s23, s46
	s_or_b32 exec_lo, exec_lo, s44
	v_mov_b32_e32 v7, s45
	s_and_saveexec_b32 s44, s23
	s_cbranch_execnz .LBB361_757
	s_branch .LBB361_758
.LBB361_825:
	s_mov_b32 s2, -1
.LBB361_826:
                                        ; implicit-def: $vgpr3
.LBB361_827:
	s_and_b32 vcc_lo, exec_lo, s7
	s_cbranch_vccz .LBB361_831
; %bb.828:
	v_cmp_eq_u16_e32 vcc_lo, 44, v6
	s_cbranch_vccz .LBB361_830
; %bb.829:
	global_load_u8 v3, v[1:2], off
	s_mov_b32 s2, 0
	s_mov_b32 s6, -1
	s_waitcnt vmcnt(0)
	v_lshlrev_b32_e32 v4, 23, v3
	v_cmp_ne_u32_e32 vcc_lo, 0, v3
	s_delay_alu instid0(VALU_DEP_2) | instskip(NEXT) | instid1(VALU_DEP_1)
	v_cvt_i32_f32_e32 v4, v4
	v_cndmask_b32_e32 v3, 0, v4, vcc_lo
	s_branch .LBB361_831
.LBB361_830:
	s_mov_b32 s2, -1
                                        ; implicit-def: $vgpr3
.LBB361_831:
	s_mov_b32 s7, 0
.LBB361_832:
	s_delay_alu instid0(SALU_CYCLE_1)
	s_and_b32 vcc_lo, exec_lo, s7
	s_cbranch_vccz .LBB361_836
; %bb.833:
	v_cmp_eq_u16_e32 vcc_lo, 29, v6
	s_cbranch_vccz .LBB361_835
; %bb.834:
	global_load_b64 v[3:4], v[1:2], off
	s_mov_b32 s2, 0
	s_mov_b32 s6, -1
	s_branch .LBB361_836
.LBB361_835:
	s_mov_b32 s2, -1
                                        ; implicit-def: $vgpr3
.LBB361_836:
	s_mov_b32 s7, 0
.LBB361_837:
	s_delay_alu instid0(SALU_CYCLE_1)
	s_and_b32 vcc_lo, exec_lo, s7
	s_cbranch_vccz .LBB361_853
; %bb.838:
	v_cmp_gt_i16_e32 vcc_lo, 27, v6
	s_cbranch_vccnz .LBB361_841
; %bb.839:
	v_cmp_lt_i16_e32 vcc_lo, 27, v6
	s_cbranch_vccz .LBB361_842
; %bb.840:
	global_load_b32 v3, v[1:2], off
	s_mov_b32 s6, 0
	s_branch .LBB361_843
.LBB361_841:
	s_mov_b32 s6, -1
                                        ; implicit-def: $vgpr3
	s_branch .LBB361_846
.LBB361_842:
	s_mov_b32 s6, -1
                                        ; implicit-def: $vgpr3
.LBB361_843:
	s_delay_alu instid0(SALU_CYCLE_1)
	s_and_not1_b32 vcc_lo, exec_lo, s6
	s_cbranch_vccnz .LBB361_845
; %bb.844:
	global_load_u16 v3, v[1:2], off
.LBB361_845:
	s_mov_b32 s6, 0
.LBB361_846:
	s_delay_alu instid0(SALU_CYCLE_1)
	s_and_not1_b32 vcc_lo, exec_lo, s6
	s_cbranch_vccnz .LBB361_852
; %bb.847:
	global_load_u8 v4, v[1:2], off
	s_mov_b32 s6, 0
	s_mov_b32 s7, exec_lo
                                        ; implicit-def: $sgpr8
	s_waitcnt vmcnt(0)
	v_cmpx_lt_i16_e32 0x7f, v4
	s_xor_b32 s7, exec_lo, s7
	s_cbranch_execz .LBB361_864
; %bb.848:
	v_cmp_ne_u16_e32 vcc_lo, 0x80, v4
	s_mov_b32 s8, 0
	s_and_b32 s6, vcc_lo, exec_lo
	s_or_saveexec_b32 s7, s7
	v_mov_b32_e32 v3, s8
	s_xor_b32 exec_lo, exec_lo, s7
	s_cbranch_execnz .LBB361_865
.LBB361_849:
	s_or_b32 exec_lo, exec_lo, s7
	s_and_saveexec_b32 s7, s6
	s_cbranch_execz .LBB361_851
.LBB361_850:
	v_and_b32_e32 v3, 0xffff, v4
	v_lshlrev_b32_e32 v4, 24, v4
	s_delay_alu instid0(VALU_DEP_2) | instskip(NEXT) | instid1(VALU_DEP_2)
	v_and_b32_e32 v5, 7, v3
	v_and_b32_e32 v4, 0x80000000, v4
	s_delay_alu instid0(VALU_DEP_2) | instskip(NEXT) | instid1(VALU_DEP_1)
	v_clz_i32_u32_e32 v7, v5
	v_min_u32_e32 v7, 32, v7
	s_delay_alu instid0(VALU_DEP_1) | instskip(SKIP_1) | instid1(VALU_DEP_2)
	v_subrev_nc_u32_e32 v8, 28, v7
	v_sub_nc_u32_e32 v7, 29, v7
	v_lshlrev_b32_e32 v8, v8, v3
	v_bfe_u32 v3, v3, 3, 4
	s_delay_alu instid0(VALU_DEP_1) | instskip(NEXT) | instid1(VALU_DEP_3)
	v_cmp_eq_u32_e32 vcc_lo, 0, v3
	v_dual_cndmask_b32 v3, v3, v7 :: v_dual_and_b32 v8, 7, v8
	s_delay_alu instid0(VALU_DEP_1) | instskip(NEXT) | instid1(VALU_DEP_2)
	v_cndmask_b32_e32 v5, v5, v8, vcc_lo
	v_lshl_add_u32 v3, v3, 23, 0x3b800000
	s_delay_alu instid0(VALU_DEP_2) | instskip(NEXT) | instid1(VALU_DEP_1)
	v_lshlrev_b32_e32 v5, 20, v5
	v_or3_b32 v3, v4, v3, v5
	s_delay_alu instid0(VALU_DEP_1)
	v_cvt_i32_f32_e32 v3, v3
.LBB361_851:
	s_or_b32 exec_lo, exec_lo, s7
.LBB361_852:
	s_mov_b32 s6, -1
.LBB361_853:
	s_mov_b32 s7, 0
.LBB361_854:
	s_delay_alu instid0(SALU_CYCLE_1)
	s_and_b32 vcc_lo, exec_lo, s7
	s_cbranch_vccz .LBB361_885
; %bb.855:
	v_cmp_lt_i16_e32 vcc_lo, 22, v6
	s_cbranch_vccz .LBB361_863
; %bb.856:
	v_cmp_gt_i16_e32 vcc_lo, 24, v6
	s_cbranch_vccnz .LBB361_866
; %bb.857:
	v_cmp_lt_i16_e32 vcc_lo, 24, v6
	s_cbranch_vccz .LBB361_867
; %bb.858:
	global_load_u8 v4, v[1:2], off
	s_mov_b32 s6, exec_lo
                                        ; implicit-def: $sgpr7
	s_waitcnt vmcnt(0)
	v_cmpx_lt_i16_e32 0x7f, v4
	s_xor_b32 s6, exec_lo, s6
	s_cbranch_execz .LBB361_879
; %bb.859:
	v_cmp_ne_u16_e32 vcc_lo, 0x80, v4
	s_mov_b32 s7, 0
	s_and_b32 s3, vcc_lo, exec_lo
	s_or_saveexec_b32 s6, s6
	v_mov_b32_e32 v3, s7
	s_xor_b32 exec_lo, exec_lo, s6
	s_cbranch_execnz .LBB361_880
.LBB361_860:
	s_or_b32 exec_lo, exec_lo, s6
	s_and_saveexec_b32 s6, s3
	s_cbranch_execz .LBB361_862
.LBB361_861:
	v_and_b32_e32 v3, 0xffff, v4
	v_lshlrev_b32_e32 v4, 24, v4
	s_delay_alu instid0(VALU_DEP_2) | instskip(NEXT) | instid1(VALU_DEP_2)
	v_and_b32_e32 v5, 3, v3
	v_and_b32_e32 v4, 0x80000000, v4
	s_delay_alu instid0(VALU_DEP_2) | instskip(NEXT) | instid1(VALU_DEP_1)
	v_clz_i32_u32_e32 v7, v5
	v_min_u32_e32 v7, 32, v7
	s_delay_alu instid0(VALU_DEP_1) | instskip(SKIP_1) | instid1(VALU_DEP_2)
	v_subrev_nc_u32_e32 v8, 29, v7
	v_sub_nc_u32_e32 v7, 30, v7
	v_lshlrev_b32_e32 v8, v8, v3
	v_bfe_u32 v3, v3, 2, 5
	s_delay_alu instid0(VALU_DEP_1) | instskip(NEXT) | instid1(VALU_DEP_3)
	v_cmp_eq_u32_e32 vcc_lo, 0, v3
	v_dual_cndmask_b32 v3, v3, v7 :: v_dual_and_b32 v8, 3, v8
	s_delay_alu instid0(VALU_DEP_1) | instskip(NEXT) | instid1(VALU_DEP_2)
	v_cndmask_b32_e32 v5, v5, v8, vcc_lo
	v_lshl_add_u32 v3, v3, 23, 0x37800000
	s_delay_alu instid0(VALU_DEP_2) | instskip(NEXT) | instid1(VALU_DEP_1)
	v_lshlrev_b32_e32 v5, 21, v5
	v_or3_b32 v3, v4, v3, v5
	s_delay_alu instid0(VALU_DEP_1)
	v_cvt_i32_f32_e32 v3, v3
.LBB361_862:
	s_or_b32 exec_lo, exec_lo, s6
	s_mov_b32 s3, 0
	s_branch .LBB361_868
.LBB361_863:
	s_mov_b32 s3, -1
                                        ; implicit-def: $vgpr3
	s_branch .LBB361_874
.LBB361_864:
	s_or_saveexec_b32 s7, s7
	v_mov_b32_e32 v3, s8
	s_xor_b32 exec_lo, exec_lo, s7
	s_cbranch_execz .LBB361_849
.LBB361_865:
	v_cmp_ne_u16_e32 vcc_lo, 0, v4
	v_mov_b32_e32 v3, 0
	s_and_not1_b32 s6, s6, exec_lo
	s_and_b32 s8, vcc_lo, exec_lo
	s_delay_alu instid0(SALU_CYCLE_1)
	s_or_b32 s6, s6, s8
	s_or_b32 exec_lo, exec_lo, s7
	s_and_saveexec_b32 s7, s6
	s_cbranch_execnz .LBB361_850
	s_branch .LBB361_851
.LBB361_866:
	s_mov_b32 s3, -1
                                        ; implicit-def: $vgpr3
	s_branch .LBB361_871
.LBB361_867:
	s_mov_b32 s3, -1
                                        ; implicit-def: $vgpr3
.LBB361_868:
	s_delay_alu instid0(SALU_CYCLE_1)
	s_and_b32 vcc_lo, exec_lo, s3
	s_cbranch_vccz .LBB361_870
; %bb.869:
	global_load_u8 v3, v[1:2], off
	s_waitcnt vmcnt(0)
	v_lshlrev_b32_e32 v3, 24, v3
	s_delay_alu instid0(VALU_DEP_1) | instskip(NEXT) | instid1(VALU_DEP_1)
	v_and_b32_e32 v4, 0x7f000000, v3
	v_clz_i32_u32_e32 v5, v4
	v_add_nc_u32_e32 v8, 0x1000000, v4
	v_cmp_ne_u32_e32 vcc_lo, 0, v4
	s_delay_alu instid0(VALU_DEP_3) | instskip(NEXT) | instid1(VALU_DEP_1)
	v_min_u32_e32 v5, 32, v5
	v_sub_nc_u32_e64 v5, v5, 4 clamp
	s_delay_alu instid0(VALU_DEP_1) | instskip(SKIP_1) | instid1(VALU_DEP_2)
	v_lshlrev_b32_e32 v7, v5, v4
	v_lshlrev_b32_e32 v5, 23, v5
	v_lshrrev_b32_e32 v7, 4, v7
	s_delay_alu instid0(VALU_DEP_1) | instskip(SKIP_1) | instid1(VALU_DEP_2)
	v_sub_nc_u32_e32 v5, v7, v5
	v_ashrrev_i32_e32 v7, 8, v8
	v_add_nc_u32_e32 v5, 0x3c000000, v5
	s_delay_alu instid0(VALU_DEP_1) | instskip(NEXT) | instid1(VALU_DEP_1)
	v_and_or_b32 v5, 0x7f800000, v7, v5
	v_cndmask_b32_e32 v4, 0, v5, vcc_lo
	s_delay_alu instid0(VALU_DEP_1) | instskip(NEXT) | instid1(VALU_DEP_1)
	v_and_or_b32 v3, 0x80000000, v3, v4
	v_cvt_i32_f32_e32 v3, v3
.LBB361_870:
	s_mov_b32 s3, 0
.LBB361_871:
	s_delay_alu instid0(SALU_CYCLE_1)
	s_and_not1_b32 vcc_lo, exec_lo, s3
	s_cbranch_vccnz .LBB361_873
; %bb.872:
	global_load_u8 v3, v[1:2], off
	s_waitcnt vmcnt(0)
	v_lshlrev_b32_e32 v4, 25, v3
	v_lshlrev_b16 v3, 8, v3
	s_delay_alu instid0(VALU_DEP_2) | instskip(NEXT) | instid1(VALU_DEP_2)
	v_lshrrev_b32_e32 v5, 4, v4
	v_and_or_b32 v7, 0x7f00, v3, 0.5
	v_bfe_i32 v3, v3, 0, 16
	s_delay_alu instid0(VALU_DEP_3) | instskip(NEXT) | instid1(VALU_DEP_3)
	v_or_b32_e32 v5, 0x70000000, v5
	v_add_f32_e32 v7, -0.5, v7
	s_delay_alu instid0(VALU_DEP_2) | instskip(SKIP_1) | instid1(VALU_DEP_2)
	v_mul_f32_e32 v5, 0x7800000, v5
	v_cmp_gt_u32_e32 vcc_lo, 0x8000000, v4
	v_cndmask_b32_e32 v4, v5, v7, vcc_lo
	s_delay_alu instid0(VALU_DEP_1) | instskip(NEXT) | instid1(VALU_DEP_1)
	v_and_or_b32 v3, 0x80000000, v3, v4
	v_cvt_i32_f32_e32 v3, v3
.LBB361_873:
	s_mov_b32 s3, 0
	s_mov_b32 s6, -1
.LBB361_874:
	s_and_not1_b32 vcc_lo, exec_lo, s3
	s_mov_b32 s3, 0
	s_cbranch_vccnz .LBB361_885
; %bb.875:
	v_cmp_lt_i16_e32 vcc_lo, 14, v6
	s_cbranch_vccz .LBB361_878
; %bb.876:
	v_cmp_eq_u16_e32 vcc_lo, 15, v6
	s_cbranch_vccz .LBB361_881
; %bb.877:
	global_load_u16 v3, v[1:2], off
	s_mov_b32 s2, 0
	s_mov_b32 s6, -1
	s_waitcnt vmcnt(0)
	v_lshlrev_b32_e32 v3, 16, v3
	s_delay_alu instid0(VALU_DEP_1)
	v_cvt_i32_f32_e32 v3, v3
	s_branch .LBB361_883
.LBB361_878:
	s_mov_b32 s3, -1
	s_branch .LBB361_882
.LBB361_879:
	s_or_saveexec_b32 s6, s6
	v_mov_b32_e32 v3, s7
	s_xor_b32 exec_lo, exec_lo, s6
	s_cbranch_execz .LBB361_860
.LBB361_880:
	v_cmp_ne_u16_e32 vcc_lo, 0, v4
	v_mov_b32_e32 v3, 0
	s_and_not1_b32 s3, s3, exec_lo
	s_and_b32 s7, vcc_lo, exec_lo
	s_delay_alu instid0(SALU_CYCLE_1)
	s_or_b32 s3, s3, s7
	s_or_b32 exec_lo, exec_lo, s6
	s_and_saveexec_b32 s6, s3
	s_cbranch_execnz .LBB361_861
	s_branch .LBB361_862
.LBB361_881:
	s_mov_b32 s2, -1
.LBB361_882:
                                        ; implicit-def: $vgpr3
.LBB361_883:
	s_and_b32 vcc_lo, exec_lo, s3
	s_mov_b32 s3, 0
	s_cbranch_vccz .LBB361_885
; %bb.884:
	v_cmp_ne_u16_e32 vcc_lo, 11, v6
	s_and_not1_b32 s2, s2, exec_lo
	s_mov_b32 s3, -1
                                        ; implicit-def: $vgpr3
	s_and_b32 s7, vcc_lo, exec_lo
	s_delay_alu instid0(SALU_CYCLE_1)
	s_or_b32 s2, s2, s7
.LBB361_885:
	s_mov_b32 s7, 0
.LBB361_886:
	s_and_b32 s44, s6, exec_lo
	s_and_b32 s45, s7, exec_lo
	s_and_not1_b32 s6, s22, exec_lo
	s_and_b32 s7, s2, exec_lo
	s_and_b32 s2, s3, exec_lo
	s_or_b32 s46, s6, s7
.LBB361_887:
	s_or_b32 exec_lo, exec_lo, s34
	s_delay_alu instid0(SALU_CYCLE_1)
	s_and_not1_b32 s6, s22, exec_lo
	s_and_b32 s7, s46, exec_lo
	s_and_b32 s44, s44, exec_lo
	;; [unrolled: 1-line block ×4, first 2 shown]
	s_or_b32 s22, s6, s7
.LBB361_888:
	s_or_b32 exec_lo, exec_lo, s43
	s_delay_alu instid0(SALU_CYCLE_1)
	s_and_not1_b32 s6, s41, exec_lo
	s_and_b32 s7, s23, exec_lo
	s_and_b32 s43, s44, exec_lo
	s_or_b32 s41, s6, s7
	s_and_not1_b32 s6, s40, exec_lo
	s_and_b32 s7, s22, exec_lo
	s_and_b32 s23, s3, exec_lo
	;; [unrolled: 1-line block ×3, first 2 shown]
	s_or_b32 s40, s6, s7
.LBB361_889:
	s_or_b32 exec_lo, exec_lo, s42
	s_delay_alu instid0(SALU_CYCLE_1)
	s_and_not1_b32 s2, s37, exec_lo
	s_and_b32 s6, s41, exec_lo
	s_and_b32 s7, s40, exec_lo
	s_or_b32 s37, s2, s6
	s_and_not1_b32 s6, s38, exec_lo
	s_and_b32 s2, s43, exec_lo
	s_and_b32 s22, s23, exec_lo
	s_and_b32 s40, s3, exec_lo
	s_or_b32 s38, s6, s7
.LBB361_890:
	s_or_b32 exec_lo, exec_lo, s39
	s_mov_b32 s3, 0
	s_and_saveexec_b32 s6, s38
	s_cbranch_execnz .LBB361_902
; %bb.891:
	s_or_b32 exec_lo, exec_lo, s6
	s_and_saveexec_b32 s6, s40
	s_delay_alu instid0(SALU_CYCLE_1)
	s_xor_b32 s6, exec_lo, s6
	s_cbranch_execz .LBB361_893
.LBB361_892:
	global_load_u8 v3, v[1:2], off
	s_or_b32 s2, s2, exec_lo
	s_waitcnt vmcnt(0)
	v_cmp_ne_u16_e32 vcc_lo, 0, v3
	v_cndmask_b32_e64 v3, 0, 1, vcc_lo
.LBB361_893:
	s_or_b32 exec_lo, exec_lo, s6
	s_and_saveexec_b32 s6, s22
	s_cbranch_execz .LBB361_941
; %bb.894:
	v_cmp_gt_i16_e32 vcc_lo, 5, v6
	s_cbranch_vccnz .LBB361_899
; %bb.895:
	v_cmp_gt_i16_e32 vcc_lo, 8, v6
	s_cbranch_vccnz .LBB361_900
	;; [unrolled: 3-line block ×3, first 2 shown]
; %bb.897:
	v_cmp_lt_i16_e32 vcc_lo, 9, v6
	s_cbranch_vccz .LBB361_904
; %bb.898:
	global_load_b64 v[3:4], v[1:2], off
	s_mov_b32 s7, 0
	s_waitcnt vmcnt(0)
	v_cvt_i32_f64_e32 v3, v[3:4]
	s_branch .LBB361_905
.LBB361_899:
                                        ; implicit-def: $vgpr3
	s_branch .LBB361_922
.LBB361_900:
                                        ; implicit-def: $vgpr3
	s_branch .LBB361_911
.LBB361_901:
	s_mov_b32 s7, -1
                                        ; implicit-def: $vgpr3
	s_branch .LBB361_908
.LBB361_902:
	s_cbranch_execnz .LBB361_1172
; %bb.903:
	s_mov_b32 s3, exec_lo
	s_and_not1_b32 s40, s40, exec_lo
                                        ; implicit-def: $vgpr3
	s_or_b32 exec_lo, exec_lo, s6
	s_and_saveexec_b32 s6, s40
	s_delay_alu instid0(SALU_CYCLE_1)
	s_xor_b32 s6, exec_lo, s6
	s_cbranch_execnz .LBB361_892
	s_branch .LBB361_893
.LBB361_904:
	s_mov_b32 s7, -1
                                        ; implicit-def: $vgpr3
.LBB361_905:
	s_delay_alu instid0(SALU_CYCLE_1)
	s_and_not1_b32 vcc_lo, exec_lo, s7
	s_cbranch_vccnz .LBB361_907
; %bb.906:
	global_load_b32 v3, v[1:2], off
	s_waitcnt vmcnt(0)
	v_cvt_i32_f32_e32 v3, v3
.LBB361_907:
	s_mov_b32 s7, 0
.LBB361_908:
	s_delay_alu instid0(SALU_CYCLE_1)
	s_and_not1_b32 vcc_lo, exec_lo, s7
	s_cbranch_vccnz .LBB361_910
; %bb.909:
	global_load_b32 v3, v[1:2], off
	s_waitcnt vmcnt(0)
	v_cvt_i16_f16_e32 v3, v3
.LBB361_910:
	s_cbranch_execnz .LBB361_921
.LBB361_911:
	v_cmp_gt_i16_e32 vcc_lo, 6, v6
	s_cbranch_vccnz .LBB361_914
; %bb.912:
	v_cmp_lt_i16_e32 vcc_lo, 6, v6
	s_cbranch_vccz .LBB361_915
; %bb.913:
	global_load_b64 v[3:4], v[1:2], off
	s_mov_b32 s7, 0
	s_waitcnt vmcnt(0)
	v_cvt_i32_f64_e32 v3, v[3:4]
	s_branch .LBB361_916
.LBB361_914:
	s_mov_b32 s7, -1
                                        ; implicit-def: $vgpr3
	s_branch .LBB361_919
.LBB361_915:
	s_mov_b32 s7, -1
                                        ; implicit-def: $vgpr3
.LBB361_916:
	s_delay_alu instid0(SALU_CYCLE_1)
	s_and_not1_b32 vcc_lo, exec_lo, s7
	s_cbranch_vccnz .LBB361_918
; %bb.917:
	global_load_b32 v3, v[1:2], off
	s_waitcnt vmcnt(0)
	v_cvt_i32_f32_e32 v3, v3
.LBB361_918:
	s_mov_b32 s7, 0
.LBB361_919:
	s_delay_alu instid0(SALU_CYCLE_1)
	s_and_not1_b32 vcc_lo, exec_lo, s7
	s_cbranch_vccnz .LBB361_921
; %bb.920:
	global_load_u16 v3, v[1:2], off
	s_waitcnt vmcnt(0)
	v_cvt_i16_f16_e32 v3, v3
.LBB361_921:
	s_cbranch_execnz .LBB361_940
.LBB361_922:
	v_cmp_gt_i16_e32 vcc_lo, 2, v6
	s_cbranch_vccnz .LBB361_926
; %bb.923:
	v_cmp_gt_i16_e32 vcc_lo, 3, v6
	s_cbranch_vccnz .LBB361_927
; %bb.924:
	v_cmp_lt_i16_e32 vcc_lo, 3, v6
	s_cbranch_vccz .LBB361_928
; %bb.925:
	global_load_b64 v[3:4], v[1:2], off
	s_mov_b32 s7, 0
	s_branch .LBB361_929
.LBB361_926:
                                        ; implicit-def: $vgpr3
	s_branch .LBB361_935
.LBB361_927:
	s_mov_b32 s7, -1
                                        ; implicit-def: $vgpr3
	s_branch .LBB361_932
.LBB361_928:
	s_mov_b32 s7, -1
                                        ; implicit-def: $vgpr3
.LBB361_929:
	s_delay_alu instid0(SALU_CYCLE_1)
	s_and_not1_b32 vcc_lo, exec_lo, s7
	s_cbranch_vccnz .LBB361_931
; %bb.930:
	global_load_b32 v3, v[1:2], off
.LBB361_931:
	s_mov_b32 s7, 0
.LBB361_932:
	s_delay_alu instid0(SALU_CYCLE_1)
	s_and_not1_b32 vcc_lo, exec_lo, s7
	s_cbranch_vccnz .LBB361_934
; %bb.933:
	global_load_u16 v3, v[1:2], off
.LBB361_934:
	s_cbranch_execnz .LBB361_940
.LBB361_935:
	v_cmp_lt_i16_e32 vcc_lo, 0, v6
	s_mov_b32 s7, 0
	s_cbranch_vccz .LBB361_937
; %bb.936:
	global_load_u8 v3, v[1:2], off
	s_branch .LBB361_938
.LBB361_937:
	s_mov_b32 s7, -1
                                        ; implicit-def: $vgpr3
.LBB361_938:
	s_delay_alu instid0(SALU_CYCLE_1)
	s_and_not1_b32 vcc_lo, exec_lo, s7
	s_cbranch_vccnz .LBB361_940
; %bb.939:
	global_load_u8 v3, v[1:2], off
.LBB361_940:
	s_or_b32 s2, s2, exec_lo
.LBB361_941:
	s_or_b32 exec_lo, exec_lo, s6
	s_mov_b32 s8, 0
	s_mov_b32 s7, 0
                                        ; implicit-def: $vgpr5
                                        ; implicit-def: $vgpr1_vgpr2
                                        ; implicit-def: $vgpr4
	s_and_saveexec_b32 s6, s2
	s_cbranch_execz .LBB361_1018
; %bb.942:
	s_waitcnt vmcnt(0)
	s_delay_alu instid0(VALU_DEP_1)
	v_bfe_i32 v1, v3, 0, 8
	v_and_b32_e64 v5, 0xff, s30
	s_bfe_i32 s2, s29, 0x80000
	s_delay_alu instid0(VALU_DEP_2) | instid1(SALU_CYCLE_1)
	v_max_i16 v4, v1, s2
	s_delay_alu instid0(VALU_DEP_2) | instskip(SKIP_1) | instid1(VALU_DEP_1)
	v_cmp_gt_i16_e32 vcc_lo, 11, v5
	v_add_co_u32 v1, s2, s4, v0
	v_add_co_ci_u32_e64 v2, null, s5, 0, s2
	s_mov_b32 s4, -1
	s_mov_b32 s2, s37
	s_cbranch_vccnz .LBB361_1017
; %bb.943:
	v_cmp_lt_i16_e32 vcc_lo, 25, v5
	s_mov_b32 s2, s37
	s_cbranch_vccz .LBB361_976
; %bb.944:
	v_cmp_lt_i16_e32 vcc_lo, 28, v5
	s_mov_b32 s2, s37
	s_cbranch_vccz .LBB361_960
	;; [unrolled: 4-line block ×4, first 2 shown]
; %bb.947:
	v_cmp_eq_u16_e32 vcc_lo, 46, v5
	s_mov_b32 s2, -1
	s_cbranch_vccz .LBB361_949
; %bb.948:
	v_bfe_i32 v0, v4, 0, 16
	s_mov_b32 s2, 0
	s_delay_alu instid0(VALU_DEP_1) | instskip(NEXT) | instid1(VALU_DEP_1)
	v_cvt_f32_i32_e32 v0, v0
	v_bfe_u32 v3, v0, 16, 1
	s_delay_alu instid0(VALU_DEP_1) | instskip(NEXT) | instid1(VALU_DEP_1)
	v_add3_u32 v0, v0, v3, 0x7fff
	v_lshrrev_b32_e32 v0, 16, v0
	global_store_b32 v[1:2], v0, off
.LBB361_949:
	s_mov_b32 s4, 0
.LBB361_950:
	s_delay_alu instid0(SALU_CYCLE_1)
	s_and_b32 vcc_lo, exec_lo, s4
	s_cbranch_vccz .LBB361_955
; %bb.951:
	v_cmp_eq_u16_e32 vcc_lo, 44, v5
	s_mov_b32 s2, -1
	s_cbranch_vccz .LBB361_955
; %bb.952:
	v_bfe_i32 v0, v4, 0, 16
	v_mov_b32_e32 v3, 0xff
	s_mov_b32 s4, exec_lo
	s_delay_alu instid0(VALU_DEP_2) | instskip(NEXT) | instid1(VALU_DEP_1)
	v_cvt_f32_i32_e32 v0, v0
	v_bfe_u32 v6, v0, 23, 8
	s_delay_alu instid0(VALU_DEP_1)
	v_cmpx_ne_u32_e32 0xff, v6
; %bb.953:
	v_and_b32_e32 v3, 0x400000, v0
	v_and_or_b32 v6, 0x3fffff, v0, v6
	v_lshrrev_b32_e32 v0, 23, v0
	s_delay_alu instid0(VALU_DEP_3) | instskip(NEXT) | instid1(VALU_DEP_3)
	v_cmp_ne_u32_e32 vcc_lo, 0, v3
	v_cmp_ne_u32_e64 s2, 0, v6
	s_delay_alu instid0(VALU_DEP_1) | instskip(NEXT) | instid1(SALU_CYCLE_1)
	s_and_b32 s2, vcc_lo, s2
	v_cndmask_b32_e64 v3, 0, 1, s2
	s_delay_alu instid0(VALU_DEP_1)
	v_add_nc_u32_e32 v3, v0, v3
; %bb.954:
	s_or_b32 exec_lo, exec_lo, s4
	s_mov_b32 s2, 0
	global_store_b8 v[1:2], v3, off
.LBB361_955:
	s_mov_b32 s4, 0
.LBB361_956:
	s_delay_alu instid0(SALU_CYCLE_1)
	s_and_b32 vcc_lo, exec_lo, s4
	s_cbranch_vccz .LBB361_959
; %bb.957:
	v_cmp_eq_u16_e32 vcc_lo, 29, v5
	s_mov_b32 s2, -1
	s_cbranch_vccz .LBB361_959
; %bb.958:
	v_bfe_i32 v6, v4, 0, 16
	s_mov_b32 s2, 0
	s_delay_alu instid0(VALU_DEP_1)
	v_ashrrev_i32_e32 v7, 31, v6
	global_store_b64 v[1:2], v[6:7], off
.LBB361_959:
	s_mov_b32 s4, 0
.LBB361_960:
	s_delay_alu instid0(SALU_CYCLE_1)
	s_and_b32 vcc_lo, exec_lo, s4
	s_cbranch_vccz .LBB361_975
; %bb.961:
	v_cmp_gt_i16_e32 vcc_lo, 27, v5
	s_mov_b32 s4, -1
	s_cbranch_vccnz .LBB361_967
; %bb.962:
	v_cmp_lt_i16_e32 vcc_lo, 27, v5
	s_cbranch_vccz .LBB361_964
; %bb.963:
	v_bfe_i32 v0, v4, 0, 16
	s_mov_b32 s4, 0
	global_store_b32 v[1:2], v0, off
.LBB361_964:
	s_and_not1_b32 vcc_lo, exec_lo, s4
	s_cbranch_vccnz .LBB361_966
; %bb.965:
	global_store_b16 v[1:2], v4, off
.LBB361_966:
	s_mov_b32 s4, 0
.LBB361_967:
	s_delay_alu instid0(SALU_CYCLE_1)
	s_and_not1_b32 vcc_lo, exec_lo, s4
	s_cbranch_vccnz .LBB361_975
; %bb.968:
	v_bfe_i32 v0, v4, 0, 16
	v_mov_b32_e32 v6, 0x80
	s_mov_b32 s4, exec_lo
	s_delay_alu instid0(VALU_DEP_2) | instskip(NEXT) | instid1(VALU_DEP_1)
	v_cvt_f32_i32_e32 v0, v0
	v_and_b32_e32 v3, 0x7fffffff, v0
	s_delay_alu instid0(VALU_DEP_1)
	v_cmpx_gt_u32_e32 0x43800000, v3
	s_cbranch_execz .LBB361_974
; %bb.969:
	v_cmp_lt_u32_e32 vcc_lo, 0x3bffffff, v3
	s_mov_b32 s5, 0
                                        ; implicit-def: $vgpr3
	s_and_saveexec_b32 s7, vcc_lo
	s_delay_alu instid0(SALU_CYCLE_1)
	s_xor_b32 s7, exec_lo, s7
	s_cbranch_execz .LBB361_1258
; %bb.970:
	v_bfe_u32 v3, v0, 20, 1
	s_mov_b32 s5, exec_lo
	s_delay_alu instid0(VALU_DEP_1) | instskip(NEXT) | instid1(VALU_DEP_1)
	v_add3_u32 v3, v0, v3, 0x487ffff
	v_lshrrev_b32_e32 v3, 20, v3
	s_or_saveexec_b32 s7, s7
                                        ; implicit-def: $sgpr8
	s_delay_alu instid0(SALU_CYCLE_1)
	s_xor_b32 exec_lo, exec_lo, s7
	s_cbranch_execnz .LBB361_1259
.LBB361_971:
	s_or_b32 exec_lo, exec_lo, s7
	v_mov_b32_e32 v6, s8
	s_and_saveexec_b32 s7, s5
.LBB361_972:
	v_lshrrev_b32_e32 v0, 24, v0
	s_delay_alu instid0(VALU_DEP_1)
	v_and_or_b32 v6, 0x80, v0, v3
.LBB361_973:
	s_or_b32 exec_lo, exec_lo, s7
.LBB361_974:
	s_delay_alu instid0(SALU_CYCLE_1)
	s_or_b32 exec_lo, exec_lo, s4
	global_store_b8 v[1:2], v6, off
.LBB361_975:
	s_mov_b32 s4, 0
.LBB361_976:
	s_delay_alu instid0(SALU_CYCLE_1)
	s_and_b32 vcc_lo, exec_lo, s4
	s_mov_b32 s4, 0
	s_cbranch_vccz .LBB361_1016
; %bb.977:
	v_cmp_lt_i16_e32 vcc_lo, 22, v5
	s_mov_b32 s5, -1
	s_cbranch_vccz .LBB361_1009
; %bb.978:
	v_cmp_gt_i16_e32 vcc_lo, 24, v5
	s_cbranch_vccnz .LBB361_998
; %bb.979:
	v_cmp_lt_i16_e32 vcc_lo, 24, v5
	s_cbranch_vccz .LBB361_987
; %bb.980:
	v_bfe_i32 v0, v4, 0, 16
	v_mov_b32_e32 v6, 0x80
	s_mov_b32 s5, exec_lo
	s_delay_alu instid0(VALU_DEP_2) | instskip(NEXT) | instid1(VALU_DEP_1)
	v_cvt_f32_i32_e32 v0, v0
	v_and_b32_e32 v3, 0x7fffffff, v0
	s_delay_alu instid0(VALU_DEP_1)
	v_cmpx_gt_u32_e32 0x47800000, v3
	s_cbranch_execz .LBB361_986
; %bb.981:
	v_cmp_lt_u32_e32 vcc_lo, 0x37ffffff, v3
	s_mov_b32 s7, 0
                                        ; implicit-def: $vgpr3
	s_and_saveexec_b32 s8, vcc_lo
	s_delay_alu instid0(SALU_CYCLE_1)
	s_xor_b32 s8, exec_lo, s8
	s_cbranch_execz .LBB361_1302
; %bb.982:
	v_bfe_u32 v3, v0, 21, 1
	s_mov_b32 s7, exec_lo
	s_delay_alu instid0(VALU_DEP_1) | instskip(NEXT) | instid1(VALU_DEP_1)
	v_add3_u32 v3, v0, v3, 0x88fffff
	v_lshrrev_b32_e32 v3, 21, v3
	s_or_saveexec_b32 s8, s8
                                        ; implicit-def: $sgpr9
	s_delay_alu instid0(SALU_CYCLE_1)
	s_xor_b32 exec_lo, exec_lo, s8
	s_cbranch_execnz .LBB361_1303
.LBB361_983:
	s_or_b32 exec_lo, exec_lo, s8
	v_mov_b32_e32 v6, s9
	s_and_saveexec_b32 s8, s7
.LBB361_984:
	v_lshrrev_b32_e32 v0, 24, v0
	s_delay_alu instid0(VALU_DEP_1)
	v_and_or_b32 v6, 0x80, v0, v3
.LBB361_985:
	s_or_b32 exec_lo, exec_lo, s8
.LBB361_986:
	s_delay_alu instid0(SALU_CYCLE_1)
	s_or_b32 exec_lo, exec_lo, s5
	s_mov_b32 s5, 0
	global_store_b8 v[1:2], v6, off
.LBB361_987:
	s_and_b32 vcc_lo, exec_lo, s5
	s_cbranch_vccz .LBB361_997
; %bb.988:
	v_bfe_i32 v0, v4, 0, 16
	s_mov_b32 s5, exec_lo
                                        ; implicit-def: $vgpr3
	s_delay_alu instid0(VALU_DEP_1) | instskip(NEXT) | instid1(VALU_DEP_1)
	v_cvt_f32_i32_e32 v0, v0
	v_and_b32_e32 v6, 0x7fffffff, v0
	s_delay_alu instid0(VALU_DEP_1)
	v_cmpx_gt_u32_e32 0x43f00000, v6
	s_xor_b32 s5, exec_lo, s5
	s_cbranch_execz .LBB361_994
; %bb.989:
	s_mov_b32 s7, exec_lo
                                        ; implicit-def: $vgpr3
	v_cmpx_lt_u32_e32 0x3c7fffff, v6
	s_xor_b32 s7, exec_lo, s7
; %bb.990:
	v_bfe_u32 v3, v0, 20, 1
	s_delay_alu instid0(VALU_DEP_1) | instskip(NEXT) | instid1(VALU_DEP_1)
	v_add3_u32 v3, v0, v3, 0x407ffff
	v_and_b32_e32 v6, 0xff00000, v3
	v_lshrrev_b32_e32 v3, 20, v3
	s_delay_alu instid0(VALU_DEP_2) | instskip(NEXT) | instid1(VALU_DEP_2)
	v_cmp_ne_u32_e32 vcc_lo, 0x7f00000, v6
	v_cndmask_b32_e32 v3, 0x7e, v3, vcc_lo
; %bb.991:
	s_and_not1_saveexec_b32 s7, s7
; %bb.992:
	v_add_f32_e64 v3, 0x46800000, |v0|
; %bb.993:
	s_or_b32 exec_lo, exec_lo, s7
                                        ; implicit-def: $vgpr6
.LBB361_994:
	s_and_not1_saveexec_b32 s5, s5
; %bb.995:
	v_mov_b32_e32 v3, 0x7f
	v_cmp_lt_u32_e32 vcc_lo, 0x7f800000, v6
	s_delay_alu instid0(VALU_DEP_2)
	v_cndmask_b32_e32 v3, 0x7e, v3, vcc_lo
; %bb.996:
	s_or_b32 exec_lo, exec_lo, s5
	v_lshrrev_b32_e32 v0, 24, v0
	s_delay_alu instid0(VALU_DEP_1)
	v_and_or_b32 v0, 0x80, v0, v3
	global_store_b8 v[1:2], v0, off
.LBB361_997:
	s_mov_b32 s5, 0
.LBB361_998:
	s_delay_alu instid0(SALU_CYCLE_1)
	s_and_not1_b32 vcc_lo, exec_lo, s5
	s_cbranch_vccnz .LBB361_1008
; %bb.999:
	v_bfe_i32 v0, v4, 0, 16
	s_mov_b32 s5, exec_lo
                                        ; implicit-def: $vgpr3
	s_delay_alu instid0(VALU_DEP_1) | instskip(NEXT) | instid1(VALU_DEP_1)
	v_cvt_f32_i32_e32 v0, v0
	v_and_b32_e32 v6, 0x7fffffff, v0
	s_delay_alu instid0(VALU_DEP_1)
	v_cmpx_gt_u32_e32 0x47800000, v6
	s_xor_b32 s5, exec_lo, s5
	s_cbranch_execz .LBB361_1005
; %bb.1000:
	s_mov_b32 s7, exec_lo
                                        ; implicit-def: $vgpr3
	v_cmpx_lt_u32_e32 0x387fffff, v6
	s_xor_b32 s7, exec_lo, s7
; %bb.1001:
	v_bfe_u32 v3, v0, 21, 1
	s_delay_alu instid0(VALU_DEP_1) | instskip(NEXT) | instid1(VALU_DEP_1)
	v_add3_u32 v3, v0, v3, 0x80fffff
	v_lshrrev_b32_e32 v3, 21, v3
; %bb.1002:
	s_and_not1_saveexec_b32 s7, s7
; %bb.1003:
	v_add_f32_e64 v3, 0x43000000, |v0|
; %bb.1004:
	s_or_b32 exec_lo, exec_lo, s7
                                        ; implicit-def: $vgpr6
.LBB361_1005:
	s_and_not1_saveexec_b32 s5, s5
; %bb.1006:
	v_mov_b32_e32 v3, 0x7f
	v_cmp_lt_u32_e32 vcc_lo, 0x7f800000, v6
	s_delay_alu instid0(VALU_DEP_2)
	v_cndmask_b32_e32 v3, 0x7c, v3, vcc_lo
; %bb.1007:
	s_or_b32 exec_lo, exec_lo, s5
	v_lshrrev_b32_e32 v0, 24, v0
	s_delay_alu instid0(VALU_DEP_1)
	v_and_or_b32 v0, 0x80, v0, v3
	global_store_b8 v[1:2], v0, off
.LBB361_1008:
	s_mov_b32 s5, 0
.LBB361_1009:
	s_delay_alu instid0(SALU_CYCLE_1)
	s_and_not1_b32 vcc_lo, exec_lo, s5
	s_mov_b32 s8, 0
	s_cbranch_vccnz .LBB361_1017
; %bb.1010:
	v_cmp_lt_i16_e32 vcc_lo, 14, v5
	s_mov_b32 s5, -1
	s_cbranch_vccz .LBB361_1014
; %bb.1011:
	v_cmp_eq_u16_e32 vcc_lo, 15, v5
	s_mov_b32 s2, -1
	s_cbranch_vccz .LBB361_1013
; %bb.1012:
	v_bfe_i32 v0, v4, 0, 16
	s_mov_b32 s2, 0
	s_delay_alu instid0(VALU_DEP_1) | instskip(NEXT) | instid1(VALU_DEP_1)
	v_cvt_f32_i32_e32 v0, v0
	v_bfe_u32 v3, v0, 16, 1
	s_delay_alu instid0(VALU_DEP_1)
	v_add3_u32 v0, v0, v3, 0x7fff
	global_store_d16_hi_b16 v[1:2], v0, off
.LBB361_1013:
	s_mov_b32 s5, 0
.LBB361_1014:
	s_delay_alu instid0(SALU_CYCLE_1)
	s_and_b32 vcc_lo, exec_lo, s5
	s_cbranch_vccz .LBB361_1017
; %bb.1015:
	v_cmp_ne_u16_e32 vcc_lo, 11, v5
	s_and_not1_b32 s2, s2, exec_lo
	s_mov_b32 s8, -1
	s_and_b32 s5, vcc_lo, exec_lo
	s_delay_alu instid0(SALU_CYCLE_1)
	s_or_b32 s2, s2, s5
	s_branch .LBB361_1017
.LBB361_1016:
	s_mov_b32 s8, 0
.LBB361_1017:
	s_and_b32 s7, s4, exec_lo
	s_and_not1_b32 s4, s37, exec_lo
	s_and_b32 s2, s2, exec_lo
	s_and_b32 s8, s8, exec_lo
	s_or_b32 s37, s4, s2
.LBB361_1018:
	s_or_b32 exec_lo, exec_lo, s6
	s_and_saveexec_b32 s2, s37
	s_cbranch_execnz .LBB361_1132
; %bb.1019:
	s_or_b32 exec_lo, exec_lo, s2
	s_and_saveexec_b32 s2, s8
	s_delay_alu instid0(SALU_CYCLE_1)
	s_xor_b32 s2, exec_lo, s2
	s_cbranch_execz .LBB361_1021
.LBB361_1020:
	s_waitcnt vmcnt(0)
	v_and_b32_e32 v0, 0xff, v4
	s_delay_alu instid0(VALU_DEP_1)
	v_cmp_ne_u16_e32 vcc_lo, 0, v0
	v_cndmask_b32_e64 v0, 0, 1, vcc_lo
	global_store_b8 v[1:2], v0, off
.LBB361_1021:
	s_or_b32 exec_lo, exec_lo, s2
	s_and_saveexec_b32 s2, s7
	s_delay_alu instid0(SALU_CYCLE_1)
	s_xor_b32 s2, exec_lo, s2
	s_cbranch_execz .LBB361_1059
; %bb.1022:
	v_cmp_gt_i16_e32 vcc_lo, 5, v5
	s_mov_b32 s4, -1
	s_cbranch_vccnz .LBB361_1043
; %bb.1023:
	v_cmp_gt_i16_e32 vcc_lo, 8, v5
	s_cbranch_vccnz .LBB361_1033
; %bb.1024:
	v_cmp_gt_i16_e32 vcc_lo, 9, v5
	s_cbranch_vccnz .LBB361_1030
; %bb.1025:
	v_cmp_lt_i16_e32 vcc_lo, 9, v5
	s_cbranch_vccz .LBB361_1027
; %bb.1026:
	s_waitcnt vmcnt(0)
	v_bfe_i32 v0, v4, 0, 8
	v_mov_b32_e32 v8, 0
	s_mov_b32 s4, 0
	s_delay_alu instid0(VALU_DEP_2) | instskip(NEXT) | instid1(VALU_DEP_2)
	v_bfe_i32 v0, v0, 0, 16
	v_mov_b32_e32 v9, v8
	s_delay_alu instid0(VALU_DEP_2)
	v_cvt_f64_i32_e32 v[6:7], v0
	global_store_b128 v[1:2], v[6:9], off
.LBB361_1027:
	s_and_not1_b32 vcc_lo, exec_lo, s4
	s_cbranch_vccnz .LBB361_1029
; %bb.1028:
	s_waitcnt vmcnt(0)
	v_bfe_i32 v0, v4, 0, 8
	v_mov_b32_e32 v7, 0
	s_delay_alu instid0(VALU_DEP_2) | instskip(NEXT) | instid1(VALU_DEP_1)
	v_bfe_i32 v0, v0, 0, 16
	v_cvt_f32_i32_e32 v6, v0
	global_store_b64 v[1:2], v[6:7], off
.LBB361_1029:
	s_mov_b32 s4, 0
.LBB361_1030:
	s_delay_alu instid0(SALU_CYCLE_1)
	s_and_not1_b32 vcc_lo, exec_lo, s4
	s_cbranch_vccnz .LBB361_1032
; %bb.1031:
	s_waitcnt vmcnt(0)
	v_bfe_i32 v0, v4, 0, 8
	s_delay_alu instid0(VALU_DEP_1) | instskip(NEXT) | instid1(VALU_DEP_1)
	v_cvt_f16_i16_e32 v0, v0
	v_and_b32_e32 v0, 0xffff, v0
	global_store_b32 v[1:2], v0, off
.LBB361_1032:
	s_mov_b32 s4, 0
.LBB361_1033:
	s_delay_alu instid0(SALU_CYCLE_1)
	s_and_not1_b32 vcc_lo, exec_lo, s4
	s_cbranch_vccnz .LBB361_1042
; %bb.1034:
	v_cmp_gt_i16_e32 vcc_lo, 6, v5
	s_mov_b32 s4, -1
	s_cbranch_vccnz .LBB361_1040
; %bb.1035:
	v_cmp_lt_i16_e32 vcc_lo, 6, v5
	s_cbranch_vccz .LBB361_1037
; %bb.1036:
	s_waitcnt vmcnt(0)
	v_bfe_i32 v0, v4, 0, 8
	s_mov_b32 s4, 0
	s_delay_alu instid0(VALU_DEP_1) | instskip(NEXT) | instid1(VALU_DEP_1)
	v_bfe_i32 v0, v0, 0, 16
	v_cvt_f64_i32_e32 v[6:7], v0
	global_store_b64 v[1:2], v[6:7], off
.LBB361_1037:
	s_and_not1_b32 vcc_lo, exec_lo, s4
	s_cbranch_vccnz .LBB361_1039
; %bb.1038:
	s_waitcnt vmcnt(0)
	v_bfe_i32 v0, v4, 0, 8
	s_delay_alu instid0(VALU_DEP_1) | instskip(NEXT) | instid1(VALU_DEP_1)
	v_bfe_i32 v0, v0, 0, 16
	v_cvt_f32_i32_e32 v0, v0
	global_store_b32 v[1:2], v0, off
.LBB361_1039:
	s_mov_b32 s4, 0
.LBB361_1040:
	s_delay_alu instid0(SALU_CYCLE_1)
	s_and_not1_b32 vcc_lo, exec_lo, s4
	s_cbranch_vccnz .LBB361_1042
; %bb.1041:
	s_waitcnt vmcnt(0)
	v_bfe_i32 v0, v4, 0, 8
	s_delay_alu instid0(VALU_DEP_1)
	v_cvt_f16_i16_e32 v0, v0
	global_store_b16 v[1:2], v0, off
.LBB361_1042:
	s_mov_b32 s4, 0
.LBB361_1043:
	s_delay_alu instid0(SALU_CYCLE_1)
	s_and_not1_b32 vcc_lo, exec_lo, s4
	s_cbranch_vccnz .LBB361_1059
; %bb.1044:
	v_cmp_gt_i16_e32 vcc_lo, 2, v5
	s_mov_b32 s4, -1
	s_cbranch_vccnz .LBB361_1054
; %bb.1045:
	v_cmp_gt_i16_e32 vcc_lo, 3, v5
	s_cbranch_vccnz .LBB361_1051
; %bb.1046:
	v_cmp_lt_i16_e32 vcc_lo, 3, v5
	s_cbranch_vccz .LBB361_1048
; %bb.1047:
	s_waitcnt vmcnt(0)
	v_bfe_i32 v6, v4, 0, 8
	s_mov_b32 s4, 0
	s_delay_alu instid0(VALU_DEP_1)
	v_ashrrev_i32_e32 v7, 31, v6
	global_store_b64 v[1:2], v[6:7], off
.LBB361_1048:
	s_and_not1_b32 vcc_lo, exec_lo, s4
	s_cbranch_vccnz .LBB361_1050
; %bb.1049:
	s_waitcnt vmcnt(0)
	v_bfe_i32 v0, v4, 0, 8
	global_store_b32 v[1:2], v0, off
.LBB361_1050:
	s_mov_b32 s4, 0
.LBB361_1051:
	s_delay_alu instid0(SALU_CYCLE_1)
	s_and_not1_b32 vcc_lo, exec_lo, s4
	s_cbranch_vccnz .LBB361_1053
; %bb.1052:
	s_waitcnt vmcnt(0)
	v_bfe_i32 v0, v4, 0, 8
	global_store_b16 v[1:2], v0, off
.LBB361_1053:
	s_mov_b32 s4, 0
.LBB361_1054:
	s_delay_alu instid0(SALU_CYCLE_1)
	s_and_not1_b32 vcc_lo, exec_lo, s4
	s_cbranch_vccnz .LBB361_1059
; %bb.1055:
	v_cmp_lt_i16_e32 vcc_lo, 0, v5
	s_mov_b32 s4, -1
	s_cbranch_vccz .LBB361_1057
; %bb.1056:
	s_mov_b32 s4, 0
	s_waitcnt vmcnt(0)
	global_store_b8 v[1:2], v4, off
.LBB361_1057:
	s_and_not1_b32 vcc_lo, exec_lo, s4
	s_cbranch_vccnz .LBB361_1059
; %bb.1058:
	s_waitcnt vmcnt(0)
	global_store_b8 v[1:2], v4, off
.LBB361_1059:
	s_or_b32 exec_lo, exec_lo, s2
	s_delay_alu instid0(SALU_CYCLE_1)
	s_and_b32 s8, s3, exec_lo
                                        ; implicit-def: $vgpr8
                                        ; implicit-def: $vgpr5
.LBB361_1060:
	s_or_saveexec_b32 s9, s28
	s_mov_b32 s2, 0
                                        ; implicit-def: $vgpr0_vgpr1
                                        ; implicit-def: $vgpr11
                                        ; implicit-def: $vgpr2
	s_xor_b32 exec_lo, exec_lo, s9
	s_cbranch_execz .LBB361_2059
; %bb.1061:
	v_cndmask_b32_e64 v0, 0, 1, s27
	s_and_not1_b32 vcc_lo, exec_lo, s27
	s_cbranch_vccnz .LBB361_1067
; %bb.1062:
	s_waitcnt vmcnt(0)
	v_mov_b32_e32 v3, 0
	v_mov_b32_e32 v7, 0
	s_cmp_lg_u32 s24, 0
	s_mov_b32 s6, 0
	s_cbranch_scc0 .LBB361_1071
; %bb.1063:
	s_min_u32 s7, s25, 15
	v_mov_b32_e32 v3, 0
	s_add_i32 s7, s7, 1
	s_cmp_eq_u32 s25, 2
	s_mov_b32 s10, 0
	s_cbranch_scc1 .LBB361_1068
; %bb.1064:
	v_mov_b32_e32 v7, 0
	v_mov_b32_e32 v3, 0
	;; [unrolled: 1-line block ×3, first 2 shown]
	s_add_u32 s2, s16, 0xc4
	s_addc_u32 s3, s17, 0
	s_and_b32 s10, s7, 28
	s_mov_b32 s11, 0
	s_mov_b64 s[4:5], s[16:17]
.LBB361_1065:                           ; =>This Inner Loop Header: Depth=1
	s_clause 0x1
	s_load_b256 s[36:43], s[4:5], 0x4
	s_load_b128 s[12:15], s[4:5], 0x24
	s_load_b256 s[44:51], s[2:3], 0x0
	s_add_u32 s4, s4, 48
	s_addc_u32 s5, s5, 0
	s_add_i32 s11, s11, 4
	s_add_u32 s2, s2, 32
	s_addc_u32 s3, s3, 0
	s_cmp_lg_u32 s10, s11
	s_waitcnt lgkmcnt(0)
	v_mul_hi_u32 v2, s37, v1
	s_delay_alu instid0(VALU_DEP_1) | instskip(NEXT) | instid1(VALU_DEP_1)
	v_add_nc_u32_e32 v2, v1, v2
	v_lshrrev_b32_e32 v2, s38, v2
	s_delay_alu instid0(VALU_DEP_1) | instskip(SKIP_1) | instid1(VALU_DEP_2)
	v_mul_hi_u32 v4, s40, v2
	v_mul_lo_u32 v9, v2, s36
	v_add_nc_u32_e32 v4, v2, v4
	s_delay_alu instid0(VALU_DEP_2) | instskip(NEXT) | instid1(VALU_DEP_2)
	v_sub_nc_u32_e32 v1, v1, v9
	v_lshrrev_b32_e32 v4, s41, v4
	s_delay_alu instid0(VALU_DEP_2) | instskip(SKIP_1) | instid1(VALU_DEP_3)
	v_mul_lo_u32 v9, v1, s44
	v_mul_lo_u32 v11, v1, s45
	v_mul_hi_u32 v6, s43, v4
	s_delay_alu instid0(VALU_DEP_1) | instskip(NEXT) | instid1(VALU_DEP_1)
	v_add_nc_u32_e32 v6, v4, v6
	v_lshrrev_b32_e32 v6, s12, v6
	s_delay_alu instid0(VALU_DEP_1) | instskip(SKIP_1) | instid1(VALU_DEP_2)
	v_mul_hi_u32 v10, s14, v6
	v_mul_lo_u32 v12, v6, s42
	v_add_nc_u32_e32 v1, v6, v10
	v_mul_lo_u32 v10, v4, s39
	s_delay_alu instid0(VALU_DEP_3) | instskip(NEXT) | instid1(VALU_DEP_3)
	v_sub_nc_u32_e32 v4, v4, v12
	v_lshrrev_b32_e32 v1, s15, v1
	s_delay_alu instid0(VALU_DEP_2) | instskip(SKIP_2) | instid1(VALU_DEP_4)
	v_mul_lo_u32 v12, v4, s48
	v_mul_lo_u32 v4, v4, s49
	v_sub_nc_u32_e32 v2, v2, v10
	v_mul_lo_u32 v13, v1, s13
	s_delay_alu instid0(VALU_DEP_2) | instskip(SKIP_1) | instid1(VALU_DEP_3)
	v_mul_lo_u32 v10, v2, s46
	v_mul_lo_u32 v2, v2, s47
	v_sub_nc_u32_e32 v6, v6, v13
	s_delay_alu instid0(VALU_DEP_3) | instskip(NEXT) | instid1(VALU_DEP_2)
	v_add3_u32 v3, v9, v3, v10
	v_mul_lo_u32 v13, v6, s50
	v_mul_lo_u32 v6, v6, s51
	v_add3_u32 v2, v11, v7, v2
	s_delay_alu instid0(VALU_DEP_3) | instskip(NEXT) | instid1(VALU_DEP_2)
	v_add3_u32 v3, v12, v3, v13
	v_add3_u32 v7, v4, v2, v6
	s_cbranch_scc1 .LBB361_1065
; %bb.1066:
	s_and_b32 s7, s7, 3
	s_delay_alu instid0(SALU_CYCLE_1)
	s_cmp_eq_u32 s7, 0
	s_cbranch_scc0 .LBB361_1069
	s_branch .LBB361_1071
.LBB361_1067:
	s_mov_b32 s6, -1
                                        ; implicit-def: $vgpr3
                                        ; implicit-def: $vgpr7
	s_branch .LBB361_1071
.LBB361_1068:
	v_mov_b32_e32 v1, v5
	v_mov_b32_e32 v7, 0
	s_and_b32 s7, s7, 3
	s_delay_alu instid0(SALU_CYCLE_1)
	s_cmp_eq_u32 s7, 0
	s_cbranch_scc1 .LBB361_1071
.LBB361_1069:
	s_lshl_b32 s2, s10, 3
	s_mul_i32 s4, s10, 12
	s_add_u32 s2, s2, s16
	s_addc_u32 s3, 0, s17
	s_add_u32 s2, s2, 0xc4
	s_addc_u32 s3, s3, 0
	s_add_u32 s4, s16, s4
	s_addc_u32 s5, 0, s17
	.p2align	6
.LBB361_1070:                           ; =>This Inner Loop Header: Depth=1
	s_clause 0x1
	s_load_b64 s[10:11], s[4:5], 0x4
	s_load_b32 s14, s[4:5], 0xc
	s_load_b64 s[12:13], s[2:3], 0x0
	s_add_u32 s4, s4, 12
	s_addc_u32 s5, s5, 0
	s_add_u32 s2, s2, 8
	s_addc_u32 s3, s3, 0
	s_add_i32 s7, s7, -1
	s_delay_alu instid0(SALU_CYCLE_1) | instskip(SKIP_2) | instid1(VALU_DEP_1)
	s_cmp_lg_u32 s7, 0
	s_waitcnt lgkmcnt(0)
	v_mul_hi_u32 v2, s11, v1
	v_add_nc_u32_e32 v2, v1, v2
	s_delay_alu instid0(VALU_DEP_1) | instskip(NEXT) | instid1(VALU_DEP_1)
	v_lshrrev_b32_e32 v4, s14, v2
	v_mul_lo_u32 v2, v4, s10
	s_delay_alu instid0(VALU_DEP_1) | instskip(NEXT) | instid1(VALU_DEP_1)
	v_sub_nc_u32_e32 v1, v1, v2
	v_mad_u64_u32 v[9:10], null, v1, s12, v[3:4]
	v_mad_u64_u32 v[2:3], null, v1, s13, v[7:8]
	v_mov_b32_e32 v1, v4
	s_delay_alu instid0(VALU_DEP_3) | instskip(NEXT) | instid1(VALU_DEP_3)
	v_mov_b32_e32 v3, v9
	v_mov_b32_e32 v7, v2
	s_cbranch_scc1 .LBB361_1070
.LBB361_1071:
	s_and_not1_b32 vcc_lo, exec_lo, s6
	s_cbranch_vccnz .LBB361_1074
; %bb.1072:
	s_clause 0x1
	s_load_b128 s[4:7], s[16:17], 0x4
	s_load_b64 s[2:3], s[16:17], 0xc4
	s_cmp_lt_u32 s24, 2
	s_waitcnt lgkmcnt(0)
	v_mul_hi_u32 v1, s5, v5
	s_delay_alu instid0(VALU_DEP_1) | instskip(NEXT) | instid1(VALU_DEP_1)
	v_add_nc_u32_e32 v1, v5, v1
	v_lshrrev_b32_e32 v1, s6, v1
	s_delay_alu instid0(VALU_DEP_1) | instskip(NEXT) | instid1(VALU_DEP_1)
	v_mul_lo_u32 v2, v1, s4
	v_sub_nc_u32_e32 v2, v5, v2
	s_waitcnt vmcnt(0)
	s_delay_alu instid0(VALU_DEP_1)
	v_mul_lo_u32 v3, v2, s2
	v_mul_lo_u32 v7, v2, s3
	s_cbranch_scc1 .LBB361_1074
; %bb.1073:
	s_clause 0x1
	s_load_b128 s[4:7], s[16:17], 0x10
	s_load_b64 s[2:3], s[16:17], 0xcc
	s_waitcnt lgkmcnt(0)
	v_mul_hi_u32 v2, s5, v1
	s_delay_alu instid0(VALU_DEP_1) | instskip(NEXT) | instid1(VALU_DEP_1)
	v_add_nc_u32_e32 v2, v1, v2
	v_lshrrev_b32_e32 v2, s6, v2
	s_delay_alu instid0(VALU_DEP_1) | instskip(NEXT) | instid1(VALU_DEP_1)
	v_mul_lo_u32 v2, v2, s4
	v_sub_nc_u32_e32 v4, v1, v2
	s_delay_alu instid0(VALU_DEP_1) | instskip(SKIP_1) | instid1(VALU_DEP_2)
	v_mad_u64_u32 v[1:2], null, v4, s2, v[3:4]
	v_mad_u64_u32 v[2:3], null, v4, s3, v[7:8]
	v_mov_b32_e32 v3, v1
	s_delay_alu instid0(VALU_DEP_2)
	v_mov_b32_e32 v7, v2
.LBB361_1074:
	v_cmp_ne_u32_e32 vcc_lo, 1, v0
	v_add_nc_u32_e32 v1, 0x80, v5
	s_cbranch_vccnz .LBB361_1080
; %bb.1075:
	v_mov_b32_e32 v2, 0
	v_mov_b32_e32 v6, 0
	s_cmp_lg_u32 s24, 0
	s_mov_b32 s6, 0
	s_cbranch_scc0 .LBB361_1084
; %bb.1076:
	s_min_u32 s7, s25, 15
	v_mov_b32_e32 v2, 0
	s_add_i32 s7, s7, 1
	s_cmp_eq_u32 s25, 2
	s_mov_b32 s10, 0
	s_cbranch_scc1 .LBB361_1081
; %bb.1077:
	v_mov_b32_e32 v6, 0
	v_mov_b32_e32 v2, 0
	s_waitcnt vmcnt(0)
	v_mov_b32_e32 v4, v1
	s_add_u32 s2, s16, 0xc4
	s_addc_u32 s3, s17, 0
	s_and_b32 s10, s7, 28
	s_mov_b32 s11, 0
	s_mov_b64 s[4:5], s[16:17]
.LBB361_1078:                           ; =>This Inner Loop Header: Depth=1
	s_clause 0x1
	s_load_b256 s[36:43], s[4:5], 0x4
	s_load_b128 s[12:15], s[4:5], 0x24
	s_load_b256 s[44:51], s[2:3], 0x0
	s_add_u32 s4, s4, 48
	s_addc_u32 s5, s5, 0
	s_add_i32 s11, s11, 4
	s_add_u32 s2, s2, 32
	s_addc_u32 s3, s3, 0
	s_cmp_lg_u32 s10, s11
	s_waitcnt lgkmcnt(0)
	v_mul_hi_u32 v9, s37, v4
	s_delay_alu instid0(VALU_DEP_1) | instskip(NEXT) | instid1(VALU_DEP_1)
	v_add_nc_u32_e32 v9, v4, v9
	v_lshrrev_b32_e32 v9, s38, v9
	s_delay_alu instid0(VALU_DEP_1) | instskip(SKIP_1) | instid1(VALU_DEP_2)
	v_mul_hi_u32 v10, s40, v9
	v_mul_lo_u32 v12, v9, s36
	v_add_nc_u32_e32 v10, v9, v10
	s_delay_alu instid0(VALU_DEP_2) | instskip(NEXT) | instid1(VALU_DEP_2)
	v_sub_nc_u32_e32 v4, v4, v12
	v_lshrrev_b32_e32 v10, s41, v10
	s_delay_alu instid0(VALU_DEP_2) | instskip(SKIP_1) | instid1(VALU_DEP_3)
	v_mul_lo_u32 v12, v4, s44
	v_mul_lo_u32 v14, v4, s45
	v_mul_hi_u32 v11, s43, v10
	s_delay_alu instid0(VALU_DEP_1) | instskip(NEXT) | instid1(VALU_DEP_1)
	v_add_nc_u32_e32 v11, v10, v11
	v_lshrrev_b32_e32 v11, s12, v11
	s_delay_alu instid0(VALU_DEP_1) | instskip(SKIP_1) | instid1(VALU_DEP_2)
	v_mul_hi_u32 v13, s14, v11
	v_mul_lo_u32 v15, v11, s42
	v_add_nc_u32_e32 v4, v11, v13
	v_mul_lo_u32 v13, v10, s39
	s_delay_alu instid0(VALU_DEP_3) | instskip(NEXT) | instid1(VALU_DEP_3)
	v_sub_nc_u32_e32 v10, v10, v15
	v_lshrrev_b32_e32 v4, s15, v4
	s_delay_alu instid0(VALU_DEP_2) | instskip(SKIP_2) | instid1(VALU_DEP_4)
	v_mul_lo_u32 v15, v10, s48
	v_mul_lo_u32 v10, v10, s49
	v_sub_nc_u32_e32 v9, v9, v13
	v_mul_lo_u32 v16, v4, s13
	s_delay_alu instid0(VALU_DEP_2) | instskip(SKIP_1) | instid1(VALU_DEP_3)
	v_mul_lo_u32 v13, v9, s46
	v_mul_lo_u32 v9, v9, s47
	v_sub_nc_u32_e32 v11, v11, v16
	s_delay_alu instid0(VALU_DEP_3) | instskip(NEXT) | instid1(VALU_DEP_2)
	v_add3_u32 v2, v12, v2, v13
	v_mul_lo_u32 v16, v11, s50
	v_mul_lo_u32 v11, v11, s51
	v_add3_u32 v6, v14, v6, v9
	s_delay_alu instid0(VALU_DEP_3) | instskip(NEXT) | instid1(VALU_DEP_2)
	v_add3_u32 v2, v15, v2, v16
	v_add3_u32 v6, v10, v6, v11
	s_cbranch_scc1 .LBB361_1078
; %bb.1079:
	s_and_b32 s7, s7, 3
	s_delay_alu instid0(SALU_CYCLE_1)
	s_cmp_eq_u32 s7, 0
	s_cbranch_scc0 .LBB361_1082
	s_branch .LBB361_1084
.LBB361_1080:
	s_mov_b32 s6, -1
                                        ; implicit-def: $vgpr2
                                        ; implicit-def: $vgpr6
	s_branch .LBB361_1084
.LBB361_1081:
	s_waitcnt vmcnt(0)
	v_mov_b32_e32 v4, v1
	v_mov_b32_e32 v6, 0
	s_and_b32 s7, s7, 3
	s_delay_alu instid0(SALU_CYCLE_1)
	s_cmp_eq_u32 s7, 0
	s_cbranch_scc1 .LBB361_1084
.LBB361_1082:
	s_lshl_b32 s2, s10, 3
	s_mul_i32 s4, s10, 12
	s_add_u32 s2, s2, s16
	s_addc_u32 s3, 0, s17
	s_add_u32 s2, s2, 0xc4
	s_addc_u32 s3, s3, 0
	;; [unrolled: 2-line block ×3, first 2 shown]
	.p2align	6
.LBB361_1083:                           ; =>This Inner Loop Header: Depth=1
	s_clause 0x1
	s_load_b64 s[10:11], s[4:5], 0x4
	s_load_b32 s14, s[4:5], 0xc
	s_load_b64 s[12:13], s[2:3], 0x0
	s_add_u32 s4, s4, 12
	s_addc_u32 s5, s5, 0
	s_add_u32 s2, s2, 8
	s_addc_u32 s3, s3, 0
	s_add_i32 s7, s7, -1
	s_delay_alu instid0(SALU_CYCLE_1) | instskip(SKIP_2) | instid1(VALU_DEP_1)
	s_cmp_lg_u32 s7, 0
	s_waitcnt lgkmcnt(0)
	v_mul_hi_u32 v9, s11, v4
	v_add_nc_u32_e32 v9, v4, v9
	s_delay_alu instid0(VALU_DEP_1) | instskip(NEXT) | instid1(VALU_DEP_1)
	v_lshrrev_b32_e32 v12, s14, v9
	v_mul_lo_u32 v9, v12, s10
	s_delay_alu instid0(VALU_DEP_1) | instskip(NEXT) | instid1(VALU_DEP_1)
	v_sub_nc_u32_e32 v4, v4, v9
	v_mad_u64_u32 v[9:10], null, v4, s12, v[2:3]
	v_mad_u64_u32 v[10:11], null, v4, s13, v[6:7]
	v_mov_b32_e32 v4, v12
	s_delay_alu instid0(VALU_DEP_3) | instskip(NEXT) | instid1(VALU_DEP_3)
	v_mov_b32_e32 v2, v9
	v_mov_b32_e32 v6, v10
	s_cbranch_scc1 .LBB361_1083
.LBB361_1084:
	s_and_not1_b32 vcc_lo, exec_lo, s6
	s_cbranch_vccnz .LBB361_1087
; %bb.1085:
	s_clause 0x1
	s_load_b128 s[4:7], s[16:17], 0x4
	s_load_b64 s[2:3], s[16:17], 0xc4
	s_cmp_lt_u32 s24, 2
	s_waitcnt lgkmcnt(0)
	v_mul_hi_u32 v2, s5, v1
	s_delay_alu instid0(VALU_DEP_1) | instskip(SKIP_1) | instid1(VALU_DEP_1)
	v_add_nc_u32_e32 v2, v1, v2
	s_waitcnt vmcnt(0)
	v_lshrrev_b32_e32 v4, s6, v2
	s_delay_alu instid0(VALU_DEP_1) | instskip(NEXT) | instid1(VALU_DEP_1)
	v_mul_lo_u32 v2, v4, s4
	v_sub_nc_u32_e32 v1, v1, v2
	s_delay_alu instid0(VALU_DEP_1)
	v_mul_lo_u32 v2, v1, s2
	v_mul_lo_u32 v6, v1, s3
	s_cbranch_scc1 .LBB361_1087
; %bb.1086:
	s_clause 0x1
	s_load_b128 s[4:7], s[16:17], 0x10
	s_load_b64 s[2:3], s[16:17], 0xcc
	s_waitcnt lgkmcnt(0)
	v_mul_hi_u32 v1, s5, v4
	s_delay_alu instid0(VALU_DEP_1) | instskip(NEXT) | instid1(VALU_DEP_1)
	v_add_nc_u32_e32 v1, v4, v1
	v_lshrrev_b32_e32 v1, s6, v1
	s_delay_alu instid0(VALU_DEP_1) | instskip(NEXT) | instid1(VALU_DEP_1)
	v_mul_lo_u32 v1, v1, s4
	v_sub_nc_u32_e32 v4, v4, v1
	s_delay_alu instid0(VALU_DEP_1) | instskip(SKIP_1) | instid1(VALU_DEP_2)
	v_mad_u64_u32 v[9:10], null, v4, s2, v[2:3]
	v_mad_u64_u32 v[1:2], null, v4, s3, v[6:7]
	v_mov_b32_e32 v2, v9
	s_delay_alu instid0(VALU_DEP_2)
	v_mov_b32_e32 v6, v1
.LBB361_1087:
	v_cmp_ne_u32_e32 vcc_lo, 1, v0
	s_waitcnt vmcnt(0)
	v_add_nc_u32_e32 v4, 0x100, v5
	s_cbranch_vccnz .LBB361_1093
; %bb.1088:
	v_mov_b32_e32 v1, 0
	v_mov_b32_e32 v5, 0
	s_cmp_lg_u32 s24, 0
	s_mov_b32 s6, 0
	s_cbranch_scc0 .LBB361_1097
; %bb.1089:
	s_min_u32 s7, s25, 15
	v_mov_b32_e32 v1, 0
	s_add_i32 s7, s7, 1
	s_cmp_eq_u32 s25, 2
	s_mov_b32 s10, 0
	s_cbranch_scc1 .LBB361_1094
; %bb.1090:
	v_mov_b32_e32 v5, 0
	v_mov_b32_e32 v1, 0
	;; [unrolled: 1-line block ×3, first 2 shown]
	s_add_u32 s2, s16, 0xc4
	s_addc_u32 s3, s17, 0
	s_and_b32 s10, s7, 28
	s_mov_b32 s11, 0
	s_mov_b64 s[4:5], s[16:17]
.LBB361_1091:                           ; =>This Inner Loop Header: Depth=1
	s_clause 0x1
	s_load_b256 s[36:43], s[4:5], 0x4
	s_load_b128 s[12:15], s[4:5], 0x24
	s_load_b256 s[44:51], s[2:3], 0x0
	s_add_u32 s4, s4, 48
	s_addc_u32 s5, s5, 0
	s_add_i32 s11, s11, 4
	s_add_u32 s2, s2, 32
	s_addc_u32 s3, s3, 0
	s_cmp_lg_u32 s10, s11
	s_waitcnt lgkmcnt(0)
	v_mul_hi_u32 v10, s37, v9
	s_delay_alu instid0(VALU_DEP_1) | instskip(NEXT) | instid1(VALU_DEP_1)
	v_add_nc_u32_e32 v10, v9, v10
	v_lshrrev_b32_e32 v10, s38, v10
	s_delay_alu instid0(VALU_DEP_1) | instskip(SKIP_1) | instid1(VALU_DEP_2)
	v_mul_hi_u32 v11, s40, v10
	v_mul_lo_u32 v13, v10, s36
	v_add_nc_u32_e32 v11, v10, v11
	s_delay_alu instid0(VALU_DEP_2) | instskip(NEXT) | instid1(VALU_DEP_2)
	v_sub_nc_u32_e32 v9, v9, v13
	v_lshrrev_b32_e32 v11, s41, v11
	s_delay_alu instid0(VALU_DEP_2) | instskip(SKIP_1) | instid1(VALU_DEP_3)
	v_mul_lo_u32 v13, v9, s44
	v_mul_lo_u32 v15, v9, s45
	v_mul_hi_u32 v12, s43, v11
	s_delay_alu instid0(VALU_DEP_1) | instskip(NEXT) | instid1(VALU_DEP_1)
	v_add_nc_u32_e32 v12, v11, v12
	v_lshrrev_b32_e32 v12, s12, v12
	s_delay_alu instid0(VALU_DEP_1) | instskip(SKIP_1) | instid1(VALU_DEP_2)
	v_mul_hi_u32 v14, s14, v12
	v_mul_lo_u32 v16, v12, s42
	v_add_nc_u32_e32 v9, v12, v14
	v_mul_lo_u32 v14, v11, s39
	s_delay_alu instid0(VALU_DEP_3) | instskip(NEXT) | instid1(VALU_DEP_3)
	v_sub_nc_u32_e32 v11, v11, v16
	v_lshrrev_b32_e32 v9, s15, v9
	s_delay_alu instid0(VALU_DEP_2) | instskip(SKIP_2) | instid1(VALU_DEP_4)
	v_mul_lo_u32 v16, v11, s48
	v_mul_lo_u32 v11, v11, s49
	v_sub_nc_u32_e32 v10, v10, v14
	v_mul_lo_u32 v17, v9, s13
	s_delay_alu instid0(VALU_DEP_2) | instskip(SKIP_1) | instid1(VALU_DEP_3)
	v_mul_lo_u32 v14, v10, s46
	v_mul_lo_u32 v10, v10, s47
	v_sub_nc_u32_e32 v12, v12, v17
	s_delay_alu instid0(VALU_DEP_3) | instskip(NEXT) | instid1(VALU_DEP_2)
	v_add3_u32 v1, v13, v1, v14
	v_mul_lo_u32 v17, v12, s50
	v_mul_lo_u32 v12, v12, s51
	v_add3_u32 v5, v15, v5, v10
	s_delay_alu instid0(VALU_DEP_3) | instskip(NEXT) | instid1(VALU_DEP_2)
	v_add3_u32 v1, v16, v1, v17
	v_add3_u32 v5, v11, v5, v12
	s_cbranch_scc1 .LBB361_1091
; %bb.1092:
	s_and_b32 s7, s7, 3
	s_delay_alu instid0(SALU_CYCLE_1)
	s_cmp_eq_u32 s7, 0
	s_cbranch_scc0 .LBB361_1095
	s_branch .LBB361_1097
.LBB361_1093:
	s_mov_b32 s6, -1
                                        ; implicit-def: $vgpr1
                                        ; implicit-def: $vgpr5
	s_branch .LBB361_1097
.LBB361_1094:
	v_mov_b32_e32 v9, v4
	v_mov_b32_e32 v5, 0
	s_and_b32 s7, s7, 3
	s_delay_alu instid0(SALU_CYCLE_1)
	s_cmp_eq_u32 s7, 0
	s_cbranch_scc1 .LBB361_1097
.LBB361_1095:
	s_lshl_b32 s2, s10, 3
	s_mul_i32 s4, s10, 12
	s_add_u32 s2, s2, s16
	s_addc_u32 s3, 0, s17
	s_add_u32 s2, s2, 0xc4
	s_addc_u32 s3, s3, 0
	;; [unrolled: 2-line block ×3, first 2 shown]
	.p2align	6
.LBB361_1096:                           ; =>This Inner Loop Header: Depth=1
	s_clause 0x1
	s_load_b64 s[10:11], s[4:5], 0x4
	s_load_b32 s14, s[4:5], 0xc
	s_load_b64 s[12:13], s[2:3], 0x0
	s_add_u32 s4, s4, 12
	s_addc_u32 s5, s5, 0
	s_add_u32 s2, s2, 8
	s_addc_u32 s3, s3, 0
	s_add_i32 s7, s7, -1
	s_delay_alu instid0(SALU_CYCLE_1) | instskip(SKIP_2) | instid1(VALU_DEP_1)
	s_cmp_lg_u32 s7, 0
	s_waitcnt lgkmcnt(0)
	v_mul_hi_u32 v10, s11, v9
	v_add_nc_u32_e32 v10, v9, v10
	s_delay_alu instid0(VALU_DEP_1) | instskip(NEXT) | instid1(VALU_DEP_1)
	v_lshrrev_b32_e32 v13, s14, v10
	v_mul_lo_u32 v10, v13, s10
	s_delay_alu instid0(VALU_DEP_1) | instskip(NEXT) | instid1(VALU_DEP_1)
	v_sub_nc_u32_e32 v9, v9, v10
	v_mad_u64_u32 v[10:11], null, v9, s12, v[1:2]
	v_mad_u64_u32 v[11:12], null, v9, s13, v[5:6]
	v_mov_b32_e32 v9, v13
	s_delay_alu instid0(VALU_DEP_3) | instskip(NEXT) | instid1(VALU_DEP_3)
	v_mov_b32_e32 v1, v10
	v_mov_b32_e32 v5, v11
	s_cbranch_scc1 .LBB361_1096
.LBB361_1097:
	s_and_not1_b32 vcc_lo, exec_lo, s6
	s_cbranch_vccnz .LBB361_1100
; %bb.1098:
	s_clause 0x1
	s_load_b128 s[4:7], s[16:17], 0x4
	s_load_b64 s[2:3], s[16:17], 0xc4
	s_cmp_lt_u32 s24, 2
	s_waitcnt lgkmcnt(0)
	v_mul_hi_u32 v1, s5, v4
	s_delay_alu instid0(VALU_DEP_1) | instskip(NEXT) | instid1(VALU_DEP_1)
	v_add_nc_u32_e32 v1, v4, v1
	v_lshrrev_b32_e32 v9, s6, v1
	s_delay_alu instid0(VALU_DEP_1) | instskip(NEXT) | instid1(VALU_DEP_1)
	v_mul_lo_u32 v1, v9, s4
	v_sub_nc_u32_e32 v4, v4, v1
	s_delay_alu instid0(VALU_DEP_1)
	v_mul_lo_u32 v1, v4, s2
	v_mul_lo_u32 v5, v4, s3
	s_cbranch_scc1 .LBB361_1100
; %bb.1099:
	s_clause 0x1
	s_load_b128 s[4:7], s[16:17], 0x10
	s_load_b64 s[2:3], s[16:17], 0xcc
	s_waitcnt lgkmcnt(0)
	v_mul_hi_u32 v4, s5, v9
	s_delay_alu instid0(VALU_DEP_1) | instskip(NEXT) | instid1(VALU_DEP_1)
	v_add_nc_u32_e32 v4, v9, v4
	v_lshrrev_b32_e32 v4, s6, v4
	s_delay_alu instid0(VALU_DEP_1) | instskip(NEXT) | instid1(VALU_DEP_1)
	v_mul_lo_u32 v4, v4, s4
	v_sub_nc_u32_e32 v4, v9, v4
	s_delay_alu instid0(VALU_DEP_1) | instskip(SKIP_1) | instid1(VALU_DEP_2)
	v_mad_u64_u32 v[9:10], null, v4, s2, v[1:2]
	v_mad_u64_u32 v[10:11], null, v4, s3, v[5:6]
	v_mov_b32_e32 v1, v9
	s_delay_alu instid0(VALU_DEP_2)
	v_mov_b32_e32 v5, v10
.LBB361_1100:
	v_cmp_ne_u32_e32 vcc_lo, 1, v0
	s_cbranch_vccnz .LBB361_1106
; %bb.1101:
	v_mov_b32_e32 v0, 0
	v_mov_b32_e32 v4, 0
	s_cmp_lg_u32 s24, 0
	s_mov_b32 s6, 0
	s_cbranch_scc0 .LBB361_1110
; %bb.1102:
	s_min_u32 s7, s25, 15
	v_mov_b32_e32 v0, 0
	s_add_i32 s7, s7, 1
	s_cmp_eq_u32 s25, 2
	s_mov_b32 s10, 0
	s_cbranch_scc1 .LBB361_1107
; %bb.1103:
	v_dual_mov_b32 v4, 0 :: v_dual_mov_b32 v9, v8
	v_mov_b32_e32 v0, 0
	s_add_u32 s2, s16, 0xc4
	s_addc_u32 s3, s17, 0
	s_and_b32 s10, s7, 28
	s_mov_b32 s11, 0
	s_mov_b64 s[4:5], s[16:17]
.LBB361_1104:                           ; =>This Inner Loop Header: Depth=1
	s_clause 0x1
	s_load_b256 s[36:43], s[4:5], 0x4
	s_load_b128 s[12:15], s[4:5], 0x24
	s_load_b256 s[44:51], s[2:3], 0x0
	s_add_u32 s4, s4, 48
	s_addc_u32 s5, s5, 0
	s_add_i32 s11, s11, 4
	s_add_u32 s2, s2, 32
	s_addc_u32 s3, s3, 0
	s_cmp_lg_u32 s10, s11
	s_waitcnt lgkmcnt(0)
	v_mul_hi_u32 v10, s37, v9
	s_delay_alu instid0(VALU_DEP_1) | instskip(NEXT) | instid1(VALU_DEP_1)
	v_add_nc_u32_e32 v10, v9, v10
	v_lshrrev_b32_e32 v10, s38, v10
	s_delay_alu instid0(VALU_DEP_1) | instskip(SKIP_1) | instid1(VALU_DEP_2)
	v_mul_hi_u32 v11, s40, v10
	v_mul_lo_u32 v13, v10, s36
	v_add_nc_u32_e32 v11, v10, v11
	s_delay_alu instid0(VALU_DEP_2) | instskip(NEXT) | instid1(VALU_DEP_2)
	v_sub_nc_u32_e32 v9, v9, v13
	v_lshrrev_b32_e32 v11, s41, v11
	s_delay_alu instid0(VALU_DEP_2) | instskip(SKIP_1) | instid1(VALU_DEP_3)
	v_mul_lo_u32 v13, v9, s44
	v_mul_lo_u32 v15, v9, s45
	v_mul_hi_u32 v12, s43, v11
	s_delay_alu instid0(VALU_DEP_1) | instskip(NEXT) | instid1(VALU_DEP_1)
	v_add_nc_u32_e32 v12, v11, v12
	v_lshrrev_b32_e32 v12, s12, v12
	s_delay_alu instid0(VALU_DEP_1) | instskip(SKIP_1) | instid1(VALU_DEP_2)
	v_mul_hi_u32 v14, s14, v12
	v_mul_lo_u32 v16, v12, s42
	v_add_nc_u32_e32 v9, v12, v14
	v_mul_lo_u32 v14, v11, s39
	s_delay_alu instid0(VALU_DEP_3) | instskip(NEXT) | instid1(VALU_DEP_3)
	v_sub_nc_u32_e32 v11, v11, v16
	v_lshrrev_b32_e32 v9, s15, v9
	s_delay_alu instid0(VALU_DEP_2) | instskip(SKIP_2) | instid1(VALU_DEP_4)
	v_mul_lo_u32 v16, v11, s48
	v_mul_lo_u32 v11, v11, s49
	v_sub_nc_u32_e32 v10, v10, v14
	v_mul_lo_u32 v17, v9, s13
	s_delay_alu instid0(VALU_DEP_2) | instskip(SKIP_1) | instid1(VALU_DEP_3)
	v_mul_lo_u32 v14, v10, s46
	v_mul_lo_u32 v10, v10, s47
	v_sub_nc_u32_e32 v12, v12, v17
	s_delay_alu instid0(VALU_DEP_3) | instskip(NEXT) | instid1(VALU_DEP_2)
	v_add3_u32 v0, v13, v0, v14
	v_mul_lo_u32 v17, v12, s50
	v_mul_lo_u32 v12, v12, s51
	v_add3_u32 v4, v15, v4, v10
	s_delay_alu instid0(VALU_DEP_3) | instskip(NEXT) | instid1(VALU_DEP_2)
	v_add3_u32 v0, v16, v0, v17
	v_add3_u32 v4, v11, v4, v12
	s_cbranch_scc1 .LBB361_1104
; %bb.1105:
	s_and_b32 s7, s7, 3
	s_delay_alu instid0(SALU_CYCLE_1)
	s_cmp_eq_u32 s7, 0
	s_cbranch_scc0 .LBB361_1108
	s_branch .LBB361_1110
.LBB361_1106:
	s_mov_b32 s6, -1
                                        ; implicit-def: $vgpr0
                                        ; implicit-def: $vgpr4
	s_branch .LBB361_1110
.LBB361_1107:
	v_dual_mov_b32 v9, v8 :: v_dual_mov_b32 v4, 0
	s_and_b32 s7, s7, 3
	s_delay_alu instid0(SALU_CYCLE_1)
	s_cmp_eq_u32 s7, 0
	s_cbranch_scc1 .LBB361_1110
.LBB361_1108:
	s_lshl_b32 s2, s10, 3
	s_mul_i32 s4, s10, 12
	s_add_u32 s2, s2, s16
	s_addc_u32 s3, 0, s17
	s_add_u32 s2, s2, 0xc4
	s_addc_u32 s3, s3, 0
	;; [unrolled: 2-line block ×3, first 2 shown]
	.p2align	6
.LBB361_1109:                           ; =>This Inner Loop Header: Depth=1
	s_clause 0x1
	s_load_b64 s[10:11], s[4:5], 0x4
	s_load_b32 s14, s[4:5], 0xc
	s_load_b64 s[12:13], s[2:3], 0x0
	s_add_u32 s4, s4, 12
	s_addc_u32 s5, s5, 0
	s_add_u32 s2, s2, 8
	s_addc_u32 s3, s3, 0
	s_add_i32 s7, s7, -1
	s_delay_alu instid0(SALU_CYCLE_1) | instskip(SKIP_2) | instid1(VALU_DEP_1)
	s_cmp_lg_u32 s7, 0
	s_waitcnt lgkmcnt(0)
	v_mul_hi_u32 v10, s11, v9
	v_add_nc_u32_e32 v10, v9, v10
	s_delay_alu instid0(VALU_DEP_1) | instskip(NEXT) | instid1(VALU_DEP_1)
	v_lshrrev_b32_e32 v13, s14, v10
	v_mul_lo_u32 v10, v13, s10
	s_delay_alu instid0(VALU_DEP_1) | instskip(NEXT) | instid1(VALU_DEP_1)
	v_sub_nc_u32_e32 v9, v9, v10
	v_mad_u64_u32 v[10:11], null, v9, s12, v[0:1]
	v_mad_u64_u32 v[11:12], null, v9, s13, v[4:5]
	s_delay_alu instid0(VALU_DEP_2) | instskip(NEXT) | instid1(VALU_DEP_2)
	v_dual_mov_b32 v9, v13 :: v_dual_mov_b32 v0, v10
	v_mov_b32_e32 v4, v11
	s_cbranch_scc1 .LBB361_1109
.LBB361_1110:
	s_and_not1_b32 vcc_lo, exec_lo, s6
	s_cbranch_vccnz .LBB361_1113
; %bb.1111:
	s_clause 0x1
	s_load_b128 s[4:7], s[16:17], 0x4
	s_load_b64 s[2:3], s[16:17], 0xc4
	s_cmp_lt_u32 s24, 2
	s_waitcnt lgkmcnt(0)
	v_mul_hi_u32 v0, s5, v8
	s_delay_alu instid0(VALU_DEP_1) | instskip(NEXT) | instid1(VALU_DEP_1)
	v_add_nc_u32_e32 v0, v8, v0
	v_lshrrev_b32_e32 v9, s6, v0
	s_delay_alu instid0(VALU_DEP_1) | instskip(NEXT) | instid1(VALU_DEP_1)
	v_mul_lo_u32 v0, v9, s4
	v_sub_nc_u32_e32 v4, v8, v0
	s_delay_alu instid0(VALU_DEP_1)
	v_mul_lo_u32 v0, v4, s2
	v_mul_lo_u32 v4, v4, s3
	s_cbranch_scc1 .LBB361_1113
; %bb.1112:
	s_clause 0x1
	s_load_b128 s[4:7], s[16:17], 0x10
	s_load_b64 s[2:3], s[16:17], 0xcc
	s_waitcnt lgkmcnt(0)
	v_mul_hi_u32 v8, s5, v9
	s_delay_alu instid0(VALU_DEP_1) | instskip(NEXT) | instid1(VALU_DEP_1)
	v_add_nc_u32_e32 v8, v9, v8
	v_lshrrev_b32_e32 v8, s6, v8
	s_delay_alu instid0(VALU_DEP_1) | instskip(NEXT) | instid1(VALU_DEP_1)
	v_mul_lo_u32 v8, v8, s4
	v_sub_nc_u32_e32 v11, v9, v8
	s_delay_alu instid0(VALU_DEP_1) | instskip(SKIP_1) | instid1(VALU_DEP_2)
	v_mad_u64_u32 v[8:9], null, v11, s2, v[0:1]
	v_mad_u64_u32 v[9:10], null, v11, s3, v[4:5]
	v_mov_b32_e32 v0, v8
	s_delay_alu instid0(VALU_DEP_2)
	v_mov_b32_e32 v4, v9
.LBB361_1113:
	s_clause 0x1
	s_load_b32 s0, s[0:1], 0x160
	s_load_b128 s[4:7], s[16:17], 0x148
	s_mov_b32 s3, 0
	s_waitcnt lgkmcnt(0)
	s_lshr_b32 s1, s0, 16
	s_delay_alu instid0(SALU_CYCLE_1) | instskip(SKIP_1) | instid1(VALU_DEP_1)
	v_and_b32_e64 v13, 0xff, s1
	v_add_co_u32 v7, s1, s6, v7
	v_add_co_ci_u32_e64 v8, null, s7, 0, s1
	s_delay_alu instid0(VALU_DEP_3)
	v_cmp_gt_i16_e32 vcc_lo, 11, v13
	s_cbranch_vccnz .LBB361_1120
; %bb.1114:
	v_cmp_lt_i16_e32 vcc_lo, 25, v13
	s_mov_b32 s2, 0
	s_cbranch_vccz .LBB361_1126
; %bb.1115:
	v_cmp_lt_i16_e32 vcc_lo, 28, v13
	s_cbranch_vccz .LBB361_1128
; %bb.1116:
	v_cmp_lt_i16_e32 vcc_lo, 43, v13
	;; [unrolled: 3-line block ×3, first 2 shown]
	s_cbranch_vccz .LBB361_1134
; %bb.1118:
	v_cmp_eq_u16_e32 vcc_lo, 46, v13
	s_mov_b32 s10, 0
	s_cbranch_vccz .LBB361_1176
; %bb.1119:
	global_load_b32 v9, v[7:8], off
	s_mov_b32 s1, 0
	s_mov_b32 s3, -1
	s_waitcnt vmcnt(0)
	v_lshlrev_b32_e32 v9, 16, v9
	s_delay_alu instid0(VALU_DEP_1)
	v_cvt_i32_f32_e32 v10, v9
	s_branch .LBB361_1178
.LBB361_1120:
	s_mov_b32 s1, s8
                                        ; implicit-def: $vgpr10
	s_cbranch_execz .LBB361_1236
; %bb.1121:
	v_cmp_gt_i16_e32 vcc_lo, 5, v13
	s_cbranch_vccnz .LBB361_1127
; %bb.1122:
	v_cmp_gt_i16_e32 vcc_lo, 8, v13
	s_cbranch_vccnz .LBB361_1129
	;; [unrolled: 3-line block ×3, first 2 shown]
; %bb.1124:
	v_cmp_lt_i16_e32 vcc_lo, 9, v13
	s_cbranch_vccz .LBB361_1135
; %bb.1125:
	global_load_b64 v[9:10], v[7:8], off
	s_mov_b32 s2, 0
	s_waitcnt vmcnt(0)
	v_cvt_i32_f64_e32 v10, v[9:10]
	s_branch .LBB361_1136
.LBB361_1126:
	s_mov_b32 s1, 0
                                        ; implicit-def: $vgpr10
	s_cbranch_execnz .LBB361_1203
	s_branch .LBB361_1232
.LBB361_1127:
                                        ; implicit-def: $vgpr10
	s_branch .LBB361_1153
.LBB361_1128:
	s_mov_b32 s1, 0
                                        ; implicit-def: $vgpr10
	s_cbranch_execz .LBB361_1202
	s_branch .LBB361_1187
.LBB361_1129:
                                        ; implicit-def: $vgpr10
	s_branch .LBB361_1142
.LBB361_1130:
	s_mov_b32 s1, 0
                                        ; implicit-def: $vgpr10
	s_cbranch_execnz .LBB361_1183
	s_branch .LBB361_1186
.LBB361_1131:
	s_mov_b32 s2, -1
                                        ; implicit-def: $vgpr10
	s_branch .LBB361_1139
.LBB361_1132:
	s_cbranch_execnz .LBB361_1174
; %bb.1133:
	s_or_b32 s3, s3, exec_lo
	s_and_not1_b32 s8, s8, exec_lo
	s_or_b32 exec_lo, exec_lo, s2
	s_and_saveexec_b32 s2, s8
	s_delay_alu instid0(SALU_CYCLE_1)
	s_xor_b32 s2, exec_lo, s2
	s_cbranch_execnz .LBB361_1020
	s_branch .LBB361_1021
.LBB361_1134:
	s_mov_b32 s10, -1
	s_mov_b32 s1, 0
	s_branch .LBB361_1177
.LBB361_1135:
	s_mov_b32 s2, -1
                                        ; implicit-def: $vgpr10
.LBB361_1136:
	s_delay_alu instid0(SALU_CYCLE_1)
	s_and_not1_b32 vcc_lo, exec_lo, s2
	s_cbranch_vccnz .LBB361_1138
; %bb.1137:
	global_load_b32 v9, v[7:8], off
	s_waitcnt vmcnt(0)
	v_cvt_i32_f32_e32 v10, v9
.LBB361_1138:
	s_mov_b32 s2, 0
.LBB361_1139:
	s_delay_alu instid0(SALU_CYCLE_1)
	s_and_not1_b32 vcc_lo, exec_lo, s2
	s_cbranch_vccnz .LBB361_1141
; %bb.1140:
	global_load_b32 v9, v[7:8], off
	s_waitcnt vmcnt(0)
	v_cvt_i16_f16_e32 v10, v9
.LBB361_1141:
	s_cbranch_execnz .LBB361_1152
.LBB361_1142:
	v_cmp_gt_i16_e32 vcc_lo, 6, v13
	s_cbranch_vccnz .LBB361_1145
; %bb.1143:
	v_cmp_lt_i16_e32 vcc_lo, 6, v13
	s_cbranch_vccz .LBB361_1146
; %bb.1144:
	global_load_b64 v[9:10], v[7:8], off
	s_mov_b32 s2, 0
	s_waitcnt vmcnt(0)
	v_cvt_i32_f64_e32 v10, v[9:10]
	s_branch .LBB361_1147
.LBB361_1145:
	s_mov_b32 s2, -1
                                        ; implicit-def: $vgpr10
	s_branch .LBB361_1150
.LBB361_1146:
	s_mov_b32 s2, -1
                                        ; implicit-def: $vgpr10
.LBB361_1147:
	s_delay_alu instid0(SALU_CYCLE_1)
	s_and_not1_b32 vcc_lo, exec_lo, s2
	s_cbranch_vccnz .LBB361_1149
; %bb.1148:
	global_load_b32 v9, v[7:8], off
	s_waitcnt vmcnt(0)
	v_cvt_i32_f32_e32 v10, v9
.LBB361_1149:
	s_mov_b32 s2, 0
.LBB361_1150:
	s_delay_alu instid0(SALU_CYCLE_1)
	s_and_not1_b32 vcc_lo, exec_lo, s2
	s_cbranch_vccnz .LBB361_1152
; %bb.1151:
	global_load_u16 v9, v[7:8], off
	s_waitcnt vmcnt(0)
	v_cvt_i16_f16_e32 v10, v9
.LBB361_1152:
	s_cbranch_execnz .LBB361_1171
.LBB361_1153:
	v_cmp_gt_i16_e32 vcc_lo, 2, v13
	s_cbranch_vccnz .LBB361_1157
; %bb.1154:
	v_cmp_gt_i16_e32 vcc_lo, 3, v13
	s_cbranch_vccnz .LBB361_1158
; %bb.1155:
	v_cmp_lt_i16_e32 vcc_lo, 3, v13
	s_cbranch_vccz .LBB361_1159
; %bb.1156:
	global_load_b64 v[10:11], v[7:8], off
	s_mov_b32 s2, 0
	s_branch .LBB361_1160
.LBB361_1157:
                                        ; implicit-def: $vgpr10
	s_branch .LBB361_1166
.LBB361_1158:
	s_mov_b32 s2, -1
                                        ; implicit-def: $vgpr10
	s_branch .LBB361_1163
.LBB361_1159:
	s_mov_b32 s2, -1
                                        ; implicit-def: $vgpr10
.LBB361_1160:
	s_delay_alu instid0(SALU_CYCLE_1)
	s_and_not1_b32 vcc_lo, exec_lo, s2
	s_cbranch_vccnz .LBB361_1162
; %bb.1161:
	global_load_b32 v10, v[7:8], off
.LBB361_1162:
	s_mov_b32 s2, 0
.LBB361_1163:
	s_delay_alu instid0(SALU_CYCLE_1)
	s_and_not1_b32 vcc_lo, exec_lo, s2
	s_cbranch_vccnz .LBB361_1165
; %bb.1164:
	global_load_u16 v10, v[7:8], off
.LBB361_1165:
	s_cbranch_execnz .LBB361_1171
.LBB361_1166:
	v_cmp_lt_i16_e32 vcc_lo, 0, v13
	s_mov_b32 s2, 0
	s_cbranch_vccz .LBB361_1168
; %bb.1167:
	global_load_u8 v10, v[7:8], off
	s_branch .LBB361_1169
.LBB361_1168:
	s_mov_b32 s2, -1
                                        ; implicit-def: $vgpr10
.LBB361_1169:
	s_delay_alu instid0(SALU_CYCLE_1)
	s_and_not1_b32 vcc_lo, exec_lo, s2
	s_cbranch_vccnz .LBB361_1171
; %bb.1170:
	global_load_u8 v10, v[7:8], off
.LBB361_1171:
	s_branch .LBB361_1237
.LBB361_1172:
	s_trap 2
	s_sendmsg_rtn_b32 s0, sendmsg(MSG_RTN_GET_DOORBELL)
	s_mov_b32 ttmp2, m0
	s_waitcnt lgkmcnt(0)
	s_and_b32 s0, s0, 0x3ff
	s_delay_alu instid0(SALU_CYCLE_1) | instskip(NEXT) | instid1(SALU_CYCLE_1)
	s_bitset1_b32 s0, 10
	s_mov_b32 m0, s0
	s_sendmsg sendmsg(MSG_INTERRUPT)
	s_mov_b32 m0, ttmp2
.LBB361_1173:                           ; =>This Inner Loop Header: Depth=1
	s_sethalt 5
	s_branch .LBB361_1173
.LBB361_1174:
	s_trap 2
	s_sendmsg_rtn_b32 s0, sendmsg(MSG_RTN_GET_DOORBELL)
	s_mov_b32 ttmp2, m0
	s_waitcnt lgkmcnt(0)
	s_and_b32 s0, s0, 0x3ff
	s_delay_alu instid0(SALU_CYCLE_1) | instskip(NEXT) | instid1(SALU_CYCLE_1)
	s_bitset1_b32 s0, 10
	s_mov_b32 m0, s0
	s_sendmsg sendmsg(MSG_INTERRUPT)
	s_mov_b32 m0, ttmp2
.LBB361_1175:                           ; =>This Inner Loop Header: Depth=1
	s_sethalt 5
	s_branch .LBB361_1175
.LBB361_1176:
	s_mov_b32 s1, -1
.LBB361_1177:
                                        ; implicit-def: $vgpr10
.LBB361_1178:
	s_and_b32 vcc_lo, exec_lo, s10
	s_cbranch_vccz .LBB361_1181
; %bb.1179:
	v_cmp_eq_u16_e32 vcc_lo, 44, v13
	s_cbranch_vccz .LBB361_1182
; %bb.1180:
	global_load_u8 v9, v[7:8], off
	s_mov_b32 s1, 0
	s_mov_b32 s3, -1
	s_waitcnt vmcnt(0)
	v_lshlrev_b32_e32 v10, 23, v9
	v_cmp_ne_u32_e32 vcc_lo, 0, v9
	s_delay_alu instid0(VALU_DEP_2) | instskip(NEXT) | instid1(VALU_DEP_1)
	v_cvt_i32_f32_e32 v10, v10
	v_cndmask_b32_e32 v10, 0, v10, vcc_lo
.LBB361_1181:
	s_branch .LBB361_1186
.LBB361_1182:
	s_mov_b32 s1, -1
                                        ; implicit-def: $vgpr10
	s_branch .LBB361_1186
.LBB361_1183:
	v_cmp_eq_u16_e32 vcc_lo, 29, v13
	s_cbranch_vccz .LBB361_1185
; %bb.1184:
	global_load_b64 v[10:11], v[7:8], off
	s_mov_b32 s1, 0
	s_mov_b32 s3, -1
	s_branch .LBB361_1186
.LBB361_1185:
	s_mov_b32 s1, -1
                                        ; implicit-def: $vgpr10
.LBB361_1186:
	s_branch .LBB361_1202
.LBB361_1187:
	v_cmp_gt_i16_e32 vcc_lo, 27, v13
	s_cbranch_vccnz .LBB361_1190
; %bb.1188:
	v_cmp_lt_i16_e32 vcc_lo, 27, v13
	s_cbranch_vccz .LBB361_1191
; %bb.1189:
	global_load_b32 v10, v[7:8], off
	s_mov_b32 s3, 0
	s_branch .LBB361_1192
.LBB361_1190:
	s_mov_b32 s3, -1
                                        ; implicit-def: $vgpr10
	s_branch .LBB361_1195
.LBB361_1191:
	s_mov_b32 s3, -1
                                        ; implicit-def: $vgpr10
.LBB361_1192:
	s_delay_alu instid0(SALU_CYCLE_1)
	s_and_not1_b32 vcc_lo, exec_lo, s3
	s_cbranch_vccnz .LBB361_1194
; %bb.1193:
	global_load_u16 v10, v[7:8], off
.LBB361_1194:
	s_mov_b32 s3, 0
.LBB361_1195:
	s_delay_alu instid0(SALU_CYCLE_1)
	s_and_not1_b32 vcc_lo, exec_lo, s3
	s_cbranch_vccnz .LBB361_1201
; %bb.1196:
	global_load_u8 v9, v[7:8], off
	s_mov_b32 s3, 0
	s_mov_b32 s10, exec_lo
                                        ; implicit-def: $sgpr11
	s_waitcnt vmcnt(0)
	v_cmpx_lt_i16_e32 0x7f, v9
	s_xor_b32 s10, exec_lo, s10
	s_cbranch_execz .LBB361_1212
; %bb.1197:
	v_cmp_ne_u16_e32 vcc_lo, 0x80, v9
	s_mov_b32 s11, 0
	s_and_b32 s3, vcc_lo, exec_lo
	s_or_saveexec_b32 s10, s10
	v_mov_b32_e32 v10, s11
	s_xor_b32 exec_lo, exec_lo, s10
	s_cbranch_execnz .LBB361_1213
.LBB361_1198:
	s_or_b32 exec_lo, exec_lo, s10
	s_and_saveexec_b32 s10, s3
	s_cbranch_execz .LBB361_1200
.LBB361_1199:
	v_and_b32_e32 v10, 0xffff, v9
	v_lshlrev_b32_e32 v9, 24, v9
	s_delay_alu instid0(VALU_DEP_2) | instskip(NEXT) | instid1(VALU_DEP_2)
	v_and_b32_e32 v11, 7, v10
	v_and_b32_e32 v9, 0x80000000, v9
	s_delay_alu instid0(VALU_DEP_2) | instskip(NEXT) | instid1(VALU_DEP_1)
	v_clz_i32_u32_e32 v12, v11
	v_min_u32_e32 v12, 32, v12
	s_delay_alu instid0(VALU_DEP_1) | instskip(SKIP_1) | instid1(VALU_DEP_2)
	v_subrev_nc_u32_e32 v14, 28, v12
	v_sub_nc_u32_e32 v12, 29, v12
	v_lshlrev_b32_e32 v14, v14, v10
	v_bfe_u32 v10, v10, 3, 4
	s_delay_alu instid0(VALU_DEP_2) | instskip(NEXT) | instid1(VALU_DEP_2)
	v_and_b32_e32 v14, 7, v14
	v_cmp_eq_u32_e32 vcc_lo, 0, v10
	s_delay_alu instid0(VALU_DEP_2) | instskip(NEXT) | instid1(VALU_DEP_1)
	v_dual_cndmask_b32 v10, v10, v12 :: v_dual_cndmask_b32 v11, v11, v14
	v_lshl_add_u32 v10, v10, 23, 0x3b800000
	s_delay_alu instid0(VALU_DEP_2) | instskip(NEXT) | instid1(VALU_DEP_1)
	v_lshlrev_b32_e32 v11, 20, v11
	v_or3_b32 v9, v9, v10, v11
	s_delay_alu instid0(VALU_DEP_1)
	v_cvt_i32_f32_e32 v10, v9
.LBB361_1200:
	s_or_b32 exec_lo, exec_lo, s10
.LBB361_1201:
	s_mov_b32 s3, -1
.LBB361_1202:
	s_branch .LBB361_1232
.LBB361_1203:
	v_cmp_lt_i16_e32 vcc_lo, 22, v13
	s_cbranch_vccz .LBB361_1211
; %bb.1204:
	v_cmp_gt_i16_e32 vcc_lo, 24, v13
	s_cbranch_vccnz .LBB361_1214
; %bb.1205:
	v_cmp_lt_i16_e32 vcc_lo, 24, v13
	s_cbranch_vccz .LBB361_1215
; %bb.1206:
	global_load_u8 v9, v[7:8], off
	s_mov_b32 s3, exec_lo
                                        ; implicit-def: $sgpr10
	s_waitcnt vmcnt(0)
	v_cmpx_lt_i16_e32 0x7f, v9
	s_xor_b32 s3, exec_lo, s3
	s_cbranch_execz .LBB361_1226
; %bb.1207:
	v_cmp_ne_u16_e32 vcc_lo, 0x80, v9
	s_mov_b32 s10, 0
	s_and_b32 s2, vcc_lo, exec_lo
	s_or_saveexec_b32 s3, s3
	v_mov_b32_e32 v10, s10
	s_xor_b32 exec_lo, exec_lo, s3
	s_cbranch_execnz .LBB361_1227
.LBB361_1208:
	s_or_b32 exec_lo, exec_lo, s3
	s_and_saveexec_b32 s3, s2
	s_cbranch_execz .LBB361_1210
.LBB361_1209:
	v_and_b32_e32 v10, 0xffff, v9
	v_lshlrev_b32_e32 v9, 24, v9
	s_delay_alu instid0(VALU_DEP_2) | instskip(NEXT) | instid1(VALU_DEP_2)
	v_and_b32_e32 v11, 3, v10
	v_and_b32_e32 v9, 0x80000000, v9
	s_delay_alu instid0(VALU_DEP_2) | instskip(NEXT) | instid1(VALU_DEP_1)
	v_clz_i32_u32_e32 v12, v11
	v_min_u32_e32 v12, 32, v12
	s_delay_alu instid0(VALU_DEP_1) | instskip(SKIP_1) | instid1(VALU_DEP_2)
	v_subrev_nc_u32_e32 v14, 29, v12
	v_sub_nc_u32_e32 v12, 30, v12
	v_lshlrev_b32_e32 v14, v14, v10
	v_bfe_u32 v10, v10, 2, 5
	s_delay_alu instid0(VALU_DEP_2) | instskip(NEXT) | instid1(VALU_DEP_2)
	v_and_b32_e32 v14, 3, v14
	v_cmp_eq_u32_e32 vcc_lo, 0, v10
	s_delay_alu instid0(VALU_DEP_2) | instskip(NEXT) | instid1(VALU_DEP_1)
	v_dual_cndmask_b32 v10, v10, v12 :: v_dual_cndmask_b32 v11, v11, v14
	v_lshl_add_u32 v10, v10, 23, 0x37800000
	s_delay_alu instid0(VALU_DEP_2) | instskip(NEXT) | instid1(VALU_DEP_1)
	v_lshlrev_b32_e32 v11, 21, v11
	v_or3_b32 v9, v9, v10, v11
	s_delay_alu instid0(VALU_DEP_1)
	v_cvt_i32_f32_e32 v10, v9
.LBB361_1210:
	s_or_b32 exec_lo, exec_lo, s3
	s_mov_b32 s2, 0
	s_branch .LBB361_1216
.LBB361_1211:
                                        ; implicit-def: $vgpr10
	s_mov_b32 s2, 0
	s_branch .LBB361_1222
.LBB361_1212:
	s_or_saveexec_b32 s10, s10
	v_mov_b32_e32 v10, s11
	s_xor_b32 exec_lo, exec_lo, s10
	s_cbranch_execz .LBB361_1198
.LBB361_1213:
	v_cmp_ne_u16_e32 vcc_lo, 0, v9
	v_mov_b32_e32 v10, 0
	s_and_not1_b32 s3, s3, exec_lo
	s_and_b32 s11, vcc_lo, exec_lo
	s_delay_alu instid0(SALU_CYCLE_1)
	s_or_b32 s3, s3, s11
	s_or_b32 exec_lo, exec_lo, s10
	s_and_saveexec_b32 s10, s3
	s_cbranch_execnz .LBB361_1199
	s_branch .LBB361_1200
.LBB361_1214:
	s_mov_b32 s2, -1
                                        ; implicit-def: $vgpr10
	s_branch .LBB361_1219
.LBB361_1215:
	s_mov_b32 s2, -1
                                        ; implicit-def: $vgpr10
.LBB361_1216:
	s_delay_alu instid0(SALU_CYCLE_1)
	s_and_b32 vcc_lo, exec_lo, s2
	s_cbranch_vccz .LBB361_1218
; %bb.1217:
	global_load_u8 v9, v[7:8], off
	s_waitcnt vmcnt(0)
	v_lshlrev_b32_e32 v9, 24, v9
	s_delay_alu instid0(VALU_DEP_1) | instskip(NEXT) | instid1(VALU_DEP_1)
	v_and_b32_e32 v10, 0x7f000000, v9
	v_clz_i32_u32_e32 v11, v10
	v_add_nc_u32_e32 v14, 0x1000000, v10
	v_cmp_ne_u32_e32 vcc_lo, 0, v10
	s_delay_alu instid0(VALU_DEP_3) | instskip(NEXT) | instid1(VALU_DEP_1)
	v_min_u32_e32 v11, 32, v11
	v_sub_nc_u32_e64 v11, v11, 4 clamp
	s_delay_alu instid0(VALU_DEP_1) | instskip(SKIP_1) | instid1(VALU_DEP_2)
	v_lshlrev_b32_e32 v12, v11, v10
	v_lshlrev_b32_e32 v11, 23, v11
	v_lshrrev_b32_e32 v12, 4, v12
	s_delay_alu instid0(VALU_DEP_1) | instskip(SKIP_1) | instid1(VALU_DEP_2)
	v_sub_nc_u32_e32 v11, v12, v11
	v_ashrrev_i32_e32 v12, 8, v14
	v_add_nc_u32_e32 v11, 0x3c000000, v11
	s_delay_alu instid0(VALU_DEP_1) | instskip(NEXT) | instid1(VALU_DEP_1)
	v_and_or_b32 v11, 0x7f800000, v12, v11
	v_cndmask_b32_e32 v10, 0, v11, vcc_lo
	s_delay_alu instid0(VALU_DEP_1) | instskip(NEXT) | instid1(VALU_DEP_1)
	v_and_or_b32 v9, 0x80000000, v9, v10
	v_cvt_i32_f32_e32 v10, v9
.LBB361_1218:
	s_mov_b32 s2, 0
.LBB361_1219:
	s_delay_alu instid0(SALU_CYCLE_1)
	s_and_not1_b32 vcc_lo, exec_lo, s2
	s_cbranch_vccnz .LBB361_1221
; %bb.1220:
	global_load_u8 v9, v[7:8], off
	s_waitcnt vmcnt(0)
	v_lshlrev_b32_e32 v10, 25, v9
	v_lshlrev_b16 v9, 8, v9
	s_delay_alu instid0(VALU_DEP_2) | instskip(NEXT) | instid1(VALU_DEP_2)
	v_lshrrev_b32_e32 v11, 4, v10
	v_and_or_b32 v12, 0x7f00, v9, 0.5
	v_bfe_i32 v9, v9, 0, 16
	s_delay_alu instid0(VALU_DEP_3) | instskip(NEXT) | instid1(VALU_DEP_1)
	v_or_b32_e32 v11, 0x70000000, v11
	v_dual_add_f32 v12, -0.5, v12 :: v_dual_mul_f32 v11, 0x7800000, v11
	v_cmp_gt_u32_e32 vcc_lo, 0x8000000, v10
	s_delay_alu instid0(VALU_DEP_2) | instskip(NEXT) | instid1(VALU_DEP_1)
	v_cndmask_b32_e32 v10, v11, v12, vcc_lo
	v_and_or_b32 v9, 0x80000000, v9, v10
	s_delay_alu instid0(VALU_DEP_1)
	v_cvt_i32_f32_e32 v10, v9
.LBB361_1221:
	s_mov_b32 s3, -1
	s_mov_b32 s2, 0
	s_cbranch_execnz .LBB361_1232
.LBB361_1222:
	v_cmp_lt_i16_e32 vcc_lo, 14, v13
	s_cbranch_vccz .LBB361_1225
; %bb.1223:
	v_cmp_eq_u16_e32 vcc_lo, 15, v13
	s_cbranch_vccz .LBB361_1228
; %bb.1224:
	global_load_u16 v9, v[7:8], off
	s_mov_b32 s1, 0
	s_mov_b32 s3, -1
	s_waitcnt vmcnt(0)
	v_lshlrev_b32_e32 v9, 16, v9
	s_delay_alu instid0(VALU_DEP_1)
	v_cvt_i32_f32_e32 v10, v9
	s_branch .LBB361_1230
.LBB361_1225:
	s_mov_b32 s2, -1
	s_branch .LBB361_1229
.LBB361_1226:
	s_or_saveexec_b32 s3, s3
	v_mov_b32_e32 v10, s10
	s_xor_b32 exec_lo, exec_lo, s3
	s_cbranch_execz .LBB361_1208
.LBB361_1227:
	v_cmp_ne_u16_e32 vcc_lo, 0, v9
	v_mov_b32_e32 v10, 0
	s_and_not1_b32 s2, s2, exec_lo
	s_and_b32 s10, vcc_lo, exec_lo
	s_delay_alu instid0(SALU_CYCLE_1)
	s_or_b32 s2, s2, s10
	s_or_b32 exec_lo, exec_lo, s3
	s_and_saveexec_b32 s3, s2
	s_cbranch_execnz .LBB361_1209
	s_branch .LBB361_1210
.LBB361_1228:
	s_mov_b32 s1, -1
.LBB361_1229:
                                        ; implicit-def: $vgpr10
.LBB361_1230:
	s_and_b32 vcc_lo, exec_lo, s2
	s_mov_b32 s2, 0
	s_cbranch_vccz .LBB361_1232
; %bb.1231:
	v_cmp_ne_u16_e64 s1, 11, v13
	s_mov_b32 s2, -1
                                        ; implicit-def: $vgpr10
.LBB361_1232:
	s_delay_alu instid0(VALU_DEP_1)
	s_and_b32 vcc_lo, exec_lo, s1
	s_mov_b32 s1, s8
	s_cbranch_vccnz .LBB361_1256
; %bb.1233:
	s_and_not1_b32 vcc_lo, exec_lo, s2
	s_cbranch_vccnz .LBB361_1235
.LBB361_1234:
	global_load_u8 v9, v[7:8], off
	s_mov_b32 s3, -1
	s_waitcnt vmcnt(0)
	v_cmp_ne_u16_e32 vcc_lo, 0, v9
	v_cndmask_b32_e64 v10, 0, 1, vcc_lo
.LBB361_1235:
.LBB361_1236:
	s_and_not1_b32 vcc_lo, exec_lo, s3
	s_cbranch_vccnz .LBB361_2057
.LBB361_1237:
	v_cmp_gt_i16_e32 vcc_lo, 11, v13
	v_add_co_u32 v6, s2, s6, v6
	s_delay_alu instid0(VALU_DEP_1)
	v_add_co_ci_u32_e64 v7, null, s7, 0, s2
	s_mov_b32 s10, 0
	s_cbranch_vccnz .LBB361_1244
; %bb.1238:
	v_cmp_lt_i16_e32 vcc_lo, 25, v13
	s_mov_b32 s3, 0
	s_cbranch_vccz .LBB361_1250
; %bb.1239:
	v_cmp_lt_i16_e32 vcc_lo, 28, v13
	s_cbranch_vccz .LBB361_1252
; %bb.1240:
	v_cmp_lt_i16_e32 vcc_lo, 43, v13
	;; [unrolled: 3-line block ×3, first 2 shown]
	s_cbranch_vccz .LBB361_1260
; %bb.1242:
	v_cmp_eq_u16_e32 vcc_lo, 46, v13
	s_mov_b32 s11, 0
	s_cbranch_vccz .LBB361_1304
; %bb.1243:
	global_load_b32 v8, v[6:7], off
	s_mov_b32 s2, 0
	s_mov_b32 s10, -1
	s_waitcnt vmcnt(0)
	v_lshlrev_b32_e32 v8, 16, v8
	s_delay_alu instid0(VALU_DEP_1)
	v_cvt_i32_f32_e32 v8, v8
	s_branch .LBB361_1306
.LBB361_1244:
                                        ; implicit-def: $vgpr8
	s_cbranch_execz .LBB361_1367
; %bb.1245:
	v_cmp_gt_i16_e32 vcc_lo, 5, v13
	s_cbranch_vccnz .LBB361_1251
; %bb.1246:
	v_cmp_gt_i16_e32 vcc_lo, 8, v13
	s_cbranch_vccnz .LBB361_1253
	;; [unrolled: 3-line block ×3, first 2 shown]
; %bb.1248:
	v_cmp_lt_i16_e32 vcc_lo, 9, v13
	s_cbranch_vccz .LBB361_1261
; %bb.1249:
	global_load_b64 v[8:9], v[6:7], off
	s_mov_b32 s2, 0
	s_waitcnt vmcnt(0)
	v_cvt_i32_f64_e32 v8, v[8:9]
	s_branch .LBB361_1262
.LBB361_1250:
	s_mov_b32 s2, 0
                                        ; implicit-def: $vgpr8
	s_cbranch_execnz .LBB361_1333
	s_branch .LBB361_1363
.LBB361_1251:
                                        ; implicit-def: $vgpr8
	s_branch .LBB361_1280
.LBB361_1252:
	s_mov_b32 s11, -1
	s_mov_b32 s2, 0
                                        ; implicit-def: $vgpr8
	s_branch .LBB361_1316
.LBB361_1253:
	s_mov_b32 s2, -1
                                        ; implicit-def: $vgpr8
	s_branch .LBB361_1268
.LBB361_1254:
	s_mov_b32 s11, -1
	s_mov_b32 s2, 0
                                        ; implicit-def: $vgpr8
	s_branch .LBB361_1311
.LBB361_1255:
	s_mov_b32 s2, -1
                                        ; implicit-def: $vgpr8
	s_branch .LBB361_1265
.LBB361_1256:
	s_cbranch_execnz .LBB361_1300
; %bb.1257:
	s_or_b32 s1, s8, exec_lo
                                        ; implicit-def: $vgpr10
	s_cbranch_execz .LBB361_1234
	s_branch .LBB361_1235
.LBB361_1258:
	s_or_saveexec_b32 s7, s7
                                        ; implicit-def: $sgpr8
	s_delay_alu instid0(SALU_CYCLE_1)
	s_xor_b32 exec_lo, exec_lo, s7
	s_cbranch_execz .LBB361_971
.LBB361_1259:
	v_add_f32_e64 v3, 0x46000000, |v0|
	s_and_not1_b32 s5, s5, exec_lo
	s_mov_b32 s8, 0
	s_delay_alu instid0(VALU_DEP_1) | instskip(NEXT) | instid1(VALU_DEP_1)
	v_and_b32_e32 v3, 0xff, v3
	v_cmp_ne_u32_e32 vcc_lo, 0, v3
	s_and_b32 s9, vcc_lo, exec_lo
	s_delay_alu instid0(SALU_CYCLE_1)
	s_or_b32 s5, s5, s9
	s_or_b32 exec_lo, exec_lo, s7
	v_mov_b32_e32 v6, s8
	s_and_saveexec_b32 s7, s5
	s_cbranch_execnz .LBB361_972
	s_branch .LBB361_973
.LBB361_1260:
	s_mov_b32 s11, -1
	s_mov_b32 s2, 0
	s_branch .LBB361_1305
.LBB361_1261:
	s_mov_b32 s2, -1
                                        ; implicit-def: $vgpr8
.LBB361_1262:
	s_delay_alu instid0(SALU_CYCLE_1)
	s_and_not1_b32 vcc_lo, exec_lo, s2
	s_cbranch_vccnz .LBB361_1264
; %bb.1263:
	global_load_b32 v8, v[6:7], off
	s_waitcnt vmcnt(0)
	v_cvt_i32_f32_e32 v8, v8
.LBB361_1264:
	s_mov_b32 s2, 0
.LBB361_1265:
	s_delay_alu instid0(SALU_CYCLE_1)
	s_and_not1_b32 vcc_lo, exec_lo, s2
	s_cbranch_vccnz .LBB361_1267
; %bb.1266:
	global_load_b32 v8, v[6:7], off
	s_waitcnt vmcnt(0)
	v_cvt_i16_f16_e32 v8, v8
.LBB361_1267:
	s_mov_b32 s2, 0
.LBB361_1268:
	s_delay_alu instid0(SALU_CYCLE_1)
	s_and_not1_b32 vcc_lo, exec_lo, s2
	s_cbranch_vccnz .LBB361_1279
; %bb.1269:
	v_cmp_gt_i16_e32 vcc_lo, 6, v13
	s_cbranch_vccnz .LBB361_1272
; %bb.1270:
	v_cmp_lt_i16_e32 vcc_lo, 6, v13
	s_cbranch_vccz .LBB361_1273
; %bb.1271:
	global_load_b64 v[8:9], v[6:7], off
	s_mov_b32 s2, 0
	s_waitcnt vmcnt(0)
	v_cvt_i32_f64_e32 v8, v[8:9]
	s_branch .LBB361_1274
.LBB361_1272:
	s_mov_b32 s2, -1
                                        ; implicit-def: $vgpr8
	s_branch .LBB361_1277
.LBB361_1273:
	s_mov_b32 s2, -1
                                        ; implicit-def: $vgpr8
.LBB361_1274:
	s_delay_alu instid0(SALU_CYCLE_1)
	s_and_not1_b32 vcc_lo, exec_lo, s2
	s_cbranch_vccnz .LBB361_1276
; %bb.1275:
	global_load_b32 v8, v[6:7], off
	s_waitcnt vmcnt(0)
	v_cvt_i32_f32_e32 v8, v8
.LBB361_1276:
	s_mov_b32 s2, 0
.LBB361_1277:
	s_delay_alu instid0(SALU_CYCLE_1)
	s_and_not1_b32 vcc_lo, exec_lo, s2
	s_cbranch_vccnz .LBB361_1279
; %bb.1278:
	global_load_u16 v8, v[6:7], off
	s_waitcnt vmcnt(0)
	v_cvt_i16_f16_e32 v8, v8
.LBB361_1279:
	s_cbranch_execnz .LBB361_1299
.LBB361_1280:
	v_cmp_gt_i16_e32 vcc_lo, 2, v13
	s_cbranch_vccnz .LBB361_1284
; %bb.1281:
	v_cmp_gt_i16_e32 vcc_lo, 3, v13
	s_cbranch_vccnz .LBB361_1285
; %bb.1282:
	v_cmp_lt_i16_e32 vcc_lo, 3, v13
	s_cbranch_vccz .LBB361_1286
; %bb.1283:
	global_load_b64 v[8:9], v[6:7], off
	s_mov_b32 s2, 0
	s_branch .LBB361_1287
.LBB361_1284:
	s_mov_b32 s2, -1
                                        ; implicit-def: $vgpr8
	s_branch .LBB361_1293
.LBB361_1285:
	s_mov_b32 s2, -1
                                        ; implicit-def: $vgpr8
	s_branch .LBB361_1290
.LBB361_1286:
	s_mov_b32 s2, -1
                                        ; implicit-def: $vgpr8
.LBB361_1287:
	s_delay_alu instid0(SALU_CYCLE_1)
	s_and_not1_b32 vcc_lo, exec_lo, s2
	s_cbranch_vccnz .LBB361_1289
; %bb.1288:
	global_load_b32 v8, v[6:7], off
.LBB361_1289:
	s_mov_b32 s2, 0
.LBB361_1290:
	s_delay_alu instid0(SALU_CYCLE_1)
	s_and_not1_b32 vcc_lo, exec_lo, s2
	s_cbranch_vccnz .LBB361_1292
; %bb.1291:
	global_load_u16 v8, v[6:7], off
.LBB361_1292:
	s_mov_b32 s2, 0
.LBB361_1293:
	s_delay_alu instid0(SALU_CYCLE_1)
	s_and_not1_b32 vcc_lo, exec_lo, s2
	s_cbranch_vccnz .LBB361_1299
; %bb.1294:
	v_cmp_lt_i16_e32 vcc_lo, 0, v13
	s_mov_b32 s2, 0
	s_cbranch_vccz .LBB361_1296
; %bb.1295:
	global_load_u8 v8, v[6:7], off
	s_branch .LBB361_1297
.LBB361_1296:
	s_mov_b32 s2, -1
                                        ; implicit-def: $vgpr8
.LBB361_1297:
	s_delay_alu instid0(SALU_CYCLE_1)
	s_and_not1_b32 vcc_lo, exec_lo, s2
	s_cbranch_vccnz .LBB361_1299
; %bb.1298:
	global_load_u8 v8, v[6:7], off
.LBB361_1299:
	s_branch .LBB361_1368
.LBB361_1300:
	s_trap 2
	s_sendmsg_rtn_b32 s0, sendmsg(MSG_RTN_GET_DOORBELL)
	s_mov_b32 ttmp2, m0
	s_waitcnt lgkmcnt(0)
	s_and_b32 s0, s0, 0x3ff
	s_delay_alu instid0(SALU_CYCLE_1) | instskip(NEXT) | instid1(SALU_CYCLE_1)
	s_bitset1_b32 s0, 10
	s_mov_b32 m0, s0
	s_sendmsg sendmsg(MSG_INTERRUPT)
	s_mov_b32 m0, ttmp2
.LBB361_1301:                           ; =>This Inner Loop Header: Depth=1
	s_sethalt 5
	s_branch .LBB361_1301
.LBB361_1302:
	s_or_saveexec_b32 s8, s8
                                        ; implicit-def: $sgpr9
	s_delay_alu instid0(SALU_CYCLE_1)
	s_xor_b32 exec_lo, exec_lo, s8
	s_cbranch_execz .LBB361_983
.LBB361_1303:
	v_add_f32_e64 v3, 0x42800000, |v0|
	s_and_not1_b32 s7, s7, exec_lo
	s_mov_b32 s9, 0
	s_delay_alu instid0(VALU_DEP_1) | instskip(NEXT) | instid1(VALU_DEP_1)
	v_and_b32_e32 v3, 0xff, v3
	v_cmp_ne_u32_e32 vcc_lo, 0, v3
	s_and_b32 s10, vcc_lo, exec_lo
	s_delay_alu instid0(SALU_CYCLE_1)
	s_or_b32 s7, s7, s10
	s_or_b32 exec_lo, exec_lo, s8
	v_mov_b32_e32 v6, s9
	s_and_saveexec_b32 s8, s7
	s_cbranch_execnz .LBB361_984
	s_branch .LBB361_985
.LBB361_1304:
	s_mov_b32 s2, -1
.LBB361_1305:
                                        ; implicit-def: $vgpr8
.LBB361_1306:
	s_and_b32 vcc_lo, exec_lo, s11
	s_cbranch_vccz .LBB361_1310
; %bb.1307:
	v_cmp_eq_u16_e32 vcc_lo, 44, v13
	s_cbranch_vccz .LBB361_1309
; %bb.1308:
	global_load_u8 v8, v[6:7], off
	s_mov_b32 s2, 0
	s_mov_b32 s10, -1
	s_waitcnt vmcnt(0)
	v_lshlrev_b32_e32 v9, 23, v8
	v_cmp_ne_u32_e32 vcc_lo, 0, v8
	s_delay_alu instid0(VALU_DEP_2) | instskip(NEXT) | instid1(VALU_DEP_1)
	v_cvt_i32_f32_e32 v9, v9
	v_cndmask_b32_e32 v8, 0, v9, vcc_lo
	s_branch .LBB361_1310
.LBB361_1309:
	s_mov_b32 s2, -1
                                        ; implicit-def: $vgpr8
.LBB361_1310:
	s_mov_b32 s11, 0
.LBB361_1311:
	s_delay_alu instid0(SALU_CYCLE_1)
	s_and_b32 vcc_lo, exec_lo, s11
	s_cbranch_vccz .LBB361_1315
; %bb.1312:
	v_cmp_eq_u16_e32 vcc_lo, 29, v13
	s_cbranch_vccz .LBB361_1314
; %bb.1313:
	global_load_b64 v[8:9], v[6:7], off
	s_mov_b32 s2, 0
	s_mov_b32 s10, -1
	s_branch .LBB361_1315
.LBB361_1314:
	s_mov_b32 s2, -1
                                        ; implicit-def: $vgpr8
.LBB361_1315:
	s_mov_b32 s11, 0
.LBB361_1316:
	s_delay_alu instid0(SALU_CYCLE_1)
	s_and_b32 vcc_lo, exec_lo, s11
	s_cbranch_vccz .LBB361_1332
; %bb.1317:
	v_cmp_gt_i16_e32 vcc_lo, 27, v13
	s_cbranch_vccnz .LBB361_1320
; %bb.1318:
	v_cmp_lt_i16_e32 vcc_lo, 27, v13
	s_cbranch_vccz .LBB361_1321
; %bb.1319:
	global_load_b32 v8, v[6:7], off
	s_mov_b32 s10, 0
	s_branch .LBB361_1322
.LBB361_1320:
	s_mov_b32 s10, -1
                                        ; implicit-def: $vgpr8
	s_branch .LBB361_1325
.LBB361_1321:
	s_mov_b32 s10, -1
                                        ; implicit-def: $vgpr8
.LBB361_1322:
	s_delay_alu instid0(SALU_CYCLE_1)
	s_and_not1_b32 vcc_lo, exec_lo, s10
	s_cbranch_vccnz .LBB361_1324
; %bb.1323:
	global_load_u16 v8, v[6:7], off
.LBB361_1324:
	s_mov_b32 s10, 0
.LBB361_1325:
	s_delay_alu instid0(SALU_CYCLE_1)
	s_and_not1_b32 vcc_lo, exec_lo, s10
	s_cbranch_vccnz .LBB361_1331
; %bb.1326:
	global_load_u8 v9, v[6:7], off
	s_mov_b32 s10, 0
	s_mov_b32 s11, exec_lo
                                        ; implicit-def: $sgpr12
	s_waitcnt vmcnt(0)
	v_cmpx_lt_i16_e32 0x7f, v9
	s_xor_b32 s11, exec_lo, s11
	s_cbranch_execz .LBB361_1342
; %bb.1327:
	v_cmp_ne_u16_e32 vcc_lo, 0x80, v9
	s_mov_b32 s12, 0
	s_and_b32 s10, vcc_lo, exec_lo
	s_or_saveexec_b32 s11, s11
	v_mov_b32_e32 v8, s12
	s_xor_b32 exec_lo, exec_lo, s11
	s_cbranch_execnz .LBB361_1343
.LBB361_1328:
	s_or_b32 exec_lo, exec_lo, s11
	s_and_saveexec_b32 s11, s10
	s_cbranch_execz .LBB361_1330
.LBB361_1329:
	v_and_b32_e32 v8, 0xffff, v9
	s_delay_alu instid0(VALU_DEP_1) | instskip(NEXT) | instid1(VALU_DEP_1)
	v_and_b32_e32 v11, 7, v8
	v_clz_i32_u32_e32 v12, v11
	s_delay_alu instid0(VALU_DEP_1) | instskip(NEXT) | instid1(VALU_DEP_1)
	v_min_u32_e32 v12, 32, v12
	v_subrev_nc_u32_e32 v14, 28, v12
	v_sub_nc_u32_e32 v12, 29, v12
	s_delay_alu instid0(VALU_DEP_2) | instskip(SKIP_1) | instid1(VALU_DEP_2)
	v_lshlrev_b32_e32 v14, v14, v8
	v_bfe_u32 v8, v8, 3, 4
	v_and_b32_e32 v14, 7, v14
	s_delay_alu instid0(VALU_DEP_2) | instskip(SKIP_1) | instid1(VALU_DEP_3)
	v_cmp_eq_u32_e32 vcc_lo, 0, v8
	v_dual_cndmask_b32 v8, v8, v12 :: v_dual_lshlrev_b32 v9, 24, v9
	v_cndmask_b32_e32 v11, v11, v14, vcc_lo
	s_delay_alu instid0(VALU_DEP_2) | instskip(NEXT) | instid1(VALU_DEP_3)
	v_and_b32_e32 v9, 0x80000000, v9
	v_lshl_add_u32 v8, v8, 23, 0x3b800000
	s_delay_alu instid0(VALU_DEP_3) | instskip(NEXT) | instid1(VALU_DEP_1)
	v_lshlrev_b32_e32 v11, 20, v11
	v_or3_b32 v8, v9, v8, v11
	s_delay_alu instid0(VALU_DEP_1)
	v_cvt_i32_f32_e32 v8, v8
.LBB361_1330:
	s_or_b32 exec_lo, exec_lo, s11
.LBB361_1331:
	s_mov_b32 s10, -1
.LBB361_1332:
	s_branch .LBB361_1363
.LBB361_1333:
	v_cmp_lt_i16_e32 vcc_lo, 22, v13
	s_cbranch_vccz .LBB361_1341
; %bb.1334:
	v_cmp_gt_i16_e32 vcc_lo, 24, v13
	s_cbranch_vccnz .LBB361_1344
; %bb.1335:
	v_cmp_lt_i16_e32 vcc_lo, 24, v13
	s_cbranch_vccz .LBB361_1345
; %bb.1336:
	global_load_u8 v9, v[6:7], off
	s_mov_b32 s10, exec_lo
                                        ; implicit-def: $sgpr11
	s_waitcnt vmcnt(0)
	v_cmpx_lt_i16_e32 0x7f, v9
	s_xor_b32 s10, exec_lo, s10
	s_cbranch_execz .LBB361_1357
; %bb.1337:
	v_cmp_ne_u16_e32 vcc_lo, 0x80, v9
	s_mov_b32 s11, 0
	s_and_b32 s3, vcc_lo, exec_lo
	s_or_saveexec_b32 s10, s10
	v_mov_b32_e32 v8, s11
	s_xor_b32 exec_lo, exec_lo, s10
	s_cbranch_execnz .LBB361_1358
.LBB361_1338:
	s_or_b32 exec_lo, exec_lo, s10
	s_and_saveexec_b32 s10, s3
	s_cbranch_execz .LBB361_1340
.LBB361_1339:
	v_and_b32_e32 v8, 0xffff, v9
	s_delay_alu instid0(VALU_DEP_1) | instskip(NEXT) | instid1(VALU_DEP_1)
	v_and_b32_e32 v11, 3, v8
	v_clz_i32_u32_e32 v12, v11
	s_delay_alu instid0(VALU_DEP_1) | instskip(NEXT) | instid1(VALU_DEP_1)
	v_min_u32_e32 v12, 32, v12
	v_subrev_nc_u32_e32 v14, 29, v12
	v_sub_nc_u32_e32 v12, 30, v12
	s_delay_alu instid0(VALU_DEP_2) | instskip(SKIP_1) | instid1(VALU_DEP_2)
	v_lshlrev_b32_e32 v14, v14, v8
	v_bfe_u32 v8, v8, 2, 5
	v_and_b32_e32 v14, 3, v14
	s_delay_alu instid0(VALU_DEP_2) | instskip(SKIP_1) | instid1(VALU_DEP_3)
	v_cmp_eq_u32_e32 vcc_lo, 0, v8
	v_dual_cndmask_b32 v8, v8, v12 :: v_dual_lshlrev_b32 v9, 24, v9
	v_cndmask_b32_e32 v11, v11, v14, vcc_lo
	s_delay_alu instid0(VALU_DEP_2) | instskip(NEXT) | instid1(VALU_DEP_3)
	v_and_b32_e32 v9, 0x80000000, v9
	v_lshl_add_u32 v8, v8, 23, 0x37800000
	s_delay_alu instid0(VALU_DEP_3) | instskip(NEXT) | instid1(VALU_DEP_1)
	v_lshlrev_b32_e32 v11, 21, v11
	v_or3_b32 v8, v9, v8, v11
	s_delay_alu instid0(VALU_DEP_1)
	v_cvt_i32_f32_e32 v8, v8
.LBB361_1340:
	s_or_b32 exec_lo, exec_lo, s10
	s_mov_b32 s3, 0
	s_branch .LBB361_1346
.LBB361_1341:
	s_mov_b32 s3, -1
                                        ; implicit-def: $vgpr8
	s_branch .LBB361_1352
.LBB361_1342:
	s_or_saveexec_b32 s11, s11
	v_mov_b32_e32 v8, s12
	s_xor_b32 exec_lo, exec_lo, s11
	s_cbranch_execz .LBB361_1328
.LBB361_1343:
	v_cmp_ne_u16_e32 vcc_lo, 0, v9
	v_mov_b32_e32 v8, 0
	s_and_not1_b32 s10, s10, exec_lo
	s_and_b32 s12, vcc_lo, exec_lo
	s_delay_alu instid0(SALU_CYCLE_1)
	s_or_b32 s10, s10, s12
	s_or_b32 exec_lo, exec_lo, s11
	s_and_saveexec_b32 s11, s10
	s_cbranch_execnz .LBB361_1329
	s_branch .LBB361_1330
.LBB361_1344:
	s_mov_b32 s3, -1
                                        ; implicit-def: $vgpr8
	s_branch .LBB361_1349
.LBB361_1345:
	s_mov_b32 s3, -1
                                        ; implicit-def: $vgpr8
.LBB361_1346:
	s_delay_alu instid0(SALU_CYCLE_1)
	s_and_b32 vcc_lo, exec_lo, s3
	s_cbranch_vccz .LBB361_1348
; %bb.1347:
	global_load_u8 v8, v[6:7], off
	s_waitcnt vmcnt(0)
	v_lshlrev_b32_e32 v8, 24, v8
	s_delay_alu instid0(VALU_DEP_1) | instskip(NEXT) | instid1(VALU_DEP_1)
	v_and_b32_e32 v9, 0x7f000000, v8
	v_clz_i32_u32_e32 v11, v9
	v_add_nc_u32_e32 v14, 0x1000000, v9
	v_cmp_ne_u32_e32 vcc_lo, 0, v9
	s_delay_alu instid0(VALU_DEP_3) | instskip(NEXT) | instid1(VALU_DEP_1)
	v_min_u32_e32 v11, 32, v11
	v_sub_nc_u32_e64 v11, v11, 4 clamp
	s_delay_alu instid0(VALU_DEP_1) | instskip(SKIP_1) | instid1(VALU_DEP_2)
	v_lshlrev_b32_e32 v12, v11, v9
	v_lshlrev_b32_e32 v11, 23, v11
	v_lshrrev_b32_e32 v12, 4, v12
	s_delay_alu instid0(VALU_DEP_1) | instskip(SKIP_1) | instid1(VALU_DEP_2)
	v_sub_nc_u32_e32 v11, v12, v11
	v_ashrrev_i32_e32 v12, 8, v14
	v_add_nc_u32_e32 v11, 0x3c000000, v11
	s_delay_alu instid0(VALU_DEP_1) | instskip(NEXT) | instid1(VALU_DEP_1)
	v_and_or_b32 v11, 0x7f800000, v12, v11
	v_cndmask_b32_e32 v9, 0, v11, vcc_lo
	s_delay_alu instid0(VALU_DEP_1) | instskip(NEXT) | instid1(VALU_DEP_1)
	v_and_or_b32 v8, 0x80000000, v8, v9
	v_cvt_i32_f32_e32 v8, v8
.LBB361_1348:
	s_mov_b32 s3, 0
.LBB361_1349:
	s_delay_alu instid0(SALU_CYCLE_1)
	s_and_not1_b32 vcc_lo, exec_lo, s3
	s_cbranch_vccnz .LBB361_1351
; %bb.1350:
	global_load_u8 v8, v[6:7], off
	s_waitcnt vmcnt(0)
	v_lshlrev_b32_e32 v9, 25, v8
	v_lshlrev_b16 v8, 8, v8
	s_delay_alu instid0(VALU_DEP_2) | instskip(NEXT) | instid1(VALU_DEP_2)
	v_lshrrev_b32_e32 v11, 4, v9
	v_and_or_b32 v12, 0x7f00, v8, 0.5
	v_cmp_gt_u32_e32 vcc_lo, 0x8000000, v9
	v_bfe_i32 v8, v8, 0, 16
	s_delay_alu instid0(VALU_DEP_4) | instskip(NEXT) | instid1(VALU_DEP_1)
	v_or_b32_e32 v11, 0x70000000, v11
	v_dual_add_f32 v12, -0.5, v12 :: v_dual_mul_f32 v11, 0x7800000, v11
	s_delay_alu instid0(VALU_DEP_1) | instskip(NEXT) | instid1(VALU_DEP_1)
	v_cndmask_b32_e32 v9, v11, v12, vcc_lo
	v_and_or_b32 v8, 0x80000000, v8, v9
	s_delay_alu instid0(VALU_DEP_1)
	v_cvt_i32_f32_e32 v8, v8
.LBB361_1351:
	s_mov_b32 s3, 0
	s_mov_b32 s10, -1
.LBB361_1352:
	s_and_not1_b32 vcc_lo, exec_lo, s3
	s_mov_b32 s3, 0
	s_cbranch_vccnz .LBB361_1363
; %bb.1353:
	v_cmp_lt_i16_e32 vcc_lo, 14, v13
	s_cbranch_vccz .LBB361_1356
; %bb.1354:
	v_cmp_eq_u16_e32 vcc_lo, 15, v13
	s_cbranch_vccz .LBB361_1359
; %bb.1355:
	global_load_u16 v8, v[6:7], off
	s_mov_b32 s2, 0
	s_mov_b32 s10, -1
	s_waitcnt vmcnt(0)
	v_lshlrev_b32_e32 v8, 16, v8
	s_delay_alu instid0(VALU_DEP_1)
	v_cvt_i32_f32_e32 v8, v8
	s_branch .LBB361_1361
.LBB361_1356:
	s_mov_b32 s3, -1
	s_branch .LBB361_1360
.LBB361_1357:
	s_or_saveexec_b32 s10, s10
	v_mov_b32_e32 v8, s11
	s_xor_b32 exec_lo, exec_lo, s10
	s_cbranch_execz .LBB361_1338
.LBB361_1358:
	v_cmp_ne_u16_e32 vcc_lo, 0, v9
	v_mov_b32_e32 v8, 0
	s_and_not1_b32 s3, s3, exec_lo
	s_and_b32 s11, vcc_lo, exec_lo
	s_delay_alu instid0(SALU_CYCLE_1)
	s_or_b32 s3, s3, s11
	s_or_b32 exec_lo, exec_lo, s10
	s_and_saveexec_b32 s10, s3
	s_cbranch_execnz .LBB361_1339
	s_branch .LBB361_1340
.LBB361_1359:
	s_mov_b32 s2, -1
.LBB361_1360:
                                        ; implicit-def: $vgpr8
.LBB361_1361:
	s_and_b32 vcc_lo, exec_lo, s3
	s_mov_b32 s3, 0
	s_cbranch_vccz .LBB361_1363
; %bb.1362:
	v_cmp_ne_u16_e64 s2, 11, v13
	s_mov_b32 s3, -1
                                        ; implicit-def: $vgpr8
.LBB361_1363:
	s_delay_alu instid0(VALU_DEP_1)
	s_and_b32 vcc_lo, exec_lo, s2
	s_cbranch_vccnz .LBB361_1387
; %bb.1364:
	s_and_not1_b32 vcc_lo, exec_lo, s3
	s_cbranch_vccnz .LBB361_1366
.LBB361_1365:
	global_load_u8 v8, v[6:7], off
	s_mov_b32 s10, -1
	s_waitcnt vmcnt(0)
	v_cmp_ne_u16_e32 vcc_lo, 0, v8
	v_cndmask_b32_e64 v8, 0, 1, vcc_lo
.LBB361_1366:
.LBB361_1367:
	s_and_not1_b32 vcc_lo, exec_lo, s10
	s_cbranch_vccnz .LBB361_2057
.LBB361_1368:
	v_cmp_gt_i16_e32 vcc_lo, 11, v13
	s_waitcnt vmcnt(0)
	v_add_co_u32 v11, s2, s6, v5
	s_delay_alu instid0(VALU_DEP_1)
	v_add_co_ci_u32_e64 v12, null, s7, 0, s2
	s_mov_b32 s10, 0
	s_cbranch_vccnz .LBB361_1375
; %bb.1369:
	v_cmp_lt_i16_e32 vcc_lo, 25, v13
	s_mov_b32 s3, 0
	s_cbranch_vccz .LBB361_1381
; %bb.1370:
	v_cmp_lt_i16_e32 vcc_lo, 28, v13
	s_cbranch_vccz .LBB361_1383
; %bb.1371:
	v_cmp_lt_i16_e32 vcc_lo, 43, v13
	;; [unrolled: 3-line block ×3, first 2 shown]
	s_cbranch_vccz .LBB361_1389
; %bb.1373:
	v_cmp_eq_u16_e32 vcc_lo, 46, v13
	s_mov_b32 s11, 0
	s_cbranch_vccz .LBB361_1432
; %bb.1374:
	global_load_b32 v5, v[11:12], off
	s_mov_b32 s2, 0
	s_mov_b32 s10, -1
	s_waitcnt vmcnt(0)
	v_lshlrev_b32_e32 v5, 16, v5
	s_delay_alu instid0(VALU_DEP_1)
	v_cvt_i32_f32_e32 v6, v5
	s_branch .LBB361_1434
.LBB361_1375:
                                        ; implicit-def: $vgpr6
	s_cbranch_execz .LBB361_1496
; %bb.1376:
	v_cmp_gt_i16_e32 vcc_lo, 5, v13
	s_cbranch_vccnz .LBB361_1382
; %bb.1377:
	v_cmp_gt_i16_e32 vcc_lo, 8, v13
	s_cbranch_vccnz .LBB361_1384
	;; [unrolled: 3-line block ×3, first 2 shown]
; %bb.1379:
	v_cmp_lt_i16_e32 vcc_lo, 9, v13
	s_cbranch_vccz .LBB361_1390
; %bb.1380:
	global_load_b64 v[5:6], v[11:12], off
	s_mov_b32 s2, 0
	s_waitcnt vmcnt(0)
	v_cvt_i32_f64_e32 v6, v[5:6]
	s_branch .LBB361_1391
.LBB361_1381:
	s_mov_b32 s11, -1
	s_mov_b32 s2, 0
                                        ; implicit-def: $vgpr6
	s_branch .LBB361_1461
.LBB361_1382:
	s_mov_b32 s2, -1
                                        ; implicit-def: $vgpr6
	s_branch .LBB361_1409
.LBB361_1383:
	s_mov_b32 s11, -1
	s_mov_b32 s2, 0
                                        ; implicit-def: $vgpr6
	s_branch .LBB361_1444
.LBB361_1384:
	s_mov_b32 s2, -1
                                        ; implicit-def: $vgpr6
	s_branch .LBB361_1397
.LBB361_1385:
	s_mov_b32 s11, -1
	s_mov_b32 s2, 0
                                        ; implicit-def: $vgpr6
	s_branch .LBB361_1439
.LBB361_1386:
	s_mov_b32 s2, -1
                                        ; implicit-def: $vgpr6
	s_branch .LBB361_1394
.LBB361_1387:
	s_cbranch_execnz .LBB361_1430
; %bb.1388:
	s_or_b32 s1, s1, exec_lo
                                        ; implicit-def: $vgpr8
	s_cbranch_execz .LBB361_1365
	s_branch .LBB361_1366
.LBB361_1389:
	s_mov_b32 s11, -1
	s_mov_b32 s2, 0
	s_branch .LBB361_1433
.LBB361_1390:
	s_mov_b32 s2, -1
                                        ; implicit-def: $vgpr6
.LBB361_1391:
	s_delay_alu instid0(SALU_CYCLE_1)
	s_and_not1_b32 vcc_lo, exec_lo, s2
	s_cbranch_vccnz .LBB361_1393
; %bb.1392:
	global_load_b32 v5, v[11:12], off
	s_waitcnt vmcnt(0)
	v_cvt_i32_f32_e32 v6, v5
.LBB361_1393:
	s_mov_b32 s2, 0
.LBB361_1394:
	s_delay_alu instid0(SALU_CYCLE_1)
	s_and_not1_b32 vcc_lo, exec_lo, s2
	s_cbranch_vccnz .LBB361_1396
; %bb.1395:
	global_load_b32 v5, v[11:12], off
	s_waitcnt vmcnt(0)
	v_cvt_i16_f16_e32 v6, v5
.LBB361_1396:
	s_mov_b32 s2, 0
.LBB361_1397:
	s_delay_alu instid0(SALU_CYCLE_1)
	s_and_not1_b32 vcc_lo, exec_lo, s2
	s_cbranch_vccnz .LBB361_1408
; %bb.1398:
	v_cmp_gt_i16_e32 vcc_lo, 6, v13
	s_cbranch_vccnz .LBB361_1401
; %bb.1399:
	v_cmp_lt_i16_e32 vcc_lo, 6, v13
	s_cbranch_vccz .LBB361_1402
; %bb.1400:
	global_load_b64 v[5:6], v[11:12], off
	s_mov_b32 s2, 0
	s_waitcnt vmcnt(0)
	v_cvt_i32_f64_e32 v6, v[5:6]
	s_branch .LBB361_1403
.LBB361_1401:
	s_mov_b32 s2, -1
                                        ; implicit-def: $vgpr6
	s_branch .LBB361_1406
.LBB361_1402:
	s_mov_b32 s2, -1
                                        ; implicit-def: $vgpr6
.LBB361_1403:
	s_delay_alu instid0(SALU_CYCLE_1)
	s_and_not1_b32 vcc_lo, exec_lo, s2
	s_cbranch_vccnz .LBB361_1405
; %bb.1404:
	global_load_b32 v5, v[11:12], off
	s_waitcnt vmcnt(0)
	v_cvt_i32_f32_e32 v6, v5
.LBB361_1405:
	s_mov_b32 s2, 0
.LBB361_1406:
	s_delay_alu instid0(SALU_CYCLE_1)
	s_and_not1_b32 vcc_lo, exec_lo, s2
	s_cbranch_vccnz .LBB361_1408
; %bb.1407:
	global_load_u16 v5, v[11:12], off
	s_waitcnt vmcnt(0)
	v_cvt_i16_f16_e32 v6, v5
.LBB361_1408:
	s_mov_b32 s2, 0
.LBB361_1409:
	s_delay_alu instid0(SALU_CYCLE_1)
	s_and_not1_b32 vcc_lo, exec_lo, s2
	s_cbranch_vccnz .LBB361_1429
; %bb.1410:
	v_cmp_gt_i16_e32 vcc_lo, 2, v13
	s_cbranch_vccnz .LBB361_1414
; %bb.1411:
	v_cmp_gt_i16_e32 vcc_lo, 3, v13
	s_cbranch_vccnz .LBB361_1415
; %bb.1412:
	v_cmp_lt_i16_e32 vcc_lo, 3, v13
	s_cbranch_vccz .LBB361_1416
; %bb.1413:
	global_load_b64 v[6:7], v[11:12], off
	s_mov_b32 s2, 0
	s_branch .LBB361_1417
.LBB361_1414:
	s_mov_b32 s2, -1
                                        ; implicit-def: $vgpr6
	s_branch .LBB361_1423
.LBB361_1415:
	s_mov_b32 s2, -1
                                        ; implicit-def: $vgpr6
	s_branch .LBB361_1420
.LBB361_1416:
	s_mov_b32 s2, -1
                                        ; implicit-def: $vgpr6
.LBB361_1417:
	s_delay_alu instid0(SALU_CYCLE_1)
	s_and_not1_b32 vcc_lo, exec_lo, s2
	s_cbranch_vccnz .LBB361_1419
; %bb.1418:
	global_load_b32 v6, v[11:12], off
.LBB361_1419:
	s_mov_b32 s2, 0
.LBB361_1420:
	s_delay_alu instid0(SALU_CYCLE_1)
	s_and_not1_b32 vcc_lo, exec_lo, s2
	s_cbranch_vccnz .LBB361_1422
; %bb.1421:
	global_load_u16 v6, v[11:12], off
.LBB361_1422:
	s_mov_b32 s2, 0
.LBB361_1423:
	s_delay_alu instid0(SALU_CYCLE_1)
	s_and_not1_b32 vcc_lo, exec_lo, s2
	s_cbranch_vccnz .LBB361_1429
; %bb.1424:
	v_cmp_lt_i16_e32 vcc_lo, 0, v13
	s_mov_b32 s2, 0
	s_cbranch_vccz .LBB361_1426
; %bb.1425:
	global_load_u8 v6, v[11:12], off
	s_branch .LBB361_1427
.LBB361_1426:
	s_mov_b32 s2, -1
                                        ; implicit-def: $vgpr6
.LBB361_1427:
	s_delay_alu instid0(SALU_CYCLE_1)
	s_and_not1_b32 vcc_lo, exec_lo, s2
	s_cbranch_vccnz .LBB361_1429
; %bb.1428:
	global_load_u8 v6, v[11:12], off
.LBB361_1429:
	s_branch .LBB361_1497
.LBB361_1430:
	s_trap 2
	s_sendmsg_rtn_b32 s0, sendmsg(MSG_RTN_GET_DOORBELL)
	s_mov_b32 ttmp2, m0
	s_waitcnt lgkmcnt(0)
	s_and_b32 s0, s0, 0x3ff
	s_delay_alu instid0(SALU_CYCLE_1) | instskip(NEXT) | instid1(SALU_CYCLE_1)
	s_bitset1_b32 s0, 10
	s_mov_b32 m0, s0
	s_sendmsg sendmsg(MSG_INTERRUPT)
	s_mov_b32 m0, ttmp2
.LBB361_1431:                           ; =>This Inner Loop Header: Depth=1
	s_sethalt 5
	s_branch .LBB361_1431
.LBB361_1432:
	s_mov_b32 s2, -1
.LBB361_1433:
                                        ; implicit-def: $vgpr6
.LBB361_1434:
	s_and_b32 vcc_lo, exec_lo, s11
	s_cbranch_vccz .LBB361_1438
; %bb.1435:
	v_cmp_eq_u16_e32 vcc_lo, 44, v13
	s_cbranch_vccz .LBB361_1437
; %bb.1436:
	global_load_u8 v5, v[11:12], off
	s_mov_b32 s2, 0
	s_mov_b32 s10, -1
	s_waitcnt vmcnt(0)
	v_lshlrev_b32_e32 v6, 23, v5
	v_cmp_ne_u32_e32 vcc_lo, 0, v5
	s_delay_alu instid0(VALU_DEP_2) | instskip(NEXT) | instid1(VALU_DEP_1)
	v_cvt_i32_f32_e32 v6, v6
	v_cndmask_b32_e32 v6, 0, v6, vcc_lo
	s_branch .LBB361_1438
.LBB361_1437:
	s_mov_b32 s2, -1
                                        ; implicit-def: $vgpr6
.LBB361_1438:
	s_mov_b32 s11, 0
.LBB361_1439:
	s_delay_alu instid0(SALU_CYCLE_1)
	s_and_b32 vcc_lo, exec_lo, s11
	s_cbranch_vccz .LBB361_1443
; %bb.1440:
	v_cmp_eq_u16_e32 vcc_lo, 29, v13
	s_cbranch_vccz .LBB361_1442
; %bb.1441:
	global_load_b64 v[6:7], v[11:12], off
	s_mov_b32 s2, 0
	s_mov_b32 s10, -1
	s_branch .LBB361_1443
.LBB361_1442:
	s_mov_b32 s2, -1
                                        ; implicit-def: $vgpr6
.LBB361_1443:
	s_mov_b32 s11, 0
.LBB361_1444:
	s_delay_alu instid0(SALU_CYCLE_1)
	s_and_b32 vcc_lo, exec_lo, s11
	s_cbranch_vccz .LBB361_1460
; %bb.1445:
	v_cmp_gt_i16_e32 vcc_lo, 27, v13
	s_cbranch_vccnz .LBB361_1448
; %bb.1446:
	v_cmp_lt_i16_e32 vcc_lo, 27, v13
	s_cbranch_vccz .LBB361_1449
; %bb.1447:
	global_load_b32 v6, v[11:12], off
	s_mov_b32 s10, 0
	s_branch .LBB361_1450
.LBB361_1448:
	s_mov_b32 s10, -1
                                        ; implicit-def: $vgpr6
	s_branch .LBB361_1453
.LBB361_1449:
	s_mov_b32 s10, -1
                                        ; implicit-def: $vgpr6
.LBB361_1450:
	s_delay_alu instid0(SALU_CYCLE_1)
	s_and_not1_b32 vcc_lo, exec_lo, s10
	s_cbranch_vccnz .LBB361_1452
; %bb.1451:
	global_load_u16 v6, v[11:12], off
.LBB361_1452:
	s_mov_b32 s10, 0
.LBB361_1453:
	s_delay_alu instid0(SALU_CYCLE_1)
	s_and_not1_b32 vcc_lo, exec_lo, s10
	s_cbranch_vccnz .LBB361_1459
; %bb.1454:
	global_load_u8 v5, v[11:12], off
	s_mov_b32 s10, 0
	s_mov_b32 s11, exec_lo
                                        ; implicit-def: $sgpr12
	s_waitcnt vmcnt(0)
	v_cmpx_lt_i16_e32 0x7f, v5
	s_xor_b32 s11, exec_lo, s11
	s_cbranch_execz .LBB361_1471
; %bb.1455:
	v_cmp_ne_u16_e32 vcc_lo, 0x80, v5
	s_mov_b32 s12, 0
	s_and_b32 s10, vcc_lo, exec_lo
	s_or_saveexec_b32 s11, s11
	v_mov_b32_e32 v6, s12
	s_xor_b32 exec_lo, exec_lo, s11
	s_cbranch_execnz .LBB361_1472
.LBB361_1456:
	s_or_b32 exec_lo, exec_lo, s11
	s_and_saveexec_b32 s11, s10
	s_cbranch_execz .LBB361_1458
.LBB361_1457:
	v_and_b32_e32 v6, 0xffff, v5
	v_lshlrev_b32_e32 v5, 24, v5
	s_delay_alu instid0(VALU_DEP_2) | instskip(NEXT) | instid1(VALU_DEP_2)
	v_and_b32_e32 v7, 7, v6
	v_and_b32_e32 v5, 0x80000000, v5
	s_delay_alu instid0(VALU_DEP_2) | instskip(NEXT) | instid1(VALU_DEP_1)
	v_clz_i32_u32_e32 v9, v7
	v_min_u32_e32 v9, 32, v9
	s_delay_alu instid0(VALU_DEP_1) | instskip(SKIP_1) | instid1(VALU_DEP_2)
	v_subrev_nc_u32_e32 v14, 28, v9
	v_sub_nc_u32_e32 v9, 29, v9
	v_lshlrev_b32_e32 v14, v14, v6
	v_bfe_u32 v6, v6, 3, 4
	s_delay_alu instid0(VALU_DEP_2) | instskip(NEXT) | instid1(VALU_DEP_2)
	v_and_b32_e32 v14, 7, v14
	v_cmp_eq_u32_e32 vcc_lo, 0, v6
	s_delay_alu instid0(VALU_DEP_2) | instskip(NEXT) | instid1(VALU_DEP_1)
	v_dual_cndmask_b32 v6, v6, v9 :: v_dual_cndmask_b32 v7, v7, v14
	v_lshl_add_u32 v6, v6, 23, 0x3b800000
	s_delay_alu instid0(VALU_DEP_2) | instskip(NEXT) | instid1(VALU_DEP_1)
	v_lshlrev_b32_e32 v7, 20, v7
	v_or3_b32 v5, v5, v6, v7
	s_delay_alu instid0(VALU_DEP_1)
	v_cvt_i32_f32_e32 v6, v5
.LBB361_1458:
	s_or_b32 exec_lo, exec_lo, s11
.LBB361_1459:
	s_mov_b32 s10, -1
.LBB361_1460:
	s_mov_b32 s11, 0
.LBB361_1461:
	s_delay_alu instid0(SALU_CYCLE_1)
	s_and_b32 vcc_lo, exec_lo, s11
	s_cbranch_vccz .LBB361_1492
; %bb.1462:
	v_cmp_lt_i16_e32 vcc_lo, 22, v13
	s_cbranch_vccz .LBB361_1470
; %bb.1463:
	v_cmp_gt_i16_e32 vcc_lo, 24, v13
	s_cbranch_vccnz .LBB361_1473
; %bb.1464:
	v_cmp_lt_i16_e32 vcc_lo, 24, v13
	s_cbranch_vccz .LBB361_1474
; %bb.1465:
	global_load_u8 v5, v[11:12], off
	s_mov_b32 s10, exec_lo
                                        ; implicit-def: $sgpr11
	s_waitcnt vmcnt(0)
	v_cmpx_lt_i16_e32 0x7f, v5
	s_xor_b32 s10, exec_lo, s10
	s_cbranch_execz .LBB361_1486
; %bb.1466:
	v_cmp_ne_u16_e32 vcc_lo, 0x80, v5
	s_mov_b32 s11, 0
	s_and_b32 s3, vcc_lo, exec_lo
	s_or_saveexec_b32 s10, s10
	v_mov_b32_e32 v6, s11
	s_xor_b32 exec_lo, exec_lo, s10
	s_cbranch_execnz .LBB361_1487
.LBB361_1467:
	s_or_b32 exec_lo, exec_lo, s10
	s_and_saveexec_b32 s10, s3
	s_cbranch_execz .LBB361_1469
.LBB361_1468:
	v_and_b32_e32 v6, 0xffff, v5
	v_lshlrev_b32_e32 v5, 24, v5
	s_delay_alu instid0(VALU_DEP_2) | instskip(NEXT) | instid1(VALU_DEP_2)
	v_and_b32_e32 v7, 3, v6
	v_and_b32_e32 v5, 0x80000000, v5
	s_delay_alu instid0(VALU_DEP_2) | instskip(NEXT) | instid1(VALU_DEP_1)
	v_clz_i32_u32_e32 v9, v7
	v_min_u32_e32 v9, 32, v9
	s_delay_alu instid0(VALU_DEP_1) | instskip(SKIP_1) | instid1(VALU_DEP_2)
	v_subrev_nc_u32_e32 v14, 29, v9
	v_sub_nc_u32_e32 v9, 30, v9
	v_lshlrev_b32_e32 v14, v14, v6
	v_bfe_u32 v6, v6, 2, 5
	s_delay_alu instid0(VALU_DEP_2) | instskip(NEXT) | instid1(VALU_DEP_2)
	v_and_b32_e32 v14, 3, v14
	v_cmp_eq_u32_e32 vcc_lo, 0, v6
	s_delay_alu instid0(VALU_DEP_2) | instskip(NEXT) | instid1(VALU_DEP_1)
	v_dual_cndmask_b32 v6, v6, v9 :: v_dual_cndmask_b32 v7, v7, v14
	v_lshl_add_u32 v6, v6, 23, 0x37800000
	s_delay_alu instid0(VALU_DEP_2) | instskip(NEXT) | instid1(VALU_DEP_1)
	v_lshlrev_b32_e32 v7, 21, v7
	v_or3_b32 v5, v5, v6, v7
	s_delay_alu instid0(VALU_DEP_1)
	v_cvt_i32_f32_e32 v6, v5
.LBB361_1469:
	s_or_b32 exec_lo, exec_lo, s10
	s_mov_b32 s3, 0
	s_branch .LBB361_1475
.LBB361_1470:
	s_mov_b32 s3, -1
                                        ; implicit-def: $vgpr6
	s_branch .LBB361_1481
.LBB361_1471:
	s_or_saveexec_b32 s11, s11
	v_mov_b32_e32 v6, s12
	s_xor_b32 exec_lo, exec_lo, s11
	s_cbranch_execz .LBB361_1456
.LBB361_1472:
	v_cmp_ne_u16_e32 vcc_lo, 0, v5
	v_mov_b32_e32 v6, 0
	s_and_not1_b32 s10, s10, exec_lo
	s_and_b32 s12, vcc_lo, exec_lo
	s_delay_alu instid0(SALU_CYCLE_1)
	s_or_b32 s10, s10, s12
	s_or_b32 exec_lo, exec_lo, s11
	s_and_saveexec_b32 s11, s10
	s_cbranch_execnz .LBB361_1457
	s_branch .LBB361_1458
.LBB361_1473:
	s_mov_b32 s3, -1
                                        ; implicit-def: $vgpr6
	s_branch .LBB361_1478
.LBB361_1474:
	s_mov_b32 s3, -1
                                        ; implicit-def: $vgpr6
.LBB361_1475:
	s_delay_alu instid0(SALU_CYCLE_1)
	s_and_b32 vcc_lo, exec_lo, s3
	s_cbranch_vccz .LBB361_1477
; %bb.1476:
	global_load_u8 v5, v[11:12], off
	s_waitcnt vmcnt(0)
	v_lshlrev_b32_e32 v5, 24, v5
	s_delay_alu instid0(VALU_DEP_1) | instskip(NEXT) | instid1(VALU_DEP_1)
	v_and_b32_e32 v6, 0x7f000000, v5
	v_clz_i32_u32_e32 v7, v6
	v_add_nc_u32_e32 v14, 0x1000000, v6
	v_cmp_ne_u32_e32 vcc_lo, 0, v6
	s_delay_alu instid0(VALU_DEP_3) | instskip(NEXT) | instid1(VALU_DEP_1)
	v_min_u32_e32 v7, 32, v7
	v_sub_nc_u32_e64 v7, v7, 4 clamp
	s_delay_alu instid0(VALU_DEP_1) | instskip(SKIP_1) | instid1(VALU_DEP_2)
	v_lshlrev_b32_e32 v9, v7, v6
	v_lshlrev_b32_e32 v7, 23, v7
	v_lshrrev_b32_e32 v9, 4, v9
	s_delay_alu instid0(VALU_DEP_1) | instskip(SKIP_1) | instid1(VALU_DEP_2)
	v_sub_nc_u32_e32 v7, v9, v7
	v_ashrrev_i32_e32 v9, 8, v14
	v_add_nc_u32_e32 v7, 0x3c000000, v7
	s_delay_alu instid0(VALU_DEP_1) | instskip(NEXT) | instid1(VALU_DEP_1)
	v_and_or_b32 v7, 0x7f800000, v9, v7
	v_cndmask_b32_e32 v6, 0, v7, vcc_lo
	s_delay_alu instid0(VALU_DEP_1) | instskip(NEXT) | instid1(VALU_DEP_1)
	v_and_or_b32 v5, 0x80000000, v5, v6
	v_cvt_i32_f32_e32 v6, v5
.LBB361_1477:
	s_mov_b32 s3, 0
.LBB361_1478:
	s_delay_alu instid0(SALU_CYCLE_1)
	s_and_not1_b32 vcc_lo, exec_lo, s3
	s_cbranch_vccnz .LBB361_1480
; %bb.1479:
	global_load_u8 v5, v[11:12], off
	s_waitcnt vmcnt(0)
	v_lshlrev_b32_e32 v6, 25, v5
	v_lshlrev_b16 v5, 8, v5
	s_delay_alu instid0(VALU_DEP_2) | instskip(NEXT) | instid1(VALU_DEP_2)
	v_lshrrev_b32_e32 v7, 4, v6
	v_and_or_b32 v9, 0x7f00, v5, 0.5
	v_bfe_i32 v5, v5, 0, 16
	s_delay_alu instid0(VALU_DEP_3) | instskip(NEXT) | instid1(VALU_DEP_3)
	v_or_b32_e32 v7, 0x70000000, v7
	v_add_f32_e32 v9, -0.5, v9
	s_delay_alu instid0(VALU_DEP_2) | instskip(SKIP_1) | instid1(VALU_DEP_2)
	v_mul_f32_e32 v7, 0x7800000, v7
	v_cmp_gt_u32_e32 vcc_lo, 0x8000000, v6
	v_cndmask_b32_e32 v6, v7, v9, vcc_lo
	s_delay_alu instid0(VALU_DEP_1) | instskip(NEXT) | instid1(VALU_DEP_1)
	v_and_or_b32 v5, 0x80000000, v5, v6
	v_cvt_i32_f32_e32 v6, v5
.LBB361_1480:
	s_mov_b32 s3, 0
	s_mov_b32 s10, -1
.LBB361_1481:
	s_and_not1_b32 vcc_lo, exec_lo, s3
	s_mov_b32 s3, 0
	s_cbranch_vccnz .LBB361_1492
; %bb.1482:
	v_cmp_lt_i16_e32 vcc_lo, 14, v13
	s_cbranch_vccz .LBB361_1485
; %bb.1483:
	v_cmp_eq_u16_e32 vcc_lo, 15, v13
	s_cbranch_vccz .LBB361_1488
; %bb.1484:
	global_load_u16 v5, v[11:12], off
	s_mov_b32 s2, 0
	s_mov_b32 s10, -1
	s_waitcnt vmcnt(0)
	v_lshlrev_b32_e32 v5, 16, v5
	s_delay_alu instid0(VALU_DEP_1)
	v_cvt_i32_f32_e32 v6, v5
	s_branch .LBB361_1490
.LBB361_1485:
	s_mov_b32 s3, -1
	s_branch .LBB361_1489
.LBB361_1486:
	s_or_saveexec_b32 s10, s10
	v_mov_b32_e32 v6, s11
	s_xor_b32 exec_lo, exec_lo, s10
	s_cbranch_execz .LBB361_1467
.LBB361_1487:
	v_cmp_ne_u16_e32 vcc_lo, 0, v5
	v_mov_b32_e32 v6, 0
	s_and_not1_b32 s3, s3, exec_lo
	s_and_b32 s11, vcc_lo, exec_lo
	s_delay_alu instid0(SALU_CYCLE_1)
	s_or_b32 s3, s3, s11
	s_or_b32 exec_lo, exec_lo, s10
	s_and_saveexec_b32 s10, s3
	s_cbranch_execnz .LBB361_1468
	s_branch .LBB361_1469
.LBB361_1488:
	s_mov_b32 s2, -1
.LBB361_1489:
                                        ; implicit-def: $vgpr6
.LBB361_1490:
	s_and_b32 vcc_lo, exec_lo, s3
	s_mov_b32 s3, 0
	s_cbranch_vccz .LBB361_1492
; %bb.1491:
	v_cmp_ne_u16_e64 s2, 11, v13
	s_mov_b32 s3, -1
                                        ; implicit-def: $vgpr6
.LBB361_1492:
	s_delay_alu instid0(VALU_DEP_1)
	s_and_b32 vcc_lo, exec_lo, s2
	s_cbranch_vccnz .LBB361_1508
; %bb.1493:
	s_and_not1_b32 vcc_lo, exec_lo, s3
	s_cbranch_vccnz .LBB361_1495
.LBB361_1494:
	global_load_u8 v5, v[11:12], off
	s_mov_b32 s10, -1
	s_waitcnt vmcnt(0)
	v_cmp_ne_u16_e32 vcc_lo, 0, v5
	v_cndmask_b32_e64 v6, 0, 1, vcc_lo
.LBB361_1495:
.LBB361_1496:
	s_and_not1_b32 vcc_lo, exec_lo, s10
	s_cbranch_vccnz .LBB361_2057
.LBB361_1497:
	v_cmp_gt_i16_e32 vcc_lo, 11, v13
	v_add_co_u32 v11, s2, s6, v4
	s_delay_alu instid0(VALU_DEP_1)
	v_add_co_ci_u32_e64 v12, null, s7, 0, s2
	s_mov_b32 s6, 0
	s_cbranch_vccnz .LBB361_1504
; %bb.1498:
	v_cmp_lt_i16_e32 vcc_lo, 25, v13
	s_mov_b32 s3, 0
	s_cbranch_vccz .LBB361_1505
; %bb.1499:
	v_cmp_lt_i16_e32 vcc_lo, 28, v13
	s_cbranch_vccz .LBB361_1506
; %bb.1500:
	v_cmp_lt_i16_e32 vcc_lo, 43, v13
	;; [unrolled: 3-line block ×3, first 2 shown]
	s_cbranch_vccz .LBB361_1510
; %bb.1502:
	v_cmp_eq_u16_e32 vcc_lo, 46, v13
	s_mov_b32 s7, 0
	s_cbranch_vccz .LBB361_1513
; %bb.1503:
	global_load_b32 v4, v[11:12], off
	s_mov_b32 s2, 0
	s_mov_b32 s6, -1
	s_waitcnt vmcnt(0)
	v_lshlrev_b32_e32 v4, 16, v4
	s_delay_alu instid0(VALU_DEP_1)
	v_cvt_i32_f32_e32 v4, v4
	s_branch .LBB361_1515
.LBB361_1504:
	s_mov_b32 s2, -1
                                        ; implicit-def: $vgpr4
	s_branch .LBB361_1577
.LBB361_1505:
	s_mov_b32 s7, -1
	s_mov_b32 s2, 0
                                        ; implicit-def: $vgpr4
	s_branch .LBB361_1542
.LBB361_1506:
	s_mov_b32 s7, -1
	s_mov_b32 s2, 0
                                        ; implicit-def: $vgpr4
	s_branch .LBB361_1525
.LBB361_1507:
	s_mov_b32 s7, -1
	s_mov_b32 s2, 0
                                        ; implicit-def: $vgpr4
	s_branch .LBB361_1520
.LBB361_1508:
	s_cbranch_execnz .LBB361_1511
; %bb.1509:
	s_or_b32 s1, s1, exec_lo
                                        ; implicit-def: $vgpr6
	s_cbranch_execz .LBB361_1494
	s_branch .LBB361_1495
.LBB361_1510:
	s_mov_b32 s7, -1
	s_mov_b32 s2, 0
	s_branch .LBB361_1514
.LBB361_1511:
	s_trap 2
	s_sendmsg_rtn_b32 s0, sendmsg(MSG_RTN_GET_DOORBELL)
	s_mov_b32 ttmp2, m0
	s_waitcnt lgkmcnt(0)
	s_and_b32 s0, s0, 0x3ff
	s_delay_alu instid0(SALU_CYCLE_1) | instskip(NEXT) | instid1(SALU_CYCLE_1)
	s_bitset1_b32 s0, 10
	s_mov_b32 m0, s0
	s_sendmsg sendmsg(MSG_INTERRUPT)
	s_mov_b32 m0, ttmp2
.LBB361_1512:                           ; =>This Inner Loop Header: Depth=1
	s_sethalt 5
	s_branch .LBB361_1512
.LBB361_1513:
	s_mov_b32 s2, -1
.LBB361_1514:
                                        ; implicit-def: $vgpr4
.LBB361_1515:
	s_and_b32 vcc_lo, exec_lo, s7
	s_cbranch_vccz .LBB361_1519
; %bb.1516:
	v_cmp_eq_u16_e32 vcc_lo, 44, v13
	s_cbranch_vccz .LBB361_1518
; %bb.1517:
	global_load_u8 v4, v[11:12], off
	s_mov_b32 s2, 0
	s_mov_b32 s6, -1
	s_waitcnt vmcnt(0)
	v_lshlrev_b32_e32 v5, 23, v4
	v_cmp_ne_u32_e32 vcc_lo, 0, v4
	s_delay_alu instid0(VALU_DEP_2) | instskip(NEXT) | instid1(VALU_DEP_1)
	v_cvt_i32_f32_e32 v5, v5
	v_cndmask_b32_e32 v4, 0, v5, vcc_lo
	s_branch .LBB361_1519
.LBB361_1518:
	s_mov_b32 s2, -1
                                        ; implicit-def: $vgpr4
.LBB361_1519:
	s_mov_b32 s7, 0
.LBB361_1520:
	s_delay_alu instid0(SALU_CYCLE_1)
	s_and_b32 vcc_lo, exec_lo, s7
	s_cbranch_vccz .LBB361_1524
; %bb.1521:
	v_cmp_eq_u16_e32 vcc_lo, 29, v13
	s_cbranch_vccz .LBB361_1523
; %bb.1522:
	global_load_b64 v[4:5], v[11:12], off
	s_mov_b32 s2, 0
	s_mov_b32 s6, -1
	s_branch .LBB361_1524
.LBB361_1523:
	s_mov_b32 s2, -1
                                        ; implicit-def: $vgpr4
.LBB361_1524:
	s_mov_b32 s7, 0
.LBB361_1525:
	s_delay_alu instid0(SALU_CYCLE_1)
	s_and_b32 vcc_lo, exec_lo, s7
	s_cbranch_vccz .LBB361_1541
; %bb.1526:
	v_cmp_gt_i16_e32 vcc_lo, 27, v13
	s_cbranch_vccnz .LBB361_1529
; %bb.1527:
	v_cmp_lt_i16_e32 vcc_lo, 27, v13
	s_cbranch_vccz .LBB361_1530
; %bb.1528:
	global_load_b32 v4, v[11:12], off
	s_mov_b32 s6, 0
	s_branch .LBB361_1531
.LBB361_1529:
	s_mov_b32 s6, -1
                                        ; implicit-def: $vgpr4
	s_branch .LBB361_1534
.LBB361_1530:
	s_mov_b32 s6, -1
                                        ; implicit-def: $vgpr4
.LBB361_1531:
	s_delay_alu instid0(SALU_CYCLE_1)
	s_and_not1_b32 vcc_lo, exec_lo, s6
	s_cbranch_vccnz .LBB361_1533
; %bb.1532:
	global_load_u16 v4, v[11:12], off
.LBB361_1533:
	s_mov_b32 s6, 0
.LBB361_1534:
	s_delay_alu instid0(SALU_CYCLE_1)
	s_and_not1_b32 vcc_lo, exec_lo, s6
	s_cbranch_vccnz .LBB361_1540
; %bb.1535:
	global_load_u8 v5, v[11:12], off
	s_mov_b32 s6, 0
	s_mov_b32 s7, exec_lo
                                        ; implicit-def: $sgpr10
	s_waitcnt vmcnt(0)
	v_cmpx_lt_i16_e32 0x7f, v5
	s_xor_b32 s7, exec_lo, s7
	s_cbranch_execz .LBB361_1552
; %bb.1536:
	v_cmp_ne_u16_e32 vcc_lo, 0x80, v5
	s_mov_b32 s10, 0
	s_and_b32 s6, vcc_lo, exec_lo
	s_or_saveexec_b32 s7, s7
	v_mov_b32_e32 v4, s10
	s_xor_b32 exec_lo, exec_lo, s7
	s_cbranch_execnz .LBB361_1553
.LBB361_1537:
	s_or_b32 exec_lo, exec_lo, s7
	s_and_saveexec_b32 s7, s6
	s_cbranch_execz .LBB361_1539
.LBB361_1538:
	v_and_b32_e32 v4, 0xffff, v5
	v_lshlrev_b32_e32 v5, 24, v5
	s_delay_alu instid0(VALU_DEP_2) | instskip(NEXT) | instid1(VALU_DEP_2)
	v_and_b32_e32 v7, 7, v4
	v_and_b32_e32 v5, 0x80000000, v5
	s_delay_alu instid0(VALU_DEP_2) | instskip(NEXT) | instid1(VALU_DEP_1)
	v_clz_i32_u32_e32 v9, v7
	v_min_u32_e32 v9, 32, v9
	s_delay_alu instid0(VALU_DEP_1) | instskip(SKIP_1) | instid1(VALU_DEP_2)
	v_subrev_nc_u32_e32 v14, 28, v9
	v_sub_nc_u32_e32 v9, 29, v9
	v_lshlrev_b32_e32 v14, v14, v4
	v_bfe_u32 v4, v4, 3, 4
	s_delay_alu instid0(VALU_DEP_2) | instskip(NEXT) | instid1(VALU_DEP_2)
	v_and_b32_e32 v14, 7, v14
	v_cmp_eq_u32_e32 vcc_lo, 0, v4
	s_delay_alu instid0(VALU_DEP_2) | instskip(NEXT) | instid1(VALU_DEP_1)
	v_dual_cndmask_b32 v4, v4, v9 :: v_dual_cndmask_b32 v7, v7, v14
	v_lshl_add_u32 v4, v4, 23, 0x3b800000
	s_delay_alu instid0(VALU_DEP_2) | instskip(NEXT) | instid1(VALU_DEP_1)
	v_lshlrev_b32_e32 v7, 20, v7
	v_or3_b32 v4, v5, v4, v7
	s_delay_alu instid0(VALU_DEP_1)
	v_cvt_i32_f32_e32 v4, v4
.LBB361_1539:
	s_or_b32 exec_lo, exec_lo, s7
.LBB361_1540:
	s_mov_b32 s6, -1
.LBB361_1541:
	s_mov_b32 s7, 0
.LBB361_1542:
	s_delay_alu instid0(SALU_CYCLE_1)
	s_and_b32 vcc_lo, exec_lo, s7
	s_cbranch_vccz .LBB361_1573
; %bb.1543:
	v_cmp_lt_i16_e32 vcc_lo, 22, v13
	s_cbranch_vccz .LBB361_1551
; %bb.1544:
	v_cmp_gt_i16_e32 vcc_lo, 24, v13
	s_cbranch_vccnz .LBB361_1554
; %bb.1545:
	v_cmp_lt_i16_e32 vcc_lo, 24, v13
	s_cbranch_vccz .LBB361_1555
; %bb.1546:
	global_load_u8 v5, v[11:12], off
	s_mov_b32 s6, exec_lo
                                        ; implicit-def: $sgpr7
	s_waitcnt vmcnt(0)
	v_cmpx_lt_i16_e32 0x7f, v5
	s_xor_b32 s6, exec_lo, s6
	s_cbranch_execz .LBB361_1567
; %bb.1547:
	v_cmp_ne_u16_e32 vcc_lo, 0x80, v5
	s_mov_b32 s7, 0
	s_and_b32 s3, vcc_lo, exec_lo
	s_or_saveexec_b32 s6, s6
	v_mov_b32_e32 v4, s7
	s_xor_b32 exec_lo, exec_lo, s6
	s_cbranch_execnz .LBB361_1568
.LBB361_1548:
	s_or_b32 exec_lo, exec_lo, s6
	s_and_saveexec_b32 s6, s3
	s_cbranch_execz .LBB361_1550
.LBB361_1549:
	v_and_b32_e32 v4, 0xffff, v5
	v_lshlrev_b32_e32 v5, 24, v5
	s_delay_alu instid0(VALU_DEP_2) | instskip(NEXT) | instid1(VALU_DEP_2)
	v_and_b32_e32 v7, 3, v4
	v_and_b32_e32 v5, 0x80000000, v5
	s_delay_alu instid0(VALU_DEP_2) | instskip(NEXT) | instid1(VALU_DEP_1)
	v_clz_i32_u32_e32 v9, v7
	v_min_u32_e32 v9, 32, v9
	s_delay_alu instid0(VALU_DEP_1) | instskip(SKIP_1) | instid1(VALU_DEP_2)
	v_subrev_nc_u32_e32 v14, 29, v9
	v_sub_nc_u32_e32 v9, 30, v9
	v_lshlrev_b32_e32 v14, v14, v4
	v_bfe_u32 v4, v4, 2, 5
	s_delay_alu instid0(VALU_DEP_2) | instskip(NEXT) | instid1(VALU_DEP_2)
	v_and_b32_e32 v14, 3, v14
	v_cmp_eq_u32_e32 vcc_lo, 0, v4
	s_delay_alu instid0(VALU_DEP_2) | instskip(NEXT) | instid1(VALU_DEP_1)
	v_dual_cndmask_b32 v4, v4, v9 :: v_dual_cndmask_b32 v7, v7, v14
	v_lshl_add_u32 v4, v4, 23, 0x37800000
	s_delay_alu instid0(VALU_DEP_2) | instskip(NEXT) | instid1(VALU_DEP_1)
	v_lshlrev_b32_e32 v7, 21, v7
	v_or3_b32 v4, v5, v4, v7
	s_delay_alu instid0(VALU_DEP_1)
	v_cvt_i32_f32_e32 v4, v4
.LBB361_1550:
	s_or_b32 exec_lo, exec_lo, s6
	s_mov_b32 s3, 0
	s_branch .LBB361_1556
.LBB361_1551:
	s_mov_b32 s3, -1
                                        ; implicit-def: $vgpr4
	s_branch .LBB361_1562
.LBB361_1552:
	s_or_saveexec_b32 s7, s7
	v_mov_b32_e32 v4, s10
	s_xor_b32 exec_lo, exec_lo, s7
	s_cbranch_execz .LBB361_1537
.LBB361_1553:
	v_cmp_ne_u16_e32 vcc_lo, 0, v5
	v_mov_b32_e32 v4, 0
	s_and_not1_b32 s6, s6, exec_lo
	s_and_b32 s10, vcc_lo, exec_lo
	s_delay_alu instid0(SALU_CYCLE_1)
	s_or_b32 s6, s6, s10
	s_or_b32 exec_lo, exec_lo, s7
	s_and_saveexec_b32 s7, s6
	s_cbranch_execnz .LBB361_1538
	s_branch .LBB361_1539
.LBB361_1554:
	s_mov_b32 s3, -1
                                        ; implicit-def: $vgpr4
	s_branch .LBB361_1559
.LBB361_1555:
	s_mov_b32 s3, -1
                                        ; implicit-def: $vgpr4
.LBB361_1556:
	s_delay_alu instid0(SALU_CYCLE_1)
	s_and_b32 vcc_lo, exec_lo, s3
	s_cbranch_vccz .LBB361_1558
; %bb.1557:
	global_load_u8 v4, v[11:12], off
	s_waitcnt vmcnt(0)
	v_lshlrev_b32_e32 v4, 24, v4
	s_delay_alu instid0(VALU_DEP_1) | instskip(NEXT) | instid1(VALU_DEP_1)
	v_and_b32_e32 v5, 0x7f000000, v4
	v_clz_i32_u32_e32 v7, v5
	v_add_nc_u32_e32 v14, 0x1000000, v5
	v_cmp_ne_u32_e32 vcc_lo, 0, v5
	s_delay_alu instid0(VALU_DEP_3) | instskip(NEXT) | instid1(VALU_DEP_1)
	v_min_u32_e32 v7, 32, v7
	v_sub_nc_u32_e64 v7, v7, 4 clamp
	s_delay_alu instid0(VALU_DEP_1) | instskip(SKIP_1) | instid1(VALU_DEP_2)
	v_lshlrev_b32_e32 v9, v7, v5
	v_lshlrev_b32_e32 v7, 23, v7
	v_lshrrev_b32_e32 v9, 4, v9
	s_delay_alu instid0(VALU_DEP_1) | instskip(SKIP_1) | instid1(VALU_DEP_2)
	v_sub_nc_u32_e32 v7, v9, v7
	v_ashrrev_i32_e32 v9, 8, v14
	v_add_nc_u32_e32 v7, 0x3c000000, v7
	s_delay_alu instid0(VALU_DEP_1) | instskip(NEXT) | instid1(VALU_DEP_1)
	v_and_or_b32 v7, 0x7f800000, v9, v7
	v_cndmask_b32_e32 v5, 0, v7, vcc_lo
	s_delay_alu instid0(VALU_DEP_1) | instskip(NEXT) | instid1(VALU_DEP_1)
	v_and_or_b32 v4, 0x80000000, v4, v5
	v_cvt_i32_f32_e32 v4, v4
.LBB361_1558:
	s_mov_b32 s3, 0
.LBB361_1559:
	s_delay_alu instid0(SALU_CYCLE_1)
	s_and_not1_b32 vcc_lo, exec_lo, s3
	s_cbranch_vccnz .LBB361_1561
; %bb.1560:
	global_load_u8 v4, v[11:12], off
	s_waitcnt vmcnt(0)
	v_lshlrev_b32_e32 v5, 25, v4
	v_lshlrev_b16 v4, 8, v4
	s_delay_alu instid0(VALU_DEP_2) | instskip(NEXT) | instid1(VALU_DEP_2)
	v_lshrrev_b32_e32 v7, 4, v5
	v_and_or_b32 v9, 0x7f00, v4, 0.5
	v_cmp_gt_u32_e32 vcc_lo, 0x8000000, v5
	v_bfe_i32 v4, v4, 0, 16
	s_delay_alu instid0(VALU_DEP_4) | instskip(NEXT) | instid1(VALU_DEP_4)
	v_or_b32_e32 v7, 0x70000000, v7
	v_add_f32_e32 v9, -0.5, v9
	s_delay_alu instid0(VALU_DEP_2) | instskip(NEXT) | instid1(VALU_DEP_1)
	v_mul_f32_e32 v7, 0x7800000, v7
	v_cndmask_b32_e32 v5, v7, v9, vcc_lo
	s_delay_alu instid0(VALU_DEP_1) | instskip(NEXT) | instid1(VALU_DEP_1)
	v_and_or_b32 v4, 0x80000000, v4, v5
	v_cvt_i32_f32_e32 v4, v4
.LBB361_1561:
	s_mov_b32 s3, 0
	s_mov_b32 s6, -1
.LBB361_1562:
	s_and_not1_b32 vcc_lo, exec_lo, s3
	s_mov_b32 s3, 0
	s_cbranch_vccnz .LBB361_1573
; %bb.1563:
	v_cmp_lt_i16_e32 vcc_lo, 14, v13
	s_cbranch_vccz .LBB361_1566
; %bb.1564:
	v_cmp_eq_u16_e32 vcc_lo, 15, v13
	s_cbranch_vccz .LBB361_1569
; %bb.1565:
	global_load_u16 v4, v[11:12], off
	s_mov_b32 s2, 0
	s_mov_b32 s6, -1
	s_waitcnt vmcnt(0)
	v_lshlrev_b32_e32 v4, 16, v4
	s_delay_alu instid0(VALU_DEP_1)
	v_cvt_i32_f32_e32 v4, v4
	s_branch .LBB361_1571
.LBB361_1566:
	s_mov_b32 s3, -1
	s_branch .LBB361_1570
.LBB361_1567:
	s_or_saveexec_b32 s6, s6
	v_mov_b32_e32 v4, s7
	s_xor_b32 exec_lo, exec_lo, s6
	s_cbranch_execz .LBB361_1548
.LBB361_1568:
	v_cmp_ne_u16_e32 vcc_lo, 0, v5
	v_mov_b32_e32 v4, 0
	s_and_not1_b32 s3, s3, exec_lo
	s_and_b32 s7, vcc_lo, exec_lo
	s_delay_alu instid0(SALU_CYCLE_1)
	s_or_b32 s3, s3, s7
	s_or_b32 exec_lo, exec_lo, s6
	s_and_saveexec_b32 s6, s3
	s_cbranch_execnz .LBB361_1549
	s_branch .LBB361_1550
.LBB361_1569:
	s_mov_b32 s2, -1
.LBB361_1570:
                                        ; implicit-def: $vgpr4
.LBB361_1571:
	s_and_b32 vcc_lo, exec_lo, s3
	s_mov_b32 s3, 0
	s_cbranch_vccz .LBB361_1573
; %bb.1572:
	v_cmp_ne_u16_e64 s2, 11, v13
	s_mov_b32 s3, -1
                                        ; implicit-def: $vgpr4
.LBB361_1573:
	s_delay_alu instid0(VALU_DEP_1)
	s_and_b32 vcc_lo, exec_lo, s2
	s_cbranch_vccnz .LBB361_2102
; %bb.1574:
	s_and_not1_b32 vcc_lo, exec_lo, s3
	s_cbranch_vccnz .LBB361_1576
.LBB361_1575:
	global_load_u8 v4, v[11:12], off
	s_mov_b32 s6, -1
	s_waitcnt vmcnt(0)
	v_cmp_ne_u16_e32 vcc_lo, 0, v4
	v_cndmask_b32_e64 v4, 0, 1, vcc_lo
.LBB361_1576:
	s_mov_b32 s2, 0
.LBB361_1577:
	s_delay_alu instid0(SALU_CYCLE_1)
	s_and_b32 vcc_lo, exec_lo, s2
	s_cbranch_vccz .LBB361_1626
; %bb.1578:
	v_cmp_gt_i16_e32 vcc_lo, 5, v13
	s_cbranch_vccnz .LBB361_1583
; %bb.1579:
	v_cmp_gt_i16_e32 vcc_lo, 8, v13
	s_cbranch_vccnz .LBB361_1584
	;; [unrolled: 3-line block ×3, first 2 shown]
; %bb.1581:
	v_cmp_lt_i16_e32 vcc_lo, 9, v13
	s_cbranch_vccz .LBB361_1586
; %bb.1582:
	global_load_b64 v[4:5], v[11:12], off
	s_mov_b32 s2, 0
	s_waitcnt vmcnt(0)
	v_cvt_i32_f64_e32 v4, v[4:5]
	s_branch .LBB361_1587
.LBB361_1583:
	s_mov_b32 s2, -1
                                        ; implicit-def: $vgpr4
	s_branch .LBB361_1605
.LBB361_1584:
	s_mov_b32 s2, -1
                                        ; implicit-def: $vgpr4
	s_branch .LBB361_1593
.LBB361_1585:
	s_mov_b32 s2, -1
                                        ; implicit-def: $vgpr4
	s_branch .LBB361_1590
.LBB361_1586:
	s_mov_b32 s2, -1
                                        ; implicit-def: $vgpr4
.LBB361_1587:
	s_delay_alu instid0(SALU_CYCLE_1)
	s_and_not1_b32 vcc_lo, exec_lo, s2
	s_cbranch_vccnz .LBB361_1589
; %bb.1588:
	global_load_b32 v4, v[11:12], off
	s_waitcnt vmcnt(0)
	v_cvt_i32_f32_e32 v4, v4
.LBB361_1589:
	s_mov_b32 s2, 0
.LBB361_1590:
	s_delay_alu instid0(SALU_CYCLE_1)
	s_and_not1_b32 vcc_lo, exec_lo, s2
	s_cbranch_vccnz .LBB361_1592
; %bb.1591:
	global_load_b32 v4, v[11:12], off
	s_waitcnt vmcnt(0)
	v_cvt_i16_f16_e32 v4, v4
.LBB361_1592:
	s_mov_b32 s2, 0
.LBB361_1593:
	s_delay_alu instid0(SALU_CYCLE_1)
	s_and_not1_b32 vcc_lo, exec_lo, s2
	s_cbranch_vccnz .LBB361_1604
; %bb.1594:
	v_cmp_gt_i16_e32 vcc_lo, 6, v13
	s_cbranch_vccnz .LBB361_1597
; %bb.1595:
	v_cmp_lt_i16_e32 vcc_lo, 6, v13
	s_cbranch_vccz .LBB361_1598
; %bb.1596:
	global_load_b64 v[4:5], v[11:12], off
	s_mov_b32 s2, 0
	s_waitcnt vmcnt(0)
	v_cvt_i32_f64_e32 v4, v[4:5]
	s_branch .LBB361_1599
.LBB361_1597:
	s_mov_b32 s2, -1
                                        ; implicit-def: $vgpr4
	s_branch .LBB361_1602
.LBB361_1598:
	s_mov_b32 s2, -1
                                        ; implicit-def: $vgpr4
.LBB361_1599:
	s_delay_alu instid0(SALU_CYCLE_1)
	s_and_not1_b32 vcc_lo, exec_lo, s2
	s_cbranch_vccnz .LBB361_1601
; %bb.1600:
	global_load_b32 v4, v[11:12], off
	s_waitcnt vmcnt(0)
	v_cvt_i32_f32_e32 v4, v4
.LBB361_1601:
	s_mov_b32 s2, 0
.LBB361_1602:
	s_delay_alu instid0(SALU_CYCLE_1)
	s_and_not1_b32 vcc_lo, exec_lo, s2
	s_cbranch_vccnz .LBB361_1604
; %bb.1603:
	global_load_u16 v4, v[11:12], off
	s_waitcnt vmcnt(0)
	v_cvt_i16_f16_e32 v4, v4
.LBB361_1604:
	s_mov_b32 s2, 0
.LBB361_1605:
	s_delay_alu instid0(SALU_CYCLE_1)
	s_and_not1_b32 vcc_lo, exec_lo, s2
	s_cbranch_vccnz .LBB361_1625
; %bb.1606:
	v_cmp_gt_i16_e32 vcc_lo, 2, v13
	s_cbranch_vccnz .LBB361_1610
; %bb.1607:
	v_cmp_gt_i16_e32 vcc_lo, 3, v13
	s_cbranch_vccnz .LBB361_1611
; %bb.1608:
	v_cmp_lt_i16_e32 vcc_lo, 3, v13
	s_cbranch_vccz .LBB361_1612
; %bb.1609:
	global_load_b64 v[4:5], v[11:12], off
	s_mov_b32 s2, 0
	s_branch .LBB361_1613
.LBB361_1610:
	s_mov_b32 s2, -1
                                        ; implicit-def: $vgpr4
	s_branch .LBB361_1619
.LBB361_1611:
	s_mov_b32 s2, -1
                                        ; implicit-def: $vgpr4
	s_branch .LBB361_1616
.LBB361_1612:
	s_mov_b32 s2, -1
                                        ; implicit-def: $vgpr4
.LBB361_1613:
	s_delay_alu instid0(SALU_CYCLE_1)
	s_and_not1_b32 vcc_lo, exec_lo, s2
	s_cbranch_vccnz .LBB361_1615
; %bb.1614:
	global_load_b32 v4, v[11:12], off
.LBB361_1615:
	s_mov_b32 s2, 0
.LBB361_1616:
	s_delay_alu instid0(SALU_CYCLE_1)
	s_and_not1_b32 vcc_lo, exec_lo, s2
	s_cbranch_vccnz .LBB361_1618
; %bb.1617:
	global_load_u16 v4, v[11:12], off
.LBB361_1618:
	s_mov_b32 s2, 0
.LBB361_1619:
	s_delay_alu instid0(SALU_CYCLE_1)
	s_and_not1_b32 vcc_lo, exec_lo, s2
	s_cbranch_vccnz .LBB361_1625
; %bb.1620:
	v_cmp_lt_i16_e32 vcc_lo, 0, v13
	s_mov_b32 s2, 0
	s_cbranch_vccz .LBB361_1622
; %bb.1621:
	global_load_u8 v4, v[11:12], off
	s_branch .LBB361_1623
.LBB361_1622:
	s_mov_b32 s2, -1
                                        ; implicit-def: $vgpr4
.LBB361_1623:
	s_delay_alu instid0(SALU_CYCLE_1)
	s_and_not1_b32 vcc_lo, exec_lo, s2
	s_cbranch_vccnz .LBB361_1625
; %bb.1624:
	global_load_u8 v4, v[11:12], off
.LBB361_1625:
	s_mov_b32 s6, -1
.LBB361_1626:
	s_delay_alu instid0(SALU_CYCLE_1)
	s_and_not1_b32 vcc_lo, exec_lo, s6
	s_cbranch_vccnz .LBB361_2057
; %bb.1627:
	s_load_b32 s2, s[16:17], 0x158
	s_lshr_b32 s0, s0, 8
	s_waitcnt vmcnt(0)
	v_bfe_i32 v5, v10, 0, 8
	v_and_b32_e64 v11, 0xff, s0
	v_add_co_u32 v9, s0, s4, v3
	s_delay_alu instid0(VALU_DEP_1) | instskip(NEXT) | instid1(VALU_DEP_3)
	v_add_co_ci_u32_e64 v10, null, s5, 0, s0
	v_cmp_gt_i16_e32 vcc_lo, 11, v11
	s_mov_b32 s6, 0
	s_mov_b32 s0, -1
	s_waitcnt lgkmcnt(0)
	s_bfe_i32 s2, s2, 0x80000
	s_delay_alu instid0(SALU_CYCLE_1)
	v_max_i16 v3, v5, s2
	s_cbranch_vccnz .LBB361_1705
; %bb.1628:
	v_cmp_lt_i16_e32 vcc_lo, 25, v11
	s_mov_b32 s7, -1
	s_mov_b32 s3, 0
	s_mov_b32 s0, 0
	s_cbranch_vccz .LBB361_1661
; %bb.1629:
	v_cmp_lt_i16_e32 vcc_lo, 28, v11
	s_cbranch_vccz .LBB361_1644
; %bb.1630:
	v_cmp_lt_i16_e32 vcc_lo, 43, v11
	s_cbranch_vccz .LBB361_1640
; %bb.1631:
	v_cmp_lt_i16_e32 vcc_lo, 45, v11
	s_cbranch_vccz .LBB361_1634
; %bb.1632:
	v_cmp_eq_u16_e32 vcc_lo, 46, v11
	s_mov_b32 s0, -1
	s_mov_b32 s7, 0
	s_cbranch_vccz .LBB361_1634
; %bb.1633:
	v_bfe_i32 v5, v3, 0, 16
	s_mov_b32 s0, 0
	s_mov_b32 s6, -1
	s_delay_alu instid0(VALU_DEP_1) | instskip(NEXT) | instid1(VALU_DEP_1)
	v_cvt_f32_i32_e32 v5, v5
	v_bfe_u32 v7, v5, 16, 1
	s_delay_alu instid0(VALU_DEP_1) | instskip(NEXT) | instid1(VALU_DEP_1)
	v_add3_u32 v5, v5, v7, 0x7fff
	v_lshrrev_b32_e32 v5, 16, v5
	global_store_b32 v[9:10], v5, off
.LBB361_1634:
	s_and_b32 vcc_lo, exec_lo, s7
	s_cbranch_vccz .LBB361_1639
; %bb.1635:
	v_cmp_eq_u16_e32 vcc_lo, 44, v11
	s_mov_b32 s0, -1
	s_cbranch_vccz .LBB361_1639
; %bb.1636:
	v_bfe_i32 v5, v3, 0, 16
	v_mov_b32_e32 v7, 0xff
	s_mov_b32 s6, exec_lo
	s_delay_alu instid0(VALU_DEP_2) | instskip(NEXT) | instid1(VALU_DEP_1)
	v_cvt_f32_i32_e32 v5, v5
	v_bfe_u32 v12, v5, 23, 8
	s_delay_alu instid0(VALU_DEP_1)
	v_cmpx_ne_u32_e32 0xff, v12
; %bb.1637:
	v_and_b32_e32 v7, 0x400000, v5
	v_and_or_b32 v12, 0x3fffff, v5, v12
	v_lshrrev_b32_e32 v5, 23, v5
	s_delay_alu instid0(VALU_DEP_3) | instskip(NEXT) | instid1(VALU_DEP_3)
	v_cmp_ne_u32_e32 vcc_lo, 0, v7
	v_cmp_ne_u32_e64 s0, 0, v12
	s_delay_alu instid0(VALU_DEP_1) | instskip(NEXT) | instid1(SALU_CYCLE_1)
	s_and_b32 s0, vcc_lo, s0
	v_cndmask_b32_e64 v7, 0, 1, s0
	s_delay_alu instid0(VALU_DEP_1)
	v_add_nc_u32_e32 v7, v5, v7
; %bb.1638:
	s_or_b32 exec_lo, exec_lo, s6
	s_mov_b32 s0, 0
	s_mov_b32 s6, -1
	global_store_b8 v[9:10], v7, off
.LBB361_1639:
	s_mov_b32 s7, 0
.LBB361_1640:
	s_delay_alu instid0(SALU_CYCLE_1)
	s_and_b32 vcc_lo, exec_lo, s7
	s_cbranch_vccz .LBB361_1643
; %bb.1641:
	v_cmp_eq_u16_e32 vcc_lo, 29, v11
	s_mov_b32 s0, -1
	s_cbranch_vccz .LBB361_1643
; %bb.1642:
	v_bfe_i32 v12, v3, 0, 16
	s_mov_b32 s0, 0
	s_mov_b32 s6, -1
	s_delay_alu instid0(VALU_DEP_1)
	v_ashrrev_i32_e32 v13, 31, v12
	global_store_b64 v[9:10], v[12:13], off
.LBB361_1643:
	s_mov_b32 s7, 0
.LBB361_1644:
	s_delay_alu instid0(SALU_CYCLE_1)
	s_and_b32 vcc_lo, exec_lo, s7
	s_cbranch_vccz .LBB361_1660
; %bb.1645:
	v_cmp_gt_i16_e32 vcc_lo, 27, v11
	s_mov_b32 s6, -1
	s_cbranch_vccnz .LBB361_1651
; %bb.1646:
	v_cmp_lt_i16_e32 vcc_lo, 27, v11
	s_cbranch_vccz .LBB361_1648
; %bb.1647:
	v_bfe_i32 v5, v3, 0, 16
	s_mov_b32 s6, 0
	global_store_b32 v[9:10], v5, off
.LBB361_1648:
	s_and_not1_b32 vcc_lo, exec_lo, s6
	s_cbranch_vccnz .LBB361_1650
; %bb.1649:
	global_store_b16 v[9:10], v3, off
.LBB361_1650:
	s_mov_b32 s6, 0
.LBB361_1651:
	s_delay_alu instid0(SALU_CYCLE_1)
	s_and_not1_b32 vcc_lo, exec_lo, s6
	s_cbranch_vccnz .LBB361_1659
; %bb.1652:
	v_bfe_i32 v5, v3, 0, 16
	v_mov_b32_e32 v12, 0x80
	s_mov_b32 s6, exec_lo
	s_delay_alu instid0(VALU_DEP_2) | instskip(NEXT) | instid1(VALU_DEP_1)
	v_cvt_f32_i32_e32 v5, v5
	v_and_b32_e32 v7, 0x7fffffff, v5
	s_delay_alu instid0(VALU_DEP_1)
	v_cmpx_gt_u32_e32 0x43800000, v7
	s_cbranch_execz .LBB361_1658
; %bb.1653:
	v_cmp_lt_u32_e32 vcc_lo, 0x3bffffff, v7
	s_mov_b32 s7, 0
                                        ; implicit-def: $vgpr7
	s_and_saveexec_b32 s10, vcc_lo
	s_delay_alu instid0(SALU_CYCLE_1)
	s_xor_b32 s10, exec_lo, s10
	s_cbranch_execz .LBB361_2104
; %bb.1654:
	v_bfe_u32 v7, v5, 20, 1
	s_mov_b32 s7, exec_lo
	s_delay_alu instid0(VALU_DEP_1) | instskip(NEXT) | instid1(VALU_DEP_1)
	v_add3_u32 v7, v5, v7, 0x487ffff
	v_lshrrev_b32_e32 v7, 20, v7
	s_or_saveexec_b32 s10, s10
                                        ; implicit-def: $sgpr11
	s_delay_alu instid0(SALU_CYCLE_1)
	s_xor_b32 exec_lo, exec_lo, s10
	s_cbranch_execnz .LBB361_2105
.LBB361_1655:
	s_or_b32 exec_lo, exec_lo, s10
	v_mov_b32_e32 v12, s11
	s_and_saveexec_b32 s10, s7
.LBB361_1656:
	v_lshrrev_b32_e32 v5, 24, v5
	s_delay_alu instid0(VALU_DEP_1)
	v_and_or_b32 v12, 0x80, v5, v7
.LBB361_1657:
	s_or_b32 exec_lo, exec_lo, s10
.LBB361_1658:
	s_delay_alu instid0(SALU_CYCLE_1)
	s_or_b32 exec_lo, exec_lo, s6
	global_store_b8 v[9:10], v12, off
.LBB361_1659:
	s_mov_b32 s6, -1
.LBB361_1660:
	s_mov_b32 s7, 0
.LBB361_1661:
	s_delay_alu instid0(SALU_CYCLE_1)
	s_and_b32 vcc_lo, exec_lo, s7
	s_cbranch_vccz .LBB361_1701
; %bb.1662:
	v_cmp_lt_i16_e32 vcc_lo, 22, v11
	s_mov_b32 s3, -1
	s_cbranch_vccz .LBB361_1694
; %bb.1663:
	v_cmp_gt_i16_e32 vcc_lo, 24, v11
	s_cbranch_vccnz .LBB361_1683
; %bb.1664:
	v_cmp_lt_i16_e32 vcc_lo, 24, v11
	s_cbranch_vccz .LBB361_1672
; %bb.1665:
	v_bfe_i32 v5, v3, 0, 16
	v_mov_b32_e32 v12, 0x80
	s_mov_b32 s3, exec_lo
	s_delay_alu instid0(VALU_DEP_2) | instskip(NEXT) | instid1(VALU_DEP_1)
	v_cvt_f32_i32_e32 v5, v5
	v_and_b32_e32 v7, 0x7fffffff, v5
	s_delay_alu instid0(VALU_DEP_1)
	v_cmpx_gt_u32_e32 0x47800000, v7
	s_cbranch_execz .LBB361_1671
; %bb.1666:
	v_cmp_lt_u32_e32 vcc_lo, 0x37ffffff, v7
	s_mov_b32 s6, 0
                                        ; implicit-def: $vgpr7
	s_and_saveexec_b32 s7, vcc_lo
	s_delay_alu instid0(SALU_CYCLE_1)
	s_xor_b32 s7, exec_lo, s7
	s_cbranch_execz .LBB361_2110
; %bb.1667:
	v_bfe_u32 v7, v5, 21, 1
	s_mov_b32 s6, exec_lo
	s_delay_alu instid0(VALU_DEP_1) | instskip(NEXT) | instid1(VALU_DEP_1)
	v_add3_u32 v7, v5, v7, 0x88fffff
	v_lshrrev_b32_e32 v7, 21, v7
	s_or_saveexec_b32 s7, s7
                                        ; implicit-def: $sgpr10
	s_delay_alu instid0(SALU_CYCLE_1)
	s_xor_b32 exec_lo, exec_lo, s7
	s_cbranch_execnz .LBB361_2111
.LBB361_1668:
	s_or_b32 exec_lo, exec_lo, s7
	v_mov_b32_e32 v12, s10
	s_and_saveexec_b32 s7, s6
.LBB361_1669:
	v_lshrrev_b32_e32 v5, 24, v5
	s_delay_alu instid0(VALU_DEP_1)
	v_and_or_b32 v12, 0x80, v5, v7
.LBB361_1670:
	s_or_b32 exec_lo, exec_lo, s7
.LBB361_1671:
	s_delay_alu instid0(SALU_CYCLE_1)
	s_or_b32 exec_lo, exec_lo, s3
	s_mov_b32 s3, 0
	global_store_b8 v[9:10], v12, off
.LBB361_1672:
	s_and_b32 vcc_lo, exec_lo, s3
	s_cbranch_vccz .LBB361_1682
; %bb.1673:
	v_bfe_i32 v5, v3, 0, 16
	s_mov_b32 s3, exec_lo
                                        ; implicit-def: $vgpr7
	s_delay_alu instid0(VALU_DEP_1) | instskip(NEXT) | instid1(VALU_DEP_1)
	v_cvt_f32_i32_e32 v5, v5
	v_and_b32_e32 v12, 0x7fffffff, v5
	s_delay_alu instid0(VALU_DEP_1)
	v_cmpx_gt_u32_e32 0x43f00000, v12
	s_xor_b32 s3, exec_lo, s3
	s_cbranch_execz .LBB361_1679
; %bb.1674:
	s_mov_b32 s6, exec_lo
                                        ; implicit-def: $vgpr7
	v_cmpx_lt_u32_e32 0x3c7fffff, v12
	s_xor_b32 s6, exec_lo, s6
; %bb.1675:
	v_bfe_u32 v7, v5, 20, 1
	s_delay_alu instid0(VALU_DEP_1) | instskip(NEXT) | instid1(VALU_DEP_1)
	v_add3_u32 v7, v5, v7, 0x407ffff
	v_and_b32_e32 v12, 0xff00000, v7
	v_lshrrev_b32_e32 v7, 20, v7
	s_delay_alu instid0(VALU_DEP_2) | instskip(NEXT) | instid1(VALU_DEP_2)
	v_cmp_ne_u32_e32 vcc_lo, 0x7f00000, v12
	v_cndmask_b32_e32 v7, 0x7e, v7, vcc_lo
; %bb.1676:
	s_and_not1_saveexec_b32 s6, s6
; %bb.1677:
	v_add_f32_e64 v7, 0x46800000, |v5|
; %bb.1678:
	s_or_b32 exec_lo, exec_lo, s6
                                        ; implicit-def: $vgpr12
.LBB361_1679:
	s_and_not1_saveexec_b32 s3, s3
; %bb.1680:
	v_mov_b32_e32 v7, 0x7f
	v_cmp_lt_u32_e32 vcc_lo, 0x7f800000, v12
	s_delay_alu instid0(VALU_DEP_2)
	v_cndmask_b32_e32 v7, 0x7e, v7, vcc_lo
; %bb.1681:
	s_or_b32 exec_lo, exec_lo, s3
	v_lshrrev_b32_e32 v5, 24, v5
	s_delay_alu instid0(VALU_DEP_1)
	v_and_or_b32 v5, 0x80, v5, v7
	global_store_b8 v[9:10], v5, off
.LBB361_1682:
	s_mov_b32 s3, 0
.LBB361_1683:
	s_delay_alu instid0(SALU_CYCLE_1)
	s_and_not1_b32 vcc_lo, exec_lo, s3
	s_cbranch_vccnz .LBB361_1693
; %bb.1684:
	v_bfe_i32 v5, v3, 0, 16
	s_mov_b32 s3, exec_lo
                                        ; implicit-def: $vgpr7
	s_delay_alu instid0(VALU_DEP_1) | instskip(NEXT) | instid1(VALU_DEP_1)
	v_cvt_f32_i32_e32 v5, v5
	v_and_b32_e32 v12, 0x7fffffff, v5
	s_delay_alu instid0(VALU_DEP_1)
	v_cmpx_gt_u32_e32 0x47800000, v12
	s_xor_b32 s3, exec_lo, s3
	s_cbranch_execz .LBB361_1690
; %bb.1685:
	s_mov_b32 s6, exec_lo
                                        ; implicit-def: $vgpr7
	v_cmpx_lt_u32_e32 0x387fffff, v12
	s_xor_b32 s6, exec_lo, s6
; %bb.1686:
	v_bfe_u32 v7, v5, 21, 1
	s_delay_alu instid0(VALU_DEP_1) | instskip(NEXT) | instid1(VALU_DEP_1)
	v_add3_u32 v7, v5, v7, 0x80fffff
	v_lshrrev_b32_e32 v7, 21, v7
; %bb.1687:
	s_and_not1_saveexec_b32 s6, s6
; %bb.1688:
	v_add_f32_e64 v7, 0x43000000, |v5|
; %bb.1689:
	s_or_b32 exec_lo, exec_lo, s6
                                        ; implicit-def: $vgpr12
.LBB361_1690:
	s_and_not1_saveexec_b32 s3, s3
; %bb.1691:
	v_mov_b32_e32 v7, 0x7f
	v_cmp_lt_u32_e32 vcc_lo, 0x7f800000, v12
	s_delay_alu instid0(VALU_DEP_2)
	v_cndmask_b32_e32 v7, 0x7c, v7, vcc_lo
; %bb.1692:
	s_or_b32 exec_lo, exec_lo, s3
	v_lshrrev_b32_e32 v5, 24, v5
	s_delay_alu instid0(VALU_DEP_1)
	v_and_or_b32 v5, 0x80, v5, v7
	global_store_b8 v[9:10], v5, off
.LBB361_1693:
	s_mov_b32 s3, 0
	s_mov_b32 s6, -1
.LBB361_1694:
	s_and_not1_b32 vcc_lo, exec_lo, s3
	s_mov_b32 s3, 0
	s_cbranch_vccnz .LBB361_1701
; %bb.1695:
	v_cmp_lt_i16_e32 vcc_lo, 14, v11
	s_mov_b32 s3, -1
	s_cbranch_vccz .LBB361_1699
; %bb.1696:
	v_cmp_eq_u16_e32 vcc_lo, 15, v11
	s_mov_b32 s0, -1
	s_cbranch_vccz .LBB361_1698
; %bb.1697:
	v_bfe_i32 v5, v3, 0, 16
	s_mov_b32 s0, 0
	s_mov_b32 s6, -1
	s_delay_alu instid0(VALU_DEP_1) | instskip(NEXT) | instid1(VALU_DEP_1)
	v_cvt_f32_i32_e32 v5, v5
	v_bfe_u32 v7, v5, 16, 1
	s_delay_alu instid0(VALU_DEP_1)
	v_add3_u32 v5, v5, v7, 0x7fff
	global_store_d16_hi_b16 v[9:10], v5, off
.LBB361_1698:
	s_mov_b32 s3, 0
.LBB361_1699:
	s_delay_alu instid0(SALU_CYCLE_1)
	s_and_b32 vcc_lo, exec_lo, s3
	s_mov_b32 s3, 0
	s_cbranch_vccz .LBB361_1701
; %bb.1700:
	v_cmp_ne_u16_e64 s0, 11, v11
	s_mov_b32 s3, -1
.LBB361_1701:
	s_delay_alu instid0(VALU_DEP_1)
	s_and_b32 vcc_lo, exec_lo, s0
	s_cbranch_vccnz .LBB361_2108
; %bb.1702:
	s_and_not1_b32 vcc_lo, exec_lo, s3
	s_cbranch_vccnz .LBB361_1704
.LBB361_1703:
	v_cmp_ne_u16_e32 vcc_lo, 0, v3
	s_mov_b32 s6, -1
	v_cndmask_b32_e64 v5, 0, 1, vcc_lo
	global_store_b8 v[9:10], v5, off
.LBB361_1704:
	s_mov_b32 s0, 0
.LBB361_1705:
	s_delay_alu instid0(SALU_CYCLE_1)
	s_and_b32 vcc_lo, exec_lo, s0
	s_cbranch_vccz .LBB361_1744
; %bb.1706:
	v_cmp_gt_i16_e32 vcc_lo, 5, v11
	s_mov_b32 s0, -1
	s_cbranch_vccnz .LBB361_1727
; %bb.1707:
	v_cmp_gt_i16_e32 vcc_lo, 8, v11
	s_cbranch_vccnz .LBB361_1717
; %bb.1708:
	v_cmp_gt_i16_e32 vcc_lo, 9, v11
	s_cbranch_vccnz .LBB361_1714
; %bb.1709:
	v_cmp_lt_i16_e32 vcc_lo, 9, v11
	s_cbranch_vccz .LBB361_1711
; %bb.1710:
	v_bfe_i32 v5, v3, 0, 16
	v_mov_b32_e32 v14, 0
	s_mov_b32 s0, 0
	s_delay_alu instid0(VALU_DEP_2) | instskip(NEXT) | instid1(VALU_DEP_2)
	v_cvt_f64_i32_e32 v[12:13], v5
	v_mov_b32_e32 v15, v14
	global_store_b128 v[9:10], v[12:15], off
.LBB361_1711:
	s_and_not1_b32 vcc_lo, exec_lo, s0
	s_cbranch_vccnz .LBB361_1713
; %bb.1712:
	v_bfe_i32 v5, v3, 0, 16
	v_mov_b32_e32 v13, 0
	s_delay_alu instid0(VALU_DEP_2)
	v_cvt_f32_i32_e32 v12, v5
	global_store_b64 v[9:10], v[12:13], off
.LBB361_1713:
	s_mov_b32 s0, 0
.LBB361_1714:
	s_delay_alu instid0(SALU_CYCLE_1)
	s_and_not1_b32 vcc_lo, exec_lo, s0
	s_cbranch_vccnz .LBB361_1716
; %bb.1715:
	v_cvt_f16_i16_e32 v5, v3
	s_delay_alu instid0(VALU_DEP_1)
	v_and_b32_e32 v5, 0xffff, v5
	global_store_b32 v[9:10], v5, off
.LBB361_1716:
	s_mov_b32 s0, 0
.LBB361_1717:
	s_delay_alu instid0(SALU_CYCLE_1)
	s_and_not1_b32 vcc_lo, exec_lo, s0
	s_cbranch_vccnz .LBB361_1726
; %bb.1718:
	v_cmp_gt_i16_e32 vcc_lo, 6, v11
	s_mov_b32 s0, -1
	s_cbranch_vccnz .LBB361_1724
; %bb.1719:
	v_cmp_lt_i16_e32 vcc_lo, 6, v11
	s_cbranch_vccz .LBB361_1721
; %bb.1720:
	v_bfe_i32 v5, v3, 0, 16
	s_mov_b32 s0, 0
	s_delay_alu instid0(VALU_DEP_1)
	v_cvt_f64_i32_e32 v[12:13], v5
	global_store_b64 v[9:10], v[12:13], off
.LBB361_1721:
	s_and_not1_b32 vcc_lo, exec_lo, s0
	s_cbranch_vccnz .LBB361_1723
; %bb.1722:
	v_bfe_i32 v5, v3, 0, 16
	s_delay_alu instid0(VALU_DEP_1)
	v_cvt_f32_i32_e32 v5, v5
	global_store_b32 v[9:10], v5, off
.LBB361_1723:
	s_mov_b32 s0, 0
.LBB361_1724:
	s_delay_alu instid0(SALU_CYCLE_1)
	s_and_not1_b32 vcc_lo, exec_lo, s0
	s_cbranch_vccnz .LBB361_1726
; %bb.1725:
	v_cvt_f16_i16_e32 v5, v3
	global_store_b16 v[9:10], v5, off
.LBB361_1726:
	s_mov_b32 s0, 0
.LBB361_1727:
	s_delay_alu instid0(SALU_CYCLE_1)
	s_and_not1_b32 vcc_lo, exec_lo, s0
	s_cbranch_vccnz .LBB361_1743
; %bb.1728:
	v_cmp_gt_i16_e32 vcc_lo, 2, v11
	s_mov_b32 s0, -1
	s_cbranch_vccnz .LBB361_1738
; %bb.1729:
	v_cmp_gt_i16_e32 vcc_lo, 3, v11
	s_cbranch_vccnz .LBB361_1735
; %bb.1730:
	v_cmp_lt_i16_e32 vcc_lo, 3, v11
	s_cbranch_vccz .LBB361_1732
; %bb.1731:
	v_bfe_i32 v12, v3, 0, 16
	s_mov_b32 s0, 0
	s_delay_alu instid0(VALU_DEP_1)
	v_ashrrev_i32_e32 v13, 31, v12
	global_store_b64 v[9:10], v[12:13], off
.LBB361_1732:
	s_and_not1_b32 vcc_lo, exec_lo, s0
	s_cbranch_vccnz .LBB361_1734
; %bb.1733:
	v_bfe_i32 v5, v3, 0, 16
	global_store_b32 v[9:10], v5, off
.LBB361_1734:
	s_mov_b32 s0, 0
.LBB361_1735:
	s_delay_alu instid0(SALU_CYCLE_1)
	s_and_not1_b32 vcc_lo, exec_lo, s0
	s_cbranch_vccnz .LBB361_1737
; %bb.1736:
	global_store_b16 v[9:10], v3, off
.LBB361_1737:
	s_mov_b32 s0, 0
.LBB361_1738:
	s_delay_alu instid0(SALU_CYCLE_1)
	s_and_not1_b32 vcc_lo, exec_lo, s0
	s_cbranch_vccnz .LBB361_1743
; %bb.1739:
	v_cmp_lt_i16_e32 vcc_lo, 0, v11
	s_mov_b32 s0, -1
	s_cbranch_vccz .LBB361_1741
; %bb.1740:
	s_mov_b32 s0, 0
	global_store_b8 v[9:10], v3, off
.LBB361_1741:
	s_and_not1_b32 vcc_lo, exec_lo, s0
	s_cbranch_vccnz .LBB361_1743
; %bb.1742:
	global_store_b8 v[9:10], v3, off
.LBB361_1743:
	s_mov_b32 s6, -1
.LBB361_1744:
	s_delay_alu instid0(SALU_CYCLE_1)
	s_and_not1_b32 vcc_lo, exec_lo, s6
	s_cbranch_vccnz .LBB361_2057
; %bb.1745:
	v_bfe_i32 v3, v8, 0, 8
	v_cmp_gt_i16_e32 vcc_lo, 11, v11
	v_add_co_u32 v2, s0, s4, v2
	s_mov_b32 s6, 0
	s_delay_alu instid0(VALU_DEP_3)
	v_max_i16 v5, v3, s2
	v_add_co_ci_u32_e64 v3, null, s5, 0, s0
	s_mov_b32 s0, -1
	s_cbranch_vccnz .LBB361_1823
; %bb.1746:
	v_cmp_lt_i16_e32 vcc_lo, 25, v11
	s_mov_b32 s7, -1
	s_mov_b32 s3, 0
	s_mov_b32 s0, 0
	s_cbranch_vccz .LBB361_1779
; %bb.1747:
	v_cmp_lt_i16_e32 vcc_lo, 28, v11
	s_cbranch_vccz .LBB361_1762
; %bb.1748:
	v_cmp_lt_i16_e32 vcc_lo, 43, v11
	;; [unrolled: 3-line block ×3, first 2 shown]
	s_cbranch_vccz .LBB361_1752
; %bb.1750:
	v_cmp_eq_u16_e32 vcc_lo, 46, v11
	s_mov_b32 s0, -1
	s_mov_b32 s7, 0
	s_cbranch_vccz .LBB361_1752
; %bb.1751:
	v_bfe_i32 v7, v5, 0, 16
	s_mov_b32 s0, 0
	s_mov_b32 s6, -1
	s_delay_alu instid0(VALU_DEP_1) | instskip(NEXT) | instid1(VALU_DEP_1)
	v_cvt_f32_i32_e32 v7, v7
	v_bfe_u32 v8, v7, 16, 1
	s_delay_alu instid0(VALU_DEP_1) | instskip(NEXT) | instid1(VALU_DEP_1)
	v_add3_u32 v7, v7, v8, 0x7fff
	v_lshrrev_b32_e32 v7, 16, v7
	global_store_b32 v[2:3], v7, off
.LBB361_1752:
	s_and_b32 vcc_lo, exec_lo, s7
	s_cbranch_vccz .LBB361_1757
; %bb.1753:
	v_cmp_eq_u16_e32 vcc_lo, 44, v11
	s_mov_b32 s0, -1
	s_cbranch_vccz .LBB361_1757
; %bb.1754:
	v_bfe_i32 v7, v5, 0, 16
	v_mov_b32_e32 v8, 0xff
	s_mov_b32 s6, exec_lo
	s_delay_alu instid0(VALU_DEP_2) | instskip(NEXT) | instid1(VALU_DEP_1)
	v_cvt_f32_i32_e32 v7, v7
	v_bfe_u32 v9, v7, 23, 8
	s_delay_alu instid0(VALU_DEP_1)
	v_cmpx_ne_u32_e32 0xff, v9
; %bb.1755:
	v_and_b32_e32 v8, 0x400000, v7
	v_and_or_b32 v9, 0x3fffff, v7, v9
	v_lshrrev_b32_e32 v7, 23, v7
	s_delay_alu instid0(VALU_DEP_3) | instskip(NEXT) | instid1(VALU_DEP_3)
	v_cmp_ne_u32_e32 vcc_lo, 0, v8
	v_cmp_ne_u32_e64 s0, 0, v9
	s_delay_alu instid0(VALU_DEP_1) | instskip(NEXT) | instid1(SALU_CYCLE_1)
	s_and_b32 s0, vcc_lo, s0
	v_cndmask_b32_e64 v8, 0, 1, s0
	s_delay_alu instid0(VALU_DEP_1)
	v_add_nc_u32_e32 v8, v7, v8
; %bb.1756:
	s_or_b32 exec_lo, exec_lo, s6
	s_mov_b32 s0, 0
	s_mov_b32 s6, -1
	global_store_b8 v[2:3], v8, off
.LBB361_1757:
	s_mov_b32 s7, 0
.LBB361_1758:
	s_delay_alu instid0(SALU_CYCLE_1)
	s_and_b32 vcc_lo, exec_lo, s7
	s_cbranch_vccz .LBB361_1761
; %bb.1759:
	v_cmp_eq_u16_e32 vcc_lo, 29, v11
	s_mov_b32 s0, -1
	s_cbranch_vccz .LBB361_1761
; %bb.1760:
	v_bfe_i32 v7, v5, 0, 16
	s_mov_b32 s0, 0
	s_mov_b32 s6, -1
	s_delay_alu instid0(VALU_DEP_1)
	v_ashrrev_i32_e32 v8, 31, v7
	global_store_b64 v[2:3], v[7:8], off
.LBB361_1761:
	s_mov_b32 s7, 0
.LBB361_1762:
	s_delay_alu instid0(SALU_CYCLE_1)
	s_and_b32 vcc_lo, exec_lo, s7
	s_cbranch_vccz .LBB361_1778
; %bb.1763:
	v_cmp_gt_i16_e32 vcc_lo, 27, v11
	s_mov_b32 s6, -1
	s_cbranch_vccnz .LBB361_1769
; %bb.1764:
	v_cmp_lt_i16_e32 vcc_lo, 27, v11
	s_cbranch_vccz .LBB361_1766
; %bb.1765:
	v_bfe_i32 v7, v5, 0, 16
	s_mov_b32 s6, 0
	global_store_b32 v[2:3], v7, off
.LBB361_1766:
	s_and_not1_b32 vcc_lo, exec_lo, s6
	s_cbranch_vccnz .LBB361_1768
; %bb.1767:
	global_store_b16 v[2:3], v5, off
.LBB361_1768:
	s_mov_b32 s6, 0
.LBB361_1769:
	s_delay_alu instid0(SALU_CYCLE_1)
	s_and_not1_b32 vcc_lo, exec_lo, s6
	s_cbranch_vccnz .LBB361_1777
; %bb.1770:
	v_bfe_i32 v7, v5, 0, 16
	v_mov_b32_e32 v9, 0x80
	s_mov_b32 s6, exec_lo
	s_delay_alu instid0(VALU_DEP_2) | instskip(NEXT) | instid1(VALU_DEP_1)
	v_cvt_f32_i32_e32 v7, v7
	v_and_b32_e32 v8, 0x7fffffff, v7
	s_delay_alu instid0(VALU_DEP_1)
	v_cmpx_gt_u32_e32 0x43800000, v8
	s_cbranch_execz .LBB361_1776
; %bb.1771:
	v_cmp_lt_u32_e32 vcc_lo, 0x3bffffff, v8
	s_mov_b32 s7, 0
                                        ; implicit-def: $vgpr8
	s_and_saveexec_b32 s10, vcc_lo
	s_delay_alu instid0(SALU_CYCLE_1)
	s_xor_b32 s10, exec_lo, s10
	s_cbranch_execz .LBB361_2112
; %bb.1772:
	v_bfe_u32 v8, v7, 20, 1
	s_mov_b32 s7, exec_lo
	s_delay_alu instid0(VALU_DEP_1) | instskip(NEXT) | instid1(VALU_DEP_1)
	v_add3_u32 v8, v7, v8, 0x487ffff
	v_lshrrev_b32_e32 v8, 20, v8
	s_or_saveexec_b32 s10, s10
                                        ; implicit-def: $sgpr11
	s_delay_alu instid0(SALU_CYCLE_1)
	s_xor_b32 exec_lo, exec_lo, s10
	s_cbranch_execnz .LBB361_2113
.LBB361_1773:
	s_or_b32 exec_lo, exec_lo, s10
	v_mov_b32_e32 v9, s11
	s_and_saveexec_b32 s10, s7
.LBB361_1774:
	v_lshrrev_b32_e32 v7, 24, v7
	s_delay_alu instid0(VALU_DEP_1)
	v_and_or_b32 v9, 0x80, v7, v8
.LBB361_1775:
	s_or_b32 exec_lo, exec_lo, s10
.LBB361_1776:
	s_delay_alu instid0(SALU_CYCLE_1)
	s_or_b32 exec_lo, exec_lo, s6
	global_store_b8 v[2:3], v9, off
.LBB361_1777:
	s_mov_b32 s6, -1
.LBB361_1778:
	s_mov_b32 s7, 0
.LBB361_1779:
	s_delay_alu instid0(SALU_CYCLE_1)
	s_and_b32 vcc_lo, exec_lo, s7
	s_cbranch_vccz .LBB361_1819
; %bb.1780:
	v_cmp_lt_i16_e32 vcc_lo, 22, v11
	s_mov_b32 s3, -1
	s_cbranch_vccz .LBB361_1812
; %bb.1781:
	v_cmp_gt_i16_e32 vcc_lo, 24, v11
	s_cbranch_vccnz .LBB361_1801
; %bb.1782:
	v_cmp_lt_i16_e32 vcc_lo, 24, v11
	s_cbranch_vccz .LBB361_1790
; %bb.1783:
	v_bfe_i32 v7, v5, 0, 16
	v_mov_b32_e32 v9, 0x80
	s_mov_b32 s3, exec_lo
	s_delay_alu instid0(VALU_DEP_2) | instskip(NEXT) | instid1(VALU_DEP_1)
	v_cvt_f32_i32_e32 v7, v7
	v_and_b32_e32 v8, 0x7fffffff, v7
	s_delay_alu instid0(VALU_DEP_1)
	v_cmpx_gt_u32_e32 0x47800000, v8
	s_cbranch_execz .LBB361_1789
; %bb.1784:
	v_cmp_lt_u32_e32 vcc_lo, 0x37ffffff, v8
	s_mov_b32 s6, 0
                                        ; implicit-def: $vgpr8
	s_and_saveexec_b32 s7, vcc_lo
	s_delay_alu instid0(SALU_CYCLE_1)
	s_xor_b32 s7, exec_lo, s7
	s_cbranch_execz .LBB361_2118
; %bb.1785:
	v_bfe_u32 v8, v7, 21, 1
	s_mov_b32 s6, exec_lo
	s_delay_alu instid0(VALU_DEP_1) | instskip(NEXT) | instid1(VALU_DEP_1)
	v_add3_u32 v8, v7, v8, 0x88fffff
	v_lshrrev_b32_e32 v8, 21, v8
	s_or_saveexec_b32 s7, s7
                                        ; implicit-def: $sgpr10
	s_delay_alu instid0(SALU_CYCLE_1)
	s_xor_b32 exec_lo, exec_lo, s7
	s_cbranch_execnz .LBB361_2119
.LBB361_1786:
	s_or_b32 exec_lo, exec_lo, s7
	v_mov_b32_e32 v9, s10
	s_and_saveexec_b32 s7, s6
.LBB361_1787:
	v_lshrrev_b32_e32 v7, 24, v7
	s_delay_alu instid0(VALU_DEP_1)
	v_and_or_b32 v9, 0x80, v7, v8
.LBB361_1788:
	s_or_b32 exec_lo, exec_lo, s7
.LBB361_1789:
	s_delay_alu instid0(SALU_CYCLE_1)
	s_or_b32 exec_lo, exec_lo, s3
	s_mov_b32 s3, 0
	global_store_b8 v[2:3], v9, off
.LBB361_1790:
	s_and_b32 vcc_lo, exec_lo, s3
	s_cbranch_vccz .LBB361_1800
; %bb.1791:
	v_bfe_i32 v7, v5, 0, 16
	s_mov_b32 s3, exec_lo
                                        ; implicit-def: $vgpr8
	s_delay_alu instid0(VALU_DEP_1) | instskip(NEXT) | instid1(VALU_DEP_1)
	v_cvt_f32_i32_e32 v7, v7
	v_and_b32_e32 v9, 0x7fffffff, v7
	s_delay_alu instid0(VALU_DEP_1)
	v_cmpx_gt_u32_e32 0x43f00000, v9
	s_xor_b32 s3, exec_lo, s3
	s_cbranch_execz .LBB361_1797
; %bb.1792:
	s_mov_b32 s6, exec_lo
                                        ; implicit-def: $vgpr8
	v_cmpx_lt_u32_e32 0x3c7fffff, v9
	s_xor_b32 s6, exec_lo, s6
; %bb.1793:
	v_bfe_u32 v8, v7, 20, 1
	s_delay_alu instid0(VALU_DEP_1) | instskip(NEXT) | instid1(VALU_DEP_1)
	v_add3_u32 v8, v7, v8, 0x407ffff
	v_and_b32_e32 v9, 0xff00000, v8
	v_lshrrev_b32_e32 v8, 20, v8
	s_delay_alu instid0(VALU_DEP_2) | instskip(NEXT) | instid1(VALU_DEP_2)
	v_cmp_ne_u32_e32 vcc_lo, 0x7f00000, v9
	v_cndmask_b32_e32 v8, 0x7e, v8, vcc_lo
; %bb.1794:
	s_and_not1_saveexec_b32 s6, s6
; %bb.1795:
	v_add_f32_e64 v8, 0x46800000, |v7|
; %bb.1796:
	s_or_b32 exec_lo, exec_lo, s6
                                        ; implicit-def: $vgpr9
.LBB361_1797:
	s_and_not1_saveexec_b32 s3, s3
; %bb.1798:
	v_mov_b32_e32 v8, 0x7f
	v_cmp_lt_u32_e32 vcc_lo, 0x7f800000, v9
	s_delay_alu instid0(VALU_DEP_2)
	v_cndmask_b32_e32 v8, 0x7e, v8, vcc_lo
; %bb.1799:
	s_or_b32 exec_lo, exec_lo, s3
	v_lshrrev_b32_e32 v7, 24, v7
	s_delay_alu instid0(VALU_DEP_1)
	v_and_or_b32 v7, 0x80, v7, v8
	global_store_b8 v[2:3], v7, off
.LBB361_1800:
	s_mov_b32 s3, 0
.LBB361_1801:
	s_delay_alu instid0(SALU_CYCLE_1)
	s_and_not1_b32 vcc_lo, exec_lo, s3
	s_cbranch_vccnz .LBB361_1811
; %bb.1802:
	v_bfe_i32 v7, v5, 0, 16
	s_mov_b32 s3, exec_lo
                                        ; implicit-def: $vgpr8
	s_delay_alu instid0(VALU_DEP_1) | instskip(NEXT) | instid1(VALU_DEP_1)
	v_cvt_f32_i32_e32 v7, v7
	v_and_b32_e32 v9, 0x7fffffff, v7
	s_delay_alu instid0(VALU_DEP_1)
	v_cmpx_gt_u32_e32 0x47800000, v9
	s_xor_b32 s3, exec_lo, s3
	s_cbranch_execz .LBB361_1808
; %bb.1803:
	s_mov_b32 s6, exec_lo
                                        ; implicit-def: $vgpr8
	v_cmpx_lt_u32_e32 0x387fffff, v9
	s_xor_b32 s6, exec_lo, s6
; %bb.1804:
	v_bfe_u32 v8, v7, 21, 1
	s_delay_alu instid0(VALU_DEP_1) | instskip(NEXT) | instid1(VALU_DEP_1)
	v_add3_u32 v8, v7, v8, 0x80fffff
	v_lshrrev_b32_e32 v8, 21, v8
; %bb.1805:
	s_and_not1_saveexec_b32 s6, s6
; %bb.1806:
	v_add_f32_e64 v8, 0x43000000, |v7|
; %bb.1807:
	s_or_b32 exec_lo, exec_lo, s6
                                        ; implicit-def: $vgpr9
.LBB361_1808:
	s_and_not1_saveexec_b32 s3, s3
; %bb.1809:
	v_mov_b32_e32 v8, 0x7f
	v_cmp_lt_u32_e32 vcc_lo, 0x7f800000, v9
	s_delay_alu instid0(VALU_DEP_2)
	v_cndmask_b32_e32 v8, 0x7c, v8, vcc_lo
; %bb.1810:
	s_or_b32 exec_lo, exec_lo, s3
	v_lshrrev_b32_e32 v7, 24, v7
	s_delay_alu instid0(VALU_DEP_1)
	v_and_or_b32 v7, 0x80, v7, v8
	global_store_b8 v[2:3], v7, off
.LBB361_1811:
	s_mov_b32 s3, 0
	s_mov_b32 s6, -1
.LBB361_1812:
	s_and_not1_b32 vcc_lo, exec_lo, s3
	s_mov_b32 s3, 0
	s_cbranch_vccnz .LBB361_1819
; %bb.1813:
	v_cmp_lt_i16_e32 vcc_lo, 14, v11
	s_mov_b32 s3, -1
	s_cbranch_vccz .LBB361_1817
; %bb.1814:
	v_cmp_eq_u16_e32 vcc_lo, 15, v11
	s_mov_b32 s0, -1
	s_cbranch_vccz .LBB361_1816
; %bb.1815:
	v_bfe_i32 v7, v5, 0, 16
	s_mov_b32 s0, 0
	s_mov_b32 s6, -1
	s_delay_alu instid0(VALU_DEP_1) | instskip(NEXT) | instid1(VALU_DEP_1)
	v_cvt_f32_i32_e32 v7, v7
	v_bfe_u32 v8, v7, 16, 1
	s_delay_alu instid0(VALU_DEP_1)
	v_add3_u32 v7, v7, v8, 0x7fff
	global_store_d16_hi_b16 v[2:3], v7, off
.LBB361_1816:
	s_mov_b32 s3, 0
.LBB361_1817:
	s_delay_alu instid0(SALU_CYCLE_1)
	s_and_b32 vcc_lo, exec_lo, s3
	s_mov_b32 s3, 0
	s_cbranch_vccz .LBB361_1819
; %bb.1818:
	v_cmp_ne_u16_e64 s0, 11, v11
	s_mov_b32 s3, -1
.LBB361_1819:
	s_delay_alu instid0(VALU_DEP_1)
	s_and_b32 vcc_lo, exec_lo, s0
	s_cbranch_vccnz .LBB361_2116
; %bb.1820:
	s_and_not1_b32 vcc_lo, exec_lo, s3
	s_cbranch_vccnz .LBB361_1822
.LBB361_1821:
	v_cmp_ne_u16_e32 vcc_lo, 0, v5
	s_mov_b32 s6, -1
	v_cndmask_b32_e64 v7, 0, 1, vcc_lo
	global_store_b8 v[2:3], v7, off
.LBB361_1822:
	s_mov_b32 s0, 0
.LBB361_1823:
	s_delay_alu instid0(SALU_CYCLE_1)
	s_and_b32 vcc_lo, exec_lo, s0
	s_cbranch_vccz .LBB361_1862
; %bb.1824:
	v_cmp_gt_i16_e32 vcc_lo, 5, v11
	s_mov_b32 s0, -1
	s_cbranch_vccnz .LBB361_1845
; %bb.1825:
	v_cmp_gt_i16_e32 vcc_lo, 8, v11
	s_cbranch_vccnz .LBB361_1835
; %bb.1826:
	v_cmp_gt_i16_e32 vcc_lo, 9, v11
	s_cbranch_vccnz .LBB361_1832
; %bb.1827:
	v_cmp_lt_i16_e32 vcc_lo, 9, v11
	s_cbranch_vccz .LBB361_1829
; %bb.1828:
	v_bfe_i32 v7, v5, 0, 16
	v_mov_b32_e32 v9, 0
	s_mov_b32 s0, 0
	s_delay_alu instid0(VALU_DEP_2) | instskip(NEXT) | instid1(VALU_DEP_2)
	v_cvt_f64_i32_e32 v[7:8], v7
	v_mov_b32_e32 v10, v9
	global_store_b128 v[2:3], v[7:10], off
.LBB361_1829:
	s_and_not1_b32 vcc_lo, exec_lo, s0
	s_cbranch_vccnz .LBB361_1831
; %bb.1830:
	v_bfe_i32 v7, v5, 0, 16
	v_mov_b32_e32 v8, 0
	s_delay_alu instid0(VALU_DEP_2)
	v_cvt_f32_i32_e32 v7, v7
	global_store_b64 v[2:3], v[7:8], off
.LBB361_1831:
	s_mov_b32 s0, 0
.LBB361_1832:
	s_delay_alu instid0(SALU_CYCLE_1)
	s_and_not1_b32 vcc_lo, exec_lo, s0
	s_cbranch_vccnz .LBB361_1834
; %bb.1833:
	v_cvt_f16_i16_e32 v7, v5
	s_delay_alu instid0(VALU_DEP_1)
	v_and_b32_e32 v7, 0xffff, v7
	global_store_b32 v[2:3], v7, off
.LBB361_1834:
	s_mov_b32 s0, 0
.LBB361_1835:
	s_delay_alu instid0(SALU_CYCLE_1)
	s_and_not1_b32 vcc_lo, exec_lo, s0
	s_cbranch_vccnz .LBB361_1844
; %bb.1836:
	v_cmp_gt_i16_e32 vcc_lo, 6, v11
	s_mov_b32 s0, -1
	s_cbranch_vccnz .LBB361_1842
; %bb.1837:
	v_cmp_lt_i16_e32 vcc_lo, 6, v11
	s_cbranch_vccz .LBB361_1839
; %bb.1838:
	v_bfe_i32 v7, v5, 0, 16
	s_mov_b32 s0, 0
	s_delay_alu instid0(VALU_DEP_1)
	v_cvt_f64_i32_e32 v[7:8], v7
	global_store_b64 v[2:3], v[7:8], off
.LBB361_1839:
	s_and_not1_b32 vcc_lo, exec_lo, s0
	s_cbranch_vccnz .LBB361_1841
; %bb.1840:
	v_bfe_i32 v7, v5, 0, 16
	s_delay_alu instid0(VALU_DEP_1)
	v_cvt_f32_i32_e32 v7, v7
	global_store_b32 v[2:3], v7, off
.LBB361_1841:
	s_mov_b32 s0, 0
.LBB361_1842:
	s_delay_alu instid0(SALU_CYCLE_1)
	s_and_not1_b32 vcc_lo, exec_lo, s0
	s_cbranch_vccnz .LBB361_1844
; %bb.1843:
	v_cvt_f16_i16_e32 v7, v5
	global_store_b16 v[2:3], v7, off
.LBB361_1844:
	s_mov_b32 s0, 0
.LBB361_1845:
	s_delay_alu instid0(SALU_CYCLE_1)
	s_and_not1_b32 vcc_lo, exec_lo, s0
	s_cbranch_vccnz .LBB361_1861
; %bb.1846:
	v_cmp_gt_i16_e32 vcc_lo, 2, v11
	s_mov_b32 s0, -1
	s_cbranch_vccnz .LBB361_1856
; %bb.1847:
	v_cmp_gt_i16_e32 vcc_lo, 3, v11
	s_cbranch_vccnz .LBB361_1853
; %bb.1848:
	v_cmp_lt_i16_e32 vcc_lo, 3, v11
	v_bfe_i32 v7, v5, 0, 16
	s_cbranch_vccz .LBB361_1850
; %bb.1849:
	s_delay_alu instid0(VALU_DEP_1)
	v_ashrrev_i32_e32 v8, 31, v7
	s_mov_b32 s0, 0
	global_store_b64 v[2:3], v[7:8], off
.LBB361_1850:
	s_and_not1_b32 vcc_lo, exec_lo, s0
	s_cbranch_vccnz .LBB361_1852
; %bb.1851:
	global_store_b32 v[2:3], v7, off
.LBB361_1852:
	s_mov_b32 s0, 0
.LBB361_1853:
	s_delay_alu instid0(SALU_CYCLE_1)
	s_and_not1_b32 vcc_lo, exec_lo, s0
	s_cbranch_vccnz .LBB361_1855
; %bb.1854:
	global_store_b16 v[2:3], v5, off
.LBB361_1855:
	s_mov_b32 s0, 0
.LBB361_1856:
	s_delay_alu instid0(SALU_CYCLE_1)
	s_and_not1_b32 vcc_lo, exec_lo, s0
	s_cbranch_vccnz .LBB361_1861
; %bb.1857:
	v_cmp_lt_i16_e32 vcc_lo, 0, v11
	s_mov_b32 s0, -1
	s_cbranch_vccz .LBB361_1859
; %bb.1858:
	s_mov_b32 s0, 0
	global_store_b8 v[2:3], v5, off
.LBB361_1859:
	s_and_not1_b32 vcc_lo, exec_lo, s0
	s_cbranch_vccnz .LBB361_1861
; %bb.1860:
	global_store_b8 v[2:3], v5, off
.LBB361_1861:
	s_mov_b32 s6, -1
.LBB361_1862:
	s_delay_alu instid0(SALU_CYCLE_1)
	s_and_not1_b32 vcc_lo, exec_lo, s6
	s_cbranch_vccnz .LBB361_2057
; %bb.1863:
	v_bfe_i32 v2, v6, 0, 8
	v_cmp_gt_i16_e32 vcc_lo, 11, v11
	v_add_co_u32 v1, s0, s4, v1
	s_mov_b32 s6, 0
	s_delay_alu instid0(VALU_DEP_3)
	v_max_i16 v3, v2, s2
	v_add_co_ci_u32_e64 v2, null, s5, 0, s0
	s_mov_b32 s0, -1
	s_cbranch_vccnz .LBB361_1941
; %bb.1864:
	v_cmp_lt_i16_e32 vcc_lo, 25, v11
	s_mov_b32 s7, -1
	s_mov_b32 s3, 0
	s_mov_b32 s0, 0
	s_cbranch_vccz .LBB361_1897
; %bb.1865:
	v_cmp_lt_i16_e32 vcc_lo, 28, v11
	s_cbranch_vccz .LBB361_1880
; %bb.1866:
	v_cmp_lt_i16_e32 vcc_lo, 43, v11
	s_cbranch_vccz .LBB361_1876
; %bb.1867:
	v_cmp_lt_i16_e32 vcc_lo, 45, v11
	s_cbranch_vccz .LBB361_1870
; %bb.1868:
	v_cmp_eq_u16_e32 vcc_lo, 46, v11
	s_mov_b32 s0, -1
	s_mov_b32 s7, 0
	s_cbranch_vccz .LBB361_1870
; %bb.1869:
	v_bfe_i32 v5, v3, 0, 16
	s_mov_b32 s0, 0
	s_mov_b32 s6, -1
	s_delay_alu instid0(VALU_DEP_1) | instskip(NEXT) | instid1(VALU_DEP_1)
	v_cvt_f32_i32_e32 v5, v5
	v_bfe_u32 v6, v5, 16, 1
	s_delay_alu instid0(VALU_DEP_1) | instskip(NEXT) | instid1(VALU_DEP_1)
	v_add3_u32 v5, v5, v6, 0x7fff
	v_lshrrev_b32_e32 v5, 16, v5
	global_store_b32 v[1:2], v5, off
.LBB361_1870:
	s_and_b32 vcc_lo, exec_lo, s7
	s_cbranch_vccz .LBB361_1875
; %bb.1871:
	v_cmp_eq_u16_e32 vcc_lo, 44, v11
	s_mov_b32 s0, -1
	s_cbranch_vccz .LBB361_1875
; %bb.1872:
	v_bfe_i32 v5, v3, 0, 16
	v_mov_b32_e32 v6, 0xff
	s_mov_b32 s6, exec_lo
	s_delay_alu instid0(VALU_DEP_2) | instskip(NEXT) | instid1(VALU_DEP_1)
	v_cvt_f32_i32_e32 v5, v5
	v_bfe_u32 v7, v5, 23, 8
	s_delay_alu instid0(VALU_DEP_1)
	v_cmpx_ne_u32_e32 0xff, v7
; %bb.1873:
	v_and_b32_e32 v6, 0x400000, v5
	v_and_or_b32 v7, 0x3fffff, v5, v7
	v_lshrrev_b32_e32 v5, 23, v5
	s_delay_alu instid0(VALU_DEP_3) | instskip(NEXT) | instid1(VALU_DEP_3)
	v_cmp_ne_u32_e32 vcc_lo, 0, v6
	v_cmp_ne_u32_e64 s0, 0, v7
	s_delay_alu instid0(VALU_DEP_1) | instskip(NEXT) | instid1(SALU_CYCLE_1)
	s_and_b32 s0, vcc_lo, s0
	v_cndmask_b32_e64 v6, 0, 1, s0
	s_delay_alu instid0(VALU_DEP_1)
	v_add_nc_u32_e32 v6, v5, v6
; %bb.1874:
	s_or_b32 exec_lo, exec_lo, s6
	s_mov_b32 s0, 0
	s_mov_b32 s6, -1
	global_store_b8 v[1:2], v6, off
.LBB361_1875:
	s_mov_b32 s7, 0
.LBB361_1876:
	s_delay_alu instid0(SALU_CYCLE_1)
	s_and_b32 vcc_lo, exec_lo, s7
	s_cbranch_vccz .LBB361_1879
; %bb.1877:
	v_cmp_eq_u16_e32 vcc_lo, 29, v11
	s_mov_b32 s0, -1
	s_cbranch_vccz .LBB361_1879
; %bb.1878:
	v_bfe_i32 v5, v3, 0, 16
	s_mov_b32 s0, 0
	s_mov_b32 s6, -1
	s_delay_alu instid0(VALU_DEP_1)
	v_ashrrev_i32_e32 v6, 31, v5
	global_store_b64 v[1:2], v[5:6], off
.LBB361_1879:
	s_mov_b32 s7, 0
.LBB361_1880:
	s_delay_alu instid0(SALU_CYCLE_1)
	s_and_b32 vcc_lo, exec_lo, s7
	s_cbranch_vccz .LBB361_1896
; %bb.1881:
	v_cmp_gt_i16_e32 vcc_lo, 27, v11
	s_mov_b32 s6, -1
	s_cbranch_vccnz .LBB361_1887
; %bb.1882:
	v_cmp_lt_i16_e32 vcc_lo, 27, v11
	s_cbranch_vccz .LBB361_1884
; %bb.1883:
	v_bfe_i32 v5, v3, 0, 16
	s_mov_b32 s6, 0
	global_store_b32 v[1:2], v5, off
.LBB361_1884:
	s_and_not1_b32 vcc_lo, exec_lo, s6
	s_cbranch_vccnz .LBB361_1886
; %bb.1885:
	global_store_b16 v[1:2], v3, off
.LBB361_1886:
	s_mov_b32 s6, 0
.LBB361_1887:
	s_delay_alu instid0(SALU_CYCLE_1)
	s_and_not1_b32 vcc_lo, exec_lo, s6
	s_cbranch_vccnz .LBB361_1895
; %bb.1888:
	v_bfe_i32 v5, v3, 0, 16
	v_mov_b32_e32 v7, 0x80
	s_mov_b32 s6, exec_lo
	s_delay_alu instid0(VALU_DEP_2) | instskip(NEXT) | instid1(VALU_DEP_1)
	v_cvt_f32_i32_e32 v5, v5
	v_and_b32_e32 v6, 0x7fffffff, v5
	s_delay_alu instid0(VALU_DEP_1)
	v_cmpx_gt_u32_e32 0x43800000, v6
	s_cbranch_execz .LBB361_1894
; %bb.1889:
	v_cmp_lt_u32_e32 vcc_lo, 0x3bffffff, v6
	s_mov_b32 s7, 0
                                        ; implicit-def: $vgpr6
	s_and_saveexec_b32 s10, vcc_lo
	s_delay_alu instid0(SALU_CYCLE_1)
	s_xor_b32 s10, exec_lo, s10
	s_cbranch_execz .LBB361_2120
; %bb.1890:
	v_bfe_u32 v6, v5, 20, 1
	s_mov_b32 s7, exec_lo
	s_delay_alu instid0(VALU_DEP_1) | instskip(NEXT) | instid1(VALU_DEP_1)
	v_add3_u32 v6, v5, v6, 0x487ffff
	v_lshrrev_b32_e32 v6, 20, v6
	s_or_saveexec_b32 s10, s10
                                        ; implicit-def: $sgpr11
	s_delay_alu instid0(SALU_CYCLE_1)
	s_xor_b32 exec_lo, exec_lo, s10
	s_cbranch_execnz .LBB361_2121
.LBB361_1891:
	s_or_b32 exec_lo, exec_lo, s10
	v_mov_b32_e32 v7, s11
	s_and_saveexec_b32 s10, s7
.LBB361_1892:
	v_lshrrev_b32_e32 v5, 24, v5
	s_delay_alu instid0(VALU_DEP_1)
	v_and_or_b32 v7, 0x80, v5, v6
.LBB361_1893:
	s_or_b32 exec_lo, exec_lo, s10
.LBB361_1894:
	s_delay_alu instid0(SALU_CYCLE_1)
	s_or_b32 exec_lo, exec_lo, s6
	global_store_b8 v[1:2], v7, off
.LBB361_1895:
	s_mov_b32 s6, -1
.LBB361_1896:
	s_mov_b32 s7, 0
.LBB361_1897:
	s_delay_alu instid0(SALU_CYCLE_1)
	s_and_b32 vcc_lo, exec_lo, s7
	s_cbranch_vccz .LBB361_1937
; %bb.1898:
	v_cmp_lt_i16_e32 vcc_lo, 22, v11
	s_mov_b32 s3, -1
	s_cbranch_vccz .LBB361_1930
; %bb.1899:
	v_cmp_gt_i16_e32 vcc_lo, 24, v11
	s_cbranch_vccnz .LBB361_1919
; %bb.1900:
	v_cmp_lt_i16_e32 vcc_lo, 24, v11
	s_cbranch_vccz .LBB361_1908
; %bb.1901:
	v_bfe_i32 v5, v3, 0, 16
	v_mov_b32_e32 v7, 0x80
	s_mov_b32 s3, exec_lo
	s_delay_alu instid0(VALU_DEP_2) | instskip(NEXT) | instid1(VALU_DEP_1)
	v_cvt_f32_i32_e32 v5, v5
	v_and_b32_e32 v6, 0x7fffffff, v5
	s_delay_alu instid0(VALU_DEP_1)
	v_cmpx_gt_u32_e32 0x47800000, v6
	s_cbranch_execz .LBB361_1907
; %bb.1902:
	v_cmp_lt_u32_e32 vcc_lo, 0x37ffffff, v6
	s_mov_b32 s6, 0
                                        ; implicit-def: $vgpr6
	s_and_saveexec_b32 s7, vcc_lo
	s_delay_alu instid0(SALU_CYCLE_1)
	s_xor_b32 s7, exec_lo, s7
	s_cbranch_execz .LBB361_2126
; %bb.1903:
	v_bfe_u32 v6, v5, 21, 1
	s_mov_b32 s6, exec_lo
	s_delay_alu instid0(VALU_DEP_1) | instskip(NEXT) | instid1(VALU_DEP_1)
	v_add3_u32 v6, v5, v6, 0x88fffff
	v_lshrrev_b32_e32 v6, 21, v6
	s_or_saveexec_b32 s7, s7
                                        ; implicit-def: $sgpr10
	s_delay_alu instid0(SALU_CYCLE_1)
	s_xor_b32 exec_lo, exec_lo, s7
	s_cbranch_execnz .LBB361_2127
.LBB361_1904:
	s_or_b32 exec_lo, exec_lo, s7
	v_mov_b32_e32 v7, s10
	s_and_saveexec_b32 s7, s6
.LBB361_1905:
	v_lshrrev_b32_e32 v5, 24, v5
	s_delay_alu instid0(VALU_DEP_1)
	v_and_or_b32 v7, 0x80, v5, v6
.LBB361_1906:
	s_or_b32 exec_lo, exec_lo, s7
.LBB361_1907:
	s_delay_alu instid0(SALU_CYCLE_1)
	s_or_b32 exec_lo, exec_lo, s3
	s_mov_b32 s3, 0
	global_store_b8 v[1:2], v7, off
.LBB361_1908:
	s_and_b32 vcc_lo, exec_lo, s3
	s_cbranch_vccz .LBB361_1918
; %bb.1909:
	v_bfe_i32 v5, v3, 0, 16
	s_mov_b32 s3, exec_lo
                                        ; implicit-def: $vgpr6
	s_delay_alu instid0(VALU_DEP_1) | instskip(NEXT) | instid1(VALU_DEP_1)
	v_cvt_f32_i32_e32 v5, v5
	v_and_b32_e32 v7, 0x7fffffff, v5
	s_delay_alu instid0(VALU_DEP_1)
	v_cmpx_gt_u32_e32 0x43f00000, v7
	s_xor_b32 s3, exec_lo, s3
	s_cbranch_execz .LBB361_1915
; %bb.1910:
	s_mov_b32 s6, exec_lo
                                        ; implicit-def: $vgpr6
	v_cmpx_lt_u32_e32 0x3c7fffff, v7
	s_xor_b32 s6, exec_lo, s6
; %bb.1911:
	v_bfe_u32 v6, v5, 20, 1
	s_delay_alu instid0(VALU_DEP_1) | instskip(NEXT) | instid1(VALU_DEP_1)
	v_add3_u32 v6, v5, v6, 0x407ffff
	v_and_b32_e32 v7, 0xff00000, v6
	v_lshrrev_b32_e32 v6, 20, v6
	s_delay_alu instid0(VALU_DEP_2) | instskip(NEXT) | instid1(VALU_DEP_2)
	v_cmp_ne_u32_e32 vcc_lo, 0x7f00000, v7
	v_cndmask_b32_e32 v6, 0x7e, v6, vcc_lo
; %bb.1912:
	s_and_not1_saveexec_b32 s6, s6
; %bb.1913:
	v_add_f32_e64 v6, 0x46800000, |v5|
; %bb.1914:
	s_or_b32 exec_lo, exec_lo, s6
                                        ; implicit-def: $vgpr7
.LBB361_1915:
	s_and_not1_saveexec_b32 s3, s3
; %bb.1916:
	v_mov_b32_e32 v6, 0x7f
	v_cmp_lt_u32_e32 vcc_lo, 0x7f800000, v7
	s_delay_alu instid0(VALU_DEP_2)
	v_cndmask_b32_e32 v6, 0x7e, v6, vcc_lo
; %bb.1917:
	s_or_b32 exec_lo, exec_lo, s3
	v_lshrrev_b32_e32 v5, 24, v5
	s_delay_alu instid0(VALU_DEP_1)
	v_and_or_b32 v5, 0x80, v5, v6
	global_store_b8 v[1:2], v5, off
.LBB361_1918:
	s_mov_b32 s3, 0
.LBB361_1919:
	s_delay_alu instid0(SALU_CYCLE_1)
	s_and_not1_b32 vcc_lo, exec_lo, s3
	s_cbranch_vccnz .LBB361_1929
; %bb.1920:
	v_bfe_i32 v5, v3, 0, 16
	s_mov_b32 s3, exec_lo
                                        ; implicit-def: $vgpr6
	s_delay_alu instid0(VALU_DEP_1) | instskip(NEXT) | instid1(VALU_DEP_1)
	v_cvt_f32_i32_e32 v5, v5
	v_and_b32_e32 v7, 0x7fffffff, v5
	s_delay_alu instid0(VALU_DEP_1)
	v_cmpx_gt_u32_e32 0x47800000, v7
	s_xor_b32 s3, exec_lo, s3
	s_cbranch_execz .LBB361_1926
; %bb.1921:
	s_mov_b32 s6, exec_lo
                                        ; implicit-def: $vgpr6
	v_cmpx_lt_u32_e32 0x387fffff, v7
	s_xor_b32 s6, exec_lo, s6
; %bb.1922:
	v_bfe_u32 v6, v5, 21, 1
	s_delay_alu instid0(VALU_DEP_1) | instskip(NEXT) | instid1(VALU_DEP_1)
	v_add3_u32 v6, v5, v6, 0x80fffff
	v_lshrrev_b32_e32 v6, 21, v6
; %bb.1923:
	s_and_not1_saveexec_b32 s6, s6
; %bb.1924:
	v_add_f32_e64 v6, 0x43000000, |v5|
; %bb.1925:
	s_or_b32 exec_lo, exec_lo, s6
                                        ; implicit-def: $vgpr7
.LBB361_1926:
	s_and_not1_saveexec_b32 s3, s3
; %bb.1927:
	v_mov_b32_e32 v6, 0x7f
	v_cmp_lt_u32_e32 vcc_lo, 0x7f800000, v7
	s_delay_alu instid0(VALU_DEP_2)
	v_cndmask_b32_e32 v6, 0x7c, v6, vcc_lo
; %bb.1928:
	s_or_b32 exec_lo, exec_lo, s3
	v_lshrrev_b32_e32 v5, 24, v5
	s_delay_alu instid0(VALU_DEP_1)
	v_and_or_b32 v5, 0x80, v5, v6
	global_store_b8 v[1:2], v5, off
.LBB361_1929:
	s_mov_b32 s3, 0
	s_mov_b32 s6, -1
.LBB361_1930:
	s_and_not1_b32 vcc_lo, exec_lo, s3
	s_mov_b32 s3, 0
	s_cbranch_vccnz .LBB361_1937
; %bb.1931:
	v_cmp_lt_i16_e32 vcc_lo, 14, v11
	s_mov_b32 s3, -1
	s_cbranch_vccz .LBB361_1935
; %bb.1932:
	v_cmp_eq_u16_e32 vcc_lo, 15, v11
	s_mov_b32 s0, -1
	s_cbranch_vccz .LBB361_1934
; %bb.1933:
	v_bfe_i32 v5, v3, 0, 16
	s_mov_b32 s0, 0
	s_mov_b32 s6, -1
	s_delay_alu instid0(VALU_DEP_1) | instskip(NEXT) | instid1(VALU_DEP_1)
	v_cvt_f32_i32_e32 v5, v5
	v_bfe_u32 v6, v5, 16, 1
	s_delay_alu instid0(VALU_DEP_1)
	v_add3_u32 v5, v5, v6, 0x7fff
	global_store_d16_hi_b16 v[1:2], v5, off
.LBB361_1934:
	s_mov_b32 s3, 0
.LBB361_1935:
	s_delay_alu instid0(SALU_CYCLE_1)
	s_and_b32 vcc_lo, exec_lo, s3
	s_mov_b32 s3, 0
	s_cbranch_vccz .LBB361_1937
; %bb.1936:
	v_cmp_ne_u16_e64 s0, 11, v11
	s_mov_b32 s3, -1
.LBB361_1937:
	s_delay_alu instid0(VALU_DEP_1)
	s_and_b32 vcc_lo, exec_lo, s0
	s_cbranch_vccnz .LBB361_2124
; %bb.1938:
	s_and_not1_b32 vcc_lo, exec_lo, s3
	s_cbranch_vccnz .LBB361_1940
.LBB361_1939:
	v_cmp_ne_u16_e32 vcc_lo, 0, v3
	s_mov_b32 s6, -1
	v_cndmask_b32_e64 v5, 0, 1, vcc_lo
	global_store_b8 v[1:2], v5, off
.LBB361_1940:
	s_mov_b32 s0, 0
.LBB361_1941:
	s_delay_alu instid0(SALU_CYCLE_1)
	s_and_b32 vcc_lo, exec_lo, s0
	s_cbranch_vccz .LBB361_1980
; %bb.1942:
	v_cmp_gt_i16_e32 vcc_lo, 5, v11
	s_mov_b32 s0, -1
	s_cbranch_vccnz .LBB361_1963
; %bb.1943:
	v_cmp_gt_i16_e32 vcc_lo, 8, v11
	s_cbranch_vccnz .LBB361_1953
; %bb.1944:
	v_cmp_gt_i16_e32 vcc_lo, 9, v11
	s_cbranch_vccnz .LBB361_1950
; %bb.1945:
	v_cmp_lt_i16_e32 vcc_lo, 9, v11
	s_cbranch_vccz .LBB361_1947
; %bb.1946:
	v_bfe_i32 v5, v3, 0, 16
	v_mov_b32_e32 v7, 0
	s_mov_b32 s0, 0
	s_delay_alu instid0(VALU_DEP_2) | instskip(NEXT) | instid1(VALU_DEP_2)
	v_cvt_f64_i32_e32 v[5:6], v5
	v_mov_b32_e32 v8, v7
	global_store_b128 v[1:2], v[5:8], off
.LBB361_1947:
	s_and_not1_b32 vcc_lo, exec_lo, s0
	s_cbranch_vccnz .LBB361_1949
; %bb.1948:
	v_bfe_i32 v5, v3, 0, 16
	v_mov_b32_e32 v6, 0
	s_delay_alu instid0(VALU_DEP_2)
	v_cvt_f32_i32_e32 v5, v5
	global_store_b64 v[1:2], v[5:6], off
.LBB361_1949:
	s_mov_b32 s0, 0
.LBB361_1950:
	s_delay_alu instid0(SALU_CYCLE_1)
	s_and_not1_b32 vcc_lo, exec_lo, s0
	s_cbranch_vccnz .LBB361_1952
; %bb.1951:
	v_cvt_f16_i16_e32 v5, v3
	s_delay_alu instid0(VALU_DEP_1)
	v_and_b32_e32 v5, 0xffff, v5
	global_store_b32 v[1:2], v5, off
.LBB361_1952:
	s_mov_b32 s0, 0
.LBB361_1953:
	s_delay_alu instid0(SALU_CYCLE_1)
	s_and_not1_b32 vcc_lo, exec_lo, s0
	s_cbranch_vccnz .LBB361_1962
; %bb.1954:
	v_cmp_gt_i16_e32 vcc_lo, 6, v11
	s_mov_b32 s0, -1
	s_cbranch_vccnz .LBB361_1960
; %bb.1955:
	v_cmp_lt_i16_e32 vcc_lo, 6, v11
	s_cbranch_vccz .LBB361_1957
; %bb.1956:
	v_bfe_i32 v5, v3, 0, 16
	s_mov_b32 s0, 0
	s_delay_alu instid0(VALU_DEP_1)
	v_cvt_f64_i32_e32 v[5:6], v5
	global_store_b64 v[1:2], v[5:6], off
.LBB361_1957:
	s_and_not1_b32 vcc_lo, exec_lo, s0
	s_cbranch_vccnz .LBB361_1959
; %bb.1958:
	v_bfe_i32 v5, v3, 0, 16
	s_delay_alu instid0(VALU_DEP_1)
	v_cvt_f32_i32_e32 v5, v5
	global_store_b32 v[1:2], v5, off
.LBB361_1959:
	s_mov_b32 s0, 0
.LBB361_1960:
	s_delay_alu instid0(SALU_CYCLE_1)
	s_and_not1_b32 vcc_lo, exec_lo, s0
	s_cbranch_vccnz .LBB361_1962
; %bb.1961:
	v_cvt_f16_i16_e32 v5, v3
	global_store_b16 v[1:2], v5, off
.LBB361_1962:
	s_mov_b32 s0, 0
.LBB361_1963:
	s_delay_alu instid0(SALU_CYCLE_1)
	s_and_not1_b32 vcc_lo, exec_lo, s0
	s_cbranch_vccnz .LBB361_1979
; %bb.1964:
	v_cmp_gt_i16_e32 vcc_lo, 2, v11
	s_mov_b32 s0, -1
	s_cbranch_vccnz .LBB361_1974
; %bb.1965:
	v_cmp_gt_i16_e32 vcc_lo, 3, v11
	s_cbranch_vccnz .LBB361_1971
; %bb.1966:
	v_cmp_lt_i16_e32 vcc_lo, 3, v11
	v_bfe_i32 v5, v3, 0, 16
	s_cbranch_vccz .LBB361_1968
; %bb.1967:
	s_delay_alu instid0(VALU_DEP_1)
	v_ashrrev_i32_e32 v6, 31, v5
	s_mov_b32 s0, 0
	global_store_b64 v[1:2], v[5:6], off
.LBB361_1968:
	s_and_not1_b32 vcc_lo, exec_lo, s0
	s_cbranch_vccnz .LBB361_1970
; %bb.1969:
	global_store_b32 v[1:2], v5, off
.LBB361_1970:
	s_mov_b32 s0, 0
.LBB361_1971:
	s_delay_alu instid0(SALU_CYCLE_1)
	s_and_not1_b32 vcc_lo, exec_lo, s0
	s_cbranch_vccnz .LBB361_1973
; %bb.1972:
	global_store_b16 v[1:2], v3, off
.LBB361_1973:
	s_mov_b32 s0, 0
.LBB361_1974:
	s_delay_alu instid0(SALU_CYCLE_1)
	s_and_not1_b32 vcc_lo, exec_lo, s0
	s_cbranch_vccnz .LBB361_1979
; %bb.1975:
	v_cmp_lt_i16_e32 vcc_lo, 0, v11
	s_mov_b32 s0, -1
	s_cbranch_vccz .LBB361_1977
; %bb.1976:
	s_mov_b32 s0, 0
	global_store_b8 v[1:2], v3, off
.LBB361_1977:
	s_and_not1_b32 vcc_lo, exec_lo, s0
	s_cbranch_vccnz .LBB361_1979
; %bb.1978:
	global_store_b8 v[1:2], v3, off
.LBB361_1979:
	s_mov_b32 s6, -1
.LBB361_1980:
	s_delay_alu instid0(SALU_CYCLE_1)
	s_and_not1_b32 vcc_lo, exec_lo, s6
	s_cbranch_vccnz .LBB361_2057
; %bb.1981:
	v_bfe_i32 v1, v4, 0, 8
	v_cmp_gt_i16_e32 vcc_lo, 11, v11
	v_add_co_u32 v0, s0, s4, v0
	s_mov_b32 s3, 0
	s_delay_alu instid0(VALU_DEP_3)
	v_max_i16 v2, v1, s2
	v_add_co_ci_u32_e64 v1, null, s5, 0, s0
	s_mov_b32 s0, -1
	s_cbranch_vccnz .LBB361_2058
; %bb.1982:
	v_cmp_lt_i16_e32 vcc_lo, 25, v11
	s_mov_b32 s2, -1
	s_mov_b32 s0, 0
	s_cbranch_vccz .LBB361_2015
; %bb.1983:
	v_cmp_lt_i16_e32 vcc_lo, 28, v11
	s_cbranch_vccz .LBB361_1999
; %bb.1984:
	v_cmp_lt_i16_e32 vcc_lo, 43, v11
	;; [unrolled: 3-line block ×3, first 2 shown]
	s_cbranch_vccz .LBB361_1989
; %bb.1986:
	v_cmp_eq_u16_e32 vcc_lo, 46, v11
	s_mov_b32 s0, -1
	s_cbranch_vccz .LBB361_1988
; %bb.1987:
	v_bfe_i32 v3, v2, 0, 16
	s_mov_b32 s0, 0
	s_delay_alu instid0(VALU_DEP_1) | instskip(NEXT) | instid1(VALU_DEP_1)
	v_cvt_f32_i32_e32 v3, v3
	v_bfe_u32 v4, v3, 16, 1
	s_delay_alu instid0(VALU_DEP_1) | instskip(NEXT) | instid1(VALU_DEP_1)
	v_add3_u32 v3, v3, v4, 0x7fff
	v_lshrrev_b32_e32 v3, 16, v3
	global_store_b32 v[0:1], v3, off
.LBB361_1988:
	s_mov_b32 s2, 0
.LBB361_1989:
	s_delay_alu instid0(SALU_CYCLE_1)
	s_and_b32 vcc_lo, exec_lo, s2
	s_cbranch_vccz .LBB361_1994
; %bb.1990:
	v_cmp_eq_u16_e32 vcc_lo, 44, v11
	s_mov_b32 s0, -1
	s_cbranch_vccz .LBB361_1994
; %bb.1991:
	v_bfe_i32 v3, v2, 0, 16
	v_mov_b32_e32 v4, 0xff
	s_mov_b32 s2, exec_lo
	s_delay_alu instid0(VALU_DEP_2) | instskip(NEXT) | instid1(VALU_DEP_1)
	v_cvt_f32_i32_e32 v3, v3
	v_bfe_u32 v5, v3, 23, 8
	s_delay_alu instid0(VALU_DEP_1)
	v_cmpx_ne_u32_e32 0xff, v5
; %bb.1992:
	v_and_b32_e32 v4, 0x400000, v3
	v_and_or_b32 v5, 0x3fffff, v3, v5
	v_lshrrev_b32_e32 v3, 23, v3
	s_delay_alu instid0(VALU_DEP_3) | instskip(NEXT) | instid1(VALU_DEP_3)
	v_cmp_ne_u32_e32 vcc_lo, 0, v4
	v_cmp_ne_u32_e64 s0, 0, v5
	s_delay_alu instid0(VALU_DEP_1) | instskip(NEXT) | instid1(SALU_CYCLE_1)
	s_and_b32 s0, vcc_lo, s0
	v_cndmask_b32_e64 v4, 0, 1, s0
	s_delay_alu instid0(VALU_DEP_1)
	v_add_nc_u32_e32 v4, v3, v4
; %bb.1993:
	s_or_b32 exec_lo, exec_lo, s2
	s_mov_b32 s0, 0
	global_store_b8 v[0:1], v4, off
.LBB361_1994:
	s_mov_b32 s2, 0
.LBB361_1995:
	s_delay_alu instid0(SALU_CYCLE_1)
	s_and_b32 vcc_lo, exec_lo, s2
	s_cbranch_vccz .LBB361_1998
; %bb.1996:
	v_cmp_eq_u16_e32 vcc_lo, 29, v11
	s_mov_b32 s0, -1
	s_cbranch_vccz .LBB361_1998
; %bb.1997:
	v_bfe_i32 v3, v2, 0, 16
	s_mov_b32 s0, 0
	s_delay_alu instid0(VALU_DEP_1)
	v_ashrrev_i32_e32 v4, 31, v3
	global_store_b64 v[0:1], v[3:4], off
.LBB361_1998:
	s_mov_b32 s2, 0
.LBB361_1999:
	s_delay_alu instid0(SALU_CYCLE_1)
	s_and_b32 vcc_lo, exec_lo, s2
	s_cbranch_vccz .LBB361_2014
; %bb.2000:
	v_cmp_gt_i16_e32 vcc_lo, 27, v11
	s_mov_b32 s2, -1
	s_cbranch_vccnz .LBB361_2006
; %bb.2001:
	v_cmp_lt_i16_e32 vcc_lo, 27, v11
	s_cbranch_vccz .LBB361_2003
; %bb.2002:
	v_bfe_i32 v3, v2, 0, 16
	s_mov_b32 s2, 0
	global_store_b32 v[0:1], v3, off
.LBB361_2003:
	s_and_not1_b32 vcc_lo, exec_lo, s2
	s_cbranch_vccnz .LBB361_2005
; %bb.2004:
	global_store_b16 v[0:1], v2, off
.LBB361_2005:
	s_mov_b32 s2, 0
.LBB361_2006:
	s_delay_alu instid0(SALU_CYCLE_1)
	s_and_not1_b32 vcc_lo, exec_lo, s2
	s_cbranch_vccnz .LBB361_2014
; %bb.2007:
	v_bfe_i32 v3, v2, 0, 16
	v_mov_b32_e32 v5, 0x80
	s_mov_b32 s2, exec_lo
	s_delay_alu instid0(VALU_DEP_2) | instskip(NEXT) | instid1(VALU_DEP_1)
	v_cvt_f32_i32_e32 v3, v3
	v_and_b32_e32 v4, 0x7fffffff, v3
	s_delay_alu instid0(VALU_DEP_1)
	v_cmpx_gt_u32_e32 0x43800000, v4
	s_cbranch_execz .LBB361_2013
; %bb.2008:
	v_cmp_lt_u32_e32 vcc_lo, 0x3bffffff, v4
	s_mov_b32 s4, 0
                                        ; implicit-def: $vgpr4
	s_and_saveexec_b32 s5, vcc_lo
	s_delay_alu instid0(SALU_CYCLE_1)
	s_xor_b32 s5, exec_lo, s5
	s_cbranch_execz .LBB361_2128
; %bb.2009:
	v_bfe_u32 v4, v3, 20, 1
	s_mov_b32 s4, exec_lo
	s_delay_alu instid0(VALU_DEP_1) | instskip(NEXT) | instid1(VALU_DEP_1)
	v_add3_u32 v4, v3, v4, 0x487ffff
	v_lshrrev_b32_e32 v4, 20, v4
	s_or_saveexec_b32 s5, s5
                                        ; implicit-def: $sgpr6
	s_delay_alu instid0(SALU_CYCLE_1)
	s_xor_b32 exec_lo, exec_lo, s5
	s_cbranch_execnz .LBB361_2129
.LBB361_2010:
	s_or_b32 exec_lo, exec_lo, s5
	v_mov_b32_e32 v5, s6
	s_and_saveexec_b32 s5, s4
.LBB361_2011:
	v_lshrrev_b32_e32 v3, 24, v3
	s_delay_alu instid0(VALU_DEP_1)
	v_and_or_b32 v5, 0x80, v3, v4
.LBB361_2012:
	s_or_b32 exec_lo, exec_lo, s5
.LBB361_2013:
	s_delay_alu instid0(SALU_CYCLE_1)
	s_or_b32 exec_lo, exec_lo, s2
	global_store_b8 v[0:1], v5, off
.LBB361_2014:
	s_mov_b32 s2, 0
.LBB361_2015:
	s_delay_alu instid0(SALU_CYCLE_1)
	s_and_b32 vcc_lo, exec_lo, s2
	s_cbranch_vccz .LBB361_2055
; %bb.2016:
	v_cmp_lt_i16_e32 vcc_lo, 22, v11
	s_mov_b32 s2, -1
	s_cbranch_vccz .LBB361_2048
; %bb.2017:
	v_cmp_gt_i16_e32 vcc_lo, 24, v11
	s_cbranch_vccnz .LBB361_2037
; %bb.2018:
	v_cmp_lt_i16_e32 vcc_lo, 24, v11
	s_cbranch_vccz .LBB361_2026
; %bb.2019:
	v_bfe_i32 v3, v2, 0, 16
	v_mov_b32_e32 v5, 0x80
	s_mov_b32 s2, exec_lo
	s_delay_alu instid0(VALU_DEP_2) | instskip(NEXT) | instid1(VALU_DEP_1)
	v_cvt_f32_i32_e32 v3, v3
	v_and_b32_e32 v4, 0x7fffffff, v3
	s_delay_alu instid0(VALU_DEP_1)
	v_cmpx_gt_u32_e32 0x47800000, v4
	s_cbranch_execz .LBB361_2025
; %bb.2020:
	v_cmp_lt_u32_e32 vcc_lo, 0x37ffffff, v4
                                        ; implicit-def: $vgpr4
	s_and_saveexec_b32 s4, vcc_lo
	s_delay_alu instid0(SALU_CYCLE_1)
	s_xor_b32 s4, exec_lo, s4
	s_cbranch_execz .LBB361_2134
; %bb.2021:
	v_bfe_u32 v4, v3, 21, 1
	s_mov_b32 s3, exec_lo
	s_delay_alu instid0(VALU_DEP_1) | instskip(NEXT) | instid1(VALU_DEP_1)
	v_add3_u32 v4, v3, v4, 0x88fffff
	v_lshrrev_b32_e32 v4, 21, v4
	s_or_saveexec_b32 s4, s4
                                        ; implicit-def: $sgpr5
	s_delay_alu instid0(SALU_CYCLE_1)
	s_xor_b32 exec_lo, exec_lo, s4
	s_cbranch_execnz .LBB361_2135
.LBB361_2022:
	s_or_b32 exec_lo, exec_lo, s4
	v_mov_b32_e32 v5, s5
	s_and_saveexec_b32 s4, s3
.LBB361_2023:
	v_lshrrev_b32_e32 v3, 24, v3
	s_delay_alu instid0(VALU_DEP_1)
	v_and_or_b32 v5, 0x80, v3, v4
.LBB361_2024:
	s_or_b32 exec_lo, exec_lo, s4
.LBB361_2025:
	s_delay_alu instid0(SALU_CYCLE_1)
	s_or_b32 exec_lo, exec_lo, s2
	s_mov_b32 s2, 0
	global_store_b8 v[0:1], v5, off
.LBB361_2026:
	s_and_b32 vcc_lo, exec_lo, s2
	s_cbranch_vccz .LBB361_2036
; %bb.2027:
	v_bfe_i32 v3, v2, 0, 16
	s_mov_b32 s2, exec_lo
                                        ; implicit-def: $vgpr4
	s_delay_alu instid0(VALU_DEP_1) | instskip(NEXT) | instid1(VALU_DEP_1)
	v_cvt_f32_i32_e32 v3, v3
	v_and_b32_e32 v5, 0x7fffffff, v3
	s_delay_alu instid0(VALU_DEP_1)
	v_cmpx_gt_u32_e32 0x43f00000, v5
	s_xor_b32 s2, exec_lo, s2
	s_cbranch_execz .LBB361_2033
; %bb.2028:
	s_mov_b32 s3, exec_lo
                                        ; implicit-def: $vgpr4
	v_cmpx_lt_u32_e32 0x3c7fffff, v5
	s_xor_b32 s3, exec_lo, s3
; %bb.2029:
	v_bfe_u32 v4, v3, 20, 1
	s_delay_alu instid0(VALU_DEP_1) | instskip(NEXT) | instid1(VALU_DEP_1)
	v_add3_u32 v4, v3, v4, 0x407ffff
	v_and_b32_e32 v5, 0xff00000, v4
	v_lshrrev_b32_e32 v4, 20, v4
	s_delay_alu instid0(VALU_DEP_2) | instskip(NEXT) | instid1(VALU_DEP_2)
	v_cmp_ne_u32_e32 vcc_lo, 0x7f00000, v5
	v_cndmask_b32_e32 v4, 0x7e, v4, vcc_lo
; %bb.2030:
	s_and_not1_saveexec_b32 s3, s3
; %bb.2031:
	v_add_f32_e64 v4, 0x46800000, |v3|
; %bb.2032:
	s_or_b32 exec_lo, exec_lo, s3
                                        ; implicit-def: $vgpr5
.LBB361_2033:
	s_and_not1_saveexec_b32 s2, s2
; %bb.2034:
	v_mov_b32_e32 v4, 0x7f
	v_cmp_lt_u32_e32 vcc_lo, 0x7f800000, v5
	s_delay_alu instid0(VALU_DEP_2)
	v_cndmask_b32_e32 v4, 0x7e, v4, vcc_lo
; %bb.2035:
	s_or_b32 exec_lo, exec_lo, s2
	v_lshrrev_b32_e32 v3, 24, v3
	s_delay_alu instid0(VALU_DEP_1)
	v_and_or_b32 v3, 0x80, v3, v4
	global_store_b8 v[0:1], v3, off
.LBB361_2036:
	s_mov_b32 s2, 0
.LBB361_2037:
	s_delay_alu instid0(SALU_CYCLE_1)
	s_and_not1_b32 vcc_lo, exec_lo, s2
	s_cbranch_vccnz .LBB361_2047
; %bb.2038:
	v_bfe_i32 v3, v2, 0, 16
	s_mov_b32 s2, exec_lo
                                        ; implicit-def: $vgpr4
	s_delay_alu instid0(VALU_DEP_1) | instskip(NEXT) | instid1(VALU_DEP_1)
	v_cvt_f32_i32_e32 v3, v3
	v_and_b32_e32 v5, 0x7fffffff, v3
	s_delay_alu instid0(VALU_DEP_1)
	v_cmpx_gt_u32_e32 0x47800000, v5
	s_xor_b32 s2, exec_lo, s2
	s_cbranch_execz .LBB361_2044
; %bb.2039:
	s_mov_b32 s3, exec_lo
                                        ; implicit-def: $vgpr4
	v_cmpx_lt_u32_e32 0x387fffff, v5
	s_xor_b32 s3, exec_lo, s3
; %bb.2040:
	v_bfe_u32 v4, v3, 21, 1
	s_delay_alu instid0(VALU_DEP_1) | instskip(NEXT) | instid1(VALU_DEP_1)
	v_add3_u32 v4, v3, v4, 0x80fffff
	v_lshrrev_b32_e32 v4, 21, v4
; %bb.2041:
	s_and_not1_saveexec_b32 s3, s3
; %bb.2042:
	v_add_f32_e64 v4, 0x43000000, |v3|
; %bb.2043:
	s_or_b32 exec_lo, exec_lo, s3
                                        ; implicit-def: $vgpr5
.LBB361_2044:
	s_and_not1_saveexec_b32 s2, s2
; %bb.2045:
	v_mov_b32_e32 v4, 0x7f
	v_cmp_lt_u32_e32 vcc_lo, 0x7f800000, v5
	s_delay_alu instid0(VALU_DEP_2)
	v_cndmask_b32_e32 v4, 0x7c, v4, vcc_lo
; %bb.2046:
	s_or_b32 exec_lo, exec_lo, s2
	v_lshrrev_b32_e32 v3, 24, v3
	s_delay_alu instid0(VALU_DEP_1)
	v_and_or_b32 v3, 0x80, v3, v4
	global_store_b8 v[0:1], v3, off
.LBB361_2047:
	s_mov_b32 s2, 0
.LBB361_2048:
	s_delay_alu instid0(SALU_CYCLE_1)
	s_and_not1_b32 vcc_lo, exec_lo, s2
	s_mov_b32 s3, 0
	s_cbranch_vccnz .LBB361_2055
; %bb.2049:
	v_cmp_lt_i16_e32 vcc_lo, 14, v11
	s_mov_b32 s2, -1
	s_cbranch_vccz .LBB361_2053
; %bb.2050:
	v_cmp_eq_u16_e32 vcc_lo, 15, v11
	s_mov_b32 s0, -1
	s_cbranch_vccz .LBB361_2052
; %bb.2051:
	v_bfe_i32 v3, v2, 0, 16
	s_mov_b32 s0, 0
	s_delay_alu instid0(VALU_DEP_1) | instskip(NEXT) | instid1(VALU_DEP_1)
	v_cvt_f32_i32_e32 v3, v3
	v_bfe_u32 v4, v3, 16, 1
	s_delay_alu instid0(VALU_DEP_1)
	v_add3_u32 v3, v3, v4, 0x7fff
	global_store_d16_hi_b16 v[0:1], v3, off
.LBB361_2052:
	s_mov_b32 s2, 0
.LBB361_2053:
	s_delay_alu instid0(SALU_CYCLE_1)
	s_and_b32 vcc_lo, exec_lo, s2
	s_cbranch_vccz .LBB361_2055
; %bb.2054:
	v_cmp_ne_u16_e64 s0, 11, v11
	s_mov_b32 s3, -1
.LBB361_2055:
	s_delay_alu instid0(VALU_DEP_1)
	s_and_b32 vcc_lo, exec_lo, s0
	s_cbranch_vccnz .LBB361_2132
.LBB361_2056:
	s_mov_b32 s0, 0
	s_branch .LBB361_2058
.LBB361_2057:
	s_mov_b32 s0, 0
	s_mov_b32 s3, 0
                                        ; implicit-def: $vgpr0_vgpr1
                                        ; implicit-def: $vgpr11
                                        ; implicit-def: $vgpr2
.LBB361_2058:
	s_and_b32 s2, s0, exec_lo
	s_and_not1_b32 s0, s8, exec_lo
	s_and_b32 s1, s1, exec_lo
	s_and_b32 s26, s3, exec_lo
	s_or_b32 s8, s0, s1
.LBB361_2059:
	s_or_b32 exec_lo, exec_lo, s9
	s_and_saveexec_b32 s0, s8
	s_cbranch_execz .LBB361_2062
; %bb.2060:
	; divergent unreachable
	s_or_b32 exec_lo, exec_lo, s0
	s_and_saveexec_b32 s0, s26
	s_delay_alu instid0(SALU_CYCLE_1)
	s_xor_b32 s0, exec_lo, s0
	s_cbranch_execnz .LBB361_2063
.LBB361_2061:
	s_or_b32 exec_lo, exec_lo, s0
	s_and_saveexec_b32 s0, s2
	s_cbranch_execnz .LBB361_2064
	s_branch .LBB361_2101
.LBB361_2062:
	s_or_b32 exec_lo, exec_lo, s0
	s_and_saveexec_b32 s0, s26
	s_delay_alu instid0(SALU_CYCLE_1)
	s_xor_b32 s0, exec_lo, s0
	s_cbranch_execz .LBB361_2061
.LBB361_2063:
	s_waitcnt vmcnt(0)
	v_and_b32_e32 v3, 0xff, v2
	s_delay_alu instid0(VALU_DEP_1)
	v_cmp_ne_u16_e32 vcc_lo, 0, v3
	v_cndmask_b32_e64 v3, 0, 1, vcc_lo
	global_store_b8 v[0:1], v3, off
	s_or_b32 exec_lo, exec_lo, s0
	s_and_saveexec_b32 s0, s2
	s_cbranch_execz .LBB361_2101
.LBB361_2064:
	s_waitcnt vmcnt(0)
	v_cmp_gt_i16_e32 vcc_lo, 5, v11
	s_mov_b32 s0, -1
	s_cbranch_vccnz .LBB361_2085
; %bb.2065:
	v_cmp_gt_i16_e32 vcc_lo, 8, v11
	s_cbranch_vccnz .LBB361_2075
; %bb.2066:
	v_cmp_gt_i16_e32 vcc_lo, 9, v11
	s_cbranch_vccnz .LBB361_2072
; %bb.2067:
	v_cmp_lt_i16_e32 vcc_lo, 9, v11
	s_cbranch_vccz .LBB361_2069
; %bb.2068:
	v_bfe_i32 v3, v2, 0, 8
	v_mov_b32_e32 v5, 0
	s_mov_b32 s0, 0
	s_delay_alu instid0(VALU_DEP_2) | instskip(NEXT) | instid1(VALU_DEP_2)
	v_bfe_i32 v3, v3, 0, 16
	v_mov_b32_e32 v6, v5
	s_delay_alu instid0(VALU_DEP_2)
	v_cvt_f64_i32_e32 v[3:4], v3
	global_store_b128 v[0:1], v[3:6], off
.LBB361_2069:
	s_and_not1_b32 vcc_lo, exec_lo, s0
	s_cbranch_vccnz .LBB361_2071
; %bb.2070:
	v_bfe_i32 v3, v2, 0, 8
	v_mov_b32_e32 v4, 0
	s_delay_alu instid0(VALU_DEP_2) | instskip(NEXT) | instid1(VALU_DEP_1)
	v_bfe_i32 v3, v3, 0, 16
	v_cvt_f32_i32_e32 v3, v3
	global_store_b64 v[0:1], v[3:4], off
.LBB361_2071:
	s_mov_b32 s0, 0
.LBB361_2072:
	s_delay_alu instid0(SALU_CYCLE_1)
	s_and_not1_b32 vcc_lo, exec_lo, s0
	s_cbranch_vccnz .LBB361_2074
; %bb.2073:
	v_bfe_i32 v3, v2, 0, 8
	s_delay_alu instid0(VALU_DEP_1) | instskip(NEXT) | instid1(VALU_DEP_1)
	v_cvt_f16_i16_e32 v3, v3
	v_and_b32_e32 v3, 0xffff, v3
	global_store_b32 v[0:1], v3, off
.LBB361_2074:
	s_mov_b32 s0, 0
.LBB361_2075:
	s_delay_alu instid0(SALU_CYCLE_1)
	s_and_not1_b32 vcc_lo, exec_lo, s0
	s_cbranch_vccnz .LBB361_2084
; %bb.2076:
	v_cmp_gt_i16_e32 vcc_lo, 6, v11
	s_mov_b32 s0, -1
	s_cbranch_vccnz .LBB361_2082
; %bb.2077:
	v_cmp_lt_i16_e32 vcc_lo, 6, v11
	s_cbranch_vccz .LBB361_2079
; %bb.2078:
	v_bfe_i32 v3, v2, 0, 8
	s_mov_b32 s0, 0
	s_delay_alu instid0(VALU_DEP_1) | instskip(NEXT) | instid1(VALU_DEP_1)
	v_bfe_i32 v3, v3, 0, 16
	v_cvt_f64_i32_e32 v[3:4], v3
	global_store_b64 v[0:1], v[3:4], off
.LBB361_2079:
	s_and_not1_b32 vcc_lo, exec_lo, s0
	s_cbranch_vccnz .LBB361_2081
; %bb.2080:
	v_bfe_i32 v3, v2, 0, 8
	s_delay_alu instid0(VALU_DEP_1) | instskip(NEXT) | instid1(VALU_DEP_1)
	v_bfe_i32 v3, v3, 0, 16
	v_cvt_f32_i32_e32 v3, v3
	global_store_b32 v[0:1], v3, off
.LBB361_2081:
	s_mov_b32 s0, 0
.LBB361_2082:
	s_delay_alu instid0(SALU_CYCLE_1)
	s_and_not1_b32 vcc_lo, exec_lo, s0
	s_cbranch_vccnz .LBB361_2084
; %bb.2083:
	v_bfe_i32 v3, v2, 0, 8
	s_delay_alu instid0(VALU_DEP_1)
	v_cvt_f16_i16_e32 v3, v3
	global_store_b16 v[0:1], v3, off
.LBB361_2084:
	s_mov_b32 s0, 0
.LBB361_2085:
	s_delay_alu instid0(SALU_CYCLE_1)
	s_and_not1_b32 vcc_lo, exec_lo, s0
	s_cbranch_vccnz .LBB361_2101
; %bb.2086:
	v_cmp_gt_i16_e32 vcc_lo, 2, v11
	s_mov_b32 s0, -1
	s_cbranch_vccnz .LBB361_2096
; %bb.2087:
	v_cmp_gt_i16_e32 vcc_lo, 3, v11
	s_cbranch_vccnz .LBB361_2093
; %bb.2088:
	v_cmp_lt_i16_e32 vcc_lo, 3, v11
	s_cbranch_vccz .LBB361_2090
; %bb.2089:
	v_bfe_i32 v3, v2, 0, 8
	s_mov_b32 s0, 0
	s_delay_alu instid0(VALU_DEP_1)
	v_ashrrev_i32_e32 v4, 31, v3
	global_store_b64 v[0:1], v[3:4], off
.LBB361_2090:
	s_and_not1_b32 vcc_lo, exec_lo, s0
	s_cbranch_vccnz .LBB361_2092
; %bb.2091:
	v_bfe_i32 v3, v2, 0, 8
	global_store_b32 v[0:1], v3, off
.LBB361_2092:
	s_mov_b32 s0, 0
.LBB361_2093:
	s_delay_alu instid0(SALU_CYCLE_1)
	s_and_not1_b32 vcc_lo, exec_lo, s0
	s_cbranch_vccnz .LBB361_2095
; %bb.2094:
	v_bfe_i32 v3, v2, 0, 8
	global_store_b16 v[0:1], v3, off
.LBB361_2095:
	s_mov_b32 s0, 0
.LBB361_2096:
	s_delay_alu instid0(SALU_CYCLE_1)
	s_and_not1_b32 vcc_lo, exec_lo, s0
	s_cbranch_vccnz .LBB361_2101
; %bb.2097:
	v_cmp_lt_i16_e32 vcc_lo, 0, v11
	s_mov_b32 s0, -1
	s_cbranch_vccz .LBB361_2099
; %bb.2098:
	s_mov_b32 s0, 0
	global_store_b8 v[0:1], v2, off
.LBB361_2099:
	s_and_not1_b32 vcc_lo, exec_lo, s0
	s_cbranch_vccnz .LBB361_2101
; %bb.2100:
	global_store_b8 v[0:1], v2, off
	s_nop 0
	s_sendmsg sendmsg(MSG_DEALLOC_VGPRS)
	s_endpgm
.LBB361_2101:
	s_nop 0
	s_sendmsg sendmsg(MSG_DEALLOC_VGPRS)
	s_endpgm
.LBB361_2102:
	s_cbranch_execnz .LBB361_2106
; %bb.2103:
	s_or_b32 s1, s1, exec_lo
                                        ; implicit-def: $vgpr4
	s_cbranch_execz .LBB361_1575
	s_branch .LBB361_1576
.LBB361_2104:
	s_or_saveexec_b32 s10, s10
                                        ; implicit-def: $sgpr11
	s_delay_alu instid0(SALU_CYCLE_1)
	s_xor_b32 exec_lo, exec_lo, s10
	s_cbranch_execz .LBB361_1655
.LBB361_2105:
	v_add_f32_e64 v7, 0x46000000, |v5|
	s_and_not1_b32 s7, s7, exec_lo
	s_mov_b32 s11, 0
	s_delay_alu instid0(VALU_DEP_1) | instskip(NEXT) | instid1(VALU_DEP_1)
	v_and_b32_e32 v7, 0xff, v7
	v_cmp_ne_u32_e32 vcc_lo, 0, v7
	s_and_b32 s12, vcc_lo, exec_lo
	s_delay_alu instid0(SALU_CYCLE_1)
	s_or_b32 s7, s7, s12
	s_or_b32 exec_lo, exec_lo, s10
	v_mov_b32_e32 v12, s11
	s_and_saveexec_b32 s10, s7
	s_cbranch_execnz .LBB361_1656
	s_branch .LBB361_1657
.LBB361_2106:
	s_trap 2
	s_sendmsg_rtn_b32 s0, sendmsg(MSG_RTN_GET_DOORBELL)
	s_mov_b32 ttmp2, m0
	s_waitcnt lgkmcnt(0)
	s_and_b32 s0, s0, 0x3ff
	s_delay_alu instid0(SALU_CYCLE_1) | instskip(NEXT) | instid1(SALU_CYCLE_1)
	s_bitset1_b32 s0, 10
	s_mov_b32 m0, s0
	s_sendmsg sendmsg(MSG_INTERRUPT)
	s_mov_b32 m0, ttmp2
.LBB361_2107:                           ; =>This Inner Loop Header: Depth=1
	s_sethalt 5
	s_branch .LBB361_2107
.LBB361_2108:
	s_cbranch_execnz .LBB361_2114
; %bb.2109:
	s_or_b32 s1, s1, exec_lo
	s_cbranch_execz .LBB361_1703
	s_branch .LBB361_1704
.LBB361_2110:
	s_or_saveexec_b32 s7, s7
                                        ; implicit-def: $sgpr10
	s_delay_alu instid0(SALU_CYCLE_1)
	s_xor_b32 exec_lo, exec_lo, s7
	s_cbranch_execz .LBB361_1668
.LBB361_2111:
	v_add_f32_e64 v7, 0x42800000, |v5|
	s_and_not1_b32 s6, s6, exec_lo
	s_mov_b32 s10, 0
	s_delay_alu instid0(VALU_DEP_1) | instskip(NEXT) | instid1(VALU_DEP_1)
	v_and_b32_e32 v7, 0xff, v7
	v_cmp_ne_u32_e32 vcc_lo, 0, v7
	s_and_b32 s11, vcc_lo, exec_lo
	s_delay_alu instid0(SALU_CYCLE_1)
	s_or_b32 s6, s6, s11
	s_or_b32 exec_lo, exec_lo, s7
	v_mov_b32_e32 v12, s10
	s_and_saveexec_b32 s7, s6
	s_cbranch_execnz .LBB361_1669
	s_branch .LBB361_1670
.LBB361_2112:
	s_or_saveexec_b32 s10, s10
                                        ; implicit-def: $sgpr11
	s_delay_alu instid0(SALU_CYCLE_1)
	s_xor_b32 exec_lo, exec_lo, s10
	s_cbranch_execz .LBB361_1773
.LBB361_2113:
	v_add_f32_e64 v8, 0x46000000, |v7|
	s_and_not1_b32 s7, s7, exec_lo
	s_mov_b32 s11, 0
	s_delay_alu instid0(VALU_DEP_1) | instskip(NEXT) | instid1(VALU_DEP_1)
	v_and_b32_e32 v8, 0xff, v8
	v_cmp_ne_u32_e32 vcc_lo, 0, v8
	s_and_b32 s12, vcc_lo, exec_lo
	s_delay_alu instid0(SALU_CYCLE_1)
	s_or_b32 s7, s7, s12
	s_or_b32 exec_lo, exec_lo, s10
	v_mov_b32_e32 v9, s11
	s_and_saveexec_b32 s10, s7
	s_cbranch_execnz .LBB361_1774
	s_branch .LBB361_1775
.LBB361_2114:
	s_trap 2
	s_sendmsg_rtn_b32 s0, sendmsg(MSG_RTN_GET_DOORBELL)
	s_mov_b32 ttmp2, m0
	s_waitcnt lgkmcnt(0)
	s_and_b32 s0, s0, 0x3ff
	s_delay_alu instid0(SALU_CYCLE_1) | instskip(NEXT) | instid1(SALU_CYCLE_1)
	s_bitset1_b32 s0, 10
	s_mov_b32 m0, s0
	s_sendmsg sendmsg(MSG_INTERRUPT)
	s_mov_b32 m0, ttmp2
.LBB361_2115:                           ; =>This Inner Loop Header: Depth=1
	s_sethalt 5
	s_branch .LBB361_2115
.LBB361_2116:
	s_cbranch_execnz .LBB361_2122
; %bb.2117:
	s_or_b32 s1, s1, exec_lo
	s_cbranch_execz .LBB361_1821
	s_branch .LBB361_1822
.LBB361_2118:
	s_or_saveexec_b32 s7, s7
                                        ; implicit-def: $sgpr10
	s_delay_alu instid0(SALU_CYCLE_1)
	s_xor_b32 exec_lo, exec_lo, s7
	s_cbranch_execz .LBB361_1786
.LBB361_2119:
	v_add_f32_e64 v8, 0x42800000, |v7|
	s_and_not1_b32 s6, s6, exec_lo
	s_mov_b32 s10, 0
	s_delay_alu instid0(VALU_DEP_1) | instskip(NEXT) | instid1(VALU_DEP_1)
	v_and_b32_e32 v8, 0xff, v8
	v_cmp_ne_u32_e32 vcc_lo, 0, v8
	s_and_b32 s11, vcc_lo, exec_lo
	s_delay_alu instid0(SALU_CYCLE_1)
	s_or_b32 s6, s6, s11
	s_or_b32 exec_lo, exec_lo, s7
	v_mov_b32_e32 v9, s10
	s_and_saveexec_b32 s7, s6
	s_cbranch_execnz .LBB361_1787
	s_branch .LBB361_1788
.LBB361_2120:
	s_or_saveexec_b32 s10, s10
                                        ; implicit-def: $sgpr11
	s_delay_alu instid0(SALU_CYCLE_1)
	s_xor_b32 exec_lo, exec_lo, s10
	s_cbranch_execz .LBB361_1891
.LBB361_2121:
	v_add_f32_e64 v6, 0x46000000, |v5|
	s_and_not1_b32 s7, s7, exec_lo
	s_mov_b32 s11, 0
	s_delay_alu instid0(VALU_DEP_1) | instskip(NEXT) | instid1(VALU_DEP_1)
	v_and_b32_e32 v6, 0xff, v6
	v_cmp_ne_u32_e32 vcc_lo, 0, v6
	s_and_b32 s12, vcc_lo, exec_lo
	s_delay_alu instid0(SALU_CYCLE_1)
	s_or_b32 s7, s7, s12
	s_or_b32 exec_lo, exec_lo, s10
	v_mov_b32_e32 v7, s11
	s_and_saveexec_b32 s10, s7
	s_cbranch_execnz .LBB361_1892
	s_branch .LBB361_1893
.LBB361_2122:
	s_trap 2
	s_sendmsg_rtn_b32 s0, sendmsg(MSG_RTN_GET_DOORBELL)
	s_mov_b32 ttmp2, m0
	s_waitcnt lgkmcnt(0)
	s_and_b32 s0, s0, 0x3ff
	s_delay_alu instid0(SALU_CYCLE_1) | instskip(NEXT) | instid1(SALU_CYCLE_1)
	s_bitset1_b32 s0, 10
	s_mov_b32 m0, s0
	s_sendmsg sendmsg(MSG_INTERRUPT)
	s_mov_b32 m0, ttmp2
.LBB361_2123:                           ; =>This Inner Loop Header: Depth=1
	s_sethalt 5
	s_branch .LBB361_2123
.LBB361_2124:
	s_cbranch_execnz .LBB361_2130
; %bb.2125:
	s_or_b32 s1, s1, exec_lo
	s_cbranch_execz .LBB361_1939
	s_branch .LBB361_1940
.LBB361_2126:
	s_or_saveexec_b32 s7, s7
                                        ; implicit-def: $sgpr10
	s_delay_alu instid0(SALU_CYCLE_1)
	s_xor_b32 exec_lo, exec_lo, s7
	s_cbranch_execz .LBB361_1904
.LBB361_2127:
	v_add_f32_e64 v6, 0x42800000, |v5|
	s_and_not1_b32 s6, s6, exec_lo
	s_mov_b32 s10, 0
	s_delay_alu instid0(VALU_DEP_1) | instskip(NEXT) | instid1(VALU_DEP_1)
	v_and_b32_e32 v6, 0xff, v6
	v_cmp_ne_u32_e32 vcc_lo, 0, v6
	s_and_b32 s11, vcc_lo, exec_lo
	s_delay_alu instid0(SALU_CYCLE_1)
	s_or_b32 s6, s6, s11
	s_or_b32 exec_lo, exec_lo, s7
	v_mov_b32_e32 v7, s10
	s_and_saveexec_b32 s7, s6
	s_cbranch_execnz .LBB361_1905
	s_branch .LBB361_1906
.LBB361_2128:
	s_or_saveexec_b32 s5, s5
                                        ; implicit-def: $sgpr6
	s_delay_alu instid0(SALU_CYCLE_1)
	s_xor_b32 exec_lo, exec_lo, s5
	s_cbranch_execz .LBB361_2010
.LBB361_2129:
	v_add_f32_e64 v4, 0x46000000, |v3|
	s_and_not1_b32 s4, s4, exec_lo
	s_mov_b32 s6, 0
	s_delay_alu instid0(VALU_DEP_1) | instskip(NEXT) | instid1(VALU_DEP_1)
	v_and_b32_e32 v4, 0xff, v4
	v_cmp_ne_u32_e32 vcc_lo, 0, v4
	s_and_b32 s7, vcc_lo, exec_lo
	s_delay_alu instid0(SALU_CYCLE_1)
	s_or_b32 s4, s4, s7
	s_or_b32 exec_lo, exec_lo, s5
	v_mov_b32_e32 v5, s6
	s_and_saveexec_b32 s5, s4
	s_cbranch_execnz .LBB361_2011
	s_branch .LBB361_2012
.LBB361_2130:
	s_trap 2
	s_sendmsg_rtn_b32 s0, sendmsg(MSG_RTN_GET_DOORBELL)
	s_mov_b32 ttmp2, m0
	s_waitcnt lgkmcnt(0)
	s_and_b32 s0, s0, 0x3ff
	s_delay_alu instid0(SALU_CYCLE_1) | instskip(NEXT) | instid1(SALU_CYCLE_1)
	s_bitset1_b32 s0, 10
	s_mov_b32 m0, s0
	s_sendmsg sendmsg(MSG_INTERRUPT)
	s_mov_b32 m0, ttmp2
.LBB361_2131:                           ; =>This Inner Loop Header: Depth=1
	s_sethalt 5
	s_branch .LBB361_2131
.LBB361_2132:
	s_cbranch_execnz .LBB361_2136
; %bb.2133:
	s_mov_b32 s3, 0
	s_or_b32 s1, s1, exec_lo
	s_branch .LBB361_2056
.LBB361_2134:
	s_or_saveexec_b32 s4, s4
                                        ; implicit-def: $sgpr5
	s_delay_alu instid0(SALU_CYCLE_1)
	s_xor_b32 exec_lo, exec_lo, s4
	s_cbranch_execz .LBB361_2022
.LBB361_2135:
	v_add_f32_e64 v4, 0x42800000, |v3|
	s_and_not1_b32 s3, s3, exec_lo
	s_mov_b32 s5, 0
	s_delay_alu instid0(VALU_DEP_1) | instskip(NEXT) | instid1(VALU_DEP_1)
	v_and_b32_e32 v4, 0xff, v4
	v_cmp_ne_u32_e32 vcc_lo, 0, v4
	s_and_b32 s6, vcc_lo, exec_lo
	s_delay_alu instid0(SALU_CYCLE_1)
	s_or_b32 s3, s3, s6
	s_or_b32 exec_lo, exec_lo, s4
	v_mov_b32_e32 v5, s5
	s_and_saveexec_b32 s4, s3
	s_cbranch_execnz .LBB361_2023
	s_branch .LBB361_2024
.LBB361_2136:
	s_trap 2
	s_sendmsg_rtn_b32 s0, sendmsg(MSG_RTN_GET_DOORBELL)
	s_mov_b32 ttmp2, m0
	s_waitcnt lgkmcnt(0)
	s_and_b32 s0, s0, 0x3ff
	s_delay_alu instid0(SALU_CYCLE_1) | instskip(NEXT) | instid1(SALU_CYCLE_1)
	s_bitset1_b32 s0, 10
	s_mov_b32 m0, s0
	s_sendmsg sendmsg(MSG_INTERRUPT)
	s_mov_b32 m0, ttmp2
.LBB361_2137:                           ; =>This Inner Loop Header: Depth=1
	s_sethalt 5
	s_branch .LBB361_2137
	.section	.rodata,"a",@progbits
	.p2align	6, 0x0
	.amdhsa_kernel _ZN2at6native32elementwise_kernel_manual_unrollILi128ELi4EZNS0_15gpu_kernel_implIZZZNS0_21clamp_min_kernel_cudaERNS_18TensorIteratorBaseERKN3c106ScalarEENKUlvE_clEvENKUlvE0_clEvEUlaE_EEvS4_RKT_EUlibE0_EEviT1_
		.amdhsa_group_segment_fixed_size 0
		.amdhsa_private_segment_fixed_size 0
		.amdhsa_kernarg_size 360
		.amdhsa_user_sgpr_count 15
		.amdhsa_user_sgpr_dispatch_ptr 0
		.amdhsa_user_sgpr_queue_ptr 0
		.amdhsa_user_sgpr_kernarg_segment_ptr 1
		.amdhsa_user_sgpr_dispatch_id 0
		.amdhsa_user_sgpr_private_segment_size 0
		.amdhsa_wavefront_size32 1
		.amdhsa_uses_dynamic_stack 0
		.amdhsa_enable_private_segment 0
		.amdhsa_system_sgpr_workgroup_id_x 1
		.amdhsa_system_sgpr_workgroup_id_y 0
		.amdhsa_system_sgpr_workgroup_id_z 0
		.amdhsa_system_sgpr_workgroup_info 0
		.amdhsa_system_vgpr_workitem_id 0
		.amdhsa_next_free_vgpr 18
		.amdhsa_next_free_sgpr 68
		.amdhsa_reserve_vcc 1
		.amdhsa_float_round_mode_32 0
		.amdhsa_float_round_mode_16_64 0
		.amdhsa_float_denorm_mode_32 3
		.amdhsa_float_denorm_mode_16_64 3
		.amdhsa_dx10_clamp 1
		.amdhsa_ieee_mode 1
		.amdhsa_fp16_overflow 0
		.amdhsa_workgroup_processor_mode 1
		.amdhsa_memory_ordered 1
		.amdhsa_forward_progress 0
		.amdhsa_shared_vgpr_count 0
		.amdhsa_exception_fp_ieee_invalid_op 0
		.amdhsa_exception_fp_denorm_src 0
		.amdhsa_exception_fp_ieee_div_zero 0
		.amdhsa_exception_fp_ieee_overflow 0
		.amdhsa_exception_fp_ieee_underflow 0
		.amdhsa_exception_fp_ieee_inexact 0
		.amdhsa_exception_int_div_zero 0
	.end_amdhsa_kernel
	.section	.text._ZN2at6native32elementwise_kernel_manual_unrollILi128ELi4EZNS0_15gpu_kernel_implIZZZNS0_21clamp_min_kernel_cudaERNS_18TensorIteratorBaseERKN3c106ScalarEENKUlvE_clEvENKUlvE0_clEvEUlaE_EEvS4_RKT_EUlibE0_EEviT1_,"axG",@progbits,_ZN2at6native32elementwise_kernel_manual_unrollILi128ELi4EZNS0_15gpu_kernel_implIZZZNS0_21clamp_min_kernel_cudaERNS_18TensorIteratorBaseERKN3c106ScalarEENKUlvE_clEvENKUlvE0_clEvEUlaE_EEvS4_RKT_EUlibE0_EEviT1_,comdat
.Lfunc_end361:
	.size	_ZN2at6native32elementwise_kernel_manual_unrollILi128ELi4EZNS0_15gpu_kernel_implIZZZNS0_21clamp_min_kernel_cudaERNS_18TensorIteratorBaseERKN3c106ScalarEENKUlvE_clEvENKUlvE0_clEvEUlaE_EEvS4_RKT_EUlibE0_EEviT1_, .Lfunc_end361-_ZN2at6native32elementwise_kernel_manual_unrollILi128ELi4EZNS0_15gpu_kernel_implIZZZNS0_21clamp_min_kernel_cudaERNS_18TensorIteratorBaseERKN3c106ScalarEENKUlvE_clEvENKUlvE0_clEvEUlaE_EEvS4_RKT_EUlibE0_EEviT1_
                                        ; -- End function
	.section	.AMDGPU.csdata,"",@progbits
; Kernel info:
; codeLenInByte = 39936
; NumSgprs: 70
; NumVgprs: 18
; ScratchSize: 0
; MemoryBound: 1
; FloatMode: 240
; IeeeMode: 1
; LDSByteSize: 0 bytes/workgroup (compile time only)
; SGPRBlocks: 8
; VGPRBlocks: 2
; NumSGPRsForWavesPerEU: 70
; NumVGPRsForWavesPerEU: 18
; Occupancy: 16
; WaveLimiterHint : 1
; COMPUTE_PGM_RSRC2:SCRATCH_EN: 0
; COMPUTE_PGM_RSRC2:USER_SGPR: 15
; COMPUTE_PGM_RSRC2:TRAP_HANDLER: 0
; COMPUTE_PGM_RSRC2:TGID_X_EN: 1
; COMPUTE_PGM_RSRC2:TGID_Y_EN: 0
; COMPUTE_PGM_RSRC2:TGID_Z_EN: 0
; COMPUTE_PGM_RSRC2:TIDIG_COMP_CNT: 0
	.section	.text._ZN2at6native29vectorized_elementwise_kernelILi16EZZZNS0_21clamp_min_kernel_cudaERNS_18TensorIteratorBaseERKN3c106ScalarEENKUlvE_clEvENKUlvE1_clEvEUliE_St5arrayIPcLm2EEEEviT0_T1_,"axG",@progbits,_ZN2at6native29vectorized_elementwise_kernelILi16EZZZNS0_21clamp_min_kernel_cudaERNS_18TensorIteratorBaseERKN3c106ScalarEENKUlvE_clEvENKUlvE1_clEvEUliE_St5arrayIPcLm2EEEEviT0_T1_,comdat
	.globl	_ZN2at6native29vectorized_elementwise_kernelILi16EZZZNS0_21clamp_min_kernel_cudaERNS_18TensorIteratorBaseERKN3c106ScalarEENKUlvE_clEvENKUlvE1_clEvEUliE_St5arrayIPcLm2EEEEviT0_T1_ ; -- Begin function _ZN2at6native29vectorized_elementwise_kernelILi16EZZZNS0_21clamp_min_kernel_cudaERNS_18TensorIteratorBaseERKN3c106ScalarEENKUlvE_clEvENKUlvE1_clEvEUliE_St5arrayIPcLm2EEEEviT0_T1_
	.p2align	8
	.type	_ZN2at6native29vectorized_elementwise_kernelILi16EZZZNS0_21clamp_min_kernel_cudaERNS_18TensorIteratorBaseERKN3c106ScalarEENKUlvE_clEvENKUlvE1_clEvEUliE_St5arrayIPcLm2EEEEviT0_T1_,@function
_ZN2at6native29vectorized_elementwise_kernelILi16EZZZNS0_21clamp_min_kernel_cudaERNS_18TensorIteratorBaseERKN3c106ScalarEENKUlvE_clEvENKUlvE1_clEvEUliE_St5arrayIPcLm2EEEEviT0_T1_: ; @_ZN2at6native29vectorized_elementwise_kernelILi16EZZZNS0_21clamp_min_kernel_cudaERNS_18TensorIteratorBaseERKN3c106ScalarEENKUlvE_clEvENKUlvE1_clEvEUliE_St5arrayIPcLm2EEEEviT0_T1_
; %bb.0:
	s_clause 0x1
	s_load_b64 s[8:9], s[0:1], 0x0
	s_load_b128 s[4:7], s[0:1], 0x8
	s_lshl_b32 s2, s15, 10
	s_mov_b32 s0, -1
	s_waitcnt lgkmcnt(0)
	s_sub_i32 s1, s8, s2
	s_delay_alu instid0(SALU_CYCLE_1)
	s_cmpk_gt_i32 s1, 0x3ff
	s_cbranch_scc0 .LBB362_2
; %bb.1:
	s_ashr_i32 s3, s2, 31
	v_lshlrev_b32_e32 v5, 4, v0
	s_lshl_b64 s[10:11], s[2:3], 2
	s_mov_b32 s0, 0
	s_add_u32 s12, s6, s10
	s_addc_u32 s13, s7, s11
	s_add_u32 s10, s4, s10
	global_load_b128 v[1:4], v5, s[12:13]
	s_addc_u32 s11, s5, s11
	s_waitcnt vmcnt(0)
	v_max_i32_e32 v1, s9, v1
	v_max_i32_e32 v2, s9, v2
	;; [unrolled: 1-line block ×4, first 2 shown]
	global_store_b128 v5, v[1:4], s[10:11]
.LBB362_2:
	s_and_not1_b32 vcc_lo, exec_lo, s0
	s_cbranch_vccnz .LBB362_16
; %bb.3:
	v_cmp_gt_i32_e32 vcc_lo, s1, v0
	v_dual_mov_b32 v4, 0 :: v_dual_mov_b32 v5, v0
	v_or_b32_e32 v1, s2, v0
	v_or_b32_e32 v3, 0x100, v0
	v_mov_b32_e32 v2, 0
	s_and_saveexec_b32 s3, vcc_lo
	s_cbranch_execz .LBB362_5
; %bb.4:
	v_mov_b32_e32 v2, 0
	s_delay_alu instid0(VALU_DEP_1) | instskip(NEXT) | instid1(VALU_DEP_1)
	v_lshlrev_b64 v[5:6], 2, v[1:2]
	v_add_co_u32 v5, s0, s6, v5
	s_delay_alu instid0(VALU_DEP_1)
	v_add_co_ci_u32_e64 v6, s0, s7, v6, s0
	global_load_b32 v2, v[5:6], off
	v_or_b32_e32 v5, 0x100, v0
.LBB362_5:
	s_or_b32 exec_lo, exec_lo, s3
	s_delay_alu instid0(SALU_CYCLE_1) | instskip(NEXT) | instid1(VALU_DEP_1)
	s_mov_b32 s3, exec_lo
	v_cmpx_gt_i32_e64 s1, v5
	s_cbranch_execz .LBB362_7
; %bb.6:
	v_dual_mov_b32 v7, 0 :: v_dual_add_nc_u32 v6, s2, v5
	v_add_nc_u32_e32 v5, 0x100, v5
	s_delay_alu instid0(VALU_DEP_2) | instskip(NEXT) | instid1(VALU_DEP_1)
	v_lshlrev_b64 v[6:7], 2, v[6:7]
	v_add_co_u32 v6, s0, s6, v6
	s_delay_alu instid0(VALU_DEP_1)
	v_add_co_ci_u32_e64 v7, s0, s7, v7, s0
	global_load_b32 v4, v[6:7], off
.LBB362_7:
	s_or_b32 exec_lo, exec_lo, s3
	v_dual_mov_b32 v7, 0 :: v_dual_mov_b32 v8, 0
	s_mov_b32 s3, exec_lo
	v_cmpx_gt_i32_e64 s1, v5
	s_cbranch_execz .LBB362_9
; %bb.8:
	v_dual_mov_b32 v9, 0 :: v_dual_add_nc_u32 v8, s2, v5
	v_add_nc_u32_e32 v5, 0x100, v5
	s_delay_alu instid0(VALU_DEP_2) | instskip(NEXT) | instid1(VALU_DEP_1)
	v_lshlrev_b64 v[8:9], 2, v[8:9]
	v_add_co_u32 v8, s0, s6, v8
	s_delay_alu instid0(VALU_DEP_1)
	v_add_co_ci_u32_e64 v9, s0, s7, v9, s0
	global_load_b32 v8, v[8:9], off
.LBB362_9:
	s_or_b32 exec_lo, exec_lo, s3
	s_delay_alu instid0(SALU_CYCLE_1)
	s_mov_b32 s3, exec_lo
	v_cmpx_gt_i32_e64 s1, v5
	s_cbranch_execz .LBB362_11
; %bb.10:
	v_dual_mov_b32 v6, 0 :: v_dual_add_nc_u32 v5, s2, v5
	s_delay_alu instid0(VALU_DEP_1) | instskip(NEXT) | instid1(VALU_DEP_1)
	v_lshlrev_b64 v[5:6], 2, v[5:6]
	v_add_co_u32 v5, s0, s6, v5
	s_delay_alu instid0(VALU_DEP_1)
	v_add_co_ci_u32_e64 v6, s0, s7, v6, s0
	global_load_b32 v7, v[5:6], off
.LBB362_11:
	s_or_b32 exec_lo, exec_lo, s3
	s_waitcnt vmcnt(0)
	v_max_i32_e32 v9, s9, v2
	v_max_i32_e32 v6, s9, v4
	;; [unrolled: 1-line block ×4, first 2 shown]
	s_and_saveexec_b32 s0, vcc_lo
	s_cbranch_execnz .LBB362_17
; %bb.12:
	s_or_b32 exec_lo, exec_lo, s0
	s_delay_alu instid0(SALU_CYCLE_1)
	s_mov_b32 s0, exec_lo
	v_cmpx_gt_i32_e64 s1, v0
	s_cbranch_execnz .LBB362_18
.LBB362_13:
	s_or_b32 exec_lo, exec_lo, s0
	s_delay_alu instid0(SALU_CYCLE_1)
	s_mov_b32 s0, exec_lo
	v_cmpx_gt_i32_e64 s1, v0
	s_cbranch_execnz .LBB362_19
.LBB362_14:
	s_or_b32 exec_lo, exec_lo, s0
	s_delay_alu instid0(SALU_CYCLE_1)
	s_mov_b32 s0, exec_lo
	v_cmpx_gt_i32_e64 s1, v0
	s_cbranch_execz .LBB362_16
.LBB362_15:
	v_dual_mov_b32 v1, 0 :: v_dual_add_nc_u32 v0, s2, v0
	s_delay_alu instid0(VALU_DEP_1) | instskip(NEXT) | instid1(VALU_DEP_1)
	v_lshlrev_b64 v[0:1], 2, v[0:1]
	v_add_co_u32 v0, vcc_lo, s4, v0
	s_delay_alu instid0(VALU_DEP_2)
	v_add_co_ci_u32_e32 v1, vcc_lo, s5, v1, vcc_lo
	global_store_b32 v[0:1], v4, off
.LBB362_16:
	s_nop 0
	s_sendmsg sendmsg(MSG_DEALLOC_VGPRS)
	s_endpgm
.LBB362_17:
	v_mov_b32_e32 v2, 0
	s_delay_alu instid0(VALU_DEP_1) | instskip(NEXT) | instid1(VALU_DEP_1)
	v_lshlrev_b64 v[0:1], 2, v[1:2]
	v_add_co_u32 v7, vcc_lo, s4, v0
	s_delay_alu instid0(VALU_DEP_2) | instskip(SKIP_3) | instid1(SALU_CYCLE_1)
	v_add_co_ci_u32_e32 v8, vcc_lo, s5, v1, vcc_lo
	v_mov_b32_e32 v0, v3
	global_store_b32 v[7:8], v9, off
	s_or_b32 exec_lo, exec_lo, s0
	s_mov_b32 s0, exec_lo
	v_cmpx_gt_i32_e64 s1, v0
	s_cbranch_execz .LBB362_13
.LBB362_18:
	v_dual_mov_b32 v2, 0 :: v_dual_add_nc_u32 v1, s2, v0
	v_add_nc_u32_e32 v0, 0x100, v0
	s_delay_alu instid0(VALU_DEP_2) | instskip(NEXT) | instid1(VALU_DEP_1)
	v_lshlrev_b64 v[1:2], 2, v[1:2]
	v_add_co_u32 v1, vcc_lo, s4, v1
	s_delay_alu instid0(VALU_DEP_2) | instskip(SKIP_2) | instid1(SALU_CYCLE_1)
	v_add_co_ci_u32_e32 v2, vcc_lo, s5, v2, vcc_lo
	global_store_b32 v[1:2], v6, off
	s_or_b32 exec_lo, exec_lo, s0
	s_mov_b32 s0, exec_lo
	v_cmpx_gt_i32_e64 s1, v0
	s_cbranch_execz .LBB362_14
.LBB362_19:
	v_dual_mov_b32 v2, 0 :: v_dual_add_nc_u32 v1, s2, v0
	v_add_nc_u32_e32 v0, 0x100, v0
	s_delay_alu instid0(VALU_DEP_2) | instskip(NEXT) | instid1(VALU_DEP_1)
	v_lshlrev_b64 v[1:2], 2, v[1:2]
	v_add_co_u32 v1, vcc_lo, s4, v1
	s_delay_alu instid0(VALU_DEP_2) | instskip(SKIP_2) | instid1(SALU_CYCLE_1)
	v_add_co_ci_u32_e32 v2, vcc_lo, s5, v2, vcc_lo
	global_store_b32 v[1:2], v5, off
	s_or_b32 exec_lo, exec_lo, s0
	s_mov_b32 s0, exec_lo
	v_cmpx_gt_i32_e64 s1, v0
	s_cbranch_execnz .LBB362_15
	s_branch .LBB362_16
	.section	.rodata,"a",@progbits
	.p2align	6, 0x0
	.amdhsa_kernel _ZN2at6native29vectorized_elementwise_kernelILi16EZZZNS0_21clamp_min_kernel_cudaERNS_18TensorIteratorBaseERKN3c106ScalarEENKUlvE_clEvENKUlvE1_clEvEUliE_St5arrayIPcLm2EEEEviT0_T1_
		.amdhsa_group_segment_fixed_size 0
		.amdhsa_private_segment_fixed_size 0
		.amdhsa_kernarg_size 24
		.amdhsa_user_sgpr_count 15
		.amdhsa_user_sgpr_dispatch_ptr 0
		.amdhsa_user_sgpr_queue_ptr 0
		.amdhsa_user_sgpr_kernarg_segment_ptr 1
		.amdhsa_user_sgpr_dispatch_id 0
		.amdhsa_user_sgpr_private_segment_size 0
		.amdhsa_wavefront_size32 1
		.amdhsa_uses_dynamic_stack 0
		.amdhsa_enable_private_segment 0
		.amdhsa_system_sgpr_workgroup_id_x 1
		.amdhsa_system_sgpr_workgroup_id_y 0
		.amdhsa_system_sgpr_workgroup_id_z 0
		.amdhsa_system_sgpr_workgroup_info 0
		.amdhsa_system_vgpr_workitem_id 0
		.amdhsa_next_free_vgpr 10
		.amdhsa_next_free_sgpr 16
		.amdhsa_reserve_vcc 1
		.amdhsa_float_round_mode_32 0
		.amdhsa_float_round_mode_16_64 0
		.amdhsa_float_denorm_mode_32 3
		.amdhsa_float_denorm_mode_16_64 3
		.amdhsa_dx10_clamp 1
		.amdhsa_ieee_mode 1
		.amdhsa_fp16_overflow 0
		.amdhsa_workgroup_processor_mode 1
		.amdhsa_memory_ordered 1
		.amdhsa_forward_progress 0
		.amdhsa_shared_vgpr_count 0
		.amdhsa_exception_fp_ieee_invalid_op 0
		.amdhsa_exception_fp_denorm_src 0
		.amdhsa_exception_fp_ieee_div_zero 0
		.amdhsa_exception_fp_ieee_overflow 0
		.amdhsa_exception_fp_ieee_underflow 0
		.amdhsa_exception_fp_ieee_inexact 0
		.amdhsa_exception_int_div_zero 0
	.end_amdhsa_kernel
	.section	.text._ZN2at6native29vectorized_elementwise_kernelILi16EZZZNS0_21clamp_min_kernel_cudaERNS_18TensorIteratorBaseERKN3c106ScalarEENKUlvE_clEvENKUlvE1_clEvEUliE_St5arrayIPcLm2EEEEviT0_T1_,"axG",@progbits,_ZN2at6native29vectorized_elementwise_kernelILi16EZZZNS0_21clamp_min_kernel_cudaERNS_18TensorIteratorBaseERKN3c106ScalarEENKUlvE_clEvENKUlvE1_clEvEUliE_St5arrayIPcLm2EEEEviT0_T1_,comdat
.Lfunc_end362:
	.size	_ZN2at6native29vectorized_elementwise_kernelILi16EZZZNS0_21clamp_min_kernel_cudaERNS_18TensorIteratorBaseERKN3c106ScalarEENKUlvE_clEvENKUlvE1_clEvEUliE_St5arrayIPcLm2EEEEviT0_T1_, .Lfunc_end362-_ZN2at6native29vectorized_elementwise_kernelILi16EZZZNS0_21clamp_min_kernel_cudaERNS_18TensorIteratorBaseERKN3c106ScalarEENKUlvE_clEvENKUlvE1_clEvEUliE_St5arrayIPcLm2EEEEviT0_T1_
                                        ; -- End function
	.section	.AMDGPU.csdata,"",@progbits
; Kernel info:
; codeLenInByte = 820
; NumSgprs: 18
; NumVgprs: 10
; ScratchSize: 0
; MemoryBound: 0
; FloatMode: 240
; IeeeMode: 1
; LDSByteSize: 0 bytes/workgroup (compile time only)
; SGPRBlocks: 2
; VGPRBlocks: 1
; NumSGPRsForWavesPerEU: 18
; NumVGPRsForWavesPerEU: 10
; Occupancy: 16
; WaveLimiterHint : 0
; COMPUTE_PGM_RSRC2:SCRATCH_EN: 0
; COMPUTE_PGM_RSRC2:USER_SGPR: 15
; COMPUTE_PGM_RSRC2:TRAP_HANDLER: 0
; COMPUTE_PGM_RSRC2:TGID_X_EN: 1
; COMPUTE_PGM_RSRC2:TGID_Y_EN: 0
; COMPUTE_PGM_RSRC2:TGID_Z_EN: 0
; COMPUTE_PGM_RSRC2:TIDIG_COMP_CNT: 0
	.section	.text._ZN2at6native29vectorized_elementwise_kernelILi8EZZZNS0_21clamp_min_kernel_cudaERNS_18TensorIteratorBaseERKN3c106ScalarEENKUlvE_clEvENKUlvE1_clEvEUliE_St5arrayIPcLm2EEEEviT0_T1_,"axG",@progbits,_ZN2at6native29vectorized_elementwise_kernelILi8EZZZNS0_21clamp_min_kernel_cudaERNS_18TensorIteratorBaseERKN3c106ScalarEENKUlvE_clEvENKUlvE1_clEvEUliE_St5arrayIPcLm2EEEEviT0_T1_,comdat
	.globl	_ZN2at6native29vectorized_elementwise_kernelILi8EZZZNS0_21clamp_min_kernel_cudaERNS_18TensorIteratorBaseERKN3c106ScalarEENKUlvE_clEvENKUlvE1_clEvEUliE_St5arrayIPcLm2EEEEviT0_T1_ ; -- Begin function _ZN2at6native29vectorized_elementwise_kernelILi8EZZZNS0_21clamp_min_kernel_cudaERNS_18TensorIteratorBaseERKN3c106ScalarEENKUlvE_clEvENKUlvE1_clEvEUliE_St5arrayIPcLm2EEEEviT0_T1_
	.p2align	8
	.type	_ZN2at6native29vectorized_elementwise_kernelILi8EZZZNS0_21clamp_min_kernel_cudaERNS_18TensorIteratorBaseERKN3c106ScalarEENKUlvE_clEvENKUlvE1_clEvEUliE_St5arrayIPcLm2EEEEviT0_T1_,@function
_ZN2at6native29vectorized_elementwise_kernelILi8EZZZNS0_21clamp_min_kernel_cudaERNS_18TensorIteratorBaseERKN3c106ScalarEENKUlvE_clEvENKUlvE1_clEvEUliE_St5arrayIPcLm2EEEEviT0_T1_: ; @_ZN2at6native29vectorized_elementwise_kernelILi8EZZZNS0_21clamp_min_kernel_cudaERNS_18TensorIteratorBaseERKN3c106ScalarEENKUlvE_clEvENKUlvE1_clEvEUliE_St5arrayIPcLm2EEEEviT0_T1_
; %bb.0:
	s_clause 0x1
	s_load_b64 s[8:9], s[0:1], 0x0
	s_load_b128 s[4:7], s[0:1], 0x8
	s_lshl_b32 s2, s15, 10
	s_mov_b32 s0, -1
	s_waitcnt lgkmcnt(0)
	s_sub_i32 s1, s8, s2
	s_delay_alu instid0(SALU_CYCLE_1)
	s_cmpk_gt_i32 s1, 0x3ff
	s_cbranch_scc0 .LBB363_2
; %bb.1:
	s_ashr_i32 s3, s2, 31
	v_lshlrev_b32_e32 v5, 4, v0
	s_lshl_b64 s[10:11], s[2:3], 2
	s_mov_b32 s0, 0
	s_add_u32 s12, s6, s10
	s_addc_u32 s13, s7, s11
	s_add_u32 s10, s4, s10
	global_load_b128 v[1:4], v5, s[12:13]
	s_addc_u32 s11, s5, s11
	s_waitcnt vmcnt(0)
	v_max_i32_e32 v1, s9, v1
	v_max_i32_e32 v2, s9, v2
	;; [unrolled: 1-line block ×4, first 2 shown]
	global_store_b128 v5, v[1:4], s[10:11]
.LBB363_2:
	s_and_not1_b32 vcc_lo, exec_lo, s0
	s_cbranch_vccnz .LBB363_16
; %bb.3:
	v_cmp_gt_i32_e32 vcc_lo, s1, v0
	v_dual_mov_b32 v4, 0 :: v_dual_mov_b32 v5, v0
	v_or_b32_e32 v1, s2, v0
	v_or_b32_e32 v3, 0x100, v0
	v_mov_b32_e32 v2, 0
	s_and_saveexec_b32 s3, vcc_lo
	s_cbranch_execz .LBB363_5
; %bb.4:
	v_mov_b32_e32 v2, 0
	s_delay_alu instid0(VALU_DEP_1) | instskip(NEXT) | instid1(VALU_DEP_1)
	v_lshlrev_b64 v[5:6], 2, v[1:2]
	v_add_co_u32 v5, s0, s6, v5
	s_delay_alu instid0(VALU_DEP_1)
	v_add_co_ci_u32_e64 v6, s0, s7, v6, s0
	global_load_b32 v2, v[5:6], off
	v_or_b32_e32 v5, 0x100, v0
.LBB363_5:
	s_or_b32 exec_lo, exec_lo, s3
	s_delay_alu instid0(SALU_CYCLE_1) | instskip(NEXT) | instid1(VALU_DEP_1)
	s_mov_b32 s3, exec_lo
	v_cmpx_gt_i32_e64 s1, v5
	s_cbranch_execz .LBB363_7
; %bb.6:
	v_dual_mov_b32 v7, 0 :: v_dual_add_nc_u32 v6, s2, v5
	v_add_nc_u32_e32 v5, 0x100, v5
	s_delay_alu instid0(VALU_DEP_2) | instskip(NEXT) | instid1(VALU_DEP_1)
	v_lshlrev_b64 v[6:7], 2, v[6:7]
	v_add_co_u32 v6, s0, s6, v6
	s_delay_alu instid0(VALU_DEP_1)
	v_add_co_ci_u32_e64 v7, s0, s7, v7, s0
	global_load_b32 v4, v[6:7], off
.LBB363_7:
	s_or_b32 exec_lo, exec_lo, s3
	v_dual_mov_b32 v7, 0 :: v_dual_mov_b32 v8, 0
	s_mov_b32 s3, exec_lo
	v_cmpx_gt_i32_e64 s1, v5
	s_cbranch_execz .LBB363_9
; %bb.8:
	v_dual_mov_b32 v9, 0 :: v_dual_add_nc_u32 v8, s2, v5
	v_add_nc_u32_e32 v5, 0x100, v5
	s_delay_alu instid0(VALU_DEP_2) | instskip(NEXT) | instid1(VALU_DEP_1)
	v_lshlrev_b64 v[8:9], 2, v[8:9]
	v_add_co_u32 v8, s0, s6, v8
	s_delay_alu instid0(VALU_DEP_1)
	v_add_co_ci_u32_e64 v9, s0, s7, v9, s0
	global_load_b32 v8, v[8:9], off
.LBB363_9:
	s_or_b32 exec_lo, exec_lo, s3
	s_delay_alu instid0(SALU_CYCLE_1)
	s_mov_b32 s3, exec_lo
	v_cmpx_gt_i32_e64 s1, v5
	s_cbranch_execz .LBB363_11
; %bb.10:
	v_dual_mov_b32 v6, 0 :: v_dual_add_nc_u32 v5, s2, v5
	s_delay_alu instid0(VALU_DEP_1) | instskip(NEXT) | instid1(VALU_DEP_1)
	v_lshlrev_b64 v[5:6], 2, v[5:6]
	v_add_co_u32 v5, s0, s6, v5
	s_delay_alu instid0(VALU_DEP_1)
	v_add_co_ci_u32_e64 v6, s0, s7, v6, s0
	global_load_b32 v7, v[5:6], off
.LBB363_11:
	s_or_b32 exec_lo, exec_lo, s3
	s_waitcnt vmcnt(0)
	v_max_i32_e32 v9, s9, v2
	v_max_i32_e32 v6, s9, v4
	;; [unrolled: 1-line block ×4, first 2 shown]
	s_and_saveexec_b32 s0, vcc_lo
	s_cbranch_execnz .LBB363_17
; %bb.12:
	s_or_b32 exec_lo, exec_lo, s0
	s_delay_alu instid0(SALU_CYCLE_1)
	s_mov_b32 s0, exec_lo
	v_cmpx_gt_i32_e64 s1, v0
	s_cbranch_execnz .LBB363_18
.LBB363_13:
	s_or_b32 exec_lo, exec_lo, s0
	s_delay_alu instid0(SALU_CYCLE_1)
	s_mov_b32 s0, exec_lo
	v_cmpx_gt_i32_e64 s1, v0
	s_cbranch_execnz .LBB363_19
.LBB363_14:
	s_or_b32 exec_lo, exec_lo, s0
	s_delay_alu instid0(SALU_CYCLE_1)
	s_mov_b32 s0, exec_lo
	v_cmpx_gt_i32_e64 s1, v0
	s_cbranch_execz .LBB363_16
.LBB363_15:
	v_dual_mov_b32 v1, 0 :: v_dual_add_nc_u32 v0, s2, v0
	s_delay_alu instid0(VALU_DEP_1) | instskip(NEXT) | instid1(VALU_DEP_1)
	v_lshlrev_b64 v[0:1], 2, v[0:1]
	v_add_co_u32 v0, vcc_lo, s4, v0
	s_delay_alu instid0(VALU_DEP_2)
	v_add_co_ci_u32_e32 v1, vcc_lo, s5, v1, vcc_lo
	global_store_b32 v[0:1], v4, off
.LBB363_16:
	s_nop 0
	s_sendmsg sendmsg(MSG_DEALLOC_VGPRS)
	s_endpgm
.LBB363_17:
	v_mov_b32_e32 v2, 0
	s_delay_alu instid0(VALU_DEP_1) | instskip(NEXT) | instid1(VALU_DEP_1)
	v_lshlrev_b64 v[0:1], 2, v[1:2]
	v_add_co_u32 v7, vcc_lo, s4, v0
	s_delay_alu instid0(VALU_DEP_2) | instskip(SKIP_3) | instid1(SALU_CYCLE_1)
	v_add_co_ci_u32_e32 v8, vcc_lo, s5, v1, vcc_lo
	v_mov_b32_e32 v0, v3
	global_store_b32 v[7:8], v9, off
	s_or_b32 exec_lo, exec_lo, s0
	s_mov_b32 s0, exec_lo
	v_cmpx_gt_i32_e64 s1, v0
	s_cbranch_execz .LBB363_13
.LBB363_18:
	v_dual_mov_b32 v2, 0 :: v_dual_add_nc_u32 v1, s2, v0
	v_add_nc_u32_e32 v0, 0x100, v0
	s_delay_alu instid0(VALU_DEP_2) | instskip(NEXT) | instid1(VALU_DEP_1)
	v_lshlrev_b64 v[1:2], 2, v[1:2]
	v_add_co_u32 v1, vcc_lo, s4, v1
	s_delay_alu instid0(VALU_DEP_2) | instskip(SKIP_2) | instid1(SALU_CYCLE_1)
	v_add_co_ci_u32_e32 v2, vcc_lo, s5, v2, vcc_lo
	global_store_b32 v[1:2], v6, off
	s_or_b32 exec_lo, exec_lo, s0
	s_mov_b32 s0, exec_lo
	v_cmpx_gt_i32_e64 s1, v0
	s_cbranch_execz .LBB363_14
.LBB363_19:
	v_dual_mov_b32 v2, 0 :: v_dual_add_nc_u32 v1, s2, v0
	v_add_nc_u32_e32 v0, 0x100, v0
	s_delay_alu instid0(VALU_DEP_2) | instskip(NEXT) | instid1(VALU_DEP_1)
	v_lshlrev_b64 v[1:2], 2, v[1:2]
	v_add_co_u32 v1, vcc_lo, s4, v1
	s_delay_alu instid0(VALU_DEP_2) | instskip(SKIP_2) | instid1(SALU_CYCLE_1)
	v_add_co_ci_u32_e32 v2, vcc_lo, s5, v2, vcc_lo
	global_store_b32 v[1:2], v5, off
	s_or_b32 exec_lo, exec_lo, s0
	s_mov_b32 s0, exec_lo
	v_cmpx_gt_i32_e64 s1, v0
	s_cbranch_execnz .LBB363_15
	s_branch .LBB363_16
	.section	.rodata,"a",@progbits
	.p2align	6, 0x0
	.amdhsa_kernel _ZN2at6native29vectorized_elementwise_kernelILi8EZZZNS0_21clamp_min_kernel_cudaERNS_18TensorIteratorBaseERKN3c106ScalarEENKUlvE_clEvENKUlvE1_clEvEUliE_St5arrayIPcLm2EEEEviT0_T1_
		.amdhsa_group_segment_fixed_size 0
		.amdhsa_private_segment_fixed_size 0
		.amdhsa_kernarg_size 24
		.amdhsa_user_sgpr_count 15
		.amdhsa_user_sgpr_dispatch_ptr 0
		.amdhsa_user_sgpr_queue_ptr 0
		.amdhsa_user_sgpr_kernarg_segment_ptr 1
		.amdhsa_user_sgpr_dispatch_id 0
		.amdhsa_user_sgpr_private_segment_size 0
		.amdhsa_wavefront_size32 1
		.amdhsa_uses_dynamic_stack 0
		.amdhsa_enable_private_segment 0
		.amdhsa_system_sgpr_workgroup_id_x 1
		.amdhsa_system_sgpr_workgroup_id_y 0
		.amdhsa_system_sgpr_workgroup_id_z 0
		.amdhsa_system_sgpr_workgroup_info 0
		.amdhsa_system_vgpr_workitem_id 0
		.amdhsa_next_free_vgpr 10
		.amdhsa_next_free_sgpr 16
		.amdhsa_reserve_vcc 1
		.amdhsa_float_round_mode_32 0
		.amdhsa_float_round_mode_16_64 0
		.amdhsa_float_denorm_mode_32 3
		.amdhsa_float_denorm_mode_16_64 3
		.amdhsa_dx10_clamp 1
		.amdhsa_ieee_mode 1
		.amdhsa_fp16_overflow 0
		.amdhsa_workgroup_processor_mode 1
		.amdhsa_memory_ordered 1
		.amdhsa_forward_progress 0
		.amdhsa_shared_vgpr_count 0
		.amdhsa_exception_fp_ieee_invalid_op 0
		.amdhsa_exception_fp_denorm_src 0
		.amdhsa_exception_fp_ieee_div_zero 0
		.amdhsa_exception_fp_ieee_overflow 0
		.amdhsa_exception_fp_ieee_underflow 0
		.amdhsa_exception_fp_ieee_inexact 0
		.amdhsa_exception_int_div_zero 0
	.end_amdhsa_kernel
	.section	.text._ZN2at6native29vectorized_elementwise_kernelILi8EZZZNS0_21clamp_min_kernel_cudaERNS_18TensorIteratorBaseERKN3c106ScalarEENKUlvE_clEvENKUlvE1_clEvEUliE_St5arrayIPcLm2EEEEviT0_T1_,"axG",@progbits,_ZN2at6native29vectorized_elementwise_kernelILi8EZZZNS0_21clamp_min_kernel_cudaERNS_18TensorIteratorBaseERKN3c106ScalarEENKUlvE_clEvENKUlvE1_clEvEUliE_St5arrayIPcLm2EEEEviT0_T1_,comdat
.Lfunc_end363:
	.size	_ZN2at6native29vectorized_elementwise_kernelILi8EZZZNS0_21clamp_min_kernel_cudaERNS_18TensorIteratorBaseERKN3c106ScalarEENKUlvE_clEvENKUlvE1_clEvEUliE_St5arrayIPcLm2EEEEviT0_T1_, .Lfunc_end363-_ZN2at6native29vectorized_elementwise_kernelILi8EZZZNS0_21clamp_min_kernel_cudaERNS_18TensorIteratorBaseERKN3c106ScalarEENKUlvE_clEvENKUlvE1_clEvEUliE_St5arrayIPcLm2EEEEviT0_T1_
                                        ; -- End function
	.section	.AMDGPU.csdata,"",@progbits
; Kernel info:
; codeLenInByte = 820
; NumSgprs: 18
; NumVgprs: 10
; ScratchSize: 0
; MemoryBound: 0
; FloatMode: 240
; IeeeMode: 1
; LDSByteSize: 0 bytes/workgroup (compile time only)
; SGPRBlocks: 2
; VGPRBlocks: 1
; NumSGPRsForWavesPerEU: 18
; NumVGPRsForWavesPerEU: 10
; Occupancy: 16
; WaveLimiterHint : 0
; COMPUTE_PGM_RSRC2:SCRATCH_EN: 0
; COMPUTE_PGM_RSRC2:USER_SGPR: 15
; COMPUTE_PGM_RSRC2:TRAP_HANDLER: 0
; COMPUTE_PGM_RSRC2:TGID_X_EN: 1
; COMPUTE_PGM_RSRC2:TGID_Y_EN: 0
; COMPUTE_PGM_RSRC2:TGID_Z_EN: 0
; COMPUTE_PGM_RSRC2:TIDIG_COMP_CNT: 0
	.section	.text._ZN2at6native29vectorized_elementwise_kernelILi4EZZZNS0_21clamp_min_kernel_cudaERNS_18TensorIteratorBaseERKN3c106ScalarEENKUlvE_clEvENKUlvE1_clEvEUliE_St5arrayIPcLm2EEEEviT0_T1_,"axG",@progbits,_ZN2at6native29vectorized_elementwise_kernelILi4EZZZNS0_21clamp_min_kernel_cudaERNS_18TensorIteratorBaseERKN3c106ScalarEENKUlvE_clEvENKUlvE1_clEvEUliE_St5arrayIPcLm2EEEEviT0_T1_,comdat
	.globl	_ZN2at6native29vectorized_elementwise_kernelILi4EZZZNS0_21clamp_min_kernel_cudaERNS_18TensorIteratorBaseERKN3c106ScalarEENKUlvE_clEvENKUlvE1_clEvEUliE_St5arrayIPcLm2EEEEviT0_T1_ ; -- Begin function _ZN2at6native29vectorized_elementwise_kernelILi4EZZZNS0_21clamp_min_kernel_cudaERNS_18TensorIteratorBaseERKN3c106ScalarEENKUlvE_clEvENKUlvE1_clEvEUliE_St5arrayIPcLm2EEEEviT0_T1_
	.p2align	8
	.type	_ZN2at6native29vectorized_elementwise_kernelILi4EZZZNS0_21clamp_min_kernel_cudaERNS_18TensorIteratorBaseERKN3c106ScalarEENKUlvE_clEvENKUlvE1_clEvEUliE_St5arrayIPcLm2EEEEviT0_T1_,@function
_ZN2at6native29vectorized_elementwise_kernelILi4EZZZNS0_21clamp_min_kernel_cudaERNS_18TensorIteratorBaseERKN3c106ScalarEENKUlvE_clEvENKUlvE1_clEvEUliE_St5arrayIPcLm2EEEEviT0_T1_: ; @_ZN2at6native29vectorized_elementwise_kernelILi4EZZZNS0_21clamp_min_kernel_cudaERNS_18TensorIteratorBaseERKN3c106ScalarEENKUlvE_clEvENKUlvE1_clEvEUliE_St5arrayIPcLm2EEEEviT0_T1_
; %bb.0:
	s_clause 0x1
	s_load_b64 s[8:9], s[0:1], 0x0
	s_load_b128 s[4:7], s[0:1], 0x8
	s_lshl_b32 s2, s15, 10
	s_mov_b32 s0, -1
	s_waitcnt lgkmcnt(0)
	s_sub_i32 s1, s8, s2
	s_delay_alu instid0(SALU_CYCLE_1)
	s_cmpk_gt_i32 s1, 0x3ff
	s_cbranch_scc0 .LBB364_2
; %bb.1:
	s_ashr_i32 s3, s2, 31
	v_lshlrev_b32_e32 v5, 4, v0
	s_lshl_b64 s[10:11], s[2:3], 2
	s_mov_b32 s0, 0
	s_add_u32 s12, s6, s10
	s_addc_u32 s13, s7, s11
	s_add_u32 s10, s4, s10
	global_load_b128 v[1:4], v5, s[12:13]
	s_addc_u32 s11, s5, s11
	s_waitcnt vmcnt(0)
	v_max_i32_e32 v1, s9, v1
	v_max_i32_e32 v2, s9, v2
	;; [unrolled: 1-line block ×4, first 2 shown]
	global_store_b128 v5, v[1:4], s[10:11]
.LBB364_2:
	s_and_not1_b32 vcc_lo, exec_lo, s0
	s_cbranch_vccnz .LBB364_16
; %bb.3:
	v_cmp_gt_i32_e32 vcc_lo, s1, v0
	v_dual_mov_b32 v4, 0 :: v_dual_mov_b32 v5, v0
	v_or_b32_e32 v1, s2, v0
	v_or_b32_e32 v3, 0x100, v0
	v_mov_b32_e32 v2, 0
	s_and_saveexec_b32 s3, vcc_lo
	s_cbranch_execz .LBB364_5
; %bb.4:
	v_mov_b32_e32 v2, 0
	s_delay_alu instid0(VALU_DEP_1) | instskip(NEXT) | instid1(VALU_DEP_1)
	v_lshlrev_b64 v[5:6], 2, v[1:2]
	v_add_co_u32 v5, s0, s6, v5
	s_delay_alu instid0(VALU_DEP_1)
	v_add_co_ci_u32_e64 v6, s0, s7, v6, s0
	global_load_b32 v2, v[5:6], off
	v_or_b32_e32 v5, 0x100, v0
.LBB364_5:
	s_or_b32 exec_lo, exec_lo, s3
	s_delay_alu instid0(SALU_CYCLE_1) | instskip(NEXT) | instid1(VALU_DEP_1)
	s_mov_b32 s3, exec_lo
	v_cmpx_gt_i32_e64 s1, v5
	s_cbranch_execz .LBB364_7
; %bb.6:
	v_dual_mov_b32 v7, 0 :: v_dual_add_nc_u32 v6, s2, v5
	v_add_nc_u32_e32 v5, 0x100, v5
	s_delay_alu instid0(VALU_DEP_2) | instskip(NEXT) | instid1(VALU_DEP_1)
	v_lshlrev_b64 v[6:7], 2, v[6:7]
	v_add_co_u32 v6, s0, s6, v6
	s_delay_alu instid0(VALU_DEP_1)
	v_add_co_ci_u32_e64 v7, s0, s7, v7, s0
	global_load_b32 v4, v[6:7], off
.LBB364_7:
	s_or_b32 exec_lo, exec_lo, s3
	v_dual_mov_b32 v7, 0 :: v_dual_mov_b32 v8, 0
	s_mov_b32 s3, exec_lo
	v_cmpx_gt_i32_e64 s1, v5
	s_cbranch_execz .LBB364_9
; %bb.8:
	v_dual_mov_b32 v9, 0 :: v_dual_add_nc_u32 v8, s2, v5
	v_add_nc_u32_e32 v5, 0x100, v5
	s_delay_alu instid0(VALU_DEP_2) | instskip(NEXT) | instid1(VALU_DEP_1)
	v_lshlrev_b64 v[8:9], 2, v[8:9]
	v_add_co_u32 v8, s0, s6, v8
	s_delay_alu instid0(VALU_DEP_1)
	v_add_co_ci_u32_e64 v9, s0, s7, v9, s0
	global_load_b32 v8, v[8:9], off
.LBB364_9:
	s_or_b32 exec_lo, exec_lo, s3
	s_delay_alu instid0(SALU_CYCLE_1)
	s_mov_b32 s3, exec_lo
	v_cmpx_gt_i32_e64 s1, v5
	s_cbranch_execz .LBB364_11
; %bb.10:
	v_dual_mov_b32 v6, 0 :: v_dual_add_nc_u32 v5, s2, v5
	s_delay_alu instid0(VALU_DEP_1) | instskip(NEXT) | instid1(VALU_DEP_1)
	v_lshlrev_b64 v[5:6], 2, v[5:6]
	v_add_co_u32 v5, s0, s6, v5
	s_delay_alu instid0(VALU_DEP_1)
	v_add_co_ci_u32_e64 v6, s0, s7, v6, s0
	global_load_b32 v7, v[5:6], off
.LBB364_11:
	s_or_b32 exec_lo, exec_lo, s3
	s_waitcnt vmcnt(0)
	v_max_i32_e32 v9, s9, v2
	v_max_i32_e32 v6, s9, v4
	;; [unrolled: 1-line block ×4, first 2 shown]
	s_and_saveexec_b32 s0, vcc_lo
	s_cbranch_execnz .LBB364_17
; %bb.12:
	s_or_b32 exec_lo, exec_lo, s0
	s_delay_alu instid0(SALU_CYCLE_1)
	s_mov_b32 s0, exec_lo
	v_cmpx_gt_i32_e64 s1, v0
	s_cbranch_execnz .LBB364_18
.LBB364_13:
	s_or_b32 exec_lo, exec_lo, s0
	s_delay_alu instid0(SALU_CYCLE_1)
	s_mov_b32 s0, exec_lo
	v_cmpx_gt_i32_e64 s1, v0
	s_cbranch_execnz .LBB364_19
.LBB364_14:
	s_or_b32 exec_lo, exec_lo, s0
	s_delay_alu instid0(SALU_CYCLE_1)
	s_mov_b32 s0, exec_lo
	v_cmpx_gt_i32_e64 s1, v0
	s_cbranch_execz .LBB364_16
.LBB364_15:
	v_dual_mov_b32 v1, 0 :: v_dual_add_nc_u32 v0, s2, v0
	s_delay_alu instid0(VALU_DEP_1) | instskip(NEXT) | instid1(VALU_DEP_1)
	v_lshlrev_b64 v[0:1], 2, v[0:1]
	v_add_co_u32 v0, vcc_lo, s4, v0
	s_delay_alu instid0(VALU_DEP_2)
	v_add_co_ci_u32_e32 v1, vcc_lo, s5, v1, vcc_lo
	global_store_b32 v[0:1], v4, off
.LBB364_16:
	s_nop 0
	s_sendmsg sendmsg(MSG_DEALLOC_VGPRS)
	s_endpgm
.LBB364_17:
	v_mov_b32_e32 v2, 0
	s_delay_alu instid0(VALU_DEP_1) | instskip(NEXT) | instid1(VALU_DEP_1)
	v_lshlrev_b64 v[0:1], 2, v[1:2]
	v_add_co_u32 v7, vcc_lo, s4, v0
	s_delay_alu instid0(VALU_DEP_2) | instskip(SKIP_3) | instid1(SALU_CYCLE_1)
	v_add_co_ci_u32_e32 v8, vcc_lo, s5, v1, vcc_lo
	v_mov_b32_e32 v0, v3
	global_store_b32 v[7:8], v9, off
	s_or_b32 exec_lo, exec_lo, s0
	s_mov_b32 s0, exec_lo
	v_cmpx_gt_i32_e64 s1, v0
	s_cbranch_execz .LBB364_13
.LBB364_18:
	v_dual_mov_b32 v2, 0 :: v_dual_add_nc_u32 v1, s2, v0
	v_add_nc_u32_e32 v0, 0x100, v0
	s_delay_alu instid0(VALU_DEP_2) | instskip(NEXT) | instid1(VALU_DEP_1)
	v_lshlrev_b64 v[1:2], 2, v[1:2]
	v_add_co_u32 v1, vcc_lo, s4, v1
	s_delay_alu instid0(VALU_DEP_2) | instskip(SKIP_2) | instid1(SALU_CYCLE_1)
	v_add_co_ci_u32_e32 v2, vcc_lo, s5, v2, vcc_lo
	global_store_b32 v[1:2], v6, off
	s_or_b32 exec_lo, exec_lo, s0
	s_mov_b32 s0, exec_lo
	v_cmpx_gt_i32_e64 s1, v0
	s_cbranch_execz .LBB364_14
.LBB364_19:
	v_dual_mov_b32 v2, 0 :: v_dual_add_nc_u32 v1, s2, v0
	v_add_nc_u32_e32 v0, 0x100, v0
	s_delay_alu instid0(VALU_DEP_2) | instskip(NEXT) | instid1(VALU_DEP_1)
	v_lshlrev_b64 v[1:2], 2, v[1:2]
	v_add_co_u32 v1, vcc_lo, s4, v1
	s_delay_alu instid0(VALU_DEP_2) | instskip(SKIP_2) | instid1(SALU_CYCLE_1)
	v_add_co_ci_u32_e32 v2, vcc_lo, s5, v2, vcc_lo
	global_store_b32 v[1:2], v5, off
	s_or_b32 exec_lo, exec_lo, s0
	s_mov_b32 s0, exec_lo
	v_cmpx_gt_i32_e64 s1, v0
	s_cbranch_execnz .LBB364_15
	s_branch .LBB364_16
	.section	.rodata,"a",@progbits
	.p2align	6, 0x0
	.amdhsa_kernel _ZN2at6native29vectorized_elementwise_kernelILi4EZZZNS0_21clamp_min_kernel_cudaERNS_18TensorIteratorBaseERKN3c106ScalarEENKUlvE_clEvENKUlvE1_clEvEUliE_St5arrayIPcLm2EEEEviT0_T1_
		.amdhsa_group_segment_fixed_size 0
		.amdhsa_private_segment_fixed_size 0
		.amdhsa_kernarg_size 24
		.amdhsa_user_sgpr_count 15
		.amdhsa_user_sgpr_dispatch_ptr 0
		.amdhsa_user_sgpr_queue_ptr 0
		.amdhsa_user_sgpr_kernarg_segment_ptr 1
		.amdhsa_user_sgpr_dispatch_id 0
		.amdhsa_user_sgpr_private_segment_size 0
		.amdhsa_wavefront_size32 1
		.amdhsa_uses_dynamic_stack 0
		.amdhsa_enable_private_segment 0
		.amdhsa_system_sgpr_workgroup_id_x 1
		.amdhsa_system_sgpr_workgroup_id_y 0
		.amdhsa_system_sgpr_workgroup_id_z 0
		.amdhsa_system_sgpr_workgroup_info 0
		.amdhsa_system_vgpr_workitem_id 0
		.amdhsa_next_free_vgpr 10
		.amdhsa_next_free_sgpr 16
		.amdhsa_reserve_vcc 1
		.amdhsa_float_round_mode_32 0
		.amdhsa_float_round_mode_16_64 0
		.amdhsa_float_denorm_mode_32 3
		.amdhsa_float_denorm_mode_16_64 3
		.amdhsa_dx10_clamp 1
		.amdhsa_ieee_mode 1
		.amdhsa_fp16_overflow 0
		.amdhsa_workgroup_processor_mode 1
		.amdhsa_memory_ordered 1
		.amdhsa_forward_progress 0
		.amdhsa_shared_vgpr_count 0
		.amdhsa_exception_fp_ieee_invalid_op 0
		.amdhsa_exception_fp_denorm_src 0
		.amdhsa_exception_fp_ieee_div_zero 0
		.amdhsa_exception_fp_ieee_overflow 0
		.amdhsa_exception_fp_ieee_underflow 0
		.amdhsa_exception_fp_ieee_inexact 0
		.amdhsa_exception_int_div_zero 0
	.end_amdhsa_kernel
	.section	.text._ZN2at6native29vectorized_elementwise_kernelILi4EZZZNS0_21clamp_min_kernel_cudaERNS_18TensorIteratorBaseERKN3c106ScalarEENKUlvE_clEvENKUlvE1_clEvEUliE_St5arrayIPcLm2EEEEviT0_T1_,"axG",@progbits,_ZN2at6native29vectorized_elementwise_kernelILi4EZZZNS0_21clamp_min_kernel_cudaERNS_18TensorIteratorBaseERKN3c106ScalarEENKUlvE_clEvENKUlvE1_clEvEUliE_St5arrayIPcLm2EEEEviT0_T1_,comdat
.Lfunc_end364:
	.size	_ZN2at6native29vectorized_elementwise_kernelILi4EZZZNS0_21clamp_min_kernel_cudaERNS_18TensorIteratorBaseERKN3c106ScalarEENKUlvE_clEvENKUlvE1_clEvEUliE_St5arrayIPcLm2EEEEviT0_T1_, .Lfunc_end364-_ZN2at6native29vectorized_elementwise_kernelILi4EZZZNS0_21clamp_min_kernel_cudaERNS_18TensorIteratorBaseERKN3c106ScalarEENKUlvE_clEvENKUlvE1_clEvEUliE_St5arrayIPcLm2EEEEviT0_T1_
                                        ; -- End function
	.section	.AMDGPU.csdata,"",@progbits
; Kernel info:
; codeLenInByte = 820
; NumSgprs: 18
; NumVgprs: 10
; ScratchSize: 0
; MemoryBound: 0
; FloatMode: 240
; IeeeMode: 1
; LDSByteSize: 0 bytes/workgroup (compile time only)
; SGPRBlocks: 2
; VGPRBlocks: 1
; NumSGPRsForWavesPerEU: 18
; NumVGPRsForWavesPerEU: 10
; Occupancy: 16
; WaveLimiterHint : 0
; COMPUTE_PGM_RSRC2:SCRATCH_EN: 0
; COMPUTE_PGM_RSRC2:USER_SGPR: 15
; COMPUTE_PGM_RSRC2:TRAP_HANDLER: 0
; COMPUTE_PGM_RSRC2:TGID_X_EN: 1
; COMPUTE_PGM_RSRC2:TGID_Y_EN: 0
; COMPUTE_PGM_RSRC2:TGID_Z_EN: 0
; COMPUTE_PGM_RSRC2:TIDIG_COMP_CNT: 0
	.section	.text._ZN2at6native29vectorized_elementwise_kernelILi2EZZZNS0_21clamp_min_kernel_cudaERNS_18TensorIteratorBaseERKN3c106ScalarEENKUlvE_clEvENKUlvE1_clEvEUliE_St5arrayIPcLm2EEEEviT0_T1_,"axG",@progbits,_ZN2at6native29vectorized_elementwise_kernelILi2EZZZNS0_21clamp_min_kernel_cudaERNS_18TensorIteratorBaseERKN3c106ScalarEENKUlvE_clEvENKUlvE1_clEvEUliE_St5arrayIPcLm2EEEEviT0_T1_,comdat
	.globl	_ZN2at6native29vectorized_elementwise_kernelILi2EZZZNS0_21clamp_min_kernel_cudaERNS_18TensorIteratorBaseERKN3c106ScalarEENKUlvE_clEvENKUlvE1_clEvEUliE_St5arrayIPcLm2EEEEviT0_T1_ ; -- Begin function _ZN2at6native29vectorized_elementwise_kernelILi2EZZZNS0_21clamp_min_kernel_cudaERNS_18TensorIteratorBaseERKN3c106ScalarEENKUlvE_clEvENKUlvE1_clEvEUliE_St5arrayIPcLm2EEEEviT0_T1_
	.p2align	8
	.type	_ZN2at6native29vectorized_elementwise_kernelILi2EZZZNS0_21clamp_min_kernel_cudaERNS_18TensorIteratorBaseERKN3c106ScalarEENKUlvE_clEvENKUlvE1_clEvEUliE_St5arrayIPcLm2EEEEviT0_T1_,@function
_ZN2at6native29vectorized_elementwise_kernelILi2EZZZNS0_21clamp_min_kernel_cudaERNS_18TensorIteratorBaseERKN3c106ScalarEENKUlvE_clEvENKUlvE1_clEvEUliE_St5arrayIPcLm2EEEEviT0_T1_: ; @_ZN2at6native29vectorized_elementwise_kernelILi2EZZZNS0_21clamp_min_kernel_cudaERNS_18TensorIteratorBaseERKN3c106ScalarEENKUlvE_clEvENKUlvE1_clEvEUliE_St5arrayIPcLm2EEEEviT0_T1_
; %bb.0:
	s_clause 0x1
	s_load_b64 s[8:9], s[0:1], 0x0
	s_load_b128 s[4:7], s[0:1], 0x8
	s_lshl_b32 s2, s15, 10
	s_mov_b32 s0, -1
	s_waitcnt lgkmcnt(0)
	s_sub_i32 s1, s8, s2
	s_delay_alu instid0(SALU_CYCLE_1)
	s_cmpk_gt_i32 s1, 0x3ff
	s_cbranch_scc0 .LBB365_2
; %bb.1:
	s_ashr_i32 s3, s2, 31
	v_lshlrev_b32_e32 v5, 3, v0
	s_lshl_b64 s[10:11], s[2:3], 2
	s_mov_b32 s0, 0
	s_add_u32 s12, s6, s10
	s_addc_u32 s13, s7, s11
	s_add_u32 s10, s4, s10
	s_clause 0x1
	global_load_b64 v[1:2], v5, s[12:13]
	global_load_b64 v[3:4], v5, s[12:13] offset:2048
	s_addc_u32 s11, s5, s11
	s_waitcnt vmcnt(1)
	v_max_i32_e32 v1, s9, v1
	v_max_i32_e32 v2, s9, v2
	s_waitcnt vmcnt(0)
	v_max_i32_e32 v3, s9, v3
	v_max_i32_e32 v4, s9, v4
	s_clause 0x1
	global_store_b64 v5, v[1:2], s[10:11]
	global_store_b64 v5, v[3:4], s[10:11] offset:2048
.LBB365_2:
	s_and_not1_b32 vcc_lo, exec_lo, s0
	s_cbranch_vccnz .LBB365_16
; %bb.3:
	v_cmp_gt_i32_e32 vcc_lo, s1, v0
	v_dual_mov_b32 v4, 0 :: v_dual_mov_b32 v5, v0
	v_or_b32_e32 v1, s2, v0
	v_or_b32_e32 v3, 0x100, v0
	v_mov_b32_e32 v2, 0
	s_and_saveexec_b32 s3, vcc_lo
	s_cbranch_execz .LBB365_5
; %bb.4:
	v_mov_b32_e32 v2, 0
	s_delay_alu instid0(VALU_DEP_1) | instskip(NEXT) | instid1(VALU_DEP_1)
	v_lshlrev_b64 v[5:6], 2, v[1:2]
	v_add_co_u32 v5, s0, s6, v5
	s_delay_alu instid0(VALU_DEP_1)
	v_add_co_ci_u32_e64 v6, s0, s7, v6, s0
	global_load_b32 v2, v[5:6], off
	v_or_b32_e32 v5, 0x100, v0
.LBB365_5:
	s_or_b32 exec_lo, exec_lo, s3
	s_delay_alu instid0(SALU_CYCLE_1) | instskip(NEXT) | instid1(VALU_DEP_1)
	s_mov_b32 s3, exec_lo
	v_cmpx_gt_i32_e64 s1, v5
	s_cbranch_execz .LBB365_7
; %bb.6:
	v_dual_mov_b32 v7, 0 :: v_dual_add_nc_u32 v6, s2, v5
	v_add_nc_u32_e32 v5, 0x100, v5
	s_delay_alu instid0(VALU_DEP_2) | instskip(NEXT) | instid1(VALU_DEP_1)
	v_lshlrev_b64 v[6:7], 2, v[6:7]
	v_add_co_u32 v6, s0, s6, v6
	s_delay_alu instid0(VALU_DEP_1)
	v_add_co_ci_u32_e64 v7, s0, s7, v7, s0
	global_load_b32 v4, v[6:7], off
.LBB365_7:
	s_or_b32 exec_lo, exec_lo, s3
	v_dual_mov_b32 v7, 0 :: v_dual_mov_b32 v8, 0
	s_mov_b32 s3, exec_lo
	v_cmpx_gt_i32_e64 s1, v5
	s_cbranch_execz .LBB365_9
; %bb.8:
	v_dual_mov_b32 v9, 0 :: v_dual_add_nc_u32 v8, s2, v5
	v_add_nc_u32_e32 v5, 0x100, v5
	s_delay_alu instid0(VALU_DEP_2) | instskip(NEXT) | instid1(VALU_DEP_1)
	v_lshlrev_b64 v[8:9], 2, v[8:9]
	v_add_co_u32 v8, s0, s6, v8
	s_delay_alu instid0(VALU_DEP_1)
	v_add_co_ci_u32_e64 v9, s0, s7, v9, s0
	global_load_b32 v8, v[8:9], off
.LBB365_9:
	s_or_b32 exec_lo, exec_lo, s3
	s_delay_alu instid0(SALU_CYCLE_1)
	s_mov_b32 s3, exec_lo
	v_cmpx_gt_i32_e64 s1, v5
	s_cbranch_execz .LBB365_11
; %bb.10:
	v_dual_mov_b32 v6, 0 :: v_dual_add_nc_u32 v5, s2, v5
	s_delay_alu instid0(VALU_DEP_1) | instskip(NEXT) | instid1(VALU_DEP_1)
	v_lshlrev_b64 v[5:6], 2, v[5:6]
	v_add_co_u32 v5, s0, s6, v5
	s_delay_alu instid0(VALU_DEP_1)
	v_add_co_ci_u32_e64 v6, s0, s7, v6, s0
	global_load_b32 v7, v[5:6], off
.LBB365_11:
	s_or_b32 exec_lo, exec_lo, s3
	s_waitcnt vmcnt(0)
	v_max_i32_e32 v9, s9, v2
	v_max_i32_e32 v6, s9, v4
	;; [unrolled: 1-line block ×4, first 2 shown]
	s_and_saveexec_b32 s0, vcc_lo
	s_cbranch_execnz .LBB365_17
; %bb.12:
	s_or_b32 exec_lo, exec_lo, s0
	s_delay_alu instid0(SALU_CYCLE_1)
	s_mov_b32 s0, exec_lo
	v_cmpx_gt_i32_e64 s1, v0
	s_cbranch_execnz .LBB365_18
.LBB365_13:
	s_or_b32 exec_lo, exec_lo, s0
	s_delay_alu instid0(SALU_CYCLE_1)
	s_mov_b32 s0, exec_lo
	v_cmpx_gt_i32_e64 s1, v0
	s_cbranch_execnz .LBB365_19
.LBB365_14:
	s_or_b32 exec_lo, exec_lo, s0
	s_delay_alu instid0(SALU_CYCLE_1)
	s_mov_b32 s0, exec_lo
	v_cmpx_gt_i32_e64 s1, v0
	s_cbranch_execz .LBB365_16
.LBB365_15:
	v_dual_mov_b32 v1, 0 :: v_dual_add_nc_u32 v0, s2, v0
	s_delay_alu instid0(VALU_DEP_1) | instskip(NEXT) | instid1(VALU_DEP_1)
	v_lshlrev_b64 v[0:1], 2, v[0:1]
	v_add_co_u32 v0, vcc_lo, s4, v0
	s_delay_alu instid0(VALU_DEP_2)
	v_add_co_ci_u32_e32 v1, vcc_lo, s5, v1, vcc_lo
	global_store_b32 v[0:1], v4, off
.LBB365_16:
	s_nop 0
	s_sendmsg sendmsg(MSG_DEALLOC_VGPRS)
	s_endpgm
.LBB365_17:
	v_mov_b32_e32 v2, 0
	s_delay_alu instid0(VALU_DEP_1) | instskip(NEXT) | instid1(VALU_DEP_1)
	v_lshlrev_b64 v[0:1], 2, v[1:2]
	v_add_co_u32 v7, vcc_lo, s4, v0
	s_delay_alu instid0(VALU_DEP_2) | instskip(SKIP_3) | instid1(SALU_CYCLE_1)
	v_add_co_ci_u32_e32 v8, vcc_lo, s5, v1, vcc_lo
	v_mov_b32_e32 v0, v3
	global_store_b32 v[7:8], v9, off
	s_or_b32 exec_lo, exec_lo, s0
	s_mov_b32 s0, exec_lo
	v_cmpx_gt_i32_e64 s1, v0
	s_cbranch_execz .LBB365_13
.LBB365_18:
	v_dual_mov_b32 v2, 0 :: v_dual_add_nc_u32 v1, s2, v0
	v_add_nc_u32_e32 v0, 0x100, v0
	s_delay_alu instid0(VALU_DEP_2) | instskip(NEXT) | instid1(VALU_DEP_1)
	v_lshlrev_b64 v[1:2], 2, v[1:2]
	v_add_co_u32 v1, vcc_lo, s4, v1
	s_delay_alu instid0(VALU_DEP_2) | instskip(SKIP_2) | instid1(SALU_CYCLE_1)
	v_add_co_ci_u32_e32 v2, vcc_lo, s5, v2, vcc_lo
	global_store_b32 v[1:2], v6, off
	s_or_b32 exec_lo, exec_lo, s0
	s_mov_b32 s0, exec_lo
	v_cmpx_gt_i32_e64 s1, v0
	s_cbranch_execz .LBB365_14
.LBB365_19:
	v_dual_mov_b32 v2, 0 :: v_dual_add_nc_u32 v1, s2, v0
	v_add_nc_u32_e32 v0, 0x100, v0
	s_delay_alu instid0(VALU_DEP_2) | instskip(NEXT) | instid1(VALU_DEP_1)
	v_lshlrev_b64 v[1:2], 2, v[1:2]
	v_add_co_u32 v1, vcc_lo, s4, v1
	s_delay_alu instid0(VALU_DEP_2) | instskip(SKIP_2) | instid1(SALU_CYCLE_1)
	v_add_co_ci_u32_e32 v2, vcc_lo, s5, v2, vcc_lo
	global_store_b32 v[1:2], v5, off
	s_or_b32 exec_lo, exec_lo, s0
	s_mov_b32 s0, exec_lo
	v_cmpx_gt_i32_e64 s1, v0
	s_cbranch_execnz .LBB365_15
	s_branch .LBB365_16
	.section	.rodata,"a",@progbits
	.p2align	6, 0x0
	.amdhsa_kernel _ZN2at6native29vectorized_elementwise_kernelILi2EZZZNS0_21clamp_min_kernel_cudaERNS_18TensorIteratorBaseERKN3c106ScalarEENKUlvE_clEvENKUlvE1_clEvEUliE_St5arrayIPcLm2EEEEviT0_T1_
		.amdhsa_group_segment_fixed_size 0
		.amdhsa_private_segment_fixed_size 0
		.amdhsa_kernarg_size 24
		.amdhsa_user_sgpr_count 15
		.amdhsa_user_sgpr_dispatch_ptr 0
		.amdhsa_user_sgpr_queue_ptr 0
		.amdhsa_user_sgpr_kernarg_segment_ptr 1
		.amdhsa_user_sgpr_dispatch_id 0
		.amdhsa_user_sgpr_private_segment_size 0
		.amdhsa_wavefront_size32 1
		.amdhsa_uses_dynamic_stack 0
		.amdhsa_enable_private_segment 0
		.amdhsa_system_sgpr_workgroup_id_x 1
		.amdhsa_system_sgpr_workgroup_id_y 0
		.amdhsa_system_sgpr_workgroup_id_z 0
		.amdhsa_system_sgpr_workgroup_info 0
		.amdhsa_system_vgpr_workitem_id 0
		.amdhsa_next_free_vgpr 10
		.amdhsa_next_free_sgpr 16
		.amdhsa_reserve_vcc 1
		.amdhsa_float_round_mode_32 0
		.amdhsa_float_round_mode_16_64 0
		.amdhsa_float_denorm_mode_32 3
		.amdhsa_float_denorm_mode_16_64 3
		.amdhsa_dx10_clamp 1
		.amdhsa_ieee_mode 1
		.amdhsa_fp16_overflow 0
		.amdhsa_workgroup_processor_mode 1
		.amdhsa_memory_ordered 1
		.amdhsa_forward_progress 0
		.amdhsa_shared_vgpr_count 0
		.amdhsa_exception_fp_ieee_invalid_op 0
		.amdhsa_exception_fp_denorm_src 0
		.amdhsa_exception_fp_ieee_div_zero 0
		.amdhsa_exception_fp_ieee_overflow 0
		.amdhsa_exception_fp_ieee_underflow 0
		.amdhsa_exception_fp_ieee_inexact 0
		.amdhsa_exception_int_div_zero 0
	.end_amdhsa_kernel
	.section	.text._ZN2at6native29vectorized_elementwise_kernelILi2EZZZNS0_21clamp_min_kernel_cudaERNS_18TensorIteratorBaseERKN3c106ScalarEENKUlvE_clEvENKUlvE1_clEvEUliE_St5arrayIPcLm2EEEEviT0_T1_,"axG",@progbits,_ZN2at6native29vectorized_elementwise_kernelILi2EZZZNS0_21clamp_min_kernel_cudaERNS_18TensorIteratorBaseERKN3c106ScalarEENKUlvE_clEvENKUlvE1_clEvEUliE_St5arrayIPcLm2EEEEviT0_T1_,comdat
.Lfunc_end365:
	.size	_ZN2at6native29vectorized_elementwise_kernelILi2EZZZNS0_21clamp_min_kernel_cudaERNS_18TensorIteratorBaseERKN3c106ScalarEENKUlvE_clEvENKUlvE1_clEvEUliE_St5arrayIPcLm2EEEEviT0_T1_, .Lfunc_end365-_ZN2at6native29vectorized_elementwise_kernelILi2EZZZNS0_21clamp_min_kernel_cudaERNS_18TensorIteratorBaseERKN3c106ScalarEENKUlvE_clEvENKUlvE1_clEvEUliE_St5arrayIPcLm2EEEEviT0_T1_
                                        ; -- End function
	.section	.AMDGPU.csdata,"",@progbits
; Kernel info:
; codeLenInByte = 848
; NumSgprs: 18
; NumVgprs: 10
; ScratchSize: 0
; MemoryBound: 0
; FloatMode: 240
; IeeeMode: 1
; LDSByteSize: 0 bytes/workgroup (compile time only)
; SGPRBlocks: 2
; VGPRBlocks: 1
; NumSGPRsForWavesPerEU: 18
; NumVGPRsForWavesPerEU: 10
; Occupancy: 16
; WaveLimiterHint : 1
; COMPUTE_PGM_RSRC2:SCRATCH_EN: 0
; COMPUTE_PGM_RSRC2:USER_SGPR: 15
; COMPUTE_PGM_RSRC2:TRAP_HANDLER: 0
; COMPUTE_PGM_RSRC2:TGID_X_EN: 1
; COMPUTE_PGM_RSRC2:TGID_Y_EN: 0
; COMPUTE_PGM_RSRC2:TGID_Z_EN: 0
; COMPUTE_PGM_RSRC2:TIDIG_COMP_CNT: 0
	.section	.text._ZN2at6native27unrolled_elementwise_kernelIZZZNS0_21clamp_min_kernel_cudaERNS_18TensorIteratorBaseERKN3c106ScalarEENKUlvE_clEvENKUlvE1_clEvEUliE_St5arrayIPcLm2EELi4E23TrivialOffsetCalculatorILi1EjESF_NS0_6memory15LoadWithoutCastENSG_16StoreWithoutCastEEEviT_T0_T2_T3_T4_T5_,"axG",@progbits,_ZN2at6native27unrolled_elementwise_kernelIZZZNS0_21clamp_min_kernel_cudaERNS_18TensorIteratorBaseERKN3c106ScalarEENKUlvE_clEvENKUlvE1_clEvEUliE_St5arrayIPcLm2EELi4E23TrivialOffsetCalculatorILi1EjESF_NS0_6memory15LoadWithoutCastENSG_16StoreWithoutCastEEEviT_T0_T2_T3_T4_T5_,comdat
	.globl	_ZN2at6native27unrolled_elementwise_kernelIZZZNS0_21clamp_min_kernel_cudaERNS_18TensorIteratorBaseERKN3c106ScalarEENKUlvE_clEvENKUlvE1_clEvEUliE_St5arrayIPcLm2EELi4E23TrivialOffsetCalculatorILi1EjESF_NS0_6memory15LoadWithoutCastENSG_16StoreWithoutCastEEEviT_T0_T2_T3_T4_T5_ ; -- Begin function _ZN2at6native27unrolled_elementwise_kernelIZZZNS0_21clamp_min_kernel_cudaERNS_18TensorIteratorBaseERKN3c106ScalarEENKUlvE_clEvENKUlvE1_clEvEUliE_St5arrayIPcLm2EELi4E23TrivialOffsetCalculatorILi1EjESF_NS0_6memory15LoadWithoutCastENSG_16StoreWithoutCastEEEviT_T0_T2_T3_T4_T5_
	.p2align	8
	.type	_ZN2at6native27unrolled_elementwise_kernelIZZZNS0_21clamp_min_kernel_cudaERNS_18TensorIteratorBaseERKN3c106ScalarEENKUlvE_clEvENKUlvE1_clEvEUliE_St5arrayIPcLm2EELi4E23TrivialOffsetCalculatorILi1EjESF_NS0_6memory15LoadWithoutCastENSG_16StoreWithoutCastEEEviT_T0_T2_T3_T4_T5_,@function
_ZN2at6native27unrolled_elementwise_kernelIZZZNS0_21clamp_min_kernel_cudaERNS_18TensorIteratorBaseERKN3c106ScalarEENKUlvE_clEvENKUlvE1_clEvEUliE_St5arrayIPcLm2EELi4E23TrivialOffsetCalculatorILi1EjESF_NS0_6memory15LoadWithoutCastENSG_16StoreWithoutCastEEEviT_T0_T2_T3_T4_T5_: ; @_ZN2at6native27unrolled_elementwise_kernelIZZZNS0_21clamp_min_kernel_cudaERNS_18TensorIteratorBaseERKN3c106ScalarEENKUlvE_clEvENKUlvE1_clEvEUliE_St5arrayIPcLm2EELi4E23TrivialOffsetCalculatorILi1EjESF_NS0_6memory15LoadWithoutCastENSG_16StoreWithoutCastEEEviT_T0_T2_T3_T4_T5_
; %bb.0:
	s_clause 0x1
	s_load_b64 s[2:3], s[0:1], 0x0
	s_load_b128 s[4:7], s[0:1], 0x8
	s_lshl_b32 s1, s15, 10
	v_dual_mov_b32 v4, 0 :: v_dual_mov_b32 v5, v0
	v_mov_b32_e32 v2, 0
	v_or_b32_e32 v1, s1, v0
	v_or_b32_e32 v3, 0x100, v0
	s_waitcnt lgkmcnt(0)
	s_sub_i32 s2, s2, s1
	s_delay_alu instid0(SALU_CYCLE_1)
	v_cmp_gt_i32_e32 vcc_lo, s2, v0
	s_and_saveexec_b32 s8, vcc_lo
	s_cbranch_execz .LBB366_2
; %bb.1:
	v_mov_b32_e32 v2, 0
	s_delay_alu instid0(VALU_DEP_1) | instskip(NEXT) | instid1(VALU_DEP_1)
	v_lshlrev_b64 v[5:6], 2, v[1:2]
	v_add_co_u32 v5, s0, s6, v5
	s_delay_alu instid0(VALU_DEP_1)
	v_add_co_ci_u32_e64 v6, s0, s7, v6, s0
	global_load_b32 v2, v[5:6], off
	v_or_b32_e32 v5, 0x100, v0
.LBB366_2:
	s_or_b32 exec_lo, exec_lo, s8
	s_delay_alu instid0(SALU_CYCLE_1) | instskip(NEXT) | instid1(VALU_DEP_1)
	s_mov_b32 s8, exec_lo
	v_cmpx_gt_i32_e64 s2, v5
	s_cbranch_execz .LBB366_4
; %bb.3:
	v_dual_mov_b32 v7, 0 :: v_dual_add_nc_u32 v6, s1, v5
	v_add_nc_u32_e32 v5, 0x100, v5
	s_delay_alu instid0(VALU_DEP_2) | instskip(NEXT) | instid1(VALU_DEP_1)
	v_lshlrev_b64 v[6:7], 2, v[6:7]
	v_add_co_u32 v6, s0, s6, v6
	s_delay_alu instid0(VALU_DEP_1)
	v_add_co_ci_u32_e64 v7, s0, s7, v7, s0
	global_load_b32 v4, v[6:7], off
.LBB366_4:
	s_or_b32 exec_lo, exec_lo, s8
	v_dual_mov_b32 v7, 0 :: v_dual_mov_b32 v8, 0
	s_mov_b32 s8, exec_lo
	v_cmpx_gt_i32_e64 s2, v5
	s_cbranch_execz .LBB366_6
; %bb.5:
	v_dual_mov_b32 v9, 0 :: v_dual_add_nc_u32 v8, s1, v5
	v_add_nc_u32_e32 v5, 0x100, v5
	s_delay_alu instid0(VALU_DEP_2) | instskip(NEXT) | instid1(VALU_DEP_1)
	v_lshlrev_b64 v[8:9], 2, v[8:9]
	v_add_co_u32 v8, s0, s6, v8
	s_delay_alu instid0(VALU_DEP_1)
	v_add_co_ci_u32_e64 v9, s0, s7, v9, s0
	global_load_b32 v8, v[8:9], off
.LBB366_6:
	s_or_b32 exec_lo, exec_lo, s8
	s_delay_alu instid0(SALU_CYCLE_1)
	s_mov_b32 s8, exec_lo
	v_cmpx_gt_i32_e64 s2, v5
	s_cbranch_execz .LBB366_8
; %bb.7:
	v_dual_mov_b32 v6, 0 :: v_dual_add_nc_u32 v5, s1, v5
	s_delay_alu instid0(VALU_DEP_1) | instskip(NEXT) | instid1(VALU_DEP_1)
	v_lshlrev_b64 v[5:6], 2, v[5:6]
	v_add_co_u32 v5, s0, s6, v5
	s_delay_alu instid0(VALU_DEP_1)
	v_add_co_ci_u32_e64 v6, s0, s7, v6, s0
	global_load_b32 v7, v[5:6], off
.LBB366_8:
	s_or_b32 exec_lo, exec_lo, s8
	s_waitcnt vmcnt(0)
	v_max_i32_e32 v9, s3, v2
	v_max_i32_e32 v6, s3, v4
	;; [unrolled: 1-line block ×4, first 2 shown]
	s_and_saveexec_b32 s0, vcc_lo
	s_cbranch_execnz .LBB366_13
; %bb.9:
	s_or_b32 exec_lo, exec_lo, s0
	s_delay_alu instid0(SALU_CYCLE_1)
	s_mov_b32 s0, exec_lo
	v_cmpx_gt_i32_e64 s2, v0
	s_cbranch_execnz .LBB366_14
.LBB366_10:
	s_or_b32 exec_lo, exec_lo, s0
	s_delay_alu instid0(SALU_CYCLE_1)
	s_mov_b32 s0, exec_lo
	v_cmpx_gt_i32_e64 s2, v0
	s_cbranch_execnz .LBB366_15
.LBB366_11:
	s_or_b32 exec_lo, exec_lo, s0
	s_delay_alu instid0(SALU_CYCLE_1)
	s_mov_b32 s0, exec_lo
	v_cmpx_gt_i32_e64 s2, v0
	s_cbranch_execnz .LBB366_16
.LBB366_12:
	s_nop 0
	s_sendmsg sendmsg(MSG_DEALLOC_VGPRS)
	s_endpgm
.LBB366_13:
	v_mov_b32_e32 v2, 0
	s_delay_alu instid0(VALU_DEP_1) | instskip(NEXT) | instid1(VALU_DEP_1)
	v_lshlrev_b64 v[0:1], 2, v[1:2]
	v_add_co_u32 v7, vcc_lo, s4, v0
	s_delay_alu instid0(VALU_DEP_2) | instskip(SKIP_3) | instid1(SALU_CYCLE_1)
	v_add_co_ci_u32_e32 v8, vcc_lo, s5, v1, vcc_lo
	v_mov_b32_e32 v0, v3
	global_store_b32 v[7:8], v9, off
	s_or_b32 exec_lo, exec_lo, s0
	s_mov_b32 s0, exec_lo
	v_cmpx_gt_i32_e64 s2, v0
	s_cbranch_execz .LBB366_10
.LBB366_14:
	v_dual_mov_b32 v2, 0 :: v_dual_add_nc_u32 v1, s1, v0
	v_add_nc_u32_e32 v0, 0x100, v0
	s_delay_alu instid0(VALU_DEP_2) | instskip(NEXT) | instid1(VALU_DEP_1)
	v_lshlrev_b64 v[1:2], 2, v[1:2]
	v_add_co_u32 v1, vcc_lo, s4, v1
	s_delay_alu instid0(VALU_DEP_2) | instskip(SKIP_2) | instid1(SALU_CYCLE_1)
	v_add_co_ci_u32_e32 v2, vcc_lo, s5, v2, vcc_lo
	global_store_b32 v[1:2], v6, off
	s_or_b32 exec_lo, exec_lo, s0
	s_mov_b32 s0, exec_lo
	v_cmpx_gt_i32_e64 s2, v0
	s_cbranch_execz .LBB366_11
.LBB366_15:
	v_dual_mov_b32 v2, 0 :: v_dual_add_nc_u32 v1, s1, v0
	v_add_nc_u32_e32 v0, 0x100, v0
	s_delay_alu instid0(VALU_DEP_2) | instskip(NEXT) | instid1(VALU_DEP_1)
	v_lshlrev_b64 v[1:2], 2, v[1:2]
	v_add_co_u32 v1, vcc_lo, s4, v1
	s_delay_alu instid0(VALU_DEP_2) | instskip(SKIP_2) | instid1(SALU_CYCLE_1)
	v_add_co_ci_u32_e32 v2, vcc_lo, s5, v2, vcc_lo
	global_store_b32 v[1:2], v5, off
	s_or_b32 exec_lo, exec_lo, s0
	s_mov_b32 s0, exec_lo
	v_cmpx_gt_i32_e64 s2, v0
	s_cbranch_execz .LBB366_12
.LBB366_16:
	v_dual_mov_b32 v1, 0 :: v_dual_add_nc_u32 v0, s1, v0
	s_delay_alu instid0(VALU_DEP_1) | instskip(NEXT) | instid1(VALU_DEP_1)
	v_lshlrev_b64 v[0:1], 2, v[0:1]
	v_add_co_u32 v0, vcc_lo, s4, v0
	s_delay_alu instid0(VALU_DEP_2)
	v_add_co_ci_u32_e32 v1, vcc_lo, s5, v1, vcc_lo
	global_store_b32 v[0:1], v4, off
	s_nop 0
	s_sendmsg sendmsg(MSG_DEALLOC_VGPRS)
	s_endpgm
	.section	.rodata,"a",@progbits
	.p2align	6, 0x0
	.amdhsa_kernel _ZN2at6native27unrolled_elementwise_kernelIZZZNS0_21clamp_min_kernel_cudaERNS_18TensorIteratorBaseERKN3c106ScalarEENKUlvE_clEvENKUlvE1_clEvEUliE_St5arrayIPcLm2EELi4E23TrivialOffsetCalculatorILi1EjESF_NS0_6memory15LoadWithoutCastENSG_16StoreWithoutCastEEEviT_T0_T2_T3_T4_T5_
		.amdhsa_group_segment_fixed_size 0
		.amdhsa_private_segment_fixed_size 0
		.amdhsa_kernarg_size 28
		.amdhsa_user_sgpr_count 15
		.amdhsa_user_sgpr_dispatch_ptr 0
		.amdhsa_user_sgpr_queue_ptr 0
		.amdhsa_user_sgpr_kernarg_segment_ptr 1
		.amdhsa_user_sgpr_dispatch_id 0
		.amdhsa_user_sgpr_private_segment_size 0
		.amdhsa_wavefront_size32 1
		.amdhsa_uses_dynamic_stack 0
		.amdhsa_enable_private_segment 0
		.amdhsa_system_sgpr_workgroup_id_x 1
		.amdhsa_system_sgpr_workgroup_id_y 0
		.amdhsa_system_sgpr_workgroup_id_z 0
		.amdhsa_system_sgpr_workgroup_info 0
		.amdhsa_system_vgpr_workitem_id 0
		.amdhsa_next_free_vgpr 10
		.amdhsa_next_free_sgpr 16
		.amdhsa_reserve_vcc 1
		.amdhsa_float_round_mode_32 0
		.amdhsa_float_round_mode_16_64 0
		.amdhsa_float_denorm_mode_32 3
		.amdhsa_float_denorm_mode_16_64 3
		.amdhsa_dx10_clamp 1
		.amdhsa_ieee_mode 1
		.amdhsa_fp16_overflow 0
		.amdhsa_workgroup_processor_mode 1
		.amdhsa_memory_ordered 1
		.amdhsa_forward_progress 0
		.amdhsa_shared_vgpr_count 0
		.amdhsa_exception_fp_ieee_invalid_op 0
		.amdhsa_exception_fp_denorm_src 0
		.amdhsa_exception_fp_ieee_div_zero 0
		.amdhsa_exception_fp_ieee_overflow 0
		.amdhsa_exception_fp_ieee_underflow 0
		.amdhsa_exception_fp_ieee_inexact 0
		.amdhsa_exception_int_div_zero 0
	.end_amdhsa_kernel
	.section	.text._ZN2at6native27unrolled_elementwise_kernelIZZZNS0_21clamp_min_kernel_cudaERNS_18TensorIteratorBaseERKN3c106ScalarEENKUlvE_clEvENKUlvE1_clEvEUliE_St5arrayIPcLm2EELi4E23TrivialOffsetCalculatorILi1EjESF_NS0_6memory15LoadWithoutCastENSG_16StoreWithoutCastEEEviT_T0_T2_T3_T4_T5_,"axG",@progbits,_ZN2at6native27unrolled_elementwise_kernelIZZZNS0_21clamp_min_kernel_cudaERNS_18TensorIteratorBaseERKN3c106ScalarEENKUlvE_clEvENKUlvE1_clEvEUliE_St5arrayIPcLm2EELi4E23TrivialOffsetCalculatorILi1EjESF_NS0_6memory15LoadWithoutCastENSG_16StoreWithoutCastEEEviT_T0_T2_T3_T4_T5_,comdat
.Lfunc_end366:
	.size	_ZN2at6native27unrolled_elementwise_kernelIZZZNS0_21clamp_min_kernel_cudaERNS_18TensorIteratorBaseERKN3c106ScalarEENKUlvE_clEvENKUlvE1_clEvEUliE_St5arrayIPcLm2EELi4E23TrivialOffsetCalculatorILi1EjESF_NS0_6memory15LoadWithoutCastENSG_16StoreWithoutCastEEEviT_T0_T2_T3_T4_T5_, .Lfunc_end366-_ZN2at6native27unrolled_elementwise_kernelIZZZNS0_21clamp_min_kernel_cudaERNS_18TensorIteratorBaseERKN3c106ScalarEENKUlvE_clEvENKUlvE1_clEvEUliE_St5arrayIPcLm2EELi4E23TrivialOffsetCalculatorILi1EjESF_NS0_6memory15LoadWithoutCastENSG_16StoreWithoutCastEEEviT_T0_T2_T3_T4_T5_
                                        ; -- End function
	.section	.AMDGPU.csdata,"",@progbits
; Kernel info:
; codeLenInByte = 740
; NumSgprs: 18
; NumVgprs: 10
; ScratchSize: 0
; MemoryBound: 0
; FloatMode: 240
; IeeeMode: 1
; LDSByteSize: 0 bytes/workgroup (compile time only)
; SGPRBlocks: 2
; VGPRBlocks: 1
; NumSGPRsForWavesPerEU: 18
; NumVGPRsForWavesPerEU: 10
; Occupancy: 16
; WaveLimiterHint : 0
; COMPUTE_PGM_RSRC2:SCRATCH_EN: 0
; COMPUTE_PGM_RSRC2:USER_SGPR: 15
; COMPUTE_PGM_RSRC2:TRAP_HANDLER: 0
; COMPUTE_PGM_RSRC2:TGID_X_EN: 1
; COMPUTE_PGM_RSRC2:TGID_Y_EN: 0
; COMPUTE_PGM_RSRC2:TGID_Z_EN: 0
; COMPUTE_PGM_RSRC2:TIDIG_COMP_CNT: 0
	.section	.text._ZN2at6native32elementwise_kernel_manual_unrollILi128ELi4EZNS0_22gpu_kernel_impl_nocastIZZZNS0_21clamp_min_kernel_cudaERNS_18TensorIteratorBaseERKN3c106ScalarEENKUlvE_clEvENKUlvE1_clEvEUliE_EEvS4_RKT_EUlibE_EEviT1_,"axG",@progbits,_ZN2at6native32elementwise_kernel_manual_unrollILi128ELi4EZNS0_22gpu_kernel_impl_nocastIZZZNS0_21clamp_min_kernel_cudaERNS_18TensorIteratorBaseERKN3c106ScalarEENKUlvE_clEvENKUlvE1_clEvEUliE_EEvS4_RKT_EUlibE_EEviT1_,comdat
	.globl	_ZN2at6native32elementwise_kernel_manual_unrollILi128ELi4EZNS0_22gpu_kernel_impl_nocastIZZZNS0_21clamp_min_kernel_cudaERNS_18TensorIteratorBaseERKN3c106ScalarEENKUlvE_clEvENKUlvE1_clEvEUliE_EEvS4_RKT_EUlibE_EEviT1_ ; -- Begin function _ZN2at6native32elementwise_kernel_manual_unrollILi128ELi4EZNS0_22gpu_kernel_impl_nocastIZZZNS0_21clamp_min_kernel_cudaERNS_18TensorIteratorBaseERKN3c106ScalarEENKUlvE_clEvENKUlvE1_clEvEUliE_EEvS4_RKT_EUlibE_EEviT1_
	.p2align	8
	.type	_ZN2at6native32elementwise_kernel_manual_unrollILi128ELi4EZNS0_22gpu_kernel_impl_nocastIZZZNS0_21clamp_min_kernel_cudaERNS_18TensorIteratorBaseERKN3c106ScalarEENKUlvE_clEvENKUlvE1_clEvEUliE_EEvS4_RKT_EUlibE_EEviT1_,@function
_ZN2at6native32elementwise_kernel_manual_unrollILi128ELi4EZNS0_22gpu_kernel_impl_nocastIZZZNS0_21clamp_min_kernel_cudaERNS_18TensorIteratorBaseERKN3c106ScalarEENKUlvE_clEvENKUlvE1_clEvEUliE_EEvS4_RKT_EUlibE_EEviT1_: ; @_ZN2at6native32elementwise_kernel_manual_unrollILi128ELi4EZNS0_22gpu_kernel_impl_nocastIZZZNS0_21clamp_min_kernel_cudaERNS_18TensorIteratorBaseERKN3c106ScalarEENKUlvE_clEvENKUlvE1_clEvEUliE_EEvS4_RKT_EUlibE_EEviT1_
; %bb.0:
	s_clause 0x1
	s_load_b32 s22, s[0:1], 0x8
	s_load_b32 s28, s[0:1], 0x0
	v_lshl_or_b32 v4, s15, 9, v0
	s_or_b32 s0, s0, 8
	s_mov_b32 s2, exec_lo
	s_delay_alu instid0(VALU_DEP_1) | instskip(SKIP_2) | instid1(SALU_CYCLE_1)
	v_or_b32_e32 v8, 0x180, v4
	s_waitcnt lgkmcnt(0)
	s_add_i32 s23, s22, -1
	s_cmp_gt_u32 s23, 1
	s_cselect_b32 s24, -1, 0
	v_cmpx_le_i32_e64 s28, v8
	s_xor_b32 s25, exec_lo, s2
	s_cbranch_execz .LBB367_7
; %bb.1:
	s_clause 0x4
	s_load_b128 s[12:15], s[0:1], 0x4
	s_load_b64 s[2:3], s[0:1], 0x14
	s_load_b128 s[8:11], s[0:1], 0xc4
	s_load_b128 s[4:7], s[0:1], 0x148
	s_load_b32 s26, s[0:1], 0x158
	s_cmp_lg_u32 s22, 0
	s_mov_b32 s31, exec_lo
	s_cselect_b32 s30, -1, 0
	s_add_u32 s16, s0, 0xc4
	s_addc_u32 s17, s1, 0
	s_min_u32 s29, s23, 15
	s_cmp_gt_u32 s22, 1
	s_cselect_b32 s27, -1, 0
	v_cmpx_gt_i32_e64 s28, v4
	s_cbranch_execz .LBB367_14
; %bb.2:
	s_and_not1_b32 vcc_lo, exec_lo, s24
	s_cbranch_vccnz .LBB367_21
; %bb.3:
	v_dual_mov_b32 v0, 0 :: v_dual_mov_b32 v1, 0
	s_and_not1_b32 vcc_lo, exec_lo, s30
	s_mov_b32 s33, 0
	s_cbranch_vccnz .LBB367_73
; %bb.4:
	v_mov_b32_e32 v0, 0
	s_add_i32 s35, s29, 1
	s_cmp_eq_u32 s23, 2
	s_mov_b32 s34, 0
	s_cbranch_scc1 .LBB367_69
; %bb.5:
	v_dual_mov_b32 v1, 0 :: v_dual_mov_b32 v0, 0
	v_mov_b32_e32 v2, v4
	s_and_b32 s34, s35, 28
	s_mov_b32 s36, 0
	s_mov_b64 s[18:19], s[16:17]
	s_mov_b64 s[20:21], s[0:1]
.LBB367_6:                              ; =>This Inner Loop Header: Depth=1
	s_clause 0x1
	s_load_b256 s[40:47], s[20:21], 0x4
	s_load_b128 s[56:59], s[20:21], 0x24
	s_load_b256 s[48:55], s[18:19], 0x0
	s_add_u32 s20, s20, 48
	s_addc_u32 s21, s21, 0
	s_add_i32 s36, s36, 4
	s_add_u32 s18, s18, 32
	s_addc_u32 s19, s19, 0
	s_cmp_lg_u32 s34, s36
	s_waitcnt lgkmcnt(0)
	v_mul_hi_u32 v3, s41, v2
	s_delay_alu instid0(VALU_DEP_1) | instskip(NEXT) | instid1(VALU_DEP_1)
	v_add_nc_u32_e32 v3, v2, v3
	v_lshrrev_b32_e32 v3, s42, v3
	s_delay_alu instid0(VALU_DEP_1) | instskip(SKIP_1) | instid1(VALU_DEP_2)
	v_mul_hi_u32 v5, s44, v3
	v_mul_lo_u32 v7, v3, s40
	v_add_nc_u32_e32 v5, v3, v5
	s_delay_alu instid0(VALU_DEP_2) | instskip(NEXT) | instid1(VALU_DEP_2)
	v_sub_nc_u32_e32 v2, v2, v7
	v_lshrrev_b32_e32 v5, s45, v5
	s_delay_alu instid0(VALU_DEP_2) | instskip(SKIP_1) | instid1(VALU_DEP_3)
	v_mul_lo_u32 v7, v2, s48
	v_mul_lo_u32 v9, v2, s49
	v_mul_hi_u32 v6, s47, v5
	s_delay_alu instid0(VALU_DEP_1) | instskip(NEXT) | instid1(VALU_DEP_1)
	v_add_nc_u32_e32 v6, v5, v6
	v_lshrrev_b32_e32 v6, s56, v6
	s_delay_alu instid0(VALU_DEP_1) | instskip(SKIP_1) | instid1(VALU_DEP_2)
	v_mul_hi_u32 v8, s58, v6
	v_mul_lo_u32 v10, v6, s46
	v_add_nc_u32_e32 v2, v6, v8
	v_mul_lo_u32 v8, v5, s43
	s_delay_alu instid0(VALU_DEP_3) | instskip(NEXT) | instid1(VALU_DEP_3)
	v_sub_nc_u32_e32 v5, v5, v10
	v_lshrrev_b32_e32 v2, s59, v2
	s_delay_alu instid0(VALU_DEP_2) | instskip(SKIP_2) | instid1(VALU_DEP_4)
	v_mul_lo_u32 v10, v5, s52
	v_mul_lo_u32 v5, v5, s53
	v_sub_nc_u32_e32 v3, v3, v8
	v_mul_lo_u32 v11, v2, s57
	s_delay_alu instid0(VALU_DEP_2) | instskip(SKIP_1) | instid1(VALU_DEP_3)
	v_mul_lo_u32 v8, v3, s50
	v_mul_lo_u32 v3, v3, s51
	v_sub_nc_u32_e32 v6, v6, v11
	s_delay_alu instid0(VALU_DEP_3) | instskip(NEXT) | instid1(VALU_DEP_2)
	v_add3_u32 v0, v7, v0, v8
	v_mul_lo_u32 v11, v6, s54
	v_mul_lo_u32 v6, v6, s55
	v_add3_u32 v1, v9, v1, v3
	s_delay_alu instid0(VALU_DEP_3) | instskip(NEXT) | instid1(VALU_DEP_2)
	v_add3_u32 v0, v10, v0, v11
	v_add3_u32 v1, v5, v1, v6
	s_cbranch_scc1 .LBB367_6
	s_branch .LBB367_70
.LBB367_7:
	s_and_not1_saveexec_b32 s2, s25
	s_cbranch_execz .LBB367_94
.LBB367_8:
	v_cndmask_b32_e64 v6, 0, 1, s24
	s_and_not1_b32 vcc_lo, exec_lo, s24
	s_cbranch_vccnz .LBB367_20
; %bb.9:
	v_dual_mov_b32 v0, 0 :: v_dual_mov_b32 v1, 0
	s_cmp_lg_u32 s22, 0
	s_mov_b32 s6, 0
	s_cbranch_scc0 .LBB367_26
; %bb.10:
	s_min_u32 s7, s23, 15
	v_mov_b32_e32 v0, 0
	s_add_i32 s7, s7, 1
	s_cmp_eq_u32 s23, 2
	s_mov_b32 s8, 0
	s_cbranch_scc1 .LBB367_23
; %bb.11:
	v_dual_mov_b32 v1, 0 :: v_dual_mov_b32 v0, 0
	v_mov_b32_e32 v2, v4
	s_add_u32 s2, s0, 0xc4
	s_addc_u32 s3, s1, 0
	s_and_b32 s8, s7, 28
	s_mov_b32 s9, 0
	s_mov_b64 s[4:5], s[0:1]
.LBB367_12:                             ; =>This Inner Loop Header: Depth=1
	s_clause 0x1
	s_load_b256 s[12:19], s[4:5], 0x4
	s_load_b128 s[36:39], s[4:5], 0x24
	s_load_b256 s[24:31], s[2:3], 0x0
	s_add_u32 s4, s4, 48
	s_addc_u32 s5, s5, 0
	s_add_i32 s9, s9, 4
	s_add_u32 s2, s2, 32
	s_addc_u32 s3, s3, 0
	s_cmp_lg_u32 s8, s9
	s_waitcnt lgkmcnt(0)
	v_mul_hi_u32 v3, s13, v2
	s_delay_alu instid0(VALU_DEP_1) | instskip(NEXT) | instid1(VALU_DEP_1)
	v_add_nc_u32_e32 v3, v2, v3
	v_lshrrev_b32_e32 v3, s14, v3
	s_delay_alu instid0(VALU_DEP_1) | instskip(SKIP_1) | instid1(VALU_DEP_2)
	v_mul_hi_u32 v5, s16, v3
	v_mul_lo_u32 v9, v3, s12
	v_add_nc_u32_e32 v5, v3, v5
	s_delay_alu instid0(VALU_DEP_2) | instskip(NEXT) | instid1(VALU_DEP_2)
	v_sub_nc_u32_e32 v2, v2, v9
	v_lshrrev_b32_e32 v5, s17, v5
	s_delay_alu instid0(VALU_DEP_2) | instskip(SKIP_1) | instid1(VALU_DEP_3)
	v_mul_lo_u32 v9, v2, s24
	v_mul_lo_u32 v11, v2, s25
	v_mul_hi_u32 v7, s19, v5
	s_delay_alu instid0(VALU_DEP_1) | instskip(NEXT) | instid1(VALU_DEP_1)
	v_add_nc_u32_e32 v7, v5, v7
	v_lshrrev_b32_e32 v7, s36, v7
	s_delay_alu instid0(VALU_DEP_1) | instskip(SKIP_1) | instid1(VALU_DEP_2)
	v_mul_hi_u32 v10, s38, v7
	v_mul_lo_u32 v12, v7, s18
	v_add_nc_u32_e32 v2, v7, v10
	v_mul_lo_u32 v10, v5, s15
	s_delay_alu instid0(VALU_DEP_3) | instskip(NEXT) | instid1(VALU_DEP_3)
	v_sub_nc_u32_e32 v5, v5, v12
	v_lshrrev_b32_e32 v2, s39, v2
	s_delay_alu instid0(VALU_DEP_2) | instskip(SKIP_2) | instid1(VALU_DEP_4)
	v_mul_lo_u32 v12, v5, s28
	v_mul_lo_u32 v5, v5, s29
	v_sub_nc_u32_e32 v3, v3, v10
	v_mul_lo_u32 v13, v2, s37
	s_delay_alu instid0(VALU_DEP_2) | instskip(SKIP_1) | instid1(VALU_DEP_3)
	v_mul_lo_u32 v10, v3, s26
	v_mul_lo_u32 v3, v3, s27
	v_sub_nc_u32_e32 v7, v7, v13
	s_delay_alu instid0(VALU_DEP_3) | instskip(NEXT) | instid1(VALU_DEP_2)
	v_add3_u32 v0, v9, v0, v10
	v_mul_lo_u32 v13, v7, s30
	v_mul_lo_u32 v7, v7, s31
	v_add3_u32 v1, v11, v1, v3
	s_delay_alu instid0(VALU_DEP_3) | instskip(NEXT) | instid1(VALU_DEP_2)
	v_add3_u32 v0, v12, v0, v13
	v_add3_u32 v1, v5, v1, v7
	s_cbranch_scc1 .LBB367_12
; %bb.13:
	s_and_b32 s7, s7, 3
	s_delay_alu instid0(SALU_CYCLE_1)
	s_cmp_eq_u32 s7, 0
	s_cbranch_scc0 .LBB367_24
	s_branch .LBB367_26
.LBB367_14:
	s_or_b32 exec_lo, exec_lo, s31
	s_delay_alu instid0(SALU_CYCLE_1)
	s_mov_b32 s31, exec_lo
	v_cmpx_gt_i32_e64 s28, v4
	s_cbranch_execz .LBB367_77
.LBB367_15:
	s_and_not1_b32 vcc_lo, exec_lo, s24
	s_cbranch_vccnz .LBB367_22
; %bb.16:
	v_dual_mov_b32 v0, 0 :: v_dual_mov_b32 v1, 0
	s_and_not1_b32 vcc_lo, exec_lo, s30
	s_mov_b32 s33, 0
	s_cbranch_vccnz .LBB367_88
; %bb.17:
	v_mov_b32_e32 v0, 0
	s_add_i32 s35, s29, 1
	s_cmp_eq_u32 s23, 2
	s_mov_b32 s34, 0
	s_cbranch_scc1 .LBB367_84
; %bb.18:
	v_dual_mov_b32 v1, 0 :: v_dual_mov_b32 v0, 0
	v_mov_b32_e32 v2, v4
	s_and_b32 s34, s35, 28
	s_mov_b32 s36, 0
	s_mov_b64 s[18:19], s[16:17]
	s_mov_b64 s[20:21], s[0:1]
.LBB367_19:                             ; =>This Inner Loop Header: Depth=1
	s_clause 0x1
	s_load_b256 s[40:47], s[20:21], 0x4
	s_load_b128 s[56:59], s[20:21], 0x24
	s_load_b256 s[48:55], s[18:19], 0x0
	s_add_u32 s20, s20, 48
	s_addc_u32 s21, s21, 0
	s_add_i32 s36, s36, 4
	s_add_u32 s18, s18, 32
	s_addc_u32 s19, s19, 0
	s_cmp_eq_u32 s34, s36
	s_waitcnt lgkmcnt(0)
	v_mul_hi_u32 v3, s41, v2
	s_delay_alu instid0(VALU_DEP_1) | instskip(NEXT) | instid1(VALU_DEP_1)
	v_add_nc_u32_e32 v3, v2, v3
	v_lshrrev_b32_e32 v3, s42, v3
	s_delay_alu instid0(VALU_DEP_1) | instskip(SKIP_1) | instid1(VALU_DEP_2)
	v_mul_hi_u32 v5, s44, v3
	v_mul_lo_u32 v7, v3, s40
	v_add_nc_u32_e32 v5, v3, v5
	s_delay_alu instid0(VALU_DEP_2) | instskip(NEXT) | instid1(VALU_DEP_2)
	v_sub_nc_u32_e32 v2, v2, v7
	v_lshrrev_b32_e32 v5, s45, v5
	s_delay_alu instid0(VALU_DEP_2) | instskip(SKIP_1) | instid1(VALU_DEP_3)
	v_mul_lo_u32 v7, v2, s48
	v_mul_lo_u32 v9, v2, s49
	v_mul_hi_u32 v6, s47, v5
	s_delay_alu instid0(VALU_DEP_1) | instskip(NEXT) | instid1(VALU_DEP_1)
	v_add_nc_u32_e32 v6, v5, v6
	v_lshrrev_b32_e32 v6, s56, v6
	s_delay_alu instid0(VALU_DEP_1) | instskip(SKIP_1) | instid1(VALU_DEP_2)
	v_mul_hi_u32 v8, s58, v6
	v_mul_lo_u32 v10, v6, s46
	v_add_nc_u32_e32 v2, v6, v8
	v_mul_lo_u32 v8, v5, s43
	s_delay_alu instid0(VALU_DEP_3) | instskip(NEXT) | instid1(VALU_DEP_3)
	v_sub_nc_u32_e32 v5, v5, v10
	v_lshrrev_b32_e32 v2, s59, v2
	s_delay_alu instid0(VALU_DEP_2) | instskip(SKIP_2) | instid1(VALU_DEP_4)
	v_mul_lo_u32 v10, v5, s52
	v_mul_lo_u32 v5, v5, s53
	v_sub_nc_u32_e32 v3, v3, v8
	v_mul_lo_u32 v11, v2, s57
	s_delay_alu instid0(VALU_DEP_2) | instskip(SKIP_1) | instid1(VALU_DEP_3)
	v_mul_lo_u32 v8, v3, s50
	v_mul_lo_u32 v3, v3, s51
	v_sub_nc_u32_e32 v6, v6, v11
	s_delay_alu instid0(VALU_DEP_3) | instskip(NEXT) | instid1(VALU_DEP_2)
	v_add3_u32 v0, v7, v0, v8
	v_mul_lo_u32 v11, v6, s54
	v_mul_lo_u32 v6, v6, s55
	v_add3_u32 v1, v9, v1, v3
	s_delay_alu instid0(VALU_DEP_3) | instskip(NEXT) | instid1(VALU_DEP_2)
	v_add3_u32 v0, v10, v0, v11
	v_add3_u32 v1, v5, v1, v6
	s_cbranch_scc0 .LBB367_19
	s_branch .LBB367_85
.LBB367_20:
	s_mov_b32 s6, -1
                                        ; implicit-def: $vgpr0
                                        ; implicit-def: $vgpr1
	s_branch .LBB367_26
.LBB367_21:
	s_mov_b32 s33, -1
                                        ; implicit-def: $vgpr0
                                        ; implicit-def: $vgpr1
	s_branch .LBB367_73
.LBB367_22:
	s_mov_b32 s33, -1
                                        ; implicit-def: $vgpr0
                                        ; implicit-def: $vgpr1
	s_branch .LBB367_88
.LBB367_23:
	v_dual_mov_b32 v2, v4 :: v_dual_mov_b32 v1, 0
	s_and_b32 s7, s7, 3
	s_delay_alu instid0(SALU_CYCLE_1)
	s_cmp_eq_u32 s7, 0
	s_cbranch_scc1 .LBB367_26
.LBB367_24:
	s_lshl_b32 s2, s8, 3
	s_mul_i32 s4, s8, 12
	s_add_u32 s2, s2, s0
	s_addc_u32 s3, 0, s1
	s_add_u32 s2, s2, 0xc4
	s_addc_u32 s3, s3, 0
	;; [unrolled: 2-line block ×3, first 2 shown]
	.p2align	6
.LBB367_25:                             ; =>This Inner Loop Header: Depth=1
	s_clause 0x1
	s_load_b64 s[8:9], s[4:5], 0x4
	s_load_b32 s12, s[4:5], 0xc
	s_load_b64 s[10:11], s[2:3], 0x0
	s_add_u32 s4, s4, 12
	s_addc_u32 s5, s5, 0
	s_add_u32 s2, s2, 8
	s_addc_u32 s3, s3, 0
	s_add_i32 s7, s7, -1
	s_delay_alu instid0(SALU_CYCLE_1) | instskip(SKIP_2) | instid1(VALU_DEP_1)
	s_cmp_lg_u32 s7, 0
	s_waitcnt lgkmcnt(0)
	v_mul_hi_u32 v3, s9, v2
	v_add_nc_u32_e32 v3, v2, v3
	s_delay_alu instid0(VALU_DEP_1) | instskip(NEXT) | instid1(VALU_DEP_1)
	v_lshrrev_b32_e32 v3, s12, v3
	v_mul_lo_u32 v5, v3, s8
	s_delay_alu instid0(VALU_DEP_1) | instskip(NEXT) | instid1(VALU_DEP_1)
	v_sub_nc_u32_e32 v2, v2, v5
	v_mad_u64_u32 v[9:10], null, v2, s10, v[0:1]
	v_mad_u64_u32 v[10:11], null, v2, s11, v[1:2]
	v_mov_b32_e32 v2, v3
	s_delay_alu instid0(VALU_DEP_2)
	v_dual_mov_b32 v0, v9 :: v_dual_mov_b32 v1, v10
	s_cbranch_scc1 .LBB367_25
.LBB367_26:
	s_and_not1_b32 vcc_lo, exec_lo, s6
	s_cbranch_vccnz .LBB367_29
; %bb.27:
	s_clause 0x1
	s_load_b128 s[4:7], s[0:1], 0x4
	s_load_b64 s[2:3], s[0:1], 0xc4
	s_cmp_lt_u32 s22, 2
	s_waitcnt lgkmcnt(0)
	v_mul_hi_u32 v0, s5, v4
	s_delay_alu instid0(VALU_DEP_1) | instskip(NEXT) | instid1(VALU_DEP_1)
	v_add_nc_u32_e32 v0, v4, v0
	v_lshrrev_b32_e32 v2, s6, v0
	s_delay_alu instid0(VALU_DEP_1) | instskip(NEXT) | instid1(VALU_DEP_1)
	v_mul_lo_u32 v0, v2, s4
	v_sub_nc_u32_e32 v1, v4, v0
	s_delay_alu instid0(VALU_DEP_1)
	v_mul_lo_u32 v0, v1, s2
	v_mul_lo_u32 v1, v1, s3
	s_cbranch_scc1 .LBB367_29
; %bb.28:
	s_clause 0x1
	s_load_b128 s[4:7], s[0:1], 0x10
	s_load_b64 s[2:3], s[0:1], 0xcc
	s_waitcnt lgkmcnt(0)
	v_mul_hi_u32 v3, s5, v2
	s_delay_alu instid0(VALU_DEP_1) | instskip(NEXT) | instid1(VALU_DEP_1)
	v_add_nc_u32_e32 v3, v2, v3
	v_lshrrev_b32_e32 v3, s6, v3
	s_delay_alu instid0(VALU_DEP_1) | instskip(NEXT) | instid1(VALU_DEP_1)
	v_mul_lo_u32 v3, v3, s4
	v_sub_nc_u32_e32 v5, v2, v3
	s_delay_alu instid0(VALU_DEP_1) | instskip(NEXT) | instid1(VALU_DEP_1)
	v_mad_u64_u32 v[2:3], null, v5, s2, v[0:1]
	v_mad_u64_u32 v[9:10], null, v5, s3, v[1:2]
	s_delay_alu instid0(VALU_DEP_1)
	v_dual_mov_b32 v0, v2 :: v_dual_mov_b32 v1, v9
.LBB367_29:
	v_cmp_ne_u32_e32 vcc_lo, 1, v6
	v_add_nc_u32_e32 v5, 0x80, v4
	s_cbranch_vccnz .LBB367_35
; %bb.30:
	v_dual_mov_b32 v2, 0 :: v_dual_mov_b32 v3, 0
	s_cmp_lg_u32 s22, 0
	s_mov_b32 s6, 0
	s_cbranch_scc0 .LBB367_39
; %bb.31:
	s_min_u32 s7, s23, 15
	v_mov_b32_e32 v2, 0
	s_add_i32 s7, s7, 1
	s_cmp_eq_u32 s23, 2
	s_mov_b32 s8, 0
	s_cbranch_scc1 .LBB367_36
; %bb.32:
	v_dual_mov_b32 v3, 0 :: v_dual_mov_b32 v2, 0
	v_mov_b32_e32 v7, v5
	s_add_u32 s2, s0, 0xc4
	s_addc_u32 s3, s1, 0
	s_and_b32 s8, s7, 28
	s_mov_b32 s9, 0
	s_mov_b64 s[4:5], s[0:1]
.LBB367_33:                             ; =>This Inner Loop Header: Depth=1
	s_clause 0x1
	s_load_b256 s[12:19], s[4:5], 0x4
	s_load_b128 s[36:39], s[4:5], 0x24
	s_load_b256 s[24:31], s[2:3], 0x0
	s_add_u32 s4, s4, 48
	s_addc_u32 s5, s5, 0
	s_add_i32 s9, s9, 4
	s_add_u32 s2, s2, 32
	s_addc_u32 s3, s3, 0
	s_cmp_lg_u32 s8, s9
	s_waitcnt lgkmcnt(0)
	v_mul_hi_u32 v9, s13, v7
	s_delay_alu instid0(VALU_DEP_1) | instskip(NEXT) | instid1(VALU_DEP_1)
	v_add_nc_u32_e32 v9, v7, v9
	v_lshrrev_b32_e32 v9, s14, v9
	s_delay_alu instid0(VALU_DEP_1) | instskip(SKIP_1) | instid1(VALU_DEP_2)
	v_mul_hi_u32 v10, s16, v9
	v_mul_lo_u32 v12, v9, s12
	v_add_nc_u32_e32 v10, v9, v10
	s_delay_alu instid0(VALU_DEP_2) | instskip(NEXT) | instid1(VALU_DEP_2)
	v_sub_nc_u32_e32 v7, v7, v12
	v_lshrrev_b32_e32 v10, s17, v10
	s_delay_alu instid0(VALU_DEP_2) | instskip(SKIP_1) | instid1(VALU_DEP_3)
	v_mul_lo_u32 v12, v7, s24
	v_mul_lo_u32 v14, v7, s25
	v_mul_hi_u32 v11, s19, v10
	s_delay_alu instid0(VALU_DEP_1) | instskip(NEXT) | instid1(VALU_DEP_1)
	v_add_nc_u32_e32 v11, v10, v11
	v_lshrrev_b32_e32 v11, s36, v11
	s_delay_alu instid0(VALU_DEP_1) | instskip(SKIP_1) | instid1(VALU_DEP_2)
	v_mul_hi_u32 v13, s38, v11
	v_mul_lo_u32 v15, v11, s18
	v_add_nc_u32_e32 v7, v11, v13
	v_mul_lo_u32 v13, v10, s15
	s_delay_alu instid0(VALU_DEP_3) | instskip(NEXT) | instid1(VALU_DEP_3)
	v_sub_nc_u32_e32 v10, v10, v15
	v_lshrrev_b32_e32 v7, s39, v7
	s_delay_alu instid0(VALU_DEP_2) | instskip(SKIP_2) | instid1(VALU_DEP_4)
	v_mul_lo_u32 v15, v10, s28
	v_mul_lo_u32 v10, v10, s29
	v_sub_nc_u32_e32 v9, v9, v13
	v_mul_lo_u32 v16, v7, s37
	s_delay_alu instid0(VALU_DEP_2) | instskip(SKIP_1) | instid1(VALU_DEP_3)
	v_mul_lo_u32 v13, v9, s26
	v_mul_lo_u32 v9, v9, s27
	v_sub_nc_u32_e32 v11, v11, v16
	s_delay_alu instid0(VALU_DEP_3) | instskip(NEXT) | instid1(VALU_DEP_2)
	v_add3_u32 v2, v12, v2, v13
	v_mul_lo_u32 v16, v11, s30
	v_mul_lo_u32 v11, v11, s31
	v_add3_u32 v3, v14, v3, v9
	s_delay_alu instid0(VALU_DEP_3) | instskip(NEXT) | instid1(VALU_DEP_2)
	v_add3_u32 v2, v15, v2, v16
	v_add3_u32 v3, v10, v3, v11
	s_cbranch_scc1 .LBB367_33
; %bb.34:
	s_and_b32 s7, s7, 3
	s_delay_alu instid0(SALU_CYCLE_1)
	s_cmp_eq_u32 s7, 0
	s_cbranch_scc0 .LBB367_37
	s_branch .LBB367_39
.LBB367_35:
	s_mov_b32 s6, -1
                                        ; implicit-def: $vgpr2
                                        ; implicit-def: $vgpr3
	s_branch .LBB367_39
.LBB367_36:
	v_mov_b32_e32 v7, v5
	v_mov_b32_e32 v3, 0
	s_and_b32 s7, s7, 3
	s_delay_alu instid0(SALU_CYCLE_1)
	s_cmp_eq_u32 s7, 0
	s_cbranch_scc1 .LBB367_39
.LBB367_37:
	s_lshl_b32 s2, s8, 3
	s_mul_i32 s4, s8, 12
	s_add_u32 s2, s2, s0
	s_addc_u32 s3, 0, s1
	s_add_u32 s2, s2, 0xc4
	s_addc_u32 s3, s3, 0
	;; [unrolled: 2-line block ×3, first 2 shown]
	.p2align	6
.LBB367_38:                             ; =>This Inner Loop Header: Depth=1
	s_clause 0x1
	s_load_b64 s[8:9], s[4:5], 0x4
	s_load_b32 s12, s[4:5], 0xc
	s_load_b64 s[10:11], s[2:3], 0x0
	s_add_u32 s4, s4, 12
	s_addc_u32 s5, s5, 0
	s_add_u32 s2, s2, 8
	s_addc_u32 s3, s3, 0
	s_add_i32 s7, s7, -1
	s_delay_alu instid0(SALU_CYCLE_1) | instskip(SKIP_2) | instid1(VALU_DEP_1)
	s_cmp_lg_u32 s7, 0
	s_waitcnt lgkmcnt(0)
	v_mul_hi_u32 v9, s9, v7
	v_add_nc_u32_e32 v9, v7, v9
	s_delay_alu instid0(VALU_DEP_1) | instskip(NEXT) | instid1(VALU_DEP_1)
	v_lshrrev_b32_e32 v12, s12, v9
	v_mul_lo_u32 v9, v12, s8
	s_delay_alu instid0(VALU_DEP_1) | instskip(NEXT) | instid1(VALU_DEP_1)
	v_sub_nc_u32_e32 v7, v7, v9
	v_mad_u64_u32 v[9:10], null, v7, s10, v[2:3]
	v_mad_u64_u32 v[10:11], null, v7, s11, v[3:4]
	s_delay_alu instid0(VALU_DEP_2) | instskip(NEXT) | instid1(VALU_DEP_2)
	v_dual_mov_b32 v7, v12 :: v_dual_mov_b32 v2, v9
	v_mov_b32_e32 v3, v10
	s_cbranch_scc1 .LBB367_38
.LBB367_39:
	s_and_not1_b32 vcc_lo, exec_lo, s6
	s_cbranch_vccnz .LBB367_42
; %bb.40:
	s_clause 0x1
	s_load_b128 s[4:7], s[0:1], 0x4
	s_load_b64 s[2:3], s[0:1], 0xc4
	s_cmp_lt_u32 s22, 2
	s_waitcnt lgkmcnt(0)
	v_mul_hi_u32 v2, s5, v5
	s_delay_alu instid0(VALU_DEP_1) | instskip(NEXT) | instid1(VALU_DEP_1)
	v_add_nc_u32_e32 v2, v5, v2
	v_lshrrev_b32_e32 v7, s6, v2
	s_delay_alu instid0(VALU_DEP_1) | instskip(NEXT) | instid1(VALU_DEP_1)
	v_mul_lo_u32 v2, v7, s4
	v_sub_nc_u32_e32 v3, v5, v2
	s_delay_alu instid0(VALU_DEP_1)
	v_mul_lo_u32 v2, v3, s2
	v_mul_lo_u32 v3, v3, s3
	s_cbranch_scc1 .LBB367_42
; %bb.41:
	s_clause 0x1
	s_load_b128 s[4:7], s[0:1], 0x10
	s_load_b64 s[2:3], s[0:1], 0xcc
	s_waitcnt lgkmcnt(0)
	v_mul_hi_u32 v5, s5, v7
	s_delay_alu instid0(VALU_DEP_1) | instskip(NEXT) | instid1(VALU_DEP_1)
	v_add_nc_u32_e32 v5, v7, v5
	v_lshrrev_b32_e32 v5, s6, v5
	s_delay_alu instid0(VALU_DEP_1) | instskip(NEXT) | instid1(VALU_DEP_1)
	v_mul_lo_u32 v5, v5, s4
	v_sub_nc_u32_e32 v5, v7, v5
	s_delay_alu instid0(VALU_DEP_1) | instskip(SKIP_1) | instid1(VALU_DEP_1)
	v_mad_u64_u32 v[9:10], null, v5, s2, v[2:3]
	v_mad_u64_u32 v[10:11], null, v5, s3, v[3:4]
	v_dual_mov_b32 v2, v9 :: v_dual_mov_b32 v3, v10
.LBB367_42:
	v_cmp_ne_u32_e32 vcc_lo, 1, v6
	v_add_nc_u32_e32 v7, 0x100, v4
	s_cbranch_vccnz .LBB367_48
; %bb.43:
	v_dual_mov_b32 v4, 0 :: v_dual_mov_b32 v5, 0
	s_cmp_lg_u32 s22, 0
	s_mov_b32 s6, 0
	s_cbranch_scc0 .LBB367_52
; %bb.44:
	s_min_u32 s7, s23, 15
	v_mov_b32_e32 v4, 0
	s_add_i32 s7, s7, 1
	s_cmp_eq_u32 s23, 2
	s_mov_b32 s8, 0
	s_cbranch_scc1 .LBB367_49
; %bb.45:
	v_dual_mov_b32 v5, 0 :: v_dual_mov_b32 v4, 0
	v_mov_b32_e32 v9, v7
	s_add_u32 s2, s0, 0xc4
	s_addc_u32 s3, s1, 0
	s_and_b32 s8, s7, 28
	s_mov_b32 s9, 0
	s_mov_b64 s[4:5], s[0:1]
.LBB367_46:                             ; =>This Inner Loop Header: Depth=1
	s_clause 0x1
	s_load_b256 s[12:19], s[4:5], 0x4
	s_load_b128 s[36:39], s[4:5], 0x24
	s_load_b256 s[24:31], s[2:3], 0x0
	s_add_u32 s4, s4, 48
	s_addc_u32 s5, s5, 0
	s_add_i32 s9, s9, 4
	s_add_u32 s2, s2, 32
	s_addc_u32 s3, s3, 0
	s_cmp_lg_u32 s8, s9
	s_waitcnt lgkmcnt(0)
	v_mul_hi_u32 v10, s13, v9
	s_delay_alu instid0(VALU_DEP_1) | instskip(NEXT) | instid1(VALU_DEP_1)
	v_add_nc_u32_e32 v10, v9, v10
	v_lshrrev_b32_e32 v10, s14, v10
	s_delay_alu instid0(VALU_DEP_1) | instskip(SKIP_1) | instid1(VALU_DEP_2)
	v_mul_hi_u32 v11, s16, v10
	v_mul_lo_u32 v13, v10, s12
	v_add_nc_u32_e32 v11, v10, v11
	s_delay_alu instid0(VALU_DEP_2) | instskip(NEXT) | instid1(VALU_DEP_2)
	v_sub_nc_u32_e32 v9, v9, v13
	v_lshrrev_b32_e32 v11, s17, v11
	s_delay_alu instid0(VALU_DEP_2) | instskip(SKIP_1) | instid1(VALU_DEP_3)
	v_mul_lo_u32 v13, v9, s24
	v_mul_lo_u32 v15, v9, s25
	v_mul_hi_u32 v12, s19, v11
	s_delay_alu instid0(VALU_DEP_1) | instskip(NEXT) | instid1(VALU_DEP_1)
	v_add_nc_u32_e32 v12, v11, v12
	v_lshrrev_b32_e32 v12, s36, v12
	s_delay_alu instid0(VALU_DEP_1) | instskip(SKIP_1) | instid1(VALU_DEP_2)
	v_mul_hi_u32 v14, s38, v12
	v_mul_lo_u32 v16, v12, s18
	v_add_nc_u32_e32 v9, v12, v14
	v_mul_lo_u32 v14, v11, s15
	s_delay_alu instid0(VALU_DEP_3) | instskip(NEXT) | instid1(VALU_DEP_3)
	v_sub_nc_u32_e32 v11, v11, v16
	v_lshrrev_b32_e32 v9, s39, v9
	s_delay_alu instid0(VALU_DEP_2) | instskip(SKIP_2) | instid1(VALU_DEP_4)
	v_mul_lo_u32 v16, v11, s28
	v_mul_lo_u32 v11, v11, s29
	v_sub_nc_u32_e32 v10, v10, v14
	v_mul_lo_u32 v17, v9, s37
	s_delay_alu instid0(VALU_DEP_2) | instskip(SKIP_1) | instid1(VALU_DEP_3)
	v_mul_lo_u32 v14, v10, s26
	v_mul_lo_u32 v10, v10, s27
	v_sub_nc_u32_e32 v12, v12, v17
	s_delay_alu instid0(VALU_DEP_3) | instskip(NEXT) | instid1(VALU_DEP_2)
	v_add3_u32 v4, v13, v4, v14
	v_mul_lo_u32 v17, v12, s30
	v_mul_lo_u32 v12, v12, s31
	v_add3_u32 v5, v15, v5, v10
	s_delay_alu instid0(VALU_DEP_3) | instskip(NEXT) | instid1(VALU_DEP_2)
	v_add3_u32 v4, v16, v4, v17
	v_add3_u32 v5, v11, v5, v12
	s_cbranch_scc1 .LBB367_46
; %bb.47:
	s_and_b32 s7, s7, 3
	s_delay_alu instid0(SALU_CYCLE_1)
	s_cmp_eq_u32 s7, 0
	s_cbranch_scc0 .LBB367_50
	s_branch .LBB367_52
.LBB367_48:
	s_mov_b32 s6, -1
                                        ; implicit-def: $vgpr4
                                        ; implicit-def: $vgpr5
	s_branch .LBB367_52
.LBB367_49:
	v_mov_b32_e32 v9, v7
	v_mov_b32_e32 v5, 0
	s_and_b32 s7, s7, 3
	s_delay_alu instid0(SALU_CYCLE_1)
	s_cmp_eq_u32 s7, 0
	s_cbranch_scc1 .LBB367_52
.LBB367_50:
	s_lshl_b32 s2, s8, 3
	s_mul_i32 s4, s8, 12
	s_add_u32 s2, s2, s0
	s_addc_u32 s3, 0, s1
	s_add_u32 s2, s2, 0xc4
	s_addc_u32 s3, s3, 0
	;; [unrolled: 2-line block ×3, first 2 shown]
	.p2align	6
.LBB367_51:                             ; =>This Inner Loop Header: Depth=1
	s_clause 0x1
	s_load_b64 s[8:9], s[4:5], 0x4
	s_load_b32 s12, s[4:5], 0xc
	s_load_b64 s[10:11], s[2:3], 0x0
	s_add_u32 s4, s4, 12
	s_addc_u32 s5, s5, 0
	s_add_u32 s2, s2, 8
	s_addc_u32 s3, s3, 0
	s_add_i32 s7, s7, -1
	s_delay_alu instid0(SALU_CYCLE_1) | instskip(SKIP_2) | instid1(VALU_DEP_1)
	s_cmp_lg_u32 s7, 0
	s_waitcnt lgkmcnt(0)
	v_mul_hi_u32 v10, s9, v9
	v_add_nc_u32_e32 v10, v9, v10
	s_delay_alu instid0(VALU_DEP_1) | instskip(NEXT) | instid1(VALU_DEP_1)
	v_lshrrev_b32_e32 v13, s12, v10
	v_mul_lo_u32 v10, v13, s8
	s_delay_alu instid0(VALU_DEP_1) | instskip(NEXT) | instid1(VALU_DEP_1)
	v_sub_nc_u32_e32 v9, v9, v10
	v_mad_u64_u32 v[10:11], null, v9, s10, v[4:5]
	v_mad_u64_u32 v[11:12], null, v9, s11, v[5:6]
	s_delay_alu instid0(VALU_DEP_2) | instskip(NEXT) | instid1(VALU_DEP_2)
	v_dual_mov_b32 v9, v13 :: v_dual_mov_b32 v4, v10
	v_mov_b32_e32 v5, v11
	s_cbranch_scc1 .LBB367_51
.LBB367_52:
	s_and_not1_b32 vcc_lo, exec_lo, s6
	s_cbranch_vccnz .LBB367_55
; %bb.53:
	s_clause 0x1
	s_load_b128 s[4:7], s[0:1], 0x4
	s_load_b64 s[2:3], s[0:1], 0xc4
	s_cmp_lt_u32 s22, 2
	s_waitcnt lgkmcnt(0)
	v_mul_hi_u32 v4, s5, v7
	s_delay_alu instid0(VALU_DEP_1) | instskip(NEXT) | instid1(VALU_DEP_1)
	v_add_nc_u32_e32 v4, v7, v4
	v_lshrrev_b32_e32 v9, s6, v4
	s_delay_alu instid0(VALU_DEP_1) | instskip(NEXT) | instid1(VALU_DEP_1)
	v_mul_lo_u32 v4, v9, s4
	v_sub_nc_u32_e32 v5, v7, v4
	s_delay_alu instid0(VALU_DEP_1)
	v_mul_lo_u32 v4, v5, s2
	v_mul_lo_u32 v5, v5, s3
	s_cbranch_scc1 .LBB367_55
; %bb.54:
	s_clause 0x1
	s_load_b128 s[4:7], s[0:1], 0x10
	s_load_b64 s[2:3], s[0:1], 0xcc
	s_waitcnt lgkmcnt(0)
	v_mul_hi_u32 v7, s5, v9
	s_delay_alu instid0(VALU_DEP_1) | instskip(NEXT) | instid1(VALU_DEP_1)
	v_add_nc_u32_e32 v7, v9, v7
	v_lshrrev_b32_e32 v7, s6, v7
	s_delay_alu instid0(VALU_DEP_1) | instskip(NEXT) | instid1(VALU_DEP_1)
	v_mul_lo_u32 v7, v7, s4
	v_sub_nc_u32_e32 v7, v9, v7
	s_delay_alu instid0(VALU_DEP_1) | instskip(SKIP_1) | instid1(VALU_DEP_1)
	v_mad_u64_u32 v[9:10], null, v7, s2, v[4:5]
	v_mad_u64_u32 v[10:11], null, v7, s3, v[5:6]
	v_dual_mov_b32 v4, v9 :: v_dual_mov_b32 v5, v10
.LBB367_55:
	v_cmp_ne_u32_e32 vcc_lo, 1, v6
	s_cbranch_vccnz .LBB367_61
; %bb.56:
	v_dual_mov_b32 v6, 0 :: v_dual_mov_b32 v7, 0
	s_cmp_lg_u32 s22, 0
	s_mov_b32 s6, 0
	s_cbranch_scc0 .LBB367_65
; %bb.57:
	s_min_u32 s7, s23, 15
	v_mov_b32_e32 v6, 0
	s_add_i32 s7, s7, 1
	s_cmp_eq_u32 s23, 2
	s_mov_b32 s8, 0
	s_cbranch_scc1 .LBB367_62
; %bb.58:
	v_dual_mov_b32 v7, 0 :: v_dual_mov_b32 v6, 0
	v_mov_b32_e32 v9, v8
	s_add_u32 s2, s0, 0xc4
	s_addc_u32 s3, s1, 0
	s_and_b32 s8, s7, 28
	s_mov_b32 s9, 0
	s_mov_b64 s[4:5], s[0:1]
.LBB367_59:                             ; =>This Inner Loop Header: Depth=1
	s_clause 0x1
	s_load_b256 s[12:19], s[4:5], 0x4
	s_load_b128 s[36:39], s[4:5], 0x24
	s_load_b256 s[24:31], s[2:3], 0x0
	s_add_u32 s4, s4, 48
	s_addc_u32 s5, s5, 0
	s_add_i32 s9, s9, 4
	s_add_u32 s2, s2, 32
	s_addc_u32 s3, s3, 0
	s_cmp_lg_u32 s8, s9
	s_waitcnt lgkmcnt(0)
	v_mul_hi_u32 v10, s13, v9
	s_delay_alu instid0(VALU_DEP_1) | instskip(NEXT) | instid1(VALU_DEP_1)
	v_add_nc_u32_e32 v10, v9, v10
	v_lshrrev_b32_e32 v10, s14, v10
	s_delay_alu instid0(VALU_DEP_1) | instskip(SKIP_1) | instid1(VALU_DEP_2)
	v_mul_hi_u32 v11, s16, v10
	v_mul_lo_u32 v13, v10, s12
	v_add_nc_u32_e32 v11, v10, v11
	s_delay_alu instid0(VALU_DEP_2) | instskip(NEXT) | instid1(VALU_DEP_2)
	v_sub_nc_u32_e32 v9, v9, v13
	v_lshrrev_b32_e32 v11, s17, v11
	s_delay_alu instid0(VALU_DEP_2) | instskip(SKIP_1) | instid1(VALU_DEP_3)
	v_mul_lo_u32 v13, v9, s24
	v_mul_lo_u32 v15, v9, s25
	v_mul_hi_u32 v12, s19, v11
	s_delay_alu instid0(VALU_DEP_1) | instskip(NEXT) | instid1(VALU_DEP_1)
	v_add_nc_u32_e32 v12, v11, v12
	v_lshrrev_b32_e32 v12, s36, v12
	s_delay_alu instid0(VALU_DEP_1) | instskip(SKIP_1) | instid1(VALU_DEP_2)
	v_mul_hi_u32 v14, s38, v12
	v_mul_lo_u32 v16, v12, s18
	v_add_nc_u32_e32 v9, v12, v14
	v_mul_lo_u32 v14, v11, s15
	s_delay_alu instid0(VALU_DEP_3) | instskip(NEXT) | instid1(VALU_DEP_3)
	v_sub_nc_u32_e32 v11, v11, v16
	v_lshrrev_b32_e32 v9, s39, v9
	s_delay_alu instid0(VALU_DEP_2) | instskip(SKIP_2) | instid1(VALU_DEP_4)
	v_mul_lo_u32 v16, v11, s28
	v_mul_lo_u32 v11, v11, s29
	v_sub_nc_u32_e32 v10, v10, v14
	v_mul_lo_u32 v17, v9, s37
	s_delay_alu instid0(VALU_DEP_2) | instskip(SKIP_1) | instid1(VALU_DEP_3)
	v_mul_lo_u32 v14, v10, s26
	v_mul_lo_u32 v10, v10, s27
	v_sub_nc_u32_e32 v12, v12, v17
	s_delay_alu instid0(VALU_DEP_3) | instskip(NEXT) | instid1(VALU_DEP_2)
	v_add3_u32 v6, v13, v6, v14
	v_mul_lo_u32 v17, v12, s30
	v_mul_lo_u32 v12, v12, s31
	v_add3_u32 v7, v15, v7, v10
	s_delay_alu instid0(VALU_DEP_3) | instskip(NEXT) | instid1(VALU_DEP_2)
	v_add3_u32 v6, v16, v6, v17
	v_add3_u32 v7, v11, v7, v12
	s_cbranch_scc1 .LBB367_59
; %bb.60:
	s_and_b32 s7, s7, 3
	s_delay_alu instid0(SALU_CYCLE_1)
	s_cmp_eq_u32 s7, 0
	s_cbranch_scc0 .LBB367_63
	s_branch .LBB367_65
.LBB367_61:
	s_mov_b32 s6, -1
                                        ; implicit-def: $vgpr6
                                        ; implicit-def: $vgpr7
	s_branch .LBB367_65
.LBB367_62:
	v_mov_b32_e32 v9, v8
	v_mov_b32_e32 v7, 0
	s_and_b32 s7, s7, 3
	s_delay_alu instid0(SALU_CYCLE_1)
	s_cmp_eq_u32 s7, 0
	s_cbranch_scc1 .LBB367_65
.LBB367_63:
	s_lshl_b32 s2, s8, 3
	s_mul_i32 s4, s8, 12
	s_add_u32 s2, s2, s0
	s_addc_u32 s3, 0, s1
	s_add_u32 s2, s2, 0xc4
	s_addc_u32 s3, s3, 0
	;; [unrolled: 2-line block ×3, first 2 shown]
	.p2align	6
.LBB367_64:                             ; =>This Inner Loop Header: Depth=1
	s_clause 0x1
	s_load_b64 s[8:9], s[4:5], 0x4
	s_load_b32 s12, s[4:5], 0xc
	s_load_b64 s[10:11], s[2:3], 0x0
	s_add_u32 s4, s4, 12
	s_addc_u32 s5, s5, 0
	s_add_u32 s2, s2, 8
	s_addc_u32 s3, s3, 0
	s_add_i32 s7, s7, -1
	s_delay_alu instid0(SALU_CYCLE_1) | instskip(SKIP_2) | instid1(VALU_DEP_1)
	s_cmp_lg_u32 s7, 0
	s_waitcnt lgkmcnt(0)
	v_mul_hi_u32 v10, s9, v9
	v_add_nc_u32_e32 v10, v9, v10
	s_delay_alu instid0(VALU_DEP_1) | instskip(NEXT) | instid1(VALU_DEP_1)
	v_lshrrev_b32_e32 v13, s12, v10
	v_mul_lo_u32 v10, v13, s8
	s_delay_alu instid0(VALU_DEP_1) | instskip(NEXT) | instid1(VALU_DEP_1)
	v_sub_nc_u32_e32 v9, v9, v10
	v_mad_u64_u32 v[10:11], null, v9, s10, v[6:7]
	v_mad_u64_u32 v[11:12], null, v9, s11, v[7:8]
	s_delay_alu instid0(VALU_DEP_2) | instskip(NEXT) | instid1(VALU_DEP_2)
	v_dual_mov_b32 v9, v13 :: v_dual_mov_b32 v6, v10
	v_mov_b32_e32 v7, v11
	s_cbranch_scc1 .LBB367_64
.LBB367_65:
	s_and_not1_b32 vcc_lo, exec_lo, s6
	s_cbranch_vccnz .LBB367_68
; %bb.66:
	s_clause 0x1
	s_load_b128 s[4:7], s[0:1], 0x4
	s_load_b64 s[2:3], s[0:1], 0xc4
	s_cmp_lt_u32 s22, 2
	s_waitcnt lgkmcnt(0)
	v_mul_hi_u32 v6, s5, v8
	s_delay_alu instid0(VALU_DEP_1) | instskip(NEXT) | instid1(VALU_DEP_1)
	v_add_nc_u32_e32 v6, v8, v6
	v_lshrrev_b32_e32 v9, s6, v6
	s_delay_alu instid0(VALU_DEP_1) | instskip(NEXT) | instid1(VALU_DEP_1)
	v_mul_lo_u32 v6, v9, s4
	v_sub_nc_u32_e32 v7, v8, v6
	s_delay_alu instid0(VALU_DEP_1)
	v_mul_lo_u32 v6, v7, s2
	v_mul_lo_u32 v7, v7, s3
	s_cbranch_scc1 .LBB367_68
; %bb.67:
	s_clause 0x1
	s_load_b128 s[4:7], s[0:1], 0x10
	s_load_b64 s[2:3], s[0:1], 0xcc
	s_waitcnt lgkmcnt(0)
	v_mul_hi_u32 v8, s5, v9
	s_delay_alu instid0(VALU_DEP_1) | instskip(NEXT) | instid1(VALU_DEP_1)
	v_add_nc_u32_e32 v8, v9, v8
	v_lshrrev_b32_e32 v8, s6, v8
	s_delay_alu instid0(VALU_DEP_1) | instskip(NEXT) | instid1(VALU_DEP_1)
	v_mul_lo_u32 v8, v8, s4
	v_sub_nc_u32_e32 v11, v9, v8
	s_delay_alu instid0(VALU_DEP_1) | instskip(NEXT) | instid1(VALU_DEP_1)
	v_mad_u64_u32 v[8:9], null, v11, s2, v[6:7]
	v_mad_u64_u32 v[9:10], null, v11, s3, v[7:8]
	s_delay_alu instid0(VALU_DEP_1)
	v_dual_mov_b32 v6, v8 :: v_dual_mov_b32 v7, v9
.LBB367_68:
	s_clause 0x1
	s_load_b128 s[4:7], s[0:1], 0x148
	s_load_b32 s0, s[0:1], 0x158
	s_waitcnt lgkmcnt(0)
	s_clause 0x3
	global_load_b32 v1, v1, s[6:7]
	global_load_b32 v3, v3, s[6:7]
	;; [unrolled: 1-line block ×4, first 2 shown]
	s_waitcnt vmcnt(3)
	v_max_i32_e32 v1, s0, v1
	s_waitcnt vmcnt(2)
	v_max_i32_e32 v3, s0, v3
	;; [unrolled: 2-line block ×4, first 2 shown]
	s_clause 0x3
	global_store_b32 v0, v1, s[4:5]
	global_store_b32 v2, v3, s[4:5]
	;; [unrolled: 1-line block ×4, first 2 shown]
	s_nop 0
	s_sendmsg sendmsg(MSG_DEALLOC_VGPRS)
	s_endpgm
.LBB367_69:
	v_dual_mov_b32 v2, v4 :: v_dual_mov_b32 v1, 0
.LBB367_70:
	s_and_b32 s35, s35, 3
	s_delay_alu instid0(SALU_CYCLE_1)
	s_cmp_eq_u32 s35, 0
	s_cbranch_scc1 .LBB367_73
; %bb.71:
	s_lshl_b32 s18, s34, 3
	s_mul_i32 s20, s34, 12
	s_add_u32 s18, s18, s0
	s_addc_u32 s19, s1, 0
	s_add_u32 s18, s18, 0xc4
	s_addc_u32 s19, s19, 0
	;; [unrolled: 2-line block ×3, first 2 shown]
	.p2align	6
.LBB367_72:                             ; =>This Inner Loop Header: Depth=1
	s_clause 0x1
	s_load_b64 s[36:37], s[20:21], 0x4
	s_load_b32 s34, s[20:21], 0xc
	s_load_b64 s[38:39], s[18:19], 0x0
	s_add_u32 s20, s20, 12
	s_addc_u32 s21, s21, 0
	s_add_u32 s18, s18, 8
	s_addc_u32 s19, s19, 0
	s_add_i32 s35, s35, -1
	s_delay_alu instid0(SALU_CYCLE_1) | instskip(SKIP_2) | instid1(VALU_DEP_1)
	s_cmp_lg_u32 s35, 0
	s_waitcnt lgkmcnt(0)
	v_mul_hi_u32 v3, s37, v2
	v_add_nc_u32_e32 v3, v2, v3
	s_delay_alu instid0(VALU_DEP_1) | instskip(NEXT) | instid1(VALU_DEP_1)
	v_lshrrev_b32_e32 v3, s34, v3
	v_mul_lo_u32 v5, v3, s36
	s_delay_alu instid0(VALU_DEP_1) | instskip(NEXT) | instid1(VALU_DEP_1)
	v_sub_nc_u32_e32 v2, v2, v5
	v_mad_u64_u32 v[5:6], null, v2, s38, v[0:1]
	v_mad_u64_u32 v[6:7], null, v2, s39, v[1:2]
	v_mov_b32_e32 v2, v3
	s_delay_alu instid0(VALU_DEP_2)
	v_dual_mov_b32 v0, v5 :: v_dual_mov_b32 v1, v6
	s_cbranch_scc1 .LBB367_72
.LBB367_73:
	s_and_not1_b32 vcc_lo, exec_lo, s33
	s_cbranch_vccnz .LBB367_76
; %bb.74:
	s_waitcnt lgkmcnt(0)
	v_mul_hi_u32 v0, s13, v4
	s_and_not1_b32 vcc_lo, exec_lo, s27
	s_delay_alu instid0(VALU_DEP_1) | instskip(NEXT) | instid1(VALU_DEP_1)
	v_add_nc_u32_e32 v0, v4, v0
	v_lshrrev_b32_e32 v2, s14, v0
	s_delay_alu instid0(VALU_DEP_1) | instskip(NEXT) | instid1(VALU_DEP_1)
	v_mul_lo_u32 v0, v2, s12
	v_sub_nc_u32_e32 v1, v4, v0
	s_delay_alu instid0(VALU_DEP_1)
	v_mul_lo_u32 v0, v1, s8
	v_mul_lo_u32 v1, v1, s9
	s_cbranch_vccnz .LBB367_76
; %bb.75:
	v_mul_hi_u32 v3, s2, v2
	s_delay_alu instid0(VALU_DEP_1) | instskip(NEXT) | instid1(VALU_DEP_1)
	v_add_nc_u32_e32 v3, v2, v3
	v_lshrrev_b32_e32 v3, s3, v3
	s_delay_alu instid0(VALU_DEP_1) | instskip(NEXT) | instid1(VALU_DEP_1)
	v_mul_lo_u32 v3, v3, s15
	v_sub_nc_u32_e32 v7, v2, v3
	s_delay_alu instid0(VALU_DEP_1) | instskip(NEXT) | instid1(VALU_DEP_1)
	v_mad_u64_u32 v[2:3], null, v7, s10, v[0:1]
	v_mad_u64_u32 v[5:6], null, v7, s11, v[1:2]
	s_delay_alu instid0(VALU_DEP_1)
	v_dual_mov_b32 v0, v2 :: v_dual_mov_b32 v1, v5
.LBB367_76:
	s_waitcnt lgkmcnt(0)
	global_load_b32 v1, v1, s[6:7]
	v_add_nc_u32_e32 v4, 0x80, v4
	s_waitcnt vmcnt(0)
	v_max_i32_e32 v1, s26, v1
	global_store_b32 v0, v1, s[4:5]
	s_or_b32 exec_lo, exec_lo, s31
	s_delay_alu instid0(SALU_CYCLE_1)
	s_mov_b32 s31, exec_lo
	v_cmpx_gt_i32_e64 s28, v4
	s_cbranch_execnz .LBB367_15
.LBB367_77:
	s_or_b32 exec_lo, exec_lo, s31
	s_delay_alu instid0(SALU_CYCLE_1)
	s_mov_b32 s31, exec_lo
	v_cmpx_gt_i32_e64 s28, v4
	s_cbranch_execz .LBB367_92
.LBB367_78:
	s_and_not1_b32 vcc_lo, exec_lo, s24
	s_cbranch_vccnz .LBB367_83
; %bb.79:
	v_dual_mov_b32 v0, 0 :: v_dual_mov_b32 v1, 0
	s_and_not1_b32 vcc_lo, exec_lo, s30
	s_mov_b32 s33, 0
	s_cbranch_vccnz .LBB367_99
; %bb.80:
	v_mov_b32_e32 v0, 0
	s_add_i32 s35, s29, 1
	s_cmp_eq_u32 s23, 2
	s_mov_b32 s34, 0
	s_cbranch_scc1 .LBB367_95
; %bb.81:
	v_dual_mov_b32 v1, 0 :: v_dual_mov_b32 v0, 0
	v_mov_b32_e32 v2, v4
	s_and_b32 s34, s35, 28
	s_mov_b32 s36, 0
	s_mov_b64 s[18:19], s[16:17]
	s_mov_b64 s[20:21], s[0:1]
.LBB367_82:                             ; =>This Inner Loop Header: Depth=1
	s_clause 0x1
	s_load_b256 s[40:47], s[20:21], 0x4
	s_load_b128 s[56:59], s[20:21], 0x24
	s_load_b256 s[48:55], s[18:19], 0x0
	s_add_u32 s20, s20, 48
	s_addc_u32 s21, s21, 0
	s_add_i32 s36, s36, 4
	s_add_u32 s18, s18, 32
	s_addc_u32 s19, s19, 0
	s_cmp_eq_u32 s34, s36
	s_waitcnt lgkmcnt(0)
	v_mul_hi_u32 v3, s41, v2
	s_delay_alu instid0(VALU_DEP_1) | instskip(NEXT) | instid1(VALU_DEP_1)
	v_add_nc_u32_e32 v3, v2, v3
	v_lshrrev_b32_e32 v3, s42, v3
	s_delay_alu instid0(VALU_DEP_1) | instskip(SKIP_1) | instid1(VALU_DEP_2)
	v_mul_hi_u32 v5, s44, v3
	v_mul_lo_u32 v7, v3, s40
	v_add_nc_u32_e32 v5, v3, v5
	s_delay_alu instid0(VALU_DEP_2) | instskip(NEXT) | instid1(VALU_DEP_2)
	v_sub_nc_u32_e32 v2, v2, v7
	v_lshrrev_b32_e32 v5, s45, v5
	s_delay_alu instid0(VALU_DEP_2) | instskip(SKIP_1) | instid1(VALU_DEP_3)
	v_mul_lo_u32 v7, v2, s48
	v_mul_lo_u32 v9, v2, s49
	v_mul_hi_u32 v6, s47, v5
	s_delay_alu instid0(VALU_DEP_1) | instskip(NEXT) | instid1(VALU_DEP_1)
	v_add_nc_u32_e32 v6, v5, v6
	v_lshrrev_b32_e32 v6, s56, v6
	s_delay_alu instid0(VALU_DEP_1) | instskip(SKIP_1) | instid1(VALU_DEP_2)
	v_mul_hi_u32 v8, s58, v6
	v_mul_lo_u32 v10, v6, s46
	v_add_nc_u32_e32 v2, v6, v8
	v_mul_lo_u32 v8, v5, s43
	s_delay_alu instid0(VALU_DEP_3) | instskip(NEXT) | instid1(VALU_DEP_3)
	v_sub_nc_u32_e32 v5, v5, v10
	v_lshrrev_b32_e32 v2, s59, v2
	s_delay_alu instid0(VALU_DEP_2) | instskip(SKIP_2) | instid1(VALU_DEP_4)
	v_mul_lo_u32 v10, v5, s52
	v_mul_lo_u32 v5, v5, s53
	v_sub_nc_u32_e32 v3, v3, v8
	v_mul_lo_u32 v11, v2, s57
	s_delay_alu instid0(VALU_DEP_2) | instskip(SKIP_1) | instid1(VALU_DEP_3)
	v_mul_lo_u32 v8, v3, s50
	v_mul_lo_u32 v3, v3, s51
	v_sub_nc_u32_e32 v6, v6, v11
	s_delay_alu instid0(VALU_DEP_3) | instskip(NEXT) | instid1(VALU_DEP_2)
	v_add3_u32 v0, v7, v0, v8
	v_mul_lo_u32 v11, v6, s54
	v_mul_lo_u32 v6, v6, s55
	v_add3_u32 v1, v9, v1, v3
	s_delay_alu instid0(VALU_DEP_3) | instskip(NEXT) | instid1(VALU_DEP_2)
	v_add3_u32 v0, v10, v0, v11
	v_add3_u32 v1, v5, v1, v6
	s_cbranch_scc0 .LBB367_82
	s_branch .LBB367_96
.LBB367_83:
	s_mov_b32 s33, -1
                                        ; implicit-def: $vgpr0
                                        ; implicit-def: $vgpr1
	s_branch .LBB367_99
.LBB367_84:
	v_dual_mov_b32 v2, v4 :: v_dual_mov_b32 v1, 0
.LBB367_85:
	s_and_b32 s35, s35, 3
	s_delay_alu instid0(SALU_CYCLE_1)
	s_cmp_eq_u32 s35, 0
	s_cbranch_scc1 .LBB367_88
; %bb.86:
	s_lshl_b32 s18, s34, 3
	s_mul_i32 s20, s34, 12
	s_add_u32 s18, s18, s0
	s_addc_u32 s19, s1, 0
	s_add_u32 s18, s18, 0xc4
	s_addc_u32 s19, s19, 0
	;; [unrolled: 2-line block ×3, first 2 shown]
	.p2align	6
.LBB367_87:                             ; =>This Inner Loop Header: Depth=1
	s_clause 0x1
	s_load_b64 s[36:37], s[20:21], 0x4
	s_load_b32 s34, s[20:21], 0xc
	s_load_b64 s[38:39], s[18:19], 0x0
	s_add_u32 s20, s20, 12
	s_addc_u32 s21, s21, 0
	s_add_u32 s18, s18, 8
	s_addc_u32 s19, s19, 0
	s_add_i32 s35, s35, -1
	s_delay_alu instid0(SALU_CYCLE_1) | instskip(SKIP_2) | instid1(VALU_DEP_1)
	s_cmp_lg_u32 s35, 0
	s_waitcnt lgkmcnt(0)
	v_mul_hi_u32 v3, s37, v2
	v_add_nc_u32_e32 v3, v2, v3
	s_delay_alu instid0(VALU_DEP_1) | instskip(NEXT) | instid1(VALU_DEP_1)
	v_lshrrev_b32_e32 v3, s34, v3
	v_mul_lo_u32 v5, v3, s36
	s_delay_alu instid0(VALU_DEP_1) | instskip(NEXT) | instid1(VALU_DEP_1)
	v_sub_nc_u32_e32 v2, v2, v5
	v_mad_u64_u32 v[5:6], null, v2, s38, v[0:1]
	v_mad_u64_u32 v[6:7], null, v2, s39, v[1:2]
	v_mov_b32_e32 v2, v3
	s_delay_alu instid0(VALU_DEP_2)
	v_dual_mov_b32 v0, v5 :: v_dual_mov_b32 v1, v6
	s_cbranch_scc1 .LBB367_87
.LBB367_88:
	s_and_not1_b32 vcc_lo, exec_lo, s33
	s_cbranch_vccnz .LBB367_91
; %bb.89:
	s_waitcnt lgkmcnt(0)
	v_mul_hi_u32 v0, s13, v4
	s_and_not1_b32 vcc_lo, exec_lo, s27
	s_delay_alu instid0(VALU_DEP_1) | instskip(NEXT) | instid1(VALU_DEP_1)
	v_add_nc_u32_e32 v0, v4, v0
	v_lshrrev_b32_e32 v2, s14, v0
	s_delay_alu instid0(VALU_DEP_1) | instskip(NEXT) | instid1(VALU_DEP_1)
	v_mul_lo_u32 v0, v2, s12
	v_sub_nc_u32_e32 v1, v4, v0
	s_delay_alu instid0(VALU_DEP_1)
	v_mul_lo_u32 v0, v1, s8
	v_mul_lo_u32 v1, v1, s9
	s_cbranch_vccnz .LBB367_91
; %bb.90:
	v_mul_hi_u32 v3, s2, v2
	s_delay_alu instid0(VALU_DEP_1) | instskip(NEXT) | instid1(VALU_DEP_1)
	v_add_nc_u32_e32 v3, v2, v3
	v_lshrrev_b32_e32 v3, s3, v3
	s_delay_alu instid0(VALU_DEP_1) | instskip(NEXT) | instid1(VALU_DEP_1)
	v_mul_lo_u32 v3, v3, s15
	v_sub_nc_u32_e32 v7, v2, v3
	s_delay_alu instid0(VALU_DEP_1) | instskip(NEXT) | instid1(VALU_DEP_1)
	v_mad_u64_u32 v[2:3], null, v7, s10, v[0:1]
	v_mad_u64_u32 v[5:6], null, v7, s11, v[1:2]
	s_delay_alu instid0(VALU_DEP_1)
	v_dual_mov_b32 v0, v2 :: v_dual_mov_b32 v1, v5
.LBB367_91:
	s_waitcnt lgkmcnt(0)
	global_load_b32 v1, v1, s[6:7]
	v_add_nc_u32_e32 v4, 0x80, v4
	s_waitcnt vmcnt(0)
	v_max_i32_e32 v1, s26, v1
	global_store_b32 v0, v1, s[4:5]
	s_or_b32 exec_lo, exec_lo, s31
	s_delay_alu instid0(SALU_CYCLE_1)
	s_mov_b32 s31, exec_lo
	v_cmpx_gt_i32_e64 s28, v4
	s_cbranch_execnz .LBB367_78
.LBB367_92:
	s_or_b32 exec_lo, exec_lo, s31
	s_delay_alu instid0(SALU_CYCLE_1)
	s_mov_b32 s20, exec_lo
	v_cmpx_gt_i32_e64 s28, v4
	s_cbranch_execnz .LBB367_103
.LBB367_93:
	s_or_b32 exec_lo, exec_lo, s20
                                        ; implicit-def: $vgpr8
                                        ; implicit-def: $vgpr4
	s_waitcnt lgkmcnt(0)
	s_and_not1_saveexec_b32 s2, s25
	s_cbranch_execnz .LBB367_8
.LBB367_94:
	s_nop 0
	s_sendmsg sendmsg(MSG_DEALLOC_VGPRS)
	s_endpgm
.LBB367_95:
	v_dual_mov_b32 v2, v4 :: v_dual_mov_b32 v1, 0
.LBB367_96:
	s_and_b32 s35, s35, 3
	s_delay_alu instid0(SALU_CYCLE_1)
	s_cmp_eq_u32 s35, 0
	s_cbranch_scc1 .LBB367_99
; %bb.97:
	s_lshl_b32 s18, s34, 3
	s_mul_i32 s20, s34, 12
	s_add_u32 s18, s18, s0
	s_addc_u32 s19, s1, 0
	s_add_u32 s18, s18, 0xc4
	s_addc_u32 s19, s19, 0
	;; [unrolled: 2-line block ×3, first 2 shown]
	.p2align	6
.LBB367_98:                             ; =>This Inner Loop Header: Depth=1
	s_clause 0x1
	s_load_b64 s[36:37], s[20:21], 0x4
	s_load_b32 s34, s[20:21], 0xc
	s_load_b64 s[38:39], s[18:19], 0x0
	s_add_u32 s20, s20, 12
	s_addc_u32 s21, s21, 0
	s_add_u32 s18, s18, 8
	s_addc_u32 s19, s19, 0
	s_add_i32 s35, s35, -1
	s_delay_alu instid0(SALU_CYCLE_1) | instskip(SKIP_2) | instid1(VALU_DEP_1)
	s_cmp_lg_u32 s35, 0
	s_waitcnt lgkmcnt(0)
	v_mul_hi_u32 v3, s37, v2
	v_add_nc_u32_e32 v3, v2, v3
	s_delay_alu instid0(VALU_DEP_1) | instskip(NEXT) | instid1(VALU_DEP_1)
	v_lshrrev_b32_e32 v3, s34, v3
	v_mul_lo_u32 v5, v3, s36
	s_delay_alu instid0(VALU_DEP_1) | instskip(NEXT) | instid1(VALU_DEP_1)
	v_sub_nc_u32_e32 v2, v2, v5
	v_mad_u64_u32 v[5:6], null, v2, s38, v[0:1]
	v_mad_u64_u32 v[6:7], null, v2, s39, v[1:2]
	v_mov_b32_e32 v2, v3
	s_delay_alu instid0(VALU_DEP_2)
	v_dual_mov_b32 v0, v5 :: v_dual_mov_b32 v1, v6
	s_cbranch_scc1 .LBB367_98
.LBB367_99:
	s_and_not1_b32 vcc_lo, exec_lo, s33
	s_cbranch_vccnz .LBB367_102
; %bb.100:
	s_waitcnt lgkmcnt(0)
	v_mul_hi_u32 v0, s13, v4
	s_and_not1_b32 vcc_lo, exec_lo, s27
	s_delay_alu instid0(VALU_DEP_1) | instskip(NEXT) | instid1(VALU_DEP_1)
	v_add_nc_u32_e32 v0, v4, v0
	v_lshrrev_b32_e32 v2, s14, v0
	s_delay_alu instid0(VALU_DEP_1) | instskip(NEXT) | instid1(VALU_DEP_1)
	v_mul_lo_u32 v0, v2, s12
	v_sub_nc_u32_e32 v1, v4, v0
	s_delay_alu instid0(VALU_DEP_1)
	v_mul_lo_u32 v0, v1, s8
	v_mul_lo_u32 v1, v1, s9
	s_cbranch_vccnz .LBB367_102
; %bb.101:
	v_mul_hi_u32 v3, s2, v2
	s_delay_alu instid0(VALU_DEP_1) | instskip(NEXT) | instid1(VALU_DEP_1)
	v_add_nc_u32_e32 v3, v2, v3
	v_lshrrev_b32_e32 v3, s3, v3
	s_delay_alu instid0(VALU_DEP_1) | instskip(NEXT) | instid1(VALU_DEP_1)
	v_mul_lo_u32 v3, v3, s15
	v_sub_nc_u32_e32 v7, v2, v3
	s_delay_alu instid0(VALU_DEP_1) | instskip(NEXT) | instid1(VALU_DEP_1)
	v_mad_u64_u32 v[2:3], null, v7, s10, v[0:1]
	v_mad_u64_u32 v[5:6], null, v7, s11, v[1:2]
	s_delay_alu instid0(VALU_DEP_1)
	v_dual_mov_b32 v0, v2 :: v_dual_mov_b32 v1, v5
.LBB367_102:
	s_waitcnt lgkmcnt(0)
	global_load_b32 v1, v1, s[6:7]
	v_add_nc_u32_e32 v4, 0x80, v4
	s_waitcnt vmcnt(0)
	v_max_i32_e32 v1, s26, v1
	global_store_b32 v0, v1, s[4:5]
	s_or_b32 exec_lo, exec_lo, s31
	s_delay_alu instid0(SALU_CYCLE_1)
	s_mov_b32 s20, exec_lo
	v_cmpx_gt_i32_e64 s28, v4
	s_cbranch_execz .LBB367_93
.LBB367_103:
	s_and_not1_b32 vcc_lo, exec_lo, s24
	s_cbranch_vccnz .LBB367_108
; %bb.104:
	v_dual_mov_b32 v0, 0 :: v_dual_mov_b32 v1, 0
	s_and_not1_b32 vcc_lo, exec_lo, s30
	s_mov_b32 s21, 0
	s_cbranch_vccnz .LBB367_113
; %bb.105:
	v_mov_b32_e32 v0, 0
	s_add_i32 s29, s29, 1
	s_cmp_eq_u32 s23, 2
	s_mov_b32 s28, 0
	s_cbranch_scc1 .LBB367_109
; %bb.106:
	v_dual_mov_b32 v1, 0 :: v_dual_mov_b32 v0, 0
	v_mov_b32_e32 v2, v4
	s_and_b32 s28, s29, 28
	s_mov_b32 s30, 0
	s_mov_b64 s[18:19], s[0:1]
.LBB367_107:                            ; =>This Inner Loop Header: Depth=1
	s_clause 0x1
	s_load_b256 s[36:43], s[18:19], 0x4
	s_load_b128 s[52:55], s[18:19], 0x24
	s_load_b256 s[44:51], s[16:17], 0x0
	s_add_u32 s18, s18, 48
	s_addc_u32 s19, s19, 0
	s_add_i32 s30, s30, 4
	s_add_u32 s16, s16, 32
	s_addc_u32 s17, s17, 0
	s_cmp_eq_u32 s28, s30
	s_waitcnt lgkmcnt(0)
	v_mul_hi_u32 v3, s37, v2
	s_delay_alu instid0(VALU_DEP_1) | instskip(NEXT) | instid1(VALU_DEP_1)
	v_add_nc_u32_e32 v3, v2, v3
	v_lshrrev_b32_e32 v3, s38, v3
	s_delay_alu instid0(VALU_DEP_1) | instskip(SKIP_1) | instid1(VALU_DEP_2)
	v_mul_hi_u32 v5, s40, v3
	v_mul_lo_u32 v7, v3, s36
	v_add_nc_u32_e32 v5, v3, v5
	s_delay_alu instid0(VALU_DEP_2) | instskip(NEXT) | instid1(VALU_DEP_2)
	v_sub_nc_u32_e32 v2, v2, v7
	v_lshrrev_b32_e32 v5, s41, v5
	s_delay_alu instid0(VALU_DEP_2) | instskip(SKIP_1) | instid1(VALU_DEP_3)
	v_mul_lo_u32 v7, v2, s44
	v_mul_lo_u32 v9, v2, s45
	v_mul_hi_u32 v6, s43, v5
	s_delay_alu instid0(VALU_DEP_1) | instskip(NEXT) | instid1(VALU_DEP_1)
	v_add_nc_u32_e32 v6, v5, v6
	v_lshrrev_b32_e32 v6, s52, v6
	s_delay_alu instid0(VALU_DEP_1) | instskip(SKIP_1) | instid1(VALU_DEP_2)
	v_mul_hi_u32 v8, s54, v6
	v_mul_lo_u32 v10, v6, s42
	v_add_nc_u32_e32 v2, v6, v8
	v_mul_lo_u32 v8, v5, s39
	s_delay_alu instid0(VALU_DEP_3) | instskip(NEXT) | instid1(VALU_DEP_3)
	v_sub_nc_u32_e32 v5, v5, v10
	v_lshrrev_b32_e32 v2, s55, v2
	s_delay_alu instid0(VALU_DEP_2) | instskip(SKIP_2) | instid1(VALU_DEP_4)
	v_mul_lo_u32 v10, v5, s48
	v_mul_lo_u32 v5, v5, s49
	v_sub_nc_u32_e32 v3, v3, v8
	v_mul_lo_u32 v11, v2, s53
	s_delay_alu instid0(VALU_DEP_2) | instskip(SKIP_1) | instid1(VALU_DEP_3)
	v_mul_lo_u32 v8, v3, s46
	v_mul_lo_u32 v3, v3, s47
	v_sub_nc_u32_e32 v6, v6, v11
	s_delay_alu instid0(VALU_DEP_3) | instskip(NEXT) | instid1(VALU_DEP_2)
	v_add3_u32 v0, v7, v0, v8
	v_mul_lo_u32 v11, v6, s50
	v_mul_lo_u32 v6, v6, s51
	v_add3_u32 v1, v9, v1, v3
	s_delay_alu instid0(VALU_DEP_3) | instskip(NEXT) | instid1(VALU_DEP_2)
	v_add3_u32 v0, v10, v0, v11
	v_add3_u32 v1, v5, v1, v6
	s_cbranch_scc0 .LBB367_107
	s_branch .LBB367_110
.LBB367_108:
	s_mov_b32 s21, -1
                                        ; implicit-def: $vgpr0
                                        ; implicit-def: $vgpr1
	s_branch .LBB367_113
.LBB367_109:
	v_dual_mov_b32 v2, v4 :: v_dual_mov_b32 v1, 0
.LBB367_110:
	s_and_b32 s29, s29, 3
	s_delay_alu instid0(SALU_CYCLE_1)
	s_cmp_eq_u32 s29, 0
	s_cbranch_scc1 .LBB367_113
; %bb.111:
	s_lshl_b32 s16, s28, 3
	s_mul_i32 s18, s28, 12
	s_add_u32 s16, s16, s0
	s_addc_u32 s17, s1, 0
	s_add_u32 s16, s16, 0xc4
	s_addc_u32 s17, s17, 0
	;; [unrolled: 2-line block ×3, first 2 shown]
	.p2align	6
.LBB367_112:                            ; =>This Inner Loop Header: Depth=1
	s_clause 0x1
	s_load_b64 s[30:31], s[18:19], 0x4
	s_load_b32 s28, s[18:19], 0xc
	s_load_b64 s[34:35], s[16:17], 0x0
	s_add_u32 s18, s18, 12
	s_addc_u32 s19, s19, 0
	s_add_u32 s16, s16, 8
	s_addc_u32 s17, s17, 0
	s_add_i32 s29, s29, -1
	s_delay_alu instid0(SALU_CYCLE_1) | instskip(SKIP_2) | instid1(VALU_DEP_1)
	s_cmp_lg_u32 s29, 0
	s_waitcnt lgkmcnt(0)
	v_mul_hi_u32 v3, s31, v2
	v_add_nc_u32_e32 v3, v2, v3
	s_delay_alu instid0(VALU_DEP_1) | instskip(NEXT) | instid1(VALU_DEP_1)
	v_lshrrev_b32_e32 v3, s28, v3
	v_mul_lo_u32 v5, v3, s30
	s_delay_alu instid0(VALU_DEP_1) | instskip(NEXT) | instid1(VALU_DEP_1)
	v_sub_nc_u32_e32 v2, v2, v5
	v_mad_u64_u32 v[5:6], null, v2, s34, v[0:1]
	v_mad_u64_u32 v[6:7], null, v2, s35, v[1:2]
	v_mov_b32_e32 v2, v3
	s_delay_alu instid0(VALU_DEP_2)
	v_dual_mov_b32 v0, v5 :: v_dual_mov_b32 v1, v6
	s_cbranch_scc1 .LBB367_112
.LBB367_113:
	s_and_not1_b32 vcc_lo, exec_lo, s21
	s_cbranch_vccnz .LBB367_116
; %bb.114:
	s_waitcnt lgkmcnt(0)
	v_mul_hi_u32 v0, s13, v4
	s_and_not1_b32 vcc_lo, exec_lo, s27
	s_delay_alu instid0(VALU_DEP_1) | instskip(NEXT) | instid1(VALU_DEP_1)
	v_add_nc_u32_e32 v0, v4, v0
	v_lshrrev_b32_e32 v2, s14, v0
	s_delay_alu instid0(VALU_DEP_1) | instskip(NEXT) | instid1(VALU_DEP_1)
	v_mul_lo_u32 v0, v2, s12
	v_sub_nc_u32_e32 v1, v4, v0
	s_delay_alu instid0(VALU_DEP_1)
	v_mul_lo_u32 v0, v1, s8
	v_mul_lo_u32 v1, v1, s9
	s_cbranch_vccnz .LBB367_116
; %bb.115:
	v_mul_hi_u32 v3, s2, v2
	s_delay_alu instid0(VALU_DEP_1) | instskip(NEXT) | instid1(VALU_DEP_1)
	v_add_nc_u32_e32 v3, v2, v3
	v_lshrrev_b32_e32 v3, s3, v3
	s_delay_alu instid0(VALU_DEP_1) | instskip(NEXT) | instid1(VALU_DEP_1)
	v_mul_lo_u32 v3, v3, s15
	v_sub_nc_u32_e32 v5, v2, v3
	s_delay_alu instid0(VALU_DEP_1) | instskip(NEXT) | instid1(VALU_DEP_1)
	v_mad_u64_u32 v[2:3], null, v5, s10, v[0:1]
	v_mad_u64_u32 v[3:4], null, v5, s11, v[1:2]
	s_delay_alu instid0(VALU_DEP_1)
	v_dual_mov_b32 v0, v2 :: v_dual_mov_b32 v1, v3
.LBB367_116:
	s_waitcnt lgkmcnt(0)
	global_load_b32 v1, v1, s[6:7]
	s_waitcnt vmcnt(0)
	v_max_i32_e32 v1, s26, v1
	global_store_b32 v0, v1, s[4:5]
	s_or_b32 exec_lo, exec_lo, s20
                                        ; implicit-def: $vgpr8
                                        ; implicit-def: $vgpr4
	s_and_not1_saveexec_b32 s2, s25
	s_cbranch_execz .LBB367_94
	s_branch .LBB367_8
	.section	.rodata,"a",@progbits
	.p2align	6, 0x0
	.amdhsa_kernel _ZN2at6native32elementwise_kernel_manual_unrollILi128ELi4EZNS0_22gpu_kernel_impl_nocastIZZZNS0_21clamp_min_kernel_cudaERNS_18TensorIteratorBaseERKN3c106ScalarEENKUlvE_clEvENKUlvE1_clEvEUliE_EEvS4_RKT_EUlibE_EEviT1_
		.amdhsa_group_segment_fixed_size 0
		.amdhsa_private_segment_fixed_size 0
		.amdhsa_kernarg_size 360
		.amdhsa_user_sgpr_count 15
		.amdhsa_user_sgpr_dispatch_ptr 0
		.amdhsa_user_sgpr_queue_ptr 0
		.amdhsa_user_sgpr_kernarg_segment_ptr 1
		.amdhsa_user_sgpr_dispatch_id 0
		.amdhsa_user_sgpr_private_segment_size 0
		.amdhsa_wavefront_size32 1
		.amdhsa_uses_dynamic_stack 0
		.amdhsa_enable_private_segment 0
		.amdhsa_system_sgpr_workgroup_id_x 1
		.amdhsa_system_sgpr_workgroup_id_y 0
		.amdhsa_system_sgpr_workgroup_id_z 0
		.amdhsa_system_sgpr_workgroup_info 0
		.amdhsa_system_vgpr_workitem_id 0
		.amdhsa_next_free_vgpr 18
		.amdhsa_next_free_sgpr 60
		.amdhsa_reserve_vcc 1
		.amdhsa_float_round_mode_32 0
		.amdhsa_float_round_mode_16_64 0
		.amdhsa_float_denorm_mode_32 3
		.amdhsa_float_denorm_mode_16_64 3
		.amdhsa_dx10_clamp 1
		.amdhsa_ieee_mode 1
		.amdhsa_fp16_overflow 0
		.amdhsa_workgroup_processor_mode 1
		.amdhsa_memory_ordered 1
		.amdhsa_forward_progress 0
		.amdhsa_shared_vgpr_count 0
		.amdhsa_exception_fp_ieee_invalid_op 0
		.amdhsa_exception_fp_denorm_src 0
		.amdhsa_exception_fp_ieee_div_zero 0
		.amdhsa_exception_fp_ieee_overflow 0
		.amdhsa_exception_fp_ieee_underflow 0
		.amdhsa_exception_fp_ieee_inexact 0
		.amdhsa_exception_int_div_zero 0
	.end_amdhsa_kernel
	.section	.text._ZN2at6native32elementwise_kernel_manual_unrollILi128ELi4EZNS0_22gpu_kernel_impl_nocastIZZZNS0_21clamp_min_kernel_cudaERNS_18TensorIteratorBaseERKN3c106ScalarEENKUlvE_clEvENKUlvE1_clEvEUliE_EEvS4_RKT_EUlibE_EEviT1_,"axG",@progbits,_ZN2at6native32elementwise_kernel_manual_unrollILi128ELi4EZNS0_22gpu_kernel_impl_nocastIZZZNS0_21clamp_min_kernel_cudaERNS_18TensorIteratorBaseERKN3c106ScalarEENKUlvE_clEvENKUlvE1_clEvEUliE_EEvS4_RKT_EUlibE_EEviT1_,comdat
.Lfunc_end367:
	.size	_ZN2at6native32elementwise_kernel_manual_unrollILi128ELi4EZNS0_22gpu_kernel_impl_nocastIZZZNS0_21clamp_min_kernel_cudaERNS_18TensorIteratorBaseERKN3c106ScalarEENKUlvE_clEvENKUlvE1_clEvEUliE_EEvS4_RKT_EUlibE_EEviT1_, .Lfunc_end367-_ZN2at6native32elementwise_kernel_manual_unrollILi128ELi4EZNS0_22gpu_kernel_impl_nocastIZZZNS0_21clamp_min_kernel_cudaERNS_18TensorIteratorBaseERKN3c106ScalarEENKUlvE_clEvENKUlvE1_clEvEUliE_EEvS4_RKT_EUlibE_EEviT1_
                                        ; -- End function
	.section	.AMDGPU.csdata,"",@progbits
; Kernel info:
; codeLenInByte = 6832
; NumSgprs: 62
; NumVgprs: 18
; ScratchSize: 0
; MemoryBound: 0
; FloatMode: 240
; IeeeMode: 1
; LDSByteSize: 0 bytes/workgroup (compile time only)
; SGPRBlocks: 7
; VGPRBlocks: 2
; NumSGPRsForWavesPerEU: 62
; NumVGPRsForWavesPerEU: 18
; Occupancy: 16
; WaveLimiterHint : 1
; COMPUTE_PGM_RSRC2:SCRATCH_EN: 0
; COMPUTE_PGM_RSRC2:USER_SGPR: 15
; COMPUTE_PGM_RSRC2:TRAP_HANDLER: 0
; COMPUTE_PGM_RSRC2:TGID_X_EN: 1
; COMPUTE_PGM_RSRC2:TGID_Y_EN: 0
; COMPUTE_PGM_RSRC2:TGID_Z_EN: 0
; COMPUTE_PGM_RSRC2:TIDIG_COMP_CNT: 0
	.section	.text._ZN2at6native32elementwise_kernel_manual_unrollILi128ELi4EZNS0_15gpu_kernel_implIZZZNS0_21clamp_min_kernel_cudaERNS_18TensorIteratorBaseERKN3c106ScalarEENKUlvE_clEvENKUlvE1_clEvEUliE_EEvS4_RKT_EUlibE_EEviT1_,"axG",@progbits,_ZN2at6native32elementwise_kernel_manual_unrollILi128ELi4EZNS0_15gpu_kernel_implIZZZNS0_21clamp_min_kernel_cudaERNS_18TensorIteratorBaseERKN3c106ScalarEENKUlvE_clEvENKUlvE1_clEvEUliE_EEvS4_RKT_EUlibE_EEviT1_,comdat
	.globl	_ZN2at6native32elementwise_kernel_manual_unrollILi128ELi4EZNS0_15gpu_kernel_implIZZZNS0_21clamp_min_kernel_cudaERNS_18TensorIteratorBaseERKN3c106ScalarEENKUlvE_clEvENKUlvE1_clEvEUliE_EEvS4_RKT_EUlibE_EEviT1_ ; -- Begin function _ZN2at6native32elementwise_kernel_manual_unrollILi128ELi4EZNS0_15gpu_kernel_implIZZZNS0_21clamp_min_kernel_cudaERNS_18TensorIteratorBaseERKN3c106ScalarEENKUlvE_clEvENKUlvE1_clEvEUliE_EEvS4_RKT_EUlibE_EEviT1_
	.p2align	8
	.type	_ZN2at6native32elementwise_kernel_manual_unrollILi128ELi4EZNS0_15gpu_kernel_implIZZZNS0_21clamp_min_kernel_cudaERNS_18TensorIteratorBaseERKN3c106ScalarEENKUlvE_clEvENKUlvE1_clEvEUliE_EEvS4_RKT_EUlibE_EEviT1_,@function
_ZN2at6native32elementwise_kernel_manual_unrollILi128ELi4EZNS0_15gpu_kernel_implIZZZNS0_21clamp_min_kernel_cudaERNS_18TensorIteratorBaseERKN3c106ScalarEENKUlvE_clEvENKUlvE1_clEvEUliE_EEvS4_RKT_EUlibE_EEviT1_: ; @_ZN2at6native32elementwise_kernel_manual_unrollILi128ELi4EZNS0_15gpu_kernel_implIZZZNS0_21clamp_min_kernel_cudaERNS_18TensorIteratorBaseERKN3c106ScalarEENKUlvE_clEvENKUlvE1_clEvEUliE_EEvS4_RKT_EUlibE_EEviT1_
; %bb.0:
	s_clause 0x2
	s_load_b32 s2, s[0:1], 0x24
	s_load_b32 s12, s[0:1], 0x0
	s_load_b256 s[4:11], s[0:1], 0x8
	v_lshl_or_b32 v4, s15, 9, v0
	s_mov_b32 s1, 0
	s_waitcnt lgkmcnt(0)
	s_mov_b32 s11, 0
	s_mov_b32 s0, exec_lo
	v_or_b32_e32 v0, 0x180, v4
	v_lshrrev_b16 v5, 8, s2
	s_delay_alu instid0(VALU_DEP_2)
	v_cmpx_le_i32_e64 s12, v0
	s_xor_b32 s3, exec_lo, s0
	s_cbranch_execz .LBB368_1017
; %bb.1:
	s_mov_b32 s17, -1
	s_mov_b32 s15, 0
	s_mov_b32 s13, 0
	s_mov_b32 s14, exec_lo
	v_cmpx_gt_i32_e64 s12, v4
	s_cbranch_execz .LBB368_248
; %bb.2:
	v_mul_lo_u32 v0, v4, s9
	v_cmp_gt_i16_e32 vcc_lo, 11, v5
	s_delay_alu instid0(VALU_DEP_2) | instskip(SKIP_1) | instid1(VALU_DEP_1)
	v_ashrrev_i32_e32 v1, 31, v0
	v_add_co_u32 v0, s0, s6, v0
	v_add_co_ci_u32_e64 v1, s0, s7, v1, s0
	s_cbranch_vccnz .LBB368_9
; %bb.3:
	v_cmp_lt_i16_e32 vcc_lo, 25, v5
	s_cbranch_vccz .LBB368_18
; %bb.4:
	v_cmp_lt_i16_e32 vcc_lo, 28, v5
	s_cbranch_vccz .LBB368_21
	;; [unrolled: 3-line block ×4, first 2 shown]
; %bb.7:
	v_cmp_eq_u16_e32 vcc_lo, 46, v5
	s_cbranch_vccz .LBB368_27
; %bb.8:
	global_load_b32 v2, v[0:1], off
	s_mov_b32 s0, -1
	s_waitcnt vmcnt(0)
	v_lshlrev_b32_e32 v2, 16, v2
	s_delay_alu instid0(VALU_DEP_1)
	v_cvt_i32_f32_e32 v2, v2
	s_branch .LBB368_29
.LBB368_9:
	s_mov_b32 s0, 0
                                        ; implicit-def: $vgpr2
	s_cbranch_execnz .LBB368_198
.LBB368_10:
	s_and_not1_b32 vcc_lo, exec_lo, s0
	s_cbranch_vccnz .LBB368_245
.LBB368_11:
	v_mul_lo_u32 v1, v4, s8
	v_and_b32_e64 v6, 0xff, s2
	s_waitcnt vmcnt(0)
	s_delay_alu instid0(VALU_DEP_3) | instskip(NEXT) | instid1(VALU_DEP_2)
	v_max_i32_e32 v0, s10, v2
	v_cmp_gt_i16_e32 vcc_lo, 11, v6
	s_delay_alu instid0(VALU_DEP_4) | instskip(SKIP_1) | instid1(VALU_DEP_1)
	v_ashrrev_i32_e32 v3, 31, v1
	v_add_co_u32 v2, s0, s4, v1
	v_add_co_ci_u32_e64 v3, s0, s5, v3, s0
	s_cbranch_vccnz .LBB368_19
; %bb.12:
	v_cmp_lt_i16_e32 vcc_lo, 25, v6
	s_cbranch_vccz .LBB368_22
; %bb.13:
	v_cmp_lt_i16_e32 vcc_lo, 28, v6
	s_cbranch_vccz .LBB368_24
	;; [unrolled: 3-line block ×4, first 2 shown]
; %bb.16:
	v_cmp_eq_u16_e32 vcc_lo, 46, v6
	s_mov_b32 s16, 0
	s_mov_b32 s0, -1
	s_mov_b32 s11, 0
	s_cbranch_vccz .LBB368_33
; %bb.17:
	v_cvt_f32_i32_e32 v1, v0
	s_mov_b32 s11, -1
	s_mov_b32 s0, 0
	s_delay_alu instid0(VALU_DEP_1) | instskip(NEXT) | instid1(VALU_DEP_1)
	v_bfe_u32 v7, v1, 16, 1
	v_add3_u32 v1, v1, v7, 0x7fff
	s_delay_alu instid0(VALU_DEP_1)
	v_lshrrev_b32_e32 v1, 16, v1
	global_store_b32 v[2:3], v1, off
	s_branch .LBB368_33
.LBB368_18:
	s_mov_b32 s0, 0
                                        ; implicit-def: $vgpr2
	s_cbranch_execnz .LBB368_165
	s_branch .LBB368_197
.LBB368_19:
	s_mov_b32 s0, 0
	s_mov_b32 s11, 0
	s_cbranch_execnz .LBB368_102
.LBB368_20:
	s_and_not1_b32 vcc_lo, exec_lo, s11
	s_cbranch_vccnz .LBB368_246
	s_branch .LBB368_140
.LBB368_21:
	s_mov_b32 s11, -1
	s_mov_b32 s0, 0
                                        ; implicit-def: $vgpr2
	s_branch .LBB368_148
.LBB368_22:
	s_mov_b32 s16, -1
	s_mov_b32 s0, 0
	s_mov_b32 s11, 0
	s_branch .LBB368_60
.LBB368_23:
	s_mov_b32 s11, -1
	s_mov_b32 s0, 0
                                        ; implicit-def: $vgpr2
	s_branch .LBB368_143
.LBB368_24:
	s_mov_b32 s16, -1
	s_mov_b32 s0, 0
	s_mov_b32 s11, 0
	s_branch .LBB368_43
.LBB368_25:
	s_mov_b32 s11, -1
	s_branch .LBB368_28
.LBB368_26:
	s_mov_b32 s16, -1
	s_mov_b32 s0, 0
	s_mov_b32 s11, 0
	s_branch .LBB368_39
.LBB368_27:
	s_mov_b32 s13, -1
.LBB368_28:
	s_mov_b32 s0, 0
                                        ; implicit-def: $vgpr2
.LBB368_29:
	s_and_b32 vcc_lo, exec_lo, s11
	s_cbranch_vccz .LBB368_142
; %bb.30:
	v_cmp_eq_u16_e32 vcc_lo, 44, v5
	s_cbranch_vccz .LBB368_141
; %bb.31:
	global_load_u8 v2, v[0:1], off
	s_mov_b32 s13, 0
	s_mov_b32 s0, -1
	s_waitcnt vmcnt(0)
	v_lshlrev_b32_e32 v3, 23, v2
	v_cmp_ne_u32_e32 vcc_lo, 0, v2
	s_delay_alu instid0(VALU_DEP_2) | instskip(NEXT) | instid1(VALU_DEP_1)
	v_cvt_i32_f32_e32 v3, v3
	v_cndmask_b32_e32 v2, 0, v3, vcc_lo
	s_branch .LBB368_142
.LBB368_32:
	s_mov_b32 s16, -1
	s_mov_b32 s0, 0
	s_mov_b32 s11, 0
.LBB368_33:
	s_and_b32 vcc_lo, exec_lo, s16
	s_cbranch_vccz .LBB368_38
; %bb.34:
	v_cmp_eq_u16_e32 vcc_lo, 44, v6
	s_mov_b32 s0, -1
	s_cbranch_vccz .LBB368_38
; %bb.35:
	v_cvt_f32_i32_e32 v1, v0
	v_mov_b32_e32 v7, 0xff
	s_mov_b32 s11, exec_lo
	s_delay_alu instid0(VALU_DEP_2) | instskip(NEXT) | instid1(VALU_DEP_1)
	v_bfe_u32 v8, v1, 23, 8
	v_cmpx_ne_u32_e32 0xff, v8
; %bb.36:
	v_and_b32_e32 v7, 0x400000, v1
	v_and_or_b32 v8, 0x3fffff, v1, v8
	v_lshrrev_b32_e32 v1, 23, v1
	s_delay_alu instid0(VALU_DEP_3) | instskip(NEXT) | instid1(VALU_DEP_3)
	v_cmp_ne_u32_e32 vcc_lo, 0, v7
	v_cmp_ne_u32_e64 s0, 0, v8
	s_delay_alu instid0(VALU_DEP_1) | instskip(NEXT) | instid1(SALU_CYCLE_1)
	s_and_b32 s0, vcc_lo, s0
	v_cndmask_b32_e64 v7, 0, 1, s0
	s_delay_alu instid0(VALU_DEP_1)
	v_add_nc_u32_e32 v7, v1, v7
; %bb.37:
	s_or_b32 exec_lo, exec_lo, s11
	s_mov_b32 s11, -1
	s_mov_b32 s0, 0
	global_store_b8 v[2:3], v7, off
.LBB368_38:
	s_mov_b32 s16, 0
.LBB368_39:
	s_delay_alu instid0(SALU_CYCLE_1)
	s_and_b32 vcc_lo, exec_lo, s16
	s_cbranch_vccz .LBB368_42
; %bb.40:
	v_cmp_eq_u16_e32 vcc_lo, 29, v6
	s_mov_b32 s0, -1
	s_cbranch_vccz .LBB368_42
; %bb.41:
	v_ashrrev_i32_e32 v1, 31, v0
	s_mov_b32 s11, -1
	s_mov_b32 s0, 0
	s_mov_b32 s16, 0
	global_store_b64 v[2:3], v[0:1], off
	s_branch .LBB368_43
.LBB368_42:
	s_mov_b32 s16, 0
.LBB368_43:
	s_delay_alu instid0(SALU_CYCLE_1)
	s_and_b32 vcc_lo, exec_lo, s16
	s_cbranch_vccz .LBB368_59
; %bb.44:
	v_cmp_gt_i16_e32 vcc_lo, 27, v6
	s_mov_b32 s11, -1
	s_cbranch_vccnz .LBB368_50
; %bb.45:
	v_cmp_lt_i16_e32 vcc_lo, 27, v6
	s_cbranch_vccz .LBB368_47
; %bb.46:
	s_mov_b32 s11, 0
	global_store_b32 v[2:3], v0, off
.LBB368_47:
	s_and_not1_b32 vcc_lo, exec_lo, s11
	s_cbranch_vccnz .LBB368_49
; %bb.48:
	global_store_b16 v[2:3], v0, off
.LBB368_49:
	s_mov_b32 s11, 0
.LBB368_50:
	s_delay_alu instid0(SALU_CYCLE_1)
	s_and_not1_b32 vcc_lo, exec_lo, s11
	s_cbranch_vccnz .LBB368_58
; %bb.51:
	v_cvt_f32_i32_e32 v1, v0
	v_mov_b32_e32 v8, 0x80
	s_mov_b32 s11, exec_lo
	s_delay_alu instid0(VALU_DEP_2) | instskip(NEXT) | instid1(VALU_DEP_1)
	v_and_b32_e32 v7, 0x7fffffff, v1
	v_cmpx_gt_u32_e32 0x43800000, v7
	s_cbranch_execz .LBB368_57
; %bb.52:
	v_cmp_lt_u32_e32 vcc_lo, 0x3bffffff, v7
	s_mov_b32 s16, 0
                                        ; implicit-def: $vgpr7
	s_and_saveexec_b32 s17, vcc_lo
	s_delay_alu instid0(SALU_CYCLE_1)
	s_xor_b32 s17, exec_lo, s17
	s_cbranch_execz .LBB368_272
; %bb.53:
	v_bfe_u32 v7, v1, 20, 1
	s_mov_b32 s16, exec_lo
	s_delay_alu instid0(VALU_DEP_1) | instskip(NEXT) | instid1(VALU_DEP_1)
	v_add3_u32 v7, v1, v7, 0x487ffff
	v_lshrrev_b32_e32 v7, 20, v7
	s_or_saveexec_b32 s17, s17
                                        ; implicit-def: $sgpr18
	s_delay_alu instid0(SALU_CYCLE_1)
	s_xor_b32 exec_lo, exec_lo, s17
	s_cbranch_execnz .LBB368_273
.LBB368_54:
	s_or_b32 exec_lo, exec_lo, s17
	v_mov_b32_e32 v8, s18
	s_and_saveexec_b32 s17, s16
.LBB368_55:
	v_lshrrev_b32_e32 v1, 24, v1
	s_delay_alu instid0(VALU_DEP_1)
	v_and_or_b32 v8, 0x80, v1, v7
.LBB368_56:
	s_or_b32 exec_lo, exec_lo, s17
.LBB368_57:
	s_delay_alu instid0(SALU_CYCLE_1)
	s_or_b32 exec_lo, exec_lo, s11
	global_store_b8 v[2:3], v8, off
.LBB368_58:
	s_mov_b32 s11, -1
.LBB368_59:
	s_mov_b32 s16, 0
.LBB368_60:
	s_delay_alu instid0(SALU_CYCLE_1)
	s_and_b32 vcc_lo, exec_lo, s16
	s_cbranch_vccz .LBB368_101
; %bb.61:
	v_cmp_lt_i16_e32 vcc_lo, 22, v6
	s_mov_b32 s16, -1
	s_cbranch_vccz .LBB368_93
; %bb.62:
	v_cmp_gt_i16_e32 vcc_lo, 24, v6
	s_mov_b32 s11, -1
	s_cbranch_vccnz .LBB368_82
; %bb.63:
	v_cmp_lt_i16_e32 vcc_lo, 24, v6
	s_cbranch_vccz .LBB368_71
; %bb.64:
	v_cvt_f32_i32_e32 v1, v0
	v_mov_b32_e32 v8, 0x80
	s_mov_b32 s11, exec_lo
	s_delay_alu instid0(VALU_DEP_2) | instskip(NEXT) | instid1(VALU_DEP_1)
	v_and_b32_e32 v7, 0x7fffffff, v1
	v_cmpx_gt_u32_e32 0x47800000, v7
	s_cbranch_execz .LBB368_70
; %bb.65:
	v_cmp_lt_u32_e32 vcc_lo, 0x37ffffff, v7
	s_mov_b32 s16, 0
                                        ; implicit-def: $vgpr7
	s_and_saveexec_b32 s17, vcc_lo
	s_delay_alu instid0(SALU_CYCLE_1)
	s_xor_b32 s17, exec_lo, s17
	s_cbranch_execz .LBB368_276
; %bb.66:
	v_bfe_u32 v7, v1, 21, 1
	s_mov_b32 s16, exec_lo
	s_delay_alu instid0(VALU_DEP_1) | instskip(NEXT) | instid1(VALU_DEP_1)
	v_add3_u32 v7, v1, v7, 0x88fffff
	v_lshrrev_b32_e32 v7, 21, v7
	s_or_saveexec_b32 s17, s17
                                        ; implicit-def: $sgpr18
	s_delay_alu instid0(SALU_CYCLE_1)
	s_xor_b32 exec_lo, exec_lo, s17
	s_cbranch_execnz .LBB368_277
.LBB368_67:
	s_or_b32 exec_lo, exec_lo, s17
	v_mov_b32_e32 v8, s18
	s_and_saveexec_b32 s17, s16
.LBB368_68:
	v_lshrrev_b32_e32 v1, 24, v1
	s_delay_alu instid0(VALU_DEP_1)
	v_and_or_b32 v8, 0x80, v1, v7
.LBB368_69:
	s_or_b32 exec_lo, exec_lo, s17
.LBB368_70:
	s_delay_alu instid0(SALU_CYCLE_1)
	s_or_b32 exec_lo, exec_lo, s11
	s_mov_b32 s11, 0
	global_store_b8 v[2:3], v8, off
.LBB368_71:
	s_and_b32 vcc_lo, exec_lo, s11
	s_cbranch_vccz .LBB368_81
; %bb.72:
	v_cvt_f32_i32_e32 v1, v0
	s_mov_b32 s11, exec_lo
                                        ; implicit-def: $vgpr7
	s_delay_alu instid0(VALU_DEP_1) | instskip(NEXT) | instid1(VALU_DEP_1)
	v_and_b32_e32 v8, 0x7fffffff, v1
	v_cmpx_gt_u32_e32 0x43f00000, v8
	s_xor_b32 s11, exec_lo, s11
	s_cbranch_execz .LBB368_78
; %bb.73:
	s_mov_b32 s16, exec_lo
                                        ; implicit-def: $vgpr7
	v_cmpx_lt_u32_e32 0x3c7fffff, v8
	s_xor_b32 s16, exec_lo, s16
; %bb.74:
	v_bfe_u32 v7, v1, 20, 1
	s_delay_alu instid0(VALU_DEP_1) | instskip(NEXT) | instid1(VALU_DEP_1)
	v_add3_u32 v7, v1, v7, 0x407ffff
	v_and_b32_e32 v8, 0xff00000, v7
	v_lshrrev_b32_e32 v7, 20, v7
	s_delay_alu instid0(VALU_DEP_2) | instskip(NEXT) | instid1(VALU_DEP_2)
	v_cmp_ne_u32_e32 vcc_lo, 0x7f00000, v8
	v_cndmask_b32_e32 v7, 0x7e, v7, vcc_lo
; %bb.75:
	s_and_not1_saveexec_b32 s16, s16
; %bb.76:
	v_add_f32_e64 v7, 0x46800000, |v1|
; %bb.77:
	s_or_b32 exec_lo, exec_lo, s16
                                        ; implicit-def: $vgpr8
.LBB368_78:
	s_and_not1_saveexec_b32 s11, s11
; %bb.79:
	v_mov_b32_e32 v7, 0x7f
	v_cmp_lt_u32_e32 vcc_lo, 0x7f800000, v8
	s_delay_alu instid0(VALU_DEP_2)
	v_cndmask_b32_e32 v7, 0x7e, v7, vcc_lo
; %bb.80:
	s_or_b32 exec_lo, exec_lo, s11
	v_lshrrev_b32_e32 v1, 24, v1
	s_delay_alu instid0(VALU_DEP_1)
	v_and_or_b32 v1, 0x80, v1, v7
	global_store_b8 v[2:3], v1, off
.LBB368_81:
	s_mov_b32 s11, 0
.LBB368_82:
	s_delay_alu instid0(SALU_CYCLE_1)
	s_and_not1_b32 vcc_lo, exec_lo, s11
	s_cbranch_vccnz .LBB368_92
; %bb.83:
	v_cvt_f32_i32_e32 v1, v0
	s_mov_b32 s11, exec_lo
                                        ; implicit-def: $vgpr7
	s_delay_alu instid0(VALU_DEP_1) | instskip(NEXT) | instid1(VALU_DEP_1)
	v_and_b32_e32 v8, 0x7fffffff, v1
	v_cmpx_gt_u32_e32 0x47800000, v8
	s_xor_b32 s11, exec_lo, s11
	s_cbranch_execz .LBB368_89
; %bb.84:
	s_mov_b32 s16, exec_lo
                                        ; implicit-def: $vgpr7
	v_cmpx_lt_u32_e32 0x387fffff, v8
	s_xor_b32 s16, exec_lo, s16
; %bb.85:
	v_bfe_u32 v7, v1, 21, 1
	s_delay_alu instid0(VALU_DEP_1) | instskip(NEXT) | instid1(VALU_DEP_1)
	v_add3_u32 v7, v1, v7, 0x80fffff
	v_lshrrev_b32_e32 v7, 21, v7
; %bb.86:
	s_and_not1_saveexec_b32 s16, s16
; %bb.87:
	v_add_f32_e64 v7, 0x43000000, |v1|
; %bb.88:
	s_or_b32 exec_lo, exec_lo, s16
                                        ; implicit-def: $vgpr8
.LBB368_89:
	s_and_not1_saveexec_b32 s11, s11
; %bb.90:
	v_mov_b32_e32 v7, 0x7f
	v_cmp_lt_u32_e32 vcc_lo, 0x7f800000, v8
	s_delay_alu instid0(VALU_DEP_2)
	v_cndmask_b32_e32 v7, 0x7c, v7, vcc_lo
; %bb.91:
	s_or_b32 exec_lo, exec_lo, s11
	v_lshrrev_b32_e32 v1, 24, v1
	s_delay_alu instid0(VALU_DEP_1)
	v_and_or_b32 v1, 0x80, v1, v7
	global_store_b8 v[2:3], v1, off
.LBB368_92:
	s_mov_b32 s16, 0
	s_mov_b32 s11, -1
.LBB368_93:
	s_and_not1_b32 vcc_lo, exec_lo, s16
	s_cbranch_vccnz .LBB368_101
; %bb.94:
	v_cmp_lt_i16_e32 vcc_lo, 14, v6
	s_mov_b32 s16, -1
	s_cbranch_vccz .LBB368_98
; %bb.95:
	v_cmp_eq_u16_e32 vcc_lo, 15, v6
	s_mov_b32 s0, -1
	s_cbranch_vccz .LBB368_97
; %bb.96:
	v_cvt_f32_i32_e32 v1, v0
	s_mov_b32 s11, -1
	s_mov_b32 s0, 0
	s_delay_alu instid0(VALU_DEP_1) | instskip(NEXT) | instid1(VALU_DEP_1)
	v_bfe_u32 v7, v1, 16, 1
	v_add3_u32 v1, v1, v7, 0x7fff
	global_store_d16_hi_b16 v[2:3], v1, off
.LBB368_97:
	s_mov_b32 s16, 0
.LBB368_98:
	s_delay_alu instid0(SALU_CYCLE_1)
	s_and_b32 vcc_lo, exec_lo, s16
	s_cbranch_vccz .LBB368_101
; %bb.99:
	v_cmp_eq_u16_e32 vcc_lo, 11, v6
	s_mov_b32 s0, -1
	s_cbranch_vccz .LBB368_101
; %bb.100:
	v_cmp_ne_u32_e32 vcc_lo, 0, v0
	s_mov_b32 s0, 0
	s_mov_b32 s11, -1
	v_cndmask_b32_e64 v1, 0, 1, vcc_lo
	global_store_b8 v[2:3], v1, off
.LBB368_101:
	s_branch .LBB368_20
.LBB368_102:
	v_cmp_gt_i16_e32 vcc_lo, 5, v6
	s_mov_b32 s11, -1
	s_cbranch_vccnz .LBB368_123
; %bb.103:
	v_cmp_gt_i16_e32 vcc_lo, 8, v6
	s_cbranch_vccnz .LBB368_113
; %bb.104:
	v_cmp_gt_i16_e32 vcc_lo, 9, v6
	s_cbranch_vccnz .LBB368_110
; %bb.105:
	v_cmp_lt_i16_e32 vcc_lo, 9, v6
	s_cbranch_vccz .LBB368_107
; %bb.106:
	v_cvt_f64_i32_e32 v[7:8], v0
	v_mov_b32_e32 v9, 0
	s_mov_b32 s11, 0
	s_delay_alu instid0(VALU_DEP_1)
	v_mov_b32_e32 v10, v9
	global_store_b128 v[2:3], v[7:10], off
.LBB368_107:
	s_and_not1_b32 vcc_lo, exec_lo, s11
	s_cbranch_vccnz .LBB368_109
; %bb.108:
	v_cvt_f32_i32_e32 v7, v0
	v_mov_b32_e32 v8, 0
	global_store_b64 v[2:3], v[7:8], off
.LBB368_109:
	s_mov_b32 s11, 0
.LBB368_110:
	s_delay_alu instid0(SALU_CYCLE_1)
	s_and_not1_b32 vcc_lo, exec_lo, s11
	s_cbranch_vccnz .LBB368_112
; %bb.111:
	v_cvt_f32_i32_e32 v1, v0
	s_delay_alu instid0(VALU_DEP_1) | instskip(NEXT) | instid1(VALU_DEP_1)
	v_cvt_f16_f32_e32 v1, v1
	v_and_b32_e32 v1, 0xffff, v1
	global_store_b32 v[2:3], v1, off
.LBB368_112:
	s_mov_b32 s11, 0
.LBB368_113:
	s_delay_alu instid0(SALU_CYCLE_1)
	s_and_not1_b32 vcc_lo, exec_lo, s11
	s_cbranch_vccnz .LBB368_122
; %bb.114:
	v_cmp_gt_i16_e32 vcc_lo, 6, v6
	s_mov_b32 s11, -1
	s_cbranch_vccnz .LBB368_120
; %bb.115:
	v_cmp_lt_i16_e32 vcc_lo, 6, v6
	s_cbranch_vccz .LBB368_117
; %bb.116:
	v_cvt_f64_i32_e32 v[7:8], v0
	s_mov_b32 s11, 0
	global_store_b64 v[2:3], v[7:8], off
.LBB368_117:
	s_and_not1_b32 vcc_lo, exec_lo, s11
	s_cbranch_vccnz .LBB368_119
; %bb.118:
	v_cvt_f32_i32_e32 v1, v0
	global_store_b32 v[2:3], v1, off
.LBB368_119:
	s_mov_b32 s11, 0
.LBB368_120:
	s_delay_alu instid0(SALU_CYCLE_1)
	s_and_not1_b32 vcc_lo, exec_lo, s11
	s_cbranch_vccnz .LBB368_122
; %bb.121:
	v_cvt_f32_i32_e32 v1, v0
	s_delay_alu instid0(VALU_DEP_1)
	v_cvt_f16_f32_e32 v1, v1
	global_store_b16 v[2:3], v1, off
.LBB368_122:
	s_mov_b32 s11, 0
.LBB368_123:
	s_delay_alu instid0(SALU_CYCLE_1)
	s_and_not1_b32 vcc_lo, exec_lo, s11
	s_cbranch_vccnz .LBB368_139
; %bb.124:
	v_cmp_gt_i16_e32 vcc_lo, 2, v6
	s_mov_b32 s11, -1
	s_cbranch_vccnz .LBB368_134
; %bb.125:
	v_cmp_gt_i16_e32 vcc_lo, 3, v6
	s_cbranch_vccnz .LBB368_131
; %bb.126:
	v_cmp_lt_i16_e32 vcc_lo, 3, v6
	s_cbranch_vccz .LBB368_128
; %bb.127:
	v_ashrrev_i32_e32 v1, 31, v0
	s_mov_b32 s11, 0
	global_store_b64 v[2:3], v[0:1], off
.LBB368_128:
	s_and_not1_b32 vcc_lo, exec_lo, s11
	s_cbranch_vccnz .LBB368_130
; %bb.129:
	global_store_b32 v[2:3], v0, off
.LBB368_130:
	s_mov_b32 s11, 0
.LBB368_131:
	s_delay_alu instid0(SALU_CYCLE_1)
	s_and_not1_b32 vcc_lo, exec_lo, s11
	s_cbranch_vccnz .LBB368_133
; %bb.132:
	global_store_b16 v[2:3], v0, off
.LBB368_133:
	s_mov_b32 s11, 0
.LBB368_134:
	s_delay_alu instid0(SALU_CYCLE_1)
	s_and_not1_b32 vcc_lo, exec_lo, s11
	s_cbranch_vccnz .LBB368_139
; %bb.135:
	v_cmp_lt_i16_e32 vcc_lo, 0, v6
	s_mov_b32 s11, -1
	s_cbranch_vccz .LBB368_137
; %bb.136:
	s_mov_b32 s11, 0
	global_store_b8 v[2:3], v0, off
.LBB368_137:
	s_and_not1_b32 vcc_lo, exec_lo, s11
	s_cbranch_vccnz .LBB368_139
; %bb.138:
	global_store_b8 v[2:3], v0, off
.LBB368_139:
	s_mov_b32 s11, -1
.LBB368_140:
	v_add_nc_u32_e32 v4, 0x80, v4
	s_mov_b32 s16, -1
	s_branch .LBB368_247
.LBB368_141:
	s_mov_b32 s13, -1
                                        ; implicit-def: $vgpr2
.LBB368_142:
	s_mov_b32 s11, 0
.LBB368_143:
	s_delay_alu instid0(SALU_CYCLE_1)
	s_and_b32 vcc_lo, exec_lo, s11
	s_cbranch_vccz .LBB368_147
; %bb.144:
	v_cmp_eq_u16_e32 vcc_lo, 29, v5
	s_cbranch_vccz .LBB368_146
; %bb.145:
	global_load_b32 v2, v[0:1], off
	s_mov_b32 s0, -1
	s_mov_b32 s13, 0
	s_branch .LBB368_147
.LBB368_146:
	s_mov_b32 s13, -1
                                        ; implicit-def: $vgpr2
.LBB368_147:
	s_mov_b32 s11, 0
.LBB368_148:
	s_delay_alu instid0(SALU_CYCLE_1)
	s_and_b32 vcc_lo, exec_lo, s11
	s_cbranch_vccz .LBB368_164
; %bb.149:
	v_cmp_gt_i16_e32 vcc_lo, 27, v5
	s_cbranch_vccnz .LBB368_152
; %bb.150:
	v_cmp_lt_i16_e32 vcc_lo, 27, v5
	s_cbranch_vccz .LBB368_153
; %bb.151:
	global_load_b32 v2, v[0:1], off
	s_mov_b32 s0, 0
	s_branch .LBB368_154
.LBB368_152:
	s_mov_b32 s0, -1
                                        ; implicit-def: $vgpr2
	s_branch .LBB368_157
.LBB368_153:
	s_mov_b32 s0, -1
                                        ; implicit-def: $vgpr2
.LBB368_154:
	s_delay_alu instid0(SALU_CYCLE_1)
	s_and_not1_b32 vcc_lo, exec_lo, s0
	s_cbranch_vccnz .LBB368_156
; %bb.155:
	global_load_u16 v2, v[0:1], off
.LBB368_156:
	s_mov_b32 s0, 0
.LBB368_157:
	s_delay_alu instid0(SALU_CYCLE_1)
	s_and_not1_b32 vcc_lo, exec_lo, s0
	s_cbranch_vccnz .LBB368_163
; %bb.158:
	global_load_u8 v3, v[0:1], off
	s_mov_b32 s0, 0
	s_mov_b32 s11, exec_lo
                                        ; implicit-def: $sgpr16
	s_waitcnt vmcnt(0)
	v_cmpx_lt_i16_e32 0x7f, v3
	s_xor_b32 s11, exec_lo, s11
	s_cbranch_execz .LBB368_174
; %bb.159:
	v_cmp_ne_u16_e32 vcc_lo, 0x80, v3
	s_mov_b32 s16, 0
	s_and_b32 s0, vcc_lo, exec_lo
	s_or_saveexec_b32 s11, s11
	v_mov_b32_e32 v2, s16
	s_xor_b32 exec_lo, exec_lo, s11
	s_cbranch_execnz .LBB368_175
.LBB368_160:
	s_or_b32 exec_lo, exec_lo, s11
	s_and_saveexec_b32 s11, s0
	s_cbranch_execz .LBB368_162
.LBB368_161:
	v_and_b32_e32 v2, 0xffff, v3
	s_delay_alu instid0(VALU_DEP_1) | instskip(NEXT) | instid1(VALU_DEP_1)
	v_and_b32_e32 v6, 7, v2
	v_clz_i32_u32_e32 v7, v6
	s_delay_alu instid0(VALU_DEP_1) | instskip(NEXT) | instid1(VALU_DEP_1)
	v_min_u32_e32 v7, 32, v7
	v_subrev_nc_u32_e32 v8, 28, v7
	v_sub_nc_u32_e32 v7, 29, v7
	s_delay_alu instid0(VALU_DEP_2) | instskip(SKIP_1) | instid1(VALU_DEP_2)
	v_lshlrev_b32_e32 v8, v8, v2
	v_bfe_u32 v2, v2, 3, 4
	v_and_b32_e32 v8, 7, v8
	s_delay_alu instid0(VALU_DEP_2) | instskip(NEXT) | instid1(VALU_DEP_2)
	v_cmp_eq_u32_e32 vcc_lo, 0, v2
	v_dual_cndmask_b32 v6, v6, v8 :: v_dual_lshlrev_b32 v3, 24, v3
	v_cndmask_b32_e32 v2, v2, v7, vcc_lo
	s_delay_alu instid0(VALU_DEP_2) | instskip(NEXT) | instid1(VALU_DEP_3)
	v_and_b32_e32 v3, 0x80000000, v3
	v_lshlrev_b32_e32 v6, 20, v6
	s_delay_alu instid0(VALU_DEP_3) | instskip(NEXT) | instid1(VALU_DEP_1)
	v_lshl_add_u32 v2, v2, 23, 0x3b800000
	v_or3_b32 v2, v3, v2, v6
	s_delay_alu instid0(VALU_DEP_1)
	v_cvt_i32_f32_e32 v2, v2
.LBB368_162:
	s_or_b32 exec_lo, exec_lo, s11
.LBB368_163:
	s_mov_b32 s0, -1
.LBB368_164:
	s_branch .LBB368_197
.LBB368_165:
	v_cmp_lt_i16_e32 vcc_lo, 22, v5
	s_cbranch_vccz .LBB368_173
; %bb.166:
	v_cmp_gt_i16_e32 vcc_lo, 24, v5
	s_cbranch_vccnz .LBB368_176
; %bb.167:
	v_cmp_lt_i16_e32 vcc_lo, 24, v5
	s_cbranch_vccz .LBB368_177
; %bb.168:
	global_load_u8 v3, v[0:1], off
	s_mov_b32 s0, 0
	s_mov_b32 s11, exec_lo
                                        ; implicit-def: $sgpr16
	s_waitcnt vmcnt(0)
	v_cmpx_lt_i16_e32 0x7f, v3
	s_xor_b32 s11, exec_lo, s11
	s_cbranch_execz .LBB368_189
; %bb.169:
	v_cmp_ne_u16_e32 vcc_lo, 0x80, v3
	s_mov_b32 s16, 0
	s_and_b32 s0, vcc_lo, exec_lo
	s_or_saveexec_b32 s11, s11
	v_mov_b32_e32 v2, s16
	s_xor_b32 exec_lo, exec_lo, s11
	s_cbranch_execnz .LBB368_190
.LBB368_170:
	s_or_b32 exec_lo, exec_lo, s11
	s_and_saveexec_b32 s11, s0
	s_cbranch_execz .LBB368_172
.LBB368_171:
	v_and_b32_e32 v2, 0xffff, v3
	s_delay_alu instid0(VALU_DEP_1) | instskip(NEXT) | instid1(VALU_DEP_1)
	v_and_b32_e32 v6, 3, v2
	v_clz_i32_u32_e32 v7, v6
	s_delay_alu instid0(VALU_DEP_1) | instskip(NEXT) | instid1(VALU_DEP_1)
	v_min_u32_e32 v7, 32, v7
	v_subrev_nc_u32_e32 v8, 29, v7
	v_sub_nc_u32_e32 v7, 30, v7
	s_delay_alu instid0(VALU_DEP_2) | instskip(SKIP_1) | instid1(VALU_DEP_2)
	v_lshlrev_b32_e32 v8, v8, v2
	v_bfe_u32 v2, v2, 2, 5
	v_and_b32_e32 v8, 3, v8
	s_delay_alu instid0(VALU_DEP_2) | instskip(NEXT) | instid1(VALU_DEP_2)
	v_cmp_eq_u32_e32 vcc_lo, 0, v2
	v_dual_cndmask_b32 v6, v6, v8 :: v_dual_lshlrev_b32 v3, 24, v3
	v_cndmask_b32_e32 v2, v2, v7, vcc_lo
	s_delay_alu instid0(VALU_DEP_2) | instskip(NEXT) | instid1(VALU_DEP_3)
	v_and_b32_e32 v3, 0x80000000, v3
	v_lshlrev_b32_e32 v6, 21, v6
	s_delay_alu instid0(VALU_DEP_3) | instskip(NEXT) | instid1(VALU_DEP_1)
	v_lshl_add_u32 v2, v2, 23, 0x37800000
	v_or3_b32 v2, v3, v2, v6
	s_delay_alu instid0(VALU_DEP_1)
	v_cvt_i32_f32_e32 v2, v2
.LBB368_172:
	s_or_b32 exec_lo, exec_lo, s11
	s_mov_b32 s0, 0
	s_branch .LBB368_178
.LBB368_173:
	s_mov_b32 s11, -1
                                        ; implicit-def: $vgpr2
	s_branch .LBB368_184
.LBB368_174:
	s_or_saveexec_b32 s11, s11
	v_mov_b32_e32 v2, s16
	s_xor_b32 exec_lo, exec_lo, s11
	s_cbranch_execz .LBB368_160
.LBB368_175:
	v_cmp_ne_u16_e32 vcc_lo, 0, v3
	v_mov_b32_e32 v2, 0
	s_and_not1_b32 s0, s0, exec_lo
	s_and_b32 s16, vcc_lo, exec_lo
	s_delay_alu instid0(SALU_CYCLE_1)
	s_or_b32 s0, s0, s16
	s_or_b32 exec_lo, exec_lo, s11
	s_and_saveexec_b32 s11, s0
	s_cbranch_execnz .LBB368_161
	s_branch .LBB368_162
.LBB368_176:
	s_mov_b32 s0, -1
                                        ; implicit-def: $vgpr2
	s_branch .LBB368_181
.LBB368_177:
	s_mov_b32 s0, -1
                                        ; implicit-def: $vgpr2
.LBB368_178:
	s_delay_alu instid0(SALU_CYCLE_1)
	s_and_b32 vcc_lo, exec_lo, s0
	s_cbranch_vccz .LBB368_180
; %bb.179:
	global_load_u8 v2, v[0:1], off
	s_waitcnt vmcnt(0)
	v_lshlrev_b32_e32 v2, 24, v2
	s_delay_alu instid0(VALU_DEP_1) | instskip(NEXT) | instid1(VALU_DEP_1)
	v_and_b32_e32 v3, 0x7f000000, v2
	v_clz_i32_u32_e32 v6, v3
	v_cmp_ne_u32_e32 vcc_lo, 0, v3
	v_add_nc_u32_e32 v8, 0x1000000, v3
	s_delay_alu instid0(VALU_DEP_3) | instskip(NEXT) | instid1(VALU_DEP_1)
	v_min_u32_e32 v6, 32, v6
	v_sub_nc_u32_e64 v6, v6, 4 clamp
	s_delay_alu instid0(VALU_DEP_1) | instskip(SKIP_1) | instid1(VALU_DEP_2)
	v_lshlrev_b32_e32 v7, v6, v3
	v_lshlrev_b32_e32 v6, 23, v6
	v_lshrrev_b32_e32 v7, 4, v7
	s_delay_alu instid0(VALU_DEP_1) | instskip(SKIP_1) | instid1(VALU_DEP_2)
	v_sub_nc_u32_e32 v6, v7, v6
	v_ashrrev_i32_e32 v7, 8, v8
	v_add_nc_u32_e32 v6, 0x3c000000, v6
	s_delay_alu instid0(VALU_DEP_1) | instskip(NEXT) | instid1(VALU_DEP_1)
	v_and_or_b32 v6, 0x7f800000, v7, v6
	v_cndmask_b32_e32 v3, 0, v6, vcc_lo
	s_delay_alu instid0(VALU_DEP_1) | instskip(NEXT) | instid1(VALU_DEP_1)
	v_and_or_b32 v2, 0x80000000, v2, v3
	v_cvt_i32_f32_e32 v2, v2
.LBB368_180:
	s_mov_b32 s0, 0
.LBB368_181:
	s_delay_alu instid0(SALU_CYCLE_1)
	s_and_not1_b32 vcc_lo, exec_lo, s0
	s_cbranch_vccnz .LBB368_183
; %bb.182:
	global_load_u8 v2, v[0:1], off
	s_waitcnt vmcnt(0)
	v_lshlrev_b32_e32 v3, 25, v2
	v_lshlrev_b16 v2, 8, v2
	s_delay_alu instid0(VALU_DEP_2) | instskip(NEXT) | instid1(VALU_DEP_2)
	v_lshrrev_b32_e32 v6, 4, v3
	v_and_or_b32 v7, 0x7f00, v2, 0.5
	v_cmp_gt_u32_e32 vcc_lo, 0x8000000, v3
	v_bfe_i32 v2, v2, 0, 16
	s_delay_alu instid0(VALU_DEP_4) | instskip(NEXT) | instid1(VALU_DEP_1)
	v_or_b32_e32 v6, 0x70000000, v6
	v_dual_add_f32 v7, -0.5, v7 :: v_dual_mul_f32 v6, 0x7800000, v6
	s_delay_alu instid0(VALU_DEP_1) | instskip(NEXT) | instid1(VALU_DEP_1)
	v_cndmask_b32_e32 v3, v6, v7, vcc_lo
	v_and_or_b32 v2, 0x80000000, v2, v3
	s_delay_alu instid0(VALU_DEP_1)
	v_cvt_i32_f32_e32 v2, v2
.LBB368_183:
	s_mov_b32 s11, 0
	s_mov_b32 s0, -1
.LBB368_184:
	s_and_not1_b32 vcc_lo, exec_lo, s11
	s_cbranch_vccnz .LBB368_197
; %bb.185:
	v_cmp_lt_i16_e32 vcc_lo, 14, v5
	s_cbranch_vccz .LBB368_188
; %bb.186:
	v_cmp_eq_u16_e32 vcc_lo, 15, v5
	s_cbranch_vccz .LBB368_191
; %bb.187:
	global_load_u16 v2, v[0:1], off
	s_mov_b32 s0, -1
	s_mov_b32 s13, 0
	s_waitcnt vmcnt(0)
	v_lshlrev_b32_e32 v2, 16, v2
	s_delay_alu instid0(VALU_DEP_1)
	v_cvt_i32_f32_e32 v2, v2
	s_branch .LBB368_192
.LBB368_188:
	s_mov_b32 s11, -1
                                        ; implicit-def: $vgpr2
	s_branch .LBB368_193
.LBB368_189:
	s_or_saveexec_b32 s11, s11
	v_mov_b32_e32 v2, s16
	s_xor_b32 exec_lo, exec_lo, s11
	s_cbranch_execz .LBB368_170
.LBB368_190:
	v_cmp_ne_u16_e32 vcc_lo, 0, v3
	v_mov_b32_e32 v2, 0
	s_and_not1_b32 s0, s0, exec_lo
	s_and_b32 s16, vcc_lo, exec_lo
	s_delay_alu instid0(SALU_CYCLE_1)
	s_or_b32 s0, s0, s16
	s_or_b32 exec_lo, exec_lo, s11
	s_and_saveexec_b32 s11, s0
	s_cbranch_execnz .LBB368_171
	s_branch .LBB368_172
.LBB368_191:
	s_mov_b32 s13, -1
                                        ; implicit-def: $vgpr2
.LBB368_192:
	s_mov_b32 s11, 0
.LBB368_193:
	s_delay_alu instid0(SALU_CYCLE_1)
	s_and_b32 vcc_lo, exec_lo, s11
	s_cbranch_vccz .LBB368_197
; %bb.194:
	v_cmp_eq_u16_e32 vcc_lo, 11, v5
	s_cbranch_vccz .LBB368_196
; %bb.195:
	global_load_u8 v2, v[0:1], off
	s_mov_b32 s13, 0
	s_mov_b32 s0, -1
	s_waitcnt vmcnt(0)
	v_cmp_ne_u16_e32 vcc_lo, 0, v2
	v_cndmask_b32_e64 v2, 0, 1, vcc_lo
	s_branch .LBB368_197
.LBB368_196:
	s_mov_b32 s13, -1
                                        ; implicit-def: $vgpr2
.LBB368_197:
	s_branch .LBB368_10
.LBB368_198:
	v_cmp_gt_i16_e32 vcc_lo, 5, v5
	s_cbranch_vccnz .LBB368_203
; %bb.199:
	v_cmp_gt_i16_e32 vcc_lo, 8, v5
	s_cbranch_vccnz .LBB368_204
; %bb.200:
	;; [unrolled: 3-line block ×3, first 2 shown]
	v_cmp_lt_i16_e32 vcc_lo, 9, v5
	s_cbranch_vccz .LBB368_206
; %bb.202:
	global_load_b64 v[2:3], v[0:1], off
	s_mov_b32 s0, 0
	s_waitcnt vmcnt(0)
	v_cvt_i32_f64_e32 v2, v[2:3]
	s_branch .LBB368_207
.LBB368_203:
                                        ; implicit-def: $vgpr2
	s_branch .LBB368_225
.LBB368_204:
	s_mov_b32 s0, -1
                                        ; implicit-def: $vgpr2
	s_branch .LBB368_213
.LBB368_205:
	s_mov_b32 s0, -1
                                        ; implicit-def: $vgpr2
	s_branch .LBB368_210
.LBB368_206:
	s_mov_b32 s0, -1
                                        ; implicit-def: $vgpr2
.LBB368_207:
	s_delay_alu instid0(SALU_CYCLE_1)
	s_and_not1_b32 vcc_lo, exec_lo, s0
	s_cbranch_vccnz .LBB368_209
; %bb.208:
	global_load_b32 v2, v[0:1], off
	s_waitcnt vmcnt(0)
	v_cvt_i32_f32_e32 v2, v2
.LBB368_209:
	s_mov_b32 s0, 0
.LBB368_210:
	s_delay_alu instid0(SALU_CYCLE_1)
	s_and_not1_b32 vcc_lo, exec_lo, s0
	s_cbranch_vccnz .LBB368_212
; %bb.211:
	global_load_b32 v2, v[0:1], off
	s_waitcnt vmcnt(0)
	v_cvt_f32_f16_e32 v2, v2
	s_delay_alu instid0(VALU_DEP_1)
	v_cvt_i32_f32_e32 v2, v2
.LBB368_212:
	s_mov_b32 s0, 0
.LBB368_213:
	s_delay_alu instid0(SALU_CYCLE_1)
	s_and_not1_b32 vcc_lo, exec_lo, s0
	s_cbranch_vccnz .LBB368_224
; %bb.214:
	v_cmp_gt_i16_e32 vcc_lo, 6, v5
	s_cbranch_vccnz .LBB368_217
; %bb.215:
	v_cmp_lt_i16_e32 vcc_lo, 6, v5
	s_cbranch_vccz .LBB368_218
; %bb.216:
	global_load_b64 v[2:3], v[0:1], off
	s_mov_b32 s0, 0
	s_waitcnt vmcnt(0)
	v_cvt_i32_f64_e32 v2, v[2:3]
	s_branch .LBB368_219
.LBB368_217:
	s_mov_b32 s0, -1
                                        ; implicit-def: $vgpr2
	s_branch .LBB368_222
.LBB368_218:
	s_mov_b32 s0, -1
                                        ; implicit-def: $vgpr2
.LBB368_219:
	s_delay_alu instid0(SALU_CYCLE_1)
	s_and_not1_b32 vcc_lo, exec_lo, s0
	s_cbranch_vccnz .LBB368_221
; %bb.220:
	global_load_b32 v2, v[0:1], off
	s_waitcnt vmcnt(0)
	v_cvt_i32_f32_e32 v2, v2
.LBB368_221:
	s_mov_b32 s0, 0
.LBB368_222:
	s_delay_alu instid0(SALU_CYCLE_1)
	s_and_not1_b32 vcc_lo, exec_lo, s0
	s_cbranch_vccnz .LBB368_224
; %bb.223:
	global_load_u16 v2, v[0:1], off
	s_waitcnt vmcnt(0)
	v_cvt_f32_f16_e32 v2, v2
	s_delay_alu instid0(VALU_DEP_1)
	v_cvt_i32_f32_e32 v2, v2
.LBB368_224:
	s_cbranch_execnz .LBB368_244
.LBB368_225:
	v_cmp_gt_i16_e32 vcc_lo, 2, v5
	s_cbranch_vccnz .LBB368_229
; %bb.226:
	v_cmp_gt_i16_e32 vcc_lo, 3, v5
	s_cbranch_vccnz .LBB368_230
; %bb.227:
	v_cmp_lt_i16_e32 vcc_lo, 3, v5
	s_cbranch_vccz .LBB368_231
; %bb.228:
	global_load_b32 v2, v[0:1], off
	s_mov_b32 s0, 0
	s_branch .LBB368_232
.LBB368_229:
	s_mov_b32 s0, -1
                                        ; implicit-def: $vgpr2
	s_branch .LBB368_238
.LBB368_230:
	s_mov_b32 s0, -1
                                        ; implicit-def: $vgpr2
	s_branch .LBB368_235
.LBB368_231:
	s_mov_b32 s0, -1
                                        ; implicit-def: $vgpr2
.LBB368_232:
	s_delay_alu instid0(SALU_CYCLE_1)
	s_and_not1_b32 vcc_lo, exec_lo, s0
	s_cbranch_vccnz .LBB368_234
; %bb.233:
	global_load_b32 v2, v[0:1], off
.LBB368_234:
	s_mov_b32 s0, 0
.LBB368_235:
	s_delay_alu instid0(SALU_CYCLE_1)
	s_and_not1_b32 vcc_lo, exec_lo, s0
	s_cbranch_vccnz .LBB368_237
; %bb.236:
	global_load_i16 v2, v[0:1], off
.LBB368_237:
	s_mov_b32 s0, 0
.LBB368_238:
	s_delay_alu instid0(SALU_CYCLE_1)
	s_and_not1_b32 vcc_lo, exec_lo, s0
	s_cbranch_vccnz .LBB368_244
; %bb.239:
	v_cmp_lt_i16_e32 vcc_lo, 0, v5
	s_mov_b32 s0, 0
	s_cbranch_vccz .LBB368_241
; %bb.240:
	global_load_i8 v2, v[0:1], off
	s_branch .LBB368_242
.LBB368_241:
	s_mov_b32 s0, -1
                                        ; implicit-def: $vgpr2
.LBB368_242:
	s_delay_alu instid0(SALU_CYCLE_1)
	s_and_not1_b32 vcc_lo, exec_lo, s0
	s_cbranch_vccnz .LBB368_244
; %bb.243:
	global_load_u8 v2, v[0:1], off
.LBB368_244:
	s_branch .LBB368_11
.LBB368_245:
	s_mov_b32 s0, 0
.LBB368_246:
	s_mov_b32 s16, 0
                                        ; implicit-def: $vgpr4
.LBB368_247:
	s_and_b32 s11, s0, exec_lo
	s_and_b32 s13, s13, exec_lo
	s_or_not1_b32 s17, s16, exec_lo
.LBB368_248:
	s_or_b32 exec_lo, exec_lo, s14
	s_mov_b32 s16, 0
	s_mov_b32 s0, 0
                                        ; implicit-def: $vgpr0_vgpr1
                                        ; implicit-def: $vgpr6
	s_and_saveexec_b32 s14, s17
	s_cbranch_execz .LBB368_844
; %bb.249:
	s_mov_b32 s19, -1
	s_mov_b32 s15, s13
	s_mov_b32 s16, s11
	s_mov_b32 s17, exec_lo
	v_cmpx_gt_i32_e64 s12, v4
	s_cbranch_execz .LBB368_504
; %bb.250:
	v_mul_lo_u32 v0, v4, s9
	v_cmp_gt_i16_e32 vcc_lo, 11, v5
	s_delay_alu instid0(VALU_DEP_2) | instskip(SKIP_1) | instid1(VALU_DEP_1)
	v_ashrrev_i32_e32 v1, 31, v0
	v_add_co_u32 v0, s0, s6, v0
	v_add_co_ci_u32_e64 v1, s0, s7, v1, s0
	s_cbranch_vccnz .LBB368_257
; %bb.251:
	v_cmp_lt_i16_e32 vcc_lo, 25, v5
	s_cbranch_vccz .LBB368_266
; %bb.252:
	v_cmp_lt_i16_e32 vcc_lo, 28, v5
	s_cbranch_vccz .LBB368_268
	;; [unrolled: 3-line block ×4, first 2 shown]
; %bb.255:
	v_cmp_eq_u16_e32 vcc_lo, 46, v5
	s_mov_b32 s16, 0
	s_cbranch_vccz .LBB368_278
; %bb.256:
	global_load_b32 v2, v[0:1], off
	s_mov_b32 s0, -1
	s_mov_b32 s15, 0
	s_waitcnt vmcnt(0)
	v_lshlrev_b32_e32 v2, 16, v2
	s_delay_alu instid0(VALU_DEP_1)
	v_cvt_i32_f32_e32 v2, v2
	s_branch .LBB368_280
.LBB368_257:
	s_mov_b32 s0, 0
	s_mov_b32 s15, s13
                                        ; implicit-def: $vgpr2
	s_cbranch_execnz .LBB368_453
.LBB368_258:
	s_and_not1_b32 vcc_lo, exec_lo, s0
	s_cbranch_vccnz .LBB368_501
.LBB368_259:
	v_mul_lo_u32 v1, v4, s8
	v_and_b32_e64 v6, 0xff, s2
	s_waitcnt vmcnt(0)
	s_delay_alu instid0(VALU_DEP_3) | instskip(NEXT) | instid1(VALU_DEP_2)
	v_max_i32_e32 v0, s10, v2
	v_cmp_gt_i16_e32 vcc_lo, 11, v6
	s_delay_alu instid0(VALU_DEP_4) | instskip(SKIP_1) | instid1(VALU_DEP_1)
	v_ashrrev_i32_e32 v3, 31, v1
	v_add_co_u32 v2, s0, s4, v1
	v_add_co_ci_u32_e64 v3, s0, s5, v3, s0
	s_cbranch_vccnz .LBB368_267
; %bb.260:
	v_cmp_lt_i16_e32 vcc_lo, 25, v6
	s_cbranch_vccz .LBB368_269
; %bb.261:
	v_cmp_lt_i16_e32 vcc_lo, 28, v6
	s_cbranch_vccz .LBB368_271
	;; [unrolled: 3-line block ×4, first 2 shown]
; %bb.264:
	v_cmp_eq_u16_e32 vcc_lo, 46, v6
	s_mov_b32 s18, 0
	s_mov_b32 s0, -1
	s_mov_b32 s16, 0
	s_cbranch_vccz .LBB368_284
; %bb.265:
	v_cvt_f32_i32_e32 v1, v0
	s_mov_b32 s16, -1
	s_mov_b32 s0, 0
	s_delay_alu instid0(VALU_DEP_1) | instskip(NEXT) | instid1(VALU_DEP_1)
	v_bfe_u32 v7, v1, 16, 1
	v_add3_u32 v1, v1, v7, 0x7fff
	s_delay_alu instid0(VALU_DEP_1)
	v_lshrrev_b32_e32 v1, 16, v1
	global_store_b32 v[2:3], v1, off
	s_branch .LBB368_284
.LBB368_266:
	s_mov_b32 s16, -1
	s_mov_b32 s0, 0
	s_mov_b32 s15, s13
                                        ; implicit-def: $vgpr2
	s_branch .LBB368_419
.LBB368_267:
	s_mov_b32 s18, -1
	s_mov_b32 s16, 0
	s_mov_b32 s0, s11
	s_branch .LBB368_353
.LBB368_268:
	s_mov_b32 s16, -1
	s_mov_b32 s0, 0
	s_mov_b32 s15, s13
                                        ; implicit-def: $vgpr2
	s_branch .LBB368_402
.LBB368_269:
	s_mov_b32 s18, -1
	s_mov_b32 s16, 0
	s_mov_b32 s0, s11
	s_branch .LBB368_311
.LBB368_270:
	s_mov_b32 s16, -1
	s_mov_b32 s0, 0
	s_mov_b32 s15, s13
                                        ; implicit-def: $vgpr2
	s_branch .LBB368_397
.LBB368_271:
	s_mov_b32 s18, -1
	s_mov_b32 s16, 0
	s_mov_b32 s0, s11
	s_branch .LBB368_294
.LBB368_272:
	s_or_saveexec_b32 s17, s17
                                        ; implicit-def: $sgpr18
	s_delay_alu instid0(SALU_CYCLE_1)
	s_xor_b32 exec_lo, exec_lo, s17
	s_cbranch_execz .LBB368_54
.LBB368_273:
	v_add_f32_e64 v7, 0x46000000, |v1|
	s_and_not1_b32 s16, s16, exec_lo
	s_mov_b32 s18, 0
	s_delay_alu instid0(VALU_DEP_1) | instskip(NEXT) | instid1(VALU_DEP_1)
	v_and_b32_e32 v7, 0xff, v7
	v_cmp_ne_u32_e32 vcc_lo, 0, v7
	s_and_b32 s19, vcc_lo, exec_lo
	s_delay_alu instid0(SALU_CYCLE_1)
	s_or_b32 s16, s16, s19
	s_or_b32 exec_lo, exec_lo, s17
	v_mov_b32_e32 v8, s18
	s_and_saveexec_b32 s17, s16
	s_cbranch_execnz .LBB368_55
	s_branch .LBB368_56
.LBB368_274:
	s_mov_b32 s16, -1
	s_mov_b32 s0, 0
	s_mov_b32 s15, s13
	s_branch .LBB368_279
.LBB368_275:
	s_mov_b32 s18, -1
	s_mov_b32 s16, 0
	s_mov_b32 s0, s11
	s_branch .LBB368_290
.LBB368_276:
	s_or_saveexec_b32 s17, s17
                                        ; implicit-def: $sgpr18
	s_delay_alu instid0(SALU_CYCLE_1)
	s_xor_b32 exec_lo, exec_lo, s17
	s_cbranch_execz .LBB368_67
.LBB368_277:
	v_add_f32_e64 v7, 0x42800000, |v1|
	s_and_not1_b32 s16, s16, exec_lo
	s_mov_b32 s18, 0
	s_delay_alu instid0(VALU_DEP_1) | instskip(NEXT) | instid1(VALU_DEP_1)
	v_and_b32_e32 v7, 0xff, v7
	v_cmp_ne_u32_e32 vcc_lo, 0, v7
	s_and_b32 s19, vcc_lo, exec_lo
	s_delay_alu instid0(SALU_CYCLE_1)
	s_or_b32 s16, s16, s19
	s_or_b32 exec_lo, exec_lo, s17
	v_mov_b32_e32 v8, s18
	s_and_saveexec_b32 s17, s16
	s_cbranch_execnz .LBB368_68
	s_branch .LBB368_69
.LBB368_278:
	s_mov_b32 s15, -1
	s_mov_b32 s0, 0
.LBB368_279:
                                        ; implicit-def: $vgpr2
.LBB368_280:
	s_and_b32 vcc_lo, exec_lo, s16
	s_cbranch_vccz .LBB368_396
; %bb.281:
	v_cmp_eq_u16_e32 vcc_lo, 44, v5
	s_cbranch_vccz .LBB368_395
; %bb.282:
	global_load_u8 v2, v[0:1], off
	s_mov_b32 s15, 0
	s_mov_b32 s0, -1
	s_waitcnt vmcnt(0)
	v_lshlrev_b32_e32 v3, 23, v2
	v_cmp_ne_u32_e32 vcc_lo, 0, v2
	s_delay_alu instid0(VALU_DEP_2) | instskip(NEXT) | instid1(VALU_DEP_1)
	v_cvt_i32_f32_e32 v3, v3
	v_cndmask_b32_e32 v2, 0, v3, vcc_lo
	s_branch .LBB368_396
.LBB368_283:
	s_mov_b32 s18, -1
	s_mov_b32 s16, 0
	s_mov_b32 s0, s11
.LBB368_284:
	s_and_b32 vcc_lo, exec_lo, s18
	s_cbranch_vccz .LBB368_289
; %bb.285:
	v_cmp_eq_u16_e32 vcc_lo, 44, v6
	s_mov_b32 s0, -1
	s_cbranch_vccz .LBB368_289
; %bb.286:
	v_cvt_f32_i32_e32 v1, v0
	v_mov_b32_e32 v7, 0xff
	s_mov_b32 s16, exec_lo
	s_delay_alu instid0(VALU_DEP_2) | instskip(NEXT) | instid1(VALU_DEP_1)
	v_bfe_u32 v8, v1, 23, 8
	v_cmpx_ne_u32_e32 0xff, v8
; %bb.287:
	v_and_b32_e32 v7, 0x400000, v1
	v_and_or_b32 v8, 0x3fffff, v1, v8
	v_lshrrev_b32_e32 v1, 23, v1
	s_delay_alu instid0(VALU_DEP_3) | instskip(NEXT) | instid1(VALU_DEP_3)
	v_cmp_ne_u32_e32 vcc_lo, 0, v7
	v_cmp_ne_u32_e64 s0, 0, v8
	s_delay_alu instid0(VALU_DEP_1) | instskip(NEXT) | instid1(SALU_CYCLE_1)
	s_and_b32 s0, vcc_lo, s0
	v_cndmask_b32_e64 v7, 0, 1, s0
	s_delay_alu instid0(VALU_DEP_1)
	v_add_nc_u32_e32 v7, v1, v7
; %bb.288:
	s_or_b32 exec_lo, exec_lo, s16
	s_mov_b32 s16, -1
	s_mov_b32 s0, 0
	global_store_b8 v[2:3], v7, off
.LBB368_289:
	s_mov_b32 s18, 0
.LBB368_290:
	s_delay_alu instid0(SALU_CYCLE_1)
	s_and_b32 vcc_lo, exec_lo, s18
	s_cbranch_vccz .LBB368_293
; %bb.291:
	v_cmp_eq_u16_e32 vcc_lo, 29, v6
	s_mov_b32 s0, -1
	s_cbranch_vccz .LBB368_293
; %bb.292:
	v_ashrrev_i32_e32 v1, 31, v0
	s_mov_b32 s16, -1
	s_mov_b32 s0, 0
	s_mov_b32 s18, 0
	global_store_b64 v[2:3], v[0:1], off
	s_branch .LBB368_294
.LBB368_293:
	s_mov_b32 s18, 0
.LBB368_294:
	s_delay_alu instid0(SALU_CYCLE_1)
	s_and_b32 vcc_lo, exec_lo, s18
	s_cbranch_vccz .LBB368_310
; %bb.295:
	v_cmp_gt_i16_e32 vcc_lo, 27, v6
	s_mov_b32 s16, -1
	s_cbranch_vccnz .LBB368_301
; %bb.296:
	v_cmp_lt_i16_e32 vcc_lo, 27, v6
	s_cbranch_vccz .LBB368_298
; %bb.297:
	s_mov_b32 s16, 0
	global_store_b32 v[2:3], v0, off
.LBB368_298:
	s_and_not1_b32 vcc_lo, exec_lo, s16
	s_cbranch_vccnz .LBB368_300
; %bb.299:
	global_store_b16 v[2:3], v0, off
.LBB368_300:
	s_mov_b32 s16, 0
.LBB368_301:
	s_delay_alu instid0(SALU_CYCLE_1)
	s_and_not1_b32 vcc_lo, exec_lo, s16
	s_cbranch_vccnz .LBB368_309
; %bb.302:
	v_cvt_f32_i32_e32 v1, v0
	v_mov_b32_e32 v8, 0x80
	s_mov_b32 s16, exec_lo
	s_delay_alu instid0(VALU_DEP_2) | instskip(NEXT) | instid1(VALU_DEP_1)
	v_and_b32_e32 v7, 0x7fffffff, v1
	v_cmpx_gt_u32_e32 0x43800000, v7
	s_cbranch_execz .LBB368_308
; %bb.303:
	v_cmp_lt_u32_e32 vcc_lo, 0x3bffffff, v7
	s_mov_b32 s18, 0
                                        ; implicit-def: $vgpr7
	s_and_saveexec_b32 s19, vcc_lo
	s_delay_alu instid0(SALU_CYCLE_1)
	s_xor_b32 s19, exec_lo, s19
	s_cbranch_execz .LBB368_517
; %bb.304:
	v_bfe_u32 v7, v1, 20, 1
	s_mov_b32 s18, exec_lo
	s_delay_alu instid0(VALU_DEP_1) | instskip(NEXT) | instid1(VALU_DEP_1)
	v_add3_u32 v7, v1, v7, 0x487ffff
	v_lshrrev_b32_e32 v7, 20, v7
	s_or_saveexec_b32 s19, s19
                                        ; implicit-def: $sgpr20
	s_delay_alu instid0(SALU_CYCLE_1)
	s_xor_b32 exec_lo, exec_lo, s19
	s_cbranch_execnz .LBB368_518
.LBB368_305:
	s_or_b32 exec_lo, exec_lo, s19
	v_mov_b32_e32 v8, s20
	s_and_saveexec_b32 s19, s18
.LBB368_306:
	v_lshrrev_b32_e32 v1, 24, v1
	s_delay_alu instid0(VALU_DEP_1)
	v_and_or_b32 v8, 0x80, v1, v7
.LBB368_307:
	s_or_b32 exec_lo, exec_lo, s19
.LBB368_308:
	s_delay_alu instid0(SALU_CYCLE_1)
	s_or_b32 exec_lo, exec_lo, s16
	global_store_b8 v[2:3], v8, off
.LBB368_309:
	s_mov_b32 s16, -1
.LBB368_310:
	s_mov_b32 s18, 0
.LBB368_311:
	s_delay_alu instid0(SALU_CYCLE_1)
	s_and_b32 vcc_lo, exec_lo, s18
	s_cbranch_vccz .LBB368_352
; %bb.312:
	v_cmp_lt_i16_e32 vcc_lo, 22, v6
	s_mov_b32 s18, -1
	s_cbranch_vccz .LBB368_344
; %bb.313:
	v_cmp_gt_i16_e32 vcc_lo, 24, v6
	s_mov_b32 s16, -1
	s_cbranch_vccnz .LBB368_333
; %bb.314:
	v_cmp_lt_i16_e32 vcc_lo, 24, v6
	s_cbranch_vccz .LBB368_322
; %bb.315:
	v_cvt_f32_i32_e32 v1, v0
	v_mov_b32_e32 v8, 0x80
	s_mov_b32 s16, exec_lo
	s_delay_alu instid0(VALU_DEP_2) | instskip(NEXT) | instid1(VALU_DEP_1)
	v_and_b32_e32 v7, 0x7fffffff, v1
	v_cmpx_gt_u32_e32 0x47800000, v7
	s_cbranch_execz .LBB368_321
; %bb.316:
	v_cmp_lt_u32_e32 vcc_lo, 0x37ffffff, v7
	s_mov_b32 s18, 0
                                        ; implicit-def: $vgpr7
	s_and_saveexec_b32 s19, vcc_lo
	s_delay_alu instid0(SALU_CYCLE_1)
	s_xor_b32 s19, exec_lo, s19
	s_cbranch_execz .LBB368_520
; %bb.317:
	v_bfe_u32 v7, v1, 21, 1
	s_mov_b32 s18, exec_lo
	s_delay_alu instid0(VALU_DEP_1) | instskip(NEXT) | instid1(VALU_DEP_1)
	v_add3_u32 v7, v1, v7, 0x88fffff
	v_lshrrev_b32_e32 v7, 21, v7
	s_or_saveexec_b32 s19, s19
                                        ; implicit-def: $sgpr20
	s_delay_alu instid0(SALU_CYCLE_1)
	s_xor_b32 exec_lo, exec_lo, s19
	s_cbranch_execnz .LBB368_521
.LBB368_318:
	s_or_b32 exec_lo, exec_lo, s19
	v_mov_b32_e32 v8, s20
	s_and_saveexec_b32 s19, s18
.LBB368_319:
	v_lshrrev_b32_e32 v1, 24, v1
	s_delay_alu instid0(VALU_DEP_1)
	v_and_or_b32 v8, 0x80, v1, v7
.LBB368_320:
	s_or_b32 exec_lo, exec_lo, s19
.LBB368_321:
	s_delay_alu instid0(SALU_CYCLE_1)
	s_or_b32 exec_lo, exec_lo, s16
	s_mov_b32 s16, 0
	global_store_b8 v[2:3], v8, off
.LBB368_322:
	s_and_b32 vcc_lo, exec_lo, s16
	s_cbranch_vccz .LBB368_332
; %bb.323:
	v_cvt_f32_i32_e32 v1, v0
	s_mov_b32 s16, exec_lo
                                        ; implicit-def: $vgpr7
	s_delay_alu instid0(VALU_DEP_1) | instskip(NEXT) | instid1(VALU_DEP_1)
	v_and_b32_e32 v8, 0x7fffffff, v1
	v_cmpx_gt_u32_e32 0x43f00000, v8
	s_xor_b32 s16, exec_lo, s16
	s_cbranch_execz .LBB368_329
; %bb.324:
	s_mov_b32 s18, exec_lo
                                        ; implicit-def: $vgpr7
	v_cmpx_lt_u32_e32 0x3c7fffff, v8
	s_xor_b32 s18, exec_lo, s18
; %bb.325:
	v_bfe_u32 v7, v1, 20, 1
	s_delay_alu instid0(VALU_DEP_1) | instskip(NEXT) | instid1(VALU_DEP_1)
	v_add3_u32 v7, v1, v7, 0x407ffff
	v_and_b32_e32 v8, 0xff00000, v7
	v_lshrrev_b32_e32 v7, 20, v7
	s_delay_alu instid0(VALU_DEP_2) | instskip(NEXT) | instid1(VALU_DEP_2)
	v_cmp_ne_u32_e32 vcc_lo, 0x7f00000, v8
	v_cndmask_b32_e32 v7, 0x7e, v7, vcc_lo
; %bb.326:
	s_and_not1_saveexec_b32 s18, s18
; %bb.327:
	v_add_f32_e64 v7, 0x46800000, |v1|
; %bb.328:
	s_or_b32 exec_lo, exec_lo, s18
                                        ; implicit-def: $vgpr8
.LBB368_329:
	s_and_not1_saveexec_b32 s16, s16
; %bb.330:
	v_mov_b32_e32 v7, 0x7f
	v_cmp_lt_u32_e32 vcc_lo, 0x7f800000, v8
	s_delay_alu instid0(VALU_DEP_2)
	v_cndmask_b32_e32 v7, 0x7e, v7, vcc_lo
; %bb.331:
	s_or_b32 exec_lo, exec_lo, s16
	v_lshrrev_b32_e32 v1, 24, v1
	s_delay_alu instid0(VALU_DEP_1)
	v_and_or_b32 v1, 0x80, v1, v7
	global_store_b8 v[2:3], v1, off
.LBB368_332:
	s_mov_b32 s16, 0
.LBB368_333:
	s_delay_alu instid0(SALU_CYCLE_1)
	s_and_not1_b32 vcc_lo, exec_lo, s16
	s_cbranch_vccnz .LBB368_343
; %bb.334:
	v_cvt_f32_i32_e32 v1, v0
	s_mov_b32 s16, exec_lo
                                        ; implicit-def: $vgpr7
	s_delay_alu instid0(VALU_DEP_1) | instskip(NEXT) | instid1(VALU_DEP_1)
	v_and_b32_e32 v8, 0x7fffffff, v1
	v_cmpx_gt_u32_e32 0x47800000, v8
	s_xor_b32 s16, exec_lo, s16
	s_cbranch_execz .LBB368_340
; %bb.335:
	s_mov_b32 s18, exec_lo
                                        ; implicit-def: $vgpr7
	v_cmpx_lt_u32_e32 0x387fffff, v8
	s_xor_b32 s18, exec_lo, s18
; %bb.336:
	v_bfe_u32 v7, v1, 21, 1
	s_delay_alu instid0(VALU_DEP_1) | instskip(NEXT) | instid1(VALU_DEP_1)
	v_add3_u32 v7, v1, v7, 0x80fffff
	v_lshrrev_b32_e32 v7, 21, v7
; %bb.337:
	s_and_not1_saveexec_b32 s18, s18
; %bb.338:
	v_add_f32_e64 v7, 0x43000000, |v1|
; %bb.339:
	s_or_b32 exec_lo, exec_lo, s18
                                        ; implicit-def: $vgpr8
.LBB368_340:
	s_and_not1_saveexec_b32 s16, s16
; %bb.341:
	v_mov_b32_e32 v7, 0x7f
	v_cmp_lt_u32_e32 vcc_lo, 0x7f800000, v8
	s_delay_alu instid0(VALU_DEP_2)
	v_cndmask_b32_e32 v7, 0x7c, v7, vcc_lo
; %bb.342:
	s_or_b32 exec_lo, exec_lo, s16
	v_lshrrev_b32_e32 v1, 24, v1
	s_delay_alu instid0(VALU_DEP_1)
	v_and_or_b32 v1, 0x80, v1, v7
	global_store_b8 v[2:3], v1, off
.LBB368_343:
	s_mov_b32 s18, 0
	s_mov_b32 s16, -1
.LBB368_344:
	s_and_not1_b32 vcc_lo, exec_lo, s18
	s_cbranch_vccnz .LBB368_352
; %bb.345:
	v_cmp_lt_i16_e32 vcc_lo, 14, v6
	s_mov_b32 s18, -1
	s_cbranch_vccz .LBB368_349
; %bb.346:
	v_cmp_eq_u16_e32 vcc_lo, 15, v6
	s_mov_b32 s0, -1
	s_cbranch_vccz .LBB368_348
; %bb.347:
	v_cvt_f32_i32_e32 v1, v0
	s_mov_b32 s16, -1
	s_mov_b32 s0, 0
	s_delay_alu instid0(VALU_DEP_1) | instskip(NEXT) | instid1(VALU_DEP_1)
	v_bfe_u32 v7, v1, 16, 1
	v_add3_u32 v1, v1, v7, 0x7fff
	global_store_d16_hi_b16 v[2:3], v1, off
.LBB368_348:
	s_mov_b32 s18, 0
.LBB368_349:
	s_delay_alu instid0(SALU_CYCLE_1)
	s_and_b32 vcc_lo, exec_lo, s18
	s_cbranch_vccz .LBB368_352
; %bb.350:
	v_cmp_eq_u16_e32 vcc_lo, 11, v6
	s_mov_b32 s0, -1
	s_cbranch_vccz .LBB368_352
; %bb.351:
	v_cmp_ne_u32_e32 vcc_lo, 0, v0
	s_mov_b32 s0, 0
	s_mov_b32 s16, -1
	v_cndmask_b32_e64 v1, 0, 1, vcc_lo
	global_store_b8 v[2:3], v1, off
.LBB368_352:
	s_mov_b32 s18, 0
.LBB368_353:
	s_delay_alu instid0(SALU_CYCLE_1)
	s_and_b32 vcc_lo, exec_lo, s18
	s_cbranch_vccz .LBB368_392
; %bb.354:
	v_cmp_gt_i16_e32 vcc_lo, 5, v6
	s_mov_b32 s16, -1
	s_cbranch_vccnz .LBB368_375
; %bb.355:
	v_cmp_gt_i16_e32 vcc_lo, 8, v6
	s_cbranch_vccnz .LBB368_365
; %bb.356:
	v_cmp_gt_i16_e32 vcc_lo, 9, v6
	s_cbranch_vccnz .LBB368_362
; %bb.357:
	v_cmp_lt_i16_e32 vcc_lo, 9, v6
	s_cbranch_vccz .LBB368_359
; %bb.358:
	v_cvt_f64_i32_e32 v[7:8], v0
	v_mov_b32_e32 v9, 0
	s_mov_b32 s16, 0
	s_delay_alu instid0(VALU_DEP_1)
	v_mov_b32_e32 v10, v9
	global_store_b128 v[2:3], v[7:10], off
.LBB368_359:
	s_and_not1_b32 vcc_lo, exec_lo, s16
	s_cbranch_vccnz .LBB368_361
; %bb.360:
	v_cvt_f32_i32_e32 v7, v0
	v_mov_b32_e32 v8, 0
	global_store_b64 v[2:3], v[7:8], off
.LBB368_361:
	s_mov_b32 s16, 0
.LBB368_362:
	s_delay_alu instid0(SALU_CYCLE_1)
	s_and_not1_b32 vcc_lo, exec_lo, s16
	s_cbranch_vccnz .LBB368_364
; %bb.363:
	v_cvt_f32_i32_e32 v1, v0
	s_delay_alu instid0(VALU_DEP_1) | instskip(NEXT) | instid1(VALU_DEP_1)
	v_cvt_f16_f32_e32 v1, v1
	v_and_b32_e32 v1, 0xffff, v1
	global_store_b32 v[2:3], v1, off
.LBB368_364:
	s_mov_b32 s16, 0
.LBB368_365:
	s_delay_alu instid0(SALU_CYCLE_1)
	s_and_not1_b32 vcc_lo, exec_lo, s16
	s_cbranch_vccnz .LBB368_374
; %bb.366:
	v_cmp_gt_i16_e32 vcc_lo, 6, v6
	s_mov_b32 s16, -1
	s_cbranch_vccnz .LBB368_372
; %bb.367:
	v_cmp_lt_i16_e32 vcc_lo, 6, v6
	s_cbranch_vccz .LBB368_369
; %bb.368:
	v_cvt_f64_i32_e32 v[7:8], v0
	s_mov_b32 s16, 0
	global_store_b64 v[2:3], v[7:8], off
.LBB368_369:
	s_and_not1_b32 vcc_lo, exec_lo, s16
	s_cbranch_vccnz .LBB368_371
; %bb.370:
	v_cvt_f32_i32_e32 v1, v0
	global_store_b32 v[2:3], v1, off
.LBB368_371:
	s_mov_b32 s16, 0
.LBB368_372:
	s_delay_alu instid0(SALU_CYCLE_1)
	s_and_not1_b32 vcc_lo, exec_lo, s16
	s_cbranch_vccnz .LBB368_374
; %bb.373:
	v_cvt_f32_i32_e32 v1, v0
	s_delay_alu instid0(VALU_DEP_1)
	v_cvt_f16_f32_e32 v1, v1
	global_store_b16 v[2:3], v1, off
.LBB368_374:
	s_mov_b32 s16, 0
.LBB368_375:
	s_delay_alu instid0(SALU_CYCLE_1)
	s_and_not1_b32 vcc_lo, exec_lo, s16
	s_cbranch_vccnz .LBB368_391
; %bb.376:
	v_cmp_gt_i16_e32 vcc_lo, 2, v6
	s_mov_b32 s16, -1
	s_cbranch_vccnz .LBB368_386
; %bb.377:
	v_cmp_gt_i16_e32 vcc_lo, 3, v6
	s_cbranch_vccnz .LBB368_383
; %bb.378:
	v_cmp_lt_i16_e32 vcc_lo, 3, v6
	s_cbranch_vccz .LBB368_380
; %bb.379:
	v_ashrrev_i32_e32 v1, 31, v0
	s_mov_b32 s16, 0
	global_store_b64 v[2:3], v[0:1], off
.LBB368_380:
	s_and_not1_b32 vcc_lo, exec_lo, s16
	s_cbranch_vccnz .LBB368_382
; %bb.381:
	global_store_b32 v[2:3], v0, off
.LBB368_382:
	s_mov_b32 s16, 0
.LBB368_383:
	s_delay_alu instid0(SALU_CYCLE_1)
	s_and_not1_b32 vcc_lo, exec_lo, s16
	s_cbranch_vccnz .LBB368_385
; %bb.384:
	global_store_b16 v[2:3], v0, off
.LBB368_385:
	s_mov_b32 s16, 0
.LBB368_386:
	s_delay_alu instid0(SALU_CYCLE_1)
	s_and_not1_b32 vcc_lo, exec_lo, s16
	s_cbranch_vccnz .LBB368_391
; %bb.387:
	v_cmp_lt_i16_e32 vcc_lo, 0, v6
	s_mov_b32 s16, -1
	s_cbranch_vccz .LBB368_389
; %bb.388:
	s_mov_b32 s16, 0
	global_store_b8 v[2:3], v0, off
.LBB368_389:
	s_and_not1_b32 vcc_lo, exec_lo, s16
	s_cbranch_vccnz .LBB368_391
; %bb.390:
	global_store_b8 v[2:3], v0, off
.LBB368_391:
	s_mov_b32 s16, -1
.LBB368_392:
	s_delay_alu instid0(SALU_CYCLE_1)
	s_and_not1_b32 vcc_lo, exec_lo, s16
	s_cbranch_vccnz .LBB368_394
; %bb.393:
	v_add_nc_u32_e32 v4, 0x80, v4
	s_mov_b32 s18, -1
	s_branch .LBB368_503
.LBB368_394:
	s_mov_b32 s18, 0
	s_branch .LBB368_502
.LBB368_395:
	s_mov_b32 s15, -1
                                        ; implicit-def: $vgpr2
.LBB368_396:
	s_mov_b32 s16, 0
.LBB368_397:
	s_delay_alu instid0(SALU_CYCLE_1)
	s_and_b32 vcc_lo, exec_lo, s16
	s_cbranch_vccz .LBB368_401
; %bb.398:
	v_cmp_eq_u16_e32 vcc_lo, 29, v5
	s_cbranch_vccz .LBB368_400
; %bb.399:
	global_load_b32 v2, v[0:1], off
	s_mov_b32 s0, -1
	s_mov_b32 s15, 0
	s_branch .LBB368_401
.LBB368_400:
	s_mov_b32 s15, -1
                                        ; implicit-def: $vgpr2
.LBB368_401:
	s_mov_b32 s16, 0
.LBB368_402:
	s_delay_alu instid0(SALU_CYCLE_1)
	s_and_b32 vcc_lo, exec_lo, s16
	s_cbranch_vccz .LBB368_418
; %bb.403:
	v_cmp_gt_i16_e32 vcc_lo, 27, v5
	s_cbranch_vccnz .LBB368_406
; %bb.404:
	v_cmp_lt_i16_e32 vcc_lo, 27, v5
	s_cbranch_vccz .LBB368_407
; %bb.405:
	global_load_b32 v2, v[0:1], off
	s_mov_b32 s0, 0
	s_branch .LBB368_408
.LBB368_406:
	s_mov_b32 s0, -1
                                        ; implicit-def: $vgpr2
	s_branch .LBB368_411
.LBB368_407:
	s_mov_b32 s0, -1
                                        ; implicit-def: $vgpr2
.LBB368_408:
	s_delay_alu instid0(SALU_CYCLE_1)
	s_and_not1_b32 vcc_lo, exec_lo, s0
	s_cbranch_vccnz .LBB368_410
; %bb.409:
	global_load_u16 v2, v[0:1], off
.LBB368_410:
	s_mov_b32 s0, 0
.LBB368_411:
	s_delay_alu instid0(SALU_CYCLE_1)
	s_and_not1_b32 vcc_lo, exec_lo, s0
	s_cbranch_vccnz .LBB368_417
; %bb.412:
	global_load_u8 v3, v[0:1], off
	s_mov_b32 s0, 0
	s_mov_b32 s16, exec_lo
                                        ; implicit-def: $sgpr18
	s_waitcnt vmcnt(0)
	v_cmpx_lt_i16_e32 0x7f, v3
	s_xor_b32 s16, exec_lo, s16
	s_cbranch_execz .LBB368_429
; %bb.413:
	v_cmp_ne_u16_e32 vcc_lo, 0x80, v3
	s_mov_b32 s18, 0
	s_and_b32 s0, vcc_lo, exec_lo
	s_or_saveexec_b32 s16, s16
	v_mov_b32_e32 v2, s18
	s_xor_b32 exec_lo, exec_lo, s16
	s_cbranch_execnz .LBB368_430
.LBB368_414:
	s_or_b32 exec_lo, exec_lo, s16
	s_and_saveexec_b32 s16, s0
	s_cbranch_execz .LBB368_416
.LBB368_415:
	v_and_b32_e32 v2, 0xffff, v3
	s_delay_alu instid0(VALU_DEP_1) | instskip(NEXT) | instid1(VALU_DEP_1)
	v_and_b32_e32 v6, 7, v2
	v_clz_i32_u32_e32 v7, v6
	s_delay_alu instid0(VALU_DEP_1) | instskip(NEXT) | instid1(VALU_DEP_1)
	v_min_u32_e32 v7, 32, v7
	v_subrev_nc_u32_e32 v8, 28, v7
	v_sub_nc_u32_e32 v7, 29, v7
	s_delay_alu instid0(VALU_DEP_2) | instskip(SKIP_1) | instid1(VALU_DEP_2)
	v_lshlrev_b32_e32 v8, v8, v2
	v_bfe_u32 v2, v2, 3, 4
	v_and_b32_e32 v8, 7, v8
	s_delay_alu instid0(VALU_DEP_2) | instskip(NEXT) | instid1(VALU_DEP_2)
	v_cmp_eq_u32_e32 vcc_lo, 0, v2
	v_dual_cndmask_b32 v6, v6, v8 :: v_dual_lshlrev_b32 v3, 24, v3
	v_cndmask_b32_e32 v2, v2, v7, vcc_lo
	s_delay_alu instid0(VALU_DEP_2) | instskip(NEXT) | instid1(VALU_DEP_3)
	v_and_b32_e32 v3, 0x80000000, v3
	v_lshlrev_b32_e32 v6, 20, v6
	s_delay_alu instid0(VALU_DEP_3) | instskip(NEXT) | instid1(VALU_DEP_1)
	v_lshl_add_u32 v2, v2, 23, 0x3b800000
	v_or3_b32 v2, v3, v2, v6
	s_delay_alu instid0(VALU_DEP_1)
	v_cvt_i32_f32_e32 v2, v2
.LBB368_416:
	s_or_b32 exec_lo, exec_lo, s16
.LBB368_417:
	s_mov_b32 s0, -1
.LBB368_418:
	s_mov_b32 s16, 0
.LBB368_419:
	s_delay_alu instid0(SALU_CYCLE_1)
	s_and_b32 vcc_lo, exec_lo, s16
	s_cbranch_vccz .LBB368_452
; %bb.420:
	v_cmp_lt_i16_e32 vcc_lo, 22, v5
	s_cbranch_vccz .LBB368_428
; %bb.421:
	v_cmp_gt_i16_e32 vcc_lo, 24, v5
	s_cbranch_vccnz .LBB368_431
; %bb.422:
	v_cmp_lt_i16_e32 vcc_lo, 24, v5
	s_cbranch_vccz .LBB368_432
; %bb.423:
	global_load_u8 v3, v[0:1], off
	s_mov_b32 s0, 0
	s_mov_b32 s16, exec_lo
                                        ; implicit-def: $sgpr18
	s_waitcnt vmcnt(0)
	v_cmpx_lt_i16_e32 0x7f, v3
	s_xor_b32 s16, exec_lo, s16
	s_cbranch_execz .LBB368_444
; %bb.424:
	v_cmp_ne_u16_e32 vcc_lo, 0x80, v3
	s_mov_b32 s18, 0
	s_and_b32 s0, vcc_lo, exec_lo
	s_or_saveexec_b32 s16, s16
	v_mov_b32_e32 v2, s18
	s_xor_b32 exec_lo, exec_lo, s16
	s_cbranch_execnz .LBB368_445
.LBB368_425:
	s_or_b32 exec_lo, exec_lo, s16
	s_and_saveexec_b32 s16, s0
	s_cbranch_execz .LBB368_427
.LBB368_426:
	v_and_b32_e32 v2, 0xffff, v3
	s_delay_alu instid0(VALU_DEP_1) | instskip(NEXT) | instid1(VALU_DEP_1)
	v_and_b32_e32 v6, 3, v2
	v_clz_i32_u32_e32 v7, v6
	s_delay_alu instid0(VALU_DEP_1) | instskip(NEXT) | instid1(VALU_DEP_1)
	v_min_u32_e32 v7, 32, v7
	v_subrev_nc_u32_e32 v8, 29, v7
	v_sub_nc_u32_e32 v7, 30, v7
	s_delay_alu instid0(VALU_DEP_2) | instskip(SKIP_1) | instid1(VALU_DEP_2)
	v_lshlrev_b32_e32 v8, v8, v2
	v_bfe_u32 v2, v2, 2, 5
	v_and_b32_e32 v8, 3, v8
	s_delay_alu instid0(VALU_DEP_2) | instskip(NEXT) | instid1(VALU_DEP_2)
	v_cmp_eq_u32_e32 vcc_lo, 0, v2
	v_dual_cndmask_b32 v6, v6, v8 :: v_dual_lshlrev_b32 v3, 24, v3
	v_cndmask_b32_e32 v2, v2, v7, vcc_lo
	s_delay_alu instid0(VALU_DEP_2) | instskip(NEXT) | instid1(VALU_DEP_3)
	v_and_b32_e32 v3, 0x80000000, v3
	v_lshlrev_b32_e32 v6, 21, v6
	s_delay_alu instid0(VALU_DEP_3) | instskip(NEXT) | instid1(VALU_DEP_1)
	v_lshl_add_u32 v2, v2, 23, 0x37800000
	v_or3_b32 v2, v3, v2, v6
	s_delay_alu instid0(VALU_DEP_1)
	v_cvt_i32_f32_e32 v2, v2
.LBB368_427:
	s_or_b32 exec_lo, exec_lo, s16
	s_mov_b32 s0, 0
	s_branch .LBB368_433
.LBB368_428:
	s_mov_b32 s16, -1
                                        ; implicit-def: $vgpr2
	s_branch .LBB368_439
.LBB368_429:
	s_or_saveexec_b32 s16, s16
	v_mov_b32_e32 v2, s18
	s_xor_b32 exec_lo, exec_lo, s16
	s_cbranch_execz .LBB368_414
.LBB368_430:
	v_cmp_ne_u16_e32 vcc_lo, 0, v3
	v_mov_b32_e32 v2, 0
	s_and_not1_b32 s0, s0, exec_lo
	s_and_b32 s18, vcc_lo, exec_lo
	s_delay_alu instid0(SALU_CYCLE_1)
	s_or_b32 s0, s0, s18
	s_or_b32 exec_lo, exec_lo, s16
	s_and_saveexec_b32 s16, s0
	s_cbranch_execnz .LBB368_415
	s_branch .LBB368_416
.LBB368_431:
	s_mov_b32 s0, -1
                                        ; implicit-def: $vgpr2
	s_branch .LBB368_436
.LBB368_432:
	s_mov_b32 s0, -1
                                        ; implicit-def: $vgpr2
.LBB368_433:
	s_delay_alu instid0(SALU_CYCLE_1)
	s_and_b32 vcc_lo, exec_lo, s0
	s_cbranch_vccz .LBB368_435
; %bb.434:
	global_load_u8 v2, v[0:1], off
	s_waitcnt vmcnt(0)
	v_lshlrev_b32_e32 v2, 24, v2
	s_delay_alu instid0(VALU_DEP_1) | instskip(NEXT) | instid1(VALU_DEP_1)
	v_and_b32_e32 v3, 0x7f000000, v2
	v_clz_i32_u32_e32 v6, v3
	v_cmp_ne_u32_e32 vcc_lo, 0, v3
	v_add_nc_u32_e32 v8, 0x1000000, v3
	s_delay_alu instid0(VALU_DEP_3) | instskip(NEXT) | instid1(VALU_DEP_1)
	v_min_u32_e32 v6, 32, v6
	v_sub_nc_u32_e64 v6, v6, 4 clamp
	s_delay_alu instid0(VALU_DEP_1) | instskip(SKIP_1) | instid1(VALU_DEP_2)
	v_lshlrev_b32_e32 v7, v6, v3
	v_lshlrev_b32_e32 v6, 23, v6
	v_lshrrev_b32_e32 v7, 4, v7
	s_delay_alu instid0(VALU_DEP_1) | instskip(SKIP_1) | instid1(VALU_DEP_2)
	v_sub_nc_u32_e32 v6, v7, v6
	v_ashrrev_i32_e32 v7, 8, v8
	v_add_nc_u32_e32 v6, 0x3c000000, v6
	s_delay_alu instid0(VALU_DEP_1) | instskip(NEXT) | instid1(VALU_DEP_1)
	v_and_or_b32 v6, 0x7f800000, v7, v6
	v_cndmask_b32_e32 v3, 0, v6, vcc_lo
	s_delay_alu instid0(VALU_DEP_1) | instskip(NEXT) | instid1(VALU_DEP_1)
	v_and_or_b32 v2, 0x80000000, v2, v3
	v_cvt_i32_f32_e32 v2, v2
.LBB368_435:
	s_mov_b32 s0, 0
.LBB368_436:
	s_delay_alu instid0(SALU_CYCLE_1)
	s_and_not1_b32 vcc_lo, exec_lo, s0
	s_cbranch_vccnz .LBB368_438
; %bb.437:
	global_load_u8 v2, v[0:1], off
	s_waitcnt vmcnt(0)
	v_lshlrev_b32_e32 v3, 25, v2
	v_lshlrev_b16 v2, 8, v2
	s_delay_alu instid0(VALU_DEP_2) | instskip(NEXT) | instid1(VALU_DEP_2)
	v_lshrrev_b32_e32 v6, 4, v3
	v_and_or_b32 v7, 0x7f00, v2, 0.5
	v_cmp_gt_u32_e32 vcc_lo, 0x8000000, v3
	v_bfe_i32 v2, v2, 0, 16
	s_delay_alu instid0(VALU_DEP_4) | instskip(NEXT) | instid1(VALU_DEP_1)
	v_or_b32_e32 v6, 0x70000000, v6
	v_dual_add_f32 v7, -0.5, v7 :: v_dual_mul_f32 v6, 0x7800000, v6
	s_delay_alu instid0(VALU_DEP_1) | instskip(NEXT) | instid1(VALU_DEP_1)
	v_cndmask_b32_e32 v3, v6, v7, vcc_lo
	v_and_or_b32 v2, 0x80000000, v2, v3
	s_delay_alu instid0(VALU_DEP_1)
	v_cvt_i32_f32_e32 v2, v2
.LBB368_438:
	s_mov_b32 s16, 0
	s_mov_b32 s0, -1
.LBB368_439:
	s_and_not1_b32 vcc_lo, exec_lo, s16
	s_cbranch_vccnz .LBB368_452
; %bb.440:
	v_cmp_lt_i16_e32 vcc_lo, 14, v5
	s_cbranch_vccz .LBB368_443
; %bb.441:
	v_cmp_eq_u16_e32 vcc_lo, 15, v5
	s_cbranch_vccz .LBB368_446
; %bb.442:
	global_load_u16 v2, v[0:1], off
	s_mov_b32 s0, -1
	s_mov_b32 s15, 0
	s_waitcnt vmcnt(0)
	v_lshlrev_b32_e32 v2, 16, v2
	s_delay_alu instid0(VALU_DEP_1)
	v_cvt_i32_f32_e32 v2, v2
	s_branch .LBB368_447
.LBB368_443:
	s_mov_b32 s16, -1
                                        ; implicit-def: $vgpr2
	s_branch .LBB368_448
.LBB368_444:
	s_or_saveexec_b32 s16, s16
	v_mov_b32_e32 v2, s18
	s_xor_b32 exec_lo, exec_lo, s16
	s_cbranch_execz .LBB368_425
.LBB368_445:
	v_cmp_ne_u16_e32 vcc_lo, 0, v3
	v_mov_b32_e32 v2, 0
	s_and_not1_b32 s0, s0, exec_lo
	s_and_b32 s18, vcc_lo, exec_lo
	s_delay_alu instid0(SALU_CYCLE_1)
	s_or_b32 s0, s0, s18
	s_or_b32 exec_lo, exec_lo, s16
	s_and_saveexec_b32 s16, s0
	s_cbranch_execnz .LBB368_426
	s_branch .LBB368_427
.LBB368_446:
	s_mov_b32 s15, -1
                                        ; implicit-def: $vgpr2
.LBB368_447:
	s_mov_b32 s16, 0
.LBB368_448:
	s_delay_alu instid0(SALU_CYCLE_1)
	s_and_b32 vcc_lo, exec_lo, s16
	s_cbranch_vccz .LBB368_452
; %bb.449:
	v_cmp_eq_u16_e32 vcc_lo, 11, v5
	s_cbranch_vccz .LBB368_451
; %bb.450:
	global_load_u8 v2, v[0:1], off
	s_mov_b32 s15, 0
	s_mov_b32 s0, -1
	s_waitcnt vmcnt(0)
	v_cmp_ne_u16_e32 vcc_lo, 0, v2
	v_cndmask_b32_e64 v2, 0, 1, vcc_lo
	s_branch .LBB368_452
.LBB368_451:
	s_mov_b32 s15, -1
                                        ; implicit-def: $vgpr2
.LBB368_452:
	s_branch .LBB368_258
.LBB368_453:
	v_cmp_gt_i16_e32 vcc_lo, 5, v5
	s_cbranch_vccnz .LBB368_458
; %bb.454:
	v_cmp_gt_i16_e32 vcc_lo, 8, v5
	s_cbranch_vccnz .LBB368_459
; %bb.455:
	v_cmp_gt_i16_e32 vcc_lo, 9, v5
	s_cbranch_vccnz .LBB368_460
; %bb.456:
	v_cmp_lt_i16_e32 vcc_lo, 9, v5
	s_cbranch_vccz .LBB368_461
; %bb.457:
	global_load_b64 v[2:3], v[0:1], off
	s_mov_b32 s0, 0
	s_waitcnt vmcnt(0)
	v_cvt_i32_f64_e32 v2, v[2:3]
	s_branch .LBB368_462
.LBB368_458:
	s_mov_b32 s0, -1
                                        ; implicit-def: $vgpr2
	s_branch .LBB368_480
.LBB368_459:
	s_mov_b32 s0, -1
                                        ; implicit-def: $vgpr2
	s_branch .LBB368_468
.LBB368_460:
	s_mov_b32 s0, -1
                                        ; implicit-def: $vgpr2
	s_branch .LBB368_465
.LBB368_461:
	s_mov_b32 s0, -1
                                        ; implicit-def: $vgpr2
.LBB368_462:
	s_delay_alu instid0(SALU_CYCLE_1)
	s_and_not1_b32 vcc_lo, exec_lo, s0
	s_cbranch_vccnz .LBB368_464
; %bb.463:
	global_load_b32 v2, v[0:1], off
	s_waitcnt vmcnt(0)
	v_cvt_i32_f32_e32 v2, v2
.LBB368_464:
	s_mov_b32 s0, 0
.LBB368_465:
	s_delay_alu instid0(SALU_CYCLE_1)
	s_and_not1_b32 vcc_lo, exec_lo, s0
	s_cbranch_vccnz .LBB368_467
; %bb.466:
	global_load_b32 v2, v[0:1], off
	s_waitcnt vmcnt(0)
	v_cvt_f32_f16_e32 v2, v2
	s_delay_alu instid0(VALU_DEP_1)
	v_cvt_i32_f32_e32 v2, v2
.LBB368_467:
	s_mov_b32 s0, 0
.LBB368_468:
	s_delay_alu instid0(SALU_CYCLE_1)
	s_and_not1_b32 vcc_lo, exec_lo, s0
	s_cbranch_vccnz .LBB368_479
; %bb.469:
	v_cmp_gt_i16_e32 vcc_lo, 6, v5
	s_cbranch_vccnz .LBB368_472
; %bb.470:
	v_cmp_lt_i16_e32 vcc_lo, 6, v5
	s_cbranch_vccz .LBB368_473
; %bb.471:
	global_load_b64 v[2:3], v[0:1], off
	s_mov_b32 s0, 0
	s_waitcnt vmcnt(0)
	v_cvt_i32_f64_e32 v2, v[2:3]
	s_branch .LBB368_474
.LBB368_472:
	s_mov_b32 s0, -1
                                        ; implicit-def: $vgpr2
	s_branch .LBB368_477
.LBB368_473:
	s_mov_b32 s0, -1
                                        ; implicit-def: $vgpr2
.LBB368_474:
	s_delay_alu instid0(SALU_CYCLE_1)
	s_and_not1_b32 vcc_lo, exec_lo, s0
	s_cbranch_vccnz .LBB368_476
; %bb.475:
	global_load_b32 v2, v[0:1], off
	s_waitcnt vmcnt(0)
	v_cvt_i32_f32_e32 v2, v2
.LBB368_476:
	s_mov_b32 s0, 0
.LBB368_477:
	s_delay_alu instid0(SALU_CYCLE_1)
	s_and_not1_b32 vcc_lo, exec_lo, s0
	s_cbranch_vccnz .LBB368_479
; %bb.478:
	global_load_u16 v2, v[0:1], off
	s_waitcnt vmcnt(0)
	v_cvt_f32_f16_e32 v2, v2
	s_delay_alu instid0(VALU_DEP_1)
	v_cvt_i32_f32_e32 v2, v2
.LBB368_479:
	s_mov_b32 s0, 0
.LBB368_480:
	s_delay_alu instid0(SALU_CYCLE_1)
	s_and_not1_b32 vcc_lo, exec_lo, s0
	s_cbranch_vccnz .LBB368_500
; %bb.481:
	v_cmp_gt_i16_e32 vcc_lo, 2, v5
	s_cbranch_vccnz .LBB368_485
; %bb.482:
	v_cmp_gt_i16_e32 vcc_lo, 3, v5
	s_cbranch_vccnz .LBB368_486
; %bb.483:
	v_cmp_lt_i16_e32 vcc_lo, 3, v5
	s_cbranch_vccz .LBB368_487
; %bb.484:
	global_load_b32 v2, v[0:1], off
	s_mov_b32 s0, 0
	s_branch .LBB368_488
.LBB368_485:
	s_mov_b32 s0, -1
                                        ; implicit-def: $vgpr2
	s_branch .LBB368_494
.LBB368_486:
	s_mov_b32 s0, -1
                                        ; implicit-def: $vgpr2
	s_branch .LBB368_491
.LBB368_487:
	s_mov_b32 s0, -1
                                        ; implicit-def: $vgpr2
.LBB368_488:
	s_delay_alu instid0(SALU_CYCLE_1)
	s_and_not1_b32 vcc_lo, exec_lo, s0
	s_cbranch_vccnz .LBB368_490
; %bb.489:
	global_load_b32 v2, v[0:1], off
.LBB368_490:
	s_mov_b32 s0, 0
.LBB368_491:
	s_delay_alu instid0(SALU_CYCLE_1)
	s_and_not1_b32 vcc_lo, exec_lo, s0
	s_cbranch_vccnz .LBB368_493
; %bb.492:
	global_load_i16 v2, v[0:1], off
.LBB368_493:
	s_mov_b32 s0, 0
.LBB368_494:
	s_delay_alu instid0(SALU_CYCLE_1)
	s_and_not1_b32 vcc_lo, exec_lo, s0
	s_cbranch_vccnz .LBB368_500
; %bb.495:
	v_cmp_lt_i16_e32 vcc_lo, 0, v5
	s_mov_b32 s0, 0
	s_cbranch_vccz .LBB368_497
; %bb.496:
	global_load_i8 v2, v[0:1], off
	s_branch .LBB368_498
.LBB368_497:
	s_mov_b32 s0, -1
                                        ; implicit-def: $vgpr2
.LBB368_498:
	s_delay_alu instid0(SALU_CYCLE_1)
	s_and_not1_b32 vcc_lo, exec_lo, s0
	s_cbranch_vccnz .LBB368_500
; %bb.499:
	global_load_u8 v2, v[0:1], off
.LBB368_500:
	s_branch .LBB368_259
.LBB368_501:
	s_mov_b32 s18, 0
	s_mov_b32 s0, s11
.LBB368_502:
                                        ; implicit-def: $vgpr4
.LBB368_503:
	s_and_not1_b32 s16, s11, exec_lo
	s_and_b32 s0, s0, exec_lo
	s_and_not1_b32 s19, s13, exec_lo
	s_and_b32 s15, s15, exec_lo
	s_or_b32 s16, s16, s0
	s_or_b32 s15, s19, s15
	s_or_not1_b32 s19, s18, exec_lo
.LBB368_504:
	s_or_b32 exec_lo, exec_lo, s17
	s_mov_b32 s18, 0
	s_mov_b32 s20, 0
	;; [unrolled: 1-line block ×3, first 2 shown]
                                        ; implicit-def: $vgpr0_vgpr1
                                        ; implicit-def: $vgpr6
	s_and_saveexec_b32 s17, s19
	s_cbranch_execz .LBB368_843
; %bb.505:
	s_mov_b32 s0, -1
	s_mov_b32 s19, s15
	s_mov_b32 s20, s16
	s_mov_b32 s18, exec_lo
	v_cmpx_gt_i32_e64 s12, v4
	s_cbranch_execz .LBB368_761
; %bb.506:
	v_mul_lo_u32 v0, v4, s9
	v_cmp_gt_i16_e32 vcc_lo, 11, v5
	s_delay_alu instid0(VALU_DEP_2) | instskip(SKIP_1) | instid1(VALU_DEP_1)
	v_ashrrev_i32_e32 v1, 31, v0
	v_add_co_u32 v0, s0, s6, v0
	v_add_co_ci_u32_e64 v1, s0, s7, v1, s0
	s_cbranch_vccnz .LBB368_513
; %bb.507:
	v_cmp_lt_i16_e32 vcc_lo, 25, v5
	s_cbranch_vccz .LBB368_514
; %bb.508:
	v_cmp_lt_i16_e32 vcc_lo, 28, v5
	s_cbranch_vccz .LBB368_515
; %bb.509:
	v_cmp_lt_i16_e32 vcc_lo, 43, v5
	s_cbranch_vccz .LBB368_516
; %bb.510:
	v_cmp_lt_i16_e32 vcc_lo, 45, v5
	s_cbranch_vccz .LBB368_519
; %bb.511:
	v_cmp_eq_u16_e32 vcc_lo, 46, v5
	s_mov_b32 s20, 0
	s_cbranch_vccz .LBB368_522
; %bb.512:
	global_load_b32 v2, v[0:1], off
	s_mov_b32 s0, -1
	s_mov_b32 s19, 0
	s_waitcnt vmcnt(0)
	v_lshlrev_b32_e32 v2, 16, v2
	s_delay_alu instid0(VALU_DEP_1)
	v_cvt_i32_f32_e32 v2, v2
	s_branch .LBB368_524
.LBB368_513:
	s_mov_b32 s20, -1
	s_mov_b32 s0, 0
	s_mov_b32 s19, s15
                                        ; implicit-def: $vgpr2
	s_branch .LBB368_585
.LBB368_514:
	s_mov_b32 s20, -1
	s_mov_b32 s0, 0
	s_mov_b32 s19, s15
                                        ; implicit-def: $vgpr2
	s_branch .LBB368_551
.LBB368_515:
	s_mov_b32 s20, -1
	s_mov_b32 s0, 0
	s_mov_b32 s19, s15
                                        ; implicit-def: $vgpr2
	s_branch .LBB368_534
.LBB368_516:
	s_mov_b32 s20, -1
	s_mov_b32 s0, 0
	s_mov_b32 s19, s15
                                        ; implicit-def: $vgpr2
	s_branch .LBB368_529
.LBB368_517:
	s_or_saveexec_b32 s19, s19
                                        ; implicit-def: $sgpr20
	s_delay_alu instid0(SALU_CYCLE_1)
	s_xor_b32 exec_lo, exec_lo, s19
	s_cbranch_execz .LBB368_305
.LBB368_518:
	v_add_f32_e64 v7, 0x46000000, |v1|
	s_and_not1_b32 s18, s18, exec_lo
	s_mov_b32 s20, 0
	s_delay_alu instid0(VALU_DEP_1) | instskip(NEXT) | instid1(VALU_DEP_1)
	v_and_b32_e32 v7, 0xff, v7
	v_cmp_ne_u32_e32 vcc_lo, 0, v7
	s_and_b32 s21, vcc_lo, exec_lo
	s_delay_alu instid0(SALU_CYCLE_1)
	s_or_b32 s18, s18, s21
	s_or_b32 exec_lo, exec_lo, s19
	v_mov_b32_e32 v8, s20
	s_and_saveexec_b32 s19, s18
	s_cbranch_execnz .LBB368_306
	s_branch .LBB368_307
.LBB368_519:
	s_mov_b32 s20, -1
	s_mov_b32 s0, 0
	s_mov_b32 s19, s15
	s_branch .LBB368_523
.LBB368_520:
	s_or_saveexec_b32 s19, s19
                                        ; implicit-def: $sgpr20
	s_delay_alu instid0(SALU_CYCLE_1)
	s_xor_b32 exec_lo, exec_lo, s19
	s_cbranch_execz .LBB368_318
.LBB368_521:
	v_add_f32_e64 v7, 0x42800000, |v1|
	s_and_not1_b32 s18, s18, exec_lo
	s_mov_b32 s20, 0
	s_delay_alu instid0(VALU_DEP_1) | instskip(NEXT) | instid1(VALU_DEP_1)
	v_and_b32_e32 v7, 0xff, v7
	v_cmp_ne_u32_e32 vcc_lo, 0, v7
	s_and_b32 s21, vcc_lo, exec_lo
	s_delay_alu instid0(SALU_CYCLE_1)
	s_or_b32 s18, s18, s21
	s_or_b32 exec_lo, exec_lo, s19
	v_mov_b32_e32 v8, s20
	s_and_saveexec_b32 s19, s18
	s_cbranch_execnz .LBB368_319
	s_branch .LBB368_320
.LBB368_522:
	s_mov_b32 s19, -1
	s_mov_b32 s0, 0
.LBB368_523:
                                        ; implicit-def: $vgpr2
.LBB368_524:
	s_and_b32 vcc_lo, exec_lo, s20
	s_cbranch_vccz .LBB368_528
; %bb.525:
	v_cmp_eq_u16_e32 vcc_lo, 44, v5
	s_cbranch_vccz .LBB368_527
; %bb.526:
	global_load_u8 v2, v[0:1], off
	s_mov_b32 s19, 0
	s_mov_b32 s0, -1
	s_waitcnt vmcnt(0)
	v_lshlrev_b32_e32 v3, 23, v2
	v_cmp_ne_u32_e32 vcc_lo, 0, v2
	s_delay_alu instid0(VALU_DEP_2) | instskip(NEXT) | instid1(VALU_DEP_1)
	v_cvt_i32_f32_e32 v3, v3
	v_cndmask_b32_e32 v2, 0, v3, vcc_lo
	s_branch .LBB368_528
.LBB368_527:
	s_mov_b32 s19, -1
                                        ; implicit-def: $vgpr2
.LBB368_528:
	s_mov_b32 s20, 0
.LBB368_529:
	s_delay_alu instid0(SALU_CYCLE_1)
	s_and_b32 vcc_lo, exec_lo, s20
	s_cbranch_vccz .LBB368_533
; %bb.530:
	v_cmp_eq_u16_e32 vcc_lo, 29, v5
	s_cbranch_vccz .LBB368_532
; %bb.531:
	global_load_b32 v2, v[0:1], off
	s_mov_b32 s0, -1
	s_mov_b32 s19, 0
	s_branch .LBB368_533
.LBB368_532:
	s_mov_b32 s19, -1
                                        ; implicit-def: $vgpr2
.LBB368_533:
	s_mov_b32 s20, 0
.LBB368_534:
	s_delay_alu instid0(SALU_CYCLE_1)
	s_and_b32 vcc_lo, exec_lo, s20
	s_cbranch_vccz .LBB368_550
; %bb.535:
	v_cmp_gt_i16_e32 vcc_lo, 27, v5
	s_cbranch_vccnz .LBB368_538
; %bb.536:
	v_cmp_lt_i16_e32 vcc_lo, 27, v5
	s_cbranch_vccz .LBB368_539
; %bb.537:
	global_load_b32 v2, v[0:1], off
	s_mov_b32 s0, 0
	s_branch .LBB368_540
.LBB368_538:
	s_mov_b32 s0, -1
                                        ; implicit-def: $vgpr2
	s_branch .LBB368_543
.LBB368_539:
	s_mov_b32 s0, -1
                                        ; implicit-def: $vgpr2
.LBB368_540:
	s_delay_alu instid0(SALU_CYCLE_1)
	s_and_not1_b32 vcc_lo, exec_lo, s0
	s_cbranch_vccnz .LBB368_542
; %bb.541:
	global_load_u16 v2, v[0:1], off
.LBB368_542:
	s_mov_b32 s0, 0
.LBB368_543:
	s_delay_alu instid0(SALU_CYCLE_1)
	s_and_not1_b32 vcc_lo, exec_lo, s0
	s_cbranch_vccnz .LBB368_549
; %bb.544:
	global_load_u8 v3, v[0:1], off
	s_mov_b32 s0, 0
	s_mov_b32 s20, exec_lo
                                        ; implicit-def: $sgpr21
	s_waitcnt vmcnt(0)
	v_cmpx_lt_i16_e32 0x7f, v3
	s_xor_b32 s20, exec_lo, s20
	s_cbranch_execz .LBB368_561
; %bb.545:
	v_cmp_ne_u16_e32 vcc_lo, 0x80, v3
	s_mov_b32 s21, 0
	s_and_b32 s0, vcc_lo, exec_lo
	s_or_saveexec_b32 s20, s20
	v_mov_b32_e32 v2, s21
	s_xor_b32 exec_lo, exec_lo, s20
	s_cbranch_execnz .LBB368_562
.LBB368_546:
	s_or_b32 exec_lo, exec_lo, s20
	s_and_saveexec_b32 s20, s0
	s_cbranch_execz .LBB368_548
.LBB368_547:
	v_and_b32_e32 v2, 0xffff, v3
	s_delay_alu instid0(VALU_DEP_1) | instskip(NEXT) | instid1(VALU_DEP_1)
	v_and_b32_e32 v6, 7, v2
	v_clz_i32_u32_e32 v7, v6
	s_delay_alu instid0(VALU_DEP_1) | instskip(NEXT) | instid1(VALU_DEP_1)
	v_min_u32_e32 v7, 32, v7
	v_subrev_nc_u32_e32 v8, 28, v7
	v_sub_nc_u32_e32 v7, 29, v7
	s_delay_alu instid0(VALU_DEP_2) | instskip(SKIP_1) | instid1(VALU_DEP_2)
	v_lshlrev_b32_e32 v8, v8, v2
	v_bfe_u32 v2, v2, 3, 4
	v_and_b32_e32 v8, 7, v8
	s_delay_alu instid0(VALU_DEP_2) | instskip(NEXT) | instid1(VALU_DEP_2)
	v_cmp_eq_u32_e32 vcc_lo, 0, v2
	v_dual_cndmask_b32 v6, v6, v8 :: v_dual_lshlrev_b32 v3, 24, v3
	v_cndmask_b32_e32 v2, v2, v7, vcc_lo
	s_delay_alu instid0(VALU_DEP_2) | instskip(NEXT) | instid1(VALU_DEP_3)
	v_and_b32_e32 v3, 0x80000000, v3
	v_lshlrev_b32_e32 v6, 20, v6
	s_delay_alu instid0(VALU_DEP_3) | instskip(NEXT) | instid1(VALU_DEP_1)
	v_lshl_add_u32 v2, v2, 23, 0x3b800000
	v_or3_b32 v2, v3, v2, v6
	s_delay_alu instid0(VALU_DEP_1)
	v_cvt_i32_f32_e32 v2, v2
.LBB368_548:
	s_or_b32 exec_lo, exec_lo, s20
.LBB368_549:
	s_mov_b32 s0, -1
.LBB368_550:
	s_mov_b32 s20, 0
.LBB368_551:
	s_delay_alu instid0(SALU_CYCLE_1)
	s_and_b32 vcc_lo, exec_lo, s20
	s_cbranch_vccz .LBB368_584
; %bb.552:
	v_cmp_lt_i16_e32 vcc_lo, 22, v5
	s_cbranch_vccz .LBB368_560
; %bb.553:
	v_cmp_gt_i16_e32 vcc_lo, 24, v5
	s_cbranch_vccnz .LBB368_563
; %bb.554:
	v_cmp_lt_i16_e32 vcc_lo, 24, v5
	s_cbranch_vccz .LBB368_564
; %bb.555:
	global_load_u8 v3, v[0:1], off
	s_mov_b32 s0, 0
	s_mov_b32 s20, exec_lo
                                        ; implicit-def: $sgpr21
	s_waitcnt vmcnt(0)
	v_cmpx_lt_i16_e32 0x7f, v3
	s_xor_b32 s20, exec_lo, s20
	s_cbranch_execz .LBB368_576
; %bb.556:
	v_cmp_ne_u16_e32 vcc_lo, 0x80, v3
	s_mov_b32 s21, 0
	s_and_b32 s0, vcc_lo, exec_lo
	s_or_saveexec_b32 s20, s20
	v_mov_b32_e32 v2, s21
	s_xor_b32 exec_lo, exec_lo, s20
	s_cbranch_execnz .LBB368_577
.LBB368_557:
	s_or_b32 exec_lo, exec_lo, s20
	s_and_saveexec_b32 s20, s0
	s_cbranch_execz .LBB368_559
.LBB368_558:
	v_and_b32_e32 v2, 0xffff, v3
	s_delay_alu instid0(VALU_DEP_1) | instskip(NEXT) | instid1(VALU_DEP_1)
	v_and_b32_e32 v6, 3, v2
	v_clz_i32_u32_e32 v7, v6
	s_delay_alu instid0(VALU_DEP_1) | instskip(NEXT) | instid1(VALU_DEP_1)
	v_min_u32_e32 v7, 32, v7
	v_subrev_nc_u32_e32 v8, 29, v7
	v_sub_nc_u32_e32 v7, 30, v7
	s_delay_alu instid0(VALU_DEP_2) | instskip(SKIP_1) | instid1(VALU_DEP_2)
	v_lshlrev_b32_e32 v8, v8, v2
	v_bfe_u32 v2, v2, 2, 5
	v_and_b32_e32 v8, 3, v8
	s_delay_alu instid0(VALU_DEP_2) | instskip(NEXT) | instid1(VALU_DEP_2)
	v_cmp_eq_u32_e32 vcc_lo, 0, v2
	v_dual_cndmask_b32 v6, v6, v8 :: v_dual_lshlrev_b32 v3, 24, v3
	v_cndmask_b32_e32 v2, v2, v7, vcc_lo
	s_delay_alu instid0(VALU_DEP_2) | instskip(NEXT) | instid1(VALU_DEP_3)
	v_and_b32_e32 v3, 0x80000000, v3
	v_lshlrev_b32_e32 v6, 21, v6
	s_delay_alu instid0(VALU_DEP_3) | instskip(NEXT) | instid1(VALU_DEP_1)
	v_lshl_add_u32 v2, v2, 23, 0x37800000
	v_or3_b32 v2, v3, v2, v6
	s_delay_alu instid0(VALU_DEP_1)
	v_cvt_i32_f32_e32 v2, v2
.LBB368_559:
	s_or_b32 exec_lo, exec_lo, s20
	s_mov_b32 s0, 0
	s_branch .LBB368_565
.LBB368_560:
	s_mov_b32 s20, -1
                                        ; implicit-def: $vgpr2
	s_branch .LBB368_571
.LBB368_561:
	s_or_saveexec_b32 s20, s20
	v_mov_b32_e32 v2, s21
	s_xor_b32 exec_lo, exec_lo, s20
	s_cbranch_execz .LBB368_546
.LBB368_562:
	v_cmp_ne_u16_e32 vcc_lo, 0, v3
	v_mov_b32_e32 v2, 0
	s_and_not1_b32 s0, s0, exec_lo
	s_and_b32 s21, vcc_lo, exec_lo
	s_delay_alu instid0(SALU_CYCLE_1)
	s_or_b32 s0, s0, s21
	s_or_b32 exec_lo, exec_lo, s20
	s_and_saveexec_b32 s20, s0
	s_cbranch_execnz .LBB368_547
	s_branch .LBB368_548
.LBB368_563:
	s_mov_b32 s0, -1
                                        ; implicit-def: $vgpr2
	s_branch .LBB368_568
.LBB368_564:
	s_mov_b32 s0, -1
                                        ; implicit-def: $vgpr2
.LBB368_565:
	s_delay_alu instid0(SALU_CYCLE_1)
	s_and_b32 vcc_lo, exec_lo, s0
	s_cbranch_vccz .LBB368_567
; %bb.566:
	global_load_u8 v2, v[0:1], off
	s_waitcnt vmcnt(0)
	v_lshlrev_b32_e32 v2, 24, v2
	s_delay_alu instid0(VALU_DEP_1) | instskip(NEXT) | instid1(VALU_DEP_1)
	v_and_b32_e32 v3, 0x7f000000, v2
	v_clz_i32_u32_e32 v6, v3
	v_cmp_ne_u32_e32 vcc_lo, 0, v3
	v_add_nc_u32_e32 v8, 0x1000000, v3
	s_delay_alu instid0(VALU_DEP_3) | instskip(NEXT) | instid1(VALU_DEP_1)
	v_min_u32_e32 v6, 32, v6
	v_sub_nc_u32_e64 v6, v6, 4 clamp
	s_delay_alu instid0(VALU_DEP_1) | instskip(SKIP_1) | instid1(VALU_DEP_2)
	v_lshlrev_b32_e32 v7, v6, v3
	v_lshlrev_b32_e32 v6, 23, v6
	v_lshrrev_b32_e32 v7, 4, v7
	s_delay_alu instid0(VALU_DEP_1) | instskip(SKIP_1) | instid1(VALU_DEP_2)
	v_sub_nc_u32_e32 v6, v7, v6
	v_ashrrev_i32_e32 v7, 8, v8
	v_add_nc_u32_e32 v6, 0x3c000000, v6
	s_delay_alu instid0(VALU_DEP_1) | instskip(NEXT) | instid1(VALU_DEP_1)
	v_and_or_b32 v6, 0x7f800000, v7, v6
	v_cndmask_b32_e32 v3, 0, v6, vcc_lo
	s_delay_alu instid0(VALU_DEP_1) | instskip(NEXT) | instid1(VALU_DEP_1)
	v_and_or_b32 v2, 0x80000000, v2, v3
	v_cvt_i32_f32_e32 v2, v2
.LBB368_567:
	s_mov_b32 s0, 0
.LBB368_568:
	s_delay_alu instid0(SALU_CYCLE_1)
	s_and_not1_b32 vcc_lo, exec_lo, s0
	s_cbranch_vccnz .LBB368_570
; %bb.569:
	global_load_u8 v2, v[0:1], off
	s_waitcnt vmcnt(0)
	v_lshlrev_b32_e32 v3, 25, v2
	v_lshlrev_b16 v2, 8, v2
	s_delay_alu instid0(VALU_DEP_2) | instskip(NEXT) | instid1(VALU_DEP_2)
	v_lshrrev_b32_e32 v6, 4, v3
	v_and_or_b32 v7, 0x7f00, v2, 0.5
	v_cmp_gt_u32_e32 vcc_lo, 0x8000000, v3
	v_bfe_i32 v2, v2, 0, 16
	s_delay_alu instid0(VALU_DEP_4) | instskip(NEXT) | instid1(VALU_DEP_1)
	v_or_b32_e32 v6, 0x70000000, v6
	v_dual_add_f32 v7, -0.5, v7 :: v_dual_mul_f32 v6, 0x7800000, v6
	s_delay_alu instid0(VALU_DEP_1) | instskip(NEXT) | instid1(VALU_DEP_1)
	v_cndmask_b32_e32 v3, v6, v7, vcc_lo
	v_and_or_b32 v2, 0x80000000, v2, v3
	s_delay_alu instid0(VALU_DEP_1)
	v_cvt_i32_f32_e32 v2, v2
.LBB368_570:
	s_mov_b32 s20, 0
	s_mov_b32 s0, -1
.LBB368_571:
	s_and_not1_b32 vcc_lo, exec_lo, s20
	s_cbranch_vccnz .LBB368_584
; %bb.572:
	v_cmp_lt_i16_e32 vcc_lo, 14, v5
	s_cbranch_vccz .LBB368_575
; %bb.573:
	v_cmp_eq_u16_e32 vcc_lo, 15, v5
	s_cbranch_vccz .LBB368_578
; %bb.574:
	global_load_u16 v2, v[0:1], off
	s_mov_b32 s0, -1
	s_mov_b32 s19, 0
	s_waitcnt vmcnt(0)
	v_lshlrev_b32_e32 v2, 16, v2
	s_delay_alu instid0(VALU_DEP_1)
	v_cvt_i32_f32_e32 v2, v2
	s_branch .LBB368_579
.LBB368_575:
	s_mov_b32 s20, -1
                                        ; implicit-def: $vgpr2
	s_branch .LBB368_580
.LBB368_576:
	s_or_saveexec_b32 s20, s20
	v_mov_b32_e32 v2, s21
	s_xor_b32 exec_lo, exec_lo, s20
	s_cbranch_execz .LBB368_557
.LBB368_577:
	v_cmp_ne_u16_e32 vcc_lo, 0, v3
	v_mov_b32_e32 v2, 0
	s_and_not1_b32 s0, s0, exec_lo
	s_and_b32 s21, vcc_lo, exec_lo
	s_delay_alu instid0(SALU_CYCLE_1)
	s_or_b32 s0, s0, s21
	s_or_b32 exec_lo, exec_lo, s20
	s_and_saveexec_b32 s20, s0
	s_cbranch_execnz .LBB368_558
	s_branch .LBB368_559
.LBB368_578:
	s_mov_b32 s19, -1
                                        ; implicit-def: $vgpr2
.LBB368_579:
	s_mov_b32 s20, 0
.LBB368_580:
	s_delay_alu instid0(SALU_CYCLE_1)
	s_and_b32 vcc_lo, exec_lo, s20
	s_cbranch_vccz .LBB368_584
; %bb.581:
	v_cmp_eq_u16_e32 vcc_lo, 11, v5
	s_cbranch_vccz .LBB368_583
; %bb.582:
	global_load_u8 v2, v[0:1], off
	s_mov_b32 s19, 0
	s_mov_b32 s0, -1
	s_waitcnt vmcnt(0)
	v_cmp_ne_u16_e32 vcc_lo, 0, v2
	v_cndmask_b32_e64 v2, 0, 1, vcc_lo
	s_branch .LBB368_584
.LBB368_583:
	s_mov_b32 s19, -1
                                        ; implicit-def: $vgpr2
.LBB368_584:
	s_mov_b32 s20, 0
.LBB368_585:
	s_delay_alu instid0(SALU_CYCLE_1)
	s_and_b32 vcc_lo, exec_lo, s20
	s_cbranch_vccz .LBB368_634
; %bb.586:
	v_cmp_gt_i16_e32 vcc_lo, 5, v5
	s_cbranch_vccnz .LBB368_591
; %bb.587:
	v_cmp_gt_i16_e32 vcc_lo, 8, v5
	s_cbranch_vccnz .LBB368_592
	;; [unrolled: 3-line block ×3, first 2 shown]
; %bb.589:
	v_cmp_lt_i16_e32 vcc_lo, 9, v5
	s_cbranch_vccz .LBB368_594
; %bb.590:
	global_load_b64 v[2:3], v[0:1], off
	s_mov_b32 s0, 0
	s_waitcnt vmcnt(0)
	v_cvt_i32_f64_e32 v2, v[2:3]
	s_branch .LBB368_595
.LBB368_591:
	s_mov_b32 s0, -1
                                        ; implicit-def: $vgpr2
	s_branch .LBB368_613
.LBB368_592:
	s_mov_b32 s0, -1
                                        ; implicit-def: $vgpr2
	s_branch .LBB368_601
.LBB368_593:
	s_mov_b32 s0, -1
                                        ; implicit-def: $vgpr2
	s_branch .LBB368_598
.LBB368_594:
	s_mov_b32 s0, -1
                                        ; implicit-def: $vgpr2
.LBB368_595:
	s_delay_alu instid0(SALU_CYCLE_1)
	s_and_not1_b32 vcc_lo, exec_lo, s0
	s_cbranch_vccnz .LBB368_597
; %bb.596:
	global_load_b32 v2, v[0:1], off
	s_waitcnt vmcnt(0)
	v_cvt_i32_f32_e32 v2, v2
.LBB368_597:
	s_mov_b32 s0, 0
.LBB368_598:
	s_delay_alu instid0(SALU_CYCLE_1)
	s_and_not1_b32 vcc_lo, exec_lo, s0
	s_cbranch_vccnz .LBB368_600
; %bb.599:
	global_load_b32 v2, v[0:1], off
	s_waitcnt vmcnt(0)
	v_cvt_f32_f16_e32 v2, v2
	s_delay_alu instid0(VALU_DEP_1)
	v_cvt_i32_f32_e32 v2, v2
.LBB368_600:
	s_mov_b32 s0, 0
.LBB368_601:
	s_delay_alu instid0(SALU_CYCLE_1)
	s_and_not1_b32 vcc_lo, exec_lo, s0
	s_cbranch_vccnz .LBB368_612
; %bb.602:
	v_cmp_gt_i16_e32 vcc_lo, 6, v5
	s_cbranch_vccnz .LBB368_605
; %bb.603:
	v_cmp_lt_i16_e32 vcc_lo, 6, v5
	s_cbranch_vccz .LBB368_606
; %bb.604:
	global_load_b64 v[2:3], v[0:1], off
	s_mov_b32 s0, 0
	s_waitcnt vmcnt(0)
	v_cvt_i32_f64_e32 v2, v[2:3]
	s_branch .LBB368_607
.LBB368_605:
	s_mov_b32 s0, -1
                                        ; implicit-def: $vgpr2
	s_branch .LBB368_610
.LBB368_606:
	s_mov_b32 s0, -1
                                        ; implicit-def: $vgpr2
.LBB368_607:
	s_delay_alu instid0(SALU_CYCLE_1)
	s_and_not1_b32 vcc_lo, exec_lo, s0
	s_cbranch_vccnz .LBB368_609
; %bb.608:
	global_load_b32 v2, v[0:1], off
	s_waitcnt vmcnt(0)
	v_cvt_i32_f32_e32 v2, v2
.LBB368_609:
	s_mov_b32 s0, 0
.LBB368_610:
	s_delay_alu instid0(SALU_CYCLE_1)
	s_and_not1_b32 vcc_lo, exec_lo, s0
	s_cbranch_vccnz .LBB368_612
; %bb.611:
	global_load_u16 v2, v[0:1], off
	s_waitcnt vmcnt(0)
	v_cvt_f32_f16_e32 v2, v2
	s_delay_alu instid0(VALU_DEP_1)
	v_cvt_i32_f32_e32 v2, v2
.LBB368_612:
	s_mov_b32 s0, 0
.LBB368_613:
	s_delay_alu instid0(SALU_CYCLE_1)
	s_and_not1_b32 vcc_lo, exec_lo, s0
	s_cbranch_vccnz .LBB368_633
; %bb.614:
	v_cmp_gt_i16_e32 vcc_lo, 2, v5
	s_cbranch_vccnz .LBB368_618
; %bb.615:
	v_cmp_gt_i16_e32 vcc_lo, 3, v5
	s_cbranch_vccnz .LBB368_619
; %bb.616:
	v_cmp_lt_i16_e32 vcc_lo, 3, v5
	s_cbranch_vccz .LBB368_620
; %bb.617:
	global_load_b32 v2, v[0:1], off
	s_mov_b32 s0, 0
	s_branch .LBB368_621
.LBB368_618:
	s_mov_b32 s0, -1
                                        ; implicit-def: $vgpr2
	s_branch .LBB368_627
.LBB368_619:
	s_mov_b32 s0, -1
                                        ; implicit-def: $vgpr2
	s_branch .LBB368_624
.LBB368_620:
	s_mov_b32 s0, -1
                                        ; implicit-def: $vgpr2
.LBB368_621:
	s_delay_alu instid0(SALU_CYCLE_1)
	s_and_not1_b32 vcc_lo, exec_lo, s0
	s_cbranch_vccnz .LBB368_623
; %bb.622:
	global_load_b32 v2, v[0:1], off
.LBB368_623:
	s_mov_b32 s0, 0
.LBB368_624:
	s_delay_alu instid0(SALU_CYCLE_1)
	s_and_not1_b32 vcc_lo, exec_lo, s0
	s_cbranch_vccnz .LBB368_626
; %bb.625:
	global_load_i16 v2, v[0:1], off
.LBB368_626:
	s_mov_b32 s0, 0
.LBB368_627:
	s_delay_alu instid0(SALU_CYCLE_1)
	s_and_not1_b32 vcc_lo, exec_lo, s0
	s_cbranch_vccnz .LBB368_633
; %bb.628:
	v_cmp_lt_i16_e32 vcc_lo, 0, v5
	s_mov_b32 s0, 0
	s_cbranch_vccz .LBB368_630
; %bb.629:
	global_load_i8 v2, v[0:1], off
	s_branch .LBB368_631
.LBB368_630:
	s_mov_b32 s0, -1
                                        ; implicit-def: $vgpr2
.LBB368_631:
	s_delay_alu instid0(SALU_CYCLE_1)
	s_and_not1_b32 vcc_lo, exec_lo, s0
	s_cbranch_vccnz .LBB368_633
; %bb.632:
	global_load_u8 v2, v[0:1], off
.LBB368_633:
	s_mov_b32 s0, -1
.LBB368_634:
	s_delay_alu instid0(SALU_CYCLE_1)
	s_and_not1_b32 vcc_lo, exec_lo, s0
	s_cbranch_vccnz .LBB368_642
; %bb.635:
	v_mul_lo_u32 v1, v4, s8
	v_and_b32_e64 v6, 0xff, s2
	s_waitcnt vmcnt(0)
	s_delay_alu instid0(VALU_DEP_3) | instskip(NEXT) | instid1(VALU_DEP_2)
	v_max_i32_e32 v0, s10, v2
	v_cmp_gt_i16_e32 vcc_lo, 11, v6
	s_delay_alu instid0(VALU_DEP_4) | instskip(SKIP_1) | instid1(VALU_DEP_1)
	v_ashrrev_i32_e32 v3, 31, v1
	v_add_co_u32 v2, s0, s4, v1
	v_add_co_ci_u32_e64 v3, s0, s5, v3, s0
	s_cbranch_vccnz .LBB368_643
; %bb.636:
	v_cmp_lt_i16_e32 vcc_lo, 25, v6
	s_cbranch_vccz .LBB368_644
; %bb.637:
	v_cmp_lt_i16_e32 vcc_lo, 28, v6
	s_cbranch_vccz .LBB368_645
	;; [unrolled: 3-line block ×4, first 2 shown]
; %bb.640:
	v_cmp_eq_u16_e32 vcc_lo, 46, v6
	s_mov_b32 s21, 0
	s_mov_b32 s0, -1
	s_mov_b32 s20, 0
	s_cbranch_vccz .LBB368_648
; %bb.641:
	v_cvt_f32_i32_e32 v1, v0
	s_mov_b32 s20, -1
	s_mov_b32 s0, 0
	s_delay_alu instid0(VALU_DEP_1) | instskip(NEXT) | instid1(VALU_DEP_1)
	v_bfe_u32 v7, v1, 16, 1
	v_add3_u32 v1, v1, v7, 0x7fff
	s_delay_alu instid0(VALU_DEP_1)
	v_lshrrev_b32_e32 v1, 16, v1
	global_store_b32 v[2:3], v1, off
	s_branch .LBB368_648
.LBB368_642:
	s_mov_b32 s21, 0
	s_mov_b32 s0, s16
	s_branch .LBB368_759
.LBB368_643:
	s_mov_b32 s21, -1
	s_mov_b32 s20, 0
	s_mov_b32 s0, s16
	s_branch .LBB368_717
.LBB368_644:
	s_mov_b32 s21, -1
	s_mov_b32 s20, 0
	s_mov_b32 s0, s16
	s_branch .LBB368_675
.LBB368_645:
	s_mov_b32 s21, -1
	s_mov_b32 s20, 0
	s_mov_b32 s0, s16
	s_branch .LBB368_658
.LBB368_646:
	s_mov_b32 s21, -1
	s_mov_b32 s20, 0
	s_mov_b32 s0, s16
	s_branch .LBB368_654
.LBB368_647:
	s_mov_b32 s21, -1
	s_mov_b32 s20, 0
	s_mov_b32 s0, s16
.LBB368_648:
	s_and_b32 vcc_lo, exec_lo, s21
	s_cbranch_vccz .LBB368_653
; %bb.649:
	v_cmp_eq_u16_e32 vcc_lo, 44, v6
	s_mov_b32 s0, -1
	s_cbranch_vccz .LBB368_653
; %bb.650:
	v_cvt_f32_i32_e32 v1, v0
	v_mov_b32_e32 v7, 0xff
	s_mov_b32 s20, exec_lo
	s_delay_alu instid0(VALU_DEP_2) | instskip(NEXT) | instid1(VALU_DEP_1)
	v_bfe_u32 v8, v1, 23, 8
	v_cmpx_ne_u32_e32 0xff, v8
; %bb.651:
	v_and_b32_e32 v7, 0x400000, v1
	v_and_or_b32 v8, 0x3fffff, v1, v8
	v_lshrrev_b32_e32 v1, 23, v1
	s_delay_alu instid0(VALU_DEP_3) | instskip(NEXT) | instid1(VALU_DEP_3)
	v_cmp_ne_u32_e32 vcc_lo, 0, v7
	v_cmp_ne_u32_e64 s0, 0, v8
	s_delay_alu instid0(VALU_DEP_1) | instskip(NEXT) | instid1(SALU_CYCLE_1)
	s_and_b32 s0, vcc_lo, s0
	v_cndmask_b32_e64 v7, 0, 1, s0
	s_delay_alu instid0(VALU_DEP_1)
	v_add_nc_u32_e32 v7, v1, v7
; %bb.652:
	s_or_b32 exec_lo, exec_lo, s20
	s_mov_b32 s20, -1
	s_mov_b32 s0, 0
	global_store_b8 v[2:3], v7, off
.LBB368_653:
	s_mov_b32 s21, 0
.LBB368_654:
	s_delay_alu instid0(SALU_CYCLE_1)
	s_and_b32 vcc_lo, exec_lo, s21
	s_cbranch_vccz .LBB368_657
; %bb.655:
	v_cmp_eq_u16_e32 vcc_lo, 29, v6
	s_mov_b32 s0, -1
	s_cbranch_vccz .LBB368_657
; %bb.656:
	v_ashrrev_i32_e32 v1, 31, v0
	s_mov_b32 s20, -1
	s_mov_b32 s0, 0
	s_mov_b32 s21, 0
	global_store_b64 v[2:3], v[0:1], off
	s_branch .LBB368_658
.LBB368_657:
	s_mov_b32 s21, 0
.LBB368_658:
	s_delay_alu instid0(SALU_CYCLE_1)
	s_and_b32 vcc_lo, exec_lo, s21
	s_cbranch_vccz .LBB368_674
; %bb.659:
	v_cmp_gt_i16_e32 vcc_lo, 27, v6
	s_mov_b32 s20, -1
	s_cbranch_vccnz .LBB368_665
; %bb.660:
	v_cmp_lt_i16_e32 vcc_lo, 27, v6
	s_cbranch_vccz .LBB368_662
; %bb.661:
	s_mov_b32 s20, 0
	global_store_b32 v[2:3], v0, off
.LBB368_662:
	s_and_not1_b32 vcc_lo, exec_lo, s20
	s_cbranch_vccnz .LBB368_664
; %bb.663:
	global_store_b16 v[2:3], v0, off
.LBB368_664:
	s_mov_b32 s20, 0
.LBB368_665:
	s_delay_alu instid0(SALU_CYCLE_1)
	s_and_not1_b32 vcc_lo, exec_lo, s20
	s_cbranch_vccnz .LBB368_673
; %bb.666:
	v_cvt_f32_i32_e32 v1, v0
	v_mov_b32_e32 v8, 0x80
	s_mov_b32 s20, exec_lo
	s_delay_alu instid0(VALU_DEP_2) | instskip(NEXT) | instid1(VALU_DEP_1)
	v_and_b32_e32 v7, 0x7fffffff, v1
	v_cmpx_gt_u32_e32 0x43800000, v7
	s_cbranch_execz .LBB368_672
; %bb.667:
	v_cmp_lt_u32_e32 vcc_lo, 0x3bffffff, v7
	s_mov_b32 s21, 0
                                        ; implicit-def: $vgpr7
	s_and_saveexec_b32 s22, vcc_lo
	s_delay_alu instid0(SALU_CYCLE_1)
	s_xor_b32 s22, exec_lo, s22
	s_cbranch_execz .LBB368_774
; %bb.668:
	v_bfe_u32 v7, v1, 20, 1
	s_mov_b32 s21, exec_lo
	s_delay_alu instid0(VALU_DEP_1) | instskip(NEXT) | instid1(VALU_DEP_1)
	v_add3_u32 v7, v1, v7, 0x487ffff
	v_lshrrev_b32_e32 v7, 20, v7
	s_or_saveexec_b32 s22, s22
                                        ; implicit-def: $sgpr23
	s_delay_alu instid0(SALU_CYCLE_1)
	s_xor_b32 exec_lo, exec_lo, s22
	s_cbranch_execnz .LBB368_775
.LBB368_669:
	s_or_b32 exec_lo, exec_lo, s22
	v_mov_b32_e32 v8, s23
	s_and_saveexec_b32 s22, s21
.LBB368_670:
	v_lshrrev_b32_e32 v1, 24, v1
	s_delay_alu instid0(VALU_DEP_1)
	v_and_or_b32 v8, 0x80, v1, v7
.LBB368_671:
	s_or_b32 exec_lo, exec_lo, s22
.LBB368_672:
	s_delay_alu instid0(SALU_CYCLE_1)
	s_or_b32 exec_lo, exec_lo, s20
	global_store_b8 v[2:3], v8, off
.LBB368_673:
	s_mov_b32 s20, -1
.LBB368_674:
	s_mov_b32 s21, 0
.LBB368_675:
	s_delay_alu instid0(SALU_CYCLE_1)
	s_and_b32 vcc_lo, exec_lo, s21
	s_cbranch_vccz .LBB368_716
; %bb.676:
	v_cmp_lt_i16_e32 vcc_lo, 22, v6
	s_mov_b32 s21, -1
	s_cbranch_vccz .LBB368_708
; %bb.677:
	v_cmp_gt_i16_e32 vcc_lo, 24, v6
	s_mov_b32 s20, -1
	s_cbranch_vccnz .LBB368_697
; %bb.678:
	v_cmp_lt_i16_e32 vcc_lo, 24, v6
	s_cbranch_vccz .LBB368_686
; %bb.679:
	v_cvt_f32_i32_e32 v1, v0
	v_mov_b32_e32 v8, 0x80
	s_mov_b32 s20, exec_lo
	s_delay_alu instid0(VALU_DEP_2) | instskip(NEXT) | instid1(VALU_DEP_1)
	v_and_b32_e32 v7, 0x7fffffff, v1
	v_cmpx_gt_u32_e32 0x47800000, v7
	s_cbranch_execz .LBB368_685
; %bb.680:
	v_cmp_lt_u32_e32 vcc_lo, 0x37ffffff, v7
	s_mov_b32 s21, 0
                                        ; implicit-def: $vgpr7
	s_and_saveexec_b32 s22, vcc_lo
	s_delay_alu instid0(SALU_CYCLE_1)
	s_xor_b32 s22, exec_lo, s22
	s_cbranch_execz .LBB368_777
; %bb.681:
	v_bfe_u32 v7, v1, 21, 1
	s_mov_b32 s21, exec_lo
	s_delay_alu instid0(VALU_DEP_1) | instskip(NEXT) | instid1(VALU_DEP_1)
	v_add3_u32 v7, v1, v7, 0x88fffff
	v_lshrrev_b32_e32 v7, 21, v7
	s_or_saveexec_b32 s22, s22
                                        ; implicit-def: $sgpr23
	s_delay_alu instid0(SALU_CYCLE_1)
	s_xor_b32 exec_lo, exec_lo, s22
	s_cbranch_execnz .LBB368_778
.LBB368_682:
	s_or_b32 exec_lo, exec_lo, s22
	v_mov_b32_e32 v8, s23
	s_and_saveexec_b32 s22, s21
.LBB368_683:
	v_lshrrev_b32_e32 v1, 24, v1
	s_delay_alu instid0(VALU_DEP_1)
	v_and_or_b32 v8, 0x80, v1, v7
.LBB368_684:
	s_or_b32 exec_lo, exec_lo, s22
.LBB368_685:
	s_delay_alu instid0(SALU_CYCLE_1)
	s_or_b32 exec_lo, exec_lo, s20
	s_mov_b32 s20, 0
	global_store_b8 v[2:3], v8, off
.LBB368_686:
	s_and_b32 vcc_lo, exec_lo, s20
	s_cbranch_vccz .LBB368_696
; %bb.687:
	v_cvt_f32_i32_e32 v1, v0
	s_mov_b32 s20, exec_lo
                                        ; implicit-def: $vgpr7
	s_delay_alu instid0(VALU_DEP_1) | instskip(NEXT) | instid1(VALU_DEP_1)
	v_and_b32_e32 v8, 0x7fffffff, v1
	v_cmpx_gt_u32_e32 0x43f00000, v8
	s_xor_b32 s20, exec_lo, s20
	s_cbranch_execz .LBB368_693
; %bb.688:
	s_mov_b32 s21, exec_lo
                                        ; implicit-def: $vgpr7
	v_cmpx_lt_u32_e32 0x3c7fffff, v8
	s_xor_b32 s21, exec_lo, s21
; %bb.689:
	v_bfe_u32 v7, v1, 20, 1
	s_delay_alu instid0(VALU_DEP_1) | instskip(NEXT) | instid1(VALU_DEP_1)
	v_add3_u32 v7, v1, v7, 0x407ffff
	v_and_b32_e32 v8, 0xff00000, v7
	v_lshrrev_b32_e32 v7, 20, v7
	s_delay_alu instid0(VALU_DEP_2) | instskip(NEXT) | instid1(VALU_DEP_2)
	v_cmp_ne_u32_e32 vcc_lo, 0x7f00000, v8
	v_cndmask_b32_e32 v7, 0x7e, v7, vcc_lo
; %bb.690:
	s_and_not1_saveexec_b32 s21, s21
; %bb.691:
	v_add_f32_e64 v7, 0x46800000, |v1|
; %bb.692:
	s_or_b32 exec_lo, exec_lo, s21
                                        ; implicit-def: $vgpr8
.LBB368_693:
	s_and_not1_saveexec_b32 s20, s20
; %bb.694:
	v_mov_b32_e32 v7, 0x7f
	v_cmp_lt_u32_e32 vcc_lo, 0x7f800000, v8
	s_delay_alu instid0(VALU_DEP_2)
	v_cndmask_b32_e32 v7, 0x7e, v7, vcc_lo
; %bb.695:
	s_or_b32 exec_lo, exec_lo, s20
	v_lshrrev_b32_e32 v1, 24, v1
	s_delay_alu instid0(VALU_DEP_1)
	v_and_or_b32 v1, 0x80, v1, v7
	global_store_b8 v[2:3], v1, off
.LBB368_696:
	s_mov_b32 s20, 0
.LBB368_697:
	s_delay_alu instid0(SALU_CYCLE_1)
	s_and_not1_b32 vcc_lo, exec_lo, s20
	s_cbranch_vccnz .LBB368_707
; %bb.698:
	v_cvt_f32_i32_e32 v1, v0
	s_mov_b32 s20, exec_lo
                                        ; implicit-def: $vgpr7
	s_delay_alu instid0(VALU_DEP_1) | instskip(NEXT) | instid1(VALU_DEP_1)
	v_and_b32_e32 v8, 0x7fffffff, v1
	v_cmpx_gt_u32_e32 0x47800000, v8
	s_xor_b32 s20, exec_lo, s20
	s_cbranch_execz .LBB368_704
; %bb.699:
	s_mov_b32 s21, exec_lo
                                        ; implicit-def: $vgpr7
	v_cmpx_lt_u32_e32 0x387fffff, v8
	s_xor_b32 s21, exec_lo, s21
; %bb.700:
	v_bfe_u32 v7, v1, 21, 1
	s_delay_alu instid0(VALU_DEP_1) | instskip(NEXT) | instid1(VALU_DEP_1)
	v_add3_u32 v7, v1, v7, 0x80fffff
	v_lshrrev_b32_e32 v7, 21, v7
; %bb.701:
	s_and_not1_saveexec_b32 s21, s21
; %bb.702:
	v_add_f32_e64 v7, 0x43000000, |v1|
; %bb.703:
	s_or_b32 exec_lo, exec_lo, s21
                                        ; implicit-def: $vgpr8
.LBB368_704:
	s_and_not1_saveexec_b32 s20, s20
; %bb.705:
	v_mov_b32_e32 v7, 0x7f
	v_cmp_lt_u32_e32 vcc_lo, 0x7f800000, v8
	s_delay_alu instid0(VALU_DEP_2)
	v_cndmask_b32_e32 v7, 0x7c, v7, vcc_lo
; %bb.706:
	s_or_b32 exec_lo, exec_lo, s20
	v_lshrrev_b32_e32 v1, 24, v1
	s_delay_alu instid0(VALU_DEP_1)
	v_and_or_b32 v1, 0x80, v1, v7
	global_store_b8 v[2:3], v1, off
.LBB368_707:
	s_mov_b32 s21, 0
	s_mov_b32 s20, -1
.LBB368_708:
	s_and_not1_b32 vcc_lo, exec_lo, s21
	s_cbranch_vccnz .LBB368_716
; %bb.709:
	v_cmp_lt_i16_e32 vcc_lo, 14, v6
	s_mov_b32 s21, -1
	s_cbranch_vccz .LBB368_713
; %bb.710:
	v_cmp_eq_u16_e32 vcc_lo, 15, v6
	s_mov_b32 s0, -1
	s_cbranch_vccz .LBB368_712
; %bb.711:
	v_cvt_f32_i32_e32 v1, v0
	s_mov_b32 s20, -1
	s_mov_b32 s0, 0
	s_delay_alu instid0(VALU_DEP_1) | instskip(NEXT) | instid1(VALU_DEP_1)
	v_bfe_u32 v7, v1, 16, 1
	v_add3_u32 v1, v1, v7, 0x7fff
	global_store_d16_hi_b16 v[2:3], v1, off
.LBB368_712:
	s_mov_b32 s21, 0
.LBB368_713:
	s_delay_alu instid0(SALU_CYCLE_1)
	s_and_b32 vcc_lo, exec_lo, s21
	s_cbranch_vccz .LBB368_716
; %bb.714:
	v_cmp_eq_u16_e32 vcc_lo, 11, v6
	s_mov_b32 s0, -1
	s_cbranch_vccz .LBB368_716
; %bb.715:
	v_cmp_ne_u32_e32 vcc_lo, 0, v0
	s_mov_b32 s0, 0
	s_mov_b32 s20, -1
	v_cndmask_b32_e64 v1, 0, 1, vcc_lo
	global_store_b8 v[2:3], v1, off
.LBB368_716:
	s_mov_b32 s21, 0
.LBB368_717:
	s_delay_alu instid0(SALU_CYCLE_1)
	s_and_b32 vcc_lo, exec_lo, s21
	s_cbranch_vccz .LBB368_756
; %bb.718:
	v_cmp_gt_i16_e32 vcc_lo, 5, v6
	s_mov_b32 s20, -1
	s_cbranch_vccnz .LBB368_739
; %bb.719:
	v_cmp_gt_i16_e32 vcc_lo, 8, v6
	s_cbranch_vccnz .LBB368_729
; %bb.720:
	v_cmp_gt_i16_e32 vcc_lo, 9, v6
	s_cbranch_vccnz .LBB368_726
; %bb.721:
	v_cmp_lt_i16_e32 vcc_lo, 9, v6
	s_cbranch_vccz .LBB368_723
; %bb.722:
	v_cvt_f64_i32_e32 v[7:8], v0
	v_mov_b32_e32 v9, 0
	s_mov_b32 s20, 0
	s_delay_alu instid0(VALU_DEP_1)
	v_mov_b32_e32 v10, v9
	global_store_b128 v[2:3], v[7:10], off
.LBB368_723:
	s_and_not1_b32 vcc_lo, exec_lo, s20
	s_cbranch_vccnz .LBB368_725
; %bb.724:
	v_cvt_f32_i32_e32 v7, v0
	v_mov_b32_e32 v8, 0
	global_store_b64 v[2:3], v[7:8], off
.LBB368_725:
	s_mov_b32 s20, 0
.LBB368_726:
	s_delay_alu instid0(SALU_CYCLE_1)
	s_and_not1_b32 vcc_lo, exec_lo, s20
	s_cbranch_vccnz .LBB368_728
; %bb.727:
	v_cvt_f32_i32_e32 v1, v0
	s_delay_alu instid0(VALU_DEP_1) | instskip(NEXT) | instid1(VALU_DEP_1)
	v_cvt_f16_f32_e32 v1, v1
	v_and_b32_e32 v1, 0xffff, v1
	global_store_b32 v[2:3], v1, off
.LBB368_728:
	s_mov_b32 s20, 0
.LBB368_729:
	s_delay_alu instid0(SALU_CYCLE_1)
	s_and_not1_b32 vcc_lo, exec_lo, s20
	s_cbranch_vccnz .LBB368_738
; %bb.730:
	v_cmp_gt_i16_e32 vcc_lo, 6, v6
	s_mov_b32 s20, -1
	s_cbranch_vccnz .LBB368_736
; %bb.731:
	v_cmp_lt_i16_e32 vcc_lo, 6, v6
	s_cbranch_vccz .LBB368_733
; %bb.732:
	v_cvt_f64_i32_e32 v[7:8], v0
	s_mov_b32 s20, 0
	global_store_b64 v[2:3], v[7:8], off
.LBB368_733:
	s_and_not1_b32 vcc_lo, exec_lo, s20
	s_cbranch_vccnz .LBB368_735
; %bb.734:
	v_cvt_f32_i32_e32 v1, v0
	global_store_b32 v[2:3], v1, off
.LBB368_735:
	s_mov_b32 s20, 0
.LBB368_736:
	s_delay_alu instid0(SALU_CYCLE_1)
	s_and_not1_b32 vcc_lo, exec_lo, s20
	s_cbranch_vccnz .LBB368_738
; %bb.737:
	v_cvt_f32_i32_e32 v1, v0
	s_delay_alu instid0(VALU_DEP_1)
	v_cvt_f16_f32_e32 v1, v1
	global_store_b16 v[2:3], v1, off
.LBB368_738:
	s_mov_b32 s20, 0
.LBB368_739:
	s_delay_alu instid0(SALU_CYCLE_1)
	s_and_not1_b32 vcc_lo, exec_lo, s20
	s_cbranch_vccnz .LBB368_755
; %bb.740:
	v_cmp_gt_i16_e32 vcc_lo, 2, v6
	s_mov_b32 s20, -1
	s_cbranch_vccnz .LBB368_750
; %bb.741:
	v_cmp_gt_i16_e32 vcc_lo, 3, v6
	s_cbranch_vccnz .LBB368_747
; %bb.742:
	v_cmp_lt_i16_e32 vcc_lo, 3, v6
	s_cbranch_vccz .LBB368_744
; %bb.743:
	v_ashrrev_i32_e32 v1, 31, v0
	s_mov_b32 s20, 0
	global_store_b64 v[2:3], v[0:1], off
.LBB368_744:
	s_and_not1_b32 vcc_lo, exec_lo, s20
	s_cbranch_vccnz .LBB368_746
; %bb.745:
	global_store_b32 v[2:3], v0, off
.LBB368_746:
	s_mov_b32 s20, 0
.LBB368_747:
	s_delay_alu instid0(SALU_CYCLE_1)
	s_and_not1_b32 vcc_lo, exec_lo, s20
	s_cbranch_vccnz .LBB368_749
; %bb.748:
	global_store_b16 v[2:3], v0, off
.LBB368_749:
	s_mov_b32 s20, 0
.LBB368_750:
	s_delay_alu instid0(SALU_CYCLE_1)
	s_and_not1_b32 vcc_lo, exec_lo, s20
	s_cbranch_vccnz .LBB368_755
; %bb.751:
	v_cmp_lt_i16_e32 vcc_lo, 0, v6
	s_mov_b32 s20, -1
	s_cbranch_vccz .LBB368_753
; %bb.752:
	s_mov_b32 s20, 0
	global_store_b8 v[2:3], v0, off
.LBB368_753:
	s_and_not1_b32 vcc_lo, exec_lo, s20
	s_cbranch_vccnz .LBB368_755
; %bb.754:
	global_store_b8 v[2:3], v0, off
.LBB368_755:
	s_mov_b32 s20, -1
.LBB368_756:
	s_delay_alu instid0(SALU_CYCLE_1)
	s_and_not1_b32 vcc_lo, exec_lo, s20
	s_cbranch_vccnz .LBB368_758
; %bb.757:
	v_add_nc_u32_e32 v4, 0x80, v4
	s_mov_b32 s21, -1
	s_branch .LBB368_760
.LBB368_758:
	s_mov_b32 s21, 0
.LBB368_759:
                                        ; implicit-def: $vgpr4
.LBB368_760:
	s_and_not1_b32 s20, s16, exec_lo
	s_and_b32 s0, s0, exec_lo
	s_and_not1_b32 s22, s15, exec_lo
	s_and_b32 s19, s19, exec_lo
	s_or_b32 s20, s20, s0
	s_or_b32 s19, s22, s19
	s_or_not1_b32 s0, s21, exec_lo
.LBB368_761:
	s_or_b32 exec_lo, exec_lo, s18
	s_mov_b32 s21, 0
	s_mov_b32 s22, 0
	;; [unrolled: 1-line block ×3, first 2 shown]
                                        ; implicit-def: $vgpr0_vgpr1
                                        ; implicit-def: $vgpr6
	s_and_saveexec_b32 s18, s0
	s_cbranch_execz .LBB368_842
; %bb.762:
	v_cmp_gt_i32_e32 vcc_lo, s12, v4
	s_mov_b32 s0, 0
	s_mov_b32 s21, s19
                                        ; implicit-def: $vgpr0_vgpr1
                                        ; implicit-def: $vgpr6
	s_and_saveexec_b32 s12, vcc_lo
	s_cbranch_execz .LBB368_841
; %bb.763:
	v_mul_lo_u32 v0, v4, s9
	v_cmp_gt_i16_e32 vcc_lo, 11, v5
	s_delay_alu instid0(VALU_DEP_2) | instskip(SKIP_1) | instid1(VALU_DEP_1)
	v_ashrrev_i32_e32 v1, 31, v0
	v_add_co_u32 v0, s0, s6, v0
	v_add_co_ci_u32_e64 v1, s0, s7, v1, s0
	s_cbranch_vccnz .LBB368_770
; %bb.764:
	v_cmp_lt_i16_e32 vcc_lo, 25, v5
	s_mov_b32 s21, 0
	s_cbranch_vccz .LBB368_771
; %bb.765:
	v_cmp_lt_i16_e32 vcc_lo, 28, v5
	s_cbranch_vccz .LBB368_772
; %bb.766:
	v_cmp_lt_i16_e32 vcc_lo, 43, v5
	;; [unrolled: 3-line block ×3, first 2 shown]
	s_cbranch_vccz .LBB368_776
; %bb.768:
	v_cmp_eq_u16_e32 vcc_lo, 46, v5
	s_cbranch_vccz .LBB368_779
; %bb.769:
	global_load_b32 v2, v[0:1], off
	s_mov_b32 s0, 0
	s_mov_b32 s22, -1
	s_waitcnt vmcnt(0)
	v_lshlrev_b32_e32 v2, 16, v2
	s_delay_alu instid0(VALU_DEP_1)
	v_cvt_i32_f32_e32 v6, v2
	s_branch .LBB368_781
.LBB368_770:
	s_mov_b32 s24, -1
	s_mov_b32 s21, 0
	s_mov_b32 s0, s19
                                        ; implicit-def: $vgpr6
	s_branch .LBB368_840
.LBB368_771:
	s_mov_b32 s23, -1
	s_mov_b32 s0, s19
                                        ; implicit-def: $vgpr6
	s_branch .LBB368_808
.LBB368_772:
	s_mov_b32 s23, -1
	s_mov_b32 s0, s19
                                        ; implicit-def: $vgpr6
	s_branch .LBB368_791
.LBB368_773:
	s_mov_b32 s23, -1
	s_mov_b32 s0, s19
                                        ; implicit-def: $vgpr6
	s_branch .LBB368_786
.LBB368_774:
	s_or_saveexec_b32 s22, s22
                                        ; implicit-def: $sgpr23
	s_delay_alu instid0(SALU_CYCLE_1)
	s_xor_b32 exec_lo, exec_lo, s22
	s_cbranch_execz .LBB368_669
.LBB368_775:
	v_add_f32_e64 v7, 0x46000000, |v1|
	s_and_not1_b32 s21, s21, exec_lo
	s_mov_b32 s23, 0
	s_delay_alu instid0(VALU_DEP_1) | instskip(NEXT) | instid1(VALU_DEP_1)
	v_and_b32_e32 v7, 0xff, v7
	v_cmp_ne_u32_e32 vcc_lo, 0, v7
	s_and_b32 s24, vcc_lo, exec_lo
	s_delay_alu instid0(SALU_CYCLE_1)
	s_or_b32 s21, s21, s24
	s_or_b32 exec_lo, exec_lo, s22
	v_mov_b32_e32 v8, s23
	s_and_saveexec_b32 s22, s21
	s_cbranch_execnz .LBB368_670
	s_branch .LBB368_671
.LBB368_776:
	s_mov_b32 s23, -1
	s_mov_b32 s0, s19
	s_branch .LBB368_780
.LBB368_777:
	s_or_saveexec_b32 s22, s22
                                        ; implicit-def: $sgpr23
	s_delay_alu instid0(SALU_CYCLE_1)
	s_xor_b32 exec_lo, exec_lo, s22
	s_cbranch_execz .LBB368_682
.LBB368_778:
	v_add_f32_e64 v7, 0x42800000, |v1|
	s_and_not1_b32 s21, s21, exec_lo
	s_mov_b32 s23, 0
	s_delay_alu instid0(VALU_DEP_1) | instskip(NEXT) | instid1(VALU_DEP_1)
	v_and_b32_e32 v7, 0xff, v7
	v_cmp_ne_u32_e32 vcc_lo, 0, v7
	s_and_b32 s24, vcc_lo, exec_lo
	s_delay_alu instid0(SALU_CYCLE_1)
	s_or_b32 s21, s21, s24
	s_or_b32 exec_lo, exec_lo, s22
	v_mov_b32_e32 v8, s23
	s_and_saveexec_b32 s22, s21
	s_cbranch_execnz .LBB368_683
	s_branch .LBB368_684
.LBB368_779:
	s_mov_b32 s0, -1
.LBB368_780:
                                        ; implicit-def: $vgpr6
.LBB368_781:
	s_and_b32 vcc_lo, exec_lo, s23
	s_cbranch_vccz .LBB368_785
; %bb.782:
	v_cmp_eq_u16_e32 vcc_lo, 44, v5
	s_cbranch_vccz .LBB368_784
; %bb.783:
	global_load_u8 v2, v[0:1], off
	s_mov_b32 s0, 0
	s_mov_b32 s22, -1
	s_waitcnt vmcnt(0)
	v_lshlrev_b32_e32 v3, 23, v2
	v_cmp_ne_u32_e32 vcc_lo, 0, v2
	s_delay_alu instid0(VALU_DEP_2) | instskip(NEXT) | instid1(VALU_DEP_1)
	v_cvt_i32_f32_e32 v3, v3
	v_cndmask_b32_e32 v6, 0, v3, vcc_lo
	s_branch .LBB368_785
.LBB368_784:
	s_mov_b32 s0, -1
                                        ; implicit-def: $vgpr6
.LBB368_785:
	s_mov_b32 s23, 0
.LBB368_786:
	s_delay_alu instid0(SALU_CYCLE_1)
	s_and_b32 vcc_lo, exec_lo, s23
	s_cbranch_vccz .LBB368_790
; %bb.787:
	v_cmp_eq_u16_e32 vcc_lo, 29, v5
	s_cbranch_vccz .LBB368_789
; %bb.788:
	global_load_b32 v6, v[0:1], off
	s_mov_b32 s0, 0
	s_mov_b32 s22, -1
	s_branch .LBB368_790
.LBB368_789:
	s_mov_b32 s0, -1
                                        ; implicit-def: $vgpr6
.LBB368_790:
	s_mov_b32 s23, 0
.LBB368_791:
	s_delay_alu instid0(SALU_CYCLE_1)
	s_and_b32 vcc_lo, exec_lo, s23
	s_cbranch_vccz .LBB368_807
; %bb.792:
	v_cmp_gt_i16_e32 vcc_lo, 27, v5
	s_cbranch_vccnz .LBB368_795
; %bb.793:
	v_cmp_lt_i16_e32 vcc_lo, 27, v5
	s_cbranch_vccz .LBB368_796
; %bb.794:
	global_load_b32 v6, v[0:1], off
	s_mov_b32 s22, 0
	s_branch .LBB368_797
.LBB368_795:
	s_mov_b32 s22, -1
                                        ; implicit-def: $vgpr6
	s_branch .LBB368_800
.LBB368_796:
	s_mov_b32 s22, -1
                                        ; implicit-def: $vgpr6
.LBB368_797:
	s_delay_alu instid0(SALU_CYCLE_1)
	s_and_not1_b32 vcc_lo, exec_lo, s22
	s_cbranch_vccnz .LBB368_799
; %bb.798:
	global_load_u16 v6, v[0:1], off
.LBB368_799:
	s_mov_b32 s22, 0
.LBB368_800:
	s_delay_alu instid0(SALU_CYCLE_1)
	s_and_not1_b32 vcc_lo, exec_lo, s22
	s_cbranch_vccnz .LBB368_806
; %bb.801:
	global_load_u8 v2, v[0:1], off
	s_mov_b32 s22, 0
	s_mov_b32 s23, exec_lo
                                        ; implicit-def: $sgpr24
	s_waitcnt vmcnt(0)
	v_cmpx_lt_i16_e32 0x7f, v2
	s_xor_b32 s23, exec_lo, s23
	s_cbranch_execz .LBB368_818
; %bb.802:
	v_cmp_ne_u16_e32 vcc_lo, 0x80, v2
	s_mov_b32 s24, 0
	s_and_b32 s22, vcc_lo, exec_lo
	s_or_saveexec_b32 s23, s23
	v_mov_b32_e32 v6, s24
	s_xor_b32 exec_lo, exec_lo, s23
	s_cbranch_execnz .LBB368_819
.LBB368_803:
	s_or_b32 exec_lo, exec_lo, s23
	s_and_saveexec_b32 s23, s22
	s_cbranch_execz .LBB368_805
.LBB368_804:
	v_and_b32_e32 v3, 0xffff, v2
	v_lshlrev_b32_e32 v2, 24, v2
	s_delay_alu instid0(VALU_DEP_2) | instskip(NEXT) | instid1(VALU_DEP_2)
	v_and_b32_e32 v6, 7, v3
	v_and_b32_e32 v2, 0x80000000, v2
	s_delay_alu instid0(VALU_DEP_2) | instskip(NEXT) | instid1(VALU_DEP_1)
	v_clz_i32_u32_e32 v7, v6
	v_min_u32_e32 v7, 32, v7
	s_delay_alu instid0(VALU_DEP_1) | instskip(SKIP_1) | instid1(VALU_DEP_2)
	v_subrev_nc_u32_e32 v8, 28, v7
	v_sub_nc_u32_e32 v7, 29, v7
	v_lshlrev_b32_e32 v8, v8, v3
	v_bfe_u32 v3, v3, 3, 4
	s_delay_alu instid0(VALU_DEP_1) | instskip(NEXT) | instid1(VALU_DEP_3)
	v_cmp_eq_u32_e32 vcc_lo, 0, v3
	v_dual_cndmask_b32 v3, v3, v7 :: v_dual_and_b32 v8, 7, v8
	s_delay_alu instid0(VALU_DEP_1) | instskip(NEXT) | instid1(VALU_DEP_2)
	v_cndmask_b32_e32 v6, v6, v8, vcc_lo
	v_lshl_add_u32 v3, v3, 23, 0x3b800000
	s_delay_alu instid0(VALU_DEP_2) | instskip(NEXT) | instid1(VALU_DEP_1)
	v_lshlrev_b32_e32 v6, 20, v6
	v_or3_b32 v2, v2, v3, v6
	s_delay_alu instid0(VALU_DEP_1)
	v_cvt_i32_f32_e32 v6, v2
.LBB368_805:
	s_or_b32 exec_lo, exec_lo, s23
.LBB368_806:
	s_mov_b32 s22, -1
.LBB368_807:
	s_mov_b32 s23, 0
.LBB368_808:
	s_delay_alu instid0(SALU_CYCLE_1)
	s_and_b32 vcc_lo, exec_lo, s23
	s_cbranch_vccz .LBB368_839
; %bb.809:
	v_cmp_lt_i16_e32 vcc_lo, 22, v5
	s_cbranch_vccz .LBB368_817
; %bb.810:
	v_cmp_gt_i16_e32 vcc_lo, 24, v5
	s_cbranch_vccnz .LBB368_820
; %bb.811:
	v_cmp_lt_i16_e32 vcc_lo, 24, v5
	s_cbranch_vccz .LBB368_821
; %bb.812:
	global_load_u8 v2, v[0:1], off
	s_mov_b32 s22, exec_lo
                                        ; implicit-def: $sgpr23
	s_waitcnt vmcnt(0)
	v_cmpx_lt_i16_e32 0x7f, v2
	s_xor_b32 s22, exec_lo, s22
	s_cbranch_execz .LBB368_833
; %bb.813:
	v_cmp_ne_u16_e32 vcc_lo, 0x80, v2
	s_mov_b32 s23, 0
	s_and_b32 s21, vcc_lo, exec_lo
	s_or_saveexec_b32 s22, s22
	v_mov_b32_e32 v6, s23
	s_xor_b32 exec_lo, exec_lo, s22
	s_cbranch_execnz .LBB368_834
.LBB368_814:
	s_or_b32 exec_lo, exec_lo, s22
	s_and_saveexec_b32 s22, s21
	s_cbranch_execz .LBB368_816
.LBB368_815:
	v_and_b32_e32 v3, 0xffff, v2
	v_lshlrev_b32_e32 v2, 24, v2
	s_delay_alu instid0(VALU_DEP_2) | instskip(NEXT) | instid1(VALU_DEP_2)
	v_and_b32_e32 v6, 3, v3
	v_and_b32_e32 v2, 0x80000000, v2
	s_delay_alu instid0(VALU_DEP_2) | instskip(NEXT) | instid1(VALU_DEP_1)
	v_clz_i32_u32_e32 v7, v6
	v_min_u32_e32 v7, 32, v7
	s_delay_alu instid0(VALU_DEP_1) | instskip(SKIP_1) | instid1(VALU_DEP_2)
	v_subrev_nc_u32_e32 v8, 29, v7
	v_sub_nc_u32_e32 v7, 30, v7
	v_lshlrev_b32_e32 v8, v8, v3
	v_bfe_u32 v3, v3, 2, 5
	s_delay_alu instid0(VALU_DEP_1) | instskip(NEXT) | instid1(VALU_DEP_3)
	v_cmp_eq_u32_e32 vcc_lo, 0, v3
	v_dual_cndmask_b32 v3, v3, v7 :: v_dual_and_b32 v8, 3, v8
	s_delay_alu instid0(VALU_DEP_1) | instskip(NEXT) | instid1(VALU_DEP_2)
	v_cndmask_b32_e32 v6, v6, v8, vcc_lo
	v_lshl_add_u32 v3, v3, 23, 0x37800000
	s_delay_alu instid0(VALU_DEP_2) | instskip(NEXT) | instid1(VALU_DEP_1)
	v_lshlrev_b32_e32 v6, 21, v6
	v_or3_b32 v2, v2, v3, v6
	s_delay_alu instid0(VALU_DEP_1)
	v_cvt_i32_f32_e32 v6, v2
.LBB368_816:
	s_or_b32 exec_lo, exec_lo, s22
	s_mov_b32 s21, 0
	s_branch .LBB368_822
.LBB368_817:
	s_mov_b32 s21, -1
                                        ; implicit-def: $vgpr6
	s_branch .LBB368_828
.LBB368_818:
	s_or_saveexec_b32 s23, s23
	v_mov_b32_e32 v6, s24
	s_xor_b32 exec_lo, exec_lo, s23
	s_cbranch_execz .LBB368_803
.LBB368_819:
	v_cmp_ne_u16_e32 vcc_lo, 0, v2
	v_mov_b32_e32 v6, 0
	s_and_not1_b32 s22, s22, exec_lo
	s_and_b32 s24, vcc_lo, exec_lo
	s_delay_alu instid0(SALU_CYCLE_1)
	s_or_b32 s22, s22, s24
	s_or_b32 exec_lo, exec_lo, s23
	s_and_saveexec_b32 s23, s22
	s_cbranch_execnz .LBB368_804
	s_branch .LBB368_805
.LBB368_820:
	s_mov_b32 s21, -1
                                        ; implicit-def: $vgpr6
	s_branch .LBB368_825
.LBB368_821:
	s_mov_b32 s21, -1
                                        ; implicit-def: $vgpr6
.LBB368_822:
	s_delay_alu instid0(SALU_CYCLE_1)
	s_and_b32 vcc_lo, exec_lo, s21
	s_cbranch_vccz .LBB368_824
; %bb.823:
	global_load_u8 v2, v[0:1], off
	s_waitcnt vmcnt(0)
	v_lshlrev_b32_e32 v2, 24, v2
	s_delay_alu instid0(VALU_DEP_1) | instskip(NEXT) | instid1(VALU_DEP_1)
	v_and_b32_e32 v3, 0x7f000000, v2
	v_clz_i32_u32_e32 v6, v3
	v_cmp_ne_u32_e32 vcc_lo, 0, v3
	v_add_nc_u32_e32 v8, 0x1000000, v3
	s_delay_alu instid0(VALU_DEP_3) | instskip(NEXT) | instid1(VALU_DEP_1)
	v_min_u32_e32 v6, 32, v6
	v_sub_nc_u32_e64 v6, v6, 4 clamp
	s_delay_alu instid0(VALU_DEP_1) | instskip(SKIP_1) | instid1(VALU_DEP_2)
	v_lshlrev_b32_e32 v7, v6, v3
	v_lshlrev_b32_e32 v6, 23, v6
	v_lshrrev_b32_e32 v7, 4, v7
	s_delay_alu instid0(VALU_DEP_1) | instskip(SKIP_1) | instid1(VALU_DEP_2)
	v_sub_nc_u32_e32 v6, v7, v6
	v_ashrrev_i32_e32 v7, 8, v8
	v_add_nc_u32_e32 v6, 0x3c000000, v6
	s_delay_alu instid0(VALU_DEP_1) | instskip(NEXT) | instid1(VALU_DEP_1)
	v_and_or_b32 v6, 0x7f800000, v7, v6
	v_cndmask_b32_e32 v3, 0, v6, vcc_lo
	s_delay_alu instid0(VALU_DEP_1) | instskip(NEXT) | instid1(VALU_DEP_1)
	v_and_or_b32 v2, 0x80000000, v2, v3
	v_cvt_i32_f32_e32 v6, v2
.LBB368_824:
	s_mov_b32 s21, 0
.LBB368_825:
	s_delay_alu instid0(SALU_CYCLE_1)
	s_and_not1_b32 vcc_lo, exec_lo, s21
	s_cbranch_vccnz .LBB368_827
; %bb.826:
	global_load_u8 v2, v[0:1], off
	s_waitcnt vmcnt(0)
	v_lshlrev_b32_e32 v3, 25, v2
	v_lshlrev_b16 v2, 8, v2
	s_delay_alu instid0(VALU_DEP_2) | instskip(NEXT) | instid1(VALU_DEP_2)
	v_lshrrev_b32_e32 v6, 4, v3
	v_and_or_b32 v7, 0x7f00, v2, 0.5
	v_cmp_gt_u32_e32 vcc_lo, 0x8000000, v3
	v_bfe_i32 v2, v2, 0, 16
	s_delay_alu instid0(VALU_DEP_4) | instskip(NEXT) | instid1(VALU_DEP_1)
	v_or_b32_e32 v6, 0x70000000, v6
	v_dual_add_f32 v7, -0.5, v7 :: v_dual_mul_f32 v6, 0x7800000, v6
	s_delay_alu instid0(VALU_DEP_1) | instskip(NEXT) | instid1(VALU_DEP_1)
	v_cndmask_b32_e32 v3, v6, v7, vcc_lo
	v_and_or_b32 v2, 0x80000000, v2, v3
	s_delay_alu instid0(VALU_DEP_1)
	v_cvt_i32_f32_e32 v6, v2
.LBB368_827:
	s_mov_b32 s21, 0
	s_mov_b32 s22, -1
.LBB368_828:
	s_and_not1_b32 vcc_lo, exec_lo, s21
	s_mov_b32 s21, 0
	s_cbranch_vccnz .LBB368_839
; %bb.829:
	v_cmp_lt_i16_e32 vcc_lo, 14, v5
	s_cbranch_vccz .LBB368_832
; %bb.830:
	v_cmp_eq_u16_e32 vcc_lo, 15, v5
	s_cbranch_vccz .LBB368_835
; %bb.831:
	global_load_u16 v2, v[0:1], off
	s_mov_b32 s0, 0
	s_mov_b32 s22, -1
	s_waitcnt vmcnt(0)
	v_lshlrev_b32_e32 v2, 16, v2
	s_delay_alu instid0(VALU_DEP_1)
	v_cvt_i32_f32_e32 v6, v2
	s_branch .LBB368_837
.LBB368_832:
	s_mov_b32 s21, -1
	s_branch .LBB368_836
.LBB368_833:
	s_or_saveexec_b32 s22, s22
	v_mov_b32_e32 v6, s23
	s_xor_b32 exec_lo, exec_lo, s22
	s_cbranch_execz .LBB368_814
.LBB368_834:
	v_cmp_ne_u16_e32 vcc_lo, 0, v2
	v_mov_b32_e32 v6, 0
	s_and_not1_b32 s21, s21, exec_lo
	s_and_b32 s23, vcc_lo, exec_lo
	s_delay_alu instid0(SALU_CYCLE_1)
	s_or_b32 s21, s21, s23
	s_or_b32 exec_lo, exec_lo, s22
	s_and_saveexec_b32 s22, s21
	s_cbranch_execnz .LBB368_815
	s_branch .LBB368_816
.LBB368_835:
	s_mov_b32 s0, -1
.LBB368_836:
                                        ; implicit-def: $vgpr6
.LBB368_837:
	s_and_b32 vcc_lo, exec_lo, s21
	s_mov_b32 s21, 0
	s_cbranch_vccz .LBB368_839
; %bb.838:
	v_cmp_ne_u16_e32 vcc_lo, 11, v5
	s_and_not1_b32 s0, s0, exec_lo
	s_mov_b32 s21, -1
                                        ; implicit-def: $vgpr6
	s_and_b32 s23, vcc_lo, exec_lo
	s_delay_alu instid0(SALU_CYCLE_1)
	s_or_b32 s0, s0, s23
.LBB368_839:
	s_mov_b32 s24, 0
.LBB368_840:
	s_and_b32 s23, s22, exec_lo
	s_and_b32 s22, s24, exec_lo
	s_and_not1_b32 s24, s19, exec_lo
	s_and_b32 s25, s0, exec_lo
	s_and_b32 s0, s21, exec_lo
	s_or_b32 s21, s24, s25
.LBB368_841:
	s_or_b32 exec_lo, exec_lo, s12
	s_delay_alu instid0(SALU_CYCLE_1)
	s_and_not1_b32 s12, s19, exec_lo
	s_and_b32 s19, s21, exec_lo
	s_and_b32 s23, s23, exec_lo
	;; [unrolled: 1-line block ×4, first 2 shown]
	s_or_b32 s19, s12, s19
.LBB368_842:
	s_or_b32 exec_lo, exec_lo, s18
	s_delay_alu instid0(SALU_CYCLE_1)
	s_and_not1_b32 s0, s16, exec_lo
	s_and_b32 s12, s20, exec_lo
	s_and_b32 s20, s22, exec_lo
	s_or_b32 s16, s0, s12
	s_and_not1_b32 s12, s15, exec_lo
	s_and_b32 s15, s19, exec_lo
	s_and_b32 s0, s23, exec_lo
	;; [unrolled: 1-line block ×3, first 2 shown]
	s_or_b32 s15, s12, s15
.LBB368_843:
	s_or_b32 exec_lo, exec_lo, s17
	s_delay_alu instid0(SALU_CYCLE_1)
	s_and_not1_b32 s11, s11, exec_lo
	s_and_b32 s12, s16, exec_lo
	s_and_b32 s0, s0, exec_lo
	s_or_b32 s11, s11, s12
	s_and_not1_b32 s12, s13, exec_lo
	s_and_b32 s13, s15, exec_lo
	s_and_b32 s16, s20, exec_lo
	;; [unrolled: 1-line block ×3, first 2 shown]
	s_or_b32 s13, s12, s13
.LBB368_844:
	s_or_b32 exec_lo, exec_lo, s14
	s_mov_b32 s12, 0
	s_and_saveexec_b32 s14, s13
	s_cbranch_execnz .LBB368_856
; %bb.845:
	s_or_b32 exec_lo, exec_lo, s14
	s_and_saveexec_b32 s13, s15
	s_delay_alu instid0(SALU_CYCLE_1)
	s_xor_b32 s13, exec_lo, s13
	s_cbranch_execz .LBB368_847
.LBB368_846:
	global_load_u8 v2, v[0:1], off
	s_or_b32 s0, s0, exec_lo
	s_waitcnt vmcnt(0)
	v_cmp_ne_u16_e32 vcc_lo, 0, v2
	v_cndmask_b32_e64 v6, 0, 1, vcc_lo
.LBB368_847:
	s_or_b32 exec_lo, exec_lo, s13
	s_and_saveexec_b32 s13, s16
	s_cbranch_execz .LBB368_895
; %bb.848:
	v_cmp_gt_i16_e32 vcc_lo, 5, v5
	s_cbranch_vccnz .LBB368_853
; %bb.849:
	v_cmp_gt_i16_e32 vcc_lo, 8, v5
	s_cbranch_vccnz .LBB368_854
	;; [unrolled: 3-line block ×3, first 2 shown]
; %bb.851:
	v_cmp_lt_i16_e32 vcc_lo, 9, v5
	s_cbranch_vccz .LBB368_858
; %bb.852:
	global_load_b64 v[2:3], v[0:1], off
	s_mov_b32 s14, 0
	s_waitcnt vmcnt(0)
	v_cvt_i32_f64_e32 v6, v[2:3]
	s_branch .LBB368_859
.LBB368_853:
                                        ; implicit-def: $vgpr6
	s_branch .LBB368_876
.LBB368_854:
                                        ; implicit-def: $vgpr6
	s_branch .LBB368_865
.LBB368_855:
	s_mov_b32 s14, -1
                                        ; implicit-def: $vgpr6
	s_branch .LBB368_862
.LBB368_856:
	s_cbranch_execnz .LBB368_904
; %bb.857:
	s_mov_b32 s12, exec_lo
	s_and_not1_b32 s15, s15, exec_lo
                                        ; implicit-def: $vgpr6
	s_or_b32 exec_lo, exec_lo, s14
	s_and_saveexec_b32 s13, s15
	s_delay_alu instid0(SALU_CYCLE_1)
	s_xor_b32 s13, exec_lo, s13
	s_cbranch_execnz .LBB368_846
	s_branch .LBB368_847
.LBB368_858:
	s_mov_b32 s14, -1
                                        ; implicit-def: $vgpr6
.LBB368_859:
	s_delay_alu instid0(SALU_CYCLE_1)
	s_and_not1_b32 vcc_lo, exec_lo, s14
	s_cbranch_vccnz .LBB368_861
; %bb.860:
	global_load_b32 v2, v[0:1], off
	s_waitcnt vmcnt(0)
	v_cvt_i32_f32_e32 v6, v2
.LBB368_861:
	s_mov_b32 s14, 0
.LBB368_862:
	s_delay_alu instid0(SALU_CYCLE_1)
	s_and_not1_b32 vcc_lo, exec_lo, s14
	s_cbranch_vccnz .LBB368_864
; %bb.863:
	global_load_b32 v2, v[0:1], off
	s_waitcnt vmcnt(0)
	v_cvt_f32_f16_e32 v2, v2
	s_delay_alu instid0(VALU_DEP_1)
	v_cvt_i32_f32_e32 v6, v2
.LBB368_864:
	s_cbranch_execnz .LBB368_875
.LBB368_865:
	v_cmp_gt_i16_e32 vcc_lo, 6, v5
	s_cbranch_vccnz .LBB368_868
; %bb.866:
	v_cmp_lt_i16_e32 vcc_lo, 6, v5
	s_cbranch_vccz .LBB368_869
; %bb.867:
	global_load_b64 v[2:3], v[0:1], off
	s_mov_b32 s14, 0
	s_waitcnt vmcnt(0)
	v_cvt_i32_f64_e32 v6, v[2:3]
	s_branch .LBB368_870
.LBB368_868:
	s_mov_b32 s14, -1
                                        ; implicit-def: $vgpr6
	s_branch .LBB368_873
.LBB368_869:
	s_mov_b32 s14, -1
                                        ; implicit-def: $vgpr6
.LBB368_870:
	s_delay_alu instid0(SALU_CYCLE_1)
	s_and_not1_b32 vcc_lo, exec_lo, s14
	s_cbranch_vccnz .LBB368_872
; %bb.871:
	global_load_b32 v2, v[0:1], off
	s_waitcnt vmcnt(0)
	v_cvt_i32_f32_e32 v6, v2
.LBB368_872:
	s_mov_b32 s14, 0
.LBB368_873:
	s_delay_alu instid0(SALU_CYCLE_1)
	s_and_not1_b32 vcc_lo, exec_lo, s14
	s_cbranch_vccnz .LBB368_875
; %bb.874:
	global_load_u16 v2, v[0:1], off
	s_waitcnt vmcnt(0)
	v_cvt_f32_f16_e32 v2, v2
	s_delay_alu instid0(VALU_DEP_1)
	v_cvt_i32_f32_e32 v6, v2
.LBB368_875:
	s_cbranch_execnz .LBB368_894
.LBB368_876:
	v_cmp_gt_i16_e32 vcc_lo, 2, v5
	s_cbranch_vccnz .LBB368_880
; %bb.877:
	v_cmp_gt_i16_e32 vcc_lo, 3, v5
	s_cbranch_vccnz .LBB368_881
; %bb.878:
	v_cmp_lt_i16_e32 vcc_lo, 3, v5
	s_cbranch_vccz .LBB368_882
; %bb.879:
	global_load_b32 v6, v[0:1], off
	s_mov_b32 s14, 0
	s_branch .LBB368_883
.LBB368_880:
                                        ; implicit-def: $vgpr6
	s_branch .LBB368_889
.LBB368_881:
	s_mov_b32 s14, -1
                                        ; implicit-def: $vgpr6
	s_branch .LBB368_886
.LBB368_882:
	s_mov_b32 s14, -1
                                        ; implicit-def: $vgpr6
.LBB368_883:
	s_delay_alu instid0(SALU_CYCLE_1)
	s_and_not1_b32 vcc_lo, exec_lo, s14
	s_cbranch_vccnz .LBB368_885
; %bb.884:
	global_load_b32 v6, v[0:1], off
.LBB368_885:
	s_mov_b32 s14, 0
.LBB368_886:
	s_delay_alu instid0(SALU_CYCLE_1)
	s_and_not1_b32 vcc_lo, exec_lo, s14
	s_cbranch_vccnz .LBB368_888
; %bb.887:
	global_load_i16 v6, v[0:1], off
.LBB368_888:
	s_cbranch_execnz .LBB368_894
.LBB368_889:
	v_cmp_lt_i16_e32 vcc_lo, 0, v5
	s_mov_b32 s14, 0
	s_cbranch_vccz .LBB368_891
; %bb.890:
	global_load_i8 v6, v[0:1], off
	s_branch .LBB368_892
.LBB368_891:
	s_mov_b32 s14, -1
                                        ; implicit-def: $vgpr6
.LBB368_892:
	s_delay_alu instid0(SALU_CYCLE_1)
	s_and_not1_b32 vcc_lo, exec_lo, s14
	s_cbranch_vccnz .LBB368_894
; %bb.893:
	global_load_u8 v6, v[0:1], off
.LBB368_894:
	s_or_b32 s0, s0, exec_lo
.LBB368_895:
	s_or_b32 exec_lo, exec_lo, s13
	s_mov_b32 s15, 0
	s_mov_b32 s14, 0
                                        ; implicit-def: $vgpr5
                                        ; implicit-def: $vgpr2_vgpr3
                                        ; implicit-def: $vgpr0
	s_and_saveexec_b32 s13, s0
	s_cbranch_execz .LBB368_975
; %bb.896:
	v_mul_lo_u32 v1, v4, s8
	v_and_b32_e64 v5, 0xff, s2
	s_waitcnt vmcnt(0)
	s_delay_alu instid0(VALU_DEP_3) | instskip(NEXT) | instid1(VALU_DEP_2)
	v_max_i32_e32 v0, s10, v6
	v_cmp_gt_i16_e32 vcc_lo, 11, v5
	s_delay_alu instid0(VALU_DEP_4) | instskip(SKIP_1) | instid1(VALU_DEP_1)
	v_ashrrev_i32_e32 v3, 31, v1
	v_add_co_u32 v2, s0, s4, v1
	v_add_co_ci_u32_e64 v3, s0, s5, v3, s0
	s_cbranch_vccnz .LBB368_903
; %bb.897:
	v_cmp_lt_i16_e32 vcc_lo, 25, v5
	s_mov_b32 s14, -1
	s_mov_b32 s0, s11
	s_cbranch_vccz .LBB368_933
; %bb.898:
	v_cmp_lt_i16_e32 vcc_lo, 28, v5
	s_mov_b32 s0, s11
	s_cbranch_vccz .LBB368_917
; %bb.899:
	v_cmp_lt_i16_e32 vcc_lo, 43, v5
	;; [unrolled: 4-line block ×3, first 2 shown]
	s_mov_b32 s0, s11
	s_cbranch_vccz .LBB368_907
; %bb.901:
	v_cmp_eq_u16_e32 vcc_lo, 46, v5
	s_mov_b32 s0, -1
	s_cbranch_vccz .LBB368_906
; %bb.902:
	v_cvt_f32_i32_e32 v1, v0
	s_mov_b32 s0, 0
	s_mov_b32 s14, 0
	s_delay_alu instid0(VALU_DEP_1) | instskip(NEXT) | instid1(VALU_DEP_1)
	v_bfe_u32 v4, v1, 16, 1
	v_add3_u32 v1, v1, v4, 0x7fff
	s_delay_alu instid0(VALU_DEP_1)
	v_lshrrev_b32_e32 v1, 16, v1
	global_store_b32 v[2:3], v1, off
	s_branch .LBB368_907
.LBB368_903:
	s_mov_b32 s14, -1
	s_mov_b32 s0, s11
	s_branch .LBB368_974
.LBB368_904:
	s_trap 2
	s_sendmsg_rtn_b32 s0, sendmsg(MSG_RTN_GET_DOORBELL)
	s_mov_b32 ttmp2, m0
	s_waitcnt lgkmcnt(0)
	s_and_b32 s0, s0, 0x3ff
	s_delay_alu instid0(SALU_CYCLE_1) | instskip(NEXT) | instid1(SALU_CYCLE_1)
	s_bitset1_b32 s0, 10
	s_mov_b32 m0, s0
	s_sendmsg sendmsg(MSG_INTERRUPT)
	s_mov_b32 m0, ttmp2
.LBB368_905:                            ; =>This Inner Loop Header: Depth=1
	s_sethalt 5
	s_branch .LBB368_905
.LBB368_906:
	s_mov_b32 s14, 0
.LBB368_907:
	s_delay_alu instid0(SALU_CYCLE_1)
	s_and_b32 vcc_lo, exec_lo, s14
	s_cbranch_vccz .LBB368_912
; %bb.908:
	v_cmp_eq_u16_e32 vcc_lo, 44, v5
	s_mov_b32 s0, -1
	s_cbranch_vccz .LBB368_912
; %bb.909:
	v_cvt_f32_i32_e32 v1, v0
	v_mov_b32_e32 v4, 0xff
	s_mov_b32 s14, exec_lo
	s_delay_alu instid0(VALU_DEP_2) | instskip(NEXT) | instid1(VALU_DEP_1)
	v_bfe_u32 v6, v1, 23, 8
	v_cmpx_ne_u32_e32 0xff, v6
; %bb.910:
	v_and_b32_e32 v4, 0x400000, v1
	v_and_or_b32 v6, 0x3fffff, v1, v6
	v_lshrrev_b32_e32 v1, 23, v1
	s_delay_alu instid0(VALU_DEP_3) | instskip(NEXT) | instid1(VALU_DEP_3)
	v_cmp_ne_u32_e32 vcc_lo, 0, v4
	v_cmp_ne_u32_e64 s0, 0, v6
	s_delay_alu instid0(VALU_DEP_1) | instskip(NEXT) | instid1(SALU_CYCLE_1)
	s_and_b32 s0, vcc_lo, s0
	v_cndmask_b32_e64 v4, 0, 1, s0
	s_delay_alu instid0(VALU_DEP_1)
	v_add_nc_u32_e32 v4, v1, v4
; %bb.911:
	s_or_b32 exec_lo, exec_lo, s14
	s_mov_b32 s0, 0
	global_store_b8 v[2:3], v4, off
.LBB368_912:
	s_mov_b32 s14, 0
.LBB368_913:
	s_delay_alu instid0(SALU_CYCLE_1)
	s_and_b32 vcc_lo, exec_lo, s14
	s_cbranch_vccz .LBB368_916
; %bb.914:
	v_cmp_eq_u16_e32 vcc_lo, 29, v5
	s_mov_b32 s0, -1
	s_cbranch_vccz .LBB368_916
; %bb.915:
	v_ashrrev_i32_e32 v1, 31, v0
	s_mov_b32 s0, 0
	s_mov_b32 s14, 0
	global_store_b64 v[2:3], v[0:1], off
	s_branch .LBB368_917
.LBB368_916:
	s_mov_b32 s14, 0
.LBB368_917:
	s_delay_alu instid0(SALU_CYCLE_1)
	s_and_b32 vcc_lo, exec_lo, s14
	s_cbranch_vccz .LBB368_932
; %bb.918:
	v_cmp_gt_i16_e32 vcc_lo, 27, v5
	s_mov_b32 s14, -1
	s_cbranch_vccnz .LBB368_924
; %bb.919:
	v_cmp_lt_i16_e32 vcc_lo, 27, v5
	s_cbranch_vccz .LBB368_921
; %bb.920:
	s_mov_b32 s14, 0
	global_store_b32 v[2:3], v0, off
.LBB368_921:
	s_and_not1_b32 vcc_lo, exec_lo, s14
	s_cbranch_vccnz .LBB368_923
; %bb.922:
	global_store_b16 v[2:3], v0, off
.LBB368_923:
	s_mov_b32 s14, 0
.LBB368_924:
	s_delay_alu instid0(SALU_CYCLE_1)
	s_and_not1_b32 vcc_lo, exec_lo, s14
	s_cbranch_vccnz .LBB368_932
; %bb.925:
	v_cvt_f32_i32_e32 v1, v0
	v_mov_b32_e32 v6, 0x80
	s_mov_b32 s14, exec_lo
	s_delay_alu instid0(VALU_DEP_2) | instskip(NEXT) | instid1(VALU_DEP_1)
	v_and_b32_e32 v4, 0x7fffffff, v1
	v_cmpx_gt_u32_e32 0x43800000, v4
	s_cbranch_execz .LBB368_931
; %bb.926:
	v_cmp_lt_u32_e32 vcc_lo, 0x3bffffff, v4
                                        ; implicit-def: $vgpr4
	s_and_saveexec_b32 s16, vcc_lo
	s_delay_alu instid0(SALU_CYCLE_1)
	s_xor_b32 s16, exec_lo, s16
	s_cbranch_execz .LBB368_1161
; %bb.927:
	v_bfe_u32 v4, v1, 20, 1
	s_mov_b32 s15, exec_lo
	s_delay_alu instid0(VALU_DEP_1) | instskip(NEXT) | instid1(VALU_DEP_1)
	v_add3_u32 v4, v1, v4, 0x487ffff
	v_lshrrev_b32_e32 v4, 20, v4
	s_or_saveexec_b32 s16, s16
                                        ; implicit-def: $sgpr17
	s_delay_alu instid0(SALU_CYCLE_1)
	s_xor_b32 exec_lo, exec_lo, s16
	s_cbranch_execnz .LBB368_1162
.LBB368_928:
	s_or_b32 exec_lo, exec_lo, s16
	v_mov_b32_e32 v6, s17
	s_and_saveexec_b32 s16, s15
.LBB368_929:
	v_lshrrev_b32_e32 v1, 24, v1
	s_delay_alu instid0(VALU_DEP_1)
	v_and_or_b32 v6, 0x80, v1, v4
.LBB368_930:
	s_or_b32 exec_lo, exec_lo, s16
.LBB368_931:
	s_delay_alu instid0(SALU_CYCLE_1)
	s_or_b32 exec_lo, exec_lo, s14
	global_store_b8 v[2:3], v6, off
.LBB368_932:
	s_mov_b32 s14, 0
.LBB368_933:
	s_delay_alu instid0(SALU_CYCLE_1)
	s_and_b32 vcc_lo, exec_lo, s14
	s_mov_b32 s14, 0
	s_cbranch_vccz .LBB368_973
; %bb.934:
	v_cmp_lt_i16_e32 vcc_lo, 22, v5
	s_mov_b32 s15, -1
	s_cbranch_vccz .LBB368_966
; %bb.935:
	v_cmp_gt_i16_e32 vcc_lo, 24, v5
	s_cbranch_vccnz .LBB368_955
; %bb.936:
	v_cmp_lt_i16_e32 vcc_lo, 24, v5
	s_cbranch_vccz .LBB368_944
; %bb.937:
	v_cvt_f32_i32_e32 v1, v0
	v_mov_b32_e32 v6, 0x80
	s_mov_b32 s15, exec_lo
	s_delay_alu instid0(VALU_DEP_2) | instskip(NEXT) | instid1(VALU_DEP_1)
	v_and_b32_e32 v4, 0x7fffffff, v1
	v_cmpx_gt_u32_e32 0x47800000, v4
	s_cbranch_execz .LBB368_943
; %bb.938:
	v_cmp_lt_u32_e32 vcc_lo, 0x37ffffff, v4
	s_mov_b32 s16, 0
                                        ; implicit-def: $vgpr4
	s_and_saveexec_b32 s17, vcc_lo
	s_delay_alu instid0(SALU_CYCLE_1)
	s_xor_b32 s17, exec_lo, s17
	s_cbranch_execz .LBB368_1205
; %bb.939:
	v_bfe_u32 v4, v1, 21, 1
	s_mov_b32 s16, exec_lo
	s_delay_alu instid0(VALU_DEP_1) | instskip(NEXT) | instid1(VALU_DEP_1)
	v_add3_u32 v4, v1, v4, 0x88fffff
	v_lshrrev_b32_e32 v4, 21, v4
	s_or_saveexec_b32 s17, s17
                                        ; implicit-def: $sgpr18
	s_delay_alu instid0(SALU_CYCLE_1)
	s_xor_b32 exec_lo, exec_lo, s17
	s_cbranch_execnz .LBB368_1206
.LBB368_940:
	s_or_b32 exec_lo, exec_lo, s17
	v_mov_b32_e32 v6, s18
	s_and_saveexec_b32 s17, s16
.LBB368_941:
	v_lshrrev_b32_e32 v1, 24, v1
	s_delay_alu instid0(VALU_DEP_1)
	v_and_or_b32 v6, 0x80, v1, v4
.LBB368_942:
	s_or_b32 exec_lo, exec_lo, s17
.LBB368_943:
	s_delay_alu instid0(SALU_CYCLE_1)
	s_or_b32 exec_lo, exec_lo, s15
	s_mov_b32 s15, 0
	global_store_b8 v[2:3], v6, off
.LBB368_944:
	s_and_b32 vcc_lo, exec_lo, s15
	s_cbranch_vccz .LBB368_954
; %bb.945:
	v_cvt_f32_i32_e32 v1, v0
	s_mov_b32 s15, exec_lo
                                        ; implicit-def: $vgpr4
	s_delay_alu instid0(VALU_DEP_1) | instskip(NEXT) | instid1(VALU_DEP_1)
	v_and_b32_e32 v6, 0x7fffffff, v1
	v_cmpx_gt_u32_e32 0x43f00000, v6
	s_xor_b32 s15, exec_lo, s15
	s_cbranch_execz .LBB368_951
; %bb.946:
	s_mov_b32 s16, exec_lo
                                        ; implicit-def: $vgpr4
	v_cmpx_lt_u32_e32 0x3c7fffff, v6
	s_xor_b32 s16, exec_lo, s16
; %bb.947:
	v_bfe_u32 v4, v1, 20, 1
	s_delay_alu instid0(VALU_DEP_1) | instskip(NEXT) | instid1(VALU_DEP_1)
	v_add3_u32 v4, v1, v4, 0x407ffff
	v_and_b32_e32 v6, 0xff00000, v4
	v_lshrrev_b32_e32 v4, 20, v4
	s_delay_alu instid0(VALU_DEP_2) | instskip(NEXT) | instid1(VALU_DEP_2)
	v_cmp_ne_u32_e32 vcc_lo, 0x7f00000, v6
	v_cndmask_b32_e32 v4, 0x7e, v4, vcc_lo
; %bb.948:
	s_and_not1_saveexec_b32 s16, s16
; %bb.949:
	v_add_f32_e64 v4, 0x46800000, |v1|
; %bb.950:
	s_or_b32 exec_lo, exec_lo, s16
                                        ; implicit-def: $vgpr6
.LBB368_951:
	s_and_not1_saveexec_b32 s15, s15
; %bb.952:
	v_mov_b32_e32 v4, 0x7f
	v_cmp_lt_u32_e32 vcc_lo, 0x7f800000, v6
	s_delay_alu instid0(VALU_DEP_2)
	v_cndmask_b32_e32 v4, 0x7e, v4, vcc_lo
; %bb.953:
	s_or_b32 exec_lo, exec_lo, s15
	v_lshrrev_b32_e32 v1, 24, v1
	s_delay_alu instid0(VALU_DEP_1)
	v_and_or_b32 v1, 0x80, v1, v4
	global_store_b8 v[2:3], v1, off
.LBB368_954:
	s_mov_b32 s15, 0
.LBB368_955:
	s_delay_alu instid0(SALU_CYCLE_1)
	s_and_not1_b32 vcc_lo, exec_lo, s15
	s_cbranch_vccnz .LBB368_965
; %bb.956:
	v_cvt_f32_i32_e32 v1, v0
	s_mov_b32 s15, exec_lo
                                        ; implicit-def: $vgpr4
	s_delay_alu instid0(VALU_DEP_1) | instskip(NEXT) | instid1(VALU_DEP_1)
	v_and_b32_e32 v6, 0x7fffffff, v1
	v_cmpx_gt_u32_e32 0x47800000, v6
	s_xor_b32 s15, exec_lo, s15
	s_cbranch_execz .LBB368_962
; %bb.957:
	s_mov_b32 s16, exec_lo
                                        ; implicit-def: $vgpr4
	v_cmpx_lt_u32_e32 0x387fffff, v6
	s_xor_b32 s16, exec_lo, s16
; %bb.958:
	v_bfe_u32 v4, v1, 21, 1
	s_delay_alu instid0(VALU_DEP_1) | instskip(NEXT) | instid1(VALU_DEP_1)
	v_add3_u32 v4, v1, v4, 0x80fffff
	v_lshrrev_b32_e32 v4, 21, v4
; %bb.959:
	s_and_not1_saveexec_b32 s16, s16
; %bb.960:
	v_add_f32_e64 v4, 0x43000000, |v1|
; %bb.961:
	s_or_b32 exec_lo, exec_lo, s16
                                        ; implicit-def: $vgpr6
.LBB368_962:
	s_and_not1_saveexec_b32 s15, s15
; %bb.963:
	v_mov_b32_e32 v4, 0x7f
	v_cmp_lt_u32_e32 vcc_lo, 0x7f800000, v6
	s_delay_alu instid0(VALU_DEP_2)
	v_cndmask_b32_e32 v4, 0x7c, v4, vcc_lo
; %bb.964:
	s_or_b32 exec_lo, exec_lo, s15
	v_lshrrev_b32_e32 v1, 24, v1
	s_delay_alu instid0(VALU_DEP_1)
	v_and_or_b32 v1, 0x80, v1, v4
	global_store_b8 v[2:3], v1, off
.LBB368_965:
	s_mov_b32 s15, 0
.LBB368_966:
	s_delay_alu instid0(SALU_CYCLE_1)
	s_and_not1_b32 vcc_lo, exec_lo, s15
	s_mov_b32 s15, 0
	s_cbranch_vccnz .LBB368_974
; %bb.967:
	v_cmp_lt_i16_e32 vcc_lo, 14, v5
	s_mov_b32 s15, -1
	s_cbranch_vccz .LBB368_971
; %bb.968:
	v_cmp_eq_u16_e32 vcc_lo, 15, v5
	s_mov_b32 s0, -1
	s_cbranch_vccz .LBB368_970
; %bb.969:
	v_cvt_f32_i32_e32 v1, v0
	s_mov_b32 s0, 0
	s_delay_alu instid0(VALU_DEP_1) | instskip(NEXT) | instid1(VALU_DEP_1)
	v_bfe_u32 v4, v1, 16, 1
	v_add3_u32 v1, v1, v4, 0x7fff
	global_store_d16_hi_b16 v[2:3], v1, off
.LBB368_970:
	s_mov_b32 s15, 0
.LBB368_971:
	s_delay_alu instid0(SALU_CYCLE_1)
	s_and_b32 vcc_lo, exec_lo, s15
	s_mov_b32 s15, 0
	s_cbranch_vccz .LBB368_974
; %bb.972:
	v_cmp_ne_u16_e32 vcc_lo, 11, v5
	s_and_not1_b32 s0, s0, exec_lo
	s_mov_b32 s15, -1
	s_and_b32 s16, vcc_lo, exec_lo
	s_delay_alu instid0(SALU_CYCLE_1)
	s_or_b32 s0, s0, s16
	s_branch .LBB368_974
.LBB368_973:
	s_mov_b32 s15, 0
.LBB368_974:
	s_and_not1_b32 s11, s11, exec_lo
	s_and_b32 s0, s0, exec_lo
	s_and_b32 s14, s14, exec_lo
	;; [unrolled: 1-line block ×3, first 2 shown]
	s_or_b32 s11, s11, s0
.LBB368_975:
	s_or_b32 exec_lo, exec_lo, s13
	s_and_saveexec_b32 s0, s11
	s_cbranch_execnz .LBB368_1037
; %bb.976:
	s_or_b32 exec_lo, exec_lo, s0
	s_and_saveexec_b32 s0, s15
	s_delay_alu instid0(SALU_CYCLE_1)
	s_xor_b32 s0, exec_lo, s0
	s_cbranch_execz .LBB368_978
.LBB368_977:
	v_cmp_ne_u32_e32 vcc_lo, 0, v0
	v_cndmask_b32_e64 v1, 0, 1, vcc_lo
	s_waitcnt vmcnt(0)
	global_store_b8 v[2:3], v1, off
.LBB368_978:
	s_or_b32 exec_lo, exec_lo, s0
	s_and_saveexec_b32 s0, s14
	s_delay_alu instid0(SALU_CYCLE_1)
	s_xor_b32 s0, exec_lo, s0
	s_cbranch_execz .LBB368_1016
; %bb.979:
	v_cmp_gt_i16_e32 vcc_lo, 5, v5
	s_mov_b32 s11, -1
	s_cbranch_vccnz .LBB368_1000
; %bb.980:
	v_cmp_gt_i16_e32 vcc_lo, 8, v5
	s_cbranch_vccnz .LBB368_990
; %bb.981:
	v_cmp_gt_i16_e32 vcc_lo, 9, v5
	s_cbranch_vccnz .LBB368_987
; %bb.982:
	v_cmp_lt_i16_e32 vcc_lo, 9, v5
	s_cbranch_vccz .LBB368_984
; %bb.983:
	s_waitcnt vmcnt(0)
	v_cvt_f64_i32_e32 v[6:7], v0
	v_mov_b32_e32 v8, 0
	s_mov_b32 s11, 0
	s_delay_alu instid0(VALU_DEP_1)
	v_mov_b32_e32 v9, v8
	global_store_b128 v[2:3], v[6:9], off
.LBB368_984:
	s_and_not1_b32 vcc_lo, exec_lo, s11
	s_cbranch_vccnz .LBB368_986
; %bb.985:
	s_waitcnt vmcnt(0)
	v_cvt_f32_i32_e32 v6, v0
	v_mov_b32_e32 v7, 0
	global_store_b64 v[2:3], v[6:7], off
.LBB368_986:
	s_mov_b32 s11, 0
.LBB368_987:
	s_delay_alu instid0(SALU_CYCLE_1)
	s_and_not1_b32 vcc_lo, exec_lo, s11
	s_cbranch_vccnz .LBB368_989
; %bb.988:
	v_cvt_f32_i32_e32 v1, v0
	s_delay_alu instid0(VALU_DEP_1) | instskip(NEXT) | instid1(VALU_DEP_1)
	v_cvt_f16_f32_e32 v1, v1
	v_and_b32_e32 v1, 0xffff, v1
	s_waitcnt vmcnt(0)
	global_store_b32 v[2:3], v1, off
.LBB368_989:
	s_mov_b32 s11, 0
.LBB368_990:
	s_delay_alu instid0(SALU_CYCLE_1)
	s_and_not1_b32 vcc_lo, exec_lo, s11
	s_cbranch_vccnz .LBB368_999
; %bb.991:
	v_cmp_gt_i16_e32 vcc_lo, 6, v5
	s_mov_b32 s11, -1
	s_cbranch_vccnz .LBB368_997
; %bb.992:
	v_cmp_lt_i16_e32 vcc_lo, 6, v5
	s_cbranch_vccz .LBB368_994
; %bb.993:
	s_waitcnt vmcnt(0)
	v_cvt_f64_i32_e32 v[6:7], v0
	s_mov_b32 s11, 0
	global_store_b64 v[2:3], v[6:7], off
.LBB368_994:
	s_and_not1_b32 vcc_lo, exec_lo, s11
	s_cbranch_vccnz .LBB368_996
; %bb.995:
	v_cvt_f32_i32_e32 v1, v0
	s_waitcnt vmcnt(0)
	global_store_b32 v[2:3], v1, off
.LBB368_996:
	s_mov_b32 s11, 0
.LBB368_997:
	s_delay_alu instid0(SALU_CYCLE_1)
	s_and_not1_b32 vcc_lo, exec_lo, s11
	s_cbranch_vccnz .LBB368_999
; %bb.998:
	v_cvt_f32_i32_e32 v1, v0
	s_delay_alu instid0(VALU_DEP_1)
	v_cvt_f16_f32_e32 v1, v1
	s_waitcnt vmcnt(0)
	global_store_b16 v[2:3], v1, off
.LBB368_999:
	s_mov_b32 s11, 0
.LBB368_1000:
	s_delay_alu instid0(SALU_CYCLE_1)
	s_and_not1_b32 vcc_lo, exec_lo, s11
	s_cbranch_vccnz .LBB368_1016
; %bb.1001:
	v_cmp_gt_i16_e32 vcc_lo, 2, v5
	s_mov_b32 s11, -1
	s_cbranch_vccnz .LBB368_1011
; %bb.1002:
	v_cmp_gt_i16_e32 vcc_lo, 3, v5
	s_cbranch_vccnz .LBB368_1008
; %bb.1003:
	v_cmp_lt_i16_e32 vcc_lo, 3, v5
	s_cbranch_vccz .LBB368_1005
; %bb.1004:
	v_ashrrev_i32_e32 v1, 31, v0
	s_mov_b32 s11, 0
	s_waitcnt vmcnt(0)
	global_store_b64 v[2:3], v[0:1], off
.LBB368_1005:
	s_and_not1_b32 vcc_lo, exec_lo, s11
	s_cbranch_vccnz .LBB368_1007
; %bb.1006:
	s_waitcnt vmcnt(0)
	global_store_b32 v[2:3], v0, off
.LBB368_1007:
	s_mov_b32 s11, 0
.LBB368_1008:
	s_delay_alu instid0(SALU_CYCLE_1)
	s_and_not1_b32 vcc_lo, exec_lo, s11
	s_cbranch_vccnz .LBB368_1010
; %bb.1009:
	s_waitcnt vmcnt(0)
	global_store_b16 v[2:3], v0, off
.LBB368_1010:
	s_mov_b32 s11, 0
.LBB368_1011:
	s_delay_alu instid0(SALU_CYCLE_1)
	s_and_not1_b32 vcc_lo, exec_lo, s11
	s_cbranch_vccnz .LBB368_1016
; %bb.1012:
	v_cmp_lt_i16_e32 vcc_lo, 0, v5
	s_mov_b32 s11, -1
	s_cbranch_vccz .LBB368_1014
; %bb.1013:
	s_mov_b32 s11, 0
	s_waitcnt vmcnt(0)
	global_store_b8 v[2:3], v0, off
.LBB368_1014:
	s_and_not1_b32 vcc_lo, exec_lo, s11
	s_cbranch_vccnz .LBB368_1016
; %bb.1015:
	s_waitcnt vmcnt(0)
	global_store_b8 v[2:3], v0, off
.LBB368_1016:
	s_or_b32 exec_lo, exec_lo, s0
	s_delay_alu instid0(SALU_CYCLE_1)
	s_and_b32 s11, s12, exec_lo
                                        ; implicit-def: $vgpr4
                                        ; implicit-def: $vgpr5
.LBB368_1017:
	s_or_saveexec_b32 s3, s3
	s_mov_b32 s0, 0
                                        ; implicit-def: $vgpr6
                                        ; implicit-def: $vgpr0_vgpr1
                                        ; implicit-def: $vgpr2
	s_xor_b32 exec_lo, exec_lo, s3
	s_cbranch_execz .LBB368_1965
; %bb.1018:
	v_mul_lo_u32 v3, s9, v4
	v_cmp_gt_i16_e32 vcc_lo, 11, v5
	s_delay_alu instid0(VALU_DEP_2) | instskip(SKIP_1) | instid1(VALU_DEP_1)
	v_ashrrev_i32_e32 v1, 31, v3
	v_add_co_u32 v0, s0, s6, v3
	v_add_co_ci_u32_e64 v1, s0, s7, v1, s0
	s_cbranch_vccnz .LBB368_1025
; %bb.1019:
	v_cmp_lt_i16_e32 vcc_lo, 25, v5
	s_mov_b32 s12, 0
	s_cbranch_vccz .LBB368_1031
; %bb.1020:
	v_cmp_lt_i16_e32 vcc_lo, 28, v5
	s_cbranch_vccz .LBB368_1033
; %bb.1021:
	v_cmp_lt_i16_e32 vcc_lo, 43, v5
	;; [unrolled: 3-line block ×3, first 2 shown]
	s_cbranch_vccz .LBB368_1039
; %bb.1023:
	v_cmp_eq_u16_e32 vcc_lo, 46, v5
	s_cbranch_vccz .LBB368_1079
; %bb.1024:
	global_load_b32 v2, v[0:1], off
	s_mov_b32 s0, 0
	s_mov_b32 s13, -1
	s_waitcnt vmcnt(0)
	v_lshlrev_b32_e32 v2, 16, v2
	s_delay_alu instid0(VALU_DEP_1)
	v_cvt_i32_f32_e32 v2, v2
	s_branch .LBB368_1081
.LBB368_1025:
	s_mov_b32 s13, 0
	s_mov_b32 s1, s11
                                        ; implicit-def: $vgpr2
	s_cbranch_execz .LBB368_1139
; %bb.1026:
	v_cmp_gt_i16_e32 vcc_lo, 5, v5
	s_cbranch_vccnz .LBB368_1032
; %bb.1027:
	v_cmp_gt_i16_e32 vcc_lo, 8, v5
	s_cbranch_vccnz .LBB368_1034
	;; [unrolled: 3-line block ×3, first 2 shown]
; %bb.1029:
	v_cmp_lt_i16_e32 vcc_lo, 9, v5
	s_cbranch_vccz .LBB368_1040
; %bb.1030:
	global_load_b64 v[6:7], v[0:1], off
	s_mov_b32 s0, 0
	s_waitcnt vmcnt(0)
	v_cvt_i32_f64_e32 v2, v[6:7]
	s_branch .LBB368_1041
.LBB368_1031:
	s_mov_b32 s13, 0
	s_mov_b32 s0, 0
                                        ; implicit-def: $vgpr2
	s_cbranch_execnz .LBB368_1106
	s_branch .LBB368_1135
.LBB368_1032:
                                        ; implicit-def: $vgpr2
	s_branch .LBB368_1058
.LBB368_1033:
	s_mov_b32 s13, 0
	s_mov_b32 s0, 0
                                        ; implicit-def: $vgpr2
	s_cbranch_execz .LBB368_1105
	s_branch .LBB368_1090
.LBB368_1034:
                                        ; implicit-def: $vgpr2
	s_branch .LBB368_1047
.LBB368_1035:
	s_mov_b32 s13, 0
	s_mov_b32 s0, 0
                                        ; implicit-def: $vgpr2
	s_cbranch_execnz .LBB368_1086
	s_branch .LBB368_1089
.LBB368_1036:
	s_mov_b32 s0, -1
                                        ; implicit-def: $vgpr2
	s_branch .LBB368_1044
.LBB368_1037:
	s_cbranch_execnz .LBB368_1077
; %bb.1038:
	s_or_b32 s12, s12, exec_lo
	s_and_not1_b32 s15, s15, exec_lo
	s_or_b32 exec_lo, exec_lo, s0
	s_and_saveexec_b32 s0, s15
	s_delay_alu instid0(SALU_CYCLE_1)
	s_xor_b32 s0, exec_lo, s0
	s_cbranch_execnz .LBB368_977
	s_branch .LBB368_978
.LBB368_1039:
	s_mov_b32 s1, -1
	s_mov_b32 s13, 0
	s_mov_b32 s0, 0
	s_branch .LBB368_1080
.LBB368_1040:
	s_mov_b32 s0, -1
                                        ; implicit-def: $vgpr2
.LBB368_1041:
	s_delay_alu instid0(SALU_CYCLE_1)
	s_and_not1_b32 vcc_lo, exec_lo, s0
	s_cbranch_vccnz .LBB368_1043
; %bb.1042:
	global_load_b32 v2, v[0:1], off
	s_waitcnt vmcnt(0)
	v_cvt_i32_f32_e32 v2, v2
.LBB368_1043:
	s_mov_b32 s0, 0
.LBB368_1044:
	s_delay_alu instid0(SALU_CYCLE_1)
	s_and_not1_b32 vcc_lo, exec_lo, s0
	s_cbranch_vccnz .LBB368_1046
; %bb.1045:
	global_load_b32 v2, v[0:1], off
	s_waitcnt vmcnt(0)
	v_cvt_f32_f16_e32 v2, v2
	s_delay_alu instid0(VALU_DEP_1)
	v_cvt_i32_f32_e32 v2, v2
.LBB368_1046:
	s_cbranch_execnz .LBB368_1057
.LBB368_1047:
	v_cmp_gt_i16_e32 vcc_lo, 6, v5
	s_cbranch_vccnz .LBB368_1050
; %bb.1048:
	v_cmp_lt_i16_e32 vcc_lo, 6, v5
	s_cbranch_vccz .LBB368_1051
; %bb.1049:
	global_load_b64 v[6:7], v[0:1], off
	s_mov_b32 s0, 0
	s_waitcnt vmcnt(0)
	v_cvt_i32_f64_e32 v2, v[6:7]
	s_branch .LBB368_1052
.LBB368_1050:
	s_mov_b32 s0, -1
                                        ; implicit-def: $vgpr2
	s_branch .LBB368_1055
.LBB368_1051:
	s_mov_b32 s0, -1
                                        ; implicit-def: $vgpr2
.LBB368_1052:
	s_delay_alu instid0(SALU_CYCLE_1)
	s_and_not1_b32 vcc_lo, exec_lo, s0
	s_cbranch_vccnz .LBB368_1054
; %bb.1053:
	global_load_b32 v2, v[0:1], off
	s_waitcnt vmcnt(0)
	v_cvt_i32_f32_e32 v2, v2
.LBB368_1054:
	s_mov_b32 s0, 0
.LBB368_1055:
	s_delay_alu instid0(SALU_CYCLE_1)
	s_and_not1_b32 vcc_lo, exec_lo, s0
	s_cbranch_vccnz .LBB368_1057
; %bb.1056:
	global_load_u16 v2, v[0:1], off
	s_waitcnt vmcnt(0)
	v_cvt_f32_f16_e32 v2, v2
	s_delay_alu instid0(VALU_DEP_1)
	v_cvt_i32_f32_e32 v2, v2
.LBB368_1057:
	s_cbranch_execnz .LBB368_1076
.LBB368_1058:
	v_cmp_gt_i16_e32 vcc_lo, 2, v5
	s_cbranch_vccnz .LBB368_1062
; %bb.1059:
	v_cmp_gt_i16_e32 vcc_lo, 3, v5
	s_cbranch_vccnz .LBB368_1063
; %bb.1060:
	v_cmp_lt_i16_e32 vcc_lo, 3, v5
	s_cbranch_vccz .LBB368_1064
; %bb.1061:
	global_load_b32 v2, v[0:1], off
	s_mov_b32 s0, 0
	s_branch .LBB368_1065
.LBB368_1062:
                                        ; implicit-def: $vgpr2
	s_branch .LBB368_1071
.LBB368_1063:
	s_mov_b32 s0, -1
                                        ; implicit-def: $vgpr2
	s_branch .LBB368_1068
.LBB368_1064:
	s_mov_b32 s0, -1
                                        ; implicit-def: $vgpr2
.LBB368_1065:
	s_delay_alu instid0(SALU_CYCLE_1)
	s_and_not1_b32 vcc_lo, exec_lo, s0
	s_cbranch_vccnz .LBB368_1067
; %bb.1066:
	global_load_b32 v2, v[0:1], off
.LBB368_1067:
	s_mov_b32 s0, 0
.LBB368_1068:
	s_delay_alu instid0(SALU_CYCLE_1)
	s_and_not1_b32 vcc_lo, exec_lo, s0
	s_cbranch_vccnz .LBB368_1070
; %bb.1069:
	global_load_i16 v2, v[0:1], off
.LBB368_1070:
	s_cbranch_execnz .LBB368_1076
.LBB368_1071:
	v_cmp_lt_i16_e32 vcc_lo, 0, v5
	s_mov_b32 s0, 0
	s_cbranch_vccz .LBB368_1073
; %bb.1072:
	global_load_i8 v2, v[0:1], off
	s_branch .LBB368_1074
.LBB368_1073:
	s_mov_b32 s0, -1
                                        ; implicit-def: $vgpr2
.LBB368_1074:
	s_delay_alu instid0(SALU_CYCLE_1)
	s_and_not1_b32 vcc_lo, exec_lo, s0
	s_cbranch_vccnz .LBB368_1076
; %bb.1075:
	global_load_u8 v2, v[0:1], off
.LBB368_1076:
	s_branch .LBB368_1140
.LBB368_1077:
	s_trap 2
	s_sendmsg_rtn_b32 s0, sendmsg(MSG_RTN_GET_DOORBELL)
	s_mov_b32 ttmp2, m0
	s_waitcnt lgkmcnt(0)
	s_and_b32 s0, s0, 0x3ff
	s_delay_alu instid0(SALU_CYCLE_1) | instskip(NEXT) | instid1(SALU_CYCLE_1)
	s_bitset1_b32 s0, 10
	s_mov_b32 m0, s0
	s_sendmsg sendmsg(MSG_INTERRUPT)
	s_mov_b32 m0, ttmp2
.LBB368_1078:                           ; =>This Inner Loop Header: Depth=1
	s_sethalt 5
	s_branch .LBB368_1078
.LBB368_1079:
	s_mov_b32 s0, -1
	s_mov_b32 s13, 0
.LBB368_1080:
                                        ; implicit-def: $vgpr2
.LBB368_1081:
	s_and_b32 vcc_lo, exec_lo, s1
	s_cbranch_vccz .LBB368_1084
; %bb.1082:
	v_cmp_eq_u16_e32 vcc_lo, 44, v5
	s_cbranch_vccz .LBB368_1085
; %bb.1083:
	global_load_u8 v2, v[0:1], off
	s_mov_b32 s0, 0
	s_mov_b32 s13, -1
	s_waitcnt vmcnt(0)
	v_lshlrev_b32_e32 v6, 23, v2
	v_cmp_ne_u32_e32 vcc_lo, 0, v2
	s_delay_alu instid0(VALU_DEP_2) | instskip(NEXT) | instid1(VALU_DEP_1)
	v_cvt_i32_f32_e32 v6, v6
	v_cndmask_b32_e32 v2, 0, v6, vcc_lo
.LBB368_1084:
	s_branch .LBB368_1089
.LBB368_1085:
	s_mov_b32 s0, -1
                                        ; implicit-def: $vgpr2
	s_branch .LBB368_1089
.LBB368_1086:
	v_cmp_eq_u16_e32 vcc_lo, 29, v5
	s_cbranch_vccz .LBB368_1088
; %bb.1087:
	global_load_b32 v2, v[0:1], off
	s_mov_b32 s0, 0
	s_mov_b32 s13, -1
	s_branch .LBB368_1089
.LBB368_1088:
	s_mov_b32 s0, -1
                                        ; implicit-def: $vgpr2
.LBB368_1089:
	s_branch .LBB368_1105
.LBB368_1090:
	v_cmp_gt_i16_e32 vcc_lo, 27, v5
	s_cbranch_vccnz .LBB368_1093
; %bb.1091:
	v_cmp_lt_i16_e32 vcc_lo, 27, v5
	s_cbranch_vccz .LBB368_1094
; %bb.1092:
	global_load_b32 v2, v[0:1], off
	s_mov_b32 s1, 0
	s_branch .LBB368_1095
.LBB368_1093:
	s_mov_b32 s1, -1
                                        ; implicit-def: $vgpr2
	s_branch .LBB368_1098
.LBB368_1094:
	s_mov_b32 s1, -1
                                        ; implicit-def: $vgpr2
.LBB368_1095:
	s_delay_alu instid0(SALU_CYCLE_1)
	s_and_not1_b32 vcc_lo, exec_lo, s1
	s_cbranch_vccnz .LBB368_1097
; %bb.1096:
	global_load_u16 v2, v[0:1], off
.LBB368_1097:
	s_mov_b32 s1, 0
.LBB368_1098:
	s_delay_alu instid0(SALU_CYCLE_1)
	s_and_not1_b32 vcc_lo, exec_lo, s1
	s_cbranch_vccnz .LBB368_1104
; %bb.1099:
	global_load_u8 v6, v[0:1], off
	s_mov_b32 s1, 0
	s_mov_b32 s13, exec_lo
                                        ; implicit-def: $sgpr14
	s_waitcnt vmcnt(0)
	v_cmpx_lt_i16_e32 0x7f, v6
	s_xor_b32 s13, exec_lo, s13
	s_cbranch_execz .LBB368_1115
; %bb.1100:
	v_cmp_ne_u16_e32 vcc_lo, 0x80, v6
	s_mov_b32 s14, 0
	s_and_b32 s1, vcc_lo, exec_lo
	s_or_saveexec_b32 s13, s13
	v_mov_b32_e32 v2, s14
	s_xor_b32 exec_lo, exec_lo, s13
	s_cbranch_execnz .LBB368_1116
.LBB368_1101:
	s_or_b32 exec_lo, exec_lo, s13
	s_and_saveexec_b32 s13, s1
	s_cbranch_execz .LBB368_1103
.LBB368_1102:
	v_and_b32_e32 v2, 0xffff, v6
	v_lshlrev_b32_e32 v6, 24, v6
	s_delay_alu instid0(VALU_DEP_2) | instskip(NEXT) | instid1(VALU_DEP_2)
	v_and_b32_e32 v7, 7, v2
	v_and_b32_e32 v6, 0x80000000, v6
	s_delay_alu instid0(VALU_DEP_2) | instskip(NEXT) | instid1(VALU_DEP_1)
	v_clz_i32_u32_e32 v8, v7
	v_min_u32_e32 v8, 32, v8
	s_delay_alu instid0(VALU_DEP_1) | instskip(SKIP_1) | instid1(VALU_DEP_2)
	v_subrev_nc_u32_e32 v9, 28, v8
	v_sub_nc_u32_e32 v8, 29, v8
	v_lshlrev_b32_e32 v9, v9, v2
	v_bfe_u32 v2, v2, 3, 4
	s_delay_alu instid0(VALU_DEP_2) | instskip(NEXT) | instid1(VALU_DEP_2)
	v_and_b32_e32 v9, 7, v9
	v_cmp_eq_u32_e32 vcc_lo, 0, v2
	s_delay_alu instid0(VALU_DEP_2) | instskip(NEXT) | instid1(VALU_DEP_1)
	v_dual_cndmask_b32 v2, v2, v8 :: v_dual_cndmask_b32 v7, v7, v9
	v_lshl_add_u32 v2, v2, 23, 0x3b800000
	s_delay_alu instid0(VALU_DEP_2) | instskip(NEXT) | instid1(VALU_DEP_1)
	v_lshlrev_b32_e32 v7, 20, v7
	v_or3_b32 v2, v6, v2, v7
	s_delay_alu instid0(VALU_DEP_1)
	v_cvt_i32_f32_e32 v2, v2
.LBB368_1103:
	s_or_b32 exec_lo, exec_lo, s13
.LBB368_1104:
	s_mov_b32 s13, -1
.LBB368_1105:
	s_branch .LBB368_1135
.LBB368_1106:
	v_cmp_lt_i16_e32 vcc_lo, 22, v5
	s_cbranch_vccz .LBB368_1114
; %bb.1107:
	v_cmp_gt_i16_e32 vcc_lo, 24, v5
	s_cbranch_vccnz .LBB368_1117
; %bb.1108:
	v_cmp_lt_i16_e32 vcc_lo, 24, v5
	s_cbranch_vccz .LBB368_1118
; %bb.1109:
	global_load_u8 v6, v[0:1], off
	s_mov_b32 s1, 0
	s_mov_b32 s12, exec_lo
                                        ; implicit-def: $sgpr13
	s_waitcnt vmcnt(0)
	v_cmpx_lt_i16_e32 0x7f, v6
	s_xor_b32 s12, exec_lo, s12
	s_cbranch_execz .LBB368_1129
; %bb.1110:
	v_cmp_ne_u16_e32 vcc_lo, 0x80, v6
	s_mov_b32 s13, 0
	s_and_b32 s1, vcc_lo, exec_lo
	s_or_saveexec_b32 s12, s12
	v_mov_b32_e32 v2, s13
	s_xor_b32 exec_lo, exec_lo, s12
	s_cbranch_execnz .LBB368_1130
.LBB368_1111:
	s_or_b32 exec_lo, exec_lo, s12
	s_and_saveexec_b32 s12, s1
	s_cbranch_execz .LBB368_1113
.LBB368_1112:
	v_and_b32_e32 v2, 0xffff, v6
	v_lshlrev_b32_e32 v6, 24, v6
	s_delay_alu instid0(VALU_DEP_2) | instskip(NEXT) | instid1(VALU_DEP_2)
	v_and_b32_e32 v7, 3, v2
	v_and_b32_e32 v6, 0x80000000, v6
	s_delay_alu instid0(VALU_DEP_2) | instskip(NEXT) | instid1(VALU_DEP_1)
	v_clz_i32_u32_e32 v8, v7
	v_min_u32_e32 v8, 32, v8
	s_delay_alu instid0(VALU_DEP_1) | instskip(SKIP_1) | instid1(VALU_DEP_2)
	v_subrev_nc_u32_e32 v9, 29, v8
	v_sub_nc_u32_e32 v8, 30, v8
	v_lshlrev_b32_e32 v9, v9, v2
	v_bfe_u32 v2, v2, 2, 5
	s_delay_alu instid0(VALU_DEP_2) | instskip(NEXT) | instid1(VALU_DEP_2)
	v_and_b32_e32 v9, 3, v9
	v_cmp_eq_u32_e32 vcc_lo, 0, v2
	s_delay_alu instid0(VALU_DEP_2) | instskip(NEXT) | instid1(VALU_DEP_1)
	v_dual_cndmask_b32 v2, v2, v8 :: v_dual_cndmask_b32 v7, v7, v9
	v_lshl_add_u32 v2, v2, 23, 0x37800000
	s_delay_alu instid0(VALU_DEP_2) | instskip(NEXT) | instid1(VALU_DEP_1)
	v_lshlrev_b32_e32 v7, 21, v7
	v_or3_b32 v2, v6, v2, v7
	s_delay_alu instid0(VALU_DEP_1)
	v_cvt_i32_f32_e32 v2, v2
.LBB368_1113:
	s_or_b32 exec_lo, exec_lo, s12
	s_mov_b32 s1, 0
	s_branch .LBB368_1119
.LBB368_1114:
                                        ; implicit-def: $vgpr2
	s_mov_b32 s12, 0
	s_branch .LBB368_1125
.LBB368_1115:
	s_or_saveexec_b32 s13, s13
	v_mov_b32_e32 v2, s14
	s_xor_b32 exec_lo, exec_lo, s13
	s_cbranch_execz .LBB368_1101
.LBB368_1116:
	v_cmp_ne_u16_e32 vcc_lo, 0, v6
	v_mov_b32_e32 v2, 0
	s_and_not1_b32 s1, s1, exec_lo
	s_and_b32 s14, vcc_lo, exec_lo
	s_delay_alu instid0(SALU_CYCLE_1)
	s_or_b32 s1, s1, s14
	s_or_b32 exec_lo, exec_lo, s13
	s_and_saveexec_b32 s13, s1
	s_cbranch_execnz .LBB368_1102
	s_branch .LBB368_1103
.LBB368_1117:
	s_mov_b32 s1, -1
                                        ; implicit-def: $vgpr2
	s_branch .LBB368_1122
.LBB368_1118:
	s_mov_b32 s1, -1
                                        ; implicit-def: $vgpr2
.LBB368_1119:
	s_delay_alu instid0(SALU_CYCLE_1)
	s_and_b32 vcc_lo, exec_lo, s1
	s_cbranch_vccz .LBB368_1121
; %bb.1120:
	global_load_u8 v2, v[0:1], off
	s_waitcnt vmcnt(0)
	v_lshlrev_b32_e32 v2, 24, v2
	s_delay_alu instid0(VALU_DEP_1) | instskip(NEXT) | instid1(VALU_DEP_1)
	v_and_b32_e32 v6, 0x7f000000, v2
	v_clz_i32_u32_e32 v7, v6
	v_cmp_ne_u32_e32 vcc_lo, 0, v6
	v_add_nc_u32_e32 v9, 0x1000000, v6
	s_delay_alu instid0(VALU_DEP_3) | instskip(NEXT) | instid1(VALU_DEP_1)
	v_min_u32_e32 v7, 32, v7
	v_sub_nc_u32_e64 v7, v7, 4 clamp
	s_delay_alu instid0(VALU_DEP_1) | instskip(SKIP_1) | instid1(VALU_DEP_2)
	v_lshlrev_b32_e32 v8, v7, v6
	v_lshlrev_b32_e32 v7, 23, v7
	v_lshrrev_b32_e32 v8, 4, v8
	s_delay_alu instid0(VALU_DEP_1) | instskip(SKIP_1) | instid1(VALU_DEP_2)
	v_sub_nc_u32_e32 v7, v8, v7
	v_ashrrev_i32_e32 v8, 8, v9
	v_add_nc_u32_e32 v7, 0x3c000000, v7
	s_delay_alu instid0(VALU_DEP_1) | instskip(NEXT) | instid1(VALU_DEP_1)
	v_and_or_b32 v7, 0x7f800000, v8, v7
	v_cndmask_b32_e32 v6, 0, v7, vcc_lo
	s_delay_alu instid0(VALU_DEP_1) | instskip(NEXT) | instid1(VALU_DEP_1)
	v_and_or_b32 v2, 0x80000000, v2, v6
	v_cvt_i32_f32_e32 v2, v2
.LBB368_1121:
	s_mov_b32 s1, 0
.LBB368_1122:
	s_delay_alu instid0(SALU_CYCLE_1)
	s_and_not1_b32 vcc_lo, exec_lo, s1
	s_cbranch_vccnz .LBB368_1124
; %bb.1123:
	global_load_u8 v2, v[0:1], off
	s_waitcnt vmcnt(0)
	v_lshlrev_b32_e32 v6, 25, v2
	v_lshlrev_b16 v2, 8, v2
	s_delay_alu instid0(VALU_DEP_2) | instskip(NEXT) | instid1(VALU_DEP_2)
	v_lshrrev_b32_e32 v7, 4, v6
	v_and_or_b32 v8, 0x7f00, v2, 0.5
	v_bfe_i32 v2, v2, 0, 16
	s_delay_alu instid0(VALU_DEP_3) | instskip(NEXT) | instid1(VALU_DEP_1)
	v_or_b32_e32 v7, 0x70000000, v7
	v_dual_add_f32 v8, -0.5, v8 :: v_dual_mul_f32 v7, 0x7800000, v7
	v_cmp_gt_u32_e32 vcc_lo, 0x8000000, v6
	s_delay_alu instid0(VALU_DEP_2) | instskip(NEXT) | instid1(VALU_DEP_1)
	v_cndmask_b32_e32 v6, v7, v8, vcc_lo
	v_and_or_b32 v2, 0x80000000, v2, v6
	s_delay_alu instid0(VALU_DEP_1)
	v_cvt_i32_f32_e32 v2, v2
.LBB368_1124:
	s_mov_b32 s13, -1
	s_mov_b32 s12, 0
	s_cbranch_execnz .LBB368_1135
.LBB368_1125:
	v_cmp_lt_i16_e32 vcc_lo, 14, v5
	s_cbranch_vccz .LBB368_1128
; %bb.1126:
	v_cmp_eq_u16_e32 vcc_lo, 15, v5
	s_cbranch_vccz .LBB368_1131
; %bb.1127:
	global_load_u16 v2, v[0:1], off
	s_mov_b32 s0, 0
	s_mov_b32 s13, -1
	s_waitcnt vmcnt(0)
	v_lshlrev_b32_e32 v2, 16, v2
	s_delay_alu instid0(VALU_DEP_1)
	v_cvt_i32_f32_e32 v2, v2
	s_branch .LBB368_1132
.LBB368_1128:
	s_mov_b32 s1, -1
                                        ; implicit-def: $vgpr2
	s_branch .LBB368_1133
.LBB368_1129:
	s_or_saveexec_b32 s12, s12
	v_mov_b32_e32 v2, s13
	s_xor_b32 exec_lo, exec_lo, s12
	s_cbranch_execz .LBB368_1111
.LBB368_1130:
	v_cmp_ne_u16_e32 vcc_lo, 0, v6
	v_mov_b32_e32 v2, 0
	s_and_not1_b32 s1, s1, exec_lo
	s_and_b32 s13, vcc_lo, exec_lo
	s_delay_alu instid0(SALU_CYCLE_1)
	s_or_b32 s1, s1, s13
	s_or_b32 exec_lo, exec_lo, s12
	s_and_saveexec_b32 s12, s1
	s_cbranch_execnz .LBB368_1112
	s_branch .LBB368_1113
.LBB368_1131:
	s_mov_b32 s0, -1
                                        ; implicit-def: $vgpr2
.LBB368_1132:
	s_mov_b32 s1, 0
.LBB368_1133:
	s_delay_alu instid0(SALU_CYCLE_1)
	s_and_b32 vcc_lo, exec_lo, s1
	s_cbranch_vccz .LBB368_1135
; %bb.1134:
	v_cmp_ne_u16_e64 s0, 11, v5
	s_mov_b32 s12, -1
                                        ; implicit-def: $vgpr2
.LBB368_1135:
	s_delay_alu instid0(VALU_DEP_1)
	s_and_b32 vcc_lo, exec_lo, s0
	s_mov_b32 s1, s11
	s_cbranch_vccnz .LBB368_1159
; %bb.1136:
	s_and_not1_b32 vcc_lo, exec_lo, s12
	s_cbranch_vccnz .LBB368_1138
.LBB368_1137:
	global_load_u8 v2, v[0:1], off
	s_mov_b32 s13, -1
	s_waitcnt vmcnt(0)
	v_cmp_ne_u16_e32 vcc_lo, 0, v2
	v_cndmask_b32_e64 v2, 0, 1, vcc_lo
.LBB368_1138:
.LBB368_1139:
	s_and_not1_b32 vcc_lo, exec_lo, s13
	s_cbranch_vccnz .LBB368_1963
.LBB368_1140:
	s_lshl_b32 s9, s9, 7
	v_cmp_gt_i16_e32 vcc_lo, 11, v5
	v_add_nc_u32_e32 v3, s9, v3
	s_delay_alu instid0(VALU_DEP_1) | instskip(SKIP_1) | instid1(VALU_DEP_1)
	v_ashrrev_i32_e32 v1, 31, v3
	v_add_co_u32 v0, s0, s6, v3
	v_add_co_ci_u32_e64 v1, s0, s7, v1, s0
	s_cbranch_vccnz .LBB368_1147
; %bb.1141:
	v_cmp_lt_i16_e32 vcc_lo, 25, v5
	s_mov_b32 s12, 0
	s_cbranch_vccz .LBB368_1153
; %bb.1142:
	v_cmp_lt_i16_e32 vcc_lo, 28, v5
	s_cbranch_vccz .LBB368_1155
; %bb.1143:
	v_cmp_lt_i16_e32 vcc_lo, 43, v5
	;; [unrolled: 3-line block ×3, first 2 shown]
	s_cbranch_vccz .LBB368_1163
; %bb.1145:
	v_cmp_eq_u16_e32 vcc_lo, 46, v5
	s_mov_b32 s14, 0
	s_cbranch_vccz .LBB368_1207
; %bb.1146:
	global_load_b32 v6, v[0:1], off
	s_mov_b32 s0, 0
	s_mov_b32 s13, -1
	s_waitcnt vmcnt(0)
	v_lshlrev_b32_e32 v6, 16, v6
	s_delay_alu instid0(VALU_DEP_1)
	v_cvt_i32_f32_e32 v9, v6
	s_branch .LBB368_1209
.LBB368_1147:
	s_mov_b32 s13, 0
                                        ; implicit-def: $vgpr9
	s_cbranch_execz .LBB368_1270
; %bb.1148:
	v_cmp_gt_i16_e32 vcc_lo, 5, v5
	s_cbranch_vccnz .LBB368_1154
; %bb.1149:
	v_cmp_gt_i16_e32 vcc_lo, 8, v5
	s_cbranch_vccnz .LBB368_1156
	;; [unrolled: 3-line block ×3, first 2 shown]
; %bb.1151:
	v_cmp_lt_i16_e32 vcc_lo, 9, v5
	s_cbranch_vccz .LBB368_1164
; %bb.1152:
	global_load_b64 v[6:7], v[0:1], off
	s_mov_b32 s0, 0
	s_waitcnt vmcnt(0)
	v_cvt_i32_f64_e32 v9, v[6:7]
	s_branch .LBB368_1165
.LBB368_1153:
	s_mov_b32 s13, 0
	s_mov_b32 s0, 0
                                        ; implicit-def: $vgpr9
	s_cbranch_execnz .LBB368_1236
	s_branch .LBB368_1266
.LBB368_1154:
                                        ; implicit-def: $vgpr9
	s_branch .LBB368_1183
.LBB368_1155:
	s_mov_b32 s14, -1
	s_mov_b32 s13, 0
	s_mov_b32 s0, 0
                                        ; implicit-def: $vgpr9
	s_branch .LBB368_1219
.LBB368_1156:
	s_mov_b32 s0, -1
                                        ; implicit-def: $vgpr9
	s_branch .LBB368_1171
.LBB368_1157:
	s_mov_b32 s14, -1
	s_mov_b32 s13, 0
	s_mov_b32 s0, 0
                                        ; implicit-def: $vgpr9
	s_branch .LBB368_1214
.LBB368_1158:
	s_mov_b32 s0, -1
                                        ; implicit-def: $vgpr9
	s_branch .LBB368_1168
.LBB368_1159:
	s_cbranch_execnz .LBB368_1203
; %bb.1160:
	s_or_b32 s1, s11, exec_lo
                                        ; implicit-def: $vgpr2
	s_cbranch_execz .LBB368_1137
	s_branch .LBB368_1138
.LBB368_1161:
	s_or_saveexec_b32 s16, s16
                                        ; implicit-def: $sgpr17
	s_delay_alu instid0(SALU_CYCLE_1)
	s_xor_b32 exec_lo, exec_lo, s16
	s_cbranch_execz .LBB368_928
.LBB368_1162:
	v_add_f32_e64 v4, 0x46000000, |v1|
	s_and_not1_b32 s15, s15, exec_lo
	s_mov_b32 s17, 0
	s_delay_alu instid0(VALU_DEP_1) | instskip(NEXT) | instid1(VALU_DEP_1)
	v_and_b32_e32 v4, 0xff, v4
	v_cmp_ne_u32_e32 vcc_lo, 0, v4
	s_and_b32 s18, vcc_lo, exec_lo
	s_delay_alu instid0(SALU_CYCLE_1)
	s_or_b32 s15, s15, s18
	s_or_b32 exec_lo, exec_lo, s16
	v_mov_b32_e32 v6, s17
	s_and_saveexec_b32 s16, s15
	s_cbranch_execnz .LBB368_929
	s_branch .LBB368_930
.LBB368_1163:
	s_mov_b32 s14, -1
	s_mov_b32 s13, 0
	s_mov_b32 s0, 0
	s_branch .LBB368_1208
.LBB368_1164:
	s_mov_b32 s0, -1
                                        ; implicit-def: $vgpr9
.LBB368_1165:
	s_delay_alu instid0(SALU_CYCLE_1)
	s_and_not1_b32 vcc_lo, exec_lo, s0
	s_cbranch_vccnz .LBB368_1167
; %bb.1166:
	global_load_b32 v6, v[0:1], off
	s_waitcnt vmcnt(0)
	v_cvt_i32_f32_e32 v9, v6
.LBB368_1167:
	s_mov_b32 s0, 0
.LBB368_1168:
	s_delay_alu instid0(SALU_CYCLE_1)
	s_and_not1_b32 vcc_lo, exec_lo, s0
	s_cbranch_vccnz .LBB368_1170
; %bb.1169:
	global_load_b32 v6, v[0:1], off
	s_waitcnt vmcnt(0)
	v_cvt_f32_f16_e32 v6, v6
	s_delay_alu instid0(VALU_DEP_1)
	v_cvt_i32_f32_e32 v9, v6
.LBB368_1170:
	s_mov_b32 s0, 0
.LBB368_1171:
	s_delay_alu instid0(SALU_CYCLE_1)
	s_and_not1_b32 vcc_lo, exec_lo, s0
	s_cbranch_vccnz .LBB368_1182
; %bb.1172:
	v_cmp_gt_i16_e32 vcc_lo, 6, v5
	s_cbranch_vccnz .LBB368_1175
; %bb.1173:
	v_cmp_lt_i16_e32 vcc_lo, 6, v5
	s_cbranch_vccz .LBB368_1176
; %bb.1174:
	global_load_b64 v[6:7], v[0:1], off
	s_mov_b32 s0, 0
	s_waitcnt vmcnt(0)
	v_cvt_i32_f64_e32 v9, v[6:7]
	s_branch .LBB368_1177
.LBB368_1175:
	s_mov_b32 s0, -1
                                        ; implicit-def: $vgpr9
	s_branch .LBB368_1180
.LBB368_1176:
	s_mov_b32 s0, -1
                                        ; implicit-def: $vgpr9
.LBB368_1177:
	s_delay_alu instid0(SALU_CYCLE_1)
	s_and_not1_b32 vcc_lo, exec_lo, s0
	s_cbranch_vccnz .LBB368_1179
; %bb.1178:
	global_load_b32 v6, v[0:1], off
	s_waitcnt vmcnt(0)
	v_cvt_i32_f32_e32 v9, v6
.LBB368_1179:
	s_mov_b32 s0, 0
.LBB368_1180:
	s_delay_alu instid0(SALU_CYCLE_1)
	s_and_not1_b32 vcc_lo, exec_lo, s0
	s_cbranch_vccnz .LBB368_1182
; %bb.1181:
	global_load_u16 v6, v[0:1], off
	s_waitcnt vmcnt(0)
	v_cvt_f32_f16_e32 v6, v6
	s_delay_alu instid0(VALU_DEP_1)
	v_cvt_i32_f32_e32 v9, v6
.LBB368_1182:
	s_cbranch_execnz .LBB368_1202
.LBB368_1183:
	v_cmp_gt_i16_e32 vcc_lo, 2, v5
	s_cbranch_vccnz .LBB368_1187
; %bb.1184:
	v_cmp_gt_i16_e32 vcc_lo, 3, v5
	s_cbranch_vccnz .LBB368_1188
; %bb.1185:
	v_cmp_lt_i16_e32 vcc_lo, 3, v5
	s_cbranch_vccz .LBB368_1189
; %bb.1186:
	global_load_b32 v9, v[0:1], off
	s_mov_b32 s0, 0
	s_branch .LBB368_1190
.LBB368_1187:
	s_mov_b32 s0, -1
                                        ; implicit-def: $vgpr9
	s_branch .LBB368_1196
.LBB368_1188:
	s_mov_b32 s0, -1
                                        ; implicit-def: $vgpr9
	s_branch .LBB368_1193
.LBB368_1189:
	s_mov_b32 s0, -1
                                        ; implicit-def: $vgpr9
.LBB368_1190:
	s_delay_alu instid0(SALU_CYCLE_1)
	s_and_not1_b32 vcc_lo, exec_lo, s0
	s_cbranch_vccnz .LBB368_1192
; %bb.1191:
	global_load_b32 v9, v[0:1], off
.LBB368_1192:
	s_mov_b32 s0, 0
.LBB368_1193:
	s_delay_alu instid0(SALU_CYCLE_1)
	s_and_not1_b32 vcc_lo, exec_lo, s0
	s_cbranch_vccnz .LBB368_1195
; %bb.1194:
	global_load_i16 v9, v[0:1], off
.LBB368_1195:
	s_mov_b32 s0, 0
.LBB368_1196:
	s_delay_alu instid0(SALU_CYCLE_1)
	s_and_not1_b32 vcc_lo, exec_lo, s0
	s_cbranch_vccnz .LBB368_1202
; %bb.1197:
	v_cmp_lt_i16_e32 vcc_lo, 0, v5
	s_mov_b32 s0, 0
	s_cbranch_vccz .LBB368_1199
; %bb.1198:
	global_load_i8 v9, v[0:1], off
	s_branch .LBB368_1200
.LBB368_1199:
	s_mov_b32 s0, -1
                                        ; implicit-def: $vgpr9
.LBB368_1200:
	s_delay_alu instid0(SALU_CYCLE_1)
	s_and_not1_b32 vcc_lo, exec_lo, s0
	s_cbranch_vccnz .LBB368_1202
; %bb.1201:
	global_load_u8 v9, v[0:1], off
.LBB368_1202:
	s_branch .LBB368_1271
.LBB368_1203:
	s_trap 2
	s_sendmsg_rtn_b32 s0, sendmsg(MSG_RTN_GET_DOORBELL)
	s_mov_b32 ttmp2, m0
	s_waitcnt lgkmcnt(0)
	s_and_b32 s0, s0, 0x3ff
	s_delay_alu instid0(SALU_CYCLE_1) | instskip(NEXT) | instid1(SALU_CYCLE_1)
	s_bitset1_b32 s0, 10
	s_mov_b32 m0, s0
	s_sendmsg sendmsg(MSG_INTERRUPT)
	s_mov_b32 m0, ttmp2
.LBB368_1204:                           ; =>This Inner Loop Header: Depth=1
	s_sethalt 5
	s_branch .LBB368_1204
.LBB368_1205:
	s_or_saveexec_b32 s17, s17
                                        ; implicit-def: $sgpr18
	s_delay_alu instid0(SALU_CYCLE_1)
	s_xor_b32 exec_lo, exec_lo, s17
	s_cbranch_execz .LBB368_940
.LBB368_1206:
	v_add_f32_e64 v4, 0x42800000, |v1|
	s_and_not1_b32 s16, s16, exec_lo
	s_mov_b32 s18, 0
	s_delay_alu instid0(VALU_DEP_1) | instskip(NEXT) | instid1(VALU_DEP_1)
	v_and_b32_e32 v4, 0xff, v4
	v_cmp_ne_u32_e32 vcc_lo, 0, v4
	s_and_b32 s19, vcc_lo, exec_lo
	s_delay_alu instid0(SALU_CYCLE_1)
	s_or_b32 s16, s16, s19
	s_or_b32 exec_lo, exec_lo, s17
	v_mov_b32_e32 v6, s18
	s_and_saveexec_b32 s17, s16
	s_cbranch_execnz .LBB368_941
	s_branch .LBB368_942
.LBB368_1207:
	s_mov_b32 s0, -1
	s_mov_b32 s13, 0
.LBB368_1208:
                                        ; implicit-def: $vgpr9
.LBB368_1209:
	s_and_b32 vcc_lo, exec_lo, s14
	s_cbranch_vccz .LBB368_1213
; %bb.1210:
	v_cmp_eq_u16_e32 vcc_lo, 44, v5
	s_cbranch_vccz .LBB368_1212
; %bb.1211:
	global_load_u8 v6, v[0:1], off
	s_mov_b32 s0, 0
	s_mov_b32 s13, -1
	s_waitcnt vmcnt(0)
	v_lshlrev_b32_e32 v7, 23, v6
	v_cmp_ne_u32_e32 vcc_lo, 0, v6
	s_delay_alu instid0(VALU_DEP_2) | instskip(NEXT) | instid1(VALU_DEP_1)
	v_cvt_i32_f32_e32 v7, v7
	v_cndmask_b32_e32 v9, 0, v7, vcc_lo
	s_branch .LBB368_1213
.LBB368_1212:
	s_mov_b32 s0, -1
                                        ; implicit-def: $vgpr9
.LBB368_1213:
	s_mov_b32 s14, 0
.LBB368_1214:
	s_delay_alu instid0(SALU_CYCLE_1)
	s_and_b32 vcc_lo, exec_lo, s14
	s_cbranch_vccz .LBB368_1218
; %bb.1215:
	v_cmp_eq_u16_e32 vcc_lo, 29, v5
	s_cbranch_vccz .LBB368_1217
; %bb.1216:
	global_load_b32 v9, v[0:1], off
	s_mov_b32 s0, 0
	s_mov_b32 s13, -1
	s_branch .LBB368_1218
.LBB368_1217:
	s_mov_b32 s0, -1
                                        ; implicit-def: $vgpr9
.LBB368_1218:
	s_mov_b32 s14, 0
.LBB368_1219:
	s_delay_alu instid0(SALU_CYCLE_1)
	s_and_b32 vcc_lo, exec_lo, s14
	s_cbranch_vccz .LBB368_1235
; %bb.1220:
	v_cmp_gt_i16_e32 vcc_lo, 27, v5
	s_cbranch_vccnz .LBB368_1223
; %bb.1221:
	v_cmp_lt_i16_e32 vcc_lo, 27, v5
	s_cbranch_vccz .LBB368_1224
; %bb.1222:
	global_load_b32 v9, v[0:1], off
	s_mov_b32 s13, 0
	s_branch .LBB368_1225
.LBB368_1223:
	s_mov_b32 s13, -1
                                        ; implicit-def: $vgpr9
	s_branch .LBB368_1228
.LBB368_1224:
	s_mov_b32 s13, -1
                                        ; implicit-def: $vgpr9
.LBB368_1225:
	s_delay_alu instid0(SALU_CYCLE_1)
	s_and_not1_b32 vcc_lo, exec_lo, s13
	s_cbranch_vccnz .LBB368_1227
; %bb.1226:
	global_load_u16 v9, v[0:1], off
.LBB368_1227:
	s_mov_b32 s13, 0
.LBB368_1228:
	s_delay_alu instid0(SALU_CYCLE_1)
	s_and_not1_b32 vcc_lo, exec_lo, s13
	s_cbranch_vccnz .LBB368_1234
; %bb.1229:
	global_load_u8 v6, v[0:1], off
	s_mov_b32 s13, 0
	s_mov_b32 s14, exec_lo
                                        ; implicit-def: $sgpr15
	s_waitcnt vmcnt(0)
	v_cmpx_lt_i16_e32 0x7f, v6
	s_xor_b32 s14, exec_lo, s14
	s_cbranch_execz .LBB368_1245
; %bb.1230:
	v_cmp_ne_u16_e32 vcc_lo, 0x80, v6
	s_mov_b32 s15, 0
	s_and_b32 s13, vcc_lo, exec_lo
	s_or_saveexec_b32 s14, s14
	v_mov_b32_e32 v9, s15
	s_xor_b32 exec_lo, exec_lo, s14
	s_cbranch_execnz .LBB368_1246
.LBB368_1231:
	s_or_b32 exec_lo, exec_lo, s14
	s_and_saveexec_b32 s14, s13
	s_cbranch_execz .LBB368_1233
.LBB368_1232:
	v_and_b32_e32 v7, 0xffff, v6
	v_lshlrev_b32_e32 v6, 24, v6
	s_delay_alu instid0(VALU_DEP_2) | instskip(NEXT) | instid1(VALU_DEP_2)
	v_and_b32_e32 v8, 7, v7
	v_and_b32_e32 v6, 0x80000000, v6
	s_delay_alu instid0(VALU_DEP_2) | instskip(NEXT) | instid1(VALU_DEP_1)
	v_clz_i32_u32_e32 v9, v8
	v_min_u32_e32 v9, 32, v9
	s_delay_alu instid0(VALU_DEP_1) | instskip(SKIP_1) | instid1(VALU_DEP_2)
	v_subrev_nc_u32_e32 v10, 28, v9
	v_sub_nc_u32_e32 v9, 29, v9
	v_lshlrev_b32_e32 v10, v10, v7
	v_bfe_u32 v7, v7, 3, 4
	s_delay_alu instid0(VALU_DEP_2) | instskip(NEXT) | instid1(VALU_DEP_2)
	v_and_b32_e32 v10, 7, v10
	v_cmp_eq_u32_e32 vcc_lo, 0, v7
	s_delay_alu instid0(VALU_DEP_2) | instskip(NEXT) | instid1(VALU_DEP_1)
	v_dual_cndmask_b32 v7, v7, v9 :: v_dual_cndmask_b32 v8, v8, v10
	v_lshl_add_u32 v7, v7, 23, 0x3b800000
	s_delay_alu instid0(VALU_DEP_2) | instskip(NEXT) | instid1(VALU_DEP_1)
	v_lshlrev_b32_e32 v8, 20, v8
	v_or3_b32 v6, v6, v7, v8
	s_delay_alu instid0(VALU_DEP_1)
	v_cvt_i32_f32_e32 v9, v6
.LBB368_1233:
	s_or_b32 exec_lo, exec_lo, s14
.LBB368_1234:
	s_mov_b32 s13, -1
.LBB368_1235:
	s_branch .LBB368_1266
.LBB368_1236:
	v_cmp_lt_i16_e32 vcc_lo, 22, v5
	s_cbranch_vccz .LBB368_1244
; %bb.1237:
	v_cmp_gt_i16_e32 vcc_lo, 24, v5
	s_cbranch_vccnz .LBB368_1247
; %bb.1238:
	v_cmp_lt_i16_e32 vcc_lo, 24, v5
	s_cbranch_vccz .LBB368_1248
; %bb.1239:
	global_load_u8 v6, v[0:1], off
	s_mov_b32 s13, exec_lo
                                        ; implicit-def: $sgpr14
	s_waitcnt vmcnt(0)
	v_cmpx_lt_i16_e32 0x7f, v6
	s_xor_b32 s13, exec_lo, s13
	s_cbranch_execz .LBB368_1260
; %bb.1240:
	v_cmp_ne_u16_e32 vcc_lo, 0x80, v6
	s_mov_b32 s14, 0
	s_and_b32 s12, vcc_lo, exec_lo
	s_or_saveexec_b32 s13, s13
	v_mov_b32_e32 v9, s14
	s_xor_b32 exec_lo, exec_lo, s13
	s_cbranch_execnz .LBB368_1261
.LBB368_1241:
	s_or_b32 exec_lo, exec_lo, s13
	s_and_saveexec_b32 s13, s12
	s_cbranch_execz .LBB368_1243
.LBB368_1242:
	v_and_b32_e32 v7, 0xffff, v6
	v_lshlrev_b32_e32 v6, 24, v6
	s_delay_alu instid0(VALU_DEP_2) | instskip(NEXT) | instid1(VALU_DEP_2)
	v_and_b32_e32 v8, 3, v7
	v_and_b32_e32 v6, 0x80000000, v6
	s_delay_alu instid0(VALU_DEP_2) | instskip(NEXT) | instid1(VALU_DEP_1)
	v_clz_i32_u32_e32 v9, v8
	v_min_u32_e32 v9, 32, v9
	s_delay_alu instid0(VALU_DEP_1) | instskip(SKIP_1) | instid1(VALU_DEP_2)
	v_subrev_nc_u32_e32 v10, 29, v9
	v_sub_nc_u32_e32 v9, 30, v9
	v_lshlrev_b32_e32 v10, v10, v7
	v_bfe_u32 v7, v7, 2, 5
	s_delay_alu instid0(VALU_DEP_2) | instskip(NEXT) | instid1(VALU_DEP_2)
	v_and_b32_e32 v10, 3, v10
	v_cmp_eq_u32_e32 vcc_lo, 0, v7
	s_delay_alu instid0(VALU_DEP_2) | instskip(NEXT) | instid1(VALU_DEP_1)
	v_dual_cndmask_b32 v7, v7, v9 :: v_dual_cndmask_b32 v8, v8, v10
	v_lshl_add_u32 v7, v7, 23, 0x37800000
	s_delay_alu instid0(VALU_DEP_2) | instskip(NEXT) | instid1(VALU_DEP_1)
	v_lshlrev_b32_e32 v8, 21, v8
	v_or3_b32 v6, v6, v7, v8
	s_delay_alu instid0(VALU_DEP_1)
	v_cvt_i32_f32_e32 v9, v6
.LBB368_1243:
	s_or_b32 exec_lo, exec_lo, s13
	s_mov_b32 s12, 0
	s_branch .LBB368_1249
.LBB368_1244:
	s_mov_b32 s12, -1
                                        ; implicit-def: $vgpr9
	s_branch .LBB368_1255
.LBB368_1245:
	s_or_saveexec_b32 s14, s14
	v_mov_b32_e32 v9, s15
	s_xor_b32 exec_lo, exec_lo, s14
	s_cbranch_execz .LBB368_1231
.LBB368_1246:
	v_cmp_ne_u16_e32 vcc_lo, 0, v6
	v_mov_b32_e32 v9, 0
	s_and_not1_b32 s13, s13, exec_lo
	s_and_b32 s15, vcc_lo, exec_lo
	s_delay_alu instid0(SALU_CYCLE_1)
	s_or_b32 s13, s13, s15
	s_or_b32 exec_lo, exec_lo, s14
	s_and_saveexec_b32 s14, s13
	s_cbranch_execnz .LBB368_1232
	s_branch .LBB368_1233
.LBB368_1247:
	s_mov_b32 s12, -1
                                        ; implicit-def: $vgpr9
	s_branch .LBB368_1252
.LBB368_1248:
	s_mov_b32 s12, -1
                                        ; implicit-def: $vgpr9
.LBB368_1249:
	s_delay_alu instid0(SALU_CYCLE_1)
	s_and_b32 vcc_lo, exec_lo, s12
	s_cbranch_vccz .LBB368_1251
; %bb.1250:
	global_load_u8 v6, v[0:1], off
	s_waitcnt vmcnt(0)
	v_lshlrev_b32_e32 v6, 24, v6
	s_delay_alu instid0(VALU_DEP_1) | instskip(NEXT) | instid1(VALU_DEP_1)
	v_and_b32_e32 v7, 0x7f000000, v6
	v_clz_i32_u32_e32 v8, v7
	v_add_nc_u32_e32 v10, 0x1000000, v7
	v_cmp_ne_u32_e32 vcc_lo, 0, v7
	s_delay_alu instid0(VALU_DEP_3) | instskip(NEXT) | instid1(VALU_DEP_1)
	v_min_u32_e32 v8, 32, v8
	v_sub_nc_u32_e64 v8, v8, 4 clamp
	s_delay_alu instid0(VALU_DEP_1) | instskip(SKIP_1) | instid1(VALU_DEP_2)
	v_lshlrev_b32_e32 v9, v8, v7
	v_lshlrev_b32_e32 v8, 23, v8
	v_lshrrev_b32_e32 v9, 4, v9
	s_delay_alu instid0(VALU_DEP_1) | instskip(SKIP_1) | instid1(VALU_DEP_2)
	v_sub_nc_u32_e32 v8, v9, v8
	v_ashrrev_i32_e32 v9, 8, v10
	v_add_nc_u32_e32 v8, 0x3c000000, v8
	s_delay_alu instid0(VALU_DEP_1) | instskip(NEXT) | instid1(VALU_DEP_1)
	v_and_or_b32 v8, 0x7f800000, v9, v8
	v_cndmask_b32_e32 v7, 0, v8, vcc_lo
	s_delay_alu instid0(VALU_DEP_1) | instskip(NEXT) | instid1(VALU_DEP_1)
	v_and_or_b32 v6, 0x80000000, v6, v7
	v_cvt_i32_f32_e32 v9, v6
.LBB368_1251:
	s_mov_b32 s12, 0
.LBB368_1252:
	s_delay_alu instid0(SALU_CYCLE_1)
	s_and_not1_b32 vcc_lo, exec_lo, s12
	s_cbranch_vccnz .LBB368_1254
; %bb.1253:
	global_load_u8 v6, v[0:1], off
	s_waitcnt vmcnt(0)
	v_lshlrev_b32_e32 v7, 25, v6
	v_lshlrev_b16 v6, 8, v6
	s_delay_alu instid0(VALU_DEP_2) | instskip(NEXT) | instid1(VALU_DEP_2)
	v_lshrrev_b32_e32 v8, 4, v7
	v_and_or_b32 v9, 0x7f00, v6, 0.5
	v_bfe_i32 v6, v6, 0, 16
	s_delay_alu instid0(VALU_DEP_3) | instskip(NEXT) | instid1(VALU_DEP_1)
	v_or_b32_e32 v8, 0x70000000, v8
	v_dual_add_f32 v9, -0.5, v9 :: v_dual_mul_f32 v8, 0x7800000, v8
	v_cmp_gt_u32_e32 vcc_lo, 0x8000000, v7
	s_delay_alu instid0(VALU_DEP_2) | instskip(NEXT) | instid1(VALU_DEP_1)
	v_cndmask_b32_e32 v7, v8, v9, vcc_lo
	v_and_or_b32 v6, 0x80000000, v6, v7
	s_delay_alu instid0(VALU_DEP_1)
	v_cvt_i32_f32_e32 v9, v6
.LBB368_1254:
	s_mov_b32 s12, 0
	s_mov_b32 s13, -1
.LBB368_1255:
	s_and_not1_b32 vcc_lo, exec_lo, s12
	s_mov_b32 s12, 0
	s_cbranch_vccnz .LBB368_1266
; %bb.1256:
	v_cmp_lt_i16_e32 vcc_lo, 14, v5
	s_cbranch_vccz .LBB368_1259
; %bb.1257:
	v_cmp_eq_u16_e32 vcc_lo, 15, v5
	s_cbranch_vccz .LBB368_1262
; %bb.1258:
	global_load_u16 v6, v[0:1], off
	s_mov_b32 s0, 0
	s_mov_b32 s13, -1
	s_waitcnt vmcnt(0)
	v_lshlrev_b32_e32 v6, 16, v6
	s_delay_alu instid0(VALU_DEP_1)
	v_cvt_i32_f32_e32 v9, v6
	s_branch .LBB368_1264
.LBB368_1259:
	s_mov_b32 s12, -1
	s_branch .LBB368_1263
.LBB368_1260:
	s_or_saveexec_b32 s13, s13
	v_mov_b32_e32 v9, s14
	s_xor_b32 exec_lo, exec_lo, s13
	s_cbranch_execz .LBB368_1241
.LBB368_1261:
	v_cmp_ne_u16_e32 vcc_lo, 0, v6
	v_mov_b32_e32 v9, 0
	s_and_not1_b32 s12, s12, exec_lo
	s_and_b32 s14, vcc_lo, exec_lo
	s_delay_alu instid0(SALU_CYCLE_1)
	s_or_b32 s12, s12, s14
	s_or_b32 exec_lo, exec_lo, s13
	s_and_saveexec_b32 s13, s12
	s_cbranch_execnz .LBB368_1242
	s_branch .LBB368_1243
.LBB368_1262:
	s_mov_b32 s0, -1
.LBB368_1263:
                                        ; implicit-def: $vgpr9
.LBB368_1264:
	s_and_b32 vcc_lo, exec_lo, s12
	s_mov_b32 s12, 0
	s_cbranch_vccz .LBB368_1266
; %bb.1265:
	v_cmp_ne_u16_e64 s0, 11, v5
	s_mov_b32 s12, -1
                                        ; implicit-def: $vgpr9
.LBB368_1266:
	s_delay_alu instid0(VALU_DEP_1)
	s_and_b32 vcc_lo, exec_lo, s0
	s_cbranch_vccnz .LBB368_1290
; %bb.1267:
	s_and_not1_b32 vcc_lo, exec_lo, s12
	s_cbranch_vccnz .LBB368_1269
.LBB368_1268:
	global_load_u8 v6, v[0:1], off
	s_mov_b32 s13, -1
	s_waitcnt vmcnt(0)
	v_cmp_ne_u16_e32 vcc_lo, 0, v6
	v_cndmask_b32_e64 v9, 0, 1, vcc_lo
.LBB368_1269:
.LBB368_1270:
	s_and_not1_b32 vcc_lo, exec_lo, s13
	s_cbranch_vccnz .LBB368_1963
.LBB368_1271:
	v_add_nc_u32_e32 v3, s9, v3
	v_cmp_gt_i16_e32 vcc_lo, 11, v5
	s_delay_alu instid0(VALU_DEP_2) | instskip(SKIP_1) | instid1(VALU_DEP_1)
	v_ashrrev_i32_e32 v1, 31, v3
	v_add_co_u32 v0, s0, s6, v3
	v_add_co_ci_u32_e64 v1, s0, s7, v1, s0
	s_cbranch_vccnz .LBB368_1278
; %bb.1272:
	v_cmp_lt_i16_e32 vcc_lo, 25, v5
	s_mov_b32 s12, 0
	s_cbranch_vccz .LBB368_1284
; %bb.1273:
	v_cmp_lt_i16_e32 vcc_lo, 28, v5
	s_cbranch_vccz .LBB368_1286
; %bb.1274:
	v_cmp_lt_i16_e32 vcc_lo, 43, v5
	;; [unrolled: 3-line block ×3, first 2 shown]
	s_cbranch_vccz .LBB368_1292
; %bb.1276:
	v_cmp_eq_u16_e32 vcc_lo, 46, v5
	s_mov_b32 s14, 0
	s_cbranch_vccz .LBB368_1335
; %bb.1277:
	global_load_b32 v6, v[0:1], off
	s_mov_b32 s0, 0
	s_mov_b32 s13, -1
	s_waitcnt vmcnt(0)
	v_lshlrev_b32_e32 v6, 16, v6
	s_delay_alu instid0(VALU_DEP_1)
	v_cvt_i32_f32_e32 v8, v6
	s_branch .LBB368_1337
.LBB368_1278:
	s_mov_b32 s13, 0
                                        ; implicit-def: $vgpr8
	s_cbranch_execz .LBB368_1399
; %bb.1279:
	v_cmp_gt_i16_e32 vcc_lo, 5, v5
	s_cbranch_vccnz .LBB368_1285
; %bb.1280:
	v_cmp_gt_i16_e32 vcc_lo, 8, v5
	s_cbranch_vccnz .LBB368_1287
	;; [unrolled: 3-line block ×3, first 2 shown]
; %bb.1282:
	v_cmp_lt_i16_e32 vcc_lo, 9, v5
	s_cbranch_vccz .LBB368_1293
; %bb.1283:
	global_load_b64 v[6:7], v[0:1], off
	s_mov_b32 s0, 0
	s_waitcnt vmcnt(0)
	v_cvt_i32_f64_e32 v8, v[6:7]
	s_branch .LBB368_1294
.LBB368_1284:
	s_mov_b32 s14, -1
	s_mov_b32 s13, 0
	s_mov_b32 s0, 0
                                        ; implicit-def: $vgpr8
	s_branch .LBB368_1364
.LBB368_1285:
	s_mov_b32 s0, -1
                                        ; implicit-def: $vgpr8
	s_branch .LBB368_1312
.LBB368_1286:
	s_mov_b32 s14, -1
	s_mov_b32 s13, 0
	s_mov_b32 s0, 0
                                        ; implicit-def: $vgpr8
	s_branch .LBB368_1347
.LBB368_1287:
	s_mov_b32 s0, -1
                                        ; implicit-def: $vgpr8
	s_branch .LBB368_1300
.LBB368_1288:
	s_mov_b32 s14, -1
	s_mov_b32 s13, 0
	s_mov_b32 s0, 0
                                        ; implicit-def: $vgpr8
	s_branch .LBB368_1342
.LBB368_1289:
	s_mov_b32 s0, -1
                                        ; implicit-def: $vgpr8
	s_branch .LBB368_1297
.LBB368_1290:
	s_cbranch_execnz .LBB368_1333
; %bb.1291:
	s_or_b32 s1, s1, exec_lo
                                        ; implicit-def: $vgpr9
	s_cbranch_execz .LBB368_1268
	s_branch .LBB368_1269
.LBB368_1292:
	s_mov_b32 s14, -1
	s_mov_b32 s13, 0
	s_mov_b32 s0, 0
	s_branch .LBB368_1336
.LBB368_1293:
	s_mov_b32 s0, -1
                                        ; implicit-def: $vgpr8
.LBB368_1294:
	s_delay_alu instid0(SALU_CYCLE_1)
	s_and_not1_b32 vcc_lo, exec_lo, s0
	s_cbranch_vccnz .LBB368_1296
; %bb.1295:
	global_load_b32 v6, v[0:1], off
	s_waitcnt vmcnt(0)
	v_cvt_i32_f32_e32 v8, v6
.LBB368_1296:
	s_mov_b32 s0, 0
.LBB368_1297:
	s_delay_alu instid0(SALU_CYCLE_1)
	s_and_not1_b32 vcc_lo, exec_lo, s0
	s_cbranch_vccnz .LBB368_1299
; %bb.1298:
	global_load_b32 v6, v[0:1], off
	s_waitcnt vmcnt(0)
	v_cvt_f32_f16_e32 v6, v6
	s_delay_alu instid0(VALU_DEP_1)
	v_cvt_i32_f32_e32 v8, v6
.LBB368_1299:
	s_mov_b32 s0, 0
.LBB368_1300:
	s_delay_alu instid0(SALU_CYCLE_1)
	s_and_not1_b32 vcc_lo, exec_lo, s0
	s_cbranch_vccnz .LBB368_1311
; %bb.1301:
	v_cmp_gt_i16_e32 vcc_lo, 6, v5
	s_cbranch_vccnz .LBB368_1304
; %bb.1302:
	v_cmp_lt_i16_e32 vcc_lo, 6, v5
	s_cbranch_vccz .LBB368_1305
; %bb.1303:
	global_load_b64 v[6:7], v[0:1], off
	s_mov_b32 s0, 0
	s_waitcnt vmcnt(0)
	v_cvt_i32_f64_e32 v8, v[6:7]
	s_branch .LBB368_1306
.LBB368_1304:
	s_mov_b32 s0, -1
                                        ; implicit-def: $vgpr8
	s_branch .LBB368_1309
.LBB368_1305:
	s_mov_b32 s0, -1
                                        ; implicit-def: $vgpr8
.LBB368_1306:
	s_delay_alu instid0(SALU_CYCLE_1)
	s_and_not1_b32 vcc_lo, exec_lo, s0
	s_cbranch_vccnz .LBB368_1308
; %bb.1307:
	global_load_b32 v6, v[0:1], off
	s_waitcnt vmcnt(0)
	v_cvt_i32_f32_e32 v8, v6
.LBB368_1308:
	s_mov_b32 s0, 0
.LBB368_1309:
	s_delay_alu instid0(SALU_CYCLE_1)
	s_and_not1_b32 vcc_lo, exec_lo, s0
	s_cbranch_vccnz .LBB368_1311
; %bb.1310:
	global_load_u16 v6, v[0:1], off
	s_waitcnt vmcnt(0)
	v_cvt_f32_f16_e32 v6, v6
	s_delay_alu instid0(VALU_DEP_1)
	v_cvt_i32_f32_e32 v8, v6
.LBB368_1311:
	s_mov_b32 s0, 0
.LBB368_1312:
	s_delay_alu instid0(SALU_CYCLE_1)
	s_and_not1_b32 vcc_lo, exec_lo, s0
	s_cbranch_vccnz .LBB368_1332
; %bb.1313:
	v_cmp_gt_i16_e32 vcc_lo, 2, v5
	s_cbranch_vccnz .LBB368_1317
; %bb.1314:
	v_cmp_gt_i16_e32 vcc_lo, 3, v5
	s_cbranch_vccnz .LBB368_1318
; %bb.1315:
	v_cmp_lt_i16_e32 vcc_lo, 3, v5
	s_cbranch_vccz .LBB368_1319
; %bb.1316:
	global_load_b32 v8, v[0:1], off
	s_mov_b32 s0, 0
	s_branch .LBB368_1320
.LBB368_1317:
	s_mov_b32 s0, -1
                                        ; implicit-def: $vgpr8
	s_branch .LBB368_1326
.LBB368_1318:
	s_mov_b32 s0, -1
                                        ; implicit-def: $vgpr8
	s_branch .LBB368_1323
.LBB368_1319:
	s_mov_b32 s0, -1
                                        ; implicit-def: $vgpr8
.LBB368_1320:
	s_delay_alu instid0(SALU_CYCLE_1)
	s_and_not1_b32 vcc_lo, exec_lo, s0
	s_cbranch_vccnz .LBB368_1322
; %bb.1321:
	global_load_b32 v8, v[0:1], off
.LBB368_1322:
	s_mov_b32 s0, 0
.LBB368_1323:
	s_delay_alu instid0(SALU_CYCLE_1)
	s_and_not1_b32 vcc_lo, exec_lo, s0
	s_cbranch_vccnz .LBB368_1325
; %bb.1324:
	global_load_i16 v8, v[0:1], off
.LBB368_1325:
	s_mov_b32 s0, 0
.LBB368_1326:
	s_delay_alu instid0(SALU_CYCLE_1)
	s_and_not1_b32 vcc_lo, exec_lo, s0
	s_cbranch_vccnz .LBB368_1332
; %bb.1327:
	v_cmp_lt_i16_e32 vcc_lo, 0, v5
	s_mov_b32 s0, 0
	s_cbranch_vccz .LBB368_1329
; %bb.1328:
	global_load_i8 v8, v[0:1], off
	s_branch .LBB368_1330
.LBB368_1329:
	s_mov_b32 s0, -1
                                        ; implicit-def: $vgpr8
.LBB368_1330:
	s_delay_alu instid0(SALU_CYCLE_1)
	s_and_not1_b32 vcc_lo, exec_lo, s0
	s_cbranch_vccnz .LBB368_1332
; %bb.1331:
	global_load_u8 v8, v[0:1], off
.LBB368_1332:
	s_branch .LBB368_1400
.LBB368_1333:
	s_trap 2
	s_sendmsg_rtn_b32 s0, sendmsg(MSG_RTN_GET_DOORBELL)
	s_mov_b32 ttmp2, m0
	s_waitcnt lgkmcnt(0)
	s_and_b32 s0, s0, 0x3ff
	s_delay_alu instid0(SALU_CYCLE_1) | instskip(NEXT) | instid1(SALU_CYCLE_1)
	s_bitset1_b32 s0, 10
	s_mov_b32 m0, s0
	s_sendmsg sendmsg(MSG_INTERRUPT)
	s_mov_b32 m0, ttmp2
.LBB368_1334:                           ; =>This Inner Loop Header: Depth=1
	s_sethalt 5
	s_branch .LBB368_1334
.LBB368_1335:
	s_mov_b32 s0, -1
	s_mov_b32 s13, 0
.LBB368_1336:
                                        ; implicit-def: $vgpr8
.LBB368_1337:
	s_and_b32 vcc_lo, exec_lo, s14
	s_cbranch_vccz .LBB368_1341
; %bb.1338:
	v_cmp_eq_u16_e32 vcc_lo, 44, v5
	s_cbranch_vccz .LBB368_1340
; %bb.1339:
	global_load_u8 v6, v[0:1], off
	s_mov_b32 s0, 0
	s_mov_b32 s13, -1
	s_waitcnt vmcnt(0)
	v_lshlrev_b32_e32 v7, 23, v6
	v_cmp_ne_u32_e32 vcc_lo, 0, v6
	s_delay_alu instid0(VALU_DEP_2) | instskip(NEXT) | instid1(VALU_DEP_1)
	v_cvt_i32_f32_e32 v7, v7
	v_cndmask_b32_e32 v8, 0, v7, vcc_lo
	s_branch .LBB368_1341
.LBB368_1340:
	s_mov_b32 s0, -1
                                        ; implicit-def: $vgpr8
.LBB368_1341:
	s_mov_b32 s14, 0
.LBB368_1342:
	s_delay_alu instid0(SALU_CYCLE_1)
	s_and_b32 vcc_lo, exec_lo, s14
	s_cbranch_vccz .LBB368_1346
; %bb.1343:
	v_cmp_eq_u16_e32 vcc_lo, 29, v5
	s_cbranch_vccz .LBB368_1345
; %bb.1344:
	global_load_b32 v8, v[0:1], off
	s_mov_b32 s0, 0
	s_mov_b32 s13, -1
	s_branch .LBB368_1346
.LBB368_1345:
	s_mov_b32 s0, -1
                                        ; implicit-def: $vgpr8
.LBB368_1346:
	s_mov_b32 s14, 0
.LBB368_1347:
	s_delay_alu instid0(SALU_CYCLE_1)
	s_and_b32 vcc_lo, exec_lo, s14
	s_cbranch_vccz .LBB368_1363
; %bb.1348:
	v_cmp_gt_i16_e32 vcc_lo, 27, v5
	s_cbranch_vccnz .LBB368_1351
; %bb.1349:
	v_cmp_lt_i16_e32 vcc_lo, 27, v5
	s_cbranch_vccz .LBB368_1352
; %bb.1350:
	global_load_b32 v8, v[0:1], off
	s_mov_b32 s13, 0
	s_branch .LBB368_1353
.LBB368_1351:
	s_mov_b32 s13, -1
                                        ; implicit-def: $vgpr8
	s_branch .LBB368_1356
.LBB368_1352:
	s_mov_b32 s13, -1
                                        ; implicit-def: $vgpr8
.LBB368_1353:
	s_delay_alu instid0(SALU_CYCLE_1)
	s_and_not1_b32 vcc_lo, exec_lo, s13
	s_cbranch_vccnz .LBB368_1355
; %bb.1354:
	global_load_u16 v8, v[0:1], off
.LBB368_1355:
	s_mov_b32 s13, 0
.LBB368_1356:
	s_delay_alu instid0(SALU_CYCLE_1)
	s_and_not1_b32 vcc_lo, exec_lo, s13
	s_cbranch_vccnz .LBB368_1362
; %bb.1357:
	global_load_u8 v6, v[0:1], off
	s_mov_b32 s13, 0
	s_mov_b32 s14, exec_lo
                                        ; implicit-def: $sgpr15
	s_waitcnt vmcnt(0)
	v_cmpx_lt_i16_e32 0x7f, v6
	s_xor_b32 s14, exec_lo, s14
	s_cbranch_execz .LBB368_1374
; %bb.1358:
	v_cmp_ne_u16_e32 vcc_lo, 0x80, v6
	s_mov_b32 s15, 0
	s_and_b32 s13, vcc_lo, exec_lo
	s_or_saveexec_b32 s14, s14
	v_mov_b32_e32 v8, s15
	s_xor_b32 exec_lo, exec_lo, s14
	s_cbranch_execnz .LBB368_1375
.LBB368_1359:
	s_or_b32 exec_lo, exec_lo, s14
	s_and_saveexec_b32 s14, s13
	s_cbranch_execz .LBB368_1361
.LBB368_1360:
	v_and_b32_e32 v7, 0xffff, v6
	v_lshlrev_b32_e32 v6, 24, v6
	s_delay_alu instid0(VALU_DEP_2) | instskip(NEXT) | instid1(VALU_DEP_2)
	v_and_b32_e32 v8, 7, v7
	v_and_b32_e32 v6, 0x80000000, v6
	s_delay_alu instid0(VALU_DEP_2) | instskip(NEXT) | instid1(VALU_DEP_1)
	v_clz_i32_u32_e32 v10, v8
	v_min_u32_e32 v10, 32, v10
	s_delay_alu instid0(VALU_DEP_1) | instskip(SKIP_1) | instid1(VALU_DEP_2)
	v_subrev_nc_u32_e32 v11, 28, v10
	v_sub_nc_u32_e32 v10, 29, v10
	v_lshlrev_b32_e32 v11, v11, v7
	v_bfe_u32 v7, v7, 3, 4
	s_delay_alu instid0(VALU_DEP_2) | instskip(NEXT) | instid1(VALU_DEP_2)
	v_and_b32_e32 v11, 7, v11
	v_cmp_eq_u32_e32 vcc_lo, 0, v7
	s_delay_alu instid0(VALU_DEP_2) | instskip(NEXT) | instid1(VALU_DEP_1)
	v_dual_cndmask_b32 v7, v7, v10 :: v_dual_cndmask_b32 v8, v8, v11
	v_lshl_add_u32 v7, v7, 23, 0x3b800000
	s_delay_alu instid0(VALU_DEP_2) | instskip(NEXT) | instid1(VALU_DEP_1)
	v_lshlrev_b32_e32 v8, 20, v8
	v_or3_b32 v6, v6, v7, v8
	s_delay_alu instid0(VALU_DEP_1)
	v_cvt_i32_f32_e32 v8, v6
.LBB368_1361:
	s_or_b32 exec_lo, exec_lo, s14
.LBB368_1362:
	s_mov_b32 s13, -1
.LBB368_1363:
	s_mov_b32 s14, 0
.LBB368_1364:
	s_delay_alu instid0(SALU_CYCLE_1)
	s_and_b32 vcc_lo, exec_lo, s14
	s_cbranch_vccz .LBB368_1395
; %bb.1365:
	v_cmp_lt_i16_e32 vcc_lo, 22, v5
	s_cbranch_vccz .LBB368_1373
; %bb.1366:
	v_cmp_gt_i16_e32 vcc_lo, 24, v5
	s_cbranch_vccnz .LBB368_1376
; %bb.1367:
	v_cmp_lt_i16_e32 vcc_lo, 24, v5
	s_cbranch_vccz .LBB368_1377
; %bb.1368:
	global_load_u8 v6, v[0:1], off
	s_mov_b32 s13, exec_lo
                                        ; implicit-def: $sgpr14
	s_waitcnt vmcnt(0)
	v_cmpx_lt_i16_e32 0x7f, v6
	s_xor_b32 s13, exec_lo, s13
	s_cbranch_execz .LBB368_1389
; %bb.1369:
	v_cmp_ne_u16_e32 vcc_lo, 0x80, v6
	s_mov_b32 s14, 0
	s_and_b32 s12, vcc_lo, exec_lo
	s_or_saveexec_b32 s13, s13
	v_mov_b32_e32 v8, s14
	s_xor_b32 exec_lo, exec_lo, s13
	s_cbranch_execnz .LBB368_1390
.LBB368_1370:
	s_or_b32 exec_lo, exec_lo, s13
	s_and_saveexec_b32 s13, s12
	s_cbranch_execz .LBB368_1372
.LBB368_1371:
	v_and_b32_e32 v7, 0xffff, v6
	v_lshlrev_b32_e32 v6, 24, v6
	s_delay_alu instid0(VALU_DEP_2) | instskip(NEXT) | instid1(VALU_DEP_2)
	v_and_b32_e32 v8, 3, v7
	v_and_b32_e32 v6, 0x80000000, v6
	s_delay_alu instid0(VALU_DEP_2) | instskip(NEXT) | instid1(VALU_DEP_1)
	v_clz_i32_u32_e32 v10, v8
	v_min_u32_e32 v10, 32, v10
	s_delay_alu instid0(VALU_DEP_1) | instskip(SKIP_1) | instid1(VALU_DEP_2)
	v_subrev_nc_u32_e32 v11, 29, v10
	v_sub_nc_u32_e32 v10, 30, v10
	v_lshlrev_b32_e32 v11, v11, v7
	v_bfe_u32 v7, v7, 2, 5
	s_delay_alu instid0(VALU_DEP_2) | instskip(NEXT) | instid1(VALU_DEP_2)
	v_and_b32_e32 v11, 3, v11
	v_cmp_eq_u32_e32 vcc_lo, 0, v7
	s_delay_alu instid0(VALU_DEP_2) | instskip(NEXT) | instid1(VALU_DEP_1)
	v_dual_cndmask_b32 v7, v7, v10 :: v_dual_cndmask_b32 v8, v8, v11
	v_lshl_add_u32 v7, v7, 23, 0x37800000
	s_delay_alu instid0(VALU_DEP_2) | instskip(NEXT) | instid1(VALU_DEP_1)
	v_lshlrev_b32_e32 v8, 21, v8
	v_or3_b32 v6, v6, v7, v8
	s_delay_alu instid0(VALU_DEP_1)
	v_cvt_i32_f32_e32 v8, v6
.LBB368_1372:
	s_or_b32 exec_lo, exec_lo, s13
	s_mov_b32 s12, 0
	s_branch .LBB368_1378
.LBB368_1373:
	s_mov_b32 s12, -1
                                        ; implicit-def: $vgpr8
	s_branch .LBB368_1384
.LBB368_1374:
	s_or_saveexec_b32 s14, s14
	v_mov_b32_e32 v8, s15
	s_xor_b32 exec_lo, exec_lo, s14
	s_cbranch_execz .LBB368_1359
.LBB368_1375:
	v_cmp_ne_u16_e32 vcc_lo, 0, v6
	v_mov_b32_e32 v8, 0
	s_and_not1_b32 s13, s13, exec_lo
	s_and_b32 s15, vcc_lo, exec_lo
	s_delay_alu instid0(SALU_CYCLE_1)
	s_or_b32 s13, s13, s15
	s_or_b32 exec_lo, exec_lo, s14
	s_and_saveexec_b32 s14, s13
	s_cbranch_execnz .LBB368_1360
	s_branch .LBB368_1361
.LBB368_1376:
	s_mov_b32 s12, -1
                                        ; implicit-def: $vgpr8
	s_branch .LBB368_1381
.LBB368_1377:
	s_mov_b32 s12, -1
                                        ; implicit-def: $vgpr8
.LBB368_1378:
	s_delay_alu instid0(SALU_CYCLE_1)
	s_and_b32 vcc_lo, exec_lo, s12
	s_cbranch_vccz .LBB368_1380
; %bb.1379:
	global_load_u8 v6, v[0:1], off
	s_waitcnt vmcnt(0)
	v_lshlrev_b32_e32 v6, 24, v6
	s_delay_alu instid0(VALU_DEP_1) | instskip(NEXT) | instid1(VALU_DEP_1)
	v_and_b32_e32 v7, 0x7f000000, v6
	v_clz_i32_u32_e32 v8, v7
	v_add_nc_u32_e32 v11, 0x1000000, v7
	v_cmp_ne_u32_e32 vcc_lo, 0, v7
	s_delay_alu instid0(VALU_DEP_3) | instskip(NEXT) | instid1(VALU_DEP_1)
	v_min_u32_e32 v8, 32, v8
	v_sub_nc_u32_e64 v8, v8, 4 clamp
	s_delay_alu instid0(VALU_DEP_1) | instskip(SKIP_1) | instid1(VALU_DEP_2)
	v_lshlrev_b32_e32 v10, v8, v7
	v_lshlrev_b32_e32 v8, 23, v8
	v_lshrrev_b32_e32 v10, 4, v10
	s_delay_alu instid0(VALU_DEP_1) | instskip(SKIP_1) | instid1(VALU_DEP_2)
	v_sub_nc_u32_e32 v8, v10, v8
	v_ashrrev_i32_e32 v10, 8, v11
	v_add_nc_u32_e32 v8, 0x3c000000, v8
	s_delay_alu instid0(VALU_DEP_1) | instskip(NEXT) | instid1(VALU_DEP_1)
	v_and_or_b32 v8, 0x7f800000, v10, v8
	v_cndmask_b32_e32 v7, 0, v8, vcc_lo
	s_delay_alu instid0(VALU_DEP_1) | instskip(NEXT) | instid1(VALU_DEP_1)
	v_and_or_b32 v6, 0x80000000, v6, v7
	v_cvt_i32_f32_e32 v8, v6
.LBB368_1380:
	s_mov_b32 s12, 0
.LBB368_1381:
	s_delay_alu instid0(SALU_CYCLE_1)
	s_and_not1_b32 vcc_lo, exec_lo, s12
	s_cbranch_vccnz .LBB368_1383
; %bb.1382:
	global_load_u8 v6, v[0:1], off
	s_waitcnt vmcnt(0)
	v_lshlrev_b32_e32 v7, 25, v6
	v_lshlrev_b16 v6, 8, v6
	s_delay_alu instid0(VALU_DEP_2) | instskip(NEXT) | instid1(VALU_DEP_2)
	v_lshrrev_b32_e32 v8, 4, v7
	v_and_or_b32 v10, 0x7f00, v6, 0.5
	v_bfe_i32 v6, v6, 0, 16
	s_delay_alu instid0(VALU_DEP_3) | instskip(NEXT) | instid1(VALU_DEP_3)
	v_or_b32_e32 v8, 0x70000000, v8
	v_add_f32_e32 v10, -0.5, v10
	s_delay_alu instid0(VALU_DEP_2) | instskip(SKIP_1) | instid1(VALU_DEP_2)
	v_mul_f32_e32 v8, 0x7800000, v8
	v_cmp_gt_u32_e32 vcc_lo, 0x8000000, v7
	v_cndmask_b32_e32 v7, v8, v10, vcc_lo
	s_delay_alu instid0(VALU_DEP_1) | instskip(NEXT) | instid1(VALU_DEP_1)
	v_and_or_b32 v6, 0x80000000, v6, v7
	v_cvt_i32_f32_e32 v8, v6
.LBB368_1383:
	s_mov_b32 s12, 0
	s_mov_b32 s13, -1
.LBB368_1384:
	s_and_not1_b32 vcc_lo, exec_lo, s12
	s_mov_b32 s12, 0
	s_cbranch_vccnz .LBB368_1395
; %bb.1385:
	v_cmp_lt_i16_e32 vcc_lo, 14, v5
	s_cbranch_vccz .LBB368_1388
; %bb.1386:
	v_cmp_eq_u16_e32 vcc_lo, 15, v5
	s_cbranch_vccz .LBB368_1391
; %bb.1387:
	global_load_u16 v6, v[0:1], off
	s_mov_b32 s0, 0
	s_mov_b32 s13, -1
	s_waitcnt vmcnt(0)
	v_lshlrev_b32_e32 v6, 16, v6
	s_delay_alu instid0(VALU_DEP_1)
	v_cvt_i32_f32_e32 v8, v6
	s_branch .LBB368_1393
.LBB368_1388:
	s_mov_b32 s12, -1
	s_branch .LBB368_1392
.LBB368_1389:
	s_or_saveexec_b32 s13, s13
	v_mov_b32_e32 v8, s14
	s_xor_b32 exec_lo, exec_lo, s13
	s_cbranch_execz .LBB368_1370
.LBB368_1390:
	v_cmp_ne_u16_e32 vcc_lo, 0, v6
	v_mov_b32_e32 v8, 0
	s_and_not1_b32 s12, s12, exec_lo
	s_and_b32 s14, vcc_lo, exec_lo
	s_delay_alu instid0(SALU_CYCLE_1)
	s_or_b32 s12, s12, s14
	s_or_b32 exec_lo, exec_lo, s13
	s_and_saveexec_b32 s13, s12
	s_cbranch_execnz .LBB368_1371
	s_branch .LBB368_1372
.LBB368_1391:
	s_mov_b32 s0, -1
.LBB368_1392:
                                        ; implicit-def: $vgpr8
.LBB368_1393:
	s_and_b32 vcc_lo, exec_lo, s12
	s_mov_b32 s12, 0
	s_cbranch_vccz .LBB368_1395
; %bb.1394:
	v_cmp_ne_u16_e64 s0, 11, v5
	s_mov_b32 s12, -1
                                        ; implicit-def: $vgpr8
.LBB368_1395:
	s_delay_alu instid0(VALU_DEP_1)
	s_and_b32 vcc_lo, exec_lo, s0
	s_cbranch_vccnz .LBB368_1411
; %bb.1396:
	s_and_not1_b32 vcc_lo, exec_lo, s12
	s_cbranch_vccnz .LBB368_1398
.LBB368_1397:
	global_load_u8 v6, v[0:1], off
	s_mov_b32 s13, -1
	s_waitcnt vmcnt(0)
	v_cmp_ne_u16_e32 vcc_lo, 0, v6
	v_cndmask_b32_e64 v8, 0, 1, vcc_lo
.LBB368_1398:
.LBB368_1399:
	s_and_not1_b32 vcc_lo, exec_lo, s13
	s_cbranch_vccnz .LBB368_1963
.LBB368_1400:
	v_add_nc_u32_e32 v0, s9, v3
	v_cmp_gt_i16_e32 vcc_lo, 11, v5
	s_delay_alu instid0(VALU_DEP_2) | instskip(SKIP_1) | instid1(VALU_DEP_1)
	v_ashrrev_i32_e32 v1, 31, v0
	v_add_co_u32 v0, s0, s6, v0
	v_add_co_ci_u32_e64 v1, s0, s7, v1, s0
	s_cbranch_vccnz .LBB368_1407
; %bb.1401:
	v_cmp_lt_i16_e32 vcc_lo, 25, v5
	s_mov_b32 s6, 0
	s_cbranch_vccz .LBB368_1408
; %bb.1402:
	v_cmp_lt_i16_e32 vcc_lo, 28, v5
	s_cbranch_vccz .LBB368_1409
; %bb.1403:
	v_cmp_lt_i16_e32 vcc_lo, 43, v5
	;; [unrolled: 3-line block ×3, first 2 shown]
	s_cbranch_vccz .LBB368_1413
; %bb.1405:
	v_cmp_eq_u16_e32 vcc_lo, 46, v5
	s_mov_b32 s9, 0
	s_cbranch_vccz .LBB368_1416
; %bb.1406:
	global_load_b32 v3, v[0:1], off
	s_mov_b32 s0, 0
	s_mov_b32 s7, -1
	s_waitcnt vmcnt(0)
	v_lshlrev_b32_e32 v3, 16, v3
	s_delay_alu instid0(VALU_DEP_1)
	v_cvt_i32_f32_e32 v7, v3
	s_branch .LBB368_1418
.LBB368_1407:
	s_mov_b32 s0, -1
	s_mov_b32 s7, 0
                                        ; implicit-def: $vgpr7
	s_branch .LBB368_1480
.LBB368_1408:
	s_mov_b32 s9, -1
	s_mov_b32 s7, 0
	s_mov_b32 s0, 0
                                        ; implicit-def: $vgpr7
	s_branch .LBB368_1445
.LBB368_1409:
	s_mov_b32 s9, -1
	s_mov_b32 s7, 0
	s_mov_b32 s0, 0
                                        ; implicit-def: $vgpr7
	s_branch .LBB368_1428
.LBB368_1410:
	s_mov_b32 s9, -1
	s_mov_b32 s7, 0
	s_mov_b32 s0, 0
                                        ; implicit-def: $vgpr7
	s_branch .LBB368_1423
.LBB368_1411:
	s_cbranch_execnz .LBB368_1414
; %bb.1412:
	s_or_b32 s1, s1, exec_lo
                                        ; implicit-def: $vgpr8
	s_cbranch_execz .LBB368_1397
	s_branch .LBB368_1398
.LBB368_1413:
	s_mov_b32 s9, -1
	s_mov_b32 s7, 0
	s_mov_b32 s0, 0
	s_branch .LBB368_1417
.LBB368_1414:
	s_trap 2
	s_sendmsg_rtn_b32 s0, sendmsg(MSG_RTN_GET_DOORBELL)
	s_mov_b32 ttmp2, m0
	s_waitcnt lgkmcnt(0)
	s_and_b32 s0, s0, 0x3ff
	s_delay_alu instid0(SALU_CYCLE_1) | instskip(NEXT) | instid1(SALU_CYCLE_1)
	s_bitset1_b32 s0, 10
	s_mov_b32 m0, s0
	s_sendmsg sendmsg(MSG_INTERRUPT)
	s_mov_b32 m0, ttmp2
.LBB368_1415:                           ; =>This Inner Loop Header: Depth=1
	s_sethalt 5
	s_branch .LBB368_1415
.LBB368_1416:
	s_mov_b32 s0, -1
	s_mov_b32 s7, 0
.LBB368_1417:
                                        ; implicit-def: $vgpr7
.LBB368_1418:
	s_and_b32 vcc_lo, exec_lo, s9
	s_cbranch_vccz .LBB368_1422
; %bb.1419:
	v_cmp_eq_u16_e32 vcc_lo, 44, v5
	s_cbranch_vccz .LBB368_1421
; %bb.1420:
	global_load_u8 v3, v[0:1], off
	s_mov_b32 s0, 0
	s_mov_b32 s7, -1
	s_waitcnt vmcnt(0)
	v_lshlrev_b32_e32 v6, 23, v3
	v_cmp_ne_u32_e32 vcc_lo, 0, v3
	s_delay_alu instid0(VALU_DEP_2) | instskip(NEXT) | instid1(VALU_DEP_1)
	v_cvt_i32_f32_e32 v6, v6
	v_cndmask_b32_e32 v7, 0, v6, vcc_lo
	s_branch .LBB368_1422
.LBB368_1421:
	s_mov_b32 s0, -1
                                        ; implicit-def: $vgpr7
.LBB368_1422:
	s_mov_b32 s9, 0
.LBB368_1423:
	s_delay_alu instid0(SALU_CYCLE_1)
	s_and_b32 vcc_lo, exec_lo, s9
	s_cbranch_vccz .LBB368_1427
; %bb.1424:
	v_cmp_eq_u16_e32 vcc_lo, 29, v5
	s_cbranch_vccz .LBB368_1426
; %bb.1425:
	global_load_b32 v7, v[0:1], off
	s_mov_b32 s0, 0
	s_mov_b32 s7, -1
	s_branch .LBB368_1427
.LBB368_1426:
	s_mov_b32 s0, -1
                                        ; implicit-def: $vgpr7
.LBB368_1427:
	s_mov_b32 s9, 0
.LBB368_1428:
	s_delay_alu instid0(SALU_CYCLE_1)
	s_and_b32 vcc_lo, exec_lo, s9
	s_cbranch_vccz .LBB368_1444
; %bb.1429:
	v_cmp_gt_i16_e32 vcc_lo, 27, v5
	s_cbranch_vccnz .LBB368_1432
; %bb.1430:
	v_cmp_lt_i16_e32 vcc_lo, 27, v5
	s_cbranch_vccz .LBB368_1433
; %bb.1431:
	global_load_b32 v7, v[0:1], off
	s_mov_b32 s7, 0
	s_branch .LBB368_1434
.LBB368_1432:
	s_mov_b32 s7, -1
                                        ; implicit-def: $vgpr7
	s_branch .LBB368_1437
.LBB368_1433:
	s_mov_b32 s7, -1
                                        ; implicit-def: $vgpr7
.LBB368_1434:
	s_delay_alu instid0(SALU_CYCLE_1)
	s_and_not1_b32 vcc_lo, exec_lo, s7
	s_cbranch_vccnz .LBB368_1436
; %bb.1435:
	global_load_u16 v7, v[0:1], off
.LBB368_1436:
	s_mov_b32 s7, 0
.LBB368_1437:
	s_delay_alu instid0(SALU_CYCLE_1)
	s_and_not1_b32 vcc_lo, exec_lo, s7
	s_cbranch_vccnz .LBB368_1443
; %bb.1438:
	global_load_u8 v3, v[0:1], off
	s_mov_b32 s7, 0
	s_mov_b32 s9, exec_lo
                                        ; implicit-def: $sgpr12
	s_waitcnt vmcnt(0)
	v_cmpx_lt_i16_e32 0x7f, v3
	s_xor_b32 s9, exec_lo, s9
	s_cbranch_execz .LBB368_1455
; %bb.1439:
	v_cmp_ne_u16_e32 vcc_lo, 0x80, v3
	s_mov_b32 s12, 0
	s_and_b32 s7, vcc_lo, exec_lo
	s_or_saveexec_b32 s9, s9
	v_mov_b32_e32 v7, s12
	s_xor_b32 exec_lo, exec_lo, s9
	s_cbranch_execnz .LBB368_1456
.LBB368_1440:
	s_or_b32 exec_lo, exec_lo, s9
	s_and_saveexec_b32 s9, s7
	s_cbranch_execz .LBB368_1442
.LBB368_1441:
	v_and_b32_e32 v6, 0xffff, v3
	v_lshlrev_b32_e32 v3, 24, v3
	s_delay_alu instid0(VALU_DEP_2) | instskip(NEXT) | instid1(VALU_DEP_2)
	v_and_b32_e32 v7, 7, v6
	v_and_b32_e32 v3, 0x80000000, v3
	s_delay_alu instid0(VALU_DEP_2) | instskip(NEXT) | instid1(VALU_DEP_1)
	v_clz_i32_u32_e32 v10, v7
	v_min_u32_e32 v10, 32, v10
	s_delay_alu instid0(VALU_DEP_1) | instskip(SKIP_1) | instid1(VALU_DEP_2)
	v_subrev_nc_u32_e32 v11, 28, v10
	v_sub_nc_u32_e32 v10, 29, v10
	v_lshlrev_b32_e32 v11, v11, v6
	v_bfe_u32 v6, v6, 3, 4
	s_delay_alu instid0(VALU_DEP_1) | instskip(NEXT) | instid1(VALU_DEP_3)
	v_cmp_eq_u32_e32 vcc_lo, 0, v6
	v_dual_cndmask_b32 v6, v6, v10 :: v_dual_and_b32 v11, 7, v11
	s_delay_alu instid0(VALU_DEP_1) | instskip(NEXT) | instid1(VALU_DEP_2)
	v_cndmask_b32_e32 v7, v7, v11, vcc_lo
	v_lshl_add_u32 v6, v6, 23, 0x3b800000
	s_delay_alu instid0(VALU_DEP_2) | instskip(NEXT) | instid1(VALU_DEP_1)
	v_lshlrev_b32_e32 v7, 20, v7
	v_or3_b32 v3, v3, v6, v7
	s_delay_alu instid0(VALU_DEP_1)
	v_cvt_i32_f32_e32 v7, v3
.LBB368_1442:
	s_or_b32 exec_lo, exec_lo, s9
.LBB368_1443:
	s_mov_b32 s7, -1
.LBB368_1444:
	s_mov_b32 s9, 0
.LBB368_1445:
	s_delay_alu instid0(SALU_CYCLE_1)
	s_and_b32 vcc_lo, exec_lo, s9
	s_cbranch_vccz .LBB368_1476
; %bb.1446:
	v_cmp_lt_i16_e32 vcc_lo, 22, v5
	s_cbranch_vccz .LBB368_1454
; %bb.1447:
	v_cmp_gt_i16_e32 vcc_lo, 24, v5
	s_cbranch_vccnz .LBB368_1457
; %bb.1448:
	v_cmp_lt_i16_e32 vcc_lo, 24, v5
	s_cbranch_vccz .LBB368_1458
; %bb.1449:
	global_load_u8 v3, v[0:1], off
	s_mov_b32 s7, exec_lo
                                        ; implicit-def: $sgpr9
	s_waitcnt vmcnt(0)
	v_cmpx_lt_i16_e32 0x7f, v3
	s_xor_b32 s7, exec_lo, s7
	s_cbranch_execz .LBB368_1470
; %bb.1450:
	v_cmp_ne_u16_e32 vcc_lo, 0x80, v3
	s_mov_b32 s9, 0
	s_and_b32 s6, vcc_lo, exec_lo
	s_or_saveexec_b32 s7, s7
	v_mov_b32_e32 v7, s9
	s_xor_b32 exec_lo, exec_lo, s7
	s_cbranch_execnz .LBB368_1471
.LBB368_1451:
	s_or_b32 exec_lo, exec_lo, s7
	s_and_saveexec_b32 s7, s6
	s_cbranch_execz .LBB368_1453
.LBB368_1452:
	v_and_b32_e32 v6, 0xffff, v3
	v_lshlrev_b32_e32 v3, 24, v3
	s_delay_alu instid0(VALU_DEP_2) | instskip(NEXT) | instid1(VALU_DEP_2)
	v_and_b32_e32 v7, 3, v6
	v_and_b32_e32 v3, 0x80000000, v3
	s_delay_alu instid0(VALU_DEP_2) | instskip(NEXT) | instid1(VALU_DEP_1)
	v_clz_i32_u32_e32 v10, v7
	v_min_u32_e32 v10, 32, v10
	s_delay_alu instid0(VALU_DEP_1) | instskip(SKIP_1) | instid1(VALU_DEP_2)
	v_subrev_nc_u32_e32 v11, 29, v10
	v_sub_nc_u32_e32 v10, 30, v10
	v_lshlrev_b32_e32 v11, v11, v6
	v_bfe_u32 v6, v6, 2, 5
	s_delay_alu instid0(VALU_DEP_1) | instskip(NEXT) | instid1(VALU_DEP_3)
	v_cmp_eq_u32_e32 vcc_lo, 0, v6
	v_dual_cndmask_b32 v6, v6, v10 :: v_dual_and_b32 v11, 3, v11
	s_delay_alu instid0(VALU_DEP_1) | instskip(NEXT) | instid1(VALU_DEP_2)
	v_cndmask_b32_e32 v7, v7, v11, vcc_lo
	v_lshl_add_u32 v6, v6, 23, 0x37800000
	s_delay_alu instid0(VALU_DEP_2) | instskip(NEXT) | instid1(VALU_DEP_1)
	v_lshlrev_b32_e32 v7, 21, v7
	v_or3_b32 v3, v3, v6, v7
	s_delay_alu instid0(VALU_DEP_1)
	v_cvt_i32_f32_e32 v7, v3
.LBB368_1453:
	s_or_b32 exec_lo, exec_lo, s7
	s_mov_b32 s6, 0
	s_branch .LBB368_1459
.LBB368_1454:
	s_mov_b32 s6, -1
                                        ; implicit-def: $vgpr7
	s_branch .LBB368_1465
.LBB368_1455:
	s_or_saveexec_b32 s9, s9
	v_mov_b32_e32 v7, s12
	s_xor_b32 exec_lo, exec_lo, s9
	s_cbranch_execz .LBB368_1440
.LBB368_1456:
	v_cmp_ne_u16_e32 vcc_lo, 0, v3
	v_mov_b32_e32 v7, 0
	s_and_not1_b32 s7, s7, exec_lo
	s_and_b32 s12, vcc_lo, exec_lo
	s_delay_alu instid0(SALU_CYCLE_1)
	s_or_b32 s7, s7, s12
	s_or_b32 exec_lo, exec_lo, s9
	s_and_saveexec_b32 s9, s7
	s_cbranch_execnz .LBB368_1441
	s_branch .LBB368_1442
.LBB368_1457:
	s_mov_b32 s6, -1
                                        ; implicit-def: $vgpr7
	s_branch .LBB368_1462
.LBB368_1458:
	s_mov_b32 s6, -1
                                        ; implicit-def: $vgpr7
.LBB368_1459:
	s_delay_alu instid0(SALU_CYCLE_1)
	s_and_b32 vcc_lo, exec_lo, s6
	s_cbranch_vccz .LBB368_1461
; %bb.1460:
	global_load_u8 v3, v[0:1], off
	s_waitcnt vmcnt(0)
	v_lshlrev_b32_e32 v3, 24, v3
	s_delay_alu instid0(VALU_DEP_1) | instskip(NEXT) | instid1(VALU_DEP_1)
	v_and_b32_e32 v6, 0x7f000000, v3
	v_clz_i32_u32_e32 v7, v6
	v_cmp_ne_u32_e32 vcc_lo, 0, v6
	v_add_nc_u32_e32 v11, 0x1000000, v6
	s_delay_alu instid0(VALU_DEP_3) | instskip(NEXT) | instid1(VALU_DEP_1)
	v_min_u32_e32 v7, 32, v7
	v_sub_nc_u32_e64 v7, v7, 4 clamp
	s_delay_alu instid0(VALU_DEP_1) | instskip(SKIP_1) | instid1(VALU_DEP_2)
	v_lshlrev_b32_e32 v10, v7, v6
	v_lshlrev_b32_e32 v7, 23, v7
	v_lshrrev_b32_e32 v10, 4, v10
	s_delay_alu instid0(VALU_DEP_1) | instskip(SKIP_1) | instid1(VALU_DEP_2)
	v_sub_nc_u32_e32 v7, v10, v7
	v_ashrrev_i32_e32 v10, 8, v11
	v_add_nc_u32_e32 v7, 0x3c000000, v7
	s_delay_alu instid0(VALU_DEP_1) | instskip(NEXT) | instid1(VALU_DEP_1)
	v_and_or_b32 v7, 0x7f800000, v10, v7
	v_cndmask_b32_e32 v6, 0, v7, vcc_lo
	s_delay_alu instid0(VALU_DEP_1) | instskip(NEXT) | instid1(VALU_DEP_1)
	v_and_or_b32 v3, 0x80000000, v3, v6
	v_cvt_i32_f32_e32 v7, v3
.LBB368_1461:
	s_mov_b32 s6, 0
.LBB368_1462:
	s_delay_alu instid0(SALU_CYCLE_1)
	s_and_not1_b32 vcc_lo, exec_lo, s6
	s_cbranch_vccnz .LBB368_1464
; %bb.1463:
	global_load_u8 v3, v[0:1], off
	s_waitcnt vmcnt(0)
	v_lshlrev_b32_e32 v6, 25, v3
	v_lshlrev_b16 v3, 8, v3
	s_delay_alu instid0(VALU_DEP_2) | instskip(NEXT) | instid1(VALU_DEP_2)
	v_lshrrev_b32_e32 v7, 4, v6
	v_and_or_b32 v10, 0x7f00, v3, 0.5
	v_cmp_gt_u32_e32 vcc_lo, 0x8000000, v6
	v_bfe_i32 v3, v3, 0, 16
	s_delay_alu instid0(VALU_DEP_4) | instskip(NEXT) | instid1(VALU_DEP_1)
	v_or_b32_e32 v7, 0x70000000, v7
	v_dual_add_f32 v10, -0.5, v10 :: v_dual_mul_f32 v7, 0x7800000, v7
	s_delay_alu instid0(VALU_DEP_1) | instskip(NEXT) | instid1(VALU_DEP_1)
	v_cndmask_b32_e32 v6, v7, v10, vcc_lo
	v_and_or_b32 v3, 0x80000000, v3, v6
	s_delay_alu instid0(VALU_DEP_1)
	v_cvt_i32_f32_e32 v7, v3
.LBB368_1464:
	s_mov_b32 s6, 0
	s_mov_b32 s7, -1
.LBB368_1465:
	s_and_not1_b32 vcc_lo, exec_lo, s6
	s_mov_b32 s6, 0
	s_cbranch_vccnz .LBB368_1476
; %bb.1466:
	v_cmp_lt_i16_e32 vcc_lo, 14, v5
	s_cbranch_vccz .LBB368_1469
; %bb.1467:
	v_cmp_eq_u16_e32 vcc_lo, 15, v5
	s_cbranch_vccz .LBB368_1472
; %bb.1468:
	global_load_u16 v3, v[0:1], off
	s_mov_b32 s0, 0
	s_mov_b32 s7, -1
	s_waitcnt vmcnt(0)
	v_lshlrev_b32_e32 v3, 16, v3
	s_delay_alu instid0(VALU_DEP_1)
	v_cvt_i32_f32_e32 v7, v3
	s_branch .LBB368_1474
.LBB368_1469:
	s_mov_b32 s6, -1
	s_branch .LBB368_1473
.LBB368_1470:
	s_or_saveexec_b32 s7, s7
	v_mov_b32_e32 v7, s9
	s_xor_b32 exec_lo, exec_lo, s7
	s_cbranch_execz .LBB368_1451
.LBB368_1471:
	v_cmp_ne_u16_e32 vcc_lo, 0, v3
	v_mov_b32_e32 v7, 0
	s_and_not1_b32 s6, s6, exec_lo
	s_and_b32 s9, vcc_lo, exec_lo
	s_delay_alu instid0(SALU_CYCLE_1)
	s_or_b32 s6, s6, s9
	s_or_b32 exec_lo, exec_lo, s7
	s_and_saveexec_b32 s7, s6
	s_cbranch_execnz .LBB368_1452
	s_branch .LBB368_1453
.LBB368_1472:
	s_mov_b32 s0, -1
.LBB368_1473:
                                        ; implicit-def: $vgpr7
.LBB368_1474:
	s_and_b32 vcc_lo, exec_lo, s6
	s_mov_b32 s6, 0
	s_cbranch_vccz .LBB368_1476
; %bb.1475:
	v_cmp_ne_u16_e64 s0, 11, v5
	s_mov_b32 s6, -1
                                        ; implicit-def: $vgpr7
.LBB368_1476:
	s_delay_alu instid0(VALU_DEP_1)
	s_and_b32 vcc_lo, exec_lo, s0
	s_cbranch_vccnz .LBB368_2009
; %bb.1477:
	s_and_not1_b32 vcc_lo, exec_lo, s6
	s_cbranch_vccnz .LBB368_1479
.LBB368_1478:
	global_load_u8 v3, v[0:1], off
	s_mov_b32 s7, -1
	s_waitcnt vmcnt(0)
	v_cmp_ne_u16_e32 vcc_lo, 0, v3
	v_cndmask_b32_e64 v7, 0, 1, vcc_lo
.LBB368_1479:
	s_mov_b32 s0, 0
.LBB368_1480:
	s_delay_alu instid0(SALU_CYCLE_1)
	s_and_b32 vcc_lo, exec_lo, s0
	s_cbranch_vccz .LBB368_1529
; %bb.1481:
	v_cmp_gt_i16_e32 vcc_lo, 5, v5
	s_cbranch_vccnz .LBB368_1486
; %bb.1482:
	v_cmp_gt_i16_e32 vcc_lo, 8, v5
	s_cbranch_vccnz .LBB368_1487
; %bb.1483:
	v_cmp_gt_i16_e32 vcc_lo, 9, v5
	s_cbranch_vccnz .LBB368_1488
; %bb.1484:
	v_cmp_lt_i16_e32 vcc_lo, 9, v5
	s_cbranch_vccz .LBB368_1489
; %bb.1485:
	global_load_b64 v[6:7], v[0:1], off
	s_mov_b32 s0, 0
	s_waitcnt vmcnt(0)
	v_cvt_i32_f64_e32 v7, v[6:7]
	s_branch .LBB368_1490
.LBB368_1486:
	s_mov_b32 s0, -1
                                        ; implicit-def: $vgpr7
	s_branch .LBB368_1508
.LBB368_1487:
	s_mov_b32 s0, -1
                                        ; implicit-def: $vgpr7
	s_branch .LBB368_1496
.LBB368_1488:
	s_mov_b32 s0, -1
                                        ; implicit-def: $vgpr7
	s_branch .LBB368_1493
.LBB368_1489:
	s_mov_b32 s0, -1
                                        ; implicit-def: $vgpr7
.LBB368_1490:
	s_delay_alu instid0(SALU_CYCLE_1)
	s_and_not1_b32 vcc_lo, exec_lo, s0
	s_cbranch_vccnz .LBB368_1492
; %bb.1491:
	global_load_b32 v3, v[0:1], off
	s_waitcnt vmcnt(0)
	v_cvt_i32_f32_e32 v7, v3
.LBB368_1492:
	s_mov_b32 s0, 0
.LBB368_1493:
	s_delay_alu instid0(SALU_CYCLE_1)
	s_and_not1_b32 vcc_lo, exec_lo, s0
	s_cbranch_vccnz .LBB368_1495
; %bb.1494:
	global_load_b32 v3, v[0:1], off
	s_waitcnt vmcnt(0)
	v_cvt_f32_f16_e32 v3, v3
	s_delay_alu instid0(VALU_DEP_1)
	v_cvt_i32_f32_e32 v7, v3
.LBB368_1495:
	s_mov_b32 s0, 0
.LBB368_1496:
	s_delay_alu instid0(SALU_CYCLE_1)
	s_and_not1_b32 vcc_lo, exec_lo, s0
	s_cbranch_vccnz .LBB368_1507
; %bb.1497:
	v_cmp_gt_i16_e32 vcc_lo, 6, v5
	s_cbranch_vccnz .LBB368_1500
; %bb.1498:
	v_cmp_lt_i16_e32 vcc_lo, 6, v5
	s_cbranch_vccz .LBB368_1501
; %bb.1499:
	global_load_b64 v[6:7], v[0:1], off
	s_mov_b32 s0, 0
	s_waitcnt vmcnt(0)
	v_cvt_i32_f64_e32 v7, v[6:7]
	s_branch .LBB368_1502
.LBB368_1500:
	s_mov_b32 s0, -1
                                        ; implicit-def: $vgpr7
	s_branch .LBB368_1505
.LBB368_1501:
	s_mov_b32 s0, -1
                                        ; implicit-def: $vgpr7
.LBB368_1502:
	s_delay_alu instid0(SALU_CYCLE_1)
	s_and_not1_b32 vcc_lo, exec_lo, s0
	s_cbranch_vccnz .LBB368_1504
; %bb.1503:
	global_load_b32 v3, v[0:1], off
	s_waitcnt vmcnt(0)
	v_cvt_i32_f32_e32 v7, v3
.LBB368_1504:
	s_mov_b32 s0, 0
.LBB368_1505:
	s_delay_alu instid0(SALU_CYCLE_1)
	s_and_not1_b32 vcc_lo, exec_lo, s0
	s_cbranch_vccnz .LBB368_1507
; %bb.1506:
	global_load_u16 v3, v[0:1], off
	s_waitcnt vmcnt(0)
	v_cvt_f32_f16_e32 v3, v3
	s_delay_alu instid0(VALU_DEP_1)
	v_cvt_i32_f32_e32 v7, v3
.LBB368_1507:
	s_mov_b32 s0, 0
.LBB368_1508:
	s_delay_alu instid0(SALU_CYCLE_1)
	s_and_not1_b32 vcc_lo, exec_lo, s0
	s_cbranch_vccnz .LBB368_1528
; %bb.1509:
	v_cmp_gt_i16_e32 vcc_lo, 2, v5
	s_cbranch_vccnz .LBB368_1513
; %bb.1510:
	v_cmp_gt_i16_e32 vcc_lo, 3, v5
	s_cbranch_vccnz .LBB368_1514
; %bb.1511:
	v_cmp_lt_i16_e32 vcc_lo, 3, v5
	s_cbranch_vccz .LBB368_1515
; %bb.1512:
	global_load_b32 v7, v[0:1], off
	s_mov_b32 s0, 0
	s_branch .LBB368_1516
.LBB368_1513:
	s_mov_b32 s0, -1
                                        ; implicit-def: $vgpr7
	s_branch .LBB368_1522
.LBB368_1514:
	s_mov_b32 s0, -1
                                        ; implicit-def: $vgpr7
	s_branch .LBB368_1519
.LBB368_1515:
	s_mov_b32 s0, -1
                                        ; implicit-def: $vgpr7
.LBB368_1516:
	s_delay_alu instid0(SALU_CYCLE_1)
	s_and_not1_b32 vcc_lo, exec_lo, s0
	s_cbranch_vccnz .LBB368_1518
; %bb.1517:
	global_load_b32 v7, v[0:1], off
.LBB368_1518:
	s_mov_b32 s0, 0
.LBB368_1519:
	s_delay_alu instid0(SALU_CYCLE_1)
	s_and_not1_b32 vcc_lo, exec_lo, s0
	s_cbranch_vccnz .LBB368_1521
; %bb.1520:
	global_load_i16 v7, v[0:1], off
.LBB368_1521:
	s_mov_b32 s0, 0
.LBB368_1522:
	s_delay_alu instid0(SALU_CYCLE_1)
	s_and_not1_b32 vcc_lo, exec_lo, s0
	s_cbranch_vccnz .LBB368_1528
; %bb.1523:
	v_cmp_lt_i16_e32 vcc_lo, 0, v5
	s_mov_b32 s0, 0
	s_cbranch_vccz .LBB368_1525
; %bb.1524:
	global_load_i8 v7, v[0:1], off
	s_branch .LBB368_1526
.LBB368_1525:
	s_mov_b32 s0, -1
                                        ; implicit-def: $vgpr7
.LBB368_1526:
	s_delay_alu instid0(SALU_CYCLE_1)
	s_and_not1_b32 vcc_lo, exec_lo, s0
	s_cbranch_vccnz .LBB368_1528
; %bb.1527:
	global_load_u8 v7, v[0:1], off
.LBB368_1528:
	s_mov_b32 s7, -1
.LBB368_1529:
	s_delay_alu instid0(SALU_CYCLE_1)
	s_and_not1_b32 vcc_lo, exec_lo, s7
	s_cbranch_vccnz .LBB368_1963
; %bb.1530:
	v_mul_lo_u32 v4, s8, v4
	s_waitcnt vmcnt(0)
	v_and_b32_e64 v6, 0xff, s2
	v_max_i32_e32 v0, s10, v2
	s_delay_alu instid0(VALU_DEP_2) | instskip(NEXT) | instid1(VALU_DEP_4)
	v_cmp_gt_i16_e32 vcc_lo, 11, v6
	v_ashrrev_i32_e32 v1, 31, v4
	v_add_co_u32 v2, s0, s4, v4
	s_delay_alu instid0(VALU_DEP_1)
	v_add_co_ci_u32_e64 v3, s0, s5, v1, s0
	s_cbranch_vccnz .LBB368_1608
; %bb.1531:
	v_cmp_lt_i16_e32 vcc_lo, 25, v6
	s_mov_b32 s7, -1
	s_mov_b32 s2, 0
	s_mov_b32 s6, 0
	;; [unrolled: 1-line block ×3, first 2 shown]
	s_cbranch_vccz .LBB368_1564
; %bb.1532:
	v_cmp_lt_i16_e32 vcc_lo, 28, v6
	s_cbranch_vccz .LBB368_1547
; %bb.1533:
	v_cmp_lt_i16_e32 vcc_lo, 43, v6
	;; [unrolled: 3-line block ×3, first 2 shown]
	s_cbranch_vccz .LBB368_1537
; %bb.1535:
	v_cmp_eq_u16_e32 vcc_lo, 46, v6
	s_mov_b32 s0, -1
	s_mov_b32 s7, 0
	s_cbranch_vccz .LBB368_1537
; %bb.1536:
	v_cvt_f32_i32_e32 v1, v0
	s_mov_b32 s0, 0
	s_mov_b32 s6, -1
	s_delay_alu instid0(VALU_DEP_1) | instskip(NEXT) | instid1(VALU_DEP_1)
	v_bfe_u32 v5, v1, 16, 1
	v_add3_u32 v1, v1, v5, 0x7fff
	s_delay_alu instid0(VALU_DEP_1)
	v_lshrrev_b32_e32 v1, 16, v1
	global_store_b32 v[2:3], v1, off
.LBB368_1537:
	s_and_b32 vcc_lo, exec_lo, s7
	s_cbranch_vccz .LBB368_1542
; %bb.1538:
	v_cmp_eq_u16_e32 vcc_lo, 44, v6
	s_mov_b32 s0, -1
	s_cbranch_vccz .LBB368_1542
; %bb.1539:
	v_cvt_f32_i32_e32 v1, v0
	v_mov_b32_e32 v5, 0xff
	s_mov_b32 s6, exec_lo
	s_delay_alu instid0(VALU_DEP_2) | instskip(NEXT) | instid1(VALU_DEP_1)
	v_bfe_u32 v10, v1, 23, 8
	v_cmpx_ne_u32_e32 0xff, v10
; %bb.1540:
	v_and_b32_e32 v5, 0x400000, v1
	v_and_or_b32 v10, 0x3fffff, v1, v10
	v_lshrrev_b32_e32 v1, 23, v1
	s_delay_alu instid0(VALU_DEP_3) | instskip(NEXT) | instid1(VALU_DEP_3)
	v_cmp_ne_u32_e32 vcc_lo, 0, v5
	v_cmp_ne_u32_e64 s0, 0, v10
	s_delay_alu instid0(VALU_DEP_1) | instskip(NEXT) | instid1(SALU_CYCLE_1)
	s_and_b32 s0, vcc_lo, s0
	v_cndmask_b32_e64 v5, 0, 1, s0
	s_delay_alu instid0(VALU_DEP_1)
	v_add_nc_u32_e32 v5, v1, v5
; %bb.1541:
	s_or_b32 exec_lo, exec_lo, s6
	s_mov_b32 s0, 0
	s_mov_b32 s6, -1
	global_store_b8 v[2:3], v5, off
.LBB368_1542:
	s_mov_b32 s7, 0
.LBB368_1543:
	s_delay_alu instid0(SALU_CYCLE_1)
	s_and_b32 vcc_lo, exec_lo, s7
	s_cbranch_vccz .LBB368_1546
; %bb.1544:
	v_cmp_eq_u16_e32 vcc_lo, 29, v6
	s_mov_b32 s0, -1
	s_cbranch_vccz .LBB368_1546
; %bb.1545:
	v_ashrrev_i32_e32 v1, 31, v0
	s_mov_b32 s0, 0
	s_mov_b32 s6, -1
	global_store_b64 v[2:3], v[0:1], off
.LBB368_1546:
	s_mov_b32 s7, 0
.LBB368_1547:
	s_delay_alu instid0(SALU_CYCLE_1)
	s_and_b32 vcc_lo, exec_lo, s7
	s_cbranch_vccz .LBB368_1563
; %bb.1548:
	v_cmp_gt_i16_e32 vcc_lo, 27, v6
	s_mov_b32 s6, -1
	s_cbranch_vccnz .LBB368_1554
; %bb.1549:
	v_cmp_lt_i16_e32 vcc_lo, 27, v6
	s_cbranch_vccz .LBB368_1551
; %bb.1550:
	s_mov_b32 s6, 0
	global_store_b32 v[2:3], v0, off
.LBB368_1551:
	s_and_not1_b32 vcc_lo, exec_lo, s6
	s_cbranch_vccnz .LBB368_1553
; %bb.1552:
	global_store_b16 v[2:3], v0, off
.LBB368_1553:
	s_mov_b32 s6, 0
.LBB368_1554:
	s_delay_alu instid0(SALU_CYCLE_1)
	s_and_not1_b32 vcc_lo, exec_lo, s6
	s_cbranch_vccnz .LBB368_1562
; %bb.1555:
	v_cvt_f32_i32_e32 v1, v0
	v_mov_b32_e32 v10, 0x80
	s_mov_b32 s6, exec_lo
	s_delay_alu instid0(VALU_DEP_2) | instskip(NEXT) | instid1(VALU_DEP_1)
	v_and_b32_e32 v5, 0x7fffffff, v1
	v_cmpx_gt_u32_e32 0x43800000, v5
	s_cbranch_execz .LBB368_1561
; %bb.1556:
	v_cmp_lt_u32_e32 vcc_lo, 0x3bffffff, v5
	s_mov_b32 s7, 0
                                        ; implicit-def: $vgpr5
	s_and_saveexec_b32 s9, vcc_lo
	s_delay_alu instid0(SALU_CYCLE_1)
	s_xor_b32 s9, exec_lo, s9
	s_cbranch_execz .LBB368_2011
; %bb.1557:
	v_bfe_u32 v5, v1, 20, 1
	s_mov_b32 s7, exec_lo
	s_delay_alu instid0(VALU_DEP_1) | instskip(NEXT) | instid1(VALU_DEP_1)
	v_add3_u32 v5, v1, v5, 0x487ffff
	v_lshrrev_b32_e32 v5, 20, v5
	s_or_saveexec_b32 s9, s9
                                        ; implicit-def: $sgpr12
	s_delay_alu instid0(SALU_CYCLE_1)
	s_xor_b32 exec_lo, exec_lo, s9
	s_cbranch_execnz .LBB368_2012
.LBB368_1558:
	s_or_b32 exec_lo, exec_lo, s9
	v_mov_b32_e32 v10, s12
	s_and_saveexec_b32 s9, s7
.LBB368_1559:
	v_lshrrev_b32_e32 v1, 24, v1
	s_delay_alu instid0(VALU_DEP_1)
	v_and_or_b32 v10, 0x80, v1, v5
.LBB368_1560:
	s_or_b32 exec_lo, exec_lo, s9
.LBB368_1561:
	s_delay_alu instid0(SALU_CYCLE_1)
	s_or_b32 exec_lo, exec_lo, s6
	global_store_b8 v[2:3], v10, off
.LBB368_1562:
	s_mov_b32 s6, -1
.LBB368_1563:
	s_mov_b32 s7, 0
.LBB368_1564:
	s_delay_alu instid0(SALU_CYCLE_1)
	s_and_b32 vcc_lo, exec_lo, s7
	s_cbranch_vccz .LBB368_1604
; %bb.1565:
	v_cmp_lt_i16_e32 vcc_lo, 22, v6
	s_mov_b32 s2, -1
	s_cbranch_vccz .LBB368_1597
; %bb.1566:
	v_cmp_gt_i16_e32 vcc_lo, 24, v6
	s_cbranch_vccnz .LBB368_1586
; %bb.1567:
	v_cmp_lt_i16_e32 vcc_lo, 24, v6
	s_cbranch_vccz .LBB368_1575
; %bb.1568:
	v_cvt_f32_i32_e32 v1, v0
	v_mov_b32_e32 v10, 0x80
	s_mov_b32 s2, exec_lo
	s_delay_alu instid0(VALU_DEP_2) | instskip(NEXT) | instid1(VALU_DEP_1)
	v_and_b32_e32 v5, 0x7fffffff, v1
	v_cmpx_gt_u32_e32 0x47800000, v5
	s_cbranch_execz .LBB368_1574
; %bb.1569:
	v_cmp_lt_u32_e32 vcc_lo, 0x37ffffff, v5
	s_mov_b32 s6, 0
                                        ; implicit-def: $vgpr5
	s_and_saveexec_b32 s7, vcc_lo
	s_delay_alu instid0(SALU_CYCLE_1)
	s_xor_b32 s7, exec_lo, s7
	s_cbranch_execz .LBB368_2017
; %bb.1570:
	v_bfe_u32 v5, v1, 21, 1
	s_mov_b32 s6, exec_lo
	s_delay_alu instid0(VALU_DEP_1) | instskip(NEXT) | instid1(VALU_DEP_1)
	v_add3_u32 v5, v1, v5, 0x88fffff
	v_lshrrev_b32_e32 v5, 21, v5
	s_or_saveexec_b32 s7, s7
                                        ; implicit-def: $sgpr9
	s_delay_alu instid0(SALU_CYCLE_1)
	s_xor_b32 exec_lo, exec_lo, s7
	s_cbranch_execnz .LBB368_2018
.LBB368_1571:
	s_or_b32 exec_lo, exec_lo, s7
	v_mov_b32_e32 v10, s9
	s_and_saveexec_b32 s7, s6
.LBB368_1572:
	v_lshrrev_b32_e32 v1, 24, v1
	s_delay_alu instid0(VALU_DEP_1)
	v_and_or_b32 v10, 0x80, v1, v5
.LBB368_1573:
	s_or_b32 exec_lo, exec_lo, s7
.LBB368_1574:
	s_delay_alu instid0(SALU_CYCLE_1)
	s_or_b32 exec_lo, exec_lo, s2
	s_mov_b32 s2, 0
	global_store_b8 v[2:3], v10, off
.LBB368_1575:
	s_and_b32 vcc_lo, exec_lo, s2
	s_cbranch_vccz .LBB368_1585
; %bb.1576:
	v_cvt_f32_i32_e32 v1, v0
	s_mov_b32 s2, exec_lo
                                        ; implicit-def: $vgpr5
	s_delay_alu instid0(VALU_DEP_1) | instskip(NEXT) | instid1(VALU_DEP_1)
	v_and_b32_e32 v10, 0x7fffffff, v1
	v_cmpx_gt_u32_e32 0x43f00000, v10
	s_xor_b32 s2, exec_lo, s2
	s_cbranch_execz .LBB368_1582
; %bb.1577:
	s_mov_b32 s6, exec_lo
                                        ; implicit-def: $vgpr5
	v_cmpx_lt_u32_e32 0x3c7fffff, v10
	s_xor_b32 s6, exec_lo, s6
; %bb.1578:
	v_bfe_u32 v5, v1, 20, 1
	s_delay_alu instid0(VALU_DEP_1) | instskip(NEXT) | instid1(VALU_DEP_1)
	v_add3_u32 v5, v1, v5, 0x407ffff
	v_and_b32_e32 v10, 0xff00000, v5
	v_lshrrev_b32_e32 v5, 20, v5
	s_delay_alu instid0(VALU_DEP_2) | instskip(NEXT) | instid1(VALU_DEP_2)
	v_cmp_ne_u32_e32 vcc_lo, 0x7f00000, v10
	v_cndmask_b32_e32 v5, 0x7e, v5, vcc_lo
; %bb.1579:
	s_and_not1_saveexec_b32 s6, s6
; %bb.1580:
	v_add_f32_e64 v5, 0x46800000, |v1|
; %bb.1581:
	s_or_b32 exec_lo, exec_lo, s6
                                        ; implicit-def: $vgpr10
.LBB368_1582:
	s_and_not1_saveexec_b32 s2, s2
; %bb.1583:
	v_mov_b32_e32 v5, 0x7f
	v_cmp_lt_u32_e32 vcc_lo, 0x7f800000, v10
	s_delay_alu instid0(VALU_DEP_2)
	v_cndmask_b32_e32 v5, 0x7e, v5, vcc_lo
; %bb.1584:
	s_or_b32 exec_lo, exec_lo, s2
	v_lshrrev_b32_e32 v1, 24, v1
	s_delay_alu instid0(VALU_DEP_1)
	v_and_or_b32 v1, 0x80, v1, v5
	global_store_b8 v[2:3], v1, off
.LBB368_1585:
	s_mov_b32 s2, 0
.LBB368_1586:
	s_delay_alu instid0(SALU_CYCLE_1)
	s_and_not1_b32 vcc_lo, exec_lo, s2
	s_cbranch_vccnz .LBB368_1596
; %bb.1587:
	v_cvt_f32_i32_e32 v1, v0
	s_mov_b32 s2, exec_lo
                                        ; implicit-def: $vgpr5
	s_delay_alu instid0(VALU_DEP_1) | instskip(NEXT) | instid1(VALU_DEP_1)
	v_and_b32_e32 v10, 0x7fffffff, v1
	v_cmpx_gt_u32_e32 0x47800000, v10
	s_xor_b32 s2, exec_lo, s2
	s_cbranch_execz .LBB368_1593
; %bb.1588:
	s_mov_b32 s6, exec_lo
                                        ; implicit-def: $vgpr5
	v_cmpx_lt_u32_e32 0x387fffff, v10
	s_xor_b32 s6, exec_lo, s6
; %bb.1589:
	v_bfe_u32 v5, v1, 21, 1
	s_delay_alu instid0(VALU_DEP_1) | instskip(NEXT) | instid1(VALU_DEP_1)
	v_add3_u32 v5, v1, v5, 0x80fffff
	v_lshrrev_b32_e32 v5, 21, v5
; %bb.1590:
	s_and_not1_saveexec_b32 s6, s6
; %bb.1591:
	v_add_f32_e64 v5, 0x43000000, |v1|
; %bb.1592:
	s_or_b32 exec_lo, exec_lo, s6
                                        ; implicit-def: $vgpr10
.LBB368_1593:
	s_and_not1_saveexec_b32 s2, s2
; %bb.1594:
	v_mov_b32_e32 v5, 0x7f
	v_cmp_lt_u32_e32 vcc_lo, 0x7f800000, v10
	s_delay_alu instid0(VALU_DEP_2)
	v_cndmask_b32_e32 v5, 0x7c, v5, vcc_lo
; %bb.1595:
	s_or_b32 exec_lo, exec_lo, s2
	v_lshrrev_b32_e32 v1, 24, v1
	s_delay_alu instid0(VALU_DEP_1)
	v_and_or_b32 v1, 0x80, v1, v5
	global_store_b8 v[2:3], v1, off
.LBB368_1596:
	s_mov_b32 s2, 0
	s_mov_b32 s6, -1
.LBB368_1597:
	s_and_not1_b32 vcc_lo, exec_lo, s2
	s_mov_b32 s2, 0
	s_cbranch_vccnz .LBB368_1604
; %bb.1598:
	v_cmp_lt_i16_e32 vcc_lo, 14, v6
	s_mov_b32 s2, -1
	s_cbranch_vccz .LBB368_1602
; %bb.1599:
	v_cmp_eq_u16_e32 vcc_lo, 15, v6
	s_mov_b32 s0, -1
	s_cbranch_vccz .LBB368_1601
; %bb.1600:
	v_cvt_f32_i32_e32 v1, v0
	s_mov_b32 s0, 0
	s_mov_b32 s6, -1
	s_delay_alu instid0(VALU_DEP_1) | instskip(NEXT) | instid1(VALU_DEP_1)
	v_bfe_u32 v5, v1, 16, 1
	v_add3_u32 v1, v1, v5, 0x7fff
	global_store_d16_hi_b16 v[2:3], v1, off
.LBB368_1601:
	s_mov_b32 s2, 0
.LBB368_1602:
	s_delay_alu instid0(SALU_CYCLE_1)
	s_and_b32 vcc_lo, exec_lo, s2
	s_mov_b32 s2, 0
	s_cbranch_vccz .LBB368_1604
; %bb.1603:
	v_cmp_ne_u16_e64 s0, 11, v6
	s_mov_b32 s2, -1
.LBB368_1604:
	s_delay_alu instid0(VALU_DEP_1)
	s_and_b32 vcc_lo, exec_lo, s0
	s_cbranch_vccnz .LBB368_2015
; %bb.1605:
	s_and_not1_b32 vcc_lo, exec_lo, s2
	s_cbranch_vccnz .LBB368_1607
.LBB368_1606:
	v_cmp_ne_u32_e32 vcc_lo, 0, v0
	s_mov_b32 s6, -1
	v_cndmask_b32_e64 v1, 0, 1, vcc_lo
	global_store_b8 v[2:3], v1, off
.LBB368_1607:
	s_mov_b32 s0, 0
	s_branch .LBB368_1609
.LBB368_1608:
	s_mov_b32 s0, -1
	s_mov_b32 s6, 0
.LBB368_1609:
	s_and_b32 vcc_lo, exec_lo, s0
	s_cbranch_vccz .LBB368_1648
; %bb.1610:
	v_cmp_gt_i16_e32 vcc_lo, 5, v6
	s_mov_b32 s0, -1
	s_cbranch_vccnz .LBB368_1631
; %bb.1611:
	v_cmp_gt_i16_e32 vcc_lo, 8, v6
	s_cbranch_vccnz .LBB368_1621
; %bb.1612:
	v_cmp_gt_i16_e32 vcc_lo, 9, v6
	s_cbranch_vccnz .LBB368_1618
; %bb.1613:
	v_cmp_lt_i16_e32 vcc_lo, 9, v6
	s_cbranch_vccz .LBB368_1615
; %bb.1614:
	v_cvt_f64_i32_e32 v[10:11], v0
	v_mov_b32_e32 v12, 0
	s_mov_b32 s0, 0
	s_delay_alu instid0(VALU_DEP_1)
	v_mov_b32_e32 v13, v12
	global_store_b128 v[2:3], v[10:13], off
.LBB368_1615:
	s_and_not1_b32 vcc_lo, exec_lo, s0
	s_cbranch_vccnz .LBB368_1617
; %bb.1616:
	v_cvt_f32_i32_e32 v10, v0
	v_mov_b32_e32 v11, 0
	global_store_b64 v[2:3], v[10:11], off
.LBB368_1617:
	s_mov_b32 s0, 0
.LBB368_1618:
	s_delay_alu instid0(SALU_CYCLE_1)
	s_and_not1_b32 vcc_lo, exec_lo, s0
	s_cbranch_vccnz .LBB368_1620
; %bb.1619:
	v_cvt_f32_i32_e32 v1, v0
	s_delay_alu instid0(VALU_DEP_1) | instskip(NEXT) | instid1(VALU_DEP_1)
	v_cvt_f16_f32_e32 v1, v1
	v_and_b32_e32 v1, 0xffff, v1
	global_store_b32 v[2:3], v1, off
.LBB368_1620:
	s_mov_b32 s0, 0
.LBB368_1621:
	s_delay_alu instid0(SALU_CYCLE_1)
	s_and_not1_b32 vcc_lo, exec_lo, s0
	s_cbranch_vccnz .LBB368_1630
; %bb.1622:
	v_cmp_gt_i16_e32 vcc_lo, 6, v6
	s_mov_b32 s0, -1
	s_cbranch_vccnz .LBB368_1628
; %bb.1623:
	v_cmp_lt_i16_e32 vcc_lo, 6, v6
	s_cbranch_vccz .LBB368_1625
; %bb.1624:
	v_cvt_f64_i32_e32 v[10:11], v0
	s_mov_b32 s0, 0
	global_store_b64 v[2:3], v[10:11], off
.LBB368_1625:
	s_and_not1_b32 vcc_lo, exec_lo, s0
	s_cbranch_vccnz .LBB368_1627
; %bb.1626:
	v_cvt_f32_i32_e32 v1, v0
	global_store_b32 v[2:3], v1, off
.LBB368_1627:
	s_mov_b32 s0, 0
.LBB368_1628:
	s_delay_alu instid0(SALU_CYCLE_1)
	s_and_not1_b32 vcc_lo, exec_lo, s0
	s_cbranch_vccnz .LBB368_1630
; %bb.1629:
	v_cvt_f32_i32_e32 v1, v0
	s_delay_alu instid0(VALU_DEP_1)
	v_cvt_f16_f32_e32 v1, v1
	global_store_b16 v[2:3], v1, off
.LBB368_1630:
	s_mov_b32 s0, 0
.LBB368_1631:
	s_delay_alu instid0(SALU_CYCLE_1)
	s_and_not1_b32 vcc_lo, exec_lo, s0
	s_cbranch_vccnz .LBB368_1647
; %bb.1632:
	v_cmp_gt_i16_e32 vcc_lo, 2, v6
	s_mov_b32 s0, -1
	s_cbranch_vccnz .LBB368_1642
; %bb.1633:
	v_cmp_gt_i16_e32 vcc_lo, 3, v6
	s_cbranch_vccnz .LBB368_1639
; %bb.1634:
	v_cmp_lt_i16_e32 vcc_lo, 3, v6
	s_cbranch_vccz .LBB368_1636
; %bb.1635:
	v_ashrrev_i32_e32 v1, 31, v0
	s_mov_b32 s0, 0
	global_store_b64 v[2:3], v[0:1], off
.LBB368_1636:
	s_and_not1_b32 vcc_lo, exec_lo, s0
	s_cbranch_vccnz .LBB368_1638
; %bb.1637:
	global_store_b32 v[2:3], v0, off
.LBB368_1638:
	s_mov_b32 s0, 0
.LBB368_1639:
	s_delay_alu instid0(SALU_CYCLE_1)
	s_and_not1_b32 vcc_lo, exec_lo, s0
	s_cbranch_vccnz .LBB368_1641
; %bb.1640:
	global_store_b16 v[2:3], v0, off
.LBB368_1641:
	s_mov_b32 s0, 0
.LBB368_1642:
	s_delay_alu instid0(SALU_CYCLE_1)
	s_and_not1_b32 vcc_lo, exec_lo, s0
	s_cbranch_vccnz .LBB368_1647
; %bb.1643:
	v_cmp_lt_i16_e32 vcc_lo, 0, v6
	s_mov_b32 s0, -1
	s_cbranch_vccz .LBB368_1645
; %bb.1644:
	s_mov_b32 s0, 0
	global_store_b8 v[2:3], v0, off
.LBB368_1645:
	s_and_not1_b32 vcc_lo, exec_lo, s0
	s_cbranch_vccnz .LBB368_1647
; %bb.1646:
	global_store_b8 v[2:3], v0, off
.LBB368_1647:
	s_mov_b32 s6, -1
.LBB368_1648:
	s_delay_alu instid0(SALU_CYCLE_1)
	s_and_not1_b32 vcc_lo, exec_lo, s6
	s_cbranch_vccnz .LBB368_1963
; %bb.1649:
	s_lshl_b32 s2, s8, 7
	v_cmp_gt_i16_e32 vcc_lo, 11, v6
	v_add_nc_u32_e32 v4, s2, v4
	v_max_i32_e32 v0, s10, v9
	s_delay_alu instid0(VALU_DEP_2) | instskip(SKIP_1) | instid1(VALU_DEP_1)
	v_ashrrev_i32_e32 v1, 31, v4
	v_add_co_u32 v2, s0, s4, v4
	v_add_co_ci_u32_e64 v3, s0, s5, v1, s0
	s_cbranch_vccnz .LBB368_1727
; %bb.1650:
	v_cmp_lt_i16_e32 vcc_lo, 25, v6
	s_mov_b32 s8, -1
	s_mov_b32 s6, 0
	s_mov_b32 s7, 0
	;; [unrolled: 1-line block ×3, first 2 shown]
	s_cbranch_vccz .LBB368_1683
; %bb.1651:
	v_cmp_lt_i16_e32 vcc_lo, 28, v6
	s_cbranch_vccz .LBB368_1666
; %bb.1652:
	v_cmp_lt_i16_e32 vcc_lo, 43, v6
	;; [unrolled: 3-line block ×3, first 2 shown]
	s_cbranch_vccz .LBB368_1656
; %bb.1654:
	v_cmp_eq_u16_e32 vcc_lo, 46, v6
	s_mov_b32 s0, -1
	s_mov_b32 s8, 0
	s_cbranch_vccz .LBB368_1656
; %bb.1655:
	v_cvt_f32_i32_e32 v1, v0
	s_mov_b32 s0, 0
	s_mov_b32 s7, -1
	s_delay_alu instid0(VALU_DEP_1) | instskip(NEXT) | instid1(VALU_DEP_1)
	v_bfe_u32 v5, v1, 16, 1
	v_add3_u32 v1, v1, v5, 0x7fff
	s_delay_alu instid0(VALU_DEP_1)
	v_lshrrev_b32_e32 v1, 16, v1
	global_store_b32 v[2:3], v1, off
.LBB368_1656:
	s_and_b32 vcc_lo, exec_lo, s8
	s_cbranch_vccz .LBB368_1661
; %bb.1657:
	v_cmp_eq_u16_e32 vcc_lo, 44, v6
	s_mov_b32 s0, -1
	s_cbranch_vccz .LBB368_1661
; %bb.1658:
	v_cvt_f32_i32_e32 v1, v0
	v_mov_b32_e32 v5, 0xff
	s_mov_b32 s7, exec_lo
	s_delay_alu instid0(VALU_DEP_2) | instskip(NEXT) | instid1(VALU_DEP_1)
	v_bfe_u32 v9, v1, 23, 8
	v_cmpx_ne_u32_e32 0xff, v9
; %bb.1659:
	v_and_b32_e32 v5, 0x400000, v1
	v_and_or_b32 v9, 0x3fffff, v1, v9
	v_lshrrev_b32_e32 v1, 23, v1
	s_delay_alu instid0(VALU_DEP_3) | instskip(NEXT) | instid1(VALU_DEP_3)
	v_cmp_ne_u32_e32 vcc_lo, 0, v5
	v_cmp_ne_u32_e64 s0, 0, v9
	s_delay_alu instid0(VALU_DEP_1) | instskip(NEXT) | instid1(SALU_CYCLE_1)
	s_and_b32 s0, vcc_lo, s0
	v_cndmask_b32_e64 v5, 0, 1, s0
	s_delay_alu instid0(VALU_DEP_1)
	v_add_nc_u32_e32 v5, v1, v5
; %bb.1660:
	s_or_b32 exec_lo, exec_lo, s7
	s_mov_b32 s0, 0
	s_mov_b32 s7, -1
	global_store_b8 v[2:3], v5, off
.LBB368_1661:
	s_mov_b32 s8, 0
.LBB368_1662:
	s_delay_alu instid0(SALU_CYCLE_1)
	s_and_b32 vcc_lo, exec_lo, s8
	s_cbranch_vccz .LBB368_1665
; %bb.1663:
	v_cmp_eq_u16_e32 vcc_lo, 29, v6
	s_mov_b32 s0, -1
	s_cbranch_vccz .LBB368_1665
; %bb.1664:
	v_ashrrev_i32_e32 v1, 31, v0
	s_mov_b32 s0, 0
	s_mov_b32 s7, -1
	global_store_b64 v[2:3], v[0:1], off
.LBB368_1665:
	s_mov_b32 s8, 0
.LBB368_1666:
	s_delay_alu instid0(SALU_CYCLE_1)
	s_and_b32 vcc_lo, exec_lo, s8
	s_cbranch_vccz .LBB368_1682
; %bb.1667:
	v_cmp_gt_i16_e32 vcc_lo, 27, v6
	s_mov_b32 s7, -1
	s_cbranch_vccnz .LBB368_1673
; %bb.1668:
	v_cmp_lt_i16_e32 vcc_lo, 27, v6
	s_cbranch_vccz .LBB368_1670
; %bb.1669:
	s_mov_b32 s7, 0
	global_store_b32 v[2:3], v0, off
.LBB368_1670:
	s_and_not1_b32 vcc_lo, exec_lo, s7
	s_cbranch_vccnz .LBB368_1672
; %bb.1671:
	global_store_b16 v[2:3], v0, off
.LBB368_1672:
	s_mov_b32 s7, 0
.LBB368_1673:
	s_delay_alu instid0(SALU_CYCLE_1)
	s_and_not1_b32 vcc_lo, exec_lo, s7
	s_cbranch_vccnz .LBB368_1681
; %bb.1674:
	v_cvt_f32_i32_e32 v1, v0
	v_mov_b32_e32 v9, 0x80
	s_mov_b32 s7, exec_lo
	s_delay_alu instid0(VALU_DEP_2) | instskip(NEXT) | instid1(VALU_DEP_1)
	v_and_b32_e32 v5, 0x7fffffff, v1
	v_cmpx_gt_u32_e32 0x43800000, v5
	s_cbranch_execz .LBB368_1680
; %bb.1675:
	v_cmp_lt_u32_e32 vcc_lo, 0x3bffffff, v5
	s_mov_b32 s8, 0
                                        ; implicit-def: $vgpr5
	s_and_saveexec_b32 s9, vcc_lo
	s_delay_alu instid0(SALU_CYCLE_1)
	s_xor_b32 s9, exec_lo, s9
	s_cbranch_execz .LBB368_2019
; %bb.1676:
	v_bfe_u32 v5, v1, 20, 1
	s_mov_b32 s8, exec_lo
	s_delay_alu instid0(VALU_DEP_1) | instskip(NEXT) | instid1(VALU_DEP_1)
	v_add3_u32 v5, v1, v5, 0x487ffff
	v_lshrrev_b32_e32 v5, 20, v5
	s_or_saveexec_b32 s9, s9
                                        ; implicit-def: $sgpr12
	s_delay_alu instid0(SALU_CYCLE_1)
	s_xor_b32 exec_lo, exec_lo, s9
	s_cbranch_execnz .LBB368_2020
.LBB368_1677:
	s_or_b32 exec_lo, exec_lo, s9
	v_mov_b32_e32 v9, s12
	s_and_saveexec_b32 s9, s8
.LBB368_1678:
	v_lshrrev_b32_e32 v1, 24, v1
	s_delay_alu instid0(VALU_DEP_1)
	v_and_or_b32 v9, 0x80, v1, v5
.LBB368_1679:
	s_or_b32 exec_lo, exec_lo, s9
.LBB368_1680:
	s_delay_alu instid0(SALU_CYCLE_1)
	s_or_b32 exec_lo, exec_lo, s7
	global_store_b8 v[2:3], v9, off
.LBB368_1681:
	s_mov_b32 s7, -1
.LBB368_1682:
	s_mov_b32 s8, 0
.LBB368_1683:
	s_delay_alu instid0(SALU_CYCLE_1)
	s_and_b32 vcc_lo, exec_lo, s8
	s_cbranch_vccz .LBB368_1723
; %bb.1684:
	v_cmp_lt_i16_e32 vcc_lo, 22, v6
	s_mov_b32 s6, -1
	s_cbranch_vccz .LBB368_1716
; %bb.1685:
	v_cmp_gt_i16_e32 vcc_lo, 24, v6
	s_cbranch_vccnz .LBB368_1705
; %bb.1686:
	v_cmp_lt_i16_e32 vcc_lo, 24, v6
	s_cbranch_vccz .LBB368_1694
; %bb.1687:
	v_cvt_f32_i32_e32 v1, v0
	v_mov_b32_e32 v9, 0x80
	s_mov_b32 s6, exec_lo
	s_delay_alu instid0(VALU_DEP_2) | instskip(NEXT) | instid1(VALU_DEP_1)
	v_and_b32_e32 v5, 0x7fffffff, v1
	v_cmpx_gt_u32_e32 0x47800000, v5
	s_cbranch_execz .LBB368_1693
; %bb.1688:
	v_cmp_lt_u32_e32 vcc_lo, 0x37ffffff, v5
	s_mov_b32 s7, 0
                                        ; implicit-def: $vgpr5
	s_and_saveexec_b32 s8, vcc_lo
	s_delay_alu instid0(SALU_CYCLE_1)
	s_xor_b32 s8, exec_lo, s8
	s_cbranch_execz .LBB368_2025
; %bb.1689:
	v_bfe_u32 v5, v1, 21, 1
	s_mov_b32 s7, exec_lo
	s_delay_alu instid0(VALU_DEP_1) | instskip(NEXT) | instid1(VALU_DEP_1)
	v_add3_u32 v5, v1, v5, 0x88fffff
	v_lshrrev_b32_e32 v5, 21, v5
	s_or_saveexec_b32 s8, s8
                                        ; implicit-def: $sgpr9
	s_delay_alu instid0(SALU_CYCLE_1)
	s_xor_b32 exec_lo, exec_lo, s8
	s_cbranch_execnz .LBB368_2026
.LBB368_1690:
	s_or_b32 exec_lo, exec_lo, s8
	v_mov_b32_e32 v9, s9
	s_and_saveexec_b32 s8, s7
.LBB368_1691:
	v_lshrrev_b32_e32 v1, 24, v1
	s_delay_alu instid0(VALU_DEP_1)
	v_and_or_b32 v9, 0x80, v1, v5
.LBB368_1692:
	s_or_b32 exec_lo, exec_lo, s8
.LBB368_1693:
	s_delay_alu instid0(SALU_CYCLE_1)
	s_or_b32 exec_lo, exec_lo, s6
	s_mov_b32 s6, 0
	global_store_b8 v[2:3], v9, off
.LBB368_1694:
	s_and_b32 vcc_lo, exec_lo, s6
	s_cbranch_vccz .LBB368_1704
; %bb.1695:
	v_cvt_f32_i32_e32 v1, v0
	s_mov_b32 s6, exec_lo
                                        ; implicit-def: $vgpr5
	s_delay_alu instid0(VALU_DEP_1) | instskip(NEXT) | instid1(VALU_DEP_1)
	v_and_b32_e32 v9, 0x7fffffff, v1
	v_cmpx_gt_u32_e32 0x43f00000, v9
	s_xor_b32 s6, exec_lo, s6
	s_cbranch_execz .LBB368_1701
; %bb.1696:
	s_mov_b32 s7, exec_lo
                                        ; implicit-def: $vgpr5
	v_cmpx_lt_u32_e32 0x3c7fffff, v9
	s_xor_b32 s7, exec_lo, s7
; %bb.1697:
	v_bfe_u32 v5, v1, 20, 1
	s_delay_alu instid0(VALU_DEP_1) | instskip(NEXT) | instid1(VALU_DEP_1)
	v_add3_u32 v5, v1, v5, 0x407ffff
	v_and_b32_e32 v9, 0xff00000, v5
	v_lshrrev_b32_e32 v5, 20, v5
	s_delay_alu instid0(VALU_DEP_2) | instskip(NEXT) | instid1(VALU_DEP_2)
	v_cmp_ne_u32_e32 vcc_lo, 0x7f00000, v9
	v_cndmask_b32_e32 v5, 0x7e, v5, vcc_lo
; %bb.1698:
	s_and_not1_saveexec_b32 s7, s7
; %bb.1699:
	v_add_f32_e64 v5, 0x46800000, |v1|
; %bb.1700:
	s_or_b32 exec_lo, exec_lo, s7
                                        ; implicit-def: $vgpr9
.LBB368_1701:
	s_and_not1_saveexec_b32 s6, s6
; %bb.1702:
	v_mov_b32_e32 v5, 0x7f
	v_cmp_lt_u32_e32 vcc_lo, 0x7f800000, v9
	s_delay_alu instid0(VALU_DEP_2)
	v_cndmask_b32_e32 v5, 0x7e, v5, vcc_lo
; %bb.1703:
	s_or_b32 exec_lo, exec_lo, s6
	v_lshrrev_b32_e32 v1, 24, v1
	s_delay_alu instid0(VALU_DEP_1)
	v_and_or_b32 v1, 0x80, v1, v5
	global_store_b8 v[2:3], v1, off
.LBB368_1704:
	s_mov_b32 s6, 0
.LBB368_1705:
	s_delay_alu instid0(SALU_CYCLE_1)
	s_and_not1_b32 vcc_lo, exec_lo, s6
	s_cbranch_vccnz .LBB368_1715
; %bb.1706:
	v_cvt_f32_i32_e32 v1, v0
	s_mov_b32 s6, exec_lo
                                        ; implicit-def: $vgpr5
	s_delay_alu instid0(VALU_DEP_1) | instskip(NEXT) | instid1(VALU_DEP_1)
	v_and_b32_e32 v9, 0x7fffffff, v1
	v_cmpx_gt_u32_e32 0x47800000, v9
	s_xor_b32 s6, exec_lo, s6
	s_cbranch_execz .LBB368_1712
; %bb.1707:
	s_mov_b32 s7, exec_lo
                                        ; implicit-def: $vgpr5
	v_cmpx_lt_u32_e32 0x387fffff, v9
	s_xor_b32 s7, exec_lo, s7
; %bb.1708:
	v_bfe_u32 v5, v1, 21, 1
	s_delay_alu instid0(VALU_DEP_1) | instskip(NEXT) | instid1(VALU_DEP_1)
	v_add3_u32 v5, v1, v5, 0x80fffff
	v_lshrrev_b32_e32 v5, 21, v5
; %bb.1709:
	s_and_not1_saveexec_b32 s7, s7
; %bb.1710:
	v_add_f32_e64 v5, 0x43000000, |v1|
; %bb.1711:
	s_or_b32 exec_lo, exec_lo, s7
                                        ; implicit-def: $vgpr9
.LBB368_1712:
	s_and_not1_saveexec_b32 s6, s6
; %bb.1713:
	v_mov_b32_e32 v5, 0x7f
	v_cmp_lt_u32_e32 vcc_lo, 0x7f800000, v9
	s_delay_alu instid0(VALU_DEP_2)
	v_cndmask_b32_e32 v5, 0x7c, v5, vcc_lo
; %bb.1714:
	s_or_b32 exec_lo, exec_lo, s6
	v_lshrrev_b32_e32 v1, 24, v1
	s_delay_alu instid0(VALU_DEP_1)
	v_and_or_b32 v1, 0x80, v1, v5
	global_store_b8 v[2:3], v1, off
.LBB368_1715:
	s_mov_b32 s6, 0
	s_mov_b32 s7, -1
.LBB368_1716:
	s_and_not1_b32 vcc_lo, exec_lo, s6
	s_mov_b32 s6, 0
	s_cbranch_vccnz .LBB368_1723
; %bb.1717:
	v_cmp_lt_i16_e32 vcc_lo, 14, v6
	s_mov_b32 s6, -1
	s_cbranch_vccz .LBB368_1721
; %bb.1718:
	v_cmp_eq_u16_e32 vcc_lo, 15, v6
	s_mov_b32 s0, -1
	s_cbranch_vccz .LBB368_1720
; %bb.1719:
	v_cvt_f32_i32_e32 v1, v0
	s_mov_b32 s0, 0
	s_mov_b32 s7, -1
	s_delay_alu instid0(VALU_DEP_1) | instskip(NEXT) | instid1(VALU_DEP_1)
	v_bfe_u32 v5, v1, 16, 1
	v_add3_u32 v1, v1, v5, 0x7fff
	global_store_d16_hi_b16 v[2:3], v1, off
.LBB368_1720:
	s_mov_b32 s6, 0
.LBB368_1721:
	s_delay_alu instid0(SALU_CYCLE_1)
	s_and_b32 vcc_lo, exec_lo, s6
	s_mov_b32 s6, 0
	s_cbranch_vccz .LBB368_1723
; %bb.1722:
	v_cmp_ne_u16_e64 s0, 11, v6
	s_mov_b32 s6, -1
.LBB368_1723:
	s_delay_alu instid0(VALU_DEP_1)
	s_and_b32 vcc_lo, exec_lo, s0
	s_cbranch_vccnz .LBB368_2023
; %bb.1724:
	s_and_not1_b32 vcc_lo, exec_lo, s6
	s_cbranch_vccnz .LBB368_1726
.LBB368_1725:
	v_cmp_ne_u32_e32 vcc_lo, 0, v0
	s_mov_b32 s7, -1
	v_cndmask_b32_e64 v1, 0, 1, vcc_lo
	global_store_b8 v[2:3], v1, off
.LBB368_1726:
	s_mov_b32 s0, 0
	s_branch .LBB368_1728
.LBB368_1727:
	s_mov_b32 s0, -1
	s_mov_b32 s7, 0
.LBB368_1728:
	s_and_b32 vcc_lo, exec_lo, s0
	s_cbranch_vccz .LBB368_1767
; %bb.1729:
	v_cmp_gt_i16_e32 vcc_lo, 5, v6
	s_mov_b32 s0, -1
	s_cbranch_vccnz .LBB368_1750
; %bb.1730:
	v_cmp_gt_i16_e32 vcc_lo, 8, v6
	s_cbranch_vccnz .LBB368_1740
; %bb.1731:
	v_cmp_gt_i16_e32 vcc_lo, 9, v6
	s_cbranch_vccnz .LBB368_1737
; %bb.1732:
	v_cmp_lt_i16_e32 vcc_lo, 9, v6
	s_cbranch_vccz .LBB368_1734
; %bb.1733:
	v_cvt_f64_i32_e32 v[9:10], v0
	v_mov_b32_e32 v11, 0
	s_mov_b32 s0, 0
	s_delay_alu instid0(VALU_DEP_1)
	v_mov_b32_e32 v12, v11
	global_store_b128 v[2:3], v[9:12], off
.LBB368_1734:
	s_and_not1_b32 vcc_lo, exec_lo, s0
	s_cbranch_vccnz .LBB368_1736
; %bb.1735:
	v_cvt_f32_i32_e32 v9, v0
	v_mov_b32_e32 v10, 0
	global_store_b64 v[2:3], v[9:10], off
.LBB368_1736:
	s_mov_b32 s0, 0
.LBB368_1737:
	s_delay_alu instid0(SALU_CYCLE_1)
	s_and_not1_b32 vcc_lo, exec_lo, s0
	s_cbranch_vccnz .LBB368_1739
; %bb.1738:
	v_cvt_f32_i32_e32 v1, v0
	s_delay_alu instid0(VALU_DEP_1) | instskip(NEXT) | instid1(VALU_DEP_1)
	v_cvt_f16_f32_e32 v1, v1
	v_and_b32_e32 v1, 0xffff, v1
	global_store_b32 v[2:3], v1, off
.LBB368_1739:
	s_mov_b32 s0, 0
.LBB368_1740:
	s_delay_alu instid0(SALU_CYCLE_1)
	s_and_not1_b32 vcc_lo, exec_lo, s0
	s_cbranch_vccnz .LBB368_1749
; %bb.1741:
	v_cmp_gt_i16_e32 vcc_lo, 6, v6
	s_mov_b32 s0, -1
	s_cbranch_vccnz .LBB368_1747
; %bb.1742:
	v_cmp_lt_i16_e32 vcc_lo, 6, v6
	s_cbranch_vccz .LBB368_1744
; %bb.1743:
	v_cvt_f64_i32_e32 v[9:10], v0
	s_mov_b32 s0, 0
	global_store_b64 v[2:3], v[9:10], off
.LBB368_1744:
	s_and_not1_b32 vcc_lo, exec_lo, s0
	s_cbranch_vccnz .LBB368_1746
; %bb.1745:
	v_cvt_f32_i32_e32 v1, v0
	global_store_b32 v[2:3], v1, off
.LBB368_1746:
	s_mov_b32 s0, 0
.LBB368_1747:
	s_delay_alu instid0(SALU_CYCLE_1)
	s_and_not1_b32 vcc_lo, exec_lo, s0
	s_cbranch_vccnz .LBB368_1749
; %bb.1748:
	v_cvt_f32_i32_e32 v1, v0
	s_delay_alu instid0(VALU_DEP_1)
	v_cvt_f16_f32_e32 v1, v1
	global_store_b16 v[2:3], v1, off
.LBB368_1749:
	s_mov_b32 s0, 0
.LBB368_1750:
	s_delay_alu instid0(SALU_CYCLE_1)
	s_and_not1_b32 vcc_lo, exec_lo, s0
	s_cbranch_vccnz .LBB368_1766
; %bb.1751:
	v_cmp_gt_i16_e32 vcc_lo, 2, v6
	s_mov_b32 s0, -1
	s_cbranch_vccnz .LBB368_1761
; %bb.1752:
	v_cmp_gt_i16_e32 vcc_lo, 3, v6
	s_cbranch_vccnz .LBB368_1758
; %bb.1753:
	v_cmp_lt_i16_e32 vcc_lo, 3, v6
	s_cbranch_vccz .LBB368_1755
; %bb.1754:
	v_ashrrev_i32_e32 v1, 31, v0
	s_mov_b32 s0, 0
	global_store_b64 v[2:3], v[0:1], off
.LBB368_1755:
	s_and_not1_b32 vcc_lo, exec_lo, s0
	s_cbranch_vccnz .LBB368_1757
; %bb.1756:
	global_store_b32 v[2:3], v0, off
.LBB368_1757:
	s_mov_b32 s0, 0
.LBB368_1758:
	s_delay_alu instid0(SALU_CYCLE_1)
	s_and_not1_b32 vcc_lo, exec_lo, s0
	s_cbranch_vccnz .LBB368_1760
; %bb.1759:
	global_store_b16 v[2:3], v0, off
.LBB368_1760:
	s_mov_b32 s0, 0
.LBB368_1761:
	s_delay_alu instid0(SALU_CYCLE_1)
	s_and_not1_b32 vcc_lo, exec_lo, s0
	s_cbranch_vccnz .LBB368_1766
; %bb.1762:
	v_cmp_lt_i16_e32 vcc_lo, 0, v6
	s_mov_b32 s0, -1
	s_cbranch_vccz .LBB368_1764
; %bb.1763:
	s_mov_b32 s0, 0
	global_store_b8 v[2:3], v0, off
.LBB368_1764:
	s_and_not1_b32 vcc_lo, exec_lo, s0
	s_cbranch_vccnz .LBB368_1766
; %bb.1765:
	global_store_b8 v[2:3], v0, off
.LBB368_1766:
	s_mov_b32 s7, -1
.LBB368_1767:
	s_delay_alu instid0(SALU_CYCLE_1)
	s_and_not1_b32 vcc_lo, exec_lo, s7
	s_cbranch_vccnz .LBB368_1963
; %bb.1768:
	v_add_nc_u32_e32 v4, s2, v4
	v_cmp_gt_i16_e32 vcc_lo, 11, v6
	v_max_i32_e32 v0, s10, v8
	s_delay_alu instid0(VALU_DEP_3) | instskip(SKIP_1) | instid1(VALU_DEP_1)
	v_ashrrev_i32_e32 v1, 31, v4
	v_add_co_u32 v2, s0, s4, v4
	v_add_co_ci_u32_e64 v3, s0, s5, v1, s0
	s_cbranch_vccnz .LBB368_1846
; %bb.1769:
	v_cmp_lt_i16_e32 vcc_lo, 25, v6
	s_mov_b32 s8, -1
	s_mov_b32 s6, 0
	s_mov_b32 s7, 0
	;; [unrolled: 1-line block ×3, first 2 shown]
	s_cbranch_vccz .LBB368_1802
; %bb.1770:
	v_cmp_lt_i16_e32 vcc_lo, 28, v6
	s_cbranch_vccz .LBB368_1785
; %bb.1771:
	v_cmp_lt_i16_e32 vcc_lo, 43, v6
	;; [unrolled: 3-line block ×3, first 2 shown]
	s_cbranch_vccz .LBB368_1775
; %bb.1773:
	v_cmp_eq_u16_e32 vcc_lo, 46, v6
	s_mov_b32 s0, -1
	s_mov_b32 s8, 0
	s_cbranch_vccz .LBB368_1775
; %bb.1774:
	v_cvt_f32_i32_e32 v1, v0
	s_mov_b32 s0, 0
	s_mov_b32 s7, -1
	s_delay_alu instid0(VALU_DEP_1) | instskip(NEXT) | instid1(VALU_DEP_1)
	v_bfe_u32 v5, v1, 16, 1
	v_add3_u32 v1, v1, v5, 0x7fff
	s_delay_alu instid0(VALU_DEP_1)
	v_lshrrev_b32_e32 v1, 16, v1
	global_store_b32 v[2:3], v1, off
.LBB368_1775:
	s_and_b32 vcc_lo, exec_lo, s8
	s_cbranch_vccz .LBB368_1780
; %bb.1776:
	v_cmp_eq_u16_e32 vcc_lo, 44, v6
	s_mov_b32 s0, -1
	s_cbranch_vccz .LBB368_1780
; %bb.1777:
	v_cvt_f32_i32_e32 v1, v0
	v_mov_b32_e32 v5, 0xff
	s_mov_b32 s7, exec_lo
	s_delay_alu instid0(VALU_DEP_2) | instskip(NEXT) | instid1(VALU_DEP_1)
	v_bfe_u32 v8, v1, 23, 8
	v_cmpx_ne_u32_e32 0xff, v8
; %bb.1778:
	v_and_b32_e32 v5, 0x400000, v1
	v_and_or_b32 v8, 0x3fffff, v1, v8
	v_lshrrev_b32_e32 v1, 23, v1
	s_delay_alu instid0(VALU_DEP_3) | instskip(NEXT) | instid1(VALU_DEP_3)
	v_cmp_ne_u32_e32 vcc_lo, 0, v5
	v_cmp_ne_u32_e64 s0, 0, v8
	s_delay_alu instid0(VALU_DEP_1) | instskip(NEXT) | instid1(SALU_CYCLE_1)
	s_and_b32 s0, vcc_lo, s0
	v_cndmask_b32_e64 v5, 0, 1, s0
	s_delay_alu instid0(VALU_DEP_1)
	v_add_nc_u32_e32 v5, v1, v5
; %bb.1779:
	s_or_b32 exec_lo, exec_lo, s7
	s_mov_b32 s0, 0
	s_mov_b32 s7, -1
	global_store_b8 v[2:3], v5, off
.LBB368_1780:
	s_mov_b32 s8, 0
.LBB368_1781:
	s_delay_alu instid0(SALU_CYCLE_1)
	s_and_b32 vcc_lo, exec_lo, s8
	s_cbranch_vccz .LBB368_1784
; %bb.1782:
	v_cmp_eq_u16_e32 vcc_lo, 29, v6
	s_mov_b32 s0, -1
	s_cbranch_vccz .LBB368_1784
; %bb.1783:
	v_ashrrev_i32_e32 v1, 31, v0
	s_mov_b32 s0, 0
	s_mov_b32 s7, -1
	global_store_b64 v[2:3], v[0:1], off
.LBB368_1784:
	s_mov_b32 s8, 0
.LBB368_1785:
	s_delay_alu instid0(SALU_CYCLE_1)
	s_and_b32 vcc_lo, exec_lo, s8
	s_cbranch_vccz .LBB368_1801
; %bb.1786:
	v_cmp_gt_i16_e32 vcc_lo, 27, v6
	s_mov_b32 s7, -1
	s_cbranch_vccnz .LBB368_1792
; %bb.1787:
	v_cmp_lt_i16_e32 vcc_lo, 27, v6
	s_cbranch_vccz .LBB368_1789
; %bb.1788:
	s_mov_b32 s7, 0
	global_store_b32 v[2:3], v0, off
.LBB368_1789:
	s_and_not1_b32 vcc_lo, exec_lo, s7
	s_cbranch_vccnz .LBB368_1791
; %bb.1790:
	global_store_b16 v[2:3], v0, off
.LBB368_1791:
	s_mov_b32 s7, 0
.LBB368_1792:
	s_delay_alu instid0(SALU_CYCLE_1)
	s_and_not1_b32 vcc_lo, exec_lo, s7
	s_cbranch_vccnz .LBB368_1800
; %bb.1793:
	v_cvt_f32_i32_e32 v1, v0
	v_mov_b32_e32 v8, 0x80
	s_mov_b32 s7, exec_lo
	s_delay_alu instid0(VALU_DEP_2) | instskip(NEXT) | instid1(VALU_DEP_1)
	v_and_b32_e32 v5, 0x7fffffff, v1
	v_cmpx_gt_u32_e32 0x43800000, v5
	s_cbranch_execz .LBB368_1799
; %bb.1794:
	v_cmp_lt_u32_e32 vcc_lo, 0x3bffffff, v5
	s_mov_b32 s8, 0
                                        ; implicit-def: $vgpr5
	s_and_saveexec_b32 s9, vcc_lo
	s_delay_alu instid0(SALU_CYCLE_1)
	s_xor_b32 s9, exec_lo, s9
	s_cbranch_execz .LBB368_2027
; %bb.1795:
	v_bfe_u32 v5, v1, 20, 1
	s_mov_b32 s8, exec_lo
	s_delay_alu instid0(VALU_DEP_1) | instskip(NEXT) | instid1(VALU_DEP_1)
	v_add3_u32 v5, v1, v5, 0x487ffff
	v_lshrrev_b32_e32 v5, 20, v5
	s_or_saveexec_b32 s9, s9
                                        ; implicit-def: $sgpr12
	s_delay_alu instid0(SALU_CYCLE_1)
	s_xor_b32 exec_lo, exec_lo, s9
	s_cbranch_execnz .LBB368_2028
.LBB368_1796:
	s_or_b32 exec_lo, exec_lo, s9
	v_mov_b32_e32 v8, s12
	s_and_saveexec_b32 s9, s8
.LBB368_1797:
	v_lshrrev_b32_e32 v1, 24, v1
	s_delay_alu instid0(VALU_DEP_1)
	v_and_or_b32 v8, 0x80, v1, v5
.LBB368_1798:
	s_or_b32 exec_lo, exec_lo, s9
.LBB368_1799:
	s_delay_alu instid0(SALU_CYCLE_1)
	s_or_b32 exec_lo, exec_lo, s7
	global_store_b8 v[2:3], v8, off
.LBB368_1800:
	s_mov_b32 s7, -1
.LBB368_1801:
	s_mov_b32 s8, 0
.LBB368_1802:
	s_delay_alu instid0(SALU_CYCLE_1)
	s_and_b32 vcc_lo, exec_lo, s8
	s_cbranch_vccz .LBB368_1842
; %bb.1803:
	v_cmp_lt_i16_e32 vcc_lo, 22, v6
	s_mov_b32 s6, -1
	s_cbranch_vccz .LBB368_1835
; %bb.1804:
	v_cmp_gt_i16_e32 vcc_lo, 24, v6
	s_cbranch_vccnz .LBB368_1824
; %bb.1805:
	v_cmp_lt_i16_e32 vcc_lo, 24, v6
	s_cbranch_vccz .LBB368_1813
; %bb.1806:
	v_cvt_f32_i32_e32 v1, v0
	v_mov_b32_e32 v8, 0x80
	s_mov_b32 s6, exec_lo
	s_delay_alu instid0(VALU_DEP_2) | instskip(NEXT) | instid1(VALU_DEP_1)
	v_and_b32_e32 v5, 0x7fffffff, v1
	v_cmpx_gt_u32_e32 0x47800000, v5
	s_cbranch_execz .LBB368_1812
; %bb.1807:
	v_cmp_lt_u32_e32 vcc_lo, 0x37ffffff, v5
	s_mov_b32 s7, 0
                                        ; implicit-def: $vgpr5
	s_and_saveexec_b32 s8, vcc_lo
	s_delay_alu instid0(SALU_CYCLE_1)
	s_xor_b32 s8, exec_lo, s8
	s_cbranch_execz .LBB368_2033
; %bb.1808:
	v_bfe_u32 v5, v1, 21, 1
	s_mov_b32 s7, exec_lo
	s_delay_alu instid0(VALU_DEP_1) | instskip(NEXT) | instid1(VALU_DEP_1)
	v_add3_u32 v5, v1, v5, 0x88fffff
	v_lshrrev_b32_e32 v5, 21, v5
	s_or_saveexec_b32 s8, s8
                                        ; implicit-def: $sgpr9
	s_delay_alu instid0(SALU_CYCLE_1)
	s_xor_b32 exec_lo, exec_lo, s8
	s_cbranch_execnz .LBB368_2034
.LBB368_1809:
	s_or_b32 exec_lo, exec_lo, s8
	v_mov_b32_e32 v8, s9
	s_and_saveexec_b32 s8, s7
.LBB368_1810:
	v_lshrrev_b32_e32 v1, 24, v1
	s_delay_alu instid0(VALU_DEP_1)
	v_and_or_b32 v8, 0x80, v1, v5
.LBB368_1811:
	s_or_b32 exec_lo, exec_lo, s8
.LBB368_1812:
	s_delay_alu instid0(SALU_CYCLE_1)
	s_or_b32 exec_lo, exec_lo, s6
	s_mov_b32 s6, 0
	global_store_b8 v[2:3], v8, off
.LBB368_1813:
	s_and_b32 vcc_lo, exec_lo, s6
	s_cbranch_vccz .LBB368_1823
; %bb.1814:
	v_cvt_f32_i32_e32 v1, v0
	s_mov_b32 s6, exec_lo
                                        ; implicit-def: $vgpr5
	s_delay_alu instid0(VALU_DEP_1) | instskip(NEXT) | instid1(VALU_DEP_1)
	v_and_b32_e32 v8, 0x7fffffff, v1
	v_cmpx_gt_u32_e32 0x43f00000, v8
	s_xor_b32 s6, exec_lo, s6
	s_cbranch_execz .LBB368_1820
; %bb.1815:
	s_mov_b32 s7, exec_lo
                                        ; implicit-def: $vgpr5
	v_cmpx_lt_u32_e32 0x3c7fffff, v8
	s_xor_b32 s7, exec_lo, s7
; %bb.1816:
	v_bfe_u32 v5, v1, 20, 1
	s_delay_alu instid0(VALU_DEP_1) | instskip(NEXT) | instid1(VALU_DEP_1)
	v_add3_u32 v5, v1, v5, 0x407ffff
	v_and_b32_e32 v8, 0xff00000, v5
	v_lshrrev_b32_e32 v5, 20, v5
	s_delay_alu instid0(VALU_DEP_2) | instskip(NEXT) | instid1(VALU_DEP_2)
	v_cmp_ne_u32_e32 vcc_lo, 0x7f00000, v8
	v_cndmask_b32_e32 v5, 0x7e, v5, vcc_lo
; %bb.1817:
	s_and_not1_saveexec_b32 s7, s7
; %bb.1818:
	v_add_f32_e64 v5, 0x46800000, |v1|
; %bb.1819:
	s_or_b32 exec_lo, exec_lo, s7
                                        ; implicit-def: $vgpr8
.LBB368_1820:
	s_and_not1_saveexec_b32 s6, s6
; %bb.1821:
	v_mov_b32_e32 v5, 0x7f
	v_cmp_lt_u32_e32 vcc_lo, 0x7f800000, v8
	s_delay_alu instid0(VALU_DEP_2)
	v_cndmask_b32_e32 v5, 0x7e, v5, vcc_lo
; %bb.1822:
	s_or_b32 exec_lo, exec_lo, s6
	v_lshrrev_b32_e32 v1, 24, v1
	s_delay_alu instid0(VALU_DEP_1)
	v_and_or_b32 v1, 0x80, v1, v5
	global_store_b8 v[2:3], v1, off
.LBB368_1823:
	s_mov_b32 s6, 0
.LBB368_1824:
	s_delay_alu instid0(SALU_CYCLE_1)
	s_and_not1_b32 vcc_lo, exec_lo, s6
	s_cbranch_vccnz .LBB368_1834
; %bb.1825:
	v_cvt_f32_i32_e32 v1, v0
	s_mov_b32 s6, exec_lo
                                        ; implicit-def: $vgpr5
	s_delay_alu instid0(VALU_DEP_1) | instskip(NEXT) | instid1(VALU_DEP_1)
	v_and_b32_e32 v8, 0x7fffffff, v1
	v_cmpx_gt_u32_e32 0x47800000, v8
	s_xor_b32 s6, exec_lo, s6
	s_cbranch_execz .LBB368_1831
; %bb.1826:
	s_mov_b32 s7, exec_lo
                                        ; implicit-def: $vgpr5
	v_cmpx_lt_u32_e32 0x387fffff, v8
	s_xor_b32 s7, exec_lo, s7
; %bb.1827:
	v_bfe_u32 v5, v1, 21, 1
	s_delay_alu instid0(VALU_DEP_1) | instskip(NEXT) | instid1(VALU_DEP_1)
	v_add3_u32 v5, v1, v5, 0x80fffff
	v_lshrrev_b32_e32 v5, 21, v5
; %bb.1828:
	s_and_not1_saveexec_b32 s7, s7
; %bb.1829:
	v_add_f32_e64 v5, 0x43000000, |v1|
; %bb.1830:
	s_or_b32 exec_lo, exec_lo, s7
                                        ; implicit-def: $vgpr8
.LBB368_1831:
	s_and_not1_saveexec_b32 s6, s6
; %bb.1832:
	v_mov_b32_e32 v5, 0x7f
	v_cmp_lt_u32_e32 vcc_lo, 0x7f800000, v8
	s_delay_alu instid0(VALU_DEP_2)
	v_cndmask_b32_e32 v5, 0x7c, v5, vcc_lo
; %bb.1833:
	s_or_b32 exec_lo, exec_lo, s6
	v_lshrrev_b32_e32 v1, 24, v1
	s_delay_alu instid0(VALU_DEP_1)
	v_and_or_b32 v1, 0x80, v1, v5
	global_store_b8 v[2:3], v1, off
.LBB368_1834:
	s_mov_b32 s6, 0
	s_mov_b32 s7, -1
.LBB368_1835:
	s_and_not1_b32 vcc_lo, exec_lo, s6
	s_mov_b32 s6, 0
	s_cbranch_vccnz .LBB368_1842
; %bb.1836:
	v_cmp_lt_i16_e32 vcc_lo, 14, v6
	s_mov_b32 s6, -1
	s_cbranch_vccz .LBB368_1840
; %bb.1837:
	v_cmp_eq_u16_e32 vcc_lo, 15, v6
	s_mov_b32 s0, -1
	s_cbranch_vccz .LBB368_1839
; %bb.1838:
	v_cvt_f32_i32_e32 v1, v0
	s_mov_b32 s0, 0
	s_mov_b32 s7, -1
	s_delay_alu instid0(VALU_DEP_1) | instskip(NEXT) | instid1(VALU_DEP_1)
	v_bfe_u32 v5, v1, 16, 1
	v_add3_u32 v1, v1, v5, 0x7fff
	global_store_d16_hi_b16 v[2:3], v1, off
.LBB368_1839:
	s_mov_b32 s6, 0
.LBB368_1840:
	s_delay_alu instid0(SALU_CYCLE_1)
	s_and_b32 vcc_lo, exec_lo, s6
	s_mov_b32 s6, 0
	s_cbranch_vccz .LBB368_1842
; %bb.1841:
	v_cmp_ne_u16_e64 s0, 11, v6
	s_mov_b32 s6, -1
.LBB368_1842:
	s_delay_alu instid0(VALU_DEP_1)
	s_and_b32 vcc_lo, exec_lo, s0
	s_cbranch_vccnz .LBB368_2031
; %bb.1843:
	s_and_not1_b32 vcc_lo, exec_lo, s6
	s_cbranch_vccnz .LBB368_1845
.LBB368_1844:
	v_cmp_ne_u32_e32 vcc_lo, 0, v0
	s_mov_b32 s7, -1
	v_cndmask_b32_e64 v1, 0, 1, vcc_lo
	global_store_b8 v[2:3], v1, off
.LBB368_1845:
	s_mov_b32 s0, 0
	s_branch .LBB368_1847
.LBB368_1846:
	s_mov_b32 s0, -1
	s_mov_b32 s7, 0
.LBB368_1847:
	s_and_b32 vcc_lo, exec_lo, s0
	s_cbranch_vccz .LBB368_1886
; %bb.1848:
	v_cmp_gt_i16_e32 vcc_lo, 5, v6
	s_mov_b32 s0, -1
	s_cbranch_vccnz .LBB368_1869
; %bb.1849:
	v_cmp_gt_i16_e32 vcc_lo, 8, v6
	s_cbranch_vccnz .LBB368_1859
; %bb.1850:
	v_cmp_gt_i16_e32 vcc_lo, 9, v6
	s_cbranch_vccnz .LBB368_1856
; %bb.1851:
	v_cmp_lt_i16_e32 vcc_lo, 9, v6
	s_cbranch_vccz .LBB368_1853
; %bb.1852:
	v_cvt_f64_i32_e32 v[8:9], v0
	v_mov_b32_e32 v10, 0
	s_mov_b32 s0, 0
	s_delay_alu instid0(VALU_DEP_1)
	v_mov_b32_e32 v11, v10
	global_store_b128 v[2:3], v[8:11], off
.LBB368_1853:
	s_and_not1_b32 vcc_lo, exec_lo, s0
	s_cbranch_vccnz .LBB368_1855
; %bb.1854:
	v_cvt_f32_i32_e32 v8, v0
	v_mov_b32_e32 v9, 0
	global_store_b64 v[2:3], v[8:9], off
.LBB368_1855:
	s_mov_b32 s0, 0
.LBB368_1856:
	s_delay_alu instid0(SALU_CYCLE_1)
	s_and_not1_b32 vcc_lo, exec_lo, s0
	s_cbranch_vccnz .LBB368_1858
; %bb.1857:
	v_cvt_f32_i32_e32 v1, v0
	s_delay_alu instid0(VALU_DEP_1) | instskip(NEXT) | instid1(VALU_DEP_1)
	v_cvt_f16_f32_e32 v1, v1
	v_and_b32_e32 v1, 0xffff, v1
	global_store_b32 v[2:3], v1, off
.LBB368_1858:
	s_mov_b32 s0, 0
.LBB368_1859:
	s_delay_alu instid0(SALU_CYCLE_1)
	s_and_not1_b32 vcc_lo, exec_lo, s0
	s_cbranch_vccnz .LBB368_1868
; %bb.1860:
	v_cmp_gt_i16_e32 vcc_lo, 6, v6
	s_mov_b32 s0, -1
	s_cbranch_vccnz .LBB368_1866
; %bb.1861:
	v_cmp_lt_i16_e32 vcc_lo, 6, v6
	s_cbranch_vccz .LBB368_1863
; %bb.1862:
	v_cvt_f64_i32_e32 v[8:9], v0
	s_mov_b32 s0, 0
	global_store_b64 v[2:3], v[8:9], off
.LBB368_1863:
	s_and_not1_b32 vcc_lo, exec_lo, s0
	s_cbranch_vccnz .LBB368_1865
; %bb.1864:
	v_cvt_f32_i32_e32 v1, v0
	global_store_b32 v[2:3], v1, off
.LBB368_1865:
	s_mov_b32 s0, 0
.LBB368_1866:
	s_delay_alu instid0(SALU_CYCLE_1)
	s_and_not1_b32 vcc_lo, exec_lo, s0
	s_cbranch_vccnz .LBB368_1868
; %bb.1867:
	v_cvt_f32_i32_e32 v1, v0
	s_delay_alu instid0(VALU_DEP_1)
	v_cvt_f16_f32_e32 v1, v1
	global_store_b16 v[2:3], v1, off
.LBB368_1868:
	s_mov_b32 s0, 0
.LBB368_1869:
	s_delay_alu instid0(SALU_CYCLE_1)
	s_and_not1_b32 vcc_lo, exec_lo, s0
	s_cbranch_vccnz .LBB368_1885
; %bb.1870:
	v_cmp_gt_i16_e32 vcc_lo, 2, v6
	s_mov_b32 s0, -1
	s_cbranch_vccnz .LBB368_1880
; %bb.1871:
	v_cmp_gt_i16_e32 vcc_lo, 3, v6
	s_cbranch_vccnz .LBB368_1877
; %bb.1872:
	v_cmp_lt_i16_e32 vcc_lo, 3, v6
	s_cbranch_vccz .LBB368_1874
; %bb.1873:
	v_ashrrev_i32_e32 v1, 31, v0
	s_mov_b32 s0, 0
	global_store_b64 v[2:3], v[0:1], off
.LBB368_1874:
	s_and_not1_b32 vcc_lo, exec_lo, s0
	s_cbranch_vccnz .LBB368_1876
; %bb.1875:
	global_store_b32 v[2:3], v0, off
.LBB368_1876:
	s_mov_b32 s0, 0
.LBB368_1877:
	s_delay_alu instid0(SALU_CYCLE_1)
	s_and_not1_b32 vcc_lo, exec_lo, s0
	s_cbranch_vccnz .LBB368_1879
; %bb.1878:
	global_store_b16 v[2:3], v0, off
.LBB368_1879:
	s_mov_b32 s0, 0
.LBB368_1880:
	s_delay_alu instid0(SALU_CYCLE_1)
	s_and_not1_b32 vcc_lo, exec_lo, s0
	s_cbranch_vccnz .LBB368_1885
; %bb.1881:
	v_cmp_lt_i16_e32 vcc_lo, 0, v6
	s_mov_b32 s0, -1
	s_cbranch_vccz .LBB368_1883
; %bb.1882:
	s_mov_b32 s0, 0
	global_store_b8 v[2:3], v0, off
.LBB368_1883:
	s_and_not1_b32 vcc_lo, exec_lo, s0
	s_cbranch_vccnz .LBB368_1885
; %bb.1884:
	global_store_b8 v[2:3], v0, off
.LBB368_1885:
	s_mov_b32 s7, -1
.LBB368_1886:
	s_delay_alu instid0(SALU_CYCLE_1)
	s_and_not1_b32 vcc_lo, exec_lo, s7
	s_cbranch_vccnz .LBB368_1963
; %bb.1887:
	v_add_nc_u32_e32 v0, s2, v4
	v_cmp_gt_i16_e32 vcc_lo, 11, v6
	v_max_i32_e32 v2, s10, v7
	s_delay_alu instid0(VALU_DEP_3) | instskip(SKIP_1) | instid1(VALU_DEP_1)
	v_ashrrev_i32_e32 v1, 31, v0
	v_add_co_u32 v0, s0, s4, v0
	v_add_co_ci_u32_e64 v1, s0, s5, v1, s0
	s_cbranch_vccnz .LBB368_2008
; %bb.1888:
	v_cmp_lt_i16_e32 vcc_lo, 25, v6
	s_mov_b32 s4, -1
	s_mov_b32 s2, 0
	s_mov_b32 s0, 0
	s_cbranch_vccz .LBB368_1921
; %bb.1889:
	v_cmp_lt_i16_e32 vcc_lo, 28, v6
	s_cbranch_vccz .LBB368_1905
; %bb.1890:
	v_cmp_lt_i16_e32 vcc_lo, 43, v6
	;; [unrolled: 3-line block ×3, first 2 shown]
	s_cbranch_vccz .LBB368_1895
; %bb.1892:
	v_cmp_eq_u16_e32 vcc_lo, 46, v6
	s_mov_b32 s0, -1
	s_cbranch_vccz .LBB368_1894
; %bb.1893:
	v_cvt_f32_i32_e32 v3, v2
	s_mov_b32 s0, 0
	s_delay_alu instid0(VALU_DEP_1) | instskip(NEXT) | instid1(VALU_DEP_1)
	v_bfe_u32 v4, v3, 16, 1
	v_add3_u32 v3, v3, v4, 0x7fff
	s_delay_alu instid0(VALU_DEP_1)
	v_lshrrev_b32_e32 v3, 16, v3
	global_store_b32 v[0:1], v3, off
.LBB368_1894:
	s_mov_b32 s4, 0
.LBB368_1895:
	s_delay_alu instid0(SALU_CYCLE_1)
	s_and_b32 vcc_lo, exec_lo, s4
	s_cbranch_vccz .LBB368_1900
; %bb.1896:
	v_cmp_eq_u16_e32 vcc_lo, 44, v6
	s_mov_b32 s0, -1
	s_cbranch_vccz .LBB368_1900
; %bb.1897:
	v_cvt_f32_i32_e32 v3, v2
	v_mov_b32_e32 v4, 0xff
	s_mov_b32 s4, exec_lo
	s_delay_alu instid0(VALU_DEP_2) | instskip(NEXT) | instid1(VALU_DEP_1)
	v_bfe_u32 v5, v3, 23, 8
	v_cmpx_ne_u32_e32 0xff, v5
; %bb.1898:
	v_and_b32_e32 v4, 0x400000, v3
	v_and_or_b32 v5, 0x3fffff, v3, v5
	v_lshrrev_b32_e32 v3, 23, v3
	s_delay_alu instid0(VALU_DEP_3) | instskip(NEXT) | instid1(VALU_DEP_3)
	v_cmp_ne_u32_e32 vcc_lo, 0, v4
	v_cmp_ne_u32_e64 s0, 0, v5
	s_delay_alu instid0(VALU_DEP_1) | instskip(NEXT) | instid1(SALU_CYCLE_1)
	s_and_b32 s0, vcc_lo, s0
	v_cndmask_b32_e64 v4, 0, 1, s0
	s_delay_alu instid0(VALU_DEP_1)
	v_add_nc_u32_e32 v4, v3, v4
; %bb.1899:
	s_or_b32 exec_lo, exec_lo, s4
	s_mov_b32 s0, 0
	global_store_b8 v[0:1], v4, off
.LBB368_1900:
	s_mov_b32 s4, 0
.LBB368_1901:
	s_delay_alu instid0(SALU_CYCLE_1)
	s_and_b32 vcc_lo, exec_lo, s4
	s_cbranch_vccz .LBB368_1904
; %bb.1902:
	v_cmp_eq_u16_e32 vcc_lo, 29, v6
	s_mov_b32 s0, -1
	s_cbranch_vccz .LBB368_1904
; %bb.1903:
	v_ashrrev_i32_e32 v3, 31, v2
	s_mov_b32 s0, 0
	global_store_b64 v[0:1], v[2:3], off
.LBB368_1904:
	s_mov_b32 s4, 0
.LBB368_1905:
	s_delay_alu instid0(SALU_CYCLE_1)
	s_and_b32 vcc_lo, exec_lo, s4
	s_cbranch_vccz .LBB368_1920
; %bb.1906:
	v_cmp_gt_i16_e32 vcc_lo, 27, v6
	s_mov_b32 s4, -1
	s_cbranch_vccnz .LBB368_1912
; %bb.1907:
	v_cmp_lt_i16_e32 vcc_lo, 27, v6
	s_cbranch_vccz .LBB368_1909
; %bb.1908:
	s_mov_b32 s4, 0
	global_store_b32 v[0:1], v2, off
.LBB368_1909:
	s_and_not1_b32 vcc_lo, exec_lo, s4
	s_cbranch_vccnz .LBB368_1911
; %bb.1910:
	global_store_b16 v[0:1], v2, off
.LBB368_1911:
	s_mov_b32 s4, 0
.LBB368_1912:
	s_delay_alu instid0(SALU_CYCLE_1)
	s_and_not1_b32 vcc_lo, exec_lo, s4
	s_cbranch_vccnz .LBB368_1920
; %bb.1913:
	v_cvt_f32_i32_e32 v3, v2
	v_mov_b32_e32 v5, 0x80
	s_mov_b32 s4, exec_lo
	s_delay_alu instid0(VALU_DEP_2) | instskip(NEXT) | instid1(VALU_DEP_1)
	v_and_b32_e32 v4, 0x7fffffff, v3
	v_cmpx_gt_u32_e32 0x43800000, v4
	s_cbranch_execz .LBB368_1919
; %bb.1914:
	v_cmp_lt_u32_e32 vcc_lo, 0x3bffffff, v4
	s_mov_b32 s5, 0
                                        ; implicit-def: $vgpr4
	s_and_saveexec_b32 s6, vcc_lo
	s_delay_alu instid0(SALU_CYCLE_1)
	s_xor_b32 s6, exec_lo, s6
	s_cbranch_execz .LBB368_2035
; %bb.1915:
	v_bfe_u32 v4, v3, 20, 1
	s_mov_b32 s5, exec_lo
	s_delay_alu instid0(VALU_DEP_1) | instskip(NEXT) | instid1(VALU_DEP_1)
	v_add3_u32 v4, v3, v4, 0x487ffff
	v_lshrrev_b32_e32 v4, 20, v4
	s_or_saveexec_b32 s6, s6
                                        ; implicit-def: $sgpr7
	s_delay_alu instid0(SALU_CYCLE_1)
	s_xor_b32 exec_lo, exec_lo, s6
	s_cbranch_execnz .LBB368_2036
.LBB368_1916:
	s_or_b32 exec_lo, exec_lo, s6
	v_mov_b32_e32 v5, s7
	s_and_saveexec_b32 s6, s5
.LBB368_1917:
	v_lshrrev_b32_e32 v3, 24, v3
	s_delay_alu instid0(VALU_DEP_1)
	v_and_or_b32 v5, 0x80, v3, v4
.LBB368_1918:
	s_or_b32 exec_lo, exec_lo, s6
.LBB368_1919:
	s_delay_alu instid0(SALU_CYCLE_1)
	s_or_b32 exec_lo, exec_lo, s4
	global_store_b8 v[0:1], v5, off
.LBB368_1920:
	s_mov_b32 s4, 0
.LBB368_1921:
	s_delay_alu instid0(SALU_CYCLE_1)
	s_and_b32 vcc_lo, exec_lo, s4
	s_cbranch_vccz .LBB368_1961
; %bb.1922:
	v_cmp_lt_i16_e32 vcc_lo, 22, v6
	s_mov_b32 s2, -1
	s_cbranch_vccz .LBB368_1954
; %bb.1923:
	v_cmp_gt_i16_e32 vcc_lo, 24, v6
	s_cbranch_vccnz .LBB368_1943
; %bb.1924:
	v_cmp_lt_i16_e32 vcc_lo, 24, v6
	s_cbranch_vccz .LBB368_1932
; %bb.1925:
	v_cvt_f32_i32_e32 v3, v2
	v_mov_b32_e32 v5, 0x80
	s_mov_b32 s2, exec_lo
	s_delay_alu instid0(VALU_DEP_2) | instskip(NEXT) | instid1(VALU_DEP_1)
	v_and_b32_e32 v4, 0x7fffffff, v3
	v_cmpx_gt_u32_e32 0x47800000, v4
	s_cbranch_execz .LBB368_1931
; %bb.1926:
	v_cmp_lt_u32_e32 vcc_lo, 0x37ffffff, v4
	s_mov_b32 s4, 0
                                        ; implicit-def: $vgpr4
	s_and_saveexec_b32 s5, vcc_lo
	s_delay_alu instid0(SALU_CYCLE_1)
	s_xor_b32 s5, exec_lo, s5
	s_cbranch_execz .LBB368_2041
; %bb.1927:
	v_bfe_u32 v4, v3, 21, 1
	s_mov_b32 s4, exec_lo
	s_delay_alu instid0(VALU_DEP_1) | instskip(NEXT) | instid1(VALU_DEP_1)
	v_add3_u32 v4, v3, v4, 0x88fffff
	v_lshrrev_b32_e32 v4, 21, v4
	s_or_saveexec_b32 s5, s5
                                        ; implicit-def: $sgpr6
	s_delay_alu instid0(SALU_CYCLE_1)
	s_xor_b32 exec_lo, exec_lo, s5
	s_cbranch_execnz .LBB368_2042
.LBB368_1928:
	s_or_b32 exec_lo, exec_lo, s5
	v_mov_b32_e32 v5, s6
	s_and_saveexec_b32 s5, s4
.LBB368_1929:
	v_lshrrev_b32_e32 v3, 24, v3
	s_delay_alu instid0(VALU_DEP_1)
	v_and_or_b32 v5, 0x80, v3, v4
.LBB368_1930:
	s_or_b32 exec_lo, exec_lo, s5
.LBB368_1931:
	s_delay_alu instid0(SALU_CYCLE_1)
	s_or_b32 exec_lo, exec_lo, s2
	s_mov_b32 s2, 0
	global_store_b8 v[0:1], v5, off
.LBB368_1932:
	s_and_b32 vcc_lo, exec_lo, s2
	s_cbranch_vccz .LBB368_1942
; %bb.1933:
	v_cvt_f32_i32_e32 v3, v2
	s_mov_b32 s2, exec_lo
                                        ; implicit-def: $vgpr4
	s_delay_alu instid0(VALU_DEP_1) | instskip(NEXT) | instid1(VALU_DEP_1)
	v_and_b32_e32 v5, 0x7fffffff, v3
	v_cmpx_gt_u32_e32 0x43f00000, v5
	s_xor_b32 s2, exec_lo, s2
	s_cbranch_execz .LBB368_1939
; %bb.1934:
	s_mov_b32 s4, exec_lo
                                        ; implicit-def: $vgpr4
	v_cmpx_lt_u32_e32 0x3c7fffff, v5
	s_xor_b32 s4, exec_lo, s4
; %bb.1935:
	v_bfe_u32 v4, v3, 20, 1
	s_delay_alu instid0(VALU_DEP_1) | instskip(NEXT) | instid1(VALU_DEP_1)
	v_add3_u32 v4, v3, v4, 0x407ffff
	v_and_b32_e32 v5, 0xff00000, v4
	v_lshrrev_b32_e32 v4, 20, v4
	s_delay_alu instid0(VALU_DEP_2) | instskip(NEXT) | instid1(VALU_DEP_2)
	v_cmp_ne_u32_e32 vcc_lo, 0x7f00000, v5
	v_cndmask_b32_e32 v4, 0x7e, v4, vcc_lo
; %bb.1936:
	s_and_not1_saveexec_b32 s4, s4
; %bb.1937:
	v_add_f32_e64 v4, 0x46800000, |v3|
; %bb.1938:
	s_or_b32 exec_lo, exec_lo, s4
                                        ; implicit-def: $vgpr5
.LBB368_1939:
	s_and_not1_saveexec_b32 s2, s2
; %bb.1940:
	v_mov_b32_e32 v4, 0x7f
	v_cmp_lt_u32_e32 vcc_lo, 0x7f800000, v5
	s_delay_alu instid0(VALU_DEP_2)
	v_cndmask_b32_e32 v4, 0x7e, v4, vcc_lo
; %bb.1941:
	s_or_b32 exec_lo, exec_lo, s2
	v_lshrrev_b32_e32 v3, 24, v3
	s_delay_alu instid0(VALU_DEP_1)
	v_and_or_b32 v3, 0x80, v3, v4
	global_store_b8 v[0:1], v3, off
.LBB368_1942:
	s_mov_b32 s2, 0
.LBB368_1943:
	s_delay_alu instid0(SALU_CYCLE_1)
	s_and_not1_b32 vcc_lo, exec_lo, s2
	s_cbranch_vccnz .LBB368_1953
; %bb.1944:
	v_cvt_f32_i32_e32 v3, v2
	s_mov_b32 s2, exec_lo
                                        ; implicit-def: $vgpr4
	s_delay_alu instid0(VALU_DEP_1) | instskip(NEXT) | instid1(VALU_DEP_1)
	v_and_b32_e32 v5, 0x7fffffff, v3
	v_cmpx_gt_u32_e32 0x47800000, v5
	s_xor_b32 s2, exec_lo, s2
	s_cbranch_execz .LBB368_1950
; %bb.1945:
	s_mov_b32 s4, exec_lo
                                        ; implicit-def: $vgpr4
	v_cmpx_lt_u32_e32 0x387fffff, v5
	s_xor_b32 s4, exec_lo, s4
; %bb.1946:
	v_bfe_u32 v4, v3, 21, 1
	s_delay_alu instid0(VALU_DEP_1) | instskip(NEXT) | instid1(VALU_DEP_1)
	v_add3_u32 v4, v3, v4, 0x80fffff
	v_lshrrev_b32_e32 v4, 21, v4
; %bb.1947:
	s_and_not1_saveexec_b32 s4, s4
; %bb.1948:
	v_add_f32_e64 v4, 0x43000000, |v3|
; %bb.1949:
	s_or_b32 exec_lo, exec_lo, s4
                                        ; implicit-def: $vgpr5
.LBB368_1950:
	s_and_not1_saveexec_b32 s2, s2
; %bb.1951:
	v_mov_b32_e32 v4, 0x7f
	v_cmp_lt_u32_e32 vcc_lo, 0x7f800000, v5
	s_delay_alu instid0(VALU_DEP_2)
	v_cndmask_b32_e32 v4, 0x7c, v4, vcc_lo
; %bb.1952:
	s_or_b32 exec_lo, exec_lo, s2
	v_lshrrev_b32_e32 v3, 24, v3
	s_delay_alu instid0(VALU_DEP_1)
	v_and_or_b32 v3, 0x80, v3, v4
	global_store_b8 v[0:1], v3, off
.LBB368_1953:
	s_mov_b32 s2, 0
.LBB368_1954:
	s_delay_alu instid0(SALU_CYCLE_1)
	s_and_not1_b32 vcc_lo, exec_lo, s2
	s_mov_b32 s2, 0
	s_cbranch_vccnz .LBB368_1961
; %bb.1955:
	v_cmp_lt_i16_e32 vcc_lo, 14, v6
	s_mov_b32 s2, -1
	s_cbranch_vccz .LBB368_1959
; %bb.1956:
	v_cmp_eq_u16_e32 vcc_lo, 15, v6
	s_mov_b32 s0, -1
	s_cbranch_vccz .LBB368_1958
; %bb.1957:
	v_cvt_f32_i32_e32 v3, v2
	s_mov_b32 s0, 0
	s_delay_alu instid0(VALU_DEP_1) | instskip(NEXT) | instid1(VALU_DEP_1)
	v_bfe_u32 v4, v3, 16, 1
	v_add3_u32 v3, v3, v4, 0x7fff
	global_store_d16_hi_b16 v[0:1], v3, off
.LBB368_1958:
	s_mov_b32 s2, 0
.LBB368_1959:
	s_delay_alu instid0(SALU_CYCLE_1)
	s_and_b32 vcc_lo, exec_lo, s2
	s_mov_b32 s2, 0
	s_cbranch_vccz .LBB368_1961
; %bb.1960:
	v_cmp_ne_u16_e64 s0, 11, v6
	s_mov_b32 s2, -1
.LBB368_1961:
	s_delay_alu instid0(VALU_DEP_1)
	s_and_b32 vcc_lo, exec_lo, s0
	s_cbranch_vccnz .LBB368_2039
.LBB368_1962:
	s_mov_b32 s0, 0
	s_branch .LBB368_1964
.LBB368_1963:
	s_mov_b32 s0, 0
	s_mov_b32 s2, 0
                                        ; implicit-def: $vgpr6
                                        ; implicit-def: $vgpr0_vgpr1
                                        ; implicit-def: $vgpr2
.LBB368_1964:
	s_and_not1_b32 s4, s11, exec_lo
	s_and_b32 s5, s1, exec_lo
	s_and_b32 s0, s0, exec_lo
	s_and_b32 s1, s2, exec_lo
	s_or_b32 s11, s4, s5
.LBB368_1965:
	s_or_b32 exec_lo, exec_lo, s3
	s_and_saveexec_b32 s2, s11
	s_cbranch_execz .LBB368_1968
; %bb.1966:
	; divergent unreachable
	s_or_b32 exec_lo, exec_lo, s2
	s_and_saveexec_b32 s2, s1
	s_delay_alu instid0(SALU_CYCLE_1)
	s_xor_b32 s1, exec_lo, s2
	s_cbranch_execnz .LBB368_1969
.LBB368_1967:
	s_or_b32 exec_lo, exec_lo, s1
	s_and_saveexec_b32 s1, s0
	s_cbranch_execnz .LBB368_1970
	s_branch .LBB368_2007
.LBB368_1968:
	s_or_b32 exec_lo, exec_lo, s2
	s_and_saveexec_b32 s2, s1
	s_delay_alu instid0(SALU_CYCLE_1)
	s_xor_b32 s1, exec_lo, s2
	s_cbranch_execz .LBB368_1967
.LBB368_1969:
	s_waitcnt vmcnt(0)
	v_cmp_ne_u32_e32 vcc_lo, 0, v2
	v_cndmask_b32_e64 v3, 0, 1, vcc_lo
	global_store_b8 v[0:1], v3, off
	s_or_b32 exec_lo, exec_lo, s1
	s_and_saveexec_b32 s1, s0
	s_cbranch_execz .LBB368_2007
.LBB368_1970:
	s_waitcnt vmcnt(0)
	v_cmp_gt_i16_e32 vcc_lo, 5, v6
	s_mov_b32 s0, -1
	s_cbranch_vccnz .LBB368_1991
; %bb.1971:
	v_cmp_gt_i16_e32 vcc_lo, 8, v6
	s_cbranch_vccnz .LBB368_1981
; %bb.1972:
	v_cmp_gt_i16_e32 vcc_lo, 9, v6
	s_cbranch_vccnz .LBB368_1978
; %bb.1973:
	v_cmp_lt_i16_e32 vcc_lo, 9, v6
	s_cbranch_vccz .LBB368_1975
; %bb.1974:
	v_cvt_f64_i32_e32 v[7:8], v2
	v_mov_b32_e32 v9, 0
	s_mov_b32 s0, 0
	s_delay_alu instid0(VALU_DEP_1)
	v_mov_b32_e32 v10, v9
	global_store_b128 v[0:1], v[7:10], off
.LBB368_1975:
	s_and_not1_b32 vcc_lo, exec_lo, s0
	s_cbranch_vccnz .LBB368_1977
; %bb.1976:
	v_cvt_f32_i32_e32 v3, v2
	v_mov_b32_e32 v4, 0
	global_store_b64 v[0:1], v[3:4], off
.LBB368_1977:
	s_mov_b32 s0, 0
.LBB368_1978:
	s_delay_alu instid0(SALU_CYCLE_1)
	s_and_not1_b32 vcc_lo, exec_lo, s0
	s_cbranch_vccnz .LBB368_1980
; %bb.1979:
	v_cvt_f32_i32_e32 v3, v2
	s_delay_alu instid0(VALU_DEP_1) | instskip(NEXT) | instid1(VALU_DEP_1)
	v_cvt_f16_f32_e32 v3, v3
	v_and_b32_e32 v3, 0xffff, v3
	global_store_b32 v[0:1], v3, off
.LBB368_1980:
	s_mov_b32 s0, 0
.LBB368_1981:
	s_delay_alu instid0(SALU_CYCLE_1)
	s_and_not1_b32 vcc_lo, exec_lo, s0
	s_cbranch_vccnz .LBB368_1990
; %bb.1982:
	v_cmp_gt_i16_e32 vcc_lo, 6, v6
	s_mov_b32 s0, -1
	s_cbranch_vccnz .LBB368_1988
; %bb.1983:
	v_cmp_lt_i16_e32 vcc_lo, 6, v6
	s_cbranch_vccz .LBB368_1985
; %bb.1984:
	v_cvt_f64_i32_e32 v[3:4], v2
	s_mov_b32 s0, 0
	global_store_b64 v[0:1], v[3:4], off
.LBB368_1985:
	s_and_not1_b32 vcc_lo, exec_lo, s0
	s_cbranch_vccnz .LBB368_1987
; %bb.1986:
	v_cvt_f32_i32_e32 v3, v2
	global_store_b32 v[0:1], v3, off
.LBB368_1987:
	s_mov_b32 s0, 0
.LBB368_1988:
	s_delay_alu instid0(SALU_CYCLE_1)
	s_and_not1_b32 vcc_lo, exec_lo, s0
	s_cbranch_vccnz .LBB368_1990
; %bb.1989:
	v_cvt_f32_i32_e32 v3, v2
	s_delay_alu instid0(VALU_DEP_1)
	v_cvt_f16_f32_e32 v3, v3
	global_store_b16 v[0:1], v3, off
.LBB368_1990:
	s_mov_b32 s0, 0
.LBB368_1991:
	s_delay_alu instid0(SALU_CYCLE_1)
	s_and_not1_b32 vcc_lo, exec_lo, s0
	s_cbranch_vccnz .LBB368_2007
; %bb.1992:
	v_cmp_gt_i16_e32 vcc_lo, 2, v6
	s_mov_b32 s0, -1
	s_cbranch_vccnz .LBB368_2002
; %bb.1993:
	v_cmp_gt_i16_e32 vcc_lo, 3, v6
	s_cbranch_vccnz .LBB368_1999
; %bb.1994:
	v_cmp_lt_i16_e32 vcc_lo, 3, v6
	s_cbranch_vccz .LBB368_1996
; %bb.1995:
	v_ashrrev_i32_e32 v3, 31, v2
	s_mov_b32 s0, 0
	global_store_b64 v[0:1], v[2:3], off
.LBB368_1996:
	s_and_not1_b32 vcc_lo, exec_lo, s0
	s_cbranch_vccnz .LBB368_1998
; %bb.1997:
	global_store_b32 v[0:1], v2, off
.LBB368_1998:
	s_mov_b32 s0, 0
.LBB368_1999:
	s_delay_alu instid0(SALU_CYCLE_1)
	s_and_not1_b32 vcc_lo, exec_lo, s0
	s_cbranch_vccnz .LBB368_2001
; %bb.2000:
	global_store_b16 v[0:1], v2, off
.LBB368_2001:
	s_mov_b32 s0, 0
.LBB368_2002:
	s_delay_alu instid0(SALU_CYCLE_1)
	s_and_not1_b32 vcc_lo, exec_lo, s0
	s_cbranch_vccnz .LBB368_2007
; %bb.2003:
	v_cmp_lt_i16_e32 vcc_lo, 0, v6
	s_mov_b32 s0, -1
	s_cbranch_vccz .LBB368_2005
; %bb.2004:
	s_mov_b32 s0, 0
	global_store_b8 v[0:1], v2, off
.LBB368_2005:
	s_and_not1_b32 vcc_lo, exec_lo, s0
	s_cbranch_vccnz .LBB368_2007
; %bb.2006:
	global_store_b8 v[0:1], v2, off
	s_nop 0
	s_sendmsg sendmsg(MSG_DEALLOC_VGPRS)
	s_endpgm
.LBB368_2007:
	s_nop 0
	s_sendmsg sendmsg(MSG_DEALLOC_VGPRS)
	s_endpgm
.LBB368_2008:
	s_mov_b32 s2, 0
	s_mov_b32 s0, -1
	s_branch .LBB368_1964
.LBB368_2009:
	s_cbranch_execnz .LBB368_2013
; %bb.2010:
	s_or_b32 s1, s1, exec_lo
                                        ; implicit-def: $vgpr7
	s_cbranch_execz .LBB368_1478
	s_branch .LBB368_1479
.LBB368_2011:
	s_or_saveexec_b32 s9, s9
                                        ; implicit-def: $sgpr12
	s_delay_alu instid0(SALU_CYCLE_1)
	s_xor_b32 exec_lo, exec_lo, s9
	s_cbranch_execz .LBB368_1558
.LBB368_2012:
	v_add_f32_e64 v5, 0x46000000, |v1|
	s_and_not1_b32 s7, s7, exec_lo
	s_mov_b32 s12, 0
	s_delay_alu instid0(VALU_DEP_1) | instskip(NEXT) | instid1(VALU_DEP_1)
	v_and_b32_e32 v5, 0xff, v5
	v_cmp_ne_u32_e32 vcc_lo, 0, v5
	s_and_b32 s13, vcc_lo, exec_lo
	s_delay_alu instid0(SALU_CYCLE_1)
	s_or_b32 s7, s7, s13
	s_or_b32 exec_lo, exec_lo, s9
	v_mov_b32_e32 v10, s12
	s_and_saveexec_b32 s9, s7
	s_cbranch_execnz .LBB368_1559
	s_branch .LBB368_1560
.LBB368_2013:
	s_trap 2
	s_sendmsg_rtn_b32 s0, sendmsg(MSG_RTN_GET_DOORBELL)
	s_mov_b32 ttmp2, m0
	s_waitcnt lgkmcnt(0)
	s_and_b32 s0, s0, 0x3ff
	s_delay_alu instid0(SALU_CYCLE_1) | instskip(NEXT) | instid1(SALU_CYCLE_1)
	s_bitset1_b32 s0, 10
	s_mov_b32 m0, s0
	s_sendmsg sendmsg(MSG_INTERRUPT)
	s_mov_b32 m0, ttmp2
.LBB368_2014:                           ; =>This Inner Loop Header: Depth=1
	s_sethalt 5
	s_branch .LBB368_2014
.LBB368_2015:
	s_cbranch_execnz .LBB368_2021
; %bb.2016:
	s_or_b32 s1, s1, exec_lo
	s_cbranch_execz .LBB368_1606
	s_branch .LBB368_1607
.LBB368_2017:
	s_or_saveexec_b32 s7, s7
                                        ; implicit-def: $sgpr9
	s_delay_alu instid0(SALU_CYCLE_1)
	s_xor_b32 exec_lo, exec_lo, s7
	s_cbranch_execz .LBB368_1571
.LBB368_2018:
	v_add_f32_e64 v5, 0x42800000, |v1|
	s_and_not1_b32 s6, s6, exec_lo
	s_mov_b32 s9, 0
	s_delay_alu instid0(VALU_DEP_1) | instskip(NEXT) | instid1(VALU_DEP_1)
	v_and_b32_e32 v5, 0xff, v5
	v_cmp_ne_u32_e32 vcc_lo, 0, v5
	s_and_b32 s12, vcc_lo, exec_lo
	s_delay_alu instid0(SALU_CYCLE_1)
	s_or_b32 s6, s6, s12
	s_or_b32 exec_lo, exec_lo, s7
	v_mov_b32_e32 v10, s9
	s_and_saveexec_b32 s7, s6
	s_cbranch_execnz .LBB368_1572
	s_branch .LBB368_1573
.LBB368_2019:
	s_or_saveexec_b32 s9, s9
                                        ; implicit-def: $sgpr12
	s_delay_alu instid0(SALU_CYCLE_1)
	s_xor_b32 exec_lo, exec_lo, s9
	s_cbranch_execz .LBB368_1677
.LBB368_2020:
	v_add_f32_e64 v5, 0x46000000, |v1|
	s_and_not1_b32 s8, s8, exec_lo
	s_mov_b32 s12, 0
	s_delay_alu instid0(VALU_DEP_1) | instskip(NEXT) | instid1(VALU_DEP_1)
	v_and_b32_e32 v5, 0xff, v5
	v_cmp_ne_u32_e32 vcc_lo, 0, v5
	s_and_b32 s13, vcc_lo, exec_lo
	s_delay_alu instid0(SALU_CYCLE_1)
	s_or_b32 s8, s8, s13
	s_or_b32 exec_lo, exec_lo, s9
	v_mov_b32_e32 v9, s12
	s_and_saveexec_b32 s9, s8
	s_cbranch_execnz .LBB368_1678
	s_branch .LBB368_1679
.LBB368_2021:
	s_trap 2
	s_sendmsg_rtn_b32 s0, sendmsg(MSG_RTN_GET_DOORBELL)
	s_mov_b32 ttmp2, m0
	s_waitcnt lgkmcnt(0)
	s_and_b32 s0, s0, 0x3ff
	s_delay_alu instid0(SALU_CYCLE_1) | instskip(NEXT) | instid1(SALU_CYCLE_1)
	s_bitset1_b32 s0, 10
	s_mov_b32 m0, s0
	s_sendmsg sendmsg(MSG_INTERRUPT)
	s_mov_b32 m0, ttmp2
.LBB368_2022:                           ; =>This Inner Loop Header: Depth=1
	s_sethalt 5
	s_branch .LBB368_2022
.LBB368_2023:
	s_cbranch_execnz .LBB368_2029
; %bb.2024:
	s_or_b32 s1, s1, exec_lo
	s_cbranch_execz .LBB368_1725
	s_branch .LBB368_1726
.LBB368_2025:
	s_or_saveexec_b32 s8, s8
                                        ; implicit-def: $sgpr9
	s_delay_alu instid0(SALU_CYCLE_1)
	s_xor_b32 exec_lo, exec_lo, s8
	s_cbranch_execz .LBB368_1690
.LBB368_2026:
	v_add_f32_e64 v5, 0x42800000, |v1|
	s_and_not1_b32 s7, s7, exec_lo
	s_mov_b32 s9, 0
	s_delay_alu instid0(VALU_DEP_1) | instskip(NEXT) | instid1(VALU_DEP_1)
	v_and_b32_e32 v5, 0xff, v5
	v_cmp_ne_u32_e32 vcc_lo, 0, v5
	s_and_b32 s12, vcc_lo, exec_lo
	s_delay_alu instid0(SALU_CYCLE_1)
	s_or_b32 s7, s7, s12
	s_or_b32 exec_lo, exec_lo, s8
	v_mov_b32_e32 v9, s9
	s_and_saveexec_b32 s8, s7
	s_cbranch_execnz .LBB368_1691
	s_branch .LBB368_1692
.LBB368_2027:
	s_or_saveexec_b32 s9, s9
                                        ; implicit-def: $sgpr12
	s_delay_alu instid0(SALU_CYCLE_1)
	s_xor_b32 exec_lo, exec_lo, s9
	s_cbranch_execz .LBB368_1796
.LBB368_2028:
	v_add_f32_e64 v5, 0x46000000, |v1|
	s_and_not1_b32 s8, s8, exec_lo
	s_mov_b32 s12, 0
	s_delay_alu instid0(VALU_DEP_1) | instskip(NEXT) | instid1(VALU_DEP_1)
	v_and_b32_e32 v5, 0xff, v5
	v_cmp_ne_u32_e32 vcc_lo, 0, v5
	s_and_b32 s13, vcc_lo, exec_lo
	s_delay_alu instid0(SALU_CYCLE_1)
	s_or_b32 s8, s8, s13
	s_or_b32 exec_lo, exec_lo, s9
	v_mov_b32_e32 v8, s12
	s_and_saveexec_b32 s9, s8
	s_cbranch_execnz .LBB368_1797
	s_branch .LBB368_1798
.LBB368_2029:
	s_trap 2
	s_sendmsg_rtn_b32 s0, sendmsg(MSG_RTN_GET_DOORBELL)
	s_mov_b32 ttmp2, m0
	s_waitcnt lgkmcnt(0)
	s_and_b32 s0, s0, 0x3ff
	s_delay_alu instid0(SALU_CYCLE_1) | instskip(NEXT) | instid1(SALU_CYCLE_1)
	s_bitset1_b32 s0, 10
	s_mov_b32 m0, s0
	s_sendmsg sendmsg(MSG_INTERRUPT)
	s_mov_b32 m0, ttmp2
.LBB368_2030:                           ; =>This Inner Loop Header: Depth=1
	s_sethalt 5
	s_branch .LBB368_2030
.LBB368_2031:
	s_cbranch_execnz .LBB368_2037
; %bb.2032:
	s_or_b32 s1, s1, exec_lo
	s_cbranch_execz .LBB368_1844
	s_branch .LBB368_1845
.LBB368_2033:
	s_or_saveexec_b32 s8, s8
                                        ; implicit-def: $sgpr9
	s_delay_alu instid0(SALU_CYCLE_1)
	s_xor_b32 exec_lo, exec_lo, s8
	s_cbranch_execz .LBB368_1809
.LBB368_2034:
	v_add_f32_e64 v5, 0x42800000, |v1|
	s_and_not1_b32 s7, s7, exec_lo
	s_mov_b32 s9, 0
	s_delay_alu instid0(VALU_DEP_1) | instskip(NEXT) | instid1(VALU_DEP_1)
	v_and_b32_e32 v5, 0xff, v5
	v_cmp_ne_u32_e32 vcc_lo, 0, v5
	s_and_b32 s12, vcc_lo, exec_lo
	s_delay_alu instid0(SALU_CYCLE_1)
	s_or_b32 s7, s7, s12
	s_or_b32 exec_lo, exec_lo, s8
	v_mov_b32_e32 v8, s9
	s_and_saveexec_b32 s8, s7
	s_cbranch_execnz .LBB368_1810
	s_branch .LBB368_1811
.LBB368_2035:
	s_or_saveexec_b32 s6, s6
                                        ; implicit-def: $sgpr7
	s_delay_alu instid0(SALU_CYCLE_1)
	s_xor_b32 exec_lo, exec_lo, s6
	s_cbranch_execz .LBB368_1916
.LBB368_2036:
	v_add_f32_e64 v4, 0x46000000, |v3|
	s_and_not1_b32 s5, s5, exec_lo
	s_mov_b32 s7, 0
	s_delay_alu instid0(VALU_DEP_1) | instskip(NEXT) | instid1(VALU_DEP_1)
	v_and_b32_e32 v4, 0xff, v4
	v_cmp_ne_u32_e32 vcc_lo, 0, v4
	s_and_b32 s8, vcc_lo, exec_lo
	s_delay_alu instid0(SALU_CYCLE_1)
	s_or_b32 s5, s5, s8
	s_or_b32 exec_lo, exec_lo, s6
	v_mov_b32_e32 v5, s7
	s_and_saveexec_b32 s6, s5
	s_cbranch_execnz .LBB368_1917
	s_branch .LBB368_1918
.LBB368_2037:
	s_trap 2
	s_sendmsg_rtn_b32 s0, sendmsg(MSG_RTN_GET_DOORBELL)
	s_mov_b32 ttmp2, m0
	s_waitcnt lgkmcnt(0)
	s_and_b32 s0, s0, 0x3ff
	s_delay_alu instid0(SALU_CYCLE_1) | instskip(NEXT) | instid1(SALU_CYCLE_1)
	s_bitset1_b32 s0, 10
	s_mov_b32 m0, s0
	s_sendmsg sendmsg(MSG_INTERRUPT)
	s_mov_b32 m0, ttmp2
.LBB368_2038:                           ; =>This Inner Loop Header: Depth=1
	s_sethalt 5
	s_branch .LBB368_2038
.LBB368_2039:
	s_cbranch_execnz .LBB368_2043
; %bb.2040:
	s_mov_b32 s2, 0
	s_or_b32 s1, s1, exec_lo
	s_branch .LBB368_1962
.LBB368_2041:
	s_or_saveexec_b32 s5, s5
                                        ; implicit-def: $sgpr6
	s_delay_alu instid0(SALU_CYCLE_1)
	s_xor_b32 exec_lo, exec_lo, s5
	s_cbranch_execz .LBB368_1928
.LBB368_2042:
	v_add_f32_e64 v4, 0x42800000, |v3|
	s_and_not1_b32 s4, s4, exec_lo
	s_mov_b32 s6, 0
	s_delay_alu instid0(VALU_DEP_1) | instskip(NEXT) | instid1(VALU_DEP_1)
	v_and_b32_e32 v4, 0xff, v4
	v_cmp_ne_u32_e32 vcc_lo, 0, v4
	s_and_b32 s7, vcc_lo, exec_lo
	s_delay_alu instid0(SALU_CYCLE_1)
	s_or_b32 s4, s4, s7
	s_or_b32 exec_lo, exec_lo, s5
	v_mov_b32_e32 v5, s6
	s_and_saveexec_b32 s5, s4
	s_cbranch_execnz .LBB368_1929
	s_branch .LBB368_1930
.LBB368_2043:
	s_trap 2
	s_sendmsg_rtn_b32 s0, sendmsg(MSG_RTN_GET_DOORBELL)
	s_mov_b32 ttmp2, m0
	s_waitcnt lgkmcnt(0)
	s_and_b32 s0, s0, 0x3ff
	s_delay_alu instid0(SALU_CYCLE_1) | instskip(NEXT) | instid1(SALU_CYCLE_1)
	s_bitset1_b32 s0, 10
	s_mov_b32 m0, s0
	s_sendmsg sendmsg(MSG_INTERRUPT)
	s_mov_b32 m0, ttmp2
.LBB368_2044:                           ; =>This Inner Loop Header: Depth=1
	s_sethalt 5
	s_branch .LBB368_2044
	.section	.rodata,"a",@progbits
	.p2align	6, 0x0
	.amdhsa_kernel _ZN2at6native32elementwise_kernel_manual_unrollILi128ELi4EZNS0_15gpu_kernel_implIZZZNS0_21clamp_min_kernel_cudaERNS_18TensorIteratorBaseERKN3c106ScalarEENKUlvE_clEvENKUlvE1_clEvEUliE_EEvS4_RKT_EUlibE_EEviT1_
		.amdhsa_group_segment_fixed_size 0
		.amdhsa_private_segment_fixed_size 0
		.amdhsa_kernarg_size 40
		.amdhsa_user_sgpr_count 15
		.amdhsa_user_sgpr_dispatch_ptr 0
		.amdhsa_user_sgpr_queue_ptr 0
		.amdhsa_user_sgpr_kernarg_segment_ptr 1
		.amdhsa_user_sgpr_dispatch_id 0
		.amdhsa_user_sgpr_private_segment_size 0
		.amdhsa_wavefront_size32 1
		.amdhsa_uses_dynamic_stack 0
		.amdhsa_enable_private_segment 0
		.amdhsa_system_sgpr_workgroup_id_x 1
		.amdhsa_system_sgpr_workgroup_id_y 0
		.amdhsa_system_sgpr_workgroup_id_z 0
		.amdhsa_system_sgpr_workgroup_info 0
		.amdhsa_system_vgpr_workitem_id 0
		.amdhsa_next_free_vgpr 14
		.amdhsa_next_free_sgpr 26
		.amdhsa_reserve_vcc 1
		.amdhsa_float_round_mode_32 0
		.amdhsa_float_round_mode_16_64 0
		.amdhsa_float_denorm_mode_32 3
		.amdhsa_float_denorm_mode_16_64 3
		.amdhsa_dx10_clamp 1
		.amdhsa_ieee_mode 1
		.amdhsa_fp16_overflow 0
		.amdhsa_workgroup_processor_mode 1
		.amdhsa_memory_ordered 1
		.amdhsa_forward_progress 0
		.amdhsa_shared_vgpr_count 0
		.amdhsa_exception_fp_ieee_invalid_op 0
		.amdhsa_exception_fp_denorm_src 0
		.amdhsa_exception_fp_ieee_div_zero 0
		.amdhsa_exception_fp_ieee_overflow 0
		.amdhsa_exception_fp_ieee_underflow 0
		.amdhsa_exception_fp_ieee_inexact 0
		.amdhsa_exception_int_div_zero 0
	.end_amdhsa_kernel
	.section	.text._ZN2at6native32elementwise_kernel_manual_unrollILi128ELi4EZNS0_15gpu_kernel_implIZZZNS0_21clamp_min_kernel_cudaERNS_18TensorIteratorBaseERKN3c106ScalarEENKUlvE_clEvENKUlvE1_clEvEUliE_EEvS4_RKT_EUlibE_EEviT1_,"axG",@progbits,_ZN2at6native32elementwise_kernel_manual_unrollILi128ELi4EZNS0_15gpu_kernel_implIZZZNS0_21clamp_min_kernel_cudaERNS_18TensorIteratorBaseERKN3c106ScalarEENKUlvE_clEvENKUlvE1_clEvEUliE_EEvS4_RKT_EUlibE_EEviT1_,comdat
.Lfunc_end368:
	.size	_ZN2at6native32elementwise_kernel_manual_unrollILi128ELi4EZNS0_15gpu_kernel_implIZZZNS0_21clamp_min_kernel_cudaERNS_18TensorIteratorBaseERKN3c106ScalarEENKUlvE_clEvENKUlvE1_clEvEUliE_EEvS4_RKT_EUlibE_EEviT1_, .Lfunc_end368-_ZN2at6native32elementwise_kernel_manual_unrollILi128ELi4EZNS0_15gpu_kernel_implIZZZNS0_21clamp_min_kernel_cudaERNS_18TensorIteratorBaseERKN3c106ScalarEENKUlvE_clEvENKUlvE1_clEvEUliE_EEvS4_RKT_EUlibE_EEviT1_
                                        ; -- End function
	.section	.AMDGPU.csdata,"",@progbits
; Kernel info:
; codeLenInByte = 32660
; NumSgprs: 28
; NumVgprs: 14
; ScratchSize: 0
; MemoryBound: 1
; FloatMode: 240
; IeeeMode: 1
; LDSByteSize: 0 bytes/workgroup (compile time only)
; SGPRBlocks: 3
; VGPRBlocks: 1
; NumSGPRsForWavesPerEU: 28
; NumVGPRsForWavesPerEU: 14
; Occupancy: 16
; WaveLimiterHint : 0
; COMPUTE_PGM_RSRC2:SCRATCH_EN: 0
; COMPUTE_PGM_RSRC2:USER_SGPR: 15
; COMPUTE_PGM_RSRC2:TRAP_HANDLER: 0
; COMPUTE_PGM_RSRC2:TGID_X_EN: 1
; COMPUTE_PGM_RSRC2:TGID_Y_EN: 0
; COMPUTE_PGM_RSRC2:TGID_Z_EN: 0
; COMPUTE_PGM_RSRC2:TIDIG_COMP_CNT: 0
	.section	.text._ZN2at6native32elementwise_kernel_manual_unrollILi128ELi4EZNS0_15gpu_kernel_implIZZZNS0_21clamp_min_kernel_cudaERNS_18TensorIteratorBaseERKN3c106ScalarEENKUlvE_clEvENKUlvE1_clEvEUliE_EEvS4_RKT_EUlibE0_EEviT1_,"axG",@progbits,_ZN2at6native32elementwise_kernel_manual_unrollILi128ELi4EZNS0_15gpu_kernel_implIZZZNS0_21clamp_min_kernel_cudaERNS_18TensorIteratorBaseERKN3c106ScalarEENKUlvE_clEvENKUlvE1_clEvEUliE_EEvS4_RKT_EUlibE0_EEviT1_,comdat
	.globl	_ZN2at6native32elementwise_kernel_manual_unrollILi128ELi4EZNS0_15gpu_kernel_implIZZZNS0_21clamp_min_kernel_cudaERNS_18TensorIteratorBaseERKN3c106ScalarEENKUlvE_clEvENKUlvE1_clEvEUliE_EEvS4_RKT_EUlibE0_EEviT1_ ; -- Begin function _ZN2at6native32elementwise_kernel_manual_unrollILi128ELi4EZNS0_15gpu_kernel_implIZZZNS0_21clamp_min_kernel_cudaERNS_18TensorIteratorBaseERKN3c106ScalarEENKUlvE_clEvENKUlvE1_clEvEUliE_EEvS4_RKT_EUlibE0_EEviT1_
	.p2align	8
	.type	_ZN2at6native32elementwise_kernel_manual_unrollILi128ELi4EZNS0_15gpu_kernel_implIZZZNS0_21clamp_min_kernel_cudaERNS_18TensorIteratorBaseERKN3c106ScalarEENKUlvE_clEvENKUlvE1_clEvEUliE_EEvS4_RKT_EUlibE0_EEviT1_,@function
_ZN2at6native32elementwise_kernel_manual_unrollILi128ELi4EZNS0_15gpu_kernel_implIZZZNS0_21clamp_min_kernel_cudaERNS_18TensorIteratorBaseERKN3c106ScalarEENKUlvE_clEvENKUlvE1_clEvEUliE_EEvS4_RKT_EUlibE0_EEviT1_: ; @_ZN2at6native32elementwise_kernel_manual_unrollILi128ELi4EZNS0_15gpu_kernel_implIZZZNS0_21clamp_min_kernel_cudaERNS_18TensorIteratorBaseERKN3c106ScalarEENKUlvE_clEvENKUlvE1_clEvEUliE_EEvS4_RKT_EUlibE0_EEviT1_
; %bb.0:
	s_clause 0x1
	s_load_b32 s26, s[0:1], 0x8
	s_load_b32 s33, s[0:1], 0x0
	v_lshl_or_b32 v8, s15, 9, v0
	s_or_b32 s16, s0, 8
	s_mov_b32 s3, -1
	s_mov_b32 s28, 0
	s_mov_b32 s17, s1
	v_or_b32_e32 v9, 0x180, v8
	s_mov_b32 s8, 0
	s_mov_b32 s2, exec_lo
	s_waitcnt lgkmcnt(0)
	s_add_i32 s27, s26, -1
	s_delay_alu instid0(SALU_CYCLE_1)
	s_cmp_gt_u32 s27, 1
	s_cselect_b32 s29, -1, 0
	v_cmpx_le_i32_e64 s33, v9
	s_xor_b32 s30, exec_lo, s2
	s_cbranch_execz .LBB369_1060
; %bb.1:
	s_clause 0x4
	s_load_b64 s[18:19], s[16:17], 0x158
	s_load_b128 s[12:15], s[16:17], 0x4
	s_load_b64 s[20:21], s[16:17], 0x14
	s_load_b128 s[8:11], s[16:17], 0xc4
	s_load_b128 s[4:7], s[16:17], 0x148
	s_cmp_lg_u32 s26, 0
	s_mov_b32 s39, 0
	s_cselect_b32 s35, -1, 0
	s_add_u32 s22, s16, 0xc4
	s_addc_u32 s23, s17, 0
	s_min_u32 s34, s27, 15
	s_cmp_gt_u32 s26, 1
	s_mov_b32 s37, 0
	s_cselect_b32 s31, -1, 0
	s_mov_b32 s36, 0
	s_mov_b32 s38, exec_lo
	s_waitcnt lgkmcnt(0)
	v_lshrrev_b16 v5, 8, s19
	v_cmpx_gt_i32_e64 s33, v8
	s_cbranch_execz .LBB369_259
; %bb.2:
	s_and_not1_b32 vcc_lo, exec_lo, s29
	s_cbranch_vccnz .LBB369_7
; %bb.3:
	v_dual_mov_b32 v0, 0 :: v_dual_mov_b32 v1, 0
	s_and_not1_b32 vcc_lo, exec_lo, s35
	s_cbranch_vccnz .LBB369_12
; %bb.4:
	v_mov_b32_e32 v0, 0
	s_add_i32 s40, s34, 1
	s_cmp_eq_u32 s27, 2
	s_cbranch_scc1 .LBB369_8
; %bb.5:
	v_dual_mov_b32 v1, 0 :: v_dual_mov_b32 v0, 0
	v_mov_b32_e32 v2, v8
	s_and_b32 s37, s40, 28
	s_mov_b32 s41, 0
	s_mov_b64 s[2:3], s[22:23]
	s_mov_b64 s[24:25], s[16:17]
.LBB369_6:                              ; =>This Inner Loop Header: Depth=1
	s_clause 0x1
	s_load_b256 s[44:51], s[24:25], 0x4
	s_load_b128 s[60:63], s[24:25], 0x24
	s_load_b256 s[52:59], s[2:3], 0x0
	s_add_u32 s24, s24, 48
	s_addc_u32 s25, s25, 0
	s_add_i32 s41, s41, 4
	s_add_u32 s2, s2, 32
	s_addc_u32 s3, s3, 0
	s_cmp_lg_u32 s37, s41
	s_waitcnt lgkmcnt(0)
	v_mul_hi_u32 v3, s45, v2
	s_delay_alu instid0(VALU_DEP_1) | instskip(NEXT) | instid1(VALU_DEP_1)
	v_add_nc_u32_e32 v3, v2, v3
	v_lshrrev_b32_e32 v3, s46, v3
	s_delay_alu instid0(VALU_DEP_1) | instskip(SKIP_1) | instid1(VALU_DEP_2)
	v_mul_hi_u32 v4, s48, v3
	v_mul_lo_u32 v7, v3, s44
	v_add_nc_u32_e32 v4, v3, v4
	s_delay_alu instid0(VALU_DEP_2) | instskip(NEXT) | instid1(VALU_DEP_2)
	v_sub_nc_u32_e32 v2, v2, v7
	v_lshrrev_b32_e32 v4, s49, v4
	s_delay_alu instid0(VALU_DEP_2) | instskip(SKIP_1) | instid1(VALU_DEP_3)
	v_mul_lo_u32 v7, v2, s52
	v_mul_lo_u32 v10, v2, s53
	v_mul_hi_u32 v6, s51, v4
	s_delay_alu instid0(VALU_DEP_1) | instskip(NEXT) | instid1(VALU_DEP_1)
	v_add_nc_u32_e32 v6, v4, v6
	v_lshrrev_b32_e32 v6, s60, v6
	s_delay_alu instid0(VALU_DEP_1) | instskip(SKIP_1) | instid1(VALU_DEP_2)
	v_mul_hi_u32 v9, s62, v6
	v_mul_lo_u32 v11, v6, s50
	v_add_nc_u32_e32 v2, v6, v9
	v_mul_lo_u32 v9, v4, s47
	s_delay_alu instid0(VALU_DEP_3) | instskip(NEXT) | instid1(VALU_DEP_3)
	v_sub_nc_u32_e32 v4, v4, v11
	v_lshrrev_b32_e32 v2, s63, v2
	s_delay_alu instid0(VALU_DEP_2) | instskip(SKIP_2) | instid1(VALU_DEP_4)
	v_mul_lo_u32 v11, v4, s56
	v_mul_lo_u32 v4, v4, s57
	v_sub_nc_u32_e32 v3, v3, v9
	v_mul_lo_u32 v12, v2, s61
	s_delay_alu instid0(VALU_DEP_2) | instskip(SKIP_1) | instid1(VALU_DEP_3)
	v_mul_lo_u32 v9, v3, s54
	v_mul_lo_u32 v3, v3, s55
	v_sub_nc_u32_e32 v6, v6, v12
	s_delay_alu instid0(VALU_DEP_3) | instskip(NEXT) | instid1(VALU_DEP_2)
	v_add3_u32 v0, v7, v0, v9
	v_mul_lo_u32 v12, v6, s58
	v_mul_lo_u32 v6, v6, s59
	v_add3_u32 v1, v10, v1, v3
	s_delay_alu instid0(VALU_DEP_3) | instskip(NEXT) | instid1(VALU_DEP_2)
	v_add3_u32 v0, v11, v0, v12
	v_add3_u32 v1, v4, v1, v6
	s_cbranch_scc1 .LBB369_6
	s_branch .LBB369_9
.LBB369_7:
	s_mov_b32 s36, -1
                                        ; implicit-def: $vgpr0
                                        ; implicit-def: $vgpr1
	s_branch .LBB369_12
.LBB369_8:
	v_dual_mov_b32 v2, v8 :: v_dual_mov_b32 v1, 0
.LBB369_9:
	s_and_b32 s40, s40, 3
	s_delay_alu instid0(SALU_CYCLE_1)
	s_cmp_eq_u32 s40, 0
	s_cbranch_scc1 .LBB369_12
; %bb.10:
	s_lshl_b32 s2, s37, 3
	s_mul_i32 s24, s37, 12
	s_add_u32 s2, s2, s16
	s_addc_u32 s3, s17, 0
	s_add_u32 s2, s2, 0xc4
	s_addc_u32 s3, s3, 0
	;; [unrolled: 2-line block ×3, first 2 shown]
	.p2align	6
.LBB369_11:                             ; =>This Inner Loop Header: Depth=1
	s_clause 0x1
	s_load_b64 s[42:43], s[24:25], 0x4
	s_load_b32 s37, s[24:25], 0xc
	s_load_b64 s[44:45], s[2:3], 0x0
	s_add_u32 s24, s24, 12
	s_addc_u32 s25, s25, 0
	s_add_u32 s2, s2, 8
	s_addc_u32 s3, s3, 0
	s_add_i32 s40, s40, -1
	s_delay_alu instid0(SALU_CYCLE_1) | instskip(SKIP_2) | instid1(VALU_DEP_1)
	s_cmp_lg_u32 s40, 0
	s_waitcnt lgkmcnt(0)
	v_mul_hi_u32 v3, s43, v2
	v_add_nc_u32_e32 v3, v2, v3
	s_delay_alu instid0(VALU_DEP_1) | instskip(NEXT) | instid1(VALU_DEP_1)
	v_lshrrev_b32_e32 v9, s37, v3
	v_mul_lo_u32 v3, v9, s42
	s_delay_alu instid0(VALU_DEP_1) | instskip(NEXT) | instid1(VALU_DEP_1)
	v_sub_nc_u32_e32 v2, v2, v3
	v_mad_u64_u32 v[3:4], null, v2, s44, v[0:1]
	v_mad_u64_u32 v[6:7], null, v2, s45, v[1:2]
	v_mov_b32_e32 v2, v9
	s_delay_alu instid0(VALU_DEP_2)
	v_dual_mov_b32 v0, v3 :: v_dual_mov_b32 v1, v6
	s_cbranch_scc1 .LBB369_11
.LBB369_12:
	s_and_not1_b32 vcc_lo, exec_lo, s36
	s_cbranch_vccnz .LBB369_15
; %bb.13:
	v_mul_hi_u32 v0, s13, v8
	s_and_not1_b32 vcc_lo, exec_lo, s31
	s_delay_alu instid0(VALU_DEP_1) | instskip(NEXT) | instid1(VALU_DEP_1)
	v_add_nc_u32_e32 v0, v8, v0
	v_lshrrev_b32_e32 v2, s14, v0
	s_delay_alu instid0(VALU_DEP_1) | instskip(NEXT) | instid1(VALU_DEP_1)
	v_mul_lo_u32 v0, v2, s12
	v_sub_nc_u32_e32 v1, v8, v0
	s_delay_alu instid0(VALU_DEP_1)
	v_mul_lo_u32 v0, v1, s8
	v_mul_lo_u32 v1, v1, s9
	s_cbranch_vccnz .LBB369_15
; %bb.14:
	v_mul_hi_u32 v3, s20, v2
	s_delay_alu instid0(VALU_DEP_1) | instskip(NEXT) | instid1(VALU_DEP_1)
	v_add_nc_u32_e32 v3, v2, v3
	v_lshrrev_b32_e32 v3, s21, v3
	s_delay_alu instid0(VALU_DEP_1) | instskip(NEXT) | instid1(VALU_DEP_1)
	v_mul_lo_u32 v3, v3, s15
	v_sub_nc_u32_e32 v6, v2, v3
	s_delay_alu instid0(VALU_DEP_1) | instskip(NEXT) | instid1(VALU_DEP_1)
	v_mad_u64_u32 v[2:3], null, v6, s10, v[0:1]
	v_mad_u64_u32 v[3:4], null, v6, s11, v[1:2]
	s_delay_alu instid0(VALU_DEP_1)
	v_dual_mov_b32 v0, v2 :: v_dual_mov_b32 v1, v3
.LBB369_15:
	v_cmp_gt_i16_e32 vcc_lo, 11, v5
	s_delay_alu instid0(VALU_DEP_2) | instskip(NEXT) | instid1(VALU_DEP_1)
	v_add_co_u32 v1, s2, s6, v1
	v_add_co_ci_u32_e64 v2, null, s7, 0, s2
	s_mov_b32 s3, 0
	s_cbranch_vccnz .LBB369_22
; %bb.16:
	v_cmp_lt_i16_e32 vcc_lo, 25, v5
	s_cbranch_vccz .LBB369_141
; %bb.17:
	v_cmp_lt_i16_e32 vcc_lo, 28, v5
	s_cbranch_vccz .LBB369_142
	;; [unrolled: 3-line block ×4, first 2 shown]
; %bb.20:
	v_cmp_eq_u16_e32 vcc_lo, 46, v5
	s_mov_b32 s24, 0
	s_cbranch_vccz .LBB369_145
; %bb.21:
	global_load_b32 v3, v[1:2], off
	s_mov_b32 s2, -1
	s_waitcnt vmcnt(0)
	v_lshlrev_b32_e32 v3, 16, v3
	s_delay_alu instid0(VALU_DEP_1)
	v_cvt_i32_f32_e32 v3, v3
	s_branch .LBB369_147
.LBB369_22:
	s_mov_b32 s2, 0
                                        ; implicit-def: $vgpr3
	s_cbranch_execnz .LBB369_209
.LBB369_23:
	s_and_not1_b32 vcc_lo, exec_lo, s2
	s_cbranch_vccnz .LBB369_256
.LBB369_24:
	v_and_b32_e64 v6, 0xff, s19
	s_waitcnt vmcnt(0)
	s_delay_alu instid0(VALU_DEP_2) | instskip(SKIP_1) | instid1(VALU_DEP_1)
	v_max_i32_e32 v1, s18, v3
	v_add_co_u32 v3, s24, s4, v0
	v_add_co_ci_u32_e64 v4, null, s5, 0, s24
	v_cmp_gt_i16_e32 vcc_lo, 11, v6
	s_mov_b32 s2, 0
	s_mov_b32 s25, -1
	s_mov_b32 s24, 0
	s_cbranch_vccnz .LBB369_101
; %bb.25:
	v_cmp_lt_i16_e32 vcc_lo, 25, v6
	s_cbranch_vccz .LBB369_58
; %bb.26:
	v_cmp_lt_i16_e32 vcc_lo, 28, v6
	s_cbranch_vccz .LBB369_41
; %bb.27:
	v_cmp_lt_i16_e32 vcc_lo, 43, v6
	s_cbranch_vccz .LBB369_37
; %bb.28:
	v_cmp_lt_i16_e32 vcc_lo, 45, v6
	s_cbranch_vccz .LBB369_31
; %bb.29:
	v_cmp_eq_u16_e32 vcc_lo, 46, v6
	s_mov_b32 s25, 0
	s_mov_b32 s2, -1
	s_cbranch_vccz .LBB369_31
; %bb.30:
	v_cvt_f32_i32_e32 v0, v1
	s_mov_b32 s24, -1
	s_mov_b32 s2, 0
	s_delay_alu instid0(VALU_DEP_1) | instskip(NEXT) | instid1(VALU_DEP_1)
	v_bfe_u32 v2, v0, 16, 1
	v_add3_u32 v0, v0, v2, 0x7fff
	s_delay_alu instid0(VALU_DEP_1)
	v_lshrrev_b32_e32 v0, 16, v0
	global_store_b32 v[3:4], v0, off
.LBB369_31:
	s_and_b32 vcc_lo, exec_lo, s25
	s_cbranch_vccz .LBB369_36
; %bb.32:
	v_cmp_eq_u16_e32 vcc_lo, 44, v6
	s_mov_b32 s2, -1
	s_cbranch_vccz .LBB369_36
; %bb.33:
	v_cvt_f32_i32_e32 v0, v1
	v_mov_b32_e32 v2, 0xff
	s_mov_b32 s24, exec_lo
	s_delay_alu instid0(VALU_DEP_2) | instskip(NEXT) | instid1(VALU_DEP_1)
	v_bfe_u32 v7, v0, 23, 8
	v_cmpx_ne_u32_e32 0xff, v7
; %bb.34:
	v_and_b32_e32 v2, 0x400000, v0
	v_and_or_b32 v7, 0x3fffff, v0, v7
	v_lshrrev_b32_e32 v0, 23, v0
	s_delay_alu instid0(VALU_DEP_3) | instskip(NEXT) | instid1(VALU_DEP_3)
	v_cmp_ne_u32_e32 vcc_lo, 0, v2
	v_cmp_ne_u32_e64 s2, 0, v7
	s_delay_alu instid0(VALU_DEP_1) | instskip(NEXT) | instid1(SALU_CYCLE_1)
	s_and_b32 s2, vcc_lo, s2
	v_cndmask_b32_e64 v2, 0, 1, s2
	s_delay_alu instid0(VALU_DEP_1)
	v_add_nc_u32_e32 v2, v0, v2
; %bb.35:
	s_or_b32 exec_lo, exec_lo, s24
	s_mov_b32 s24, -1
	s_mov_b32 s2, 0
	global_store_b8 v[3:4], v2, off
.LBB369_36:
	s_mov_b32 s25, 0
.LBB369_37:
	s_delay_alu instid0(SALU_CYCLE_1)
	s_and_b32 vcc_lo, exec_lo, s25
	s_cbranch_vccz .LBB369_40
; %bb.38:
	v_cmp_eq_u16_e32 vcc_lo, 29, v6
	s_mov_b32 s2, -1
	s_cbranch_vccz .LBB369_40
; %bb.39:
	v_ashrrev_i32_e32 v2, 31, v1
	s_mov_b32 s24, -1
	s_mov_b32 s2, 0
	global_store_b64 v[3:4], v[1:2], off
.LBB369_40:
	s_mov_b32 s25, 0
.LBB369_41:
	s_delay_alu instid0(SALU_CYCLE_1)
	s_and_b32 vcc_lo, exec_lo, s25
	s_cbranch_vccz .LBB369_57
; %bb.42:
	v_cmp_gt_i16_e32 vcc_lo, 27, v6
	s_mov_b32 s24, -1
	s_cbranch_vccnz .LBB369_48
; %bb.43:
	v_cmp_lt_i16_e32 vcc_lo, 27, v6
	s_cbranch_vccz .LBB369_45
; %bb.44:
	s_mov_b32 s24, 0
	global_store_b32 v[3:4], v1, off
.LBB369_45:
	s_and_not1_b32 vcc_lo, exec_lo, s24
	s_cbranch_vccnz .LBB369_47
; %bb.46:
	global_store_b16 v[3:4], v1, off
.LBB369_47:
	s_mov_b32 s24, 0
.LBB369_48:
	s_delay_alu instid0(SALU_CYCLE_1)
	s_and_not1_b32 vcc_lo, exec_lo, s24
	s_cbranch_vccnz .LBB369_56
; %bb.49:
	v_cvt_f32_i32_e32 v0, v1
	v_mov_b32_e32 v7, 0x80
	s_mov_b32 s24, exec_lo
	s_delay_alu instid0(VALU_DEP_2) | instskip(NEXT) | instid1(VALU_DEP_1)
	v_and_b32_e32 v2, 0x7fffffff, v0
	v_cmpx_gt_u32_e32 0x43800000, v2
	s_cbranch_execz .LBB369_55
; %bb.50:
	v_cmp_lt_u32_e32 vcc_lo, 0x3bffffff, v2
	s_mov_b32 s25, 0
                                        ; implicit-def: $vgpr2
	s_and_saveexec_b32 s36, vcc_lo
	s_delay_alu instid0(SALU_CYCLE_1)
	s_xor_b32 s36, exec_lo, s36
	s_cbranch_execz .LBB369_150
; %bb.51:
	v_bfe_u32 v2, v0, 20, 1
	s_mov_b32 s25, exec_lo
	s_delay_alu instid0(VALU_DEP_1) | instskip(NEXT) | instid1(VALU_DEP_1)
	v_add3_u32 v2, v0, v2, 0x487ffff
	v_lshrrev_b32_e32 v2, 20, v2
	s_or_saveexec_b32 s36, s36
                                        ; implicit-def: $sgpr37
	s_delay_alu instid0(SALU_CYCLE_1)
	s_xor_b32 exec_lo, exec_lo, s36
	s_cbranch_execnz .LBB369_151
.LBB369_52:
	s_or_b32 exec_lo, exec_lo, s36
	v_mov_b32_e32 v7, s37
	s_and_saveexec_b32 s36, s25
.LBB369_53:
	v_lshrrev_b32_e32 v0, 24, v0
	s_delay_alu instid0(VALU_DEP_1)
	v_and_or_b32 v7, 0x80, v0, v2
.LBB369_54:
	s_or_b32 exec_lo, exec_lo, s36
.LBB369_55:
	s_delay_alu instid0(SALU_CYCLE_1)
	s_or_b32 exec_lo, exec_lo, s24
	global_store_b8 v[3:4], v7, off
.LBB369_56:
	s_mov_b32 s24, -1
.LBB369_57:
	s_mov_b32 s25, 0
.LBB369_58:
	s_delay_alu instid0(SALU_CYCLE_1)
	s_and_b32 vcc_lo, exec_lo, s25
	s_cbranch_vccz .LBB369_99
; %bb.59:
	v_cmp_lt_i16_e32 vcc_lo, 22, v6
	s_mov_b32 s25, -1
	s_cbranch_vccz .LBB369_91
; %bb.60:
	v_cmp_gt_i16_e32 vcc_lo, 24, v6
	s_mov_b32 s24, -1
	s_cbranch_vccnz .LBB369_80
; %bb.61:
	v_cmp_lt_i16_e32 vcc_lo, 24, v6
	s_cbranch_vccz .LBB369_69
; %bb.62:
	v_cvt_f32_i32_e32 v0, v1
	v_mov_b32_e32 v7, 0x80
	s_mov_b32 s24, exec_lo
	s_delay_alu instid0(VALU_DEP_2) | instskip(NEXT) | instid1(VALU_DEP_1)
	v_and_b32_e32 v2, 0x7fffffff, v0
	v_cmpx_gt_u32_e32 0x47800000, v2
	s_cbranch_execz .LBB369_68
; %bb.63:
	v_cmp_lt_u32_e32 vcc_lo, 0x37ffffff, v2
	s_mov_b32 s25, 0
                                        ; implicit-def: $vgpr2
	s_and_saveexec_b32 s36, vcc_lo
	s_delay_alu instid0(SALU_CYCLE_1)
	s_xor_b32 s36, exec_lo, s36
	s_cbranch_execz .LBB369_337
; %bb.64:
	v_bfe_u32 v2, v0, 21, 1
	s_mov_b32 s25, exec_lo
	s_delay_alu instid0(VALU_DEP_1) | instskip(NEXT) | instid1(VALU_DEP_1)
	v_add3_u32 v2, v0, v2, 0x88fffff
	v_lshrrev_b32_e32 v2, 21, v2
	s_or_saveexec_b32 s36, s36
                                        ; implicit-def: $sgpr37
	s_delay_alu instid0(SALU_CYCLE_1)
	s_xor_b32 exec_lo, exec_lo, s36
	s_cbranch_execnz .LBB369_338
.LBB369_65:
	s_or_b32 exec_lo, exec_lo, s36
	v_mov_b32_e32 v7, s37
	s_and_saveexec_b32 s36, s25
.LBB369_66:
	v_lshrrev_b32_e32 v0, 24, v0
	s_delay_alu instid0(VALU_DEP_1)
	v_and_or_b32 v7, 0x80, v0, v2
.LBB369_67:
	s_or_b32 exec_lo, exec_lo, s36
.LBB369_68:
	s_delay_alu instid0(SALU_CYCLE_1)
	s_or_b32 exec_lo, exec_lo, s24
	s_mov_b32 s24, 0
	global_store_b8 v[3:4], v7, off
.LBB369_69:
	s_and_b32 vcc_lo, exec_lo, s24
	s_cbranch_vccz .LBB369_79
; %bb.70:
	v_cvt_f32_i32_e32 v0, v1
	s_mov_b32 s24, exec_lo
                                        ; implicit-def: $vgpr2
	s_delay_alu instid0(VALU_DEP_1) | instskip(NEXT) | instid1(VALU_DEP_1)
	v_and_b32_e32 v7, 0x7fffffff, v0
	v_cmpx_gt_u32_e32 0x43f00000, v7
	s_xor_b32 s24, exec_lo, s24
	s_cbranch_execz .LBB369_76
; %bb.71:
	s_mov_b32 s25, exec_lo
                                        ; implicit-def: $vgpr2
	v_cmpx_lt_u32_e32 0x3c7fffff, v7
	s_xor_b32 s25, exec_lo, s25
; %bb.72:
	v_bfe_u32 v2, v0, 20, 1
	s_delay_alu instid0(VALU_DEP_1) | instskip(NEXT) | instid1(VALU_DEP_1)
	v_add3_u32 v2, v0, v2, 0x407ffff
	v_and_b32_e32 v7, 0xff00000, v2
	v_lshrrev_b32_e32 v2, 20, v2
	s_delay_alu instid0(VALU_DEP_2) | instskip(NEXT) | instid1(VALU_DEP_2)
	v_cmp_ne_u32_e32 vcc_lo, 0x7f00000, v7
	v_cndmask_b32_e32 v2, 0x7e, v2, vcc_lo
; %bb.73:
	s_and_not1_saveexec_b32 s25, s25
; %bb.74:
	v_add_f32_e64 v2, 0x46800000, |v0|
; %bb.75:
	s_or_b32 exec_lo, exec_lo, s25
                                        ; implicit-def: $vgpr7
.LBB369_76:
	s_and_not1_saveexec_b32 s24, s24
; %bb.77:
	v_mov_b32_e32 v2, 0x7f
	v_cmp_lt_u32_e32 vcc_lo, 0x7f800000, v7
	s_delay_alu instid0(VALU_DEP_2)
	v_cndmask_b32_e32 v2, 0x7e, v2, vcc_lo
; %bb.78:
	s_or_b32 exec_lo, exec_lo, s24
	v_lshrrev_b32_e32 v0, 24, v0
	s_delay_alu instid0(VALU_DEP_1)
	v_and_or_b32 v0, 0x80, v0, v2
	global_store_b8 v[3:4], v0, off
.LBB369_79:
	s_mov_b32 s24, 0
.LBB369_80:
	s_delay_alu instid0(SALU_CYCLE_1)
	s_and_not1_b32 vcc_lo, exec_lo, s24
	s_cbranch_vccnz .LBB369_90
; %bb.81:
	v_cvt_f32_i32_e32 v0, v1
	s_mov_b32 s24, exec_lo
                                        ; implicit-def: $vgpr2
	s_delay_alu instid0(VALU_DEP_1) | instskip(NEXT) | instid1(VALU_DEP_1)
	v_and_b32_e32 v7, 0x7fffffff, v0
	v_cmpx_gt_u32_e32 0x47800000, v7
	s_xor_b32 s24, exec_lo, s24
	s_cbranch_execz .LBB369_87
; %bb.82:
	s_mov_b32 s25, exec_lo
                                        ; implicit-def: $vgpr2
	v_cmpx_lt_u32_e32 0x387fffff, v7
	s_xor_b32 s25, exec_lo, s25
; %bb.83:
	v_bfe_u32 v2, v0, 21, 1
	s_delay_alu instid0(VALU_DEP_1) | instskip(NEXT) | instid1(VALU_DEP_1)
	v_add3_u32 v2, v0, v2, 0x80fffff
	v_lshrrev_b32_e32 v2, 21, v2
; %bb.84:
	s_and_not1_saveexec_b32 s25, s25
; %bb.85:
	v_add_f32_e64 v2, 0x43000000, |v0|
; %bb.86:
	s_or_b32 exec_lo, exec_lo, s25
                                        ; implicit-def: $vgpr7
.LBB369_87:
	s_and_not1_saveexec_b32 s24, s24
; %bb.88:
	v_mov_b32_e32 v2, 0x7f
	v_cmp_lt_u32_e32 vcc_lo, 0x7f800000, v7
	s_delay_alu instid0(VALU_DEP_2)
	v_cndmask_b32_e32 v2, 0x7c, v2, vcc_lo
; %bb.89:
	s_or_b32 exec_lo, exec_lo, s24
	v_lshrrev_b32_e32 v0, 24, v0
	s_delay_alu instid0(VALU_DEP_1)
	v_and_or_b32 v0, 0x80, v0, v2
	global_store_b8 v[3:4], v0, off
.LBB369_90:
	s_mov_b32 s25, 0
	s_mov_b32 s24, -1
.LBB369_91:
	s_and_not1_b32 vcc_lo, exec_lo, s25
	s_cbranch_vccnz .LBB369_99
; %bb.92:
	v_cmp_lt_i16_e32 vcc_lo, 14, v6
	s_mov_b32 s25, -1
	s_cbranch_vccz .LBB369_96
; %bb.93:
	v_cmp_eq_u16_e32 vcc_lo, 15, v6
	s_mov_b32 s2, -1
	s_cbranch_vccz .LBB369_95
; %bb.94:
	v_cvt_f32_i32_e32 v0, v1
	s_mov_b32 s24, -1
	s_mov_b32 s2, 0
	s_delay_alu instid0(VALU_DEP_1) | instskip(NEXT) | instid1(VALU_DEP_1)
	v_bfe_u32 v2, v0, 16, 1
	v_add3_u32 v0, v0, v2, 0x7fff
	global_store_d16_hi_b16 v[3:4], v0, off
.LBB369_95:
	s_mov_b32 s25, 0
.LBB369_96:
	s_delay_alu instid0(SALU_CYCLE_1)
	s_and_b32 vcc_lo, exec_lo, s25
	s_cbranch_vccz .LBB369_99
; %bb.97:
	v_cmp_eq_u16_e32 vcc_lo, 11, v6
	s_mov_b32 s2, -1
	s_cbranch_vccz .LBB369_99
; %bb.98:
	v_cmp_ne_u32_e32 vcc_lo, 0, v1
	s_mov_b32 s2, 0
	s_mov_b32 s24, -1
	v_cndmask_b32_e64 v0, 0, 1, vcc_lo
	global_store_b8 v[3:4], v0, off
.LBB369_99:
.LBB369_100:
	s_and_not1_b32 vcc_lo, exec_lo, s24
	s_cbranch_vccz .LBB369_140
	s_branch .LBB369_257
.LBB369_101:
	s_and_b32 vcc_lo, exec_lo, s25
	s_cbranch_vccz .LBB369_100
; %bb.102:
	v_cmp_gt_i16_e32 vcc_lo, 5, v6
	s_mov_b32 s24, -1
	s_cbranch_vccnz .LBB369_123
; %bb.103:
	v_cmp_gt_i16_e32 vcc_lo, 8, v6
	s_cbranch_vccnz .LBB369_113
; %bb.104:
	v_cmp_gt_i16_e32 vcc_lo, 9, v6
	s_cbranch_vccnz .LBB369_110
; %bb.105:
	v_cmp_lt_i16_e32 vcc_lo, 9, v6
	s_cbranch_vccz .LBB369_107
; %bb.106:
	v_cvt_f64_i32_e32 v[9:10], v1
	v_mov_b32_e32 v11, 0
	s_mov_b32 s24, 0
	s_delay_alu instid0(VALU_DEP_1)
	v_mov_b32_e32 v12, v11
	global_store_b128 v[3:4], v[9:12], off
.LBB369_107:
	s_and_not1_b32 vcc_lo, exec_lo, s24
	s_cbranch_vccnz .LBB369_109
; %bb.108:
	v_cvt_f32_i32_e32 v9, v1
	v_mov_b32_e32 v10, 0
	global_store_b64 v[3:4], v[9:10], off
.LBB369_109:
	s_mov_b32 s24, 0
.LBB369_110:
	s_delay_alu instid0(SALU_CYCLE_1)
	s_and_not1_b32 vcc_lo, exec_lo, s24
	s_cbranch_vccnz .LBB369_112
; %bb.111:
	v_cvt_f32_i32_e32 v0, v1
	s_delay_alu instid0(VALU_DEP_1) | instskip(NEXT) | instid1(VALU_DEP_1)
	v_cvt_f16_f32_e32 v0, v0
	v_and_b32_e32 v0, 0xffff, v0
	global_store_b32 v[3:4], v0, off
.LBB369_112:
	s_mov_b32 s24, 0
.LBB369_113:
	s_delay_alu instid0(SALU_CYCLE_1)
	s_and_not1_b32 vcc_lo, exec_lo, s24
	s_cbranch_vccnz .LBB369_122
; %bb.114:
	v_cmp_gt_i16_e32 vcc_lo, 6, v6
	s_mov_b32 s24, -1
	s_cbranch_vccnz .LBB369_120
; %bb.115:
	v_cmp_lt_i16_e32 vcc_lo, 6, v6
	s_cbranch_vccz .LBB369_117
; %bb.116:
	v_cvt_f64_i32_e32 v[9:10], v1
	s_mov_b32 s24, 0
	global_store_b64 v[3:4], v[9:10], off
.LBB369_117:
	s_and_not1_b32 vcc_lo, exec_lo, s24
	s_cbranch_vccnz .LBB369_119
; %bb.118:
	v_cvt_f32_i32_e32 v0, v1
	global_store_b32 v[3:4], v0, off
.LBB369_119:
	s_mov_b32 s24, 0
.LBB369_120:
	s_delay_alu instid0(SALU_CYCLE_1)
	s_and_not1_b32 vcc_lo, exec_lo, s24
	s_cbranch_vccnz .LBB369_122
; %bb.121:
	v_cvt_f32_i32_e32 v0, v1
	s_delay_alu instid0(VALU_DEP_1)
	v_cvt_f16_f32_e32 v0, v0
	global_store_b16 v[3:4], v0, off
.LBB369_122:
	s_mov_b32 s24, 0
.LBB369_123:
	s_delay_alu instid0(SALU_CYCLE_1)
	s_and_not1_b32 vcc_lo, exec_lo, s24
	s_cbranch_vccnz .LBB369_139
; %bb.124:
	v_cmp_gt_i16_e32 vcc_lo, 2, v6
	s_mov_b32 s24, -1
	s_cbranch_vccnz .LBB369_134
; %bb.125:
	v_cmp_gt_i16_e32 vcc_lo, 3, v6
	s_cbranch_vccnz .LBB369_131
; %bb.126:
	v_cmp_lt_i16_e32 vcc_lo, 3, v6
	s_cbranch_vccz .LBB369_128
; %bb.127:
	v_ashrrev_i32_e32 v2, 31, v1
	s_mov_b32 s24, 0
	global_store_b64 v[3:4], v[1:2], off
.LBB369_128:
	s_and_not1_b32 vcc_lo, exec_lo, s24
	s_cbranch_vccnz .LBB369_130
; %bb.129:
	global_store_b32 v[3:4], v1, off
.LBB369_130:
	s_mov_b32 s24, 0
.LBB369_131:
	s_delay_alu instid0(SALU_CYCLE_1)
	s_and_not1_b32 vcc_lo, exec_lo, s24
	s_cbranch_vccnz .LBB369_133
; %bb.132:
	global_store_b16 v[3:4], v1, off
.LBB369_133:
	s_mov_b32 s24, 0
.LBB369_134:
	s_delay_alu instid0(SALU_CYCLE_1)
	s_and_not1_b32 vcc_lo, exec_lo, s24
	s_cbranch_vccnz .LBB369_139
; %bb.135:
	v_cmp_lt_i16_e32 vcc_lo, 0, v6
	s_mov_b32 s24, -1
	s_cbranch_vccz .LBB369_137
; %bb.136:
	s_mov_b32 s24, 0
	global_store_b8 v[3:4], v1, off
.LBB369_137:
	s_and_not1_b32 vcc_lo, exec_lo, s24
	s_cbranch_vccnz .LBB369_139
; %bb.138:
	global_store_b8 v[3:4], v1, off
.LBB369_139:
.LBB369_140:
	v_add_nc_u32_e32 v8, 0x80, v8
	s_mov_b32 s24, -1
	s_branch .LBB369_258
.LBB369_141:
	s_mov_b32 s2, 0
                                        ; implicit-def: $vgpr3
	s_cbranch_execnz .LBB369_176
	s_branch .LBB369_208
.LBB369_142:
	s_mov_b32 s24, -1
	s_mov_b32 s2, 0
                                        ; implicit-def: $vgpr3
	s_branch .LBB369_159
.LBB369_143:
	s_mov_b32 s24, -1
	s_mov_b32 s2, 0
                                        ; implicit-def: $vgpr3
	s_branch .LBB369_154
.LBB369_144:
	s_mov_b32 s24, -1
	s_branch .LBB369_146
.LBB369_145:
	s_mov_b32 s3, -1
.LBB369_146:
	s_mov_b32 s2, 0
                                        ; implicit-def: $vgpr3
.LBB369_147:
	s_and_b32 vcc_lo, exec_lo, s24
	s_cbranch_vccz .LBB369_153
; %bb.148:
	v_cmp_eq_u16_e32 vcc_lo, 44, v5
	s_cbranch_vccz .LBB369_152
; %bb.149:
	global_load_u8 v3, v[1:2], off
	s_mov_b32 s3, 0
	s_mov_b32 s2, -1
	s_waitcnt vmcnt(0)
	v_lshlrev_b32_e32 v4, 23, v3
	v_cmp_ne_u32_e32 vcc_lo, 0, v3
	s_delay_alu instid0(VALU_DEP_2) | instskip(NEXT) | instid1(VALU_DEP_1)
	v_cvt_i32_f32_e32 v4, v4
	v_cndmask_b32_e32 v3, 0, v4, vcc_lo
	s_branch .LBB369_153
.LBB369_150:
	s_or_saveexec_b32 s36, s36
                                        ; implicit-def: $sgpr37
	s_delay_alu instid0(SALU_CYCLE_1)
	s_xor_b32 exec_lo, exec_lo, s36
	s_cbranch_execz .LBB369_52
.LBB369_151:
	v_add_f32_e64 v2, 0x46000000, |v0|
	s_and_not1_b32 s25, s25, exec_lo
	s_mov_b32 s37, 0
	s_delay_alu instid0(VALU_DEP_1) | instskip(NEXT) | instid1(VALU_DEP_1)
	v_and_b32_e32 v2, 0xff, v2
	v_cmp_ne_u32_e32 vcc_lo, 0, v2
	s_and_b32 s40, vcc_lo, exec_lo
	s_delay_alu instid0(SALU_CYCLE_1)
	s_or_b32 s25, s25, s40
	s_or_b32 exec_lo, exec_lo, s36
	v_mov_b32_e32 v7, s37
	s_and_saveexec_b32 s36, s25
	s_cbranch_execnz .LBB369_53
	s_branch .LBB369_54
.LBB369_152:
	s_mov_b32 s3, -1
                                        ; implicit-def: $vgpr3
.LBB369_153:
	s_mov_b32 s24, 0
.LBB369_154:
	s_delay_alu instid0(SALU_CYCLE_1)
	s_and_b32 vcc_lo, exec_lo, s24
	s_cbranch_vccz .LBB369_158
; %bb.155:
	v_cmp_eq_u16_e32 vcc_lo, 29, v5
	s_cbranch_vccz .LBB369_157
; %bb.156:
	global_load_b32 v3, v[1:2], off
	s_mov_b32 s2, -1
	s_mov_b32 s3, 0
	s_branch .LBB369_158
.LBB369_157:
	s_mov_b32 s3, -1
                                        ; implicit-def: $vgpr3
.LBB369_158:
	s_mov_b32 s24, 0
.LBB369_159:
	s_delay_alu instid0(SALU_CYCLE_1)
	s_and_b32 vcc_lo, exec_lo, s24
	s_cbranch_vccz .LBB369_175
; %bb.160:
	v_cmp_gt_i16_e32 vcc_lo, 27, v5
	s_cbranch_vccnz .LBB369_163
; %bb.161:
	v_cmp_lt_i16_e32 vcc_lo, 27, v5
	s_cbranch_vccz .LBB369_164
; %bb.162:
	global_load_b32 v3, v[1:2], off
	s_mov_b32 s2, 0
	s_branch .LBB369_165
.LBB369_163:
	s_mov_b32 s2, -1
                                        ; implicit-def: $vgpr3
	s_branch .LBB369_168
.LBB369_164:
	s_mov_b32 s2, -1
                                        ; implicit-def: $vgpr3
.LBB369_165:
	s_delay_alu instid0(SALU_CYCLE_1)
	s_and_not1_b32 vcc_lo, exec_lo, s2
	s_cbranch_vccnz .LBB369_167
; %bb.166:
	global_load_u16 v3, v[1:2], off
.LBB369_167:
	s_mov_b32 s2, 0
.LBB369_168:
	s_delay_alu instid0(SALU_CYCLE_1)
	s_and_not1_b32 vcc_lo, exec_lo, s2
	s_cbranch_vccnz .LBB369_174
; %bb.169:
	global_load_u8 v4, v[1:2], off
	s_mov_b32 s2, 0
	s_mov_b32 s24, exec_lo
                                        ; implicit-def: $sgpr25
	s_waitcnt vmcnt(0)
	v_cmpx_lt_i16_e32 0x7f, v4
	s_xor_b32 s24, exec_lo, s24
	s_cbranch_execz .LBB369_185
; %bb.170:
	v_cmp_ne_u16_e32 vcc_lo, 0x80, v4
	s_mov_b32 s25, 0
	s_and_b32 s2, vcc_lo, exec_lo
	s_or_saveexec_b32 s24, s24
	v_mov_b32_e32 v3, s25
	s_xor_b32 exec_lo, exec_lo, s24
	s_cbranch_execnz .LBB369_186
.LBB369_171:
	s_or_b32 exec_lo, exec_lo, s24
	s_and_saveexec_b32 s24, s2
	s_cbranch_execz .LBB369_173
.LBB369_172:
	v_and_b32_e32 v3, 0xffff, v4
	s_delay_alu instid0(VALU_DEP_1) | instskip(NEXT) | instid1(VALU_DEP_1)
	v_and_b32_e32 v6, 7, v3
	v_clz_i32_u32_e32 v7, v6
	s_delay_alu instid0(VALU_DEP_1) | instskip(NEXT) | instid1(VALU_DEP_1)
	v_min_u32_e32 v7, 32, v7
	v_subrev_nc_u32_e32 v9, 28, v7
	v_sub_nc_u32_e32 v7, 29, v7
	s_delay_alu instid0(VALU_DEP_2) | instskip(SKIP_1) | instid1(VALU_DEP_2)
	v_lshlrev_b32_e32 v9, v9, v3
	v_bfe_u32 v3, v3, 3, 4
	v_and_b32_e32 v9, 7, v9
	s_delay_alu instid0(VALU_DEP_2) | instskip(SKIP_1) | instid1(VALU_DEP_3)
	v_cmp_eq_u32_e32 vcc_lo, 0, v3
	v_dual_cndmask_b32 v3, v3, v7 :: v_dual_lshlrev_b32 v4, 24, v4
	v_cndmask_b32_e32 v6, v6, v9, vcc_lo
	s_delay_alu instid0(VALU_DEP_2) | instskip(NEXT) | instid1(VALU_DEP_3)
	v_and_b32_e32 v4, 0x80000000, v4
	v_lshl_add_u32 v3, v3, 23, 0x3b800000
	s_delay_alu instid0(VALU_DEP_3) | instskip(NEXT) | instid1(VALU_DEP_1)
	v_lshlrev_b32_e32 v6, 20, v6
	v_or3_b32 v3, v4, v3, v6
	s_delay_alu instid0(VALU_DEP_1)
	v_cvt_i32_f32_e32 v3, v3
.LBB369_173:
	s_or_b32 exec_lo, exec_lo, s24
.LBB369_174:
	s_mov_b32 s2, -1
.LBB369_175:
	s_branch .LBB369_208
.LBB369_176:
	v_cmp_lt_i16_e32 vcc_lo, 22, v5
	s_cbranch_vccz .LBB369_184
; %bb.177:
	v_cmp_gt_i16_e32 vcc_lo, 24, v5
	s_cbranch_vccnz .LBB369_187
; %bb.178:
	v_cmp_lt_i16_e32 vcc_lo, 24, v5
	s_cbranch_vccz .LBB369_188
; %bb.179:
	global_load_u8 v4, v[1:2], off
	s_mov_b32 s2, 0
	s_mov_b32 s24, exec_lo
                                        ; implicit-def: $sgpr25
	s_waitcnt vmcnt(0)
	v_cmpx_lt_i16_e32 0x7f, v4
	s_xor_b32 s24, exec_lo, s24
	s_cbranch_execz .LBB369_200
; %bb.180:
	v_cmp_ne_u16_e32 vcc_lo, 0x80, v4
	s_mov_b32 s25, 0
	s_and_b32 s2, vcc_lo, exec_lo
	s_or_saveexec_b32 s24, s24
	v_mov_b32_e32 v3, s25
	s_xor_b32 exec_lo, exec_lo, s24
	s_cbranch_execnz .LBB369_201
.LBB369_181:
	s_or_b32 exec_lo, exec_lo, s24
	s_and_saveexec_b32 s24, s2
	s_cbranch_execz .LBB369_183
.LBB369_182:
	v_and_b32_e32 v3, 0xffff, v4
	s_delay_alu instid0(VALU_DEP_1) | instskip(NEXT) | instid1(VALU_DEP_1)
	v_and_b32_e32 v6, 3, v3
	v_clz_i32_u32_e32 v7, v6
	s_delay_alu instid0(VALU_DEP_1) | instskip(NEXT) | instid1(VALU_DEP_1)
	v_min_u32_e32 v7, 32, v7
	v_subrev_nc_u32_e32 v9, 29, v7
	v_sub_nc_u32_e32 v7, 30, v7
	s_delay_alu instid0(VALU_DEP_2) | instskip(SKIP_1) | instid1(VALU_DEP_2)
	v_lshlrev_b32_e32 v9, v9, v3
	v_bfe_u32 v3, v3, 2, 5
	v_and_b32_e32 v9, 3, v9
	s_delay_alu instid0(VALU_DEP_2) | instskip(SKIP_1) | instid1(VALU_DEP_3)
	v_cmp_eq_u32_e32 vcc_lo, 0, v3
	v_dual_cndmask_b32 v3, v3, v7 :: v_dual_lshlrev_b32 v4, 24, v4
	v_cndmask_b32_e32 v6, v6, v9, vcc_lo
	s_delay_alu instid0(VALU_DEP_2) | instskip(NEXT) | instid1(VALU_DEP_3)
	v_and_b32_e32 v4, 0x80000000, v4
	v_lshl_add_u32 v3, v3, 23, 0x37800000
	s_delay_alu instid0(VALU_DEP_3) | instskip(NEXT) | instid1(VALU_DEP_1)
	v_lshlrev_b32_e32 v6, 21, v6
	v_or3_b32 v3, v4, v3, v6
	s_delay_alu instid0(VALU_DEP_1)
	v_cvt_i32_f32_e32 v3, v3
.LBB369_183:
	s_or_b32 exec_lo, exec_lo, s24
	s_mov_b32 s2, 0
	s_branch .LBB369_189
.LBB369_184:
	s_mov_b32 s24, -1
                                        ; implicit-def: $vgpr3
	s_branch .LBB369_195
.LBB369_185:
	s_or_saveexec_b32 s24, s24
	v_mov_b32_e32 v3, s25
	s_xor_b32 exec_lo, exec_lo, s24
	s_cbranch_execz .LBB369_171
.LBB369_186:
	v_cmp_ne_u16_e32 vcc_lo, 0, v4
	v_mov_b32_e32 v3, 0
	s_and_not1_b32 s2, s2, exec_lo
	s_and_b32 s25, vcc_lo, exec_lo
	s_delay_alu instid0(SALU_CYCLE_1)
	s_or_b32 s2, s2, s25
	s_or_b32 exec_lo, exec_lo, s24
	s_and_saveexec_b32 s24, s2
	s_cbranch_execnz .LBB369_172
	s_branch .LBB369_173
.LBB369_187:
	s_mov_b32 s2, -1
                                        ; implicit-def: $vgpr3
	s_branch .LBB369_192
.LBB369_188:
	s_mov_b32 s2, -1
                                        ; implicit-def: $vgpr3
.LBB369_189:
	s_delay_alu instid0(SALU_CYCLE_1)
	s_and_b32 vcc_lo, exec_lo, s2
	s_cbranch_vccz .LBB369_191
; %bb.190:
	global_load_u8 v3, v[1:2], off
	s_waitcnt vmcnt(0)
	v_lshlrev_b32_e32 v3, 24, v3
	s_delay_alu instid0(VALU_DEP_1) | instskip(NEXT) | instid1(VALU_DEP_1)
	v_and_b32_e32 v4, 0x7f000000, v3
	v_clz_i32_u32_e32 v6, v4
	v_add_nc_u32_e32 v9, 0x1000000, v4
	v_cmp_ne_u32_e32 vcc_lo, 0, v4
	s_delay_alu instid0(VALU_DEP_3) | instskip(NEXT) | instid1(VALU_DEP_1)
	v_min_u32_e32 v6, 32, v6
	v_sub_nc_u32_e64 v6, v6, 4 clamp
	s_delay_alu instid0(VALU_DEP_1) | instskip(SKIP_1) | instid1(VALU_DEP_2)
	v_lshlrev_b32_e32 v7, v6, v4
	v_lshlrev_b32_e32 v6, 23, v6
	v_lshrrev_b32_e32 v7, 4, v7
	s_delay_alu instid0(VALU_DEP_1) | instskip(SKIP_1) | instid1(VALU_DEP_2)
	v_sub_nc_u32_e32 v6, v7, v6
	v_ashrrev_i32_e32 v7, 8, v9
	v_add_nc_u32_e32 v6, 0x3c000000, v6
	s_delay_alu instid0(VALU_DEP_1) | instskip(NEXT) | instid1(VALU_DEP_1)
	v_and_or_b32 v6, 0x7f800000, v7, v6
	v_cndmask_b32_e32 v4, 0, v6, vcc_lo
	s_delay_alu instid0(VALU_DEP_1) | instskip(NEXT) | instid1(VALU_DEP_1)
	v_and_or_b32 v3, 0x80000000, v3, v4
	v_cvt_i32_f32_e32 v3, v3
.LBB369_191:
	s_mov_b32 s2, 0
.LBB369_192:
	s_delay_alu instid0(SALU_CYCLE_1)
	s_and_not1_b32 vcc_lo, exec_lo, s2
	s_cbranch_vccnz .LBB369_194
; %bb.193:
	global_load_u8 v3, v[1:2], off
	s_waitcnt vmcnt(0)
	v_lshlrev_b32_e32 v4, 25, v3
	v_lshlrev_b16 v3, 8, v3
	s_delay_alu instid0(VALU_DEP_2) | instskip(NEXT) | instid1(VALU_DEP_2)
	v_lshrrev_b32_e32 v6, 4, v4
	v_and_or_b32 v7, 0x7f00, v3, 0.5
	v_cmp_gt_u32_e32 vcc_lo, 0x8000000, v4
	v_bfe_i32 v3, v3, 0, 16
	s_delay_alu instid0(VALU_DEP_4) | instskip(NEXT) | instid1(VALU_DEP_1)
	v_or_b32_e32 v6, 0x70000000, v6
	v_dual_add_f32 v7, -0.5, v7 :: v_dual_mul_f32 v6, 0x7800000, v6
	s_delay_alu instid0(VALU_DEP_1) | instskip(NEXT) | instid1(VALU_DEP_1)
	v_cndmask_b32_e32 v4, v6, v7, vcc_lo
	v_and_or_b32 v3, 0x80000000, v3, v4
	s_delay_alu instid0(VALU_DEP_1)
	v_cvt_i32_f32_e32 v3, v3
.LBB369_194:
	s_mov_b32 s24, 0
	s_mov_b32 s2, -1
.LBB369_195:
	s_and_not1_b32 vcc_lo, exec_lo, s24
	s_cbranch_vccnz .LBB369_208
; %bb.196:
	v_cmp_lt_i16_e32 vcc_lo, 14, v5
	s_cbranch_vccz .LBB369_199
; %bb.197:
	v_cmp_eq_u16_e32 vcc_lo, 15, v5
	s_cbranch_vccz .LBB369_202
; %bb.198:
	global_load_u16 v3, v[1:2], off
	s_mov_b32 s2, -1
	s_mov_b32 s3, 0
	s_waitcnt vmcnt(0)
	v_lshlrev_b32_e32 v3, 16, v3
	s_delay_alu instid0(VALU_DEP_1)
	v_cvt_i32_f32_e32 v3, v3
	s_branch .LBB369_203
.LBB369_199:
	s_mov_b32 s24, -1
                                        ; implicit-def: $vgpr3
	s_branch .LBB369_204
.LBB369_200:
	s_or_saveexec_b32 s24, s24
	v_mov_b32_e32 v3, s25
	s_xor_b32 exec_lo, exec_lo, s24
	s_cbranch_execz .LBB369_181
.LBB369_201:
	v_cmp_ne_u16_e32 vcc_lo, 0, v4
	v_mov_b32_e32 v3, 0
	s_and_not1_b32 s2, s2, exec_lo
	s_and_b32 s25, vcc_lo, exec_lo
	s_delay_alu instid0(SALU_CYCLE_1)
	s_or_b32 s2, s2, s25
	s_or_b32 exec_lo, exec_lo, s24
	s_and_saveexec_b32 s24, s2
	s_cbranch_execnz .LBB369_182
	s_branch .LBB369_183
.LBB369_202:
	s_mov_b32 s3, -1
                                        ; implicit-def: $vgpr3
.LBB369_203:
	s_mov_b32 s24, 0
.LBB369_204:
	s_delay_alu instid0(SALU_CYCLE_1)
	s_and_b32 vcc_lo, exec_lo, s24
	s_cbranch_vccz .LBB369_208
; %bb.205:
	v_cmp_eq_u16_e32 vcc_lo, 11, v5
	s_cbranch_vccz .LBB369_207
; %bb.206:
	global_load_u8 v3, v[1:2], off
	s_mov_b32 s3, 0
	s_mov_b32 s2, -1
	s_waitcnt vmcnt(0)
	v_cmp_ne_u16_e32 vcc_lo, 0, v3
	v_cndmask_b32_e64 v3, 0, 1, vcc_lo
	s_branch .LBB369_208
.LBB369_207:
	s_mov_b32 s3, -1
                                        ; implicit-def: $vgpr3
.LBB369_208:
	s_branch .LBB369_23
.LBB369_209:
	v_cmp_gt_i16_e32 vcc_lo, 5, v5
	s_cbranch_vccnz .LBB369_214
; %bb.210:
	v_cmp_gt_i16_e32 vcc_lo, 8, v5
	s_cbranch_vccnz .LBB369_215
; %bb.211:
	;; [unrolled: 3-line block ×3, first 2 shown]
	v_cmp_lt_i16_e32 vcc_lo, 9, v5
	s_cbranch_vccz .LBB369_217
; %bb.213:
	global_load_b64 v[3:4], v[1:2], off
	s_mov_b32 s2, 0
	s_waitcnt vmcnt(0)
	v_cvt_i32_f64_e32 v3, v[3:4]
	s_branch .LBB369_218
.LBB369_214:
                                        ; implicit-def: $vgpr3
	s_branch .LBB369_236
.LBB369_215:
	s_mov_b32 s2, -1
                                        ; implicit-def: $vgpr3
	s_branch .LBB369_224
.LBB369_216:
	s_mov_b32 s2, -1
                                        ; implicit-def: $vgpr3
	s_branch .LBB369_221
.LBB369_217:
	s_mov_b32 s2, -1
                                        ; implicit-def: $vgpr3
.LBB369_218:
	s_delay_alu instid0(SALU_CYCLE_1)
	s_and_not1_b32 vcc_lo, exec_lo, s2
	s_cbranch_vccnz .LBB369_220
; %bb.219:
	global_load_b32 v3, v[1:2], off
	s_waitcnt vmcnt(0)
	v_cvt_i32_f32_e32 v3, v3
.LBB369_220:
	s_mov_b32 s2, 0
.LBB369_221:
	s_delay_alu instid0(SALU_CYCLE_1)
	s_and_not1_b32 vcc_lo, exec_lo, s2
	s_cbranch_vccnz .LBB369_223
; %bb.222:
	global_load_b32 v3, v[1:2], off
	s_waitcnt vmcnt(0)
	v_cvt_f32_f16_e32 v3, v3
	s_delay_alu instid0(VALU_DEP_1)
	v_cvt_i32_f32_e32 v3, v3
.LBB369_223:
	s_mov_b32 s2, 0
.LBB369_224:
	s_delay_alu instid0(SALU_CYCLE_1)
	s_and_not1_b32 vcc_lo, exec_lo, s2
	s_cbranch_vccnz .LBB369_235
; %bb.225:
	v_cmp_gt_i16_e32 vcc_lo, 6, v5
	s_cbranch_vccnz .LBB369_228
; %bb.226:
	v_cmp_lt_i16_e32 vcc_lo, 6, v5
	s_cbranch_vccz .LBB369_229
; %bb.227:
	global_load_b64 v[3:4], v[1:2], off
	s_mov_b32 s2, 0
	s_waitcnt vmcnt(0)
	v_cvt_i32_f64_e32 v3, v[3:4]
	s_branch .LBB369_230
.LBB369_228:
	s_mov_b32 s2, -1
                                        ; implicit-def: $vgpr3
	s_branch .LBB369_233
.LBB369_229:
	s_mov_b32 s2, -1
                                        ; implicit-def: $vgpr3
.LBB369_230:
	s_delay_alu instid0(SALU_CYCLE_1)
	s_and_not1_b32 vcc_lo, exec_lo, s2
	s_cbranch_vccnz .LBB369_232
; %bb.231:
	global_load_b32 v3, v[1:2], off
	s_waitcnt vmcnt(0)
	v_cvt_i32_f32_e32 v3, v3
.LBB369_232:
	s_mov_b32 s2, 0
.LBB369_233:
	s_delay_alu instid0(SALU_CYCLE_1)
	s_and_not1_b32 vcc_lo, exec_lo, s2
	s_cbranch_vccnz .LBB369_235
; %bb.234:
	global_load_u16 v3, v[1:2], off
	s_waitcnt vmcnt(0)
	v_cvt_f32_f16_e32 v3, v3
	s_delay_alu instid0(VALU_DEP_1)
	v_cvt_i32_f32_e32 v3, v3
.LBB369_235:
	s_cbranch_execnz .LBB369_255
.LBB369_236:
	v_cmp_gt_i16_e32 vcc_lo, 2, v5
	s_cbranch_vccnz .LBB369_240
; %bb.237:
	v_cmp_gt_i16_e32 vcc_lo, 3, v5
	s_cbranch_vccnz .LBB369_241
; %bb.238:
	v_cmp_lt_i16_e32 vcc_lo, 3, v5
	s_cbranch_vccz .LBB369_242
; %bb.239:
	global_load_b32 v3, v[1:2], off
	s_mov_b32 s2, 0
	s_branch .LBB369_243
.LBB369_240:
	s_mov_b32 s2, -1
                                        ; implicit-def: $vgpr3
	s_branch .LBB369_249
.LBB369_241:
	s_mov_b32 s2, -1
                                        ; implicit-def: $vgpr3
	s_branch .LBB369_246
.LBB369_242:
	s_mov_b32 s2, -1
                                        ; implicit-def: $vgpr3
.LBB369_243:
	s_delay_alu instid0(SALU_CYCLE_1)
	s_and_not1_b32 vcc_lo, exec_lo, s2
	s_cbranch_vccnz .LBB369_245
; %bb.244:
	global_load_b32 v3, v[1:2], off
.LBB369_245:
	s_mov_b32 s2, 0
.LBB369_246:
	s_delay_alu instid0(SALU_CYCLE_1)
	s_and_not1_b32 vcc_lo, exec_lo, s2
	s_cbranch_vccnz .LBB369_248
; %bb.247:
	global_load_i16 v3, v[1:2], off
.LBB369_248:
	s_mov_b32 s2, 0
.LBB369_249:
	s_delay_alu instid0(SALU_CYCLE_1)
	s_and_not1_b32 vcc_lo, exec_lo, s2
	s_cbranch_vccnz .LBB369_255
; %bb.250:
	v_cmp_lt_i16_e32 vcc_lo, 0, v5
	s_mov_b32 s2, 0
	s_cbranch_vccz .LBB369_252
; %bb.251:
	global_load_i8 v3, v[1:2], off
	s_branch .LBB369_253
.LBB369_252:
	s_mov_b32 s2, -1
                                        ; implicit-def: $vgpr3
.LBB369_253:
	s_delay_alu instid0(SALU_CYCLE_1)
	s_and_not1_b32 vcc_lo, exec_lo, s2
	s_cbranch_vccnz .LBB369_255
; %bb.254:
	global_load_u8 v3, v[1:2], off
.LBB369_255:
	s_branch .LBB369_24
.LBB369_256:
	s_mov_b32 s2, 0
.LBB369_257:
	s_mov_b32 s24, 0
                                        ; implicit-def: $vgpr8
.LBB369_258:
	s_and_b32 s36, s2, exec_lo
	s_and_b32 s37, s3, exec_lo
	s_or_not1_b32 s3, s24, exec_lo
.LBB369_259:
	s_or_b32 exec_lo, exec_lo, s38
	s_mov_b32 s24, 0
	s_mov_b32 s2, 0
                                        ; implicit-def: $vgpr1_vgpr2
                                        ; implicit-def: $vgpr0
                                        ; implicit-def: $vgpr6
	s_and_saveexec_b32 s38, s3
	s_cbranch_execz .LBB369_890
; %bb.260:
	s_mov_b32 s2, -1
	s_mov_b32 s39, s37
	s_mov_b32 s40, s36
	s_mov_b32 s41, exec_lo
	v_cmpx_gt_i32_e64 s33, v8
	s_cbranch_execz .LBB369_525
; %bb.261:
	s_and_not1_b32 vcc_lo, exec_lo, s29
	s_cbranch_vccnz .LBB369_266
; %bb.262:
	v_dual_mov_b32 v0, 0 :: v_dual_mov_b32 v1, 0
	s_and_not1_b32 vcc_lo, exec_lo, s35
	s_mov_b32 s39, 0
	s_cbranch_vccnz .LBB369_271
; %bb.263:
	v_mov_b32_e32 v0, 0
	s_add_i32 s42, s34, 1
	s_cmp_eq_u32 s27, 2
	s_mov_b32 s40, 0
	s_cbranch_scc1 .LBB369_267
; %bb.264:
	v_dual_mov_b32 v1, 0 :: v_dual_mov_b32 v0, 0
	v_mov_b32_e32 v2, v8
	s_and_b32 s40, s42, 28
	s_mov_b32 s43, 0
	s_mov_b64 s[2:3], s[22:23]
	s_mov_b64 s[24:25], s[16:17]
.LBB369_265:                            ; =>This Inner Loop Header: Depth=1
	s_clause 0x1
	s_load_b256 s[44:51], s[24:25], 0x4
	s_load_b128 s[60:63], s[24:25], 0x24
	s_load_b256 s[52:59], s[2:3], 0x0
	s_add_u32 s24, s24, 48
	s_addc_u32 s25, s25, 0
	s_add_i32 s43, s43, 4
	s_add_u32 s2, s2, 32
	s_addc_u32 s3, s3, 0
	s_cmp_eq_u32 s40, s43
	s_waitcnt vmcnt(0) lgkmcnt(0)
	v_mul_hi_u32 v3, s45, v2
	s_delay_alu instid0(VALU_DEP_1) | instskip(NEXT) | instid1(VALU_DEP_1)
	v_add_nc_u32_e32 v3, v2, v3
	v_lshrrev_b32_e32 v3, s46, v3
	s_delay_alu instid0(VALU_DEP_1) | instskip(SKIP_1) | instid1(VALU_DEP_2)
	v_mul_hi_u32 v4, s48, v3
	v_mul_lo_u32 v7, v3, s44
	v_add_nc_u32_e32 v4, v3, v4
	s_delay_alu instid0(VALU_DEP_2) | instskip(NEXT) | instid1(VALU_DEP_2)
	v_sub_nc_u32_e32 v2, v2, v7
	v_lshrrev_b32_e32 v4, s49, v4
	s_delay_alu instid0(VALU_DEP_2) | instskip(SKIP_1) | instid1(VALU_DEP_3)
	v_mul_lo_u32 v7, v2, s52
	v_mul_lo_u32 v10, v2, s53
	v_mul_hi_u32 v6, s51, v4
	s_delay_alu instid0(VALU_DEP_1) | instskip(NEXT) | instid1(VALU_DEP_1)
	v_add_nc_u32_e32 v6, v4, v6
	v_lshrrev_b32_e32 v6, s60, v6
	s_delay_alu instid0(VALU_DEP_1) | instskip(SKIP_1) | instid1(VALU_DEP_2)
	v_mul_hi_u32 v9, s62, v6
	v_mul_lo_u32 v11, v6, s50
	v_add_nc_u32_e32 v2, v6, v9
	v_mul_lo_u32 v9, v4, s47
	s_delay_alu instid0(VALU_DEP_3) | instskip(NEXT) | instid1(VALU_DEP_3)
	v_sub_nc_u32_e32 v4, v4, v11
	v_lshrrev_b32_e32 v2, s63, v2
	s_delay_alu instid0(VALU_DEP_2) | instskip(SKIP_2) | instid1(VALU_DEP_4)
	v_mul_lo_u32 v11, v4, s56
	v_mul_lo_u32 v4, v4, s57
	v_sub_nc_u32_e32 v3, v3, v9
	v_mul_lo_u32 v12, v2, s61
	s_delay_alu instid0(VALU_DEP_2) | instskip(SKIP_1) | instid1(VALU_DEP_3)
	v_mul_lo_u32 v9, v3, s54
	v_mul_lo_u32 v3, v3, s55
	v_sub_nc_u32_e32 v6, v6, v12
	s_delay_alu instid0(VALU_DEP_3) | instskip(NEXT) | instid1(VALU_DEP_2)
	v_add3_u32 v0, v7, v0, v9
	v_mul_lo_u32 v12, v6, s58
	v_mul_lo_u32 v6, v6, s59
	v_add3_u32 v1, v10, v1, v3
	s_delay_alu instid0(VALU_DEP_3) | instskip(NEXT) | instid1(VALU_DEP_2)
	v_add3_u32 v0, v11, v0, v12
	v_add3_u32 v1, v4, v1, v6
	s_cbranch_scc0 .LBB369_265
	s_branch .LBB369_268
.LBB369_266:
	s_mov_b32 s39, -1
                                        ; implicit-def: $vgpr0
                                        ; implicit-def: $vgpr1
	s_branch .LBB369_271
.LBB369_267:
	v_dual_mov_b32 v2, v8 :: v_dual_mov_b32 v1, 0
.LBB369_268:
	s_and_b32 s42, s42, 3
	s_delay_alu instid0(SALU_CYCLE_1)
	s_cmp_eq_u32 s42, 0
	s_cbranch_scc1 .LBB369_271
; %bb.269:
	s_lshl_b32 s2, s40, 3
	s_mul_i32 s24, s40, 12
	s_add_u32 s2, s2, s16
	s_addc_u32 s3, s17, 0
	s_add_u32 s2, s2, 0xc4
	s_addc_u32 s3, s3, 0
	;; [unrolled: 2-line block ×3, first 2 shown]
	.p2align	6
.LBB369_270:                            ; =>This Inner Loop Header: Depth=1
	s_clause 0x1
	s_load_b64 s[44:45], s[24:25], 0x4
	s_load_b32 s40, s[24:25], 0xc
	s_load_b64 s[46:47], s[2:3], 0x0
	s_add_u32 s24, s24, 12
	s_addc_u32 s25, s25, 0
	s_add_u32 s2, s2, 8
	s_addc_u32 s3, s3, 0
	s_add_i32 s42, s42, -1
	s_delay_alu instid0(SALU_CYCLE_1) | instskip(SKIP_2) | instid1(VALU_DEP_1)
	s_cmp_lg_u32 s42, 0
	s_waitcnt vmcnt(0) lgkmcnt(0)
	v_mul_hi_u32 v3, s45, v2
	v_add_nc_u32_e32 v3, v2, v3
	s_delay_alu instid0(VALU_DEP_1) | instskip(NEXT) | instid1(VALU_DEP_1)
	v_lshrrev_b32_e32 v9, s40, v3
	v_mul_lo_u32 v3, v9, s44
	s_delay_alu instid0(VALU_DEP_1) | instskip(NEXT) | instid1(VALU_DEP_1)
	v_sub_nc_u32_e32 v2, v2, v3
	v_mad_u64_u32 v[3:4], null, v2, s46, v[0:1]
	v_mad_u64_u32 v[6:7], null, v2, s47, v[1:2]
	v_mov_b32_e32 v2, v9
	s_delay_alu instid0(VALU_DEP_2)
	v_dual_mov_b32 v0, v3 :: v_dual_mov_b32 v1, v6
	s_cbranch_scc1 .LBB369_270
.LBB369_271:
	s_and_not1_b32 vcc_lo, exec_lo, s39
	s_cbranch_vccnz .LBB369_274
; %bb.272:
	v_mul_hi_u32 v0, s13, v8
	s_and_not1_b32 vcc_lo, exec_lo, s31
	s_delay_alu instid0(VALU_DEP_1) | instskip(NEXT) | instid1(VALU_DEP_1)
	v_add_nc_u32_e32 v0, v8, v0
	v_lshrrev_b32_e32 v2, s14, v0
	s_delay_alu instid0(VALU_DEP_1) | instskip(NEXT) | instid1(VALU_DEP_1)
	v_mul_lo_u32 v0, v2, s12
	v_sub_nc_u32_e32 v1, v8, v0
	s_delay_alu instid0(VALU_DEP_1)
	v_mul_lo_u32 v0, v1, s8
	v_mul_lo_u32 v1, v1, s9
	s_cbranch_vccnz .LBB369_274
; %bb.273:
	s_waitcnt vmcnt(0)
	v_mul_hi_u32 v3, s20, v2
	s_delay_alu instid0(VALU_DEP_1) | instskip(NEXT) | instid1(VALU_DEP_1)
	v_add_nc_u32_e32 v3, v2, v3
	v_lshrrev_b32_e32 v3, s21, v3
	s_delay_alu instid0(VALU_DEP_1) | instskip(NEXT) | instid1(VALU_DEP_1)
	v_mul_lo_u32 v3, v3, s15
	v_sub_nc_u32_e32 v6, v2, v3
	s_delay_alu instid0(VALU_DEP_1) | instskip(NEXT) | instid1(VALU_DEP_1)
	v_mad_u64_u32 v[2:3], null, v6, s10, v[0:1]
	v_mad_u64_u32 v[3:4], null, v6, s11, v[1:2]
	s_delay_alu instid0(VALU_DEP_1)
	v_dual_mov_b32 v0, v2 :: v_dual_mov_b32 v1, v3
.LBB369_274:
	v_cmp_gt_i16_e32 vcc_lo, 11, v5
	s_delay_alu instid0(VALU_DEP_2) | instskip(NEXT) | instid1(VALU_DEP_1)
	v_add_co_u32 v1, s2, s6, v1
	v_add_co_ci_u32_e64 v2, null, s7, 0, s2
	s_mov_b32 s2, 0
	s_cbranch_vccnz .LBB369_281
; %bb.275:
	v_cmp_lt_i16_e32 vcc_lo, 25, v5
	s_cbranch_vccz .LBB369_330
; %bb.276:
	v_cmp_lt_i16_e32 vcc_lo, 28, v5
	s_cbranch_vccz .LBB369_331
	;; [unrolled: 3-line block ×4, first 2 shown]
; %bb.279:
	v_cmp_eq_u16_e32 vcc_lo, 46, v5
	s_mov_b32 s24, 0
	s_cbranch_vccz .LBB369_339
; %bb.280:
	global_load_b32 v3, v[1:2], off
	s_mov_b32 s2, -1
	s_mov_b32 s3, 0
	s_waitcnt vmcnt(0)
	v_lshlrev_b32_e32 v3, 16, v3
	s_delay_alu instid0(VALU_DEP_1)
	v_cvt_i32_f32_e32 v3, v3
	s_branch .LBB369_341
.LBB369_281:
	s_mov_b32 s3, s37
                                        ; implicit-def: $vgpr3
	s_cbranch_execnz .LBB369_474
.LBB369_282:
	s_and_not1_b32 vcc_lo, exec_lo, s2
	s_cbranch_vccnz .LBB369_522
.LBB369_283:
	v_and_b32_e64 v6, 0xff, s19
	s_waitcnt vmcnt(0)
	s_delay_alu instid0(VALU_DEP_2) | instskip(SKIP_1) | instid1(VALU_DEP_1)
	v_max_i32_e32 v1, s18, v3
	v_add_co_u32 v3, s2, s4, v0
	v_add_co_ci_u32_e64 v4, null, s5, 0, s2
	v_cmp_gt_i16_e32 vcc_lo, 11, v6
	s_mov_b32 s24, 0
	s_mov_b32 s25, -1
	s_mov_b32 s2, s36
	s_cbranch_vccnz .LBB369_290
; %bb.284:
	v_cmp_lt_i16_e32 vcc_lo, 25, v6
	s_cbranch_vccz .LBB369_332
; %bb.285:
	v_cmp_lt_i16_e32 vcc_lo, 28, v6
	s_cbranch_vccz .LBB369_334
	;; [unrolled: 3-line block ×4, first 2 shown]
; %bb.288:
	v_cmp_eq_u16_e32 vcc_lo, 46, v6
	s_mov_b32 s25, 0
	s_mov_b32 s2, -1
	s_cbranch_vccz .LBB369_345
; %bb.289:
	v_cvt_f32_i32_e32 v0, v1
	s_mov_b32 s24, -1
	s_mov_b32 s2, 0
	s_delay_alu instid0(VALU_DEP_1) | instskip(NEXT) | instid1(VALU_DEP_1)
	v_bfe_u32 v2, v0, 16, 1
	v_add3_u32 v0, v0, v2, 0x7fff
	s_delay_alu instid0(VALU_DEP_1)
	v_lshrrev_b32_e32 v0, 16, v0
	global_store_b32 v[3:4], v0, off
	s_branch .LBB369_345
.LBB369_290:
	s_and_b32 vcc_lo, exec_lo, s25
	s_cbranch_vccz .LBB369_414
; %bb.291:
	v_cmp_gt_i16_e32 vcc_lo, 5, v6
	s_mov_b32 s24, -1
	s_cbranch_vccnz .LBB369_312
; %bb.292:
	v_cmp_gt_i16_e32 vcc_lo, 8, v6
	s_cbranch_vccnz .LBB369_302
; %bb.293:
	v_cmp_gt_i16_e32 vcc_lo, 9, v6
	s_cbranch_vccnz .LBB369_299
; %bb.294:
	v_cmp_lt_i16_e32 vcc_lo, 9, v6
	s_cbranch_vccz .LBB369_296
; %bb.295:
	v_cvt_f64_i32_e32 v[9:10], v1
	v_mov_b32_e32 v11, 0
	s_mov_b32 s24, 0
	s_delay_alu instid0(VALU_DEP_1)
	v_mov_b32_e32 v12, v11
	global_store_b128 v[3:4], v[9:12], off
.LBB369_296:
	s_and_not1_b32 vcc_lo, exec_lo, s24
	s_cbranch_vccnz .LBB369_298
; %bb.297:
	v_cvt_f32_i32_e32 v9, v1
	v_mov_b32_e32 v10, 0
	global_store_b64 v[3:4], v[9:10], off
.LBB369_298:
	s_mov_b32 s24, 0
.LBB369_299:
	s_delay_alu instid0(SALU_CYCLE_1)
	s_and_not1_b32 vcc_lo, exec_lo, s24
	s_cbranch_vccnz .LBB369_301
; %bb.300:
	v_cvt_f32_i32_e32 v0, v1
	s_delay_alu instid0(VALU_DEP_1) | instskip(NEXT) | instid1(VALU_DEP_1)
	v_cvt_f16_f32_e32 v0, v0
	v_and_b32_e32 v0, 0xffff, v0
	global_store_b32 v[3:4], v0, off
.LBB369_301:
	s_mov_b32 s24, 0
.LBB369_302:
	s_delay_alu instid0(SALU_CYCLE_1)
	s_and_not1_b32 vcc_lo, exec_lo, s24
	s_cbranch_vccnz .LBB369_311
; %bb.303:
	v_cmp_gt_i16_e32 vcc_lo, 6, v6
	s_mov_b32 s24, -1
	s_cbranch_vccnz .LBB369_309
; %bb.304:
	v_cmp_lt_i16_e32 vcc_lo, 6, v6
	s_cbranch_vccz .LBB369_306
; %bb.305:
	v_cvt_f64_i32_e32 v[9:10], v1
	s_mov_b32 s24, 0
	global_store_b64 v[3:4], v[9:10], off
.LBB369_306:
	s_and_not1_b32 vcc_lo, exec_lo, s24
	s_cbranch_vccnz .LBB369_308
; %bb.307:
	v_cvt_f32_i32_e32 v0, v1
	global_store_b32 v[3:4], v0, off
.LBB369_308:
	s_mov_b32 s24, 0
.LBB369_309:
	s_delay_alu instid0(SALU_CYCLE_1)
	s_and_not1_b32 vcc_lo, exec_lo, s24
	s_cbranch_vccnz .LBB369_311
; %bb.310:
	v_cvt_f32_i32_e32 v0, v1
	s_delay_alu instid0(VALU_DEP_1)
	v_cvt_f16_f32_e32 v0, v0
	global_store_b16 v[3:4], v0, off
.LBB369_311:
	s_mov_b32 s24, 0
.LBB369_312:
	s_delay_alu instid0(SALU_CYCLE_1)
	s_and_not1_b32 vcc_lo, exec_lo, s24
	s_cbranch_vccnz .LBB369_328
; %bb.313:
	v_cmp_gt_i16_e32 vcc_lo, 2, v6
	s_mov_b32 s24, -1
	s_cbranch_vccnz .LBB369_323
; %bb.314:
	v_cmp_gt_i16_e32 vcc_lo, 3, v6
	s_cbranch_vccnz .LBB369_320
; %bb.315:
	v_cmp_lt_i16_e32 vcc_lo, 3, v6
	s_cbranch_vccz .LBB369_317
; %bb.316:
	v_ashrrev_i32_e32 v2, 31, v1
	s_mov_b32 s24, 0
	global_store_b64 v[3:4], v[1:2], off
.LBB369_317:
	s_and_not1_b32 vcc_lo, exec_lo, s24
	s_cbranch_vccnz .LBB369_319
; %bb.318:
	global_store_b32 v[3:4], v1, off
.LBB369_319:
	s_mov_b32 s24, 0
.LBB369_320:
	s_delay_alu instid0(SALU_CYCLE_1)
	s_and_not1_b32 vcc_lo, exec_lo, s24
	s_cbranch_vccnz .LBB369_322
; %bb.321:
	global_store_b16 v[3:4], v1, off
.LBB369_322:
	s_mov_b32 s24, 0
.LBB369_323:
	s_delay_alu instid0(SALU_CYCLE_1)
	s_and_not1_b32 vcc_lo, exec_lo, s24
	s_cbranch_vccnz .LBB369_328
; %bb.324:
	v_cmp_lt_i16_e32 vcc_lo, 0, v6
	s_mov_b32 s24, -1
	s_cbranch_vccz .LBB369_326
; %bb.325:
	s_mov_b32 s24, 0
	global_store_b8 v[3:4], v1, off
.LBB369_326:
	s_and_not1_b32 vcc_lo, exec_lo, s24
	s_cbranch_vccnz .LBB369_328
; %bb.327:
	global_store_b8 v[3:4], v1, off
.LBB369_328:
	s_branch .LBB369_415
.LBB369_329:
	s_mov_b32 s24, 0
	s_branch .LBB369_523
.LBB369_330:
	s_mov_b32 s24, -1
	s_mov_b32 s3, s37
                                        ; implicit-def: $vgpr3
	s_branch .LBB369_440
.LBB369_331:
	s_mov_b32 s24, -1
	s_mov_b32 s3, s37
                                        ; implicit-def: $vgpr3
	s_branch .LBB369_423
.LBB369_332:
	s_mov_b32 s2, s36
	s_branch .LBB369_372
.LBB369_333:
	s_mov_b32 s24, -1
	s_mov_b32 s3, s37
                                        ; implicit-def: $vgpr3
	s_branch .LBB369_418
.LBB369_334:
	s_mov_b32 s2, s36
	s_branch .LBB369_355
.LBB369_335:
	s_mov_b32 s24, -1
	s_mov_b32 s3, s37
	s_branch .LBB369_340
.LBB369_336:
	s_mov_b32 s2, s36
	s_branch .LBB369_351
.LBB369_337:
	s_or_saveexec_b32 s36, s36
                                        ; implicit-def: $sgpr37
	s_delay_alu instid0(SALU_CYCLE_1)
	s_xor_b32 exec_lo, exec_lo, s36
	s_cbranch_execz .LBB369_65
.LBB369_338:
	v_add_f32_e64 v2, 0x42800000, |v0|
	s_and_not1_b32 s25, s25, exec_lo
	s_mov_b32 s37, 0
	s_delay_alu instid0(VALU_DEP_1) | instskip(NEXT) | instid1(VALU_DEP_1)
	v_and_b32_e32 v2, 0xff, v2
	v_cmp_ne_u32_e32 vcc_lo, 0, v2
	s_and_b32 s40, vcc_lo, exec_lo
	s_delay_alu instid0(SALU_CYCLE_1)
	s_or_b32 s25, s25, s40
	s_or_b32 exec_lo, exec_lo, s36
	v_mov_b32_e32 v7, s37
	s_and_saveexec_b32 s36, s25
	s_cbranch_execnz .LBB369_66
	s_branch .LBB369_67
.LBB369_339:
	s_mov_b32 s3, -1
.LBB369_340:
                                        ; implicit-def: $vgpr3
.LBB369_341:
	s_and_b32 vcc_lo, exec_lo, s24
	s_cbranch_vccz .LBB369_417
; %bb.342:
	v_cmp_eq_u16_e32 vcc_lo, 44, v5
	s_cbranch_vccz .LBB369_416
; %bb.343:
	global_load_u8 v3, v[1:2], off
	s_mov_b32 s3, 0
	s_mov_b32 s2, -1
	s_waitcnt vmcnt(0)
	v_lshlrev_b32_e32 v4, 23, v3
	v_cmp_ne_u32_e32 vcc_lo, 0, v3
	s_delay_alu instid0(VALU_DEP_2) | instskip(NEXT) | instid1(VALU_DEP_1)
	v_cvt_i32_f32_e32 v4, v4
	v_cndmask_b32_e32 v3, 0, v4, vcc_lo
	s_branch .LBB369_417
.LBB369_344:
	s_mov_b32 s2, s36
.LBB369_345:
	s_and_b32 vcc_lo, exec_lo, s25
	s_cbranch_vccz .LBB369_350
; %bb.346:
	v_cmp_eq_u16_e32 vcc_lo, 44, v6
	s_mov_b32 s2, -1
	s_cbranch_vccz .LBB369_350
; %bb.347:
	v_cvt_f32_i32_e32 v0, v1
	v_mov_b32_e32 v2, 0xff
	s_mov_b32 s24, exec_lo
	s_delay_alu instid0(VALU_DEP_2) | instskip(NEXT) | instid1(VALU_DEP_1)
	v_bfe_u32 v7, v0, 23, 8
	v_cmpx_ne_u32_e32 0xff, v7
; %bb.348:
	v_and_b32_e32 v2, 0x400000, v0
	v_and_or_b32 v7, 0x3fffff, v0, v7
	v_lshrrev_b32_e32 v0, 23, v0
	s_delay_alu instid0(VALU_DEP_3) | instskip(NEXT) | instid1(VALU_DEP_3)
	v_cmp_ne_u32_e32 vcc_lo, 0, v2
	v_cmp_ne_u32_e64 s2, 0, v7
	s_delay_alu instid0(VALU_DEP_1) | instskip(NEXT) | instid1(SALU_CYCLE_1)
	s_and_b32 s2, vcc_lo, s2
	v_cndmask_b32_e64 v2, 0, 1, s2
	s_delay_alu instid0(VALU_DEP_1)
	v_add_nc_u32_e32 v2, v0, v2
; %bb.349:
	s_or_b32 exec_lo, exec_lo, s24
	s_mov_b32 s24, -1
	s_mov_b32 s2, 0
	global_store_b8 v[3:4], v2, off
.LBB369_350:
	s_mov_b32 s25, 0
.LBB369_351:
	s_delay_alu instid0(SALU_CYCLE_1)
	s_and_b32 vcc_lo, exec_lo, s25
	s_cbranch_vccz .LBB369_354
; %bb.352:
	v_cmp_eq_u16_e32 vcc_lo, 29, v6
	s_mov_b32 s2, -1
	s_cbranch_vccz .LBB369_354
; %bb.353:
	v_ashrrev_i32_e32 v2, 31, v1
	s_mov_b32 s24, -1
	s_mov_b32 s2, 0
	s_mov_b32 s25, 0
	global_store_b64 v[3:4], v[1:2], off
	s_branch .LBB369_355
.LBB369_354:
	s_mov_b32 s25, 0
.LBB369_355:
	s_delay_alu instid0(SALU_CYCLE_1)
	s_and_b32 vcc_lo, exec_lo, s25
	s_cbranch_vccz .LBB369_371
; %bb.356:
	v_cmp_gt_i16_e32 vcc_lo, 27, v6
	s_mov_b32 s24, -1
	s_cbranch_vccnz .LBB369_362
; %bb.357:
	v_cmp_lt_i16_e32 vcc_lo, 27, v6
	s_cbranch_vccz .LBB369_359
; %bb.358:
	s_mov_b32 s24, 0
	global_store_b32 v[3:4], v1, off
.LBB369_359:
	s_and_not1_b32 vcc_lo, exec_lo, s24
	s_cbranch_vccnz .LBB369_361
; %bb.360:
	global_store_b16 v[3:4], v1, off
.LBB369_361:
	s_mov_b32 s24, 0
.LBB369_362:
	s_delay_alu instid0(SALU_CYCLE_1)
	s_and_not1_b32 vcc_lo, exec_lo, s24
	s_cbranch_vccnz .LBB369_370
; %bb.363:
	v_cvt_f32_i32_e32 v0, v1
	v_mov_b32_e32 v7, 0x80
	s_mov_b32 s24, exec_lo
	s_delay_alu instid0(VALU_DEP_2) | instskip(NEXT) | instid1(VALU_DEP_1)
	v_and_b32_e32 v2, 0x7fffffff, v0
	v_cmpx_gt_u32_e32 0x43800000, v2
	s_cbranch_execz .LBB369_369
; %bb.364:
	v_cmp_lt_u32_e32 vcc_lo, 0x3bffffff, v2
	s_mov_b32 s25, 0
                                        ; implicit-def: $vgpr2
	s_and_saveexec_b32 s39, vcc_lo
	s_delay_alu instid0(SALU_CYCLE_1)
	s_xor_b32 s39, exec_lo, s39
	s_cbranch_execz .LBB369_551
; %bb.365:
	v_bfe_u32 v2, v0, 20, 1
	s_mov_b32 s25, exec_lo
	s_delay_alu instid0(VALU_DEP_1) | instskip(NEXT) | instid1(VALU_DEP_1)
	v_add3_u32 v2, v0, v2, 0x487ffff
	v_lshrrev_b32_e32 v2, 20, v2
	s_or_saveexec_b32 s39, s39
                                        ; implicit-def: $sgpr40
	s_delay_alu instid0(SALU_CYCLE_1)
	s_xor_b32 exec_lo, exec_lo, s39
	s_cbranch_execnz .LBB369_552
.LBB369_366:
	s_or_b32 exec_lo, exec_lo, s39
	v_mov_b32_e32 v7, s40
	s_and_saveexec_b32 s39, s25
.LBB369_367:
	v_lshrrev_b32_e32 v0, 24, v0
	s_delay_alu instid0(VALU_DEP_1)
	v_and_or_b32 v7, 0x80, v0, v2
.LBB369_368:
	s_or_b32 exec_lo, exec_lo, s39
.LBB369_369:
	s_delay_alu instid0(SALU_CYCLE_1)
	s_or_b32 exec_lo, exec_lo, s24
	global_store_b8 v[3:4], v7, off
.LBB369_370:
	s_mov_b32 s24, -1
.LBB369_371:
	s_mov_b32 s25, 0
.LBB369_372:
	s_delay_alu instid0(SALU_CYCLE_1)
	s_and_b32 vcc_lo, exec_lo, s25
	s_cbranch_vccz .LBB369_413
; %bb.373:
	v_cmp_lt_i16_e32 vcc_lo, 22, v6
	s_mov_b32 s25, -1
	s_cbranch_vccz .LBB369_405
; %bb.374:
	v_cmp_gt_i16_e32 vcc_lo, 24, v6
	s_mov_b32 s24, -1
	s_cbranch_vccnz .LBB369_394
; %bb.375:
	v_cmp_lt_i16_e32 vcc_lo, 24, v6
	s_cbranch_vccz .LBB369_383
; %bb.376:
	v_cvt_f32_i32_e32 v0, v1
	v_mov_b32_e32 v7, 0x80
	s_mov_b32 s24, exec_lo
	s_delay_alu instid0(VALU_DEP_2) | instskip(NEXT) | instid1(VALU_DEP_1)
	v_and_b32_e32 v2, 0x7fffffff, v0
	v_cmpx_gt_u32_e32 0x47800000, v2
	s_cbranch_execz .LBB369_382
; %bb.377:
	v_cmp_lt_u32_e32 vcc_lo, 0x37ffffff, v2
	s_mov_b32 s25, 0
                                        ; implicit-def: $vgpr2
	s_and_saveexec_b32 s39, vcc_lo
	s_delay_alu instid0(SALU_CYCLE_1)
	s_xor_b32 s39, exec_lo, s39
	s_cbranch_execz .LBB369_554
; %bb.378:
	v_bfe_u32 v2, v0, 21, 1
	s_mov_b32 s25, exec_lo
	s_delay_alu instid0(VALU_DEP_1) | instskip(NEXT) | instid1(VALU_DEP_1)
	v_add3_u32 v2, v0, v2, 0x88fffff
	v_lshrrev_b32_e32 v2, 21, v2
	s_or_saveexec_b32 s39, s39
                                        ; implicit-def: $sgpr40
	s_delay_alu instid0(SALU_CYCLE_1)
	s_xor_b32 exec_lo, exec_lo, s39
	s_cbranch_execnz .LBB369_555
.LBB369_379:
	s_or_b32 exec_lo, exec_lo, s39
	v_mov_b32_e32 v7, s40
	s_and_saveexec_b32 s39, s25
.LBB369_380:
	v_lshrrev_b32_e32 v0, 24, v0
	s_delay_alu instid0(VALU_DEP_1)
	v_and_or_b32 v7, 0x80, v0, v2
.LBB369_381:
	s_or_b32 exec_lo, exec_lo, s39
.LBB369_382:
	s_delay_alu instid0(SALU_CYCLE_1)
	s_or_b32 exec_lo, exec_lo, s24
	s_mov_b32 s24, 0
	global_store_b8 v[3:4], v7, off
.LBB369_383:
	s_and_b32 vcc_lo, exec_lo, s24
	s_cbranch_vccz .LBB369_393
; %bb.384:
	v_cvt_f32_i32_e32 v0, v1
	s_mov_b32 s24, exec_lo
                                        ; implicit-def: $vgpr2
	s_delay_alu instid0(VALU_DEP_1) | instskip(NEXT) | instid1(VALU_DEP_1)
	v_and_b32_e32 v7, 0x7fffffff, v0
	v_cmpx_gt_u32_e32 0x43f00000, v7
	s_xor_b32 s24, exec_lo, s24
	s_cbranch_execz .LBB369_390
; %bb.385:
	s_mov_b32 s25, exec_lo
                                        ; implicit-def: $vgpr2
	v_cmpx_lt_u32_e32 0x3c7fffff, v7
	s_xor_b32 s25, exec_lo, s25
; %bb.386:
	v_bfe_u32 v2, v0, 20, 1
	s_delay_alu instid0(VALU_DEP_1) | instskip(NEXT) | instid1(VALU_DEP_1)
	v_add3_u32 v2, v0, v2, 0x407ffff
	v_and_b32_e32 v7, 0xff00000, v2
	v_lshrrev_b32_e32 v2, 20, v2
	s_delay_alu instid0(VALU_DEP_2) | instskip(NEXT) | instid1(VALU_DEP_2)
	v_cmp_ne_u32_e32 vcc_lo, 0x7f00000, v7
	v_cndmask_b32_e32 v2, 0x7e, v2, vcc_lo
; %bb.387:
	s_and_not1_saveexec_b32 s25, s25
; %bb.388:
	v_add_f32_e64 v2, 0x46800000, |v0|
; %bb.389:
	s_or_b32 exec_lo, exec_lo, s25
                                        ; implicit-def: $vgpr7
.LBB369_390:
	s_and_not1_saveexec_b32 s24, s24
; %bb.391:
	v_mov_b32_e32 v2, 0x7f
	v_cmp_lt_u32_e32 vcc_lo, 0x7f800000, v7
	s_delay_alu instid0(VALU_DEP_2)
	v_cndmask_b32_e32 v2, 0x7e, v2, vcc_lo
; %bb.392:
	s_or_b32 exec_lo, exec_lo, s24
	v_lshrrev_b32_e32 v0, 24, v0
	s_delay_alu instid0(VALU_DEP_1)
	v_and_or_b32 v0, 0x80, v0, v2
	global_store_b8 v[3:4], v0, off
.LBB369_393:
	s_mov_b32 s24, 0
.LBB369_394:
	s_delay_alu instid0(SALU_CYCLE_1)
	s_and_not1_b32 vcc_lo, exec_lo, s24
	s_cbranch_vccnz .LBB369_404
; %bb.395:
	v_cvt_f32_i32_e32 v0, v1
	s_mov_b32 s24, exec_lo
                                        ; implicit-def: $vgpr2
	s_delay_alu instid0(VALU_DEP_1) | instskip(NEXT) | instid1(VALU_DEP_1)
	v_and_b32_e32 v7, 0x7fffffff, v0
	v_cmpx_gt_u32_e32 0x47800000, v7
	s_xor_b32 s24, exec_lo, s24
	s_cbranch_execz .LBB369_401
; %bb.396:
	s_mov_b32 s25, exec_lo
                                        ; implicit-def: $vgpr2
	v_cmpx_lt_u32_e32 0x387fffff, v7
	s_xor_b32 s25, exec_lo, s25
; %bb.397:
	v_bfe_u32 v2, v0, 21, 1
	s_delay_alu instid0(VALU_DEP_1) | instskip(NEXT) | instid1(VALU_DEP_1)
	v_add3_u32 v2, v0, v2, 0x80fffff
	v_lshrrev_b32_e32 v2, 21, v2
; %bb.398:
	s_and_not1_saveexec_b32 s25, s25
; %bb.399:
	v_add_f32_e64 v2, 0x43000000, |v0|
; %bb.400:
	s_or_b32 exec_lo, exec_lo, s25
                                        ; implicit-def: $vgpr7
.LBB369_401:
	s_and_not1_saveexec_b32 s24, s24
; %bb.402:
	v_mov_b32_e32 v2, 0x7f
	v_cmp_lt_u32_e32 vcc_lo, 0x7f800000, v7
	s_delay_alu instid0(VALU_DEP_2)
	v_cndmask_b32_e32 v2, 0x7c, v2, vcc_lo
; %bb.403:
	s_or_b32 exec_lo, exec_lo, s24
	v_lshrrev_b32_e32 v0, 24, v0
	s_delay_alu instid0(VALU_DEP_1)
	v_and_or_b32 v0, 0x80, v0, v2
	global_store_b8 v[3:4], v0, off
.LBB369_404:
	s_mov_b32 s25, 0
	s_mov_b32 s24, -1
.LBB369_405:
	s_and_not1_b32 vcc_lo, exec_lo, s25
	s_cbranch_vccnz .LBB369_413
; %bb.406:
	v_cmp_lt_i16_e32 vcc_lo, 14, v6
	s_mov_b32 s25, -1
	s_cbranch_vccz .LBB369_410
; %bb.407:
	v_cmp_eq_u16_e32 vcc_lo, 15, v6
	s_mov_b32 s2, -1
	s_cbranch_vccz .LBB369_409
; %bb.408:
	v_cvt_f32_i32_e32 v0, v1
	s_mov_b32 s24, -1
	s_mov_b32 s2, 0
	s_delay_alu instid0(VALU_DEP_1) | instskip(NEXT) | instid1(VALU_DEP_1)
	v_bfe_u32 v2, v0, 16, 1
	v_add3_u32 v0, v0, v2, 0x7fff
	global_store_d16_hi_b16 v[3:4], v0, off
.LBB369_409:
	s_mov_b32 s25, 0
.LBB369_410:
	s_delay_alu instid0(SALU_CYCLE_1)
	s_and_b32 vcc_lo, exec_lo, s25
	s_cbranch_vccz .LBB369_413
; %bb.411:
	v_cmp_eq_u16_e32 vcc_lo, 11, v6
	s_mov_b32 s2, -1
	s_cbranch_vccz .LBB369_413
; %bb.412:
	v_cmp_ne_u32_e32 vcc_lo, 0, v1
	s_mov_b32 s2, 0
	s_mov_b32 s24, -1
	v_cndmask_b32_e64 v0, 0, 1, vcc_lo
	global_store_b8 v[3:4], v0, off
.LBB369_413:
.LBB369_414:
	s_and_not1_b32 vcc_lo, exec_lo, s24
	s_cbranch_vccnz .LBB369_329
.LBB369_415:
	v_add_nc_u32_e32 v8, 0x80, v8
	s_mov_b32 s24, -1
	s_branch .LBB369_524
.LBB369_416:
	s_mov_b32 s3, -1
                                        ; implicit-def: $vgpr3
.LBB369_417:
	s_mov_b32 s24, 0
.LBB369_418:
	s_delay_alu instid0(SALU_CYCLE_1)
	s_and_b32 vcc_lo, exec_lo, s24
	s_cbranch_vccz .LBB369_422
; %bb.419:
	v_cmp_eq_u16_e32 vcc_lo, 29, v5
	s_cbranch_vccz .LBB369_421
; %bb.420:
	global_load_b32 v3, v[1:2], off
	s_mov_b32 s2, -1
	s_mov_b32 s3, 0
	s_branch .LBB369_422
.LBB369_421:
	s_mov_b32 s3, -1
                                        ; implicit-def: $vgpr3
.LBB369_422:
	s_mov_b32 s24, 0
.LBB369_423:
	s_delay_alu instid0(SALU_CYCLE_1)
	s_and_b32 vcc_lo, exec_lo, s24
	s_cbranch_vccz .LBB369_439
; %bb.424:
	v_cmp_gt_i16_e32 vcc_lo, 27, v5
	s_cbranch_vccnz .LBB369_427
; %bb.425:
	v_cmp_lt_i16_e32 vcc_lo, 27, v5
	s_cbranch_vccz .LBB369_428
; %bb.426:
	global_load_b32 v3, v[1:2], off
	s_mov_b32 s2, 0
	s_branch .LBB369_429
.LBB369_427:
	s_mov_b32 s2, -1
                                        ; implicit-def: $vgpr3
	s_branch .LBB369_432
.LBB369_428:
	s_mov_b32 s2, -1
                                        ; implicit-def: $vgpr3
.LBB369_429:
	s_delay_alu instid0(SALU_CYCLE_1)
	s_and_not1_b32 vcc_lo, exec_lo, s2
	s_cbranch_vccnz .LBB369_431
; %bb.430:
	global_load_u16 v3, v[1:2], off
.LBB369_431:
	s_mov_b32 s2, 0
.LBB369_432:
	s_delay_alu instid0(SALU_CYCLE_1)
	s_and_not1_b32 vcc_lo, exec_lo, s2
	s_cbranch_vccnz .LBB369_438
; %bb.433:
	global_load_u8 v4, v[1:2], off
	s_mov_b32 s2, 0
	s_mov_b32 s24, exec_lo
                                        ; implicit-def: $sgpr25
	s_waitcnt vmcnt(0)
	v_cmpx_lt_i16_e32 0x7f, v4
	s_xor_b32 s24, exec_lo, s24
	s_cbranch_execz .LBB369_450
; %bb.434:
	v_cmp_ne_u16_e32 vcc_lo, 0x80, v4
	s_mov_b32 s25, 0
	s_and_b32 s2, vcc_lo, exec_lo
	s_or_saveexec_b32 s24, s24
	v_mov_b32_e32 v3, s25
	s_xor_b32 exec_lo, exec_lo, s24
	s_cbranch_execnz .LBB369_451
.LBB369_435:
	s_or_b32 exec_lo, exec_lo, s24
	s_and_saveexec_b32 s24, s2
	s_cbranch_execz .LBB369_437
.LBB369_436:
	v_and_b32_e32 v3, 0xffff, v4
	s_delay_alu instid0(VALU_DEP_1) | instskip(NEXT) | instid1(VALU_DEP_1)
	v_and_b32_e32 v6, 7, v3
	v_clz_i32_u32_e32 v7, v6
	s_delay_alu instid0(VALU_DEP_1) | instskip(NEXT) | instid1(VALU_DEP_1)
	v_min_u32_e32 v7, 32, v7
	v_subrev_nc_u32_e32 v9, 28, v7
	v_sub_nc_u32_e32 v7, 29, v7
	s_delay_alu instid0(VALU_DEP_2) | instskip(SKIP_1) | instid1(VALU_DEP_2)
	v_lshlrev_b32_e32 v9, v9, v3
	v_bfe_u32 v3, v3, 3, 4
	v_and_b32_e32 v9, 7, v9
	s_delay_alu instid0(VALU_DEP_2) | instskip(SKIP_1) | instid1(VALU_DEP_3)
	v_cmp_eq_u32_e32 vcc_lo, 0, v3
	v_dual_cndmask_b32 v3, v3, v7 :: v_dual_lshlrev_b32 v4, 24, v4
	v_cndmask_b32_e32 v6, v6, v9, vcc_lo
	s_delay_alu instid0(VALU_DEP_2) | instskip(NEXT) | instid1(VALU_DEP_3)
	v_and_b32_e32 v4, 0x80000000, v4
	v_lshl_add_u32 v3, v3, 23, 0x3b800000
	s_delay_alu instid0(VALU_DEP_3) | instskip(NEXT) | instid1(VALU_DEP_1)
	v_lshlrev_b32_e32 v6, 20, v6
	v_or3_b32 v3, v4, v3, v6
	s_delay_alu instid0(VALU_DEP_1)
	v_cvt_i32_f32_e32 v3, v3
.LBB369_437:
	s_or_b32 exec_lo, exec_lo, s24
.LBB369_438:
	s_mov_b32 s2, -1
.LBB369_439:
	s_mov_b32 s24, 0
.LBB369_440:
	s_delay_alu instid0(SALU_CYCLE_1)
	s_and_b32 vcc_lo, exec_lo, s24
	s_cbranch_vccz .LBB369_473
; %bb.441:
	v_cmp_lt_i16_e32 vcc_lo, 22, v5
	s_cbranch_vccz .LBB369_449
; %bb.442:
	v_cmp_gt_i16_e32 vcc_lo, 24, v5
	s_cbranch_vccnz .LBB369_452
; %bb.443:
	v_cmp_lt_i16_e32 vcc_lo, 24, v5
	s_cbranch_vccz .LBB369_453
; %bb.444:
	global_load_u8 v4, v[1:2], off
	s_mov_b32 s2, 0
	s_mov_b32 s24, exec_lo
                                        ; implicit-def: $sgpr25
	s_waitcnt vmcnt(0)
	v_cmpx_lt_i16_e32 0x7f, v4
	s_xor_b32 s24, exec_lo, s24
	s_cbranch_execz .LBB369_465
; %bb.445:
	v_cmp_ne_u16_e32 vcc_lo, 0x80, v4
	s_mov_b32 s25, 0
	s_and_b32 s2, vcc_lo, exec_lo
	s_or_saveexec_b32 s24, s24
	v_mov_b32_e32 v3, s25
	s_xor_b32 exec_lo, exec_lo, s24
	s_cbranch_execnz .LBB369_466
.LBB369_446:
	s_or_b32 exec_lo, exec_lo, s24
	s_and_saveexec_b32 s24, s2
	s_cbranch_execz .LBB369_448
.LBB369_447:
	v_and_b32_e32 v3, 0xffff, v4
	s_delay_alu instid0(VALU_DEP_1) | instskip(NEXT) | instid1(VALU_DEP_1)
	v_and_b32_e32 v6, 3, v3
	v_clz_i32_u32_e32 v7, v6
	s_delay_alu instid0(VALU_DEP_1) | instskip(NEXT) | instid1(VALU_DEP_1)
	v_min_u32_e32 v7, 32, v7
	v_subrev_nc_u32_e32 v9, 29, v7
	v_sub_nc_u32_e32 v7, 30, v7
	s_delay_alu instid0(VALU_DEP_2) | instskip(SKIP_1) | instid1(VALU_DEP_2)
	v_lshlrev_b32_e32 v9, v9, v3
	v_bfe_u32 v3, v3, 2, 5
	v_and_b32_e32 v9, 3, v9
	s_delay_alu instid0(VALU_DEP_2) | instskip(SKIP_1) | instid1(VALU_DEP_3)
	v_cmp_eq_u32_e32 vcc_lo, 0, v3
	v_dual_cndmask_b32 v3, v3, v7 :: v_dual_lshlrev_b32 v4, 24, v4
	v_cndmask_b32_e32 v6, v6, v9, vcc_lo
	s_delay_alu instid0(VALU_DEP_2) | instskip(NEXT) | instid1(VALU_DEP_3)
	v_and_b32_e32 v4, 0x80000000, v4
	v_lshl_add_u32 v3, v3, 23, 0x37800000
	s_delay_alu instid0(VALU_DEP_3) | instskip(NEXT) | instid1(VALU_DEP_1)
	v_lshlrev_b32_e32 v6, 21, v6
	v_or3_b32 v3, v4, v3, v6
	s_delay_alu instid0(VALU_DEP_1)
	v_cvt_i32_f32_e32 v3, v3
.LBB369_448:
	s_or_b32 exec_lo, exec_lo, s24
	s_mov_b32 s2, 0
	s_branch .LBB369_454
.LBB369_449:
	s_mov_b32 s24, -1
                                        ; implicit-def: $vgpr3
	s_branch .LBB369_460
.LBB369_450:
	s_or_saveexec_b32 s24, s24
	v_mov_b32_e32 v3, s25
	s_xor_b32 exec_lo, exec_lo, s24
	s_cbranch_execz .LBB369_435
.LBB369_451:
	v_cmp_ne_u16_e32 vcc_lo, 0, v4
	v_mov_b32_e32 v3, 0
	s_and_not1_b32 s2, s2, exec_lo
	s_and_b32 s25, vcc_lo, exec_lo
	s_delay_alu instid0(SALU_CYCLE_1)
	s_or_b32 s2, s2, s25
	s_or_b32 exec_lo, exec_lo, s24
	s_and_saveexec_b32 s24, s2
	s_cbranch_execnz .LBB369_436
	s_branch .LBB369_437
.LBB369_452:
	s_mov_b32 s2, -1
                                        ; implicit-def: $vgpr3
	s_branch .LBB369_457
.LBB369_453:
	s_mov_b32 s2, -1
                                        ; implicit-def: $vgpr3
.LBB369_454:
	s_delay_alu instid0(SALU_CYCLE_1)
	s_and_b32 vcc_lo, exec_lo, s2
	s_cbranch_vccz .LBB369_456
; %bb.455:
	global_load_u8 v3, v[1:2], off
	s_waitcnt vmcnt(0)
	v_lshlrev_b32_e32 v3, 24, v3
	s_delay_alu instid0(VALU_DEP_1) | instskip(NEXT) | instid1(VALU_DEP_1)
	v_and_b32_e32 v4, 0x7f000000, v3
	v_clz_i32_u32_e32 v6, v4
	v_add_nc_u32_e32 v9, 0x1000000, v4
	v_cmp_ne_u32_e32 vcc_lo, 0, v4
	s_delay_alu instid0(VALU_DEP_3) | instskip(NEXT) | instid1(VALU_DEP_1)
	v_min_u32_e32 v6, 32, v6
	v_sub_nc_u32_e64 v6, v6, 4 clamp
	s_delay_alu instid0(VALU_DEP_1) | instskip(SKIP_1) | instid1(VALU_DEP_2)
	v_lshlrev_b32_e32 v7, v6, v4
	v_lshlrev_b32_e32 v6, 23, v6
	v_lshrrev_b32_e32 v7, 4, v7
	s_delay_alu instid0(VALU_DEP_1) | instskip(SKIP_1) | instid1(VALU_DEP_2)
	v_sub_nc_u32_e32 v6, v7, v6
	v_ashrrev_i32_e32 v7, 8, v9
	v_add_nc_u32_e32 v6, 0x3c000000, v6
	s_delay_alu instid0(VALU_DEP_1) | instskip(NEXT) | instid1(VALU_DEP_1)
	v_and_or_b32 v6, 0x7f800000, v7, v6
	v_cndmask_b32_e32 v4, 0, v6, vcc_lo
	s_delay_alu instid0(VALU_DEP_1) | instskip(NEXT) | instid1(VALU_DEP_1)
	v_and_or_b32 v3, 0x80000000, v3, v4
	v_cvt_i32_f32_e32 v3, v3
.LBB369_456:
	s_mov_b32 s2, 0
.LBB369_457:
	s_delay_alu instid0(SALU_CYCLE_1)
	s_and_not1_b32 vcc_lo, exec_lo, s2
	s_cbranch_vccnz .LBB369_459
; %bb.458:
	global_load_u8 v3, v[1:2], off
	s_waitcnt vmcnt(0)
	v_lshlrev_b32_e32 v4, 25, v3
	v_lshlrev_b16 v3, 8, v3
	s_delay_alu instid0(VALU_DEP_2) | instskip(NEXT) | instid1(VALU_DEP_2)
	v_lshrrev_b32_e32 v6, 4, v4
	v_and_or_b32 v7, 0x7f00, v3, 0.5
	v_cmp_gt_u32_e32 vcc_lo, 0x8000000, v4
	v_bfe_i32 v3, v3, 0, 16
	s_delay_alu instid0(VALU_DEP_4) | instskip(NEXT) | instid1(VALU_DEP_1)
	v_or_b32_e32 v6, 0x70000000, v6
	v_dual_add_f32 v7, -0.5, v7 :: v_dual_mul_f32 v6, 0x7800000, v6
	s_delay_alu instid0(VALU_DEP_1) | instskip(NEXT) | instid1(VALU_DEP_1)
	v_cndmask_b32_e32 v4, v6, v7, vcc_lo
	v_and_or_b32 v3, 0x80000000, v3, v4
	s_delay_alu instid0(VALU_DEP_1)
	v_cvt_i32_f32_e32 v3, v3
.LBB369_459:
	s_mov_b32 s24, 0
	s_mov_b32 s2, -1
.LBB369_460:
	s_and_not1_b32 vcc_lo, exec_lo, s24
	s_cbranch_vccnz .LBB369_473
; %bb.461:
	v_cmp_lt_i16_e32 vcc_lo, 14, v5
	s_cbranch_vccz .LBB369_464
; %bb.462:
	v_cmp_eq_u16_e32 vcc_lo, 15, v5
	s_cbranch_vccz .LBB369_467
; %bb.463:
	global_load_u16 v3, v[1:2], off
	s_mov_b32 s2, -1
	s_mov_b32 s3, 0
	s_waitcnt vmcnt(0)
	v_lshlrev_b32_e32 v3, 16, v3
	s_delay_alu instid0(VALU_DEP_1)
	v_cvt_i32_f32_e32 v3, v3
	s_branch .LBB369_468
.LBB369_464:
	s_mov_b32 s24, -1
                                        ; implicit-def: $vgpr3
	s_branch .LBB369_469
.LBB369_465:
	s_or_saveexec_b32 s24, s24
	v_mov_b32_e32 v3, s25
	s_xor_b32 exec_lo, exec_lo, s24
	s_cbranch_execz .LBB369_446
.LBB369_466:
	v_cmp_ne_u16_e32 vcc_lo, 0, v4
	v_mov_b32_e32 v3, 0
	s_and_not1_b32 s2, s2, exec_lo
	s_and_b32 s25, vcc_lo, exec_lo
	s_delay_alu instid0(SALU_CYCLE_1)
	s_or_b32 s2, s2, s25
	s_or_b32 exec_lo, exec_lo, s24
	s_and_saveexec_b32 s24, s2
	s_cbranch_execnz .LBB369_447
	s_branch .LBB369_448
.LBB369_467:
	s_mov_b32 s3, -1
                                        ; implicit-def: $vgpr3
.LBB369_468:
	s_mov_b32 s24, 0
.LBB369_469:
	s_delay_alu instid0(SALU_CYCLE_1)
	s_and_b32 vcc_lo, exec_lo, s24
	s_cbranch_vccz .LBB369_473
; %bb.470:
	v_cmp_eq_u16_e32 vcc_lo, 11, v5
	s_cbranch_vccz .LBB369_472
; %bb.471:
	global_load_u8 v3, v[1:2], off
	s_mov_b32 s3, 0
	s_mov_b32 s2, -1
	s_waitcnt vmcnt(0)
	v_cmp_ne_u16_e32 vcc_lo, 0, v3
	v_cndmask_b32_e64 v3, 0, 1, vcc_lo
	s_branch .LBB369_473
.LBB369_472:
	s_mov_b32 s3, -1
                                        ; implicit-def: $vgpr3
.LBB369_473:
	s_branch .LBB369_282
.LBB369_474:
	v_cmp_gt_i16_e32 vcc_lo, 5, v5
	s_cbranch_vccnz .LBB369_479
; %bb.475:
	v_cmp_gt_i16_e32 vcc_lo, 8, v5
	s_cbranch_vccnz .LBB369_480
; %bb.476:
	;; [unrolled: 3-line block ×3, first 2 shown]
	v_cmp_lt_i16_e32 vcc_lo, 9, v5
	s_cbranch_vccz .LBB369_482
; %bb.478:
	global_load_b64 v[3:4], v[1:2], off
	s_mov_b32 s2, 0
	s_waitcnt vmcnt(0)
	v_cvt_i32_f64_e32 v3, v[3:4]
	s_branch .LBB369_483
.LBB369_479:
	s_mov_b32 s2, -1
                                        ; implicit-def: $vgpr3
	s_branch .LBB369_501
.LBB369_480:
	s_mov_b32 s2, -1
                                        ; implicit-def: $vgpr3
	s_branch .LBB369_489
.LBB369_481:
	s_mov_b32 s2, -1
                                        ; implicit-def: $vgpr3
	s_branch .LBB369_486
.LBB369_482:
	s_mov_b32 s2, -1
                                        ; implicit-def: $vgpr3
.LBB369_483:
	s_delay_alu instid0(SALU_CYCLE_1)
	s_and_not1_b32 vcc_lo, exec_lo, s2
	s_cbranch_vccnz .LBB369_485
; %bb.484:
	global_load_b32 v3, v[1:2], off
	s_waitcnt vmcnt(0)
	v_cvt_i32_f32_e32 v3, v3
.LBB369_485:
	s_mov_b32 s2, 0
.LBB369_486:
	s_delay_alu instid0(SALU_CYCLE_1)
	s_and_not1_b32 vcc_lo, exec_lo, s2
	s_cbranch_vccnz .LBB369_488
; %bb.487:
	global_load_b32 v3, v[1:2], off
	s_waitcnt vmcnt(0)
	v_cvt_f32_f16_e32 v3, v3
	s_delay_alu instid0(VALU_DEP_1)
	v_cvt_i32_f32_e32 v3, v3
.LBB369_488:
	s_mov_b32 s2, 0
.LBB369_489:
	s_delay_alu instid0(SALU_CYCLE_1)
	s_and_not1_b32 vcc_lo, exec_lo, s2
	s_cbranch_vccnz .LBB369_500
; %bb.490:
	v_cmp_gt_i16_e32 vcc_lo, 6, v5
	s_cbranch_vccnz .LBB369_493
; %bb.491:
	v_cmp_lt_i16_e32 vcc_lo, 6, v5
	s_cbranch_vccz .LBB369_494
; %bb.492:
	global_load_b64 v[3:4], v[1:2], off
	s_mov_b32 s2, 0
	s_waitcnt vmcnt(0)
	v_cvt_i32_f64_e32 v3, v[3:4]
	s_branch .LBB369_495
.LBB369_493:
	s_mov_b32 s2, -1
                                        ; implicit-def: $vgpr3
	s_branch .LBB369_498
.LBB369_494:
	s_mov_b32 s2, -1
                                        ; implicit-def: $vgpr3
.LBB369_495:
	s_delay_alu instid0(SALU_CYCLE_1)
	s_and_not1_b32 vcc_lo, exec_lo, s2
	s_cbranch_vccnz .LBB369_497
; %bb.496:
	global_load_b32 v3, v[1:2], off
	s_waitcnt vmcnt(0)
	v_cvt_i32_f32_e32 v3, v3
.LBB369_497:
	s_mov_b32 s2, 0
.LBB369_498:
	s_delay_alu instid0(SALU_CYCLE_1)
	s_and_not1_b32 vcc_lo, exec_lo, s2
	s_cbranch_vccnz .LBB369_500
; %bb.499:
	global_load_u16 v3, v[1:2], off
	s_waitcnt vmcnt(0)
	v_cvt_f32_f16_e32 v3, v3
	s_delay_alu instid0(VALU_DEP_1)
	v_cvt_i32_f32_e32 v3, v3
.LBB369_500:
	s_mov_b32 s2, 0
.LBB369_501:
	s_delay_alu instid0(SALU_CYCLE_1)
	s_and_not1_b32 vcc_lo, exec_lo, s2
	s_cbranch_vccnz .LBB369_521
; %bb.502:
	v_cmp_gt_i16_e32 vcc_lo, 2, v5
	s_cbranch_vccnz .LBB369_506
; %bb.503:
	v_cmp_gt_i16_e32 vcc_lo, 3, v5
	s_cbranch_vccnz .LBB369_507
; %bb.504:
	v_cmp_lt_i16_e32 vcc_lo, 3, v5
	s_cbranch_vccz .LBB369_508
; %bb.505:
	global_load_b32 v3, v[1:2], off
	s_mov_b32 s2, 0
	s_branch .LBB369_509
.LBB369_506:
	s_mov_b32 s2, -1
                                        ; implicit-def: $vgpr3
	s_branch .LBB369_515
.LBB369_507:
	s_mov_b32 s2, -1
                                        ; implicit-def: $vgpr3
	s_branch .LBB369_512
.LBB369_508:
	s_mov_b32 s2, -1
                                        ; implicit-def: $vgpr3
.LBB369_509:
	s_delay_alu instid0(SALU_CYCLE_1)
	s_and_not1_b32 vcc_lo, exec_lo, s2
	s_cbranch_vccnz .LBB369_511
; %bb.510:
	global_load_b32 v3, v[1:2], off
.LBB369_511:
	s_mov_b32 s2, 0
.LBB369_512:
	s_delay_alu instid0(SALU_CYCLE_1)
	s_and_not1_b32 vcc_lo, exec_lo, s2
	s_cbranch_vccnz .LBB369_514
; %bb.513:
	global_load_i16 v3, v[1:2], off
.LBB369_514:
	s_mov_b32 s2, 0
.LBB369_515:
	s_delay_alu instid0(SALU_CYCLE_1)
	s_and_not1_b32 vcc_lo, exec_lo, s2
	s_cbranch_vccnz .LBB369_521
; %bb.516:
	v_cmp_lt_i16_e32 vcc_lo, 0, v5
	s_mov_b32 s2, 0
	s_cbranch_vccz .LBB369_518
; %bb.517:
	global_load_i8 v3, v[1:2], off
	s_branch .LBB369_519
.LBB369_518:
	s_mov_b32 s2, -1
                                        ; implicit-def: $vgpr3
.LBB369_519:
	s_delay_alu instid0(SALU_CYCLE_1)
	s_and_not1_b32 vcc_lo, exec_lo, s2
	s_cbranch_vccnz .LBB369_521
; %bb.520:
	global_load_u8 v3, v[1:2], off
.LBB369_521:
	s_branch .LBB369_283
.LBB369_522:
	s_mov_b32 s24, 0
	s_mov_b32 s2, s36
.LBB369_523:
                                        ; implicit-def: $vgpr8
.LBB369_524:
	s_and_not1_b32 s25, s36, exec_lo
	s_and_b32 s2, s2, exec_lo
	s_and_not1_b32 s39, s37, exec_lo
	s_and_b32 s3, s3, exec_lo
	s_or_b32 s40, s25, s2
	s_or_b32 s39, s39, s3
	s_or_not1_b32 s2, s24, exec_lo
.LBB369_525:
	s_or_b32 exec_lo, exec_lo, s41
	s_mov_b32 s3, 0
	s_mov_b32 s25, 0
	;; [unrolled: 1-line block ×3, first 2 shown]
                                        ; implicit-def: $vgpr1_vgpr2
                                        ; implicit-def: $vgpr0
                                        ; implicit-def: $vgpr6
	s_and_saveexec_b32 s41, s2
	s_cbranch_execz .LBB369_889
; %bb.526:
	s_mov_b32 s44, -1
	s_mov_b32 s24, s39
	s_mov_b32 s25, s40
	s_mov_b32 s42, exec_lo
	v_cmpx_gt_i32_e64 s33, v8
	s_cbranch_execz .LBB369_794
; %bb.527:
	s_and_not1_b32 vcc_lo, exec_lo, s29
	s_cbranch_vccnz .LBB369_532
; %bb.528:
	v_dual_mov_b32 v0, 0 :: v_dual_mov_b32 v1, 0
	s_and_not1_b32 vcc_lo, exec_lo, s35
	s_mov_b32 s43, 0
	s_cbranch_vccnz .LBB369_537
; %bb.529:
	v_mov_b32_e32 v0, 0
	s_add_i32 s45, s34, 1
	s_cmp_eq_u32 s27, 2
	s_mov_b32 s44, 0
	s_cbranch_scc1 .LBB369_533
; %bb.530:
	v_dual_mov_b32 v1, 0 :: v_dual_mov_b32 v0, 0
	v_mov_b32_e32 v2, v8
	s_and_b32 s44, s45, 28
	s_mov_b32 s46, 0
	s_mov_b64 s[2:3], s[22:23]
	s_mov_b64 s[24:25], s[16:17]
.LBB369_531:                            ; =>This Inner Loop Header: Depth=1
	s_clause 0x1
	s_load_b256 s[48:55], s[24:25], 0x4
	s_load_b128 s[64:67], s[24:25], 0x24
	s_load_b256 s[56:63], s[2:3], 0x0
	s_add_u32 s24, s24, 48
	s_addc_u32 s25, s25, 0
	s_add_i32 s46, s46, 4
	s_add_u32 s2, s2, 32
	s_addc_u32 s3, s3, 0
	s_cmp_eq_u32 s44, s46
	s_waitcnt vmcnt(0) lgkmcnt(0)
	v_mul_hi_u32 v3, s49, v2
	s_delay_alu instid0(VALU_DEP_1) | instskip(NEXT) | instid1(VALU_DEP_1)
	v_add_nc_u32_e32 v3, v2, v3
	v_lshrrev_b32_e32 v3, s50, v3
	s_delay_alu instid0(VALU_DEP_1) | instskip(SKIP_1) | instid1(VALU_DEP_2)
	v_mul_hi_u32 v4, s52, v3
	v_mul_lo_u32 v7, v3, s48
	v_add_nc_u32_e32 v4, v3, v4
	s_delay_alu instid0(VALU_DEP_2) | instskip(NEXT) | instid1(VALU_DEP_2)
	v_sub_nc_u32_e32 v2, v2, v7
	v_lshrrev_b32_e32 v4, s53, v4
	s_delay_alu instid0(VALU_DEP_2) | instskip(SKIP_1) | instid1(VALU_DEP_3)
	v_mul_lo_u32 v7, v2, s56
	v_mul_lo_u32 v10, v2, s57
	v_mul_hi_u32 v6, s55, v4
	s_delay_alu instid0(VALU_DEP_1) | instskip(NEXT) | instid1(VALU_DEP_1)
	v_add_nc_u32_e32 v6, v4, v6
	v_lshrrev_b32_e32 v6, s64, v6
	s_delay_alu instid0(VALU_DEP_1) | instskip(SKIP_1) | instid1(VALU_DEP_2)
	v_mul_hi_u32 v9, s66, v6
	v_mul_lo_u32 v11, v6, s54
	v_add_nc_u32_e32 v2, v6, v9
	v_mul_lo_u32 v9, v4, s51
	s_delay_alu instid0(VALU_DEP_3) | instskip(NEXT) | instid1(VALU_DEP_3)
	v_sub_nc_u32_e32 v4, v4, v11
	v_lshrrev_b32_e32 v2, s67, v2
	s_delay_alu instid0(VALU_DEP_2) | instskip(SKIP_2) | instid1(VALU_DEP_4)
	v_mul_lo_u32 v11, v4, s60
	v_mul_lo_u32 v4, v4, s61
	v_sub_nc_u32_e32 v3, v3, v9
	v_mul_lo_u32 v12, v2, s65
	s_delay_alu instid0(VALU_DEP_2) | instskip(SKIP_1) | instid1(VALU_DEP_3)
	v_mul_lo_u32 v9, v3, s58
	v_mul_lo_u32 v3, v3, s59
	v_sub_nc_u32_e32 v6, v6, v12
	s_delay_alu instid0(VALU_DEP_3) | instskip(NEXT) | instid1(VALU_DEP_2)
	v_add3_u32 v0, v7, v0, v9
	v_mul_lo_u32 v12, v6, s62
	v_mul_lo_u32 v6, v6, s63
	v_add3_u32 v1, v10, v1, v3
	s_delay_alu instid0(VALU_DEP_3) | instskip(NEXT) | instid1(VALU_DEP_2)
	v_add3_u32 v0, v11, v0, v12
	v_add3_u32 v1, v4, v1, v6
	s_cbranch_scc0 .LBB369_531
	s_branch .LBB369_534
.LBB369_532:
	s_mov_b32 s43, -1
                                        ; implicit-def: $vgpr0
                                        ; implicit-def: $vgpr1
	s_branch .LBB369_537
.LBB369_533:
	v_dual_mov_b32 v2, v8 :: v_dual_mov_b32 v1, 0
.LBB369_534:
	s_and_b32 s45, s45, 3
	s_delay_alu instid0(SALU_CYCLE_1)
	s_cmp_eq_u32 s45, 0
	s_cbranch_scc1 .LBB369_537
; %bb.535:
	s_lshl_b32 s2, s44, 3
	s_mul_i32 s24, s44, 12
	s_add_u32 s2, s2, s16
	s_addc_u32 s3, s17, 0
	s_add_u32 s2, s2, 0xc4
	s_addc_u32 s3, s3, 0
	;; [unrolled: 2-line block ×3, first 2 shown]
	.p2align	6
.LBB369_536:                            ; =>This Inner Loop Header: Depth=1
	s_clause 0x1
	s_load_b64 s[46:47], s[24:25], 0x4
	s_load_b32 s44, s[24:25], 0xc
	s_load_b64 s[48:49], s[2:3], 0x0
	s_add_u32 s24, s24, 12
	s_addc_u32 s25, s25, 0
	s_add_u32 s2, s2, 8
	s_addc_u32 s3, s3, 0
	s_add_i32 s45, s45, -1
	s_delay_alu instid0(SALU_CYCLE_1) | instskip(SKIP_2) | instid1(VALU_DEP_1)
	s_cmp_lg_u32 s45, 0
	s_waitcnt vmcnt(0) lgkmcnt(0)
	v_mul_hi_u32 v3, s47, v2
	v_add_nc_u32_e32 v3, v2, v3
	s_delay_alu instid0(VALU_DEP_1) | instskip(NEXT) | instid1(VALU_DEP_1)
	v_lshrrev_b32_e32 v9, s44, v3
	v_mul_lo_u32 v3, v9, s46
	s_delay_alu instid0(VALU_DEP_1) | instskip(NEXT) | instid1(VALU_DEP_1)
	v_sub_nc_u32_e32 v2, v2, v3
	v_mad_u64_u32 v[3:4], null, v2, s48, v[0:1]
	v_mad_u64_u32 v[6:7], null, v2, s49, v[1:2]
	v_mov_b32_e32 v2, v9
	s_delay_alu instid0(VALU_DEP_2)
	v_dual_mov_b32 v0, v3 :: v_dual_mov_b32 v1, v6
	s_cbranch_scc1 .LBB369_536
.LBB369_537:
	s_and_not1_b32 vcc_lo, exec_lo, s43
	s_cbranch_vccnz .LBB369_540
; %bb.538:
	v_mul_hi_u32 v0, s13, v8
	s_and_not1_b32 vcc_lo, exec_lo, s31
	s_delay_alu instid0(VALU_DEP_1) | instskip(NEXT) | instid1(VALU_DEP_1)
	v_add_nc_u32_e32 v0, v8, v0
	v_lshrrev_b32_e32 v2, s14, v0
	s_delay_alu instid0(VALU_DEP_1) | instskip(NEXT) | instid1(VALU_DEP_1)
	v_mul_lo_u32 v0, v2, s12
	v_sub_nc_u32_e32 v1, v8, v0
	s_delay_alu instid0(VALU_DEP_1)
	v_mul_lo_u32 v0, v1, s8
	v_mul_lo_u32 v1, v1, s9
	s_cbranch_vccnz .LBB369_540
; %bb.539:
	s_waitcnt vmcnt(0)
	v_mul_hi_u32 v3, s20, v2
	s_delay_alu instid0(VALU_DEP_1) | instskip(NEXT) | instid1(VALU_DEP_1)
	v_add_nc_u32_e32 v3, v2, v3
	v_lshrrev_b32_e32 v3, s21, v3
	s_delay_alu instid0(VALU_DEP_1) | instskip(NEXT) | instid1(VALU_DEP_1)
	v_mul_lo_u32 v3, v3, s15
	v_sub_nc_u32_e32 v6, v2, v3
	s_delay_alu instid0(VALU_DEP_1) | instskip(NEXT) | instid1(VALU_DEP_1)
	v_mad_u64_u32 v[2:3], null, v6, s10, v[0:1]
	v_mad_u64_u32 v[3:4], null, v6, s11, v[1:2]
	s_delay_alu instid0(VALU_DEP_1)
	v_dual_mov_b32 v0, v2 :: v_dual_mov_b32 v1, v3
.LBB369_540:
	v_cmp_gt_i16_e32 vcc_lo, 11, v5
	s_delay_alu instid0(VALU_DEP_2) | instskip(NEXT) | instid1(VALU_DEP_1)
	v_add_co_u32 v1, s2, s6, v1
	v_add_co_ci_u32_e64 v2, null, s7, 0, s2
	s_mov_b32 s2, 0
	s_cbranch_vccnz .LBB369_547
; %bb.541:
	v_cmp_lt_i16_e32 vcc_lo, 25, v5
	s_cbranch_vccz .LBB369_548
; %bb.542:
	v_cmp_lt_i16_e32 vcc_lo, 28, v5
	s_cbranch_vccz .LBB369_549
	;; [unrolled: 3-line block ×4, first 2 shown]
; %bb.545:
	v_cmp_eq_u16_e32 vcc_lo, 46, v5
	s_mov_b32 s24, 0
	s_cbranch_vccz .LBB369_556
; %bb.546:
	global_load_b32 v3, v[1:2], off
	s_mov_b32 s2, -1
	s_mov_b32 s3, 0
	s_waitcnt vmcnt(0)
	v_lshlrev_b32_e32 v3, 16, v3
	s_delay_alu instid0(VALU_DEP_1)
	v_cvt_i32_f32_e32 v3, v3
	s_branch .LBB369_558
.LBB369_547:
	s_mov_b32 s24, -1
	s_mov_b32 s3, s39
                                        ; implicit-def: $vgpr3
	s_branch .LBB369_619
.LBB369_548:
	s_mov_b32 s24, -1
	s_mov_b32 s3, s39
                                        ; implicit-def: $vgpr3
	s_branch .LBB369_585
.LBB369_549:
	s_mov_b32 s24, -1
	s_mov_b32 s3, s39
                                        ; implicit-def: $vgpr3
	s_branch .LBB369_568
.LBB369_550:
	s_mov_b32 s24, -1
	s_mov_b32 s3, s39
                                        ; implicit-def: $vgpr3
	s_branch .LBB369_563
.LBB369_551:
	s_or_saveexec_b32 s39, s39
                                        ; implicit-def: $sgpr40
	s_delay_alu instid0(SALU_CYCLE_1)
	s_xor_b32 exec_lo, exec_lo, s39
	s_cbranch_execz .LBB369_366
.LBB369_552:
	v_add_f32_e64 v2, 0x46000000, |v0|
	s_and_not1_b32 s25, s25, exec_lo
	s_mov_b32 s40, 0
	s_delay_alu instid0(VALU_DEP_1) | instskip(NEXT) | instid1(VALU_DEP_1)
	v_and_b32_e32 v2, 0xff, v2
	v_cmp_ne_u32_e32 vcc_lo, 0, v2
	s_and_b32 s42, vcc_lo, exec_lo
	s_delay_alu instid0(SALU_CYCLE_1)
	s_or_b32 s25, s25, s42
	s_or_b32 exec_lo, exec_lo, s39
	v_mov_b32_e32 v7, s40
	s_and_saveexec_b32 s39, s25
	s_cbranch_execnz .LBB369_367
	s_branch .LBB369_368
.LBB369_553:
	s_mov_b32 s24, -1
	s_mov_b32 s3, s39
	s_branch .LBB369_557
.LBB369_554:
	s_or_saveexec_b32 s39, s39
                                        ; implicit-def: $sgpr40
	s_delay_alu instid0(SALU_CYCLE_1)
	s_xor_b32 exec_lo, exec_lo, s39
	s_cbranch_execz .LBB369_379
.LBB369_555:
	v_add_f32_e64 v2, 0x42800000, |v0|
	s_and_not1_b32 s25, s25, exec_lo
	s_mov_b32 s40, 0
	s_delay_alu instid0(VALU_DEP_1) | instskip(NEXT) | instid1(VALU_DEP_1)
	v_and_b32_e32 v2, 0xff, v2
	v_cmp_ne_u32_e32 vcc_lo, 0, v2
	s_and_b32 s42, vcc_lo, exec_lo
	s_delay_alu instid0(SALU_CYCLE_1)
	s_or_b32 s25, s25, s42
	s_or_b32 exec_lo, exec_lo, s39
	v_mov_b32_e32 v7, s40
	s_and_saveexec_b32 s39, s25
	s_cbranch_execnz .LBB369_380
	s_branch .LBB369_381
.LBB369_556:
	s_mov_b32 s3, -1
.LBB369_557:
                                        ; implicit-def: $vgpr3
.LBB369_558:
	s_and_b32 vcc_lo, exec_lo, s24
	s_cbranch_vccz .LBB369_562
; %bb.559:
	v_cmp_eq_u16_e32 vcc_lo, 44, v5
	s_cbranch_vccz .LBB369_561
; %bb.560:
	global_load_u8 v3, v[1:2], off
	s_mov_b32 s3, 0
	s_mov_b32 s2, -1
	s_waitcnt vmcnt(0)
	v_lshlrev_b32_e32 v4, 23, v3
	v_cmp_ne_u32_e32 vcc_lo, 0, v3
	s_delay_alu instid0(VALU_DEP_2) | instskip(NEXT) | instid1(VALU_DEP_1)
	v_cvt_i32_f32_e32 v4, v4
	v_cndmask_b32_e32 v3, 0, v4, vcc_lo
	s_branch .LBB369_562
.LBB369_561:
	s_mov_b32 s3, -1
                                        ; implicit-def: $vgpr3
.LBB369_562:
	s_mov_b32 s24, 0
.LBB369_563:
	s_delay_alu instid0(SALU_CYCLE_1)
	s_and_b32 vcc_lo, exec_lo, s24
	s_cbranch_vccz .LBB369_567
; %bb.564:
	v_cmp_eq_u16_e32 vcc_lo, 29, v5
	s_cbranch_vccz .LBB369_566
; %bb.565:
	global_load_b32 v3, v[1:2], off
	s_mov_b32 s2, -1
	s_mov_b32 s3, 0
	s_branch .LBB369_567
.LBB369_566:
	s_mov_b32 s3, -1
                                        ; implicit-def: $vgpr3
.LBB369_567:
	s_mov_b32 s24, 0
.LBB369_568:
	s_delay_alu instid0(SALU_CYCLE_1)
	s_and_b32 vcc_lo, exec_lo, s24
	s_cbranch_vccz .LBB369_584
; %bb.569:
	v_cmp_gt_i16_e32 vcc_lo, 27, v5
	s_cbranch_vccnz .LBB369_572
; %bb.570:
	v_cmp_lt_i16_e32 vcc_lo, 27, v5
	s_cbranch_vccz .LBB369_573
; %bb.571:
	global_load_b32 v3, v[1:2], off
	s_mov_b32 s2, 0
	s_branch .LBB369_574
.LBB369_572:
	s_mov_b32 s2, -1
                                        ; implicit-def: $vgpr3
	s_branch .LBB369_577
.LBB369_573:
	s_mov_b32 s2, -1
                                        ; implicit-def: $vgpr3
.LBB369_574:
	s_delay_alu instid0(SALU_CYCLE_1)
	s_and_not1_b32 vcc_lo, exec_lo, s2
	s_cbranch_vccnz .LBB369_576
; %bb.575:
	global_load_u16 v3, v[1:2], off
.LBB369_576:
	s_mov_b32 s2, 0
.LBB369_577:
	s_delay_alu instid0(SALU_CYCLE_1)
	s_and_not1_b32 vcc_lo, exec_lo, s2
	s_cbranch_vccnz .LBB369_583
; %bb.578:
	global_load_u8 v4, v[1:2], off
	s_mov_b32 s2, 0
	s_mov_b32 s24, exec_lo
                                        ; implicit-def: $sgpr25
	s_waitcnt vmcnt(0)
	v_cmpx_lt_i16_e32 0x7f, v4
	s_xor_b32 s24, exec_lo, s24
	s_cbranch_execz .LBB369_595
; %bb.579:
	v_cmp_ne_u16_e32 vcc_lo, 0x80, v4
	s_mov_b32 s25, 0
	s_and_b32 s2, vcc_lo, exec_lo
	s_or_saveexec_b32 s24, s24
	v_mov_b32_e32 v3, s25
	s_xor_b32 exec_lo, exec_lo, s24
	s_cbranch_execnz .LBB369_596
.LBB369_580:
	s_or_b32 exec_lo, exec_lo, s24
	s_and_saveexec_b32 s24, s2
	s_cbranch_execz .LBB369_582
.LBB369_581:
	v_and_b32_e32 v3, 0xffff, v4
	s_delay_alu instid0(VALU_DEP_1) | instskip(NEXT) | instid1(VALU_DEP_1)
	v_and_b32_e32 v6, 7, v3
	v_clz_i32_u32_e32 v7, v6
	s_delay_alu instid0(VALU_DEP_1) | instskip(NEXT) | instid1(VALU_DEP_1)
	v_min_u32_e32 v7, 32, v7
	v_subrev_nc_u32_e32 v9, 28, v7
	v_sub_nc_u32_e32 v7, 29, v7
	s_delay_alu instid0(VALU_DEP_2) | instskip(SKIP_1) | instid1(VALU_DEP_2)
	v_lshlrev_b32_e32 v9, v9, v3
	v_bfe_u32 v3, v3, 3, 4
	v_and_b32_e32 v9, 7, v9
	s_delay_alu instid0(VALU_DEP_2) | instskip(SKIP_1) | instid1(VALU_DEP_3)
	v_cmp_eq_u32_e32 vcc_lo, 0, v3
	v_dual_cndmask_b32 v3, v3, v7 :: v_dual_lshlrev_b32 v4, 24, v4
	v_cndmask_b32_e32 v6, v6, v9, vcc_lo
	s_delay_alu instid0(VALU_DEP_2) | instskip(NEXT) | instid1(VALU_DEP_3)
	v_and_b32_e32 v4, 0x80000000, v4
	v_lshl_add_u32 v3, v3, 23, 0x3b800000
	s_delay_alu instid0(VALU_DEP_3) | instskip(NEXT) | instid1(VALU_DEP_1)
	v_lshlrev_b32_e32 v6, 20, v6
	v_or3_b32 v3, v4, v3, v6
	s_delay_alu instid0(VALU_DEP_1)
	v_cvt_i32_f32_e32 v3, v3
.LBB369_582:
	s_or_b32 exec_lo, exec_lo, s24
.LBB369_583:
	s_mov_b32 s2, -1
.LBB369_584:
	s_mov_b32 s24, 0
.LBB369_585:
	s_delay_alu instid0(SALU_CYCLE_1)
	s_and_b32 vcc_lo, exec_lo, s24
	s_cbranch_vccz .LBB369_618
; %bb.586:
	v_cmp_lt_i16_e32 vcc_lo, 22, v5
	s_cbranch_vccz .LBB369_594
; %bb.587:
	v_cmp_gt_i16_e32 vcc_lo, 24, v5
	s_cbranch_vccnz .LBB369_597
; %bb.588:
	v_cmp_lt_i16_e32 vcc_lo, 24, v5
	s_cbranch_vccz .LBB369_598
; %bb.589:
	global_load_u8 v4, v[1:2], off
	s_mov_b32 s2, 0
	s_mov_b32 s24, exec_lo
                                        ; implicit-def: $sgpr25
	s_waitcnt vmcnt(0)
	v_cmpx_lt_i16_e32 0x7f, v4
	s_xor_b32 s24, exec_lo, s24
	s_cbranch_execz .LBB369_610
; %bb.590:
	v_cmp_ne_u16_e32 vcc_lo, 0x80, v4
	s_mov_b32 s25, 0
	s_and_b32 s2, vcc_lo, exec_lo
	s_or_saveexec_b32 s24, s24
	v_mov_b32_e32 v3, s25
	s_xor_b32 exec_lo, exec_lo, s24
	s_cbranch_execnz .LBB369_611
.LBB369_591:
	s_or_b32 exec_lo, exec_lo, s24
	s_and_saveexec_b32 s24, s2
	s_cbranch_execz .LBB369_593
.LBB369_592:
	v_and_b32_e32 v3, 0xffff, v4
	s_delay_alu instid0(VALU_DEP_1) | instskip(NEXT) | instid1(VALU_DEP_1)
	v_and_b32_e32 v6, 3, v3
	v_clz_i32_u32_e32 v7, v6
	s_delay_alu instid0(VALU_DEP_1) | instskip(NEXT) | instid1(VALU_DEP_1)
	v_min_u32_e32 v7, 32, v7
	v_subrev_nc_u32_e32 v9, 29, v7
	v_sub_nc_u32_e32 v7, 30, v7
	s_delay_alu instid0(VALU_DEP_2) | instskip(SKIP_1) | instid1(VALU_DEP_2)
	v_lshlrev_b32_e32 v9, v9, v3
	v_bfe_u32 v3, v3, 2, 5
	v_and_b32_e32 v9, 3, v9
	s_delay_alu instid0(VALU_DEP_2) | instskip(SKIP_1) | instid1(VALU_DEP_3)
	v_cmp_eq_u32_e32 vcc_lo, 0, v3
	v_dual_cndmask_b32 v3, v3, v7 :: v_dual_lshlrev_b32 v4, 24, v4
	v_cndmask_b32_e32 v6, v6, v9, vcc_lo
	s_delay_alu instid0(VALU_DEP_2) | instskip(NEXT) | instid1(VALU_DEP_3)
	v_and_b32_e32 v4, 0x80000000, v4
	v_lshl_add_u32 v3, v3, 23, 0x37800000
	s_delay_alu instid0(VALU_DEP_3) | instskip(NEXT) | instid1(VALU_DEP_1)
	v_lshlrev_b32_e32 v6, 21, v6
	v_or3_b32 v3, v4, v3, v6
	s_delay_alu instid0(VALU_DEP_1)
	v_cvt_i32_f32_e32 v3, v3
.LBB369_593:
	s_or_b32 exec_lo, exec_lo, s24
	s_mov_b32 s2, 0
	s_branch .LBB369_599
.LBB369_594:
	s_mov_b32 s24, -1
                                        ; implicit-def: $vgpr3
	s_branch .LBB369_605
.LBB369_595:
	s_or_saveexec_b32 s24, s24
	v_mov_b32_e32 v3, s25
	s_xor_b32 exec_lo, exec_lo, s24
	s_cbranch_execz .LBB369_580
.LBB369_596:
	v_cmp_ne_u16_e32 vcc_lo, 0, v4
	v_mov_b32_e32 v3, 0
	s_and_not1_b32 s2, s2, exec_lo
	s_and_b32 s25, vcc_lo, exec_lo
	s_delay_alu instid0(SALU_CYCLE_1)
	s_or_b32 s2, s2, s25
	s_or_b32 exec_lo, exec_lo, s24
	s_and_saveexec_b32 s24, s2
	s_cbranch_execnz .LBB369_581
	s_branch .LBB369_582
.LBB369_597:
	s_mov_b32 s2, -1
                                        ; implicit-def: $vgpr3
	s_branch .LBB369_602
.LBB369_598:
	s_mov_b32 s2, -1
                                        ; implicit-def: $vgpr3
.LBB369_599:
	s_delay_alu instid0(SALU_CYCLE_1)
	s_and_b32 vcc_lo, exec_lo, s2
	s_cbranch_vccz .LBB369_601
; %bb.600:
	global_load_u8 v3, v[1:2], off
	s_waitcnt vmcnt(0)
	v_lshlrev_b32_e32 v3, 24, v3
	s_delay_alu instid0(VALU_DEP_1) | instskip(NEXT) | instid1(VALU_DEP_1)
	v_and_b32_e32 v4, 0x7f000000, v3
	v_clz_i32_u32_e32 v6, v4
	v_add_nc_u32_e32 v9, 0x1000000, v4
	v_cmp_ne_u32_e32 vcc_lo, 0, v4
	s_delay_alu instid0(VALU_DEP_3) | instskip(NEXT) | instid1(VALU_DEP_1)
	v_min_u32_e32 v6, 32, v6
	v_sub_nc_u32_e64 v6, v6, 4 clamp
	s_delay_alu instid0(VALU_DEP_1) | instskip(SKIP_1) | instid1(VALU_DEP_2)
	v_lshlrev_b32_e32 v7, v6, v4
	v_lshlrev_b32_e32 v6, 23, v6
	v_lshrrev_b32_e32 v7, 4, v7
	s_delay_alu instid0(VALU_DEP_1) | instskip(SKIP_1) | instid1(VALU_DEP_2)
	v_sub_nc_u32_e32 v6, v7, v6
	v_ashrrev_i32_e32 v7, 8, v9
	v_add_nc_u32_e32 v6, 0x3c000000, v6
	s_delay_alu instid0(VALU_DEP_1) | instskip(NEXT) | instid1(VALU_DEP_1)
	v_and_or_b32 v6, 0x7f800000, v7, v6
	v_cndmask_b32_e32 v4, 0, v6, vcc_lo
	s_delay_alu instid0(VALU_DEP_1) | instskip(NEXT) | instid1(VALU_DEP_1)
	v_and_or_b32 v3, 0x80000000, v3, v4
	v_cvt_i32_f32_e32 v3, v3
.LBB369_601:
	s_mov_b32 s2, 0
.LBB369_602:
	s_delay_alu instid0(SALU_CYCLE_1)
	s_and_not1_b32 vcc_lo, exec_lo, s2
	s_cbranch_vccnz .LBB369_604
; %bb.603:
	global_load_u8 v3, v[1:2], off
	s_waitcnt vmcnt(0)
	v_lshlrev_b32_e32 v4, 25, v3
	v_lshlrev_b16 v3, 8, v3
	s_delay_alu instid0(VALU_DEP_2) | instskip(NEXT) | instid1(VALU_DEP_2)
	v_lshrrev_b32_e32 v6, 4, v4
	v_and_or_b32 v7, 0x7f00, v3, 0.5
	v_cmp_gt_u32_e32 vcc_lo, 0x8000000, v4
	v_bfe_i32 v3, v3, 0, 16
	s_delay_alu instid0(VALU_DEP_4) | instskip(NEXT) | instid1(VALU_DEP_1)
	v_or_b32_e32 v6, 0x70000000, v6
	v_dual_add_f32 v7, -0.5, v7 :: v_dual_mul_f32 v6, 0x7800000, v6
	s_delay_alu instid0(VALU_DEP_1) | instskip(NEXT) | instid1(VALU_DEP_1)
	v_cndmask_b32_e32 v4, v6, v7, vcc_lo
	v_and_or_b32 v3, 0x80000000, v3, v4
	s_delay_alu instid0(VALU_DEP_1)
	v_cvt_i32_f32_e32 v3, v3
.LBB369_604:
	s_mov_b32 s24, 0
	s_mov_b32 s2, -1
.LBB369_605:
	s_and_not1_b32 vcc_lo, exec_lo, s24
	s_cbranch_vccnz .LBB369_618
; %bb.606:
	v_cmp_lt_i16_e32 vcc_lo, 14, v5
	s_cbranch_vccz .LBB369_609
; %bb.607:
	v_cmp_eq_u16_e32 vcc_lo, 15, v5
	s_cbranch_vccz .LBB369_612
; %bb.608:
	global_load_u16 v3, v[1:2], off
	s_mov_b32 s2, -1
	s_mov_b32 s3, 0
	s_waitcnt vmcnt(0)
	v_lshlrev_b32_e32 v3, 16, v3
	s_delay_alu instid0(VALU_DEP_1)
	v_cvt_i32_f32_e32 v3, v3
	s_branch .LBB369_613
.LBB369_609:
	s_mov_b32 s24, -1
                                        ; implicit-def: $vgpr3
	s_branch .LBB369_614
.LBB369_610:
	s_or_saveexec_b32 s24, s24
	v_mov_b32_e32 v3, s25
	s_xor_b32 exec_lo, exec_lo, s24
	s_cbranch_execz .LBB369_591
.LBB369_611:
	v_cmp_ne_u16_e32 vcc_lo, 0, v4
	v_mov_b32_e32 v3, 0
	s_and_not1_b32 s2, s2, exec_lo
	s_and_b32 s25, vcc_lo, exec_lo
	s_delay_alu instid0(SALU_CYCLE_1)
	s_or_b32 s2, s2, s25
	s_or_b32 exec_lo, exec_lo, s24
	s_and_saveexec_b32 s24, s2
	s_cbranch_execnz .LBB369_592
	s_branch .LBB369_593
.LBB369_612:
	s_mov_b32 s3, -1
                                        ; implicit-def: $vgpr3
.LBB369_613:
	s_mov_b32 s24, 0
.LBB369_614:
	s_delay_alu instid0(SALU_CYCLE_1)
	s_and_b32 vcc_lo, exec_lo, s24
	s_cbranch_vccz .LBB369_618
; %bb.615:
	v_cmp_eq_u16_e32 vcc_lo, 11, v5
	s_cbranch_vccz .LBB369_617
; %bb.616:
	global_load_u8 v3, v[1:2], off
	s_mov_b32 s3, 0
	s_mov_b32 s2, -1
	s_waitcnt vmcnt(0)
	v_cmp_ne_u16_e32 vcc_lo, 0, v3
	v_cndmask_b32_e64 v3, 0, 1, vcc_lo
	s_branch .LBB369_618
.LBB369_617:
	s_mov_b32 s3, -1
                                        ; implicit-def: $vgpr3
.LBB369_618:
	s_mov_b32 s24, 0
.LBB369_619:
	s_delay_alu instid0(SALU_CYCLE_1)
	s_and_b32 vcc_lo, exec_lo, s24
	s_cbranch_vccz .LBB369_668
; %bb.620:
	v_cmp_gt_i16_e32 vcc_lo, 5, v5
	s_cbranch_vccnz .LBB369_625
; %bb.621:
	v_cmp_gt_i16_e32 vcc_lo, 8, v5
	s_cbranch_vccnz .LBB369_626
	;; [unrolled: 3-line block ×3, first 2 shown]
; %bb.623:
	v_cmp_lt_i16_e32 vcc_lo, 9, v5
	s_cbranch_vccz .LBB369_628
; %bb.624:
	global_load_b64 v[3:4], v[1:2], off
	s_mov_b32 s2, 0
	s_waitcnt vmcnt(0)
	v_cvt_i32_f64_e32 v3, v[3:4]
	s_branch .LBB369_629
.LBB369_625:
	s_mov_b32 s2, -1
                                        ; implicit-def: $vgpr3
	s_branch .LBB369_647
.LBB369_626:
	s_mov_b32 s2, -1
                                        ; implicit-def: $vgpr3
	s_branch .LBB369_635
.LBB369_627:
	s_mov_b32 s2, -1
                                        ; implicit-def: $vgpr3
	s_branch .LBB369_632
.LBB369_628:
	s_mov_b32 s2, -1
                                        ; implicit-def: $vgpr3
.LBB369_629:
	s_delay_alu instid0(SALU_CYCLE_1)
	s_and_not1_b32 vcc_lo, exec_lo, s2
	s_cbranch_vccnz .LBB369_631
; %bb.630:
	global_load_b32 v3, v[1:2], off
	s_waitcnt vmcnt(0)
	v_cvt_i32_f32_e32 v3, v3
.LBB369_631:
	s_mov_b32 s2, 0
.LBB369_632:
	s_delay_alu instid0(SALU_CYCLE_1)
	s_and_not1_b32 vcc_lo, exec_lo, s2
	s_cbranch_vccnz .LBB369_634
; %bb.633:
	global_load_b32 v3, v[1:2], off
	s_waitcnt vmcnt(0)
	v_cvt_f32_f16_e32 v3, v3
	s_delay_alu instid0(VALU_DEP_1)
	v_cvt_i32_f32_e32 v3, v3
.LBB369_634:
	s_mov_b32 s2, 0
.LBB369_635:
	s_delay_alu instid0(SALU_CYCLE_1)
	s_and_not1_b32 vcc_lo, exec_lo, s2
	s_cbranch_vccnz .LBB369_646
; %bb.636:
	v_cmp_gt_i16_e32 vcc_lo, 6, v5
	s_cbranch_vccnz .LBB369_639
; %bb.637:
	v_cmp_lt_i16_e32 vcc_lo, 6, v5
	s_cbranch_vccz .LBB369_640
; %bb.638:
	global_load_b64 v[3:4], v[1:2], off
	s_mov_b32 s2, 0
	s_waitcnt vmcnt(0)
	v_cvt_i32_f64_e32 v3, v[3:4]
	s_branch .LBB369_641
.LBB369_639:
	s_mov_b32 s2, -1
                                        ; implicit-def: $vgpr3
	s_branch .LBB369_644
.LBB369_640:
	s_mov_b32 s2, -1
                                        ; implicit-def: $vgpr3
.LBB369_641:
	s_delay_alu instid0(SALU_CYCLE_1)
	s_and_not1_b32 vcc_lo, exec_lo, s2
	s_cbranch_vccnz .LBB369_643
; %bb.642:
	global_load_b32 v3, v[1:2], off
	s_waitcnt vmcnt(0)
	v_cvt_i32_f32_e32 v3, v3
.LBB369_643:
	s_mov_b32 s2, 0
.LBB369_644:
	s_delay_alu instid0(SALU_CYCLE_1)
	s_and_not1_b32 vcc_lo, exec_lo, s2
	s_cbranch_vccnz .LBB369_646
; %bb.645:
	global_load_u16 v3, v[1:2], off
	s_waitcnt vmcnt(0)
	v_cvt_f32_f16_e32 v3, v3
	s_delay_alu instid0(VALU_DEP_1)
	v_cvt_i32_f32_e32 v3, v3
.LBB369_646:
	s_mov_b32 s2, 0
.LBB369_647:
	s_delay_alu instid0(SALU_CYCLE_1)
	s_and_not1_b32 vcc_lo, exec_lo, s2
	s_cbranch_vccnz .LBB369_667
; %bb.648:
	v_cmp_gt_i16_e32 vcc_lo, 2, v5
	s_cbranch_vccnz .LBB369_652
; %bb.649:
	v_cmp_gt_i16_e32 vcc_lo, 3, v5
	s_cbranch_vccnz .LBB369_653
; %bb.650:
	v_cmp_lt_i16_e32 vcc_lo, 3, v5
	s_cbranch_vccz .LBB369_654
; %bb.651:
	global_load_b32 v3, v[1:2], off
	s_mov_b32 s2, 0
	s_branch .LBB369_655
.LBB369_652:
	s_mov_b32 s2, -1
                                        ; implicit-def: $vgpr3
	s_branch .LBB369_661
.LBB369_653:
	s_mov_b32 s2, -1
                                        ; implicit-def: $vgpr3
	s_branch .LBB369_658
.LBB369_654:
	s_mov_b32 s2, -1
                                        ; implicit-def: $vgpr3
.LBB369_655:
	s_delay_alu instid0(SALU_CYCLE_1)
	s_and_not1_b32 vcc_lo, exec_lo, s2
	s_cbranch_vccnz .LBB369_657
; %bb.656:
	global_load_b32 v3, v[1:2], off
.LBB369_657:
	s_mov_b32 s2, 0
.LBB369_658:
	s_delay_alu instid0(SALU_CYCLE_1)
	s_and_not1_b32 vcc_lo, exec_lo, s2
	s_cbranch_vccnz .LBB369_660
; %bb.659:
	global_load_i16 v3, v[1:2], off
.LBB369_660:
	s_mov_b32 s2, 0
.LBB369_661:
	s_delay_alu instid0(SALU_CYCLE_1)
	s_and_not1_b32 vcc_lo, exec_lo, s2
	s_cbranch_vccnz .LBB369_667
; %bb.662:
	v_cmp_lt_i16_e32 vcc_lo, 0, v5
	s_mov_b32 s2, 0
	s_cbranch_vccz .LBB369_664
; %bb.663:
	global_load_i8 v3, v[1:2], off
	s_branch .LBB369_665
.LBB369_664:
	s_mov_b32 s2, -1
                                        ; implicit-def: $vgpr3
.LBB369_665:
	s_delay_alu instid0(SALU_CYCLE_1)
	s_and_not1_b32 vcc_lo, exec_lo, s2
	s_cbranch_vccnz .LBB369_667
; %bb.666:
	global_load_u8 v3, v[1:2], off
.LBB369_667:
	s_mov_b32 s2, -1
.LBB369_668:
	s_delay_alu instid0(SALU_CYCLE_1)
	s_and_not1_b32 vcc_lo, exec_lo, s2
	s_cbranch_vccnz .LBB369_676
; %bb.669:
	v_and_b32_e64 v6, 0xff, s19
	s_waitcnt vmcnt(0)
	s_delay_alu instid0(VALU_DEP_2) | instskip(SKIP_1) | instid1(VALU_DEP_1)
	v_max_i32_e32 v1, s18, v3
	v_add_co_u32 v3, s2, s4, v0
	v_add_co_ci_u32_e64 v4, null, s5, 0, s2
	v_cmp_gt_i16_e32 vcc_lo, 11, v6
	s_mov_b32 s24, 0
	s_mov_b32 s25, -1
	s_mov_b32 s2, s40
	s_cbranch_vccnz .LBB369_677
; %bb.670:
	v_cmp_lt_i16_e32 vcc_lo, 25, v6
	s_cbranch_vccz .LBB369_718
; %bb.671:
	v_cmp_lt_i16_e32 vcc_lo, 28, v6
	s_cbranch_vccz .LBB369_719
	;; [unrolled: 3-line block ×4, first 2 shown]
; %bb.674:
	v_cmp_eq_u16_e32 vcc_lo, 46, v6
	s_mov_b32 s25, 0
	s_mov_b32 s2, -1
	s_cbranch_vccz .LBB369_722
; %bb.675:
	v_cvt_f32_i32_e32 v0, v1
	s_mov_b32 s24, -1
	s_mov_b32 s2, 0
	s_delay_alu instid0(VALU_DEP_1) | instskip(NEXT) | instid1(VALU_DEP_1)
	v_bfe_u32 v2, v0, 16, 1
	v_add3_u32 v0, v0, v2, 0x7fff
	s_delay_alu instid0(VALU_DEP_1)
	v_lshrrev_b32_e32 v0, 16, v0
	global_store_b32 v[3:4], v0, off
	s_branch .LBB369_722
.LBB369_676:
	s_mov_b32 s43, 0
	s_mov_b32 s2, s40
	s_branch .LBB369_717
.LBB369_677:
	s_and_b32 vcc_lo, exec_lo, s25
	s_cbranch_vccz .LBB369_791
; %bb.678:
	v_cmp_gt_i16_e32 vcc_lo, 5, v6
	s_mov_b32 s24, -1
	s_cbranch_vccnz .LBB369_699
; %bb.679:
	v_cmp_gt_i16_e32 vcc_lo, 8, v6
	s_cbranch_vccnz .LBB369_689
; %bb.680:
	v_cmp_gt_i16_e32 vcc_lo, 9, v6
	s_cbranch_vccnz .LBB369_686
; %bb.681:
	v_cmp_lt_i16_e32 vcc_lo, 9, v6
	s_cbranch_vccz .LBB369_683
; %bb.682:
	v_cvt_f64_i32_e32 v[9:10], v1
	v_mov_b32_e32 v11, 0
	s_mov_b32 s24, 0
	s_delay_alu instid0(VALU_DEP_1)
	v_mov_b32_e32 v12, v11
	global_store_b128 v[3:4], v[9:12], off
.LBB369_683:
	s_and_not1_b32 vcc_lo, exec_lo, s24
	s_cbranch_vccnz .LBB369_685
; %bb.684:
	v_cvt_f32_i32_e32 v9, v1
	v_mov_b32_e32 v10, 0
	global_store_b64 v[3:4], v[9:10], off
.LBB369_685:
	s_mov_b32 s24, 0
.LBB369_686:
	s_delay_alu instid0(SALU_CYCLE_1)
	s_and_not1_b32 vcc_lo, exec_lo, s24
	s_cbranch_vccnz .LBB369_688
; %bb.687:
	v_cvt_f32_i32_e32 v0, v1
	s_delay_alu instid0(VALU_DEP_1) | instskip(NEXT) | instid1(VALU_DEP_1)
	v_cvt_f16_f32_e32 v0, v0
	v_and_b32_e32 v0, 0xffff, v0
	global_store_b32 v[3:4], v0, off
.LBB369_688:
	s_mov_b32 s24, 0
.LBB369_689:
	s_delay_alu instid0(SALU_CYCLE_1)
	s_and_not1_b32 vcc_lo, exec_lo, s24
	s_cbranch_vccnz .LBB369_698
; %bb.690:
	v_cmp_gt_i16_e32 vcc_lo, 6, v6
	s_mov_b32 s24, -1
	s_cbranch_vccnz .LBB369_696
; %bb.691:
	v_cmp_lt_i16_e32 vcc_lo, 6, v6
	s_cbranch_vccz .LBB369_693
; %bb.692:
	v_cvt_f64_i32_e32 v[9:10], v1
	s_mov_b32 s24, 0
	global_store_b64 v[3:4], v[9:10], off
.LBB369_693:
	s_and_not1_b32 vcc_lo, exec_lo, s24
	s_cbranch_vccnz .LBB369_695
; %bb.694:
	v_cvt_f32_i32_e32 v0, v1
	global_store_b32 v[3:4], v0, off
.LBB369_695:
	s_mov_b32 s24, 0
.LBB369_696:
	s_delay_alu instid0(SALU_CYCLE_1)
	s_and_not1_b32 vcc_lo, exec_lo, s24
	s_cbranch_vccnz .LBB369_698
; %bb.697:
	v_cvt_f32_i32_e32 v0, v1
	s_delay_alu instid0(VALU_DEP_1)
	v_cvt_f16_f32_e32 v0, v0
	global_store_b16 v[3:4], v0, off
.LBB369_698:
	s_mov_b32 s24, 0
.LBB369_699:
	s_delay_alu instid0(SALU_CYCLE_1)
	s_and_not1_b32 vcc_lo, exec_lo, s24
	s_cbranch_vccnz .LBB369_715
; %bb.700:
	v_cmp_gt_i16_e32 vcc_lo, 2, v6
	s_mov_b32 s24, -1
	s_cbranch_vccnz .LBB369_710
; %bb.701:
	v_cmp_gt_i16_e32 vcc_lo, 3, v6
	s_cbranch_vccnz .LBB369_707
; %bb.702:
	v_cmp_lt_i16_e32 vcc_lo, 3, v6
	s_cbranch_vccz .LBB369_704
; %bb.703:
	v_ashrrev_i32_e32 v2, 31, v1
	s_mov_b32 s24, 0
	global_store_b64 v[3:4], v[1:2], off
.LBB369_704:
	s_and_not1_b32 vcc_lo, exec_lo, s24
	s_cbranch_vccnz .LBB369_706
; %bb.705:
	global_store_b32 v[3:4], v1, off
.LBB369_706:
	s_mov_b32 s24, 0
.LBB369_707:
	s_delay_alu instid0(SALU_CYCLE_1)
	s_and_not1_b32 vcc_lo, exec_lo, s24
	s_cbranch_vccnz .LBB369_709
; %bb.708:
	global_store_b16 v[3:4], v1, off
.LBB369_709:
	s_mov_b32 s24, 0
.LBB369_710:
	s_delay_alu instid0(SALU_CYCLE_1)
	s_and_not1_b32 vcc_lo, exec_lo, s24
	s_cbranch_vccnz .LBB369_715
; %bb.711:
	v_cmp_lt_i16_e32 vcc_lo, 0, v6
	s_mov_b32 s24, -1
	s_cbranch_vccz .LBB369_713
; %bb.712:
	s_mov_b32 s24, 0
	global_store_b8 v[3:4], v1, off
.LBB369_713:
	s_and_not1_b32 vcc_lo, exec_lo, s24
	s_cbranch_vccnz .LBB369_715
; %bb.714:
	global_store_b8 v[3:4], v1, off
.LBB369_715:
	s_branch .LBB369_792
.LBB369_716:
	s_mov_b32 s43, 0
.LBB369_717:
                                        ; implicit-def: $vgpr8
	s_branch .LBB369_793
.LBB369_718:
	s_mov_b32 s2, s40
	s_branch .LBB369_749
.LBB369_719:
	s_mov_b32 s2, s40
	s_branch .LBB369_732
.LBB369_720:
	s_mov_b32 s2, s40
	s_branch .LBB369_728
.LBB369_721:
	s_mov_b32 s2, s40
.LBB369_722:
	s_and_b32 vcc_lo, exec_lo, s25
	s_cbranch_vccz .LBB369_727
; %bb.723:
	v_cmp_eq_u16_e32 vcc_lo, 44, v6
	s_mov_b32 s2, -1
	s_cbranch_vccz .LBB369_727
; %bb.724:
	v_cvt_f32_i32_e32 v0, v1
	v_mov_b32_e32 v2, 0xff
	s_mov_b32 s24, exec_lo
	s_delay_alu instid0(VALU_DEP_2) | instskip(NEXT) | instid1(VALU_DEP_1)
	v_bfe_u32 v7, v0, 23, 8
	v_cmpx_ne_u32_e32 0xff, v7
; %bb.725:
	v_and_b32_e32 v2, 0x400000, v0
	v_and_or_b32 v7, 0x3fffff, v0, v7
	v_lshrrev_b32_e32 v0, 23, v0
	s_delay_alu instid0(VALU_DEP_3) | instskip(NEXT) | instid1(VALU_DEP_3)
	v_cmp_ne_u32_e32 vcc_lo, 0, v2
	v_cmp_ne_u32_e64 s2, 0, v7
	s_delay_alu instid0(VALU_DEP_1) | instskip(NEXT) | instid1(SALU_CYCLE_1)
	s_and_b32 s2, vcc_lo, s2
	v_cndmask_b32_e64 v2, 0, 1, s2
	s_delay_alu instid0(VALU_DEP_1)
	v_add_nc_u32_e32 v2, v0, v2
; %bb.726:
	s_or_b32 exec_lo, exec_lo, s24
	s_mov_b32 s24, -1
	s_mov_b32 s2, 0
	global_store_b8 v[3:4], v2, off
.LBB369_727:
	s_mov_b32 s25, 0
.LBB369_728:
	s_delay_alu instid0(SALU_CYCLE_1)
	s_and_b32 vcc_lo, exec_lo, s25
	s_cbranch_vccz .LBB369_731
; %bb.729:
	v_cmp_eq_u16_e32 vcc_lo, 29, v6
	s_mov_b32 s2, -1
	s_cbranch_vccz .LBB369_731
; %bb.730:
	v_ashrrev_i32_e32 v2, 31, v1
	s_mov_b32 s24, -1
	s_mov_b32 s2, 0
	s_mov_b32 s25, 0
	global_store_b64 v[3:4], v[1:2], off
	s_branch .LBB369_732
.LBB369_731:
	s_mov_b32 s25, 0
.LBB369_732:
	s_delay_alu instid0(SALU_CYCLE_1)
	s_and_b32 vcc_lo, exec_lo, s25
	s_cbranch_vccz .LBB369_748
; %bb.733:
	v_cmp_gt_i16_e32 vcc_lo, 27, v6
	s_mov_b32 s24, -1
	s_cbranch_vccnz .LBB369_739
; %bb.734:
	v_cmp_lt_i16_e32 vcc_lo, 27, v6
	s_cbranch_vccz .LBB369_736
; %bb.735:
	s_mov_b32 s24, 0
	global_store_b32 v[3:4], v1, off
.LBB369_736:
	s_and_not1_b32 vcc_lo, exec_lo, s24
	s_cbranch_vccnz .LBB369_738
; %bb.737:
	global_store_b16 v[3:4], v1, off
.LBB369_738:
	s_mov_b32 s24, 0
.LBB369_739:
	s_delay_alu instid0(SALU_CYCLE_1)
	s_and_not1_b32 vcc_lo, exec_lo, s24
	s_cbranch_vccnz .LBB369_747
; %bb.740:
	v_cvt_f32_i32_e32 v0, v1
	v_mov_b32_e32 v7, 0x80
	s_mov_b32 s24, exec_lo
	s_delay_alu instid0(VALU_DEP_2) | instskip(NEXT) | instid1(VALU_DEP_1)
	v_and_b32_e32 v2, 0x7fffffff, v0
	v_cmpx_gt_u32_e32 0x43800000, v2
	s_cbranch_execz .LBB369_746
; %bb.741:
	v_cmp_lt_u32_e32 vcc_lo, 0x3bffffff, v2
	s_mov_b32 s25, 0
                                        ; implicit-def: $vgpr2
	s_and_saveexec_b32 s43, vcc_lo
	s_delay_alu instid0(SALU_CYCLE_1)
	s_xor_b32 s43, exec_lo, s43
	s_cbranch_execz .LBB369_820
; %bb.742:
	v_bfe_u32 v2, v0, 20, 1
	s_mov_b32 s25, exec_lo
	s_delay_alu instid0(VALU_DEP_1) | instskip(NEXT) | instid1(VALU_DEP_1)
	v_add3_u32 v2, v0, v2, 0x487ffff
	v_lshrrev_b32_e32 v2, 20, v2
	s_or_saveexec_b32 s43, s43
                                        ; implicit-def: $sgpr44
	s_delay_alu instid0(SALU_CYCLE_1)
	s_xor_b32 exec_lo, exec_lo, s43
	s_cbranch_execnz .LBB369_821
.LBB369_743:
	s_or_b32 exec_lo, exec_lo, s43
	v_mov_b32_e32 v7, s44
	s_and_saveexec_b32 s43, s25
.LBB369_744:
	v_lshrrev_b32_e32 v0, 24, v0
	s_delay_alu instid0(VALU_DEP_1)
	v_and_or_b32 v7, 0x80, v0, v2
.LBB369_745:
	s_or_b32 exec_lo, exec_lo, s43
.LBB369_746:
	s_delay_alu instid0(SALU_CYCLE_1)
	s_or_b32 exec_lo, exec_lo, s24
	global_store_b8 v[3:4], v7, off
.LBB369_747:
	s_mov_b32 s24, -1
.LBB369_748:
	s_mov_b32 s25, 0
.LBB369_749:
	s_delay_alu instid0(SALU_CYCLE_1)
	s_and_b32 vcc_lo, exec_lo, s25
	s_cbranch_vccz .LBB369_790
; %bb.750:
	v_cmp_lt_i16_e32 vcc_lo, 22, v6
	s_mov_b32 s25, -1
	s_cbranch_vccz .LBB369_782
; %bb.751:
	v_cmp_gt_i16_e32 vcc_lo, 24, v6
	s_mov_b32 s24, -1
	s_cbranch_vccnz .LBB369_771
; %bb.752:
	v_cmp_lt_i16_e32 vcc_lo, 24, v6
	s_cbranch_vccz .LBB369_760
; %bb.753:
	v_cvt_f32_i32_e32 v0, v1
	v_mov_b32_e32 v7, 0x80
	s_mov_b32 s24, exec_lo
	s_delay_alu instid0(VALU_DEP_2) | instskip(NEXT) | instid1(VALU_DEP_1)
	v_and_b32_e32 v2, 0x7fffffff, v0
	v_cmpx_gt_u32_e32 0x47800000, v2
	s_cbranch_execz .LBB369_759
; %bb.754:
	v_cmp_lt_u32_e32 vcc_lo, 0x37ffffff, v2
	s_mov_b32 s25, 0
                                        ; implicit-def: $vgpr2
	s_and_saveexec_b32 s43, vcc_lo
	s_delay_alu instid0(SALU_CYCLE_1)
	s_xor_b32 s43, exec_lo, s43
	s_cbranch_execz .LBB369_823
; %bb.755:
	v_bfe_u32 v2, v0, 21, 1
	s_mov_b32 s25, exec_lo
	s_delay_alu instid0(VALU_DEP_1) | instskip(NEXT) | instid1(VALU_DEP_1)
	v_add3_u32 v2, v0, v2, 0x88fffff
	v_lshrrev_b32_e32 v2, 21, v2
	s_or_saveexec_b32 s43, s43
                                        ; implicit-def: $sgpr44
	s_delay_alu instid0(SALU_CYCLE_1)
	s_xor_b32 exec_lo, exec_lo, s43
	s_cbranch_execnz .LBB369_824
.LBB369_756:
	s_or_b32 exec_lo, exec_lo, s43
	v_mov_b32_e32 v7, s44
	s_and_saveexec_b32 s43, s25
.LBB369_757:
	v_lshrrev_b32_e32 v0, 24, v0
	s_delay_alu instid0(VALU_DEP_1)
	v_and_or_b32 v7, 0x80, v0, v2
.LBB369_758:
	s_or_b32 exec_lo, exec_lo, s43
.LBB369_759:
	s_delay_alu instid0(SALU_CYCLE_1)
	s_or_b32 exec_lo, exec_lo, s24
	s_mov_b32 s24, 0
	global_store_b8 v[3:4], v7, off
.LBB369_760:
	s_and_b32 vcc_lo, exec_lo, s24
	s_cbranch_vccz .LBB369_770
; %bb.761:
	v_cvt_f32_i32_e32 v0, v1
	s_mov_b32 s24, exec_lo
                                        ; implicit-def: $vgpr2
	s_delay_alu instid0(VALU_DEP_1) | instskip(NEXT) | instid1(VALU_DEP_1)
	v_and_b32_e32 v7, 0x7fffffff, v0
	v_cmpx_gt_u32_e32 0x43f00000, v7
	s_xor_b32 s24, exec_lo, s24
	s_cbranch_execz .LBB369_767
; %bb.762:
	s_mov_b32 s25, exec_lo
                                        ; implicit-def: $vgpr2
	v_cmpx_lt_u32_e32 0x3c7fffff, v7
	s_xor_b32 s25, exec_lo, s25
; %bb.763:
	v_bfe_u32 v2, v0, 20, 1
	s_delay_alu instid0(VALU_DEP_1) | instskip(NEXT) | instid1(VALU_DEP_1)
	v_add3_u32 v2, v0, v2, 0x407ffff
	v_and_b32_e32 v7, 0xff00000, v2
	v_lshrrev_b32_e32 v2, 20, v2
	s_delay_alu instid0(VALU_DEP_2) | instskip(NEXT) | instid1(VALU_DEP_2)
	v_cmp_ne_u32_e32 vcc_lo, 0x7f00000, v7
	v_cndmask_b32_e32 v2, 0x7e, v2, vcc_lo
; %bb.764:
	s_and_not1_saveexec_b32 s25, s25
; %bb.765:
	v_add_f32_e64 v2, 0x46800000, |v0|
; %bb.766:
	s_or_b32 exec_lo, exec_lo, s25
                                        ; implicit-def: $vgpr7
.LBB369_767:
	s_and_not1_saveexec_b32 s24, s24
; %bb.768:
	v_mov_b32_e32 v2, 0x7f
	v_cmp_lt_u32_e32 vcc_lo, 0x7f800000, v7
	s_delay_alu instid0(VALU_DEP_2)
	v_cndmask_b32_e32 v2, 0x7e, v2, vcc_lo
; %bb.769:
	s_or_b32 exec_lo, exec_lo, s24
	v_lshrrev_b32_e32 v0, 24, v0
	s_delay_alu instid0(VALU_DEP_1)
	v_and_or_b32 v0, 0x80, v0, v2
	global_store_b8 v[3:4], v0, off
.LBB369_770:
	s_mov_b32 s24, 0
.LBB369_771:
	s_delay_alu instid0(SALU_CYCLE_1)
	s_and_not1_b32 vcc_lo, exec_lo, s24
	s_cbranch_vccnz .LBB369_781
; %bb.772:
	v_cvt_f32_i32_e32 v0, v1
	s_mov_b32 s24, exec_lo
                                        ; implicit-def: $vgpr2
	s_delay_alu instid0(VALU_DEP_1) | instskip(NEXT) | instid1(VALU_DEP_1)
	v_and_b32_e32 v7, 0x7fffffff, v0
	v_cmpx_gt_u32_e32 0x47800000, v7
	s_xor_b32 s24, exec_lo, s24
	s_cbranch_execz .LBB369_778
; %bb.773:
	s_mov_b32 s25, exec_lo
                                        ; implicit-def: $vgpr2
	v_cmpx_lt_u32_e32 0x387fffff, v7
	s_xor_b32 s25, exec_lo, s25
; %bb.774:
	v_bfe_u32 v2, v0, 21, 1
	s_delay_alu instid0(VALU_DEP_1) | instskip(NEXT) | instid1(VALU_DEP_1)
	v_add3_u32 v2, v0, v2, 0x80fffff
	v_lshrrev_b32_e32 v2, 21, v2
; %bb.775:
	s_and_not1_saveexec_b32 s25, s25
; %bb.776:
	v_add_f32_e64 v2, 0x43000000, |v0|
; %bb.777:
	s_or_b32 exec_lo, exec_lo, s25
                                        ; implicit-def: $vgpr7
.LBB369_778:
	s_and_not1_saveexec_b32 s24, s24
; %bb.779:
	v_mov_b32_e32 v2, 0x7f
	v_cmp_lt_u32_e32 vcc_lo, 0x7f800000, v7
	s_delay_alu instid0(VALU_DEP_2)
	v_cndmask_b32_e32 v2, 0x7c, v2, vcc_lo
; %bb.780:
	s_or_b32 exec_lo, exec_lo, s24
	v_lshrrev_b32_e32 v0, 24, v0
	s_delay_alu instid0(VALU_DEP_1)
	v_and_or_b32 v0, 0x80, v0, v2
	global_store_b8 v[3:4], v0, off
.LBB369_781:
	s_mov_b32 s25, 0
	s_mov_b32 s24, -1
.LBB369_782:
	s_and_not1_b32 vcc_lo, exec_lo, s25
	s_cbranch_vccnz .LBB369_790
; %bb.783:
	v_cmp_lt_i16_e32 vcc_lo, 14, v6
	s_mov_b32 s25, -1
	s_cbranch_vccz .LBB369_787
; %bb.784:
	v_cmp_eq_u16_e32 vcc_lo, 15, v6
	s_mov_b32 s2, -1
	s_cbranch_vccz .LBB369_786
; %bb.785:
	v_cvt_f32_i32_e32 v0, v1
	s_mov_b32 s24, -1
	s_mov_b32 s2, 0
	s_delay_alu instid0(VALU_DEP_1) | instskip(NEXT) | instid1(VALU_DEP_1)
	v_bfe_u32 v2, v0, 16, 1
	v_add3_u32 v0, v0, v2, 0x7fff
	global_store_d16_hi_b16 v[3:4], v0, off
.LBB369_786:
	s_mov_b32 s25, 0
.LBB369_787:
	s_delay_alu instid0(SALU_CYCLE_1)
	s_and_b32 vcc_lo, exec_lo, s25
	s_cbranch_vccz .LBB369_790
; %bb.788:
	v_cmp_eq_u16_e32 vcc_lo, 11, v6
	s_mov_b32 s2, -1
	s_cbranch_vccz .LBB369_790
; %bb.789:
	v_cmp_ne_u32_e32 vcc_lo, 0, v1
	s_mov_b32 s2, 0
	s_mov_b32 s24, -1
	v_cndmask_b32_e64 v0, 0, 1, vcc_lo
	global_store_b8 v[3:4], v0, off
.LBB369_790:
.LBB369_791:
	s_and_not1_b32 vcc_lo, exec_lo, s24
	s_cbranch_vccnz .LBB369_716
.LBB369_792:
	v_add_nc_u32_e32 v8, 0x80, v8
	s_mov_b32 s43, -1
.LBB369_793:
	s_and_not1_b32 s24, s40, exec_lo
	s_and_b32 s2, s2, exec_lo
	s_and_not1_b32 s44, s39, exec_lo
	s_and_b32 s3, s3, exec_lo
	s_or_b32 s25, s24, s2
	s_or_b32 s24, s44, s3
	s_or_not1_b32 s44, s43, exec_lo
.LBB369_794:
	s_or_b32 exec_lo, exec_lo, s42
	s_mov_b32 s2, 0
	s_mov_b32 s3, 0
	;; [unrolled: 1-line block ×3, first 2 shown]
                                        ; implicit-def: $vgpr1_vgpr2
                                        ; implicit-def: $vgpr0
                                        ; implicit-def: $vgpr6
	s_and_saveexec_b32 s42, s44
	s_cbranch_execz .LBB369_888
; %bb.795:
	v_cmp_gt_i32_e32 vcc_lo, s33, v8
	s_mov_b32 s45, s24
	s_mov_b32 s44, 0
                                        ; implicit-def: $vgpr1_vgpr2
                                        ; implicit-def: $vgpr0
                                        ; implicit-def: $vgpr6
	s_and_saveexec_b32 s33, vcc_lo
	s_cbranch_execz .LBB369_887
; %bb.796:
	s_and_not1_b32 vcc_lo, exec_lo, s29
	s_cbranch_vccnz .LBB369_801
; %bb.797:
	v_dual_mov_b32 v0, 0 :: v_dual_mov_b32 v1, 0
	s_and_not1_b32 vcc_lo, exec_lo, s35
	s_mov_b32 s35, 0
	s_cbranch_vccnz .LBB369_806
; %bb.798:
	v_mov_b32_e32 v0, 0
	s_add_i32 s43, s34, 1
	s_cmp_eq_u32 s27, 2
	s_mov_b32 s34, 0
	s_cbranch_scc1 .LBB369_802
; %bb.799:
	v_dual_mov_b32 v1, 0 :: v_dual_mov_b32 v0, 0
	v_mov_b32_e32 v2, v8
	s_and_b32 s34, s43, 28
	s_mov_b64 s[2:3], s[16:17]
.LBB369_800:                            ; =>This Inner Loop Header: Depth=1
	s_clause 0x1
	s_load_b256 s[48:55], s[2:3], 0x4
	s_load_b128 s[64:67], s[2:3], 0x24
	s_load_b256 s[56:63], s[22:23], 0x0
	s_add_u32 s2, s2, 48
	s_addc_u32 s3, s3, 0
	s_add_i32 s44, s44, 4
	s_add_u32 s22, s22, 32
	s_addc_u32 s23, s23, 0
	s_cmp_eq_u32 s34, s44
	s_waitcnt vmcnt(0) lgkmcnt(0)
	v_mul_hi_u32 v3, s49, v2
	s_delay_alu instid0(VALU_DEP_1) | instskip(NEXT) | instid1(VALU_DEP_1)
	v_add_nc_u32_e32 v3, v2, v3
	v_lshrrev_b32_e32 v3, s50, v3
	s_delay_alu instid0(VALU_DEP_1) | instskip(SKIP_1) | instid1(VALU_DEP_2)
	v_mul_hi_u32 v4, s52, v3
	v_mul_lo_u32 v7, v3, s48
	v_add_nc_u32_e32 v4, v3, v4
	s_delay_alu instid0(VALU_DEP_2) | instskip(NEXT) | instid1(VALU_DEP_2)
	v_sub_nc_u32_e32 v2, v2, v7
	v_lshrrev_b32_e32 v4, s53, v4
	s_delay_alu instid0(VALU_DEP_2) | instskip(SKIP_1) | instid1(VALU_DEP_3)
	v_mul_lo_u32 v7, v2, s56
	v_mul_lo_u32 v10, v2, s57
	v_mul_hi_u32 v6, s55, v4
	s_delay_alu instid0(VALU_DEP_1) | instskip(NEXT) | instid1(VALU_DEP_1)
	v_add_nc_u32_e32 v6, v4, v6
	v_lshrrev_b32_e32 v6, s64, v6
	s_delay_alu instid0(VALU_DEP_1) | instskip(SKIP_1) | instid1(VALU_DEP_2)
	v_mul_hi_u32 v9, s66, v6
	v_mul_lo_u32 v11, v6, s54
	v_add_nc_u32_e32 v2, v6, v9
	v_mul_lo_u32 v9, v4, s51
	s_delay_alu instid0(VALU_DEP_3) | instskip(NEXT) | instid1(VALU_DEP_3)
	v_sub_nc_u32_e32 v4, v4, v11
	v_lshrrev_b32_e32 v2, s67, v2
	s_delay_alu instid0(VALU_DEP_2) | instskip(SKIP_2) | instid1(VALU_DEP_4)
	v_mul_lo_u32 v11, v4, s60
	v_mul_lo_u32 v4, v4, s61
	v_sub_nc_u32_e32 v3, v3, v9
	v_mul_lo_u32 v12, v2, s65
	s_delay_alu instid0(VALU_DEP_2) | instskip(SKIP_1) | instid1(VALU_DEP_3)
	v_mul_lo_u32 v9, v3, s58
	v_mul_lo_u32 v3, v3, s59
	v_sub_nc_u32_e32 v6, v6, v12
	s_delay_alu instid0(VALU_DEP_3) | instskip(NEXT) | instid1(VALU_DEP_2)
	v_add3_u32 v0, v7, v0, v9
	v_mul_lo_u32 v12, v6, s62
	v_mul_lo_u32 v6, v6, s63
	v_add3_u32 v1, v10, v1, v3
	s_delay_alu instid0(VALU_DEP_3) | instskip(NEXT) | instid1(VALU_DEP_2)
	v_add3_u32 v0, v11, v0, v12
	v_add3_u32 v1, v4, v1, v6
	s_cbranch_scc0 .LBB369_800
	s_branch .LBB369_803
.LBB369_801:
	s_mov_b32 s35, -1
                                        ; implicit-def: $vgpr0
                                        ; implicit-def: $vgpr1
	s_branch .LBB369_806
.LBB369_802:
	v_dual_mov_b32 v2, v8 :: v_dual_mov_b32 v1, 0
.LBB369_803:
	s_and_b32 s43, s43, 3
	s_delay_alu instid0(SALU_CYCLE_1)
	s_cmp_eq_u32 s43, 0
	s_cbranch_scc1 .LBB369_806
; %bb.804:
	s_lshl_b32 s2, s34, 3
	s_mul_i32 s22, s34, 12
	s_add_u32 s2, s2, s16
	s_addc_u32 s3, s17, 0
	s_add_u32 s2, s2, 0xc4
	s_addc_u32 s3, s3, 0
	;; [unrolled: 2-line block ×3, first 2 shown]
.LBB369_805:                            ; =>This Inner Loop Header: Depth=1
	s_clause 0x1
	s_load_b64 s[44:45], s[22:23], 0x4
	s_load_b32 s34, s[22:23], 0xc
	s_load_b64 s[46:47], s[2:3], 0x0
	s_add_u32 s22, s22, 12
	s_addc_u32 s23, s23, 0
	s_add_u32 s2, s2, 8
	s_addc_u32 s3, s3, 0
	s_add_i32 s43, s43, -1
	s_delay_alu instid0(SALU_CYCLE_1) | instskip(SKIP_2) | instid1(VALU_DEP_1)
	s_cmp_lg_u32 s43, 0
	s_waitcnt vmcnt(0) lgkmcnt(0)
	v_mul_hi_u32 v3, s45, v2
	v_add_nc_u32_e32 v3, v2, v3
	s_delay_alu instid0(VALU_DEP_1) | instskip(NEXT) | instid1(VALU_DEP_1)
	v_lshrrev_b32_e32 v9, s34, v3
	v_mul_lo_u32 v3, v9, s44
	s_delay_alu instid0(VALU_DEP_1) | instskip(NEXT) | instid1(VALU_DEP_1)
	v_sub_nc_u32_e32 v2, v2, v3
	v_mad_u64_u32 v[3:4], null, v2, s46, v[0:1]
	v_mad_u64_u32 v[6:7], null, v2, s47, v[1:2]
	v_mov_b32_e32 v2, v9
	s_delay_alu instid0(VALU_DEP_2)
	v_dual_mov_b32 v0, v3 :: v_dual_mov_b32 v1, v6
	s_cbranch_scc1 .LBB369_805
.LBB369_806:
	s_and_not1_b32 vcc_lo, exec_lo, s35
	s_cbranch_vccnz .LBB369_809
; %bb.807:
	v_mul_hi_u32 v0, s13, v8
	s_and_not1_b32 vcc_lo, exec_lo, s31
	s_delay_alu instid0(VALU_DEP_1) | instskip(NEXT) | instid1(VALU_DEP_1)
	v_add_nc_u32_e32 v0, v8, v0
	v_lshrrev_b32_e32 v2, s14, v0
	s_delay_alu instid0(VALU_DEP_1) | instskip(NEXT) | instid1(VALU_DEP_1)
	v_mul_lo_u32 v0, v2, s12
	v_sub_nc_u32_e32 v1, v8, v0
	s_delay_alu instid0(VALU_DEP_1)
	v_mul_lo_u32 v0, v1, s8
	v_mul_lo_u32 v1, v1, s9
	s_cbranch_vccnz .LBB369_809
; %bb.808:
	s_waitcnt vmcnt(0)
	v_mul_hi_u32 v3, s20, v2
	s_delay_alu instid0(VALU_DEP_1) | instskip(NEXT) | instid1(VALU_DEP_1)
	v_add_nc_u32_e32 v3, v2, v3
	v_lshrrev_b32_e32 v3, s21, v3
	s_delay_alu instid0(VALU_DEP_1) | instskip(NEXT) | instid1(VALU_DEP_1)
	v_mul_lo_u32 v3, v3, s15
	v_sub_nc_u32_e32 v6, v2, v3
	s_delay_alu instid0(VALU_DEP_1) | instskip(NEXT) | instid1(VALU_DEP_1)
	v_mad_u64_u32 v[2:3], null, v6, s10, v[0:1]
	v_mad_u64_u32 v[3:4], null, v6, s11, v[1:2]
	s_delay_alu instid0(VALU_DEP_1)
	v_dual_mov_b32 v0, v2 :: v_dual_mov_b32 v1, v3
.LBB369_809:
	v_cmp_gt_i16_e32 vcc_lo, 11, v5
	s_delay_alu instid0(VALU_DEP_2) | instskip(NEXT) | instid1(VALU_DEP_1)
	v_add_co_u32 v1, s2, s6, v1
	v_add_co_ci_u32_e64 v2, null, s7, 0, s2
	s_mov_b32 s6, 0
	s_cbranch_vccnz .LBB369_816
; %bb.810:
	v_cmp_lt_i16_e32 vcc_lo, 25, v5
	s_mov_b32 s3, 0
	s_cbranch_vccz .LBB369_817
; %bb.811:
	v_cmp_lt_i16_e32 vcc_lo, 28, v5
	s_cbranch_vccz .LBB369_818
; %bb.812:
	v_cmp_lt_i16_e32 vcc_lo, 43, v5
	;; [unrolled: 3-line block ×3, first 2 shown]
	s_cbranch_vccz .LBB369_822
; %bb.814:
	v_cmp_eq_u16_e32 vcc_lo, 46, v5
	s_mov_b32 s7, 0
	s_cbranch_vccz .LBB369_825
; %bb.815:
	global_load_b32 v3, v[1:2], off
	s_mov_b32 s2, 0
	s_mov_b32 s6, -1
	s_waitcnt vmcnt(0)
	v_lshlrev_b32_e32 v3, 16, v3
	s_delay_alu instid0(VALU_DEP_1)
	v_cvt_i32_f32_e32 v6, v3
	s_branch .LBB369_827
.LBB369_816:
	s_mov_b32 s7, -1
	s_mov_b32 s3, 0
	s_mov_b32 s2, s24
                                        ; implicit-def: $vgpr6
	s_branch .LBB369_886
.LBB369_817:
	s_mov_b32 s7, -1
	s_mov_b32 s2, s24
                                        ; implicit-def: $vgpr6
	s_branch .LBB369_854
.LBB369_818:
	s_mov_b32 s7, -1
	s_mov_b32 s2, s24
                                        ; implicit-def: $vgpr6
	s_branch .LBB369_837
.LBB369_819:
	s_mov_b32 s7, -1
	s_mov_b32 s2, s24
                                        ; implicit-def: $vgpr6
	s_branch .LBB369_832
.LBB369_820:
	s_or_saveexec_b32 s43, s43
                                        ; implicit-def: $sgpr44
	s_delay_alu instid0(SALU_CYCLE_1)
	s_xor_b32 exec_lo, exec_lo, s43
	s_cbranch_execz .LBB369_743
.LBB369_821:
	v_add_f32_e64 v2, 0x46000000, |v0|
	s_and_not1_b32 s25, s25, exec_lo
	s_mov_b32 s44, 0
	s_delay_alu instid0(VALU_DEP_1) | instskip(NEXT) | instid1(VALU_DEP_1)
	v_and_b32_e32 v2, 0xff, v2
	v_cmp_ne_u32_e32 vcc_lo, 0, v2
	s_and_b32 s45, vcc_lo, exec_lo
	s_delay_alu instid0(SALU_CYCLE_1)
	s_or_b32 s25, s25, s45
	s_or_b32 exec_lo, exec_lo, s43
	v_mov_b32_e32 v7, s44
	s_and_saveexec_b32 s43, s25
	s_cbranch_execnz .LBB369_744
	s_branch .LBB369_745
.LBB369_822:
	s_mov_b32 s7, -1
	s_mov_b32 s2, s24
	s_branch .LBB369_826
.LBB369_823:
	s_or_saveexec_b32 s43, s43
                                        ; implicit-def: $sgpr44
	s_delay_alu instid0(SALU_CYCLE_1)
	s_xor_b32 exec_lo, exec_lo, s43
	s_cbranch_execz .LBB369_756
.LBB369_824:
	v_add_f32_e64 v2, 0x42800000, |v0|
	s_and_not1_b32 s25, s25, exec_lo
	s_mov_b32 s44, 0
	s_delay_alu instid0(VALU_DEP_1) | instskip(NEXT) | instid1(VALU_DEP_1)
	v_and_b32_e32 v2, 0xff, v2
	v_cmp_ne_u32_e32 vcc_lo, 0, v2
	s_and_b32 s45, vcc_lo, exec_lo
	s_delay_alu instid0(SALU_CYCLE_1)
	s_or_b32 s25, s25, s45
	s_or_b32 exec_lo, exec_lo, s43
	v_mov_b32_e32 v7, s44
	s_and_saveexec_b32 s43, s25
	s_cbranch_execnz .LBB369_757
	s_branch .LBB369_758
.LBB369_825:
	s_mov_b32 s2, -1
.LBB369_826:
                                        ; implicit-def: $vgpr6
.LBB369_827:
	s_and_b32 vcc_lo, exec_lo, s7
	s_cbranch_vccz .LBB369_831
; %bb.828:
	v_cmp_eq_u16_e32 vcc_lo, 44, v5
	s_cbranch_vccz .LBB369_830
; %bb.829:
	global_load_u8 v3, v[1:2], off
	s_mov_b32 s2, 0
	s_mov_b32 s6, -1
	s_waitcnt vmcnt(0)
	v_lshlrev_b32_e32 v4, 23, v3
	v_cmp_ne_u32_e32 vcc_lo, 0, v3
	s_delay_alu instid0(VALU_DEP_2) | instskip(NEXT) | instid1(VALU_DEP_1)
	v_cvt_i32_f32_e32 v4, v4
	v_cndmask_b32_e32 v6, 0, v4, vcc_lo
	s_branch .LBB369_831
.LBB369_830:
	s_mov_b32 s2, -1
                                        ; implicit-def: $vgpr6
.LBB369_831:
	s_mov_b32 s7, 0
.LBB369_832:
	s_delay_alu instid0(SALU_CYCLE_1)
	s_and_b32 vcc_lo, exec_lo, s7
	s_cbranch_vccz .LBB369_836
; %bb.833:
	v_cmp_eq_u16_e32 vcc_lo, 29, v5
	s_cbranch_vccz .LBB369_835
; %bb.834:
	global_load_b32 v6, v[1:2], off
	s_mov_b32 s2, 0
	s_mov_b32 s6, -1
	s_branch .LBB369_836
.LBB369_835:
	s_mov_b32 s2, -1
                                        ; implicit-def: $vgpr6
.LBB369_836:
	s_mov_b32 s7, 0
.LBB369_837:
	s_delay_alu instid0(SALU_CYCLE_1)
	s_and_b32 vcc_lo, exec_lo, s7
	s_cbranch_vccz .LBB369_853
; %bb.838:
	v_cmp_gt_i16_e32 vcc_lo, 27, v5
	s_cbranch_vccnz .LBB369_841
; %bb.839:
	v_cmp_lt_i16_e32 vcc_lo, 27, v5
	s_cbranch_vccz .LBB369_842
; %bb.840:
	global_load_b32 v6, v[1:2], off
	s_mov_b32 s6, 0
	s_branch .LBB369_843
.LBB369_841:
	s_mov_b32 s6, -1
                                        ; implicit-def: $vgpr6
	s_branch .LBB369_846
.LBB369_842:
	s_mov_b32 s6, -1
                                        ; implicit-def: $vgpr6
.LBB369_843:
	s_delay_alu instid0(SALU_CYCLE_1)
	s_and_not1_b32 vcc_lo, exec_lo, s6
	s_cbranch_vccnz .LBB369_845
; %bb.844:
	global_load_u16 v6, v[1:2], off
.LBB369_845:
	s_mov_b32 s6, 0
.LBB369_846:
	s_delay_alu instid0(SALU_CYCLE_1)
	s_and_not1_b32 vcc_lo, exec_lo, s6
	s_cbranch_vccnz .LBB369_852
; %bb.847:
	global_load_u8 v3, v[1:2], off
	s_mov_b32 s6, 0
	s_mov_b32 s7, exec_lo
                                        ; implicit-def: $sgpr8
	s_waitcnt vmcnt(0)
	v_cmpx_lt_i16_e32 0x7f, v3
	s_xor_b32 s7, exec_lo, s7
	s_cbranch_execz .LBB369_864
; %bb.848:
	v_cmp_ne_u16_e32 vcc_lo, 0x80, v3
	s_mov_b32 s8, 0
	s_and_b32 s6, vcc_lo, exec_lo
	s_or_saveexec_b32 s7, s7
	v_mov_b32_e32 v6, s8
	s_xor_b32 exec_lo, exec_lo, s7
	s_cbranch_execnz .LBB369_865
.LBB369_849:
	s_or_b32 exec_lo, exec_lo, s7
	s_and_saveexec_b32 s7, s6
	s_cbranch_execz .LBB369_851
.LBB369_850:
	v_and_b32_e32 v4, 0xffff, v3
	s_delay_alu instid0(VALU_DEP_1) | instskip(NEXT) | instid1(VALU_DEP_1)
	v_and_b32_e32 v6, 7, v4
	v_clz_i32_u32_e32 v7, v6
	s_delay_alu instid0(VALU_DEP_1) | instskip(NEXT) | instid1(VALU_DEP_1)
	v_min_u32_e32 v7, 32, v7
	v_subrev_nc_u32_e32 v8, 28, v7
	v_sub_nc_u32_e32 v7, 29, v7
	s_delay_alu instid0(VALU_DEP_2) | instskip(SKIP_1) | instid1(VALU_DEP_2)
	v_lshlrev_b32_e32 v8, v8, v4
	v_bfe_u32 v4, v4, 3, 4
	v_and_b32_e32 v8, 7, v8
	s_delay_alu instid0(VALU_DEP_2) | instskip(NEXT) | instid1(VALU_DEP_2)
	v_cmp_eq_u32_e32 vcc_lo, 0, v4
	v_dual_cndmask_b32 v6, v6, v8 :: v_dual_lshlrev_b32 v3, 24, v3
	v_cndmask_b32_e32 v4, v4, v7, vcc_lo
	s_delay_alu instid0(VALU_DEP_2) | instskip(NEXT) | instid1(VALU_DEP_3)
	v_and_b32_e32 v3, 0x80000000, v3
	v_lshlrev_b32_e32 v6, 20, v6
	s_delay_alu instid0(VALU_DEP_3) | instskip(NEXT) | instid1(VALU_DEP_1)
	v_lshl_add_u32 v4, v4, 23, 0x3b800000
	v_or3_b32 v3, v3, v4, v6
	s_delay_alu instid0(VALU_DEP_1)
	v_cvt_i32_f32_e32 v6, v3
.LBB369_851:
	s_or_b32 exec_lo, exec_lo, s7
.LBB369_852:
	s_mov_b32 s6, -1
.LBB369_853:
	s_mov_b32 s7, 0
.LBB369_854:
	s_delay_alu instid0(SALU_CYCLE_1)
	s_and_b32 vcc_lo, exec_lo, s7
	s_cbranch_vccz .LBB369_885
; %bb.855:
	v_cmp_lt_i16_e32 vcc_lo, 22, v5
	s_cbranch_vccz .LBB369_863
; %bb.856:
	v_cmp_gt_i16_e32 vcc_lo, 24, v5
	s_cbranch_vccnz .LBB369_866
; %bb.857:
	v_cmp_lt_i16_e32 vcc_lo, 24, v5
	s_cbranch_vccz .LBB369_867
; %bb.858:
	global_load_u8 v3, v[1:2], off
	s_mov_b32 s6, exec_lo
                                        ; implicit-def: $sgpr7
	s_waitcnt vmcnt(0)
	v_cmpx_lt_i16_e32 0x7f, v3
	s_xor_b32 s6, exec_lo, s6
	s_cbranch_execz .LBB369_879
; %bb.859:
	v_cmp_ne_u16_e32 vcc_lo, 0x80, v3
	s_mov_b32 s7, 0
	s_and_b32 s3, vcc_lo, exec_lo
	s_or_saveexec_b32 s6, s6
	v_mov_b32_e32 v6, s7
	s_xor_b32 exec_lo, exec_lo, s6
	s_cbranch_execnz .LBB369_880
.LBB369_860:
	s_or_b32 exec_lo, exec_lo, s6
	s_and_saveexec_b32 s6, s3
	s_cbranch_execz .LBB369_862
.LBB369_861:
	v_and_b32_e32 v4, 0xffff, v3
	s_delay_alu instid0(VALU_DEP_1) | instskip(NEXT) | instid1(VALU_DEP_1)
	v_and_b32_e32 v6, 3, v4
	v_clz_i32_u32_e32 v7, v6
	s_delay_alu instid0(VALU_DEP_1) | instskip(NEXT) | instid1(VALU_DEP_1)
	v_min_u32_e32 v7, 32, v7
	v_subrev_nc_u32_e32 v8, 29, v7
	v_sub_nc_u32_e32 v7, 30, v7
	s_delay_alu instid0(VALU_DEP_2) | instskip(SKIP_1) | instid1(VALU_DEP_2)
	v_lshlrev_b32_e32 v8, v8, v4
	v_bfe_u32 v4, v4, 2, 5
	v_and_b32_e32 v8, 3, v8
	s_delay_alu instid0(VALU_DEP_2) | instskip(NEXT) | instid1(VALU_DEP_2)
	v_cmp_eq_u32_e32 vcc_lo, 0, v4
	v_dual_cndmask_b32 v6, v6, v8 :: v_dual_lshlrev_b32 v3, 24, v3
	v_cndmask_b32_e32 v4, v4, v7, vcc_lo
	s_delay_alu instid0(VALU_DEP_2) | instskip(NEXT) | instid1(VALU_DEP_3)
	v_and_b32_e32 v3, 0x80000000, v3
	v_lshlrev_b32_e32 v6, 21, v6
	s_delay_alu instid0(VALU_DEP_3) | instskip(NEXT) | instid1(VALU_DEP_1)
	v_lshl_add_u32 v4, v4, 23, 0x37800000
	v_or3_b32 v3, v3, v4, v6
	s_delay_alu instid0(VALU_DEP_1)
	v_cvt_i32_f32_e32 v6, v3
.LBB369_862:
	s_or_b32 exec_lo, exec_lo, s6
	s_mov_b32 s3, 0
	s_branch .LBB369_868
.LBB369_863:
	s_mov_b32 s3, -1
                                        ; implicit-def: $vgpr6
	s_branch .LBB369_874
.LBB369_864:
	s_or_saveexec_b32 s7, s7
	v_mov_b32_e32 v6, s8
	s_xor_b32 exec_lo, exec_lo, s7
	s_cbranch_execz .LBB369_849
.LBB369_865:
	v_cmp_ne_u16_e32 vcc_lo, 0, v3
	v_mov_b32_e32 v6, 0
	s_and_not1_b32 s6, s6, exec_lo
	s_and_b32 s8, vcc_lo, exec_lo
	s_delay_alu instid0(SALU_CYCLE_1)
	s_or_b32 s6, s6, s8
	s_or_b32 exec_lo, exec_lo, s7
	s_and_saveexec_b32 s7, s6
	s_cbranch_execnz .LBB369_850
	s_branch .LBB369_851
.LBB369_866:
	s_mov_b32 s3, -1
                                        ; implicit-def: $vgpr6
	s_branch .LBB369_871
.LBB369_867:
	s_mov_b32 s3, -1
                                        ; implicit-def: $vgpr6
.LBB369_868:
	s_delay_alu instid0(SALU_CYCLE_1)
	s_and_b32 vcc_lo, exec_lo, s3
	s_cbranch_vccz .LBB369_870
; %bb.869:
	global_load_u8 v3, v[1:2], off
	s_waitcnt vmcnt(0)
	v_lshlrev_b32_e32 v3, 24, v3
	s_delay_alu instid0(VALU_DEP_1) | instskip(NEXT) | instid1(VALU_DEP_1)
	v_and_b32_e32 v4, 0x7f000000, v3
	v_clz_i32_u32_e32 v6, v4
	v_add_nc_u32_e32 v8, 0x1000000, v4
	v_cmp_ne_u32_e32 vcc_lo, 0, v4
	s_delay_alu instid0(VALU_DEP_3) | instskip(NEXT) | instid1(VALU_DEP_1)
	v_min_u32_e32 v6, 32, v6
	v_sub_nc_u32_e64 v6, v6, 4 clamp
	s_delay_alu instid0(VALU_DEP_1) | instskip(SKIP_1) | instid1(VALU_DEP_2)
	v_lshlrev_b32_e32 v7, v6, v4
	v_lshlrev_b32_e32 v6, 23, v6
	v_lshrrev_b32_e32 v7, 4, v7
	s_delay_alu instid0(VALU_DEP_1) | instskip(SKIP_1) | instid1(VALU_DEP_2)
	v_sub_nc_u32_e32 v6, v7, v6
	v_ashrrev_i32_e32 v7, 8, v8
	v_add_nc_u32_e32 v6, 0x3c000000, v6
	s_delay_alu instid0(VALU_DEP_1) | instskip(NEXT) | instid1(VALU_DEP_1)
	v_and_or_b32 v6, 0x7f800000, v7, v6
	v_cndmask_b32_e32 v4, 0, v6, vcc_lo
	s_delay_alu instid0(VALU_DEP_1) | instskip(NEXT) | instid1(VALU_DEP_1)
	v_and_or_b32 v3, 0x80000000, v3, v4
	v_cvt_i32_f32_e32 v6, v3
.LBB369_870:
	s_mov_b32 s3, 0
.LBB369_871:
	s_delay_alu instid0(SALU_CYCLE_1)
	s_and_not1_b32 vcc_lo, exec_lo, s3
	s_cbranch_vccnz .LBB369_873
; %bb.872:
	global_load_u8 v3, v[1:2], off
	s_waitcnt vmcnt(0)
	v_lshlrev_b32_e32 v4, 25, v3
	v_lshlrev_b16 v3, 8, v3
	s_delay_alu instid0(VALU_DEP_2) | instskip(NEXT) | instid1(VALU_DEP_2)
	v_lshrrev_b32_e32 v6, 4, v4
	v_and_or_b32 v7, 0x7f00, v3, 0.5
	v_cmp_gt_u32_e32 vcc_lo, 0x8000000, v4
	v_bfe_i32 v3, v3, 0, 16
	s_delay_alu instid0(VALU_DEP_4) | instskip(NEXT) | instid1(VALU_DEP_1)
	v_or_b32_e32 v6, 0x70000000, v6
	v_dual_add_f32 v7, -0.5, v7 :: v_dual_mul_f32 v6, 0x7800000, v6
	s_delay_alu instid0(VALU_DEP_1) | instskip(NEXT) | instid1(VALU_DEP_1)
	v_cndmask_b32_e32 v4, v6, v7, vcc_lo
	v_and_or_b32 v3, 0x80000000, v3, v4
	s_delay_alu instid0(VALU_DEP_1)
	v_cvt_i32_f32_e32 v6, v3
.LBB369_873:
	s_mov_b32 s3, 0
	s_mov_b32 s6, -1
.LBB369_874:
	s_and_not1_b32 vcc_lo, exec_lo, s3
	s_mov_b32 s3, 0
	s_cbranch_vccnz .LBB369_885
; %bb.875:
	v_cmp_lt_i16_e32 vcc_lo, 14, v5
	s_cbranch_vccz .LBB369_878
; %bb.876:
	v_cmp_eq_u16_e32 vcc_lo, 15, v5
	s_cbranch_vccz .LBB369_881
; %bb.877:
	global_load_u16 v3, v[1:2], off
	s_mov_b32 s2, 0
	s_mov_b32 s6, -1
	s_waitcnt vmcnt(0)
	v_lshlrev_b32_e32 v3, 16, v3
	s_delay_alu instid0(VALU_DEP_1)
	v_cvt_i32_f32_e32 v6, v3
	s_branch .LBB369_883
.LBB369_878:
	s_mov_b32 s3, -1
	s_branch .LBB369_882
.LBB369_879:
	s_or_saveexec_b32 s6, s6
	v_mov_b32_e32 v6, s7
	s_xor_b32 exec_lo, exec_lo, s6
	s_cbranch_execz .LBB369_860
.LBB369_880:
	v_cmp_ne_u16_e32 vcc_lo, 0, v3
	v_mov_b32_e32 v6, 0
	s_and_not1_b32 s3, s3, exec_lo
	s_and_b32 s7, vcc_lo, exec_lo
	s_delay_alu instid0(SALU_CYCLE_1)
	s_or_b32 s3, s3, s7
	s_or_b32 exec_lo, exec_lo, s6
	s_and_saveexec_b32 s6, s3
	s_cbranch_execnz .LBB369_861
	s_branch .LBB369_862
.LBB369_881:
	s_mov_b32 s2, -1
.LBB369_882:
                                        ; implicit-def: $vgpr6
.LBB369_883:
	s_and_b32 vcc_lo, exec_lo, s3
	s_mov_b32 s3, 0
	s_cbranch_vccz .LBB369_885
; %bb.884:
	v_cmp_ne_u16_e32 vcc_lo, 11, v5
	s_and_not1_b32 s2, s2, exec_lo
	s_mov_b32 s3, -1
                                        ; implicit-def: $vgpr6
	s_and_b32 s7, vcc_lo, exec_lo
	s_delay_alu instid0(SALU_CYCLE_1)
	s_or_b32 s2, s2, s7
.LBB369_885:
	s_mov_b32 s7, 0
.LBB369_886:
	s_and_b32 s43, s6, exec_lo
	s_and_b32 s44, s7, exec_lo
	s_and_not1_b32 s6, s24, exec_lo
	s_and_b32 s7, s2, exec_lo
	s_and_b32 s2, s3, exec_lo
	s_or_b32 s45, s6, s7
.LBB369_887:
	s_or_b32 exec_lo, exec_lo, s33
	s_delay_alu instid0(SALU_CYCLE_1)
	s_and_not1_b32 s6, s24, exec_lo
	s_and_b32 s7, s45, exec_lo
	s_and_b32 s43, s43, exec_lo
	;; [unrolled: 1-line block ×4, first 2 shown]
	s_or_b32 s24, s6, s7
.LBB369_888:
	s_or_b32 exec_lo, exec_lo, s42
	s_delay_alu instid0(SALU_CYCLE_1)
	s_and_not1_b32 s6, s40, exec_lo
	s_and_b32 s7, s25, exec_lo
	s_and_b32 s42, s43, exec_lo
	s_or_b32 s40, s6, s7
	s_and_not1_b32 s6, s39, exec_lo
	s_and_b32 s7, s24, exec_lo
	s_and_b32 s25, s3, exec_lo
	;; [unrolled: 1-line block ×3, first 2 shown]
	s_or_b32 s39, s6, s7
.LBB369_889:
	s_or_b32 exec_lo, exec_lo, s41
	s_delay_alu instid0(SALU_CYCLE_1)
	s_and_not1_b32 s2, s36, exec_lo
	s_and_b32 s6, s40, exec_lo
	s_and_b32 s7, s39, exec_lo
	s_or_b32 s36, s2, s6
	s_and_not1_b32 s6, s37, exec_lo
	s_and_b32 s2, s42, exec_lo
	s_and_b32 s24, s25, exec_lo
	;; [unrolled: 1-line block ×3, first 2 shown]
	s_or_b32 s37, s6, s7
.LBB369_890:
	s_or_b32 exec_lo, exec_lo, s38
	s_mov_b32 s3, 0
	s_and_saveexec_b32 s6, s37
	s_cbranch_execnz .LBB369_902
; %bb.891:
	s_or_b32 exec_lo, exec_lo, s6
	s_and_saveexec_b32 s6, s39
	s_delay_alu instid0(SALU_CYCLE_1)
	s_xor_b32 s6, exec_lo, s6
	s_cbranch_execz .LBB369_893
.LBB369_892:
	global_load_u8 v3, v[1:2], off
	s_or_b32 s2, s2, exec_lo
	s_waitcnt vmcnt(0)
	v_cmp_ne_u16_e32 vcc_lo, 0, v3
	v_cndmask_b32_e64 v6, 0, 1, vcc_lo
.LBB369_893:
	s_or_b32 exec_lo, exec_lo, s6
	s_and_saveexec_b32 s6, s24
	s_cbranch_execz .LBB369_941
; %bb.894:
	v_cmp_gt_i16_e32 vcc_lo, 5, v5
	s_cbranch_vccnz .LBB369_899
; %bb.895:
	v_cmp_gt_i16_e32 vcc_lo, 8, v5
	s_cbranch_vccnz .LBB369_900
	;; [unrolled: 3-line block ×3, first 2 shown]
; %bb.897:
	v_cmp_lt_i16_e32 vcc_lo, 9, v5
	s_cbranch_vccz .LBB369_904
; %bb.898:
	global_load_b64 v[3:4], v[1:2], off
	s_mov_b32 s7, 0
	s_waitcnt vmcnt(0)
	v_cvt_i32_f64_e32 v6, v[3:4]
	s_branch .LBB369_905
.LBB369_899:
                                        ; implicit-def: $vgpr6
	s_branch .LBB369_922
.LBB369_900:
                                        ; implicit-def: $vgpr6
	s_branch .LBB369_911
.LBB369_901:
	s_mov_b32 s7, -1
                                        ; implicit-def: $vgpr6
	s_branch .LBB369_908
.LBB369_902:
	s_cbranch_execnz .LBB369_1172
; %bb.903:
	s_mov_b32 s3, exec_lo
	s_and_not1_b32 s39, s39, exec_lo
                                        ; implicit-def: $vgpr6
	s_or_b32 exec_lo, exec_lo, s6
	s_and_saveexec_b32 s6, s39
	s_delay_alu instid0(SALU_CYCLE_1)
	s_xor_b32 s6, exec_lo, s6
	s_cbranch_execnz .LBB369_892
	s_branch .LBB369_893
.LBB369_904:
	s_mov_b32 s7, -1
                                        ; implicit-def: $vgpr6
.LBB369_905:
	s_delay_alu instid0(SALU_CYCLE_1)
	s_and_not1_b32 vcc_lo, exec_lo, s7
	s_cbranch_vccnz .LBB369_907
; %bb.906:
	global_load_b32 v3, v[1:2], off
	s_waitcnt vmcnt(0)
	v_cvt_i32_f32_e32 v6, v3
.LBB369_907:
	s_mov_b32 s7, 0
.LBB369_908:
	s_delay_alu instid0(SALU_CYCLE_1)
	s_and_not1_b32 vcc_lo, exec_lo, s7
	s_cbranch_vccnz .LBB369_910
; %bb.909:
	global_load_b32 v3, v[1:2], off
	s_waitcnt vmcnt(0)
	v_cvt_f32_f16_e32 v3, v3
	s_delay_alu instid0(VALU_DEP_1)
	v_cvt_i32_f32_e32 v6, v3
.LBB369_910:
	s_cbranch_execnz .LBB369_921
.LBB369_911:
	v_cmp_gt_i16_e32 vcc_lo, 6, v5
	s_cbranch_vccnz .LBB369_914
; %bb.912:
	v_cmp_lt_i16_e32 vcc_lo, 6, v5
	s_cbranch_vccz .LBB369_915
; %bb.913:
	global_load_b64 v[3:4], v[1:2], off
	s_mov_b32 s7, 0
	s_waitcnt vmcnt(0)
	v_cvt_i32_f64_e32 v6, v[3:4]
	s_branch .LBB369_916
.LBB369_914:
	s_mov_b32 s7, -1
                                        ; implicit-def: $vgpr6
	s_branch .LBB369_919
.LBB369_915:
	s_mov_b32 s7, -1
                                        ; implicit-def: $vgpr6
.LBB369_916:
	s_delay_alu instid0(SALU_CYCLE_1)
	s_and_not1_b32 vcc_lo, exec_lo, s7
	s_cbranch_vccnz .LBB369_918
; %bb.917:
	global_load_b32 v3, v[1:2], off
	s_waitcnt vmcnt(0)
	v_cvt_i32_f32_e32 v6, v3
.LBB369_918:
	s_mov_b32 s7, 0
.LBB369_919:
	s_delay_alu instid0(SALU_CYCLE_1)
	s_and_not1_b32 vcc_lo, exec_lo, s7
	s_cbranch_vccnz .LBB369_921
; %bb.920:
	global_load_u16 v3, v[1:2], off
	s_waitcnt vmcnt(0)
	v_cvt_f32_f16_e32 v3, v3
	s_delay_alu instid0(VALU_DEP_1)
	v_cvt_i32_f32_e32 v6, v3
.LBB369_921:
	s_cbranch_execnz .LBB369_940
.LBB369_922:
	v_cmp_gt_i16_e32 vcc_lo, 2, v5
	s_cbranch_vccnz .LBB369_926
; %bb.923:
	v_cmp_gt_i16_e32 vcc_lo, 3, v5
	s_cbranch_vccnz .LBB369_927
; %bb.924:
	v_cmp_lt_i16_e32 vcc_lo, 3, v5
	s_cbranch_vccz .LBB369_928
; %bb.925:
	global_load_b32 v6, v[1:2], off
	s_mov_b32 s7, 0
	s_branch .LBB369_929
.LBB369_926:
                                        ; implicit-def: $vgpr6
	s_branch .LBB369_935
.LBB369_927:
	s_mov_b32 s7, -1
                                        ; implicit-def: $vgpr6
	s_branch .LBB369_932
.LBB369_928:
	s_mov_b32 s7, -1
                                        ; implicit-def: $vgpr6
.LBB369_929:
	s_delay_alu instid0(SALU_CYCLE_1)
	s_and_not1_b32 vcc_lo, exec_lo, s7
	s_cbranch_vccnz .LBB369_931
; %bb.930:
	global_load_b32 v6, v[1:2], off
.LBB369_931:
	s_mov_b32 s7, 0
.LBB369_932:
	s_delay_alu instid0(SALU_CYCLE_1)
	s_and_not1_b32 vcc_lo, exec_lo, s7
	s_cbranch_vccnz .LBB369_934
; %bb.933:
	global_load_i16 v6, v[1:2], off
.LBB369_934:
	s_cbranch_execnz .LBB369_940
.LBB369_935:
	v_cmp_lt_i16_e32 vcc_lo, 0, v5
	s_mov_b32 s7, 0
	s_cbranch_vccz .LBB369_937
; %bb.936:
	global_load_i8 v6, v[1:2], off
	s_branch .LBB369_938
.LBB369_937:
	s_mov_b32 s7, -1
                                        ; implicit-def: $vgpr6
.LBB369_938:
	s_delay_alu instid0(SALU_CYCLE_1)
	s_and_not1_b32 vcc_lo, exec_lo, s7
	s_cbranch_vccnz .LBB369_940
; %bb.939:
	global_load_u8 v6, v[1:2], off
.LBB369_940:
	s_or_b32 s2, s2, exec_lo
.LBB369_941:
	s_or_b32 exec_lo, exec_lo, s6
	s_mov_b32 s8, 0
	s_mov_b32 s7, 0
                                        ; implicit-def: $vgpr5
                                        ; implicit-def: $vgpr3_vgpr4
                                        ; implicit-def: $vgpr1
	s_and_saveexec_b32 s6, s2
	s_cbranch_execz .LBB369_1018
; %bb.942:
	v_and_b32_e64 v5, 0xff, s19
	s_waitcnt vmcnt(0)
	v_add_co_u32 v3, s2, s4, v0
	s_delay_alu instid0(VALU_DEP_3)
	v_max_i32_e32 v1, s18, v6
	v_add_co_ci_u32_e64 v4, null, s5, 0, s2
	v_cmp_gt_i16_e32 vcc_lo, 11, v5
	s_mov_b32 s4, -1
	s_mov_b32 s2, s36
	s_cbranch_vccnz .LBB369_1017
; %bb.943:
	v_cmp_lt_i16_e32 vcc_lo, 25, v5
	s_mov_b32 s2, s36
	s_cbranch_vccz .LBB369_976
; %bb.944:
	v_cmp_lt_i16_e32 vcc_lo, 28, v5
	s_mov_b32 s2, s36
	s_cbranch_vccz .LBB369_960
	;; [unrolled: 4-line block ×4, first 2 shown]
; %bb.947:
	v_cmp_eq_u16_e32 vcc_lo, 46, v5
	s_mov_b32 s2, -1
	s_cbranch_vccz .LBB369_949
; %bb.948:
	v_cvt_f32_i32_e32 v0, v1
	s_mov_b32 s2, 0
	s_delay_alu instid0(VALU_DEP_1) | instskip(NEXT) | instid1(VALU_DEP_1)
	v_bfe_u32 v2, v0, 16, 1
	v_add3_u32 v0, v0, v2, 0x7fff
	s_delay_alu instid0(VALU_DEP_1)
	v_lshrrev_b32_e32 v0, 16, v0
	global_store_b32 v[3:4], v0, off
.LBB369_949:
	s_mov_b32 s4, 0
.LBB369_950:
	s_delay_alu instid0(SALU_CYCLE_1)
	s_and_b32 vcc_lo, exec_lo, s4
	s_cbranch_vccz .LBB369_955
; %bb.951:
	v_cmp_eq_u16_e32 vcc_lo, 44, v5
	s_mov_b32 s2, -1
	s_cbranch_vccz .LBB369_955
; %bb.952:
	v_cvt_f32_i32_e32 v0, v1
	v_mov_b32_e32 v2, 0xff
	s_mov_b32 s4, exec_lo
	s_delay_alu instid0(VALU_DEP_2) | instskip(NEXT) | instid1(VALU_DEP_1)
	v_bfe_u32 v6, v0, 23, 8
	v_cmpx_ne_u32_e32 0xff, v6
; %bb.953:
	v_and_b32_e32 v2, 0x400000, v0
	v_and_or_b32 v6, 0x3fffff, v0, v6
	v_lshrrev_b32_e32 v0, 23, v0
	s_delay_alu instid0(VALU_DEP_3) | instskip(NEXT) | instid1(VALU_DEP_3)
	v_cmp_ne_u32_e32 vcc_lo, 0, v2
	v_cmp_ne_u32_e64 s2, 0, v6
	s_delay_alu instid0(VALU_DEP_1) | instskip(NEXT) | instid1(SALU_CYCLE_1)
	s_and_b32 s2, vcc_lo, s2
	v_cndmask_b32_e64 v2, 0, 1, s2
	s_delay_alu instid0(VALU_DEP_1)
	v_add_nc_u32_e32 v2, v0, v2
; %bb.954:
	s_or_b32 exec_lo, exec_lo, s4
	s_mov_b32 s2, 0
	global_store_b8 v[3:4], v2, off
.LBB369_955:
	s_mov_b32 s4, 0
.LBB369_956:
	s_delay_alu instid0(SALU_CYCLE_1)
	s_and_b32 vcc_lo, exec_lo, s4
	s_cbranch_vccz .LBB369_959
; %bb.957:
	v_cmp_eq_u16_e32 vcc_lo, 29, v5
	s_mov_b32 s2, -1
	s_cbranch_vccz .LBB369_959
; %bb.958:
	v_ashrrev_i32_e32 v2, 31, v1
	s_mov_b32 s2, 0
	global_store_b64 v[3:4], v[1:2], off
.LBB369_959:
	s_mov_b32 s4, 0
.LBB369_960:
	s_delay_alu instid0(SALU_CYCLE_1)
	s_and_b32 vcc_lo, exec_lo, s4
	s_cbranch_vccz .LBB369_975
; %bb.961:
	v_cmp_gt_i16_e32 vcc_lo, 27, v5
	s_mov_b32 s4, -1
	s_cbranch_vccnz .LBB369_967
; %bb.962:
	v_cmp_lt_i16_e32 vcc_lo, 27, v5
	s_cbranch_vccz .LBB369_964
; %bb.963:
	s_mov_b32 s4, 0
	global_store_b32 v[3:4], v1, off
.LBB369_964:
	s_and_not1_b32 vcc_lo, exec_lo, s4
	s_cbranch_vccnz .LBB369_966
; %bb.965:
	global_store_b16 v[3:4], v1, off
.LBB369_966:
	s_mov_b32 s4, 0
.LBB369_967:
	s_delay_alu instid0(SALU_CYCLE_1)
	s_and_not1_b32 vcc_lo, exec_lo, s4
	s_cbranch_vccnz .LBB369_975
; %bb.968:
	v_cvt_f32_i32_e32 v0, v1
	v_mov_b32_e32 v6, 0x80
	s_mov_b32 s4, exec_lo
	s_delay_alu instid0(VALU_DEP_2) | instskip(NEXT) | instid1(VALU_DEP_1)
	v_and_b32_e32 v2, 0x7fffffff, v0
	v_cmpx_gt_u32_e32 0x43800000, v2
	s_cbranch_execz .LBB369_974
; %bb.969:
	v_cmp_lt_u32_e32 vcc_lo, 0x3bffffff, v2
	s_mov_b32 s5, 0
                                        ; implicit-def: $vgpr2
	s_and_saveexec_b32 s7, vcc_lo
	s_delay_alu instid0(SALU_CYCLE_1)
	s_xor_b32 s7, exec_lo, s7
	s_cbranch_execz .LBB369_1258
; %bb.970:
	v_bfe_u32 v2, v0, 20, 1
	s_mov_b32 s5, exec_lo
	s_delay_alu instid0(VALU_DEP_1) | instskip(NEXT) | instid1(VALU_DEP_1)
	v_add3_u32 v2, v0, v2, 0x487ffff
	v_lshrrev_b32_e32 v2, 20, v2
	s_or_saveexec_b32 s7, s7
                                        ; implicit-def: $sgpr8
	s_delay_alu instid0(SALU_CYCLE_1)
	s_xor_b32 exec_lo, exec_lo, s7
	s_cbranch_execnz .LBB369_1259
.LBB369_971:
	s_or_b32 exec_lo, exec_lo, s7
	v_mov_b32_e32 v6, s8
	s_and_saveexec_b32 s7, s5
.LBB369_972:
	v_lshrrev_b32_e32 v0, 24, v0
	s_delay_alu instid0(VALU_DEP_1)
	v_and_or_b32 v6, 0x80, v0, v2
.LBB369_973:
	s_or_b32 exec_lo, exec_lo, s7
.LBB369_974:
	s_delay_alu instid0(SALU_CYCLE_1)
	s_or_b32 exec_lo, exec_lo, s4
	global_store_b8 v[3:4], v6, off
.LBB369_975:
	s_mov_b32 s4, 0
.LBB369_976:
	s_delay_alu instid0(SALU_CYCLE_1)
	s_and_b32 vcc_lo, exec_lo, s4
	s_mov_b32 s4, 0
	s_cbranch_vccz .LBB369_1016
; %bb.977:
	v_cmp_lt_i16_e32 vcc_lo, 22, v5
	s_mov_b32 s5, -1
	s_cbranch_vccz .LBB369_1009
; %bb.978:
	v_cmp_gt_i16_e32 vcc_lo, 24, v5
	s_cbranch_vccnz .LBB369_998
; %bb.979:
	v_cmp_lt_i16_e32 vcc_lo, 24, v5
	s_cbranch_vccz .LBB369_987
; %bb.980:
	v_cvt_f32_i32_e32 v0, v1
	v_mov_b32_e32 v6, 0x80
	s_mov_b32 s5, exec_lo
	s_delay_alu instid0(VALU_DEP_2) | instskip(NEXT) | instid1(VALU_DEP_1)
	v_and_b32_e32 v2, 0x7fffffff, v0
	v_cmpx_gt_u32_e32 0x47800000, v2
	s_cbranch_execz .LBB369_986
; %bb.981:
	v_cmp_lt_u32_e32 vcc_lo, 0x37ffffff, v2
	s_mov_b32 s7, 0
                                        ; implicit-def: $vgpr2
	s_and_saveexec_b32 s8, vcc_lo
	s_delay_alu instid0(SALU_CYCLE_1)
	s_xor_b32 s8, exec_lo, s8
	s_cbranch_execz .LBB369_1302
; %bb.982:
	v_bfe_u32 v2, v0, 21, 1
	s_mov_b32 s7, exec_lo
	s_delay_alu instid0(VALU_DEP_1) | instskip(NEXT) | instid1(VALU_DEP_1)
	v_add3_u32 v2, v0, v2, 0x88fffff
	v_lshrrev_b32_e32 v2, 21, v2
	s_or_saveexec_b32 s8, s8
                                        ; implicit-def: $sgpr9
	s_delay_alu instid0(SALU_CYCLE_1)
	s_xor_b32 exec_lo, exec_lo, s8
	s_cbranch_execnz .LBB369_1303
.LBB369_983:
	s_or_b32 exec_lo, exec_lo, s8
	v_mov_b32_e32 v6, s9
	s_and_saveexec_b32 s8, s7
.LBB369_984:
	v_lshrrev_b32_e32 v0, 24, v0
	s_delay_alu instid0(VALU_DEP_1)
	v_and_or_b32 v6, 0x80, v0, v2
.LBB369_985:
	s_or_b32 exec_lo, exec_lo, s8
.LBB369_986:
	s_delay_alu instid0(SALU_CYCLE_1)
	s_or_b32 exec_lo, exec_lo, s5
	s_mov_b32 s5, 0
	global_store_b8 v[3:4], v6, off
.LBB369_987:
	s_and_b32 vcc_lo, exec_lo, s5
	s_cbranch_vccz .LBB369_997
; %bb.988:
	v_cvt_f32_i32_e32 v0, v1
	s_mov_b32 s5, exec_lo
                                        ; implicit-def: $vgpr2
	s_delay_alu instid0(VALU_DEP_1) | instskip(NEXT) | instid1(VALU_DEP_1)
	v_and_b32_e32 v6, 0x7fffffff, v0
	v_cmpx_gt_u32_e32 0x43f00000, v6
	s_xor_b32 s5, exec_lo, s5
	s_cbranch_execz .LBB369_994
; %bb.989:
	s_mov_b32 s7, exec_lo
                                        ; implicit-def: $vgpr2
	v_cmpx_lt_u32_e32 0x3c7fffff, v6
	s_xor_b32 s7, exec_lo, s7
; %bb.990:
	v_bfe_u32 v2, v0, 20, 1
	s_delay_alu instid0(VALU_DEP_1) | instskip(NEXT) | instid1(VALU_DEP_1)
	v_add3_u32 v2, v0, v2, 0x407ffff
	v_and_b32_e32 v6, 0xff00000, v2
	v_lshrrev_b32_e32 v2, 20, v2
	s_delay_alu instid0(VALU_DEP_2) | instskip(NEXT) | instid1(VALU_DEP_2)
	v_cmp_ne_u32_e32 vcc_lo, 0x7f00000, v6
	v_cndmask_b32_e32 v2, 0x7e, v2, vcc_lo
; %bb.991:
	s_and_not1_saveexec_b32 s7, s7
; %bb.992:
	v_add_f32_e64 v2, 0x46800000, |v0|
; %bb.993:
	s_or_b32 exec_lo, exec_lo, s7
                                        ; implicit-def: $vgpr6
.LBB369_994:
	s_and_not1_saveexec_b32 s5, s5
; %bb.995:
	v_mov_b32_e32 v2, 0x7f
	v_cmp_lt_u32_e32 vcc_lo, 0x7f800000, v6
	s_delay_alu instid0(VALU_DEP_2)
	v_cndmask_b32_e32 v2, 0x7e, v2, vcc_lo
; %bb.996:
	s_or_b32 exec_lo, exec_lo, s5
	v_lshrrev_b32_e32 v0, 24, v0
	s_delay_alu instid0(VALU_DEP_1)
	v_and_or_b32 v0, 0x80, v0, v2
	global_store_b8 v[3:4], v0, off
.LBB369_997:
	s_mov_b32 s5, 0
.LBB369_998:
	s_delay_alu instid0(SALU_CYCLE_1)
	s_and_not1_b32 vcc_lo, exec_lo, s5
	s_cbranch_vccnz .LBB369_1008
; %bb.999:
	v_cvt_f32_i32_e32 v0, v1
	s_mov_b32 s5, exec_lo
                                        ; implicit-def: $vgpr2
	s_delay_alu instid0(VALU_DEP_1) | instskip(NEXT) | instid1(VALU_DEP_1)
	v_and_b32_e32 v6, 0x7fffffff, v0
	v_cmpx_gt_u32_e32 0x47800000, v6
	s_xor_b32 s5, exec_lo, s5
	s_cbranch_execz .LBB369_1005
; %bb.1000:
	s_mov_b32 s7, exec_lo
                                        ; implicit-def: $vgpr2
	v_cmpx_lt_u32_e32 0x387fffff, v6
	s_xor_b32 s7, exec_lo, s7
; %bb.1001:
	v_bfe_u32 v2, v0, 21, 1
	s_delay_alu instid0(VALU_DEP_1) | instskip(NEXT) | instid1(VALU_DEP_1)
	v_add3_u32 v2, v0, v2, 0x80fffff
	v_lshrrev_b32_e32 v2, 21, v2
; %bb.1002:
	s_and_not1_saveexec_b32 s7, s7
; %bb.1003:
	v_add_f32_e64 v2, 0x43000000, |v0|
; %bb.1004:
	s_or_b32 exec_lo, exec_lo, s7
                                        ; implicit-def: $vgpr6
.LBB369_1005:
	s_and_not1_saveexec_b32 s5, s5
; %bb.1006:
	v_mov_b32_e32 v2, 0x7f
	v_cmp_lt_u32_e32 vcc_lo, 0x7f800000, v6
	s_delay_alu instid0(VALU_DEP_2)
	v_cndmask_b32_e32 v2, 0x7c, v2, vcc_lo
; %bb.1007:
	s_or_b32 exec_lo, exec_lo, s5
	v_lshrrev_b32_e32 v0, 24, v0
	s_delay_alu instid0(VALU_DEP_1)
	v_and_or_b32 v0, 0x80, v0, v2
	global_store_b8 v[3:4], v0, off
.LBB369_1008:
	s_mov_b32 s5, 0
.LBB369_1009:
	s_delay_alu instid0(SALU_CYCLE_1)
	s_and_not1_b32 vcc_lo, exec_lo, s5
	s_mov_b32 s8, 0
	s_cbranch_vccnz .LBB369_1017
; %bb.1010:
	v_cmp_lt_i16_e32 vcc_lo, 14, v5
	s_mov_b32 s5, -1
	s_cbranch_vccz .LBB369_1014
; %bb.1011:
	v_cmp_eq_u16_e32 vcc_lo, 15, v5
	s_mov_b32 s2, -1
	s_cbranch_vccz .LBB369_1013
; %bb.1012:
	v_cvt_f32_i32_e32 v0, v1
	s_mov_b32 s2, 0
	s_delay_alu instid0(VALU_DEP_1) | instskip(NEXT) | instid1(VALU_DEP_1)
	v_bfe_u32 v2, v0, 16, 1
	v_add3_u32 v0, v0, v2, 0x7fff
	global_store_d16_hi_b16 v[3:4], v0, off
.LBB369_1013:
	s_mov_b32 s5, 0
.LBB369_1014:
	s_delay_alu instid0(SALU_CYCLE_1)
	s_and_b32 vcc_lo, exec_lo, s5
	s_cbranch_vccz .LBB369_1017
; %bb.1015:
	v_cmp_ne_u16_e32 vcc_lo, 11, v5
	s_and_not1_b32 s2, s2, exec_lo
	s_mov_b32 s8, -1
	s_and_b32 s5, vcc_lo, exec_lo
	s_delay_alu instid0(SALU_CYCLE_1)
	s_or_b32 s2, s2, s5
	s_branch .LBB369_1017
.LBB369_1016:
	s_mov_b32 s8, 0
.LBB369_1017:
	s_and_b32 s7, s4, exec_lo
	s_and_not1_b32 s4, s36, exec_lo
	s_and_b32 s2, s2, exec_lo
	s_and_b32 s8, s8, exec_lo
	s_or_b32 s36, s4, s2
.LBB369_1018:
	s_or_b32 exec_lo, exec_lo, s6
	s_and_saveexec_b32 s2, s36
	s_cbranch_execnz .LBB369_1132
; %bb.1019:
	s_or_b32 exec_lo, exec_lo, s2
	s_and_saveexec_b32 s2, s8
	s_delay_alu instid0(SALU_CYCLE_1)
	s_xor_b32 s2, exec_lo, s2
	s_cbranch_execz .LBB369_1021
.LBB369_1020:
	v_cmp_ne_u32_e32 vcc_lo, 0, v1
	v_cndmask_b32_e64 v0, 0, 1, vcc_lo
	s_waitcnt vmcnt(0)
	global_store_b8 v[3:4], v0, off
.LBB369_1021:
	s_or_b32 exec_lo, exec_lo, s2
	s_and_saveexec_b32 s2, s7
	s_delay_alu instid0(SALU_CYCLE_1)
	s_xor_b32 s2, exec_lo, s2
	s_cbranch_execz .LBB369_1059
; %bb.1022:
	v_cmp_gt_i16_e32 vcc_lo, 5, v5
	s_mov_b32 s4, -1
	s_cbranch_vccnz .LBB369_1043
; %bb.1023:
	v_cmp_gt_i16_e32 vcc_lo, 8, v5
	s_cbranch_vccnz .LBB369_1033
; %bb.1024:
	v_cmp_gt_i16_e32 vcc_lo, 9, v5
	s_cbranch_vccnz .LBB369_1030
; %bb.1025:
	v_cmp_lt_i16_e32 vcc_lo, 9, v5
	s_cbranch_vccz .LBB369_1027
; %bb.1026:
	s_waitcnt vmcnt(0)
	v_cvt_f64_i32_e32 v[6:7], v1
	v_mov_b32_e32 v8, 0
	s_mov_b32 s4, 0
	s_delay_alu instid0(VALU_DEP_1)
	v_mov_b32_e32 v9, v8
	global_store_b128 v[3:4], v[6:9], off
.LBB369_1027:
	s_and_not1_b32 vcc_lo, exec_lo, s4
	s_cbranch_vccnz .LBB369_1029
; %bb.1028:
	s_waitcnt vmcnt(0)
	v_cvt_f32_i32_e32 v6, v1
	v_mov_b32_e32 v7, 0
	global_store_b64 v[3:4], v[6:7], off
.LBB369_1029:
	s_mov_b32 s4, 0
.LBB369_1030:
	s_delay_alu instid0(SALU_CYCLE_1)
	s_and_not1_b32 vcc_lo, exec_lo, s4
	s_cbranch_vccnz .LBB369_1032
; %bb.1031:
	v_cvt_f32_i32_e32 v0, v1
	s_delay_alu instid0(VALU_DEP_1) | instskip(NEXT) | instid1(VALU_DEP_1)
	v_cvt_f16_f32_e32 v0, v0
	v_and_b32_e32 v0, 0xffff, v0
	s_waitcnt vmcnt(0)
	global_store_b32 v[3:4], v0, off
.LBB369_1032:
	s_mov_b32 s4, 0
.LBB369_1033:
	s_delay_alu instid0(SALU_CYCLE_1)
	s_and_not1_b32 vcc_lo, exec_lo, s4
	s_cbranch_vccnz .LBB369_1042
; %bb.1034:
	v_cmp_gt_i16_e32 vcc_lo, 6, v5
	s_mov_b32 s4, -1
	s_cbranch_vccnz .LBB369_1040
; %bb.1035:
	v_cmp_lt_i16_e32 vcc_lo, 6, v5
	s_cbranch_vccz .LBB369_1037
; %bb.1036:
	s_waitcnt vmcnt(0)
	v_cvt_f64_i32_e32 v[6:7], v1
	s_mov_b32 s4, 0
	global_store_b64 v[3:4], v[6:7], off
.LBB369_1037:
	s_and_not1_b32 vcc_lo, exec_lo, s4
	s_cbranch_vccnz .LBB369_1039
; %bb.1038:
	v_cvt_f32_i32_e32 v0, v1
	s_waitcnt vmcnt(0)
	global_store_b32 v[3:4], v0, off
.LBB369_1039:
	s_mov_b32 s4, 0
.LBB369_1040:
	s_delay_alu instid0(SALU_CYCLE_1)
	s_and_not1_b32 vcc_lo, exec_lo, s4
	s_cbranch_vccnz .LBB369_1042
; %bb.1041:
	v_cvt_f32_i32_e32 v0, v1
	s_delay_alu instid0(VALU_DEP_1)
	v_cvt_f16_f32_e32 v0, v0
	s_waitcnt vmcnt(0)
	global_store_b16 v[3:4], v0, off
.LBB369_1042:
	s_mov_b32 s4, 0
.LBB369_1043:
	s_delay_alu instid0(SALU_CYCLE_1)
	s_and_not1_b32 vcc_lo, exec_lo, s4
	s_cbranch_vccnz .LBB369_1059
; %bb.1044:
	v_cmp_gt_i16_e32 vcc_lo, 2, v5
	s_mov_b32 s4, -1
	s_cbranch_vccnz .LBB369_1054
; %bb.1045:
	v_cmp_gt_i16_e32 vcc_lo, 3, v5
	s_cbranch_vccnz .LBB369_1051
; %bb.1046:
	v_cmp_lt_i16_e32 vcc_lo, 3, v5
	s_cbranch_vccz .LBB369_1048
; %bb.1047:
	v_ashrrev_i32_e32 v2, 31, v1
	s_mov_b32 s4, 0
	s_waitcnt vmcnt(0)
	global_store_b64 v[3:4], v[1:2], off
.LBB369_1048:
	s_and_not1_b32 vcc_lo, exec_lo, s4
	s_cbranch_vccnz .LBB369_1050
; %bb.1049:
	s_waitcnt vmcnt(0)
	global_store_b32 v[3:4], v1, off
.LBB369_1050:
	s_mov_b32 s4, 0
.LBB369_1051:
	s_delay_alu instid0(SALU_CYCLE_1)
	s_and_not1_b32 vcc_lo, exec_lo, s4
	s_cbranch_vccnz .LBB369_1053
; %bb.1052:
	s_waitcnt vmcnt(0)
	global_store_b16 v[3:4], v1, off
.LBB369_1053:
	s_mov_b32 s4, 0
.LBB369_1054:
	s_delay_alu instid0(SALU_CYCLE_1)
	s_and_not1_b32 vcc_lo, exec_lo, s4
	s_cbranch_vccnz .LBB369_1059
; %bb.1055:
	v_cmp_lt_i16_e32 vcc_lo, 0, v5
	s_mov_b32 s4, -1
	s_cbranch_vccz .LBB369_1057
; %bb.1056:
	s_mov_b32 s4, 0
	s_waitcnt vmcnt(0)
	global_store_b8 v[3:4], v1, off
.LBB369_1057:
	s_and_not1_b32 vcc_lo, exec_lo, s4
	s_cbranch_vccnz .LBB369_1059
; %bb.1058:
	s_waitcnt vmcnt(0)
	global_store_b8 v[3:4], v1, off
.LBB369_1059:
	s_or_b32 exec_lo, exec_lo, s2
	s_delay_alu instid0(SALU_CYCLE_1)
	s_and_b32 s8, s3, exec_lo
                                        ; implicit-def: $vgpr9
                                        ; implicit-def: $vgpr8
.LBB369_1060:
	s_or_saveexec_b32 s9, s30
	s_mov_b32 s4, 0
                                        ; implicit-def: $vgpr0_vgpr1
                                        ; implicit-def: $sgpr3
                                        ; implicit-def: $vgpr2
	s_xor_b32 exec_lo, exec_lo, s9
	s_cbranch_execz .LBB369_2018
; %bb.1061:
	v_cndmask_b32_e64 v0, 0, 1, s29
	s_and_not1_b32 vcc_lo, exec_lo, s29
	s_cbranch_vccnz .LBB369_1067
; %bb.1062:
	s_waitcnt vmcnt(0)
	v_mov_b32_e32 v3, 0
	v_mov_b32_e32 v7, 0
	s_cmp_lg_u32 s26, 0
	s_mov_b32 s6, 0
	s_cbranch_scc0 .LBB369_1071
; %bb.1063:
	s_min_u32 s7, s27, 15
	v_mov_b32_e32 v3, 0
	s_add_i32 s7, s7, 1
	s_cmp_eq_u32 s27, 2
	s_mov_b32 s10, 0
	s_cbranch_scc1 .LBB369_1068
; %bb.1064:
	v_mov_b32_e32 v7, 0
	v_mov_b32_e32 v3, 0
	;; [unrolled: 1-line block ×3, first 2 shown]
	s_add_u32 s2, s16, 0xc4
	s_addc_u32 s3, s17, 0
	s_and_b32 s10, s7, 28
	s_mov_b32 s11, 0
	s_mov_b64 s[4:5], s[16:17]
.LBB369_1065:                           ; =>This Inner Loop Header: Depth=1
	s_clause 0x1
	s_load_b256 s[36:43], s[4:5], 0x4
	s_load_b128 s[12:15], s[4:5], 0x24
	s_load_b256 s[44:51], s[2:3], 0x0
	s_add_u32 s4, s4, 48
	s_addc_u32 s5, s5, 0
	s_add_i32 s11, s11, 4
	s_add_u32 s2, s2, 32
	s_addc_u32 s3, s3, 0
	s_cmp_lg_u32 s10, s11
	s_waitcnt lgkmcnt(0)
	v_mul_hi_u32 v2, s37, v1
	s_delay_alu instid0(VALU_DEP_1) | instskip(NEXT) | instid1(VALU_DEP_1)
	v_add_nc_u32_e32 v2, v1, v2
	v_lshrrev_b32_e32 v2, s38, v2
	s_delay_alu instid0(VALU_DEP_1) | instskip(SKIP_1) | instid1(VALU_DEP_2)
	v_mul_hi_u32 v4, s40, v2
	v_mul_lo_u32 v6, v2, s36
	v_add_nc_u32_e32 v4, v2, v4
	s_delay_alu instid0(VALU_DEP_2) | instskip(NEXT) | instid1(VALU_DEP_2)
	v_sub_nc_u32_e32 v1, v1, v6
	v_lshrrev_b32_e32 v4, s41, v4
	s_delay_alu instid0(VALU_DEP_2) | instskip(SKIP_1) | instid1(VALU_DEP_3)
	v_mul_lo_u32 v6, v1, s44
	v_mul_lo_u32 v11, v1, s45
	v_mul_hi_u32 v5, s43, v4
	s_delay_alu instid0(VALU_DEP_1) | instskip(NEXT) | instid1(VALU_DEP_1)
	v_add_nc_u32_e32 v5, v4, v5
	v_lshrrev_b32_e32 v5, s12, v5
	s_delay_alu instid0(VALU_DEP_1) | instskip(SKIP_1) | instid1(VALU_DEP_2)
	v_mul_hi_u32 v10, s14, v5
	v_mul_lo_u32 v12, v5, s42
	v_add_nc_u32_e32 v1, v5, v10
	v_mul_lo_u32 v10, v4, s39
	s_delay_alu instid0(VALU_DEP_3) | instskip(NEXT) | instid1(VALU_DEP_3)
	v_sub_nc_u32_e32 v4, v4, v12
	v_lshrrev_b32_e32 v1, s15, v1
	s_delay_alu instid0(VALU_DEP_2) | instskip(SKIP_2) | instid1(VALU_DEP_4)
	v_mul_lo_u32 v12, v4, s48
	v_mul_lo_u32 v4, v4, s49
	v_sub_nc_u32_e32 v2, v2, v10
	v_mul_lo_u32 v13, v1, s13
	s_delay_alu instid0(VALU_DEP_2) | instskip(SKIP_1) | instid1(VALU_DEP_3)
	v_mul_lo_u32 v10, v2, s46
	v_mul_lo_u32 v2, v2, s47
	v_sub_nc_u32_e32 v5, v5, v13
	s_delay_alu instid0(VALU_DEP_3) | instskip(NEXT) | instid1(VALU_DEP_2)
	v_add3_u32 v3, v6, v3, v10
	v_mul_lo_u32 v13, v5, s50
	v_mul_lo_u32 v5, v5, s51
	v_add3_u32 v2, v11, v7, v2
	s_delay_alu instid0(VALU_DEP_3) | instskip(NEXT) | instid1(VALU_DEP_2)
	v_add3_u32 v3, v12, v3, v13
	v_add3_u32 v7, v4, v2, v5
	s_cbranch_scc1 .LBB369_1065
; %bb.1066:
	s_and_b32 s7, s7, 3
	s_delay_alu instid0(SALU_CYCLE_1)
	s_cmp_eq_u32 s7, 0
	s_cbranch_scc0 .LBB369_1069
	s_branch .LBB369_1071
.LBB369_1067:
	s_mov_b32 s6, -1
                                        ; implicit-def: $vgpr3
                                        ; implicit-def: $vgpr7
	s_branch .LBB369_1071
.LBB369_1068:
	v_mov_b32_e32 v1, v8
	v_mov_b32_e32 v7, 0
	s_and_b32 s7, s7, 3
	s_delay_alu instid0(SALU_CYCLE_1)
	s_cmp_eq_u32 s7, 0
	s_cbranch_scc1 .LBB369_1071
.LBB369_1069:
	s_lshl_b32 s2, s10, 3
	s_mul_i32 s4, s10, 12
	s_add_u32 s2, s2, s16
	s_addc_u32 s3, 0, s17
	s_add_u32 s2, s2, 0xc4
	s_addc_u32 s3, s3, 0
	;; [unrolled: 2-line block ×3, first 2 shown]
	.p2align	6
.LBB369_1070:                           ; =>This Inner Loop Header: Depth=1
	s_clause 0x1
	s_load_b64 s[10:11], s[4:5], 0x4
	s_load_b32 s14, s[4:5], 0xc
	s_load_b64 s[12:13], s[2:3], 0x0
	s_add_u32 s4, s4, 12
	s_addc_u32 s5, s5, 0
	s_add_u32 s2, s2, 8
	s_addc_u32 s3, s3, 0
	s_add_i32 s7, s7, -1
	s_delay_alu instid0(SALU_CYCLE_1) | instskip(SKIP_2) | instid1(VALU_DEP_1)
	s_cmp_lg_u32 s7, 0
	s_waitcnt lgkmcnt(0)
	v_mul_hi_u32 v2, s11, v1
	v_add_nc_u32_e32 v2, v1, v2
	s_delay_alu instid0(VALU_DEP_1) | instskip(NEXT) | instid1(VALU_DEP_1)
	v_lshrrev_b32_e32 v6, s14, v2
	v_mul_lo_u32 v2, v6, s10
	s_delay_alu instid0(VALU_DEP_1) | instskip(NEXT) | instid1(VALU_DEP_1)
	v_sub_nc_u32_e32 v1, v1, v2
	v_mad_u64_u32 v[4:5], null, v1, s12, v[3:4]
	v_mad_u64_u32 v[2:3], null, v1, s13, v[7:8]
	v_mov_b32_e32 v1, v6
	s_delay_alu instid0(VALU_DEP_3) | instskip(NEXT) | instid1(VALU_DEP_3)
	v_mov_b32_e32 v3, v4
	v_mov_b32_e32 v7, v2
	s_cbranch_scc1 .LBB369_1070
.LBB369_1071:
	s_and_not1_b32 vcc_lo, exec_lo, s6
	s_cbranch_vccnz .LBB369_1074
; %bb.1072:
	s_clause 0x1
	s_load_b128 s[4:7], s[16:17], 0x4
	s_load_b64 s[2:3], s[16:17], 0xc4
	s_cmp_lt_u32 s26, 2
	s_waitcnt lgkmcnt(0)
	v_mul_hi_u32 v1, s5, v8
	s_delay_alu instid0(VALU_DEP_1) | instskip(NEXT) | instid1(VALU_DEP_1)
	v_add_nc_u32_e32 v1, v8, v1
	v_lshrrev_b32_e32 v1, s6, v1
	s_delay_alu instid0(VALU_DEP_1) | instskip(NEXT) | instid1(VALU_DEP_1)
	v_mul_lo_u32 v2, v1, s4
	v_sub_nc_u32_e32 v2, v8, v2
	s_waitcnt vmcnt(0)
	s_delay_alu instid0(VALU_DEP_1)
	v_mul_lo_u32 v3, v2, s2
	v_mul_lo_u32 v7, v2, s3
	s_cbranch_scc1 .LBB369_1074
; %bb.1073:
	s_clause 0x1
	s_load_b128 s[4:7], s[16:17], 0x10
	s_load_b64 s[2:3], s[16:17], 0xcc
	s_waitcnt lgkmcnt(0)
	v_mul_hi_u32 v2, s5, v1
	s_delay_alu instid0(VALU_DEP_1) | instskip(NEXT) | instid1(VALU_DEP_1)
	v_add_nc_u32_e32 v2, v1, v2
	v_lshrrev_b32_e32 v2, s6, v2
	s_delay_alu instid0(VALU_DEP_1) | instskip(NEXT) | instid1(VALU_DEP_1)
	v_mul_lo_u32 v2, v2, s4
	v_sub_nc_u32_e32 v4, v1, v2
	s_delay_alu instid0(VALU_DEP_1) | instskip(SKIP_1) | instid1(VALU_DEP_2)
	v_mad_u64_u32 v[1:2], null, v4, s2, v[3:4]
	v_mad_u64_u32 v[2:3], null, v4, s3, v[7:8]
	v_mov_b32_e32 v3, v1
	s_delay_alu instid0(VALU_DEP_2)
	v_mov_b32_e32 v7, v2
.LBB369_1074:
	v_cmp_ne_u32_e32 vcc_lo, 1, v0
	v_add_nc_u32_e32 v1, 0x80, v8
	s_cbranch_vccnz .LBB369_1080
; %bb.1075:
	v_mov_b32_e32 v2, 0
	s_waitcnt vmcnt(0)
	v_mov_b32_e32 v6, 0
	s_cmp_lg_u32 s26, 0
	s_mov_b32 s6, 0
	s_cbranch_scc0 .LBB369_1084
; %bb.1076:
	s_min_u32 s7, s27, 15
	v_mov_b32_e32 v2, 0
	s_add_i32 s7, s7, 1
	s_cmp_eq_u32 s27, 2
	s_mov_b32 s10, 0
	s_cbranch_scc1 .LBB369_1081
; %bb.1077:
	v_mov_b32_e32 v6, 0
	v_mov_b32_e32 v2, 0
	;; [unrolled: 1-line block ×3, first 2 shown]
	s_add_u32 s2, s16, 0xc4
	s_addc_u32 s3, s17, 0
	s_and_b32 s10, s7, 28
	s_mov_b32 s11, 0
	s_mov_b64 s[4:5], s[16:17]
.LBB369_1078:                           ; =>This Inner Loop Header: Depth=1
	s_clause 0x1
	s_load_b256 s[36:43], s[4:5], 0x4
	s_load_b128 s[12:15], s[4:5], 0x24
	s_load_b256 s[44:51], s[2:3], 0x0
	s_add_u32 s4, s4, 48
	s_addc_u32 s5, s5, 0
	s_add_i32 s11, s11, 4
	s_add_u32 s2, s2, 32
	s_addc_u32 s3, s3, 0
	s_cmp_lg_u32 s10, s11
	s_waitcnt lgkmcnt(0)
	v_mul_hi_u32 v5, s37, v4
	s_delay_alu instid0(VALU_DEP_1) | instskip(NEXT) | instid1(VALU_DEP_1)
	v_add_nc_u32_e32 v5, v4, v5
	v_lshrrev_b32_e32 v5, s38, v5
	s_delay_alu instid0(VALU_DEP_1) | instskip(SKIP_1) | instid1(VALU_DEP_2)
	v_mul_hi_u32 v10, s40, v5
	v_mul_lo_u32 v12, v5, s36
	v_add_nc_u32_e32 v10, v5, v10
	s_delay_alu instid0(VALU_DEP_2) | instskip(NEXT) | instid1(VALU_DEP_2)
	v_sub_nc_u32_e32 v4, v4, v12
	v_lshrrev_b32_e32 v10, s41, v10
	s_delay_alu instid0(VALU_DEP_2) | instskip(SKIP_1) | instid1(VALU_DEP_3)
	v_mul_lo_u32 v12, v4, s44
	v_mul_lo_u32 v14, v4, s45
	v_mul_hi_u32 v11, s43, v10
	s_delay_alu instid0(VALU_DEP_1) | instskip(NEXT) | instid1(VALU_DEP_1)
	v_add_nc_u32_e32 v11, v10, v11
	v_lshrrev_b32_e32 v11, s12, v11
	s_delay_alu instid0(VALU_DEP_1) | instskip(SKIP_1) | instid1(VALU_DEP_2)
	v_mul_hi_u32 v13, s14, v11
	v_mul_lo_u32 v15, v11, s42
	v_add_nc_u32_e32 v4, v11, v13
	v_mul_lo_u32 v13, v10, s39
	s_delay_alu instid0(VALU_DEP_3) | instskip(NEXT) | instid1(VALU_DEP_3)
	v_sub_nc_u32_e32 v10, v10, v15
	v_lshrrev_b32_e32 v4, s15, v4
	s_delay_alu instid0(VALU_DEP_2) | instskip(SKIP_2) | instid1(VALU_DEP_4)
	v_mul_lo_u32 v15, v10, s48
	v_mul_lo_u32 v10, v10, s49
	v_sub_nc_u32_e32 v5, v5, v13
	v_mul_lo_u32 v16, v4, s13
	s_delay_alu instid0(VALU_DEP_2) | instskip(SKIP_1) | instid1(VALU_DEP_3)
	v_mul_lo_u32 v13, v5, s46
	v_mul_lo_u32 v5, v5, s47
	v_sub_nc_u32_e32 v11, v11, v16
	s_delay_alu instid0(VALU_DEP_3) | instskip(NEXT) | instid1(VALU_DEP_2)
	v_add3_u32 v2, v12, v2, v13
	v_mul_lo_u32 v16, v11, s50
	v_mul_lo_u32 v11, v11, s51
	v_add3_u32 v5, v14, v6, v5
	s_delay_alu instid0(VALU_DEP_3) | instskip(NEXT) | instid1(VALU_DEP_2)
	v_add3_u32 v2, v15, v2, v16
	v_add3_u32 v6, v10, v5, v11
	s_cbranch_scc1 .LBB369_1078
; %bb.1079:
	s_and_b32 s7, s7, 3
	s_delay_alu instid0(SALU_CYCLE_1)
	s_cmp_eq_u32 s7, 0
	s_cbranch_scc0 .LBB369_1082
	s_branch .LBB369_1084
.LBB369_1080:
	s_mov_b32 s6, -1
                                        ; implicit-def: $vgpr2
                                        ; implicit-def: $vgpr6
	s_branch .LBB369_1084
.LBB369_1081:
	v_mov_b32_e32 v4, v1
	v_mov_b32_e32 v6, 0
	s_and_b32 s7, s7, 3
	s_delay_alu instid0(SALU_CYCLE_1)
	s_cmp_eq_u32 s7, 0
	s_cbranch_scc1 .LBB369_1084
.LBB369_1082:
	s_lshl_b32 s2, s10, 3
	s_mul_i32 s4, s10, 12
	s_add_u32 s2, s2, s16
	s_addc_u32 s3, 0, s17
	s_add_u32 s2, s2, 0xc4
	s_addc_u32 s3, s3, 0
	;; [unrolled: 2-line block ×3, first 2 shown]
	.p2align	6
.LBB369_1083:                           ; =>This Inner Loop Header: Depth=1
	s_clause 0x1
	s_load_b64 s[10:11], s[4:5], 0x4
	s_load_b32 s14, s[4:5], 0xc
	s_load_b64 s[12:13], s[2:3], 0x0
	s_add_u32 s4, s4, 12
	s_addc_u32 s5, s5, 0
	s_add_u32 s2, s2, 8
	s_addc_u32 s3, s3, 0
	s_add_i32 s7, s7, -1
	s_delay_alu instid0(SALU_CYCLE_1) | instskip(SKIP_2) | instid1(VALU_DEP_1)
	s_cmp_lg_u32 s7, 0
	s_waitcnt lgkmcnt(0)
	v_mul_hi_u32 v5, s11, v4
	v_add_nc_u32_e32 v5, v4, v5
	s_delay_alu instid0(VALU_DEP_1) | instskip(NEXT) | instid1(VALU_DEP_1)
	v_lshrrev_b32_e32 v5, s14, v5
	v_mul_lo_u32 v10, v5, s10
	s_delay_alu instid0(VALU_DEP_1) | instskip(NEXT) | instid1(VALU_DEP_1)
	v_sub_nc_u32_e32 v4, v4, v10
	v_mad_u64_u32 v[10:11], null, v4, s12, v[2:3]
	v_mad_u64_u32 v[11:12], null, v4, s13, v[6:7]
	v_mov_b32_e32 v4, v5
	s_delay_alu instid0(VALU_DEP_3) | instskip(NEXT) | instid1(VALU_DEP_3)
	v_mov_b32_e32 v2, v10
	v_mov_b32_e32 v6, v11
	s_cbranch_scc1 .LBB369_1083
.LBB369_1084:
	s_and_not1_b32 vcc_lo, exec_lo, s6
	s_cbranch_vccnz .LBB369_1087
; %bb.1085:
	s_clause 0x1
	s_load_b128 s[4:7], s[16:17], 0x4
	s_load_b64 s[2:3], s[16:17], 0xc4
	s_cmp_lt_u32 s26, 2
	s_waitcnt lgkmcnt(0)
	v_mul_hi_u32 v2, s5, v1
	s_delay_alu instid0(VALU_DEP_1) | instskip(NEXT) | instid1(VALU_DEP_1)
	v_add_nc_u32_e32 v2, v1, v2
	v_lshrrev_b32_e32 v4, s6, v2
	s_delay_alu instid0(VALU_DEP_1) | instskip(NEXT) | instid1(VALU_DEP_1)
	v_mul_lo_u32 v2, v4, s4
	v_sub_nc_u32_e32 v1, v1, v2
	s_delay_alu instid0(VALU_DEP_1)
	v_mul_lo_u32 v2, v1, s2
	s_waitcnt vmcnt(0)
	v_mul_lo_u32 v6, v1, s3
	s_cbranch_scc1 .LBB369_1087
; %bb.1086:
	s_clause 0x1
	s_load_b128 s[4:7], s[16:17], 0x10
	s_load_b64 s[2:3], s[16:17], 0xcc
	s_waitcnt lgkmcnt(0)
	v_mul_hi_u32 v1, s5, v4
	s_delay_alu instid0(VALU_DEP_1) | instskip(NEXT) | instid1(VALU_DEP_1)
	v_add_nc_u32_e32 v1, v4, v1
	v_lshrrev_b32_e32 v1, s6, v1
	s_delay_alu instid0(VALU_DEP_1) | instskip(NEXT) | instid1(VALU_DEP_1)
	v_mul_lo_u32 v1, v1, s4
	v_sub_nc_u32_e32 v10, v4, v1
	s_delay_alu instid0(VALU_DEP_1) | instskip(SKIP_1) | instid1(VALU_DEP_2)
	v_mad_u64_u32 v[4:5], null, v10, s2, v[2:3]
	v_mad_u64_u32 v[1:2], null, v10, s3, v[6:7]
	v_mov_b32_e32 v2, v4
	s_delay_alu instid0(VALU_DEP_2)
	v_mov_b32_e32 v6, v1
.LBB369_1087:
	v_cmp_ne_u32_e32 vcc_lo, 1, v0
	v_add_nc_u32_e32 v4, 0x100, v8
	s_cbranch_vccnz .LBB369_1093
; %bb.1088:
	v_mov_b32_e32 v1, 0
	v_mov_b32_e32 v5, 0
	s_cmp_lg_u32 s26, 0
	s_mov_b32 s6, 0
	s_cbranch_scc0 .LBB369_1097
; %bb.1089:
	s_min_u32 s7, s27, 15
	v_mov_b32_e32 v1, 0
	s_add_i32 s7, s7, 1
	s_cmp_eq_u32 s27, 2
	s_mov_b32 s10, 0
	s_cbranch_scc1 .LBB369_1094
; %bb.1090:
	v_dual_mov_b32 v5, 0 :: v_dual_mov_b32 v8, v4
	v_mov_b32_e32 v1, 0
	s_add_u32 s2, s16, 0xc4
	s_addc_u32 s3, s17, 0
	s_and_b32 s10, s7, 28
	s_mov_b32 s11, 0
	s_mov_b64 s[4:5], s[16:17]
.LBB369_1091:                           ; =>This Inner Loop Header: Depth=1
	s_clause 0x1
	s_load_b256 s[36:43], s[4:5], 0x4
	s_load_b128 s[12:15], s[4:5], 0x24
	s_load_b256 s[44:51], s[2:3], 0x0
	s_add_u32 s4, s4, 48
	s_addc_u32 s5, s5, 0
	s_add_i32 s11, s11, 4
	s_add_u32 s2, s2, 32
	s_addc_u32 s3, s3, 0
	s_cmp_lg_u32 s10, s11
	s_waitcnt lgkmcnt(0)
	v_mul_hi_u32 v10, s37, v8
	s_delay_alu instid0(VALU_DEP_1) | instskip(NEXT) | instid1(VALU_DEP_1)
	v_add_nc_u32_e32 v10, v8, v10
	v_lshrrev_b32_e32 v10, s38, v10
	s_delay_alu instid0(VALU_DEP_1) | instskip(SKIP_1) | instid1(VALU_DEP_2)
	v_mul_hi_u32 v11, s40, v10
	v_mul_lo_u32 v13, v10, s36
	v_add_nc_u32_e32 v11, v10, v11
	s_delay_alu instid0(VALU_DEP_2) | instskip(NEXT) | instid1(VALU_DEP_2)
	v_sub_nc_u32_e32 v8, v8, v13
	v_lshrrev_b32_e32 v11, s41, v11
	s_delay_alu instid0(VALU_DEP_2) | instskip(SKIP_1) | instid1(VALU_DEP_3)
	v_mul_lo_u32 v13, v8, s44
	v_mul_lo_u32 v15, v8, s45
	v_mul_hi_u32 v12, s43, v11
	s_delay_alu instid0(VALU_DEP_1) | instskip(NEXT) | instid1(VALU_DEP_1)
	v_add_nc_u32_e32 v12, v11, v12
	v_lshrrev_b32_e32 v12, s12, v12
	s_delay_alu instid0(VALU_DEP_1) | instskip(SKIP_1) | instid1(VALU_DEP_2)
	v_mul_hi_u32 v14, s14, v12
	v_mul_lo_u32 v16, v12, s42
	v_add_nc_u32_e32 v8, v12, v14
	v_mul_lo_u32 v14, v11, s39
	s_delay_alu instid0(VALU_DEP_3) | instskip(NEXT) | instid1(VALU_DEP_3)
	v_sub_nc_u32_e32 v11, v11, v16
	v_lshrrev_b32_e32 v8, s15, v8
	s_delay_alu instid0(VALU_DEP_2) | instskip(SKIP_2) | instid1(VALU_DEP_4)
	v_mul_lo_u32 v16, v11, s48
	v_mul_lo_u32 v11, v11, s49
	v_sub_nc_u32_e32 v10, v10, v14
	v_mul_lo_u32 v17, v8, s13
	s_delay_alu instid0(VALU_DEP_2) | instskip(SKIP_1) | instid1(VALU_DEP_3)
	v_mul_lo_u32 v14, v10, s46
	v_mul_lo_u32 v10, v10, s47
	v_sub_nc_u32_e32 v12, v12, v17
	s_delay_alu instid0(VALU_DEP_3) | instskip(NEXT) | instid1(VALU_DEP_2)
	v_add3_u32 v1, v13, v1, v14
	v_mul_lo_u32 v17, v12, s50
	v_mul_lo_u32 v12, v12, s51
	v_add3_u32 v5, v15, v5, v10
	s_delay_alu instid0(VALU_DEP_3) | instskip(NEXT) | instid1(VALU_DEP_2)
	v_add3_u32 v1, v16, v1, v17
	v_add3_u32 v5, v11, v5, v12
	s_cbranch_scc1 .LBB369_1091
; %bb.1092:
	s_and_b32 s7, s7, 3
	s_delay_alu instid0(SALU_CYCLE_1)
	s_cmp_eq_u32 s7, 0
	s_cbranch_scc0 .LBB369_1095
	s_branch .LBB369_1097
.LBB369_1093:
	s_mov_b32 s6, -1
                                        ; implicit-def: $vgpr1
                                        ; implicit-def: $vgpr5
	s_branch .LBB369_1097
.LBB369_1094:
	v_dual_mov_b32 v8, v4 :: v_dual_mov_b32 v5, 0
	s_and_b32 s7, s7, 3
	s_delay_alu instid0(SALU_CYCLE_1)
	s_cmp_eq_u32 s7, 0
	s_cbranch_scc1 .LBB369_1097
.LBB369_1095:
	s_lshl_b32 s2, s10, 3
	s_mul_i32 s4, s10, 12
	s_add_u32 s2, s2, s16
	s_addc_u32 s3, 0, s17
	s_add_u32 s2, s2, 0xc4
	s_addc_u32 s3, s3, 0
	;; [unrolled: 2-line block ×3, first 2 shown]
	.p2align	6
.LBB369_1096:                           ; =>This Inner Loop Header: Depth=1
	s_clause 0x1
	s_load_b64 s[10:11], s[4:5], 0x4
	s_load_b32 s14, s[4:5], 0xc
	s_load_b64 s[12:13], s[2:3], 0x0
	s_add_u32 s4, s4, 12
	s_addc_u32 s5, s5, 0
	s_add_u32 s2, s2, 8
	s_addc_u32 s3, s3, 0
	s_add_i32 s7, s7, -1
	s_delay_alu instid0(SALU_CYCLE_1) | instskip(SKIP_2) | instid1(VALU_DEP_1)
	s_cmp_lg_u32 s7, 0
	s_waitcnt lgkmcnt(0)
	v_mul_hi_u32 v10, s11, v8
	v_add_nc_u32_e32 v10, v8, v10
	s_delay_alu instid0(VALU_DEP_1) | instskip(NEXT) | instid1(VALU_DEP_1)
	v_lshrrev_b32_e32 v13, s14, v10
	v_mul_lo_u32 v10, v13, s10
	s_delay_alu instid0(VALU_DEP_1) | instskip(NEXT) | instid1(VALU_DEP_1)
	v_sub_nc_u32_e32 v8, v8, v10
	v_mad_u64_u32 v[10:11], null, v8, s12, v[1:2]
	s_waitcnt vmcnt(0)
	v_mad_u64_u32 v[11:12], null, v8, s13, v[5:6]
	s_delay_alu instid0(VALU_DEP_2) | instskip(NEXT) | instid1(VALU_DEP_2)
	v_dual_mov_b32 v8, v13 :: v_dual_mov_b32 v1, v10
	v_mov_b32_e32 v5, v11
	s_cbranch_scc1 .LBB369_1096
.LBB369_1097:
	s_and_not1_b32 vcc_lo, exec_lo, s6
	s_cbranch_vccnz .LBB369_1100
; %bb.1098:
	s_clause 0x1
	s_load_b128 s[4:7], s[16:17], 0x4
	s_load_b64 s[2:3], s[16:17], 0xc4
	s_cmp_lt_u32 s26, 2
	s_waitcnt lgkmcnt(0)
	v_mul_hi_u32 v1, s5, v4
	s_delay_alu instid0(VALU_DEP_1) | instskip(NEXT) | instid1(VALU_DEP_1)
	v_add_nc_u32_e32 v1, v4, v1
	v_lshrrev_b32_e32 v8, s6, v1
	s_delay_alu instid0(VALU_DEP_1) | instskip(NEXT) | instid1(VALU_DEP_1)
	v_mul_lo_u32 v1, v8, s4
	v_sub_nc_u32_e32 v4, v4, v1
	s_delay_alu instid0(VALU_DEP_1)
	v_mul_lo_u32 v1, v4, s2
	v_mul_lo_u32 v5, v4, s3
	s_cbranch_scc1 .LBB369_1100
; %bb.1099:
	s_clause 0x1
	s_load_b128 s[4:7], s[16:17], 0x10
	s_load_b64 s[2:3], s[16:17], 0xcc
	s_waitcnt lgkmcnt(0)
	v_mul_hi_u32 v4, s5, v8
	s_delay_alu instid0(VALU_DEP_1) | instskip(NEXT) | instid1(VALU_DEP_1)
	v_add_nc_u32_e32 v4, v8, v4
	v_lshrrev_b32_e32 v4, s6, v4
	s_delay_alu instid0(VALU_DEP_1) | instskip(NEXT) | instid1(VALU_DEP_1)
	v_mul_lo_u32 v4, v4, s4
	v_sub_nc_u32_e32 v4, v8, v4
	s_delay_alu instid0(VALU_DEP_1) | instskip(SKIP_2) | instid1(VALU_DEP_2)
	v_mad_u64_u32 v[10:11], null, v4, s2, v[1:2]
	s_waitcnt vmcnt(0)
	v_mad_u64_u32 v[11:12], null, v4, s3, v[5:6]
	v_mov_b32_e32 v1, v10
	s_delay_alu instid0(VALU_DEP_2)
	v_mov_b32_e32 v5, v11
.LBB369_1100:
	v_cmp_ne_u32_e32 vcc_lo, 1, v0
	s_cbranch_vccnz .LBB369_1106
; %bb.1101:
	v_mov_b32_e32 v0, 0
	v_mov_b32_e32 v4, 0
	s_cmp_lg_u32 s26, 0
	s_mov_b32 s6, 0
	s_cbranch_scc0 .LBB369_1110
; %bb.1102:
	s_min_u32 s7, s27, 15
	v_mov_b32_e32 v0, 0
	s_add_i32 s7, s7, 1
	s_cmp_eq_u32 s27, 2
	s_mov_b32 s10, 0
	s_cbranch_scc1 .LBB369_1107
; %bb.1103:
	v_mov_b32_e32 v4, 0
	v_mov_b32_e32 v0, 0
	v_mov_b32_e32 v8, v9
	s_add_u32 s2, s16, 0xc4
	s_addc_u32 s3, s17, 0
	s_and_b32 s10, s7, 28
	s_mov_b32 s11, 0
	s_mov_b64 s[4:5], s[16:17]
.LBB369_1104:                           ; =>This Inner Loop Header: Depth=1
	s_clause 0x1
	s_load_b256 s[36:43], s[4:5], 0x4
	s_load_b128 s[12:15], s[4:5], 0x24
	s_load_b256 s[44:51], s[2:3], 0x0
	s_add_u32 s4, s4, 48
	s_addc_u32 s5, s5, 0
	s_add_i32 s11, s11, 4
	s_add_u32 s2, s2, 32
	s_addc_u32 s3, s3, 0
	s_cmp_lg_u32 s10, s11
	s_waitcnt lgkmcnt(0)
	v_mul_hi_u32 v10, s37, v8
	s_delay_alu instid0(VALU_DEP_1) | instskip(NEXT) | instid1(VALU_DEP_1)
	v_add_nc_u32_e32 v10, v8, v10
	v_lshrrev_b32_e32 v10, s38, v10
	s_delay_alu instid0(VALU_DEP_1) | instskip(SKIP_1) | instid1(VALU_DEP_2)
	v_mul_hi_u32 v11, s40, v10
	v_mul_lo_u32 v13, v10, s36
	v_add_nc_u32_e32 v11, v10, v11
	s_delay_alu instid0(VALU_DEP_2) | instskip(NEXT) | instid1(VALU_DEP_2)
	v_sub_nc_u32_e32 v8, v8, v13
	v_lshrrev_b32_e32 v11, s41, v11
	s_delay_alu instid0(VALU_DEP_2) | instskip(SKIP_1) | instid1(VALU_DEP_3)
	v_mul_lo_u32 v13, v8, s44
	v_mul_lo_u32 v15, v8, s45
	v_mul_hi_u32 v12, s43, v11
	s_delay_alu instid0(VALU_DEP_1) | instskip(NEXT) | instid1(VALU_DEP_1)
	v_add_nc_u32_e32 v12, v11, v12
	v_lshrrev_b32_e32 v12, s12, v12
	s_delay_alu instid0(VALU_DEP_1) | instskip(SKIP_1) | instid1(VALU_DEP_2)
	v_mul_hi_u32 v14, s14, v12
	v_mul_lo_u32 v16, v12, s42
	v_add_nc_u32_e32 v8, v12, v14
	v_mul_lo_u32 v14, v11, s39
	s_delay_alu instid0(VALU_DEP_3) | instskip(NEXT) | instid1(VALU_DEP_3)
	v_sub_nc_u32_e32 v11, v11, v16
	v_lshrrev_b32_e32 v8, s15, v8
	s_delay_alu instid0(VALU_DEP_2) | instskip(SKIP_2) | instid1(VALU_DEP_4)
	v_mul_lo_u32 v16, v11, s48
	v_mul_lo_u32 v11, v11, s49
	v_sub_nc_u32_e32 v10, v10, v14
	v_mul_lo_u32 v17, v8, s13
	s_delay_alu instid0(VALU_DEP_2) | instskip(SKIP_1) | instid1(VALU_DEP_3)
	v_mul_lo_u32 v14, v10, s46
	v_mul_lo_u32 v10, v10, s47
	v_sub_nc_u32_e32 v12, v12, v17
	s_delay_alu instid0(VALU_DEP_3) | instskip(NEXT) | instid1(VALU_DEP_2)
	v_add3_u32 v0, v13, v0, v14
	v_mul_lo_u32 v17, v12, s50
	v_mul_lo_u32 v12, v12, s51
	v_add3_u32 v4, v15, v4, v10
	s_delay_alu instid0(VALU_DEP_3) | instskip(NEXT) | instid1(VALU_DEP_2)
	v_add3_u32 v0, v16, v0, v17
	v_add3_u32 v4, v11, v4, v12
	s_cbranch_scc1 .LBB369_1104
; %bb.1105:
	s_and_b32 s7, s7, 3
	s_delay_alu instid0(SALU_CYCLE_1)
	s_cmp_eq_u32 s7, 0
	s_cbranch_scc0 .LBB369_1108
	s_branch .LBB369_1110
.LBB369_1106:
	s_mov_b32 s6, -1
                                        ; implicit-def: $vgpr0
                                        ; implicit-def: $vgpr4
	s_branch .LBB369_1110
.LBB369_1107:
	v_mov_b32_e32 v8, v9
	v_mov_b32_e32 v4, 0
	s_and_b32 s7, s7, 3
	s_delay_alu instid0(SALU_CYCLE_1)
	s_cmp_eq_u32 s7, 0
	s_cbranch_scc1 .LBB369_1110
.LBB369_1108:
	s_lshl_b32 s2, s10, 3
	s_mul_i32 s4, s10, 12
	s_add_u32 s2, s2, s16
	s_addc_u32 s3, 0, s17
	s_add_u32 s2, s2, 0xc4
	s_addc_u32 s3, s3, 0
	;; [unrolled: 2-line block ×3, first 2 shown]
	.p2align	6
.LBB369_1109:                           ; =>This Inner Loop Header: Depth=1
	s_clause 0x1
	s_load_b64 s[10:11], s[4:5], 0x4
	s_load_b32 s14, s[4:5], 0xc
	s_load_b64 s[12:13], s[2:3], 0x0
	s_add_u32 s4, s4, 12
	s_addc_u32 s5, s5, 0
	s_add_u32 s2, s2, 8
	s_addc_u32 s3, s3, 0
	s_add_i32 s7, s7, -1
	s_delay_alu instid0(SALU_CYCLE_1) | instskip(SKIP_2) | instid1(VALU_DEP_1)
	s_cmp_lg_u32 s7, 0
	s_waitcnt lgkmcnt(0)
	v_mul_hi_u32 v10, s11, v8
	v_add_nc_u32_e32 v10, v8, v10
	s_delay_alu instid0(VALU_DEP_1) | instskip(NEXT) | instid1(VALU_DEP_1)
	v_lshrrev_b32_e32 v13, s14, v10
	v_mul_lo_u32 v10, v13, s10
	s_delay_alu instid0(VALU_DEP_1) | instskip(NEXT) | instid1(VALU_DEP_1)
	v_sub_nc_u32_e32 v8, v8, v10
	v_mad_u64_u32 v[10:11], null, v8, s12, v[0:1]
	v_mad_u64_u32 v[11:12], null, v8, s13, v[4:5]
	v_mov_b32_e32 v8, v13
	s_delay_alu instid0(VALU_DEP_3) | instskip(NEXT) | instid1(VALU_DEP_3)
	v_mov_b32_e32 v0, v10
	v_mov_b32_e32 v4, v11
	s_cbranch_scc1 .LBB369_1109
.LBB369_1110:
	s_and_not1_b32 vcc_lo, exec_lo, s6
	s_cbranch_vccnz .LBB369_1113
; %bb.1111:
	s_clause 0x1
	s_load_b128 s[4:7], s[16:17], 0x4
	s_load_b64 s[2:3], s[16:17], 0xc4
	s_cmp_lt_u32 s26, 2
	s_waitcnt lgkmcnt(0)
	v_mul_hi_u32 v0, s5, v9
	s_delay_alu instid0(VALU_DEP_1) | instskip(NEXT) | instid1(VALU_DEP_1)
	v_add_nc_u32_e32 v0, v9, v0
	v_lshrrev_b32_e32 v8, s6, v0
	s_delay_alu instid0(VALU_DEP_1) | instskip(NEXT) | instid1(VALU_DEP_1)
	v_mul_lo_u32 v0, v8, s4
	v_sub_nc_u32_e32 v4, v9, v0
	s_delay_alu instid0(VALU_DEP_1)
	v_mul_lo_u32 v0, v4, s2
	v_mul_lo_u32 v4, v4, s3
	s_cbranch_scc1 .LBB369_1113
; %bb.1112:
	s_clause 0x1
	s_load_b128 s[4:7], s[16:17], 0x10
	s_load_b64 s[2:3], s[16:17], 0xcc
	s_waitcnt lgkmcnt(0)
	v_mul_hi_u32 v9, s5, v8
	s_delay_alu instid0(VALU_DEP_1) | instskip(NEXT) | instid1(VALU_DEP_1)
	v_add_nc_u32_e32 v9, v8, v9
	v_lshrrev_b32_e32 v9, s6, v9
	s_delay_alu instid0(VALU_DEP_1) | instskip(NEXT) | instid1(VALU_DEP_1)
	v_mul_lo_u32 v9, v9, s4
	v_sub_nc_u32_e32 v11, v8, v9
	s_delay_alu instid0(VALU_DEP_1) | instskip(SKIP_1) | instid1(VALU_DEP_2)
	v_mad_u64_u32 v[8:9], null, v11, s2, v[0:1]
	v_mad_u64_u32 v[9:10], null, v11, s3, v[4:5]
	v_mov_b32_e32 v0, v8
	s_delay_alu instid0(VALU_DEP_2)
	v_mov_b32_e32 v4, v9
.LBB369_1113:
	s_clause 0x1
	s_load_b32 s0, s[0:1], 0x164
	s_load_b128 s[4:7], s[16:17], 0x148
	s_mov_b32 s3, 0
	s_waitcnt lgkmcnt(0)
	s_lshr_b32 s0, s0, 8
	s_delay_alu instid0(SALU_CYCLE_1) | instskip(SKIP_1) | instid1(VALU_DEP_1)
	v_and_b32_e64 v9, 0xff, s0
	v_add_co_u32 v7, s0, s6, v7
	v_add_co_ci_u32_e64 v8, null, s7, 0, s0
	s_delay_alu instid0(VALU_DEP_3)
	v_cmp_gt_i16_e32 vcc_lo, 11, v9
	s_cbranch_vccnz .LBB369_1120
; %bb.1114:
	v_cmp_lt_i16_e32 vcc_lo, 25, v9
	s_mov_b32 s2, 0
	s_cbranch_vccz .LBB369_1126
; %bb.1115:
	v_cmp_lt_i16_e32 vcc_lo, 28, v9
	s_cbranch_vccz .LBB369_1128
; %bb.1116:
	v_cmp_lt_i16_e32 vcc_lo, 43, v9
	;; [unrolled: 3-line block ×3, first 2 shown]
	s_cbranch_vccz .LBB369_1134
; %bb.1118:
	v_cmp_eq_u16_e32 vcc_lo, 46, v9
	s_mov_b32 s1, 0
	s_cbranch_vccz .LBB369_1176
; %bb.1119:
	global_load_b32 v10, v[7:8], off
	s_mov_b32 s0, 0
	s_mov_b32 s3, -1
	s_waitcnt vmcnt(0)
	v_lshlrev_b32_e32 v10, 16, v10
	s_delay_alu instid0(VALU_DEP_1)
	v_cvt_i32_f32_e32 v12, v10
	s_branch .LBB369_1178
.LBB369_1120:
	s_mov_b32 s1, s8
                                        ; implicit-def: $vgpr12
	s_cbranch_execz .LBB369_1236
; %bb.1121:
	v_cmp_gt_i16_e32 vcc_lo, 5, v9
	s_cbranch_vccnz .LBB369_1127
; %bb.1122:
	v_cmp_gt_i16_e32 vcc_lo, 8, v9
	s_cbranch_vccnz .LBB369_1129
	;; [unrolled: 3-line block ×3, first 2 shown]
; %bb.1124:
	v_cmp_lt_i16_e32 vcc_lo, 9, v9
	s_cbranch_vccz .LBB369_1135
; %bb.1125:
	global_load_b64 v[10:11], v[7:8], off
	s_mov_b32 s0, 0
	s_waitcnt vmcnt(0)
	v_cvt_i32_f64_e32 v12, v[10:11]
	s_branch .LBB369_1136
.LBB369_1126:
	s_mov_b32 s0, 0
                                        ; implicit-def: $vgpr12
	s_cbranch_execnz .LBB369_1203
	s_branch .LBB369_1232
.LBB369_1127:
                                        ; implicit-def: $vgpr12
	s_branch .LBB369_1153
.LBB369_1128:
	s_mov_b32 s0, 0
                                        ; implicit-def: $vgpr12
	s_cbranch_execz .LBB369_1202
	s_branch .LBB369_1187
.LBB369_1129:
                                        ; implicit-def: $vgpr12
	s_branch .LBB369_1142
.LBB369_1130:
	s_mov_b32 s0, 0
                                        ; implicit-def: $vgpr12
	s_cbranch_execnz .LBB369_1183
	s_branch .LBB369_1186
.LBB369_1131:
	s_mov_b32 s0, -1
                                        ; implicit-def: $vgpr12
	s_branch .LBB369_1139
.LBB369_1132:
	s_cbranch_execnz .LBB369_1174
; %bb.1133:
	s_or_b32 s3, s3, exec_lo
	s_and_not1_b32 s8, s8, exec_lo
	s_or_b32 exec_lo, exec_lo, s2
	s_and_saveexec_b32 s2, s8
	s_delay_alu instid0(SALU_CYCLE_1)
	s_xor_b32 s2, exec_lo, s2
	s_cbranch_execnz .LBB369_1020
	s_branch .LBB369_1021
.LBB369_1134:
	s_mov_b32 s1, -1
	s_mov_b32 s0, 0
	s_branch .LBB369_1177
.LBB369_1135:
	s_mov_b32 s0, -1
                                        ; implicit-def: $vgpr12
.LBB369_1136:
	s_delay_alu instid0(SALU_CYCLE_1)
	s_and_not1_b32 vcc_lo, exec_lo, s0
	s_cbranch_vccnz .LBB369_1138
; %bb.1137:
	global_load_b32 v10, v[7:8], off
	s_waitcnt vmcnt(0)
	v_cvt_i32_f32_e32 v12, v10
.LBB369_1138:
	s_mov_b32 s0, 0
.LBB369_1139:
	s_delay_alu instid0(SALU_CYCLE_1)
	s_and_not1_b32 vcc_lo, exec_lo, s0
	s_cbranch_vccnz .LBB369_1141
; %bb.1140:
	global_load_b32 v10, v[7:8], off
	s_waitcnt vmcnt(0)
	v_cvt_f32_f16_e32 v10, v10
	s_delay_alu instid0(VALU_DEP_1)
	v_cvt_i32_f32_e32 v12, v10
.LBB369_1141:
	s_cbranch_execnz .LBB369_1152
.LBB369_1142:
	v_cmp_gt_i16_e32 vcc_lo, 6, v9
	s_cbranch_vccnz .LBB369_1145
; %bb.1143:
	v_cmp_lt_i16_e32 vcc_lo, 6, v9
	s_cbranch_vccz .LBB369_1146
; %bb.1144:
	global_load_b64 v[10:11], v[7:8], off
	s_mov_b32 s0, 0
	s_waitcnt vmcnt(0)
	v_cvt_i32_f64_e32 v12, v[10:11]
	s_branch .LBB369_1147
.LBB369_1145:
	s_mov_b32 s0, -1
                                        ; implicit-def: $vgpr12
	s_branch .LBB369_1150
.LBB369_1146:
	s_mov_b32 s0, -1
                                        ; implicit-def: $vgpr12
.LBB369_1147:
	s_delay_alu instid0(SALU_CYCLE_1)
	s_and_not1_b32 vcc_lo, exec_lo, s0
	s_cbranch_vccnz .LBB369_1149
; %bb.1148:
	global_load_b32 v10, v[7:8], off
	s_waitcnt vmcnt(0)
	v_cvt_i32_f32_e32 v12, v10
.LBB369_1149:
	s_mov_b32 s0, 0
.LBB369_1150:
	s_delay_alu instid0(SALU_CYCLE_1)
	s_and_not1_b32 vcc_lo, exec_lo, s0
	s_cbranch_vccnz .LBB369_1152
; %bb.1151:
	global_load_u16 v10, v[7:8], off
	s_waitcnt vmcnt(0)
	v_cvt_f32_f16_e32 v10, v10
	s_delay_alu instid0(VALU_DEP_1)
	v_cvt_i32_f32_e32 v12, v10
.LBB369_1152:
	s_cbranch_execnz .LBB369_1171
.LBB369_1153:
	v_cmp_gt_i16_e32 vcc_lo, 2, v9
	s_cbranch_vccnz .LBB369_1157
; %bb.1154:
	v_cmp_gt_i16_e32 vcc_lo, 3, v9
	s_cbranch_vccnz .LBB369_1158
; %bb.1155:
	v_cmp_lt_i16_e32 vcc_lo, 3, v9
	s_cbranch_vccz .LBB369_1159
; %bb.1156:
	global_load_b32 v12, v[7:8], off
	s_mov_b32 s0, 0
	s_branch .LBB369_1160
.LBB369_1157:
                                        ; implicit-def: $vgpr12
	s_branch .LBB369_1166
.LBB369_1158:
	s_mov_b32 s0, -1
                                        ; implicit-def: $vgpr12
	s_branch .LBB369_1163
.LBB369_1159:
	s_mov_b32 s0, -1
                                        ; implicit-def: $vgpr12
.LBB369_1160:
	s_delay_alu instid0(SALU_CYCLE_1)
	s_and_not1_b32 vcc_lo, exec_lo, s0
	s_cbranch_vccnz .LBB369_1162
; %bb.1161:
	global_load_b32 v12, v[7:8], off
.LBB369_1162:
	s_mov_b32 s0, 0
.LBB369_1163:
	s_delay_alu instid0(SALU_CYCLE_1)
	s_and_not1_b32 vcc_lo, exec_lo, s0
	s_cbranch_vccnz .LBB369_1165
; %bb.1164:
	global_load_i16 v12, v[7:8], off
.LBB369_1165:
	s_cbranch_execnz .LBB369_1171
.LBB369_1166:
	v_cmp_lt_i16_e32 vcc_lo, 0, v9
	s_mov_b32 s0, 0
	s_cbranch_vccz .LBB369_1168
; %bb.1167:
	global_load_i8 v12, v[7:8], off
	s_branch .LBB369_1169
.LBB369_1168:
	s_mov_b32 s0, -1
                                        ; implicit-def: $vgpr12
.LBB369_1169:
	s_delay_alu instid0(SALU_CYCLE_1)
	s_and_not1_b32 vcc_lo, exec_lo, s0
	s_cbranch_vccnz .LBB369_1171
; %bb.1170:
	global_load_u8 v12, v[7:8], off
.LBB369_1171:
	s_branch .LBB369_1237
.LBB369_1172:
	s_trap 2
	s_sendmsg_rtn_b32 s0, sendmsg(MSG_RTN_GET_DOORBELL)
	s_mov_b32 ttmp2, m0
	s_waitcnt lgkmcnt(0)
	s_and_b32 s0, s0, 0x3ff
	s_delay_alu instid0(SALU_CYCLE_1) | instskip(NEXT) | instid1(SALU_CYCLE_1)
	s_bitset1_b32 s0, 10
	s_mov_b32 m0, s0
	s_sendmsg sendmsg(MSG_INTERRUPT)
	s_mov_b32 m0, ttmp2
.LBB369_1173:                           ; =>This Inner Loop Header: Depth=1
	s_sethalt 5
	s_branch .LBB369_1173
.LBB369_1174:
	s_trap 2
	s_sendmsg_rtn_b32 s0, sendmsg(MSG_RTN_GET_DOORBELL)
	s_mov_b32 ttmp2, m0
	s_waitcnt lgkmcnt(0)
	s_and_b32 s0, s0, 0x3ff
	s_delay_alu instid0(SALU_CYCLE_1) | instskip(NEXT) | instid1(SALU_CYCLE_1)
	s_bitset1_b32 s0, 10
	s_mov_b32 m0, s0
	s_sendmsg sendmsg(MSG_INTERRUPT)
	s_mov_b32 m0, ttmp2
.LBB369_1175:                           ; =>This Inner Loop Header: Depth=1
	s_sethalt 5
	s_branch .LBB369_1175
.LBB369_1176:
	s_mov_b32 s0, -1
.LBB369_1177:
                                        ; implicit-def: $vgpr12
.LBB369_1178:
	s_and_b32 vcc_lo, exec_lo, s1
	s_cbranch_vccz .LBB369_1181
; %bb.1179:
	v_cmp_eq_u16_e32 vcc_lo, 44, v9
	s_cbranch_vccz .LBB369_1182
; %bb.1180:
	global_load_u8 v10, v[7:8], off
	s_mov_b32 s0, 0
	s_mov_b32 s3, -1
	s_waitcnt vmcnt(0)
	v_lshlrev_b32_e32 v11, 23, v10
	v_cmp_ne_u32_e32 vcc_lo, 0, v10
	s_delay_alu instid0(VALU_DEP_2) | instskip(NEXT) | instid1(VALU_DEP_1)
	v_cvt_i32_f32_e32 v11, v11
	v_cndmask_b32_e32 v12, 0, v11, vcc_lo
.LBB369_1181:
	s_branch .LBB369_1186
.LBB369_1182:
	s_mov_b32 s0, -1
                                        ; implicit-def: $vgpr12
	s_branch .LBB369_1186
.LBB369_1183:
	v_cmp_eq_u16_e32 vcc_lo, 29, v9
	s_cbranch_vccz .LBB369_1185
; %bb.1184:
	global_load_b32 v12, v[7:8], off
	s_mov_b32 s0, 0
	s_mov_b32 s3, -1
	s_branch .LBB369_1186
.LBB369_1185:
	s_mov_b32 s0, -1
                                        ; implicit-def: $vgpr12
.LBB369_1186:
	s_branch .LBB369_1202
.LBB369_1187:
	v_cmp_gt_i16_e32 vcc_lo, 27, v9
	s_cbranch_vccnz .LBB369_1190
; %bb.1188:
	v_cmp_lt_i16_e32 vcc_lo, 27, v9
	s_cbranch_vccz .LBB369_1191
; %bb.1189:
	global_load_b32 v12, v[7:8], off
	s_mov_b32 s1, 0
	s_branch .LBB369_1192
.LBB369_1190:
	s_mov_b32 s1, -1
                                        ; implicit-def: $vgpr12
	s_branch .LBB369_1195
.LBB369_1191:
	s_mov_b32 s1, -1
                                        ; implicit-def: $vgpr12
.LBB369_1192:
	s_delay_alu instid0(SALU_CYCLE_1)
	s_and_not1_b32 vcc_lo, exec_lo, s1
	s_cbranch_vccnz .LBB369_1194
; %bb.1193:
	global_load_u16 v12, v[7:8], off
.LBB369_1194:
	s_mov_b32 s1, 0
.LBB369_1195:
	s_delay_alu instid0(SALU_CYCLE_1)
	s_and_not1_b32 vcc_lo, exec_lo, s1
	s_cbranch_vccnz .LBB369_1201
; %bb.1196:
	global_load_u8 v10, v[7:8], off
	s_mov_b32 s1, 0
	s_mov_b32 s3, exec_lo
                                        ; implicit-def: $sgpr10
	s_waitcnt vmcnt(0)
	v_cmpx_lt_i16_e32 0x7f, v10
	s_xor_b32 s3, exec_lo, s3
	s_cbranch_execz .LBB369_1212
; %bb.1197:
	v_cmp_ne_u16_e32 vcc_lo, 0x80, v10
	s_mov_b32 s10, 0
	s_and_b32 s1, vcc_lo, exec_lo
	s_or_saveexec_b32 s3, s3
	v_mov_b32_e32 v12, s10
	s_xor_b32 exec_lo, exec_lo, s3
	s_cbranch_execnz .LBB369_1213
.LBB369_1198:
	s_or_b32 exec_lo, exec_lo, s3
	s_and_saveexec_b32 s3, s1
	s_cbranch_execz .LBB369_1200
.LBB369_1199:
	v_and_b32_e32 v11, 0xffff, v10
	v_lshlrev_b32_e32 v10, 24, v10
	s_delay_alu instid0(VALU_DEP_2) | instskip(NEXT) | instid1(VALU_DEP_2)
	v_and_b32_e32 v12, 7, v11
	v_and_b32_e32 v10, 0x80000000, v10
	s_delay_alu instid0(VALU_DEP_2) | instskip(NEXT) | instid1(VALU_DEP_1)
	v_clz_i32_u32_e32 v13, v12
	v_min_u32_e32 v13, 32, v13
	s_delay_alu instid0(VALU_DEP_1) | instskip(SKIP_1) | instid1(VALU_DEP_2)
	v_subrev_nc_u32_e32 v14, 28, v13
	v_sub_nc_u32_e32 v13, 29, v13
	v_lshlrev_b32_e32 v14, v14, v11
	v_bfe_u32 v11, v11, 3, 4
	s_delay_alu instid0(VALU_DEP_2) | instskip(NEXT) | instid1(VALU_DEP_2)
	v_and_b32_e32 v14, 7, v14
	v_cmp_eq_u32_e32 vcc_lo, 0, v11
	s_delay_alu instid0(VALU_DEP_2) | instskip(NEXT) | instid1(VALU_DEP_1)
	v_dual_cndmask_b32 v11, v11, v13 :: v_dual_cndmask_b32 v12, v12, v14
	v_lshl_add_u32 v11, v11, 23, 0x3b800000
	s_delay_alu instid0(VALU_DEP_2) | instskip(NEXT) | instid1(VALU_DEP_1)
	v_lshlrev_b32_e32 v12, 20, v12
	v_or3_b32 v10, v10, v11, v12
	s_delay_alu instid0(VALU_DEP_1)
	v_cvt_i32_f32_e32 v12, v10
.LBB369_1200:
	s_or_b32 exec_lo, exec_lo, s3
.LBB369_1201:
	s_mov_b32 s3, -1
.LBB369_1202:
	s_branch .LBB369_1232
.LBB369_1203:
	v_cmp_lt_i16_e32 vcc_lo, 22, v9
	s_cbranch_vccz .LBB369_1211
; %bb.1204:
	v_cmp_gt_i16_e32 vcc_lo, 24, v9
	s_cbranch_vccnz .LBB369_1214
; %bb.1205:
	v_cmp_lt_i16_e32 vcc_lo, 24, v9
	s_cbranch_vccz .LBB369_1215
; %bb.1206:
	global_load_u8 v10, v[7:8], off
	s_mov_b32 s1, 0
	s_mov_b32 s2, exec_lo
                                        ; implicit-def: $sgpr3
	s_waitcnt vmcnt(0)
	v_cmpx_lt_i16_e32 0x7f, v10
	s_xor_b32 s2, exec_lo, s2
	s_cbranch_execz .LBB369_1226
; %bb.1207:
	v_cmp_ne_u16_e32 vcc_lo, 0x80, v10
	s_mov_b32 s3, 0
	s_and_b32 s1, vcc_lo, exec_lo
	s_or_saveexec_b32 s2, s2
	v_mov_b32_e32 v12, s3
	s_xor_b32 exec_lo, exec_lo, s2
	s_cbranch_execnz .LBB369_1227
.LBB369_1208:
	s_or_b32 exec_lo, exec_lo, s2
	s_and_saveexec_b32 s2, s1
	s_cbranch_execz .LBB369_1210
.LBB369_1209:
	v_and_b32_e32 v11, 0xffff, v10
	v_lshlrev_b32_e32 v10, 24, v10
	s_delay_alu instid0(VALU_DEP_2) | instskip(NEXT) | instid1(VALU_DEP_2)
	v_and_b32_e32 v12, 3, v11
	v_and_b32_e32 v10, 0x80000000, v10
	s_delay_alu instid0(VALU_DEP_2) | instskip(NEXT) | instid1(VALU_DEP_1)
	v_clz_i32_u32_e32 v13, v12
	v_min_u32_e32 v13, 32, v13
	s_delay_alu instid0(VALU_DEP_1) | instskip(SKIP_1) | instid1(VALU_DEP_2)
	v_subrev_nc_u32_e32 v14, 29, v13
	v_sub_nc_u32_e32 v13, 30, v13
	v_lshlrev_b32_e32 v14, v14, v11
	v_bfe_u32 v11, v11, 2, 5
	s_delay_alu instid0(VALU_DEP_2) | instskip(NEXT) | instid1(VALU_DEP_2)
	v_and_b32_e32 v14, 3, v14
	v_cmp_eq_u32_e32 vcc_lo, 0, v11
	s_delay_alu instid0(VALU_DEP_2) | instskip(NEXT) | instid1(VALU_DEP_1)
	v_dual_cndmask_b32 v11, v11, v13 :: v_dual_cndmask_b32 v12, v12, v14
	v_lshl_add_u32 v11, v11, 23, 0x37800000
	s_delay_alu instid0(VALU_DEP_2) | instskip(NEXT) | instid1(VALU_DEP_1)
	v_lshlrev_b32_e32 v12, 21, v12
	v_or3_b32 v10, v10, v11, v12
	s_delay_alu instid0(VALU_DEP_1)
	v_cvt_i32_f32_e32 v12, v10
.LBB369_1210:
	s_or_b32 exec_lo, exec_lo, s2
	s_mov_b32 s1, 0
	s_branch .LBB369_1216
.LBB369_1211:
                                        ; implicit-def: $vgpr12
	s_mov_b32 s2, 0
	s_branch .LBB369_1222
.LBB369_1212:
	s_or_saveexec_b32 s3, s3
	v_mov_b32_e32 v12, s10
	s_xor_b32 exec_lo, exec_lo, s3
	s_cbranch_execz .LBB369_1198
.LBB369_1213:
	v_cmp_ne_u16_e32 vcc_lo, 0, v10
	v_mov_b32_e32 v12, 0
	s_and_not1_b32 s1, s1, exec_lo
	s_and_b32 s10, vcc_lo, exec_lo
	s_delay_alu instid0(SALU_CYCLE_1)
	s_or_b32 s1, s1, s10
	s_or_b32 exec_lo, exec_lo, s3
	s_and_saveexec_b32 s3, s1
	s_cbranch_execnz .LBB369_1199
	s_branch .LBB369_1200
.LBB369_1214:
	s_mov_b32 s1, -1
                                        ; implicit-def: $vgpr12
	s_branch .LBB369_1219
.LBB369_1215:
	s_mov_b32 s1, -1
                                        ; implicit-def: $vgpr12
.LBB369_1216:
	s_delay_alu instid0(SALU_CYCLE_1)
	s_and_b32 vcc_lo, exec_lo, s1
	s_cbranch_vccz .LBB369_1218
; %bb.1217:
	global_load_u8 v10, v[7:8], off
	s_waitcnt vmcnt(0)
	v_lshlrev_b32_e32 v10, 24, v10
	s_delay_alu instid0(VALU_DEP_1) | instskip(NEXT) | instid1(VALU_DEP_1)
	v_and_b32_e32 v11, 0x7f000000, v10
	v_clz_i32_u32_e32 v12, v11
	v_add_nc_u32_e32 v14, 0x1000000, v11
	v_cmp_ne_u32_e32 vcc_lo, 0, v11
	s_delay_alu instid0(VALU_DEP_3) | instskip(NEXT) | instid1(VALU_DEP_1)
	v_min_u32_e32 v12, 32, v12
	v_sub_nc_u32_e64 v12, v12, 4 clamp
	s_delay_alu instid0(VALU_DEP_1) | instskip(SKIP_1) | instid1(VALU_DEP_2)
	v_lshlrev_b32_e32 v13, v12, v11
	v_lshlrev_b32_e32 v12, 23, v12
	v_lshrrev_b32_e32 v13, 4, v13
	s_delay_alu instid0(VALU_DEP_1) | instskip(SKIP_1) | instid1(VALU_DEP_2)
	v_sub_nc_u32_e32 v12, v13, v12
	v_ashrrev_i32_e32 v13, 8, v14
	v_add_nc_u32_e32 v12, 0x3c000000, v12
	s_delay_alu instid0(VALU_DEP_1) | instskip(NEXT) | instid1(VALU_DEP_1)
	v_and_or_b32 v12, 0x7f800000, v13, v12
	v_cndmask_b32_e32 v11, 0, v12, vcc_lo
	s_delay_alu instid0(VALU_DEP_1) | instskip(NEXT) | instid1(VALU_DEP_1)
	v_and_or_b32 v10, 0x80000000, v10, v11
	v_cvt_i32_f32_e32 v12, v10
.LBB369_1218:
	s_mov_b32 s1, 0
.LBB369_1219:
	s_delay_alu instid0(SALU_CYCLE_1)
	s_and_not1_b32 vcc_lo, exec_lo, s1
	s_cbranch_vccnz .LBB369_1221
; %bb.1220:
	global_load_u8 v10, v[7:8], off
	s_waitcnt vmcnt(0)
	v_lshlrev_b32_e32 v11, 25, v10
	v_lshlrev_b16 v10, 8, v10
	s_delay_alu instid0(VALU_DEP_2) | instskip(NEXT) | instid1(VALU_DEP_2)
	v_lshrrev_b32_e32 v12, 4, v11
	v_and_or_b32 v13, 0x7f00, v10, 0.5
	v_bfe_i32 v10, v10, 0, 16
	s_delay_alu instid0(VALU_DEP_3) | instskip(NEXT) | instid1(VALU_DEP_1)
	v_or_b32_e32 v12, 0x70000000, v12
	v_dual_add_f32 v13, -0.5, v13 :: v_dual_mul_f32 v12, 0x7800000, v12
	v_cmp_gt_u32_e32 vcc_lo, 0x8000000, v11
	s_delay_alu instid0(VALU_DEP_2) | instskip(NEXT) | instid1(VALU_DEP_1)
	v_cndmask_b32_e32 v11, v12, v13, vcc_lo
	v_and_or_b32 v10, 0x80000000, v10, v11
	s_delay_alu instid0(VALU_DEP_1)
	v_cvt_i32_f32_e32 v12, v10
.LBB369_1221:
	s_mov_b32 s3, -1
	s_mov_b32 s2, 0
	s_cbranch_execnz .LBB369_1232
.LBB369_1222:
	v_cmp_lt_i16_e32 vcc_lo, 14, v9
	s_cbranch_vccz .LBB369_1225
; %bb.1223:
	v_cmp_eq_u16_e32 vcc_lo, 15, v9
	s_cbranch_vccz .LBB369_1228
; %bb.1224:
	global_load_u16 v10, v[7:8], off
	s_mov_b32 s0, 0
	s_mov_b32 s3, -1
	s_waitcnt vmcnt(0)
	v_lshlrev_b32_e32 v10, 16, v10
	s_delay_alu instid0(VALU_DEP_1)
	v_cvt_i32_f32_e32 v12, v10
	s_branch .LBB369_1229
.LBB369_1225:
	s_mov_b32 s1, -1
                                        ; implicit-def: $vgpr12
	s_branch .LBB369_1230
.LBB369_1226:
	s_or_saveexec_b32 s2, s2
	v_mov_b32_e32 v12, s3
	s_xor_b32 exec_lo, exec_lo, s2
	s_cbranch_execz .LBB369_1208
.LBB369_1227:
	v_cmp_ne_u16_e32 vcc_lo, 0, v10
	v_mov_b32_e32 v12, 0
	s_and_not1_b32 s1, s1, exec_lo
	s_and_b32 s3, vcc_lo, exec_lo
	s_delay_alu instid0(SALU_CYCLE_1)
	s_or_b32 s1, s1, s3
	s_or_b32 exec_lo, exec_lo, s2
	s_and_saveexec_b32 s2, s1
	s_cbranch_execnz .LBB369_1209
	s_branch .LBB369_1210
.LBB369_1228:
	s_mov_b32 s0, -1
                                        ; implicit-def: $vgpr12
.LBB369_1229:
	s_mov_b32 s1, 0
.LBB369_1230:
	s_delay_alu instid0(SALU_CYCLE_1)
	s_and_b32 vcc_lo, exec_lo, s1
	s_cbranch_vccz .LBB369_1232
; %bb.1231:
	v_cmp_ne_u16_e64 s0, 11, v9
	s_mov_b32 s2, -1
                                        ; implicit-def: $vgpr12
.LBB369_1232:
	s_delay_alu instid0(VALU_DEP_1)
	s_and_b32 vcc_lo, exec_lo, s0
	s_mov_b32 s1, s8
	s_cbranch_vccnz .LBB369_1256
; %bb.1233:
	s_and_not1_b32 vcc_lo, exec_lo, s2
	s_cbranch_vccnz .LBB369_1235
.LBB369_1234:
	global_load_u8 v10, v[7:8], off
	s_mov_b32 s3, -1
	s_waitcnt vmcnt(0)
	v_cmp_ne_u16_e32 vcc_lo, 0, v10
	v_cndmask_b32_e64 v12, 0, 1, vcc_lo
.LBB369_1235:
.LBB369_1236:
	s_and_not1_b32 vcc_lo, exec_lo, s3
	s_cbranch_vccnz .LBB369_2016
.LBB369_1237:
	v_cmp_gt_i16_e32 vcc_lo, 11, v9
	s_waitcnt vmcnt(0)
	v_add_co_u32 v6, s0, s6, v6
	s_delay_alu instid0(VALU_DEP_1)
	v_add_co_ci_u32_e64 v7, null, s7, 0, s0
	s_mov_b32 s3, 0
	s_cbranch_vccnz .LBB369_1244
; %bb.1238:
	v_cmp_lt_i16_e32 vcc_lo, 25, v9
	s_mov_b32 s2, 0
	s_cbranch_vccz .LBB369_1250
; %bb.1239:
	v_cmp_lt_i16_e32 vcc_lo, 28, v9
	s_cbranch_vccz .LBB369_1252
; %bb.1240:
	v_cmp_lt_i16_e32 vcc_lo, 43, v9
	;; [unrolled: 3-line block ×3, first 2 shown]
	s_cbranch_vccz .LBB369_1260
; %bb.1242:
	v_cmp_eq_u16_e32 vcc_lo, 46, v9
	s_mov_b32 s10, 0
	s_cbranch_vccz .LBB369_1304
; %bb.1243:
	global_load_b32 v8, v[6:7], off
	s_mov_b32 s0, 0
	s_mov_b32 s3, -1
	s_waitcnt vmcnt(0)
	v_lshlrev_b32_e32 v8, 16, v8
	s_delay_alu instid0(VALU_DEP_1)
	v_cvt_i32_f32_e32 v11, v8
	s_branch .LBB369_1306
.LBB369_1244:
                                        ; implicit-def: $vgpr11
	s_cbranch_execz .LBB369_1367
; %bb.1245:
	v_cmp_gt_i16_e32 vcc_lo, 5, v9
	s_cbranch_vccnz .LBB369_1251
; %bb.1246:
	v_cmp_gt_i16_e32 vcc_lo, 8, v9
	s_cbranch_vccnz .LBB369_1253
	;; [unrolled: 3-line block ×3, first 2 shown]
; %bb.1248:
	v_cmp_lt_i16_e32 vcc_lo, 9, v9
	s_cbranch_vccz .LBB369_1261
; %bb.1249:
	global_load_b64 v[10:11], v[6:7], off
	s_mov_b32 s0, 0
	s_waitcnt vmcnt(0)
	v_cvt_i32_f64_e32 v11, v[10:11]
	s_branch .LBB369_1262
.LBB369_1250:
	s_mov_b32 s0, 0
                                        ; implicit-def: $vgpr11
	s_cbranch_execnz .LBB369_1333
	s_branch .LBB369_1363
.LBB369_1251:
                                        ; implicit-def: $vgpr11
	s_branch .LBB369_1280
.LBB369_1252:
	s_mov_b32 s10, -1
	s_mov_b32 s0, 0
                                        ; implicit-def: $vgpr11
	s_branch .LBB369_1316
.LBB369_1253:
	s_mov_b32 s0, -1
                                        ; implicit-def: $vgpr11
	s_branch .LBB369_1268
.LBB369_1254:
	s_mov_b32 s10, -1
	s_mov_b32 s0, 0
                                        ; implicit-def: $vgpr11
	s_branch .LBB369_1311
.LBB369_1255:
	s_mov_b32 s0, -1
                                        ; implicit-def: $vgpr11
	s_branch .LBB369_1265
.LBB369_1256:
	s_cbranch_execnz .LBB369_1300
; %bb.1257:
	s_or_b32 s1, s8, exec_lo
                                        ; implicit-def: $vgpr12
	s_cbranch_execz .LBB369_1234
	s_branch .LBB369_1235
.LBB369_1258:
	s_or_saveexec_b32 s7, s7
                                        ; implicit-def: $sgpr8
	s_delay_alu instid0(SALU_CYCLE_1)
	s_xor_b32 exec_lo, exec_lo, s7
	s_cbranch_execz .LBB369_971
.LBB369_1259:
	v_add_f32_e64 v2, 0x46000000, |v0|
	s_and_not1_b32 s5, s5, exec_lo
	s_mov_b32 s8, 0
	s_delay_alu instid0(VALU_DEP_1) | instskip(NEXT) | instid1(VALU_DEP_1)
	v_and_b32_e32 v2, 0xff, v2
	v_cmp_ne_u32_e32 vcc_lo, 0, v2
	s_and_b32 s9, vcc_lo, exec_lo
	s_delay_alu instid0(SALU_CYCLE_1)
	s_or_b32 s5, s5, s9
	s_or_b32 exec_lo, exec_lo, s7
	v_mov_b32_e32 v6, s8
	s_and_saveexec_b32 s7, s5
	s_cbranch_execnz .LBB369_972
	s_branch .LBB369_973
.LBB369_1260:
	s_mov_b32 s10, -1
	s_mov_b32 s0, 0
	s_branch .LBB369_1305
.LBB369_1261:
	s_mov_b32 s0, -1
                                        ; implicit-def: $vgpr11
.LBB369_1262:
	s_delay_alu instid0(SALU_CYCLE_1)
	s_and_not1_b32 vcc_lo, exec_lo, s0
	s_cbranch_vccnz .LBB369_1264
; %bb.1263:
	global_load_b32 v8, v[6:7], off
	s_waitcnt vmcnt(0)
	v_cvt_i32_f32_e32 v11, v8
.LBB369_1264:
	s_mov_b32 s0, 0
.LBB369_1265:
	s_delay_alu instid0(SALU_CYCLE_1)
	s_and_not1_b32 vcc_lo, exec_lo, s0
	s_cbranch_vccnz .LBB369_1267
; %bb.1266:
	global_load_b32 v8, v[6:7], off
	s_waitcnt vmcnt(0)
	v_cvt_f32_f16_e32 v8, v8
	s_delay_alu instid0(VALU_DEP_1)
	v_cvt_i32_f32_e32 v11, v8
.LBB369_1267:
	s_mov_b32 s0, 0
.LBB369_1268:
	s_delay_alu instid0(SALU_CYCLE_1)
	s_and_not1_b32 vcc_lo, exec_lo, s0
	s_cbranch_vccnz .LBB369_1279
; %bb.1269:
	v_cmp_gt_i16_e32 vcc_lo, 6, v9
	s_cbranch_vccnz .LBB369_1272
; %bb.1270:
	v_cmp_lt_i16_e32 vcc_lo, 6, v9
	s_cbranch_vccz .LBB369_1273
; %bb.1271:
	global_load_b64 v[10:11], v[6:7], off
	s_mov_b32 s0, 0
	s_waitcnt vmcnt(0)
	v_cvt_i32_f64_e32 v11, v[10:11]
	s_branch .LBB369_1274
.LBB369_1272:
	s_mov_b32 s0, -1
                                        ; implicit-def: $vgpr11
	s_branch .LBB369_1277
.LBB369_1273:
	s_mov_b32 s0, -1
                                        ; implicit-def: $vgpr11
.LBB369_1274:
	s_delay_alu instid0(SALU_CYCLE_1)
	s_and_not1_b32 vcc_lo, exec_lo, s0
	s_cbranch_vccnz .LBB369_1276
; %bb.1275:
	global_load_b32 v8, v[6:7], off
	s_waitcnt vmcnt(0)
	v_cvt_i32_f32_e32 v11, v8
.LBB369_1276:
	s_mov_b32 s0, 0
.LBB369_1277:
	s_delay_alu instid0(SALU_CYCLE_1)
	s_and_not1_b32 vcc_lo, exec_lo, s0
	s_cbranch_vccnz .LBB369_1279
; %bb.1278:
	global_load_u16 v8, v[6:7], off
	s_waitcnt vmcnt(0)
	v_cvt_f32_f16_e32 v8, v8
	s_delay_alu instid0(VALU_DEP_1)
	v_cvt_i32_f32_e32 v11, v8
.LBB369_1279:
	s_cbranch_execnz .LBB369_1299
.LBB369_1280:
	v_cmp_gt_i16_e32 vcc_lo, 2, v9
	s_cbranch_vccnz .LBB369_1284
; %bb.1281:
	v_cmp_gt_i16_e32 vcc_lo, 3, v9
	s_cbranch_vccnz .LBB369_1285
; %bb.1282:
	v_cmp_lt_i16_e32 vcc_lo, 3, v9
	s_cbranch_vccz .LBB369_1286
; %bb.1283:
	global_load_b32 v11, v[6:7], off
	s_mov_b32 s0, 0
	s_branch .LBB369_1287
.LBB369_1284:
	s_mov_b32 s0, -1
                                        ; implicit-def: $vgpr11
	s_branch .LBB369_1293
.LBB369_1285:
	s_mov_b32 s0, -1
                                        ; implicit-def: $vgpr11
	s_branch .LBB369_1290
.LBB369_1286:
	s_mov_b32 s0, -1
                                        ; implicit-def: $vgpr11
.LBB369_1287:
	s_delay_alu instid0(SALU_CYCLE_1)
	s_and_not1_b32 vcc_lo, exec_lo, s0
	s_cbranch_vccnz .LBB369_1289
; %bb.1288:
	global_load_b32 v11, v[6:7], off
.LBB369_1289:
	s_mov_b32 s0, 0
.LBB369_1290:
	s_delay_alu instid0(SALU_CYCLE_1)
	s_and_not1_b32 vcc_lo, exec_lo, s0
	s_cbranch_vccnz .LBB369_1292
; %bb.1291:
	global_load_i16 v11, v[6:7], off
.LBB369_1292:
	s_mov_b32 s0, 0
.LBB369_1293:
	s_delay_alu instid0(SALU_CYCLE_1)
	s_and_not1_b32 vcc_lo, exec_lo, s0
	s_cbranch_vccnz .LBB369_1299
; %bb.1294:
	v_cmp_lt_i16_e32 vcc_lo, 0, v9
	s_mov_b32 s0, 0
	s_cbranch_vccz .LBB369_1296
; %bb.1295:
	global_load_i8 v11, v[6:7], off
	s_branch .LBB369_1297
.LBB369_1296:
	s_mov_b32 s0, -1
                                        ; implicit-def: $vgpr11
.LBB369_1297:
	s_delay_alu instid0(SALU_CYCLE_1)
	s_and_not1_b32 vcc_lo, exec_lo, s0
	s_cbranch_vccnz .LBB369_1299
; %bb.1298:
	global_load_u8 v11, v[6:7], off
.LBB369_1299:
	s_branch .LBB369_1368
.LBB369_1300:
	s_trap 2
	s_sendmsg_rtn_b32 s0, sendmsg(MSG_RTN_GET_DOORBELL)
	s_mov_b32 ttmp2, m0
	s_waitcnt lgkmcnt(0)
	s_and_b32 s0, s0, 0x3ff
	s_delay_alu instid0(SALU_CYCLE_1) | instskip(NEXT) | instid1(SALU_CYCLE_1)
	s_bitset1_b32 s0, 10
	s_mov_b32 m0, s0
	s_sendmsg sendmsg(MSG_INTERRUPT)
	s_mov_b32 m0, ttmp2
.LBB369_1301:                           ; =>This Inner Loop Header: Depth=1
	s_sethalt 5
	s_branch .LBB369_1301
.LBB369_1302:
	s_or_saveexec_b32 s8, s8
                                        ; implicit-def: $sgpr9
	s_delay_alu instid0(SALU_CYCLE_1)
	s_xor_b32 exec_lo, exec_lo, s8
	s_cbranch_execz .LBB369_983
.LBB369_1303:
	v_add_f32_e64 v2, 0x42800000, |v0|
	s_and_not1_b32 s7, s7, exec_lo
	s_mov_b32 s9, 0
	s_delay_alu instid0(VALU_DEP_1) | instskip(NEXT) | instid1(VALU_DEP_1)
	v_and_b32_e32 v2, 0xff, v2
	v_cmp_ne_u32_e32 vcc_lo, 0, v2
	s_and_b32 s10, vcc_lo, exec_lo
	s_delay_alu instid0(SALU_CYCLE_1)
	s_or_b32 s7, s7, s10
	s_or_b32 exec_lo, exec_lo, s8
	v_mov_b32_e32 v6, s9
	s_and_saveexec_b32 s8, s7
	s_cbranch_execnz .LBB369_984
	s_branch .LBB369_985
.LBB369_1304:
	s_mov_b32 s0, -1
.LBB369_1305:
                                        ; implicit-def: $vgpr11
.LBB369_1306:
	s_and_b32 vcc_lo, exec_lo, s10
	s_cbranch_vccz .LBB369_1310
; %bb.1307:
	v_cmp_eq_u16_e32 vcc_lo, 44, v9
	s_cbranch_vccz .LBB369_1309
; %bb.1308:
	global_load_u8 v8, v[6:7], off
	s_mov_b32 s0, 0
	s_mov_b32 s3, -1
	s_waitcnt vmcnt(0)
	v_lshlrev_b32_e32 v10, 23, v8
	v_cmp_ne_u32_e32 vcc_lo, 0, v8
	s_delay_alu instid0(VALU_DEP_2) | instskip(NEXT) | instid1(VALU_DEP_1)
	v_cvt_i32_f32_e32 v10, v10
	v_cndmask_b32_e32 v11, 0, v10, vcc_lo
	s_branch .LBB369_1310
.LBB369_1309:
	s_mov_b32 s0, -1
                                        ; implicit-def: $vgpr11
.LBB369_1310:
	s_mov_b32 s10, 0
.LBB369_1311:
	s_delay_alu instid0(SALU_CYCLE_1)
	s_and_b32 vcc_lo, exec_lo, s10
	s_cbranch_vccz .LBB369_1315
; %bb.1312:
	v_cmp_eq_u16_e32 vcc_lo, 29, v9
	s_cbranch_vccz .LBB369_1314
; %bb.1313:
	global_load_b32 v11, v[6:7], off
	s_mov_b32 s0, 0
	s_mov_b32 s3, -1
	s_branch .LBB369_1315
.LBB369_1314:
	s_mov_b32 s0, -1
                                        ; implicit-def: $vgpr11
.LBB369_1315:
	s_mov_b32 s10, 0
.LBB369_1316:
	s_delay_alu instid0(SALU_CYCLE_1)
	s_and_b32 vcc_lo, exec_lo, s10
	s_cbranch_vccz .LBB369_1332
; %bb.1317:
	v_cmp_gt_i16_e32 vcc_lo, 27, v9
	s_cbranch_vccnz .LBB369_1320
; %bb.1318:
	v_cmp_lt_i16_e32 vcc_lo, 27, v9
	s_cbranch_vccz .LBB369_1321
; %bb.1319:
	global_load_b32 v11, v[6:7], off
	s_mov_b32 s3, 0
	s_branch .LBB369_1322
.LBB369_1320:
	s_mov_b32 s3, -1
                                        ; implicit-def: $vgpr11
	s_branch .LBB369_1325
.LBB369_1321:
	s_mov_b32 s3, -1
                                        ; implicit-def: $vgpr11
.LBB369_1322:
	s_delay_alu instid0(SALU_CYCLE_1)
	s_and_not1_b32 vcc_lo, exec_lo, s3
	s_cbranch_vccnz .LBB369_1324
; %bb.1323:
	global_load_u16 v11, v[6:7], off
.LBB369_1324:
	s_mov_b32 s3, 0
.LBB369_1325:
	s_delay_alu instid0(SALU_CYCLE_1)
	s_and_not1_b32 vcc_lo, exec_lo, s3
	s_cbranch_vccnz .LBB369_1331
; %bb.1326:
	global_load_u8 v8, v[6:7], off
	s_mov_b32 s3, 0
	s_mov_b32 s10, exec_lo
                                        ; implicit-def: $sgpr11
	s_waitcnt vmcnt(0)
	v_cmpx_lt_i16_e32 0x7f, v8
	s_xor_b32 s10, exec_lo, s10
	s_cbranch_execz .LBB369_1342
; %bb.1327:
	v_cmp_ne_u16_e32 vcc_lo, 0x80, v8
	s_mov_b32 s11, 0
	s_and_b32 s3, vcc_lo, exec_lo
	s_or_saveexec_b32 s10, s10
	v_mov_b32_e32 v11, s11
	s_xor_b32 exec_lo, exec_lo, s10
	s_cbranch_execnz .LBB369_1343
.LBB369_1328:
	s_or_b32 exec_lo, exec_lo, s10
	s_and_saveexec_b32 s10, s3
	s_cbranch_execz .LBB369_1330
.LBB369_1329:
	v_and_b32_e32 v10, 0xffff, v8
	v_lshlrev_b32_e32 v8, 24, v8
	s_delay_alu instid0(VALU_DEP_2) | instskip(NEXT) | instid1(VALU_DEP_2)
	v_and_b32_e32 v11, 7, v10
	v_and_b32_e32 v8, 0x80000000, v8
	s_delay_alu instid0(VALU_DEP_2) | instskip(NEXT) | instid1(VALU_DEP_1)
	v_clz_i32_u32_e32 v13, v11
	v_min_u32_e32 v13, 32, v13
	s_delay_alu instid0(VALU_DEP_1) | instskip(SKIP_1) | instid1(VALU_DEP_2)
	v_subrev_nc_u32_e32 v14, 28, v13
	v_sub_nc_u32_e32 v13, 29, v13
	v_lshlrev_b32_e32 v14, v14, v10
	v_bfe_u32 v10, v10, 3, 4
	s_delay_alu instid0(VALU_DEP_2) | instskip(NEXT) | instid1(VALU_DEP_2)
	v_and_b32_e32 v14, 7, v14
	v_cmp_eq_u32_e32 vcc_lo, 0, v10
	s_delay_alu instid0(VALU_DEP_2) | instskip(NEXT) | instid1(VALU_DEP_1)
	v_dual_cndmask_b32 v10, v10, v13 :: v_dual_cndmask_b32 v11, v11, v14
	v_lshl_add_u32 v10, v10, 23, 0x3b800000
	s_delay_alu instid0(VALU_DEP_2) | instskip(NEXT) | instid1(VALU_DEP_1)
	v_lshlrev_b32_e32 v11, 20, v11
	v_or3_b32 v8, v8, v10, v11
	s_delay_alu instid0(VALU_DEP_1)
	v_cvt_i32_f32_e32 v11, v8
.LBB369_1330:
	s_or_b32 exec_lo, exec_lo, s10
.LBB369_1331:
	s_mov_b32 s3, -1
.LBB369_1332:
	s_branch .LBB369_1363
.LBB369_1333:
	v_cmp_lt_i16_e32 vcc_lo, 22, v9
	s_cbranch_vccz .LBB369_1341
; %bb.1334:
	v_cmp_gt_i16_e32 vcc_lo, 24, v9
	s_cbranch_vccnz .LBB369_1344
; %bb.1335:
	v_cmp_lt_i16_e32 vcc_lo, 24, v9
	s_cbranch_vccz .LBB369_1345
; %bb.1336:
	global_load_u8 v8, v[6:7], off
	s_mov_b32 s3, exec_lo
                                        ; implicit-def: $sgpr10
	s_waitcnt vmcnt(0)
	v_cmpx_lt_i16_e32 0x7f, v8
	s_xor_b32 s3, exec_lo, s3
	s_cbranch_execz .LBB369_1357
; %bb.1337:
	v_cmp_ne_u16_e32 vcc_lo, 0x80, v8
	s_mov_b32 s10, 0
	s_and_b32 s2, vcc_lo, exec_lo
	s_or_saveexec_b32 s3, s3
	v_mov_b32_e32 v11, s10
	s_xor_b32 exec_lo, exec_lo, s3
	s_cbranch_execnz .LBB369_1358
.LBB369_1338:
	s_or_b32 exec_lo, exec_lo, s3
	s_and_saveexec_b32 s3, s2
	s_cbranch_execz .LBB369_1340
.LBB369_1339:
	v_and_b32_e32 v10, 0xffff, v8
	v_lshlrev_b32_e32 v8, 24, v8
	s_delay_alu instid0(VALU_DEP_2) | instskip(NEXT) | instid1(VALU_DEP_2)
	v_and_b32_e32 v11, 3, v10
	v_and_b32_e32 v8, 0x80000000, v8
	s_delay_alu instid0(VALU_DEP_2) | instskip(NEXT) | instid1(VALU_DEP_1)
	v_clz_i32_u32_e32 v13, v11
	v_min_u32_e32 v13, 32, v13
	s_delay_alu instid0(VALU_DEP_1) | instskip(SKIP_1) | instid1(VALU_DEP_2)
	v_subrev_nc_u32_e32 v14, 29, v13
	v_sub_nc_u32_e32 v13, 30, v13
	v_lshlrev_b32_e32 v14, v14, v10
	v_bfe_u32 v10, v10, 2, 5
	s_delay_alu instid0(VALU_DEP_2) | instskip(NEXT) | instid1(VALU_DEP_2)
	v_and_b32_e32 v14, 3, v14
	v_cmp_eq_u32_e32 vcc_lo, 0, v10
	s_delay_alu instid0(VALU_DEP_2) | instskip(NEXT) | instid1(VALU_DEP_1)
	v_dual_cndmask_b32 v10, v10, v13 :: v_dual_cndmask_b32 v11, v11, v14
	v_lshl_add_u32 v10, v10, 23, 0x37800000
	s_delay_alu instid0(VALU_DEP_2) | instskip(NEXT) | instid1(VALU_DEP_1)
	v_lshlrev_b32_e32 v11, 21, v11
	v_or3_b32 v8, v8, v10, v11
	s_delay_alu instid0(VALU_DEP_1)
	v_cvt_i32_f32_e32 v11, v8
.LBB369_1340:
	s_or_b32 exec_lo, exec_lo, s3
	s_mov_b32 s2, 0
	s_branch .LBB369_1346
.LBB369_1341:
	s_mov_b32 s2, -1
                                        ; implicit-def: $vgpr11
	s_branch .LBB369_1352
.LBB369_1342:
	s_or_saveexec_b32 s10, s10
	v_mov_b32_e32 v11, s11
	s_xor_b32 exec_lo, exec_lo, s10
	s_cbranch_execz .LBB369_1328
.LBB369_1343:
	v_cmp_ne_u16_e32 vcc_lo, 0, v8
	v_mov_b32_e32 v11, 0
	s_and_not1_b32 s3, s3, exec_lo
	s_and_b32 s11, vcc_lo, exec_lo
	s_delay_alu instid0(SALU_CYCLE_1)
	s_or_b32 s3, s3, s11
	s_or_b32 exec_lo, exec_lo, s10
	s_and_saveexec_b32 s10, s3
	s_cbranch_execnz .LBB369_1329
	s_branch .LBB369_1330
.LBB369_1344:
	s_mov_b32 s2, -1
                                        ; implicit-def: $vgpr11
	s_branch .LBB369_1349
.LBB369_1345:
	s_mov_b32 s2, -1
                                        ; implicit-def: $vgpr11
.LBB369_1346:
	s_delay_alu instid0(SALU_CYCLE_1)
	s_and_b32 vcc_lo, exec_lo, s2
	s_cbranch_vccz .LBB369_1348
; %bb.1347:
	global_load_u8 v8, v[6:7], off
	s_waitcnt vmcnt(0)
	v_lshlrev_b32_e32 v8, 24, v8
	s_delay_alu instid0(VALU_DEP_1) | instskip(NEXT) | instid1(VALU_DEP_1)
	v_and_b32_e32 v10, 0x7f000000, v8
	v_clz_i32_u32_e32 v11, v10
	v_cmp_ne_u32_e32 vcc_lo, 0, v10
	v_add_nc_u32_e32 v14, 0x1000000, v10
	s_delay_alu instid0(VALU_DEP_3) | instskip(NEXT) | instid1(VALU_DEP_1)
	v_min_u32_e32 v11, 32, v11
	v_sub_nc_u32_e64 v11, v11, 4 clamp
	s_delay_alu instid0(VALU_DEP_1) | instskip(SKIP_1) | instid1(VALU_DEP_2)
	v_lshlrev_b32_e32 v13, v11, v10
	v_lshlrev_b32_e32 v11, 23, v11
	v_lshrrev_b32_e32 v13, 4, v13
	s_delay_alu instid0(VALU_DEP_1) | instskip(SKIP_1) | instid1(VALU_DEP_2)
	v_sub_nc_u32_e32 v11, v13, v11
	v_ashrrev_i32_e32 v13, 8, v14
	v_add_nc_u32_e32 v11, 0x3c000000, v11
	s_delay_alu instid0(VALU_DEP_1) | instskip(NEXT) | instid1(VALU_DEP_1)
	v_and_or_b32 v11, 0x7f800000, v13, v11
	v_cndmask_b32_e32 v10, 0, v11, vcc_lo
	s_delay_alu instid0(VALU_DEP_1) | instskip(NEXT) | instid1(VALU_DEP_1)
	v_and_or_b32 v8, 0x80000000, v8, v10
	v_cvt_i32_f32_e32 v11, v8
.LBB369_1348:
	s_mov_b32 s2, 0
.LBB369_1349:
	s_delay_alu instid0(SALU_CYCLE_1)
	s_and_not1_b32 vcc_lo, exec_lo, s2
	s_cbranch_vccnz .LBB369_1351
; %bb.1350:
	global_load_u8 v8, v[6:7], off
	s_waitcnt vmcnt(0)
	v_lshlrev_b32_e32 v10, 25, v8
	v_lshlrev_b16 v8, 8, v8
	s_delay_alu instid0(VALU_DEP_1) | instskip(SKIP_1) | instid1(VALU_DEP_2)
	v_and_or_b32 v13, 0x7f00, v8, 0.5
	v_bfe_i32 v8, v8, 0, 16
	v_add_f32_e32 v13, -0.5, v13
	v_lshrrev_b32_e32 v11, 4, v10
	v_cmp_gt_u32_e32 vcc_lo, 0x8000000, v10
	s_delay_alu instid0(VALU_DEP_2) | instskip(NEXT) | instid1(VALU_DEP_1)
	v_or_b32_e32 v11, 0x70000000, v11
	v_mul_f32_e32 v11, 0x7800000, v11
	s_delay_alu instid0(VALU_DEP_1) | instskip(NEXT) | instid1(VALU_DEP_1)
	v_cndmask_b32_e32 v10, v11, v13, vcc_lo
	v_and_or_b32 v8, 0x80000000, v8, v10
	s_delay_alu instid0(VALU_DEP_1)
	v_cvt_i32_f32_e32 v11, v8
.LBB369_1351:
	s_mov_b32 s2, 0
	s_mov_b32 s3, -1
.LBB369_1352:
	s_and_not1_b32 vcc_lo, exec_lo, s2
	s_mov_b32 s2, 0
	s_cbranch_vccnz .LBB369_1363
; %bb.1353:
	v_cmp_lt_i16_e32 vcc_lo, 14, v9
	s_cbranch_vccz .LBB369_1356
; %bb.1354:
	v_cmp_eq_u16_e32 vcc_lo, 15, v9
	s_cbranch_vccz .LBB369_1359
; %bb.1355:
	global_load_u16 v8, v[6:7], off
	s_mov_b32 s0, 0
	s_mov_b32 s3, -1
	s_waitcnt vmcnt(0)
	v_lshlrev_b32_e32 v8, 16, v8
	s_delay_alu instid0(VALU_DEP_1)
	v_cvt_i32_f32_e32 v11, v8
	s_branch .LBB369_1361
.LBB369_1356:
	s_mov_b32 s2, -1
	s_branch .LBB369_1360
.LBB369_1357:
	s_or_saveexec_b32 s3, s3
	v_mov_b32_e32 v11, s10
	s_xor_b32 exec_lo, exec_lo, s3
	s_cbranch_execz .LBB369_1338
.LBB369_1358:
	v_cmp_ne_u16_e32 vcc_lo, 0, v8
	v_mov_b32_e32 v11, 0
	s_and_not1_b32 s2, s2, exec_lo
	s_and_b32 s10, vcc_lo, exec_lo
	s_delay_alu instid0(SALU_CYCLE_1)
	s_or_b32 s2, s2, s10
	s_or_b32 exec_lo, exec_lo, s3
	s_and_saveexec_b32 s3, s2
	s_cbranch_execnz .LBB369_1339
	s_branch .LBB369_1340
.LBB369_1359:
	s_mov_b32 s0, -1
.LBB369_1360:
                                        ; implicit-def: $vgpr11
.LBB369_1361:
	s_and_b32 vcc_lo, exec_lo, s2
	s_mov_b32 s2, 0
	s_cbranch_vccz .LBB369_1363
; %bb.1362:
	v_cmp_ne_u16_e64 s0, 11, v9
	s_mov_b32 s2, -1
                                        ; implicit-def: $vgpr11
.LBB369_1363:
	s_delay_alu instid0(VALU_DEP_1)
	s_and_b32 vcc_lo, exec_lo, s0
	s_cbranch_vccnz .LBB369_1387
; %bb.1364:
	s_and_not1_b32 vcc_lo, exec_lo, s2
	s_cbranch_vccnz .LBB369_1366
.LBB369_1365:
	global_load_u8 v8, v[6:7], off
	s_mov_b32 s3, -1
	s_waitcnt vmcnt(0)
	v_cmp_ne_u16_e32 vcc_lo, 0, v8
	v_cndmask_b32_e64 v11, 0, 1, vcc_lo
.LBB369_1366:
.LBB369_1367:
	s_and_not1_b32 vcc_lo, exec_lo, s3
	s_cbranch_vccnz .LBB369_2016
.LBB369_1368:
	v_cmp_gt_i16_e32 vcc_lo, 11, v9
	v_add_co_u32 v5, s0, s6, v5
	s_delay_alu instid0(VALU_DEP_1)
	v_add_co_ci_u32_e64 v6, null, s7, 0, s0
	s_mov_b32 s3, 0
	s_cbranch_vccnz .LBB369_1375
; %bb.1369:
	v_cmp_lt_i16_e32 vcc_lo, 25, v9
	s_mov_b32 s2, 0
	s_cbranch_vccz .LBB369_1381
; %bb.1370:
	v_cmp_lt_i16_e32 vcc_lo, 28, v9
	s_cbranch_vccz .LBB369_1383
; %bb.1371:
	v_cmp_lt_i16_e32 vcc_lo, 43, v9
	;; [unrolled: 3-line block ×3, first 2 shown]
	s_cbranch_vccz .LBB369_1389
; %bb.1373:
	v_cmp_eq_u16_e32 vcc_lo, 46, v9
	s_mov_b32 s10, 0
	s_cbranch_vccz .LBB369_1432
; %bb.1374:
	global_load_b32 v7, v[5:6], off
	s_mov_b32 s0, 0
	s_mov_b32 s3, -1
	s_waitcnt vmcnt(0)
	v_lshlrev_b32_e32 v7, 16, v7
	s_delay_alu instid0(VALU_DEP_1)
	v_cvt_i32_f32_e32 v10, v7
	s_branch .LBB369_1434
.LBB369_1375:
                                        ; implicit-def: $vgpr10
	s_cbranch_execz .LBB369_1496
; %bb.1376:
	v_cmp_gt_i16_e32 vcc_lo, 5, v9
	s_cbranch_vccnz .LBB369_1382
; %bb.1377:
	v_cmp_gt_i16_e32 vcc_lo, 8, v9
	s_cbranch_vccnz .LBB369_1384
	;; [unrolled: 3-line block ×3, first 2 shown]
; %bb.1379:
	v_cmp_lt_i16_e32 vcc_lo, 9, v9
	s_cbranch_vccz .LBB369_1390
; %bb.1380:
	global_load_b64 v[7:8], v[5:6], off
	s_mov_b32 s0, 0
	s_waitcnt vmcnt(0)
	v_cvt_i32_f64_e32 v10, v[7:8]
	s_branch .LBB369_1391
.LBB369_1381:
	s_mov_b32 s10, -1
	s_mov_b32 s0, 0
                                        ; implicit-def: $vgpr10
	s_branch .LBB369_1461
.LBB369_1382:
	s_mov_b32 s0, -1
                                        ; implicit-def: $vgpr10
	s_branch .LBB369_1409
.LBB369_1383:
	s_mov_b32 s10, -1
	s_mov_b32 s0, 0
                                        ; implicit-def: $vgpr10
	s_branch .LBB369_1444
.LBB369_1384:
	s_mov_b32 s0, -1
                                        ; implicit-def: $vgpr10
	s_branch .LBB369_1397
.LBB369_1385:
	s_mov_b32 s10, -1
	s_mov_b32 s0, 0
                                        ; implicit-def: $vgpr10
	s_branch .LBB369_1439
.LBB369_1386:
	s_mov_b32 s0, -1
                                        ; implicit-def: $vgpr10
	s_branch .LBB369_1394
.LBB369_1387:
	s_cbranch_execnz .LBB369_1430
; %bb.1388:
	s_or_b32 s1, s1, exec_lo
                                        ; implicit-def: $vgpr11
	s_cbranch_execz .LBB369_1365
	s_branch .LBB369_1366
.LBB369_1389:
	s_mov_b32 s10, -1
	s_mov_b32 s0, 0
	s_branch .LBB369_1433
.LBB369_1390:
	s_mov_b32 s0, -1
                                        ; implicit-def: $vgpr10
.LBB369_1391:
	s_delay_alu instid0(SALU_CYCLE_1)
	s_and_not1_b32 vcc_lo, exec_lo, s0
	s_cbranch_vccnz .LBB369_1393
; %bb.1392:
	global_load_b32 v7, v[5:6], off
	s_waitcnt vmcnt(0)
	v_cvt_i32_f32_e32 v10, v7
.LBB369_1393:
	s_mov_b32 s0, 0
.LBB369_1394:
	s_delay_alu instid0(SALU_CYCLE_1)
	s_and_not1_b32 vcc_lo, exec_lo, s0
	s_cbranch_vccnz .LBB369_1396
; %bb.1395:
	global_load_b32 v7, v[5:6], off
	s_waitcnt vmcnt(0)
	v_cvt_f32_f16_e32 v7, v7
	s_delay_alu instid0(VALU_DEP_1)
	v_cvt_i32_f32_e32 v10, v7
.LBB369_1396:
	s_mov_b32 s0, 0
.LBB369_1397:
	s_delay_alu instid0(SALU_CYCLE_1)
	s_and_not1_b32 vcc_lo, exec_lo, s0
	s_cbranch_vccnz .LBB369_1408
; %bb.1398:
	v_cmp_gt_i16_e32 vcc_lo, 6, v9
	s_cbranch_vccnz .LBB369_1401
; %bb.1399:
	v_cmp_lt_i16_e32 vcc_lo, 6, v9
	s_cbranch_vccz .LBB369_1402
; %bb.1400:
	global_load_b64 v[7:8], v[5:6], off
	s_mov_b32 s0, 0
	s_waitcnt vmcnt(0)
	v_cvt_i32_f64_e32 v10, v[7:8]
	s_branch .LBB369_1403
.LBB369_1401:
	s_mov_b32 s0, -1
                                        ; implicit-def: $vgpr10
	s_branch .LBB369_1406
.LBB369_1402:
	s_mov_b32 s0, -1
                                        ; implicit-def: $vgpr10
.LBB369_1403:
	s_delay_alu instid0(SALU_CYCLE_1)
	s_and_not1_b32 vcc_lo, exec_lo, s0
	s_cbranch_vccnz .LBB369_1405
; %bb.1404:
	global_load_b32 v7, v[5:6], off
	s_waitcnt vmcnt(0)
	v_cvt_i32_f32_e32 v10, v7
.LBB369_1405:
	s_mov_b32 s0, 0
.LBB369_1406:
	s_delay_alu instid0(SALU_CYCLE_1)
	s_and_not1_b32 vcc_lo, exec_lo, s0
	s_cbranch_vccnz .LBB369_1408
; %bb.1407:
	global_load_u16 v7, v[5:6], off
	s_waitcnt vmcnt(0)
	v_cvt_f32_f16_e32 v7, v7
	s_delay_alu instid0(VALU_DEP_1)
	v_cvt_i32_f32_e32 v10, v7
.LBB369_1408:
	s_mov_b32 s0, 0
.LBB369_1409:
	s_delay_alu instid0(SALU_CYCLE_1)
	s_and_not1_b32 vcc_lo, exec_lo, s0
	s_cbranch_vccnz .LBB369_1429
; %bb.1410:
	v_cmp_gt_i16_e32 vcc_lo, 2, v9
	s_cbranch_vccnz .LBB369_1414
; %bb.1411:
	v_cmp_gt_i16_e32 vcc_lo, 3, v9
	s_cbranch_vccnz .LBB369_1415
; %bb.1412:
	v_cmp_lt_i16_e32 vcc_lo, 3, v9
	s_cbranch_vccz .LBB369_1416
; %bb.1413:
	global_load_b32 v10, v[5:6], off
	s_mov_b32 s0, 0
	s_branch .LBB369_1417
.LBB369_1414:
	s_mov_b32 s0, -1
                                        ; implicit-def: $vgpr10
	s_branch .LBB369_1423
.LBB369_1415:
	s_mov_b32 s0, -1
                                        ; implicit-def: $vgpr10
	s_branch .LBB369_1420
.LBB369_1416:
	s_mov_b32 s0, -1
                                        ; implicit-def: $vgpr10
.LBB369_1417:
	s_delay_alu instid0(SALU_CYCLE_1)
	s_and_not1_b32 vcc_lo, exec_lo, s0
	s_cbranch_vccnz .LBB369_1419
; %bb.1418:
	global_load_b32 v10, v[5:6], off
.LBB369_1419:
	s_mov_b32 s0, 0
.LBB369_1420:
	s_delay_alu instid0(SALU_CYCLE_1)
	s_and_not1_b32 vcc_lo, exec_lo, s0
	s_cbranch_vccnz .LBB369_1422
; %bb.1421:
	global_load_i16 v10, v[5:6], off
.LBB369_1422:
	s_mov_b32 s0, 0
.LBB369_1423:
	s_delay_alu instid0(SALU_CYCLE_1)
	s_and_not1_b32 vcc_lo, exec_lo, s0
	s_cbranch_vccnz .LBB369_1429
; %bb.1424:
	v_cmp_lt_i16_e32 vcc_lo, 0, v9
	s_mov_b32 s0, 0
	s_cbranch_vccz .LBB369_1426
; %bb.1425:
	global_load_i8 v10, v[5:6], off
	s_branch .LBB369_1427
.LBB369_1426:
	s_mov_b32 s0, -1
                                        ; implicit-def: $vgpr10
.LBB369_1427:
	s_delay_alu instid0(SALU_CYCLE_1)
	s_and_not1_b32 vcc_lo, exec_lo, s0
	s_cbranch_vccnz .LBB369_1429
; %bb.1428:
	global_load_u8 v10, v[5:6], off
.LBB369_1429:
	s_branch .LBB369_1497
.LBB369_1430:
	s_trap 2
	s_sendmsg_rtn_b32 s0, sendmsg(MSG_RTN_GET_DOORBELL)
	s_mov_b32 ttmp2, m0
	s_waitcnt lgkmcnt(0)
	s_and_b32 s0, s0, 0x3ff
	s_delay_alu instid0(SALU_CYCLE_1) | instskip(NEXT) | instid1(SALU_CYCLE_1)
	s_bitset1_b32 s0, 10
	s_mov_b32 m0, s0
	s_sendmsg sendmsg(MSG_INTERRUPT)
	s_mov_b32 m0, ttmp2
.LBB369_1431:                           ; =>This Inner Loop Header: Depth=1
	s_sethalt 5
	s_branch .LBB369_1431
.LBB369_1432:
	s_mov_b32 s0, -1
.LBB369_1433:
                                        ; implicit-def: $vgpr10
.LBB369_1434:
	s_and_b32 vcc_lo, exec_lo, s10
	s_cbranch_vccz .LBB369_1438
; %bb.1435:
	v_cmp_eq_u16_e32 vcc_lo, 44, v9
	s_cbranch_vccz .LBB369_1437
; %bb.1436:
	global_load_u8 v7, v[5:6], off
	s_mov_b32 s0, 0
	s_mov_b32 s3, -1
	s_waitcnt vmcnt(0)
	v_lshlrev_b32_e32 v8, 23, v7
	v_cmp_ne_u32_e32 vcc_lo, 0, v7
	s_delay_alu instid0(VALU_DEP_2) | instskip(NEXT) | instid1(VALU_DEP_1)
	v_cvt_i32_f32_e32 v8, v8
	v_cndmask_b32_e32 v10, 0, v8, vcc_lo
	s_branch .LBB369_1438
.LBB369_1437:
	s_mov_b32 s0, -1
                                        ; implicit-def: $vgpr10
.LBB369_1438:
	s_mov_b32 s10, 0
.LBB369_1439:
	s_delay_alu instid0(SALU_CYCLE_1)
	s_and_b32 vcc_lo, exec_lo, s10
	s_cbranch_vccz .LBB369_1443
; %bb.1440:
	v_cmp_eq_u16_e32 vcc_lo, 29, v9
	s_cbranch_vccz .LBB369_1442
; %bb.1441:
	global_load_b32 v10, v[5:6], off
	s_mov_b32 s0, 0
	s_mov_b32 s3, -1
	s_branch .LBB369_1443
.LBB369_1442:
	s_mov_b32 s0, -1
                                        ; implicit-def: $vgpr10
.LBB369_1443:
	s_mov_b32 s10, 0
.LBB369_1444:
	s_delay_alu instid0(SALU_CYCLE_1)
	s_and_b32 vcc_lo, exec_lo, s10
	s_cbranch_vccz .LBB369_1460
; %bb.1445:
	v_cmp_gt_i16_e32 vcc_lo, 27, v9
	s_cbranch_vccnz .LBB369_1448
; %bb.1446:
	v_cmp_lt_i16_e32 vcc_lo, 27, v9
	s_cbranch_vccz .LBB369_1449
; %bb.1447:
	global_load_b32 v10, v[5:6], off
	s_mov_b32 s3, 0
	s_branch .LBB369_1450
.LBB369_1448:
	s_mov_b32 s3, -1
                                        ; implicit-def: $vgpr10
	s_branch .LBB369_1453
.LBB369_1449:
	s_mov_b32 s3, -1
                                        ; implicit-def: $vgpr10
.LBB369_1450:
	s_delay_alu instid0(SALU_CYCLE_1)
	s_and_not1_b32 vcc_lo, exec_lo, s3
	s_cbranch_vccnz .LBB369_1452
; %bb.1451:
	global_load_u16 v10, v[5:6], off
.LBB369_1452:
	s_mov_b32 s3, 0
.LBB369_1453:
	s_delay_alu instid0(SALU_CYCLE_1)
	s_and_not1_b32 vcc_lo, exec_lo, s3
	s_cbranch_vccnz .LBB369_1459
; %bb.1454:
	global_load_u8 v7, v[5:6], off
	s_mov_b32 s3, 0
	s_mov_b32 s10, exec_lo
                                        ; implicit-def: $sgpr11
	s_waitcnt vmcnt(0)
	v_cmpx_lt_i16_e32 0x7f, v7
	s_xor_b32 s10, exec_lo, s10
	s_cbranch_execz .LBB369_1471
; %bb.1455:
	v_cmp_ne_u16_e32 vcc_lo, 0x80, v7
	s_mov_b32 s11, 0
	s_and_b32 s3, vcc_lo, exec_lo
	s_or_saveexec_b32 s10, s10
	v_mov_b32_e32 v10, s11
	s_xor_b32 exec_lo, exec_lo, s10
	s_cbranch_execnz .LBB369_1472
.LBB369_1456:
	s_or_b32 exec_lo, exec_lo, s10
	s_and_saveexec_b32 s10, s3
	s_cbranch_execz .LBB369_1458
.LBB369_1457:
	v_and_b32_e32 v8, 0xffff, v7
	s_delay_alu instid0(VALU_DEP_1) | instskip(NEXT) | instid1(VALU_DEP_1)
	v_and_b32_e32 v10, 7, v8
	v_clz_i32_u32_e32 v13, v10
	s_delay_alu instid0(VALU_DEP_1) | instskip(NEXT) | instid1(VALU_DEP_1)
	v_min_u32_e32 v13, 32, v13
	v_subrev_nc_u32_e32 v14, 28, v13
	v_sub_nc_u32_e32 v13, 29, v13
	s_delay_alu instid0(VALU_DEP_2) | instskip(SKIP_1) | instid1(VALU_DEP_2)
	v_lshlrev_b32_e32 v14, v14, v8
	v_bfe_u32 v8, v8, 3, 4
	v_and_b32_e32 v14, 7, v14
	s_delay_alu instid0(VALU_DEP_2) | instskip(SKIP_1) | instid1(VALU_DEP_1)
	v_cmp_eq_u32_e32 vcc_lo, 0, v8
	v_dual_cndmask_b32 v8, v8, v13 :: v_dual_lshlrev_b32 v7, 24, v7
	v_dual_cndmask_b32 v10, v10, v14 :: v_dual_and_b32 v7, 0x80000000, v7
	s_delay_alu instid0(VALU_DEP_2) | instskip(NEXT) | instid1(VALU_DEP_2)
	v_lshl_add_u32 v8, v8, 23, 0x3b800000
	v_lshlrev_b32_e32 v10, 20, v10
	s_delay_alu instid0(VALU_DEP_1) | instskip(NEXT) | instid1(VALU_DEP_1)
	v_or3_b32 v7, v7, v8, v10
	v_cvt_i32_f32_e32 v10, v7
.LBB369_1458:
	s_or_b32 exec_lo, exec_lo, s10
.LBB369_1459:
	s_mov_b32 s3, -1
.LBB369_1460:
	s_mov_b32 s10, 0
.LBB369_1461:
	s_delay_alu instid0(SALU_CYCLE_1)
	s_and_b32 vcc_lo, exec_lo, s10
	s_cbranch_vccz .LBB369_1492
; %bb.1462:
	v_cmp_lt_i16_e32 vcc_lo, 22, v9
	s_cbranch_vccz .LBB369_1470
; %bb.1463:
	v_cmp_gt_i16_e32 vcc_lo, 24, v9
	s_cbranch_vccnz .LBB369_1473
; %bb.1464:
	v_cmp_lt_i16_e32 vcc_lo, 24, v9
	s_cbranch_vccz .LBB369_1474
; %bb.1465:
	global_load_u8 v7, v[5:6], off
	s_mov_b32 s3, exec_lo
                                        ; implicit-def: $sgpr10
	s_waitcnt vmcnt(0)
	v_cmpx_lt_i16_e32 0x7f, v7
	s_xor_b32 s3, exec_lo, s3
	s_cbranch_execz .LBB369_1486
; %bb.1466:
	v_cmp_ne_u16_e32 vcc_lo, 0x80, v7
	s_mov_b32 s10, 0
	s_and_b32 s2, vcc_lo, exec_lo
	s_or_saveexec_b32 s3, s3
	v_mov_b32_e32 v10, s10
	s_xor_b32 exec_lo, exec_lo, s3
	s_cbranch_execnz .LBB369_1487
.LBB369_1467:
	s_or_b32 exec_lo, exec_lo, s3
	s_and_saveexec_b32 s3, s2
	s_cbranch_execz .LBB369_1469
.LBB369_1468:
	v_and_b32_e32 v8, 0xffff, v7
	s_delay_alu instid0(VALU_DEP_1) | instskip(NEXT) | instid1(VALU_DEP_1)
	v_and_b32_e32 v10, 3, v8
	v_clz_i32_u32_e32 v13, v10
	s_delay_alu instid0(VALU_DEP_1) | instskip(NEXT) | instid1(VALU_DEP_1)
	v_min_u32_e32 v13, 32, v13
	v_subrev_nc_u32_e32 v14, 29, v13
	v_sub_nc_u32_e32 v13, 30, v13
	s_delay_alu instid0(VALU_DEP_2) | instskip(SKIP_1) | instid1(VALU_DEP_2)
	v_lshlrev_b32_e32 v14, v14, v8
	v_bfe_u32 v8, v8, 2, 5
	v_and_b32_e32 v14, 3, v14
	s_delay_alu instid0(VALU_DEP_2) | instskip(SKIP_1) | instid1(VALU_DEP_1)
	v_cmp_eq_u32_e32 vcc_lo, 0, v8
	v_dual_cndmask_b32 v8, v8, v13 :: v_dual_lshlrev_b32 v7, 24, v7
	v_dual_cndmask_b32 v10, v10, v14 :: v_dual_and_b32 v7, 0x80000000, v7
	s_delay_alu instid0(VALU_DEP_2) | instskip(NEXT) | instid1(VALU_DEP_2)
	v_lshl_add_u32 v8, v8, 23, 0x37800000
	v_lshlrev_b32_e32 v10, 21, v10
	s_delay_alu instid0(VALU_DEP_1) | instskip(NEXT) | instid1(VALU_DEP_1)
	v_or3_b32 v7, v7, v8, v10
	v_cvt_i32_f32_e32 v10, v7
.LBB369_1469:
	s_or_b32 exec_lo, exec_lo, s3
	s_mov_b32 s2, 0
	s_branch .LBB369_1475
.LBB369_1470:
	s_mov_b32 s2, -1
                                        ; implicit-def: $vgpr10
	s_branch .LBB369_1481
.LBB369_1471:
	s_or_saveexec_b32 s10, s10
	v_mov_b32_e32 v10, s11
	s_xor_b32 exec_lo, exec_lo, s10
	s_cbranch_execz .LBB369_1456
.LBB369_1472:
	v_cmp_ne_u16_e32 vcc_lo, 0, v7
	v_mov_b32_e32 v10, 0
	s_and_not1_b32 s3, s3, exec_lo
	s_and_b32 s11, vcc_lo, exec_lo
	s_delay_alu instid0(SALU_CYCLE_1)
	s_or_b32 s3, s3, s11
	s_or_b32 exec_lo, exec_lo, s10
	s_and_saveexec_b32 s10, s3
	s_cbranch_execnz .LBB369_1457
	s_branch .LBB369_1458
.LBB369_1473:
	s_mov_b32 s2, -1
                                        ; implicit-def: $vgpr10
	s_branch .LBB369_1478
.LBB369_1474:
	s_mov_b32 s2, -1
                                        ; implicit-def: $vgpr10
.LBB369_1475:
	s_delay_alu instid0(SALU_CYCLE_1)
	s_and_b32 vcc_lo, exec_lo, s2
	s_cbranch_vccz .LBB369_1477
; %bb.1476:
	global_load_u8 v7, v[5:6], off
	s_waitcnt vmcnt(0)
	v_lshlrev_b32_e32 v7, 24, v7
	s_delay_alu instid0(VALU_DEP_1) | instskip(NEXT) | instid1(VALU_DEP_1)
	v_and_b32_e32 v8, 0x7f000000, v7
	v_clz_i32_u32_e32 v10, v8
	v_add_nc_u32_e32 v14, 0x1000000, v8
	v_cmp_ne_u32_e32 vcc_lo, 0, v8
	s_delay_alu instid0(VALU_DEP_3) | instskip(NEXT) | instid1(VALU_DEP_1)
	v_min_u32_e32 v10, 32, v10
	v_sub_nc_u32_e64 v10, v10, 4 clamp
	s_delay_alu instid0(VALU_DEP_1) | instskip(SKIP_1) | instid1(VALU_DEP_2)
	v_lshlrev_b32_e32 v13, v10, v8
	v_lshlrev_b32_e32 v10, 23, v10
	v_lshrrev_b32_e32 v13, 4, v13
	s_delay_alu instid0(VALU_DEP_1) | instskip(SKIP_1) | instid1(VALU_DEP_2)
	v_sub_nc_u32_e32 v10, v13, v10
	v_ashrrev_i32_e32 v13, 8, v14
	v_add_nc_u32_e32 v10, 0x3c000000, v10
	s_delay_alu instid0(VALU_DEP_1) | instskip(NEXT) | instid1(VALU_DEP_1)
	v_and_or_b32 v10, 0x7f800000, v13, v10
	v_cndmask_b32_e32 v8, 0, v10, vcc_lo
	s_delay_alu instid0(VALU_DEP_1) | instskip(NEXT) | instid1(VALU_DEP_1)
	v_and_or_b32 v7, 0x80000000, v7, v8
	v_cvt_i32_f32_e32 v10, v7
.LBB369_1477:
	s_mov_b32 s2, 0
.LBB369_1478:
	s_delay_alu instid0(SALU_CYCLE_1)
	s_and_not1_b32 vcc_lo, exec_lo, s2
	s_cbranch_vccnz .LBB369_1480
; %bb.1479:
	global_load_u8 v7, v[5:6], off
	s_waitcnt vmcnt(0)
	v_lshlrev_b32_e32 v8, 25, v7
	v_lshlrev_b16 v7, 8, v7
	s_delay_alu instid0(VALU_DEP_1) | instskip(SKIP_1) | instid1(VALU_DEP_2)
	v_and_or_b32 v13, 0x7f00, v7, 0.5
	v_bfe_i32 v7, v7, 0, 16
	v_add_f32_e32 v13, -0.5, v13
	v_lshrrev_b32_e32 v10, 4, v8
	v_cmp_gt_u32_e32 vcc_lo, 0x8000000, v8
	s_delay_alu instid0(VALU_DEP_2) | instskip(NEXT) | instid1(VALU_DEP_1)
	v_or_b32_e32 v10, 0x70000000, v10
	v_mul_f32_e32 v10, 0x7800000, v10
	s_delay_alu instid0(VALU_DEP_1) | instskip(NEXT) | instid1(VALU_DEP_1)
	v_cndmask_b32_e32 v8, v10, v13, vcc_lo
	v_and_or_b32 v7, 0x80000000, v7, v8
	s_delay_alu instid0(VALU_DEP_1)
	v_cvt_i32_f32_e32 v10, v7
.LBB369_1480:
	s_mov_b32 s2, 0
	s_mov_b32 s3, -1
.LBB369_1481:
	s_and_not1_b32 vcc_lo, exec_lo, s2
	s_mov_b32 s2, 0
	s_cbranch_vccnz .LBB369_1492
; %bb.1482:
	v_cmp_lt_i16_e32 vcc_lo, 14, v9
	s_cbranch_vccz .LBB369_1485
; %bb.1483:
	v_cmp_eq_u16_e32 vcc_lo, 15, v9
	s_cbranch_vccz .LBB369_1488
; %bb.1484:
	global_load_u16 v7, v[5:6], off
	s_mov_b32 s0, 0
	s_mov_b32 s3, -1
	s_waitcnt vmcnt(0)
	v_lshlrev_b32_e32 v7, 16, v7
	s_delay_alu instid0(VALU_DEP_1)
	v_cvt_i32_f32_e32 v10, v7
	s_branch .LBB369_1490
.LBB369_1485:
	s_mov_b32 s2, -1
	s_branch .LBB369_1489
.LBB369_1486:
	s_or_saveexec_b32 s3, s3
	v_mov_b32_e32 v10, s10
	s_xor_b32 exec_lo, exec_lo, s3
	s_cbranch_execz .LBB369_1467
.LBB369_1487:
	v_cmp_ne_u16_e32 vcc_lo, 0, v7
	v_mov_b32_e32 v10, 0
	s_and_not1_b32 s2, s2, exec_lo
	s_and_b32 s10, vcc_lo, exec_lo
	s_delay_alu instid0(SALU_CYCLE_1)
	s_or_b32 s2, s2, s10
	s_or_b32 exec_lo, exec_lo, s3
	s_and_saveexec_b32 s3, s2
	s_cbranch_execnz .LBB369_1468
	s_branch .LBB369_1469
.LBB369_1488:
	s_mov_b32 s0, -1
.LBB369_1489:
                                        ; implicit-def: $vgpr10
.LBB369_1490:
	s_and_b32 vcc_lo, exec_lo, s2
	s_mov_b32 s2, 0
	s_cbranch_vccz .LBB369_1492
; %bb.1491:
	v_cmp_ne_u16_e64 s0, 11, v9
	s_mov_b32 s2, -1
                                        ; implicit-def: $vgpr10
.LBB369_1492:
	s_delay_alu instid0(VALU_DEP_1)
	s_and_b32 vcc_lo, exec_lo, s0
	s_cbranch_vccnz .LBB369_1508
; %bb.1493:
	s_and_not1_b32 vcc_lo, exec_lo, s2
	s_cbranch_vccnz .LBB369_1495
.LBB369_1494:
	global_load_u8 v7, v[5:6], off
	s_mov_b32 s3, -1
	s_waitcnt vmcnt(0)
	v_cmp_ne_u16_e32 vcc_lo, 0, v7
	v_cndmask_b32_e64 v10, 0, 1, vcc_lo
.LBB369_1495:
.LBB369_1496:
	s_and_not1_b32 vcc_lo, exec_lo, s3
	s_cbranch_vccnz .LBB369_2016
.LBB369_1497:
	v_cmp_gt_i16_e32 vcc_lo, 11, v9
	v_add_co_u32 v4, s0, s6, v4
	s_delay_alu instid0(VALU_DEP_1)
	v_add_co_ci_u32_e64 v5, null, s7, 0, s0
	s_mov_b32 s3, 0
	s_cbranch_vccnz .LBB369_1504
; %bb.1498:
	v_cmp_lt_i16_e32 vcc_lo, 25, v9
	s_mov_b32 s2, 0
	s_cbranch_vccz .LBB369_1505
; %bb.1499:
	v_cmp_lt_i16_e32 vcc_lo, 28, v9
	s_cbranch_vccz .LBB369_1506
; %bb.1500:
	v_cmp_lt_i16_e32 vcc_lo, 43, v9
	;; [unrolled: 3-line block ×3, first 2 shown]
	s_cbranch_vccz .LBB369_1510
; %bb.1502:
	v_cmp_eq_u16_e32 vcc_lo, 46, v9
	s_mov_b32 s6, 0
	s_cbranch_vccz .LBB369_1513
; %bb.1503:
	global_load_b32 v6, v[4:5], off
	s_mov_b32 s0, 0
	s_mov_b32 s3, -1
	s_waitcnt vmcnt(0)
	v_lshlrev_b32_e32 v6, 16, v6
	s_delay_alu instid0(VALU_DEP_1)
	v_cvt_i32_f32_e32 v8, v6
	s_branch .LBB369_1515
.LBB369_1504:
	s_mov_b32 s0, -1
                                        ; implicit-def: $vgpr8
	s_branch .LBB369_1577
.LBB369_1505:
	s_mov_b32 s6, -1
	s_mov_b32 s0, 0
                                        ; implicit-def: $vgpr8
	s_branch .LBB369_1542
.LBB369_1506:
	s_mov_b32 s6, -1
	s_mov_b32 s0, 0
                                        ; implicit-def: $vgpr8
	s_branch .LBB369_1525
.LBB369_1507:
	s_mov_b32 s6, -1
	s_mov_b32 s0, 0
                                        ; implicit-def: $vgpr8
	s_branch .LBB369_1520
.LBB369_1508:
	s_cbranch_execnz .LBB369_1511
; %bb.1509:
	s_or_b32 s1, s1, exec_lo
                                        ; implicit-def: $vgpr10
	s_cbranch_execz .LBB369_1494
	s_branch .LBB369_1495
.LBB369_1510:
	s_mov_b32 s6, -1
	s_mov_b32 s0, 0
	s_branch .LBB369_1514
.LBB369_1511:
	s_trap 2
	s_sendmsg_rtn_b32 s0, sendmsg(MSG_RTN_GET_DOORBELL)
	s_mov_b32 ttmp2, m0
	s_waitcnt lgkmcnt(0)
	s_and_b32 s0, s0, 0x3ff
	s_delay_alu instid0(SALU_CYCLE_1) | instskip(NEXT) | instid1(SALU_CYCLE_1)
	s_bitset1_b32 s0, 10
	s_mov_b32 m0, s0
	s_sendmsg sendmsg(MSG_INTERRUPT)
	s_mov_b32 m0, ttmp2
.LBB369_1512:                           ; =>This Inner Loop Header: Depth=1
	s_sethalt 5
	s_branch .LBB369_1512
.LBB369_1513:
	s_mov_b32 s0, -1
.LBB369_1514:
                                        ; implicit-def: $vgpr8
.LBB369_1515:
	s_and_b32 vcc_lo, exec_lo, s6
	s_cbranch_vccz .LBB369_1519
; %bb.1516:
	v_cmp_eq_u16_e32 vcc_lo, 44, v9
	s_cbranch_vccz .LBB369_1518
; %bb.1517:
	global_load_u8 v6, v[4:5], off
	s_mov_b32 s0, 0
	s_mov_b32 s3, -1
	s_waitcnt vmcnt(0)
	v_lshlrev_b32_e32 v7, 23, v6
	v_cmp_ne_u32_e32 vcc_lo, 0, v6
	s_delay_alu instid0(VALU_DEP_2) | instskip(NEXT) | instid1(VALU_DEP_1)
	v_cvt_i32_f32_e32 v7, v7
	v_cndmask_b32_e32 v8, 0, v7, vcc_lo
	s_branch .LBB369_1519
.LBB369_1518:
	s_mov_b32 s0, -1
                                        ; implicit-def: $vgpr8
.LBB369_1519:
	s_mov_b32 s6, 0
.LBB369_1520:
	s_delay_alu instid0(SALU_CYCLE_1)
	s_and_b32 vcc_lo, exec_lo, s6
	s_cbranch_vccz .LBB369_1524
; %bb.1521:
	v_cmp_eq_u16_e32 vcc_lo, 29, v9
	s_cbranch_vccz .LBB369_1523
; %bb.1522:
	global_load_b32 v8, v[4:5], off
	s_mov_b32 s0, 0
	s_mov_b32 s3, -1
	s_branch .LBB369_1524
.LBB369_1523:
	s_mov_b32 s0, -1
                                        ; implicit-def: $vgpr8
.LBB369_1524:
	s_mov_b32 s6, 0
.LBB369_1525:
	s_delay_alu instid0(SALU_CYCLE_1)
	s_and_b32 vcc_lo, exec_lo, s6
	s_cbranch_vccz .LBB369_1541
; %bb.1526:
	v_cmp_gt_i16_e32 vcc_lo, 27, v9
	s_cbranch_vccnz .LBB369_1529
; %bb.1527:
	v_cmp_lt_i16_e32 vcc_lo, 27, v9
	s_cbranch_vccz .LBB369_1530
; %bb.1528:
	global_load_b32 v8, v[4:5], off
	s_mov_b32 s3, 0
	s_branch .LBB369_1531
.LBB369_1529:
	s_mov_b32 s3, -1
                                        ; implicit-def: $vgpr8
	s_branch .LBB369_1534
.LBB369_1530:
	s_mov_b32 s3, -1
                                        ; implicit-def: $vgpr8
.LBB369_1531:
	s_delay_alu instid0(SALU_CYCLE_1)
	s_and_not1_b32 vcc_lo, exec_lo, s3
	s_cbranch_vccnz .LBB369_1533
; %bb.1532:
	global_load_u16 v8, v[4:5], off
.LBB369_1533:
	s_mov_b32 s3, 0
.LBB369_1534:
	s_delay_alu instid0(SALU_CYCLE_1)
	s_and_not1_b32 vcc_lo, exec_lo, s3
	s_cbranch_vccnz .LBB369_1540
; %bb.1535:
	global_load_u8 v6, v[4:5], off
	s_mov_b32 s3, 0
	s_mov_b32 s6, exec_lo
                                        ; implicit-def: $sgpr7
	s_waitcnt vmcnt(0)
	v_cmpx_lt_i16_e32 0x7f, v6
	s_xor_b32 s6, exec_lo, s6
	s_cbranch_execz .LBB369_1552
; %bb.1536:
	v_cmp_ne_u16_e32 vcc_lo, 0x80, v6
	s_mov_b32 s7, 0
	s_and_b32 s3, vcc_lo, exec_lo
	s_or_saveexec_b32 s6, s6
	v_mov_b32_e32 v8, s7
	s_xor_b32 exec_lo, exec_lo, s6
	s_cbranch_execnz .LBB369_1553
.LBB369_1537:
	s_or_b32 exec_lo, exec_lo, s6
	s_and_saveexec_b32 s6, s3
	s_cbranch_execz .LBB369_1539
.LBB369_1538:
	v_and_b32_e32 v7, 0xffff, v6
	v_lshlrev_b32_e32 v6, 24, v6
	s_delay_alu instid0(VALU_DEP_2) | instskip(NEXT) | instid1(VALU_DEP_2)
	v_and_b32_e32 v8, 7, v7
	v_and_b32_e32 v6, 0x80000000, v6
	s_delay_alu instid0(VALU_DEP_2) | instskip(NEXT) | instid1(VALU_DEP_1)
	v_clz_i32_u32_e32 v13, v8
	v_min_u32_e32 v13, 32, v13
	s_delay_alu instid0(VALU_DEP_1) | instskip(SKIP_1) | instid1(VALU_DEP_2)
	v_subrev_nc_u32_e32 v14, 28, v13
	v_sub_nc_u32_e32 v13, 29, v13
	v_lshlrev_b32_e32 v14, v14, v7
	v_bfe_u32 v7, v7, 3, 4
	s_delay_alu instid0(VALU_DEP_2) | instskip(NEXT) | instid1(VALU_DEP_2)
	v_and_b32_e32 v14, 7, v14
	v_cmp_eq_u32_e32 vcc_lo, 0, v7
	s_delay_alu instid0(VALU_DEP_2) | instskip(NEXT) | instid1(VALU_DEP_1)
	v_dual_cndmask_b32 v7, v7, v13 :: v_dual_cndmask_b32 v8, v8, v14
	v_lshl_add_u32 v7, v7, 23, 0x3b800000
	s_delay_alu instid0(VALU_DEP_2) | instskip(NEXT) | instid1(VALU_DEP_1)
	v_lshlrev_b32_e32 v8, 20, v8
	v_or3_b32 v6, v6, v7, v8
	s_delay_alu instid0(VALU_DEP_1)
	v_cvt_i32_f32_e32 v8, v6
.LBB369_1539:
	s_or_b32 exec_lo, exec_lo, s6
.LBB369_1540:
	s_mov_b32 s3, -1
.LBB369_1541:
	s_mov_b32 s6, 0
.LBB369_1542:
	s_delay_alu instid0(SALU_CYCLE_1)
	s_and_b32 vcc_lo, exec_lo, s6
	s_cbranch_vccz .LBB369_1573
; %bb.1543:
	v_cmp_lt_i16_e32 vcc_lo, 22, v9
	s_cbranch_vccz .LBB369_1551
; %bb.1544:
	v_cmp_gt_i16_e32 vcc_lo, 24, v9
	s_cbranch_vccnz .LBB369_1554
; %bb.1545:
	v_cmp_lt_i16_e32 vcc_lo, 24, v9
	s_cbranch_vccz .LBB369_1555
; %bb.1546:
	global_load_u8 v6, v[4:5], off
	s_mov_b32 s3, exec_lo
                                        ; implicit-def: $sgpr6
	s_waitcnt vmcnt(0)
	v_cmpx_lt_i16_e32 0x7f, v6
	s_xor_b32 s3, exec_lo, s3
	s_cbranch_execz .LBB369_1567
; %bb.1547:
	v_cmp_ne_u16_e32 vcc_lo, 0x80, v6
	s_mov_b32 s6, 0
	s_and_b32 s2, vcc_lo, exec_lo
	s_or_saveexec_b32 s3, s3
	v_mov_b32_e32 v8, s6
	s_xor_b32 exec_lo, exec_lo, s3
	s_cbranch_execnz .LBB369_1568
.LBB369_1548:
	s_or_b32 exec_lo, exec_lo, s3
	s_and_saveexec_b32 s3, s2
	s_cbranch_execz .LBB369_1550
.LBB369_1549:
	v_and_b32_e32 v7, 0xffff, v6
	v_lshlrev_b32_e32 v6, 24, v6
	s_delay_alu instid0(VALU_DEP_2) | instskip(NEXT) | instid1(VALU_DEP_2)
	v_and_b32_e32 v8, 3, v7
	v_and_b32_e32 v6, 0x80000000, v6
	s_delay_alu instid0(VALU_DEP_2) | instskip(NEXT) | instid1(VALU_DEP_1)
	v_clz_i32_u32_e32 v13, v8
	v_min_u32_e32 v13, 32, v13
	s_delay_alu instid0(VALU_DEP_1) | instskip(SKIP_1) | instid1(VALU_DEP_2)
	v_subrev_nc_u32_e32 v14, 29, v13
	v_sub_nc_u32_e32 v13, 30, v13
	v_lshlrev_b32_e32 v14, v14, v7
	v_bfe_u32 v7, v7, 2, 5
	s_delay_alu instid0(VALU_DEP_2) | instskip(NEXT) | instid1(VALU_DEP_2)
	v_and_b32_e32 v14, 3, v14
	v_cmp_eq_u32_e32 vcc_lo, 0, v7
	s_delay_alu instid0(VALU_DEP_2) | instskip(NEXT) | instid1(VALU_DEP_1)
	v_dual_cndmask_b32 v7, v7, v13 :: v_dual_cndmask_b32 v8, v8, v14
	v_lshl_add_u32 v7, v7, 23, 0x37800000
	s_delay_alu instid0(VALU_DEP_2) | instskip(NEXT) | instid1(VALU_DEP_1)
	v_lshlrev_b32_e32 v8, 21, v8
	v_or3_b32 v6, v6, v7, v8
	s_delay_alu instid0(VALU_DEP_1)
	v_cvt_i32_f32_e32 v8, v6
.LBB369_1550:
	s_or_b32 exec_lo, exec_lo, s3
	s_mov_b32 s2, 0
	s_branch .LBB369_1556
.LBB369_1551:
	s_mov_b32 s2, -1
                                        ; implicit-def: $vgpr8
	s_branch .LBB369_1562
.LBB369_1552:
	s_or_saveexec_b32 s6, s6
	v_mov_b32_e32 v8, s7
	s_xor_b32 exec_lo, exec_lo, s6
	s_cbranch_execz .LBB369_1537
.LBB369_1553:
	v_cmp_ne_u16_e32 vcc_lo, 0, v6
	v_mov_b32_e32 v8, 0
	s_and_not1_b32 s3, s3, exec_lo
	s_and_b32 s7, vcc_lo, exec_lo
	s_delay_alu instid0(SALU_CYCLE_1)
	s_or_b32 s3, s3, s7
	s_or_b32 exec_lo, exec_lo, s6
	s_and_saveexec_b32 s6, s3
	s_cbranch_execnz .LBB369_1538
	s_branch .LBB369_1539
.LBB369_1554:
	s_mov_b32 s2, -1
                                        ; implicit-def: $vgpr8
	s_branch .LBB369_1559
.LBB369_1555:
	s_mov_b32 s2, -1
                                        ; implicit-def: $vgpr8
.LBB369_1556:
	s_delay_alu instid0(SALU_CYCLE_1)
	s_and_b32 vcc_lo, exec_lo, s2
	s_cbranch_vccz .LBB369_1558
; %bb.1557:
	global_load_u8 v6, v[4:5], off
	s_waitcnt vmcnt(0)
	v_lshlrev_b32_e32 v6, 24, v6
	s_delay_alu instid0(VALU_DEP_1) | instskip(NEXT) | instid1(VALU_DEP_1)
	v_and_b32_e32 v7, 0x7f000000, v6
	v_clz_i32_u32_e32 v8, v7
	v_add_nc_u32_e32 v14, 0x1000000, v7
	v_cmp_ne_u32_e32 vcc_lo, 0, v7
	s_delay_alu instid0(VALU_DEP_3) | instskip(NEXT) | instid1(VALU_DEP_1)
	v_min_u32_e32 v8, 32, v8
	v_sub_nc_u32_e64 v8, v8, 4 clamp
	s_delay_alu instid0(VALU_DEP_1) | instskip(SKIP_1) | instid1(VALU_DEP_2)
	v_lshlrev_b32_e32 v13, v8, v7
	v_lshlrev_b32_e32 v8, 23, v8
	v_lshrrev_b32_e32 v13, 4, v13
	s_delay_alu instid0(VALU_DEP_1) | instskip(SKIP_1) | instid1(VALU_DEP_2)
	v_sub_nc_u32_e32 v8, v13, v8
	v_ashrrev_i32_e32 v13, 8, v14
	v_add_nc_u32_e32 v8, 0x3c000000, v8
	s_delay_alu instid0(VALU_DEP_1) | instskip(NEXT) | instid1(VALU_DEP_1)
	v_and_or_b32 v8, 0x7f800000, v13, v8
	v_cndmask_b32_e32 v7, 0, v8, vcc_lo
	s_delay_alu instid0(VALU_DEP_1) | instskip(NEXT) | instid1(VALU_DEP_1)
	v_and_or_b32 v6, 0x80000000, v6, v7
	v_cvt_i32_f32_e32 v8, v6
.LBB369_1558:
	s_mov_b32 s2, 0
.LBB369_1559:
	s_delay_alu instid0(SALU_CYCLE_1)
	s_and_not1_b32 vcc_lo, exec_lo, s2
	s_cbranch_vccnz .LBB369_1561
; %bb.1560:
	global_load_u8 v6, v[4:5], off
	s_waitcnt vmcnt(0)
	v_lshlrev_b32_e32 v7, 25, v6
	v_lshlrev_b16 v6, 8, v6
	s_delay_alu instid0(VALU_DEP_2) | instskip(NEXT) | instid1(VALU_DEP_2)
	v_lshrrev_b32_e32 v8, 4, v7
	v_and_or_b32 v13, 0x7f00, v6, 0.5
	v_bfe_i32 v6, v6, 0, 16
	s_delay_alu instid0(VALU_DEP_3) | instskip(NEXT) | instid1(VALU_DEP_1)
	v_or_b32_e32 v8, 0x70000000, v8
	v_dual_add_f32 v13, -0.5, v13 :: v_dual_mul_f32 v8, 0x7800000, v8
	v_cmp_gt_u32_e32 vcc_lo, 0x8000000, v7
	s_delay_alu instid0(VALU_DEP_2) | instskip(NEXT) | instid1(VALU_DEP_1)
	v_cndmask_b32_e32 v7, v8, v13, vcc_lo
	v_and_or_b32 v6, 0x80000000, v6, v7
	s_delay_alu instid0(VALU_DEP_1)
	v_cvt_i32_f32_e32 v8, v6
.LBB369_1561:
	s_mov_b32 s2, 0
	s_mov_b32 s3, -1
.LBB369_1562:
	s_and_not1_b32 vcc_lo, exec_lo, s2
	s_mov_b32 s2, 0
	s_cbranch_vccnz .LBB369_1573
; %bb.1563:
	v_cmp_lt_i16_e32 vcc_lo, 14, v9
	s_cbranch_vccz .LBB369_1566
; %bb.1564:
	v_cmp_eq_u16_e32 vcc_lo, 15, v9
	s_cbranch_vccz .LBB369_1569
; %bb.1565:
	global_load_u16 v6, v[4:5], off
	s_mov_b32 s0, 0
	s_mov_b32 s3, -1
	s_waitcnt vmcnt(0)
	v_lshlrev_b32_e32 v6, 16, v6
	s_delay_alu instid0(VALU_DEP_1)
	v_cvt_i32_f32_e32 v8, v6
	s_branch .LBB369_1571
.LBB369_1566:
	s_mov_b32 s2, -1
	s_branch .LBB369_1570
.LBB369_1567:
	s_or_saveexec_b32 s3, s3
	v_mov_b32_e32 v8, s6
	s_xor_b32 exec_lo, exec_lo, s3
	s_cbranch_execz .LBB369_1548
.LBB369_1568:
	v_cmp_ne_u16_e32 vcc_lo, 0, v6
	v_mov_b32_e32 v8, 0
	s_and_not1_b32 s2, s2, exec_lo
	s_and_b32 s6, vcc_lo, exec_lo
	s_delay_alu instid0(SALU_CYCLE_1)
	s_or_b32 s2, s2, s6
	s_or_b32 exec_lo, exec_lo, s3
	s_and_saveexec_b32 s3, s2
	s_cbranch_execnz .LBB369_1549
	s_branch .LBB369_1550
.LBB369_1569:
	s_mov_b32 s0, -1
.LBB369_1570:
                                        ; implicit-def: $vgpr8
.LBB369_1571:
	s_and_b32 vcc_lo, exec_lo, s2
	s_mov_b32 s2, 0
	s_cbranch_vccz .LBB369_1573
; %bb.1572:
	v_cmp_ne_u16_e64 s0, 11, v9
	s_mov_b32 s2, -1
                                        ; implicit-def: $vgpr8
.LBB369_1573:
	s_delay_alu instid0(VALU_DEP_1)
	s_and_b32 vcc_lo, exec_lo, s0
	s_cbranch_vccnz .LBB369_1636
; %bb.1574:
	s_and_not1_b32 vcc_lo, exec_lo, s2
	s_cbranch_vccnz .LBB369_1576
.LBB369_1575:
	global_load_u8 v6, v[4:5], off
	s_mov_b32 s3, -1
	s_waitcnt vmcnt(0)
	v_cmp_ne_u16_e32 vcc_lo, 0, v6
	v_cndmask_b32_e64 v8, 0, 1, vcc_lo
.LBB369_1576:
	s_mov_b32 s0, 0
.LBB369_1577:
	s_delay_alu instid0(SALU_CYCLE_1)
	s_and_b32 vcc_lo, exec_lo, s0
	s_cbranch_vccz .LBB369_1626
; %bb.1578:
	v_cmp_gt_i16_e32 vcc_lo, 5, v9
	s_cbranch_vccnz .LBB369_1583
; %bb.1579:
	v_cmp_gt_i16_e32 vcc_lo, 8, v9
	s_cbranch_vccnz .LBB369_1584
	;; [unrolled: 3-line block ×3, first 2 shown]
; %bb.1581:
	v_cmp_lt_i16_e32 vcc_lo, 9, v9
	s_cbranch_vccz .LBB369_1586
; %bb.1582:
	global_load_b64 v[6:7], v[4:5], off
	s_mov_b32 s0, 0
	s_waitcnt vmcnt(0)
	v_cvt_i32_f64_e32 v8, v[6:7]
	s_branch .LBB369_1587
.LBB369_1583:
	s_mov_b32 s0, -1
                                        ; implicit-def: $vgpr8
	s_branch .LBB369_1605
.LBB369_1584:
	s_mov_b32 s0, -1
                                        ; implicit-def: $vgpr8
	s_branch .LBB369_1593
.LBB369_1585:
	s_mov_b32 s0, -1
                                        ; implicit-def: $vgpr8
	s_branch .LBB369_1590
.LBB369_1586:
	s_mov_b32 s0, -1
                                        ; implicit-def: $vgpr8
.LBB369_1587:
	s_delay_alu instid0(SALU_CYCLE_1)
	s_and_not1_b32 vcc_lo, exec_lo, s0
	s_cbranch_vccnz .LBB369_1589
; %bb.1588:
	global_load_b32 v6, v[4:5], off
	s_waitcnt vmcnt(0)
	v_cvt_i32_f32_e32 v8, v6
.LBB369_1589:
	s_mov_b32 s0, 0
.LBB369_1590:
	s_delay_alu instid0(SALU_CYCLE_1)
	s_and_not1_b32 vcc_lo, exec_lo, s0
	s_cbranch_vccnz .LBB369_1592
; %bb.1591:
	global_load_b32 v6, v[4:5], off
	s_waitcnt vmcnt(0)
	v_cvt_f32_f16_e32 v6, v6
	s_delay_alu instid0(VALU_DEP_1)
	v_cvt_i32_f32_e32 v8, v6
.LBB369_1592:
	s_mov_b32 s0, 0
.LBB369_1593:
	s_delay_alu instid0(SALU_CYCLE_1)
	s_and_not1_b32 vcc_lo, exec_lo, s0
	s_cbranch_vccnz .LBB369_1604
; %bb.1594:
	v_cmp_gt_i16_e32 vcc_lo, 6, v9
	s_cbranch_vccnz .LBB369_1597
; %bb.1595:
	v_cmp_lt_i16_e32 vcc_lo, 6, v9
	s_cbranch_vccz .LBB369_1598
; %bb.1596:
	global_load_b64 v[6:7], v[4:5], off
	s_mov_b32 s0, 0
	s_waitcnt vmcnt(0)
	v_cvt_i32_f64_e32 v8, v[6:7]
	s_branch .LBB369_1599
.LBB369_1597:
	s_mov_b32 s0, -1
                                        ; implicit-def: $vgpr8
	s_branch .LBB369_1602
.LBB369_1598:
	s_mov_b32 s0, -1
                                        ; implicit-def: $vgpr8
.LBB369_1599:
	s_delay_alu instid0(SALU_CYCLE_1)
	s_and_not1_b32 vcc_lo, exec_lo, s0
	s_cbranch_vccnz .LBB369_1601
; %bb.1600:
	global_load_b32 v6, v[4:5], off
	s_waitcnt vmcnt(0)
	v_cvt_i32_f32_e32 v8, v6
.LBB369_1601:
	s_mov_b32 s0, 0
.LBB369_1602:
	s_delay_alu instid0(SALU_CYCLE_1)
	s_and_not1_b32 vcc_lo, exec_lo, s0
	s_cbranch_vccnz .LBB369_1604
; %bb.1603:
	global_load_u16 v6, v[4:5], off
	s_waitcnt vmcnt(0)
	v_cvt_f32_f16_e32 v6, v6
	s_delay_alu instid0(VALU_DEP_1)
	v_cvt_i32_f32_e32 v8, v6
.LBB369_1604:
	s_mov_b32 s0, 0
.LBB369_1605:
	s_delay_alu instid0(SALU_CYCLE_1)
	s_and_not1_b32 vcc_lo, exec_lo, s0
	s_cbranch_vccnz .LBB369_1625
; %bb.1606:
	v_cmp_gt_i16_e32 vcc_lo, 2, v9
	s_cbranch_vccnz .LBB369_1610
; %bb.1607:
	v_cmp_gt_i16_e32 vcc_lo, 3, v9
	s_cbranch_vccnz .LBB369_1611
; %bb.1608:
	v_cmp_lt_i16_e32 vcc_lo, 3, v9
	s_cbranch_vccz .LBB369_1612
; %bb.1609:
	global_load_b32 v8, v[4:5], off
	s_mov_b32 s0, 0
	s_branch .LBB369_1613
.LBB369_1610:
	s_mov_b32 s0, -1
                                        ; implicit-def: $vgpr8
	s_branch .LBB369_1619
.LBB369_1611:
	s_mov_b32 s0, -1
                                        ; implicit-def: $vgpr8
	s_branch .LBB369_1616
.LBB369_1612:
	s_mov_b32 s0, -1
                                        ; implicit-def: $vgpr8
.LBB369_1613:
	s_delay_alu instid0(SALU_CYCLE_1)
	s_and_not1_b32 vcc_lo, exec_lo, s0
	s_cbranch_vccnz .LBB369_1615
; %bb.1614:
	global_load_b32 v8, v[4:5], off
.LBB369_1615:
	s_mov_b32 s0, 0
.LBB369_1616:
	s_delay_alu instid0(SALU_CYCLE_1)
	s_and_not1_b32 vcc_lo, exec_lo, s0
	s_cbranch_vccnz .LBB369_1618
; %bb.1617:
	global_load_i16 v8, v[4:5], off
.LBB369_1618:
	s_mov_b32 s0, 0
.LBB369_1619:
	s_delay_alu instid0(SALU_CYCLE_1)
	s_and_not1_b32 vcc_lo, exec_lo, s0
	s_cbranch_vccnz .LBB369_1625
; %bb.1620:
	v_cmp_lt_i16_e32 vcc_lo, 0, v9
	s_mov_b32 s0, 0
	s_cbranch_vccz .LBB369_1622
; %bb.1621:
	global_load_i8 v8, v[4:5], off
	s_branch .LBB369_1623
.LBB369_1622:
	s_mov_b32 s0, -1
                                        ; implicit-def: $vgpr8
.LBB369_1623:
	s_delay_alu instid0(SALU_CYCLE_1)
	s_and_not1_b32 vcc_lo, exec_lo, s0
	s_cbranch_vccnz .LBB369_1625
; %bb.1624:
	global_load_u8 v8, v[4:5], off
.LBB369_1625:
	s_mov_b32 s3, -1
.LBB369_1626:
	s_delay_alu instid0(SALU_CYCLE_1)
	s_and_not1_b32 vcc_lo, exec_lo, s3
	s_cbranch_vccnz .LBB369_2016
; %bb.1627:
	s_load_b64 s[2:3], s[16:17], 0x158
	v_add_co_u32 v6, s6, s4, v3
	s_delay_alu instid0(VALU_DEP_1)
	v_add_co_ci_u32_e64 v7, null, s5, 0, s6
	s_mov_b32 s7, 0
	s_waitcnt lgkmcnt(0)
	s_and_b32 s3, s3, 0xff
	v_max_i32_e32 v4, s2, v12
	v_cmp_lt_i16_e64 s0, s3, 11
	s_delay_alu instid0(VALU_DEP_1)
	s_and_b32 vcc_lo, exec_lo, s0
	s_mov_b32 s0, -1
	s_cbranch_vccnz .LBB369_1710
; %bb.1628:
	v_cmp_gt_i16_e64 s0, s3, 25
	s_mov_b32 s10, -1
	s_mov_b32 s6, 0
	s_delay_alu instid0(VALU_DEP_1)
	s_and_b32 vcc_lo, exec_lo, s0
	s_mov_b32 s0, 0
	s_cbranch_vccz .LBB369_1666
; %bb.1629:
	v_cmp_gt_i16_e64 s0, s3, 28
	s_delay_alu instid0(VALU_DEP_1)
	s_and_b32 vcc_lo, exec_lo, s0
	s_cbranch_vccz .LBB369_1634
; %bb.1630:
	v_cmp_gt_i16_e64 s0, s3, 43
	s_delay_alu instid0(VALU_DEP_1)
	s_and_b32 vcc_lo, exec_lo, s0
	;; [unrolled: 5-line block ×3, first 2 shown]
	s_cbranch_vccz .LBB369_1638
; %bb.1632:
	v_cmp_eq_u16_e64 s7, s3, 46
	s_mov_b32 s0, -1
	s_mov_b32 s10, 0
	s_delay_alu instid0(VALU_DEP_1)
	s_and_b32 vcc_lo, exec_lo, s7
	s_mov_b32 s7, 0
	s_cbranch_vccz .LBB369_1639
; %bb.1633:
	v_cvt_f32_i32_e32 v3, v4
	s_mov_b32 s0, 0
	s_mov_b32 s7, -1
	s_delay_alu instid0(VALU_DEP_1) | instskip(NEXT) | instid1(VALU_DEP_1)
	v_bfe_u32 v5, v3, 16, 1
	v_add3_u32 v3, v3, v5, 0x7fff
	s_delay_alu instid0(VALU_DEP_1)
	v_lshrrev_b32_e32 v3, 16, v3
	global_store_b32 v[6:7], v3, off
	s_branch .LBB369_1639
.LBB369_1634:
	s_mov_b32 s0, 0
	s_branch .LBB369_1649
.LBB369_1635:
	s_mov_b32 s0, 0
	s_branch .LBB369_1645
.LBB369_1636:
	s_cbranch_execnz .LBB369_1761
; %bb.1637:
	s_or_b32 s1, s1, exec_lo
                                        ; implicit-def: $vgpr8
	s_cbranch_execz .LBB369_1575
	s_branch .LBB369_1576
.LBB369_1638:
	s_mov_b32 s0, 0
.LBB369_1639:
	s_and_b32 vcc_lo, exec_lo, s10
	s_cbranch_vccz .LBB369_1644
; %bb.1640:
	v_cmp_eq_u16_e64 s0, s3, 44
	s_delay_alu instid0(VALU_DEP_1)
	s_and_b32 vcc_lo, exec_lo, s0
	s_mov_b32 s0, -1
	s_cbranch_vccz .LBB369_1644
; %bb.1641:
	v_cvt_f32_i32_e32 v3, v4
	v_mov_b32_e32 v5, 0xff
	s_mov_b32 s7, exec_lo
	s_delay_alu instid0(VALU_DEP_2) | instskip(NEXT) | instid1(VALU_DEP_1)
	v_bfe_u32 v9, v3, 23, 8
	v_cmpx_ne_u32_e32 0xff, v9
; %bb.1642:
	v_and_b32_e32 v5, 0x400000, v3
	v_and_or_b32 v9, 0x3fffff, v3, v9
	v_lshrrev_b32_e32 v3, 23, v3
	s_delay_alu instid0(VALU_DEP_3) | instskip(NEXT) | instid1(VALU_DEP_3)
	v_cmp_ne_u32_e32 vcc_lo, 0, v5
	v_cmp_ne_u32_e64 s0, 0, v9
	s_delay_alu instid0(VALU_DEP_1) | instskip(NEXT) | instid1(SALU_CYCLE_1)
	s_and_b32 s0, vcc_lo, s0
	v_cndmask_b32_e64 v5, 0, 1, s0
	s_delay_alu instid0(VALU_DEP_1)
	v_add_nc_u32_e32 v5, v3, v5
; %bb.1643:
	s_or_b32 exec_lo, exec_lo, s7
	s_mov_b32 s0, 0
	s_mov_b32 s7, -1
	global_store_b8 v[6:7], v5, off
.LBB369_1644:
	s_mov_b32 s10, 0
.LBB369_1645:
	s_delay_alu instid0(SALU_CYCLE_1)
	s_and_b32 vcc_lo, exec_lo, s10
	s_cbranch_vccz .LBB369_1648
; %bb.1646:
	v_cmp_eq_u16_e64 s0, s3, 29
	s_delay_alu instid0(VALU_DEP_1)
	s_and_b32 vcc_lo, exec_lo, s0
	s_mov_b32 s0, -1
	s_cbranch_vccz .LBB369_1648
; %bb.1647:
	v_ashrrev_i32_e32 v5, 31, v4
	s_mov_b32 s0, 0
	s_mov_b32 s7, -1
	s_mov_b32 s10, 0
	global_store_b64 v[6:7], v[4:5], off
	s_branch .LBB369_1649
.LBB369_1648:
	s_mov_b32 s10, 0
.LBB369_1649:
	s_delay_alu instid0(SALU_CYCLE_1)
	s_and_b32 vcc_lo, exec_lo, s10
	s_cbranch_vccz .LBB369_1665
; %bb.1650:
	v_cmp_lt_i16_e64 s7, s3, 27
	s_delay_alu instid0(VALU_DEP_1)
	s_and_b32 vcc_lo, exec_lo, s7
	s_mov_b32 s7, -1
	s_cbranch_vccnz .LBB369_1656
; %bb.1651:
	v_cmp_gt_i16_e64 s7, s3, 27
	s_delay_alu instid0(VALU_DEP_1)
	s_and_b32 vcc_lo, exec_lo, s7
	s_mov_b32 s7, -1
	s_cbranch_vccz .LBB369_1653
; %bb.1652:
	s_mov_b32 s7, 0
	global_store_b32 v[6:7], v4, off
.LBB369_1653:
	s_and_not1_b32 vcc_lo, exec_lo, s7
	s_cbranch_vccnz .LBB369_1655
; %bb.1654:
	global_store_b16 v[6:7], v4, off
.LBB369_1655:
	s_mov_b32 s7, 0
.LBB369_1656:
	s_delay_alu instid0(SALU_CYCLE_1)
	s_and_not1_b32 vcc_lo, exec_lo, s7
	s_cbranch_vccnz .LBB369_1664
; %bb.1657:
	v_cvt_f32_i32_e32 v3, v4
	v_mov_b32_e32 v9, 0x80
	s_mov_b32 s7, exec_lo
	s_delay_alu instid0(VALU_DEP_2) | instskip(NEXT) | instid1(VALU_DEP_1)
	v_and_b32_e32 v5, 0x7fffffff, v3
	v_cmpx_gt_u32_e32 0x43800000, v5
	s_cbranch_execz .LBB369_1663
; %bb.1658:
	v_cmp_lt_u32_e32 vcc_lo, 0x3bffffff, v5
	s_mov_b32 s10, 0
                                        ; implicit-def: $vgpr5
	s_and_saveexec_b32 s11, vcc_lo
	s_delay_alu instid0(SALU_CYCLE_1)
	s_xor_b32 s11, exec_lo, s11
	s_cbranch_execz .LBB369_1758
; %bb.1659:
	v_bfe_u32 v5, v3, 20, 1
	s_mov_b32 s10, exec_lo
	s_delay_alu instid0(VALU_DEP_1) | instskip(NEXT) | instid1(VALU_DEP_1)
	v_add3_u32 v5, v3, v5, 0x487ffff
	v_lshrrev_b32_e32 v5, 20, v5
	s_or_saveexec_b32 s11, s11
                                        ; implicit-def: $sgpr12
	s_delay_alu instid0(SALU_CYCLE_1)
	s_xor_b32 exec_lo, exec_lo, s11
	s_cbranch_execnz .LBB369_1759
.LBB369_1660:
	s_or_b32 exec_lo, exec_lo, s11
	v_mov_b32_e32 v9, s12
	s_and_saveexec_b32 s11, s10
.LBB369_1661:
	v_lshrrev_b32_e32 v3, 24, v3
	s_delay_alu instid0(VALU_DEP_1)
	v_and_or_b32 v9, 0x80, v3, v5
.LBB369_1662:
	s_or_b32 exec_lo, exec_lo, s11
.LBB369_1663:
	s_delay_alu instid0(SALU_CYCLE_1)
	s_or_b32 exec_lo, exec_lo, s7
	global_store_b8 v[6:7], v9, off
.LBB369_1664:
	s_mov_b32 s7, -1
.LBB369_1665:
	s_mov_b32 s10, 0
.LBB369_1666:
	s_delay_alu instid0(SALU_CYCLE_1)
	s_and_b32 vcc_lo, exec_lo, s10
	s_cbranch_vccz .LBB369_1706
; %bb.1667:
	v_cmp_gt_i16_e64 s6, s3, 22
	s_delay_alu instid0(VALU_DEP_1)
	s_and_b32 vcc_lo, exec_lo, s6
	s_mov_b32 s6, -1
	s_cbranch_vccz .LBB369_1699
; %bb.1668:
	v_cmp_lt_i16_e64 s6, s3, 24
	s_delay_alu instid0(VALU_DEP_1)
	s_and_b32 vcc_lo, exec_lo, s6
	s_mov_b32 s6, -1
	s_cbranch_vccnz .LBB369_1688
; %bb.1669:
	v_cmp_gt_i16_e64 s6, s3, 24
	s_delay_alu instid0(VALU_DEP_1)
	s_and_b32 vcc_lo, exec_lo, s6
	s_mov_b32 s6, -1
	s_cbranch_vccz .LBB369_1677
; %bb.1670:
	v_cvt_f32_i32_e32 v3, v4
	v_mov_b32_e32 v9, 0x80
	s_mov_b32 s6, exec_lo
	s_delay_alu instid0(VALU_DEP_2) | instskip(NEXT) | instid1(VALU_DEP_1)
	v_and_b32_e32 v5, 0x7fffffff, v3
	v_cmpx_gt_u32_e32 0x47800000, v5
	s_cbranch_execz .LBB369_1676
; %bb.1671:
	v_cmp_lt_u32_e32 vcc_lo, 0x37ffffff, v5
	s_mov_b32 s7, 0
                                        ; implicit-def: $vgpr5
	s_and_saveexec_b32 s10, vcc_lo
	s_delay_alu instid0(SALU_CYCLE_1)
	s_xor_b32 s10, exec_lo, s10
	s_cbranch_execz .LBB369_1765
; %bb.1672:
	v_bfe_u32 v5, v3, 21, 1
	s_mov_b32 s7, exec_lo
	s_delay_alu instid0(VALU_DEP_1) | instskip(NEXT) | instid1(VALU_DEP_1)
	v_add3_u32 v5, v3, v5, 0x88fffff
	v_lshrrev_b32_e32 v5, 21, v5
	s_or_saveexec_b32 s10, s10
                                        ; implicit-def: $sgpr11
	s_delay_alu instid0(SALU_CYCLE_1)
	s_xor_b32 exec_lo, exec_lo, s10
	s_cbranch_execnz .LBB369_1766
.LBB369_1673:
	s_or_b32 exec_lo, exec_lo, s10
	v_mov_b32_e32 v9, s11
	s_and_saveexec_b32 s10, s7
.LBB369_1674:
	v_lshrrev_b32_e32 v3, 24, v3
	s_delay_alu instid0(VALU_DEP_1)
	v_and_or_b32 v9, 0x80, v3, v5
.LBB369_1675:
	s_or_b32 exec_lo, exec_lo, s10
.LBB369_1676:
	s_delay_alu instid0(SALU_CYCLE_1)
	s_or_b32 exec_lo, exec_lo, s6
	s_mov_b32 s6, 0
	global_store_b8 v[6:7], v9, off
.LBB369_1677:
	s_and_b32 vcc_lo, exec_lo, s6
	s_cbranch_vccz .LBB369_1687
; %bb.1678:
	v_cvt_f32_i32_e32 v3, v4
	s_mov_b32 s6, exec_lo
                                        ; implicit-def: $vgpr5
	s_delay_alu instid0(VALU_DEP_1) | instskip(NEXT) | instid1(VALU_DEP_1)
	v_and_b32_e32 v9, 0x7fffffff, v3
	v_cmpx_gt_u32_e32 0x43f00000, v9
	s_xor_b32 s6, exec_lo, s6
	s_cbranch_execz .LBB369_1684
; %bb.1679:
	s_mov_b32 s7, exec_lo
                                        ; implicit-def: $vgpr5
	v_cmpx_lt_u32_e32 0x3c7fffff, v9
	s_xor_b32 s7, exec_lo, s7
; %bb.1680:
	v_bfe_u32 v5, v3, 20, 1
	s_delay_alu instid0(VALU_DEP_1) | instskip(NEXT) | instid1(VALU_DEP_1)
	v_add3_u32 v5, v3, v5, 0x407ffff
	v_and_b32_e32 v9, 0xff00000, v5
	v_lshrrev_b32_e32 v5, 20, v5
	s_delay_alu instid0(VALU_DEP_2) | instskip(NEXT) | instid1(VALU_DEP_2)
	v_cmp_ne_u32_e32 vcc_lo, 0x7f00000, v9
	v_cndmask_b32_e32 v5, 0x7e, v5, vcc_lo
; %bb.1681:
	s_and_not1_saveexec_b32 s7, s7
; %bb.1682:
	v_add_f32_e64 v5, 0x46800000, |v3|
; %bb.1683:
	s_or_b32 exec_lo, exec_lo, s7
                                        ; implicit-def: $vgpr9
.LBB369_1684:
	s_and_not1_saveexec_b32 s6, s6
; %bb.1685:
	v_mov_b32_e32 v5, 0x7f
	v_cmp_lt_u32_e32 vcc_lo, 0x7f800000, v9
	s_delay_alu instid0(VALU_DEP_2)
	v_cndmask_b32_e32 v5, 0x7e, v5, vcc_lo
; %bb.1686:
	s_or_b32 exec_lo, exec_lo, s6
	v_lshrrev_b32_e32 v3, 24, v3
	s_delay_alu instid0(VALU_DEP_1)
	v_and_or_b32 v3, 0x80, v3, v5
	global_store_b8 v[6:7], v3, off
.LBB369_1687:
	s_mov_b32 s6, 0
.LBB369_1688:
	s_delay_alu instid0(SALU_CYCLE_1)
	s_and_not1_b32 vcc_lo, exec_lo, s6
	s_cbranch_vccnz .LBB369_1698
; %bb.1689:
	v_cvt_f32_i32_e32 v3, v4
	s_mov_b32 s6, exec_lo
                                        ; implicit-def: $vgpr5
	s_delay_alu instid0(VALU_DEP_1) | instskip(NEXT) | instid1(VALU_DEP_1)
	v_and_b32_e32 v9, 0x7fffffff, v3
	v_cmpx_gt_u32_e32 0x47800000, v9
	s_xor_b32 s6, exec_lo, s6
	s_cbranch_execz .LBB369_1695
; %bb.1690:
	s_mov_b32 s7, exec_lo
                                        ; implicit-def: $vgpr5
	v_cmpx_lt_u32_e32 0x387fffff, v9
	s_xor_b32 s7, exec_lo, s7
; %bb.1691:
	v_bfe_u32 v5, v3, 21, 1
	s_delay_alu instid0(VALU_DEP_1) | instskip(NEXT) | instid1(VALU_DEP_1)
	v_add3_u32 v5, v3, v5, 0x80fffff
	v_lshrrev_b32_e32 v5, 21, v5
; %bb.1692:
	s_and_not1_saveexec_b32 s7, s7
; %bb.1693:
	v_add_f32_e64 v5, 0x43000000, |v3|
; %bb.1694:
	s_or_b32 exec_lo, exec_lo, s7
                                        ; implicit-def: $vgpr9
.LBB369_1695:
	s_and_not1_saveexec_b32 s6, s6
; %bb.1696:
	v_mov_b32_e32 v5, 0x7f
	v_cmp_lt_u32_e32 vcc_lo, 0x7f800000, v9
	s_delay_alu instid0(VALU_DEP_2)
	v_cndmask_b32_e32 v5, 0x7c, v5, vcc_lo
; %bb.1697:
	s_or_b32 exec_lo, exec_lo, s6
	v_lshrrev_b32_e32 v3, 24, v3
	s_delay_alu instid0(VALU_DEP_1)
	v_and_or_b32 v3, 0x80, v3, v5
	global_store_b8 v[6:7], v3, off
.LBB369_1698:
	s_mov_b32 s6, 0
	s_mov_b32 s7, -1
.LBB369_1699:
	s_and_not1_b32 vcc_lo, exec_lo, s6
	s_mov_b32 s6, 0
	s_cbranch_vccnz .LBB369_1706
; %bb.1700:
	v_cmp_gt_i16_e64 s6, s3, 14
	s_delay_alu instid0(VALU_DEP_1)
	s_and_b32 vcc_lo, exec_lo, s6
	s_mov_b32 s6, -1
	s_cbranch_vccz .LBB369_1704
; %bb.1701:
	v_cmp_eq_u16_e64 s0, s3, 15
	s_delay_alu instid0(VALU_DEP_1)
	s_and_b32 vcc_lo, exec_lo, s0
	s_mov_b32 s0, -1
	s_cbranch_vccz .LBB369_1703
; %bb.1702:
	v_cvt_f32_i32_e32 v3, v4
	s_mov_b32 s0, 0
	s_mov_b32 s7, -1
	s_delay_alu instid0(VALU_DEP_1) | instskip(NEXT) | instid1(VALU_DEP_1)
	v_bfe_u32 v5, v3, 16, 1
	v_add3_u32 v3, v3, v5, 0x7fff
	global_store_d16_hi_b16 v[6:7], v3, off
.LBB369_1703:
	s_mov_b32 s6, 0
.LBB369_1704:
	s_delay_alu instid0(SALU_CYCLE_1)
	s_and_b32 vcc_lo, exec_lo, s6
	s_mov_b32 s6, 0
	s_cbranch_vccz .LBB369_1706
; %bb.1705:
	v_cmp_ne_u16_e64 s0, s3, 11
	s_mov_b32 s6, -1
.LBB369_1706:
	s_delay_alu instid0(VALU_DEP_1)
	s_and_b32 vcc_lo, exec_lo, s0
	s_cbranch_vccnz .LBB369_1763
; %bb.1707:
	s_and_not1_b32 vcc_lo, exec_lo, s6
	s_cbranch_vccnz .LBB369_1709
.LBB369_1708:
	v_cmp_ne_u32_e32 vcc_lo, 0, v4
	s_mov_b32 s7, -1
	v_cndmask_b32_e64 v3, 0, 1, vcc_lo
	global_store_b8 v[6:7], v3, off
.LBB369_1709:
	s_mov_b32 s0, 0
.LBB369_1710:
	s_delay_alu instid0(SALU_CYCLE_1)
	s_and_b32 vcc_lo, exec_lo, s0
	s_cbranch_vccz .LBB369_1749
; %bb.1711:
	v_cmp_lt_i16_e64 s0, s3, 5
	s_delay_alu instid0(VALU_DEP_1)
	s_and_b32 vcc_lo, exec_lo, s0
	s_mov_b32 s0, -1
	s_cbranch_vccnz .LBB369_1732
; %bb.1712:
	v_cmp_lt_i16_e64 s0, s3, 8
	s_delay_alu instid0(VALU_DEP_1)
	s_and_b32 vcc_lo, exec_lo, s0
	s_mov_b32 s0, -1
	s_cbranch_vccnz .LBB369_1722
	;; [unrolled: 6-line block ×3, first 2 shown]
; %bb.1714:
	v_cmp_gt_i16_e64 s0, s3, 9
	s_delay_alu instid0(VALU_DEP_1)
	s_and_b32 vcc_lo, exec_lo, s0
	s_mov_b32 s0, -1
	s_cbranch_vccz .LBB369_1716
; %bb.1715:
	v_cvt_f64_i32_e32 v[12:13], v4
	v_mov_b32_e32 v14, 0
	s_mov_b32 s0, 0
	s_delay_alu instid0(VALU_DEP_1)
	v_mov_b32_e32 v15, v14
	global_store_b128 v[6:7], v[12:15], off
.LBB369_1716:
	s_and_not1_b32 vcc_lo, exec_lo, s0
	s_cbranch_vccnz .LBB369_1718
; %bb.1717:
	v_cvt_f32_i32_e32 v12, v4
	v_mov_b32_e32 v13, 0
	global_store_b64 v[6:7], v[12:13], off
.LBB369_1718:
	s_mov_b32 s0, 0
.LBB369_1719:
	s_delay_alu instid0(SALU_CYCLE_1)
	s_and_not1_b32 vcc_lo, exec_lo, s0
	s_cbranch_vccnz .LBB369_1721
; %bb.1720:
	v_cvt_f32_i32_e32 v3, v4
	s_delay_alu instid0(VALU_DEP_1) | instskip(NEXT) | instid1(VALU_DEP_1)
	v_cvt_f16_f32_e32 v3, v3
	v_and_b32_e32 v3, 0xffff, v3
	global_store_b32 v[6:7], v3, off
.LBB369_1721:
	s_mov_b32 s0, 0
.LBB369_1722:
	s_delay_alu instid0(SALU_CYCLE_1)
	s_and_not1_b32 vcc_lo, exec_lo, s0
	s_cbranch_vccnz .LBB369_1731
; %bb.1723:
	v_cmp_lt_i16_e64 s0, s3, 6
	s_delay_alu instid0(VALU_DEP_1)
	s_and_b32 vcc_lo, exec_lo, s0
	s_mov_b32 s0, -1
	s_cbranch_vccnz .LBB369_1729
; %bb.1724:
	v_cmp_gt_i16_e64 s0, s3, 6
	s_delay_alu instid0(VALU_DEP_1)
	s_and_b32 vcc_lo, exec_lo, s0
	s_mov_b32 s0, -1
	s_cbranch_vccz .LBB369_1726
; %bb.1725:
	v_cvt_f64_i32_e32 v[12:13], v4
	s_mov_b32 s0, 0
	global_store_b64 v[6:7], v[12:13], off
.LBB369_1726:
	s_and_not1_b32 vcc_lo, exec_lo, s0
	s_cbranch_vccnz .LBB369_1728
; %bb.1727:
	v_cvt_f32_i32_e32 v3, v4
	global_store_b32 v[6:7], v3, off
.LBB369_1728:
	s_mov_b32 s0, 0
.LBB369_1729:
	s_delay_alu instid0(SALU_CYCLE_1)
	s_and_not1_b32 vcc_lo, exec_lo, s0
	s_cbranch_vccnz .LBB369_1731
; %bb.1730:
	v_cvt_f32_i32_e32 v3, v4
	s_delay_alu instid0(VALU_DEP_1)
	v_cvt_f16_f32_e32 v3, v3
	global_store_b16 v[6:7], v3, off
.LBB369_1731:
	s_mov_b32 s0, 0
.LBB369_1732:
	s_delay_alu instid0(SALU_CYCLE_1)
	s_and_not1_b32 vcc_lo, exec_lo, s0
	s_cbranch_vccnz .LBB369_1748
; %bb.1733:
	v_cmp_lt_i16_e64 s0, s3, 2
	s_delay_alu instid0(VALU_DEP_1)
	s_and_b32 vcc_lo, exec_lo, s0
	s_mov_b32 s0, -1
	s_cbranch_vccnz .LBB369_1743
; %bb.1734:
	v_cmp_lt_i16_e64 s0, s3, 3
	s_delay_alu instid0(VALU_DEP_1)
	s_and_b32 vcc_lo, exec_lo, s0
	s_mov_b32 s0, -1
	s_cbranch_vccnz .LBB369_1740
; %bb.1735:
	v_cmp_gt_i16_e64 s0, s3, 3
	s_delay_alu instid0(VALU_DEP_1)
	s_and_b32 vcc_lo, exec_lo, s0
	s_mov_b32 s0, -1
	s_cbranch_vccz .LBB369_1737
; %bb.1736:
	v_ashrrev_i32_e32 v5, 31, v4
	s_mov_b32 s0, 0
	global_store_b64 v[6:7], v[4:5], off
.LBB369_1737:
	s_and_not1_b32 vcc_lo, exec_lo, s0
	s_cbranch_vccnz .LBB369_1739
; %bb.1738:
	global_store_b32 v[6:7], v4, off
.LBB369_1739:
	s_mov_b32 s0, 0
.LBB369_1740:
	s_delay_alu instid0(SALU_CYCLE_1)
	s_and_not1_b32 vcc_lo, exec_lo, s0
	s_cbranch_vccnz .LBB369_1742
; %bb.1741:
	global_store_b16 v[6:7], v4, off
.LBB369_1742:
	s_mov_b32 s0, 0
.LBB369_1743:
	s_delay_alu instid0(SALU_CYCLE_1)
	s_and_not1_b32 vcc_lo, exec_lo, s0
	s_cbranch_vccnz .LBB369_1748
; %bb.1744:
	v_cmp_gt_i16_e64 s0, s3, 0
	s_delay_alu instid0(VALU_DEP_1)
	s_and_b32 vcc_lo, exec_lo, s0
	s_mov_b32 s0, -1
	s_cbranch_vccz .LBB369_1746
; %bb.1745:
	s_mov_b32 s0, 0
	global_store_b8 v[6:7], v4, off
.LBB369_1746:
	s_and_not1_b32 vcc_lo, exec_lo, s0
	s_cbranch_vccnz .LBB369_1748
; %bb.1747:
	global_store_b8 v[6:7], v4, off
.LBB369_1748:
	s_mov_b32 s7, -1
.LBB369_1749:
	s_delay_alu instid0(SALU_CYCLE_1)
	s_and_not1_b32 vcc_lo, exec_lo, s7
	s_cbranch_vccnz .LBB369_2016
; %bb.1750:
	v_cmp_lt_i16_e64 s0, s3, 11
	v_add_co_u32 v5, s6, s4, v2
	s_waitcnt vmcnt(0)
	v_max_i32_e32 v3, s2, v11
	v_add_co_ci_u32_e64 v6, null, s5, 0, s6
	s_mov_b32 s7, 0
	s_and_b32 vcc_lo, exec_lo, s0
	s_mov_b32 s0, -1
	s_cbranch_vccnz .LBB369_1839
; %bb.1751:
	v_cmp_gt_i16_e64 s0, s3, 25
	s_mov_b32 s10, -1
	s_mov_b32 s6, 0
	s_delay_alu instid0(VALU_DEP_1)
	s_and_b32 vcc_lo, exec_lo, s0
	s_mov_b32 s0, 0
	s_cbranch_vccz .LBB369_1795
; %bb.1752:
	v_cmp_gt_i16_e64 s0, s3, 28
	s_delay_alu instid0(VALU_DEP_1)
	s_and_b32 vcc_lo, exec_lo, s0
	s_cbranch_vccz .LBB369_1757
; %bb.1753:
	v_cmp_gt_i16_e64 s0, s3, 43
	s_delay_alu instid0(VALU_DEP_1)
	s_and_b32 vcc_lo, exec_lo, s0
	;; [unrolled: 5-line block ×3, first 2 shown]
	s_cbranch_vccz .LBB369_1767
; %bb.1755:
	v_cmp_eq_u16_e64 s7, s3, 46
	s_mov_b32 s0, -1
	s_mov_b32 s10, 0
	s_delay_alu instid0(VALU_DEP_1)
	s_and_b32 vcc_lo, exec_lo, s7
	s_mov_b32 s7, 0
	s_cbranch_vccz .LBB369_1768
; %bb.1756:
	v_cvt_f32_i32_e32 v2, v3
	s_mov_b32 s0, 0
	s_mov_b32 s7, -1
	s_delay_alu instid0(VALU_DEP_1) | instskip(NEXT) | instid1(VALU_DEP_1)
	v_bfe_u32 v4, v2, 16, 1
	v_add3_u32 v2, v2, v4, 0x7fff
	s_delay_alu instid0(VALU_DEP_1)
	v_lshrrev_b32_e32 v2, 16, v2
	global_store_b32 v[5:6], v2, off
	s_branch .LBB369_1768
.LBB369_1757:
	s_mov_b32 s0, 0
	s_branch .LBB369_1778
.LBB369_1758:
	s_or_saveexec_b32 s11, s11
                                        ; implicit-def: $sgpr12
	s_delay_alu instid0(SALU_CYCLE_1)
	s_xor_b32 exec_lo, exec_lo, s11
	s_cbranch_execz .LBB369_1660
.LBB369_1759:
	v_add_f32_e64 v5, 0x46000000, |v3|
	s_and_not1_b32 s10, s10, exec_lo
	s_mov_b32 s12, 0
	s_delay_alu instid0(VALU_DEP_1) | instskip(NEXT) | instid1(VALU_DEP_1)
	v_and_b32_e32 v5, 0xff, v5
	v_cmp_ne_u32_e32 vcc_lo, 0, v5
	s_and_b32 s13, vcc_lo, exec_lo
	s_delay_alu instid0(SALU_CYCLE_1)
	s_or_b32 s10, s10, s13
	s_or_b32 exec_lo, exec_lo, s11
	v_mov_b32_e32 v9, s12
	s_and_saveexec_b32 s11, s10
	s_cbranch_execnz .LBB369_1661
	s_branch .LBB369_1662
.LBB369_1760:
	s_mov_b32 s0, 0
	s_branch .LBB369_1774
.LBB369_1761:
	s_trap 2
	s_sendmsg_rtn_b32 s0, sendmsg(MSG_RTN_GET_DOORBELL)
	s_mov_b32 ttmp2, m0
	s_waitcnt lgkmcnt(0)
	s_and_b32 s0, s0, 0x3ff
	s_delay_alu instid0(SALU_CYCLE_1) | instskip(NEXT) | instid1(SALU_CYCLE_1)
	s_bitset1_b32 s0, 10
	s_mov_b32 m0, s0
	s_sendmsg sendmsg(MSG_INTERRUPT)
	s_mov_b32 m0, ttmp2
.LBB369_1762:                           ; =>This Inner Loop Header: Depth=1
	s_sethalt 5
	s_branch .LBB369_1762
.LBB369_1763:
	s_cbranch_execnz .LBB369_1890
; %bb.1764:
	s_or_b32 s1, s1, exec_lo
	s_cbranch_execz .LBB369_1708
	s_branch .LBB369_1709
.LBB369_1765:
	s_or_saveexec_b32 s10, s10
                                        ; implicit-def: $sgpr11
	s_delay_alu instid0(SALU_CYCLE_1)
	s_xor_b32 exec_lo, exec_lo, s10
	s_cbranch_execz .LBB369_1673
.LBB369_1766:
	v_add_f32_e64 v5, 0x42800000, |v3|
	s_and_not1_b32 s7, s7, exec_lo
	s_mov_b32 s11, 0
	s_delay_alu instid0(VALU_DEP_1) | instskip(NEXT) | instid1(VALU_DEP_1)
	v_and_b32_e32 v5, 0xff, v5
	v_cmp_ne_u32_e32 vcc_lo, 0, v5
	s_and_b32 s12, vcc_lo, exec_lo
	s_delay_alu instid0(SALU_CYCLE_1)
	s_or_b32 s7, s7, s12
	s_or_b32 exec_lo, exec_lo, s10
	v_mov_b32_e32 v9, s11
	s_and_saveexec_b32 s10, s7
	s_cbranch_execnz .LBB369_1674
	s_branch .LBB369_1675
.LBB369_1767:
	s_mov_b32 s0, 0
.LBB369_1768:
	s_and_b32 vcc_lo, exec_lo, s10
	s_cbranch_vccz .LBB369_1773
; %bb.1769:
	v_cmp_eq_u16_e64 s0, s3, 44
	s_delay_alu instid0(VALU_DEP_1)
	s_and_b32 vcc_lo, exec_lo, s0
	s_mov_b32 s0, -1
	s_cbranch_vccz .LBB369_1773
; %bb.1770:
	v_cvt_f32_i32_e32 v2, v3
	v_mov_b32_e32 v4, 0xff
	s_mov_b32 s7, exec_lo
	s_delay_alu instid0(VALU_DEP_2) | instskip(NEXT) | instid1(VALU_DEP_1)
	v_bfe_u32 v7, v2, 23, 8
	v_cmpx_ne_u32_e32 0xff, v7
; %bb.1771:
	v_and_b32_e32 v4, 0x400000, v2
	v_and_or_b32 v7, 0x3fffff, v2, v7
	v_lshrrev_b32_e32 v2, 23, v2
	s_delay_alu instid0(VALU_DEP_3) | instskip(NEXT) | instid1(VALU_DEP_3)
	v_cmp_ne_u32_e32 vcc_lo, 0, v4
	v_cmp_ne_u32_e64 s0, 0, v7
	s_delay_alu instid0(VALU_DEP_1) | instskip(NEXT) | instid1(SALU_CYCLE_1)
	s_and_b32 s0, vcc_lo, s0
	v_cndmask_b32_e64 v4, 0, 1, s0
	s_delay_alu instid0(VALU_DEP_1)
	v_add_nc_u32_e32 v4, v2, v4
; %bb.1772:
	s_or_b32 exec_lo, exec_lo, s7
	s_mov_b32 s0, 0
	s_mov_b32 s7, -1
	global_store_b8 v[5:6], v4, off
.LBB369_1773:
	s_mov_b32 s10, 0
.LBB369_1774:
	s_delay_alu instid0(SALU_CYCLE_1)
	s_and_b32 vcc_lo, exec_lo, s10
	s_cbranch_vccz .LBB369_1777
; %bb.1775:
	v_cmp_eq_u16_e64 s0, s3, 29
	s_delay_alu instid0(VALU_DEP_1)
	s_and_b32 vcc_lo, exec_lo, s0
	s_mov_b32 s0, -1
	s_cbranch_vccz .LBB369_1777
; %bb.1776:
	v_ashrrev_i32_e32 v4, 31, v3
	s_mov_b32 s0, 0
	s_mov_b32 s7, -1
	s_mov_b32 s10, 0
	global_store_b64 v[5:6], v[3:4], off
	s_branch .LBB369_1778
.LBB369_1777:
	s_mov_b32 s10, 0
.LBB369_1778:
	s_delay_alu instid0(SALU_CYCLE_1)
	s_and_b32 vcc_lo, exec_lo, s10
	s_cbranch_vccz .LBB369_1794
; %bb.1779:
	v_cmp_lt_i16_e64 s7, s3, 27
	s_delay_alu instid0(VALU_DEP_1)
	s_and_b32 vcc_lo, exec_lo, s7
	s_mov_b32 s7, -1
	s_cbranch_vccnz .LBB369_1785
; %bb.1780:
	v_cmp_gt_i16_e64 s7, s3, 27
	s_delay_alu instid0(VALU_DEP_1)
	s_and_b32 vcc_lo, exec_lo, s7
	s_mov_b32 s7, -1
	s_cbranch_vccz .LBB369_1782
; %bb.1781:
	s_mov_b32 s7, 0
	global_store_b32 v[5:6], v3, off
.LBB369_1782:
	s_and_not1_b32 vcc_lo, exec_lo, s7
	s_cbranch_vccnz .LBB369_1784
; %bb.1783:
	global_store_b16 v[5:6], v3, off
.LBB369_1784:
	s_mov_b32 s7, 0
.LBB369_1785:
	s_delay_alu instid0(SALU_CYCLE_1)
	s_and_not1_b32 vcc_lo, exec_lo, s7
	s_cbranch_vccnz .LBB369_1793
; %bb.1786:
	v_cvt_f32_i32_e32 v2, v3
	v_mov_b32_e32 v7, 0x80
	s_mov_b32 s7, exec_lo
	s_delay_alu instid0(VALU_DEP_2) | instskip(NEXT) | instid1(VALU_DEP_1)
	v_and_b32_e32 v4, 0x7fffffff, v2
	v_cmpx_gt_u32_e32 0x43800000, v4
	s_cbranch_execz .LBB369_1792
; %bb.1787:
	v_cmp_lt_u32_e32 vcc_lo, 0x3bffffff, v4
	s_mov_b32 s10, 0
                                        ; implicit-def: $vgpr4
	s_and_saveexec_b32 s11, vcc_lo
	s_delay_alu instid0(SALU_CYCLE_1)
	s_xor_b32 s11, exec_lo, s11
	s_cbranch_execz .LBB369_1887
; %bb.1788:
	v_bfe_u32 v4, v2, 20, 1
	s_mov_b32 s10, exec_lo
	s_delay_alu instid0(VALU_DEP_1) | instskip(NEXT) | instid1(VALU_DEP_1)
	v_add3_u32 v4, v2, v4, 0x487ffff
	v_lshrrev_b32_e32 v4, 20, v4
	s_or_saveexec_b32 s11, s11
                                        ; implicit-def: $sgpr12
	s_delay_alu instid0(SALU_CYCLE_1)
	s_xor_b32 exec_lo, exec_lo, s11
	s_cbranch_execnz .LBB369_1888
.LBB369_1789:
	s_or_b32 exec_lo, exec_lo, s11
	v_mov_b32_e32 v7, s12
	s_and_saveexec_b32 s11, s10
.LBB369_1790:
	v_lshrrev_b32_e32 v2, 24, v2
	s_delay_alu instid0(VALU_DEP_1)
	v_and_or_b32 v7, 0x80, v2, v4
.LBB369_1791:
	s_or_b32 exec_lo, exec_lo, s11
.LBB369_1792:
	s_delay_alu instid0(SALU_CYCLE_1)
	s_or_b32 exec_lo, exec_lo, s7
	global_store_b8 v[5:6], v7, off
.LBB369_1793:
	s_mov_b32 s7, -1
.LBB369_1794:
	s_mov_b32 s10, 0
.LBB369_1795:
	s_delay_alu instid0(SALU_CYCLE_1)
	s_and_b32 vcc_lo, exec_lo, s10
	s_cbranch_vccz .LBB369_1835
; %bb.1796:
	v_cmp_gt_i16_e64 s6, s3, 22
	s_delay_alu instid0(VALU_DEP_1)
	s_and_b32 vcc_lo, exec_lo, s6
	s_mov_b32 s6, -1
	s_cbranch_vccz .LBB369_1828
; %bb.1797:
	v_cmp_lt_i16_e64 s6, s3, 24
	s_delay_alu instid0(VALU_DEP_1)
	s_and_b32 vcc_lo, exec_lo, s6
	s_mov_b32 s6, -1
	s_cbranch_vccnz .LBB369_1817
; %bb.1798:
	v_cmp_gt_i16_e64 s6, s3, 24
	s_delay_alu instid0(VALU_DEP_1)
	s_and_b32 vcc_lo, exec_lo, s6
	s_mov_b32 s6, -1
	s_cbranch_vccz .LBB369_1806
; %bb.1799:
	v_cvt_f32_i32_e32 v2, v3
	v_mov_b32_e32 v7, 0x80
	s_mov_b32 s6, exec_lo
	s_delay_alu instid0(VALU_DEP_2) | instskip(NEXT) | instid1(VALU_DEP_1)
	v_and_b32_e32 v4, 0x7fffffff, v2
	v_cmpx_gt_u32_e32 0x47800000, v4
	s_cbranch_execz .LBB369_1805
; %bb.1800:
	v_cmp_lt_u32_e32 vcc_lo, 0x37ffffff, v4
	s_mov_b32 s7, 0
                                        ; implicit-def: $vgpr4
	s_and_saveexec_b32 s10, vcc_lo
	s_delay_alu instid0(SALU_CYCLE_1)
	s_xor_b32 s10, exec_lo, s10
	s_cbranch_execz .LBB369_1894
; %bb.1801:
	v_bfe_u32 v4, v2, 21, 1
	s_mov_b32 s7, exec_lo
	s_delay_alu instid0(VALU_DEP_1) | instskip(NEXT) | instid1(VALU_DEP_1)
	v_add3_u32 v4, v2, v4, 0x88fffff
	v_lshrrev_b32_e32 v4, 21, v4
	s_or_saveexec_b32 s10, s10
                                        ; implicit-def: $sgpr11
	s_delay_alu instid0(SALU_CYCLE_1)
	s_xor_b32 exec_lo, exec_lo, s10
	s_cbranch_execnz .LBB369_1895
.LBB369_1802:
	s_or_b32 exec_lo, exec_lo, s10
	v_mov_b32_e32 v7, s11
	s_and_saveexec_b32 s10, s7
.LBB369_1803:
	v_lshrrev_b32_e32 v2, 24, v2
	s_delay_alu instid0(VALU_DEP_1)
	v_and_or_b32 v7, 0x80, v2, v4
.LBB369_1804:
	s_or_b32 exec_lo, exec_lo, s10
.LBB369_1805:
	s_delay_alu instid0(SALU_CYCLE_1)
	s_or_b32 exec_lo, exec_lo, s6
	s_mov_b32 s6, 0
	global_store_b8 v[5:6], v7, off
.LBB369_1806:
	s_and_b32 vcc_lo, exec_lo, s6
	s_cbranch_vccz .LBB369_1816
; %bb.1807:
	v_cvt_f32_i32_e32 v2, v3
	s_mov_b32 s6, exec_lo
                                        ; implicit-def: $vgpr4
	s_delay_alu instid0(VALU_DEP_1) | instskip(NEXT) | instid1(VALU_DEP_1)
	v_and_b32_e32 v7, 0x7fffffff, v2
	v_cmpx_gt_u32_e32 0x43f00000, v7
	s_xor_b32 s6, exec_lo, s6
	s_cbranch_execz .LBB369_1813
; %bb.1808:
	s_mov_b32 s7, exec_lo
                                        ; implicit-def: $vgpr4
	v_cmpx_lt_u32_e32 0x3c7fffff, v7
	s_xor_b32 s7, exec_lo, s7
; %bb.1809:
	v_bfe_u32 v4, v2, 20, 1
	s_delay_alu instid0(VALU_DEP_1) | instskip(NEXT) | instid1(VALU_DEP_1)
	v_add3_u32 v4, v2, v4, 0x407ffff
	v_and_b32_e32 v7, 0xff00000, v4
	v_lshrrev_b32_e32 v4, 20, v4
	s_delay_alu instid0(VALU_DEP_2) | instskip(NEXT) | instid1(VALU_DEP_2)
	v_cmp_ne_u32_e32 vcc_lo, 0x7f00000, v7
	v_cndmask_b32_e32 v4, 0x7e, v4, vcc_lo
; %bb.1810:
	s_and_not1_saveexec_b32 s7, s7
; %bb.1811:
	v_add_f32_e64 v4, 0x46800000, |v2|
; %bb.1812:
	s_or_b32 exec_lo, exec_lo, s7
                                        ; implicit-def: $vgpr7
.LBB369_1813:
	s_and_not1_saveexec_b32 s6, s6
; %bb.1814:
	v_mov_b32_e32 v4, 0x7f
	v_cmp_lt_u32_e32 vcc_lo, 0x7f800000, v7
	s_delay_alu instid0(VALU_DEP_2)
	v_cndmask_b32_e32 v4, 0x7e, v4, vcc_lo
; %bb.1815:
	s_or_b32 exec_lo, exec_lo, s6
	v_lshrrev_b32_e32 v2, 24, v2
	s_delay_alu instid0(VALU_DEP_1)
	v_and_or_b32 v2, 0x80, v2, v4
	global_store_b8 v[5:6], v2, off
.LBB369_1816:
	s_mov_b32 s6, 0
.LBB369_1817:
	s_delay_alu instid0(SALU_CYCLE_1)
	s_and_not1_b32 vcc_lo, exec_lo, s6
	s_cbranch_vccnz .LBB369_1827
; %bb.1818:
	v_cvt_f32_i32_e32 v2, v3
	s_mov_b32 s6, exec_lo
                                        ; implicit-def: $vgpr4
	s_delay_alu instid0(VALU_DEP_1) | instskip(NEXT) | instid1(VALU_DEP_1)
	v_and_b32_e32 v7, 0x7fffffff, v2
	v_cmpx_gt_u32_e32 0x47800000, v7
	s_xor_b32 s6, exec_lo, s6
	s_cbranch_execz .LBB369_1824
; %bb.1819:
	s_mov_b32 s7, exec_lo
                                        ; implicit-def: $vgpr4
	v_cmpx_lt_u32_e32 0x387fffff, v7
	s_xor_b32 s7, exec_lo, s7
; %bb.1820:
	v_bfe_u32 v4, v2, 21, 1
	s_delay_alu instid0(VALU_DEP_1) | instskip(NEXT) | instid1(VALU_DEP_1)
	v_add3_u32 v4, v2, v4, 0x80fffff
	v_lshrrev_b32_e32 v4, 21, v4
; %bb.1821:
	s_and_not1_saveexec_b32 s7, s7
; %bb.1822:
	v_add_f32_e64 v4, 0x43000000, |v2|
; %bb.1823:
	s_or_b32 exec_lo, exec_lo, s7
                                        ; implicit-def: $vgpr7
.LBB369_1824:
	s_and_not1_saveexec_b32 s6, s6
; %bb.1825:
	v_mov_b32_e32 v4, 0x7f
	v_cmp_lt_u32_e32 vcc_lo, 0x7f800000, v7
	s_delay_alu instid0(VALU_DEP_2)
	v_cndmask_b32_e32 v4, 0x7c, v4, vcc_lo
; %bb.1826:
	s_or_b32 exec_lo, exec_lo, s6
	v_lshrrev_b32_e32 v2, 24, v2
	s_delay_alu instid0(VALU_DEP_1)
	v_and_or_b32 v2, 0x80, v2, v4
	global_store_b8 v[5:6], v2, off
.LBB369_1827:
	s_mov_b32 s6, 0
	s_mov_b32 s7, -1
.LBB369_1828:
	s_and_not1_b32 vcc_lo, exec_lo, s6
	s_mov_b32 s6, 0
	s_cbranch_vccnz .LBB369_1835
; %bb.1829:
	v_cmp_gt_i16_e64 s6, s3, 14
	s_delay_alu instid0(VALU_DEP_1)
	s_and_b32 vcc_lo, exec_lo, s6
	s_mov_b32 s6, -1
	s_cbranch_vccz .LBB369_1833
; %bb.1830:
	v_cmp_eq_u16_e64 s0, s3, 15
	s_delay_alu instid0(VALU_DEP_1)
	s_and_b32 vcc_lo, exec_lo, s0
	s_mov_b32 s0, -1
	s_cbranch_vccz .LBB369_1832
; %bb.1831:
	v_cvt_f32_i32_e32 v2, v3
	s_mov_b32 s0, 0
	s_mov_b32 s7, -1
	s_delay_alu instid0(VALU_DEP_1) | instskip(NEXT) | instid1(VALU_DEP_1)
	v_bfe_u32 v4, v2, 16, 1
	v_add3_u32 v2, v2, v4, 0x7fff
	global_store_d16_hi_b16 v[5:6], v2, off
.LBB369_1832:
	s_mov_b32 s6, 0
.LBB369_1833:
	s_delay_alu instid0(SALU_CYCLE_1)
	s_and_b32 vcc_lo, exec_lo, s6
	s_mov_b32 s6, 0
	s_cbranch_vccz .LBB369_1835
; %bb.1834:
	v_cmp_ne_u16_e64 s0, s3, 11
	s_mov_b32 s6, -1
.LBB369_1835:
	s_delay_alu instid0(VALU_DEP_1)
	s_and_b32 vcc_lo, exec_lo, s0
	s_cbranch_vccnz .LBB369_1892
; %bb.1836:
	s_and_not1_b32 vcc_lo, exec_lo, s6
	s_cbranch_vccnz .LBB369_1838
.LBB369_1837:
	v_cmp_ne_u32_e32 vcc_lo, 0, v3
	s_mov_b32 s7, -1
	v_cndmask_b32_e64 v2, 0, 1, vcc_lo
	global_store_b8 v[5:6], v2, off
.LBB369_1838:
	s_mov_b32 s0, 0
.LBB369_1839:
	s_delay_alu instid0(SALU_CYCLE_1)
	s_and_b32 vcc_lo, exec_lo, s0
	s_cbranch_vccz .LBB369_1878
; %bb.1840:
	v_cmp_lt_i16_e64 s0, s3, 5
	s_delay_alu instid0(VALU_DEP_1)
	s_and_b32 vcc_lo, exec_lo, s0
	s_mov_b32 s0, -1
	s_cbranch_vccnz .LBB369_1861
; %bb.1841:
	v_cmp_lt_i16_e64 s0, s3, 8
	s_delay_alu instid0(VALU_DEP_1)
	s_and_b32 vcc_lo, exec_lo, s0
	s_mov_b32 s0, -1
	s_cbranch_vccnz .LBB369_1851
	;; [unrolled: 6-line block ×3, first 2 shown]
; %bb.1843:
	v_cmp_gt_i16_e64 s0, s3, 9
	s_delay_alu instid0(VALU_DEP_1)
	s_and_b32 vcc_lo, exec_lo, s0
	s_mov_b32 s0, -1
	s_cbranch_vccz .LBB369_1845
; %bb.1844:
	v_cvt_f64_i32_e32 v[11:12], v3
	v_mov_b32_e32 v13, 0
	s_mov_b32 s0, 0
	s_delay_alu instid0(VALU_DEP_1)
	v_mov_b32_e32 v14, v13
	global_store_b128 v[5:6], v[11:14], off
.LBB369_1845:
	s_and_not1_b32 vcc_lo, exec_lo, s0
	s_cbranch_vccnz .LBB369_1847
; %bb.1846:
	v_cvt_f32_i32_e32 v11, v3
	v_mov_b32_e32 v12, 0
	global_store_b64 v[5:6], v[11:12], off
.LBB369_1847:
	s_mov_b32 s0, 0
.LBB369_1848:
	s_delay_alu instid0(SALU_CYCLE_1)
	s_and_not1_b32 vcc_lo, exec_lo, s0
	s_cbranch_vccnz .LBB369_1850
; %bb.1849:
	v_cvt_f32_i32_e32 v2, v3
	s_delay_alu instid0(VALU_DEP_1) | instskip(NEXT) | instid1(VALU_DEP_1)
	v_cvt_f16_f32_e32 v2, v2
	v_and_b32_e32 v2, 0xffff, v2
	global_store_b32 v[5:6], v2, off
.LBB369_1850:
	s_mov_b32 s0, 0
.LBB369_1851:
	s_delay_alu instid0(SALU_CYCLE_1)
	s_and_not1_b32 vcc_lo, exec_lo, s0
	s_cbranch_vccnz .LBB369_1860
; %bb.1852:
	v_cmp_lt_i16_e64 s0, s3, 6
	s_delay_alu instid0(VALU_DEP_1)
	s_and_b32 vcc_lo, exec_lo, s0
	s_mov_b32 s0, -1
	s_cbranch_vccnz .LBB369_1858
; %bb.1853:
	v_cmp_gt_i16_e64 s0, s3, 6
	s_delay_alu instid0(VALU_DEP_1)
	s_and_b32 vcc_lo, exec_lo, s0
	s_mov_b32 s0, -1
	s_cbranch_vccz .LBB369_1855
; %bb.1854:
	v_cvt_f64_i32_e32 v[11:12], v3
	s_mov_b32 s0, 0
	global_store_b64 v[5:6], v[11:12], off
.LBB369_1855:
	s_and_not1_b32 vcc_lo, exec_lo, s0
	s_cbranch_vccnz .LBB369_1857
; %bb.1856:
	v_cvt_f32_i32_e32 v2, v3
	global_store_b32 v[5:6], v2, off
.LBB369_1857:
	s_mov_b32 s0, 0
.LBB369_1858:
	s_delay_alu instid0(SALU_CYCLE_1)
	s_and_not1_b32 vcc_lo, exec_lo, s0
	s_cbranch_vccnz .LBB369_1860
; %bb.1859:
	v_cvt_f32_i32_e32 v2, v3
	s_delay_alu instid0(VALU_DEP_1)
	v_cvt_f16_f32_e32 v2, v2
	global_store_b16 v[5:6], v2, off
.LBB369_1860:
	s_mov_b32 s0, 0
.LBB369_1861:
	s_delay_alu instid0(SALU_CYCLE_1)
	s_and_not1_b32 vcc_lo, exec_lo, s0
	s_cbranch_vccnz .LBB369_1877
; %bb.1862:
	v_cmp_lt_i16_e64 s0, s3, 2
	s_delay_alu instid0(VALU_DEP_1)
	s_and_b32 vcc_lo, exec_lo, s0
	s_mov_b32 s0, -1
	s_cbranch_vccnz .LBB369_1872
; %bb.1863:
	v_cmp_lt_i16_e64 s0, s3, 3
	s_delay_alu instid0(VALU_DEP_1)
	s_and_b32 vcc_lo, exec_lo, s0
	s_mov_b32 s0, -1
	s_cbranch_vccnz .LBB369_1869
; %bb.1864:
	v_cmp_gt_i16_e64 s0, s3, 3
	s_delay_alu instid0(VALU_DEP_1)
	s_and_b32 vcc_lo, exec_lo, s0
	s_mov_b32 s0, -1
	s_cbranch_vccz .LBB369_1866
; %bb.1865:
	v_ashrrev_i32_e32 v4, 31, v3
	s_mov_b32 s0, 0
	global_store_b64 v[5:6], v[3:4], off
.LBB369_1866:
	s_and_not1_b32 vcc_lo, exec_lo, s0
	s_cbranch_vccnz .LBB369_1868
; %bb.1867:
	global_store_b32 v[5:6], v3, off
.LBB369_1868:
	s_mov_b32 s0, 0
.LBB369_1869:
	s_delay_alu instid0(SALU_CYCLE_1)
	s_and_not1_b32 vcc_lo, exec_lo, s0
	s_cbranch_vccnz .LBB369_1871
; %bb.1870:
	global_store_b16 v[5:6], v3, off
.LBB369_1871:
	s_mov_b32 s0, 0
.LBB369_1872:
	s_delay_alu instid0(SALU_CYCLE_1)
	s_and_not1_b32 vcc_lo, exec_lo, s0
	s_cbranch_vccnz .LBB369_1877
; %bb.1873:
	v_cmp_gt_i16_e64 s0, s3, 0
	s_delay_alu instid0(VALU_DEP_1)
	s_and_b32 vcc_lo, exec_lo, s0
	s_mov_b32 s0, -1
	s_cbranch_vccz .LBB369_1875
; %bb.1874:
	s_mov_b32 s0, 0
	global_store_b8 v[5:6], v3, off
.LBB369_1875:
	s_and_not1_b32 vcc_lo, exec_lo, s0
	s_cbranch_vccnz .LBB369_1877
; %bb.1876:
	global_store_b8 v[5:6], v3, off
.LBB369_1877:
	s_mov_b32 s7, -1
.LBB369_1878:
	s_delay_alu instid0(SALU_CYCLE_1)
	s_and_not1_b32 vcc_lo, exec_lo, s7
	s_cbranch_vccnz .LBB369_2016
; %bb.1879:
	v_cmp_lt_i16_e64 s0, s3, 11
	v_add_co_u32 v4, s6, s4, v1
	v_max_i32_e32 v2, s2, v10
	v_add_co_ci_u32_e64 v5, null, s5, 0, s6
	s_mov_b32 s7, 0
	s_and_b32 vcc_lo, exec_lo, s0
	s_mov_b32 s0, -1
	s_cbranch_vccnz .LBB369_1968
; %bb.1880:
	v_cmp_gt_i16_e64 s0, s3, 25
	s_mov_b32 s10, -1
	s_mov_b32 s6, 0
	s_delay_alu instid0(VALU_DEP_1)
	s_and_b32 vcc_lo, exec_lo, s0
	s_mov_b32 s0, 0
	s_cbranch_vccz .LBB369_1924
; %bb.1881:
	v_cmp_gt_i16_e64 s0, s3, 28
	s_delay_alu instid0(VALU_DEP_1)
	s_and_b32 vcc_lo, exec_lo, s0
	s_cbranch_vccz .LBB369_1886
; %bb.1882:
	v_cmp_gt_i16_e64 s0, s3, 43
	s_delay_alu instid0(VALU_DEP_1)
	s_and_b32 vcc_lo, exec_lo, s0
	;; [unrolled: 5-line block ×3, first 2 shown]
	s_cbranch_vccz .LBB369_1896
; %bb.1884:
	v_cmp_eq_u16_e64 s7, s3, 46
	s_mov_b32 s0, -1
	s_mov_b32 s10, 0
	s_delay_alu instid0(VALU_DEP_1)
	s_and_b32 vcc_lo, exec_lo, s7
	s_mov_b32 s7, 0
	s_cbranch_vccz .LBB369_1897
; %bb.1885:
	v_cvt_f32_i32_e32 v1, v2
	s_mov_b32 s0, 0
	s_mov_b32 s7, -1
	s_delay_alu instid0(VALU_DEP_1) | instskip(NEXT) | instid1(VALU_DEP_1)
	v_bfe_u32 v3, v1, 16, 1
	v_add3_u32 v1, v1, v3, 0x7fff
	s_delay_alu instid0(VALU_DEP_1)
	v_lshrrev_b32_e32 v1, 16, v1
	global_store_b32 v[4:5], v1, off
	s_branch .LBB369_1897
.LBB369_1886:
	s_mov_b32 s0, 0
	s_branch .LBB369_1907
.LBB369_1887:
	s_or_saveexec_b32 s11, s11
                                        ; implicit-def: $sgpr12
	s_delay_alu instid0(SALU_CYCLE_1)
	s_xor_b32 exec_lo, exec_lo, s11
	s_cbranch_execz .LBB369_1789
.LBB369_1888:
	v_add_f32_e64 v4, 0x46000000, |v2|
	s_and_not1_b32 s10, s10, exec_lo
	s_mov_b32 s12, 0
	s_delay_alu instid0(VALU_DEP_1) | instskip(NEXT) | instid1(VALU_DEP_1)
	v_and_b32_e32 v4, 0xff, v4
	v_cmp_ne_u32_e32 vcc_lo, 0, v4
	s_and_b32 s13, vcc_lo, exec_lo
	s_delay_alu instid0(SALU_CYCLE_1)
	s_or_b32 s10, s10, s13
	s_or_b32 exec_lo, exec_lo, s11
	v_mov_b32_e32 v7, s12
	s_and_saveexec_b32 s11, s10
	s_cbranch_execnz .LBB369_1790
	s_branch .LBB369_1791
.LBB369_1889:
	s_mov_b32 s0, 0
	s_branch .LBB369_1903
.LBB369_1890:
	s_trap 2
	s_sendmsg_rtn_b32 s0, sendmsg(MSG_RTN_GET_DOORBELL)
	s_mov_b32 ttmp2, m0
	s_waitcnt lgkmcnt(0)
	s_and_b32 s0, s0, 0x3ff
	s_delay_alu instid0(SALU_CYCLE_1) | instskip(NEXT) | instid1(SALU_CYCLE_1)
	s_bitset1_b32 s0, 10
	s_mov_b32 m0, s0
	s_sendmsg sendmsg(MSG_INTERRUPT)
	s_mov_b32 m0, ttmp2
.LBB369_1891:                           ; =>This Inner Loop Header: Depth=1
	s_sethalt 5
	s_branch .LBB369_1891
.LBB369_1892:
	s_cbranch_execnz .LBB369_2065
; %bb.1893:
	s_or_b32 s1, s1, exec_lo
	s_cbranch_execz .LBB369_1837
	s_branch .LBB369_1838
.LBB369_1894:
	s_or_saveexec_b32 s10, s10
                                        ; implicit-def: $sgpr11
	s_delay_alu instid0(SALU_CYCLE_1)
	s_xor_b32 exec_lo, exec_lo, s10
	s_cbranch_execz .LBB369_1802
.LBB369_1895:
	v_add_f32_e64 v4, 0x42800000, |v2|
	s_and_not1_b32 s7, s7, exec_lo
	s_mov_b32 s11, 0
	s_delay_alu instid0(VALU_DEP_1) | instskip(NEXT) | instid1(VALU_DEP_1)
	v_and_b32_e32 v4, 0xff, v4
	v_cmp_ne_u32_e32 vcc_lo, 0, v4
	s_and_b32 s12, vcc_lo, exec_lo
	s_delay_alu instid0(SALU_CYCLE_1)
	s_or_b32 s7, s7, s12
	s_or_b32 exec_lo, exec_lo, s10
	v_mov_b32_e32 v7, s11
	s_and_saveexec_b32 s10, s7
	s_cbranch_execnz .LBB369_1803
	s_branch .LBB369_1804
.LBB369_1896:
	s_mov_b32 s0, 0
.LBB369_1897:
	s_and_b32 vcc_lo, exec_lo, s10
	s_cbranch_vccz .LBB369_1902
; %bb.1898:
	v_cmp_eq_u16_e64 s0, s3, 44
	s_delay_alu instid0(VALU_DEP_1)
	s_and_b32 vcc_lo, exec_lo, s0
	s_mov_b32 s0, -1
	s_cbranch_vccz .LBB369_1902
; %bb.1899:
	v_cvt_f32_i32_e32 v1, v2
	v_mov_b32_e32 v3, 0xff
	s_mov_b32 s7, exec_lo
	s_delay_alu instid0(VALU_DEP_2) | instskip(NEXT) | instid1(VALU_DEP_1)
	v_bfe_u32 v6, v1, 23, 8
	v_cmpx_ne_u32_e32 0xff, v6
; %bb.1900:
	v_and_b32_e32 v3, 0x400000, v1
	v_and_or_b32 v6, 0x3fffff, v1, v6
	v_lshrrev_b32_e32 v1, 23, v1
	s_delay_alu instid0(VALU_DEP_3) | instskip(NEXT) | instid1(VALU_DEP_3)
	v_cmp_ne_u32_e32 vcc_lo, 0, v3
	v_cmp_ne_u32_e64 s0, 0, v6
	s_delay_alu instid0(VALU_DEP_1) | instskip(NEXT) | instid1(SALU_CYCLE_1)
	s_and_b32 s0, vcc_lo, s0
	v_cndmask_b32_e64 v3, 0, 1, s0
	s_delay_alu instid0(VALU_DEP_1)
	v_add_nc_u32_e32 v3, v1, v3
; %bb.1901:
	s_or_b32 exec_lo, exec_lo, s7
	s_mov_b32 s0, 0
	s_mov_b32 s7, -1
	global_store_b8 v[4:5], v3, off
.LBB369_1902:
	s_mov_b32 s10, 0
.LBB369_1903:
	s_delay_alu instid0(SALU_CYCLE_1)
	s_and_b32 vcc_lo, exec_lo, s10
	s_cbranch_vccz .LBB369_1906
; %bb.1904:
	v_cmp_eq_u16_e64 s0, s3, 29
	s_delay_alu instid0(VALU_DEP_1)
	s_and_b32 vcc_lo, exec_lo, s0
	s_mov_b32 s0, -1
	s_cbranch_vccz .LBB369_1906
; %bb.1905:
	v_ashrrev_i32_e32 v3, 31, v2
	s_mov_b32 s0, 0
	s_mov_b32 s7, -1
	s_mov_b32 s10, 0
	global_store_b64 v[4:5], v[2:3], off
	s_branch .LBB369_1907
.LBB369_1906:
	s_mov_b32 s10, 0
.LBB369_1907:
	s_delay_alu instid0(SALU_CYCLE_1)
	s_and_b32 vcc_lo, exec_lo, s10
	s_cbranch_vccz .LBB369_1923
; %bb.1908:
	v_cmp_lt_i16_e64 s7, s3, 27
	s_delay_alu instid0(VALU_DEP_1)
	s_and_b32 vcc_lo, exec_lo, s7
	s_mov_b32 s7, -1
	s_cbranch_vccnz .LBB369_1914
; %bb.1909:
	v_cmp_gt_i16_e64 s7, s3, 27
	s_delay_alu instid0(VALU_DEP_1)
	s_and_b32 vcc_lo, exec_lo, s7
	s_mov_b32 s7, -1
	s_cbranch_vccz .LBB369_1911
; %bb.1910:
	s_mov_b32 s7, 0
	global_store_b32 v[4:5], v2, off
.LBB369_1911:
	s_and_not1_b32 vcc_lo, exec_lo, s7
	s_cbranch_vccnz .LBB369_1913
; %bb.1912:
	global_store_b16 v[4:5], v2, off
.LBB369_1913:
	s_mov_b32 s7, 0
.LBB369_1914:
	s_delay_alu instid0(SALU_CYCLE_1)
	s_and_not1_b32 vcc_lo, exec_lo, s7
	s_cbranch_vccnz .LBB369_1922
; %bb.1915:
	v_cvt_f32_i32_e32 v1, v2
	v_mov_b32_e32 v6, 0x80
	s_mov_b32 s7, exec_lo
	s_delay_alu instid0(VALU_DEP_2) | instskip(NEXT) | instid1(VALU_DEP_1)
	v_and_b32_e32 v3, 0x7fffffff, v1
	v_cmpx_gt_u32_e32 0x43800000, v3
	s_cbranch_execz .LBB369_1921
; %bb.1916:
	v_cmp_lt_u32_e32 vcc_lo, 0x3bffffff, v3
	s_mov_b32 s10, 0
                                        ; implicit-def: $vgpr3
	s_and_saveexec_b32 s11, vcc_lo
	s_delay_alu instid0(SALU_CYCLE_1)
	s_xor_b32 s11, exec_lo, s11
	s_cbranch_execz .LBB369_2062
; %bb.1917:
	v_bfe_u32 v3, v1, 20, 1
	s_mov_b32 s10, exec_lo
	s_delay_alu instid0(VALU_DEP_1) | instskip(NEXT) | instid1(VALU_DEP_1)
	v_add3_u32 v3, v1, v3, 0x487ffff
	v_lshrrev_b32_e32 v3, 20, v3
	s_or_saveexec_b32 s11, s11
                                        ; implicit-def: $sgpr12
	s_delay_alu instid0(SALU_CYCLE_1)
	s_xor_b32 exec_lo, exec_lo, s11
	s_cbranch_execnz .LBB369_2063
.LBB369_1918:
	s_or_b32 exec_lo, exec_lo, s11
	v_mov_b32_e32 v6, s12
	s_and_saveexec_b32 s11, s10
.LBB369_1919:
	v_lshrrev_b32_e32 v1, 24, v1
	s_delay_alu instid0(VALU_DEP_1)
	v_and_or_b32 v6, 0x80, v1, v3
.LBB369_1920:
	s_or_b32 exec_lo, exec_lo, s11
.LBB369_1921:
	s_delay_alu instid0(SALU_CYCLE_1)
	s_or_b32 exec_lo, exec_lo, s7
	global_store_b8 v[4:5], v6, off
.LBB369_1922:
	s_mov_b32 s7, -1
.LBB369_1923:
	s_mov_b32 s10, 0
.LBB369_1924:
	s_delay_alu instid0(SALU_CYCLE_1)
	s_and_b32 vcc_lo, exec_lo, s10
	s_cbranch_vccz .LBB369_1964
; %bb.1925:
	v_cmp_gt_i16_e64 s6, s3, 22
	s_delay_alu instid0(VALU_DEP_1)
	s_and_b32 vcc_lo, exec_lo, s6
	s_mov_b32 s6, -1
	s_cbranch_vccz .LBB369_1957
; %bb.1926:
	v_cmp_lt_i16_e64 s6, s3, 24
	s_delay_alu instid0(VALU_DEP_1)
	s_and_b32 vcc_lo, exec_lo, s6
	s_mov_b32 s6, -1
	s_cbranch_vccnz .LBB369_1946
; %bb.1927:
	v_cmp_gt_i16_e64 s6, s3, 24
	s_delay_alu instid0(VALU_DEP_1)
	s_and_b32 vcc_lo, exec_lo, s6
	s_mov_b32 s6, -1
	s_cbranch_vccz .LBB369_1935
; %bb.1928:
	v_cvt_f32_i32_e32 v1, v2
	v_mov_b32_e32 v6, 0x80
	s_mov_b32 s6, exec_lo
	s_delay_alu instid0(VALU_DEP_2) | instskip(NEXT) | instid1(VALU_DEP_1)
	v_and_b32_e32 v3, 0x7fffffff, v1
	v_cmpx_gt_u32_e32 0x47800000, v3
	s_cbranch_execz .LBB369_1934
; %bb.1929:
	v_cmp_lt_u32_e32 vcc_lo, 0x37ffffff, v3
	s_mov_b32 s7, 0
                                        ; implicit-def: $vgpr3
	s_and_saveexec_b32 s10, vcc_lo
	s_delay_alu instid0(SALU_CYCLE_1)
	s_xor_b32 s10, exec_lo, s10
	s_cbranch_execz .LBB369_2069
; %bb.1930:
	v_bfe_u32 v3, v1, 21, 1
	s_mov_b32 s7, exec_lo
	s_delay_alu instid0(VALU_DEP_1) | instskip(NEXT) | instid1(VALU_DEP_1)
	v_add3_u32 v3, v1, v3, 0x88fffff
	v_lshrrev_b32_e32 v3, 21, v3
	s_or_saveexec_b32 s10, s10
                                        ; implicit-def: $sgpr11
	s_delay_alu instid0(SALU_CYCLE_1)
	s_xor_b32 exec_lo, exec_lo, s10
	s_cbranch_execnz .LBB369_2070
.LBB369_1931:
	s_or_b32 exec_lo, exec_lo, s10
	v_mov_b32_e32 v6, s11
	s_and_saveexec_b32 s10, s7
.LBB369_1932:
	v_lshrrev_b32_e32 v1, 24, v1
	s_delay_alu instid0(VALU_DEP_1)
	v_and_or_b32 v6, 0x80, v1, v3
.LBB369_1933:
	s_or_b32 exec_lo, exec_lo, s10
.LBB369_1934:
	s_delay_alu instid0(SALU_CYCLE_1)
	s_or_b32 exec_lo, exec_lo, s6
	s_mov_b32 s6, 0
	global_store_b8 v[4:5], v6, off
.LBB369_1935:
	s_and_b32 vcc_lo, exec_lo, s6
	s_cbranch_vccz .LBB369_1945
; %bb.1936:
	v_cvt_f32_i32_e32 v1, v2
	s_mov_b32 s6, exec_lo
                                        ; implicit-def: $vgpr3
	s_delay_alu instid0(VALU_DEP_1) | instskip(NEXT) | instid1(VALU_DEP_1)
	v_and_b32_e32 v6, 0x7fffffff, v1
	v_cmpx_gt_u32_e32 0x43f00000, v6
	s_xor_b32 s6, exec_lo, s6
	s_cbranch_execz .LBB369_1942
; %bb.1937:
	s_mov_b32 s7, exec_lo
                                        ; implicit-def: $vgpr3
	v_cmpx_lt_u32_e32 0x3c7fffff, v6
	s_xor_b32 s7, exec_lo, s7
; %bb.1938:
	v_bfe_u32 v3, v1, 20, 1
	s_delay_alu instid0(VALU_DEP_1) | instskip(NEXT) | instid1(VALU_DEP_1)
	v_add3_u32 v3, v1, v3, 0x407ffff
	v_and_b32_e32 v6, 0xff00000, v3
	v_lshrrev_b32_e32 v3, 20, v3
	s_delay_alu instid0(VALU_DEP_2) | instskip(NEXT) | instid1(VALU_DEP_2)
	v_cmp_ne_u32_e32 vcc_lo, 0x7f00000, v6
	v_cndmask_b32_e32 v3, 0x7e, v3, vcc_lo
; %bb.1939:
	s_and_not1_saveexec_b32 s7, s7
; %bb.1940:
	v_add_f32_e64 v3, 0x46800000, |v1|
; %bb.1941:
	s_or_b32 exec_lo, exec_lo, s7
                                        ; implicit-def: $vgpr6
.LBB369_1942:
	s_and_not1_saveexec_b32 s6, s6
; %bb.1943:
	v_mov_b32_e32 v3, 0x7f
	v_cmp_lt_u32_e32 vcc_lo, 0x7f800000, v6
	s_delay_alu instid0(VALU_DEP_2)
	v_cndmask_b32_e32 v3, 0x7e, v3, vcc_lo
; %bb.1944:
	s_or_b32 exec_lo, exec_lo, s6
	v_lshrrev_b32_e32 v1, 24, v1
	s_delay_alu instid0(VALU_DEP_1)
	v_and_or_b32 v1, 0x80, v1, v3
	global_store_b8 v[4:5], v1, off
.LBB369_1945:
	s_mov_b32 s6, 0
.LBB369_1946:
	s_delay_alu instid0(SALU_CYCLE_1)
	s_and_not1_b32 vcc_lo, exec_lo, s6
	s_cbranch_vccnz .LBB369_1956
; %bb.1947:
	v_cvt_f32_i32_e32 v1, v2
	s_mov_b32 s6, exec_lo
                                        ; implicit-def: $vgpr3
	s_delay_alu instid0(VALU_DEP_1) | instskip(NEXT) | instid1(VALU_DEP_1)
	v_and_b32_e32 v6, 0x7fffffff, v1
	v_cmpx_gt_u32_e32 0x47800000, v6
	s_xor_b32 s6, exec_lo, s6
	s_cbranch_execz .LBB369_1953
; %bb.1948:
	s_mov_b32 s7, exec_lo
                                        ; implicit-def: $vgpr3
	v_cmpx_lt_u32_e32 0x387fffff, v6
	s_xor_b32 s7, exec_lo, s7
; %bb.1949:
	v_bfe_u32 v3, v1, 21, 1
	s_delay_alu instid0(VALU_DEP_1) | instskip(NEXT) | instid1(VALU_DEP_1)
	v_add3_u32 v3, v1, v3, 0x80fffff
	v_lshrrev_b32_e32 v3, 21, v3
; %bb.1950:
	s_and_not1_saveexec_b32 s7, s7
; %bb.1951:
	v_add_f32_e64 v3, 0x43000000, |v1|
; %bb.1952:
	s_or_b32 exec_lo, exec_lo, s7
                                        ; implicit-def: $vgpr6
.LBB369_1953:
	s_and_not1_saveexec_b32 s6, s6
; %bb.1954:
	v_mov_b32_e32 v3, 0x7f
	v_cmp_lt_u32_e32 vcc_lo, 0x7f800000, v6
	s_delay_alu instid0(VALU_DEP_2)
	v_cndmask_b32_e32 v3, 0x7c, v3, vcc_lo
; %bb.1955:
	s_or_b32 exec_lo, exec_lo, s6
	v_lshrrev_b32_e32 v1, 24, v1
	s_delay_alu instid0(VALU_DEP_1)
	v_and_or_b32 v1, 0x80, v1, v3
	global_store_b8 v[4:5], v1, off
.LBB369_1956:
	s_mov_b32 s6, 0
	s_mov_b32 s7, -1
.LBB369_1957:
	s_and_not1_b32 vcc_lo, exec_lo, s6
	s_mov_b32 s6, 0
	s_cbranch_vccnz .LBB369_1964
; %bb.1958:
	v_cmp_gt_i16_e64 s6, s3, 14
	s_delay_alu instid0(VALU_DEP_1)
	s_and_b32 vcc_lo, exec_lo, s6
	s_mov_b32 s6, -1
	s_cbranch_vccz .LBB369_1962
; %bb.1959:
	v_cmp_eq_u16_e64 s0, s3, 15
	s_delay_alu instid0(VALU_DEP_1)
	s_and_b32 vcc_lo, exec_lo, s0
	s_mov_b32 s0, -1
	s_cbranch_vccz .LBB369_1961
; %bb.1960:
	v_cvt_f32_i32_e32 v1, v2
	s_mov_b32 s0, 0
	s_mov_b32 s7, -1
	s_delay_alu instid0(VALU_DEP_1) | instskip(NEXT) | instid1(VALU_DEP_1)
	v_bfe_u32 v3, v1, 16, 1
	v_add3_u32 v1, v1, v3, 0x7fff
	global_store_d16_hi_b16 v[4:5], v1, off
.LBB369_1961:
	s_mov_b32 s6, 0
.LBB369_1962:
	s_delay_alu instid0(SALU_CYCLE_1)
	s_and_b32 vcc_lo, exec_lo, s6
	s_mov_b32 s6, 0
	s_cbranch_vccz .LBB369_1964
; %bb.1963:
	v_cmp_ne_u16_e64 s0, s3, 11
	s_mov_b32 s6, -1
.LBB369_1964:
	s_delay_alu instid0(VALU_DEP_1)
	s_and_b32 vcc_lo, exec_lo, s0
	s_cbranch_vccnz .LBB369_2067
; %bb.1965:
	s_and_not1_b32 vcc_lo, exec_lo, s6
	s_cbranch_vccnz .LBB369_1967
.LBB369_1966:
	v_cmp_ne_u32_e32 vcc_lo, 0, v2
	s_mov_b32 s7, -1
	v_cndmask_b32_e64 v1, 0, 1, vcc_lo
	global_store_b8 v[4:5], v1, off
.LBB369_1967:
	s_mov_b32 s0, 0
.LBB369_1968:
	s_delay_alu instid0(SALU_CYCLE_1)
	s_and_b32 vcc_lo, exec_lo, s0
	s_cbranch_vccz .LBB369_2007
; %bb.1969:
	v_cmp_lt_i16_e64 s0, s3, 5
	s_delay_alu instid0(VALU_DEP_1)
	s_and_b32 vcc_lo, exec_lo, s0
	s_mov_b32 s0, -1
	s_cbranch_vccnz .LBB369_1990
; %bb.1970:
	v_cmp_lt_i16_e64 s0, s3, 8
	s_delay_alu instid0(VALU_DEP_1)
	s_and_b32 vcc_lo, exec_lo, s0
	s_mov_b32 s0, -1
	s_cbranch_vccnz .LBB369_1980
	;; [unrolled: 6-line block ×3, first 2 shown]
; %bb.1972:
	v_cmp_gt_i16_e64 s0, s3, 9
	s_delay_alu instid0(VALU_DEP_1)
	s_and_b32 vcc_lo, exec_lo, s0
	s_mov_b32 s0, -1
	s_cbranch_vccz .LBB369_1974
; %bb.1973:
	v_cvt_f64_i32_e32 v[9:10], v2
	v_mov_b32_e32 v11, 0
	s_mov_b32 s0, 0
	s_delay_alu instid0(VALU_DEP_1)
	v_mov_b32_e32 v12, v11
	global_store_b128 v[4:5], v[9:12], off
.LBB369_1974:
	s_and_not1_b32 vcc_lo, exec_lo, s0
	s_cbranch_vccnz .LBB369_1976
; %bb.1975:
	v_cvt_f32_i32_e32 v6, v2
	v_mov_b32_e32 v7, 0
	global_store_b64 v[4:5], v[6:7], off
.LBB369_1976:
	s_mov_b32 s0, 0
.LBB369_1977:
	s_delay_alu instid0(SALU_CYCLE_1)
	s_and_not1_b32 vcc_lo, exec_lo, s0
	s_cbranch_vccnz .LBB369_1979
; %bb.1978:
	v_cvt_f32_i32_e32 v1, v2
	s_delay_alu instid0(VALU_DEP_1) | instskip(NEXT) | instid1(VALU_DEP_1)
	v_cvt_f16_f32_e32 v1, v1
	v_and_b32_e32 v1, 0xffff, v1
	global_store_b32 v[4:5], v1, off
.LBB369_1979:
	s_mov_b32 s0, 0
.LBB369_1980:
	s_delay_alu instid0(SALU_CYCLE_1)
	s_and_not1_b32 vcc_lo, exec_lo, s0
	s_cbranch_vccnz .LBB369_1989
; %bb.1981:
	v_cmp_lt_i16_e64 s0, s3, 6
	s_delay_alu instid0(VALU_DEP_1)
	s_and_b32 vcc_lo, exec_lo, s0
	s_mov_b32 s0, -1
	s_cbranch_vccnz .LBB369_1987
; %bb.1982:
	v_cmp_gt_i16_e64 s0, s3, 6
	s_delay_alu instid0(VALU_DEP_1)
	s_and_b32 vcc_lo, exec_lo, s0
	s_mov_b32 s0, -1
	s_cbranch_vccz .LBB369_1984
; %bb.1983:
	v_cvt_f64_i32_e32 v[6:7], v2
	s_mov_b32 s0, 0
	global_store_b64 v[4:5], v[6:7], off
.LBB369_1984:
	s_and_not1_b32 vcc_lo, exec_lo, s0
	s_cbranch_vccnz .LBB369_1986
; %bb.1985:
	v_cvt_f32_i32_e32 v1, v2
	global_store_b32 v[4:5], v1, off
.LBB369_1986:
	s_mov_b32 s0, 0
.LBB369_1987:
	s_delay_alu instid0(SALU_CYCLE_1)
	s_and_not1_b32 vcc_lo, exec_lo, s0
	s_cbranch_vccnz .LBB369_1989
; %bb.1988:
	v_cvt_f32_i32_e32 v1, v2
	s_delay_alu instid0(VALU_DEP_1)
	v_cvt_f16_f32_e32 v1, v1
	global_store_b16 v[4:5], v1, off
.LBB369_1989:
	s_mov_b32 s0, 0
.LBB369_1990:
	s_delay_alu instid0(SALU_CYCLE_1)
	s_and_not1_b32 vcc_lo, exec_lo, s0
	s_cbranch_vccnz .LBB369_2006
; %bb.1991:
	v_cmp_lt_i16_e64 s0, s3, 2
	s_delay_alu instid0(VALU_DEP_1)
	s_and_b32 vcc_lo, exec_lo, s0
	s_mov_b32 s0, -1
	s_cbranch_vccnz .LBB369_2001
; %bb.1992:
	v_cmp_lt_i16_e64 s0, s3, 3
	s_delay_alu instid0(VALU_DEP_1)
	s_and_b32 vcc_lo, exec_lo, s0
	s_mov_b32 s0, -1
	s_cbranch_vccnz .LBB369_1998
; %bb.1993:
	v_cmp_gt_i16_e64 s0, s3, 3
	s_delay_alu instid0(VALU_DEP_1)
	s_and_b32 vcc_lo, exec_lo, s0
	s_mov_b32 s0, -1
	s_cbranch_vccz .LBB369_1995
; %bb.1994:
	v_ashrrev_i32_e32 v3, 31, v2
	s_mov_b32 s0, 0
	global_store_b64 v[4:5], v[2:3], off
.LBB369_1995:
	s_and_not1_b32 vcc_lo, exec_lo, s0
	s_cbranch_vccnz .LBB369_1997
; %bb.1996:
	global_store_b32 v[4:5], v2, off
.LBB369_1997:
	s_mov_b32 s0, 0
.LBB369_1998:
	s_delay_alu instid0(SALU_CYCLE_1)
	s_and_not1_b32 vcc_lo, exec_lo, s0
	s_cbranch_vccnz .LBB369_2000
; %bb.1999:
	global_store_b16 v[4:5], v2, off
.LBB369_2000:
	s_mov_b32 s0, 0
.LBB369_2001:
	s_delay_alu instid0(SALU_CYCLE_1)
	s_and_not1_b32 vcc_lo, exec_lo, s0
	s_cbranch_vccnz .LBB369_2006
; %bb.2002:
	v_cmp_gt_i16_e64 s0, s3, 0
	s_delay_alu instid0(VALU_DEP_1)
	s_and_b32 vcc_lo, exec_lo, s0
	s_mov_b32 s0, -1
	s_cbranch_vccz .LBB369_2004
; %bb.2003:
	s_mov_b32 s0, 0
	global_store_b8 v[4:5], v2, off
.LBB369_2004:
	s_and_not1_b32 vcc_lo, exec_lo, s0
	s_cbranch_vccnz .LBB369_2006
; %bb.2005:
	global_store_b8 v[4:5], v2, off
.LBB369_2006:
	s_mov_b32 s7, -1
.LBB369_2007:
	s_delay_alu instid0(SALU_CYCLE_1)
	s_and_not1_b32 vcc_lo, exec_lo, s7
	s_cbranch_vccnz .LBB369_2016
; %bb.2008:
	v_cmp_lt_i16_e64 s0, s3, 11
	v_add_co_u32 v0, s4, s4, v0
	v_max_i32_e32 v2, s2, v8
	v_add_co_ci_u32_e64 v1, null, s5, 0, s4
	s_mov_b32 s2, 0
	s_and_b32 vcc_lo, exec_lo, s0
	s_mov_b32 s0, -1
	s_cbranch_vccnz .LBB369_2017
; %bb.2009:
	v_cmp_gt_i16_e64 s0, s3, 25
	s_mov_b32 s4, -1
	s_delay_alu instid0(VALU_DEP_1)
	s_and_b32 vcc_lo, exec_lo, s0
	s_mov_b32 s0, 0
	s_cbranch_vccz .LBB369_2098
; %bb.2010:
	v_cmp_gt_i16_e64 s0, s3, 28
	s_delay_alu instid0(VALU_DEP_1)
	s_and_b32 vcc_lo, exec_lo, s0
	s_cbranch_vccz .LBB369_2061
; %bb.2011:
	v_cmp_gt_i16_e64 s0, s3, 43
	s_delay_alu instid0(VALU_DEP_1)
	s_and_b32 vcc_lo, exec_lo, s0
	;; [unrolled: 5-line block ×3, first 2 shown]
	s_cbranch_vccz .LBB369_2071
; %bb.2013:
	v_cmp_eq_u16_e64 s0, s3, 46
	s_delay_alu instid0(VALU_DEP_1)
	s_and_b32 vcc_lo, exec_lo, s0
	s_mov_b32 s0, -1
	s_cbranch_vccz .LBB369_2015
; %bb.2014:
	v_cvt_f32_i32_e32 v3, v2
	s_mov_b32 s0, 0
	s_delay_alu instid0(VALU_DEP_1) | instskip(NEXT) | instid1(VALU_DEP_1)
	v_bfe_u32 v4, v3, 16, 1
	v_add3_u32 v3, v3, v4, 0x7fff
	s_delay_alu instid0(VALU_DEP_1)
	v_lshrrev_b32_e32 v3, 16, v3
	global_store_b32 v[0:1], v3, off
.LBB369_2015:
	s_mov_b32 s4, 0
	s_branch .LBB369_2072
.LBB369_2016:
	s_mov_b32 s0, 0
	s_mov_b32 s2, 0
                                        ; implicit-def: $vgpr0_vgpr1
                                        ; implicit-def: $sgpr3
                                        ; implicit-def: $vgpr2
.LBB369_2017:
	s_and_b32 s4, s0, exec_lo
	s_and_not1_b32 s0, s8, exec_lo
	s_and_b32 s1, s1, exec_lo
	s_and_b32 s28, s2, exec_lo
	s_or_b32 s8, s0, s1
.LBB369_2018:
	s_or_b32 exec_lo, exec_lo, s9
	s_and_saveexec_b32 s0, s8
	s_cbranch_execz .LBB369_2021
; %bb.2019:
	; divergent unreachable
	s_or_b32 exec_lo, exec_lo, s0
	s_and_saveexec_b32 s0, s28
	s_delay_alu instid0(SALU_CYCLE_1)
	s_xor_b32 s0, exec_lo, s0
	s_cbranch_execnz .LBB369_2022
.LBB369_2020:
	s_or_b32 exec_lo, exec_lo, s0
	s_and_saveexec_b32 s0, s4
	s_cbranch_execnz .LBB369_2023
	s_branch .LBB369_2060
.LBB369_2021:
	s_or_b32 exec_lo, exec_lo, s0
	s_and_saveexec_b32 s0, s28
	s_delay_alu instid0(SALU_CYCLE_1)
	s_xor_b32 s0, exec_lo, s0
	s_cbranch_execz .LBB369_2020
.LBB369_2022:
	v_cmp_ne_u32_e32 vcc_lo, 0, v2
	s_waitcnt vmcnt(0)
	v_cndmask_b32_e64 v3, 0, 1, vcc_lo
	global_store_b8 v[0:1], v3, off
	s_or_b32 exec_lo, exec_lo, s0
	s_and_saveexec_b32 s0, s4
	s_cbranch_execz .LBB369_2060
.LBB369_2023:
	v_cmp_lt_i16_e64 s0, s3, 5
	s_delay_alu instid0(VALU_DEP_1)
	s_and_b32 vcc_lo, exec_lo, s0
	s_mov_b32 s0, -1
	s_cbranch_vccnz .LBB369_2044
; %bb.2024:
	v_cmp_lt_i16_e64 s0, s3, 8
	s_delay_alu instid0(VALU_DEP_1)
	s_and_b32 vcc_lo, exec_lo, s0
	s_mov_b32 s0, -1
	s_cbranch_vccnz .LBB369_2034
; %bb.2025:
	;; [unrolled: 6-line block ×3, first 2 shown]
	v_cmp_gt_i16_e64 s0, s3, 9
	s_delay_alu instid0(VALU_DEP_1)
	s_and_b32 vcc_lo, exec_lo, s0
	s_mov_b32 s0, -1
	s_cbranch_vccz .LBB369_2028
; %bb.2027:
	s_waitcnt vmcnt(0)
	v_cvt_f64_i32_e32 v[3:4], v2
	v_mov_b32_e32 v5, 0
	s_mov_b32 s0, 0
	s_delay_alu instid0(VALU_DEP_1)
	v_mov_b32_e32 v6, v5
	global_store_b128 v[0:1], v[3:6], off
.LBB369_2028:
	s_and_not1_b32 vcc_lo, exec_lo, s0
	s_cbranch_vccnz .LBB369_2030
; %bb.2029:
	s_waitcnt vmcnt(0)
	v_cvt_f32_i32_e32 v3, v2
	v_mov_b32_e32 v4, 0
	global_store_b64 v[0:1], v[3:4], off
.LBB369_2030:
	s_mov_b32 s0, 0
.LBB369_2031:
	s_delay_alu instid0(SALU_CYCLE_1)
	s_and_not1_b32 vcc_lo, exec_lo, s0
	s_cbranch_vccnz .LBB369_2033
; %bb.2032:
	s_waitcnt vmcnt(0)
	v_cvt_f32_i32_e32 v3, v2
	s_delay_alu instid0(VALU_DEP_1) | instskip(NEXT) | instid1(VALU_DEP_1)
	v_cvt_f16_f32_e32 v3, v3
	v_and_b32_e32 v3, 0xffff, v3
	global_store_b32 v[0:1], v3, off
.LBB369_2033:
	s_mov_b32 s0, 0
.LBB369_2034:
	s_delay_alu instid0(SALU_CYCLE_1)
	s_and_not1_b32 vcc_lo, exec_lo, s0
	s_cbranch_vccnz .LBB369_2043
; %bb.2035:
	v_cmp_lt_i16_e64 s0, s3, 6
	s_delay_alu instid0(VALU_DEP_1)
	s_and_b32 vcc_lo, exec_lo, s0
	s_mov_b32 s0, -1
	s_cbranch_vccnz .LBB369_2041
; %bb.2036:
	v_cmp_gt_i16_e64 s0, s3, 6
	s_delay_alu instid0(VALU_DEP_1)
	s_and_b32 vcc_lo, exec_lo, s0
	s_mov_b32 s0, -1
	s_cbranch_vccz .LBB369_2038
; %bb.2037:
	s_waitcnt vmcnt(0)
	v_cvt_f64_i32_e32 v[3:4], v2
	s_mov_b32 s0, 0
	global_store_b64 v[0:1], v[3:4], off
.LBB369_2038:
	s_and_not1_b32 vcc_lo, exec_lo, s0
	s_cbranch_vccnz .LBB369_2040
; %bb.2039:
	s_waitcnt vmcnt(0)
	v_cvt_f32_i32_e32 v3, v2
	global_store_b32 v[0:1], v3, off
.LBB369_2040:
	s_mov_b32 s0, 0
.LBB369_2041:
	s_delay_alu instid0(SALU_CYCLE_1)
	s_and_not1_b32 vcc_lo, exec_lo, s0
	s_cbranch_vccnz .LBB369_2043
; %bb.2042:
	s_waitcnt vmcnt(0)
	v_cvt_f32_i32_e32 v3, v2
	s_delay_alu instid0(VALU_DEP_1)
	v_cvt_f16_f32_e32 v3, v3
	global_store_b16 v[0:1], v3, off
.LBB369_2043:
	s_mov_b32 s0, 0
.LBB369_2044:
	s_delay_alu instid0(SALU_CYCLE_1)
	s_and_not1_b32 vcc_lo, exec_lo, s0
	s_cbranch_vccnz .LBB369_2060
; %bb.2045:
	v_cmp_lt_i16_e64 s0, s3, 2
	s_delay_alu instid0(VALU_DEP_1)
	s_and_b32 vcc_lo, exec_lo, s0
	s_mov_b32 s0, -1
	s_cbranch_vccnz .LBB369_2055
; %bb.2046:
	v_cmp_lt_i16_e64 s0, s3, 3
	s_delay_alu instid0(VALU_DEP_1)
	s_and_b32 vcc_lo, exec_lo, s0
	s_mov_b32 s0, -1
	s_cbranch_vccnz .LBB369_2052
; %bb.2047:
	v_cmp_gt_i16_e64 s0, s3, 3
	s_delay_alu instid0(VALU_DEP_1)
	s_and_b32 vcc_lo, exec_lo, s0
	s_mov_b32 s0, -1
	s_cbranch_vccz .LBB369_2049
; %bb.2048:
	s_waitcnt vmcnt(0)
	v_ashrrev_i32_e32 v3, 31, v2
	s_mov_b32 s0, 0
	global_store_b64 v[0:1], v[2:3], off
.LBB369_2049:
	s_and_not1_b32 vcc_lo, exec_lo, s0
	s_cbranch_vccnz .LBB369_2051
; %bb.2050:
	global_store_b32 v[0:1], v2, off
.LBB369_2051:
	s_mov_b32 s0, 0
.LBB369_2052:
	s_delay_alu instid0(SALU_CYCLE_1)
	s_and_not1_b32 vcc_lo, exec_lo, s0
	s_cbranch_vccnz .LBB369_2054
; %bb.2053:
	global_store_b16 v[0:1], v2, off
.LBB369_2054:
	s_mov_b32 s0, 0
.LBB369_2055:
	s_delay_alu instid0(SALU_CYCLE_1)
	s_and_not1_b32 vcc_lo, exec_lo, s0
	s_cbranch_vccnz .LBB369_2060
; %bb.2056:
	v_cmp_gt_i16_e64 s0, s3, 0
	s_delay_alu instid0(VALU_DEP_1)
	s_and_b32 vcc_lo, exec_lo, s0
	s_mov_b32 s0, -1
	s_cbranch_vccz .LBB369_2058
; %bb.2057:
	s_mov_b32 s0, 0
	global_store_b8 v[0:1], v2, off
.LBB369_2058:
	s_and_not1_b32 vcc_lo, exec_lo, s0
	s_cbranch_vccnz .LBB369_2060
; %bb.2059:
	global_store_b8 v[0:1], v2, off
	s_nop 0
	s_sendmsg sendmsg(MSG_DEALLOC_VGPRS)
	s_endpgm
.LBB369_2060:
	s_nop 0
	s_sendmsg sendmsg(MSG_DEALLOC_VGPRS)
	s_endpgm
.LBB369_2061:
	s_mov_b32 s0, 0
	s_branch .LBB369_2082
.LBB369_2062:
	s_or_saveexec_b32 s11, s11
                                        ; implicit-def: $sgpr12
	s_delay_alu instid0(SALU_CYCLE_1)
	s_xor_b32 exec_lo, exec_lo, s11
	s_cbranch_execz .LBB369_1918
.LBB369_2063:
	v_add_f32_e64 v3, 0x46000000, |v1|
	s_and_not1_b32 s10, s10, exec_lo
	s_mov_b32 s12, 0
	s_delay_alu instid0(VALU_DEP_1) | instskip(NEXT) | instid1(VALU_DEP_1)
	v_and_b32_e32 v3, 0xff, v3
	v_cmp_ne_u32_e32 vcc_lo, 0, v3
	s_and_b32 s13, vcc_lo, exec_lo
	s_delay_alu instid0(SALU_CYCLE_1)
	s_or_b32 s10, s10, s13
	s_or_b32 exec_lo, exec_lo, s11
	v_mov_b32_e32 v6, s12
	s_and_saveexec_b32 s11, s10
	s_cbranch_execnz .LBB369_1919
	s_branch .LBB369_1920
.LBB369_2064:
	s_mov_b32 s0, 0
	s_branch .LBB369_2078
.LBB369_2065:
	s_trap 2
	s_sendmsg_rtn_b32 s0, sendmsg(MSG_RTN_GET_DOORBELL)
	s_mov_b32 ttmp2, m0
	s_waitcnt lgkmcnt(0)
	s_and_b32 s0, s0, 0x3ff
	s_delay_alu instid0(SALU_CYCLE_1) | instskip(NEXT) | instid1(SALU_CYCLE_1)
	s_bitset1_b32 s0, 10
	s_mov_b32 m0, s0
	s_sendmsg sendmsg(MSG_INTERRUPT)
	s_mov_b32 m0, ttmp2
.LBB369_2066:                           ; =>This Inner Loop Header: Depth=1
	s_sethalt 5
	s_branch .LBB369_2066
.LBB369_2067:
	s_cbranch_execnz .LBB369_2142
; %bb.2068:
	s_or_b32 s1, s1, exec_lo
	s_cbranch_execz .LBB369_1966
	s_branch .LBB369_1967
.LBB369_2069:
	s_or_saveexec_b32 s10, s10
                                        ; implicit-def: $sgpr11
	s_delay_alu instid0(SALU_CYCLE_1)
	s_xor_b32 exec_lo, exec_lo, s10
	s_cbranch_execz .LBB369_1931
.LBB369_2070:
	v_add_f32_e64 v3, 0x42800000, |v1|
	s_and_not1_b32 s7, s7, exec_lo
	s_mov_b32 s11, 0
	s_delay_alu instid0(VALU_DEP_1) | instskip(NEXT) | instid1(VALU_DEP_1)
	v_and_b32_e32 v3, 0xff, v3
	v_cmp_ne_u32_e32 vcc_lo, 0, v3
	s_and_b32 s12, vcc_lo, exec_lo
	s_delay_alu instid0(SALU_CYCLE_1)
	s_or_b32 s7, s7, s12
	s_or_b32 exec_lo, exec_lo, s10
	v_mov_b32_e32 v6, s11
	s_and_saveexec_b32 s10, s7
	s_cbranch_execnz .LBB369_1932
	s_branch .LBB369_1933
.LBB369_2071:
	s_mov_b32 s0, 0
.LBB369_2072:
	s_and_b32 vcc_lo, exec_lo, s4
	s_cbranch_vccz .LBB369_2077
; %bb.2073:
	v_cmp_eq_u16_e64 s0, s3, 44
	s_delay_alu instid0(VALU_DEP_1)
	s_and_b32 vcc_lo, exec_lo, s0
	s_mov_b32 s0, -1
	s_cbranch_vccz .LBB369_2077
; %bb.2074:
	v_cvt_f32_i32_e32 v3, v2
	v_mov_b32_e32 v4, 0xff
	s_mov_b32 s4, exec_lo
	s_delay_alu instid0(VALU_DEP_2) | instskip(NEXT) | instid1(VALU_DEP_1)
	v_bfe_u32 v5, v3, 23, 8
	v_cmpx_ne_u32_e32 0xff, v5
; %bb.2075:
	v_and_b32_e32 v4, 0x400000, v3
	v_and_or_b32 v5, 0x3fffff, v3, v5
	v_lshrrev_b32_e32 v3, 23, v3
	s_delay_alu instid0(VALU_DEP_3) | instskip(NEXT) | instid1(VALU_DEP_3)
	v_cmp_ne_u32_e32 vcc_lo, 0, v4
	v_cmp_ne_u32_e64 s0, 0, v5
	s_delay_alu instid0(VALU_DEP_1) | instskip(NEXT) | instid1(SALU_CYCLE_1)
	s_and_b32 s0, vcc_lo, s0
	v_cndmask_b32_e64 v4, 0, 1, s0
	s_delay_alu instid0(VALU_DEP_1)
	v_add_nc_u32_e32 v4, v3, v4
; %bb.2076:
	s_or_b32 exec_lo, exec_lo, s4
	s_mov_b32 s0, 0
	global_store_b8 v[0:1], v4, off
.LBB369_2077:
	s_mov_b32 s4, 0
.LBB369_2078:
	s_delay_alu instid0(SALU_CYCLE_1)
	s_and_b32 vcc_lo, exec_lo, s4
	s_cbranch_vccz .LBB369_2081
; %bb.2079:
	v_cmp_eq_u16_e64 s0, s3, 29
	s_delay_alu instid0(VALU_DEP_1)
	s_and_b32 vcc_lo, exec_lo, s0
	s_mov_b32 s0, -1
	s_cbranch_vccz .LBB369_2081
; %bb.2080:
	v_ashrrev_i32_e32 v3, 31, v2
	s_mov_b32 s0, 0
	global_store_b64 v[0:1], v[2:3], off
.LBB369_2081:
	s_mov_b32 s4, 0
.LBB369_2082:
	s_delay_alu instid0(SALU_CYCLE_1)
	s_and_b32 vcc_lo, exec_lo, s4
	s_cbranch_vccz .LBB369_2097
; %bb.2083:
	v_cmp_lt_i16_e64 s4, s3, 27
	s_delay_alu instid0(VALU_DEP_1)
	s_and_b32 vcc_lo, exec_lo, s4
	s_mov_b32 s4, -1
	s_cbranch_vccnz .LBB369_2089
; %bb.2084:
	v_cmp_gt_i16_e64 s4, s3, 27
	s_delay_alu instid0(VALU_DEP_1)
	s_and_b32 vcc_lo, exec_lo, s4
	s_mov_b32 s4, -1
	s_cbranch_vccz .LBB369_2086
; %bb.2085:
	s_mov_b32 s4, 0
	global_store_b32 v[0:1], v2, off
.LBB369_2086:
	s_and_not1_b32 vcc_lo, exec_lo, s4
	s_cbranch_vccnz .LBB369_2088
; %bb.2087:
	global_store_b16 v[0:1], v2, off
.LBB369_2088:
	s_mov_b32 s4, 0
.LBB369_2089:
	s_delay_alu instid0(SALU_CYCLE_1)
	s_and_not1_b32 vcc_lo, exec_lo, s4
	s_cbranch_vccnz .LBB369_2097
; %bb.2090:
	v_cvt_f32_i32_e32 v3, v2
	v_mov_b32_e32 v5, 0x80
	s_mov_b32 s4, exec_lo
	s_delay_alu instid0(VALU_DEP_2) | instskip(NEXT) | instid1(VALU_DEP_1)
	v_and_b32_e32 v4, 0x7fffffff, v3
	v_cmpx_gt_u32_e32 0x43800000, v4
	s_cbranch_execz .LBB369_2096
; %bb.2091:
	v_cmp_lt_u32_e32 vcc_lo, 0x3bffffff, v4
	s_mov_b32 s5, 0
                                        ; implicit-def: $vgpr4
	s_and_saveexec_b32 s6, vcc_lo
	s_delay_alu instid0(SALU_CYCLE_1)
	s_xor_b32 s6, exec_lo, s6
	s_cbranch_execz .LBB369_2140
; %bb.2092:
	v_bfe_u32 v4, v3, 20, 1
	s_mov_b32 s5, exec_lo
	s_delay_alu instid0(VALU_DEP_1) | instskip(NEXT) | instid1(VALU_DEP_1)
	v_add3_u32 v4, v3, v4, 0x487ffff
	v_lshrrev_b32_e32 v4, 20, v4
	s_or_saveexec_b32 s6, s6
                                        ; implicit-def: $sgpr7
	s_delay_alu instid0(SALU_CYCLE_1)
	s_xor_b32 exec_lo, exec_lo, s6
	s_cbranch_execnz .LBB369_2141
.LBB369_2093:
	s_or_b32 exec_lo, exec_lo, s6
	v_mov_b32_e32 v5, s7
	s_and_saveexec_b32 s6, s5
.LBB369_2094:
	v_lshrrev_b32_e32 v3, 24, v3
	s_delay_alu instid0(VALU_DEP_1)
	v_and_or_b32 v5, 0x80, v3, v4
.LBB369_2095:
	s_or_b32 exec_lo, exec_lo, s6
.LBB369_2096:
	s_delay_alu instid0(SALU_CYCLE_1)
	s_or_b32 exec_lo, exec_lo, s4
	global_store_b8 v[0:1], v5, off
.LBB369_2097:
	s_mov_b32 s4, 0
.LBB369_2098:
	s_delay_alu instid0(SALU_CYCLE_1)
	s_and_b32 vcc_lo, exec_lo, s4
	s_cbranch_vccz .LBB369_2138
; %bb.2099:
	v_cmp_gt_i16_e64 s2, s3, 22
	s_delay_alu instid0(VALU_DEP_1)
	s_and_b32 vcc_lo, exec_lo, s2
	s_mov_b32 s2, -1
	s_cbranch_vccz .LBB369_2131
; %bb.2100:
	v_cmp_lt_i16_e64 s2, s3, 24
	s_delay_alu instid0(VALU_DEP_1)
	s_and_b32 vcc_lo, exec_lo, s2
	s_mov_b32 s2, -1
	s_cbranch_vccnz .LBB369_2120
; %bb.2101:
	v_cmp_gt_i16_e64 s2, s3, 24
	s_delay_alu instid0(VALU_DEP_1)
	s_and_b32 vcc_lo, exec_lo, s2
	s_mov_b32 s2, -1
	s_cbranch_vccz .LBB369_2109
; %bb.2102:
	v_cvt_f32_i32_e32 v3, v2
	v_mov_b32_e32 v5, 0x80
	s_mov_b32 s2, exec_lo
	s_delay_alu instid0(VALU_DEP_2) | instskip(NEXT) | instid1(VALU_DEP_1)
	v_and_b32_e32 v4, 0x7fffffff, v3
	v_cmpx_gt_u32_e32 0x47800000, v4
	s_cbranch_execz .LBB369_2108
; %bb.2103:
	v_cmp_lt_u32_e32 vcc_lo, 0x37ffffff, v4
	s_mov_b32 s4, 0
                                        ; implicit-def: $vgpr4
	s_and_saveexec_b32 s5, vcc_lo
	s_delay_alu instid0(SALU_CYCLE_1)
	s_xor_b32 s5, exec_lo, s5
	s_cbranch_execz .LBB369_2146
; %bb.2104:
	v_bfe_u32 v4, v3, 21, 1
	s_mov_b32 s4, exec_lo
	s_delay_alu instid0(VALU_DEP_1) | instskip(NEXT) | instid1(VALU_DEP_1)
	v_add3_u32 v4, v3, v4, 0x88fffff
	v_lshrrev_b32_e32 v4, 21, v4
	s_or_saveexec_b32 s5, s5
                                        ; implicit-def: $sgpr6
	s_delay_alu instid0(SALU_CYCLE_1)
	s_xor_b32 exec_lo, exec_lo, s5
	s_cbranch_execnz .LBB369_2147
.LBB369_2105:
	s_or_b32 exec_lo, exec_lo, s5
	v_mov_b32_e32 v5, s6
	s_and_saveexec_b32 s5, s4
.LBB369_2106:
	v_lshrrev_b32_e32 v3, 24, v3
	s_delay_alu instid0(VALU_DEP_1)
	v_and_or_b32 v5, 0x80, v3, v4
.LBB369_2107:
	s_or_b32 exec_lo, exec_lo, s5
.LBB369_2108:
	s_delay_alu instid0(SALU_CYCLE_1)
	s_or_b32 exec_lo, exec_lo, s2
	s_mov_b32 s2, 0
	global_store_b8 v[0:1], v5, off
.LBB369_2109:
	s_and_b32 vcc_lo, exec_lo, s2
	s_cbranch_vccz .LBB369_2119
; %bb.2110:
	v_cvt_f32_i32_e32 v3, v2
	s_mov_b32 s2, exec_lo
                                        ; implicit-def: $vgpr4
	s_delay_alu instid0(VALU_DEP_1) | instskip(NEXT) | instid1(VALU_DEP_1)
	v_and_b32_e32 v5, 0x7fffffff, v3
	v_cmpx_gt_u32_e32 0x43f00000, v5
	s_xor_b32 s2, exec_lo, s2
	s_cbranch_execz .LBB369_2116
; %bb.2111:
	s_mov_b32 s4, exec_lo
                                        ; implicit-def: $vgpr4
	v_cmpx_lt_u32_e32 0x3c7fffff, v5
	s_xor_b32 s4, exec_lo, s4
; %bb.2112:
	v_bfe_u32 v4, v3, 20, 1
	s_delay_alu instid0(VALU_DEP_1) | instskip(NEXT) | instid1(VALU_DEP_1)
	v_add3_u32 v4, v3, v4, 0x407ffff
	v_and_b32_e32 v5, 0xff00000, v4
	v_lshrrev_b32_e32 v4, 20, v4
	s_delay_alu instid0(VALU_DEP_2) | instskip(NEXT) | instid1(VALU_DEP_2)
	v_cmp_ne_u32_e32 vcc_lo, 0x7f00000, v5
	v_cndmask_b32_e32 v4, 0x7e, v4, vcc_lo
; %bb.2113:
	s_and_not1_saveexec_b32 s4, s4
; %bb.2114:
	v_add_f32_e64 v4, 0x46800000, |v3|
; %bb.2115:
	s_or_b32 exec_lo, exec_lo, s4
                                        ; implicit-def: $vgpr5
.LBB369_2116:
	s_and_not1_saveexec_b32 s2, s2
; %bb.2117:
	v_mov_b32_e32 v4, 0x7f
	v_cmp_lt_u32_e32 vcc_lo, 0x7f800000, v5
	s_delay_alu instid0(VALU_DEP_2)
	v_cndmask_b32_e32 v4, 0x7e, v4, vcc_lo
; %bb.2118:
	s_or_b32 exec_lo, exec_lo, s2
	v_lshrrev_b32_e32 v3, 24, v3
	s_delay_alu instid0(VALU_DEP_1)
	v_and_or_b32 v3, 0x80, v3, v4
	global_store_b8 v[0:1], v3, off
.LBB369_2119:
	s_mov_b32 s2, 0
.LBB369_2120:
	s_delay_alu instid0(SALU_CYCLE_1)
	s_and_not1_b32 vcc_lo, exec_lo, s2
	s_cbranch_vccnz .LBB369_2130
; %bb.2121:
	v_cvt_f32_i32_e32 v3, v2
	s_mov_b32 s2, exec_lo
                                        ; implicit-def: $vgpr4
	s_delay_alu instid0(VALU_DEP_1) | instskip(NEXT) | instid1(VALU_DEP_1)
	v_and_b32_e32 v5, 0x7fffffff, v3
	v_cmpx_gt_u32_e32 0x47800000, v5
	s_xor_b32 s2, exec_lo, s2
	s_cbranch_execz .LBB369_2127
; %bb.2122:
	s_mov_b32 s4, exec_lo
                                        ; implicit-def: $vgpr4
	v_cmpx_lt_u32_e32 0x387fffff, v5
	s_xor_b32 s4, exec_lo, s4
; %bb.2123:
	v_bfe_u32 v4, v3, 21, 1
	s_delay_alu instid0(VALU_DEP_1) | instskip(NEXT) | instid1(VALU_DEP_1)
	v_add3_u32 v4, v3, v4, 0x80fffff
	v_lshrrev_b32_e32 v4, 21, v4
; %bb.2124:
	s_and_not1_saveexec_b32 s4, s4
; %bb.2125:
	v_add_f32_e64 v4, 0x43000000, |v3|
; %bb.2126:
	s_or_b32 exec_lo, exec_lo, s4
                                        ; implicit-def: $vgpr5
.LBB369_2127:
	s_and_not1_saveexec_b32 s2, s2
; %bb.2128:
	v_mov_b32_e32 v4, 0x7f
	v_cmp_lt_u32_e32 vcc_lo, 0x7f800000, v5
	s_delay_alu instid0(VALU_DEP_2)
	v_cndmask_b32_e32 v4, 0x7c, v4, vcc_lo
; %bb.2129:
	s_or_b32 exec_lo, exec_lo, s2
	v_lshrrev_b32_e32 v3, 24, v3
	s_delay_alu instid0(VALU_DEP_1)
	v_and_or_b32 v3, 0x80, v3, v4
	global_store_b8 v[0:1], v3, off
.LBB369_2130:
	s_mov_b32 s2, 0
.LBB369_2131:
	s_delay_alu instid0(SALU_CYCLE_1)
	s_and_not1_b32 vcc_lo, exec_lo, s2
	s_mov_b32 s2, 0
	s_cbranch_vccnz .LBB369_2138
; %bb.2132:
	v_cmp_gt_i16_e64 s2, s3, 14
	s_delay_alu instid0(VALU_DEP_1)
	s_and_b32 vcc_lo, exec_lo, s2
	s_mov_b32 s2, -1
	s_cbranch_vccz .LBB369_2136
; %bb.2133:
	v_cmp_eq_u16_e64 s0, s3, 15
	s_delay_alu instid0(VALU_DEP_1)
	s_and_b32 vcc_lo, exec_lo, s0
	s_mov_b32 s0, -1
	s_cbranch_vccz .LBB369_2135
; %bb.2134:
	v_cvt_f32_i32_e32 v3, v2
	s_mov_b32 s0, 0
	s_delay_alu instid0(VALU_DEP_1) | instskip(NEXT) | instid1(VALU_DEP_1)
	v_bfe_u32 v4, v3, 16, 1
	v_add3_u32 v3, v3, v4, 0x7fff
	global_store_d16_hi_b16 v[0:1], v3, off
.LBB369_2135:
	s_mov_b32 s2, 0
.LBB369_2136:
	s_delay_alu instid0(SALU_CYCLE_1)
	s_and_b32 vcc_lo, exec_lo, s2
	s_mov_b32 s2, 0
	s_cbranch_vccz .LBB369_2138
; %bb.2137:
	v_cmp_ne_u16_e64 s0, s3, 11
	s_mov_b32 s2, -1
.LBB369_2138:
	s_delay_alu instid0(VALU_DEP_1)
	s_and_b32 vcc_lo, exec_lo, s0
	s_cbranch_vccnz .LBB369_2144
.LBB369_2139:
	s_mov_b32 s0, 0
	s_branch .LBB369_2017
.LBB369_2140:
	s_or_saveexec_b32 s6, s6
                                        ; implicit-def: $sgpr7
	s_delay_alu instid0(SALU_CYCLE_1)
	s_xor_b32 exec_lo, exec_lo, s6
	s_cbranch_execz .LBB369_2093
.LBB369_2141:
	v_add_f32_e64 v4, 0x46000000, |v3|
	s_and_not1_b32 s5, s5, exec_lo
	s_mov_b32 s7, 0
	s_delay_alu instid0(VALU_DEP_1) | instskip(NEXT) | instid1(VALU_DEP_1)
	v_and_b32_e32 v4, 0xff, v4
	v_cmp_ne_u32_e32 vcc_lo, 0, v4
	s_and_b32 s10, vcc_lo, exec_lo
	s_delay_alu instid0(SALU_CYCLE_1)
	s_or_b32 s5, s5, s10
	s_or_b32 exec_lo, exec_lo, s6
	v_mov_b32_e32 v5, s7
	s_and_saveexec_b32 s6, s5
	s_cbranch_execnz .LBB369_2094
	s_branch .LBB369_2095
.LBB369_2142:
	s_trap 2
	s_sendmsg_rtn_b32 s0, sendmsg(MSG_RTN_GET_DOORBELL)
	s_mov_b32 ttmp2, m0
	s_waitcnt lgkmcnt(0)
	s_and_b32 s0, s0, 0x3ff
	s_delay_alu instid0(SALU_CYCLE_1) | instskip(NEXT) | instid1(SALU_CYCLE_1)
	s_bitset1_b32 s0, 10
	s_mov_b32 m0, s0
	s_sendmsg sendmsg(MSG_INTERRUPT)
	s_mov_b32 m0, ttmp2
.LBB369_2143:                           ; =>This Inner Loop Header: Depth=1
	s_sethalt 5
	s_branch .LBB369_2143
.LBB369_2144:
	s_cbranch_execnz .LBB369_2148
; %bb.2145:
	s_mov_b32 s2, 0
	s_or_b32 s1, s1, exec_lo
	s_branch .LBB369_2139
.LBB369_2146:
	s_or_saveexec_b32 s5, s5
                                        ; implicit-def: $sgpr6
	s_delay_alu instid0(SALU_CYCLE_1)
	s_xor_b32 exec_lo, exec_lo, s5
	s_cbranch_execz .LBB369_2105
.LBB369_2147:
	v_add_f32_e64 v4, 0x42800000, |v3|
	s_and_not1_b32 s4, s4, exec_lo
	s_mov_b32 s6, 0
	s_delay_alu instid0(VALU_DEP_1) | instskip(NEXT) | instid1(VALU_DEP_1)
	v_and_b32_e32 v4, 0xff, v4
	v_cmp_ne_u32_e32 vcc_lo, 0, v4
	s_and_b32 s7, vcc_lo, exec_lo
	s_delay_alu instid0(SALU_CYCLE_1)
	s_or_b32 s4, s4, s7
	s_or_b32 exec_lo, exec_lo, s5
	v_mov_b32_e32 v5, s6
	s_and_saveexec_b32 s5, s4
	s_cbranch_execnz .LBB369_2106
	s_branch .LBB369_2107
.LBB369_2148:
	s_trap 2
	s_sendmsg_rtn_b32 s0, sendmsg(MSG_RTN_GET_DOORBELL)
	s_mov_b32 ttmp2, m0
	s_waitcnt lgkmcnt(0)
	s_and_b32 s0, s0, 0x3ff
	s_delay_alu instid0(SALU_CYCLE_1) | instskip(NEXT) | instid1(SALU_CYCLE_1)
	s_bitset1_b32 s0, 10
	s_mov_b32 m0, s0
	s_sendmsg sendmsg(MSG_INTERRUPT)
	s_mov_b32 m0, ttmp2
.LBB369_2149:                           ; =>This Inner Loop Header: Depth=1
	s_sethalt 5
	s_branch .LBB369_2149
	.section	.rodata,"a",@progbits
	.p2align	6, 0x0
	.amdhsa_kernel _ZN2at6native32elementwise_kernel_manual_unrollILi128ELi4EZNS0_15gpu_kernel_implIZZZNS0_21clamp_min_kernel_cudaERNS_18TensorIteratorBaseERKN3c106ScalarEENKUlvE_clEvENKUlvE1_clEvEUliE_EEvS4_RKT_EUlibE0_EEviT1_
		.amdhsa_group_segment_fixed_size 0
		.amdhsa_private_segment_fixed_size 0
		.amdhsa_kernarg_size 360
		.amdhsa_user_sgpr_count 15
		.amdhsa_user_sgpr_dispatch_ptr 0
		.amdhsa_user_sgpr_queue_ptr 0
		.amdhsa_user_sgpr_kernarg_segment_ptr 1
		.amdhsa_user_sgpr_dispatch_id 0
		.amdhsa_user_sgpr_private_segment_size 0
		.amdhsa_wavefront_size32 1
		.amdhsa_uses_dynamic_stack 0
		.amdhsa_enable_private_segment 0
		.amdhsa_system_sgpr_workgroup_id_x 1
		.amdhsa_system_sgpr_workgroup_id_y 0
		.amdhsa_system_sgpr_workgroup_id_z 0
		.amdhsa_system_sgpr_workgroup_info 0
		.amdhsa_system_vgpr_workitem_id 0
		.amdhsa_next_free_vgpr 18
		.amdhsa_next_free_sgpr 68
		.amdhsa_reserve_vcc 1
		.amdhsa_float_round_mode_32 0
		.amdhsa_float_round_mode_16_64 0
		.amdhsa_float_denorm_mode_32 3
		.amdhsa_float_denorm_mode_16_64 3
		.amdhsa_dx10_clamp 1
		.amdhsa_ieee_mode 1
		.amdhsa_fp16_overflow 0
		.amdhsa_workgroup_processor_mode 1
		.amdhsa_memory_ordered 1
		.amdhsa_forward_progress 0
		.amdhsa_shared_vgpr_count 0
		.amdhsa_exception_fp_ieee_invalid_op 0
		.amdhsa_exception_fp_denorm_src 0
		.amdhsa_exception_fp_ieee_div_zero 0
		.amdhsa_exception_fp_ieee_overflow 0
		.amdhsa_exception_fp_ieee_underflow 0
		.amdhsa_exception_fp_ieee_inexact 0
		.amdhsa_exception_int_div_zero 0
	.end_amdhsa_kernel
	.section	.text._ZN2at6native32elementwise_kernel_manual_unrollILi128ELi4EZNS0_15gpu_kernel_implIZZZNS0_21clamp_min_kernel_cudaERNS_18TensorIteratorBaseERKN3c106ScalarEENKUlvE_clEvENKUlvE1_clEvEUliE_EEvS4_RKT_EUlibE0_EEviT1_,"axG",@progbits,_ZN2at6native32elementwise_kernel_manual_unrollILi128ELi4EZNS0_15gpu_kernel_implIZZZNS0_21clamp_min_kernel_cudaERNS_18TensorIteratorBaseERKN3c106ScalarEENKUlvE_clEvENKUlvE1_clEvEUliE_EEvS4_RKT_EUlibE0_EEviT1_,comdat
.Lfunc_end369:
	.size	_ZN2at6native32elementwise_kernel_manual_unrollILi128ELi4EZNS0_15gpu_kernel_implIZZZNS0_21clamp_min_kernel_cudaERNS_18TensorIteratorBaseERKN3c106ScalarEENKUlvE_clEvENKUlvE1_clEvEUliE_EEvS4_RKT_EUlibE0_EEviT1_, .Lfunc_end369-_ZN2at6native32elementwise_kernel_manual_unrollILi128ELi4EZNS0_15gpu_kernel_implIZZZNS0_21clamp_min_kernel_cudaERNS_18TensorIteratorBaseERKN3c106ScalarEENKUlvE_clEvENKUlvE1_clEvEUliE_EEvS4_RKT_EUlibE0_EEviT1_
                                        ; -- End function
	.section	.AMDGPU.csdata,"",@progbits
; Kernel info:
; codeLenInByte = 39960
; NumSgprs: 70
; NumVgprs: 18
; ScratchSize: 0
; MemoryBound: 1
; FloatMode: 240
; IeeeMode: 1
; LDSByteSize: 0 bytes/workgroup (compile time only)
; SGPRBlocks: 8
; VGPRBlocks: 2
; NumSGPRsForWavesPerEU: 70
; NumVGPRsForWavesPerEU: 18
; Occupancy: 16
; WaveLimiterHint : 1
; COMPUTE_PGM_RSRC2:SCRATCH_EN: 0
; COMPUTE_PGM_RSRC2:USER_SGPR: 15
; COMPUTE_PGM_RSRC2:TRAP_HANDLER: 0
; COMPUTE_PGM_RSRC2:TGID_X_EN: 1
; COMPUTE_PGM_RSRC2:TGID_Y_EN: 0
; COMPUTE_PGM_RSRC2:TGID_Z_EN: 0
; COMPUTE_PGM_RSRC2:TIDIG_COMP_CNT: 0
	.section	.text._ZN2at6native29vectorized_elementwise_kernelILi16EZZZNS0_21clamp_min_kernel_cudaERNS_18TensorIteratorBaseERKN3c106ScalarEENKUlvE_clEvENKUlvE2_clEvEUllE_St5arrayIPcLm2EEEEviT0_T1_,"axG",@progbits,_ZN2at6native29vectorized_elementwise_kernelILi16EZZZNS0_21clamp_min_kernel_cudaERNS_18TensorIteratorBaseERKN3c106ScalarEENKUlvE_clEvENKUlvE2_clEvEUllE_St5arrayIPcLm2EEEEviT0_T1_,comdat
	.globl	_ZN2at6native29vectorized_elementwise_kernelILi16EZZZNS0_21clamp_min_kernel_cudaERNS_18TensorIteratorBaseERKN3c106ScalarEENKUlvE_clEvENKUlvE2_clEvEUllE_St5arrayIPcLm2EEEEviT0_T1_ ; -- Begin function _ZN2at6native29vectorized_elementwise_kernelILi16EZZZNS0_21clamp_min_kernel_cudaERNS_18TensorIteratorBaseERKN3c106ScalarEENKUlvE_clEvENKUlvE2_clEvEUllE_St5arrayIPcLm2EEEEviT0_T1_
	.p2align	8
	.type	_ZN2at6native29vectorized_elementwise_kernelILi16EZZZNS0_21clamp_min_kernel_cudaERNS_18TensorIteratorBaseERKN3c106ScalarEENKUlvE_clEvENKUlvE2_clEvEUllE_St5arrayIPcLm2EEEEviT0_T1_,@function
_ZN2at6native29vectorized_elementwise_kernelILi16EZZZNS0_21clamp_min_kernel_cudaERNS_18TensorIteratorBaseERKN3c106ScalarEENKUlvE_clEvENKUlvE2_clEvEUllE_St5arrayIPcLm2EEEEviT0_T1_: ; @_ZN2at6native29vectorized_elementwise_kernelILi16EZZZNS0_21clamp_min_kernel_cudaERNS_18TensorIteratorBaseERKN3c106ScalarEENKUlvE_clEvENKUlvE2_clEvEUllE_St5arrayIPcLm2EEEEviT0_T1_
; %bb.0:
	s_clause 0x2
	s_load_b32 s2, s[0:1], 0x0
	s_load_b128 s[4:7], s[0:1], 0x8
	s_load_b64 s[10:11], s[0:1], 0x18
	s_lshl_b32 s8, s15, 10
	s_mov_b32 s0, -1
	s_waitcnt lgkmcnt(0)
	s_sub_i32 s12, s2, s8
	s_delay_alu instid0(SALU_CYCLE_1)
	s_cmpk_gt_i32 s12, 0x3ff
	s_cbranch_scc0 .LBB370_2
; %bb.1:
	s_ashr_i32 s9, s8, 31
	v_lshlrev_b32_e32 v9, 5, v0
	s_lshl_b64 s[14:15], s[8:9], 3
	s_delay_alu instid0(SALU_CYCLE_1)
	s_add_u32 s0, s10, s14
	s_addc_u32 s1, s11, s15
	s_clause 0x1
	global_load_b128 v[1:4], v9, s[0:1]
	global_load_b128 v[5:8], v9, s[0:1] offset:16
	s_waitcnt vmcnt(1)
	v_cmp_lt_i64_e32 vcc_lo, s[4:5], v[1:2]
	v_cmp_lt_i64_e64 s0, s[4:5], v[3:4]
	s_waitcnt vmcnt(0)
	v_cmp_lt_i64_e64 s1, s[4:5], v[5:6]
	v_cmp_lt_i64_e64 s2, s[4:5], v[7:8]
	v_cndmask_b32_e32 v2, s5, v2, vcc_lo
	s_delay_alu instid0(VALU_DEP_4)
	v_cndmask_b32_e64 v4, s5, v4, s0
	v_cndmask_b32_e32 v1, s4, v1, vcc_lo
	v_cndmask_b32_e64 v3, s4, v3, s0
	v_cndmask_b32_e64 v6, s5, v6, s1
	;; [unrolled: 1-line block ×5, first 2 shown]
	s_add_u32 s2, s6, s14
	s_addc_u32 s3, s7, s15
	s_mov_b32 s0, 0
	s_clause 0x1
	global_store_b128 v9, v[1:4], s[2:3]
	global_store_b128 v9, v[5:8], s[2:3] offset:16
.LBB370_2:
	s_and_not1_b32 vcc_lo, exec_lo, s0
	s_cbranch_vccnz .LBB370_16
; %bb.3:
	v_dual_mov_b32 v3, 0 :: v_dual_mov_b32 v2, v0
	v_mov_b32_e32 v4, 0
	v_cmp_gt_i32_e32 vcc_lo, s12, v0
	v_or_b32_e32 v1, s8, v0
	v_or_b32_e32 v15, 0x100, v0
	s_delay_alu instid0(VALU_DEP_4)
	v_dual_mov_b32 v6, v4 :: v_dual_mov_b32 v5, v3
	s_and_saveexec_b32 s1, vcc_lo
	s_cbranch_execz .LBB370_5
; %bb.4:
	v_mov_b32_e32 v2, 0
	s_delay_alu instid0(VALU_DEP_1) | instskip(SKIP_1) | instid1(VALU_DEP_2)
	v_lshlrev_b64 v[5:6], 3, v[1:2]
	v_or_b32_e32 v2, 0x100, v0
	v_add_co_u32 v5, s0, s10, v5
	s_delay_alu instid0(VALU_DEP_1)
	v_add_co_ci_u32_e64 v6, s0, s11, v6, s0
	global_load_b64 v[5:6], v[5:6], off
.LBB370_5:
	s_or_b32 exec_lo, exec_lo, s1
	s_delay_alu instid0(SALU_CYCLE_1)
	s_mov_b32 s1, exec_lo
	v_cmpx_gt_i32_e64 s12, v2
	s_cbranch_execz .LBB370_7
; %bb.6:
	v_dual_mov_b32 v4, 0 :: v_dual_add_nc_u32 v3, s8, v2
	v_add_nc_u32_e32 v2, 0x100, v2
	s_delay_alu instid0(VALU_DEP_2) | instskip(NEXT) | instid1(VALU_DEP_1)
	v_lshlrev_b64 v[3:4], 3, v[3:4]
	v_add_co_u32 v3, s0, s10, v3
	s_delay_alu instid0(VALU_DEP_1)
	v_add_co_ci_u32_e64 v4, s0, s11, v4, s0
	global_load_b64 v[3:4], v[3:4], off
.LBB370_7:
	s_or_b32 exec_lo, exec_lo, s1
	v_mov_b32_e32 v7, 0
	v_mov_b32_e32 v8, 0
	s_mov_b32 s1, exec_lo
	s_delay_alu instid0(VALU_DEP_1)
	v_dual_mov_b32 v12, v8 :: v_dual_mov_b32 v11, v7
	v_cmpx_gt_i32_e64 s12, v2
	s_cbranch_execz .LBB370_9
; %bb.8:
	v_dual_mov_b32 v10, 0 :: v_dual_add_nc_u32 v9, s8, v2
	v_add_nc_u32_e32 v2, 0x100, v2
	s_delay_alu instid0(VALU_DEP_2) | instskip(NEXT) | instid1(VALU_DEP_1)
	v_lshlrev_b64 v[9:10], 3, v[9:10]
	v_add_co_u32 v9, s0, s10, v9
	s_delay_alu instid0(VALU_DEP_1)
	v_add_co_ci_u32_e64 v10, s0, s11, v10, s0
	global_load_b64 v[11:12], v[9:10], off
.LBB370_9:
	s_or_b32 exec_lo, exec_lo, s1
	s_delay_alu instid0(SALU_CYCLE_1)
	s_mov_b32 s1, exec_lo
	v_cmpx_gt_i32_e64 s12, v2
	s_cbranch_execz .LBB370_11
; %bb.10:
	v_dual_mov_b32 v8, 0 :: v_dual_add_nc_u32 v7, s8, v2
	s_delay_alu instid0(VALU_DEP_1) | instskip(NEXT) | instid1(VALU_DEP_1)
	v_lshlrev_b64 v[7:8], 3, v[7:8]
	v_add_co_u32 v7, s0, s10, v7
	s_delay_alu instid0(VALU_DEP_1)
	v_add_co_ci_u32_e64 v8, s0, s11, v8, s0
	global_load_b64 v[7:8], v[7:8], off
.LBB370_11:
	s_or_b32 exec_lo, exec_lo, s1
	s_waitcnt vmcnt(0)
	v_cmp_lt_i64_e64 s0, s[4:5], v[5:6]
	v_cmp_lt_i64_e64 s1, s[4:5], v[3:4]
	;; [unrolled: 1-line block ×4, first 2 shown]
	s_delay_alu instid0(VALU_DEP_4) | instskip(NEXT) | instid1(VALU_DEP_4)
	v_cndmask_b32_e64 v14, s5, v6, s0
	v_cndmask_b32_e64 v10, s5, v4, s1
	v_cndmask_b32_e64 v13, s4, v5, s0
	v_cndmask_b32_e64 v9, s4, v3, s1
	v_cndmask_b32_e64 v6, s5, v12, s2
	v_cndmask_b32_e64 v5, s4, v11, s2
	v_cndmask_b32_e64 v4, s5, v8, s3
	v_cndmask_b32_e64 v3, s4, v7, s3
	s_and_saveexec_b32 s0, vcc_lo
	s_cbranch_execnz .LBB370_17
; %bb.12:
	s_or_b32 exec_lo, exec_lo, s0
	s_delay_alu instid0(SALU_CYCLE_1)
	s_mov_b32 s0, exec_lo
	v_cmpx_gt_i32_e64 s12, v0
	s_cbranch_execnz .LBB370_18
.LBB370_13:
	s_or_b32 exec_lo, exec_lo, s0
	s_delay_alu instid0(SALU_CYCLE_1)
	s_mov_b32 s0, exec_lo
	v_cmpx_gt_i32_e64 s12, v0
	s_cbranch_execnz .LBB370_19
.LBB370_14:
	s_or_b32 exec_lo, exec_lo, s0
	s_delay_alu instid0(SALU_CYCLE_1)
	s_mov_b32 s0, exec_lo
	v_cmpx_gt_i32_e64 s12, v0
	s_cbranch_execz .LBB370_16
.LBB370_15:
	v_dual_mov_b32 v1, 0 :: v_dual_add_nc_u32 v0, s8, v0
	s_delay_alu instid0(VALU_DEP_1) | instskip(NEXT) | instid1(VALU_DEP_1)
	v_lshlrev_b64 v[0:1], 3, v[0:1]
	v_add_co_u32 v0, vcc_lo, s6, v0
	s_delay_alu instid0(VALU_DEP_2)
	v_add_co_ci_u32_e32 v1, vcc_lo, s7, v1, vcc_lo
	global_store_b64 v[0:1], v[3:4], off
.LBB370_16:
	s_nop 0
	s_sendmsg sendmsg(MSG_DEALLOC_VGPRS)
	s_endpgm
.LBB370_17:
	v_mov_b32_e32 v2, 0
	s_delay_alu instid0(VALU_DEP_1) | instskip(NEXT) | instid1(VALU_DEP_1)
	v_lshlrev_b64 v[0:1], 3, v[1:2]
	v_add_co_u32 v7, vcc_lo, s6, v0
	s_delay_alu instid0(VALU_DEP_2) | instskip(SKIP_3) | instid1(SALU_CYCLE_1)
	v_add_co_ci_u32_e32 v8, vcc_lo, s7, v1, vcc_lo
	v_mov_b32_e32 v0, v15
	global_store_b64 v[7:8], v[13:14], off
	s_or_b32 exec_lo, exec_lo, s0
	s_mov_b32 s0, exec_lo
	v_cmpx_gt_i32_e64 s12, v0
	s_cbranch_execz .LBB370_13
.LBB370_18:
	v_dual_mov_b32 v2, 0 :: v_dual_add_nc_u32 v1, s8, v0
	v_add_nc_u32_e32 v0, 0x100, v0
	s_delay_alu instid0(VALU_DEP_2) | instskip(NEXT) | instid1(VALU_DEP_1)
	v_lshlrev_b64 v[1:2], 3, v[1:2]
	v_add_co_u32 v1, vcc_lo, s6, v1
	s_delay_alu instid0(VALU_DEP_2) | instskip(SKIP_2) | instid1(SALU_CYCLE_1)
	v_add_co_ci_u32_e32 v2, vcc_lo, s7, v2, vcc_lo
	global_store_b64 v[1:2], v[9:10], off
	s_or_b32 exec_lo, exec_lo, s0
	s_mov_b32 s0, exec_lo
	v_cmpx_gt_i32_e64 s12, v0
	s_cbranch_execz .LBB370_14
.LBB370_19:
	v_dual_mov_b32 v2, 0 :: v_dual_add_nc_u32 v1, s8, v0
	v_add_nc_u32_e32 v0, 0x100, v0
	s_delay_alu instid0(VALU_DEP_2) | instskip(NEXT) | instid1(VALU_DEP_1)
	v_lshlrev_b64 v[1:2], 3, v[1:2]
	v_add_co_u32 v1, vcc_lo, s6, v1
	s_delay_alu instid0(VALU_DEP_2) | instskip(SKIP_2) | instid1(SALU_CYCLE_1)
	v_add_co_ci_u32_e32 v2, vcc_lo, s7, v2, vcc_lo
	global_store_b64 v[1:2], v[5:6], off
	s_or_b32 exec_lo, exec_lo, s0
	s_mov_b32 s0, exec_lo
	v_cmpx_gt_i32_e64 s12, v0
	s_cbranch_execnz .LBB370_15
	s_branch .LBB370_16
	.section	.rodata,"a",@progbits
	.p2align	6, 0x0
	.amdhsa_kernel _ZN2at6native29vectorized_elementwise_kernelILi16EZZZNS0_21clamp_min_kernel_cudaERNS_18TensorIteratorBaseERKN3c106ScalarEENKUlvE_clEvENKUlvE2_clEvEUllE_St5arrayIPcLm2EEEEviT0_T1_
		.amdhsa_group_segment_fixed_size 0
		.amdhsa_private_segment_fixed_size 0
		.amdhsa_kernarg_size 32
		.amdhsa_user_sgpr_count 15
		.amdhsa_user_sgpr_dispatch_ptr 0
		.amdhsa_user_sgpr_queue_ptr 0
		.amdhsa_user_sgpr_kernarg_segment_ptr 1
		.amdhsa_user_sgpr_dispatch_id 0
		.amdhsa_user_sgpr_private_segment_size 0
		.amdhsa_wavefront_size32 1
		.amdhsa_uses_dynamic_stack 0
		.amdhsa_enable_private_segment 0
		.amdhsa_system_sgpr_workgroup_id_x 1
		.amdhsa_system_sgpr_workgroup_id_y 0
		.amdhsa_system_sgpr_workgroup_id_z 0
		.amdhsa_system_sgpr_workgroup_info 0
		.amdhsa_system_vgpr_workitem_id 0
		.amdhsa_next_free_vgpr 16
		.amdhsa_next_free_sgpr 16
		.amdhsa_reserve_vcc 1
		.amdhsa_float_round_mode_32 0
		.amdhsa_float_round_mode_16_64 0
		.amdhsa_float_denorm_mode_32 3
		.amdhsa_float_denorm_mode_16_64 3
		.amdhsa_dx10_clamp 1
		.amdhsa_ieee_mode 1
		.amdhsa_fp16_overflow 0
		.amdhsa_workgroup_processor_mode 1
		.amdhsa_memory_ordered 1
		.amdhsa_forward_progress 0
		.amdhsa_shared_vgpr_count 0
		.amdhsa_exception_fp_ieee_invalid_op 0
		.amdhsa_exception_fp_denorm_src 0
		.amdhsa_exception_fp_ieee_div_zero 0
		.amdhsa_exception_fp_ieee_overflow 0
		.amdhsa_exception_fp_ieee_underflow 0
		.amdhsa_exception_fp_ieee_inexact 0
		.amdhsa_exception_int_div_zero 0
	.end_amdhsa_kernel
	.section	.text._ZN2at6native29vectorized_elementwise_kernelILi16EZZZNS0_21clamp_min_kernel_cudaERNS_18TensorIteratorBaseERKN3c106ScalarEENKUlvE_clEvENKUlvE2_clEvEUllE_St5arrayIPcLm2EEEEviT0_T1_,"axG",@progbits,_ZN2at6native29vectorized_elementwise_kernelILi16EZZZNS0_21clamp_min_kernel_cudaERNS_18TensorIteratorBaseERKN3c106ScalarEENKUlvE_clEvENKUlvE2_clEvEUllE_St5arrayIPcLm2EEEEviT0_T1_,comdat
.Lfunc_end370:
	.size	_ZN2at6native29vectorized_elementwise_kernelILi16EZZZNS0_21clamp_min_kernel_cudaERNS_18TensorIteratorBaseERKN3c106ScalarEENKUlvE_clEvENKUlvE2_clEvEUllE_St5arrayIPcLm2EEEEviT0_T1_, .Lfunc_end370-_ZN2at6native29vectorized_elementwise_kernelILi16EZZZNS0_21clamp_min_kernel_cudaERNS_18TensorIteratorBaseERKN3c106ScalarEENKUlvE_clEvENKUlvE2_clEvEUllE_St5arrayIPcLm2EEEEviT0_T1_
                                        ; -- End function
	.section	.AMDGPU.csdata,"",@progbits
; Kernel info:
; codeLenInByte = 1040
; NumSgprs: 18
; NumVgprs: 16
; ScratchSize: 0
; MemoryBound: 0
; FloatMode: 240
; IeeeMode: 1
; LDSByteSize: 0 bytes/workgroup (compile time only)
; SGPRBlocks: 2
; VGPRBlocks: 1
; NumSGPRsForWavesPerEU: 18
; NumVGPRsForWavesPerEU: 16
; Occupancy: 16
; WaveLimiterHint : 0
; COMPUTE_PGM_RSRC2:SCRATCH_EN: 0
; COMPUTE_PGM_RSRC2:USER_SGPR: 15
; COMPUTE_PGM_RSRC2:TRAP_HANDLER: 0
; COMPUTE_PGM_RSRC2:TGID_X_EN: 1
; COMPUTE_PGM_RSRC2:TGID_Y_EN: 0
; COMPUTE_PGM_RSRC2:TGID_Z_EN: 0
; COMPUTE_PGM_RSRC2:TIDIG_COMP_CNT: 0
	.section	.text._ZN2at6native29vectorized_elementwise_kernelILi8EZZZNS0_21clamp_min_kernel_cudaERNS_18TensorIteratorBaseERKN3c106ScalarEENKUlvE_clEvENKUlvE2_clEvEUllE_St5arrayIPcLm2EEEEviT0_T1_,"axG",@progbits,_ZN2at6native29vectorized_elementwise_kernelILi8EZZZNS0_21clamp_min_kernel_cudaERNS_18TensorIteratorBaseERKN3c106ScalarEENKUlvE_clEvENKUlvE2_clEvEUllE_St5arrayIPcLm2EEEEviT0_T1_,comdat
	.globl	_ZN2at6native29vectorized_elementwise_kernelILi8EZZZNS0_21clamp_min_kernel_cudaERNS_18TensorIteratorBaseERKN3c106ScalarEENKUlvE_clEvENKUlvE2_clEvEUllE_St5arrayIPcLm2EEEEviT0_T1_ ; -- Begin function _ZN2at6native29vectorized_elementwise_kernelILi8EZZZNS0_21clamp_min_kernel_cudaERNS_18TensorIteratorBaseERKN3c106ScalarEENKUlvE_clEvENKUlvE2_clEvEUllE_St5arrayIPcLm2EEEEviT0_T1_
	.p2align	8
	.type	_ZN2at6native29vectorized_elementwise_kernelILi8EZZZNS0_21clamp_min_kernel_cudaERNS_18TensorIteratorBaseERKN3c106ScalarEENKUlvE_clEvENKUlvE2_clEvEUllE_St5arrayIPcLm2EEEEviT0_T1_,@function
_ZN2at6native29vectorized_elementwise_kernelILi8EZZZNS0_21clamp_min_kernel_cudaERNS_18TensorIteratorBaseERKN3c106ScalarEENKUlvE_clEvENKUlvE2_clEvEUllE_St5arrayIPcLm2EEEEviT0_T1_: ; @_ZN2at6native29vectorized_elementwise_kernelILi8EZZZNS0_21clamp_min_kernel_cudaERNS_18TensorIteratorBaseERKN3c106ScalarEENKUlvE_clEvENKUlvE2_clEvEUllE_St5arrayIPcLm2EEEEviT0_T1_
; %bb.0:
	s_clause 0x2
	s_load_b32 s2, s[0:1], 0x0
	s_load_b128 s[4:7], s[0:1], 0x8
	s_load_b64 s[10:11], s[0:1], 0x18
	s_lshl_b32 s8, s15, 10
	s_mov_b32 s0, -1
	s_waitcnt lgkmcnt(0)
	s_sub_i32 s12, s2, s8
	s_delay_alu instid0(SALU_CYCLE_1)
	s_cmpk_gt_i32 s12, 0x3ff
	s_cbranch_scc0 .LBB371_2
; %bb.1:
	s_ashr_i32 s9, s8, 31
	v_lshlrev_b32_e32 v9, 5, v0
	s_lshl_b64 s[14:15], s[8:9], 3
	s_delay_alu instid0(SALU_CYCLE_1)
	s_add_u32 s0, s10, s14
	s_addc_u32 s1, s11, s15
	s_clause 0x1
	global_load_b128 v[1:4], v9, s[0:1]
	global_load_b128 v[5:8], v9, s[0:1] offset:16
	s_waitcnt vmcnt(1)
	v_cmp_lt_i64_e32 vcc_lo, s[4:5], v[1:2]
	v_cmp_lt_i64_e64 s0, s[4:5], v[3:4]
	s_waitcnt vmcnt(0)
	v_cmp_lt_i64_e64 s1, s[4:5], v[5:6]
	v_cmp_lt_i64_e64 s2, s[4:5], v[7:8]
	v_cndmask_b32_e32 v2, s5, v2, vcc_lo
	s_delay_alu instid0(VALU_DEP_4)
	v_cndmask_b32_e64 v4, s5, v4, s0
	v_cndmask_b32_e32 v1, s4, v1, vcc_lo
	v_cndmask_b32_e64 v3, s4, v3, s0
	v_cndmask_b32_e64 v6, s5, v6, s1
	v_cndmask_b32_e64 v8, s5, v8, s2
	v_cndmask_b32_e64 v5, s4, v5, s1
	v_cndmask_b32_e64 v7, s4, v7, s2
	s_add_u32 s2, s6, s14
	s_addc_u32 s3, s7, s15
	s_mov_b32 s0, 0
	s_clause 0x1
	global_store_b128 v9, v[1:4], s[2:3]
	global_store_b128 v9, v[5:8], s[2:3] offset:16
.LBB371_2:
	s_and_not1_b32 vcc_lo, exec_lo, s0
	s_cbranch_vccnz .LBB371_16
; %bb.3:
	v_dual_mov_b32 v3, 0 :: v_dual_mov_b32 v2, v0
	v_mov_b32_e32 v4, 0
	v_cmp_gt_i32_e32 vcc_lo, s12, v0
	v_or_b32_e32 v1, s8, v0
	v_or_b32_e32 v15, 0x100, v0
	s_delay_alu instid0(VALU_DEP_4)
	v_dual_mov_b32 v6, v4 :: v_dual_mov_b32 v5, v3
	s_and_saveexec_b32 s1, vcc_lo
	s_cbranch_execz .LBB371_5
; %bb.4:
	v_mov_b32_e32 v2, 0
	s_delay_alu instid0(VALU_DEP_1) | instskip(SKIP_1) | instid1(VALU_DEP_2)
	v_lshlrev_b64 v[5:6], 3, v[1:2]
	v_or_b32_e32 v2, 0x100, v0
	v_add_co_u32 v5, s0, s10, v5
	s_delay_alu instid0(VALU_DEP_1)
	v_add_co_ci_u32_e64 v6, s0, s11, v6, s0
	global_load_b64 v[5:6], v[5:6], off
.LBB371_5:
	s_or_b32 exec_lo, exec_lo, s1
	s_delay_alu instid0(SALU_CYCLE_1)
	s_mov_b32 s1, exec_lo
	v_cmpx_gt_i32_e64 s12, v2
	s_cbranch_execz .LBB371_7
; %bb.6:
	v_dual_mov_b32 v4, 0 :: v_dual_add_nc_u32 v3, s8, v2
	v_add_nc_u32_e32 v2, 0x100, v2
	s_delay_alu instid0(VALU_DEP_2) | instskip(NEXT) | instid1(VALU_DEP_1)
	v_lshlrev_b64 v[3:4], 3, v[3:4]
	v_add_co_u32 v3, s0, s10, v3
	s_delay_alu instid0(VALU_DEP_1)
	v_add_co_ci_u32_e64 v4, s0, s11, v4, s0
	global_load_b64 v[3:4], v[3:4], off
.LBB371_7:
	s_or_b32 exec_lo, exec_lo, s1
	v_mov_b32_e32 v7, 0
	v_mov_b32_e32 v8, 0
	s_mov_b32 s1, exec_lo
	s_delay_alu instid0(VALU_DEP_1)
	v_dual_mov_b32 v12, v8 :: v_dual_mov_b32 v11, v7
	v_cmpx_gt_i32_e64 s12, v2
	s_cbranch_execz .LBB371_9
; %bb.8:
	v_dual_mov_b32 v10, 0 :: v_dual_add_nc_u32 v9, s8, v2
	v_add_nc_u32_e32 v2, 0x100, v2
	s_delay_alu instid0(VALU_DEP_2) | instskip(NEXT) | instid1(VALU_DEP_1)
	v_lshlrev_b64 v[9:10], 3, v[9:10]
	v_add_co_u32 v9, s0, s10, v9
	s_delay_alu instid0(VALU_DEP_1)
	v_add_co_ci_u32_e64 v10, s0, s11, v10, s0
	global_load_b64 v[11:12], v[9:10], off
.LBB371_9:
	s_or_b32 exec_lo, exec_lo, s1
	s_delay_alu instid0(SALU_CYCLE_1)
	s_mov_b32 s1, exec_lo
	v_cmpx_gt_i32_e64 s12, v2
	s_cbranch_execz .LBB371_11
; %bb.10:
	v_dual_mov_b32 v8, 0 :: v_dual_add_nc_u32 v7, s8, v2
	s_delay_alu instid0(VALU_DEP_1) | instskip(NEXT) | instid1(VALU_DEP_1)
	v_lshlrev_b64 v[7:8], 3, v[7:8]
	v_add_co_u32 v7, s0, s10, v7
	s_delay_alu instid0(VALU_DEP_1)
	v_add_co_ci_u32_e64 v8, s0, s11, v8, s0
	global_load_b64 v[7:8], v[7:8], off
.LBB371_11:
	s_or_b32 exec_lo, exec_lo, s1
	s_waitcnt vmcnt(0)
	v_cmp_lt_i64_e64 s0, s[4:5], v[5:6]
	v_cmp_lt_i64_e64 s1, s[4:5], v[3:4]
	;; [unrolled: 1-line block ×4, first 2 shown]
	s_delay_alu instid0(VALU_DEP_4) | instskip(NEXT) | instid1(VALU_DEP_4)
	v_cndmask_b32_e64 v14, s5, v6, s0
	v_cndmask_b32_e64 v10, s5, v4, s1
	;; [unrolled: 1-line block ×8, first 2 shown]
	s_and_saveexec_b32 s0, vcc_lo
	s_cbranch_execnz .LBB371_17
; %bb.12:
	s_or_b32 exec_lo, exec_lo, s0
	s_delay_alu instid0(SALU_CYCLE_1)
	s_mov_b32 s0, exec_lo
	v_cmpx_gt_i32_e64 s12, v0
	s_cbranch_execnz .LBB371_18
.LBB371_13:
	s_or_b32 exec_lo, exec_lo, s0
	s_delay_alu instid0(SALU_CYCLE_1)
	s_mov_b32 s0, exec_lo
	v_cmpx_gt_i32_e64 s12, v0
	s_cbranch_execnz .LBB371_19
.LBB371_14:
	s_or_b32 exec_lo, exec_lo, s0
	s_delay_alu instid0(SALU_CYCLE_1)
	s_mov_b32 s0, exec_lo
	v_cmpx_gt_i32_e64 s12, v0
	s_cbranch_execz .LBB371_16
.LBB371_15:
	v_dual_mov_b32 v1, 0 :: v_dual_add_nc_u32 v0, s8, v0
	s_delay_alu instid0(VALU_DEP_1) | instskip(NEXT) | instid1(VALU_DEP_1)
	v_lshlrev_b64 v[0:1], 3, v[0:1]
	v_add_co_u32 v0, vcc_lo, s6, v0
	s_delay_alu instid0(VALU_DEP_2)
	v_add_co_ci_u32_e32 v1, vcc_lo, s7, v1, vcc_lo
	global_store_b64 v[0:1], v[3:4], off
.LBB371_16:
	s_nop 0
	s_sendmsg sendmsg(MSG_DEALLOC_VGPRS)
	s_endpgm
.LBB371_17:
	v_mov_b32_e32 v2, 0
	s_delay_alu instid0(VALU_DEP_1) | instskip(NEXT) | instid1(VALU_DEP_1)
	v_lshlrev_b64 v[0:1], 3, v[1:2]
	v_add_co_u32 v7, vcc_lo, s6, v0
	s_delay_alu instid0(VALU_DEP_2) | instskip(SKIP_3) | instid1(SALU_CYCLE_1)
	v_add_co_ci_u32_e32 v8, vcc_lo, s7, v1, vcc_lo
	v_mov_b32_e32 v0, v15
	global_store_b64 v[7:8], v[13:14], off
	s_or_b32 exec_lo, exec_lo, s0
	s_mov_b32 s0, exec_lo
	v_cmpx_gt_i32_e64 s12, v0
	s_cbranch_execz .LBB371_13
.LBB371_18:
	v_dual_mov_b32 v2, 0 :: v_dual_add_nc_u32 v1, s8, v0
	v_add_nc_u32_e32 v0, 0x100, v0
	s_delay_alu instid0(VALU_DEP_2) | instskip(NEXT) | instid1(VALU_DEP_1)
	v_lshlrev_b64 v[1:2], 3, v[1:2]
	v_add_co_u32 v1, vcc_lo, s6, v1
	s_delay_alu instid0(VALU_DEP_2) | instskip(SKIP_2) | instid1(SALU_CYCLE_1)
	v_add_co_ci_u32_e32 v2, vcc_lo, s7, v2, vcc_lo
	global_store_b64 v[1:2], v[9:10], off
	s_or_b32 exec_lo, exec_lo, s0
	s_mov_b32 s0, exec_lo
	v_cmpx_gt_i32_e64 s12, v0
	s_cbranch_execz .LBB371_14
.LBB371_19:
	v_dual_mov_b32 v2, 0 :: v_dual_add_nc_u32 v1, s8, v0
	v_add_nc_u32_e32 v0, 0x100, v0
	s_delay_alu instid0(VALU_DEP_2) | instskip(NEXT) | instid1(VALU_DEP_1)
	v_lshlrev_b64 v[1:2], 3, v[1:2]
	v_add_co_u32 v1, vcc_lo, s6, v1
	s_delay_alu instid0(VALU_DEP_2) | instskip(SKIP_2) | instid1(SALU_CYCLE_1)
	v_add_co_ci_u32_e32 v2, vcc_lo, s7, v2, vcc_lo
	global_store_b64 v[1:2], v[5:6], off
	s_or_b32 exec_lo, exec_lo, s0
	s_mov_b32 s0, exec_lo
	v_cmpx_gt_i32_e64 s12, v0
	s_cbranch_execnz .LBB371_15
	s_branch .LBB371_16
	.section	.rodata,"a",@progbits
	.p2align	6, 0x0
	.amdhsa_kernel _ZN2at6native29vectorized_elementwise_kernelILi8EZZZNS0_21clamp_min_kernel_cudaERNS_18TensorIteratorBaseERKN3c106ScalarEENKUlvE_clEvENKUlvE2_clEvEUllE_St5arrayIPcLm2EEEEviT0_T1_
		.amdhsa_group_segment_fixed_size 0
		.amdhsa_private_segment_fixed_size 0
		.amdhsa_kernarg_size 32
		.amdhsa_user_sgpr_count 15
		.amdhsa_user_sgpr_dispatch_ptr 0
		.amdhsa_user_sgpr_queue_ptr 0
		.amdhsa_user_sgpr_kernarg_segment_ptr 1
		.amdhsa_user_sgpr_dispatch_id 0
		.amdhsa_user_sgpr_private_segment_size 0
		.amdhsa_wavefront_size32 1
		.amdhsa_uses_dynamic_stack 0
		.amdhsa_enable_private_segment 0
		.amdhsa_system_sgpr_workgroup_id_x 1
		.amdhsa_system_sgpr_workgroup_id_y 0
		.amdhsa_system_sgpr_workgroup_id_z 0
		.amdhsa_system_sgpr_workgroup_info 0
		.amdhsa_system_vgpr_workitem_id 0
		.amdhsa_next_free_vgpr 16
		.amdhsa_next_free_sgpr 16
		.amdhsa_reserve_vcc 1
		.amdhsa_float_round_mode_32 0
		.amdhsa_float_round_mode_16_64 0
		.amdhsa_float_denorm_mode_32 3
		.amdhsa_float_denorm_mode_16_64 3
		.amdhsa_dx10_clamp 1
		.amdhsa_ieee_mode 1
		.amdhsa_fp16_overflow 0
		.amdhsa_workgroup_processor_mode 1
		.amdhsa_memory_ordered 1
		.amdhsa_forward_progress 0
		.amdhsa_shared_vgpr_count 0
		.amdhsa_exception_fp_ieee_invalid_op 0
		.amdhsa_exception_fp_denorm_src 0
		.amdhsa_exception_fp_ieee_div_zero 0
		.amdhsa_exception_fp_ieee_overflow 0
		.amdhsa_exception_fp_ieee_underflow 0
		.amdhsa_exception_fp_ieee_inexact 0
		.amdhsa_exception_int_div_zero 0
	.end_amdhsa_kernel
	.section	.text._ZN2at6native29vectorized_elementwise_kernelILi8EZZZNS0_21clamp_min_kernel_cudaERNS_18TensorIteratorBaseERKN3c106ScalarEENKUlvE_clEvENKUlvE2_clEvEUllE_St5arrayIPcLm2EEEEviT0_T1_,"axG",@progbits,_ZN2at6native29vectorized_elementwise_kernelILi8EZZZNS0_21clamp_min_kernel_cudaERNS_18TensorIteratorBaseERKN3c106ScalarEENKUlvE_clEvENKUlvE2_clEvEUllE_St5arrayIPcLm2EEEEviT0_T1_,comdat
.Lfunc_end371:
	.size	_ZN2at6native29vectorized_elementwise_kernelILi8EZZZNS0_21clamp_min_kernel_cudaERNS_18TensorIteratorBaseERKN3c106ScalarEENKUlvE_clEvENKUlvE2_clEvEUllE_St5arrayIPcLm2EEEEviT0_T1_, .Lfunc_end371-_ZN2at6native29vectorized_elementwise_kernelILi8EZZZNS0_21clamp_min_kernel_cudaERNS_18TensorIteratorBaseERKN3c106ScalarEENKUlvE_clEvENKUlvE2_clEvEUllE_St5arrayIPcLm2EEEEviT0_T1_
                                        ; -- End function
	.section	.AMDGPU.csdata,"",@progbits
; Kernel info:
; codeLenInByte = 1040
; NumSgprs: 18
; NumVgprs: 16
; ScratchSize: 0
; MemoryBound: 0
; FloatMode: 240
; IeeeMode: 1
; LDSByteSize: 0 bytes/workgroup (compile time only)
; SGPRBlocks: 2
; VGPRBlocks: 1
; NumSGPRsForWavesPerEU: 18
; NumVGPRsForWavesPerEU: 16
; Occupancy: 16
; WaveLimiterHint : 0
; COMPUTE_PGM_RSRC2:SCRATCH_EN: 0
; COMPUTE_PGM_RSRC2:USER_SGPR: 15
; COMPUTE_PGM_RSRC2:TRAP_HANDLER: 0
; COMPUTE_PGM_RSRC2:TGID_X_EN: 1
; COMPUTE_PGM_RSRC2:TGID_Y_EN: 0
; COMPUTE_PGM_RSRC2:TGID_Z_EN: 0
; COMPUTE_PGM_RSRC2:TIDIG_COMP_CNT: 0
	.section	.text._ZN2at6native29vectorized_elementwise_kernelILi4EZZZNS0_21clamp_min_kernel_cudaERNS_18TensorIteratorBaseERKN3c106ScalarEENKUlvE_clEvENKUlvE2_clEvEUllE_St5arrayIPcLm2EEEEviT0_T1_,"axG",@progbits,_ZN2at6native29vectorized_elementwise_kernelILi4EZZZNS0_21clamp_min_kernel_cudaERNS_18TensorIteratorBaseERKN3c106ScalarEENKUlvE_clEvENKUlvE2_clEvEUllE_St5arrayIPcLm2EEEEviT0_T1_,comdat
	.globl	_ZN2at6native29vectorized_elementwise_kernelILi4EZZZNS0_21clamp_min_kernel_cudaERNS_18TensorIteratorBaseERKN3c106ScalarEENKUlvE_clEvENKUlvE2_clEvEUllE_St5arrayIPcLm2EEEEviT0_T1_ ; -- Begin function _ZN2at6native29vectorized_elementwise_kernelILi4EZZZNS0_21clamp_min_kernel_cudaERNS_18TensorIteratorBaseERKN3c106ScalarEENKUlvE_clEvENKUlvE2_clEvEUllE_St5arrayIPcLm2EEEEviT0_T1_
	.p2align	8
	.type	_ZN2at6native29vectorized_elementwise_kernelILi4EZZZNS0_21clamp_min_kernel_cudaERNS_18TensorIteratorBaseERKN3c106ScalarEENKUlvE_clEvENKUlvE2_clEvEUllE_St5arrayIPcLm2EEEEviT0_T1_,@function
_ZN2at6native29vectorized_elementwise_kernelILi4EZZZNS0_21clamp_min_kernel_cudaERNS_18TensorIteratorBaseERKN3c106ScalarEENKUlvE_clEvENKUlvE2_clEvEUllE_St5arrayIPcLm2EEEEviT0_T1_: ; @_ZN2at6native29vectorized_elementwise_kernelILi4EZZZNS0_21clamp_min_kernel_cudaERNS_18TensorIteratorBaseERKN3c106ScalarEENKUlvE_clEvENKUlvE2_clEvEUllE_St5arrayIPcLm2EEEEviT0_T1_
; %bb.0:
	s_clause 0x2
	s_load_b32 s2, s[0:1], 0x0
	s_load_b128 s[4:7], s[0:1], 0x8
	s_load_b64 s[10:11], s[0:1], 0x18
	s_lshl_b32 s8, s15, 10
	s_mov_b32 s0, -1
	s_waitcnt lgkmcnt(0)
	s_sub_i32 s12, s2, s8
	s_delay_alu instid0(SALU_CYCLE_1)
	s_cmpk_gt_i32 s12, 0x3ff
	s_cbranch_scc0 .LBB372_2
; %bb.1:
	s_ashr_i32 s9, s8, 31
	v_lshlrev_b32_e32 v9, 5, v0
	s_lshl_b64 s[14:15], s[8:9], 3
	s_delay_alu instid0(SALU_CYCLE_1)
	s_add_u32 s0, s10, s14
	s_addc_u32 s1, s11, s15
	s_clause 0x1
	global_load_b128 v[1:4], v9, s[0:1]
	global_load_b128 v[5:8], v9, s[0:1] offset:16
	s_waitcnt vmcnt(1)
	v_cmp_lt_i64_e32 vcc_lo, s[4:5], v[1:2]
	v_cmp_lt_i64_e64 s0, s[4:5], v[3:4]
	s_waitcnt vmcnt(0)
	v_cmp_lt_i64_e64 s1, s[4:5], v[5:6]
	v_cmp_lt_i64_e64 s2, s[4:5], v[7:8]
	v_cndmask_b32_e32 v2, s5, v2, vcc_lo
	s_delay_alu instid0(VALU_DEP_4)
	v_cndmask_b32_e64 v4, s5, v4, s0
	v_cndmask_b32_e32 v1, s4, v1, vcc_lo
	v_cndmask_b32_e64 v3, s4, v3, s0
	v_cndmask_b32_e64 v6, s5, v6, s1
	;; [unrolled: 1-line block ×5, first 2 shown]
	s_add_u32 s2, s6, s14
	s_addc_u32 s3, s7, s15
	s_mov_b32 s0, 0
	s_clause 0x1
	global_store_b128 v9, v[1:4], s[2:3]
	global_store_b128 v9, v[5:8], s[2:3] offset:16
.LBB372_2:
	s_and_not1_b32 vcc_lo, exec_lo, s0
	s_cbranch_vccnz .LBB372_16
; %bb.3:
	v_dual_mov_b32 v3, 0 :: v_dual_mov_b32 v2, v0
	v_mov_b32_e32 v4, 0
	v_cmp_gt_i32_e32 vcc_lo, s12, v0
	v_or_b32_e32 v1, s8, v0
	v_or_b32_e32 v15, 0x100, v0
	s_delay_alu instid0(VALU_DEP_4)
	v_dual_mov_b32 v6, v4 :: v_dual_mov_b32 v5, v3
	s_and_saveexec_b32 s1, vcc_lo
	s_cbranch_execz .LBB372_5
; %bb.4:
	v_mov_b32_e32 v2, 0
	s_delay_alu instid0(VALU_DEP_1) | instskip(SKIP_1) | instid1(VALU_DEP_2)
	v_lshlrev_b64 v[5:6], 3, v[1:2]
	v_or_b32_e32 v2, 0x100, v0
	v_add_co_u32 v5, s0, s10, v5
	s_delay_alu instid0(VALU_DEP_1)
	v_add_co_ci_u32_e64 v6, s0, s11, v6, s0
	global_load_b64 v[5:6], v[5:6], off
.LBB372_5:
	s_or_b32 exec_lo, exec_lo, s1
	s_delay_alu instid0(SALU_CYCLE_1)
	s_mov_b32 s1, exec_lo
	v_cmpx_gt_i32_e64 s12, v2
	s_cbranch_execz .LBB372_7
; %bb.6:
	v_dual_mov_b32 v4, 0 :: v_dual_add_nc_u32 v3, s8, v2
	v_add_nc_u32_e32 v2, 0x100, v2
	s_delay_alu instid0(VALU_DEP_2) | instskip(NEXT) | instid1(VALU_DEP_1)
	v_lshlrev_b64 v[3:4], 3, v[3:4]
	v_add_co_u32 v3, s0, s10, v3
	s_delay_alu instid0(VALU_DEP_1)
	v_add_co_ci_u32_e64 v4, s0, s11, v4, s0
	global_load_b64 v[3:4], v[3:4], off
.LBB372_7:
	s_or_b32 exec_lo, exec_lo, s1
	v_mov_b32_e32 v7, 0
	v_mov_b32_e32 v8, 0
	s_mov_b32 s1, exec_lo
	s_delay_alu instid0(VALU_DEP_1)
	v_dual_mov_b32 v12, v8 :: v_dual_mov_b32 v11, v7
	v_cmpx_gt_i32_e64 s12, v2
	s_cbranch_execz .LBB372_9
; %bb.8:
	v_dual_mov_b32 v10, 0 :: v_dual_add_nc_u32 v9, s8, v2
	v_add_nc_u32_e32 v2, 0x100, v2
	s_delay_alu instid0(VALU_DEP_2) | instskip(NEXT) | instid1(VALU_DEP_1)
	v_lshlrev_b64 v[9:10], 3, v[9:10]
	v_add_co_u32 v9, s0, s10, v9
	s_delay_alu instid0(VALU_DEP_1)
	v_add_co_ci_u32_e64 v10, s0, s11, v10, s0
	global_load_b64 v[11:12], v[9:10], off
.LBB372_9:
	s_or_b32 exec_lo, exec_lo, s1
	s_delay_alu instid0(SALU_CYCLE_1)
	s_mov_b32 s1, exec_lo
	v_cmpx_gt_i32_e64 s12, v2
	s_cbranch_execz .LBB372_11
; %bb.10:
	v_dual_mov_b32 v8, 0 :: v_dual_add_nc_u32 v7, s8, v2
	s_delay_alu instid0(VALU_DEP_1) | instskip(NEXT) | instid1(VALU_DEP_1)
	v_lshlrev_b64 v[7:8], 3, v[7:8]
	v_add_co_u32 v7, s0, s10, v7
	s_delay_alu instid0(VALU_DEP_1)
	v_add_co_ci_u32_e64 v8, s0, s11, v8, s0
	global_load_b64 v[7:8], v[7:8], off
.LBB372_11:
	s_or_b32 exec_lo, exec_lo, s1
	s_waitcnt vmcnt(0)
	v_cmp_lt_i64_e64 s0, s[4:5], v[5:6]
	v_cmp_lt_i64_e64 s1, s[4:5], v[3:4]
	;; [unrolled: 1-line block ×4, first 2 shown]
	s_delay_alu instid0(VALU_DEP_4) | instskip(NEXT) | instid1(VALU_DEP_4)
	v_cndmask_b32_e64 v14, s5, v6, s0
	v_cndmask_b32_e64 v10, s5, v4, s1
	;; [unrolled: 1-line block ×8, first 2 shown]
	s_and_saveexec_b32 s0, vcc_lo
	s_cbranch_execnz .LBB372_17
; %bb.12:
	s_or_b32 exec_lo, exec_lo, s0
	s_delay_alu instid0(SALU_CYCLE_1)
	s_mov_b32 s0, exec_lo
	v_cmpx_gt_i32_e64 s12, v0
	s_cbranch_execnz .LBB372_18
.LBB372_13:
	s_or_b32 exec_lo, exec_lo, s0
	s_delay_alu instid0(SALU_CYCLE_1)
	s_mov_b32 s0, exec_lo
	v_cmpx_gt_i32_e64 s12, v0
	s_cbranch_execnz .LBB372_19
.LBB372_14:
	s_or_b32 exec_lo, exec_lo, s0
	s_delay_alu instid0(SALU_CYCLE_1)
	s_mov_b32 s0, exec_lo
	v_cmpx_gt_i32_e64 s12, v0
	s_cbranch_execz .LBB372_16
.LBB372_15:
	v_dual_mov_b32 v1, 0 :: v_dual_add_nc_u32 v0, s8, v0
	s_delay_alu instid0(VALU_DEP_1) | instskip(NEXT) | instid1(VALU_DEP_1)
	v_lshlrev_b64 v[0:1], 3, v[0:1]
	v_add_co_u32 v0, vcc_lo, s6, v0
	s_delay_alu instid0(VALU_DEP_2)
	v_add_co_ci_u32_e32 v1, vcc_lo, s7, v1, vcc_lo
	global_store_b64 v[0:1], v[3:4], off
.LBB372_16:
	s_nop 0
	s_sendmsg sendmsg(MSG_DEALLOC_VGPRS)
	s_endpgm
.LBB372_17:
	v_mov_b32_e32 v2, 0
	s_delay_alu instid0(VALU_DEP_1) | instskip(NEXT) | instid1(VALU_DEP_1)
	v_lshlrev_b64 v[0:1], 3, v[1:2]
	v_add_co_u32 v7, vcc_lo, s6, v0
	s_delay_alu instid0(VALU_DEP_2) | instskip(SKIP_3) | instid1(SALU_CYCLE_1)
	v_add_co_ci_u32_e32 v8, vcc_lo, s7, v1, vcc_lo
	v_mov_b32_e32 v0, v15
	global_store_b64 v[7:8], v[13:14], off
	s_or_b32 exec_lo, exec_lo, s0
	s_mov_b32 s0, exec_lo
	v_cmpx_gt_i32_e64 s12, v0
	s_cbranch_execz .LBB372_13
.LBB372_18:
	v_dual_mov_b32 v2, 0 :: v_dual_add_nc_u32 v1, s8, v0
	v_add_nc_u32_e32 v0, 0x100, v0
	s_delay_alu instid0(VALU_DEP_2) | instskip(NEXT) | instid1(VALU_DEP_1)
	v_lshlrev_b64 v[1:2], 3, v[1:2]
	v_add_co_u32 v1, vcc_lo, s6, v1
	s_delay_alu instid0(VALU_DEP_2) | instskip(SKIP_2) | instid1(SALU_CYCLE_1)
	v_add_co_ci_u32_e32 v2, vcc_lo, s7, v2, vcc_lo
	global_store_b64 v[1:2], v[9:10], off
	s_or_b32 exec_lo, exec_lo, s0
	s_mov_b32 s0, exec_lo
	v_cmpx_gt_i32_e64 s12, v0
	s_cbranch_execz .LBB372_14
.LBB372_19:
	v_dual_mov_b32 v2, 0 :: v_dual_add_nc_u32 v1, s8, v0
	v_add_nc_u32_e32 v0, 0x100, v0
	s_delay_alu instid0(VALU_DEP_2) | instskip(NEXT) | instid1(VALU_DEP_1)
	v_lshlrev_b64 v[1:2], 3, v[1:2]
	v_add_co_u32 v1, vcc_lo, s6, v1
	s_delay_alu instid0(VALU_DEP_2) | instskip(SKIP_2) | instid1(SALU_CYCLE_1)
	v_add_co_ci_u32_e32 v2, vcc_lo, s7, v2, vcc_lo
	global_store_b64 v[1:2], v[5:6], off
	s_or_b32 exec_lo, exec_lo, s0
	s_mov_b32 s0, exec_lo
	v_cmpx_gt_i32_e64 s12, v0
	s_cbranch_execnz .LBB372_15
	s_branch .LBB372_16
	.section	.rodata,"a",@progbits
	.p2align	6, 0x0
	.amdhsa_kernel _ZN2at6native29vectorized_elementwise_kernelILi4EZZZNS0_21clamp_min_kernel_cudaERNS_18TensorIteratorBaseERKN3c106ScalarEENKUlvE_clEvENKUlvE2_clEvEUllE_St5arrayIPcLm2EEEEviT0_T1_
		.amdhsa_group_segment_fixed_size 0
		.amdhsa_private_segment_fixed_size 0
		.amdhsa_kernarg_size 32
		.amdhsa_user_sgpr_count 15
		.amdhsa_user_sgpr_dispatch_ptr 0
		.amdhsa_user_sgpr_queue_ptr 0
		.amdhsa_user_sgpr_kernarg_segment_ptr 1
		.amdhsa_user_sgpr_dispatch_id 0
		.amdhsa_user_sgpr_private_segment_size 0
		.amdhsa_wavefront_size32 1
		.amdhsa_uses_dynamic_stack 0
		.amdhsa_enable_private_segment 0
		.amdhsa_system_sgpr_workgroup_id_x 1
		.amdhsa_system_sgpr_workgroup_id_y 0
		.amdhsa_system_sgpr_workgroup_id_z 0
		.amdhsa_system_sgpr_workgroup_info 0
		.amdhsa_system_vgpr_workitem_id 0
		.amdhsa_next_free_vgpr 16
		.amdhsa_next_free_sgpr 16
		.amdhsa_reserve_vcc 1
		.amdhsa_float_round_mode_32 0
		.amdhsa_float_round_mode_16_64 0
		.amdhsa_float_denorm_mode_32 3
		.amdhsa_float_denorm_mode_16_64 3
		.amdhsa_dx10_clamp 1
		.amdhsa_ieee_mode 1
		.amdhsa_fp16_overflow 0
		.amdhsa_workgroup_processor_mode 1
		.amdhsa_memory_ordered 1
		.amdhsa_forward_progress 0
		.amdhsa_shared_vgpr_count 0
		.amdhsa_exception_fp_ieee_invalid_op 0
		.amdhsa_exception_fp_denorm_src 0
		.amdhsa_exception_fp_ieee_div_zero 0
		.amdhsa_exception_fp_ieee_overflow 0
		.amdhsa_exception_fp_ieee_underflow 0
		.amdhsa_exception_fp_ieee_inexact 0
		.amdhsa_exception_int_div_zero 0
	.end_amdhsa_kernel
	.section	.text._ZN2at6native29vectorized_elementwise_kernelILi4EZZZNS0_21clamp_min_kernel_cudaERNS_18TensorIteratorBaseERKN3c106ScalarEENKUlvE_clEvENKUlvE2_clEvEUllE_St5arrayIPcLm2EEEEviT0_T1_,"axG",@progbits,_ZN2at6native29vectorized_elementwise_kernelILi4EZZZNS0_21clamp_min_kernel_cudaERNS_18TensorIteratorBaseERKN3c106ScalarEENKUlvE_clEvENKUlvE2_clEvEUllE_St5arrayIPcLm2EEEEviT0_T1_,comdat
.Lfunc_end372:
	.size	_ZN2at6native29vectorized_elementwise_kernelILi4EZZZNS0_21clamp_min_kernel_cudaERNS_18TensorIteratorBaseERKN3c106ScalarEENKUlvE_clEvENKUlvE2_clEvEUllE_St5arrayIPcLm2EEEEviT0_T1_, .Lfunc_end372-_ZN2at6native29vectorized_elementwise_kernelILi4EZZZNS0_21clamp_min_kernel_cudaERNS_18TensorIteratorBaseERKN3c106ScalarEENKUlvE_clEvENKUlvE2_clEvEUllE_St5arrayIPcLm2EEEEviT0_T1_
                                        ; -- End function
	.section	.AMDGPU.csdata,"",@progbits
; Kernel info:
; codeLenInByte = 1040
; NumSgprs: 18
; NumVgprs: 16
; ScratchSize: 0
; MemoryBound: 0
; FloatMode: 240
; IeeeMode: 1
; LDSByteSize: 0 bytes/workgroup (compile time only)
; SGPRBlocks: 2
; VGPRBlocks: 1
; NumSGPRsForWavesPerEU: 18
; NumVGPRsForWavesPerEU: 16
; Occupancy: 16
; WaveLimiterHint : 0
; COMPUTE_PGM_RSRC2:SCRATCH_EN: 0
; COMPUTE_PGM_RSRC2:USER_SGPR: 15
; COMPUTE_PGM_RSRC2:TRAP_HANDLER: 0
; COMPUTE_PGM_RSRC2:TGID_X_EN: 1
; COMPUTE_PGM_RSRC2:TGID_Y_EN: 0
; COMPUTE_PGM_RSRC2:TGID_Z_EN: 0
; COMPUTE_PGM_RSRC2:TIDIG_COMP_CNT: 0
	.section	.text._ZN2at6native29vectorized_elementwise_kernelILi2EZZZNS0_21clamp_min_kernel_cudaERNS_18TensorIteratorBaseERKN3c106ScalarEENKUlvE_clEvENKUlvE2_clEvEUllE_St5arrayIPcLm2EEEEviT0_T1_,"axG",@progbits,_ZN2at6native29vectorized_elementwise_kernelILi2EZZZNS0_21clamp_min_kernel_cudaERNS_18TensorIteratorBaseERKN3c106ScalarEENKUlvE_clEvENKUlvE2_clEvEUllE_St5arrayIPcLm2EEEEviT0_T1_,comdat
	.globl	_ZN2at6native29vectorized_elementwise_kernelILi2EZZZNS0_21clamp_min_kernel_cudaERNS_18TensorIteratorBaseERKN3c106ScalarEENKUlvE_clEvENKUlvE2_clEvEUllE_St5arrayIPcLm2EEEEviT0_T1_ ; -- Begin function _ZN2at6native29vectorized_elementwise_kernelILi2EZZZNS0_21clamp_min_kernel_cudaERNS_18TensorIteratorBaseERKN3c106ScalarEENKUlvE_clEvENKUlvE2_clEvEUllE_St5arrayIPcLm2EEEEviT0_T1_
	.p2align	8
	.type	_ZN2at6native29vectorized_elementwise_kernelILi2EZZZNS0_21clamp_min_kernel_cudaERNS_18TensorIteratorBaseERKN3c106ScalarEENKUlvE_clEvENKUlvE2_clEvEUllE_St5arrayIPcLm2EEEEviT0_T1_,@function
_ZN2at6native29vectorized_elementwise_kernelILi2EZZZNS0_21clamp_min_kernel_cudaERNS_18TensorIteratorBaseERKN3c106ScalarEENKUlvE_clEvENKUlvE2_clEvEUllE_St5arrayIPcLm2EEEEviT0_T1_: ; @_ZN2at6native29vectorized_elementwise_kernelILi2EZZZNS0_21clamp_min_kernel_cudaERNS_18TensorIteratorBaseERKN3c106ScalarEENKUlvE_clEvENKUlvE2_clEvEUllE_St5arrayIPcLm2EEEEviT0_T1_
; %bb.0:
	s_clause 0x2
	s_load_b32 s2, s[0:1], 0x0
	s_load_b128 s[4:7], s[0:1], 0x8
	s_load_b64 s[10:11], s[0:1], 0x18
	s_lshl_b32 s8, s15, 10
	s_mov_b32 s0, -1
	s_waitcnt lgkmcnt(0)
	s_sub_i32 s12, s2, s8
	s_delay_alu instid0(SALU_CYCLE_1)
	s_cmpk_gt_i32 s12, 0x3ff
	s_cbranch_scc0 .LBB373_2
; %bb.1:
	s_ashr_i32 s9, s8, 31
	v_lshlrev_b32_e32 v11, 4, v0
	s_lshl_b64 s[0:1], s[8:9], 3
	s_delay_alu instid0(SALU_CYCLE_1) | instskip(SKIP_1) | instid1(VALU_DEP_1)
	s_add_u32 s2, s10, s0
	s_addc_u32 s3, s11, s1
	v_add_co_u32 v1, s9, s2, v11
	s_delay_alu instid0(VALU_DEP_1) | instskip(SKIP_1) | instid1(VALU_DEP_2)
	v_add_co_ci_u32_e64 v2, null, s3, 0, s9
	s_add_u32 s14, s6, s0
	v_add_co_u32 v5, vcc_lo, 0x1000, v1
	s_delay_alu instid0(VALU_DEP_2)
	v_add_co_ci_u32_e32 v6, vcc_lo, 0, v2, vcc_lo
	s_addc_u32 s15, s7, s1
	s_clause 0x1
	global_load_b128 v[1:4], v11, s[2:3]
	global_load_b128 v[5:8], v[5:6], off
	s_waitcnt vmcnt(1)
	v_cmp_lt_i64_e32 vcc_lo, s[4:5], v[1:2]
	s_waitcnt vmcnt(0)
	v_cmp_lt_i64_e64 s1, s[4:5], v[5:6]
	v_cmp_lt_i64_e64 s2, s[4:5], v[7:8]
	v_cndmask_b32_e32 v2, s5, v2, vcc_lo
	v_add_co_u32 v9, s0, s14, v11
	s_delay_alu instid0(VALU_DEP_1) | instskip(SKIP_2) | instid1(VALU_DEP_4)
	v_add_co_ci_u32_e64 v10, null, s15, 0, s0
	v_cmp_lt_i64_e64 s0, s[4:5], v[3:4]
	v_cndmask_b32_e32 v1, s4, v1, vcc_lo
	v_add_co_u32 v9, vcc_lo, 0x1000, v9
	v_cndmask_b32_e64 v6, s5, v6, s1
	v_cndmask_b32_e64 v8, s5, v8, s2
	;; [unrolled: 1-line block ×6, first 2 shown]
	v_add_co_ci_u32_e32 v10, vcc_lo, 0, v10, vcc_lo
	s_mov_b32 s0, 0
	s_clause 0x1
	global_store_b128 v11, v[1:4], s[14:15]
	global_store_b128 v[9:10], v[5:8], off
.LBB373_2:
	s_and_not1_b32 vcc_lo, exec_lo, s0
	s_cbranch_vccnz .LBB373_16
; %bb.3:
	v_dual_mov_b32 v3, 0 :: v_dual_mov_b32 v2, v0
	v_mov_b32_e32 v4, 0
	v_cmp_gt_i32_e32 vcc_lo, s12, v0
	v_or_b32_e32 v1, s8, v0
	v_or_b32_e32 v15, 0x100, v0
	s_delay_alu instid0(VALU_DEP_4)
	v_dual_mov_b32 v6, v4 :: v_dual_mov_b32 v5, v3
	s_and_saveexec_b32 s1, vcc_lo
	s_cbranch_execz .LBB373_5
; %bb.4:
	v_mov_b32_e32 v2, 0
	s_delay_alu instid0(VALU_DEP_1) | instskip(SKIP_1) | instid1(VALU_DEP_2)
	v_lshlrev_b64 v[5:6], 3, v[1:2]
	v_or_b32_e32 v2, 0x100, v0
	v_add_co_u32 v5, s0, s10, v5
	s_delay_alu instid0(VALU_DEP_1)
	v_add_co_ci_u32_e64 v6, s0, s11, v6, s0
	global_load_b64 v[5:6], v[5:6], off
.LBB373_5:
	s_or_b32 exec_lo, exec_lo, s1
	s_delay_alu instid0(SALU_CYCLE_1)
	s_mov_b32 s1, exec_lo
	v_cmpx_gt_i32_e64 s12, v2
	s_cbranch_execz .LBB373_7
; %bb.6:
	v_dual_mov_b32 v4, 0 :: v_dual_add_nc_u32 v3, s8, v2
	v_add_nc_u32_e32 v2, 0x100, v2
	s_delay_alu instid0(VALU_DEP_2) | instskip(NEXT) | instid1(VALU_DEP_1)
	v_lshlrev_b64 v[3:4], 3, v[3:4]
	v_add_co_u32 v3, s0, s10, v3
	s_delay_alu instid0(VALU_DEP_1)
	v_add_co_ci_u32_e64 v4, s0, s11, v4, s0
	global_load_b64 v[3:4], v[3:4], off
.LBB373_7:
	s_or_b32 exec_lo, exec_lo, s1
	v_mov_b32_e32 v7, 0
	v_mov_b32_e32 v8, 0
	s_mov_b32 s1, exec_lo
	s_delay_alu instid0(VALU_DEP_1)
	v_dual_mov_b32 v12, v8 :: v_dual_mov_b32 v11, v7
	v_cmpx_gt_i32_e64 s12, v2
	s_cbranch_execz .LBB373_9
; %bb.8:
	v_dual_mov_b32 v10, 0 :: v_dual_add_nc_u32 v9, s8, v2
	v_add_nc_u32_e32 v2, 0x100, v2
	s_delay_alu instid0(VALU_DEP_2) | instskip(NEXT) | instid1(VALU_DEP_1)
	v_lshlrev_b64 v[9:10], 3, v[9:10]
	v_add_co_u32 v9, s0, s10, v9
	s_delay_alu instid0(VALU_DEP_1)
	v_add_co_ci_u32_e64 v10, s0, s11, v10, s0
	global_load_b64 v[11:12], v[9:10], off
.LBB373_9:
	s_or_b32 exec_lo, exec_lo, s1
	s_delay_alu instid0(SALU_CYCLE_1)
	s_mov_b32 s1, exec_lo
	v_cmpx_gt_i32_e64 s12, v2
	s_cbranch_execz .LBB373_11
; %bb.10:
	v_dual_mov_b32 v8, 0 :: v_dual_add_nc_u32 v7, s8, v2
	s_delay_alu instid0(VALU_DEP_1) | instskip(NEXT) | instid1(VALU_DEP_1)
	v_lshlrev_b64 v[7:8], 3, v[7:8]
	v_add_co_u32 v7, s0, s10, v7
	s_delay_alu instid0(VALU_DEP_1)
	v_add_co_ci_u32_e64 v8, s0, s11, v8, s0
	global_load_b64 v[7:8], v[7:8], off
.LBB373_11:
	s_or_b32 exec_lo, exec_lo, s1
	s_waitcnt vmcnt(0)
	v_cmp_lt_i64_e64 s0, s[4:5], v[5:6]
	v_cmp_lt_i64_e64 s1, s[4:5], v[3:4]
	;; [unrolled: 1-line block ×4, first 2 shown]
	s_delay_alu instid0(VALU_DEP_4) | instskip(NEXT) | instid1(VALU_DEP_4)
	v_cndmask_b32_e64 v14, s5, v6, s0
	v_cndmask_b32_e64 v10, s5, v4, s1
	;; [unrolled: 1-line block ×8, first 2 shown]
	s_and_saveexec_b32 s0, vcc_lo
	s_cbranch_execnz .LBB373_17
; %bb.12:
	s_or_b32 exec_lo, exec_lo, s0
	s_delay_alu instid0(SALU_CYCLE_1)
	s_mov_b32 s0, exec_lo
	v_cmpx_gt_i32_e64 s12, v0
	s_cbranch_execnz .LBB373_18
.LBB373_13:
	s_or_b32 exec_lo, exec_lo, s0
	s_delay_alu instid0(SALU_CYCLE_1)
	s_mov_b32 s0, exec_lo
	v_cmpx_gt_i32_e64 s12, v0
	s_cbranch_execnz .LBB373_19
.LBB373_14:
	s_or_b32 exec_lo, exec_lo, s0
	s_delay_alu instid0(SALU_CYCLE_1)
	s_mov_b32 s0, exec_lo
	v_cmpx_gt_i32_e64 s12, v0
	s_cbranch_execz .LBB373_16
.LBB373_15:
	v_dual_mov_b32 v1, 0 :: v_dual_add_nc_u32 v0, s8, v0
	s_delay_alu instid0(VALU_DEP_1) | instskip(NEXT) | instid1(VALU_DEP_1)
	v_lshlrev_b64 v[0:1], 3, v[0:1]
	v_add_co_u32 v0, vcc_lo, s6, v0
	s_delay_alu instid0(VALU_DEP_2)
	v_add_co_ci_u32_e32 v1, vcc_lo, s7, v1, vcc_lo
	global_store_b64 v[0:1], v[3:4], off
.LBB373_16:
	s_nop 0
	s_sendmsg sendmsg(MSG_DEALLOC_VGPRS)
	s_endpgm
.LBB373_17:
	v_mov_b32_e32 v2, 0
	s_delay_alu instid0(VALU_DEP_1) | instskip(NEXT) | instid1(VALU_DEP_1)
	v_lshlrev_b64 v[0:1], 3, v[1:2]
	v_add_co_u32 v7, vcc_lo, s6, v0
	s_delay_alu instid0(VALU_DEP_2) | instskip(SKIP_3) | instid1(SALU_CYCLE_1)
	v_add_co_ci_u32_e32 v8, vcc_lo, s7, v1, vcc_lo
	v_mov_b32_e32 v0, v15
	global_store_b64 v[7:8], v[13:14], off
	s_or_b32 exec_lo, exec_lo, s0
	s_mov_b32 s0, exec_lo
	v_cmpx_gt_i32_e64 s12, v0
	s_cbranch_execz .LBB373_13
.LBB373_18:
	v_dual_mov_b32 v2, 0 :: v_dual_add_nc_u32 v1, s8, v0
	v_add_nc_u32_e32 v0, 0x100, v0
	s_delay_alu instid0(VALU_DEP_2) | instskip(NEXT) | instid1(VALU_DEP_1)
	v_lshlrev_b64 v[1:2], 3, v[1:2]
	v_add_co_u32 v1, vcc_lo, s6, v1
	s_delay_alu instid0(VALU_DEP_2) | instskip(SKIP_2) | instid1(SALU_CYCLE_1)
	v_add_co_ci_u32_e32 v2, vcc_lo, s7, v2, vcc_lo
	global_store_b64 v[1:2], v[9:10], off
	s_or_b32 exec_lo, exec_lo, s0
	s_mov_b32 s0, exec_lo
	v_cmpx_gt_i32_e64 s12, v0
	s_cbranch_execz .LBB373_14
.LBB373_19:
	v_dual_mov_b32 v2, 0 :: v_dual_add_nc_u32 v1, s8, v0
	v_add_nc_u32_e32 v0, 0x100, v0
	s_delay_alu instid0(VALU_DEP_2) | instskip(NEXT) | instid1(VALU_DEP_1)
	v_lshlrev_b64 v[1:2], 3, v[1:2]
	v_add_co_u32 v1, vcc_lo, s6, v1
	s_delay_alu instid0(VALU_DEP_2) | instskip(SKIP_2) | instid1(SALU_CYCLE_1)
	v_add_co_ci_u32_e32 v2, vcc_lo, s7, v2, vcc_lo
	global_store_b64 v[1:2], v[5:6], off
	s_or_b32 exec_lo, exec_lo, s0
	s_mov_b32 s0, exec_lo
	v_cmpx_gt_i32_e64 s12, v0
	s_cbranch_execnz .LBB373_15
	s_branch .LBB373_16
	.section	.rodata,"a",@progbits
	.p2align	6, 0x0
	.amdhsa_kernel _ZN2at6native29vectorized_elementwise_kernelILi2EZZZNS0_21clamp_min_kernel_cudaERNS_18TensorIteratorBaseERKN3c106ScalarEENKUlvE_clEvENKUlvE2_clEvEUllE_St5arrayIPcLm2EEEEviT0_T1_
		.amdhsa_group_segment_fixed_size 0
		.amdhsa_private_segment_fixed_size 0
		.amdhsa_kernarg_size 32
		.amdhsa_user_sgpr_count 15
		.amdhsa_user_sgpr_dispatch_ptr 0
		.amdhsa_user_sgpr_queue_ptr 0
		.amdhsa_user_sgpr_kernarg_segment_ptr 1
		.amdhsa_user_sgpr_dispatch_id 0
		.amdhsa_user_sgpr_private_segment_size 0
		.amdhsa_wavefront_size32 1
		.amdhsa_uses_dynamic_stack 0
		.amdhsa_enable_private_segment 0
		.amdhsa_system_sgpr_workgroup_id_x 1
		.amdhsa_system_sgpr_workgroup_id_y 0
		.amdhsa_system_sgpr_workgroup_id_z 0
		.amdhsa_system_sgpr_workgroup_info 0
		.amdhsa_system_vgpr_workitem_id 0
		.amdhsa_next_free_vgpr 16
		.amdhsa_next_free_sgpr 16
		.amdhsa_reserve_vcc 1
		.amdhsa_float_round_mode_32 0
		.amdhsa_float_round_mode_16_64 0
		.amdhsa_float_denorm_mode_32 3
		.amdhsa_float_denorm_mode_16_64 3
		.amdhsa_dx10_clamp 1
		.amdhsa_ieee_mode 1
		.amdhsa_fp16_overflow 0
		.amdhsa_workgroup_processor_mode 1
		.amdhsa_memory_ordered 1
		.amdhsa_forward_progress 0
		.amdhsa_shared_vgpr_count 0
		.amdhsa_exception_fp_ieee_invalid_op 0
		.amdhsa_exception_fp_denorm_src 0
		.amdhsa_exception_fp_ieee_div_zero 0
		.amdhsa_exception_fp_ieee_overflow 0
		.amdhsa_exception_fp_ieee_underflow 0
		.amdhsa_exception_fp_ieee_inexact 0
		.amdhsa_exception_int_div_zero 0
	.end_amdhsa_kernel
	.section	.text._ZN2at6native29vectorized_elementwise_kernelILi2EZZZNS0_21clamp_min_kernel_cudaERNS_18TensorIteratorBaseERKN3c106ScalarEENKUlvE_clEvENKUlvE2_clEvEUllE_St5arrayIPcLm2EEEEviT0_T1_,"axG",@progbits,_ZN2at6native29vectorized_elementwise_kernelILi2EZZZNS0_21clamp_min_kernel_cudaERNS_18TensorIteratorBaseERKN3c106ScalarEENKUlvE_clEvENKUlvE2_clEvEUllE_St5arrayIPcLm2EEEEviT0_T1_,comdat
.Lfunc_end373:
	.size	_ZN2at6native29vectorized_elementwise_kernelILi2EZZZNS0_21clamp_min_kernel_cudaERNS_18TensorIteratorBaseERKN3c106ScalarEENKUlvE_clEvENKUlvE2_clEvEUllE_St5arrayIPcLm2EEEEviT0_T1_, .Lfunc_end373-_ZN2at6native29vectorized_elementwise_kernelILi2EZZZNS0_21clamp_min_kernel_cudaERNS_18TensorIteratorBaseERKN3c106ScalarEENKUlvE_clEvENKUlvE2_clEvEUllE_St5arrayIPcLm2EEEEviT0_T1_
                                        ; -- End function
	.section	.AMDGPU.csdata,"",@progbits
; Kernel info:
; codeLenInByte = 1112
; NumSgprs: 18
; NumVgprs: 16
; ScratchSize: 0
; MemoryBound: 0
; FloatMode: 240
; IeeeMode: 1
; LDSByteSize: 0 bytes/workgroup (compile time only)
; SGPRBlocks: 2
; VGPRBlocks: 1
; NumSGPRsForWavesPerEU: 18
; NumVGPRsForWavesPerEU: 16
; Occupancy: 16
; WaveLimiterHint : 1
; COMPUTE_PGM_RSRC2:SCRATCH_EN: 0
; COMPUTE_PGM_RSRC2:USER_SGPR: 15
; COMPUTE_PGM_RSRC2:TRAP_HANDLER: 0
; COMPUTE_PGM_RSRC2:TGID_X_EN: 1
; COMPUTE_PGM_RSRC2:TGID_Y_EN: 0
; COMPUTE_PGM_RSRC2:TGID_Z_EN: 0
; COMPUTE_PGM_RSRC2:TIDIG_COMP_CNT: 0
	.section	.text._ZN2at6native27unrolled_elementwise_kernelIZZZNS0_21clamp_min_kernel_cudaERNS_18TensorIteratorBaseERKN3c106ScalarEENKUlvE_clEvENKUlvE2_clEvEUllE_St5arrayIPcLm2EELi4E23TrivialOffsetCalculatorILi1EjESF_NS0_6memory15LoadWithoutCastENSG_16StoreWithoutCastEEEviT_T0_T2_T3_T4_T5_,"axG",@progbits,_ZN2at6native27unrolled_elementwise_kernelIZZZNS0_21clamp_min_kernel_cudaERNS_18TensorIteratorBaseERKN3c106ScalarEENKUlvE_clEvENKUlvE2_clEvEUllE_St5arrayIPcLm2EELi4E23TrivialOffsetCalculatorILi1EjESF_NS0_6memory15LoadWithoutCastENSG_16StoreWithoutCastEEEviT_T0_T2_T3_T4_T5_,comdat
	.globl	_ZN2at6native27unrolled_elementwise_kernelIZZZNS0_21clamp_min_kernel_cudaERNS_18TensorIteratorBaseERKN3c106ScalarEENKUlvE_clEvENKUlvE2_clEvEUllE_St5arrayIPcLm2EELi4E23TrivialOffsetCalculatorILi1EjESF_NS0_6memory15LoadWithoutCastENSG_16StoreWithoutCastEEEviT_T0_T2_T3_T4_T5_ ; -- Begin function _ZN2at6native27unrolled_elementwise_kernelIZZZNS0_21clamp_min_kernel_cudaERNS_18TensorIteratorBaseERKN3c106ScalarEENKUlvE_clEvENKUlvE2_clEvEUllE_St5arrayIPcLm2EELi4E23TrivialOffsetCalculatorILi1EjESF_NS0_6memory15LoadWithoutCastENSG_16StoreWithoutCastEEEviT_T0_T2_T3_T4_T5_
	.p2align	8
	.type	_ZN2at6native27unrolled_elementwise_kernelIZZZNS0_21clamp_min_kernel_cudaERNS_18TensorIteratorBaseERKN3c106ScalarEENKUlvE_clEvENKUlvE2_clEvEUllE_St5arrayIPcLm2EELi4E23TrivialOffsetCalculatorILi1EjESF_NS0_6memory15LoadWithoutCastENSG_16StoreWithoutCastEEEviT_T0_T2_T3_T4_T5_,@function
_ZN2at6native27unrolled_elementwise_kernelIZZZNS0_21clamp_min_kernel_cudaERNS_18TensorIteratorBaseERKN3c106ScalarEENKUlvE_clEvENKUlvE2_clEvEUllE_St5arrayIPcLm2EELi4E23TrivialOffsetCalculatorILi1EjESF_NS0_6memory15LoadWithoutCastENSG_16StoreWithoutCastEEEviT_T0_T2_T3_T4_T5_: ; @_ZN2at6native27unrolled_elementwise_kernelIZZZNS0_21clamp_min_kernel_cudaERNS_18TensorIteratorBaseERKN3c106ScalarEENKUlvE_clEvENKUlvE2_clEvEUllE_St5arrayIPcLm2EELi4E23TrivialOffsetCalculatorILi1EjESF_NS0_6memory15LoadWithoutCastENSG_16StoreWithoutCastEEEviT_T0_T2_T3_T4_T5_
; %bb.0:
	s_clause 0x1
	s_load_b32 s2, s[0:1], 0x0
	s_load_b64 s[8:9], s[0:1], 0x18
	v_dual_mov_b32 v3, 0 :: v_dual_mov_b32 v2, v0
	v_mov_b32_e32 v4, 0
	s_lshl_b32 s10, s15, 10
	v_or_b32_e32 v15, 0x100, v0
	v_or_b32_e32 v1, s10, v0
	s_delay_alu instid0(VALU_DEP_3) | instskip(SKIP_2) | instid1(SALU_CYCLE_1)
	v_dual_mov_b32 v6, v4 :: v_dual_mov_b32 v5, v3
	s_waitcnt lgkmcnt(0)
	s_sub_i32 s11, s2, s10
	v_cmp_gt_i32_e32 vcc_lo, s11, v0
	s_and_saveexec_b32 s3, vcc_lo
	s_cbranch_execz .LBB374_2
; %bb.1:
	v_mov_b32_e32 v2, 0
	s_delay_alu instid0(VALU_DEP_1) | instskip(SKIP_1) | instid1(VALU_DEP_2)
	v_lshlrev_b64 v[5:6], 3, v[1:2]
	v_or_b32_e32 v2, 0x100, v0
	v_add_co_u32 v5, s2, s8, v5
	s_delay_alu instid0(VALU_DEP_1)
	v_add_co_ci_u32_e64 v6, s2, s9, v6, s2
	global_load_b64 v[5:6], v[5:6], off
.LBB374_2:
	s_or_b32 exec_lo, exec_lo, s3
	s_load_b128 s[4:7], s[0:1], 0x8
	s_mov_b32 s1, exec_lo
	v_cmpx_gt_i32_e64 s11, v2
	s_cbranch_execz .LBB374_4
; %bb.3:
	v_dual_mov_b32 v4, 0 :: v_dual_add_nc_u32 v3, s10, v2
	v_add_nc_u32_e32 v2, 0x100, v2
	s_delay_alu instid0(VALU_DEP_2) | instskip(NEXT) | instid1(VALU_DEP_1)
	v_lshlrev_b64 v[3:4], 3, v[3:4]
	v_add_co_u32 v3, s0, s8, v3
	s_delay_alu instid0(VALU_DEP_1)
	v_add_co_ci_u32_e64 v4, s0, s9, v4, s0
	global_load_b64 v[3:4], v[3:4], off
.LBB374_4:
	s_or_b32 exec_lo, exec_lo, s1
	v_mov_b32_e32 v7, 0
	v_mov_b32_e32 v8, 0
	s_mov_b32 s1, exec_lo
	s_delay_alu instid0(VALU_DEP_1)
	v_dual_mov_b32 v12, v8 :: v_dual_mov_b32 v11, v7
	v_cmpx_gt_i32_e64 s11, v2
	s_cbranch_execz .LBB374_6
; %bb.5:
	v_dual_mov_b32 v10, 0 :: v_dual_add_nc_u32 v9, s10, v2
	v_add_nc_u32_e32 v2, 0x100, v2
	s_delay_alu instid0(VALU_DEP_2) | instskip(NEXT) | instid1(VALU_DEP_1)
	v_lshlrev_b64 v[9:10], 3, v[9:10]
	v_add_co_u32 v9, s0, s8, v9
	s_delay_alu instid0(VALU_DEP_1)
	v_add_co_ci_u32_e64 v10, s0, s9, v10, s0
	global_load_b64 v[11:12], v[9:10], off
.LBB374_6:
	s_or_b32 exec_lo, exec_lo, s1
	s_delay_alu instid0(SALU_CYCLE_1)
	s_mov_b32 s1, exec_lo
	v_cmpx_gt_i32_e64 s11, v2
	s_cbranch_execz .LBB374_8
; %bb.7:
	v_dual_mov_b32 v8, 0 :: v_dual_add_nc_u32 v7, s10, v2
	s_delay_alu instid0(VALU_DEP_1) | instskip(NEXT) | instid1(VALU_DEP_1)
	v_lshlrev_b64 v[7:8], 3, v[7:8]
	v_add_co_u32 v7, s0, s8, v7
	s_delay_alu instid0(VALU_DEP_1)
	v_add_co_ci_u32_e64 v8, s0, s9, v8, s0
	global_load_b64 v[7:8], v[7:8], off
.LBB374_8:
	s_or_b32 exec_lo, exec_lo, s1
	s_waitcnt vmcnt(0) lgkmcnt(0)
	v_cmp_lt_i64_e64 s0, s[4:5], v[5:6]
	v_cmp_lt_i64_e64 s1, s[4:5], v[3:4]
	;; [unrolled: 1-line block ×4, first 2 shown]
	s_delay_alu instid0(VALU_DEP_4) | instskip(NEXT) | instid1(VALU_DEP_4)
	v_cndmask_b32_e64 v14, s5, v6, s0
	v_cndmask_b32_e64 v10, s5, v4, s1
	;; [unrolled: 1-line block ×8, first 2 shown]
	s_and_saveexec_b32 s0, vcc_lo
	s_cbranch_execnz .LBB374_13
; %bb.9:
	s_or_b32 exec_lo, exec_lo, s0
	s_delay_alu instid0(SALU_CYCLE_1)
	s_mov_b32 s0, exec_lo
	v_cmpx_gt_i32_e64 s11, v0
	s_cbranch_execnz .LBB374_14
.LBB374_10:
	s_or_b32 exec_lo, exec_lo, s0
	s_delay_alu instid0(SALU_CYCLE_1)
	s_mov_b32 s0, exec_lo
	v_cmpx_gt_i32_e64 s11, v0
	s_cbranch_execnz .LBB374_15
.LBB374_11:
	s_or_b32 exec_lo, exec_lo, s0
	s_delay_alu instid0(SALU_CYCLE_1)
	s_mov_b32 s0, exec_lo
	v_cmpx_gt_i32_e64 s11, v0
	s_cbranch_execnz .LBB374_16
.LBB374_12:
	s_nop 0
	s_sendmsg sendmsg(MSG_DEALLOC_VGPRS)
	s_endpgm
.LBB374_13:
	v_mov_b32_e32 v2, 0
	s_delay_alu instid0(VALU_DEP_1) | instskip(NEXT) | instid1(VALU_DEP_1)
	v_lshlrev_b64 v[0:1], 3, v[1:2]
	v_add_co_u32 v7, vcc_lo, s6, v0
	s_delay_alu instid0(VALU_DEP_2) | instskip(SKIP_3) | instid1(SALU_CYCLE_1)
	v_add_co_ci_u32_e32 v8, vcc_lo, s7, v1, vcc_lo
	v_mov_b32_e32 v0, v15
	global_store_b64 v[7:8], v[13:14], off
	s_or_b32 exec_lo, exec_lo, s0
	s_mov_b32 s0, exec_lo
	v_cmpx_gt_i32_e64 s11, v0
	s_cbranch_execz .LBB374_10
.LBB374_14:
	v_dual_mov_b32 v2, 0 :: v_dual_add_nc_u32 v1, s10, v0
	v_add_nc_u32_e32 v0, 0x100, v0
	s_delay_alu instid0(VALU_DEP_2) | instskip(NEXT) | instid1(VALU_DEP_1)
	v_lshlrev_b64 v[1:2], 3, v[1:2]
	v_add_co_u32 v1, vcc_lo, s6, v1
	s_delay_alu instid0(VALU_DEP_2) | instskip(SKIP_2) | instid1(SALU_CYCLE_1)
	v_add_co_ci_u32_e32 v2, vcc_lo, s7, v2, vcc_lo
	global_store_b64 v[1:2], v[9:10], off
	s_or_b32 exec_lo, exec_lo, s0
	s_mov_b32 s0, exec_lo
	v_cmpx_gt_i32_e64 s11, v0
	s_cbranch_execz .LBB374_11
.LBB374_15:
	v_dual_mov_b32 v2, 0 :: v_dual_add_nc_u32 v1, s10, v0
	v_add_nc_u32_e32 v0, 0x100, v0
	s_delay_alu instid0(VALU_DEP_2) | instskip(NEXT) | instid1(VALU_DEP_1)
	v_lshlrev_b64 v[1:2], 3, v[1:2]
	v_add_co_u32 v1, vcc_lo, s6, v1
	s_delay_alu instid0(VALU_DEP_2) | instskip(SKIP_2) | instid1(SALU_CYCLE_1)
	v_add_co_ci_u32_e32 v2, vcc_lo, s7, v2, vcc_lo
	global_store_b64 v[1:2], v[5:6], off
	s_or_b32 exec_lo, exec_lo, s0
	s_mov_b32 s0, exec_lo
	v_cmpx_gt_i32_e64 s11, v0
	s_cbranch_execz .LBB374_12
.LBB374_16:
	v_dual_mov_b32 v1, 0 :: v_dual_add_nc_u32 v0, s10, v0
	s_delay_alu instid0(VALU_DEP_1) | instskip(NEXT) | instid1(VALU_DEP_1)
	v_lshlrev_b64 v[0:1], 3, v[0:1]
	v_add_co_u32 v0, vcc_lo, s6, v0
	s_delay_alu instid0(VALU_DEP_2)
	v_add_co_ci_u32_e32 v1, vcc_lo, s7, v1, vcc_lo
	global_store_b64 v[0:1], v[3:4], off
	s_nop 0
	s_sendmsg sendmsg(MSG_DEALLOC_VGPRS)
	s_endpgm
	.section	.rodata,"a",@progbits
	.p2align	6, 0x0
	.amdhsa_kernel _ZN2at6native27unrolled_elementwise_kernelIZZZNS0_21clamp_min_kernel_cudaERNS_18TensorIteratorBaseERKN3c106ScalarEENKUlvE_clEvENKUlvE2_clEvEUllE_St5arrayIPcLm2EELi4E23TrivialOffsetCalculatorILi1EjESF_NS0_6memory15LoadWithoutCastENSG_16StoreWithoutCastEEEviT_T0_T2_T3_T4_T5_
		.amdhsa_group_segment_fixed_size 0
		.amdhsa_private_segment_fixed_size 0
		.amdhsa_kernarg_size 36
		.amdhsa_user_sgpr_count 15
		.amdhsa_user_sgpr_dispatch_ptr 0
		.amdhsa_user_sgpr_queue_ptr 0
		.amdhsa_user_sgpr_kernarg_segment_ptr 1
		.amdhsa_user_sgpr_dispatch_id 0
		.amdhsa_user_sgpr_private_segment_size 0
		.amdhsa_wavefront_size32 1
		.amdhsa_uses_dynamic_stack 0
		.amdhsa_enable_private_segment 0
		.amdhsa_system_sgpr_workgroup_id_x 1
		.amdhsa_system_sgpr_workgroup_id_y 0
		.amdhsa_system_sgpr_workgroup_id_z 0
		.amdhsa_system_sgpr_workgroup_info 0
		.amdhsa_system_vgpr_workitem_id 0
		.amdhsa_next_free_vgpr 16
		.amdhsa_next_free_sgpr 16
		.amdhsa_reserve_vcc 1
		.amdhsa_float_round_mode_32 0
		.amdhsa_float_round_mode_16_64 0
		.amdhsa_float_denorm_mode_32 3
		.amdhsa_float_denorm_mode_16_64 3
		.amdhsa_dx10_clamp 1
		.amdhsa_ieee_mode 1
		.amdhsa_fp16_overflow 0
		.amdhsa_workgroup_processor_mode 1
		.amdhsa_memory_ordered 1
		.amdhsa_forward_progress 0
		.amdhsa_shared_vgpr_count 0
		.amdhsa_exception_fp_ieee_invalid_op 0
		.amdhsa_exception_fp_denorm_src 0
		.amdhsa_exception_fp_ieee_div_zero 0
		.amdhsa_exception_fp_ieee_overflow 0
		.amdhsa_exception_fp_ieee_underflow 0
		.amdhsa_exception_fp_ieee_inexact 0
		.amdhsa_exception_int_div_zero 0
	.end_amdhsa_kernel
	.section	.text._ZN2at6native27unrolled_elementwise_kernelIZZZNS0_21clamp_min_kernel_cudaERNS_18TensorIteratorBaseERKN3c106ScalarEENKUlvE_clEvENKUlvE2_clEvEUllE_St5arrayIPcLm2EELi4E23TrivialOffsetCalculatorILi1EjESF_NS0_6memory15LoadWithoutCastENSG_16StoreWithoutCastEEEviT_T0_T2_T3_T4_T5_,"axG",@progbits,_ZN2at6native27unrolled_elementwise_kernelIZZZNS0_21clamp_min_kernel_cudaERNS_18TensorIteratorBaseERKN3c106ScalarEENKUlvE_clEvENKUlvE2_clEvEUllE_St5arrayIPcLm2EELi4E23TrivialOffsetCalculatorILi1EjESF_NS0_6memory15LoadWithoutCastENSG_16StoreWithoutCastEEEviT_T0_T2_T3_T4_T5_,comdat
.Lfunc_end374:
	.size	_ZN2at6native27unrolled_elementwise_kernelIZZZNS0_21clamp_min_kernel_cudaERNS_18TensorIteratorBaseERKN3c106ScalarEENKUlvE_clEvENKUlvE2_clEvEUllE_St5arrayIPcLm2EELi4E23TrivialOffsetCalculatorILi1EjESF_NS0_6memory15LoadWithoutCastENSG_16StoreWithoutCastEEEviT_T0_T2_T3_T4_T5_, .Lfunc_end374-_ZN2at6native27unrolled_elementwise_kernelIZZZNS0_21clamp_min_kernel_cudaERNS_18TensorIteratorBaseERKN3c106ScalarEENKUlvE_clEvENKUlvE2_clEvEUllE_St5arrayIPcLm2EELi4E23TrivialOffsetCalculatorILi1EjESF_NS0_6memory15LoadWithoutCastENSG_16StoreWithoutCastEEEviT_T0_T2_T3_T4_T5_
                                        ; -- End function
	.section	.AMDGPU.csdata,"",@progbits
; Kernel info:
; codeLenInByte = 848
; NumSgprs: 18
; NumVgprs: 16
; ScratchSize: 0
; MemoryBound: 0
; FloatMode: 240
; IeeeMode: 1
; LDSByteSize: 0 bytes/workgroup (compile time only)
; SGPRBlocks: 2
; VGPRBlocks: 1
; NumSGPRsForWavesPerEU: 18
; NumVGPRsForWavesPerEU: 16
; Occupancy: 16
; WaveLimiterHint : 0
; COMPUTE_PGM_RSRC2:SCRATCH_EN: 0
; COMPUTE_PGM_RSRC2:USER_SGPR: 15
; COMPUTE_PGM_RSRC2:TRAP_HANDLER: 0
; COMPUTE_PGM_RSRC2:TGID_X_EN: 1
; COMPUTE_PGM_RSRC2:TGID_Y_EN: 0
; COMPUTE_PGM_RSRC2:TGID_Z_EN: 0
; COMPUTE_PGM_RSRC2:TIDIG_COMP_CNT: 0
	.section	.text._ZN2at6native32elementwise_kernel_manual_unrollILi128ELi4EZNS0_22gpu_kernel_impl_nocastIZZZNS0_21clamp_min_kernel_cudaERNS_18TensorIteratorBaseERKN3c106ScalarEENKUlvE_clEvENKUlvE2_clEvEUllE_EEvS4_RKT_EUlibE_EEviT1_,"axG",@progbits,_ZN2at6native32elementwise_kernel_manual_unrollILi128ELi4EZNS0_22gpu_kernel_impl_nocastIZZZNS0_21clamp_min_kernel_cudaERNS_18TensorIteratorBaseERKN3c106ScalarEENKUlvE_clEvENKUlvE2_clEvEUllE_EEvS4_RKT_EUlibE_EEviT1_,comdat
	.globl	_ZN2at6native32elementwise_kernel_manual_unrollILi128ELi4EZNS0_22gpu_kernel_impl_nocastIZZZNS0_21clamp_min_kernel_cudaERNS_18TensorIteratorBaseERKN3c106ScalarEENKUlvE_clEvENKUlvE2_clEvEUllE_EEvS4_RKT_EUlibE_EEviT1_ ; -- Begin function _ZN2at6native32elementwise_kernel_manual_unrollILi128ELi4EZNS0_22gpu_kernel_impl_nocastIZZZNS0_21clamp_min_kernel_cudaERNS_18TensorIteratorBaseERKN3c106ScalarEENKUlvE_clEvENKUlvE2_clEvEUllE_EEvS4_RKT_EUlibE_EEviT1_
	.p2align	8
	.type	_ZN2at6native32elementwise_kernel_manual_unrollILi128ELi4EZNS0_22gpu_kernel_impl_nocastIZZZNS0_21clamp_min_kernel_cudaERNS_18TensorIteratorBaseERKN3c106ScalarEENKUlvE_clEvENKUlvE2_clEvEUllE_EEvS4_RKT_EUlibE_EEviT1_,@function
_ZN2at6native32elementwise_kernel_manual_unrollILi128ELi4EZNS0_22gpu_kernel_impl_nocastIZZZNS0_21clamp_min_kernel_cudaERNS_18TensorIteratorBaseERKN3c106ScalarEENKUlvE_clEvENKUlvE2_clEvEUllE_EEvS4_RKT_EUlibE_EEviT1_: ; @_ZN2at6native32elementwise_kernel_manual_unrollILi128ELi4EZNS0_22gpu_kernel_impl_nocastIZZZNS0_21clamp_min_kernel_cudaERNS_18TensorIteratorBaseERKN3c106ScalarEENKUlvE_clEvENKUlvE2_clEvEUllE_EEvS4_RKT_EUlibE_EEviT1_
; %bb.0:
	s_clause 0x1
	s_load_b32 s24, s[0:1], 0x8
	s_load_b32 s29, s[0:1], 0x0
	v_lshl_or_b32 v4, s15, 9, v0
	s_or_b32 s0, s0, 8
	s_mov_b32 s2, exec_lo
	s_delay_alu instid0(VALU_DEP_1) | instskip(SKIP_2) | instid1(SALU_CYCLE_1)
	v_or_b32_e32 v8, 0x180, v4
	s_waitcnt lgkmcnt(0)
	s_add_i32 s25, s24, -1
	s_cmp_gt_u32 s25, 1
	s_cselect_b32 s26, -1, 0
	v_cmpx_le_i32_e64 s29, v8
	s_xor_b32 s27, exec_lo, s2
	s_cbranch_execz .LBB375_7
; %bb.1:
	s_clause 0x4
	s_load_b128 s[8:11], s[0:1], 0x4
	s_load_b64 s[16:17], s[0:1], 0x14
	s_load_b64 s[2:3], s[0:1], 0x158
	s_load_b128 s[12:15], s[0:1], 0xc4
	s_load_b128 s[4:7], s[0:1], 0x148
	s_cmp_lg_u32 s24, 0
	s_mov_b32 s33, exec_lo
	s_cselect_b32 s31, -1, 0
	s_add_u32 s18, s0, 0xc4
	s_addc_u32 s19, s1, 0
	s_min_u32 s30, s25, 15
	s_cmp_gt_u32 s24, 1
	s_cselect_b32 s28, -1, 0
	v_cmpx_gt_i32_e64 s29, v4
	s_cbranch_execz .LBB375_14
; %bb.2:
	s_and_not1_b32 vcc_lo, exec_lo, s26
	s_cbranch_vccnz .LBB375_21
; %bb.3:
	v_dual_mov_b32 v0, 0 :: v_dual_mov_b32 v1, 0
	s_and_not1_b32 vcc_lo, exec_lo, s31
	s_mov_b32 s34, 0
	s_cbranch_vccnz .LBB375_73
; %bb.4:
	v_mov_b32_e32 v0, 0
	s_add_i32 s36, s30, 1
	s_cmp_eq_u32 s25, 2
	s_mov_b32 s35, 0
	s_cbranch_scc1 .LBB375_69
; %bb.5:
	v_dual_mov_b32 v1, 0 :: v_dual_mov_b32 v0, 0
	v_mov_b32_e32 v2, v4
	s_and_b32 s35, s36, 28
	s_mov_b32 s37, 0
	s_mov_b64 s[20:21], s[18:19]
	s_mov_b64 s[22:23], s[0:1]
.LBB375_6:                              ; =>This Inner Loop Header: Depth=1
	s_clause 0x1
	s_load_b256 s[40:47], s[22:23], 0x4
	s_load_b128 s[56:59], s[22:23], 0x24
	s_load_b256 s[48:55], s[20:21], 0x0
	s_add_u32 s22, s22, 48
	s_addc_u32 s23, s23, 0
	s_add_i32 s37, s37, 4
	s_add_u32 s20, s20, 32
	s_addc_u32 s21, s21, 0
	s_cmp_lg_u32 s35, s37
	s_waitcnt lgkmcnt(0)
	v_mul_hi_u32 v3, s41, v2
	s_delay_alu instid0(VALU_DEP_1) | instskip(NEXT) | instid1(VALU_DEP_1)
	v_add_nc_u32_e32 v3, v2, v3
	v_lshrrev_b32_e32 v3, s42, v3
	s_delay_alu instid0(VALU_DEP_1) | instskip(SKIP_1) | instid1(VALU_DEP_2)
	v_mul_hi_u32 v5, s44, v3
	v_mul_lo_u32 v7, v3, s40
	v_add_nc_u32_e32 v5, v3, v5
	s_delay_alu instid0(VALU_DEP_2) | instskip(NEXT) | instid1(VALU_DEP_2)
	v_sub_nc_u32_e32 v2, v2, v7
	v_lshrrev_b32_e32 v5, s45, v5
	s_delay_alu instid0(VALU_DEP_2) | instskip(SKIP_1) | instid1(VALU_DEP_3)
	v_mul_lo_u32 v7, v2, s48
	v_mul_lo_u32 v9, v2, s49
	v_mul_hi_u32 v6, s47, v5
	s_delay_alu instid0(VALU_DEP_1) | instskip(NEXT) | instid1(VALU_DEP_1)
	v_add_nc_u32_e32 v6, v5, v6
	v_lshrrev_b32_e32 v6, s56, v6
	s_delay_alu instid0(VALU_DEP_1) | instskip(SKIP_1) | instid1(VALU_DEP_2)
	v_mul_hi_u32 v8, s58, v6
	v_mul_lo_u32 v10, v6, s46
	v_add_nc_u32_e32 v2, v6, v8
	v_mul_lo_u32 v8, v5, s43
	s_delay_alu instid0(VALU_DEP_3) | instskip(NEXT) | instid1(VALU_DEP_3)
	v_sub_nc_u32_e32 v5, v5, v10
	v_lshrrev_b32_e32 v2, s59, v2
	s_delay_alu instid0(VALU_DEP_2) | instskip(SKIP_2) | instid1(VALU_DEP_4)
	v_mul_lo_u32 v10, v5, s52
	v_mul_lo_u32 v5, v5, s53
	v_sub_nc_u32_e32 v3, v3, v8
	v_mul_lo_u32 v11, v2, s57
	s_delay_alu instid0(VALU_DEP_2) | instskip(SKIP_1) | instid1(VALU_DEP_3)
	v_mul_lo_u32 v8, v3, s50
	v_mul_lo_u32 v3, v3, s51
	v_sub_nc_u32_e32 v6, v6, v11
	s_delay_alu instid0(VALU_DEP_3) | instskip(NEXT) | instid1(VALU_DEP_2)
	v_add3_u32 v0, v7, v0, v8
	v_mul_lo_u32 v11, v6, s54
	v_mul_lo_u32 v6, v6, s55
	v_add3_u32 v1, v9, v1, v3
	s_delay_alu instid0(VALU_DEP_3) | instskip(NEXT) | instid1(VALU_DEP_2)
	v_add3_u32 v0, v10, v0, v11
	v_add3_u32 v1, v5, v1, v6
	s_cbranch_scc1 .LBB375_6
	s_branch .LBB375_70
.LBB375_7:
	s_and_not1_saveexec_b32 s2, s27
	s_cbranch_execz .LBB375_94
.LBB375_8:
	v_cndmask_b32_e64 v6, 0, 1, s26
	s_and_not1_b32 vcc_lo, exec_lo, s26
	s_cbranch_vccnz .LBB375_20
; %bb.9:
	v_dual_mov_b32 v0, 0 :: v_dual_mov_b32 v1, 0
	s_cmp_lg_u32 s24, 0
	s_mov_b32 s6, 0
	s_cbranch_scc0 .LBB375_26
; %bb.10:
	s_min_u32 s7, s25, 15
	v_mov_b32_e32 v0, 0
	s_add_i32 s7, s7, 1
	s_cmp_eq_u32 s25, 2
	s_mov_b32 s8, 0
	s_cbranch_scc1 .LBB375_23
; %bb.11:
	v_dual_mov_b32 v1, 0 :: v_dual_mov_b32 v0, 0
	v_mov_b32_e32 v2, v4
	s_add_u32 s2, s0, 0xc4
	s_addc_u32 s3, s1, 0
	s_and_b32 s8, s7, 28
	s_mov_b32 s9, 0
	s_mov_b64 s[4:5], s[0:1]
.LBB375_12:                             ; =>This Inner Loop Header: Depth=1
	s_clause 0x1
	s_load_b256 s[12:19], s[4:5], 0x4
	s_load_b128 s[20:23], s[4:5], 0x24
	s_load_b256 s[36:43], s[2:3], 0x0
	s_add_u32 s4, s4, 48
	s_addc_u32 s5, s5, 0
	s_add_i32 s9, s9, 4
	s_add_u32 s2, s2, 32
	s_addc_u32 s3, s3, 0
	s_cmp_lg_u32 s8, s9
	s_waitcnt lgkmcnt(0)
	v_mul_hi_u32 v3, s13, v2
	s_delay_alu instid0(VALU_DEP_1) | instskip(NEXT) | instid1(VALU_DEP_1)
	v_add_nc_u32_e32 v3, v2, v3
	v_lshrrev_b32_e32 v3, s14, v3
	s_delay_alu instid0(VALU_DEP_1) | instskip(SKIP_1) | instid1(VALU_DEP_2)
	v_mul_hi_u32 v5, s16, v3
	v_mul_lo_u32 v9, v3, s12
	v_add_nc_u32_e32 v5, v3, v5
	s_delay_alu instid0(VALU_DEP_2) | instskip(NEXT) | instid1(VALU_DEP_2)
	v_sub_nc_u32_e32 v2, v2, v9
	v_lshrrev_b32_e32 v5, s17, v5
	s_delay_alu instid0(VALU_DEP_2) | instskip(SKIP_1) | instid1(VALU_DEP_3)
	v_mul_lo_u32 v9, v2, s36
	v_mul_lo_u32 v11, v2, s37
	v_mul_hi_u32 v7, s19, v5
	s_delay_alu instid0(VALU_DEP_1) | instskip(NEXT) | instid1(VALU_DEP_1)
	v_add_nc_u32_e32 v7, v5, v7
	v_lshrrev_b32_e32 v7, s20, v7
	s_delay_alu instid0(VALU_DEP_1) | instskip(SKIP_1) | instid1(VALU_DEP_2)
	v_mul_hi_u32 v10, s22, v7
	v_mul_lo_u32 v12, v7, s18
	v_add_nc_u32_e32 v2, v7, v10
	v_mul_lo_u32 v10, v5, s15
	s_delay_alu instid0(VALU_DEP_3) | instskip(NEXT) | instid1(VALU_DEP_3)
	v_sub_nc_u32_e32 v5, v5, v12
	v_lshrrev_b32_e32 v2, s23, v2
	s_delay_alu instid0(VALU_DEP_2) | instskip(SKIP_2) | instid1(VALU_DEP_4)
	v_mul_lo_u32 v12, v5, s40
	v_mul_lo_u32 v5, v5, s41
	v_sub_nc_u32_e32 v3, v3, v10
	v_mul_lo_u32 v13, v2, s21
	s_delay_alu instid0(VALU_DEP_2) | instskip(SKIP_1) | instid1(VALU_DEP_3)
	v_mul_lo_u32 v10, v3, s38
	v_mul_lo_u32 v3, v3, s39
	v_sub_nc_u32_e32 v7, v7, v13
	s_delay_alu instid0(VALU_DEP_3) | instskip(NEXT) | instid1(VALU_DEP_2)
	v_add3_u32 v0, v9, v0, v10
	v_mul_lo_u32 v13, v7, s42
	v_mul_lo_u32 v7, v7, s43
	v_add3_u32 v1, v11, v1, v3
	s_delay_alu instid0(VALU_DEP_3) | instskip(NEXT) | instid1(VALU_DEP_2)
	v_add3_u32 v0, v12, v0, v13
	v_add3_u32 v1, v5, v1, v7
	s_cbranch_scc1 .LBB375_12
; %bb.13:
	s_and_b32 s7, s7, 3
	s_delay_alu instid0(SALU_CYCLE_1)
	s_cmp_eq_u32 s7, 0
	s_cbranch_scc0 .LBB375_24
	s_branch .LBB375_26
.LBB375_14:
	s_or_b32 exec_lo, exec_lo, s33
	s_delay_alu instid0(SALU_CYCLE_1)
	s_mov_b32 s33, exec_lo
	v_cmpx_gt_i32_e64 s29, v4
	s_cbranch_execz .LBB375_77
.LBB375_15:
	s_and_not1_b32 vcc_lo, exec_lo, s26
	s_cbranch_vccnz .LBB375_22
; %bb.16:
	v_dual_mov_b32 v0, 0 :: v_dual_mov_b32 v1, 0
	s_and_not1_b32 vcc_lo, exec_lo, s31
	s_mov_b32 s34, 0
	s_cbranch_vccnz .LBB375_88
; %bb.17:
	v_mov_b32_e32 v0, 0
	s_add_i32 s36, s30, 1
	s_cmp_eq_u32 s25, 2
	s_mov_b32 s35, 0
	s_cbranch_scc1 .LBB375_84
; %bb.18:
	v_dual_mov_b32 v1, 0 :: v_dual_mov_b32 v0, 0
	v_mov_b32_e32 v2, v4
	s_and_b32 s35, s36, 28
	s_mov_b32 s37, 0
	s_mov_b64 s[20:21], s[18:19]
	s_mov_b64 s[22:23], s[0:1]
.LBB375_19:                             ; =>This Inner Loop Header: Depth=1
	s_clause 0x1
	s_load_b256 s[40:47], s[22:23], 0x4
	s_load_b128 s[56:59], s[22:23], 0x24
	s_load_b256 s[48:55], s[20:21], 0x0
	s_add_u32 s22, s22, 48
	s_addc_u32 s23, s23, 0
	s_add_i32 s37, s37, 4
	s_add_u32 s20, s20, 32
	s_addc_u32 s21, s21, 0
	s_cmp_eq_u32 s35, s37
	s_waitcnt lgkmcnt(0)
	v_mul_hi_u32 v3, s41, v2
	s_delay_alu instid0(VALU_DEP_1) | instskip(NEXT) | instid1(VALU_DEP_1)
	v_add_nc_u32_e32 v3, v2, v3
	v_lshrrev_b32_e32 v3, s42, v3
	s_delay_alu instid0(VALU_DEP_1) | instskip(SKIP_1) | instid1(VALU_DEP_2)
	v_mul_hi_u32 v5, s44, v3
	v_mul_lo_u32 v7, v3, s40
	v_add_nc_u32_e32 v5, v3, v5
	s_delay_alu instid0(VALU_DEP_2) | instskip(NEXT) | instid1(VALU_DEP_2)
	v_sub_nc_u32_e32 v2, v2, v7
	v_lshrrev_b32_e32 v5, s45, v5
	s_delay_alu instid0(VALU_DEP_2) | instskip(SKIP_1) | instid1(VALU_DEP_3)
	v_mul_lo_u32 v7, v2, s48
	v_mul_lo_u32 v9, v2, s49
	v_mul_hi_u32 v6, s47, v5
	s_delay_alu instid0(VALU_DEP_1) | instskip(NEXT) | instid1(VALU_DEP_1)
	v_add_nc_u32_e32 v6, v5, v6
	v_lshrrev_b32_e32 v6, s56, v6
	s_delay_alu instid0(VALU_DEP_1) | instskip(SKIP_1) | instid1(VALU_DEP_2)
	v_mul_hi_u32 v8, s58, v6
	v_mul_lo_u32 v10, v6, s46
	v_add_nc_u32_e32 v2, v6, v8
	v_mul_lo_u32 v8, v5, s43
	s_delay_alu instid0(VALU_DEP_3) | instskip(NEXT) | instid1(VALU_DEP_3)
	v_sub_nc_u32_e32 v5, v5, v10
	v_lshrrev_b32_e32 v2, s59, v2
	s_delay_alu instid0(VALU_DEP_2) | instskip(SKIP_2) | instid1(VALU_DEP_4)
	v_mul_lo_u32 v10, v5, s52
	v_mul_lo_u32 v5, v5, s53
	v_sub_nc_u32_e32 v3, v3, v8
	v_mul_lo_u32 v11, v2, s57
	s_delay_alu instid0(VALU_DEP_2) | instskip(SKIP_1) | instid1(VALU_DEP_3)
	v_mul_lo_u32 v8, v3, s50
	v_mul_lo_u32 v3, v3, s51
	v_sub_nc_u32_e32 v6, v6, v11
	s_delay_alu instid0(VALU_DEP_3) | instskip(NEXT) | instid1(VALU_DEP_2)
	v_add3_u32 v0, v7, v0, v8
	v_mul_lo_u32 v11, v6, s54
	v_mul_lo_u32 v6, v6, s55
	v_add3_u32 v1, v9, v1, v3
	s_delay_alu instid0(VALU_DEP_3) | instskip(NEXT) | instid1(VALU_DEP_2)
	v_add3_u32 v0, v10, v0, v11
	v_add3_u32 v1, v5, v1, v6
	s_cbranch_scc0 .LBB375_19
	s_branch .LBB375_85
.LBB375_20:
	s_mov_b32 s6, -1
                                        ; implicit-def: $vgpr0
                                        ; implicit-def: $vgpr1
	s_branch .LBB375_26
.LBB375_21:
	s_mov_b32 s34, -1
                                        ; implicit-def: $vgpr0
                                        ; implicit-def: $vgpr1
	s_branch .LBB375_73
.LBB375_22:
	s_mov_b32 s34, -1
                                        ; implicit-def: $vgpr0
                                        ; implicit-def: $vgpr1
	s_branch .LBB375_88
.LBB375_23:
	v_dual_mov_b32 v2, v4 :: v_dual_mov_b32 v1, 0
	s_and_b32 s7, s7, 3
	s_delay_alu instid0(SALU_CYCLE_1)
	s_cmp_eq_u32 s7, 0
	s_cbranch_scc1 .LBB375_26
.LBB375_24:
	s_lshl_b32 s2, s8, 3
	s_mul_i32 s4, s8, 12
	s_add_u32 s2, s2, s0
	s_addc_u32 s3, 0, s1
	s_add_u32 s2, s2, 0xc4
	s_addc_u32 s3, s3, 0
	;; [unrolled: 2-line block ×3, first 2 shown]
	.p2align	6
.LBB375_25:                             ; =>This Inner Loop Header: Depth=1
	s_clause 0x1
	s_load_b64 s[8:9], s[4:5], 0x4
	s_load_b32 s12, s[4:5], 0xc
	s_load_b64 s[10:11], s[2:3], 0x0
	s_add_u32 s4, s4, 12
	s_addc_u32 s5, s5, 0
	s_add_u32 s2, s2, 8
	s_addc_u32 s3, s3, 0
	s_add_i32 s7, s7, -1
	s_delay_alu instid0(SALU_CYCLE_1) | instskip(SKIP_2) | instid1(VALU_DEP_1)
	s_cmp_lg_u32 s7, 0
	s_waitcnt lgkmcnt(0)
	v_mul_hi_u32 v3, s9, v2
	v_add_nc_u32_e32 v3, v2, v3
	s_delay_alu instid0(VALU_DEP_1) | instskip(NEXT) | instid1(VALU_DEP_1)
	v_lshrrev_b32_e32 v3, s12, v3
	v_mul_lo_u32 v5, v3, s8
	s_delay_alu instid0(VALU_DEP_1) | instskip(NEXT) | instid1(VALU_DEP_1)
	v_sub_nc_u32_e32 v2, v2, v5
	v_mad_u64_u32 v[9:10], null, v2, s10, v[0:1]
	v_mad_u64_u32 v[10:11], null, v2, s11, v[1:2]
	v_mov_b32_e32 v2, v3
	s_delay_alu instid0(VALU_DEP_2)
	v_dual_mov_b32 v0, v9 :: v_dual_mov_b32 v1, v10
	s_cbranch_scc1 .LBB375_25
.LBB375_26:
	s_and_not1_b32 vcc_lo, exec_lo, s6
	s_cbranch_vccnz .LBB375_29
; %bb.27:
	s_clause 0x1
	s_load_b128 s[4:7], s[0:1], 0x4
	s_load_b64 s[2:3], s[0:1], 0xc4
	s_cmp_lt_u32 s24, 2
	s_waitcnt lgkmcnt(0)
	v_mul_hi_u32 v0, s5, v4
	s_delay_alu instid0(VALU_DEP_1) | instskip(NEXT) | instid1(VALU_DEP_1)
	v_add_nc_u32_e32 v0, v4, v0
	v_lshrrev_b32_e32 v2, s6, v0
	s_delay_alu instid0(VALU_DEP_1) | instskip(NEXT) | instid1(VALU_DEP_1)
	v_mul_lo_u32 v0, v2, s4
	v_sub_nc_u32_e32 v1, v4, v0
	s_delay_alu instid0(VALU_DEP_1)
	v_mul_lo_u32 v0, v1, s2
	v_mul_lo_u32 v1, v1, s3
	s_cbranch_scc1 .LBB375_29
; %bb.28:
	s_clause 0x1
	s_load_b128 s[4:7], s[0:1], 0x10
	s_load_b64 s[2:3], s[0:1], 0xcc
	s_waitcnt lgkmcnt(0)
	v_mul_hi_u32 v3, s5, v2
	s_delay_alu instid0(VALU_DEP_1) | instskip(NEXT) | instid1(VALU_DEP_1)
	v_add_nc_u32_e32 v3, v2, v3
	v_lshrrev_b32_e32 v3, s6, v3
	s_delay_alu instid0(VALU_DEP_1) | instskip(NEXT) | instid1(VALU_DEP_1)
	v_mul_lo_u32 v3, v3, s4
	v_sub_nc_u32_e32 v5, v2, v3
	s_delay_alu instid0(VALU_DEP_1) | instskip(NEXT) | instid1(VALU_DEP_1)
	v_mad_u64_u32 v[2:3], null, v5, s2, v[0:1]
	v_mad_u64_u32 v[9:10], null, v5, s3, v[1:2]
	s_delay_alu instid0(VALU_DEP_1)
	v_dual_mov_b32 v0, v2 :: v_dual_mov_b32 v1, v9
.LBB375_29:
	v_cmp_ne_u32_e32 vcc_lo, 1, v6
	v_add_nc_u32_e32 v5, 0x80, v4
	s_cbranch_vccnz .LBB375_35
; %bb.30:
	v_dual_mov_b32 v2, 0 :: v_dual_mov_b32 v3, 0
	s_cmp_lg_u32 s24, 0
	s_mov_b32 s6, 0
	s_cbranch_scc0 .LBB375_39
; %bb.31:
	s_min_u32 s7, s25, 15
	v_mov_b32_e32 v2, 0
	s_add_i32 s7, s7, 1
	s_cmp_eq_u32 s25, 2
	s_mov_b32 s8, 0
	s_cbranch_scc1 .LBB375_36
; %bb.32:
	v_dual_mov_b32 v3, 0 :: v_dual_mov_b32 v2, 0
	v_mov_b32_e32 v7, v5
	s_add_u32 s2, s0, 0xc4
	s_addc_u32 s3, s1, 0
	s_and_b32 s8, s7, 28
	s_mov_b32 s9, 0
	s_mov_b64 s[4:5], s[0:1]
.LBB375_33:                             ; =>This Inner Loop Header: Depth=1
	s_clause 0x1
	s_load_b256 s[12:19], s[4:5], 0x4
	s_load_b128 s[20:23], s[4:5], 0x24
	s_load_b256 s[36:43], s[2:3], 0x0
	s_add_u32 s4, s4, 48
	s_addc_u32 s5, s5, 0
	s_add_i32 s9, s9, 4
	s_add_u32 s2, s2, 32
	s_addc_u32 s3, s3, 0
	s_cmp_lg_u32 s8, s9
	s_waitcnt lgkmcnt(0)
	v_mul_hi_u32 v9, s13, v7
	s_delay_alu instid0(VALU_DEP_1) | instskip(NEXT) | instid1(VALU_DEP_1)
	v_add_nc_u32_e32 v9, v7, v9
	v_lshrrev_b32_e32 v9, s14, v9
	s_delay_alu instid0(VALU_DEP_1) | instskip(SKIP_1) | instid1(VALU_DEP_2)
	v_mul_hi_u32 v10, s16, v9
	v_mul_lo_u32 v12, v9, s12
	v_add_nc_u32_e32 v10, v9, v10
	s_delay_alu instid0(VALU_DEP_2) | instskip(NEXT) | instid1(VALU_DEP_2)
	v_sub_nc_u32_e32 v7, v7, v12
	v_lshrrev_b32_e32 v10, s17, v10
	s_delay_alu instid0(VALU_DEP_2) | instskip(SKIP_1) | instid1(VALU_DEP_3)
	v_mul_lo_u32 v12, v7, s36
	v_mul_lo_u32 v14, v7, s37
	v_mul_hi_u32 v11, s19, v10
	s_delay_alu instid0(VALU_DEP_1) | instskip(NEXT) | instid1(VALU_DEP_1)
	v_add_nc_u32_e32 v11, v10, v11
	v_lshrrev_b32_e32 v11, s20, v11
	s_delay_alu instid0(VALU_DEP_1) | instskip(SKIP_1) | instid1(VALU_DEP_2)
	v_mul_hi_u32 v13, s22, v11
	v_mul_lo_u32 v15, v11, s18
	v_add_nc_u32_e32 v7, v11, v13
	v_mul_lo_u32 v13, v10, s15
	s_delay_alu instid0(VALU_DEP_3) | instskip(NEXT) | instid1(VALU_DEP_3)
	v_sub_nc_u32_e32 v10, v10, v15
	v_lshrrev_b32_e32 v7, s23, v7
	s_delay_alu instid0(VALU_DEP_2) | instskip(SKIP_2) | instid1(VALU_DEP_4)
	v_mul_lo_u32 v15, v10, s40
	v_mul_lo_u32 v10, v10, s41
	v_sub_nc_u32_e32 v9, v9, v13
	v_mul_lo_u32 v16, v7, s21
	s_delay_alu instid0(VALU_DEP_2) | instskip(SKIP_1) | instid1(VALU_DEP_3)
	v_mul_lo_u32 v13, v9, s38
	v_mul_lo_u32 v9, v9, s39
	v_sub_nc_u32_e32 v11, v11, v16
	s_delay_alu instid0(VALU_DEP_3) | instskip(NEXT) | instid1(VALU_DEP_2)
	v_add3_u32 v2, v12, v2, v13
	v_mul_lo_u32 v16, v11, s42
	v_mul_lo_u32 v11, v11, s43
	v_add3_u32 v3, v14, v3, v9
	s_delay_alu instid0(VALU_DEP_3) | instskip(NEXT) | instid1(VALU_DEP_2)
	v_add3_u32 v2, v15, v2, v16
	v_add3_u32 v3, v10, v3, v11
	s_cbranch_scc1 .LBB375_33
; %bb.34:
	s_and_b32 s7, s7, 3
	s_delay_alu instid0(SALU_CYCLE_1)
	s_cmp_eq_u32 s7, 0
	s_cbranch_scc0 .LBB375_37
	s_branch .LBB375_39
.LBB375_35:
	s_mov_b32 s6, -1
                                        ; implicit-def: $vgpr2
                                        ; implicit-def: $vgpr3
	s_branch .LBB375_39
.LBB375_36:
	v_mov_b32_e32 v7, v5
	v_mov_b32_e32 v3, 0
	s_and_b32 s7, s7, 3
	s_delay_alu instid0(SALU_CYCLE_1)
	s_cmp_eq_u32 s7, 0
	s_cbranch_scc1 .LBB375_39
.LBB375_37:
	s_lshl_b32 s2, s8, 3
	s_mul_i32 s4, s8, 12
	s_add_u32 s2, s2, s0
	s_addc_u32 s3, 0, s1
	s_add_u32 s2, s2, 0xc4
	s_addc_u32 s3, s3, 0
	;; [unrolled: 2-line block ×3, first 2 shown]
	.p2align	6
.LBB375_38:                             ; =>This Inner Loop Header: Depth=1
	s_clause 0x1
	s_load_b64 s[8:9], s[4:5], 0x4
	s_load_b32 s12, s[4:5], 0xc
	s_load_b64 s[10:11], s[2:3], 0x0
	s_add_u32 s4, s4, 12
	s_addc_u32 s5, s5, 0
	s_add_u32 s2, s2, 8
	s_addc_u32 s3, s3, 0
	s_add_i32 s7, s7, -1
	s_delay_alu instid0(SALU_CYCLE_1) | instskip(SKIP_2) | instid1(VALU_DEP_1)
	s_cmp_lg_u32 s7, 0
	s_waitcnt lgkmcnt(0)
	v_mul_hi_u32 v9, s9, v7
	v_add_nc_u32_e32 v9, v7, v9
	s_delay_alu instid0(VALU_DEP_1) | instskip(NEXT) | instid1(VALU_DEP_1)
	v_lshrrev_b32_e32 v12, s12, v9
	v_mul_lo_u32 v9, v12, s8
	s_delay_alu instid0(VALU_DEP_1) | instskip(NEXT) | instid1(VALU_DEP_1)
	v_sub_nc_u32_e32 v7, v7, v9
	v_mad_u64_u32 v[9:10], null, v7, s10, v[2:3]
	v_mad_u64_u32 v[10:11], null, v7, s11, v[3:4]
	s_delay_alu instid0(VALU_DEP_2) | instskip(NEXT) | instid1(VALU_DEP_2)
	v_dual_mov_b32 v7, v12 :: v_dual_mov_b32 v2, v9
	v_mov_b32_e32 v3, v10
	s_cbranch_scc1 .LBB375_38
.LBB375_39:
	s_and_not1_b32 vcc_lo, exec_lo, s6
	s_cbranch_vccnz .LBB375_42
; %bb.40:
	s_clause 0x1
	s_load_b128 s[4:7], s[0:1], 0x4
	s_load_b64 s[2:3], s[0:1], 0xc4
	s_cmp_lt_u32 s24, 2
	s_waitcnt lgkmcnt(0)
	v_mul_hi_u32 v2, s5, v5
	s_delay_alu instid0(VALU_DEP_1) | instskip(NEXT) | instid1(VALU_DEP_1)
	v_add_nc_u32_e32 v2, v5, v2
	v_lshrrev_b32_e32 v7, s6, v2
	s_delay_alu instid0(VALU_DEP_1) | instskip(NEXT) | instid1(VALU_DEP_1)
	v_mul_lo_u32 v2, v7, s4
	v_sub_nc_u32_e32 v3, v5, v2
	s_delay_alu instid0(VALU_DEP_1)
	v_mul_lo_u32 v2, v3, s2
	v_mul_lo_u32 v3, v3, s3
	s_cbranch_scc1 .LBB375_42
; %bb.41:
	s_clause 0x1
	s_load_b128 s[4:7], s[0:1], 0x10
	s_load_b64 s[2:3], s[0:1], 0xcc
	s_waitcnt lgkmcnt(0)
	v_mul_hi_u32 v5, s5, v7
	s_delay_alu instid0(VALU_DEP_1) | instskip(NEXT) | instid1(VALU_DEP_1)
	v_add_nc_u32_e32 v5, v7, v5
	v_lshrrev_b32_e32 v5, s6, v5
	s_delay_alu instid0(VALU_DEP_1) | instskip(NEXT) | instid1(VALU_DEP_1)
	v_mul_lo_u32 v5, v5, s4
	v_sub_nc_u32_e32 v5, v7, v5
	s_delay_alu instid0(VALU_DEP_1) | instskip(SKIP_1) | instid1(VALU_DEP_1)
	v_mad_u64_u32 v[9:10], null, v5, s2, v[2:3]
	v_mad_u64_u32 v[10:11], null, v5, s3, v[3:4]
	v_dual_mov_b32 v2, v9 :: v_dual_mov_b32 v3, v10
.LBB375_42:
	v_cmp_ne_u32_e32 vcc_lo, 1, v6
	v_add_nc_u32_e32 v7, 0x100, v4
	s_cbranch_vccnz .LBB375_48
; %bb.43:
	v_dual_mov_b32 v4, 0 :: v_dual_mov_b32 v5, 0
	s_cmp_lg_u32 s24, 0
	s_mov_b32 s6, 0
	s_cbranch_scc0 .LBB375_52
; %bb.44:
	s_min_u32 s7, s25, 15
	v_mov_b32_e32 v4, 0
	s_add_i32 s7, s7, 1
	s_cmp_eq_u32 s25, 2
	s_mov_b32 s8, 0
	s_cbranch_scc1 .LBB375_49
; %bb.45:
	v_dual_mov_b32 v5, 0 :: v_dual_mov_b32 v4, 0
	v_mov_b32_e32 v9, v7
	s_add_u32 s2, s0, 0xc4
	s_addc_u32 s3, s1, 0
	s_and_b32 s8, s7, 28
	s_mov_b32 s9, 0
	s_mov_b64 s[4:5], s[0:1]
.LBB375_46:                             ; =>This Inner Loop Header: Depth=1
	s_clause 0x1
	s_load_b256 s[12:19], s[4:5], 0x4
	s_load_b128 s[20:23], s[4:5], 0x24
	s_load_b256 s[36:43], s[2:3], 0x0
	s_add_u32 s4, s4, 48
	s_addc_u32 s5, s5, 0
	s_add_i32 s9, s9, 4
	s_add_u32 s2, s2, 32
	s_addc_u32 s3, s3, 0
	s_cmp_lg_u32 s8, s9
	s_waitcnt lgkmcnt(0)
	v_mul_hi_u32 v10, s13, v9
	s_delay_alu instid0(VALU_DEP_1) | instskip(NEXT) | instid1(VALU_DEP_1)
	v_add_nc_u32_e32 v10, v9, v10
	v_lshrrev_b32_e32 v10, s14, v10
	s_delay_alu instid0(VALU_DEP_1) | instskip(SKIP_1) | instid1(VALU_DEP_2)
	v_mul_hi_u32 v11, s16, v10
	v_mul_lo_u32 v13, v10, s12
	v_add_nc_u32_e32 v11, v10, v11
	s_delay_alu instid0(VALU_DEP_2) | instskip(NEXT) | instid1(VALU_DEP_2)
	v_sub_nc_u32_e32 v9, v9, v13
	v_lshrrev_b32_e32 v11, s17, v11
	s_delay_alu instid0(VALU_DEP_2) | instskip(SKIP_1) | instid1(VALU_DEP_3)
	v_mul_lo_u32 v13, v9, s36
	v_mul_lo_u32 v15, v9, s37
	v_mul_hi_u32 v12, s19, v11
	s_delay_alu instid0(VALU_DEP_1) | instskip(NEXT) | instid1(VALU_DEP_1)
	v_add_nc_u32_e32 v12, v11, v12
	v_lshrrev_b32_e32 v12, s20, v12
	s_delay_alu instid0(VALU_DEP_1) | instskip(SKIP_1) | instid1(VALU_DEP_2)
	v_mul_hi_u32 v14, s22, v12
	v_mul_lo_u32 v16, v12, s18
	v_add_nc_u32_e32 v9, v12, v14
	v_mul_lo_u32 v14, v11, s15
	s_delay_alu instid0(VALU_DEP_3) | instskip(NEXT) | instid1(VALU_DEP_3)
	v_sub_nc_u32_e32 v11, v11, v16
	v_lshrrev_b32_e32 v9, s23, v9
	s_delay_alu instid0(VALU_DEP_2) | instskip(SKIP_2) | instid1(VALU_DEP_4)
	v_mul_lo_u32 v16, v11, s40
	v_mul_lo_u32 v11, v11, s41
	v_sub_nc_u32_e32 v10, v10, v14
	v_mul_lo_u32 v17, v9, s21
	s_delay_alu instid0(VALU_DEP_2) | instskip(SKIP_1) | instid1(VALU_DEP_3)
	v_mul_lo_u32 v14, v10, s38
	v_mul_lo_u32 v10, v10, s39
	v_sub_nc_u32_e32 v12, v12, v17
	s_delay_alu instid0(VALU_DEP_3) | instskip(NEXT) | instid1(VALU_DEP_2)
	v_add3_u32 v4, v13, v4, v14
	v_mul_lo_u32 v17, v12, s42
	v_mul_lo_u32 v12, v12, s43
	v_add3_u32 v5, v15, v5, v10
	s_delay_alu instid0(VALU_DEP_3) | instskip(NEXT) | instid1(VALU_DEP_2)
	v_add3_u32 v4, v16, v4, v17
	v_add3_u32 v5, v11, v5, v12
	s_cbranch_scc1 .LBB375_46
; %bb.47:
	s_and_b32 s7, s7, 3
	s_delay_alu instid0(SALU_CYCLE_1)
	s_cmp_eq_u32 s7, 0
	s_cbranch_scc0 .LBB375_50
	s_branch .LBB375_52
.LBB375_48:
	s_mov_b32 s6, -1
                                        ; implicit-def: $vgpr4
                                        ; implicit-def: $vgpr5
	s_branch .LBB375_52
.LBB375_49:
	v_mov_b32_e32 v9, v7
	v_mov_b32_e32 v5, 0
	s_and_b32 s7, s7, 3
	s_delay_alu instid0(SALU_CYCLE_1)
	s_cmp_eq_u32 s7, 0
	s_cbranch_scc1 .LBB375_52
.LBB375_50:
	s_lshl_b32 s2, s8, 3
	s_mul_i32 s4, s8, 12
	s_add_u32 s2, s2, s0
	s_addc_u32 s3, 0, s1
	s_add_u32 s2, s2, 0xc4
	s_addc_u32 s3, s3, 0
	;; [unrolled: 2-line block ×3, first 2 shown]
	.p2align	6
.LBB375_51:                             ; =>This Inner Loop Header: Depth=1
	s_clause 0x1
	s_load_b64 s[8:9], s[4:5], 0x4
	s_load_b32 s12, s[4:5], 0xc
	s_load_b64 s[10:11], s[2:3], 0x0
	s_add_u32 s4, s4, 12
	s_addc_u32 s5, s5, 0
	s_add_u32 s2, s2, 8
	s_addc_u32 s3, s3, 0
	s_add_i32 s7, s7, -1
	s_delay_alu instid0(SALU_CYCLE_1) | instskip(SKIP_2) | instid1(VALU_DEP_1)
	s_cmp_lg_u32 s7, 0
	s_waitcnt lgkmcnt(0)
	v_mul_hi_u32 v10, s9, v9
	v_add_nc_u32_e32 v10, v9, v10
	s_delay_alu instid0(VALU_DEP_1) | instskip(NEXT) | instid1(VALU_DEP_1)
	v_lshrrev_b32_e32 v13, s12, v10
	v_mul_lo_u32 v10, v13, s8
	s_delay_alu instid0(VALU_DEP_1) | instskip(NEXT) | instid1(VALU_DEP_1)
	v_sub_nc_u32_e32 v9, v9, v10
	v_mad_u64_u32 v[10:11], null, v9, s10, v[4:5]
	v_mad_u64_u32 v[11:12], null, v9, s11, v[5:6]
	s_delay_alu instid0(VALU_DEP_2) | instskip(NEXT) | instid1(VALU_DEP_2)
	v_dual_mov_b32 v9, v13 :: v_dual_mov_b32 v4, v10
	v_mov_b32_e32 v5, v11
	s_cbranch_scc1 .LBB375_51
.LBB375_52:
	s_and_not1_b32 vcc_lo, exec_lo, s6
	s_cbranch_vccnz .LBB375_55
; %bb.53:
	s_clause 0x1
	s_load_b128 s[4:7], s[0:1], 0x4
	s_load_b64 s[2:3], s[0:1], 0xc4
	s_cmp_lt_u32 s24, 2
	s_waitcnt lgkmcnt(0)
	v_mul_hi_u32 v4, s5, v7
	s_delay_alu instid0(VALU_DEP_1) | instskip(NEXT) | instid1(VALU_DEP_1)
	v_add_nc_u32_e32 v4, v7, v4
	v_lshrrev_b32_e32 v9, s6, v4
	s_delay_alu instid0(VALU_DEP_1) | instskip(NEXT) | instid1(VALU_DEP_1)
	v_mul_lo_u32 v4, v9, s4
	v_sub_nc_u32_e32 v5, v7, v4
	s_delay_alu instid0(VALU_DEP_1)
	v_mul_lo_u32 v4, v5, s2
	v_mul_lo_u32 v5, v5, s3
	s_cbranch_scc1 .LBB375_55
; %bb.54:
	s_clause 0x1
	s_load_b128 s[4:7], s[0:1], 0x10
	s_load_b64 s[2:3], s[0:1], 0xcc
	s_waitcnt lgkmcnt(0)
	v_mul_hi_u32 v7, s5, v9
	s_delay_alu instid0(VALU_DEP_1) | instskip(NEXT) | instid1(VALU_DEP_1)
	v_add_nc_u32_e32 v7, v9, v7
	v_lshrrev_b32_e32 v7, s6, v7
	s_delay_alu instid0(VALU_DEP_1) | instskip(NEXT) | instid1(VALU_DEP_1)
	v_mul_lo_u32 v7, v7, s4
	v_sub_nc_u32_e32 v7, v9, v7
	s_delay_alu instid0(VALU_DEP_1) | instskip(SKIP_1) | instid1(VALU_DEP_1)
	v_mad_u64_u32 v[9:10], null, v7, s2, v[4:5]
	v_mad_u64_u32 v[10:11], null, v7, s3, v[5:6]
	v_dual_mov_b32 v4, v9 :: v_dual_mov_b32 v5, v10
.LBB375_55:
	v_cmp_ne_u32_e32 vcc_lo, 1, v6
	s_cbranch_vccnz .LBB375_61
; %bb.56:
	v_dual_mov_b32 v6, 0 :: v_dual_mov_b32 v7, 0
	s_cmp_lg_u32 s24, 0
	s_mov_b32 s6, 0
	s_cbranch_scc0 .LBB375_65
; %bb.57:
	s_min_u32 s7, s25, 15
	v_mov_b32_e32 v6, 0
	s_add_i32 s7, s7, 1
	s_cmp_eq_u32 s25, 2
	s_mov_b32 s8, 0
	s_cbranch_scc1 .LBB375_62
; %bb.58:
	v_dual_mov_b32 v7, 0 :: v_dual_mov_b32 v6, 0
	v_mov_b32_e32 v9, v8
	s_add_u32 s2, s0, 0xc4
	s_addc_u32 s3, s1, 0
	s_and_b32 s8, s7, 28
	s_mov_b32 s9, 0
	s_mov_b64 s[4:5], s[0:1]
.LBB375_59:                             ; =>This Inner Loop Header: Depth=1
	s_clause 0x1
	s_load_b256 s[12:19], s[4:5], 0x4
	s_load_b128 s[20:23], s[4:5], 0x24
	s_load_b256 s[36:43], s[2:3], 0x0
	s_add_u32 s4, s4, 48
	s_addc_u32 s5, s5, 0
	s_add_i32 s9, s9, 4
	s_add_u32 s2, s2, 32
	s_addc_u32 s3, s3, 0
	s_cmp_lg_u32 s8, s9
	s_waitcnt lgkmcnt(0)
	v_mul_hi_u32 v10, s13, v9
	s_delay_alu instid0(VALU_DEP_1) | instskip(NEXT) | instid1(VALU_DEP_1)
	v_add_nc_u32_e32 v10, v9, v10
	v_lshrrev_b32_e32 v10, s14, v10
	s_delay_alu instid0(VALU_DEP_1) | instskip(SKIP_1) | instid1(VALU_DEP_2)
	v_mul_hi_u32 v11, s16, v10
	v_mul_lo_u32 v13, v10, s12
	v_add_nc_u32_e32 v11, v10, v11
	s_delay_alu instid0(VALU_DEP_2) | instskip(NEXT) | instid1(VALU_DEP_2)
	v_sub_nc_u32_e32 v9, v9, v13
	v_lshrrev_b32_e32 v11, s17, v11
	s_delay_alu instid0(VALU_DEP_2) | instskip(SKIP_1) | instid1(VALU_DEP_3)
	v_mul_lo_u32 v13, v9, s36
	v_mul_lo_u32 v15, v9, s37
	v_mul_hi_u32 v12, s19, v11
	s_delay_alu instid0(VALU_DEP_1) | instskip(NEXT) | instid1(VALU_DEP_1)
	v_add_nc_u32_e32 v12, v11, v12
	v_lshrrev_b32_e32 v12, s20, v12
	s_delay_alu instid0(VALU_DEP_1) | instskip(SKIP_1) | instid1(VALU_DEP_2)
	v_mul_hi_u32 v14, s22, v12
	v_mul_lo_u32 v16, v12, s18
	v_add_nc_u32_e32 v9, v12, v14
	v_mul_lo_u32 v14, v11, s15
	s_delay_alu instid0(VALU_DEP_3) | instskip(NEXT) | instid1(VALU_DEP_3)
	v_sub_nc_u32_e32 v11, v11, v16
	v_lshrrev_b32_e32 v9, s23, v9
	s_delay_alu instid0(VALU_DEP_2) | instskip(SKIP_2) | instid1(VALU_DEP_4)
	v_mul_lo_u32 v16, v11, s40
	v_mul_lo_u32 v11, v11, s41
	v_sub_nc_u32_e32 v10, v10, v14
	v_mul_lo_u32 v17, v9, s21
	s_delay_alu instid0(VALU_DEP_2) | instskip(SKIP_1) | instid1(VALU_DEP_3)
	v_mul_lo_u32 v14, v10, s38
	v_mul_lo_u32 v10, v10, s39
	v_sub_nc_u32_e32 v12, v12, v17
	s_delay_alu instid0(VALU_DEP_3) | instskip(NEXT) | instid1(VALU_DEP_2)
	v_add3_u32 v6, v13, v6, v14
	v_mul_lo_u32 v17, v12, s42
	v_mul_lo_u32 v12, v12, s43
	v_add3_u32 v7, v15, v7, v10
	s_delay_alu instid0(VALU_DEP_3) | instskip(NEXT) | instid1(VALU_DEP_2)
	v_add3_u32 v6, v16, v6, v17
	v_add3_u32 v7, v11, v7, v12
	s_cbranch_scc1 .LBB375_59
; %bb.60:
	s_and_b32 s7, s7, 3
	s_delay_alu instid0(SALU_CYCLE_1)
	s_cmp_eq_u32 s7, 0
	s_cbranch_scc0 .LBB375_63
	s_branch .LBB375_65
.LBB375_61:
	s_mov_b32 s6, -1
                                        ; implicit-def: $vgpr6
                                        ; implicit-def: $vgpr7
	s_branch .LBB375_65
.LBB375_62:
	v_mov_b32_e32 v9, v8
	v_mov_b32_e32 v7, 0
	s_and_b32 s7, s7, 3
	s_delay_alu instid0(SALU_CYCLE_1)
	s_cmp_eq_u32 s7, 0
	s_cbranch_scc1 .LBB375_65
.LBB375_63:
	s_lshl_b32 s2, s8, 3
	s_mul_i32 s4, s8, 12
	s_add_u32 s2, s2, s0
	s_addc_u32 s3, 0, s1
	s_add_u32 s2, s2, 0xc4
	s_addc_u32 s3, s3, 0
	;; [unrolled: 2-line block ×3, first 2 shown]
	.p2align	6
.LBB375_64:                             ; =>This Inner Loop Header: Depth=1
	s_clause 0x1
	s_load_b64 s[8:9], s[4:5], 0x4
	s_load_b32 s12, s[4:5], 0xc
	s_load_b64 s[10:11], s[2:3], 0x0
	s_add_u32 s4, s4, 12
	s_addc_u32 s5, s5, 0
	s_add_u32 s2, s2, 8
	s_addc_u32 s3, s3, 0
	s_add_i32 s7, s7, -1
	s_delay_alu instid0(SALU_CYCLE_1) | instskip(SKIP_2) | instid1(VALU_DEP_1)
	s_cmp_lg_u32 s7, 0
	s_waitcnt lgkmcnt(0)
	v_mul_hi_u32 v10, s9, v9
	v_add_nc_u32_e32 v10, v9, v10
	s_delay_alu instid0(VALU_DEP_1) | instskip(NEXT) | instid1(VALU_DEP_1)
	v_lshrrev_b32_e32 v13, s12, v10
	v_mul_lo_u32 v10, v13, s8
	s_delay_alu instid0(VALU_DEP_1) | instskip(NEXT) | instid1(VALU_DEP_1)
	v_sub_nc_u32_e32 v9, v9, v10
	v_mad_u64_u32 v[10:11], null, v9, s10, v[6:7]
	v_mad_u64_u32 v[11:12], null, v9, s11, v[7:8]
	s_delay_alu instid0(VALU_DEP_2) | instskip(NEXT) | instid1(VALU_DEP_2)
	v_dual_mov_b32 v9, v13 :: v_dual_mov_b32 v6, v10
	v_mov_b32_e32 v7, v11
	s_cbranch_scc1 .LBB375_64
.LBB375_65:
	s_and_not1_b32 vcc_lo, exec_lo, s6
	s_cbranch_vccnz .LBB375_68
; %bb.66:
	s_clause 0x1
	s_load_b128 s[4:7], s[0:1], 0x4
	s_load_b64 s[2:3], s[0:1], 0xc4
	s_cmp_lt_u32 s24, 2
	s_waitcnt lgkmcnt(0)
	v_mul_hi_u32 v6, s5, v8
	s_delay_alu instid0(VALU_DEP_1) | instskip(NEXT) | instid1(VALU_DEP_1)
	v_add_nc_u32_e32 v6, v8, v6
	v_lshrrev_b32_e32 v9, s6, v6
	s_delay_alu instid0(VALU_DEP_1) | instskip(NEXT) | instid1(VALU_DEP_1)
	v_mul_lo_u32 v6, v9, s4
	v_sub_nc_u32_e32 v7, v8, v6
	s_delay_alu instid0(VALU_DEP_1)
	v_mul_lo_u32 v6, v7, s2
	v_mul_lo_u32 v7, v7, s3
	s_cbranch_scc1 .LBB375_68
; %bb.67:
	s_clause 0x1
	s_load_b128 s[4:7], s[0:1], 0x10
	s_load_b64 s[2:3], s[0:1], 0xcc
	s_waitcnt lgkmcnt(0)
	v_mul_hi_u32 v8, s5, v9
	s_delay_alu instid0(VALU_DEP_1) | instskip(NEXT) | instid1(VALU_DEP_1)
	v_add_nc_u32_e32 v8, v9, v8
	v_lshrrev_b32_e32 v8, s6, v8
	s_delay_alu instid0(VALU_DEP_1) | instskip(NEXT) | instid1(VALU_DEP_1)
	v_mul_lo_u32 v8, v8, s4
	v_sub_nc_u32_e32 v11, v9, v8
	s_delay_alu instid0(VALU_DEP_1) | instskip(NEXT) | instid1(VALU_DEP_1)
	v_mad_u64_u32 v[8:9], null, v11, s2, v[6:7]
	v_mad_u64_u32 v[9:10], null, v11, s3, v[7:8]
	s_delay_alu instid0(VALU_DEP_1)
	v_dual_mov_b32 v6, v8 :: v_dual_mov_b32 v7, v9
.LBB375_68:
	s_clause 0x1
	s_load_b128 s[4:7], s[0:1], 0x148
	s_load_b64 s[8:9], s[0:1], 0x158
	s_waitcnt lgkmcnt(0)
	s_clause 0x3
	global_load_b64 v[8:9], v1, s[6:7]
	global_load_b64 v[10:11], v3, s[6:7]
	;; [unrolled: 1-line block ×4, first 2 shown]
	s_waitcnt vmcnt(3)
	v_cmp_lt_i64_e32 vcc_lo, s[8:9], v[8:9]
	s_waitcnt vmcnt(2)
	v_cmp_lt_i64_e64 s0, s[8:9], v[10:11]
	s_waitcnt vmcnt(1)
	v_cmp_lt_i64_e64 s1, s[8:9], v[12:13]
	;; [unrolled: 2-line block ×3, first 2 shown]
	v_cndmask_b32_e32 v9, s9, v9, vcc_lo
	v_cndmask_b32_e32 v8, s8, v8, vcc_lo
	v_cndmask_b32_e64 v11, s9, v11, s0
	v_cndmask_b32_e64 v10, s8, v10, s0
	v_cndmask_b32_e64 v13, s9, v13, s1
	v_cndmask_b32_e64 v12, s8, v12, s1
	v_cndmask_b32_e64 v15, s9, v15, s2
	v_cndmask_b32_e64 v14, s8, v14, s2
	s_clause 0x3
	global_store_b64 v0, v[8:9], s[4:5]
	global_store_b64 v2, v[10:11], s[4:5]
	;; [unrolled: 1-line block ×4, first 2 shown]
	s_nop 0
	s_sendmsg sendmsg(MSG_DEALLOC_VGPRS)
	s_endpgm
.LBB375_69:
	v_dual_mov_b32 v2, v4 :: v_dual_mov_b32 v1, 0
.LBB375_70:
	s_and_b32 s36, s36, 3
	s_delay_alu instid0(SALU_CYCLE_1)
	s_cmp_eq_u32 s36, 0
	s_cbranch_scc1 .LBB375_73
; %bb.71:
	s_lshl_b32 s20, s35, 3
	s_mul_i32 s22, s35, 12
	s_add_u32 s20, s20, s0
	s_addc_u32 s21, s1, 0
	s_add_u32 s20, s20, 0xc4
	s_addc_u32 s21, s21, 0
	;; [unrolled: 2-line block ×3, first 2 shown]
	.p2align	6
.LBB375_72:                             ; =>This Inner Loop Header: Depth=1
	s_clause 0x1
	s_load_b64 s[38:39], s[22:23], 0x4
	s_load_b32 s35, s[22:23], 0xc
	s_load_b64 s[40:41], s[20:21], 0x0
	s_add_u32 s22, s22, 12
	s_addc_u32 s23, s23, 0
	s_add_u32 s20, s20, 8
	s_addc_u32 s21, s21, 0
	s_add_i32 s36, s36, -1
	s_delay_alu instid0(SALU_CYCLE_1) | instskip(SKIP_2) | instid1(VALU_DEP_1)
	s_cmp_lg_u32 s36, 0
	s_waitcnt lgkmcnt(0)
	v_mul_hi_u32 v3, s39, v2
	v_add_nc_u32_e32 v3, v2, v3
	s_delay_alu instid0(VALU_DEP_1) | instskip(NEXT) | instid1(VALU_DEP_1)
	v_lshrrev_b32_e32 v3, s35, v3
	v_mul_lo_u32 v5, v3, s38
	s_delay_alu instid0(VALU_DEP_1) | instskip(NEXT) | instid1(VALU_DEP_1)
	v_sub_nc_u32_e32 v2, v2, v5
	v_mad_u64_u32 v[5:6], null, v2, s40, v[0:1]
	v_mad_u64_u32 v[6:7], null, v2, s41, v[1:2]
	v_mov_b32_e32 v2, v3
	s_delay_alu instid0(VALU_DEP_2)
	v_dual_mov_b32 v0, v5 :: v_dual_mov_b32 v1, v6
	s_cbranch_scc1 .LBB375_72
.LBB375_73:
	s_and_not1_b32 vcc_lo, exec_lo, s34
	s_cbranch_vccnz .LBB375_76
; %bb.74:
	s_waitcnt lgkmcnt(0)
	v_mul_hi_u32 v0, s9, v4
	s_and_not1_b32 vcc_lo, exec_lo, s28
	s_delay_alu instid0(VALU_DEP_1) | instskip(NEXT) | instid1(VALU_DEP_1)
	v_add_nc_u32_e32 v0, v4, v0
	v_lshrrev_b32_e32 v2, s10, v0
	s_delay_alu instid0(VALU_DEP_1) | instskip(NEXT) | instid1(VALU_DEP_1)
	v_mul_lo_u32 v0, v2, s8
	v_sub_nc_u32_e32 v1, v4, v0
	s_delay_alu instid0(VALU_DEP_1)
	v_mul_lo_u32 v0, v1, s12
	v_mul_lo_u32 v1, v1, s13
	s_cbranch_vccnz .LBB375_76
; %bb.75:
	v_mul_hi_u32 v3, s16, v2
	s_delay_alu instid0(VALU_DEP_1) | instskip(NEXT) | instid1(VALU_DEP_1)
	v_add_nc_u32_e32 v3, v2, v3
	v_lshrrev_b32_e32 v3, s17, v3
	s_delay_alu instid0(VALU_DEP_1) | instskip(NEXT) | instid1(VALU_DEP_1)
	v_mul_lo_u32 v3, v3, s11
	v_sub_nc_u32_e32 v7, v2, v3
	s_delay_alu instid0(VALU_DEP_1) | instskip(NEXT) | instid1(VALU_DEP_1)
	v_mad_u64_u32 v[2:3], null, v7, s14, v[0:1]
	v_mad_u64_u32 v[5:6], null, v7, s15, v[1:2]
	s_delay_alu instid0(VALU_DEP_1)
	v_dual_mov_b32 v0, v2 :: v_dual_mov_b32 v1, v5
.LBB375_76:
	s_waitcnt lgkmcnt(0)
	global_load_b64 v[1:2], v1, s[6:7]
	v_add_nc_u32_e32 v4, 0x80, v4
	s_waitcnt vmcnt(0)
	v_cmp_lt_i64_e32 vcc_lo, s[2:3], v[1:2]
	v_cndmask_b32_e32 v2, s3, v2, vcc_lo
	v_cndmask_b32_e32 v1, s2, v1, vcc_lo
	global_store_b64 v0, v[1:2], s[4:5]
	s_or_b32 exec_lo, exec_lo, s33
	s_delay_alu instid0(SALU_CYCLE_1)
	s_mov_b32 s33, exec_lo
	v_cmpx_gt_i32_e64 s29, v4
	s_cbranch_execnz .LBB375_15
.LBB375_77:
	s_or_b32 exec_lo, exec_lo, s33
	s_delay_alu instid0(SALU_CYCLE_1)
	s_mov_b32 s33, exec_lo
	v_cmpx_gt_i32_e64 s29, v4
	s_cbranch_execz .LBB375_92
.LBB375_78:
	s_and_not1_b32 vcc_lo, exec_lo, s26
	s_cbranch_vccnz .LBB375_83
; %bb.79:
	v_dual_mov_b32 v0, 0 :: v_dual_mov_b32 v1, 0
	s_and_not1_b32 vcc_lo, exec_lo, s31
	s_mov_b32 s34, 0
	s_cbranch_vccnz .LBB375_99
; %bb.80:
	v_mov_b32_e32 v0, 0
	s_add_i32 s36, s30, 1
	s_cmp_eq_u32 s25, 2
	s_mov_b32 s35, 0
	s_cbranch_scc1 .LBB375_95
; %bb.81:
	v_dual_mov_b32 v1, 0 :: v_dual_mov_b32 v0, 0
	v_mov_b32_e32 v2, v4
	s_and_b32 s35, s36, 28
	s_mov_b32 s37, 0
	s_mov_b64 s[20:21], s[18:19]
	s_mov_b64 s[22:23], s[0:1]
.LBB375_82:                             ; =>This Inner Loop Header: Depth=1
	s_clause 0x1
	s_load_b256 s[40:47], s[22:23], 0x4
	s_load_b128 s[56:59], s[22:23], 0x24
	s_load_b256 s[48:55], s[20:21], 0x0
	s_add_u32 s22, s22, 48
	s_addc_u32 s23, s23, 0
	s_add_i32 s37, s37, 4
	s_add_u32 s20, s20, 32
	s_addc_u32 s21, s21, 0
	s_cmp_eq_u32 s35, s37
	s_waitcnt lgkmcnt(0)
	v_mul_hi_u32 v3, s41, v2
	s_delay_alu instid0(VALU_DEP_1) | instskip(NEXT) | instid1(VALU_DEP_1)
	v_add_nc_u32_e32 v3, v2, v3
	v_lshrrev_b32_e32 v3, s42, v3
	s_delay_alu instid0(VALU_DEP_1) | instskip(SKIP_1) | instid1(VALU_DEP_2)
	v_mul_hi_u32 v5, s44, v3
	v_mul_lo_u32 v7, v3, s40
	v_add_nc_u32_e32 v5, v3, v5
	s_delay_alu instid0(VALU_DEP_2) | instskip(NEXT) | instid1(VALU_DEP_2)
	v_sub_nc_u32_e32 v2, v2, v7
	v_lshrrev_b32_e32 v5, s45, v5
	s_delay_alu instid0(VALU_DEP_2) | instskip(SKIP_1) | instid1(VALU_DEP_3)
	v_mul_lo_u32 v7, v2, s48
	v_mul_lo_u32 v9, v2, s49
	v_mul_hi_u32 v6, s47, v5
	s_delay_alu instid0(VALU_DEP_1) | instskip(NEXT) | instid1(VALU_DEP_1)
	v_add_nc_u32_e32 v6, v5, v6
	v_lshrrev_b32_e32 v6, s56, v6
	s_delay_alu instid0(VALU_DEP_1) | instskip(SKIP_1) | instid1(VALU_DEP_2)
	v_mul_hi_u32 v8, s58, v6
	v_mul_lo_u32 v10, v6, s46
	v_add_nc_u32_e32 v2, v6, v8
	v_mul_lo_u32 v8, v5, s43
	s_delay_alu instid0(VALU_DEP_3) | instskip(NEXT) | instid1(VALU_DEP_3)
	v_sub_nc_u32_e32 v5, v5, v10
	v_lshrrev_b32_e32 v2, s59, v2
	s_delay_alu instid0(VALU_DEP_2) | instskip(SKIP_2) | instid1(VALU_DEP_4)
	v_mul_lo_u32 v10, v5, s52
	v_mul_lo_u32 v5, v5, s53
	v_sub_nc_u32_e32 v3, v3, v8
	v_mul_lo_u32 v11, v2, s57
	s_delay_alu instid0(VALU_DEP_2) | instskip(SKIP_1) | instid1(VALU_DEP_3)
	v_mul_lo_u32 v8, v3, s50
	v_mul_lo_u32 v3, v3, s51
	v_sub_nc_u32_e32 v6, v6, v11
	s_delay_alu instid0(VALU_DEP_3) | instskip(NEXT) | instid1(VALU_DEP_2)
	v_add3_u32 v0, v7, v0, v8
	v_mul_lo_u32 v11, v6, s54
	v_mul_lo_u32 v6, v6, s55
	v_add3_u32 v1, v9, v1, v3
	s_delay_alu instid0(VALU_DEP_3) | instskip(NEXT) | instid1(VALU_DEP_2)
	v_add3_u32 v0, v10, v0, v11
	v_add3_u32 v1, v5, v1, v6
	s_cbranch_scc0 .LBB375_82
	s_branch .LBB375_96
.LBB375_83:
	s_mov_b32 s34, -1
                                        ; implicit-def: $vgpr0
                                        ; implicit-def: $vgpr1
	s_branch .LBB375_99
.LBB375_84:
	v_dual_mov_b32 v2, v4 :: v_dual_mov_b32 v1, 0
.LBB375_85:
	s_and_b32 s36, s36, 3
	s_delay_alu instid0(SALU_CYCLE_1)
	s_cmp_eq_u32 s36, 0
	s_cbranch_scc1 .LBB375_88
; %bb.86:
	s_lshl_b32 s20, s35, 3
	s_mul_i32 s22, s35, 12
	s_add_u32 s20, s20, s0
	s_addc_u32 s21, s1, 0
	s_add_u32 s20, s20, 0xc4
	s_addc_u32 s21, s21, 0
	;; [unrolled: 2-line block ×3, first 2 shown]
	.p2align	6
.LBB375_87:                             ; =>This Inner Loop Header: Depth=1
	s_clause 0x1
	s_load_b64 s[38:39], s[22:23], 0x4
	s_load_b32 s35, s[22:23], 0xc
	s_load_b64 s[40:41], s[20:21], 0x0
	s_add_u32 s22, s22, 12
	s_addc_u32 s23, s23, 0
	s_add_u32 s20, s20, 8
	s_addc_u32 s21, s21, 0
	s_add_i32 s36, s36, -1
	s_delay_alu instid0(SALU_CYCLE_1) | instskip(SKIP_2) | instid1(VALU_DEP_1)
	s_cmp_lg_u32 s36, 0
	s_waitcnt lgkmcnt(0)
	v_mul_hi_u32 v3, s39, v2
	v_add_nc_u32_e32 v3, v2, v3
	s_delay_alu instid0(VALU_DEP_1) | instskip(NEXT) | instid1(VALU_DEP_1)
	v_lshrrev_b32_e32 v3, s35, v3
	v_mul_lo_u32 v5, v3, s38
	s_delay_alu instid0(VALU_DEP_1) | instskip(NEXT) | instid1(VALU_DEP_1)
	v_sub_nc_u32_e32 v2, v2, v5
	v_mad_u64_u32 v[5:6], null, v2, s40, v[0:1]
	v_mad_u64_u32 v[6:7], null, v2, s41, v[1:2]
	v_mov_b32_e32 v2, v3
	s_delay_alu instid0(VALU_DEP_2)
	v_dual_mov_b32 v0, v5 :: v_dual_mov_b32 v1, v6
	s_cbranch_scc1 .LBB375_87
.LBB375_88:
	s_and_not1_b32 vcc_lo, exec_lo, s34
	s_cbranch_vccnz .LBB375_91
; %bb.89:
	s_waitcnt lgkmcnt(0)
	v_mul_hi_u32 v0, s9, v4
	s_and_not1_b32 vcc_lo, exec_lo, s28
	s_delay_alu instid0(VALU_DEP_1) | instskip(NEXT) | instid1(VALU_DEP_1)
	v_add_nc_u32_e32 v0, v4, v0
	v_lshrrev_b32_e32 v2, s10, v0
	s_delay_alu instid0(VALU_DEP_1) | instskip(NEXT) | instid1(VALU_DEP_1)
	v_mul_lo_u32 v0, v2, s8
	v_sub_nc_u32_e32 v1, v4, v0
	s_delay_alu instid0(VALU_DEP_1)
	v_mul_lo_u32 v0, v1, s12
	v_mul_lo_u32 v1, v1, s13
	s_cbranch_vccnz .LBB375_91
; %bb.90:
	v_mul_hi_u32 v3, s16, v2
	s_delay_alu instid0(VALU_DEP_1) | instskip(NEXT) | instid1(VALU_DEP_1)
	v_add_nc_u32_e32 v3, v2, v3
	v_lshrrev_b32_e32 v3, s17, v3
	s_delay_alu instid0(VALU_DEP_1) | instskip(NEXT) | instid1(VALU_DEP_1)
	v_mul_lo_u32 v3, v3, s11
	v_sub_nc_u32_e32 v7, v2, v3
	s_delay_alu instid0(VALU_DEP_1) | instskip(NEXT) | instid1(VALU_DEP_1)
	v_mad_u64_u32 v[2:3], null, v7, s14, v[0:1]
	v_mad_u64_u32 v[5:6], null, v7, s15, v[1:2]
	s_delay_alu instid0(VALU_DEP_1)
	v_dual_mov_b32 v0, v2 :: v_dual_mov_b32 v1, v5
.LBB375_91:
	s_waitcnt lgkmcnt(0)
	global_load_b64 v[1:2], v1, s[6:7]
	v_add_nc_u32_e32 v4, 0x80, v4
	s_waitcnt vmcnt(0)
	v_cmp_lt_i64_e32 vcc_lo, s[2:3], v[1:2]
	v_cndmask_b32_e32 v2, s3, v2, vcc_lo
	v_cndmask_b32_e32 v1, s2, v1, vcc_lo
	global_store_b64 v0, v[1:2], s[4:5]
	s_or_b32 exec_lo, exec_lo, s33
	s_delay_alu instid0(SALU_CYCLE_1)
	s_mov_b32 s33, exec_lo
	v_cmpx_gt_i32_e64 s29, v4
	s_cbranch_execnz .LBB375_78
.LBB375_92:
	s_or_b32 exec_lo, exec_lo, s33
	s_delay_alu instid0(SALU_CYCLE_1)
	s_mov_b32 s22, exec_lo
	v_cmpx_gt_i32_e64 s29, v4
	s_cbranch_execnz .LBB375_103
.LBB375_93:
	s_or_b32 exec_lo, exec_lo, s22
                                        ; implicit-def: $vgpr8
                                        ; implicit-def: $vgpr4
	s_waitcnt lgkmcnt(0)
	s_and_not1_saveexec_b32 s2, s27
	s_cbranch_execnz .LBB375_8
.LBB375_94:
	s_nop 0
	s_sendmsg sendmsg(MSG_DEALLOC_VGPRS)
	s_endpgm
.LBB375_95:
	v_dual_mov_b32 v2, v4 :: v_dual_mov_b32 v1, 0
.LBB375_96:
	s_and_b32 s36, s36, 3
	s_delay_alu instid0(SALU_CYCLE_1)
	s_cmp_eq_u32 s36, 0
	s_cbranch_scc1 .LBB375_99
; %bb.97:
	s_lshl_b32 s20, s35, 3
	s_mul_i32 s22, s35, 12
	s_add_u32 s20, s20, s0
	s_addc_u32 s21, s1, 0
	s_add_u32 s20, s20, 0xc4
	s_addc_u32 s21, s21, 0
	;; [unrolled: 2-line block ×3, first 2 shown]
	.p2align	6
.LBB375_98:                             ; =>This Inner Loop Header: Depth=1
	s_clause 0x1
	s_load_b64 s[38:39], s[22:23], 0x4
	s_load_b32 s35, s[22:23], 0xc
	s_load_b64 s[40:41], s[20:21], 0x0
	s_add_u32 s22, s22, 12
	s_addc_u32 s23, s23, 0
	s_add_u32 s20, s20, 8
	s_addc_u32 s21, s21, 0
	s_add_i32 s36, s36, -1
	s_delay_alu instid0(SALU_CYCLE_1) | instskip(SKIP_2) | instid1(VALU_DEP_1)
	s_cmp_lg_u32 s36, 0
	s_waitcnt lgkmcnt(0)
	v_mul_hi_u32 v3, s39, v2
	v_add_nc_u32_e32 v3, v2, v3
	s_delay_alu instid0(VALU_DEP_1) | instskip(NEXT) | instid1(VALU_DEP_1)
	v_lshrrev_b32_e32 v3, s35, v3
	v_mul_lo_u32 v5, v3, s38
	s_delay_alu instid0(VALU_DEP_1) | instskip(NEXT) | instid1(VALU_DEP_1)
	v_sub_nc_u32_e32 v2, v2, v5
	v_mad_u64_u32 v[5:6], null, v2, s40, v[0:1]
	v_mad_u64_u32 v[6:7], null, v2, s41, v[1:2]
	v_mov_b32_e32 v2, v3
	s_delay_alu instid0(VALU_DEP_2)
	v_dual_mov_b32 v0, v5 :: v_dual_mov_b32 v1, v6
	s_cbranch_scc1 .LBB375_98
.LBB375_99:
	s_and_not1_b32 vcc_lo, exec_lo, s34
	s_cbranch_vccnz .LBB375_102
; %bb.100:
	s_waitcnt lgkmcnt(0)
	v_mul_hi_u32 v0, s9, v4
	s_and_not1_b32 vcc_lo, exec_lo, s28
	s_delay_alu instid0(VALU_DEP_1) | instskip(NEXT) | instid1(VALU_DEP_1)
	v_add_nc_u32_e32 v0, v4, v0
	v_lshrrev_b32_e32 v2, s10, v0
	s_delay_alu instid0(VALU_DEP_1) | instskip(NEXT) | instid1(VALU_DEP_1)
	v_mul_lo_u32 v0, v2, s8
	v_sub_nc_u32_e32 v1, v4, v0
	s_delay_alu instid0(VALU_DEP_1)
	v_mul_lo_u32 v0, v1, s12
	v_mul_lo_u32 v1, v1, s13
	s_cbranch_vccnz .LBB375_102
; %bb.101:
	v_mul_hi_u32 v3, s16, v2
	s_delay_alu instid0(VALU_DEP_1) | instskip(NEXT) | instid1(VALU_DEP_1)
	v_add_nc_u32_e32 v3, v2, v3
	v_lshrrev_b32_e32 v3, s17, v3
	s_delay_alu instid0(VALU_DEP_1) | instskip(NEXT) | instid1(VALU_DEP_1)
	v_mul_lo_u32 v3, v3, s11
	v_sub_nc_u32_e32 v7, v2, v3
	s_delay_alu instid0(VALU_DEP_1) | instskip(NEXT) | instid1(VALU_DEP_1)
	v_mad_u64_u32 v[2:3], null, v7, s14, v[0:1]
	v_mad_u64_u32 v[5:6], null, v7, s15, v[1:2]
	s_delay_alu instid0(VALU_DEP_1)
	v_dual_mov_b32 v0, v2 :: v_dual_mov_b32 v1, v5
.LBB375_102:
	s_waitcnt lgkmcnt(0)
	global_load_b64 v[1:2], v1, s[6:7]
	v_add_nc_u32_e32 v4, 0x80, v4
	s_waitcnt vmcnt(0)
	v_cmp_lt_i64_e32 vcc_lo, s[2:3], v[1:2]
	v_cndmask_b32_e32 v2, s3, v2, vcc_lo
	v_cndmask_b32_e32 v1, s2, v1, vcc_lo
	global_store_b64 v0, v[1:2], s[4:5]
	s_or_b32 exec_lo, exec_lo, s33
	s_delay_alu instid0(SALU_CYCLE_1)
	s_mov_b32 s22, exec_lo
	v_cmpx_gt_i32_e64 s29, v4
	s_cbranch_execz .LBB375_93
.LBB375_103:
	s_and_not1_b32 vcc_lo, exec_lo, s26
	s_cbranch_vccnz .LBB375_108
; %bb.104:
	v_dual_mov_b32 v0, 0 :: v_dual_mov_b32 v1, 0
	s_and_not1_b32 vcc_lo, exec_lo, s31
	s_mov_b32 s23, 0
	s_cbranch_vccnz .LBB375_113
; %bb.105:
	v_mov_b32_e32 v0, 0
	s_add_i32 s30, s30, 1
	s_cmp_eq_u32 s25, 2
	s_mov_b32 s29, 0
	s_cbranch_scc1 .LBB375_109
; %bb.106:
	v_dual_mov_b32 v1, 0 :: v_dual_mov_b32 v0, 0
	v_mov_b32_e32 v2, v4
	s_and_b32 s29, s30, 28
	s_mov_b32 s31, 0
	s_mov_b64 s[20:21], s[0:1]
.LBB375_107:                            ; =>This Inner Loop Header: Depth=1
	s_clause 0x1
	s_load_b256 s[36:43], s[20:21], 0x4
	s_load_b128 s[52:55], s[20:21], 0x24
	s_load_b256 s[44:51], s[18:19], 0x0
	s_add_u32 s20, s20, 48
	s_addc_u32 s21, s21, 0
	s_add_i32 s31, s31, 4
	s_add_u32 s18, s18, 32
	s_addc_u32 s19, s19, 0
	s_cmp_eq_u32 s29, s31
	s_waitcnt lgkmcnt(0)
	v_mul_hi_u32 v3, s37, v2
	s_delay_alu instid0(VALU_DEP_1) | instskip(NEXT) | instid1(VALU_DEP_1)
	v_add_nc_u32_e32 v3, v2, v3
	v_lshrrev_b32_e32 v3, s38, v3
	s_delay_alu instid0(VALU_DEP_1) | instskip(SKIP_1) | instid1(VALU_DEP_2)
	v_mul_hi_u32 v5, s40, v3
	v_mul_lo_u32 v7, v3, s36
	v_add_nc_u32_e32 v5, v3, v5
	s_delay_alu instid0(VALU_DEP_2) | instskip(NEXT) | instid1(VALU_DEP_2)
	v_sub_nc_u32_e32 v2, v2, v7
	v_lshrrev_b32_e32 v5, s41, v5
	s_delay_alu instid0(VALU_DEP_2) | instskip(SKIP_1) | instid1(VALU_DEP_3)
	v_mul_lo_u32 v7, v2, s44
	v_mul_lo_u32 v9, v2, s45
	v_mul_hi_u32 v6, s43, v5
	s_delay_alu instid0(VALU_DEP_1) | instskip(NEXT) | instid1(VALU_DEP_1)
	v_add_nc_u32_e32 v6, v5, v6
	v_lshrrev_b32_e32 v6, s52, v6
	s_delay_alu instid0(VALU_DEP_1) | instskip(SKIP_1) | instid1(VALU_DEP_2)
	v_mul_hi_u32 v8, s54, v6
	v_mul_lo_u32 v10, v6, s42
	v_add_nc_u32_e32 v2, v6, v8
	v_mul_lo_u32 v8, v5, s39
	s_delay_alu instid0(VALU_DEP_3) | instskip(NEXT) | instid1(VALU_DEP_3)
	v_sub_nc_u32_e32 v5, v5, v10
	v_lshrrev_b32_e32 v2, s55, v2
	s_delay_alu instid0(VALU_DEP_2) | instskip(SKIP_2) | instid1(VALU_DEP_4)
	v_mul_lo_u32 v10, v5, s48
	v_mul_lo_u32 v5, v5, s49
	v_sub_nc_u32_e32 v3, v3, v8
	v_mul_lo_u32 v11, v2, s53
	s_delay_alu instid0(VALU_DEP_2) | instskip(SKIP_1) | instid1(VALU_DEP_3)
	v_mul_lo_u32 v8, v3, s46
	v_mul_lo_u32 v3, v3, s47
	v_sub_nc_u32_e32 v6, v6, v11
	s_delay_alu instid0(VALU_DEP_3) | instskip(NEXT) | instid1(VALU_DEP_2)
	v_add3_u32 v0, v7, v0, v8
	v_mul_lo_u32 v11, v6, s50
	v_mul_lo_u32 v6, v6, s51
	v_add3_u32 v1, v9, v1, v3
	s_delay_alu instid0(VALU_DEP_3) | instskip(NEXT) | instid1(VALU_DEP_2)
	v_add3_u32 v0, v10, v0, v11
	v_add3_u32 v1, v5, v1, v6
	s_cbranch_scc0 .LBB375_107
	s_branch .LBB375_110
.LBB375_108:
	s_mov_b32 s23, -1
                                        ; implicit-def: $vgpr0
                                        ; implicit-def: $vgpr1
	s_branch .LBB375_113
.LBB375_109:
	v_dual_mov_b32 v2, v4 :: v_dual_mov_b32 v1, 0
.LBB375_110:
	s_and_b32 s30, s30, 3
	s_delay_alu instid0(SALU_CYCLE_1)
	s_cmp_eq_u32 s30, 0
	s_cbranch_scc1 .LBB375_113
; %bb.111:
	s_lshl_b32 s18, s29, 3
	s_mul_i32 s20, s29, 12
	s_add_u32 s18, s18, s0
	s_addc_u32 s19, s1, 0
	s_add_u32 s18, s18, 0xc4
	s_addc_u32 s19, s19, 0
	;; [unrolled: 2-line block ×3, first 2 shown]
	.p2align	6
.LBB375_112:                            ; =>This Inner Loop Header: Depth=1
	s_clause 0x1
	s_load_b64 s[34:35], s[20:21], 0x4
	s_load_b32 s29, s[20:21], 0xc
	s_load_b64 s[36:37], s[18:19], 0x0
	s_add_u32 s20, s20, 12
	s_addc_u32 s21, s21, 0
	s_add_u32 s18, s18, 8
	s_addc_u32 s19, s19, 0
	s_add_i32 s30, s30, -1
	s_delay_alu instid0(SALU_CYCLE_1) | instskip(SKIP_2) | instid1(VALU_DEP_1)
	s_cmp_lg_u32 s30, 0
	s_waitcnt lgkmcnt(0)
	v_mul_hi_u32 v3, s35, v2
	v_add_nc_u32_e32 v3, v2, v3
	s_delay_alu instid0(VALU_DEP_1) | instskip(NEXT) | instid1(VALU_DEP_1)
	v_lshrrev_b32_e32 v3, s29, v3
	v_mul_lo_u32 v5, v3, s34
	s_delay_alu instid0(VALU_DEP_1) | instskip(NEXT) | instid1(VALU_DEP_1)
	v_sub_nc_u32_e32 v2, v2, v5
	v_mad_u64_u32 v[5:6], null, v2, s36, v[0:1]
	v_mad_u64_u32 v[6:7], null, v2, s37, v[1:2]
	v_mov_b32_e32 v2, v3
	s_delay_alu instid0(VALU_DEP_2)
	v_dual_mov_b32 v0, v5 :: v_dual_mov_b32 v1, v6
	s_cbranch_scc1 .LBB375_112
.LBB375_113:
	s_and_not1_b32 vcc_lo, exec_lo, s23
	s_cbranch_vccnz .LBB375_116
; %bb.114:
	s_waitcnt lgkmcnt(0)
	v_mul_hi_u32 v0, s9, v4
	s_and_not1_b32 vcc_lo, exec_lo, s28
	s_delay_alu instid0(VALU_DEP_1) | instskip(NEXT) | instid1(VALU_DEP_1)
	v_add_nc_u32_e32 v0, v4, v0
	v_lshrrev_b32_e32 v2, s10, v0
	s_delay_alu instid0(VALU_DEP_1) | instskip(NEXT) | instid1(VALU_DEP_1)
	v_mul_lo_u32 v0, v2, s8
	v_sub_nc_u32_e32 v1, v4, v0
	s_delay_alu instid0(VALU_DEP_1)
	v_mul_lo_u32 v0, v1, s12
	v_mul_lo_u32 v1, v1, s13
	s_cbranch_vccnz .LBB375_116
; %bb.115:
	v_mul_hi_u32 v3, s16, v2
	s_delay_alu instid0(VALU_DEP_1) | instskip(NEXT) | instid1(VALU_DEP_1)
	v_add_nc_u32_e32 v3, v2, v3
	v_lshrrev_b32_e32 v3, s17, v3
	s_delay_alu instid0(VALU_DEP_1) | instskip(NEXT) | instid1(VALU_DEP_1)
	v_mul_lo_u32 v3, v3, s11
	v_sub_nc_u32_e32 v5, v2, v3
	s_delay_alu instid0(VALU_DEP_1) | instskip(NEXT) | instid1(VALU_DEP_1)
	v_mad_u64_u32 v[2:3], null, v5, s14, v[0:1]
	v_mad_u64_u32 v[3:4], null, v5, s15, v[1:2]
	s_delay_alu instid0(VALU_DEP_1)
	v_dual_mov_b32 v0, v2 :: v_dual_mov_b32 v1, v3
.LBB375_116:
	s_waitcnt lgkmcnt(0)
	global_load_b64 v[1:2], v1, s[6:7]
	s_waitcnt vmcnt(0)
	v_cmp_lt_i64_e32 vcc_lo, s[2:3], v[1:2]
	v_cndmask_b32_e32 v2, s3, v2, vcc_lo
	v_cndmask_b32_e32 v1, s2, v1, vcc_lo
	global_store_b64 v0, v[1:2], s[4:5]
	s_or_b32 exec_lo, exec_lo, s22
                                        ; implicit-def: $vgpr8
                                        ; implicit-def: $vgpr4
	s_and_not1_saveexec_b32 s2, s27
	s_cbranch_execz .LBB375_94
	s_branch .LBB375_8
	.section	.rodata,"a",@progbits
	.p2align	6, 0x0
	.amdhsa_kernel _ZN2at6native32elementwise_kernel_manual_unrollILi128ELi4EZNS0_22gpu_kernel_impl_nocastIZZZNS0_21clamp_min_kernel_cudaERNS_18TensorIteratorBaseERKN3c106ScalarEENKUlvE_clEvENKUlvE2_clEvEUllE_EEvS4_RKT_EUlibE_EEviT1_
		.amdhsa_group_segment_fixed_size 0
		.amdhsa_private_segment_fixed_size 0
		.amdhsa_kernarg_size 360
		.amdhsa_user_sgpr_count 15
		.amdhsa_user_sgpr_dispatch_ptr 0
		.amdhsa_user_sgpr_queue_ptr 0
		.amdhsa_user_sgpr_kernarg_segment_ptr 1
		.amdhsa_user_sgpr_dispatch_id 0
		.amdhsa_user_sgpr_private_segment_size 0
		.amdhsa_wavefront_size32 1
		.amdhsa_uses_dynamic_stack 0
		.amdhsa_enable_private_segment 0
		.amdhsa_system_sgpr_workgroup_id_x 1
		.amdhsa_system_sgpr_workgroup_id_y 0
		.amdhsa_system_sgpr_workgroup_id_z 0
		.amdhsa_system_sgpr_workgroup_info 0
		.amdhsa_system_vgpr_workitem_id 0
		.amdhsa_next_free_vgpr 18
		.amdhsa_next_free_sgpr 60
		.amdhsa_reserve_vcc 1
		.amdhsa_float_round_mode_32 0
		.amdhsa_float_round_mode_16_64 0
		.amdhsa_float_denorm_mode_32 3
		.amdhsa_float_denorm_mode_16_64 3
		.amdhsa_dx10_clamp 1
		.amdhsa_ieee_mode 1
		.amdhsa_fp16_overflow 0
		.amdhsa_workgroup_processor_mode 1
		.amdhsa_memory_ordered 1
		.amdhsa_forward_progress 0
		.amdhsa_shared_vgpr_count 0
		.amdhsa_exception_fp_ieee_invalid_op 0
		.amdhsa_exception_fp_denorm_src 0
		.amdhsa_exception_fp_ieee_div_zero 0
		.amdhsa_exception_fp_ieee_overflow 0
		.amdhsa_exception_fp_ieee_underflow 0
		.amdhsa_exception_fp_ieee_inexact 0
		.amdhsa_exception_int_div_zero 0
	.end_amdhsa_kernel
	.section	.text._ZN2at6native32elementwise_kernel_manual_unrollILi128ELi4EZNS0_22gpu_kernel_impl_nocastIZZZNS0_21clamp_min_kernel_cudaERNS_18TensorIteratorBaseERKN3c106ScalarEENKUlvE_clEvENKUlvE2_clEvEUllE_EEvS4_RKT_EUlibE_EEviT1_,"axG",@progbits,_ZN2at6native32elementwise_kernel_manual_unrollILi128ELi4EZNS0_22gpu_kernel_impl_nocastIZZZNS0_21clamp_min_kernel_cudaERNS_18TensorIteratorBaseERKN3c106ScalarEENKUlvE_clEvENKUlvE2_clEvEUllE_EEvS4_RKT_EUlibE_EEviT1_,comdat
.Lfunc_end375:
	.size	_ZN2at6native32elementwise_kernel_manual_unrollILi128ELi4EZNS0_22gpu_kernel_impl_nocastIZZZNS0_21clamp_min_kernel_cudaERNS_18TensorIteratorBaseERKN3c106ScalarEENKUlvE_clEvENKUlvE2_clEvEUllE_EEvS4_RKT_EUlibE_EEviT1_, .Lfunc_end375-_ZN2at6native32elementwise_kernel_manual_unrollILi128ELi4EZNS0_22gpu_kernel_impl_nocastIZZZNS0_21clamp_min_kernel_cudaERNS_18TensorIteratorBaseERKN3c106ScalarEENKUlvE_clEvENKUlvE2_clEvEUllE_EEvS4_RKT_EUlibE_EEviT1_
                                        ; -- End function
	.section	.AMDGPU.csdata,"",@progbits
; Kernel info:
; codeLenInByte = 6932
; NumSgprs: 62
; NumVgprs: 18
; ScratchSize: 0
; MemoryBound: 0
; FloatMode: 240
; IeeeMode: 1
; LDSByteSize: 0 bytes/workgroup (compile time only)
; SGPRBlocks: 7
; VGPRBlocks: 2
; NumSGPRsForWavesPerEU: 62
; NumVGPRsForWavesPerEU: 18
; Occupancy: 16
; WaveLimiterHint : 1
; COMPUTE_PGM_RSRC2:SCRATCH_EN: 0
; COMPUTE_PGM_RSRC2:USER_SGPR: 15
; COMPUTE_PGM_RSRC2:TRAP_HANDLER: 0
; COMPUTE_PGM_RSRC2:TGID_X_EN: 1
; COMPUTE_PGM_RSRC2:TGID_Y_EN: 0
; COMPUTE_PGM_RSRC2:TGID_Z_EN: 0
; COMPUTE_PGM_RSRC2:TIDIG_COMP_CNT: 0
	.section	.text._ZN2at6native32elementwise_kernel_manual_unrollILi128ELi4EZNS0_15gpu_kernel_implIZZZNS0_21clamp_min_kernel_cudaERNS_18TensorIteratorBaseERKN3c106ScalarEENKUlvE_clEvENKUlvE2_clEvEUllE_EEvS4_RKT_EUlibE_EEviT1_,"axG",@progbits,_ZN2at6native32elementwise_kernel_manual_unrollILi128ELi4EZNS0_15gpu_kernel_implIZZZNS0_21clamp_min_kernel_cudaERNS_18TensorIteratorBaseERKN3c106ScalarEENKUlvE_clEvENKUlvE2_clEvEUllE_EEvS4_RKT_EUlibE_EEviT1_,comdat
	.globl	_ZN2at6native32elementwise_kernel_manual_unrollILi128ELi4EZNS0_15gpu_kernel_implIZZZNS0_21clamp_min_kernel_cudaERNS_18TensorIteratorBaseERKN3c106ScalarEENKUlvE_clEvENKUlvE2_clEvEUllE_EEvS4_RKT_EUlibE_EEviT1_ ; -- Begin function _ZN2at6native32elementwise_kernel_manual_unrollILi128ELi4EZNS0_15gpu_kernel_implIZZZNS0_21clamp_min_kernel_cudaERNS_18TensorIteratorBaseERKN3c106ScalarEENKUlvE_clEvENKUlvE2_clEvEUllE_EEvS4_RKT_EUlibE_EEviT1_
	.p2align	8
	.type	_ZN2at6native32elementwise_kernel_manual_unrollILi128ELi4EZNS0_15gpu_kernel_implIZZZNS0_21clamp_min_kernel_cudaERNS_18TensorIteratorBaseERKN3c106ScalarEENKUlvE_clEvENKUlvE2_clEvEUllE_EEvS4_RKT_EUlibE_EEviT1_,@function
_ZN2at6native32elementwise_kernel_manual_unrollILi128ELi4EZNS0_15gpu_kernel_implIZZZNS0_21clamp_min_kernel_cudaERNS_18TensorIteratorBaseERKN3c106ScalarEENKUlvE_clEvENKUlvE2_clEvEUllE_EEvS4_RKT_EUlibE_EEviT1_: ; @_ZN2at6native32elementwise_kernel_manual_unrollILi128ELi4EZNS0_15gpu_kernel_implIZZZNS0_21clamp_min_kernel_cudaERNS_18TensorIteratorBaseERKN3c106ScalarEENKUlvE_clEvENKUlvE2_clEvEUllE_EEvS4_RKT_EUlibE_EEviT1_
; %bb.0:
	s_clause 0x2
	s_load_b32 s2, s[0:1], 0x28
	s_load_b32 s14, s[0:1], 0x0
	s_load_b256 s[4:11], s[0:1], 0x8
	v_lshl_or_b32 v10, s15, 9, v0
	s_mov_b32 s3, 0
	s_mov_b32 s13, 0
	s_mov_b32 s0, exec_lo
	s_delay_alu instid0(VALU_DEP_1) | instskip(SKIP_2) | instid1(VALU_DEP_2)
	v_or_b32_e32 v0, 0x180, v10
	s_waitcnt lgkmcnt(0)
	v_lshrrev_b16 v11, 8, s2
	v_cmpx_le_i32_e64 s14, v0
	s_xor_b32 s12, exec_lo, s0
	s_cbranch_execz .LBB376_1016
; %bb.1:
	s_mov_b32 s1, -1
	s_mov_b32 s17, 0
	s_mov_b32 s15, 0
	s_mov_b32 s16, exec_lo
	v_cmpx_gt_i32_e64 s14, v10
	s_cbranch_execz .LBB376_247
; %bb.2:
	v_mul_lo_u32 v0, v10, s9
	v_cmp_gt_i16_e32 vcc_lo, 11, v11
	s_delay_alu instid0(VALU_DEP_2) | instskip(SKIP_1) | instid1(VALU_DEP_1)
	v_ashrrev_i32_e32 v1, 31, v0
	v_add_co_u32 v0, s0, s6, v0
	v_add_co_ci_u32_e64 v1, s0, s7, v1, s0
	s_cbranch_vccnz .LBB376_9
; %bb.3:
	v_cmp_lt_i16_e32 vcc_lo, 25, v11
	s_cbranch_vccz .LBB376_18
; %bb.4:
	v_cmp_lt_i16_e32 vcc_lo, 28, v11
	s_cbranch_vccz .LBB376_21
	;; [unrolled: 3-line block ×4, first 2 shown]
; %bb.7:
	v_cmp_eq_u16_e32 vcc_lo, 46, v11
	s_mov_b32 s1, 0
	s_cbranch_vccz .LBB376_26
; %bb.8:
	global_load_b32 v2, v[0:1], off
	s_mov_b32 s0, -1
	s_waitcnt vmcnt(0)
	v_lshlrev_b32_e32 v2, 16, v2
	s_delay_alu instid0(VALU_DEP_1) | instskip(NEXT) | instid1(VALU_DEP_1)
	v_trunc_f32_e32 v2, v2
	v_mul_f32_e64 v3, 0x2f800000, |v2|
	v_ashrrev_i32_e32 v5, 31, v2
	s_delay_alu instid0(VALU_DEP_2) | instskip(NEXT) | instid1(VALU_DEP_1)
	v_floor_f32_e32 v3, v3
	v_fma_f32 v4, 0xcf800000, v3, |v2|
	v_cvt_u32_f32_e32 v3, v3
	s_delay_alu instid0(VALU_DEP_2) | instskip(NEXT) | instid1(VALU_DEP_2)
	v_cvt_u32_f32_e32 v2, v4
	v_xor_b32_e32 v3, v3, v5
	s_delay_alu instid0(VALU_DEP_2) | instskip(NEXT) | instid1(VALU_DEP_1)
	v_xor_b32_e32 v2, v2, v5
	v_sub_co_u32 v2, vcc_lo, v2, v5
	s_delay_alu instid0(VALU_DEP_3)
	v_sub_co_ci_u32_e32 v3, vcc_lo, v3, v5, vcc_lo
	s_branch .LBB376_28
.LBB376_9:
	s_mov_b32 s0, 0
                                        ; implicit-def: $vgpr2_vgpr3
	s_and_b32 vcc_lo, exec_lo, s1
	s_cbranch_vccnz .LBB376_197
.LBB376_10:
	s_and_not1_b32 vcc_lo, exec_lo, s0
	s_cbranch_vccnz .LBB376_244
.LBB376_11:
	v_mul_lo_u32 v5, v10, s8
	s_waitcnt vmcnt(0)
	s_delay_alu instid0(VALU_DEP_2) | instskip(SKIP_1) | instid1(VALU_DEP_1)
	v_cmp_lt_i64_e32 vcc_lo, s[10:11], v[2:3]
	v_and_b32_e64 v4, 0xff, s2
	v_cmp_gt_i16_e64 s0, 11, v4
	v_cndmask_b32_e32 v1, s11, v3, vcc_lo
	v_ashrrev_i32_e32 v3, 31, v5
	v_cndmask_b32_e32 v0, s10, v2, vcc_lo
	v_add_co_u32 v2, vcc_lo, s4, v5
	s_delay_alu instid0(VALU_DEP_3)
	v_add_co_ci_u32_e32 v3, vcc_lo, s5, v3, vcc_lo
	s_and_b32 vcc_lo, exec_lo, s0
	s_cbranch_vccnz .LBB376_19
; %bb.12:
	v_cmp_lt_i16_e32 vcc_lo, 25, v4
	s_cbranch_vccz .LBB376_22
; %bb.13:
	v_cmp_lt_i16_e32 vcc_lo, 28, v4
	s_cbranch_vccz .LBB376_24
; %bb.14:
	v_cmp_lt_i16_e32 vcc_lo, 43, v4
	s_cbranch_vccz .LBB376_25
; %bb.15:
	v_cmp_lt_i16_e32 vcc_lo, 45, v4
	s_cbranch_vccz .LBB376_31
; %bb.16:
	v_cmp_eq_u16_e32 vcc_lo, 46, v4
	s_mov_b32 s13, 0
	s_mov_b32 s0, -1
	s_mov_b32 s1, 0
	s_cbranch_vccz .LBB376_32
; %bb.17:
	v_xor_b32_e32 v5, v0, v1
	v_cls_i32_e32 v6, v1
	s_mov_b32 s1, -1
	s_mov_b32 s0, 0
	s_delay_alu instid0(VALU_DEP_2) | instskip(NEXT) | instid1(VALU_DEP_2)
	v_ashrrev_i32_e32 v5, 31, v5
	v_add_nc_u32_e32 v6, -1, v6
	s_delay_alu instid0(VALU_DEP_2) | instskip(NEXT) | instid1(VALU_DEP_1)
	v_add_nc_u32_e32 v5, 32, v5
	v_min_u32_e32 v7, v6, v5
	s_delay_alu instid0(VALU_DEP_1) | instskip(NEXT) | instid1(VALU_DEP_1)
	v_lshlrev_b64 v[5:6], v7, v[0:1]
	v_min_u32_e32 v5, 1, v5
	s_delay_alu instid0(VALU_DEP_1) | instskip(SKIP_1) | instid1(VALU_DEP_2)
	v_or_b32_e32 v5, v6, v5
	v_sub_nc_u32_e32 v6, 32, v7
	v_cvt_f32_i32_e32 v5, v5
	s_delay_alu instid0(VALU_DEP_1) | instskip(NEXT) | instid1(VALU_DEP_1)
	v_ldexp_f32 v5, v5, v6
	v_bfe_u32 v6, v5, 16, 1
	s_delay_alu instid0(VALU_DEP_1) | instskip(NEXT) | instid1(VALU_DEP_1)
	v_add3_u32 v5, v5, v6, 0x7fff
	v_lshrrev_b32_e32 v5, 16, v5
	global_store_b32 v[2:3], v5, off
	s_branch .LBB376_32
.LBB376_18:
	s_mov_b32 s0, 0
                                        ; implicit-def: $vgpr2_vgpr3
	s_and_b32 vcc_lo, exec_lo, s1
	s_cbranch_vccnz .LBB376_166
	s_branch .LBB376_196
.LBB376_19:
	s_mov_b32 s0, 0
	s_mov_b32 s1, 0
	s_cbranch_execnz .LBB376_101
.LBB376_20:
	s_and_not1_b32 vcc_lo, exec_lo, s1
	s_cbranch_vccnz .LBB376_245
	s_branch .LBB376_139
.LBB376_21:
	s_mov_b32 s0, 0
                                        ; implicit-def: $vgpr2_vgpr3
	s_branch .LBB376_147
.LBB376_22:
	s_mov_b32 s13, -1
	s_mov_b32 s0, 0
	s_mov_b32 s1, 0
	s_branch .LBB376_59
.LBB376_23:
	s_mov_b32 s0, 0
                                        ; implicit-def: $vgpr2_vgpr3
	s_branch .LBB376_142
.LBB376_24:
	s_mov_b32 s13, -1
	s_mov_b32 s0, 0
	s_mov_b32 s1, 0
	s_branch .LBB376_42
.LBB376_25:
	s_mov_b32 s13, -1
	s_mov_b32 s0, 0
	s_mov_b32 s1, 0
	s_branch .LBB376_38
.LBB376_26:
	s_mov_b32 s15, -1
.LBB376_27:
	s_mov_b32 s0, 0
                                        ; implicit-def: $vgpr2_vgpr3
.LBB376_28:
	s_and_b32 vcc_lo, exec_lo, s1
	s_cbranch_vccz .LBB376_141
; %bb.29:
	v_cmp_eq_u16_e32 vcc_lo, 44, v11
	s_cbranch_vccz .LBB376_140
; %bb.30:
	global_load_u8 v2, v[0:1], off
	s_mov_b32 s15, 0
	s_mov_b32 s0, -1
	s_waitcnt vmcnt(0)
	v_lshlrev_b32_e32 v3, 23, v2
	s_delay_alu instid0(VALU_DEP_1) | instskip(NEXT) | instid1(VALU_DEP_1)
	v_trunc_f32_e32 v3, v3
	v_mul_f32_e64 v4, 0x2f800000, |v3|
	s_delay_alu instid0(VALU_DEP_1) | instskip(NEXT) | instid1(VALU_DEP_1)
	v_floor_f32_e32 v4, v4
	v_fma_f32 v5, 0xcf800000, v4, |v3|
	v_ashrrev_i32_e32 v3, 31, v3
	v_cvt_u32_f32_e32 v4, v4
	s_delay_alu instid0(VALU_DEP_3) | instskip(NEXT) | instid1(VALU_DEP_2)
	v_cvt_u32_f32_e32 v5, v5
	v_xor_b32_e32 v4, v4, v3
	s_delay_alu instid0(VALU_DEP_2) | instskip(NEXT) | instid1(VALU_DEP_1)
	v_xor_b32_e32 v5, v5, v3
	v_sub_co_u32 v5, vcc_lo, v5, v3
	s_delay_alu instid0(VALU_DEP_3) | instskip(SKIP_1) | instid1(VALU_DEP_2)
	v_sub_co_ci_u32_e32 v3, vcc_lo, v4, v3, vcc_lo
	v_cmp_ne_u32_e32 vcc_lo, 0, v2
	v_dual_cndmask_b32 v2, 0, v5 :: v_dual_cndmask_b32 v3, 0, v3
	s_branch .LBB376_141
.LBB376_31:
	s_mov_b32 s13, -1
	s_mov_b32 s0, 0
	s_mov_b32 s1, 0
.LBB376_32:
	s_and_b32 vcc_lo, exec_lo, s13
	s_cbranch_vccz .LBB376_37
; %bb.33:
	v_cmp_eq_u16_e32 vcc_lo, 44, v4
	s_mov_b32 s0, -1
	s_cbranch_vccz .LBB376_37
; %bb.34:
	v_xor_b32_e32 v5, v0, v1
	v_cls_i32_e32 v6, v1
	s_mov_b32 s1, -1
	s_mov_b32 s13, exec_lo
	s_delay_alu instid0(VALU_DEP_2) | instskip(NEXT) | instid1(VALU_DEP_2)
	v_ashrrev_i32_e32 v5, 31, v5
	v_add_nc_u32_e32 v6, -1, v6
	s_delay_alu instid0(VALU_DEP_2) | instskip(NEXT) | instid1(VALU_DEP_1)
	v_add_nc_u32_e32 v5, 32, v5
	v_min_u32_e32 v7, v6, v5
	s_delay_alu instid0(VALU_DEP_1) | instskip(NEXT) | instid1(VALU_DEP_1)
	v_lshlrev_b64 v[5:6], v7, v[0:1]
	v_min_u32_e32 v5, 1, v5
	s_delay_alu instid0(VALU_DEP_1) | instskip(SKIP_1) | instid1(VALU_DEP_2)
	v_or_b32_e32 v5, v6, v5
	v_sub_nc_u32_e32 v6, 32, v7
	v_cvt_f32_i32_e32 v5, v5
	s_delay_alu instid0(VALU_DEP_1) | instskip(SKIP_1) | instid1(VALU_DEP_2)
	v_ldexp_f32 v5, v5, v6
	v_mov_b32_e32 v6, 0xff
	v_bfe_u32 v7, v5, 23, 8
	s_delay_alu instid0(VALU_DEP_1)
	v_cmpx_ne_u32_e32 0xff, v7
; %bb.35:
	v_and_b32_e32 v6, 0x400000, v5
	v_and_or_b32 v7, 0x3fffff, v5, v7
	v_lshrrev_b32_e32 v5, 23, v5
	s_delay_alu instid0(VALU_DEP_3) | instskip(NEXT) | instid1(VALU_DEP_3)
	v_cmp_ne_u32_e32 vcc_lo, 0, v6
	v_cmp_ne_u32_e64 s0, 0, v7
	s_delay_alu instid0(VALU_DEP_1) | instskip(NEXT) | instid1(SALU_CYCLE_1)
	s_and_b32 s0, vcc_lo, s0
	v_cndmask_b32_e64 v6, 0, 1, s0
	s_delay_alu instid0(VALU_DEP_1)
	v_add_nc_u32_e32 v6, v5, v6
; %bb.36:
	s_or_b32 exec_lo, exec_lo, s13
	s_mov_b32 s0, 0
	global_store_b8 v[2:3], v6, off
.LBB376_37:
	s_mov_b32 s13, 0
.LBB376_38:
	s_delay_alu instid0(SALU_CYCLE_1)
	s_and_b32 vcc_lo, exec_lo, s13
	s_cbranch_vccz .LBB376_41
; %bb.39:
	v_cmp_eq_u16_e32 vcc_lo, 29, v4
	s_mov_b32 s0, -1
	s_cbranch_vccz .LBB376_41
; %bb.40:
	s_mov_b32 s1, -1
	s_mov_b32 s0, 0
	global_store_b64 v[2:3], v[0:1], off
.LBB376_41:
	s_mov_b32 s13, 0
.LBB376_42:
	s_delay_alu instid0(SALU_CYCLE_1)
	s_and_b32 vcc_lo, exec_lo, s13
	s_cbranch_vccz .LBB376_58
; %bb.43:
	v_cmp_gt_i16_e32 vcc_lo, 27, v4
	s_mov_b32 s1, -1
	s_cbranch_vccnz .LBB376_49
; %bb.44:
	v_cmp_lt_i16_e32 vcc_lo, 27, v4
	s_cbranch_vccz .LBB376_46
; %bb.45:
	s_mov_b32 s1, 0
	global_store_b32 v[2:3], v0, off
.LBB376_46:
	s_and_not1_b32 vcc_lo, exec_lo, s1
	s_cbranch_vccnz .LBB376_48
; %bb.47:
	global_store_b16 v[2:3], v0, off
.LBB376_48:
	s_mov_b32 s1, 0
.LBB376_49:
	s_delay_alu instid0(SALU_CYCLE_1)
	s_and_not1_b32 vcc_lo, exec_lo, s1
	s_cbranch_vccnz .LBB376_57
; %bb.50:
	v_xor_b32_e32 v5, v0, v1
	v_cls_i32_e32 v6, v1
	s_mov_b32 s1, exec_lo
	s_delay_alu instid0(VALU_DEP_2) | instskip(NEXT) | instid1(VALU_DEP_2)
	v_ashrrev_i32_e32 v5, 31, v5
	v_add_nc_u32_e32 v6, -1, v6
	s_delay_alu instid0(VALU_DEP_2) | instskip(NEXT) | instid1(VALU_DEP_1)
	v_add_nc_u32_e32 v5, 32, v5
	v_min_u32_e32 v7, v6, v5
	s_delay_alu instid0(VALU_DEP_1) | instskip(NEXT) | instid1(VALU_DEP_1)
	v_lshlrev_b64 v[5:6], v7, v[0:1]
	v_min_u32_e32 v5, 1, v5
	s_delay_alu instid0(VALU_DEP_1) | instskip(SKIP_2) | instid1(VALU_DEP_3)
	v_or_b32_e32 v5, v6, v5
	v_sub_nc_u32_e32 v6, 32, v7
	v_mov_b32_e32 v7, 0x80
	v_cvt_f32_i32_e32 v5, v5
	s_delay_alu instid0(VALU_DEP_1) | instskip(NEXT) | instid1(VALU_DEP_1)
	v_ldexp_f32 v5, v5, v6
	v_and_b32_e32 v6, 0x7fffffff, v5
	s_delay_alu instid0(VALU_DEP_1)
	v_cmpx_gt_u32_e32 0x43800000, v6
	s_cbranch_execz .LBB376_56
; %bb.51:
	v_cmp_lt_u32_e32 vcc_lo, 0x3bffffff, v6
	s_mov_b32 s13, 0
                                        ; implicit-def: $vgpr6
	s_and_saveexec_b32 s18, vcc_lo
	s_delay_alu instid0(SALU_CYCLE_1)
	s_xor_b32 s18, exec_lo, s18
	s_cbranch_execz .LBB376_271
; %bb.52:
	v_bfe_u32 v6, v5, 20, 1
	s_mov_b32 s13, exec_lo
	s_delay_alu instid0(VALU_DEP_1) | instskip(NEXT) | instid1(VALU_DEP_1)
	v_add3_u32 v6, v5, v6, 0x487ffff
	v_lshrrev_b32_e32 v6, 20, v6
	s_or_saveexec_b32 s18, s18
                                        ; implicit-def: $sgpr19
	s_delay_alu instid0(SALU_CYCLE_1)
	s_xor_b32 exec_lo, exec_lo, s18
	s_cbranch_execnz .LBB376_272
.LBB376_53:
	s_or_b32 exec_lo, exec_lo, s18
	v_mov_b32_e32 v7, s19
	s_and_saveexec_b32 s18, s13
.LBB376_54:
	v_lshrrev_b32_e32 v5, 24, v5
	s_delay_alu instid0(VALU_DEP_1)
	v_and_or_b32 v7, 0x80, v5, v6
.LBB376_55:
	s_or_b32 exec_lo, exec_lo, s18
.LBB376_56:
	s_delay_alu instid0(SALU_CYCLE_1)
	s_or_b32 exec_lo, exec_lo, s1
	global_store_b8 v[2:3], v7, off
.LBB376_57:
	s_mov_b32 s1, -1
.LBB376_58:
	s_mov_b32 s13, 0
.LBB376_59:
	s_delay_alu instid0(SALU_CYCLE_1)
	s_and_b32 vcc_lo, exec_lo, s13
	s_cbranch_vccz .LBB376_100
; %bb.60:
	v_cmp_lt_i16_e32 vcc_lo, 22, v4
	s_mov_b32 s13, -1
	s_cbranch_vccz .LBB376_92
; %bb.61:
	v_cmp_gt_i16_e32 vcc_lo, 24, v4
	s_mov_b32 s1, -1
	s_cbranch_vccnz .LBB376_81
; %bb.62:
	v_cmp_lt_i16_e32 vcc_lo, 24, v4
	s_cbranch_vccz .LBB376_70
; %bb.63:
	v_xor_b32_e32 v5, v0, v1
	v_cls_i32_e32 v6, v1
	s_mov_b32 s1, exec_lo
	s_delay_alu instid0(VALU_DEP_2) | instskip(NEXT) | instid1(VALU_DEP_2)
	v_ashrrev_i32_e32 v5, 31, v5
	v_add_nc_u32_e32 v6, -1, v6
	s_delay_alu instid0(VALU_DEP_2) | instskip(NEXT) | instid1(VALU_DEP_1)
	v_add_nc_u32_e32 v5, 32, v5
	v_min_u32_e32 v7, v6, v5
	s_delay_alu instid0(VALU_DEP_1) | instskip(NEXT) | instid1(VALU_DEP_1)
	v_lshlrev_b64 v[5:6], v7, v[0:1]
	v_min_u32_e32 v5, 1, v5
	s_delay_alu instid0(VALU_DEP_1) | instskip(SKIP_2) | instid1(VALU_DEP_3)
	v_or_b32_e32 v5, v6, v5
	v_sub_nc_u32_e32 v6, 32, v7
	v_mov_b32_e32 v7, 0x80
	v_cvt_f32_i32_e32 v5, v5
	s_delay_alu instid0(VALU_DEP_1) | instskip(NEXT) | instid1(VALU_DEP_1)
	v_ldexp_f32 v5, v5, v6
	v_and_b32_e32 v6, 0x7fffffff, v5
	s_delay_alu instid0(VALU_DEP_1)
	v_cmpx_gt_u32_e32 0x47800000, v6
	s_cbranch_execz .LBB376_69
; %bb.64:
	v_cmp_lt_u32_e32 vcc_lo, 0x37ffffff, v6
	s_mov_b32 s13, 0
                                        ; implicit-def: $vgpr6
	s_and_saveexec_b32 s18, vcc_lo
	s_delay_alu instid0(SALU_CYCLE_1)
	s_xor_b32 s18, exec_lo, s18
	s_cbranch_execz .LBB376_275
; %bb.65:
	v_bfe_u32 v6, v5, 21, 1
	s_mov_b32 s13, exec_lo
	s_delay_alu instid0(VALU_DEP_1) | instskip(NEXT) | instid1(VALU_DEP_1)
	v_add3_u32 v6, v5, v6, 0x88fffff
	v_lshrrev_b32_e32 v6, 21, v6
	s_or_saveexec_b32 s18, s18
                                        ; implicit-def: $sgpr19
	s_delay_alu instid0(SALU_CYCLE_1)
	s_xor_b32 exec_lo, exec_lo, s18
	s_cbranch_execnz .LBB376_276
.LBB376_66:
	s_or_b32 exec_lo, exec_lo, s18
	v_mov_b32_e32 v7, s19
	s_and_saveexec_b32 s18, s13
.LBB376_67:
	v_lshrrev_b32_e32 v5, 24, v5
	s_delay_alu instid0(VALU_DEP_1)
	v_and_or_b32 v7, 0x80, v5, v6
.LBB376_68:
	s_or_b32 exec_lo, exec_lo, s18
.LBB376_69:
	s_delay_alu instid0(SALU_CYCLE_1)
	s_or_b32 exec_lo, exec_lo, s1
	s_mov_b32 s1, 0
	global_store_b8 v[2:3], v7, off
.LBB376_70:
	s_and_b32 vcc_lo, exec_lo, s1
	s_cbranch_vccz .LBB376_80
; %bb.71:
	v_xor_b32_e32 v5, v0, v1
	v_cls_i32_e32 v6, v1
	s_mov_b32 s1, exec_lo
	s_delay_alu instid0(VALU_DEP_2) | instskip(NEXT) | instid1(VALU_DEP_2)
	v_ashrrev_i32_e32 v5, 31, v5
	v_add_nc_u32_e32 v6, -1, v6
	s_delay_alu instid0(VALU_DEP_2) | instskip(NEXT) | instid1(VALU_DEP_1)
	v_add_nc_u32_e32 v5, 32, v5
	v_min_u32_e32 v7, v6, v5
	s_delay_alu instid0(VALU_DEP_1) | instskip(NEXT) | instid1(VALU_DEP_1)
	v_lshlrev_b64 v[5:6], v7, v[0:1]
	v_min_u32_e32 v5, 1, v5
	s_delay_alu instid0(VALU_DEP_1) | instskip(SKIP_1) | instid1(VALU_DEP_2)
	v_or_b32_e32 v5, v6, v5
	v_sub_nc_u32_e32 v6, 32, v7
	v_cvt_f32_i32_e32 v5, v5
	s_delay_alu instid0(VALU_DEP_1) | instskip(NEXT) | instid1(VALU_DEP_1)
	v_ldexp_f32 v5, v5, v6
                                        ; implicit-def: $vgpr6
	v_and_b32_e32 v7, 0x7fffffff, v5
	s_delay_alu instid0(VALU_DEP_1)
	v_cmpx_gt_u32_e32 0x43f00000, v7
	s_xor_b32 s1, exec_lo, s1
	s_cbranch_execz .LBB376_77
; %bb.72:
	s_mov_b32 s13, exec_lo
                                        ; implicit-def: $vgpr6
	v_cmpx_lt_u32_e32 0x3c7fffff, v7
	s_xor_b32 s13, exec_lo, s13
; %bb.73:
	v_bfe_u32 v6, v5, 20, 1
	s_delay_alu instid0(VALU_DEP_1) | instskip(NEXT) | instid1(VALU_DEP_1)
	v_add3_u32 v6, v5, v6, 0x407ffff
	v_and_b32_e32 v7, 0xff00000, v6
	v_lshrrev_b32_e32 v6, 20, v6
	s_delay_alu instid0(VALU_DEP_2) | instskip(NEXT) | instid1(VALU_DEP_2)
	v_cmp_ne_u32_e32 vcc_lo, 0x7f00000, v7
	v_cndmask_b32_e32 v6, 0x7e, v6, vcc_lo
; %bb.74:
	s_and_not1_saveexec_b32 s13, s13
; %bb.75:
	v_add_f32_e64 v6, 0x46800000, |v5|
; %bb.76:
	s_or_b32 exec_lo, exec_lo, s13
                                        ; implicit-def: $vgpr7
.LBB376_77:
	s_and_not1_saveexec_b32 s1, s1
; %bb.78:
	v_mov_b32_e32 v6, 0x7f
	v_cmp_lt_u32_e32 vcc_lo, 0x7f800000, v7
	s_delay_alu instid0(VALU_DEP_2)
	v_cndmask_b32_e32 v6, 0x7e, v6, vcc_lo
; %bb.79:
	s_or_b32 exec_lo, exec_lo, s1
	v_lshrrev_b32_e32 v5, 24, v5
	s_delay_alu instid0(VALU_DEP_1)
	v_and_or_b32 v5, 0x80, v5, v6
	global_store_b8 v[2:3], v5, off
.LBB376_80:
	s_mov_b32 s1, 0
.LBB376_81:
	s_delay_alu instid0(SALU_CYCLE_1)
	s_and_not1_b32 vcc_lo, exec_lo, s1
	s_cbranch_vccnz .LBB376_91
; %bb.82:
	v_xor_b32_e32 v5, v0, v1
	v_cls_i32_e32 v6, v1
	s_mov_b32 s1, exec_lo
	s_delay_alu instid0(VALU_DEP_2) | instskip(NEXT) | instid1(VALU_DEP_2)
	v_ashrrev_i32_e32 v5, 31, v5
	v_add_nc_u32_e32 v6, -1, v6
	s_delay_alu instid0(VALU_DEP_2) | instskip(NEXT) | instid1(VALU_DEP_1)
	v_add_nc_u32_e32 v5, 32, v5
	v_min_u32_e32 v7, v6, v5
	s_delay_alu instid0(VALU_DEP_1) | instskip(NEXT) | instid1(VALU_DEP_1)
	v_lshlrev_b64 v[5:6], v7, v[0:1]
	v_min_u32_e32 v5, 1, v5
	s_delay_alu instid0(VALU_DEP_1) | instskip(SKIP_1) | instid1(VALU_DEP_2)
	v_or_b32_e32 v5, v6, v5
	v_sub_nc_u32_e32 v6, 32, v7
	v_cvt_f32_i32_e32 v5, v5
	s_delay_alu instid0(VALU_DEP_1) | instskip(NEXT) | instid1(VALU_DEP_1)
	v_ldexp_f32 v5, v5, v6
                                        ; implicit-def: $vgpr6
	v_and_b32_e32 v7, 0x7fffffff, v5
	s_delay_alu instid0(VALU_DEP_1)
	v_cmpx_gt_u32_e32 0x47800000, v7
	s_xor_b32 s1, exec_lo, s1
	s_cbranch_execz .LBB376_88
; %bb.83:
	s_mov_b32 s13, exec_lo
                                        ; implicit-def: $vgpr6
	v_cmpx_lt_u32_e32 0x387fffff, v7
	s_xor_b32 s13, exec_lo, s13
; %bb.84:
	v_bfe_u32 v6, v5, 21, 1
	s_delay_alu instid0(VALU_DEP_1) | instskip(NEXT) | instid1(VALU_DEP_1)
	v_add3_u32 v6, v5, v6, 0x80fffff
	v_lshrrev_b32_e32 v6, 21, v6
; %bb.85:
	s_and_not1_saveexec_b32 s13, s13
; %bb.86:
	v_add_f32_e64 v6, 0x43000000, |v5|
; %bb.87:
	s_or_b32 exec_lo, exec_lo, s13
                                        ; implicit-def: $vgpr7
.LBB376_88:
	s_and_not1_saveexec_b32 s1, s1
; %bb.89:
	v_mov_b32_e32 v6, 0x7f
	v_cmp_lt_u32_e32 vcc_lo, 0x7f800000, v7
	s_delay_alu instid0(VALU_DEP_2)
	v_cndmask_b32_e32 v6, 0x7c, v6, vcc_lo
; %bb.90:
	s_or_b32 exec_lo, exec_lo, s1
	v_lshrrev_b32_e32 v5, 24, v5
	s_delay_alu instid0(VALU_DEP_1)
	v_and_or_b32 v5, 0x80, v5, v6
	global_store_b8 v[2:3], v5, off
.LBB376_91:
	s_mov_b32 s13, 0
	s_mov_b32 s1, -1
.LBB376_92:
	s_and_not1_b32 vcc_lo, exec_lo, s13
	s_cbranch_vccnz .LBB376_100
; %bb.93:
	v_cmp_lt_i16_e32 vcc_lo, 14, v4
	s_mov_b32 s13, -1
	s_cbranch_vccz .LBB376_97
; %bb.94:
	v_cmp_eq_u16_e32 vcc_lo, 15, v4
	s_mov_b32 s0, -1
	s_cbranch_vccz .LBB376_96
; %bb.95:
	v_xor_b32_e32 v5, v0, v1
	v_cls_i32_e32 v6, v1
	s_mov_b32 s1, -1
	s_mov_b32 s0, 0
	s_delay_alu instid0(VALU_DEP_2) | instskip(NEXT) | instid1(VALU_DEP_2)
	v_ashrrev_i32_e32 v5, 31, v5
	v_add_nc_u32_e32 v6, -1, v6
	s_delay_alu instid0(VALU_DEP_2) | instskip(NEXT) | instid1(VALU_DEP_1)
	v_add_nc_u32_e32 v5, 32, v5
	v_min_u32_e32 v7, v6, v5
	s_delay_alu instid0(VALU_DEP_1) | instskip(NEXT) | instid1(VALU_DEP_1)
	v_lshlrev_b64 v[5:6], v7, v[0:1]
	v_min_u32_e32 v5, 1, v5
	s_delay_alu instid0(VALU_DEP_1) | instskip(SKIP_1) | instid1(VALU_DEP_2)
	v_or_b32_e32 v5, v6, v5
	v_sub_nc_u32_e32 v6, 32, v7
	v_cvt_f32_i32_e32 v5, v5
	s_delay_alu instid0(VALU_DEP_1) | instskip(NEXT) | instid1(VALU_DEP_1)
	v_ldexp_f32 v5, v5, v6
	v_bfe_u32 v6, v5, 16, 1
	s_delay_alu instid0(VALU_DEP_1)
	v_add3_u32 v5, v5, v6, 0x7fff
	global_store_d16_hi_b16 v[2:3], v5, off
.LBB376_96:
	s_mov_b32 s13, 0
.LBB376_97:
	s_delay_alu instid0(SALU_CYCLE_1)
	s_and_b32 vcc_lo, exec_lo, s13
	s_cbranch_vccz .LBB376_100
; %bb.98:
	v_cmp_eq_u16_e32 vcc_lo, 11, v4
	s_mov_b32 s0, -1
	s_cbranch_vccz .LBB376_100
; %bb.99:
	v_cmp_ne_u64_e32 vcc_lo, 0, v[0:1]
	s_mov_b32 s1, -1
	s_mov_b32 s0, 0
	v_cndmask_b32_e64 v5, 0, 1, vcc_lo
	global_store_b8 v[2:3], v5, off
.LBB376_100:
	s_branch .LBB376_20
.LBB376_101:
	v_cmp_gt_i16_e32 vcc_lo, 5, v4
	s_mov_b32 s1, -1
	s_cbranch_vccnz .LBB376_122
; %bb.102:
	v_cmp_gt_i16_e32 vcc_lo, 8, v4
	s_cbranch_vccnz .LBB376_112
; %bb.103:
	v_cmp_gt_i16_e32 vcc_lo, 9, v4
	s_cbranch_vccnz .LBB376_109
; %bb.104:
	v_cmp_lt_i16_e32 vcc_lo, 9, v4
	s_cbranch_vccz .LBB376_106
; %bb.105:
	v_cvt_f64_i32_e32 v[5:6], v1
	v_cvt_f64_u32_e32 v[7:8], v0
	s_mov_b32 s1, 0
	s_delay_alu instid0(VALU_DEP_2) | instskip(NEXT) | instid1(VALU_DEP_1)
	v_ldexp_f64 v[5:6], v[5:6], 32
	v_add_f64 v[5:6], v[5:6], v[7:8]
	v_mov_b32_e32 v7, 0
	s_delay_alu instid0(VALU_DEP_1)
	v_mov_b32_e32 v8, v7
	global_store_b128 v[2:3], v[5:8], off
.LBB376_106:
	s_and_not1_b32 vcc_lo, exec_lo, s1
	s_cbranch_vccnz .LBB376_108
; %bb.107:
	v_xor_b32_e32 v5, v0, v1
	v_cls_i32_e32 v6, v1
	s_delay_alu instid0(VALU_DEP_2) | instskip(NEXT) | instid1(VALU_DEP_2)
	v_ashrrev_i32_e32 v5, 31, v5
	v_add_nc_u32_e32 v6, -1, v6
	s_delay_alu instid0(VALU_DEP_2) | instskip(NEXT) | instid1(VALU_DEP_1)
	v_add_nc_u32_e32 v5, 32, v5
	v_min_u32_e32 v7, v6, v5
	s_delay_alu instid0(VALU_DEP_1) | instskip(NEXT) | instid1(VALU_DEP_1)
	v_lshlrev_b64 v[5:6], v7, v[0:1]
	v_min_u32_e32 v5, 1, v5
	s_delay_alu instid0(VALU_DEP_1) | instskip(SKIP_1) | instid1(VALU_DEP_2)
	v_or_b32_e32 v5, v6, v5
	v_sub_nc_u32_e32 v6, 32, v7
	v_cvt_f32_i32_e32 v5, v5
	s_delay_alu instid0(VALU_DEP_1)
	v_ldexp_f32 v5, v5, v6
	v_mov_b32_e32 v6, 0
	global_store_b64 v[2:3], v[5:6], off
.LBB376_108:
	s_mov_b32 s1, 0
.LBB376_109:
	s_delay_alu instid0(SALU_CYCLE_1)
	s_and_not1_b32 vcc_lo, exec_lo, s1
	s_cbranch_vccnz .LBB376_111
; %bb.110:
	v_xor_b32_e32 v5, v0, v1
	v_cls_i32_e32 v6, v1
	s_delay_alu instid0(VALU_DEP_2) | instskip(NEXT) | instid1(VALU_DEP_2)
	v_ashrrev_i32_e32 v5, 31, v5
	v_add_nc_u32_e32 v6, -1, v6
	s_delay_alu instid0(VALU_DEP_2) | instskip(NEXT) | instid1(VALU_DEP_1)
	v_add_nc_u32_e32 v5, 32, v5
	v_min_u32_e32 v7, v6, v5
	s_delay_alu instid0(VALU_DEP_1) | instskip(NEXT) | instid1(VALU_DEP_1)
	v_lshlrev_b64 v[5:6], v7, v[0:1]
	v_min_u32_e32 v5, 1, v5
	s_delay_alu instid0(VALU_DEP_1) | instskip(SKIP_1) | instid1(VALU_DEP_2)
	v_or_b32_e32 v5, v6, v5
	v_sub_nc_u32_e32 v6, 32, v7
	v_cvt_f32_i32_e32 v5, v5
	s_delay_alu instid0(VALU_DEP_1) | instskip(NEXT) | instid1(VALU_DEP_1)
	v_ldexp_f32 v5, v5, v6
	v_cvt_f16_f32_e32 v5, v5
	s_delay_alu instid0(VALU_DEP_1)
	v_and_b32_e32 v5, 0xffff, v5
	global_store_b32 v[2:3], v5, off
.LBB376_111:
	s_mov_b32 s1, 0
.LBB376_112:
	s_delay_alu instid0(SALU_CYCLE_1)
	s_and_not1_b32 vcc_lo, exec_lo, s1
	s_cbranch_vccnz .LBB376_121
; %bb.113:
	v_cmp_gt_i16_e32 vcc_lo, 6, v4
	s_mov_b32 s1, -1
	s_cbranch_vccnz .LBB376_119
; %bb.114:
	v_cmp_lt_i16_e32 vcc_lo, 6, v4
	s_cbranch_vccz .LBB376_116
; %bb.115:
	v_cvt_f64_i32_e32 v[5:6], v1
	v_cvt_f64_u32_e32 v[7:8], v0
	s_mov_b32 s1, 0
	s_delay_alu instid0(VALU_DEP_2) | instskip(NEXT) | instid1(VALU_DEP_1)
	v_ldexp_f64 v[5:6], v[5:6], 32
	v_add_f64 v[5:6], v[5:6], v[7:8]
	global_store_b64 v[2:3], v[5:6], off
.LBB376_116:
	s_and_not1_b32 vcc_lo, exec_lo, s1
	s_cbranch_vccnz .LBB376_118
; %bb.117:
	v_xor_b32_e32 v5, v0, v1
	v_cls_i32_e32 v6, v1
	s_delay_alu instid0(VALU_DEP_2) | instskip(NEXT) | instid1(VALU_DEP_2)
	v_ashrrev_i32_e32 v5, 31, v5
	v_add_nc_u32_e32 v6, -1, v6
	s_delay_alu instid0(VALU_DEP_2) | instskip(NEXT) | instid1(VALU_DEP_1)
	v_add_nc_u32_e32 v5, 32, v5
	v_min_u32_e32 v7, v6, v5
	s_delay_alu instid0(VALU_DEP_1) | instskip(NEXT) | instid1(VALU_DEP_1)
	v_lshlrev_b64 v[5:6], v7, v[0:1]
	v_min_u32_e32 v5, 1, v5
	s_delay_alu instid0(VALU_DEP_1) | instskip(SKIP_1) | instid1(VALU_DEP_2)
	v_or_b32_e32 v5, v6, v5
	v_sub_nc_u32_e32 v6, 32, v7
	v_cvt_f32_i32_e32 v5, v5
	s_delay_alu instid0(VALU_DEP_1)
	v_ldexp_f32 v5, v5, v6
	global_store_b32 v[2:3], v5, off
.LBB376_118:
	s_mov_b32 s1, 0
.LBB376_119:
	s_delay_alu instid0(SALU_CYCLE_1)
	s_and_not1_b32 vcc_lo, exec_lo, s1
	s_cbranch_vccnz .LBB376_121
; %bb.120:
	v_xor_b32_e32 v5, v0, v1
	v_cls_i32_e32 v6, v1
	s_delay_alu instid0(VALU_DEP_2) | instskip(NEXT) | instid1(VALU_DEP_2)
	v_ashrrev_i32_e32 v5, 31, v5
	v_add_nc_u32_e32 v6, -1, v6
	s_delay_alu instid0(VALU_DEP_2) | instskip(NEXT) | instid1(VALU_DEP_1)
	v_add_nc_u32_e32 v5, 32, v5
	v_min_u32_e32 v7, v6, v5
	s_delay_alu instid0(VALU_DEP_1) | instskip(NEXT) | instid1(VALU_DEP_1)
	v_lshlrev_b64 v[5:6], v7, v[0:1]
	v_min_u32_e32 v5, 1, v5
	s_delay_alu instid0(VALU_DEP_1) | instskip(SKIP_1) | instid1(VALU_DEP_2)
	v_or_b32_e32 v5, v6, v5
	v_sub_nc_u32_e32 v6, 32, v7
	v_cvt_f32_i32_e32 v5, v5
	s_delay_alu instid0(VALU_DEP_1) | instskip(NEXT) | instid1(VALU_DEP_1)
	v_ldexp_f32 v5, v5, v6
	v_cvt_f16_f32_e32 v5, v5
	global_store_b16 v[2:3], v5, off
.LBB376_121:
	s_mov_b32 s1, 0
.LBB376_122:
	s_delay_alu instid0(SALU_CYCLE_1)
	s_and_not1_b32 vcc_lo, exec_lo, s1
	s_cbranch_vccnz .LBB376_138
; %bb.123:
	v_cmp_gt_i16_e32 vcc_lo, 2, v4
	s_mov_b32 s1, -1
	s_cbranch_vccnz .LBB376_133
; %bb.124:
	v_cmp_gt_i16_e32 vcc_lo, 3, v4
	s_cbranch_vccnz .LBB376_130
; %bb.125:
	v_cmp_lt_i16_e32 vcc_lo, 3, v4
	s_cbranch_vccz .LBB376_127
; %bb.126:
	s_mov_b32 s1, 0
	global_store_b64 v[2:3], v[0:1], off
.LBB376_127:
	s_and_not1_b32 vcc_lo, exec_lo, s1
	s_cbranch_vccnz .LBB376_129
; %bb.128:
	global_store_b32 v[2:3], v0, off
.LBB376_129:
	s_mov_b32 s1, 0
.LBB376_130:
	s_delay_alu instid0(SALU_CYCLE_1)
	s_and_not1_b32 vcc_lo, exec_lo, s1
	s_cbranch_vccnz .LBB376_132
; %bb.131:
	global_store_b16 v[2:3], v0, off
.LBB376_132:
	s_mov_b32 s1, 0
.LBB376_133:
	s_delay_alu instid0(SALU_CYCLE_1)
	s_and_not1_b32 vcc_lo, exec_lo, s1
	s_cbranch_vccnz .LBB376_138
; %bb.134:
	v_cmp_lt_i16_e32 vcc_lo, 0, v4
	s_mov_b32 s1, -1
	s_cbranch_vccz .LBB376_136
; %bb.135:
	s_mov_b32 s1, 0
	global_store_b8 v[2:3], v0, off
.LBB376_136:
	s_and_not1_b32 vcc_lo, exec_lo, s1
	s_cbranch_vccnz .LBB376_138
; %bb.137:
	global_store_b8 v[2:3], v0, off
.LBB376_138:
.LBB376_139:
	v_add_nc_u32_e32 v10, 0x80, v10
	s_mov_b32 s1, -1
	s_branch .LBB376_246
.LBB376_140:
	s_mov_b32 s15, -1
                                        ; implicit-def: $vgpr2_vgpr3
.LBB376_141:
	s_mov_b32 s1, 0
.LBB376_142:
	s_delay_alu instid0(SALU_CYCLE_1)
	s_and_b32 vcc_lo, exec_lo, s1
	s_cbranch_vccz .LBB376_146
; %bb.143:
	v_cmp_eq_u16_e32 vcc_lo, 29, v11
	s_cbranch_vccz .LBB376_145
; %bb.144:
	global_load_b64 v[2:3], v[0:1], off
	s_mov_b32 s0, -1
	s_mov_b32 s15, 0
	s_branch .LBB376_146
.LBB376_145:
	s_mov_b32 s15, -1
                                        ; implicit-def: $vgpr2_vgpr3
.LBB376_146:
	s_mov_b32 s1, 0
.LBB376_147:
	s_delay_alu instid0(SALU_CYCLE_1)
	s_and_b32 vcc_lo, exec_lo, s1
	s_cbranch_vccz .LBB376_165
; %bb.148:
	v_cmp_gt_i16_e32 vcc_lo, 27, v11
	s_cbranch_vccnz .LBB376_151
; %bb.149:
	v_cmp_lt_i16_e32 vcc_lo, 27, v11
	s_cbranch_vccz .LBB376_152
; %bb.150:
	global_load_b32 v2, v[0:1], off
	s_waitcnt vmcnt(1)
	v_mov_b32_e32 v3, 0
	s_mov_b32 s0, 0
	s_branch .LBB376_153
.LBB376_151:
	s_mov_b32 s0, -1
                                        ; implicit-def: $vgpr2_vgpr3
	s_branch .LBB376_156
.LBB376_152:
	s_mov_b32 s0, -1
                                        ; implicit-def: $vgpr2_vgpr3
.LBB376_153:
	s_delay_alu instid0(SALU_CYCLE_1)
	s_and_not1_b32 vcc_lo, exec_lo, s0
	s_cbranch_vccnz .LBB376_155
; %bb.154:
	global_load_u16 v2, v[0:1], off
	s_mov_b32 s0, 0
	s_waitcnt vmcnt(0)
	v_dual_mov_b32 v3, s0 :: v_dual_and_b32 v2, 0xffff, v2
.LBB376_155:
	s_mov_b32 s0, 0
.LBB376_156:
	s_delay_alu instid0(SALU_CYCLE_1)
	s_and_not1_b32 vcc_lo, exec_lo, s0
	s_cbranch_vccnz .LBB376_164
; %bb.157:
	global_load_u8 v4, v[0:1], off
	s_mov_b32 s18, exec_lo
                                        ; implicit-def: $sgpr0_sgpr1
	s_waitcnt vmcnt(0)
	v_cmpx_lt_i16_e32 0x7f, v4
	s_xor_b32 s18, exec_lo, s18
; %bb.158:
	v_cmp_ne_u16_e32 vcc_lo, 0x80, v4
	s_mov_b64 s[0:1], 0
	s_and_b32 s13, vcc_lo, exec_lo
; %bb.159:
	s_or_saveexec_b32 s18, s18
	v_dual_mov_b32 v3, s1 :: v_dual_mov_b32 v2, s0
	s_xor_b32 exec_lo, exec_lo, s18
; %bb.160:
	v_cmp_ne_u16_e32 vcc_lo, 0, v4
	v_mov_b32_e32 v2, 0
	v_mov_b32_e32 v3, 0
	s_and_not1_b32 s0, s13, exec_lo
	s_and_b32 s1, vcc_lo, exec_lo
	s_delay_alu instid0(SALU_CYCLE_1)
	s_or_b32 s13, s0, s1
; %bb.161:
	s_or_b32 exec_lo, exec_lo, s18
	s_and_saveexec_b32 s0, s13
	s_cbranch_execz .LBB376_163
; %bb.162:
	v_and_b32_e32 v2, 0xffff, v4
	v_lshlrev_b32_e32 v4, 24, v4
	s_delay_alu instid0(VALU_DEP_2) | instskip(NEXT) | instid1(VALU_DEP_2)
	v_and_b32_e32 v3, 7, v2
	v_and_b32_e32 v4, 0x80000000, v4
	s_delay_alu instid0(VALU_DEP_2) | instskip(NEXT) | instid1(VALU_DEP_1)
	v_clz_i32_u32_e32 v5, v3
	v_min_u32_e32 v5, 32, v5
	s_delay_alu instid0(VALU_DEP_1) | instskip(SKIP_1) | instid1(VALU_DEP_2)
	v_subrev_nc_u32_e32 v6, 28, v5
	v_sub_nc_u32_e32 v5, 29, v5
	v_lshlrev_b32_e32 v6, v6, v2
	v_bfe_u32 v2, v2, 3, 4
	s_delay_alu instid0(VALU_DEP_2) | instskip(NEXT) | instid1(VALU_DEP_2)
	v_and_b32_e32 v6, 7, v6
	v_cmp_eq_u32_e32 vcc_lo, 0, v2
	s_delay_alu instid0(VALU_DEP_2) | instskip(NEXT) | instid1(VALU_DEP_1)
	v_dual_cndmask_b32 v2, v2, v5 :: v_dual_cndmask_b32 v3, v3, v6
	v_lshl_add_u32 v2, v2, 23, 0x3b800000
	s_delay_alu instid0(VALU_DEP_2) | instskip(NEXT) | instid1(VALU_DEP_1)
	v_lshlrev_b32_e32 v3, 20, v3
	v_or3_b32 v2, v4, v2, v3
	s_delay_alu instid0(VALU_DEP_1) | instskip(NEXT) | instid1(VALU_DEP_1)
	v_trunc_f32_e32 v2, v2
	v_mul_f32_e64 v3, 0x2f800000, |v2|
	v_ashrrev_i32_e32 v5, 31, v2
	s_delay_alu instid0(VALU_DEP_2) | instskip(NEXT) | instid1(VALU_DEP_1)
	v_floor_f32_e32 v3, v3
	v_fma_f32 v4, 0xcf800000, v3, |v2|
	v_cvt_u32_f32_e32 v3, v3
	s_delay_alu instid0(VALU_DEP_2) | instskip(NEXT) | instid1(VALU_DEP_2)
	v_cvt_u32_f32_e32 v2, v4
	v_xor_b32_e32 v3, v3, v5
	s_delay_alu instid0(VALU_DEP_2) | instskip(NEXT) | instid1(VALU_DEP_1)
	v_xor_b32_e32 v2, v2, v5
	v_sub_co_u32 v2, vcc_lo, v2, v5
	s_delay_alu instid0(VALU_DEP_3)
	v_sub_co_ci_u32_e32 v3, vcc_lo, v3, v5, vcc_lo
.LBB376_163:
	s_or_b32 exec_lo, exec_lo, s0
.LBB376_164:
	s_mov_b32 s0, -1
.LBB376_165:
	s_branch .LBB376_196
.LBB376_166:
	v_cmp_lt_i16_e32 vcc_lo, 22, v11
	s_cbranch_vccz .LBB376_176
; %bb.167:
	v_cmp_gt_i16_e32 vcc_lo, 24, v11
	s_cbranch_vccnz .LBB376_177
; %bb.168:
	v_cmp_lt_i16_e32 vcc_lo, 24, v11
	s_cbranch_vccz .LBB376_178
; %bb.169:
	global_load_u8 v4, v[0:1], off
	s_mov_b32 s13, 0
	s_mov_b32 s18, exec_lo
                                        ; implicit-def: $sgpr0_sgpr1
	s_waitcnt vmcnt(0)
	v_cmpx_lt_i16_e32 0x7f, v4
	s_xor_b32 s18, exec_lo, s18
; %bb.170:
	v_cmp_ne_u16_e32 vcc_lo, 0x80, v4
	s_mov_b64 s[0:1], 0
	s_and_b32 s13, vcc_lo, exec_lo
; %bb.171:
	s_or_saveexec_b32 s18, s18
	v_dual_mov_b32 v3, s1 :: v_dual_mov_b32 v2, s0
	s_xor_b32 exec_lo, exec_lo, s18
; %bb.172:
	v_cmp_ne_u16_e32 vcc_lo, 0, v4
	v_mov_b32_e32 v2, 0
	v_mov_b32_e32 v3, 0
	s_and_not1_b32 s0, s13, exec_lo
	s_and_b32 s1, vcc_lo, exec_lo
	s_delay_alu instid0(SALU_CYCLE_1)
	s_or_b32 s13, s0, s1
; %bb.173:
	s_or_b32 exec_lo, exec_lo, s18
	s_and_saveexec_b32 s0, s13
	s_cbranch_execz .LBB376_175
; %bb.174:
	v_and_b32_e32 v2, 0xffff, v4
	v_lshlrev_b32_e32 v4, 24, v4
	s_delay_alu instid0(VALU_DEP_2) | instskip(NEXT) | instid1(VALU_DEP_2)
	v_and_b32_e32 v3, 3, v2
	v_and_b32_e32 v4, 0x80000000, v4
	s_delay_alu instid0(VALU_DEP_2) | instskip(NEXT) | instid1(VALU_DEP_1)
	v_clz_i32_u32_e32 v5, v3
	v_min_u32_e32 v5, 32, v5
	s_delay_alu instid0(VALU_DEP_1) | instskip(SKIP_1) | instid1(VALU_DEP_2)
	v_subrev_nc_u32_e32 v6, 29, v5
	v_sub_nc_u32_e32 v5, 30, v5
	v_lshlrev_b32_e32 v6, v6, v2
	v_bfe_u32 v2, v2, 2, 5
	s_delay_alu instid0(VALU_DEP_2) | instskip(NEXT) | instid1(VALU_DEP_2)
	v_and_b32_e32 v6, 3, v6
	v_cmp_eq_u32_e32 vcc_lo, 0, v2
	s_delay_alu instid0(VALU_DEP_2) | instskip(NEXT) | instid1(VALU_DEP_1)
	v_dual_cndmask_b32 v2, v2, v5 :: v_dual_cndmask_b32 v3, v3, v6
	v_lshl_add_u32 v2, v2, 23, 0x37800000
	s_delay_alu instid0(VALU_DEP_2) | instskip(NEXT) | instid1(VALU_DEP_1)
	v_lshlrev_b32_e32 v3, 21, v3
	v_or3_b32 v2, v4, v2, v3
	s_delay_alu instid0(VALU_DEP_1) | instskip(NEXT) | instid1(VALU_DEP_1)
	v_trunc_f32_e32 v2, v2
	v_mul_f32_e64 v3, 0x2f800000, |v2|
	v_ashrrev_i32_e32 v5, 31, v2
	s_delay_alu instid0(VALU_DEP_2) | instskip(NEXT) | instid1(VALU_DEP_1)
	v_floor_f32_e32 v3, v3
	v_fma_f32 v4, 0xcf800000, v3, |v2|
	v_cvt_u32_f32_e32 v3, v3
	s_delay_alu instid0(VALU_DEP_2) | instskip(NEXT) | instid1(VALU_DEP_2)
	v_cvt_u32_f32_e32 v2, v4
	v_xor_b32_e32 v3, v3, v5
	s_delay_alu instid0(VALU_DEP_2) | instskip(NEXT) | instid1(VALU_DEP_1)
	v_xor_b32_e32 v2, v2, v5
	v_sub_co_u32 v2, vcc_lo, v2, v5
	s_delay_alu instid0(VALU_DEP_3)
	v_sub_co_ci_u32_e32 v3, vcc_lo, v3, v5, vcc_lo
.LBB376_175:
	s_or_b32 exec_lo, exec_lo, s0
	s_mov_b32 s0, 0
	s_branch .LBB376_179
.LBB376_176:
	s_mov_b32 s1, -1
                                        ; implicit-def: $vgpr2_vgpr3
	s_branch .LBB376_185
.LBB376_177:
	s_mov_b32 s0, -1
                                        ; implicit-def: $vgpr2_vgpr3
	s_branch .LBB376_182
.LBB376_178:
	s_mov_b32 s0, -1
                                        ; implicit-def: $vgpr2_vgpr3
.LBB376_179:
	s_delay_alu instid0(SALU_CYCLE_1)
	s_and_b32 vcc_lo, exec_lo, s0
	s_cbranch_vccz .LBB376_181
; %bb.180:
	global_load_u8 v2, v[0:1], off
	s_waitcnt vmcnt(0)
	v_lshlrev_b32_e32 v2, 24, v2
	s_delay_alu instid0(VALU_DEP_1) | instskip(NEXT) | instid1(VALU_DEP_1)
	v_and_b32_e32 v3, 0x7f000000, v2
	v_clz_i32_u32_e32 v4, v3
	v_add_nc_u32_e32 v6, 0x1000000, v3
	v_cmp_ne_u32_e32 vcc_lo, 0, v3
	s_delay_alu instid0(VALU_DEP_3) | instskip(NEXT) | instid1(VALU_DEP_1)
	v_min_u32_e32 v4, 32, v4
	v_sub_nc_u32_e64 v4, v4, 4 clamp
	s_delay_alu instid0(VALU_DEP_1) | instskip(SKIP_1) | instid1(VALU_DEP_2)
	v_lshlrev_b32_e32 v5, v4, v3
	v_lshlrev_b32_e32 v4, 23, v4
	v_lshrrev_b32_e32 v5, 4, v5
	s_delay_alu instid0(VALU_DEP_1) | instskip(SKIP_1) | instid1(VALU_DEP_2)
	v_sub_nc_u32_e32 v4, v5, v4
	v_ashrrev_i32_e32 v5, 8, v6
	v_add_nc_u32_e32 v4, 0x3c000000, v4
	s_delay_alu instid0(VALU_DEP_1) | instskip(NEXT) | instid1(VALU_DEP_1)
	v_and_or_b32 v4, 0x7f800000, v5, v4
	v_cndmask_b32_e32 v3, 0, v4, vcc_lo
	s_delay_alu instid0(VALU_DEP_1) | instskip(NEXT) | instid1(VALU_DEP_1)
	v_and_or_b32 v2, 0x80000000, v2, v3
	v_trunc_f32_e32 v2, v2
	s_delay_alu instid0(VALU_DEP_1) | instskip(SKIP_1) | instid1(VALU_DEP_2)
	v_mul_f32_e64 v3, 0x2f800000, |v2|
	v_ashrrev_i32_e32 v5, 31, v2
	v_floor_f32_e32 v3, v3
	s_delay_alu instid0(VALU_DEP_1) | instskip(SKIP_1) | instid1(VALU_DEP_2)
	v_fma_f32 v4, 0xcf800000, v3, |v2|
	v_cvt_u32_f32_e32 v3, v3
	v_cvt_u32_f32_e32 v2, v4
	s_delay_alu instid0(VALU_DEP_2) | instskip(NEXT) | instid1(VALU_DEP_2)
	v_xor_b32_e32 v3, v3, v5
	v_xor_b32_e32 v2, v2, v5
	s_delay_alu instid0(VALU_DEP_1) | instskip(NEXT) | instid1(VALU_DEP_3)
	v_sub_co_u32 v2, vcc_lo, v2, v5
	v_sub_co_ci_u32_e32 v3, vcc_lo, v3, v5, vcc_lo
.LBB376_181:
	s_mov_b32 s0, 0
.LBB376_182:
	s_delay_alu instid0(SALU_CYCLE_1)
	s_and_not1_b32 vcc_lo, exec_lo, s0
	s_cbranch_vccnz .LBB376_184
; %bb.183:
	global_load_u8 v2, v[0:1], off
	s_waitcnt vmcnt(0)
	v_lshlrev_b32_e32 v3, 25, v2
	v_lshlrev_b16 v2, 8, v2
	s_delay_alu instid0(VALU_DEP_2) | instskip(NEXT) | instid1(VALU_DEP_2)
	v_lshrrev_b32_e32 v4, 4, v3
	v_and_or_b32 v5, 0x7f00, v2, 0.5
	v_bfe_i32 v2, v2, 0, 16
	s_delay_alu instid0(VALU_DEP_3) | instskip(NEXT) | instid1(VALU_DEP_1)
	v_or_b32_e32 v4, 0x70000000, v4
	v_dual_add_f32 v5, -0.5, v5 :: v_dual_mul_f32 v4, 0x7800000, v4
	v_cmp_gt_u32_e32 vcc_lo, 0x8000000, v3
	s_delay_alu instid0(VALU_DEP_2) | instskip(NEXT) | instid1(VALU_DEP_1)
	v_cndmask_b32_e32 v3, v4, v5, vcc_lo
	v_and_or_b32 v2, 0x80000000, v2, v3
	s_delay_alu instid0(VALU_DEP_1) | instskip(NEXT) | instid1(VALU_DEP_1)
	v_trunc_f32_e32 v2, v2
	v_mul_f32_e64 v3, 0x2f800000, |v2|
	v_ashrrev_i32_e32 v5, 31, v2
	s_delay_alu instid0(VALU_DEP_2) | instskip(NEXT) | instid1(VALU_DEP_1)
	v_floor_f32_e32 v3, v3
	v_fma_f32 v4, 0xcf800000, v3, |v2|
	v_cvt_u32_f32_e32 v3, v3
	s_delay_alu instid0(VALU_DEP_2) | instskip(NEXT) | instid1(VALU_DEP_2)
	v_cvt_u32_f32_e32 v2, v4
	v_xor_b32_e32 v3, v3, v5
	s_delay_alu instid0(VALU_DEP_2) | instskip(NEXT) | instid1(VALU_DEP_1)
	v_xor_b32_e32 v2, v2, v5
	v_sub_co_u32 v2, vcc_lo, v2, v5
	s_delay_alu instid0(VALU_DEP_3)
	v_sub_co_ci_u32_e32 v3, vcc_lo, v3, v5, vcc_lo
.LBB376_184:
	s_mov_b32 s1, 0
	s_mov_b32 s0, -1
.LBB376_185:
	s_and_not1_b32 vcc_lo, exec_lo, s1
	s_cbranch_vccnz .LBB376_196
; %bb.186:
	v_cmp_lt_i16_e32 vcc_lo, 14, v11
	s_cbranch_vccz .LBB376_189
; %bb.187:
	v_cmp_eq_u16_e32 vcc_lo, 15, v11
	s_cbranch_vccz .LBB376_190
; %bb.188:
	global_load_u16 v2, v[0:1], off
	s_mov_b32 s0, -1
	s_mov_b32 s15, 0
	s_waitcnt vmcnt(0)
	v_lshlrev_b32_e32 v2, 16, v2
	s_delay_alu instid0(VALU_DEP_1) | instskip(NEXT) | instid1(VALU_DEP_1)
	v_trunc_f32_e32 v2, v2
	v_mul_f32_e64 v3, 0x2f800000, |v2|
	v_ashrrev_i32_e32 v5, 31, v2
	s_delay_alu instid0(VALU_DEP_2) | instskip(NEXT) | instid1(VALU_DEP_1)
	v_floor_f32_e32 v3, v3
	v_fma_f32 v4, 0xcf800000, v3, |v2|
	v_cvt_u32_f32_e32 v3, v3
	s_delay_alu instid0(VALU_DEP_2) | instskip(NEXT) | instid1(VALU_DEP_2)
	v_cvt_u32_f32_e32 v2, v4
	v_xor_b32_e32 v3, v3, v5
	s_delay_alu instid0(VALU_DEP_2) | instskip(NEXT) | instid1(VALU_DEP_1)
	v_xor_b32_e32 v2, v2, v5
	v_sub_co_u32 v2, vcc_lo, v2, v5
	s_delay_alu instid0(VALU_DEP_3)
	v_sub_co_ci_u32_e32 v3, vcc_lo, v3, v5, vcc_lo
	s_branch .LBB376_191
.LBB376_189:
	s_mov_b32 s1, -1
                                        ; implicit-def: $vgpr2_vgpr3
	s_branch .LBB376_192
.LBB376_190:
	s_mov_b32 s15, -1
                                        ; implicit-def: $vgpr2_vgpr3
.LBB376_191:
	s_mov_b32 s1, 0
.LBB376_192:
	s_delay_alu instid0(SALU_CYCLE_1)
	s_and_b32 vcc_lo, exec_lo, s1
	s_cbranch_vccz .LBB376_196
; %bb.193:
	v_cmp_eq_u16_e32 vcc_lo, 11, v11
	s_cbranch_vccz .LBB376_195
; %bb.194:
	global_load_u8 v2, v[0:1], off
	s_mov_b32 s15, 0
	s_mov_b32 s0, -1
	s_waitcnt vmcnt(1)
	v_mov_b32_e32 v3, s15
	s_waitcnt vmcnt(0)
	v_cmp_ne_u16_e32 vcc_lo, 0, v2
	v_cndmask_b32_e64 v2, 0, 1, vcc_lo
	s_branch .LBB376_196
.LBB376_195:
	s_mov_b32 s15, -1
                                        ; implicit-def: $vgpr2_vgpr3
.LBB376_196:
	s_branch .LBB376_10
.LBB376_197:
	v_cmp_gt_i16_e32 vcc_lo, 5, v11
	s_cbranch_vccnz .LBB376_202
; %bb.198:
	v_cmp_gt_i16_e32 vcc_lo, 8, v11
	s_cbranch_vccnz .LBB376_203
; %bb.199:
	;; [unrolled: 3-line block ×3, first 2 shown]
	v_cmp_lt_i16_e32 vcc_lo, 9, v11
	s_cbranch_vccz .LBB376_205
; %bb.201:
	global_load_b64 v[2:3], v[0:1], off
	s_mov_b32 s0, 0
	s_waitcnt vmcnt(0)
	v_trunc_f64_e32 v[2:3], v[2:3]
	s_delay_alu instid0(VALU_DEP_1) | instskip(NEXT) | instid1(VALU_DEP_1)
	v_ldexp_f64 v[4:5], v[2:3], 0xffffffe0
	v_floor_f64_e32 v[4:5], v[4:5]
	s_delay_alu instid0(VALU_DEP_1) | instskip(SKIP_1) | instid1(VALU_DEP_2)
	v_fma_f64 v[6:7], 0xc1f00000, v[4:5], v[2:3]
	v_cvt_i32_f64_e32 v3, v[4:5]
	v_cvt_u32_f64_e32 v2, v[6:7]
	s_branch .LBB376_206
.LBB376_202:
                                        ; implicit-def: $vgpr2_vgpr3
	s_branch .LBB376_224
.LBB376_203:
	s_mov_b32 s0, -1
                                        ; implicit-def: $vgpr2_vgpr3
	s_branch .LBB376_212
.LBB376_204:
	s_mov_b32 s0, -1
                                        ; implicit-def: $vgpr2_vgpr3
	s_branch .LBB376_209
.LBB376_205:
	s_mov_b32 s0, -1
                                        ; implicit-def: $vgpr2_vgpr3
.LBB376_206:
	s_delay_alu instid0(SALU_CYCLE_1)
	s_and_not1_b32 vcc_lo, exec_lo, s0
	s_cbranch_vccnz .LBB376_208
; %bb.207:
	global_load_b32 v2, v[0:1], off
	s_waitcnt vmcnt(0)
	v_trunc_f32_e32 v2, v2
	s_delay_alu instid0(VALU_DEP_1) | instskip(SKIP_1) | instid1(VALU_DEP_2)
	v_mul_f32_e64 v3, 0x2f800000, |v2|
	v_ashrrev_i32_e32 v5, 31, v2
	v_floor_f32_e32 v3, v3
	s_delay_alu instid0(VALU_DEP_1) | instskip(SKIP_1) | instid1(VALU_DEP_2)
	v_fma_f32 v4, 0xcf800000, v3, |v2|
	v_cvt_u32_f32_e32 v3, v3
	v_cvt_u32_f32_e32 v2, v4
	s_delay_alu instid0(VALU_DEP_2) | instskip(NEXT) | instid1(VALU_DEP_2)
	v_xor_b32_e32 v3, v3, v5
	v_xor_b32_e32 v2, v2, v5
	s_delay_alu instid0(VALU_DEP_1) | instskip(NEXT) | instid1(VALU_DEP_3)
	v_sub_co_u32 v2, vcc_lo, v2, v5
	v_sub_co_ci_u32_e32 v3, vcc_lo, v3, v5, vcc_lo
.LBB376_208:
	s_mov_b32 s0, 0
.LBB376_209:
	s_delay_alu instid0(SALU_CYCLE_1)
	s_and_not1_b32 vcc_lo, exec_lo, s0
	s_cbranch_vccnz .LBB376_211
; %bb.210:
	global_load_b32 v2, v[0:1], off
	s_waitcnt vmcnt(0)
	v_cvt_f32_f16_e32 v2, v2
	s_delay_alu instid0(VALU_DEP_1) | instskip(NEXT) | instid1(VALU_DEP_1)
	v_cvt_i32_f32_e32 v2, v2
	v_ashrrev_i32_e32 v3, 31, v2
.LBB376_211:
	s_mov_b32 s0, 0
.LBB376_212:
	s_delay_alu instid0(SALU_CYCLE_1)
	s_and_not1_b32 vcc_lo, exec_lo, s0
	s_cbranch_vccnz .LBB376_223
; %bb.213:
	v_cmp_gt_i16_e32 vcc_lo, 6, v11
	s_cbranch_vccnz .LBB376_216
; %bb.214:
	v_cmp_lt_i16_e32 vcc_lo, 6, v11
	s_cbranch_vccz .LBB376_217
; %bb.215:
	global_load_b64 v[2:3], v[0:1], off
	s_mov_b32 s0, 0
	s_waitcnt vmcnt(0)
	v_trunc_f64_e32 v[2:3], v[2:3]
	s_delay_alu instid0(VALU_DEP_1) | instskip(NEXT) | instid1(VALU_DEP_1)
	v_ldexp_f64 v[4:5], v[2:3], 0xffffffe0
	v_floor_f64_e32 v[4:5], v[4:5]
	s_delay_alu instid0(VALU_DEP_1) | instskip(SKIP_1) | instid1(VALU_DEP_2)
	v_fma_f64 v[6:7], 0xc1f00000, v[4:5], v[2:3]
	v_cvt_i32_f64_e32 v3, v[4:5]
	v_cvt_u32_f64_e32 v2, v[6:7]
	s_branch .LBB376_218
.LBB376_216:
	s_mov_b32 s0, -1
                                        ; implicit-def: $vgpr2_vgpr3
	s_branch .LBB376_221
.LBB376_217:
	s_mov_b32 s0, -1
                                        ; implicit-def: $vgpr2_vgpr3
.LBB376_218:
	s_delay_alu instid0(SALU_CYCLE_1)
	s_and_not1_b32 vcc_lo, exec_lo, s0
	s_cbranch_vccnz .LBB376_220
; %bb.219:
	global_load_b32 v2, v[0:1], off
	s_waitcnt vmcnt(0)
	v_trunc_f32_e32 v2, v2
	s_delay_alu instid0(VALU_DEP_1) | instskip(SKIP_1) | instid1(VALU_DEP_2)
	v_mul_f32_e64 v3, 0x2f800000, |v2|
	v_ashrrev_i32_e32 v5, 31, v2
	v_floor_f32_e32 v3, v3
	s_delay_alu instid0(VALU_DEP_1) | instskip(SKIP_1) | instid1(VALU_DEP_2)
	v_fma_f32 v4, 0xcf800000, v3, |v2|
	v_cvt_u32_f32_e32 v3, v3
	v_cvt_u32_f32_e32 v2, v4
	s_delay_alu instid0(VALU_DEP_2) | instskip(NEXT) | instid1(VALU_DEP_2)
	v_xor_b32_e32 v3, v3, v5
	v_xor_b32_e32 v2, v2, v5
	s_delay_alu instid0(VALU_DEP_1) | instskip(NEXT) | instid1(VALU_DEP_3)
	v_sub_co_u32 v2, vcc_lo, v2, v5
	v_sub_co_ci_u32_e32 v3, vcc_lo, v3, v5, vcc_lo
.LBB376_220:
	s_mov_b32 s0, 0
.LBB376_221:
	s_delay_alu instid0(SALU_CYCLE_1)
	s_and_not1_b32 vcc_lo, exec_lo, s0
	s_cbranch_vccnz .LBB376_223
; %bb.222:
	global_load_u16 v2, v[0:1], off
	s_waitcnt vmcnt(0)
	v_cvt_f32_f16_e32 v2, v2
	s_delay_alu instid0(VALU_DEP_1) | instskip(NEXT) | instid1(VALU_DEP_1)
	v_cvt_i32_f32_e32 v2, v2
	v_ashrrev_i32_e32 v3, 31, v2
.LBB376_223:
	s_cbranch_execnz .LBB376_243
.LBB376_224:
	v_cmp_gt_i16_e32 vcc_lo, 2, v11
	s_cbranch_vccnz .LBB376_228
; %bb.225:
	v_cmp_gt_i16_e32 vcc_lo, 3, v11
	s_cbranch_vccnz .LBB376_229
; %bb.226:
	v_cmp_lt_i16_e32 vcc_lo, 3, v11
	s_cbranch_vccz .LBB376_230
; %bb.227:
	global_load_b64 v[2:3], v[0:1], off
	s_mov_b32 s0, 0
	s_branch .LBB376_231
.LBB376_228:
	s_mov_b32 s0, -1
                                        ; implicit-def: $vgpr2_vgpr3
	s_branch .LBB376_237
.LBB376_229:
	s_mov_b32 s0, -1
                                        ; implicit-def: $vgpr2_vgpr3
	s_branch .LBB376_234
.LBB376_230:
	s_mov_b32 s0, -1
                                        ; implicit-def: $vgpr2_vgpr3
.LBB376_231:
	s_delay_alu instid0(SALU_CYCLE_1)
	s_and_not1_b32 vcc_lo, exec_lo, s0
	s_cbranch_vccnz .LBB376_233
; %bb.232:
	global_load_b32 v2, v[0:1], off
	s_waitcnt vmcnt(0)
	v_ashrrev_i32_e32 v3, 31, v2
.LBB376_233:
	s_mov_b32 s0, 0
.LBB376_234:
	s_delay_alu instid0(SALU_CYCLE_1)
	s_and_not1_b32 vcc_lo, exec_lo, s0
	s_cbranch_vccnz .LBB376_236
; %bb.235:
	global_load_u16 v2, v[0:1], off
	s_waitcnt vmcnt(0)
	v_bfe_i32 v2, v2, 0, 16
	s_delay_alu instid0(VALU_DEP_1)
	v_ashrrev_i32_e32 v3, 31, v2
.LBB376_236:
	s_mov_b32 s0, 0
.LBB376_237:
	s_delay_alu instid0(SALU_CYCLE_1)
	s_and_not1_b32 vcc_lo, exec_lo, s0
	s_cbranch_vccnz .LBB376_243
; %bb.238:
	v_cmp_lt_i16_e32 vcc_lo, 0, v11
	s_mov_b32 s0, 0
	s_cbranch_vccz .LBB376_240
; %bb.239:
	global_load_i8 v2, v[0:1], off
	s_waitcnt vmcnt(0)
	v_bfe_i32 v2, v2, 0, 16
	s_delay_alu instid0(VALU_DEP_1)
	v_ashrrev_i32_e32 v3, 31, v2
	s_branch .LBB376_241
.LBB376_240:
	s_mov_b32 s0, -1
                                        ; implicit-def: $vgpr2_vgpr3
.LBB376_241:
	s_delay_alu instid0(SALU_CYCLE_1)
	s_and_not1_b32 vcc_lo, exec_lo, s0
	s_cbranch_vccnz .LBB376_243
; %bb.242:
	global_load_u8 v0, v[0:1], off
	s_mov_b32 s0, 0
	s_waitcnt vmcnt(0)
	v_dual_mov_b32 v3, s0 :: v_dual_and_b32 v2, 0xffff, v0
.LBB376_243:
	s_branch .LBB376_11
.LBB376_244:
	s_mov_b32 s0, 0
.LBB376_245:
	s_mov_b32 s1, 0
                                        ; implicit-def: $vgpr10
.LBB376_246:
	s_and_b32 s13, s0, exec_lo
	s_and_b32 s15, s15, exec_lo
	s_or_not1_b32 s1, s1, exec_lo
.LBB376_247:
	s_or_b32 exec_lo, exec_lo, s16
	s_mov_b32 s18, 0
	s_mov_b32 s0, 0
                                        ; implicit-def: $vgpr0_vgpr1
                                        ; implicit-def: $vgpr4_vgpr5
	s_and_saveexec_b32 s16, s1
	s_cbranch_execz .LBB376_843
; %bb.248:
	s_mov_b32 s21, -1
	s_mov_b32 s17, s15
	s_mov_b32 s18, s13
	s_mov_b32 s19, exec_lo
	v_cmpx_gt_i32_e64 s14, v10
	s_cbranch_execz .LBB376_503
; %bb.249:
	v_mul_lo_u32 v0, v10, s9
	v_cmp_gt_i16_e32 vcc_lo, 11, v11
	s_delay_alu instid0(VALU_DEP_2) | instskip(SKIP_1) | instid1(VALU_DEP_1)
	v_ashrrev_i32_e32 v1, 31, v0
	v_add_co_u32 v0, s0, s6, v0
	v_add_co_ci_u32_e64 v1, s0, s7, v1, s0
	s_cbranch_vccnz .LBB376_256
; %bb.250:
	v_cmp_lt_i16_e32 vcc_lo, 25, v11
	s_cbranch_vccz .LBB376_265
; %bb.251:
	v_cmp_lt_i16_e32 vcc_lo, 28, v11
	s_cbranch_vccz .LBB376_267
	;; [unrolled: 3-line block ×4, first 2 shown]
; %bb.254:
	v_cmp_eq_u16_e32 vcc_lo, 46, v11
	s_mov_b32 s1, 0
	s_cbranch_vccz .LBB376_277
; %bb.255:
	global_load_b32 v2, v[0:1], off
	s_mov_b32 s0, -1
	s_mov_b32 s17, 0
	s_waitcnt vmcnt(0)
	v_lshlrev_b32_e32 v2, 16, v2
	s_delay_alu instid0(VALU_DEP_1) | instskip(NEXT) | instid1(VALU_DEP_1)
	v_trunc_f32_e32 v2, v2
	v_mul_f32_e64 v3, 0x2f800000, |v2|
	v_ashrrev_i32_e32 v5, 31, v2
	s_delay_alu instid0(VALU_DEP_2) | instskip(NEXT) | instid1(VALU_DEP_1)
	v_floor_f32_e32 v3, v3
	v_fma_f32 v4, 0xcf800000, v3, |v2|
	v_cvt_u32_f32_e32 v3, v3
	s_delay_alu instid0(VALU_DEP_2) | instskip(NEXT) | instid1(VALU_DEP_2)
	v_cvt_u32_f32_e32 v2, v4
	v_xor_b32_e32 v3, v3, v5
	s_delay_alu instid0(VALU_DEP_2) | instskip(NEXT) | instid1(VALU_DEP_1)
	v_xor_b32_e32 v2, v2, v5
	v_sub_co_u32 v2, vcc_lo, v2, v5
	s_delay_alu instid0(VALU_DEP_3)
	v_sub_co_ci_u32_e32 v3, vcc_lo, v3, v5, vcc_lo
	s_branch .LBB376_279
.LBB376_256:
	s_mov_b32 s0, 0
	s_mov_b32 s17, s15
                                        ; implicit-def: $vgpr2_vgpr3
	s_cbranch_execnz .LBB376_452
.LBB376_257:
	s_and_not1_b32 vcc_lo, exec_lo, s0
	s_cbranch_vccnz .LBB376_500
.LBB376_258:
	v_mul_lo_u32 v5, v10, s8
	s_waitcnt vmcnt(0)
	s_delay_alu instid0(VALU_DEP_2) | instskip(SKIP_1) | instid1(VALU_DEP_1)
	v_cmp_lt_i64_e32 vcc_lo, s[10:11], v[2:3]
	v_and_b32_e64 v4, 0xff, s2
	v_cmp_gt_i16_e64 s0, 11, v4
	v_cndmask_b32_e32 v1, s11, v3, vcc_lo
	v_ashrrev_i32_e32 v3, 31, v5
	v_cndmask_b32_e32 v0, s10, v2, vcc_lo
	v_add_co_u32 v2, vcc_lo, s4, v5
	s_delay_alu instid0(VALU_DEP_3)
	v_add_co_ci_u32_e32 v3, vcc_lo, s5, v3, vcc_lo
	s_and_b32 vcc_lo, exec_lo, s0
	s_cbranch_vccnz .LBB376_266
; %bb.259:
	v_cmp_lt_i16_e32 vcc_lo, 25, v4
	s_cbranch_vccz .LBB376_268
; %bb.260:
	v_cmp_lt_i16_e32 vcc_lo, 28, v4
	s_cbranch_vccz .LBB376_270
	;; [unrolled: 3-line block ×4, first 2 shown]
; %bb.263:
	v_cmp_eq_u16_e32 vcc_lo, 46, v4
	s_mov_b32 s18, 0
	s_mov_b32 s0, -1
	s_mov_b32 s1, 0
	s_cbranch_vccz .LBB376_283
; %bb.264:
	v_xor_b32_e32 v5, v0, v1
	v_cls_i32_e32 v6, v1
	s_mov_b32 s1, -1
	s_mov_b32 s0, 0
	s_delay_alu instid0(VALU_DEP_2) | instskip(NEXT) | instid1(VALU_DEP_2)
	v_ashrrev_i32_e32 v5, 31, v5
	v_add_nc_u32_e32 v6, -1, v6
	s_delay_alu instid0(VALU_DEP_2) | instskip(NEXT) | instid1(VALU_DEP_1)
	v_add_nc_u32_e32 v5, 32, v5
	v_min_u32_e32 v7, v6, v5
	s_delay_alu instid0(VALU_DEP_1) | instskip(NEXT) | instid1(VALU_DEP_1)
	v_lshlrev_b64 v[5:6], v7, v[0:1]
	v_min_u32_e32 v5, 1, v5
	s_delay_alu instid0(VALU_DEP_1) | instskip(SKIP_1) | instid1(VALU_DEP_2)
	v_or_b32_e32 v5, v6, v5
	v_sub_nc_u32_e32 v6, 32, v7
	v_cvt_f32_i32_e32 v5, v5
	s_delay_alu instid0(VALU_DEP_1) | instskip(NEXT) | instid1(VALU_DEP_1)
	v_ldexp_f32 v5, v5, v6
	v_bfe_u32 v6, v5, 16, 1
	s_delay_alu instid0(VALU_DEP_1) | instskip(NEXT) | instid1(VALU_DEP_1)
	v_add3_u32 v5, v5, v6, 0x7fff
	v_lshrrev_b32_e32 v5, 16, v5
	global_store_b32 v[2:3], v5, off
	s_branch .LBB376_283
.LBB376_265:
	s_mov_b32 s1, -1
	s_mov_b32 s0, 0
	s_mov_b32 s17, s15
                                        ; implicit-def: $vgpr2_vgpr3
	s_branch .LBB376_420
.LBB376_266:
	s_mov_b32 s18, -1
	s_mov_b32 s1, 0
	s_mov_b32 s0, s13
	s_branch .LBB376_352
.LBB376_267:
	s_mov_b32 s1, -1
	s_mov_b32 s0, 0
	s_mov_b32 s17, s15
                                        ; implicit-def: $vgpr2_vgpr3
	s_branch .LBB376_401
.LBB376_268:
	s_mov_b32 s18, -1
	s_mov_b32 s1, 0
	s_mov_b32 s0, s13
	s_branch .LBB376_310
.LBB376_269:
	s_mov_b32 s1, -1
	s_mov_b32 s0, 0
	s_mov_b32 s17, s15
                                        ; implicit-def: $vgpr2_vgpr3
	s_branch .LBB376_396
.LBB376_270:
	s_mov_b32 s18, -1
	s_mov_b32 s1, 0
	s_mov_b32 s0, s13
	s_branch .LBB376_293
.LBB376_271:
	s_or_saveexec_b32 s18, s18
                                        ; implicit-def: $sgpr19
	s_delay_alu instid0(SALU_CYCLE_1)
	s_xor_b32 exec_lo, exec_lo, s18
	s_cbranch_execz .LBB376_53
.LBB376_272:
	v_add_f32_e64 v6, 0x46000000, |v5|
	s_and_not1_b32 s13, s13, exec_lo
	s_mov_b32 s19, 0
	s_delay_alu instid0(VALU_DEP_1) | instskip(NEXT) | instid1(VALU_DEP_1)
	v_and_b32_e32 v6, 0xff, v6
	v_cmp_ne_u32_e32 vcc_lo, 0, v6
	s_and_b32 s20, vcc_lo, exec_lo
	s_delay_alu instid0(SALU_CYCLE_1)
	s_or_b32 s13, s13, s20
	s_or_b32 exec_lo, exec_lo, s18
	v_mov_b32_e32 v7, s19
	s_and_saveexec_b32 s18, s13
	s_cbranch_execnz .LBB376_54
	s_branch .LBB376_55
.LBB376_273:
	s_mov_b32 s1, -1
	s_mov_b32 s0, 0
	s_mov_b32 s17, s15
	s_branch .LBB376_278
.LBB376_274:
	s_mov_b32 s18, -1
	s_mov_b32 s1, 0
	s_mov_b32 s0, s13
	s_branch .LBB376_289
.LBB376_275:
	s_or_saveexec_b32 s18, s18
                                        ; implicit-def: $sgpr19
	s_delay_alu instid0(SALU_CYCLE_1)
	s_xor_b32 exec_lo, exec_lo, s18
	s_cbranch_execz .LBB376_66
.LBB376_276:
	v_add_f32_e64 v6, 0x42800000, |v5|
	s_and_not1_b32 s13, s13, exec_lo
	s_mov_b32 s19, 0
	s_delay_alu instid0(VALU_DEP_1) | instskip(NEXT) | instid1(VALU_DEP_1)
	v_and_b32_e32 v6, 0xff, v6
	v_cmp_ne_u32_e32 vcc_lo, 0, v6
	s_and_b32 s20, vcc_lo, exec_lo
	s_delay_alu instid0(SALU_CYCLE_1)
	s_or_b32 s13, s13, s20
	s_or_b32 exec_lo, exec_lo, s18
	v_mov_b32_e32 v7, s19
	s_and_saveexec_b32 s18, s13
	s_cbranch_execnz .LBB376_67
	s_branch .LBB376_68
.LBB376_277:
	s_mov_b32 s17, -1
	s_mov_b32 s0, 0
.LBB376_278:
                                        ; implicit-def: $vgpr2_vgpr3
.LBB376_279:
	s_and_b32 vcc_lo, exec_lo, s1
	s_cbranch_vccz .LBB376_395
; %bb.280:
	v_cmp_eq_u16_e32 vcc_lo, 44, v11
	s_cbranch_vccz .LBB376_394
; %bb.281:
	global_load_u8 v2, v[0:1], off
	s_mov_b32 s17, 0
	s_mov_b32 s0, -1
	s_waitcnt vmcnt(0)
	v_lshlrev_b32_e32 v3, 23, v2
	s_delay_alu instid0(VALU_DEP_1) | instskip(NEXT) | instid1(VALU_DEP_1)
	v_trunc_f32_e32 v3, v3
	v_mul_f32_e64 v4, 0x2f800000, |v3|
	s_delay_alu instid0(VALU_DEP_1) | instskip(NEXT) | instid1(VALU_DEP_1)
	v_floor_f32_e32 v4, v4
	v_fma_f32 v5, 0xcf800000, v4, |v3|
	v_ashrrev_i32_e32 v3, 31, v3
	v_cvt_u32_f32_e32 v4, v4
	s_delay_alu instid0(VALU_DEP_3) | instskip(NEXT) | instid1(VALU_DEP_2)
	v_cvt_u32_f32_e32 v5, v5
	v_xor_b32_e32 v4, v4, v3
	s_delay_alu instid0(VALU_DEP_2) | instskip(NEXT) | instid1(VALU_DEP_1)
	v_xor_b32_e32 v5, v5, v3
	v_sub_co_u32 v5, vcc_lo, v5, v3
	s_delay_alu instid0(VALU_DEP_3) | instskip(SKIP_1) | instid1(VALU_DEP_2)
	v_sub_co_ci_u32_e32 v3, vcc_lo, v4, v3, vcc_lo
	v_cmp_ne_u32_e32 vcc_lo, 0, v2
	v_dual_cndmask_b32 v2, 0, v5 :: v_dual_cndmask_b32 v3, 0, v3
	s_branch .LBB376_395
.LBB376_282:
	s_mov_b32 s18, -1
	s_mov_b32 s1, 0
	s_mov_b32 s0, s13
.LBB376_283:
	s_and_b32 vcc_lo, exec_lo, s18
	s_cbranch_vccz .LBB376_288
; %bb.284:
	v_cmp_eq_u16_e32 vcc_lo, 44, v4
	s_mov_b32 s0, -1
	s_cbranch_vccz .LBB376_288
; %bb.285:
	v_xor_b32_e32 v5, v0, v1
	v_cls_i32_e32 v6, v1
	s_mov_b32 s1, -1
	s_mov_b32 s18, exec_lo
	s_delay_alu instid0(VALU_DEP_2) | instskip(NEXT) | instid1(VALU_DEP_2)
	v_ashrrev_i32_e32 v5, 31, v5
	v_add_nc_u32_e32 v6, -1, v6
	s_delay_alu instid0(VALU_DEP_2) | instskip(NEXT) | instid1(VALU_DEP_1)
	v_add_nc_u32_e32 v5, 32, v5
	v_min_u32_e32 v7, v6, v5
	s_delay_alu instid0(VALU_DEP_1) | instskip(NEXT) | instid1(VALU_DEP_1)
	v_lshlrev_b64 v[5:6], v7, v[0:1]
	v_min_u32_e32 v5, 1, v5
	s_delay_alu instid0(VALU_DEP_1) | instskip(SKIP_1) | instid1(VALU_DEP_2)
	v_or_b32_e32 v5, v6, v5
	v_sub_nc_u32_e32 v6, 32, v7
	v_cvt_f32_i32_e32 v5, v5
	s_delay_alu instid0(VALU_DEP_1) | instskip(SKIP_1) | instid1(VALU_DEP_2)
	v_ldexp_f32 v5, v5, v6
	v_mov_b32_e32 v6, 0xff
	v_bfe_u32 v7, v5, 23, 8
	s_delay_alu instid0(VALU_DEP_1)
	v_cmpx_ne_u32_e32 0xff, v7
; %bb.286:
	v_and_b32_e32 v6, 0x400000, v5
	v_and_or_b32 v7, 0x3fffff, v5, v7
	v_lshrrev_b32_e32 v5, 23, v5
	s_delay_alu instid0(VALU_DEP_3) | instskip(NEXT) | instid1(VALU_DEP_3)
	v_cmp_ne_u32_e32 vcc_lo, 0, v6
	v_cmp_ne_u32_e64 s0, 0, v7
	s_delay_alu instid0(VALU_DEP_1) | instskip(NEXT) | instid1(SALU_CYCLE_1)
	s_and_b32 s0, vcc_lo, s0
	v_cndmask_b32_e64 v6, 0, 1, s0
	s_delay_alu instid0(VALU_DEP_1)
	v_add_nc_u32_e32 v6, v5, v6
; %bb.287:
	s_or_b32 exec_lo, exec_lo, s18
	s_mov_b32 s0, 0
	global_store_b8 v[2:3], v6, off
.LBB376_288:
	s_mov_b32 s18, 0
.LBB376_289:
	s_delay_alu instid0(SALU_CYCLE_1)
	s_and_b32 vcc_lo, exec_lo, s18
	s_cbranch_vccz .LBB376_292
; %bb.290:
	v_cmp_eq_u16_e32 vcc_lo, 29, v4
	s_mov_b32 s0, -1
	s_cbranch_vccz .LBB376_292
; %bb.291:
	s_mov_b32 s1, -1
	s_mov_b32 s0, 0
	global_store_b64 v[2:3], v[0:1], off
.LBB376_292:
	s_mov_b32 s18, 0
.LBB376_293:
	s_delay_alu instid0(SALU_CYCLE_1)
	s_and_b32 vcc_lo, exec_lo, s18
	s_cbranch_vccz .LBB376_309
; %bb.294:
	v_cmp_gt_i16_e32 vcc_lo, 27, v4
	s_mov_b32 s1, -1
	s_cbranch_vccnz .LBB376_300
; %bb.295:
	v_cmp_lt_i16_e32 vcc_lo, 27, v4
	s_cbranch_vccz .LBB376_297
; %bb.296:
	s_mov_b32 s1, 0
	global_store_b32 v[2:3], v0, off
.LBB376_297:
	s_and_not1_b32 vcc_lo, exec_lo, s1
	s_cbranch_vccnz .LBB376_299
; %bb.298:
	global_store_b16 v[2:3], v0, off
.LBB376_299:
	s_mov_b32 s1, 0
.LBB376_300:
	s_delay_alu instid0(SALU_CYCLE_1)
	s_and_not1_b32 vcc_lo, exec_lo, s1
	s_cbranch_vccnz .LBB376_308
; %bb.301:
	v_xor_b32_e32 v5, v0, v1
	v_cls_i32_e32 v6, v1
	s_mov_b32 s1, exec_lo
	s_delay_alu instid0(VALU_DEP_2) | instskip(NEXT) | instid1(VALU_DEP_2)
	v_ashrrev_i32_e32 v5, 31, v5
	v_add_nc_u32_e32 v6, -1, v6
	s_delay_alu instid0(VALU_DEP_2) | instskip(NEXT) | instid1(VALU_DEP_1)
	v_add_nc_u32_e32 v5, 32, v5
	v_min_u32_e32 v7, v6, v5
	s_delay_alu instid0(VALU_DEP_1) | instskip(NEXT) | instid1(VALU_DEP_1)
	v_lshlrev_b64 v[5:6], v7, v[0:1]
	v_min_u32_e32 v5, 1, v5
	s_delay_alu instid0(VALU_DEP_1) | instskip(SKIP_2) | instid1(VALU_DEP_3)
	v_or_b32_e32 v5, v6, v5
	v_sub_nc_u32_e32 v6, 32, v7
	v_mov_b32_e32 v7, 0x80
	v_cvt_f32_i32_e32 v5, v5
	s_delay_alu instid0(VALU_DEP_1) | instskip(NEXT) | instid1(VALU_DEP_1)
	v_ldexp_f32 v5, v5, v6
	v_and_b32_e32 v6, 0x7fffffff, v5
	s_delay_alu instid0(VALU_DEP_1)
	v_cmpx_gt_u32_e32 0x43800000, v6
	s_cbranch_execz .LBB376_307
; %bb.302:
	v_cmp_lt_u32_e32 vcc_lo, 0x3bffffff, v6
	s_mov_b32 s18, 0
                                        ; implicit-def: $vgpr6
	s_and_saveexec_b32 s20, vcc_lo
	s_delay_alu instid0(SALU_CYCLE_1)
	s_xor_b32 s20, exec_lo, s20
	s_cbranch_execz .LBB376_516
; %bb.303:
	v_bfe_u32 v6, v5, 20, 1
	s_mov_b32 s18, exec_lo
	s_delay_alu instid0(VALU_DEP_1) | instskip(NEXT) | instid1(VALU_DEP_1)
	v_add3_u32 v6, v5, v6, 0x487ffff
	v_lshrrev_b32_e32 v6, 20, v6
	s_or_saveexec_b32 s20, s20
                                        ; implicit-def: $sgpr21
	s_delay_alu instid0(SALU_CYCLE_1)
	s_xor_b32 exec_lo, exec_lo, s20
	s_cbranch_execnz .LBB376_517
.LBB376_304:
	s_or_b32 exec_lo, exec_lo, s20
	v_mov_b32_e32 v7, s21
	s_and_saveexec_b32 s20, s18
.LBB376_305:
	v_lshrrev_b32_e32 v5, 24, v5
	s_delay_alu instid0(VALU_DEP_1)
	v_and_or_b32 v7, 0x80, v5, v6
.LBB376_306:
	s_or_b32 exec_lo, exec_lo, s20
.LBB376_307:
	s_delay_alu instid0(SALU_CYCLE_1)
	s_or_b32 exec_lo, exec_lo, s1
	global_store_b8 v[2:3], v7, off
.LBB376_308:
	s_mov_b32 s1, -1
.LBB376_309:
	s_mov_b32 s18, 0
.LBB376_310:
	s_delay_alu instid0(SALU_CYCLE_1)
	s_and_b32 vcc_lo, exec_lo, s18
	s_cbranch_vccz .LBB376_351
; %bb.311:
	v_cmp_lt_i16_e32 vcc_lo, 22, v4
	s_mov_b32 s18, -1
	s_cbranch_vccz .LBB376_343
; %bb.312:
	v_cmp_gt_i16_e32 vcc_lo, 24, v4
	s_mov_b32 s1, -1
	s_cbranch_vccnz .LBB376_332
; %bb.313:
	v_cmp_lt_i16_e32 vcc_lo, 24, v4
	s_cbranch_vccz .LBB376_321
; %bb.314:
	v_xor_b32_e32 v5, v0, v1
	v_cls_i32_e32 v6, v1
	s_mov_b32 s1, exec_lo
	s_delay_alu instid0(VALU_DEP_2) | instskip(NEXT) | instid1(VALU_DEP_2)
	v_ashrrev_i32_e32 v5, 31, v5
	v_add_nc_u32_e32 v6, -1, v6
	s_delay_alu instid0(VALU_DEP_2) | instskip(NEXT) | instid1(VALU_DEP_1)
	v_add_nc_u32_e32 v5, 32, v5
	v_min_u32_e32 v7, v6, v5
	s_delay_alu instid0(VALU_DEP_1) | instskip(NEXT) | instid1(VALU_DEP_1)
	v_lshlrev_b64 v[5:6], v7, v[0:1]
	v_min_u32_e32 v5, 1, v5
	s_delay_alu instid0(VALU_DEP_1) | instskip(SKIP_2) | instid1(VALU_DEP_3)
	v_or_b32_e32 v5, v6, v5
	v_sub_nc_u32_e32 v6, 32, v7
	v_mov_b32_e32 v7, 0x80
	v_cvt_f32_i32_e32 v5, v5
	s_delay_alu instid0(VALU_DEP_1) | instskip(NEXT) | instid1(VALU_DEP_1)
	v_ldexp_f32 v5, v5, v6
	v_and_b32_e32 v6, 0x7fffffff, v5
	s_delay_alu instid0(VALU_DEP_1)
	v_cmpx_gt_u32_e32 0x47800000, v6
	s_cbranch_execz .LBB376_320
; %bb.315:
	v_cmp_lt_u32_e32 vcc_lo, 0x37ffffff, v6
	s_mov_b32 s18, 0
                                        ; implicit-def: $vgpr6
	s_and_saveexec_b32 s20, vcc_lo
	s_delay_alu instid0(SALU_CYCLE_1)
	s_xor_b32 s20, exec_lo, s20
	s_cbranch_execz .LBB376_519
; %bb.316:
	v_bfe_u32 v6, v5, 21, 1
	s_mov_b32 s18, exec_lo
	s_delay_alu instid0(VALU_DEP_1) | instskip(NEXT) | instid1(VALU_DEP_1)
	v_add3_u32 v6, v5, v6, 0x88fffff
	v_lshrrev_b32_e32 v6, 21, v6
	s_or_saveexec_b32 s20, s20
                                        ; implicit-def: $sgpr21
	s_delay_alu instid0(SALU_CYCLE_1)
	s_xor_b32 exec_lo, exec_lo, s20
	s_cbranch_execnz .LBB376_520
.LBB376_317:
	s_or_b32 exec_lo, exec_lo, s20
	v_mov_b32_e32 v7, s21
	s_and_saveexec_b32 s20, s18
.LBB376_318:
	v_lshrrev_b32_e32 v5, 24, v5
	s_delay_alu instid0(VALU_DEP_1)
	v_and_or_b32 v7, 0x80, v5, v6
.LBB376_319:
	s_or_b32 exec_lo, exec_lo, s20
.LBB376_320:
	s_delay_alu instid0(SALU_CYCLE_1)
	s_or_b32 exec_lo, exec_lo, s1
	s_mov_b32 s1, 0
	global_store_b8 v[2:3], v7, off
.LBB376_321:
	s_and_b32 vcc_lo, exec_lo, s1
	s_cbranch_vccz .LBB376_331
; %bb.322:
	v_xor_b32_e32 v5, v0, v1
	v_cls_i32_e32 v6, v1
	s_mov_b32 s1, exec_lo
	s_delay_alu instid0(VALU_DEP_2) | instskip(NEXT) | instid1(VALU_DEP_2)
	v_ashrrev_i32_e32 v5, 31, v5
	v_add_nc_u32_e32 v6, -1, v6
	s_delay_alu instid0(VALU_DEP_2) | instskip(NEXT) | instid1(VALU_DEP_1)
	v_add_nc_u32_e32 v5, 32, v5
	v_min_u32_e32 v7, v6, v5
	s_delay_alu instid0(VALU_DEP_1) | instskip(NEXT) | instid1(VALU_DEP_1)
	v_lshlrev_b64 v[5:6], v7, v[0:1]
	v_min_u32_e32 v5, 1, v5
	s_delay_alu instid0(VALU_DEP_1) | instskip(SKIP_1) | instid1(VALU_DEP_2)
	v_or_b32_e32 v5, v6, v5
	v_sub_nc_u32_e32 v6, 32, v7
	v_cvt_f32_i32_e32 v5, v5
	s_delay_alu instid0(VALU_DEP_1) | instskip(NEXT) | instid1(VALU_DEP_1)
	v_ldexp_f32 v5, v5, v6
                                        ; implicit-def: $vgpr6
	v_and_b32_e32 v7, 0x7fffffff, v5
	s_delay_alu instid0(VALU_DEP_1)
	v_cmpx_gt_u32_e32 0x43f00000, v7
	s_xor_b32 s1, exec_lo, s1
	s_cbranch_execz .LBB376_328
; %bb.323:
	s_mov_b32 s18, exec_lo
                                        ; implicit-def: $vgpr6
	v_cmpx_lt_u32_e32 0x3c7fffff, v7
	s_xor_b32 s18, exec_lo, s18
; %bb.324:
	v_bfe_u32 v6, v5, 20, 1
	s_delay_alu instid0(VALU_DEP_1) | instskip(NEXT) | instid1(VALU_DEP_1)
	v_add3_u32 v6, v5, v6, 0x407ffff
	v_and_b32_e32 v7, 0xff00000, v6
	v_lshrrev_b32_e32 v6, 20, v6
	s_delay_alu instid0(VALU_DEP_2) | instskip(NEXT) | instid1(VALU_DEP_2)
	v_cmp_ne_u32_e32 vcc_lo, 0x7f00000, v7
	v_cndmask_b32_e32 v6, 0x7e, v6, vcc_lo
; %bb.325:
	s_and_not1_saveexec_b32 s18, s18
; %bb.326:
	v_add_f32_e64 v6, 0x46800000, |v5|
; %bb.327:
	s_or_b32 exec_lo, exec_lo, s18
                                        ; implicit-def: $vgpr7
.LBB376_328:
	s_and_not1_saveexec_b32 s1, s1
; %bb.329:
	v_mov_b32_e32 v6, 0x7f
	v_cmp_lt_u32_e32 vcc_lo, 0x7f800000, v7
	s_delay_alu instid0(VALU_DEP_2)
	v_cndmask_b32_e32 v6, 0x7e, v6, vcc_lo
; %bb.330:
	s_or_b32 exec_lo, exec_lo, s1
	v_lshrrev_b32_e32 v5, 24, v5
	s_delay_alu instid0(VALU_DEP_1)
	v_and_or_b32 v5, 0x80, v5, v6
	global_store_b8 v[2:3], v5, off
.LBB376_331:
	s_mov_b32 s1, 0
.LBB376_332:
	s_delay_alu instid0(SALU_CYCLE_1)
	s_and_not1_b32 vcc_lo, exec_lo, s1
	s_cbranch_vccnz .LBB376_342
; %bb.333:
	v_xor_b32_e32 v5, v0, v1
	v_cls_i32_e32 v6, v1
	s_mov_b32 s1, exec_lo
	s_delay_alu instid0(VALU_DEP_2) | instskip(NEXT) | instid1(VALU_DEP_2)
	v_ashrrev_i32_e32 v5, 31, v5
	v_add_nc_u32_e32 v6, -1, v6
	s_delay_alu instid0(VALU_DEP_2) | instskip(NEXT) | instid1(VALU_DEP_1)
	v_add_nc_u32_e32 v5, 32, v5
	v_min_u32_e32 v7, v6, v5
	s_delay_alu instid0(VALU_DEP_1) | instskip(NEXT) | instid1(VALU_DEP_1)
	v_lshlrev_b64 v[5:6], v7, v[0:1]
	v_min_u32_e32 v5, 1, v5
	s_delay_alu instid0(VALU_DEP_1) | instskip(SKIP_1) | instid1(VALU_DEP_2)
	v_or_b32_e32 v5, v6, v5
	v_sub_nc_u32_e32 v6, 32, v7
	v_cvt_f32_i32_e32 v5, v5
	s_delay_alu instid0(VALU_DEP_1) | instskip(NEXT) | instid1(VALU_DEP_1)
	v_ldexp_f32 v5, v5, v6
                                        ; implicit-def: $vgpr6
	v_and_b32_e32 v7, 0x7fffffff, v5
	s_delay_alu instid0(VALU_DEP_1)
	v_cmpx_gt_u32_e32 0x47800000, v7
	s_xor_b32 s1, exec_lo, s1
	s_cbranch_execz .LBB376_339
; %bb.334:
	s_mov_b32 s18, exec_lo
                                        ; implicit-def: $vgpr6
	v_cmpx_lt_u32_e32 0x387fffff, v7
	s_xor_b32 s18, exec_lo, s18
; %bb.335:
	v_bfe_u32 v6, v5, 21, 1
	s_delay_alu instid0(VALU_DEP_1) | instskip(NEXT) | instid1(VALU_DEP_1)
	v_add3_u32 v6, v5, v6, 0x80fffff
	v_lshrrev_b32_e32 v6, 21, v6
; %bb.336:
	s_and_not1_saveexec_b32 s18, s18
; %bb.337:
	v_add_f32_e64 v6, 0x43000000, |v5|
; %bb.338:
	s_or_b32 exec_lo, exec_lo, s18
                                        ; implicit-def: $vgpr7
.LBB376_339:
	s_and_not1_saveexec_b32 s1, s1
; %bb.340:
	v_mov_b32_e32 v6, 0x7f
	v_cmp_lt_u32_e32 vcc_lo, 0x7f800000, v7
	s_delay_alu instid0(VALU_DEP_2)
	v_cndmask_b32_e32 v6, 0x7c, v6, vcc_lo
; %bb.341:
	s_or_b32 exec_lo, exec_lo, s1
	v_lshrrev_b32_e32 v5, 24, v5
	s_delay_alu instid0(VALU_DEP_1)
	v_and_or_b32 v5, 0x80, v5, v6
	global_store_b8 v[2:3], v5, off
.LBB376_342:
	s_mov_b32 s18, 0
	s_mov_b32 s1, -1
.LBB376_343:
	s_and_not1_b32 vcc_lo, exec_lo, s18
	s_cbranch_vccnz .LBB376_351
; %bb.344:
	v_cmp_lt_i16_e32 vcc_lo, 14, v4
	s_mov_b32 s18, -1
	s_cbranch_vccz .LBB376_348
; %bb.345:
	v_cmp_eq_u16_e32 vcc_lo, 15, v4
	s_mov_b32 s0, -1
	s_cbranch_vccz .LBB376_347
; %bb.346:
	v_xor_b32_e32 v5, v0, v1
	v_cls_i32_e32 v6, v1
	s_mov_b32 s1, -1
	s_mov_b32 s0, 0
	s_delay_alu instid0(VALU_DEP_2) | instskip(NEXT) | instid1(VALU_DEP_2)
	v_ashrrev_i32_e32 v5, 31, v5
	v_add_nc_u32_e32 v6, -1, v6
	s_delay_alu instid0(VALU_DEP_2) | instskip(NEXT) | instid1(VALU_DEP_1)
	v_add_nc_u32_e32 v5, 32, v5
	v_min_u32_e32 v7, v6, v5
	s_delay_alu instid0(VALU_DEP_1) | instskip(NEXT) | instid1(VALU_DEP_1)
	v_lshlrev_b64 v[5:6], v7, v[0:1]
	v_min_u32_e32 v5, 1, v5
	s_delay_alu instid0(VALU_DEP_1) | instskip(SKIP_1) | instid1(VALU_DEP_2)
	v_or_b32_e32 v5, v6, v5
	v_sub_nc_u32_e32 v6, 32, v7
	v_cvt_f32_i32_e32 v5, v5
	s_delay_alu instid0(VALU_DEP_1) | instskip(NEXT) | instid1(VALU_DEP_1)
	v_ldexp_f32 v5, v5, v6
	v_bfe_u32 v6, v5, 16, 1
	s_delay_alu instid0(VALU_DEP_1)
	v_add3_u32 v5, v5, v6, 0x7fff
	global_store_d16_hi_b16 v[2:3], v5, off
.LBB376_347:
	s_mov_b32 s18, 0
.LBB376_348:
	s_delay_alu instid0(SALU_CYCLE_1)
	s_and_b32 vcc_lo, exec_lo, s18
	s_cbranch_vccz .LBB376_351
; %bb.349:
	v_cmp_eq_u16_e32 vcc_lo, 11, v4
	s_mov_b32 s0, -1
	s_cbranch_vccz .LBB376_351
; %bb.350:
	v_cmp_ne_u64_e32 vcc_lo, 0, v[0:1]
	s_mov_b32 s1, -1
	s_mov_b32 s0, 0
	v_cndmask_b32_e64 v5, 0, 1, vcc_lo
	global_store_b8 v[2:3], v5, off
.LBB376_351:
	s_mov_b32 s18, 0
.LBB376_352:
	s_delay_alu instid0(SALU_CYCLE_1)
	s_and_b32 vcc_lo, exec_lo, s18
	s_cbranch_vccz .LBB376_391
; %bb.353:
	v_cmp_gt_i16_e32 vcc_lo, 5, v4
	s_mov_b32 s1, -1
	s_cbranch_vccnz .LBB376_374
; %bb.354:
	v_cmp_gt_i16_e32 vcc_lo, 8, v4
	s_cbranch_vccnz .LBB376_364
; %bb.355:
	v_cmp_gt_i16_e32 vcc_lo, 9, v4
	s_cbranch_vccnz .LBB376_361
; %bb.356:
	v_cmp_lt_i16_e32 vcc_lo, 9, v4
	s_cbranch_vccz .LBB376_358
; %bb.357:
	v_cvt_f64_i32_e32 v[5:6], v1
	v_cvt_f64_u32_e32 v[7:8], v0
	s_mov_b32 s1, 0
	s_delay_alu instid0(VALU_DEP_2) | instskip(NEXT) | instid1(VALU_DEP_1)
	v_ldexp_f64 v[5:6], v[5:6], 32
	v_add_f64 v[5:6], v[5:6], v[7:8]
	v_mov_b32_e32 v7, 0
	s_delay_alu instid0(VALU_DEP_1)
	v_mov_b32_e32 v8, v7
	global_store_b128 v[2:3], v[5:8], off
.LBB376_358:
	s_and_not1_b32 vcc_lo, exec_lo, s1
	s_cbranch_vccnz .LBB376_360
; %bb.359:
	v_xor_b32_e32 v5, v0, v1
	v_cls_i32_e32 v6, v1
	s_delay_alu instid0(VALU_DEP_2) | instskip(NEXT) | instid1(VALU_DEP_2)
	v_ashrrev_i32_e32 v5, 31, v5
	v_add_nc_u32_e32 v6, -1, v6
	s_delay_alu instid0(VALU_DEP_2) | instskip(NEXT) | instid1(VALU_DEP_1)
	v_add_nc_u32_e32 v5, 32, v5
	v_min_u32_e32 v7, v6, v5
	s_delay_alu instid0(VALU_DEP_1) | instskip(NEXT) | instid1(VALU_DEP_1)
	v_lshlrev_b64 v[5:6], v7, v[0:1]
	v_min_u32_e32 v5, 1, v5
	s_delay_alu instid0(VALU_DEP_1) | instskip(SKIP_1) | instid1(VALU_DEP_2)
	v_or_b32_e32 v5, v6, v5
	v_sub_nc_u32_e32 v6, 32, v7
	v_cvt_f32_i32_e32 v5, v5
	s_delay_alu instid0(VALU_DEP_1)
	v_ldexp_f32 v5, v5, v6
	v_mov_b32_e32 v6, 0
	global_store_b64 v[2:3], v[5:6], off
.LBB376_360:
	s_mov_b32 s1, 0
.LBB376_361:
	s_delay_alu instid0(SALU_CYCLE_1)
	s_and_not1_b32 vcc_lo, exec_lo, s1
	s_cbranch_vccnz .LBB376_363
; %bb.362:
	v_xor_b32_e32 v5, v0, v1
	v_cls_i32_e32 v6, v1
	s_delay_alu instid0(VALU_DEP_2) | instskip(NEXT) | instid1(VALU_DEP_2)
	v_ashrrev_i32_e32 v5, 31, v5
	v_add_nc_u32_e32 v6, -1, v6
	s_delay_alu instid0(VALU_DEP_2) | instskip(NEXT) | instid1(VALU_DEP_1)
	v_add_nc_u32_e32 v5, 32, v5
	v_min_u32_e32 v7, v6, v5
	s_delay_alu instid0(VALU_DEP_1) | instskip(NEXT) | instid1(VALU_DEP_1)
	v_lshlrev_b64 v[5:6], v7, v[0:1]
	v_min_u32_e32 v5, 1, v5
	s_delay_alu instid0(VALU_DEP_1) | instskip(SKIP_1) | instid1(VALU_DEP_2)
	v_or_b32_e32 v5, v6, v5
	v_sub_nc_u32_e32 v6, 32, v7
	v_cvt_f32_i32_e32 v5, v5
	s_delay_alu instid0(VALU_DEP_1) | instskip(NEXT) | instid1(VALU_DEP_1)
	v_ldexp_f32 v5, v5, v6
	v_cvt_f16_f32_e32 v5, v5
	s_delay_alu instid0(VALU_DEP_1)
	v_and_b32_e32 v5, 0xffff, v5
	global_store_b32 v[2:3], v5, off
.LBB376_363:
	s_mov_b32 s1, 0
.LBB376_364:
	s_delay_alu instid0(SALU_CYCLE_1)
	s_and_not1_b32 vcc_lo, exec_lo, s1
	s_cbranch_vccnz .LBB376_373
; %bb.365:
	v_cmp_gt_i16_e32 vcc_lo, 6, v4
	s_mov_b32 s1, -1
	s_cbranch_vccnz .LBB376_371
; %bb.366:
	v_cmp_lt_i16_e32 vcc_lo, 6, v4
	s_cbranch_vccz .LBB376_368
; %bb.367:
	v_cvt_f64_i32_e32 v[5:6], v1
	v_cvt_f64_u32_e32 v[7:8], v0
	s_mov_b32 s1, 0
	s_delay_alu instid0(VALU_DEP_2) | instskip(NEXT) | instid1(VALU_DEP_1)
	v_ldexp_f64 v[5:6], v[5:6], 32
	v_add_f64 v[5:6], v[5:6], v[7:8]
	global_store_b64 v[2:3], v[5:6], off
.LBB376_368:
	s_and_not1_b32 vcc_lo, exec_lo, s1
	s_cbranch_vccnz .LBB376_370
; %bb.369:
	v_xor_b32_e32 v5, v0, v1
	v_cls_i32_e32 v6, v1
	s_delay_alu instid0(VALU_DEP_2) | instskip(NEXT) | instid1(VALU_DEP_2)
	v_ashrrev_i32_e32 v5, 31, v5
	v_add_nc_u32_e32 v6, -1, v6
	s_delay_alu instid0(VALU_DEP_2) | instskip(NEXT) | instid1(VALU_DEP_1)
	v_add_nc_u32_e32 v5, 32, v5
	v_min_u32_e32 v7, v6, v5
	s_delay_alu instid0(VALU_DEP_1) | instskip(NEXT) | instid1(VALU_DEP_1)
	v_lshlrev_b64 v[5:6], v7, v[0:1]
	v_min_u32_e32 v5, 1, v5
	s_delay_alu instid0(VALU_DEP_1) | instskip(SKIP_1) | instid1(VALU_DEP_2)
	v_or_b32_e32 v5, v6, v5
	v_sub_nc_u32_e32 v6, 32, v7
	v_cvt_f32_i32_e32 v5, v5
	s_delay_alu instid0(VALU_DEP_1)
	v_ldexp_f32 v5, v5, v6
	global_store_b32 v[2:3], v5, off
.LBB376_370:
	s_mov_b32 s1, 0
.LBB376_371:
	s_delay_alu instid0(SALU_CYCLE_1)
	s_and_not1_b32 vcc_lo, exec_lo, s1
	s_cbranch_vccnz .LBB376_373
; %bb.372:
	v_xor_b32_e32 v5, v0, v1
	v_cls_i32_e32 v6, v1
	s_delay_alu instid0(VALU_DEP_2) | instskip(NEXT) | instid1(VALU_DEP_2)
	v_ashrrev_i32_e32 v5, 31, v5
	v_add_nc_u32_e32 v6, -1, v6
	s_delay_alu instid0(VALU_DEP_2) | instskip(NEXT) | instid1(VALU_DEP_1)
	v_add_nc_u32_e32 v5, 32, v5
	v_min_u32_e32 v7, v6, v5
	s_delay_alu instid0(VALU_DEP_1) | instskip(NEXT) | instid1(VALU_DEP_1)
	v_lshlrev_b64 v[5:6], v7, v[0:1]
	v_min_u32_e32 v5, 1, v5
	s_delay_alu instid0(VALU_DEP_1) | instskip(SKIP_1) | instid1(VALU_DEP_2)
	v_or_b32_e32 v5, v6, v5
	v_sub_nc_u32_e32 v6, 32, v7
	v_cvt_f32_i32_e32 v5, v5
	s_delay_alu instid0(VALU_DEP_1) | instskip(NEXT) | instid1(VALU_DEP_1)
	v_ldexp_f32 v5, v5, v6
	v_cvt_f16_f32_e32 v5, v5
	global_store_b16 v[2:3], v5, off
.LBB376_373:
	s_mov_b32 s1, 0
.LBB376_374:
	s_delay_alu instid0(SALU_CYCLE_1)
	s_and_not1_b32 vcc_lo, exec_lo, s1
	s_cbranch_vccnz .LBB376_390
; %bb.375:
	v_cmp_gt_i16_e32 vcc_lo, 2, v4
	s_mov_b32 s1, -1
	s_cbranch_vccnz .LBB376_385
; %bb.376:
	v_cmp_gt_i16_e32 vcc_lo, 3, v4
	s_cbranch_vccnz .LBB376_382
; %bb.377:
	v_cmp_lt_i16_e32 vcc_lo, 3, v4
	s_cbranch_vccz .LBB376_379
; %bb.378:
	s_mov_b32 s1, 0
	global_store_b64 v[2:3], v[0:1], off
.LBB376_379:
	s_and_not1_b32 vcc_lo, exec_lo, s1
	s_cbranch_vccnz .LBB376_381
; %bb.380:
	global_store_b32 v[2:3], v0, off
.LBB376_381:
	s_mov_b32 s1, 0
.LBB376_382:
	s_delay_alu instid0(SALU_CYCLE_1)
	s_and_not1_b32 vcc_lo, exec_lo, s1
	s_cbranch_vccnz .LBB376_384
; %bb.383:
	global_store_b16 v[2:3], v0, off
.LBB376_384:
	s_mov_b32 s1, 0
.LBB376_385:
	s_delay_alu instid0(SALU_CYCLE_1)
	s_and_not1_b32 vcc_lo, exec_lo, s1
	s_cbranch_vccnz .LBB376_390
; %bb.386:
	v_cmp_lt_i16_e32 vcc_lo, 0, v4
	s_mov_b32 s1, -1
	s_cbranch_vccz .LBB376_388
; %bb.387:
	s_mov_b32 s1, 0
	global_store_b8 v[2:3], v0, off
.LBB376_388:
	s_and_not1_b32 vcc_lo, exec_lo, s1
	s_cbranch_vccnz .LBB376_390
; %bb.389:
	global_store_b8 v[2:3], v0, off
.LBB376_390:
	s_mov_b32 s1, -1
.LBB376_391:
	s_delay_alu instid0(SALU_CYCLE_1)
	s_and_not1_b32 vcc_lo, exec_lo, s1
	s_cbranch_vccnz .LBB376_393
; %bb.392:
	v_add_nc_u32_e32 v10, 0x80, v10
	s_mov_b32 s1, -1
	s_branch .LBB376_502
.LBB376_393:
	s_mov_b32 s1, 0
	s_branch .LBB376_501
.LBB376_394:
	s_mov_b32 s17, -1
                                        ; implicit-def: $vgpr2_vgpr3
.LBB376_395:
	s_mov_b32 s1, 0
.LBB376_396:
	s_delay_alu instid0(SALU_CYCLE_1)
	s_and_b32 vcc_lo, exec_lo, s1
	s_cbranch_vccz .LBB376_400
; %bb.397:
	v_cmp_eq_u16_e32 vcc_lo, 29, v11
	s_cbranch_vccz .LBB376_399
; %bb.398:
	global_load_b64 v[2:3], v[0:1], off
	s_mov_b32 s0, -1
	s_mov_b32 s17, 0
	s_branch .LBB376_400
.LBB376_399:
	s_mov_b32 s17, -1
                                        ; implicit-def: $vgpr2_vgpr3
.LBB376_400:
	s_mov_b32 s1, 0
.LBB376_401:
	s_delay_alu instid0(SALU_CYCLE_1)
	s_and_b32 vcc_lo, exec_lo, s1
	s_cbranch_vccz .LBB376_419
; %bb.402:
	v_cmp_gt_i16_e32 vcc_lo, 27, v11
	s_cbranch_vccnz .LBB376_405
; %bb.403:
	v_cmp_lt_i16_e32 vcc_lo, 27, v11
	s_cbranch_vccz .LBB376_406
; %bb.404:
	global_load_b32 v2, v[0:1], off
	s_waitcnt vmcnt(1)
	v_mov_b32_e32 v3, 0
	s_mov_b32 s0, 0
	s_branch .LBB376_407
.LBB376_405:
	s_mov_b32 s0, -1
                                        ; implicit-def: $vgpr2_vgpr3
	s_branch .LBB376_410
.LBB376_406:
	s_mov_b32 s0, -1
                                        ; implicit-def: $vgpr2_vgpr3
.LBB376_407:
	s_delay_alu instid0(SALU_CYCLE_1)
	s_and_not1_b32 vcc_lo, exec_lo, s0
	s_cbranch_vccnz .LBB376_409
; %bb.408:
	global_load_u16 v2, v[0:1], off
	s_mov_b32 s0, 0
	s_waitcnt vmcnt(0)
	v_dual_mov_b32 v3, s0 :: v_dual_and_b32 v2, 0xffff, v2
.LBB376_409:
	s_mov_b32 s0, 0
.LBB376_410:
	s_delay_alu instid0(SALU_CYCLE_1)
	s_and_not1_b32 vcc_lo, exec_lo, s0
	s_cbranch_vccnz .LBB376_418
; %bb.411:
	global_load_u8 v4, v[0:1], off
	s_mov_b32 s18, 0
	s_mov_b32 s20, exec_lo
                                        ; implicit-def: $sgpr0_sgpr1
	s_waitcnt vmcnt(0)
	v_cmpx_lt_i16_e32 0x7f, v4
	s_xor_b32 s20, exec_lo, s20
; %bb.412:
	v_cmp_ne_u16_e32 vcc_lo, 0x80, v4
	s_mov_b64 s[0:1], 0
	s_and_b32 s18, vcc_lo, exec_lo
; %bb.413:
	s_or_saveexec_b32 s20, s20
	v_dual_mov_b32 v3, s1 :: v_dual_mov_b32 v2, s0
	s_xor_b32 exec_lo, exec_lo, s20
; %bb.414:
	v_cmp_ne_u16_e32 vcc_lo, 0, v4
	v_mov_b32_e32 v2, 0
	v_mov_b32_e32 v3, 0
	s_and_not1_b32 s0, s18, exec_lo
	s_and_b32 s1, vcc_lo, exec_lo
	s_delay_alu instid0(SALU_CYCLE_1)
	s_or_b32 s18, s0, s1
; %bb.415:
	s_or_b32 exec_lo, exec_lo, s20
	s_and_saveexec_b32 s0, s18
	s_cbranch_execz .LBB376_417
; %bb.416:
	v_and_b32_e32 v2, 0xffff, v4
	v_lshlrev_b32_e32 v4, 24, v4
	s_delay_alu instid0(VALU_DEP_2) | instskip(NEXT) | instid1(VALU_DEP_2)
	v_and_b32_e32 v3, 7, v2
	v_and_b32_e32 v4, 0x80000000, v4
	s_delay_alu instid0(VALU_DEP_2) | instskip(NEXT) | instid1(VALU_DEP_1)
	v_clz_i32_u32_e32 v5, v3
	v_min_u32_e32 v5, 32, v5
	s_delay_alu instid0(VALU_DEP_1) | instskip(SKIP_1) | instid1(VALU_DEP_2)
	v_subrev_nc_u32_e32 v6, 28, v5
	v_sub_nc_u32_e32 v5, 29, v5
	v_lshlrev_b32_e32 v6, v6, v2
	v_bfe_u32 v2, v2, 3, 4
	s_delay_alu instid0(VALU_DEP_2) | instskip(NEXT) | instid1(VALU_DEP_2)
	v_and_b32_e32 v6, 7, v6
	v_cmp_eq_u32_e32 vcc_lo, 0, v2
	s_delay_alu instid0(VALU_DEP_2) | instskip(NEXT) | instid1(VALU_DEP_1)
	v_dual_cndmask_b32 v2, v2, v5 :: v_dual_cndmask_b32 v3, v3, v6
	v_lshl_add_u32 v2, v2, 23, 0x3b800000
	s_delay_alu instid0(VALU_DEP_2) | instskip(NEXT) | instid1(VALU_DEP_1)
	v_lshlrev_b32_e32 v3, 20, v3
	v_or3_b32 v2, v4, v2, v3
	s_delay_alu instid0(VALU_DEP_1) | instskip(NEXT) | instid1(VALU_DEP_1)
	v_trunc_f32_e32 v2, v2
	v_mul_f32_e64 v3, 0x2f800000, |v2|
	v_ashrrev_i32_e32 v5, 31, v2
	s_delay_alu instid0(VALU_DEP_2) | instskip(NEXT) | instid1(VALU_DEP_1)
	v_floor_f32_e32 v3, v3
	v_fma_f32 v4, 0xcf800000, v3, |v2|
	v_cvt_u32_f32_e32 v3, v3
	s_delay_alu instid0(VALU_DEP_2) | instskip(NEXT) | instid1(VALU_DEP_2)
	v_cvt_u32_f32_e32 v2, v4
	v_xor_b32_e32 v3, v3, v5
	s_delay_alu instid0(VALU_DEP_2) | instskip(NEXT) | instid1(VALU_DEP_1)
	v_xor_b32_e32 v2, v2, v5
	v_sub_co_u32 v2, vcc_lo, v2, v5
	s_delay_alu instid0(VALU_DEP_3)
	v_sub_co_ci_u32_e32 v3, vcc_lo, v3, v5, vcc_lo
.LBB376_417:
	s_or_b32 exec_lo, exec_lo, s0
.LBB376_418:
	s_mov_b32 s0, -1
.LBB376_419:
	s_mov_b32 s1, 0
.LBB376_420:
	s_delay_alu instid0(SALU_CYCLE_1)
	s_and_b32 vcc_lo, exec_lo, s1
	s_cbranch_vccz .LBB376_451
; %bb.421:
	v_cmp_lt_i16_e32 vcc_lo, 22, v11
	s_cbranch_vccz .LBB376_431
; %bb.422:
	v_cmp_gt_i16_e32 vcc_lo, 24, v11
	s_cbranch_vccnz .LBB376_432
; %bb.423:
	v_cmp_lt_i16_e32 vcc_lo, 24, v11
	s_cbranch_vccz .LBB376_433
; %bb.424:
	global_load_u8 v4, v[0:1], off
	s_mov_b32 s18, 0
	s_mov_b32 s20, exec_lo
                                        ; implicit-def: $sgpr0_sgpr1
	s_waitcnt vmcnt(0)
	v_cmpx_lt_i16_e32 0x7f, v4
	s_xor_b32 s20, exec_lo, s20
; %bb.425:
	v_cmp_ne_u16_e32 vcc_lo, 0x80, v4
	s_mov_b64 s[0:1], 0
	s_and_b32 s18, vcc_lo, exec_lo
; %bb.426:
	s_or_saveexec_b32 s20, s20
	v_dual_mov_b32 v3, s1 :: v_dual_mov_b32 v2, s0
	s_xor_b32 exec_lo, exec_lo, s20
; %bb.427:
	v_cmp_ne_u16_e32 vcc_lo, 0, v4
	v_mov_b32_e32 v2, 0
	v_mov_b32_e32 v3, 0
	s_and_not1_b32 s0, s18, exec_lo
	s_and_b32 s1, vcc_lo, exec_lo
	s_delay_alu instid0(SALU_CYCLE_1)
	s_or_b32 s18, s0, s1
; %bb.428:
	s_or_b32 exec_lo, exec_lo, s20
	s_and_saveexec_b32 s0, s18
	s_cbranch_execz .LBB376_430
; %bb.429:
	v_and_b32_e32 v2, 0xffff, v4
	v_lshlrev_b32_e32 v4, 24, v4
	s_delay_alu instid0(VALU_DEP_2) | instskip(NEXT) | instid1(VALU_DEP_2)
	v_and_b32_e32 v3, 3, v2
	v_and_b32_e32 v4, 0x80000000, v4
	s_delay_alu instid0(VALU_DEP_2) | instskip(NEXT) | instid1(VALU_DEP_1)
	v_clz_i32_u32_e32 v5, v3
	v_min_u32_e32 v5, 32, v5
	s_delay_alu instid0(VALU_DEP_1) | instskip(SKIP_1) | instid1(VALU_DEP_2)
	v_subrev_nc_u32_e32 v6, 29, v5
	v_sub_nc_u32_e32 v5, 30, v5
	v_lshlrev_b32_e32 v6, v6, v2
	v_bfe_u32 v2, v2, 2, 5
	s_delay_alu instid0(VALU_DEP_2) | instskip(NEXT) | instid1(VALU_DEP_2)
	v_and_b32_e32 v6, 3, v6
	v_cmp_eq_u32_e32 vcc_lo, 0, v2
	s_delay_alu instid0(VALU_DEP_2) | instskip(NEXT) | instid1(VALU_DEP_1)
	v_dual_cndmask_b32 v2, v2, v5 :: v_dual_cndmask_b32 v3, v3, v6
	v_lshl_add_u32 v2, v2, 23, 0x37800000
	s_delay_alu instid0(VALU_DEP_2) | instskip(NEXT) | instid1(VALU_DEP_1)
	v_lshlrev_b32_e32 v3, 21, v3
	v_or3_b32 v2, v4, v2, v3
	s_delay_alu instid0(VALU_DEP_1) | instskip(NEXT) | instid1(VALU_DEP_1)
	v_trunc_f32_e32 v2, v2
	v_mul_f32_e64 v3, 0x2f800000, |v2|
	v_ashrrev_i32_e32 v5, 31, v2
	s_delay_alu instid0(VALU_DEP_2) | instskip(NEXT) | instid1(VALU_DEP_1)
	v_floor_f32_e32 v3, v3
	v_fma_f32 v4, 0xcf800000, v3, |v2|
	v_cvt_u32_f32_e32 v3, v3
	s_delay_alu instid0(VALU_DEP_2) | instskip(NEXT) | instid1(VALU_DEP_2)
	v_cvt_u32_f32_e32 v2, v4
	v_xor_b32_e32 v3, v3, v5
	s_delay_alu instid0(VALU_DEP_2) | instskip(NEXT) | instid1(VALU_DEP_1)
	v_xor_b32_e32 v2, v2, v5
	v_sub_co_u32 v2, vcc_lo, v2, v5
	s_delay_alu instid0(VALU_DEP_3)
	v_sub_co_ci_u32_e32 v3, vcc_lo, v3, v5, vcc_lo
.LBB376_430:
	s_or_b32 exec_lo, exec_lo, s0
	s_mov_b32 s0, 0
	s_branch .LBB376_434
.LBB376_431:
	s_mov_b32 s1, -1
                                        ; implicit-def: $vgpr2_vgpr3
	s_branch .LBB376_440
.LBB376_432:
	s_mov_b32 s0, -1
                                        ; implicit-def: $vgpr2_vgpr3
	s_branch .LBB376_437
.LBB376_433:
	s_mov_b32 s0, -1
                                        ; implicit-def: $vgpr2_vgpr3
.LBB376_434:
	s_delay_alu instid0(SALU_CYCLE_1)
	s_and_b32 vcc_lo, exec_lo, s0
	s_cbranch_vccz .LBB376_436
; %bb.435:
	global_load_u8 v2, v[0:1], off
	s_waitcnt vmcnt(0)
	v_lshlrev_b32_e32 v2, 24, v2
	s_delay_alu instid0(VALU_DEP_1) | instskip(NEXT) | instid1(VALU_DEP_1)
	v_and_b32_e32 v3, 0x7f000000, v2
	v_clz_i32_u32_e32 v4, v3
	v_add_nc_u32_e32 v6, 0x1000000, v3
	v_cmp_ne_u32_e32 vcc_lo, 0, v3
	s_delay_alu instid0(VALU_DEP_3) | instskip(NEXT) | instid1(VALU_DEP_1)
	v_min_u32_e32 v4, 32, v4
	v_sub_nc_u32_e64 v4, v4, 4 clamp
	s_delay_alu instid0(VALU_DEP_1) | instskip(SKIP_1) | instid1(VALU_DEP_2)
	v_lshlrev_b32_e32 v5, v4, v3
	v_lshlrev_b32_e32 v4, 23, v4
	v_lshrrev_b32_e32 v5, 4, v5
	s_delay_alu instid0(VALU_DEP_1) | instskip(SKIP_1) | instid1(VALU_DEP_2)
	v_sub_nc_u32_e32 v4, v5, v4
	v_ashrrev_i32_e32 v5, 8, v6
	v_add_nc_u32_e32 v4, 0x3c000000, v4
	s_delay_alu instid0(VALU_DEP_1) | instskip(NEXT) | instid1(VALU_DEP_1)
	v_and_or_b32 v4, 0x7f800000, v5, v4
	v_cndmask_b32_e32 v3, 0, v4, vcc_lo
	s_delay_alu instid0(VALU_DEP_1) | instskip(NEXT) | instid1(VALU_DEP_1)
	v_and_or_b32 v2, 0x80000000, v2, v3
	v_trunc_f32_e32 v2, v2
	s_delay_alu instid0(VALU_DEP_1) | instskip(SKIP_1) | instid1(VALU_DEP_2)
	v_mul_f32_e64 v3, 0x2f800000, |v2|
	v_ashrrev_i32_e32 v5, 31, v2
	v_floor_f32_e32 v3, v3
	s_delay_alu instid0(VALU_DEP_1) | instskip(SKIP_1) | instid1(VALU_DEP_2)
	v_fma_f32 v4, 0xcf800000, v3, |v2|
	v_cvt_u32_f32_e32 v3, v3
	v_cvt_u32_f32_e32 v2, v4
	s_delay_alu instid0(VALU_DEP_2) | instskip(NEXT) | instid1(VALU_DEP_2)
	v_xor_b32_e32 v3, v3, v5
	v_xor_b32_e32 v2, v2, v5
	s_delay_alu instid0(VALU_DEP_1) | instskip(NEXT) | instid1(VALU_DEP_3)
	v_sub_co_u32 v2, vcc_lo, v2, v5
	v_sub_co_ci_u32_e32 v3, vcc_lo, v3, v5, vcc_lo
.LBB376_436:
	s_mov_b32 s0, 0
.LBB376_437:
	s_delay_alu instid0(SALU_CYCLE_1)
	s_and_not1_b32 vcc_lo, exec_lo, s0
	s_cbranch_vccnz .LBB376_439
; %bb.438:
	global_load_u8 v2, v[0:1], off
	s_waitcnt vmcnt(0)
	v_lshlrev_b32_e32 v3, 25, v2
	v_lshlrev_b16 v2, 8, v2
	s_delay_alu instid0(VALU_DEP_2) | instskip(NEXT) | instid1(VALU_DEP_2)
	v_lshrrev_b32_e32 v4, 4, v3
	v_and_or_b32 v5, 0x7f00, v2, 0.5
	v_bfe_i32 v2, v2, 0, 16
	s_delay_alu instid0(VALU_DEP_3) | instskip(NEXT) | instid1(VALU_DEP_1)
	v_or_b32_e32 v4, 0x70000000, v4
	v_dual_add_f32 v5, -0.5, v5 :: v_dual_mul_f32 v4, 0x7800000, v4
	v_cmp_gt_u32_e32 vcc_lo, 0x8000000, v3
	s_delay_alu instid0(VALU_DEP_2) | instskip(NEXT) | instid1(VALU_DEP_1)
	v_cndmask_b32_e32 v3, v4, v5, vcc_lo
	v_and_or_b32 v2, 0x80000000, v2, v3
	s_delay_alu instid0(VALU_DEP_1) | instskip(NEXT) | instid1(VALU_DEP_1)
	v_trunc_f32_e32 v2, v2
	v_mul_f32_e64 v3, 0x2f800000, |v2|
	v_ashrrev_i32_e32 v5, 31, v2
	s_delay_alu instid0(VALU_DEP_2) | instskip(NEXT) | instid1(VALU_DEP_1)
	v_floor_f32_e32 v3, v3
	v_fma_f32 v4, 0xcf800000, v3, |v2|
	v_cvt_u32_f32_e32 v3, v3
	s_delay_alu instid0(VALU_DEP_2) | instskip(NEXT) | instid1(VALU_DEP_2)
	v_cvt_u32_f32_e32 v2, v4
	v_xor_b32_e32 v3, v3, v5
	s_delay_alu instid0(VALU_DEP_2) | instskip(NEXT) | instid1(VALU_DEP_1)
	v_xor_b32_e32 v2, v2, v5
	v_sub_co_u32 v2, vcc_lo, v2, v5
	s_delay_alu instid0(VALU_DEP_3)
	v_sub_co_ci_u32_e32 v3, vcc_lo, v3, v5, vcc_lo
.LBB376_439:
	s_mov_b32 s1, 0
	s_mov_b32 s0, -1
.LBB376_440:
	s_and_not1_b32 vcc_lo, exec_lo, s1
	s_cbranch_vccnz .LBB376_451
; %bb.441:
	v_cmp_lt_i16_e32 vcc_lo, 14, v11
	s_cbranch_vccz .LBB376_444
; %bb.442:
	v_cmp_eq_u16_e32 vcc_lo, 15, v11
	s_cbranch_vccz .LBB376_445
; %bb.443:
	global_load_u16 v2, v[0:1], off
	s_mov_b32 s0, -1
	s_mov_b32 s17, 0
	s_waitcnt vmcnt(0)
	v_lshlrev_b32_e32 v2, 16, v2
	s_delay_alu instid0(VALU_DEP_1) | instskip(NEXT) | instid1(VALU_DEP_1)
	v_trunc_f32_e32 v2, v2
	v_mul_f32_e64 v3, 0x2f800000, |v2|
	v_ashrrev_i32_e32 v5, 31, v2
	s_delay_alu instid0(VALU_DEP_2) | instskip(NEXT) | instid1(VALU_DEP_1)
	v_floor_f32_e32 v3, v3
	v_fma_f32 v4, 0xcf800000, v3, |v2|
	v_cvt_u32_f32_e32 v3, v3
	s_delay_alu instid0(VALU_DEP_2) | instskip(NEXT) | instid1(VALU_DEP_2)
	v_cvt_u32_f32_e32 v2, v4
	v_xor_b32_e32 v3, v3, v5
	s_delay_alu instid0(VALU_DEP_2) | instskip(NEXT) | instid1(VALU_DEP_1)
	v_xor_b32_e32 v2, v2, v5
	v_sub_co_u32 v2, vcc_lo, v2, v5
	s_delay_alu instid0(VALU_DEP_3)
	v_sub_co_ci_u32_e32 v3, vcc_lo, v3, v5, vcc_lo
	s_branch .LBB376_446
.LBB376_444:
	s_mov_b32 s1, -1
                                        ; implicit-def: $vgpr2_vgpr3
	s_branch .LBB376_447
.LBB376_445:
	s_mov_b32 s17, -1
                                        ; implicit-def: $vgpr2_vgpr3
.LBB376_446:
	s_mov_b32 s1, 0
.LBB376_447:
	s_delay_alu instid0(SALU_CYCLE_1)
	s_and_b32 vcc_lo, exec_lo, s1
	s_cbranch_vccz .LBB376_451
; %bb.448:
	v_cmp_eq_u16_e32 vcc_lo, 11, v11
	s_cbranch_vccz .LBB376_450
; %bb.449:
	global_load_u8 v2, v[0:1], off
	s_mov_b32 s17, 0
	s_mov_b32 s0, -1
	s_waitcnt vmcnt(1)
	v_mov_b32_e32 v3, s17
	s_waitcnt vmcnt(0)
	v_cmp_ne_u16_e32 vcc_lo, 0, v2
	v_cndmask_b32_e64 v2, 0, 1, vcc_lo
	s_branch .LBB376_451
.LBB376_450:
	s_mov_b32 s17, -1
                                        ; implicit-def: $vgpr2_vgpr3
.LBB376_451:
	s_branch .LBB376_257
.LBB376_452:
	v_cmp_gt_i16_e32 vcc_lo, 5, v11
	s_cbranch_vccnz .LBB376_457
; %bb.453:
	v_cmp_gt_i16_e32 vcc_lo, 8, v11
	s_cbranch_vccnz .LBB376_458
; %bb.454:
	;; [unrolled: 3-line block ×3, first 2 shown]
	v_cmp_lt_i16_e32 vcc_lo, 9, v11
	s_cbranch_vccz .LBB376_460
; %bb.456:
	global_load_b64 v[2:3], v[0:1], off
	s_mov_b32 s0, 0
	s_waitcnt vmcnt(0)
	v_trunc_f64_e32 v[2:3], v[2:3]
	s_delay_alu instid0(VALU_DEP_1) | instskip(NEXT) | instid1(VALU_DEP_1)
	v_ldexp_f64 v[4:5], v[2:3], 0xffffffe0
	v_floor_f64_e32 v[4:5], v[4:5]
	s_delay_alu instid0(VALU_DEP_1) | instskip(SKIP_1) | instid1(VALU_DEP_2)
	v_fma_f64 v[6:7], 0xc1f00000, v[4:5], v[2:3]
	v_cvt_i32_f64_e32 v3, v[4:5]
	v_cvt_u32_f64_e32 v2, v[6:7]
	s_branch .LBB376_461
.LBB376_457:
	s_mov_b32 s0, -1
                                        ; implicit-def: $vgpr2_vgpr3
	s_branch .LBB376_479
.LBB376_458:
	s_mov_b32 s0, -1
                                        ; implicit-def: $vgpr2_vgpr3
	s_branch .LBB376_467
.LBB376_459:
	s_mov_b32 s0, -1
                                        ; implicit-def: $vgpr2_vgpr3
	s_branch .LBB376_464
.LBB376_460:
	s_mov_b32 s0, -1
                                        ; implicit-def: $vgpr2_vgpr3
.LBB376_461:
	s_delay_alu instid0(SALU_CYCLE_1)
	s_and_not1_b32 vcc_lo, exec_lo, s0
	s_cbranch_vccnz .LBB376_463
; %bb.462:
	global_load_b32 v2, v[0:1], off
	s_waitcnt vmcnt(0)
	v_trunc_f32_e32 v2, v2
	s_delay_alu instid0(VALU_DEP_1) | instskip(SKIP_1) | instid1(VALU_DEP_2)
	v_mul_f32_e64 v3, 0x2f800000, |v2|
	v_ashrrev_i32_e32 v5, 31, v2
	v_floor_f32_e32 v3, v3
	s_delay_alu instid0(VALU_DEP_1) | instskip(SKIP_1) | instid1(VALU_DEP_2)
	v_fma_f32 v4, 0xcf800000, v3, |v2|
	v_cvt_u32_f32_e32 v3, v3
	v_cvt_u32_f32_e32 v2, v4
	s_delay_alu instid0(VALU_DEP_2) | instskip(NEXT) | instid1(VALU_DEP_2)
	v_xor_b32_e32 v3, v3, v5
	v_xor_b32_e32 v2, v2, v5
	s_delay_alu instid0(VALU_DEP_1) | instskip(NEXT) | instid1(VALU_DEP_3)
	v_sub_co_u32 v2, vcc_lo, v2, v5
	v_sub_co_ci_u32_e32 v3, vcc_lo, v3, v5, vcc_lo
.LBB376_463:
	s_mov_b32 s0, 0
.LBB376_464:
	s_delay_alu instid0(SALU_CYCLE_1)
	s_and_not1_b32 vcc_lo, exec_lo, s0
	s_cbranch_vccnz .LBB376_466
; %bb.465:
	global_load_b32 v2, v[0:1], off
	s_waitcnt vmcnt(0)
	v_cvt_f32_f16_e32 v2, v2
	s_delay_alu instid0(VALU_DEP_1) | instskip(NEXT) | instid1(VALU_DEP_1)
	v_cvt_i32_f32_e32 v2, v2
	v_ashrrev_i32_e32 v3, 31, v2
.LBB376_466:
	s_mov_b32 s0, 0
.LBB376_467:
	s_delay_alu instid0(SALU_CYCLE_1)
	s_and_not1_b32 vcc_lo, exec_lo, s0
	s_cbranch_vccnz .LBB376_478
; %bb.468:
	v_cmp_gt_i16_e32 vcc_lo, 6, v11
	s_cbranch_vccnz .LBB376_471
; %bb.469:
	v_cmp_lt_i16_e32 vcc_lo, 6, v11
	s_cbranch_vccz .LBB376_472
; %bb.470:
	global_load_b64 v[2:3], v[0:1], off
	s_mov_b32 s0, 0
	s_waitcnt vmcnt(0)
	v_trunc_f64_e32 v[2:3], v[2:3]
	s_delay_alu instid0(VALU_DEP_1) | instskip(NEXT) | instid1(VALU_DEP_1)
	v_ldexp_f64 v[4:5], v[2:3], 0xffffffe0
	v_floor_f64_e32 v[4:5], v[4:5]
	s_delay_alu instid0(VALU_DEP_1) | instskip(SKIP_1) | instid1(VALU_DEP_2)
	v_fma_f64 v[6:7], 0xc1f00000, v[4:5], v[2:3]
	v_cvt_i32_f64_e32 v3, v[4:5]
	v_cvt_u32_f64_e32 v2, v[6:7]
	s_branch .LBB376_473
.LBB376_471:
	s_mov_b32 s0, -1
                                        ; implicit-def: $vgpr2_vgpr3
	s_branch .LBB376_476
.LBB376_472:
	s_mov_b32 s0, -1
                                        ; implicit-def: $vgpr2_vgpr3
.LBB376_473:
	s_delay_alu instid0(SALU_CYCLE_1)
	s_and_not1_b32 vcc_lo, exec_lo, s0
	s_cbranch_vccnz .LBB376_475
; %bb.474:
	global_load_b32 v2, v[0:1], off
	s_waitcnt vmcnt(0)
	v_trunc_f32_e32 v2, v2
	s_delay_alu instid0(VALU_DEP_1) | instskip(SKIP_1) | instid1(VALU_DEP_2)
	v_mul_f32_e64 v3, 0x2f800000, |v2|
	v_ashrrev_i32_e32 v5, 31, v2
	v_floor_f32_e32 v3, v3
	s_delay_alu instid0(VALU_DEP_1) | instskip(SKIP_1) | instid1(VALU_DEP_2)
	v_fma_f32 v4, 0xcf800000, v3, |v2|
	v_cvt_u32_f32_e32 v3, v3
	v_cvt_u32_f32_e32 v2, v4
	s_delay_alu instid0(VALU_DEP_2) | instskip(NEXT) | instid1(VALU_DEP_2)
	v_xor_b32_e32 v3, v3, v5
	v_xor_b32_e32 v2, v2, v5
	s_delay_alu instid0(VALU_DEP_1) | instskip(NEXT) | instid1(VALU_DEP_3)
	v_sub_co_u32 v2, vcc_lo, v2, v5
	v_sub_co_ci_u32_e32 v3, vcc_lo, v3, v5, vcc_lo
.LBB376_475:
	s_mov_b32 s0, 0
.LBB376_476:
	s_delay_alu instid0(SALU_CYCLE_1)
	s_and_not1_b32 vcc_lo, exec_lo, s0
	s_cbranch_vccnz .LBB376_478
; %bb.477:
	global_load_u16 v2, v[0:1], off
	s_waitcnt vmcnt(0)
	v_cvt_f32_f16_e32 v2, v2
	s_delay_alu instid0(VALU_DEP_1) | instskip(NEXT) | instid1(VALU_DEP_1)
	v_cvt_i32_f32_e32 v2, v2
	v_ashrrev_i32_e32 v3, 31, v2
.LBB376_478:
	s_mov_b32 s0, 0
.LBB376_479:
	s_delay_alu instid0(SALU_CYCLE_1)
	s_and_not1_b32 vcc_lo, exec_lo, s0
	s_cbranch_vccnz .LBB376_499
; %bb.480:
	v_cmp_gt_i16_e32 vcc_lo, 2, v11
	s_cbranch_vccnz .LBB376_484
; %bb.481:
	v_cmp_gt_i16_e32 vcc_lo, 3, v11
	s_cbranch_vccnz .LBB376_485
; %bb.482:
	v_cmp_lt_i16_e32 vcc_lo, 3, v11
	s_cbranch_vccz .LBB376_486
; %bb.483:
	global_load_b64 v[2:3], v[0:1], off
	s_mov_b32 s0, 0
	s_branch .LBB376_487
.LBB376_484:
	s_mov_b32 s0, -1
                                        ; implicit-def: $vgpr2_vgpr3
	s_branch .LBB376_493
.LBB376_485:
	s_mov_b32 s0, -1
                                        ; implicit-def: $vgpr2_vgpr3
	s_branch .LBB376_490
.LBB376_486:
	s_mov_b32 s0, -1
                                        ; implicit-def: $vgpr2_vgpr3
.LBB376_487:
	s_delay_alu instid0(SALU_CYCLE_1)
	s_and_not1_b32 vcc_lo, exec_lo, s0
	s_cbranch_vccnz .LBB376_489
; %bb.488:
	global_load_b32 v2, v[0:1], off
	s_waitcnt vmcnt(0)
	v_ashrrev_i32_e32 v3, 31, v2
.LBB376_489:
	s_mov_b32 s0, 0
.LBB376_490:
	s_delay_alu instid0(SALU_CYCLE_1)
	s_and_not1_b32 vcc_lo, exec_lo, s0
	s_cbranch_vccnz .LBB376_492
; %bb.491:
	global_load_u16 v2, v[0:1], off
	s_waitcnt vmcnt(0)
	v_bfe_i32 v2, v2, 0, 16
	s_delay_alu instid0(VALU_DEP_1)
	v_ashrrev_i32_e32 v3, 31, v2
.LBB376_492:
	s_mov_b32 s0, 0
.LBB376_493:
	s_delay_alu instid0(SALU_CYCLE_1)
	s_and_not1_b32 vcc_lo, exec_lo, s0
	s_cbranch_vccnz .LBB376_499
; %bb.494:
	v_cmp_lt_i16_e32 vcc_lo, 0, v11
	s_mov_b32 s0, 0
	s_cbranch_vccz .LBB376_496
; %bb.495:
	global_load_i8 v2, v[0:1], off
	s_waitcnt vmcnt(0)
	v_bfe_i32 v2, v2, 0, 16
	s_delay_alu instid0(VALU_DEP_1)
	v_ashrrev_i32_e32 v3, 31, v2
	s_branch .LBB376_497
.LBB376_496:
	s_mov_b32 s0, -1
                                        ; implicit-def: $vgpr2_vgpr3
.LBB376_497:
	s_delay_alu instid0(SALU_CYCLE_1)
	s_and_not1_b32 vcc_lo, exec_lo, s0
	s_cbranch_vccnz .LBB376_499
; %bb.498:
	global_load_u8 v0, v[0:1], off
	s_mov_b32 s0, 0
	s_waitcnt vmcnt(0)
	v_dual_mov_b32 v3, s0 :: v_dual_and_b32 v2, 0xffff, v0
.LBB376_499:
	s_branch .LBB376_258
.LBB376_500:
	s_mov_b32 s1, 0
	s_mov_b32 s0, s13
.LBB376_501:
                                        ; implicit-def: $vgpr10
.LBB376_502:
	s_and_not1_b32 s18, s13, exec_lo
	s_and_b32 s0, s0, exec_lo
	s_and_not1_b32 s20, s15, exec_lo
	s_and_b32 s17, s17, exec_lo
	s_or_b32 s18, s18, s0
	s_or_b32 s17, s20, s17
	s_or_not1_b32 s21, s1, exec_lo
.LBB376_503:
	s_or_b32 exec_lo, exec_lo, s19
	s_mov_b32 s1, 0
	s_mov_b32 s20, 0
	;; [unrolled: 1-line block ×3, first 2 shown]
                                        ; implicit-def: $vgpr0_vgpr1
                                        ; implicit-def: $vgpr4_vgpr5
	s_and_saveexec_b32 s19, s21
	s_cbranch_execz .LBB376_842
; %bb.504:
	s_mov_b32 s0, -1
	s_mov_b32 s21, s17
	s_mov_b32 s22, s18
	s_mov_b32 s20, exec_lo
	v_cmpx_gt_i32_e64 s14, v10
	s_cbranch_execz .LBB376_760
; %bb.505:
	v_mul_lo_u32 v0, v10, s9
	v_cmp_gt_i16_e32 vcc_lo, 11, v11
	s_delay_alu instid0(VALU_DEP_2) | instskip(SKIP_1) | instid1(VALU_DEP_1)
	v_ashrrev_i32_e32 v1, 31, v0
	v_add_co_u32 v0, s0, s6, v0
	v_add_co_ci_u32_e64 v1, s0, s7, v1, s0
	s_cbranch_vccnz .LBB376_512
; %bb.506:
	v_cmp_lt_i16_e32 vcc_lo, 25, v11
	s_cbranch_vccz .LBB376_513
; %bb.507:
	v_cmp_lt_i16_e32 vcc_lo, 28, v11
	s_cbranch_vccz .LBB376_514
	;; [unrolled: 3-line block ×4, first 2 shown]
; %bb.510:
	v_cmp_eq_u16_e32 vcc_lo, 46, v11
	s_cbranch_vccz .LBB376_521
; %bb.511:
	global_load_b32 v2, v[0:1], off
	s_mov_b32 s0, -1
	s_mov_b32 s21, 0
	s_waitcnt vmcnt(0)
	v_lshlrev_b32_e32 v2, 16, v2
	s_delay_alu instid0(VALU_DEP_1) | instskip(NEXT) | instid1(VALU_DEP_1)
	v_trunc_f32_e32 v2, v2
	v_mul_f32_e64 v3, 0x2f800000, |v2|
	v_ashrrev_i32_e32 v5, 31, v2
	s_delay_alu instid0(VALU_DEP_2) | instskip(NEXT) | instid1(VALU_DEP_1)
	v_floor_f32_e32 v3, v3
	v_fma_f32 v4, 0xcf800000, v3, |v2|
	v_cvt_u32_f32_e32 v3, v3
	s_delay_alu instid0(VALU_DEP_2) | instskip(NEXT) | instid1(VALU_DEP_2)
	v_cvt_u32_f32_e32 v2, v4
	v_xor_b32_e32 v3, v3, v5
	s_delay_alu instid0(VALU_DEP_2) | instskip(NEXT) | instid1(VALU_DEP_1)
	v_xor_b32_e32 v2, v2, v5
	v_sub_co_u32 v2, vcc_lo, v2, v5
	s_delay_alu instid0(VALU_DEP_3)
	v_sub_co_ci_u32_e32 v3, vcc_lo, v3, v5, vcc_lo
	s_branch .LBB376_523
.LBB376_512:
	s_mov_b32 s1, -1
	s_mov_b32 s0, 0
	s_mov_b32 s21, s17
                                        ; implicit-def: $vgpr2_vgpr3
	s_branch .LBB376_584
.LBB376_513:
	s_mov_b32 s1, -1
	s_mov_b32 s0, 0
	s_mov_b32 s21, s17
                                        ; implicit-def: $vgpr2_vgpr3
	s_branch .LBB376_552
.LBB376_514:
	s_mov_b32 s1, -1
	s_mov_b32 s0, 0
	s_mov_b32 s21, s17
                                        ; implicit-def: $vgpr2_vgpr3
	s_branch .LBB376_533
.LBB376_515:
	s_mov_b32 s1, -1
	s_mov_b32 s0, 0
	s_mov_b32 s21, s17
                                        ; implicit-def: $vgpr2_vgpr3
	s_branch .LBB376_528
.LBB376_516:
	s_or_saveexec_b32 s20, s20
                                        ; implicit-def: $sgpr21
	s_delay_alu instid0(SALU_CYCLE_1)
	s_xor_b32 exec_lo, exec_lo, s20
	s_cbranch_execz .LBB376_304
.LBB376_517:
	v_add_f32_e64 v6, 0x46000000, |v5|
	s_and_not1_b32 s18, s18, exec_lo
	s_mov_b32 s21, 0
	s_delay_alu instid0(VALU_DEP_1) | instskip(NEXT) | instid1(VALU_DEP_1)
	v_and_b32_e32 v6, 0xff, v6
	v_cmp_ne_u32_e32 vcc_lo, 0, v6
	s_and_b32 s22, vcc_lo, exec_lo
	s_delay_alu instid0(SALU_CYCLE_1)
	s_or_b32 s18, s18, s22
	s_or_b32 exec_lo, exec_lo, s20
	v_mov_b32_e32 v7, s21
	s_and_saveexec_b32 s20, s18
	s_cbranch_execnz .LBB376_305
	s_branch .LBB376_306
.LBB376_518:
	s_mov_b32 s1, -1
	s_mov_b32 s0, 0
	s_mov_b32 s21, s17
	s_branch .LBB376_522
.LBB376_519:
	s_or_saveexec_b32 s20, s20
                                        ; implicit-def: $sgpr21
	s_delay_alu instid0(SALU_CYCLE_1)
	s_xor_b32 exec_lo, exec_lo, s20
	s_cbranch_execz .LBB376_317
.LBB376_520:
	v_add_f32_e64 v6, 0x42800000, |v5|
	s_and_not1_b32 s18, s18, exec_lo
	s_mov_b32 s21, 0
	s_delay_alu instid0(VALU_DEP_1) | instskip(NEXT) | instid1(VALU_DEP_1)
	v_and_b32_e32 v6, 0xff, v6
	v_cmp_ne_u32_e32 vcc_lo, 0, v6
	s_and_b32 s22, vcc_lo, exec_lo
	s_delay_alu instid0(SALU_CYCLE_1)
	s_or_b32 s18, s18, s22
	s_or_b32 exec_lo, exec_lo, s20
	v_mov_b32_e32 v7, s21
	s_and_saveexec_b32 s20, s18
	s_cbranch_execnz .LBB376_318
	s_branch .LBB376_319
.LBB376_521:
	s_mov_b32 s21, -1
	s_mov_b32 s0, 0
.LBB376_522:
                                        ; implicit-def: $vgpr2_vgpr3
.LBB376_523:
	s_and_b32 vcc_lo, exec_lo, s1
	s_cbranch_vccz .LBB376_527
; %bb.524:
	v_cmp_eq_u16_e32 vcc_lo, 44, v11
	s_cbranch_vccz .LBB376_526
; %bb.525:
	global_load_u8 v2, v[0:1], off
	s_mov_b32 s21, 0
	s_mov_b32 s0, -1
	s_waitcnt vmcnt(0)
	v_lshlrev_b32_e32 v3, 23, v2
	s_delay_alu instid0(VALU_DEP_1) | instskip(NEXT) | instid1(VALU_DEP_1)
	v_trunc_f32_e32 v3, v3
	v_mul_f32_e64 v4, 0x2f800000, |v3|
	s_delay_alu instid0(VALU_DEP_1) | instskip(NEXT) | instid1(VALU_DEP_1)
	v_floor_f32_e32 v4, v4
	v_fma_f32 v5, 0xcf800000, v4, |v3|
	v_ashrrev_i32_e32 v3, 31, v3
	v_cvt_u32_f32_e32 v4, v4
	s_delay_alu instid0(VALU_DEP_3) | instskip(NEXT) | instid1(VALU_DEP_2)
	v_cvt_u32_f32_e32 v5, v5
	v_xor_b32_e32 v4, v4, v3
	s_delay_alu instid0(VALU_DEP_2) | instskip(NEXT) | instid1(VALU_DEP_1)
	v_xor_b32_e32 v5, v5, v3
	v_sub_co_u32 v5, vcc_lo, v5, v3
	s_delay_alu instid0(VALU_DEP_3) | instskip(SKIP_1) | instid1(VALU_DEP_2)
	v_sub_co_ci_u32_e32 v3, vcc_lo, v4, v3, vcc_lo
	v_cmp_ne_u32_e32 vcc_lo, 0, v2
	v_dual_cndmask_b32 v2, 0, v5 :: v_dual_cndmask_b32 v3, 0, v3
	s_branch .LBB376_527
.LBB376_526:
	s_mov_b32 s21, -1
                                        ; implicit-def: $vgpr2_vgpr3
.LBB376_527:
	s_mov_b32 s1, 0
.LBB376_528:
	s_delay_alu instid0(SALU_CYCLE_1)
	s_and_b32 vcc_lo, exec_lo, s1
	s_cbranch_vccz .LBB376_532
; %bb.529:
	v_cmp_eq_u16_e32 vcc_lo, 29, v11
	s_cbranch_vccz .LBB376_531
; %bb.530:
	global_load_b64 v[2:3], v[0:1], off
	s_mov_b32 s0, -1
	s_mov_b32 s21, 0
	s_branch .LBB376_532
.LBB376_531:
	s_mov_b32 s21, -1
                                        ; implicit-def: $vgpr2_vgpr3
.LBB376_532:
	s_mov_b32 s1, 0
.LBB376_533:
	s_delay_alu instid0(SALU_CYCLE_1)
	s_and_b32 vcc_lo, exec_lo, s1
	s_cbranch_vccz .LBB376_551
; %bb.534:
	v_cmp_gt_i16_e32 vcc_lo, 27, v11
	s_cbranch_vccnz .LBB376_537
; %bb.535:
	v_cmp_lt_i16_e32 vcc_lo, 27, v11
	s_cbranch_vccz .LBB376_538
; %bb.536:
	global_load_b32 v2, v[0:1], off
	s_waitcnt vmcnt(1)
	v_mov_b32_e32 v3, 0
	s_mov_b32 s0, 0
	s_branch .LBB376_539
.LBB376_537:
	s_mov_b32 s0, -1
                                        ; implicit-def: $vgpr2_vgpr3
	s_branch .LBB376_542
.LBB376_538:
	s_mov_b32 s0, -1
                                        ; implicit-def: $vgpr2_vgpr3
.LBB376_539:
	s_delay_alu instid0(SALU_CYCLE_1)
	s_and_not1_b32 vcc_lo, exec_lo, s0
	s_cbranch_vccnz .LBB376_541
; %bb.540:
	global_load_u16 v2, v[0:1], off
	s_mov_b32 s0, 0
	s_waitcnt vmcnt(0)
	v_dual_mov_b32 v3, s0 :: v_dual_and_b32 v2, 0xffff, v2
.LBB376_541:
	s_mov_b32 s0, 0
.LBB376_542:
	s_delay_alu instid0(SALU_CYCLE_1)
	s_and_not1_b32 vcc_lo, exec_lo, s0
	s_cbranch_vccnz .LBB376_550
; %bb.543:
	global_load_u8 v4, v[0:1], off
	s_mov_b32 s22, 0
	s_mov_b32 s23, exec_lo
                                        ; implicit-def: $sgpr0_sgpr1
	s_waitcnt vmcnt(0)
	v_cmpx_lt_i16_e32 0x7f, v4
	s_xor_b32 s23, exec_lo, s23
; %bb.544:
	v_cmp_ne_u16_e32 vcc_lo, 0x80, v4
	s_mov_b64 s[0:1], 0
	s_and_b32 s22, vcc_lo, exec_lo
; %bb.545:
	s_or_saveexec_b32 s23, s23
	v_dual_mov_b32 v3, s1 :: v_dual_mov_b32 v2, s0
	s_xor_b32 exec_lo, exec_lo, s23
; %bb.546:
	v_cmp_ne_u16_e32 vcc_lo, 0, v4
	v_mov_b32_e32 v2, 0
	v_mov_b32_e32 v3, 0
	s_and_not1_b32 s0, s22, exec_lo
	s_and_b32 s1, vcc_lo, exec_lo
	s_delay_alu instid0(SALU_CYCLE_1)
	s_or_b32 s22, s0, s1
; %bb.547:
	s_or_b32 exec_lo, exec_lo, s23
	s_and_saveexec_b32 s0, s22
	s_cbranch_execz .LBB376_549
; %bb.548:
	v_and_b32_e32 v2, 0xffff, v4
	v_lshlrev_b32_e32 v4, 24, v4
	s_delay_alu instid0(VALU_DEP_2) | instskip(NEXT) | instid1(VALU_DEP_2)
	v_and_b32_e32 v3, 7, v2
	v_and_b32_e32 v4, 0x80000000, v4
	s_delay_alu instid0(VALU_DEP_2) | instskip(NEXT) | instid1(VALU_DEP_1)
	v_clz_i32_u32_e32 v5, v3
	v_min_u32_e32 v5, 32, v5
	s_delay_alu instid0(VALU_DEP_1) | instskip(SKIP_1) | instid1(VALU_DEP_2)
	v_subrev_nc_u32_e32 v6, 28, v5
	v_sub_nc_u32_e32 v5, 29, v5
	v_lshlrev_b32_e32 v6, v6, v2
	v_bfe_u32 v2, v2, 3, 4
	s_delay_alu instid0(VALU_DEP_2) | instskip(NEXT) | instid1(VALU_DEP_2)
	v_and_b32_e32 v6, 7, v6
	v_cmp_eq_u32_e32 vcc_lo, 0, v2
	s_delay_alu instid0(VALU_DEP_2) | instskip(NEXT) | instid1(VALU_DEP_1)
	v_dual_cndmask_b32 v2, v2, v5 :: v_dual_cndmask_b32 v3, v3, v6
	v_lshl_add_u32 v2, v2, 23, 0x3b800000
	s_delay_alu instid0(VALU_DEP_2) | instskip(NEXT) | instid1(VALU_DEP_1)
	v_lshlrev_b32_e32 v3, 20, v3
	v_or3_b32 v2, v4, v2, v3
	s_delay_alu instid0(VALU_DEP_1) | instskip(NEXT) | instid1(VALU_DEP_1)
	v_trunc_f32_e32 v2, v2
	v_mul_f32_e64 v3, 0x2f800000, |v2|
	v_ashrrev_i32_e32 v5, 31, v2
	s_delay_alu instid0(VALU_DEP_2) | instskip(NEXT) | instid1(VALU_DEP_1)
	v_floor_f32_e32 v3, v3
	v_fma_f32 v4, 0xcf800000, v3, |v2|
	v_cvt_u32_f32_e32 v3, v3
	s_delay_alu instid0(VALU_DEP_2) | instskip(NEXT) | instid1(VALU_DEP_2)
	v_cvt_u32_f32_e32 v2, v4
	v_xor_b32_e32 v3, v3, v5
	s_delay_alu instid0(VALU_DEP_2) | instskip(NEXT) | instid1(VALU_DEP_1)
	v_xor_b32_e32 v2, v2, v5
	v_sub_co_u32 v2, vcc_lo, v2, v5
	s_delay_alu instid0(VALU_DEP_3)
	v_sub_co_ci_u32_e32 v3, vcc_lo, v3, v5, vcc_lo
.LBB376_549:
	s_or_b32 exec_lo, exec_lo, s0
.LBB376_550:
	s_mov_b32 s0, -1
.LBB376_551:
	s_mov_b32 s1, 0
.LBB376_552:
	s_delay_alu instid0(SALU_CYCLE_1)
	s_and_b32 vcc_lo, exec_lo, s1
	s_cbranch_vccz .LBB376_583
; %bb.553:
	v_cmp_lt_i16_e32 vcc_lo, 22, v11
	s_cbranch_vccz .LBB376_563
; %bb.554:
	v_cmp_gt_i16_e32 vcc_lo, 24, v11
	s_cbranch_vccnz .LBB376_564
; %bb.555:
	v_cmp_lt_i16_e32 vcc_lo, 24, v11
	s_cbranch_vccz .LBB376_565
; %bb.556:
	global_load_u8 v4, v[0:1], off
	s_mov_b32 s22, 0
	s_mov_b32 s23, exec_lo
                                        ; implicit-def: $sgpr0_sgpr1
	s_waitcnt vmcnt(0)
	v_cmpx_lt_i16_e32 0x7f, v4
	s_xor_b32 s23, exec_lo, s23
; %bb.557:
	v_cmp_ne_u16_e32 vcc_lo, 0x80, v4
	s_mov_b64 s[0:1], 0
	s_and_b32 s22, vcc_lo, exec_lo
; %bb.558:
	s_or_saveexec_b32 s23, s23
	v_dual_mov_b32 v3, s1 :: v_dual_mov_b32 v2, s0
	s_xor_b32 exec_lo, exec_lo, s23
; %bb.559:
	v_cmp_ne_u16_e32 vcc_lo, 0, v4
	v_mov_b32_e32 v2, 0
	v_mov_b32_e32 v3, 0
	s_and_not1_b32 s0, s22, exec_lo
	s_and_b32 s1, vcc_lo, exec_lo
	s_delay_alu instid0(SALU_CYCLE_1)
	s_or_b32 s22, s0, s1
; %bb.560:
	s_or_b32 exec_lo, exec_lo, s23
	s_and_saveexec_b32 s0, s22
	s_cbranch_execz .LBB376_562
; %bb.561:
	v_and_b32_e32 v2, 0xffff, v4
	v_lshlrev_b32_e32 v4, 24, v4
	s_delay_alu instid0(VALU_DEP_2) | instskip(NEXT) | instid1(VALU_DEP_2)
	v_and_b32_e32 v3, 3, v2
	v_and_b32_e32 v4, 0x80000000, v4
	s_delay_alu instid0(VALU_DEP_2) | instskip(NEXT) | instid1(VALU_DEP_1)
	v_clz_i32_u32_e32 v5, v3
	v_min_u32_e32 v5, 32, v5
	s_delay_alu instid0(VALU_DEP_1) | instskip(SKIP_1) | instid1(VALU_DEP_2)
	v_subrev_nc_u32_e32 v6, 29, v5
	v_sub_nc_u32_e32 v5, 30, v5
	v_lshlrev_b32_e32 v6, v6, v2
	v_bfe_u32 v2, v2, 2, 5
	s_delay_alu instid0(VALU_DEP_2) | instskip(NEXT) | instid1(VALU_DEP_2)
	v_and_b32_e32 v6, 3, v6
	v_cmp_eq_u32_e32 vcc_lo, 0, v2
	s_delay_alu instid0(VALU_DEP_2) | instskip(NEXT) | instid1(VALU_DEP_1)
	v_dual_cndmask_b32 v2, v2, v5 :: v_dual_cndmask_b32 v3, v3, v6
	v_lshl_add_u32 v2, v2, 23, 0x37800000
	s_delay_alu instid0(VALU_DEP_2) | instskip(NEXT) | instid1(VALU_DEP_1)
	v_lshlrev_b32_e32 v3, 21, v3
	v_or3_b32 v2, v4, v2, v3
	s_delay_alu instid0(VALU_DEP_1) | instskip(NEXT) | instid1(VALU_DEP_1)
	v_trunc_f32_e32 v2, v2
	v_mul_f32_e64 v3, 0x2f800000, |v2|
	v_ashrrev_i32_e32 v5, 31, v2
	s_delay_alu instid0(VALU_DEP_2) | instskip(NEXT) | instid1(VALU_DEP_1)
	v_floor_f32_e32 v3, v3
	v_fma_f32 v4, 0xcf800000, v3, |v2|
	v_cvt_u32_f32_e32 v3, v3
	s_delay_alu instid0(VALU_DEP_2) | instskip(NEXT) | instid1(VALU_DEP_2)
	v_cvt_u32_f32_e32 v2, v4
	v_xor_b32_e32 v3, v3, v5
	s_delay_alu instid0(VALU_DEP_2) | instskip(NEXT) | instid1(VALU_DEP_1)
	v_xor_b32_e32 v2, v2, v5
	v_sub_co_u32 v2, vcc_lo, v2, v5
	s_delay_alu instid0(VALU_DEP_3)
	v_sub_co_ci_u32_e32 v3, vcc_lo, v3, v5, vcc_lo
.LBB376_562:
	s_or_b32 exec_lo, exec_lo, s0
	s_mov_b32 s0, 0
	s_branch .LBB376_566
.LBB376_563:
	s_mov_b32 s1, -1
                                        ; implicit-def: $vgpr2_vgpr3
	s_branch .LBB376_572
.LBB376_564:
	s_mov_b32 s0, -1
                                        ; implicit-def: $vgpr2_vgpr3
	s_branch .LBB376_569
.LBB376_565:
	s_mov_b32 s0, -1
                                        ; implicit-def: $vgpr2_vgpr3
.LBB376_566:
	s_delay_alu instid0(SALU_CYCLE_1)
	s_and_b32 vcc_lo, exec_lo, s0
	s_cbranch_vccz .LBB376_568
; %bb.567:
	global_load_u8 v2, v[0:1], off
	s_waitcnt vmcnt(0)
	v_lshlrev_b32_e32 v2, 24, v2
	s_delay_alu instid0(VALU_DEP_1) | instskip(NEXT) | instid1(VALU_DEP_1)
	v_and_b32_e32 v3, 0x7f000000, v2
	v_clz_i32_u32_e32 v4, v3
	v_add_nc_u32_e32 v6, 0x1000000, v3
	v_cmp_ne_u32_e32 vcc_lo, 0, v3
	s_delay_alu instid0(VALU_DEP_3) | instskip(NEXT) | instid1(VALU_DEP_1)
	v_min_u32_e32 v4, 32, v4
	v_sub_nc_u32_e64 v4, v4, 4 clamp
	s_delay_alu instid0(VALU_DEP_1) | instskip(SKIP_1) | instid1(VALU_DEP_2)
	v_lshlrev_b32_e32 v5, v4, v3
	v_lshlrev_b32_e32 v4, 23, v4
	v_lshrrev_b32_e32 v5, 4, v5
	s_delay_alu instid0(VALU_DEP_1) | instskip(SKIP_1) | instid1(VALU_DEP_2)
	v_sub_nc_u32_e32 v4, v5, v4
	v_ashrrev_i32_e32 v5, 8, v6
	v_add_nc_u32_e32 v4, 0x3c000000, v4
	s_delay_alu instid0(VALU_DEP_1) | instskip(NEXT) | instid1(VALU_DEP_1)
	v_and_or_b32 v4, 0x7f800000, v5, v4
	v_cndmask_b32_e32 v3, 0, v4, vcc_lo
	s_delay_alu instid0(VALU_DEP_1) | instskip(NEXT) | instid1(VALU_DEP_1)
	v_and_or_b32 v2, 0x80000000, v2, v3
	v_trunc_f32_e32 v2, v2
	s_delay_alu instid0(VALU_DEP_1) | instskip(SKIP_1) | instid1(VALU_DEP_2)
	v_mul_f32_e64 v3, 0x2f800000, |v2|
	v_ashrrev_i32_e32 v5, 31, v2
	v_floor_f32_e32 v3, v3
	s_delay_alu instid0(VALU_DEP_1) | instskip(SKIP_1) | instid1(VALU_DEP_2)
	v_fma_f32 v4, 0xcf800000, v3, |v2|
	v_cvt_u32_f32_e32 v3, v3
	v_cvt_u32_f32_e32 v2, v4
	s_delay_alu instid0(VALU_DEP_2) | instskip(NEXT) | instid1(VALU_DEP_2)
	v_xor_b32_e32 v3, v3, v5
	v_xor_b32_e32 v2, v2, v5
	s_delay_alu instid0(VALU_DEP_1) | instskip(NEXT) | instid1(VALU_DEP_3)
	v_sub_co_u32 v2, vcc_lo, v2, v5
	v_sub_co_ci_u32_e32 v3, vcc_lo, v3, v5, vcc_lo
.LBB376_568:
	s_mov_b32 s0, 0
.LBB376_569:
	s_delay_alu instid0(SALU_CYCLE_1)
	s_and_not1_b32 vcc_lo, exec_lo, s0
	s_cbranch_vccnz .LBB376_571
; %bb.570:
	global_load_u8 v2, v[0:1], off
	s_waitcnt vmcnt(0)
	v_lshlrev_b32_e32 v3, 25, v2
	v_lshlrev_b16 v2, 8, v2
	s_delay_alu instid0(VALU_DEP_2) | instskip(NEXT) | instid1(VALU_DEP_2)
	v_lshrrev_b32_e32 v4, 4, v3
	v_and_or_b32 v5, 0x7f00, v2, 0.5
	v_bfe_i32 v2, v2, 0, 16
	s_delay_alu instid0(VALU_DEP_3) | instskip(NEXT) | instid1(VALU_DEP_1)
	v_or_b32_e32 v4, 0x70000000, v4
	v_dual_add_f32 v5, -0.5, v5 :: v_dual_mul_f32 v4, 0x7800000, v4
	v_cmp_gt_u32_e32 vcc_lo, 0x8000000, v3
	s_delay_alu instid0(VALU_DEP_2) | instskip(NEXT) | instid1(VALU_DEP_1)
	v_cndmask_b32_e32 v3, v4, v5, vcc_lo
	v_and_or_b32 v2, 0x80000000, v2, v3
	s_delay_alu instid0(VALU_DEP_1) | instskip(NEXT) | instid1(VALU_DEP_1)
	v_trunc_f32_e32 v2, v2
	v_mul_f32_e64 v3, 0x2f800000, |v2|
	v_ashrrev_i32_e32 v5, 31, v2
	s_delay_alu instid0(VALU_DEP_2) | instskip(NEXT) | instid1(VALU_DEP_1)
	v_floor_f32_e32 v3, v3
	v_fma_f32 v4, 0xcf800000, v3, |v2|
	v_cvt_u32_f32_e32 v3, v3
	s_delay_alu instid0(VALU_DEP_2) | instskip(NEXT) | instid1(VALU_DEP_2)
	v_cvt_u32_f32_e32 v2, v4
	v_xor_b32_e32 v3, v3, v5
	s_delay_alu instid0(VALU_DEP_2) | instskip(NEXT) | instid1(VALU_DEP_1)
	v_xor_b32_e32 v2, v2, v5
	v_sub_co_u32 v2, vcc_lo, v2, v5
	s_delay_alu instid0(VALU_DEP_3)
	v_sub_co_ci_u32_e32 v3, vcc_lo, v3, v5, vcc_lo
.LBB376_571:
	s_mov_b32 s1, 0
	s_mov_b32 s0, -1
.LBB376_572:
	s_and_not1_b32 vcc_lo, exec_lo, s1
	s_cbranch_vccnz .LBB376_583
; %bb.573:
	v_cmp_lt_i16_e32 vcc_lo, 14, v11
	s_cbranch_vccz .LBB376_576
; %bb.574:
	v_cmp_eq_u16_e32 vcc_lo, 15, v11
	s_cbranch_vccz .LBB376_577
; %bb.575:
	global_load_u16 v2, v[0:1], off
	s_mov_b32 s0, -1
	s_mov_b32 s21, 0
	s_waitcnt vmcnt(0)
	v_lshlrev_b32_e32 v2, 16, v2
	s_delay_alu instid0(VALU_DEP_1) | instskip(NEXT) | instid1(VALU_DEP_1)
	v_trunc_f32_e32 v2, v2
	v_mul_f32_e64 v3, 0x2f800000, |v2|
	v_ashrrev_i32_e32 v5, 31, v2
	s_delay_alu instid0(VALU_DEP_2) | instskip(NEXT) | instid1(VALU_DEP_1)
	v_floor_f32_e32 v3, v3
	v_fma_f32 v4, 0xcf800000, v3, |v2|
	v_cvt_u32_f32_e32 v3, v3
	s_delay_alu instid0(VALU_DEP_2) | instskip(NEXT) | instid1(VALU_DEP_2)
	v_cvt_u32_f32_e32 v2, v4
	v_xor_b32_e32 v3, v3, v5
	s_delay_alu instid0(VALU_DEP_2) | instskip(NEXT) | instid1(VALU_DEP_1)
	v_xor_b32_e32 v2, v2, v5
	v_sub_co_u32 v2, vcc_lo, v2, v5
	s_delay_alu instid0(VALU_DEP_3)
	v_sub_co_ci_u32_e32 v3, vcc_lo, v3, v5, vcc_lo
	s_branch .LBB376_578
.LBB376_576:
	s_mov_b32 s1, -1
                                        ; implicit-def: $vgpr2_vgpr3
	s_branch .LBB376_579
.LBB376_577:
	s_mov_b32 s21, -1
                                        ; implicit-def: $vgpr2_vgpr3
.LBB376_578:
	s_mov_b32 s1, 0
.LBB376_579:
	s_delay_alu instid0(SALU_CYCLE_1)
	s_and_b32 vcc_lo, exec_lo, s1
	s_cbranch_vccz .LBB376_583
; %bb.580:
	v_cmp_eq_u16_e32 vcc_lo, 11, v11
	s_cbranch_vccz .LBB376_582
; %bb.581:
	global_load_u8 v2, v[0:1], off
	s_mov_b32 s21, 0
	s_mov_b32 s0, -1
	s_waitcnt vmcnt(1)
	v_mov_b32_e32 v3, s21
	s_waitcnt vmcnt(0)
	v_cmp_ne_u16_e32 vcc_lo, 0, v2
	v_cndmask_b32_e64 v2, 0, 1, vcc_lo
	s_branch .LBB376_583
.LBB376_582:
	s_mov_b32 s21, -1
                                        ; implicit-def: $vgpr2_vgpr3
.LBB376_583:
	s_mov_b32 s1, 0
.LBB376_584:
	s_delay_alu instid0(SALU_CYCLE_1)
	s_and_b32 vcc_lo, exec_lo, s1
	s_cbranch_vccz .LBB376_633
; %bb.585:
	v_cmp_gt_i16_e32 vcc_lo, 5, v11
	s_cbranch_vccnz .LBB376_590
; %bb.586:
	v_cmp_gt_i16_e32 vcc_lo, 8, v11
	s_cbranch_vccnz .LBB376_591
	;; [unrolled: 3-line block ×3, first 2 shown]
; %bb.588:
	v_cmp_lt_i16_e32 vcc_lo, 9, v11
	s_cbranch_vccz .LBB376_593
; %bb.589:
	global_load_b64 v[2:3], v[0:1], off
	s_mov_b32 s0, 0
	s_waitcnt vmcnt(0)
	v_trunc_f64_e32 v[2:3], v[2:3]
	s_delay_alu instid0(VALU_DEP_1) | instskip(NEXT) | instid1(VALU_DEP_1)
	v_ldexp_f64 v[4:5], v[2:3], 0xffffffe0
	v_floor_f64_e32 v[4:5], v[4:5]
	s_delay_alu instid0(VALU_DEP_1) | instskip(SKIP_1) | instid1(VALU_DEP_2)
	v_fma_f64 v[6:7], 0xc1f00000, v[4:5], v[2:3]
	v_cvt_i32_f64_e32 v3, v[4:5]
	v_cvt_u32_f64_e32 v2, v[6:7]
	s_branch .LBB376_594
.LBB376_590:
	s_mov_b32 s0, -1
                                        ; implicit-def: $vgpr2_vgpr3
	s_branch .LBB376_612
.LBB376_591:
	s_mov_b32 s0, -1
                                        ; implicit-def: $vgpr2_vgpr3
	s_branch .LBB376_600
.LBB376_592:
	s_mov_b32 s0, -1
                                        ; implicit-def: $vgpr2_vgpr3
	s_branch .LBB376_597
.LBB376_593:
	s_mov_b32 s0, -1
                                        ; implicit-def: $vgpr2_vgpr3
.LBB376_594:
	s_delay_alu instid0(SALU_CYCLE_1)
	s_and_not1_b32 vcc_lo, exec_lo, s0
	s_cbranch_vccnz .LBB376_596
; %bb.595:
	global_load_b32 v2, v[0:1], off
	s_waitcnt vmcnt(0)
	v_trunc_f32_e32 v2, v2
	s_delay_alu instid0(VALU_DEP_1) | instskip(SKIP_1) | instid1(VALU_DEP_2)
	v_mul_f32_e64 v3, 0x2f800000, |v2|
	v_ashrrev_i32_e32 v5, 31, v2
	v_floor_f32_e32 v3, v3
	s_delay_alu instid0(VALU_DEP_1) | instskip(SKIP_1) | instid1(VALU_DEP_2)
	v_fma_f32 v4, 0xcf800000, v3, |v2|
	v_cvt_u32_f32_e32 v3, v3
	v_cvt_u32_f32_e32 v2, v4
	s_delay_alu instid0(VALU_DEP_2) | instskip(NEXT) | instid1(VALU_DEP_2)
	v_xor_b32_e32 v3, v3, v5
	v_xor_b32_e32 v2, v2, v5
	s_delay_alu instid0(VALU_DEP_1) | instskip(NEXT) | instid1(VALU_DEP_3)
	v_sub_co_u32 v2, vcc_lo, v2, v5
	v_sub_co_ci_u32_e32 v3, vcc_lo, v3, v5, vcc_lo
.LBB376_596:
	s_mov_b32 s0, 0
.LBB376_597:
	s_delay_alu instid0(SALU_CYCLE_1)
	s_and_not1_b32 vcc_lo, exec_lo, s0
	s_cbranch_vccnz .LBB376_599
; %bb.598:
	global_load_b32 v2, v[0:1], off
	s_waitcnt vmcnt(0)
	v_cvt_f32_f16_e32 v2, v2
	s_delay_alu instid0(VALU_DEP_1) | instskip(NEXT) | instid1(VALU_DEP_1)
	v_cvt_i32_f32_e32 v2, v2
	v_ashrrev_i32_e32 v3, 31, v2
.LBB376_599:
	s_mov_b32 s0, 0
.LBB376_600:
	s_delay_alu instid0(SALU_CYCLE_1)
	s_and_not1_b32 vcc_lo, exec_lo, s0
	s_cbranch_vccnz .LBB376_611
; %bb.601:
	v_cmp_gt_i16_e32 vcc_lo, 6, v11
	s_cbranch_vccnz .LBB376_604
; %bb.602:
	v_cmp_lt_i16_e32 vcc_lo, 6, v11
	s_cbranch_vccz .LBB376_605
; %bb.603:
	global_load_b64 v[2:3], v[0:1], off
	s_mov_b32 s0, 0
	s_waitcnt vmcnt(0)
	v_trunc_f64_e32 v[2:3], v[2:3]
	s_delay_alu instid0(VALU_DEP_1) | instskip(NEXT) | instid1(VALU_DEP_1)
	v_ldexp_f64 v[4:5], v[2:3], 0xffffffe0
	v_floor_f64_e32 v[4:5], v[4:5]
	s_delay_alu instid0(VALU_DEP_1) | instskip(SKIP_1) | instid1(VALU_DEP_2)
	v_fma_f64 v[6:7], 0xc1f00000, v[4:5], v[2:3]
	v_cvt_i32_f64_e32 v3, v[4:5]
	v_cvt_u32_f64_e32 v2, v[6:7]
	s_branch .LBB376_606
.LBB376_604:
	s_mov_b32 s0, -1
                                        ; implicit-def: $vgpr2_vgpr3
	s_branch .LBB376_609
.LBB376_605:
	s_mov_b32 s0, -1
                                        ; implicit-def: $vgpr2_vgpr3
.LBB376_606:
	s_delay_alu instid0(SALU_CYCLE_1)
	s_and_not1_b32 vcc_lo, exec_lo, s0
	s_cbranch_vccnz .LBB376_608
; %bb.607:
	global_load_b32 v2, v[0:1], off
	s_waitcnt vmcnt(0)
	v_trunc_f32_e32 v2, v2
	s_delay_alu instid0(VALU_DEP_1) | instskip(SKIP_1) | instid1(VALU_DEP_2)
	v_mul_f32_e64 v3, 0x2f800000, |v2|
	v_ashrrev_i32_e32 v5, 31, v2
	v_floor_f32_e32 v3, v3
	s_delay_alu instid0(VALU_DEP_1) | instskip(SKIP_1) | instid1(VALU_DEP_2)
	v_fma_f32 v4, 0xcf800000, v3, |v2|
	v_cvt_u32_f32_e32 v3, v3
	v_cvt_u32_f32_e32 v2, v4
	s_delay_alu instid0(VALU_DEP_2) | instskip(NEXT) | instid1(VALU_DEP_2)
	v_xor_b32_e32 v3, v3, v5
	v_xor_b32_e32 v2, v2, v5
	s_delay_alu instid0(VALU_DEP_1) | instskip(NEXT) | instid1(VALU_DEP_3)
	v_sub_co_u32 v2, vcc_lo, v2, v5
	v_sub_co_ci_u32_e32 v3, vcc_lo, v3, v5, vcc_lo
.LBB376_608:
	s_mov_b32 s0, 0
.LBB376_609:
	s_delay_alu instid0(SALU_CYCLE_1)
	s_and_not1_b32 vcc_lo, exec_lo, s0
	s_cbranch_vccnz .LBB376_611
; %bb.610:
	global_load_u16 v2, v[0:1], off
	s_waitcnt vmcnt(0)
	v_cvt_f32_f16_e32 v2, v2
	s_delay_alu instid0(VALU_DEP_1) | instskip(NEXT) | instid1(VALU_DEP_1)
	v_cvt_i32_f32_e32 v2, v2
	v_ashrrev_i32_e32 v3, 31, v2
.LBB376_611:
	s_mov_b32 s0, 0
.LBB376_612:
	s_delay_alu instid0(SALU_CYCLE_1)
	s_and_not1_b32 vcc_lo, exec_lo, s0
	s_cbranch_vccnz .LBB376_632
; %bb.613:
	v_cmp_gt_i16_e32 vcc_lo, 2, v11
	s_cbranch_vccnz .LBB376_617
; %bb.614:
	v_cmp_gt_i16_e32 vcc_lo, 3, v11
	s_cbranch_vccnz .LBB376_618
; %bb.615:
	v_cmp_lt_i16_e32 vcc_lo, 3, v11
	s_cbranch_vccz .LBB376_619
; %bb.616:
	global_load_b64 v[2:3], v[0:1], off
	s_mov_b32 s0, 0
	s_branch .LBB376_620
.LBB376_617:
	s_mov_b32 s0, -1
                                        ; implicit-def: $vgpr2_vgpr3
	s_branch .LBB376_626
.LBB376_618:
	s_mov_b32 s0, -1
                                        ; implicit-def: $vgpr2_vgpr3
	s_branch .LBB376_623
.LBB376_619:
	s_mov_b32 s0, -1
                                        ; implicit-def: $vgpr2_vgpr3
.LBB376_620:
	s_delay_alu instid0(SALU_CYCLE_1)
	s_and_not1_b32 vcc_lo, exec_lo, s0
	s_cbranch_vccnz .LBB376_622
; %bb.621:
	global_load_b32 v2, v[0:1], off
	s_waitcnt vmcnt(0)
	v_ashrrev_i32_e32 v3, 31, v2
.LBB376_622:
	s_mov_b32 s0, 0
.LBB376_623:
	s_delay_alu instid0(SALU_CYCLE_1)
	s_and_not1_b32 vcc_lo, exec_lo, s0
	s_cbranch_vccnz .LBB376_625
; %bb.624:
	global_load_u16 v2, v[0:1], off
	s_waitcnt vmcnt(0)
	v_bfe_i32 v2, v2, 0, 16
	s_delay_alu instid0(VALU_DEP_1)
	v_ashrrev_i32_e32 v3, 31, v2
.LBB376_625:
	s_mov_b32 s0, 0
.LBB376_626:
	s_delay_alu instid0(SALU_CYCLE_1)
	s_and_not1_b32 vcc_lo, exec_lo, s0
	s_cbranch_vccnz .LBB376_632
; %bb.627:
	v_cmp_lt_i16_e32 vcc_lo, 0, v11
	s_mov_b32 s0, 0
	s_cbranch_vccz .LBB376_629
; %bb.628:
	global_load_i8 v2, v[0:1], off
	s_waitcnt vmcnt(0)
	v_bfe_i32 v2, v2, 0, 16
	s_delay_alu instid0(VALU_DEP_1)
	v_ashrrev_i32_e32 v3, 31, v2
	s_branch .LBB376_630
.LBB376_629:
	s_mov_b32 s0, -1
                                        ; implicit-def: $vgpr2_vgpr3
.LBB376_630:
	s_delay_alu instid0(SALU_CYCLE_1)
	s_and_not1_b32 vcc_lo, exec_lo, s0
	s_cbranch_vccnz .LBB376_632
; %bb.631:
	global_load_u8 v0, v[0:1], off
	s_mov_b32 s0, 0
	s_waitcnt vmcnt(0)
	v_dual_mov_b32 v3, s0 :: v_dual_and_b32 v2, 0xffff, v0
.LBB376_632:
	s_mov_b32 s0, -1
.LBB376_633:
	s_delay_alu instid0(SALU_CYCLE_1)
	s_and_not1_b32 vcc_lo, exec_lo, s0
	s_cbranch_vccnz .LBB376_641
; %bb.634:
	v_mul_lo_u32 v5, v10, s8
	s_waitcnt vmcnt(0)
	s_delay_alu instid0(VALU_DEP_2) | instskip(SKIP_1) | instid1(VALU_DEP_1)
	v_cmp_lt_i64_e32 vcc_lo, s[10:11], v[2:3]
	v_and_b32_e64 v4, 0xff, s2
	v_cmp_gt_i16_e64 s0, 11, v4
	v_cndmask_b32_e32 v1, s11, v3, vcc_lo
	v_ashrrev_i32_e32 v3, 31, v5
	v_cndmask_b32_e32 v0, s10, v2, vcc_lo
	v_add_co_u32 v2, vcc_lo, s4, v5
	s_delay_alu instid0(VALU_DEP_3)
	v_add_co_ci_u32_e32 v3, vcc_lo, s5, v3, vcc_lo
	s_and_b32 vcc_lo, exec_lo, s0
	s_cbranch_vccnz .LBB376_642
; %bb.635:
	v_cmp_lt_i16_e32 vcc_lo, 25, v4
	s_cbranch_vccz .LBB376_643
; %bb.636:
	v_cmp_lt_i16_e32 vcc_lo, 28, v4
	s_cbranch_vccz .LBB376_644
	;; [unrolled: 3-line block ×4, first 2 shown]
; %bb.639:
	v_cmp_eq_u16_e32 vcc_lo, 46, v4
	s_mov_b32 s22, 0
	s_mov_b32 s0, -1
	s_mov_b32 s1, 0
	s_cbranch_vccz .LBB376_647
; %bb.640:
	v_xor_b32_e32 v5, v0, v1
	v_cls_i32_e32 v6, v1
	s_mov_b32 s1, -1
	s_mov_b32 s0, 0
	s_delay_alu instid0(VALU_DEP_2) | instskip(NEXT) | instid1(VALU_DEP_2)
	v_ashrrev_i32_e32 v5, 31, v5
	v_add_nc_u32_e32 v6, -1, v6
	s_delay_alu instid0(VALU_DEP_2) | instskip(NEXT) | instid1(VALU_DEP_1)
	v_add_nc_u32_e32 v5, 32, v5
	v_min_u32_e32 v7, v6, v5
	s_delay_alu instid0(VALU_DEP_1) | instskip(NEXT) | instid1(VALU_DEP_1)
	v_lshlrev_b64 v[5:6], v7, v[0:1]
	v_min_u32_e32 v5, 1, v5
	s_delay_alu instid0(VALU_DEP_1) | instskip(SKIP_1) | instid1(VALU_DEP_2)
	v_or_b32_e32 v5, v6, v5
	v_sub_nc_u32_e32 v6, 32, v7
	v_cvt_f32_i32_e32 v5, v5
	s_delay_alu instid0(VALU_DEP_1) | instskip(NEXT) | instid1(VALU_DEP_1)
	v_ldexp_f32 v5, v5, v6
	v_bfe_u32 v6, v5, 16, 1
	s_delay_alu instid0(VALU_DEP_1) | instskip(NEXT) | instid1(VALU_DEP_1)
	v_add3_u32 v5, v5, v6, 0x7fff
	v_lshrrev_b32_e32 v5, 16, v5
	global_store_b32 v[2:3], v5, off
	s_branch .LBB376_647
.LBB376_641:
	s_mov_b32 s1, 0
	s_mov_b32 s0, s18
	s_branch .LBB376_758
.LBB376_642:
	s_mov_b32 s22, -1
	s_mov_b32 s1, 0
	s_mov_b32 s0, s18
	s_branch .LBB376_716
.LBB376_643:
	s_mov_b32 s22, -1
	s_mov_b32 s1, 0
	s_mov_b32 s0, s18
	s_branch .LBB376_674
.LBB376_644:
	s_mov_b32 s22, -1
	s_mov_b32 s1, 0
	s_mov_b32 s0, s18
	s_branch .LBB376_657
.LBB376_645:
	s_mov_b32 s22, -1
	s_mov_b32 s1, 0
	s_mov_b32 s0, s18
	s_branch .LBB376_653
.LBB376_646:
	s_mov_b32 s22, -1
	s_mov_b32 s1, 0
	s_mov_b32 s0, s18
.LBB376_647:
	s_and_b32 vcc_lo, exec_lo, s22
	s_cbranch_vccz .LBB376_652
; %bb.648:
	v_cmp_eq_u16_e32 vcc_lo, 44, v4
	s_mov_b32 s0, -1
	s_cbranch_vccz .LBB376_652
; %bb.649:
	v_xor_b32_e32 v5, v0, v1
	v_cls_i32_e32 v6, v1
	s_mov_b32 s1, -1
	s_mov_b32 s22, exec_lo
	s_delay_alu instid0(VALU_DEP_2) | instskip(NEXT) | instid1(VALU_DEP_2)
	v_ashrrev_i32_e32 v5, 31, v5
	v_add_nc_u32_e32 v6, -1, v6
	s_delay_alu instid0(VALU_DEP_2) | instskip(NEXT) | instid1(VALU_DEP_1)
	v_add_nc_u32_e32 v5, 32, v5
	v_min_u32_e32 v7, v6, v5
	s_delay_alu instid0(VALU_DEP_1) | instskip(NEXT) | instid1(VALU_DEP_1)
	v_lshlrev_b64 v[5:6], v7, v[0:1]
	v_min_u32_e32 v5, 1, v5
	s_delay_alu instid0(VALU_DEP_1) | instskip(SKIP_1) | instid1(VALU_DEP_2)
	v_or_b32_e32 v5, v6, v5
	v_sub_nc_u32_e32 v6, 32, v7
	v_cvt_f32_i32_e32 v5, v5
	s_delay_alu instid0(VALU_DEP_1) | instskip(SKIP_1) | instid1(VALU_DEP_2)
	v_ldexp_f32 v5, v5, v6
	v_mov_b32_e32 v6, 0xff
	v_bfe_u32 v7, v5, 23, 8
	s_delay_alu instid0(VALU_DEP_1)
	v_cmpx_ne_u32_e32 0xff, v7
; %bb.650:
	v_and_b32_e32 v6, 0x400000, v5
	v_and_or_b32 v7, 0x3fffff, v5, v7
	v_lshrrev_b32_e32 v5, 23, v5
	s_delay_alu instid0(VALU_DEP_3) | instskip(NEXT) | instid1(VALU_DEP_3)
	v_cmp_ne_u32_e32 vcc_lo, 0, v6
	v_cmp_ne_u32_e64 s0, 0, v7
	s_delay_alu instid0(VALU_DEP_1) | instskip(NEXT) | instid1(SALU_CYCLE_1)
	s_and_b32 s0, vcc_lo, s0
	v_cndmask_b32_e64 v6, 0, 1, s0
	s_delay_alu instid0(VALU_DEP_1)
	v_add_nc_u32_e32 v6, v5, v6
; %bb.651:
	s_or_b32 exec_lo, exec_lo, s22
	s_mov_b32 s0, 0
	global_store_b8 v[2:3], v6, off
.LBB376_652:
	s_mov_b32 s22, 0
.LBB376_653:
	s_delay_alu instid0(SALU_CYCLE_1)
	s_and_b32 vcc_lo, exec_lo, s22
	s_cbranch_vccz .LBB376_656
; %bb.654:
	v_cmp_eq_u16_e32 vcc_lo, 29, v4
	s_mov_b32 s0, -1
	s_cbranch_vccz .LBB376_656
; %bb.655:
	s_mov_b32 s1, -1
	s_mov_b32 s0, 0
	global_store_b64 v[2:3], v[0:1], off
.LBB376_656:
	s_mov_b32 s22, 0
.LBB376_657:
	s_delay_alu instid0(SALU_CYCLE_1)
	s_and_b32 vcc_lo, exec_lo, s22
	s_cbranch_vccz .LBB376_673
; %bb.658:
	v_cmp_gt_i16_e32 vcc_lo, 27, v4
	s_mov_b32 s1, -1
	s_cbranch_vccnz .LBB376_664
; %bb.659:
	v_cmp_lt_i16_e32 vcc_lo, 27, v4
	s_cbranch_vccz .LBB376_661
; %bb.660:
	s_mov_b32 s1, 0
	global_store_b32 v[2:3], v0, off
.LBB376_661:
	s_and_not1_b32 vcc_lo, exec_lo, s1
	s_cbranch_vccnz .LBB376_663
; %bb.662:
	global_store_b16 v[2:3], v0, off
.LBB376_663:
	s_mov_b32 s1, 0
.LBB376_664:
	s_delay_alu instid0(SALU_CYCLE_1)
	s_and_not1_b32 vcc_lo, exec_lo, s1
	s_cbranch_vccnz .LBB376_672
; %bb.665:
	v_xor_b32_e32 v5, v0, v1
	v_cls_i32_e32 v6, v1
	s_mov_b32 s1, exec_lo
	s_delay_alu instid0(VALU_DEP_2) | instskip(NEXT) | instid1(VALU_DEP_2)
	v_ashrrev_i32_e32 v5, 31, v5
	v_add_nc_u32_e32 v6, -1, v6
	s_delay_alu instid0(VALU_DEP_2) | instskip(NEXT) | instid1(VALU_DEP_1)
	v_add_nc_u32_e32 v5, 32, v5
	v_min_u32_e32 v7, v6, v5
	s_delay_alu instid0(VALU_DEP_1) | instskip(NEXT) | instid1(VALU_DEP_1)
	v_lshlrev_b64 v[5:6], v7, v[0:1]
	v_min_u32_e32 v5, 1, v5
	s_delay_alu instid0(VALU_DEP_1) | instskip(SKIP_2) | instid1(VALU_DEP_3)
	v_or_b32_e32 v5, v6, v5
	v_sub_nc_u32_e32 v6, 32, v7
	v_mov_b32_e32 v7, 0x80
	v_cvt_f32_i32_e32 v5, v5
	s_delay_alu instid0(VALU_DEP_1) | instskip(NEXT) | instid1(VALU_DEP_1)
	v_ldexp_f32 v5, v5, v6
	v_and_b32_e32 v6, 0x7fffffff, v5
	s_delay_alu instid0(VALU_DEP_1)
	v_cmpx_gt_u32_e32 0x43800000, v6
	s_cbranch_execz .LBB376_671
; %bb.666:
	v_cmp_lt_u32_e32 vcc_lo, 0x3bffffff, v6
	s_mov_b32 s22, 0
                                        ; implicit-def: $vgpr6
	s_and_saveexec_b32 s23, vcc_lo
	s_delay_alu instid0(SALU_CYCLE_1)
	s_xor_b32 s23, exec_lo, s23
	s_cbranch_execz .LBB376_773
; %bb.667:
	v_bfe_u32 v6, v5, 20, 1
	s_mov_b32 s22, exec_lo
	s_delay_alu instid0(VALU_DEP_1) | instskip(NEXT) | instid1(VALU_DEP_1)
	v_add3_u32 v6, v5, v6, 0x487ffff
	v_lshrrev_b32_e32 v6, 20, v6
	s_or_saveexec_b32 s23, s23
                                        ; implicit-def: $sgpr24
	s_delay_alu instid0(SALU_CYCLE_1)
	s_xor_b32 exec_lo, exec_lo, s23
	s_cbranch_execnz .LBB376_774
.LBB376_668:
	s_or_b32 exec_lo, exec_lo, s23
	v_mov_b32_e32 v7, s24
	s_and_saveexec_b32 s23, s22
.LBB376_669:
	v_lshrrev_b32_e32 v5, 24, v5
	s_delay_alu instid0(VALU_DEP_1)
	v_and_or_b32 v7, 0x80, v5, v6
.LBB376_670:
	s_or_b32 exec_lo, exec_lo, s23
.LBB376_671:
	s_delay_alu instid0(SALU_CYCLE_1)
	s_or_b32 exec_lo, exec_lo, s1
	global_store_b8 v[2:3], v7, off
.LBB376_672:
	s_mov_b32 s1, -1
.LBB376_673:
	s_mov_b32 s22, 0
.LBB376_674:
	s_delay_alu instid0(SALU_CYCLE_1)
	s_and_b32 vcc_lo, exec_lo, s22
	s_cbranch_vccz .LBB376_715
; %bb.675:
	v_cmp_lt_i16_e32 vcc_lo, 22, v4
	s_mov_b32 s22, -1
	s_cbranch_vccz .LBB376_707
; %bb.676:
	v_cmp_gt_i16_e32 vcc_lo, 24, v4
	s_mov_b32 s1, -1
	s_cbranch_vccnz .LBB376_696
; %bb.677:
	v_cmp_lt_i16_e32 vcc_lo, 24, v4
	s_cbranch_vccz .LBB376_685
; %bb.678:
	v_xor_b32_e32 v5, v0, v1
	v_cls_i32_e32 v6, v1
	s_mov_b32 s1, exec_lo
	s_delay_alu instid0(VALU_DEP_2) | instskip(NEXT) | instid1(VALU_DEP_2)
	v_ashrrev_i32_e32 v5, 31, v5
	v_add_nc_u32_e32 v6, -1, v6
	s_delay_alu instid0(VALU_DEP_2) | instskip(NEXT) | instid1(VALU_DEP_1)
	v_add_nc_u32_e32 v5, 32, v5
	v_min_u32_e32 v7, v6, v5
	s_delay_alu instid0(VALU_DEP_1) | instskip(NEXT) | instid1(VALU_DEP_1)
	v_lshlrev_b64 v[5:6], v7, v[0:1]
	v_min_u32_e32 v5, 1, v5
	s_delay_alu instid0(VALU_DEP_1) | instskip(SKIP_2) | instid1(VALU_DEP_3)
	v_or_b32_e32 v5, v6, v5
	v_sub_nc_u32_e32 v6, 32, v7
	v_mov_b32_e32 v7, 0x80
	v_cvt_f32_i32_e32 v5, v5
	s_delay_alu instid0(VALU_DEP_1) | instskip(NEXT) | instid1(VALU_DEP_1)
	v_ldexp_f32 v5, v5, v6
	v_and_b32_e32 v6, 0x7fffffff, v5
	s_delay_alu instid0(VALU_DEP_1)
	v_cmpx_gt_u32_e32 0x47800000, v6
	s_cbranch_execz .LBB376_684
; %bb.679:
	v_cmp_lt_u32_e32 vcc_lo, 0x37ffffff, v6
	s_mov_b32 s22, 0
                                        ; implicit-def: $vgpr6
	s_and_saveexec_b32 s23, vcc_lo
	s_delay_alu instid0(SALU_CYCLE_1)
	s_xor_b32 s23, exec_lo, s23
	s_cbranch_execz .LBB376_776
; %bb.680:
	v_bfe_u32 v6, v5, 21, 1
	s_mov_b32 s22, exec_lo
	s_delay_alu instid0(VALU_DEP_1) | instskip(NEXT) | instid1(VALU_DEP_1)
	v_add3_u32 v6, v5, v6, 0x88fffff
	v_lshrrev_b32_e32 v6, 21, v6
	s_or_saveexec_b32 s23, s23
                                        ; implicit-def: $sgpr24
	s_delay_alu instid0(SALU_CYCLE_1)
	s_xor_b32 exec_lo, exec_lo, s23
	s_cbranch_execnz .LBB376_777
.LBB376_681:
	s_or_b32 exec_lo, exec_lo, s23
	v_mov_b32_e32 v7, s24
	s_and_saveexec_b32 s23, s22
.LBB376_682:
	v_lshrrev_b32_e32 v5, 24, v5
	s_delay_alu instid0(VALU_DEP_1)
	v_and_or_b32 v7, 0x80, v5, v6
.LBB376_683:
	s_or_b32 exec_lo, exec_lo, s23
.LBB376_684:
	s_delay_alu instid0(SALU_CYCLE_1)
	s_or_b32 exec_lo, exec_lo, s1
	s_mov_b32 s1, 0
	global_store_b8 v[2:3], v7, off
.LBB376_685:
	s_and_b32 vcc_lo, exec_lo, s1
	s_cbranch_vccz .LBB376_695
; %bb.686:
	v_xor_b32_e32 v5, v0, v1
	v_cls_i32_e32 v6, v1
	s_mov_b32 s1, exec_lo
	s_delay_alu instid0(VALU_DEP_2) | instskip(NEXT) | instid1(VALU_DEP_2)
	v_ashrrev_i32_e32 v5, 31, v5
	v_add_nc_u32_e32 v6, -1, v6
	s_delay_alu instid0(VALU_DEP_2) | instskip(NEXT) | instid1(VALU_DEP_1)
	v_add_nc_u32_e32 v5, 32, v5
	v_min_u32_e32 v7, v6, v5
	s_delay_alu instid0(VALU_DEP_1) | instskip(NEXT) | instid1(VALU_DEP_1)
	v_lshlrev_b64 v[5:6], v7, v[0:1]
	v_min_u32_e32 v5, 1, v5
	s_delay_alu instid0(VALU_DEP_1) | instskip(SKIP_1) | instid1(VALU_DEP_2)
	v_or_b32_e32 v5, v6, v5
	v_sub_nc_u32_e32 v6, 32, v7
	v_cvt_f32_i32_e32 v5, v5
	s_delay_alu instid0(VALU_DEP_1) | instskip(NEXT) | instid1(VALU_DEP_1)
	v_ldexp_f32 v5, v5, v6
                                        ; implicit-def: $vgpr6
	v_and_b32_e32 v7, 0x7fffffff, v5
	s_delay_alu instid0(VALU_DEP_1)
	v_cmpx_gt_u32_e32 0x43f00000, v7
	s_xor_b32 s1, exec_lo, s1
	s_cbranch_execz .LBB376_692
; %bb.687:
	s_mov_b32 s22, exec_lo
                                        ; implicit-def: $vgpr6
	v_cmpx_lt_u32_e32 0x3c7fffff, v7
	s_xor_b32 s22, exec_lo, s22
; %bb.688:
	v_bfe_u32 v6, v5, 20, 1
	s_delay_alu instid0(VALU_DEP_1) | instskip(NEXT) | instid1(VALU_DEP_1)
	v_add3_u32 v6, v5, v6, 0x407ffff
	v_and_b32_e32 v7, 0xff00000, v6
	v_lshrrev_b32_e32 v6, 20, v6
	s_delay_alu instid0(VALU_DEP_2) | instskip(NEXT) | instid1(VALU_DEP_2)
	v_cmp_ne_u32_e32 vcc_lo, 0x7f00000, v7
	v_cndmask_b32_e32 v6, 0x7e, v6, vcc_lo
; %bb.689:
	s_and_not1_saveexec_b32 s22, s22
; %bb.690:
	v_add_f32_e64 v6, 0x46800000, |v5|
; %bb.691:
	s_or_b32 exec_lo, exec_lo, s22
                                        ; implicit-def: $vgpr7
.LBB376_692:
	s_and_not1_saveexec_b32 s1, s1
; %bb.693:
	v_mov_b32_e32 v6, 0x7f
	v_cmp_lt_u32_e32 vcc_lo, 0x7f800000, v7
	s_delay_alu instid0(VALU_DEP_2)
	v_cndmask_b32_e32 v6, 0x7e, v6, vcc_lo
; %bb.694:
	s_or_b32 exec_lo, exec_lo, s1
	v_lshrrev_b32_e32 v5, 24, v5
	s_delay_alu instid0(VALU_DEP_1)
	v_and_or_b32 v5, 0x80, v5, v6
	global_store_b8 v[2:3], v5, off
.LBB376_695:
	s_mov_b32 s1, 0
.LBB376_696:
	s_delay_alu instid0(SALU_CYCLE_1)
	s_and_not1_b32 vcc_lo, exec_lo, s1
	s_cbranch_vccnz .LBB376_706
; %bb.697:
	v_xor_b32_e32 v5, v0, v1
	v_cls_i32_e32 v6, v1
	s_mov_b32 s1, exec_lo
	s_delay_alu instid0(VALU_DEP_2) | instskip(NEXT) | instid1(VALU_DEP_2)
	v_ashrrev_i32_e32 v5, 31, v5
	v_add_nc_u32_e32 v6, -1, v6
	s_delay_alu instid0(VALU_DEP_2) | instskip(NEXT) | instid1(VALU_DEP_1)
	v_add_nc_u32_e32 v5, 32, v5
	v_min_u32_e32 v7, v6, v5
	s_delay_alu instid0(VALU_DEP_1) | instskip(NEXT) | instid1(VALU_DEP_1)
	v_lshlrev_b64 v[5:6], v7, v[0:1]
	v_min_u32_e32 v5, 1, v5
	s_delay_alu instid0(VALU_DEP_1) | instskip(SKIP_1) | instid1(VALU_DEP_2)
	v_or_b32_e32 v5, v6, v5
	v_sub_nc_u32_e32 v6, 32, v7
	v_cvt_f32_i32_e32 v5, v5
	s_delay_alu instid0(VALU_DEP_1) | instskip(NEXT) | instid1(VALU_DEP_1)
	v_ldexp_f32 v5, v5, v6
                                        ; implicit-def: $vgpr6
	v_and_b32_e32 v7, 0x7fffffff, v5
	s_delay_alu instid0(VALU_DEP_1)
	v_cmpx_gt_u32_e32 0x47800000, v7
	s_xor_b32 s1, exec_lo, s1
	s_cbranch_execz .LBB376_703
; %bb.698:
	s_mov_b32 s22, exec_lo
                                        ; implicit-def: $vgpr6
	v_cmpx_lt_u32_e32 0x387fffff, v7
	s_xor_b32 s22, exec_lo, s22
; %bb.699:
	v_bfe_u32 v6, v5, 21, 1
	s_delay_alu instid0(VALU_DEP_1) | instskip(NEXT) | instid1(VALU_DEP_1)
	v_add3_u32 v6, v5, v6, 0x80fffff
	v_lshrrev_b32_e32 v6, 21, v6
; %bb.700:
	s_and_not1_saveexec_b32 s22, s22
; %bb.701:
	v_add_f32_e64 v6, 0x43000000, |v5|
; %bb.702:
	s_or_b32 exec_lo, exec_lo, s22
                                        ; implicit-def: $vgpr7
.LBB376_703:
	s_and_not1_saveexec_b32 s1, s1
; %bb.704:
	v_mov_b32_e32 v6, 0x7f
	v_cmp_lt_u32_e32 vcc_lo, 0x7f800000, v7
	s_delay_alu instid0(VALU_DEP_2)
	v_cndmask_b32_e32 v6, 0x7c, v6, vcc_lo
; %bb.705:
	s_or_b32 exec_lo, exec_lo, s1
	v_lshrrev_b32_e32 v5, 24, v5
	s_delay_alu instid0(VALU_DEP_1)
	v_and_or_b32 v5, 0x80, v5, v6
	global_store_b8 v[2:3], v5, off
.LBB376_706:
	s_mov_b32 s22, 0
	s_mov_b32 s1, -1
.LBB376_707:
	s_and_not1_b32 vcc_lo, exec_lo, s22
	s_cbranch_vccnz .LBB376_715
; %bb.708:
	v_cmp_lt_i16_e32 vcc_lo, 14, v4
	s_mov_b32 s22, -1
	s_cbranch_vccz .LBB376_712
; %bb.709:
	v_cmp_eq_u16_e32 vcc_lo, 15, v4
	s_mov_b32 s0, -1
	s_cbranch_vccz .LBB376_711
; %bb.710:
	v_xor_b32_e32 v5, v0, v1
	v_cls_i32_e32 v6, v1
	s_mov_b32 s1, -1
	s_mov_b32 s0, 0
	s_delay_alu instid0(VALU_DEP_2) | instskip(NEXT) | instid1(VALU_DEP_2)
	v_ashrrev_i32_e32 v5, 31, v5
	v_add_nc_u32_e32 v6, -1, v6
	s_delay_alu instid0(VALU_DEP_2) | instskip(NEXT) | instid1(VALU_DEP_1)
	v_add_nc_u32_e32 v5, 32, v5
	v_min_u32_e32 v7, v6, v5
	s_delay_alu instid0(VALU_DEP_1) | instskip(NEXT) | instid1(VALU_DEP_1)
	v_lshlrev_b64 v[5:6], v7, v[0:1]
	v_min_u32_e32 v5, 1, v5
	s_delay_alu instid0(VALU_DEP_1) | instskip(SKIP_1) | instid1(VALU_DEP_2)
	v_or_b32_e32 v5, v6, v5
	v_sub_nc_u32_e32 v6, 32, v7
	v_cvt_f32_i32_e32 v5, v5
	s_delay_alu instid0(VALU_DEP_1) | instskip(NEXT) | instid1(VALU_DEP_1)
	v_ldexp_f32 v5, v5, v6
	v_bfe_u32 v6, v5, 16, 1
	s_delay_alu instid0(VALU_DEP_1)
	v_add3_u32 v5, v5, v6, 0x7fff
	global_store_d16_hi_b16 v[2:3], v5, off
.LBB376_711:
	s_mov_b32 s22, 0
.LBB376_712:
	s_delay_alu instid0(SALU_CYCLE_1)
	s_and_b32 vcc_lo, exec_lo, s22
	s_cbranch_vccz .LBB376_715
; %bb.713:
	v_cmp_eq_u16_e32 vcc_lo, 11, v4
	s_mov_b32 s0, -1
	s_cbranch_vccz .LBB376_715
; %bb.714:
	v_cmp_ne_u64_e32 vcc_lo, 0, v[0:1]
	s_mov_b32 s1, -1
	s_mov_b32 s0, 0
	v_cndmask_b32_e64 v5, 0, 1, vcc_lo
	global_store_b8 v[2:3], v5, off
.LBB376_715:
	s_mov_b32 s22, 0
.LBB376_716:
	s_delay_alu instid0(SALU_CYCLE_1)
	s_and_b32 vcc_lo, exec_lo, s22
	s_cbranch_vccz .LBB376_755
; %bb.717:
	v_cmp_gt_i16_e32 vcc_lo, 5, v4
	s_mov_b32 s1, -1
	s_cbranch_vccnz .LBB376_738
; %bb.718:
	v_cmp_gt_i16_e32 vcc_lo, 8, v4
	s_cbranch_vccnz .LBB376_728
; %bb.719:
	v_cmp_gt_i16_e32 vcc_lo, 9, v4
	s_cbranch_vccnz .LBB376_725
; %bb.720:
	v_cmp_lt_i16_e32 vcc_lo, 9, v4
	s_cbranch_vccz .LBB376_722
; %bb.721:
	v_cvt_f64_i32_e32 v[5:6], v1
	v_cvt_f64_u32_e32 v[7:8], v0
	s_mov_b32 s1, 0
	s_delay_alu instid0(VALU_DEP_2) | instskip(NEXT) | instid1(VALU_DEP_1)
	v_ldexp_f64 v[5:6], v[5:6], 32
	v_add_f64 v[5:6], v[5:6], v[7:8]
	v_mov_b32_e32 v7, 0
	s_delay_alu instid0(VALU_DEP_1)
	v_mov_b32_e32 v8, v7
	global_store_b128 v[2:3], v[5:8], off
.LBB376_722:
	s_and_not1_b32 vcc_lo, exec_lo, s1
	s_cbranch_vccnz .LBB376_724
; %bb.723:
	v_xor_b32_e32 v5, v0, v1
	v_cls_i32_e32 v6, v1
	s_delay_alu instid0(VALU_DEP_2) | instskip(NEXT) | instid1(VALU_DEP_2)
	v_ashrrev_i32_e32 v5, 31, v5
	v_add_nc_u32_e32 v6, -1, v6
	s_delay_alu instid0(VALU_DEP_2) | instskip(NEXT) | instid1(VALU_DEP_1)
	v_add_nc_u32_e32 v5, 32, v5
	v_min_u32_e32 v7, v6, v5
	s_delay_alu instid0(VALU_DEP_1) | instskip(NEXT) | instid1(VALU_DEP_1)
	v_lshlrev_b64 v[5:6], v7, v[0:1]
	v_min_u32_e32 v5, 1, v5
	s_delay_alu instid0(VALU_DEP_1) | instskip(SKIP_1) | instid1(VALU_DEP_2)
	v_or_b32_e32 v5, v6, v5
	v_sub_nc_u32_e32 v6, 32, v7
	v_cvt_f32_i32_e32 v5, v5
	s_delay_alu instid0(VALU_DEP_1)
	v_ldexp_f32 v5, v5, v6
	v_mov_b32_e32 v6, 0
	global_store_b64 v[2:3], v[5:6], off
.LBB376_724:
	s_mov_b32 s1, 0
.LBB376_725:
	s_delay_alu instid0(SALU_CYCLE_1)
	s_and_not1_b32 vcc_lo, exec_lo, s1
	s_cbranch_vccnz .LBB376_727
; %bb.726:
	v_xor_b32_e32 v5, v0, v1
	v_cls_i32_e32 v6, v1
	s_delay_alu instid0(VALU_DEP_2) | instskip(NEXT) | instid1(VALU_DEP_2)
	v_ashrrev_i32_e32 v5, 31, v5
	v_add_nc_u32_e32 v6, -1, v6
	s_delay_alu instid0(VALU_DEP_2) | instskip(NEXT) | instid1(VALU_DEP_1)
	v_add_nc_u32_e32 v5, 32, v5
	v_min_u32_e32 v7, v6, v5
	s_delay_alu instid0(VALU_DEP_1) | instskip(NEXT) | instid1(VALU_DEP_1)
	v_lshlrev_b64 v[5:6], v7, v[0:1]
	v_min_u32_e32 v5, 1, v5
	s_delay_alu instid0(VALU_DEP_1) | instskip(SKIP_1) | instid1(VALU_DEP_2)
	v_or_b32_e32 v5, v6, v5
	v_sub_nc_u32_e32 v6, 32, v7
	v_cvt_f32_i32_e32 v5, v5
	s_delay_alu instid0(VALU_DEP_1) | instskip(NEXT) | instid1(VALU_DEP_1)
	v_ldexp_f32 v5, v5, v6
	v_cvt_f16_f32_e32 v5, v5
	s_delay_alu instid0(VALU_DEP_1)
	v_and_b32_e32 v5, 0xffff, v5
	global_store_b32 v[2:3], v5, off
.LBB376_727:
	s_mov_b32 s1, 0
.LBB376_728:
	s_delay_alu instid0(SALU_CYCLE_1)
	s_and_not1_b32 vcc_lo, exec_lo, s1
	s_cbranch_vccnz .LBB376_737
; %bb.729:
	v_cmp_gt_i16_e32 vcc_lo, 6, v4
	s_mov_b32 s1, -1
	s_cbranch_vccnz .LBB376_735
; %bb.730:
	v_cmp_lt_i16_e32 vcc_lo, 6, v4
	s_cbranch_vccz .LBB376_732
; %bb.731:
	v_cvt_f64_i32_e32 v[5:6], v1
	v_cvt_f64_u32_e32 v[7:8], v0
	s_mov_b32 s1, 0
	s_delay_alu instid0(VALU_DEP_2) | instskip(NEXT) | instid1(VALU_DEP_1)
	v_ldexp_f64 v[5:6], v[5:6], 32
	v_add_f64 v[5:6], v[5:6], v[7:8]
	global_store_b64 v[2:3], v[5:6], off
.LBB376_732:
	s_and_not1_b32 vcc_lo, exec_lo, s1
	s_cbranch_vccnz .LBB376_734
; %bb.733:
	v_xor_b32_e32 v5, v0, v1
	v_cls_i32_e32 v6, v1
	s_delay_alu instid0(VALU_DEP_2) | instskip(NEXT) | instid1(VALU_DEP_2)
	v_ashrrev_i32_e32 v5, 31, v5
	v_add_nc_u32_e32 v6, -1, v6
	s_delay_alu instid0(VALU_DEP_2) | instskip(NEXT) | instid1(VALU_DEP_1)
	v_add_nc_u32_e32 v5, 32, v5
	v_min_u32_e32 v7, v6, v5
	s_delay_alu instid0(VALU_DEP_1) | instskip(NEXT) | instid1(VALU_DEP_1)
	v_lshlrev_b64 v[5:6], v7, v[0:1]
	v_min_u32_e32 v5, 1, v5
	s_delay_alu instid0(VALU_DEP_1) | instskip(SKIP_1) | instid1(VALU_DEP_2)
	v_or_b32_e32 v5, v6, v5
	v_sub_nc_u32_e32 v6, 32, v7
	v_cvt_f32_i32_e32 v5, v5
	s_delay_alu instid0(VALU_DEP_1)
	v_ldexp_f32 v5, v5, v6
	global_store_b32 v[2:3], v5, off
.LBB376_734:
	s_mov_b32 s1, 0
.LBB376_735:
	s_delay_alu instid0(SALU_CYCLE_1)
	s_and_not1_b32 vcc_lo, exec_lo, s1
	s_cbranch_vccnz .LBB376_737
; %bb.736:
	v_xor_b32_e32 v5, v0, v1
	v_cls_i32_e32 v6, v1
	s_delay_alu instid0(VALU_DEP_2) | instskip(NEXT) | instid1(VALU_DEP_2)
	v_ashrrev_i32_e32 v5, 31, v5
	v_add_nc_u32_e32 v6, -1, v6
	s_delay_alu instid0(VALU_DEP_2) | instskip(NEXT) | instid1(VALU_DEP_1)
	v_add_nc_u32_e32 v5, 32, v5
	v_min_u32_e32 v7, v6, v5
	s_delay_alu instid0(VALU_DEP_1) | instskip(NEXT) | instid1(VALU_DEP_1)
	v_lshlrev_b64 v[5:6], v7, v[0:1]
	v_min_u32_e32 v5, 1, v5
	s_delay_alu instid0(VALU_DEP_1) | instskip(SKIP_1) | instid1(VALU_DEP_2)
	v_or_b32_e32 v5, v6, v5
	v_sub_nc_u32_e32 v6, 32, v7
	v_cvt_f32_i32_e32 v5, v5
	s_delay_alu instid0(VALU_DEP_1) | instskip(NEXT) | instid1(VALU_DEP_1)
	v_ldexp_f32 v5, v5, v6
	v_cvt_f16_f32_e32 v5, v5
	global_store_b16 v[2:3], v5, off
.LBB376_737:
	s_mov_b32 s1, 0
.LBB376_738:
	s_delay_alu instid0(SALU_CYCLE_1)
	s_and_not1_b32 vcc_lo, exec_lo, s1
	s_cbranch_vccnz .LBB376_754
; %bb.739:
	v_cmp_gt_i16_e32 vcc_lo, 2, v4
	s_mov_b32 s1, -1
	s_cbranch_vccnz .LBB376_749
; %bb.740:
	v_cmp_gt_i16_e32 vcc_lo, 3, v4
	s_cbranch_vccnz .LBB376_746
; %bb.741:
	v_cmp_lt_i16_e32 vcc_lo, 3, v4
	s_cbranch_vccz .LBB376_743
; %bb.742:
	s_mov_b32 s1, 0
	global_store_b64 v[2:3], v[0:1], off
.LBB376_743:
	s_and_not1_b32 vcc_lo, exec_lo, s1
	s_cbranch_vccnz .LBB376_745
; %bb.744:
	global_store_b32 v[2:3], v0, off
.LBB376_745:
	s_mov_b32 s1, 0
.LBB376_746:
	s_delay_alu instid0(SALU_CYCLE_1)
	s_and_not1_b32 vcc_lo, exec_lo, s1
	s_cbranch_vccnz .LBB376_748
; %bb.747:
	global_store_b16 v[2:3], v0, off
.LBB376_748:
	s_mov_b32 s1, 0
.LBB376_749:
	s_delay_alu instid0(SALU_CYCLE_1)
	s_and_not1_b32 vcc_lo, exec_lo, s1
	s_cbranch_vccnz .LBB376_754
; %bb.750:
	v_cmp_lt_i16_e32 vcc_lo, 0, v4
	s_mov_b32 s1, -1
	s_cbranch_vccz .LBB376_752
; %bb.751:
	s_mov_b32 s1, 0
	global_store_b8 v[2:3], v0, off
.LBB376_752:
	s_and_not1_b32 vcc_lo, exec_lo, s1
	s_cbranch_vccnz .LBB376_754
; %bb.753:
	global_store_b8 v[2:3], v0, off
.LBB376_754:
	s_mov_b32 s1, -1
.LBB376_755:
	s_delay_alu instid0(SALU_CYCLE_1)
	s_and_not1_b32 vcc_lo, exec_lo, s1
	s_cbranch_vccnz .LBB376_757
; %bb.756:
	v_add_nc_u32_e32 v10, 0x80, v10
	s_mov_b32 s1, -1
	s_branch .LBB376_759
.LBB376_757:
	s_mov_b32 s1, 0
.LBB376_758:
                                        ; implicit-def: $vgpr10
.LBB376_759:
	s_and_not1_b32 s22, s18, exec_lo
	s_and_b32 s0, s0, exec_lo
	s_and_not1_b32 s23, s17, exec_lo
	s_and_b32 s21, s21, exec_lo
	s_or_b32 s22, s22, s0
	s_or_b32 s21, s23, s21
	s_or_not1_b32 s0, s1, exec_lo
.LBB376_760:
	s_or_b32 exec_lo, exec_lo, s20
	s_mov_b32 s1, 0
	s_mov_b32 s23, 0
	;; [unrolled: 1-line block ×3, first 2 shown]
                                        ; implicit-def: $vgpr0_vgpr1
                                        ; implicit-def: $vgpr4_vgpr5
	s_and_saveexec_b32 s20, s0
	s_cbranch_execz .LBB376_841
; %bb.761:
	v_cmp_gt_i32_e32 vcc_lo, s14, v10
	s_mov_b32 s0, 0
	s_mov_b32 s25, s21
	;; [unrolled: 1-line block ×3, first 2 shown]
                                        ; implicit-def: $vgpr0_vgpr1
                                        ; implicit-def: $vgpr4_vgpr5
	s_and_saveexec_b32 s14, vcc_lo
	s_cbranch_execz .LBB376_840
; %bb.762:
	v_mul_lo_u32 v0, v10, s9
	v_cmp_gt_i16_e32 vcc_lo, 11, v11
	s_delay_alu instid0(VALU_DEP_2) | instskip(SKIP_1) | instid1(VALU_DEP_1)
	v_ashrrev_i32_e32 v1, 31, v0
	v_add_co_u32 v0, s0, s6, v0
	v_add_co_ci_u32_e64 v1, s0, s7, v1, s0
	s_cbranch_vccnz .LBB376_769
; %bb.763:
	v_cmp_lt_i16_e32 vcc_lo, 25, v11
	s_cbranch_vccz .LBB376_770
; %bb.764:
	v_cmp_lt_i16_e32 vcc_lo, 28, v11
	s_cbranch_vccz .LBB376_771
	;; [unrolled: 3-line block ×4, first 2 shown]
; %bb.767:
	v_cmp_eq_u16_e32 vcc_lo, 46, v11
	s_cbranch_vccz .LBB376_778
; %bb.768:
	global_load_b32 v2, v[0:1], off
	s_mov_b32 s0, -1
	s_waitcnt vmcnt(0)
	v_lshlrev_b32_e32 v2, 16, v2
	s_delay_alu instid0(VALU_DEP_1) | instskip(NEXT) | instid1(VALU_DEP_1)
	v_trunc_f32_e32 v2, v2
	v_mul_f32_e64 v3, 0x2f800000, |v2|
	s_delay_alu instid0(VALU_DEP_1) | instskip(NEXT) | instid1(VALU_DEP_1)
	v_floor_f32_e32 v3, v3
	v_fma_f32 v4, 0xcf800000, v3, |v2|
	v_ashrrev_i32_e32 v2, 31, v2
	v_cvt_u32_f32_e32 v3, v3
	s_delay_alu instid0(VALU_DEP_3) | instskip(NEXT) | instid1(VALU_DEP_2)
	v_cvt_u32_f32_e32 v4, v4
	v_xor_b32_e32 v3, v3, v2
	s_delay_alu instid0(VALU_DEP_2) | instskip(NEXT) | instid1(VALU_DEP_1)
	v_xor_b32_e32 v4, v4, v2
	v_sub_co_u32 v4, vcc_lo, v4, v2
	s_delay_alu instid0(VALU_DEP_3)
	v_sub_co_ci_u32_e32 v5, vcc_lo, v3, v2, vcc_lo
	s_branch .LBB376_780
.LBB376_769:
	s_mov_b32 s1, -1
	s_mov_b32 s0, 0
	s_mov_b32 s23, s21
                                        ; implicit-def: $vgpr4_vgpr5
	s_branch .LBB376_839
.LBB376_770:
	s_mov_b32 s1, -1
	s_mov_b32 s0, 0
	s_mov_b32 s23, s21
                                        ; implicit-def: $vgpr4_vgpr5
	s_branch .LBB376_809
.LBB376_771:
	s_mov_b32 s1, -1
	s_mov_b32 s0, 0
	s_mov_b32 s23, s21
                                        ; implicit-def: $vgpr4_vgpr5
	s_branch .LBB376_790
.LBB376_772:
	s_mov_b32 s1, -1
	s_mov_b32 s0, 0
	s_mov_b32 s23, s21
                                        ; implicit-def: $vgpr4_vgpr5
	s_branch .LBB376_785
.LBB376_773:
	s_or_saveexec_b32 s23, s23
                                        ; implicit-def: $sgpr24
	s_delay_alu instid0(SALU_CYCLE_1)
	s_xor_b32 exec_lo, exec_lo, s23
	s_cbranch_execz .LBB376_668
.LBB376_774:
	v_add_f32_e64 v6, 0x46000000, |v5|
	s_and_not1_b32 s22, s22, exec_lo
	s_mov_b32 s24, 0
	s_delay_alu instid0(VALU_DEP_1) | instskip(NEXT) | instid1(VALU_DEP_1)
	v_and_b32_e32 v6, 0xff, v6
	v_cmp_ne_u32_e32 vcc_lo, 0, v6
	s_and_b32 s25, vcc_lo, exec_lo
	s_delay_alu instid0(SALU_CYCLE_1)
	s_or_b32 s22, s22, s25
	s_or_b32 exec_lo, exec_lo, s23
	v_mov_b32_e32 v7, s24
	s_and_saveexec_b32 s23, s22
	s_cbranch_execnz .LBB376_669
	s_branch .LBB376_670
.LBB376_775:
	s_mov_b32 s1, -1
	s_mov_b32 s0, 0
	s_mov_b32 s23, s21
	s_branch .LBB376_779
.LBB376_776:
	s_or_saveexec_b32 s23, s23
                                        ; implicit-def: $sgpr24
	s_delay_alu instid0(SALU_CYCLE_1)
	s_xor_b32 exec_lo, exec_lo, s23
	s_cbranch_execz .LBB376_681
.LBB376_777:
	v_add_f32_e64 v6, 0x42800000, |v5|
	s_and_not1_b32 s22, s22, exec_lo
	s_mov_b32 s24, 0
	s_delay_alu instid0(VALU_DEP_1) | instskip(NEXT) | instid1(VALU_DEP_1)
	v_and_b32_e32 v6, 0xff, v6
	v_cmp_ne_u32_e32 vcc_lo, 0, v6
	s_and_b32 s25, vcc_lo, exec_lo
	s_delay_alu instid0(SALU_CYCLE_1)
	s_or_b32 s22, s22, s25
	s_or_b32 exec_lo, exec_lo, s23
	v_mov_b32_e32 v7, s24
	s_and_saveexec_b32 s23, s22
	s_cbranch_execnz .LBB376_682
	s_branch .LBB376_683
.LBB376_778:
	s_mov_b32 s23, -1
	s_mov_b32 s0, 0
.LBB376_779:
                                        ; implicit-def: $vgpr4_vgpr5
.LBB376_780:
	s_and_b32 vcc_lo, exec_lo, s1
	s_cbranch_vccz .LBB376_784
; %bb.781:
	v_cmp_eq_u16_e32 vcc_lo, 44, v11
	s_cbranch_vccz .LBB376_783
; %bb.782:
	global_load_u8 v2, v[0:1], off
	s_mov_b32 s23, 0
	s_mov_b32 s0, -1
	s_waitcnt vmcnt(0)
	v_lshlrev_b32_e32 v3, 23, v2
	s_delay_alu instid0(VALU_DEP_1) | instskip(NEXT) | instid1(VALU_DEP_1)
	v_trunc_f32_e32 v3, v3
	v_mul_f32_e64 v4, 0x2f800000, |v3|
	s_delay_alu instid0(VALU_DEP_1) | instskip(NEXT) | instid1(VALU_DEP_1)
	v_floor_f32_e32 v4, v4
	v_fma_f32 v5, 0xcf800000, v4, |v3|
	v_ashrrev_i32_e32 v3, 31, v3
	v_cvt_u32_f32_e32 v4, v4
	s_delay_alu instid0(VALU_DEP_3) | instskip(NEXT) | instid1(VALU_DEP_2)
	v_cvt_u32_f32_e32 v5, v5
	v_xor_b32_e32 v4, v4, v3
	s_delay_alu instid0(VALU_DEP_2) | instskip(NEXT) | instid1(VALU_DEP_1)
	v_xor_b32_e32 v5, v5, v3
	v_sub_co_u32 v6, vcc_lo, v5, v3
	s_delay_alu instid0(VALU_DEP_3) | instskip(SKIP_1) | instid1(VALU_DEP_2)
	v_sub_co_ci_u32_e32 v3, vcc_lo, v4, v3, vcc_lo
	v_cmp_ne_u32_e32 vcc_lo, 0, v2
	v_dual_cndmask_b32 v5, 0, v3 :: v_dual_cndmask_b32 v4, 0, v6
	s_branch .LBB376_784
.LBB376_783:
	s_mov_b32 s23, -1
                                        ; implicit-def: $vgpr4_vgpr5
.LBB376_784:
	s_mov_b32 s1, 0
.LBB376_785:
	s_delay_alu instid0(SALU_CYCLE_1)
	s_and_b32 vcc_lo, exec_lo, s1
	s_cbranch_vccz .LBB376_789
; %bb.786:
	v_cmp_eq_u16_e32 vcc_lo, 29, v11
	s_cbranch_vccz .LBB376_788
; %bb.787:
	global_load_b64 v[4:5], v[0:1], off
	s_mov_b32 s23, 0
	s_mov_b32 s0, -1
	s_branch .LBB376_789
.LBB376_788:
	s_mov_b32 s23, -1
                                        ; implicit-def: $vgpr4_vgpr5
.LBB376_789:
	s_mov_b32 s1, 0
.LBB376_790:
	s_delay_alu instid0(SALU_CYCLE_1)
	s_and_b32 vcc_lo, exec_lo, s1
	s_cbranch_vccz .LBB376_808
; %bb.791:
	v_cmp_gt_i16_e32 vcc_lo, 27, v11
	s_cbranch_vccnz .LBB376_794
; %bb.792:
	v_cmp_lt_i16_e32 vcc_lo, 27, v11
	s_cbranch_vccz .LBB376_795
; %bb.793:
	global_load_b32 v4, v[0:1], off
	s_waitcnt vmcnt(1)
	v_mov_b32_e32 v5, 0
	s_mov_b32 s0, 0
	s_branch .LBB376_796
.LBB376_794:
	s_mov_b32 s0, -1
                                        ; implicit-def: $vgpr4_vgpr5
	s_branch .LBB376_799
.LBB376_795:
	s_mov_b32 s0, -1
                                        ; implicit-def: $vgpr4_vgpr5
.LBB376_796:
	s_delay_alu instid0(SALU_CYCLE_1)
	s_and_not1_b32 vcc_lo, exec_lo, s0
	s_cbranch_vccnz .LBB376_798
; %bb.797:
	global_load_u16 v2, v[0:1], off
	s_mov_b32 s0, 0
	s_waitcnt vmcnt(0)
	v_dual_mov_b32 v5, s0 :: v_dual_and_b32 v4, 0xffff, v2
.LBB376_798:
	s_mov_b32 s0, 0
.LBB376_799:
	s_delay_alu instid0(SALU_CYCLE_1)
	s_and_not1_b32 vcc_lo, exec_lo, s0
	s_cbranch_vccnz .LBB376_807
; %bb.800:
	global_load_u8 v2, v[0:1], off
	s_mov_b32 s25, 0
	s_mov_b32 s26, exec_lo
                                        ; implicit-def: $sgpr0_sgpr1
	s_waitcnt vmcnt(0)
	v_cmpx_lt_i16_e32 0x7f, v2
	s_xor_b32 s26, exec_lo, s26
; %bb.801:
	v_cmp_ne_u16_e32 vcc_lo, 0x80, v2
	s_mov_b64 s[0:1], 0
	s_and_b32 s25, vcc_lo, exec_lo
; %bb.802:
	s_or_saveexec_b32 s26, s26
	v_dual_mov_b32 v5, s1 :: v_dual_mov_b32 v4, s0
	s_xor_b32 exec_lo, exec_lo, s26
; %bb.803:
	v_cmp_ne_u16_e32 vcc_lo, 0, v2
	v_mov_b32_e32 v4, 0
	v_mov_b32_e32 v5, 0
	s_and_not1_b32 s0, s25, exec_lo
	s_and_b32 s1, vcc_lo, exec_lo
	s_delay_alu instid0(SALU_CYCLE_1)
	s_or_b32 s25, s0, s1
; %bb.804:
	s_or_b32 exec_lo, exec_lo, s26
	s_and_saveexec_b32 s0, s25
	s_cbranch_execz .LBB376_806
; %bb.805:
	v_and_b32_e32 v3, 0xffff, v2
	v_lshlrev_b32_e32 v2, 24, v2
	s_delay_alu instid0(VALU_DEP_2) | instskip(NEXT) | instid1(VALU_DEP_2)
	v_and_b32_e32 v4, 7, v3
	v_and_b32_e32 v2, 0x80000000, v2
	s_delay_alu instid0(VALU_DEP_2) | instskip(NEXT) | instid1(VALU_DEP_1)
	v_clz_i32_u32_e32 v5, v4
	v_min_u32_e32 v5, 32, v5
	s_delay_alu instid0(VALU_DEP_1) | instskip(SKIP_1) | instid1(VALU_DEP_2)
	v_subrev_nc_u32_e32 v6, 28, v5
	v_sub_nc_u32_e32 v5, 29, v5
	v_lshlrev_b32_e32 v6, v6, v3
	v_bfe_u32 v3, v3, 3, 4
	s_delay_alu instid0(VALU_DEP_2) | instskip(NEXT) | instid1(VALU_DEP_2)
	v_and_b32_e32 v6, 7, v6
	v_cmp_eq_u32_e32 vcc_lo, 0, v3
	s_delay_alu instid0(VALU_DEP_2) | instskip(NEXT) | instid1(VALU_DEP_1)
	v_dual_cndmask_b32 v3, v3, v5 :: v_dual_cndmask_b32 v4, v4, v6
	v_lshl_add_u32 v3, v3, 23, 0x3b800000
	s_delay_alu instid0(VALU_DEP_2) | instskip(NEXT) | instid1(VALU_DEP_1)
	v_lshlrev_b32_e32 v4, 20, v4
	v_or3_b32 v2, v2, v3, v4
	s_delay_alu instid0(VALU_DEP_1) | instskip(NEXT) | instid1(VALU_DEP_1)
	v_trunc_f32_e32 v2, v2
	v_mul_f32_e64 v3, 0x2f800000, |v2|
	s_delay_alu instid0(VALU_DEP_1) | instskip(NEXT) | instid1(VALU_DEP_1)
	v_floor_f32_e32 v3, v3
	v_fma_f32 v4, 0xcf800000, v3, |v2|
	v_ashrrev_i32_e32 v2, 31, v2
	v_cvt_u32_f32_e32 v3, v3
	s_delay_alu instid0(VALU_DEP_3) | instskip(NEXT) | instid1(VALU_DEP_2)
	v_cvt_u32_f32_e32 v4, v4
	v_xor_b32_e32 v3, v3, v2
	s_delay_alu instid0(VALU_DEP_2) | instskip(NEXT) | instid1(VALU_DEP_1)
	v_xor_b32_e32 v4, v4, v2
	v_sub_co_u32 v4, vcc_lo, v4, v2
	s_delay_alu instid0(VALU_DEP_3)
	v_sub_co_ci_u32_e32 v5, vcc_lo, v3, v2, vcc_lo
.LBB376_806:
	s_or_b32 exec_lo, exec_lo, s0
.LBB376_807:
	s_mov_b32 s0, -1
.LBB376_808:
	s_mov_b32 s1, 0
.LBB376_809:
	s_delay_alu instid0(SALU_CYCLE_1)
	s_and_b32 vcc_lo, exec_lo, s1
	s_cbranch_vccz .LBB376_838
; %bb.810:
	v_cmp_lt_i16_e32 vcc_lo, 22, v11
	s_cbranch_vccz .LBB376_820
; %bb.811:
	v_cmp_gt_i16_e32 vcc_lo, 24, v11
	s_cbranch_vccnz .LBB376_821
; %bb.812:
	v_cmp_lt_i16_e32 vcc_lo, 24, v11
	s_cbranch_vccz .LBB376_822
; %bb.813:
	global_load_u8 v2, v[0:1], off
	s_mov_b32 s25, exec_lo
                                        ; implicit-def: $sgpr0_sgpr1
	s_waitcnt vmcnt(0)
	v_cmpx_lt_i16_e32 0x7f, v2
	s_xor_b32 s25, exec_lo, s25
; %bb.814:
	v_cmp_ne_u16_e32 vcc_lo, 0x80, v2
	s_mov_b64 s[0:1], 0
	s_and_b32 s24, vcc_lo, exec_lo
; %bb.815:
	s_or_saveexec_b32 s25, s25
	v_dual_mov_b32 v5, s1 :: v_dual_mov_b32 v4, s0
	s_xor_b32 exec_lo, exec_lo, s25
; %bb.816:
	v_cmp_ne_u16_e32 vcc_lo, 0, v2
	v_mov_b32_e32 v4, 0
	v_mov_b32_e32 v5, 0
	s_and_not1_b32 s0, s24, exec_lo
	s_and_b32 s1, vcc_lo, exec_lo
	s_delay_alu instid0(SALU_CYCLE_1)
	s_or_b32 s24, s0, s1
; %bb.817:
	s_or_b32 exec_lo, exec_lo, s25
	s_and_saveexec_b32 s0, s24
	s_cbranch_execz .LBB376_819
; %bb.818:
	v_and_b32_e32 v3, 0xffff, v2
	v_lshlrev_b32_e32 v2, 24, v2
	s_delay_alu instid0(VALU_DEP_2) | instskip(NEXT) | instid1(VALU_DEP_2)
	v_and_b32_e32 v4, 3, v3
	v_and_b32_e32 v2, 0x80000000, v2
	s_delay_alu instid0(VALU_DEP_2) | instskip(NEXT) | instid1(VALU_DEP_1)
	v_clz_i32_u32_e32 v5, v4
	v_min_u32_e32 v5, 32, v5
	s_delay_alu instid0(VALU_DEP_1) | instskip(SKIP_1) | instid1(VALU_DEP_2)
	v_subrev_nc_u32_e32 v6, 29, v5
	v_sub_nc_u32_e32 v5, 30, v5
	v_lshlrev_b32_e32 v6, v6, v3
	v_bfe_u32 v3, v3, 2, 5
	s_delay_alu instid0(VALU_DEP_2) | instskip(NEXT) | instid1(VALU_DEP_2)
	v_and_b32_e32 v6, 3, v6
	v_cmp_eq_u32_e32 vcc_lo, 0, v3
	s_delay_alu instid0(VALU_DEP_2) | instskip(NEXT) | instid1(VALU_DEP_1)
	v_dual_cndmask_b32 v3, v3, v5 :: v_dual_cndmask_b32 v4, v4, v6
	v_lshl_add_u32 v3, v3, 23, 0x37800000
	s_delay_alu instid0(VALU_DEP_2) | instskip(NEXT) | instid1(VALU_DEP_1)
	v_lshlrev_b32_e32 v4, 21, v4
	v_or3_b32 v2, v2, v3, v4
	s_delay_alu instid0(VALU_DEP_1) | instskip(NEXT) | instid1(VALU_DEP_1)
	v_trunc_f32_e32 v2, v2
	v_mul_f32_e64 v3, 0x2f800000, |v2|
	s_delay_alu instid0(VALU_DEP_1) | instskip(NEXT) | instid1(VALU_DEP_1)
	v_floor_f32_e32 v3, v3
	v_fma_f32 v4, 0xcf800000, v3, |v2|
	v_ashrrev_i32_e32 v2, 31, v2
	v_cvt_u32_f32_e32 v3, v3
	s_delay_alu instid0(VALU_DEP_3) | instskip(NEXT) | instid1(VALU_DEP_2)
	v_cvt_u32_f32_e32 v4, v4
	v_xor_b32_e32 v3, v3, v2
	s_delay_alu instid0(VALU_DEP_2) | instskip(NEXT) | instid1(VALU_DEP_1)
	v_xor_b32_e32 v4, v4, v2
	v_sub_co_u32 v4, vcc_lo, v4, v2
	s_delay_alu instid0(VALU_DEP_3)
	v_sub_co_ci_u32_e32 v5, vcc_lo, v3, v2, vcc_lo
.LBB376_819:
	s_or_b32 exec_lo, exec_lo, s0
	s_mov_b32 s0, 0
	s_branch .LBB376_823
.LBB376_820:
	s_mov_b32 s1, -1
                                        ; implicit-def: $vgpr4_vgpr5
	s_branch .LBB376_829
.LBB376_821:
	s_mov_b32 s0, -1
                                        ; implicit-def: $vgpr4_vgpr5
	s_branch .LBB376_826
.LBB376_822:
	s_mov_b32 s0, -1
                                        ; implicit-def: $vgpr4_vgpr5
.LBB376_823:
	s_delay_alu instid0(SALU_CYCLE_1)
	s_and_b32 vcc_lo, exec_lo, s0
	s_cbranch_vccz .LBB376_825
; %bb.824:
	global_load_u8 v2, v[0:1], off
	s_waitcnt vmcnt(0)
	v_lshlrev_b32_e32 v2, 24, v2
	s_delay_alu instid0(VALU_DEP_1) | instskip(NEXT) | instid1(VALU_DEP_1)
	v_and_b32_e32 v3, 0x7f000000, v2
	v_clz_i32_u32_e32 v4, v3
	v_add_nc_u32_e32 v6, 0x1000000, v3
	v_cmp_ne_u32_e32 vcc_lo, 0, v3
	s_delay_alu instid0(VALU_DEP_3) | instskip(NEXT) | instid1(VALU_DEP_1)
	v_min_u32_e32 v4, 32, v4
	v_sub_nc_u32_e64 v4, v4, 4 clamp
	s_delay_alu instid0(VALU_DEP_1) | instskip(SKIP_1) | instid1(VALU_DEP_2)
	v_lshlrev_b32_e32 v5, v4, v3
	v_lshlrev_b32_e32 v4, 23, v4
	v_lshrrev_b32_e32 v5, 4, v5
	s_delay_alu instid0(VALU_DEP_1) | instskip(SKIP_1) | instid1(VALU_DEP_2)
	v_sub_nc_u32_e32 v4, v5, v4
	v_ashrrev_i32_e32 v5, 8, v6
	v_add_nc_u32_e32 v4, 0x3c000000, v4
	s_delay_alu instid0(VALU_DEP_1) | instskip(NEXT) | instid1(VALU_DEP_1)
	v_and_or_b32 v4, 0x7f800000, v5, v4
	v_cndmask_b32_e32 v3, 0, v4, vcc_lo
	s_delay_alu instid0(VALU_DEP_1) | instskip(NEXT) | instid1(VALU_DEP_1)
	v_and_or_b32 v2, 0x80000000, v2, v3
	v_trunc_f32_e32 v2, v2
	s_delay_alu instid0(VALU_DEP_1) | instskip(NEXT) | instid1(VALU_DEP_1)
	v_mul_f32_e64 v3, 0x2f800000, |v2|
	v_floor_f32_e32 v3, v3
	s_delay_alu instid0(VALU_DEP_1) | instskip(SKIP_2) | instid1(VALU_DEP_3)
	v_fma_f32 v4, 0xcf800000, v3, |v2|
	v_ashrrev_i32_e32 v2, 31, v2
	v_cvt_u32_f32_e32 v3, v3
	v_cvt_u32_f32_e32 v4, v4
	s_delay_alu instid0(VALU_DEP_2) | instskip(NEXT) | instid1(VALU_DEP_2)
	v_xor_b32_e32 v3, v3, v2
	v_xor_b32_e32 v4, v4, v2
	s_delay_alu instid0(VALU_DEP_1) | instskip(NEXT) | instid1(VALU_DEP_3)
	v_sub_co_u32 v4, vcc_lo, v4, v2
	v_sub_co_ci_u32_e32 v5, vcc_lo, v3, v2, vcc_lo
.LBB376_825:
	s_mov_b32 s0, 0
.LBB376_826:
	s_delay_alu instid0(SALU_CYCLE_1)
	s_and_not1_b32 vcc_lo, exec_lo, s0
	s_cbranch_vccnz .LBB376_828
; %bb.827:
	global_load_u8 v2, v[0:1], off
	s_waitcnt vmcnt(0)
	v_lshlrev_b32_e32 v3, 25, v2
	v_lshlrev_b16 v2, 8, v2
	s_delay_alu instid0(VALU_DEP_2) | instskip(NEXT) | instid1(VALU_DEP_2)
	v_lshrrev_b32_e32 v4, 4, v3
	v_and_or_b32 v5, 0x7f00, v2, 0.5
	v_bfe_i32 v2, v2, 0, 16
	s_delay_alu instid0(VALU_DEP_3) | instskip(NEXT) | instid1(VALU_DEP_1)
	v_or_b32_e32 v4, 0x70000000, v4
	v_dual_add_f32 v5, -0.5, v5 :: v_dual_mul_f32 v4, 0x7800000, v4
	v_cmp_gt_u32_e32 vcc_lo, 0x8000000, v3
	s_delay_alu instid0(VALU_DEP_2) | instskip(NEXT) | instid1(VALU_DEP_1)
	v_cndmask_b32_e32 v3, v4, v5, vcc_lo
	v_and_or_b32 v2, 0x80000000, v2, v3
	s_delay_alu instid0(VALU_DEP_1) | instskip(NEXT) | instid1(VALU_DEP_1)
	v_trunc_f32_e32 v2, v2
	v_mul_f32_e64 v3, 0x2f800000, |v2|
	s_delay_alu instid0(VALU_DEP_1) | instskip(NEXT) | instid1(VALU_DEP_1)
	v_floor_f32_e32 v3, v3
	v_fma_f32 v4, 0xcf800000, v3, |v2|
	v_ashrrev_i32_e32 v2, 31, v2
	v_cvt_u32_f32_e32 v3, v3
	s_delay_alu instid0(VALU_DEP_3) | instskip(NEXT) | instid1(VALU_DEP_2)
	v_cvt_u32_f32_e32 v4, v4
	v_xor_b32_e32 v3, v3, v2
	s_delay_alu instid0(VALU_DEP_2) | instskip(NEXT) | instid1(VALU_DEP_1)
	v_xor_b32_e32 v4, v4, v2
	v_sub_co_u32 v4, vcc_lo, v4, v2
	s_delay_alu instid0(VALU_DEP_3)
	v_sub_co_ci_u32_e32 v5, vcc_lo, v3, v2, vcc_lo
.LBB376_828:
	s_mov_b32 s1, 0
	s_mov_b32 s0, -1
.LBB376_829:
	s_and_not1_b32 vcc_lo, exec_lo, s1
	s_mov_b32 s24, 0
	s_cbranch_vccnz .LBB376_838
; %bb.830:
	v_cmp_lt_i16_e32 vcc_lo, 14, v11
	s_cbranch_vccz .LBB376_833
; %bb.831:
	v_cmp_eq_u16_e32 vcc_lo, 15, v11
	s_cbranch_vccz .LBB376_834
; %bb.832:
	global_load_u16 v2, v[0:1], off
	s_mov_b32 s23, 0
	s_mov_b32 s0, -1
	s_waitcnt vmcnt(0)
	v_lshlrev_b32_e32 v2, 16, v2
	s_delay_alu instid0(VALU_DEP_1) | instskip(NEXT) | instid1(VALU_DEP_1)
	v_trunc_f32_e32 v2, v2
	v_mul_f32_e64 v3, 0x2f800000, |v2|
	s_delay_alu instid0(VALU_DEP_1) | instskip(NEXT) | instid1(VALU_DEP_1)
	v_floor_f32_e32 v3, v3
	v_fma_f32 v4, 0xcf800000, v3, |v2|
	v_ashrrev_i32_e32 v2, 31, v2
	v_cvt_u32_f32_e32 v3, v3
	s_delay_alu instid0(VALU_DEP_3) | instskip(NEXT) | instid1(VALU_DEP_2)
	v_cvt_u32_f32_e32 v4, v4
	v_xor_b32_e32 v3, v3, v2
	s_delay_alu instid0(VALU_DEP_2) | instskip(NEXT) | instid1(VALU_DEP_1)
	v_xor_b32_e32 v4, v4, v2
	v_sub_co_u32 v4, vcc_lo, v4, v2
	s_delay_alu instid0(VALU_DEP_3)
	v_sub_co_ci_u32_e32 v5, vcc_lo, v3, v2, vcc_lo
	s_branch .LBB376_835
.LBB376_833:
	s_mov_b32 s1, -1
                                        ; implicit-def: $vgpr4_vgpr5
	s_branch .LBB376_836
.LBB376_834:
	s_mov_b32 s23, -1
                                        ; implicit-def: $vgpr4_vgpr5
.LBB376_835:
	s_mov_b32 s1, 0
.LBB376_836:
	s_delay_alu instid0(SALU_CYCLE_1)
	s_and_b32 vcc_lo, exec_lo, s1
	s_cbranch_vccz .LBB376_838
; %bb.837:
	v_cmp_ne_u16_e32 vcc_lo, 11, v11
	s_and_not1_b32 s1, s23, exec_lo
	s_mov_b32 s24, -1
                                        ; implicit-def: $vgpr4_vgpr5
	s_and_b32 s23, vcc_lo, exec_lo
	s_delay_alu instid0(SALU_CYCLE_1)
	s_or_b32 s23, s1, s23
.LBB376_838:
	s_mov_b32 s1, 0
.LBB376_839:
	s_and_not1_b32 s25, s21, exec_lo
	s_and_b32 s23, s23, exec_lo
	s_and_b32 s26, s0, exec_lo
	;; [unrolled: 1-line block ×4, first 2 shown]
	s_or_b32 s25, s25, s23
.LBB376_840:
	s_or_b32 exec_lo, exec_lo, s14
	s_delay_alu instid0(SALU_CYCLE_1)
	s_and_not1_b32 s14, s21, exec_lo
	s_and_b32 s21, s25, exec_lo
	s_and_b32 s24, s26, exec_lo
	;; [unrolled: 1-line block ×4, first 2 shown]
	s_or_b32 s21, s14, s21
.LBB376_841:
	s_or_b32 exec_lo, exec_lo, s20
	s_delay_alu instid0(SALU_CYCLE_1)
	s_and_not1_b32 s0, s18, exec_lo
	s_and_b32 s14, s22, exec_lo
	s_and_b32 s20, s23, exec_lo
	s_or_b32 s18, s0, s14
	s_and_not1_b32 s14, s17, exec_lo
	s_and_b32 s17, s21, exec_lo
	s_and_b32 s0, s24, exec_lo
	;; [unrolled: 1-line block ×3, first 2 shown]
	s_or_b32 s17, s14, s17
.LBB376_842:
	s_or_b32 exec_lo, exec_lo, s19
	s_delay_alu instid0(SALU_CYCLE_1)
	s_and_not1_b32 s13, s13, exec_lo
	s_and_b32 s14, s18, exec_lo
	s_and_b32 s0, s0, exec_lo
	s_or_b32 s13, s13, s14
	s_and_not1_b32 s14, s15, exec_lo
	s_and_b32 s15, s17, exec_lo
	s_and_b32 s18, s20, exec_lo
	;; [unrolled: 1-line block ×3, first 2 shown]
	s_or_b32 s15, s14, s15
.LBB376_843:
	s_or_b32 exec_lo, exec_lo, s16
	s_mov_b32 s1, 0
	s_and_saveexec_b32 s14, s15
	s_cbranch_execnz .LBB376_855
; %bb.844:
	s_or_b32 exec_lo, exec_lo, s14
	s_and_saveexec_b32 s14, s17
	s_delay_alu instid0(SALU_CYCLE_1)
	s_xor_b32 s14, exec_lo, s14
	s_cbranch_execz .LBB376_846
.LBB376_845:
	global_load_u8 v2, v[0:1], off
	s_mov_b32 s15, 0
	s_or_b32 s0, s0, exec_lo
	s_waitcnt vmcnt(1)
	v_mov_b32_e32 v5, s15
	s_waitcnt vmcnt(0)
	v_cmp_ne_u16_e32 vcc_lo, 0, v2
	v_cndmask_b32_e64 v4, 0, 1, vcc_lo
.LBB376_846:
	s_or_b32 exec_lo, exec_lo, s14
	s_and_saveexec_b32 s14, s18
	s_cbranch_execz .LBB376_894
; %bb.847:
	v_cmp_gt_i16_e32 vcc_lo, 5, v11
	s_cbranch_vccnz .LBB376_852
; %bb.848:
	v_cmp_gt_i16_e32 vcc_lo, 8, v11
	s_cbranch_vccnz .LBB376_853
; %bb.849:
	v_cmp_gt_i16_e32 vcc_lo, 9, v11
	s_cbranch_vccnz .LBB376_854
; %bb.850:
	v_cmp_lt_i16_e32 vcc_lo, 9, v11
	s_cbranch_vccz .LBB376_857
; %bb.851:
	global_load_b64 v[2:3], v[0:1], off
	s_mov_b32 s15, 0
	s_waitcnt vmcnt(0)
	v_trunc_f64_e32 v[2:3], v[2:3]
	s_delay_alu instid0(VALU_DEP_1) | instskip(NEXT) | instid1(VALU_DEP_1)
	v_ldexp_f64 v[4:5], v[2:3], 0xffffffe0
	v_floor_f64_e32 v[4:5], v[4:5]
	s_delay_alu instid0(VALU_DEP_1) | instskip(SKIP_1) | instid1(VALU_DEP_2)
	v_fma_f64 v[2:3], 0xc1f00000, v[4:5], v[2:3]
	v_cvt_i32_f64_e32 v5, v[4:5]
	v_cvt_u32_f64_e32 v4, v[2:3]
	s_branch .LBB376_858
.LBB376_852:
                                        ; implicit-def: $vgpr4_vgpr5
	s_branch .LBB376_875
.LBB376_853:
                                        ; implicit-def: $vgpr4_vgpr5
	s_branch .LBB376_864
.LBB376_854:
	s_mov_b32 s15, -1
                                        ; implicit-def: $vgpr4_vgpr5
	s_branch .LBB376_861
.LBB376_855:
	s_cbranch_execnz .LBB376_903
; %bb.856:
	s_mov_b32 s1, exec_lo
	s_and_not1_b32 s17, s17, exec_lo
                                        ; implicit-def: $vgpr4_vgpr5
	s_or_b32 exec_lo, exec_lo, s14
	s_and_saveexec_b32 s14, s17
	s_delay_alu instid0(SALU_CYCLE_1)
	s_xor_b32 s14, exec_lo, s14
	s_cbranch_execnz .LBB376_845
	s_branch .LBB376_846
.LBB376_857:
	s_mov_b32 s15, -1
                                        ; implicit-def: $vgpr4_vgpr5
.LBB376_858:
	s_delay_alu instid0(SALU_CYCLE_1)
	s_and_not1_b32 vcc_lo, exec_lo, s15
	s_cbranch_vccnz .LBB376_860
; %bb.859:
	global_load_b32 v2, v[0:1], off
	s_waitcnt vmcnt(0)
	v_trunc_f32_e32 v2, v2
	s_delay_alu instid0(VALU_DEP_1) | instskip(NEXT) | instid1(VALU_DEP_1)
	v_mul_f32_e64 v3, 0x2f800000, |v2|
	v_floor_f32_e32 v3, v3
	s_delay_alu instid0(VALU_DEP_1) | instskip(SKIP_2) | instid1(VALU_DEP_3)
	v_fma_f32 v4, 0xcf800000, v3, |v2|
	v_ashrrev_i32_e32 v2, 31, v2
	v_cvt_u32_f32_e32 v3, v3
	v_cvt_u32_f32_e32 v4, v4
	s_delay_alu instid0(VALU_DEP_2) | instskip(NEXT) | instid1(VALU_DEP_2)
	v_xor_b32_e32 v3, v3, v2
	v_xor_b32_e32 v4, v4, v2
	s_delay_alu instid0(VALU_DEP_1) | instskip(NEXT) | instid1(VALU_DEP_3)
	v_sub_co_u32 v4, vcc_lo, v4, v2
	v_sub_co_ci_u32_e32 v5, vcc_lo, v3, v2, vcc_lo
.LBB376_860:
	s_mov_b32 s15, 0
.LBB376_861:
	s_delay_alu instid0(SALU_CYCLE_1)
	s_and_not1_b32 vcc_lo, exec_lo, s15
	s_cbranch_vccnz .LBB376_863
; %bb.862:
	global_load_b32 v2, v[0:1], off
	s_waitcnt vmcnt(0)
	v_cvt_f32_f16_e32 v2, v2
	s_delay_alu instid0(VALU_DEP_1) | instskip(NEXT) | instid1(VALU_DEP_1)
	v_cvt_i32_f32_e32 v4, v2
	v_ashrrev_i32_e32 v5, 31, v4
.LBB376_863:
	s_cbranch_execnz .LBB376_874
.LBB376_864:
	v_cmp_gt_i16_e32 vcc_lo, 6, v11
	s_cbranch_vccnz .LBB376_867
; %bb.865:
	v_cmp_lt_i16_e32 vcc_lo, 6, v11
	s_cbranch_vccz .LBB376_868
; %bb.866:
	global_load_b64 v[2:3], v[0:1], off
	s_mov_b32 s15, 0
	s_waitcnt vmcnt(0)
	v_trunc_f64_e32 v[2:3], v[2:3]
	s_delay_alu instid0(VALU_DEP_1) | instskip(NEXT) | instid1(VALU_DEP_1)
	v_ldexp_f64 v[4:5], v[2:3], 0xffffffe0
	v_floor_f64_e32 v[4:5], v[4:5]
	s_delay_alu instid0(VALU_DEP_1) | instskip(SKIP_1) | instid1(VALU_DEP_2)
	v_fma_f64 v[2:3], 0xc1f00000, v[4:5], v[2:3]
	v_cvt_i32_f64_e32 v5, v[4:5]
	v_cvt_u32_f64_e32 v4, v[2:3]
	s_branch .LBB376_869
.LBB376_867:
	s_mov_b32 s15, -1
                                        ; implicit-def: $vgpr4_vgpr5
	s_branch .LBB376_872
.LBB376_868:
	s_mov_b32 s15, -1
                                        ; implicit-def: $vgpr4_vgpr5
.LBB376_869:
	s_delay_alu instid0(SALU_CYCLE_1)
	s_and_not1_b32 vcc_lo, exec_lo, s15
	s_cbranch_vccnz .LBB376_871
; %bb.870:
	global_load_b32 v2, v[0:1], off
	s_waitcnt vmcnt(0)
	v_trunc_f32_e32 v2, v2
	s_delay_alu instid0(VALU_DEP_1) | instskip(NEXT) | instid1(VALU_DEP_1)
	v_mul_f32_e64 v3, 0x2f800000, |v2|
	v_floor_f32_e32 v3, v3
	s_delay_alu instid0(VALU_DEP_1) | instskip(SKIP_2) | instid1(VALU_DEP_3)
	v_fma_f32 v4, 0xcf800000, v3, |v2|
	v_ashrrev_i32_e32 v2, 31, v2
	v_cvt_u32_f32_e32 v3, v3
	v_cvt_u32_f32_e32 v4, v4
	s_delay_alu instid0(VALU_DEP_2) | instskip(NEXT) | instid1(VALU_DEP_2)
	v_xor_b32_e32 v3, v3, v2
	v_xor_b32_e32 v4, v4, v2
	s_delay_alu instid0(VALU_DEP_1) | instskip(NEXT) | instid1(VALU_DEP_3)
	v_sub_co_u32 v4, vcc_lo, v4, v2
	v_sub_co_ci_u32_e32 v5, vcc_lo, v3, v2, vcc_lo
.LBB376_871:
	s_mov_b32 s15, 0
.LBB376_872:
	s_delay_alu instid0(SALU_CYCLE_1)
	s_and_not1_b32 vcc_lo, exec_lo, s15
	s_cbranch_vccnz .LBB376_874
; %bb.873:
	global_load_u16 v2, v[0:1], off
	s_waitcnt vmcnt(0)
	v_cvt_f32_f16_e32 v2, v2
	s_delay_alu instid0(VALU_DEP_1) | instskip(NEXT) | instid1(VALU_DEP_1)
	v_cvt_i32_f32_e32 v4, v2
	v_ashrrev_i32_e32 v5, 31, v4
.LBB376_874:
	s_cbranch_execnz .LBB376_893
.LBB376_875:
	v_cmp_gt_i16_e32 vcc_lo, 2, v11
	s_cbranch_vccnz .LBB376_879
; %bb.876:
	v_cmp_gt_i16_e32 vcc_lo, 3, v11
	s_cbranch_vccnz .LBB376_880
; %bb.877:
	v_cmp_lt_i16_e32 vcc_lo, 3, v11
	s_cbranch_vccz .LBB376_881
; %bb.878:
	global_load_b64 v[4:5], v[0:1], off
	s_mov_b32 s15, 0
	s_branch .LBB376_882
.LBB376_879:
                                        ; implicit-def: $vgpr4_vgpr5
	s_branch .LBB376_888
.LBB376_880:
	s_mov_b32 s15, -1
                                        ; implicit-def: $vgpr4_vgpr5
	s_branch .LBB376_885
.LBB376_881:
	s_mov_b32 s15, -1
                                        ; implicit-def: $vgpr4_vgpr5
.LBB376_882:
	s_delay_alu instid0(SALU_CYCLE_1)
	s_and_not1_b32 vcc_lo, exec_lo, s15
	s_cbranch_vccnz .LBB376_884
; %bb.883:
	global_load_b32 v4, v[0:1], off
	s_waitcnt vmcnt(0)
	v_ashrrev_i32_e32 v5, 31, v4
.LBB376_884:
	s_mov_b32 s15, 0
.LBB376_885:
	s_delay_alu instid0(SALU_CYCLE_1)
	s_and_not1_b32 vcc_lo, exec_lo, s15
	s_cbranch_vccnz .LBB376_887
; %bb.886:
	global_load_u16 v2, v[0:1], off
	s_waitcnt vmcnt(0)
	v_bfe_i32 v4, v2, 0, 16
	s_delay_alu instid0(VALU_DEP_1)
	v_ashrrev_i32_e32 v5, 31, v4
.LBB376_887:
	s_cbranch_execnz .LBB376_893
.LBB376_888:
	v_cmp_lt_i16_e32 vcc_lo, 0, v11
	s_mov_b32 s15, 0
	s_cbranch_vccz .LBB376_890
; %bb.889:
	global_load_i8 v2, v[0:1], off
	s_waitcnt vmcnt(0)
	v_bfe_i32 v4, v2, 0, 16
	s_delay_alu instid0(VALU_DEP_1)
	v_ashrrev_i32_e32 v5, 31, v4
	s_branch .LBB376_891
.LBB376_890:
	s_mov_b32 s15, -1
                                        ; implicit-def: $vgpr4_vgpr5
.LBB376_891:
	s_delay_alu instid0(SALU_CYCLE_1)
	s_and_not1_b32 vcc_lo, exec_lo, s15
	s_cbranch_vccnz .LBB376_893
; %bb.892:
	global_load_u8 v0, v[0:1], off
	s_mov_b32 s15, 0
	s_waitcnt vmcnt(0)
	v_dual_mov_b32 v5, s15 :: v_dual_and_b32 v4, 0xffff, v0
.LBB376_893:
	s_or_b32 s0, s0, exec_lo
.LBB376_894:
	s_or_b32 exec_lo, exec_lo, s14
	s_mov_b32 s16, 0
	s_mov_b32 s15, 0
                                        ; implicit-def: $vgpr6
                                        ; implicit-def: $vgpr2_vgpr3
                                        ; implicit-def: $vgpr0_vgpr1
	s_and_saveexec_b32 s14, s0
	s_cbranch_execz .LBB376_974
; %bb.895:
	s_waitcnt vmcnt(0)
	v_mul_lo_u32 v2, v10, s8
	s_delay_alu instid0(VALU_DEP_2) | instskip(SKIP_1) | instid1(VALU_DEP_1)
	v_cmp_lt_i64_e32 vcc_lo, s[10:11], v[4:5]
	v_and_b32_e64 v6, 0xff, s2
	v_cmp_gt_i16_e64 s0, 11, v6
	s_delay_alu instid0(VALU_DEP_4) | instskip(SKIP_3) | instid1(VALU_DEP_4)
	v_ashrrev_i32_e32 v3, 31, v2
	v_cndmask_b32_e32 v1, s11, v5, vcc_lo
	v_cndmask_b32_e32 v0, s10, v4, vcc_lo
	v_add_co_u32 v2, vcc_lo, s4, v2
	v_add_co_ci_u32_e32 v3, vcc_lo, s5, v3, vcc_lo
	s_and_b32 vcc_lo, exec_lo, s0
	s_cbranch_vccnz .LBB376_902
; %bb.896:
	v_cmp_lt_i16_e32 vcc_lo, 25, v6
	s_mov_b32 s15, -1
	s_mov_b32 s0, s13
	s_cbranch_vccz .LBB376_932
; %bb.897:
	v_cmp_lt_i16_e32 vcc_lo, 28, v6
	s_mov_b32 s0, s13
	s_cbranch_vccz .LBB376_916
; %bb.898:
	v_cmp_lt_i16_e32 vcc_lo, 43, v6
	s_mov_b32 s0, s13
	s_cbranch_vccz .LBB376_912
; %bb.899:
	v_cmp_lt_i16_e32 vcc_lo, 45, v6
	s_mov_b32 s0, s13
	s_cbranch_vccz .LBB376_906
; %bb.900:
	v_cmp_eq_u16_e32 vcc_lo, 46, v6
	s_mov_b32 s0, -1
	s_cbranch_vccz .LBB376_905
; %bb.901:
	v_xor_b32_e32 v4, v0, v1
	v_cls_i32_e32 v5, v1
	s_mov_b32 s0, 0
	s_mov_b32 s15, 0
	s_delay_alu instid0(VALU_DEP_2) | instskip(NEXT) | instid1(VALU_DEP_2)
	v_ashrrev_i32_e32 v4, 31, v4
	v_add_nc_u32_e32 v5, -1, v5
	s_delay_alu instid0(VALU_DEP_2) | instskip(NEXT) | instid1(VALU_DEP_1)
	v_add_nc_u32_e32 v4, 32, v4
	v_min_u32_e32 v7, v5, v4
	s_delay_alu instid0(VALU_DEP_1) | instskip(NEXT) | instid1(VALU_DEP_1)
	v_lshlrev_b64 v[4:5], v7, v[0:1]
	v_min_u32_e32 v4, 1, v4
	s_delay_alu instid0(VALU_DEP_1) | instskip(SKIP_1) | instid1(VALU_DEP_2)
	v_or_b32_e32 v4, v5, v4
	v_sub_nc_u32_e32 v5, 32, v7
	v_cvt_f32_i32_e32 v4, v4
	s_delay_alu instid0(VALU_DEP_1) | instskip(NEXT) | instid1(VALU_DEP_1)
	v_ldexp_f32 v4, v4, v5
	v_bfe_u32 v5, v4, 16, 1
	s_delay_alu instid0(VALU_DEP_1) | instskip(NEXT) | instid1(VALU_DEP_1)
	v_add3_u32 v4, v4, v5, 0x7fff
	v_lshrrev_b32_e32 v4, 16, v4
	global_store_b32 v[2:3], v4, off
	s_branch .LBB376_906
.LBB376_902:
	s_mov_b32 s15, -1
	s_mov_b32 s0, s13
	s_branch .LBB376_973
.LBB376_903:
	s_trap 2
	s_sendmsg_rtn_b32 s0, sendmsg(MSG_RTN_GET_DOORBELL)
	s_mov_b32 ttmp2, m0
	s_waitcnt lgkmcnt(0)
	s_and_b32 s0, s0, 0x3ff
	s_delay_alu instid0(SALU_CYCLE_1) | instskip(NEXT) | instid1(SALU_CYCLE_1)
	s_bitset1_b32 s0, 10
	s_mov_b32 m0, s0
	s_sendmsg sendmsg(MSG_INTERRUPT)
	s_mov_b32 m0, ttmp2
.LBB376_904:                            ; =>This Inner Loop Header: Depth=1
	s_sethalt 5
	s_branch .LBB376_904
.LBB376_905:
	s_mov_b32 s15, 0
.LBB376_906:
	s_delay_alu instid0(SALU_CYCLE_1)
	s_and_b32 vcc_lo, exec_lo, s15
	s_cbranch_vccz .LBB376_911
; %bb.907:
	v_cmp_eq_u16_e32 vcc_lo, 44, v6
	s_mov_b32 s0, -1
	s_cbranch_vccz .LBB376_911
; %bb.908:
	v_xor_b32_e32 v4, v0, v1
	v_cls_i32_e32 v5, v1
	s_mov_b32 s15, exec_lo
	s_delay_alu instid0(VALU_DEP_2) | instskip(NEXT) | instid1(VALU_DEP_2)
	v_ashrrev_i32_e32 v4, 31, v4
	v_add_nc_u32_e32 v5, -1, v5
	s_delay_alu instid0(VALU_DEP_2) | instskip(NEXT) | instid1(VALU_DEP_1)
	v_add_nc_u32_e32 v4, 32, v4
	v_min_u32_e32 v7, v5, v4
	s_delay_alu instid0(VALU_DEP_1) | instskip(NEXT) | instid1(VALU_DEP_1)
	v_lshlrev_b64 v[4:5], v7, v[0:1]
	v_min_u32_e32 v4, 1, v4
	s_delay_alu instid0(VALU_DEP_1) | instskip(SKIP_1) | instid1(VALU_DEP_2)
	v_or_b32_e32 v4, v5, v4
	v_sub_nc_u32_e32 v5, 32, v7
	v_cvt_f32_i32_e32 v4, v4
	s_delay_alu instid0(VALU_DEP_1) | instskip(SKIP_1) | instid1(VALU_DEP_2)
	v_ldexp_f32 v4, v4, v5
	v_mov_b32_e32 v5, 0xff
	v_bfe_u32 v7, v4, 23, 8
	s_delay_alu instid0(VALU_DEP_1)
	v_cmpx_ne_u32_e32 0xff, v7
; %bb.909:
	v_and_b32_e32 v5, 0x400000, v4
	v_and_or_b32 v7, 0x3fffff, v4, v7
	v_lshrrev_b32_e32 v4, 23, v4
	s_delay_alu instid0(VALU_DEP_3) | instskip(NEXT) | instid1(VALU_DEP_3)
	v_cmp_ne_u32_e32 vcc_lo, 0, v5
	v_cmp_ne_u32_e64 s0, 0, v7
	s_delay_alu instid0(VALU_DEP_1) | instskip(NEXT) | instid1(SALU_CYCLE_1)
	s_and_b32 s0, vcc_lo, s0
	v_cndmask_b32_e64 v5, 0, 1, s0
	s_delay_alu instid0(VALU_DEP_1)
	v_add_nc_u32_e32 v5, v4, v5
; %bb.910:
	s_or_b32 exec_lo, exec_lo, s15
	s_mov_b32 s0, 0
	global_store_b8 v[2:3], v5, off
.LBB376_911:
	s_mov_b32 s15, 0
.LBB376_912:
	s_delay_alu instid0(SALU_CYCLE_1)
	s_and_b32 vcc_lo, exec_lo, s15
	s_cbranch_vccz .LBB376_915
; %bb.913:
	v_cmp_eq_u16_e32 vcc_lo, 29, v6
	s_mov_b32 s0, -1
	s_cbranch_vccz .LBB376_915
; %bb.914:
	s_mov_b32 s0, 0
	global_store_b64 v[2:3], v[0:1], off
.LBB376_915:
	s_mov_b32 s15, 0
.LBB376_916:
	s_delay_alu instid0(SALU_CYCLE_1)
	s_and_b32 vcc_lo, exec_lo, s15
	s_cbranch_vccz .LBB376_931
; %bb.917:
	v_cmp_gt_i16_e32 vcc_lo, 27, v6
	s_mov_b32 s15, -1
	s_cbranch_vccnz .LBB376_923
; %bb.918:
	v_cmp_lt_i16_e32 vcc_lo, 27, v6
	s_cbranch_vccz .LBB376_920
; %bb.919:
	s_mov_b32 s15, 0
	global_store_b32 v[2:3], v0, off
.LBB376_920:
	s_and_not1_b32 vcc_lo, exec_lo, s15
	s_cbranch_vccnz .LBB376_922
; %bb.921:
	global_store_b16 v[2:3], v0, off
.LBB376_922:
	s_mov_b32 s15, 0
.LBB376_923:
	s_delay_alu instid0(SALU_CYCLE_1)
	s_and_not1_b32 vcc_lo, exec_lo, s15
	s_cbranch_vccnz .LBB376_931
; %bb.924:
	v_xor_b32_e32 v4, v0, v1
	v_cls_i32_e32 v5, v1
	s_mov_b32 s15, exec_lo
	s_delay_alu instid0(VALU_DEP_2) | instskip(NEXT) | instid1(VALU_DEP_2)
	v_ashrrev_i32_e32 v4, 31, v4
	v_add_nc_u32_e32 v5, -1, v5
	s_delay_alu instid0(VALU_DEP_2) | instskip(NEXT) | instid1(VALU_DEP_1)
	v_add_nc_u32_e32 v4, 32, v4
	v_min_u32_e32 v7, v5, v4
	s_delay_alu instid0(VALU_DEP_1) | instskip(NEXT) | instid1(VALU_DEP_1)
	v_lshlrev_b64 v[4:5], v7, v[0:1]
	v_min_u32_e32 v4, 1, v4
	s_delay_alu instid0(VALU_DEP_1) | instskip(SKIP_2) | instid1(VALU_DEP_3)
	v_or_b32_e32 v4, v5, v4
	v_sub_nc_u32_e32 v5, 32, v7
	v_mov_b32_e32 v7, 0x80
	v_cvt_f32_i32_e32 v4, v4
	s_delay_alu instid0(VALU_DEP_1) | instskip(NEXT) | instid1(VALU_DEP_1)
	v_ldexp_f32 v4, v4, v5
	v_and_b32_e32 v5, 0x7fffffff, v4
	s_delay_alu instid0(VALU_DEP_1)
	v_cmpx_gt_u32_e32 0x43800000, v5
	s_cbranch_execz .LBB376_930
; %bb.925:
	v_cmp_lt_u32_e32 vcc_lo, 0x3bffffff, v5
                                        ; implicit-def: $vgpr5
	s_and_saveexec_b32 s17, vcc_lo
	s_delay_alu instid0(SALU_CYCLE_1)
	s_xor_b32 s17, exec_lo, s17
	s_cbranch_execz .LBB376_1160
; %bb.926:
	v_bfe_u32 v5, v4, 20, 1
	s_mov_b32 s16, exec_lo
	s_delay_alu instid0(VALU_DEP_1) | instskip(NEXT) | instid1(VALU_DEP_1)
	v_add3_u32 v5, v4, v5, 0x487ffff
	v_lshrrev_b32_e32 v5, 20, v5
	s_or_saveexec_b32 s17, s17
                                        ; implicit-def: $sgpr18
	s_delay_alu instid0(SALU_CYCLE_1)
	s_xor_b32 exec_lo, exec_lo, s17
	s_cbranch_execnz .LBB376_1161
.LBB376_927:
	s_or_b32 exec_lo, exec_lo, s17
	v_mov_b32_e32 v7, s18
	s_and_saveexec_b32 s17, s16
.LBB376_928:
	v_lshrrev_b32_e32 v4, 24, v4
	s_delay_alu instid0(VALU_DEP_1)
	v_and_or_b32 v7, 0x80, v4, v5
.LBB376_929:
	s_or_b32 exec_lo, exec_lo, s17
.LBB376_930:
	s_delay_alu instid0(SALU_CYCLE_1)
	s_or_b32 exec_lo, exec_lo, s15
	global_store_b8 v[2:3], v7, off
.LBB376_931:
	s_mov_b32 s15, 0
.LBB376_932:
	s_delay_alu instid0(SALU_CYCLE_1)
	s_and_b32 vcc_lo, exec_lo, s15
	s_mov_b32 s15, 0
	s_cbranch_vccz .LBB376_972
; %bb.933:
	v_cmp_lt_i16_e32 vcc_lo, 22, v6
	s_mov_b32 s16, -1
	s_cbranch_vccz .LBB376_965
; %bb.934:
	v_cmp_gt_i16_e32 vcc_lo, 24, v6
	s_cbranch_vccnz .LBB376_954
; %bb.935:
	v_cmp_lt_i16_e32 vcc_lo, 24, v6
	s_cbranch_vccz .LBB376_943
; %bb.936:
	v_xor_b32_e32 v4, v0, v1
	v_cls_i32_e32 v5, v1
	s_mov_b32 s16, exec_lo
	s_delay_alu instid0(VALU_DEP_2) | instskip(NEXT) | instid1(VALU_DEP_2)
	v_ashrrev_i32_e32 v4, 31, v4
	v_add_nc_u32_e32 v5, -1, v5
	s_delay_alu instid0(VALU_DEP_2) | instskip(NEXT) | instid1(VALU_DEP_1)
	v_add_nc_u32_e32 v4, 32, v4
	v_min_u32_e32 v7, v5, v4
	s_delay_alu instid0(VALU_DEP_1) | instskip(NEXT) | instid1(VALU_DEP_1)
	v_lshlrev_b64 v[4:5], v7, v[0:1]
	v_min_u32_e32 v4, 1, v4
	s_delay_alu instid0(VALU_DEP_1) | instskip(SKIP_2) | instid1(VALU_DEP_3)
	v_or_b32_e32 v4, v5, v4
	v_sub_nc_u32_e32 v5, 32, v7
	v_mov_b32_e32 v7, 0x80
	v_cvt_f32_i32_e32 v4, v4
	s_delay_alu instid0(VALU_DEP_1) | instskip(NEXT) | instid1(VALU_DEP_1)
	v_ldexp_f32 v4, v4, v5
	v_and_b32_e32 v5, 0x7fffffff, v4
	s_delay_alu instid0(VALU_DEP_1)
	v_cmpx_gt_u32_e32 0x47800000, v5
	s_cbranch_execz .LBB376_942
; %bb.937:
	v_cmp_lt_u32_e32 vcc_lo, 0x37ffffff, v5
	s_mov_b32 s17, 0
                                        ; implicit-def: $vgpr5
	s_and_saveexec_b32 s18, vcc_lo
	s_delay_alu instid0(SALU_CYCLE_1)
	s_xor_b32 s18, exec_lo, s18
	s_cbranch_execz .LBB376_1204
; %bb.938:
	v_bfe_u32 v5, v4, 21, 1
	s_mov_b32 s17, exec_lo
	s_delay_alu instid0(VALU_DEP_1) | instskip(NEXT) | instid1(VALU_DEP_1)
	v_add3_u32 v5, v4, v5, 0x88fffff
	v_lshrrev_b32_e32 v5, 21, v5
	s_or_saveexec_b32 s18, s18
                                        ; implicit-def: $sgpr19
	s_delay_alu instid0(SALU_CYCLE_1)
	s_xor_b32 exec_lo, exec_lo, s18
	s_cbranch_execnz .LBB376_1205
.LBB376_939:
	s_or_b32 exec_lo, exec_lo, s18
	v_mov_b32_e32 v7, s19
	s_and_saveexec_b32 s18, s17
.LBB376_940:
	v_lshrrev_b32_e32 v4, 24, v4
	s_delay_alu instid0(VALU_DEP_1)
	v_and_or_b32 v7, 0x80, v4, v5
.LBB376_941:
	s_or_b32 exec_lo, exec_lo, s18
.LBB376_942:
	s_delay_alu instid0(SALU_CYCLE_1)
	s_or_b32 exec_lo, exec_lo, s16
	s_mov_b32 s16, 0
	global_store_b8 v[2:3], v7, off
.LBB376_943:
	s_and_b32 vcc_lo, exec_lo, s16
	s_cbranch_vccz .LBB376_953
; %bb.944:
	v_xor_b32_e32 v4, v0, v1
	v_cls_i32_e32 v5, v1
	s_mov_b32 s16, exec_lo
	s_delay_alu instid0(VALU_DEP_2) | instskip(NEXT) | instid1(VALU_DEP_2)
	v_ashrrev_i32_e32 v4, 31, v4
	v_add_nc_u32_e32 v5, -1, v5
	s_delay_alu instid0(VALU_DEP_2) | instskip(NEXT) | instid1(VALU_DEP_1)
	v_add_nc_u32_e32 v4, 32, v4
	v_min_u32_e32 v7, v5, v4
	s_delay_alu instid0(VALU_DEP_1) | instskip(NEXT) | instid1(VALU_DEP_1)
	v_lshlrev_b64 v[4:5], v7, v[0:1]
	v_min_u32_e32 v4, 1, v4
	s_delay_alu instid0(VALU_DEP_1) | instskip(SKIP_1) | instid1(VALU_DEP_2)
	v_or_b32_e32 v4, v5, v4
	v_sub_nc_u32_e32 v5, 32, v7
	v_cvt_f32_i32_e32 v4, v4
	s_delay_alu instid0(VALU_DEP_1) | instskip(NEXT) | instid1(VALU_DEP_1)
	v_ldexp_f32 v4, v4, v5
                                        ; implicit-def: $vgpr5
	v_and_b32_e32 v7, 0x7fffffff, v4
	s_delay_alu instid0(VALU_DEP_1)
	v_cmpx_gt_u32_e32 0x43f00000, v7
	s_xor_b32 s16, exec_lo, s16
	s_cbranch_execz .LBB376_950
; %bb.945:
	s_mov_b32 s17, exec_lo
                                        ; implicit-def: $vgpr5
	v_cmpx_lt_u32_e32 0x3c7fffff, v7
	s_xor_b32 s17, exec_lo, s17
; %bb.946:
	v_bfe_u32 v5, v4, 20, 1
	s_delay_alu instid0(VALU_DEP_1) | instskip(NEXT) | instid1(VALU_DEP_1)
	v_add3_u32 v5, v4, v5, 0x407ffff
	v_and_b32_e32 v7, 0xff00000, v5
	v_lshrrev_b32_e32 v5, 20, v5
	s_delay_alu instid0(VALU_DEP_2) | instskip(NEXT) | instid1(VALU_DEP_2)
	v_cmp_ne_u32_e32 vcc_lo, 0x7f00000, v7
	v_cndmask_b32_e32 v5, 0x7e, v5, vcc_lo
; %bb.947:
	s_and_not1_saveexec_b32 s17, s17
; %bb.948:
	v_add_f32_e64 v5, 0x46800000, |v4|
; %bb.949:
	s_or_b32 exec_lo, exec_lo, s17
                                        ; implicit-def: $vgpr7
.LBB376_950:
	s_and_not1_saveexec_b32 s16, s16
; %bb.951:
	v_mov_b32_e32 v5, 0x7f
	v_cmp_lt_u32_e32 vcc_lo, 0x7f800000, v7
	s_delay_alu instid0(VALU_DEP_2)
	v_cndmask_b32_e32 v5, 0x7e, v5, vcc_lo
; %bb.952:
	s_or_b32 exec_lo, exec_lo, s16
	v_lshrrev_b32_e32 v4, 24, v4
	s_delay_alu instid0(VALU_DEP_1)
	v_and_or_b32 v4, 0x80, v4, v5
	global_store_b8 v[2:3], v4, off
.LBB376_953:
	s_mov_b32 s16, 0
.LBB376_954:
	s_delay_alu instid0(SALU_CYCLE_1)
	s_and_not1_b32 vcc_lo, exec_lo, s16
	s_cbranch_vccnz .LBB376_964
; %bb.955:
	v_xor_b32_e32 v4, v0, v1
	v_cls_i32_e32 v5, v1
	s_mov_b32 s16, exec_lo
	s_delay_alu instid0(VALU_DEP_2) | instskip(NEXT) | instid1(VALU_DEP_2)
	v_ashrrev_i32_e32 v4, 31, v4
	v_add_nc_u32_e32 v5, -1, v5
	s_delay_alu instid0(VALU_DEP_2) | instskip(NEXT) | instid1(VALU_DEP_1)
	v_add_nc_u32_e32 v4, 32, v4
	v_min_u32_e32 v7, v5, v4
	s_delay_alu instid0(VALU_DEP_1) | instskip(NEXT) | instid1(VALU_DEP_1)
	v_lshlrev_b64 v[4:5], v7, v[0:1]
	v_min_u32_e32 v4, 1, v4
	s_delay_alu instid0(VALU_DEP_1) | instskip(SKIP_1) | instid1(VALU_DEP_2)
	v_or_b32_e32 v4, v5, v4
	v_sub_nc_u32_e32 v5, 32, v7
	v_cvt_f32_i32_e32 v4, v4
	s_delay_alu instid0(VALU_DEP_1) | instskip(NEXT) | instid1(VALU_DEP_1)
	v_ldexp_f32 v4, v4, v5
                                        ; implicit-def: $vgpr5
	v_and_b32_e32 v7, 0x7fffffff, v4
	s_delay_alu instid0(VALU_DEP_1)
	v_cmpx_gt_u32_e32 0x47800000, v7
	s_xor_b32 s16, exec_lo, s16
	s_cbranch_execz .LBB376_961
; %bb.956:
	s_mov_b32 s17, exec_lo
                                        ; implicit-def: $vgpr5
	v_cmpx_lt_u32_e32 0x387fffff, v7
	s_xor_b32 s17, exec_lo, s17
; %bb.957:
	v_bfe_u32 v5, v4, 21, 1
	s_delay_alu instid0(VALU_DEP_1) | instskip(NEXT) | instid1(VALU_DEP_1)
	v_add3_u32 v5, v4, v5, 0x80fffff
	v_lshrrev_b32_e32 v5, 21, v5
; %bb.958:
	s_and_not1_saveexec_b32 s17, s17
; %bb.959:
	v_add_f32_e64 v5, 0x43000000, |v4|
; %bb.960:
	s_or_b32 exec_lo, exec_lo, s17
                                        ; implicit-def: $vgpr7
.LBB376_961:
	s_and_not1_saveexec_b32 s16, s16
; %bb.962:
	v_mov_b32_e32 v5, 0x7f
	v_cmp_lt_u32_e32 vcc_lo, 0x7f800000, v7
	s_delay_alu instid0(VALU_DEP_2)
	v_cndmask_b32_e32 v5, 0x7c, v5, vcc_lo
; %bb.963:
	s_or_b32 exec_lo, exec_lo, s16
	v_lshrrev_b32_e32 v4, 24, v4
	s_delay_alu instid0(VALU_DEP_1)
	v_and_or_b32 v4, 0x80, v4, v5
	global_store_b8 v[2:3], v4, off
.LBB376_964:
	s_mov_b32 s16, 0
.LBB376_965:
	s_delay_alu instid0(SALU_CYCLE_1)
	s_and_not1_b32 vcc_lo, exec_lo, s16
	s_mov_b32 s16, 0
	s_cbranch_vccnz .LBB376_973
; %bb.966:
	v_cmp_lt_i16_e32 vcc_lo, 14, v6
	s_mov_b32 s16, -1
	s_cbranch_vccz .LBB376_970
; %bb.967:
	v_cmp_eq_u16_e32 vcc_lo, 15, v6
	s_mov_b32 s0, -1
	s_cbranch_vccz .LBB376_969
; %bb.968:
	v_xor_b32_e32 v4, v0, v1
	v_cls_i32_e32 v5, v1
	s_mov_b32 s0, 0
	s_delay_alu instid0(VALU_DEP_2) | instskip(NEXT) | instid1(VALU_DEP_2)
	v_ashrrev_i32_e32 v4, 31, v4
	v_add_nc_u32_e32 v5, -1, v5
	s_delay_alu instid0(VALU_DEP_2) | instskip(NEXT) | instid1(VALU_DEP_1)
	v_add_nc_u32_e32 v4, 32, v4
	v_min_u32_e32 v7, v5, v4
	s_delay_alu instid0(VALU_DEP_1) | instskip(NEXT) | instid1(VALU_DEP_1)
	v_lshlrev_b64 v[4:5], v7, v[0:1]
	v_min_u32_e32 v4, 1, v4
	s_delay_alu instid0(VALU_DEP_1) | instskip(SKIP_1) | instid1(VALU_DEP_2)
	v_or_b32_e32 v4, v5, v4
	v_sub_nc_u32_e32 v5, 32, v7
	v_cvt_f32_i32_e32 v4, v4
	s_delay_alu instid0(VALU_DEP_1) | instskip(NEXT) | instid1(VALU_DEP_1)
	v_ldexp_f32 v4, v4, v5
	v_bfe_u32 v5, v4, 16, 1
	s_delay_alu instid0(VALU_DEP_1)
	v_add3_u32 v4, v4, v5, 0x7fff
	global_store_d16_hi_b16 v[2:3], v4, off
.LBB376_969:
	s_mov_b32 s16, 0
.LBB376_970:
	s_delay_alu instid0(SALU_CYCLE_1)
	s_and_b32 vcc_lo, exec_lo, s16
	s_mov_b32 s16, 0
	s_cbranch_vccz .LBB376_973
; %bb.971:
	v_cmp_ne_u16_e32 vcc_lo, 11, v6
	s_and_not1_b32 s0, s0, exec_lo
	s_mov_b32 s16, -1
	s_and_b32 s17, vcc_lo, exec_lo
	s_delay_alu instid0(SALU_CYCLE_1)
	s_or_b32 s0, s0, s17
	s_branch .LBB376_973
.LBB376_972:
	s_mov_b32 s16, 0
.LBB376_973:
	s_and_not1_b32 s13, s13, exec_lo
	s_and_b32 s0, s0, exec_lo
	s_and_b32 s15, s15, exec_lo
	;; [unrolled: 1-line block ×3, first 2 shown]
	s_or_b32 s13, s13, s0
.LBB376_974:
	s_or_b32 exec_lo, exec_lo, s14
	s_and_saveexec_b32 s0, s13
	s_cbranch_execnz .LBB376_1036
; %bb.975:
	s_or_b32 exec_lo, exec_lo, s0
	s_and_saveexec_b32 s0, s16
	s_delay_alu instid0(SALU_CYCLE_1)
	s_xor_b32 s0, exec_lo, s0
	s_cbranch_execz .LBB376_977
.LBB376_976:
	v_cmp_ne_u64_e32 vcc_lo, 0, v[0:1]
	s_waitcnt vmcnt(0)
	v_cndmask_b32_e64 v4, 0, 1, vcc_lo
	global_store_b8 v[2:3], v4, off
.LBB376_977:
	s_or_b32 exec_lo, exec_lo, s0
	s_and_saveexec_b32 s0, s15
	s_delay_alu instid0(SALU_CYCLE_1)
	s_xor_b32 s0, exec_lo, s0
	s_cbranch_execz .LBB376_1015
; %bb.978:
	v_cmp_gt_i16_e32 vcc_lo, 5, v6
	s_mov_b32 s13, -1
	s_cbranch_vccnz .LBB376_999
; %bb.979:
	v_cmp_gt_i16_e32 vcc_lo, 8, v6
	s_cbranch_vccnz .LBB376_989
; %bb.980:
	v_cmp_gt_i16_e32 vcc_lo, 9, v6
	s_cbranch_vccnz .LBB376_986
; %bb.981:
	v_cmp_lt_i16_e32 vcc_lo, 9, v6
	s_cbranch_vccz .LBB376_983
; %bb.982:
	s_waitcnt vmcnt(0)
	v_cvt_f64_i32_e32 v[4:5], v1
	v_cvt_f64_u32_e32 v[7:8], v0
	v_mov_b32_e32 v9, 0
	s_mov_b32 s13, 0
	s_delay_alu instid0(VALU_DEP_1) | instskip(NEXT) | instid1(VALU_DEP_4)
	v_mov_b32_e32 v10, v9
	v_ldexp_f64 v[4:5], v[4:5], 32
	s_delay_alu instid0(VALU_DEP_1)
	v_add_f64 v[7:8], v[4:5], v[7:8]
	global_store_b128 v[2:3], v[7:10], off
.LBB376_983:
	s_and_not1_b32 vcc_lo, exec_lo, s13
	s_cbranch_vccnz .LBB376_985
; %bb.984:
	s_waitcnt vmcnt(0)
	v_xor_b32_e32 v4, v0, v1
	v_cls_i32_e32 v5, v1
	s_delay_alu instid0(VALU_DEP_2) | instskip(NEXT) | instid1(VALU_DEP_2)
	v_ashrrev_i32_e32 v4, 31, v4
	v_add_nc_u32_e32 v5, -1, v5
	s_delay_alu instid0(VALU_DEP_2) | instskip(NEXT) | instid1(VALU_DEP_1)
	v_add_nc_u32_e32 v4, 32, v4
	v_min_u32_e32 v7, v5, v4
	s_delay_alu instid0(VALU_DEP_1) | instskip(NEXT) | instid1(VALU_DEP_1)
	v_lshlrev_b64 v[4:5], v7, v[0:1]
	v_min_u32_e32 v4, 1, v4
	s_delay_alu instid0(VALU_DEP_1) | instskip(SKIP_1) | instid1(VALU_DEP_2)
	v_or_b32_e32 v4, v5, v4
	v_sub_nc_u32_e32 v5, 32, v7
	v_cvt_f32_i32_e32 v4, v4
	s_delay_alu instid0(VALU_DEP_1)
	v_ldexp_f32 v4, v4, v5
	v_mov_b32_e32 v5, 0
	global_store_b64 v[2:3], v[4:5], off
.LBB376_985:
	s_mov_b32 s13, 0
.LBB376_986:
	s_delay_alu instid0(SALU_CYCLE_1)
	s_and_not1_b32 vcc_lo, exec_lo, s13
	s_cbranch_vccnz .LBB376_988
; %bb.987:
	s_waitcnt vmcnt(0)
	v_xor_b32_e32 v4, v0, v1
	v_cls_i32_e32 v5, v1
	s_delay_alu instid0(VALU_DEP_2) | instskip(NEXT) | instid1(VALU_DEP_2)
	v_ashrrev_i32_e32 v4, 31, v4
	v_add_nc_u32_e32 v5, -1, v5
	s_delay_alu instid0(VALU_DEP_2) | instskip(NEXT) | instid1(VALU_DEP_1)
	v_add_nc_u32_e32 v4, 32, v4
	v_min_u32_e32 v7, v5, v4
	s_delay_alu instid0(VALU_DEP_1) | instskip(NEXT) | instid1(VALU_DEP_1)
	v_lshlrev_b64 v[4:5], v7, v[0:1]
	v_min_u32_e32 v4, 1, v4
	s_delay_alu instid0(VALU_DEP_1) | instskip(SKIP_1) | instid1(VALU_DEP_2)
	v_or_b32_e32 v4, v5, v4
	v_sub_nc_u32_e32 v5, 32, v7
	v_cvt_f32_i32_e32 v4, v4
	s_delay_alu instid0(VALU_DEP_1) | instskip(NEXT) | instid1(VALU_DEP_1)
	v_ldexp_f32 v4, v4, v5
	v_cvt_f16_f32_e32 v4, v4
	s_delay_alu instid0(VALU_DEP_1)
	v_and_b32_e32 v4, 0xffff, v4
	global_store_b32 v[2:3], v4, off
.LBB376_988:
	s_mov_b32 s13, 0
.LBB376_989:
	s_delay_alu instid0(SALU_CYCLE_1)
	s_and_not1_b32 vcc_lo, exec_lo, s13
	s_cbranch_vccnz .LBB376_998
; %bb.990:
	v_cmp_gt_i16_e32 vcc_lo, 6, v6
	s_mov_b32 s13, -1
	s_cbranch_vccnz .LBB376_996
; %bb.991:
	v_cmp_lt_i16_e32 vcc_lo, 6, v6
	s_cbranch_vccz .LBB376_993
; %bb.992:
	s_waitcnt vmcnt(0)
	v_cvt_f64_i32_e32 v[4:5], v1
	v_cvt_f64_u32_e32 v[7:8], v0
	s_mov_b32 s13, 0
	s_delay_alu instid0(VALU_DEP_2) | instskip(NEXT) | instid1(VALU_DEP_1)
	v_ldexp_f64 v[4:5], v[4:5], 32
	v_add_f64 v[4:5], v[4:5], v[7:8]
	global_store_b64 v[2:3], v[4:5], off
.LBB376_993:
	s_and_not1_b32 vcc_lo, exec_lo, s13
	s_cbranch_vccnz .LBB376_995
; %bb.994:
	s_waitcnt vmcnt(0)
	v_xor_b32_e32 v4, v0, v1
	v_cls_i32_e32 v5, v1
	s_delay_alu instid0(VALU_DEP_2) | instskip(NEXT) | instid1(VALU_DEP_2)
	v_ashrrev_i32_e32 v4, 31, v4
	v_add_nc_u32_e32 v5, -1, v5
	s_delay_alu instid0(VALU_DEP_2) | instskip(NEXT) | instid1(VALU_DEP_1)
	v_add_nc_u32_e32 v4, 32, v4
	v_min_u32_e32 v7, v5, v4
	s_delay_alu instid0(VALU_DEP_1) | instskip(NEXT) | instid1(VALU_DEP_1)
	v_lshlrev_b64 v[4:5], v7, v[0:1]
	v_min_u32_e32 v4, 1, v4
	s_delay_alu instid0(VALU_DEP_1) | instskip(SKIP_1) | instid1(VALU_DEP_2)
	v_or_b32_e32 v4, v5, v4
	v_sub_nc_u32_e32 v5, 32, v7
	v_cvt_f32_i32_e32 v4, v4
	s_delay_alu instid0(VALU_DEP_1)
	v_ldexp_f32 v4, v4, v5
	global_store_b32 v[2:3], v4, off
.LBB376_995:
	s_mov_b32 s13, 0
.LBB376_996:
	s_delay_alu instid0(SALU_CYCLE_1)
	s_and_not1_b32 vcc_lo, exec_lo, s13
	s_cbranch_vccnz .LBB376_998
; %bb.997:
	s_waitcnt vmcnt(0)
	v_xor_b32_e32 v4, v0, v1
	v_cls_i32_e32 v5, v1
	s_delay_alu instid0(VALU_DEP_2) | instskip(NEXT) | instid1(VALU_DEP_2)
	v_ashrrev_i32_e32 v4, 31, v4
	v_add_nc_u32_e32 v5, -1, v5
	s_delay_alu instid0(VALU_DEP_2) | instskip(NEXT) | instid1(VALU_DEP_1)
	v_add_nc_u32_e32 v4, 32, v4
	v_min_u32_e32 v7, v5, v4
	s_delay_alu instid0(VALU_DEP_1) | instskip(NEXT) | instid1(VALU_DEP_1)
	v_lshlrev_b64 v[4:5], v7, v[0:1]
	v_min_u32_e32 v4, 1, v4
	s_delay_alu instid0(VALU_DEP_1) | instskip(SKIP_1) | instid1(VALU_DEP_2)
	v_or_b32_e32 v4, v5, v4
	v_sub_nc_u32_e32 v5, 32, v7
	v_cvt_f32_i32_e32 v4, v4
	s_delay_alu instid0(VALU_DEP_1) | instskip(NEXT) | instid1(VALU_DEP_1)
	v_ldexp_f32 v4, v4, v5
	v_cvt_f16_f32_e32 v4, v4
	global_store_b16 v[2:3], v4, off
.LBB376_998:
	s_mov_b32 s13, 0
.LBB376_999:
	s_delay_alu instid0(SALU_CYCLE_1)
	s_and_not1_b32 vcc_lo, exec_lo, s13
	s_cbranch_vccnz .LBB376_1015
; %bb.1000:
	v_cmp_gt_i16_e32 vcc_lo, 2, v6
	s_mov_b32 s13, -1
	s_cbranch_vccnz .LBB376_1010
; %bb.1001:
	v_cmp_gt_i16_e32 vcc_lo, 3, v6
	s_cbranch_vccnz .LBB376_1007
; %bb.1002:
	v_cmp_lt_i16_e32 vcc_lo, 3, v6
	s_cbranch_vccz .LBB376_1004
; %bb.1003:
	s_mov_b32 s13, 0
	s_waitcnt vmcnt(0)
	global_store_b64 v[2:3], v[0:1], off
.LBB376_1004:
	s_and_not1_b32 vcc_lo, exec_lo, s13
	s_cbranch_vccnz .LBB376_1006
; %bb.1005:
	s_waitcnt vmcnt(0)
	global_store_b32 v[2:3], v0, off
.LBB376_1006:
	s_mov_b32 s13, 0
.LBB376_1007:
	s_delay_alu instid0(SALU_CYCLE_1)
	s_and_not1_b32 vcc_lo, exec_lo, s13
	s_cbranch_vccnz .LBB376_1009
; %bb.1008:
	s_waitcnt vmcnt(0)
	global_store_b16 v[2:3], v0, off
.LBB376_1009:
	s_mov_b32 s13, 0
.LBB376_1010:
	s_delay_alu instid0(SALU_CYCLE_1)
	s_and_not1_b32 vcc_lo, exec_lo, s13
	s_cbranch_vccnz .LBB376_1015
; %bb.1011:
	v_cmp_lt_i16_e32 vcc_lo, 0, v6
	s_mov_b32 s13, -1
	s_cbranch_vccz .LBB376_1013
; %bb.1012:
	s_mov_b32 s13, 0
	s_waitcnt vmcnt(0)
	global_store_b8 v[2:3], v0, off
.LBB376_1013:
	s_and_not1_b32 vcc_lo, exec_lo, s13
	s_cbranch_vccnz .LBB376_1015
; %bb.1014:
	s_waitcnt vmcnt(0)
	global_store_b8 v[2:3], v0, off
.LBB376_1015:
	s_or_b32 exec_lo, exec_lo, s0
	s_delay_alu instid0(SALU_CYCLE_1)
	s_and_b32 s13, s1, exec_lo
                                        ; implicit-def: $vgpr10
                                        ; implicit-def: $vgpr11
.LBB376_1016:
	s_or_saveexec_b32 s12, s12
	s_mov_b32 s0, 0
                                        ; implicit-def: $vgpr12
                                        ; implicit-def: $vgpr2_vgpr3
                                        ; implicit-def: $vgpr0_vgpr1
	s_xor_b32 exec_lo, exec_lo, s12
	s_cbranch_execz .LBB376_1964
; %bb.1017:
	s_waitcnt vmcnt(0)
	v_mul_lo_u32 v4, s9, v10
	v_cmp_gt_i16_e32 vcc_lo, 11, v11
	s_delay_alu instid0(VALU_DEP_2) | instskip(SKIP_1) | instid1(VALU_DEP_1)
	v_ashrrev_i32_e32 v0, 31, v4
	v_add_co_u32 v2, s0, s6, v4
	v_add_co_ci_u32_e64 v3, s0, s7, v0, s0
	s_cbranch_vccnz .LBB376_1024
; %bb.1018:
	v_cmp_lt_i16_e32 vcc_lo, 25, v11
	s_mov_b32 s14, 0
	s_cbranch_vccz .LBB376_1030
; %bb.1019:
	v_cmp_lt_i16_e32 vcc_lo, 28, v11
	s_cbranch_vccz .LBB376_1032
; %bb.1020:
	v_cmp_lt_i16_e32 vcc_lo, 43, v11
	;; [unrolled: 3-line block ×3, first 2 shown]
	s_cbranch_vccz .LBB376_1038
; %bb.1022:
	v_cmp_eq_u16_e32 vcc_lo, 46, v11
	s_mov_b32 s1, 0
	s_cbranch_vccz .LBB376_1078
; %bb.1023:
	global_load_b32 v0, v[2:3], off
	s_mov_b32 s0, -1
	s_waitcnt vmcnt(0)
	v_lshlrev_b32_e32 v0, 16, v0
	s_delay_alu instid0(VALU_DEP_1) | instskip(NEXT) | instid1(VALU_DEP_1)
	v_trunc_f32_e32 v0, v0
	v_mul_f32_e64 v1, 0x2f800000, |v0|
	v_ashrrev_i32_e32 v6, 31, v0
	s_delay_alu instid0(VALU_DEP_2) | instskip(NEXT) | instid1(VALU_DEP_1)
	v_floor_f32_e32 v1, v1
	v_fma_f32 v5, 0xcf800000, v1, |v0|
	v_cvt_u32_f32_e32 v1, v1
	s_delay_alu instid0(VALU_DEP_2) | instskip(NEXT) | instid1(VALU_DEP_2)
	v_cvt_u32_f32_e32 v0, v5
	v_xor_b32_e32 v1, v1, v6
	s_delay_alu instid0(VALU_DEP_2) | instskip(NEXT) | instid1(VALU_DEP_1)
	v_xor_b32_e32 v0, v0, v6
	v_sub_co_u32 v0, vcc_lo, v0, v6
	s_delay_alu instid0(VALU_DEP_3)
	v_sub_co_ci_u32_e32 v1, vcc_lo, v1, v6, vcc_lo
	s_branch .LBB376_1080
.LBB376_1024:
	s_mov_b32 s0, 0
	s_mov_b32 s3, s13
                                        ; implicit-def: $vgpr0_vgpr1
	s_cbranch_execz .LBB376_1138
; %bb.1025:
	v_cmp_gt_i16_e32 vcc_lo, 5, v11
	s_cbranch_vccnz .LBB376_1031
; %bb.1026:
	v_cmp_gt_i16_e32 vcc_lo, 8, v11
	s_cbranch_vccnz .LBB376_1033
	;; [unrolled: 3-line block ×3, first 2 shown]
; %bb.1028:
	v_cmp_lt_i16_e32 vcc_lo, 9, v11
	s_cbranch_vccz .LBB376_1039
; %bb.1029:
	global_load_b64 v[0:1], v[2:3], off
	s_mov_b32 s0, 0
	s_waitcnt vmcnt(0)
	v_trunc_f64_e32 v[0:1], v[0:1]
	s_delay_alu instid0(VALU_DEP_1) | instskip(NEXT) | instid1(VALU_DEP_1)
	v_ldexp_f64 v[5:6], v[0:1], 0xffffffe0
	v_floor_f64_e32 v[5:6], v[5:6]
	s_delay_alu instid0(VALU_DEP_1) | instskip(SKIP_1) | instid1(VALU_DEP_2)
	v_fma_f64 v[7:8], 0xc1f00000, v[5:6], v[0:1]
	v_cvt_i32_f64_e32 v1, v[5:6]
	v_cvt_u32_f64_e32 v0, v[7:8]
	s_branch .LBB376_1040
.LBB376_1030:
	s_mov_b32 s0, 0
                                        ; implicit-def: $vgpr0_vgpr1
	s_cbranch_execnz .LBB376_1107
	s_branch .LBB376_1134
.LBB376_1031:
                                        ; implicit-def: $vgpr0_vgpr1
	s_branch .LBB376_1057
.LBB376_1032:
	s_mov_b32 s0, 0
                                        ; implicit-def: $vgpr0_vgpr1
	s_cbranch_execz .LBB376_1106
	s_branch .LBB376_1089
.LBB376_1033:
                                        ; implicit-def: $vgpr0_vgpr1
	s_branch .LBB376_1046
.LBB376_1034:
	s_mov_b32 s0, 0
                                        ; implicit-def: $vgpr0_vgpr1
	s_cbranch_execnz .LBB376_1085
	s_branch .LBB376_1088
.LBB376_1035:
	s_mov_b32 s0, -1
                                        ; implicit-def: $vgpr0_vgpr1
	s_branch .LBB376_1043
.LBB376_1036:
	s_cbranch_execnz .LBB376_1076
; %bb.1037:
	s_or_b32 s1, s1, exec_lo
	s_and_not1_b32 s16, s16, exec_lo
	s_or_b32 exec_lo, exec_lo, s0
	s_and_saveexec_b32 s0, s16
	s_delay_alu instid0(SALU_CYCLE_1)
	s_xor_b32 s0, exec_lo, s0
	s_cbranch_execnz .LBB376_976
	s_branch .LBB376_977
.LBB376_1038:
	s_mov_b32 s1, -1
	s_branch .LBB376_1079
.LBB376_1039:
	s_mov_b32 s0, -1
                                        ; implicit-def: $vgpr0_vgpr1
.LBB376_1040:
	s_delay_alu instid0(SALU_CYCLE_1)
	s_and_not1_b32 vcc_lo, exec_lo, s0
	s_cbranch_vccnz .LBB376_1042
; %bb.1041:
	global_load_b32 v0, v[2:3], off
	s_waitcnt vmcnt(0)
	v_trunc_f32_e32 v0, v0
	s_delay_alu instid0(VALU_DEP_1) | instskip(SKIP_1) | instid1(VALU_DEP_2)
	v_mul_f32_e64 v1, 0x2f800000, |v0|
	v_ashrrev_i32_e32 v6, 31, v0
	v_floor_f32_e32 v1, v1
	s_delay_alu instid0(VALU_DEP_1) | instskip(SKIP_1) | instid1(VALU_DEP_2)
	v_fma_f32 v5, 0xcf800000, v1, |v0|
	v_cvt_u32_f32_e32 v1, v1
	v_cvt_u32_f32_e32 v0, v5
	s_delay_alu instid0(VALU_DEP_2) | instskip(NEXT) | instid1(VALU_DEP_2)
	v_xor_b32_e32 v1, v1, v6
	v_xor_b32_e32 v0, v0, v6
	s_delay_alu instid0(VALU_DEP_1) | instskip(NEXT) | instid1(VALU_DEP_3)
	v_sub_co_u32 v0, vcc_lo, v0, v6
	v_sub_co_ci_u32_e32 v1, vcc_lo, v1, v6, vcc_lo
.LBB376_1042:
	s_mov_b32 s0, 0
.LBB376_1043:
	s_delay_alu instid0(SALU_CYCLE_1)
	s_and_not1_b32 vcc_lo, exec_lo, s0
	s_cbranch_vccnz .LBB376_1045
; %bb.1044:
	global_load_b32 v0, v[2:3], off
	s_waitcnt vmcnt(0)
	v_cvt_f32_f16_e32 v0, v0
	s_delay_alu instid0(VALU_DEP_1) | instskip(NEXT) | instid1(VALU_DEP_1)
	v_cvt_i32_f32_e32 v0, v0
	v_ashrrev_i32_e32 v1, 31, v0
.LBB376_1045:
	s_cbranch_execnz .LBB376_1056
.LBB376_1046:
	v_cmp_gt_i16_e32 vcc_lo, 6, v11
	s_cbranch_vccnz .LBB376_1049
; %bb.1047:
	v_cmp_lt_i16_e32 vcc_lo, 6, v11
	s_cbranch_vccz .LBB376_1050
; %bb.1048:
	global_load_b64 v[0:1], v[2:3], off
	s_mov_b32 s0, 0
	s_waitcnt vmcnt(0)
	v_trunc_f64_e32 v[0:1], v[0:1]
	s_delay_alu instid0(VALU_DEP_1) | instskip(NEXT) | instid1(VALU_DEP_1)
	v_ldexp_f64 v[5:6], v[0:1], 0xffffffe0
	v_floor_f64_e32 v[5:6], v[5:6]
	s_delay_alu instid0(VALU_DEP_1) | instskip(SKIP_1) | instid1(VALU_DEP_2)
	v_fma_f64 v[7:8], 0xc1f00000, v[5:6], v[0:1]
	v_cvt_i32_f64_e32 v1, v[5:6]
	v_cvt_u32_f64_e32 v0, v[7:8]
	s_branch .LBB376_1051
.LBB376_1049:
	s_mov_b32 s0, -1
                                        ; implicit-def: $vgpr0_vgpr1
	s_branch .LBB376_1054
.LBB376_1050:
	s_mov_b32 s0, -1
                                        ; implicit-def: $vgpr0_vgpr1
.LBB376_1051:
	s_delay_alu instid0(SALU_CYCLE_1)
	s_and_not1_b32 vcc_lo, exec_lo, s0
	s_cbranch_vccnz .LBB376_1053
; %bb.1052:
	global_load_b32 v0, v[2:3], off
	s_waitcnt vmcnt(0)
	v_trunc_f32_e32 v0, v0
	s_delay_alu instid0(VALU_DEP_1) | instskip(SKIP_1) | instid1(VALU_DEP_2)
	v_mul_f32_e64 v1, 0x2f800000, |v0|
	v_ashrrev_i32_e32 v6, 31, v0
	v_floor_f32_e32 v1, v1
	s_delay_alu instid0(VALU_DEP_1) | instskip(SKIP_1) | instid1(VALU_DEP_2)
	v_fma_f32 v5, 0xcf800000, v1, |v0|
	v_cvt_u32_f32_e32 v1, v1
	v_cvt_u32_f32_e32 v0, v5
	s_delay_alu instid0(VALU_DEP_2) | instskip(NEXT) | instid1(VALU_DEP_2)
	v_xor_b32_e32 v1, v1, v6
	v_xor_b32_e32 v0, v0, v6
	s_delay_alu instid0(VALU_DEP_1) | instskip(NEXT) | instid1(VALU_DEP_3)
	v_sub_co_u32 v0, vcc_lo, v0, v6
	v_sub_co_ci_u32_e32 v1, vcc_lo, v1, v6, vcc_lo
.LBB376_1053:
	s_mov_b32 s0, 0
.LBB376_1054:
	s_delay_alu instid0(SALU_CYCLE_1)
	s_and_not1_b32 vcc_lo, exec_lo, s0
	s_cbranch_vccnz .LBB376_1056
; %bb.1055:
	global_load_u16 v0, v[2:3], off
	s_waitcnt vmcnt(0)
	v_cvt_f32_f16_e32 v0, v0
	s_delay_alu instid0(VALU_DEP_1) | instskip(NEXT) | instid1(VALU_DEP_1)
	v_cvt_i32_f32_e32 v0, v0
	v_ashrrev_i32_e32 v1, 31, v0
.LBB376_1056:
	s_cbranch_execnz .LBB376_1075
.LBB376_1057:
	v_cmp_gt_i16_e32 vcc_lo, 2, v11
	s_cbranch_vccnz .LBB376_1061
; %bb.1058:
	v_cmp_gt_i16_e32 vcc_lo, 3, v11
	s_cbranch_vccnz .LBB376_1062
; %bb.1059:
	v_cmp_lt_i16_e32 vcc_lo, 3, v11
	s_cbranch_vccz .LBB376_1063
; %bb.1060:
	global_load_b64 v[0:1], v[2:3], off
	s_mov_b32 s0, 0
	s_branch .LBB376_1064
.LBB376_1061:
                                        ; implicit-def: $vgpr0_vgpr1
	s_branch .LBB376_1070
.LBB376_1062:
	s_mov_b32 s0, -1
                                        ; implicit-def: $vgpr0_vgpr1
	s_branch .LBB376_1067
.LBB376_1063:
	s_mov_b32 s0, -1
                                        ; implicit-def: $vgpr0_vgpr1
.LBB376_1064:
	s_delay_alu instid0(SALU_CYCLE_1)
	s_and_not1_b32 vcc_lo, exec_lo, s0
	s_cbranch_vccnz .LBB376_1066
; %bb.1065:
	global_load_b32 v0, v[2:3], off
	s_waitcnt vmcnt(0)
	v_ashrrev_i32_e32 v1, 31, v0
.LBB376_1066:
	s_mov_b32 s0, 0
.LBB376_1067:
	s_delay_alu instid0(SALU_CYCLE_1)
	s_and_not1_b32 vcc_lo, exec_lo, s0
	s_cbranch_vccnz .LBB376_1069
; %bb.1068:
	global_load_u16 v0, v[2:3], off
	s_waitcnt vmcnt(0)
	v_bfe_i32 v0, v0, 0, 16
	s_delay_alu instid0(VALU_DEP_1)
	v_ashrrev_i32_e32 v1, 31, v0
.LBB376_1069:
	s_cbranch_execnz .LBB376_1075
.LBB376_1070:
	v_cmp_lt_i16_e32 vcc_lo, 0, v11
	s_mov_b32 s0, 0
	s_cbranch_vccz .LBB376_1072
; %bb.1071:
	global_load_i8 v0, v[2:3], off
	s_waitcnt vmcnt(0)
	v_bfe_i32 v0, v0, 0, 16
	s_delay_alu instid0(VALU_DEP_1)
	v_ashrrev_i32_e32 v1, 31, v0
	s_branch .LBB376_1073
.LBB376_1072:
	s_mov_b32 s0, -1
                                        ; implicit-def: $vgpr0_vgpr1
.LBB376_1073:
	s_delay_alu instid0(SALU_CYCLE_1)
	s_and_not1_b32 vcc_lo, exec_lo, s0
	s_cbranch_vccnz .LBB376_1075
; %bb.1074:
	global_load_u8 v0, v[2:3], off
	s_mov_b32 s0, 0
	s_waitcnt vmcnt(0)
	v_dual_mov_b32 v1, s0 :: v_dual_and_b32 v0, 0xffff, v0
.LBB376_1075:
	s_branch .LBB376_1139
.LBB376_1076:
	s_trap 2
	s_sendmsg_rtn_b32 s0, sendmsg(MSG_RTN_GET_DOORBELL)
	s_mov_b32 ttmp2, m0
	s_waitcnt lgkmcnt(0)
	s_and_b32 s0, s0, 0x3ff
	s_delay_alu instid0(SALU_CYCLE_1) | instskip(NEXT) | instid1(SALU_CYCLE_1)
	s_bitset1_b32 s0, 10
	s_mov_b32 m0, s0
	s_sendmsg sendmsg(MSG_INTERRUPT)
	s_mov_b32 m0, ttmp2
.LBB376_1077:                           ; =>This Inner Loop Header: Depth=1
	s_sethalt 5
	s_branch .LBB376_1077
.LBB376_1078:
	s_mov_b32 s3, -1
.LBB376_1079:
	s_mov_b32 s0, 0
                                        ; implicit-def: $vgpr0_vgpr1
.LBB376_1080:
	s_and_b32 vcc_lo, exec_lo, s1
	s_cbranch_vccz .LBB376_1083
; %bb.1081:
	v_cmp_eq_u16_e32 vcc_lo, 44, v11
	s_cbranch_vccz .LBB376_1084
; %bb.1082:
	global_load_u8 v0, v[2:3], off
	s_mov_b32 s3, 0
	s_mov_b32 s0, -1
	s_waitcnt vmcnt(0)
	v_lshlrev_b32_e32 v1, 23, v0
	s_delay_alu instid0(VALU_DEP_1) | instskip(NEXT) | instid1(VALU_DEP_1)
	v_trunc_f32_e32 v1, v1
	v_mul_f32_e64 v5, 0x2f800000, |v1|
	s_delay_alu instid0(VALU_DEP_1) | instskip(NEXT) | instid1(VALU_DEP_1)
	v_floor_f32_e32 v5, v5
	v_fma_f32 v6, 0xcf800000, v5, |v1|
	v_ashrrev_i32_e32 v1, 31, v1
	v_cvt_u32_f32_e32 v5, v5
	s_delay_alu instid0(VALU_DEP_3) | instskip(NEXT) | instid1(VALU_DEP_2)
	v_cvt_u32_f32_e32 v6, v6
	v_xor_b32_e32 v5, v5, v1
	s_delay_alu instid0(VALU_DEP_2) | instskip(NEXT) | instid1(VALU_DEP_1)
	v_xor_b32_e32 v6, v6, v1
	v_sub_co_u32 v6, vcc_lo, v6, v1
	s_delay_alu instid0(VALU_DEP_3) | instskip(SKIP_1) | instid1(VALU_DEP_2)
	v_sub_co_ci_u32_e32 v1, vcc_lo, v5, v1, vcc_lo
	v_cmp_ne_u32_e32 vcc_lo, 0, v0
	v_dual_cndmask_b32 v0, 0, v6 :: v_dual_cndmask_b32 v1, 0, v1
.LBB376_1083:
	s_branch .LBB376_1088
.LBB376_1084:
	s_mov_b32 s3, -1
                                        ; implicit-def: $vgpr0_vgpr1
	s_branch .LBB376_1088
.LBB376_1085:
	v_cmp_eq_u16_e32 vcc_lo, 29, v11
	s_cbranch_vccz .LBB376_1087
; %bb.1086:
	global_load_b64 v[0:1], v[2:3], off
	s_mov_b32 s3, 0
	s_mov_b32 s0, -1
	s_branch .LBB376_1088
.LBB376_1087:
	s_mov_b32 s3, -1
                                        ; implicit-def: $vgpr0_vgpr1
.LBB376_1088:
	s_branch .LBB376_1106
.LBB376_1089:
	v_cmp_gt_i16_e32 vcc_lo, 27, v11
	s_cbranch_vccnz .LBB376_1092
; %bb.1090:
	v_cmp_lt_i16_e32 vcc_lo, 27, v11
	s_cbranch_vccz .LBB376_1093
; %bb.1091:
	global_load_b32 v0, v[2:3], off
	s_waitcnt vmcnt(1)
	v_mov_b32_e32 v1, 0
	s_mov_b32 s0, 0
	s_branch .LBB376_1094
.LBB376_1092:
	s_mov_b32 s0, -1
                                        ; implicit-def: $vgpr0_vgpr1
	s_branch .LBB376_1097
.LBB376_1093:
	s_mov_b32 s0, -1
                                        ; implicit-def: $vgpr0_vgpr1
.LBB376_1094:
	s_delay_alu instid0(SALU_CYCLE_1)
	s_and_not1_b32 vcc_lo, exec_lo, s0
	s_cbranch_vccnz .LBB376_1096
; %bb.1095:
	global_load_u16 v0, v[2:3], off
	s_mov_b32 s0, 0
	s_waitcnt vmcnt(0)
	v_dual_mov_b32 v1, s0 :: v_dual_and_b32 v0, 0xffff, v0
.LBB376_1096:
	s_mov_b32 s0, 0
.LBB376_1097:
	s_delay_alu instid0(SALU_CYCLE_1)
	s_and_not1_b32 vcc_lo, exec_lo, s0
	s_cbranch_vccnz .LBB376_1105
; %bb.1098:
	global_load_u8 v5, v[2:3], off
	s_mov_b32 s15, 0
	s_mov_b32 s16, exec_lo
                                        ; implicit-def: $sgpr0_sgpr1
	s_waitcnt vmcnt(0)
	v_cmpx_lt_i16_e32 0x7f, v5
	s_xor_b32 s16, exec_lo, s16
; %bb.1099:
	v_cmp_ne_u16_e32 vcc_lo, 0x80, v5
	s_mov_b64 s[0:1], 0
	s_and_b32 s15, vcc_lo, exec_lo
; %bb.1100:
	s_or_saveexec_b32 s16, s16
	v_dual_mov_b32 v0, s0 :: v_dual_mov_b32 v1, s1
	s_xor_b32 exec_lo, exec_lo, s16
; %bb.1101:
	v_cmp_ne_u16_e32 vcc_lo, 0, v5
	v_mov_b32_e32 v0, 0
	v_mov_b32_e32 v1, 0
	s_and_not1_b32 s0, s15, exec_lo
	s_and_b32 s1, vcc_lo, exec_lo
	s_delay_alu instid0(SALU_CYCLE_1)
	s_or_b32 s15, s0, s1
; %bb.1102:
	s_or_b32 exec_lo, exec_lo, s16
	s_and_saveexec_b32 s0, s15
	s_cbranch_execz .LBB376_1104
; %bb.1103:
	v_and_b32_e32 v0, 0xffff, v5
	v_lshlrev_b32_e32 v5, 24, v5
	s_delay_alu instid0(VALU_DEP_2) | instskip(NEXT) | instid1(VALU_DEP_2)
	v_and_b32_e32 v1, 7, v0
	v_and_b32_e32 v5, 0x80000000, v5
	s_delay_alu instid0(VALU_DEP_2) | instskip(NEXT) | instid1(VALU_DEP_1)
	v_clz_i32_u32_e32 v6, v1
	v_min_u32_e32 v6, 32, v6
	s_delay_alu instid0(VALU_DEP_1) | instskip(SKIP_1) | instid1(VALU_DEP_2)
	v_subrev_nc_u32_e32 v7, 28, v6
	v_sub_nc_u32_e32 v6, 29, v6
	v_lshlrev_b32_e32 v7, v7, v0
	v_bfe_u32 v0, v0, 3, 4
	s_delay_alu instid0(VALU_DEP_2) | instskip(NEXT) | instid1(VALU_DEP_2)
	v_and_b32_e32 v7, 7, v7
	v_cmp_eq_u32_e32 vcc_lo, 0, v0
	s_delay_alu instid0(VALU_DEP_2) | instskip(NEXT) | instid1(VALU_DEP_1)
	v_dual_cndmask_b32 v0, v0, v6 :: v_dual_cndmask_b32 v1, v1, v7
	v_lshl_add_u32 v0, v0, 23, 0x3b800000
	s_delay_alu instid0(VALU_DEP_2) | instskip(NEXT) | instid1(VALU_DEP_1)
	v_lshlrev_b32_e32 v1, 20, v1
	v_or3_b32 v0, v5, v0, v1
	s_delay_alu instid0(VALU_DEP_1) | instskip(NEXT) | instid1(VALU_DEP_1)
	v_trunc_f32_e32 v0, v0
	v_mul_f32_e64 v1, 0x2f800000, |v0|
	v_ashrrev_i32_e32 v6, 31, v0
	s_delay_alu instid0(VALU_DEP_2) | instskip(NEXT) | instid1(VALU_DEP_1)
	v_floor_f32_e32 v1, v1
	v_fma_f32 v5, 0xcf800000, v1, |v0|
	v_cvt_u32_f32_e32 v1, v1
	s_delay_alu instid0(VALU_DEP_2) | instskip(NEXT) | instid1(VALU_DEP_2)
	v_cvt_u32_f32_e32 v0, v5
	v_xor_b32_e32 v1, v1, v6
	s_delay_alu instid0(VALU_DEP_2) | instskip(NEXT) | instid1(VALU_DEP_1)
	v_xor_b32_e32 v0, v0, v6
	v_sub_co_u32 v0, vcc_lo, v0, v6
	s_delay_alu instid0(VALU_DEP_3)
	v_sub_co_ci_u32_e32 v1, vcc_lo, v1, v6, vcc_lo
.LBB376_1104:
	s_or_b32 exec_lo, exec_lo, s0
.LBB376_1105:
	s_mov_b32 s0, -1
.LBB376_1106:
	s_branch .LBB376_1134
.LBB376_1107:
	v_cmp_lt_i16_e32 vcc_lo, 22, v11
	s_cbranch_vccz .LBB376_1117
; %bb.1108:
	v_cmp_gt_i16_e32 vcc_lo, 24, v11
	s_cbranch_vccnz .LBB376_1118
; %bb.1109:
	v_cmp_lt_i16_e32 vcc_lo, 24, v11
	s_cbranch_vccz .LBB376_1119
; %bb.1110:
	global_load_u8 v5, v[2:3], off
	s_mov_b32 s15, exec_lo
                                        ; implicit-def: $sgpr0_sgpr1
	s_waitcnt vmcnt(0)
	v_cmpx_lt_i16_e32 0x7f, v5
	s_xor_b32 s15, exec_lo, s15
; %bb.1111:
	v_cmp_ne_u16_e32 vcc_lo, 0x80, v5
	s_mov_b64 s[0:1], 0
	s_and_b32 s14, vcc_lo, exec_lo
; %bb.1112:
	s_or_saveexec_b32 s15, s15
	v_dual_mov_b32 v0, s0 :: v_dual_mov_b32 v1, s1
	s_xor_b32 exec_lo, exec_lo, s15
; %bb.1113:
	v_cmp_ne_u16_e32 vcc_lo, 0, v5
	v_mov_b32_e32 v0, 0
	v_mov_b32_e32 v1, 0
	s_and_not1_b32 s0, s14, exec_lo
	s_and_b32 s1, vcc_lo, exec_lo
	s_delay_alu instid0(SALU_CYCLE_1)
	s_or_b32 s14, s0, s1
; %bb.1114:
	s_or_b32 exec_lo, exec_lo, s15
	s_and_saveexec_b32 s0, s14
	s_cbranch_execz .LBB376_1116
; %bb.1115:
	v_and_b32_e32 v0, 0xffff, v5
	v_lshlrev_b32_e32 v5, 24, v5
	s_delay_alu instid0(VALU_DEP_2) | instskip(NEXT) | instid1(VALU_DEP_2)
	v_and_b32_e32 v1, 3, v0
	v_and_b32_e32 v5, 0x80000000, v5
	s_delay_alu instid0(VALU_DEP_2) | instskip(NEXT) | instid1(VALU_DEP_1)
	v_clz_i32_u32_e32 v6, v1
	v_min_u32_e32 v6, 32, v6
	s_delay_alu instid0(VALU_DEP_1) | instskip(SKIP_1) | instid1(VALU_DEP_2)
	v_subrev_nc_u32_e32 v7, 29, v6
	v_sub_nc_u32_e32 v6, 30, v6
	v_lshlrev_b32_e32 v7, v7, v0
	v_bfe_u32 v0, v0, 2, 5
	s_delay_alu instid0(VALU_DEP_2) | instskip(NEXT) | instid1(VALU_DEP_2)
	v_and_b32_e32 v7, 3, v7
	v_cmp_eq_u32_e32 vcc_lo, 0, v0
	s_delay_alu instid0(VALU_DEP_2) | instskip(NEXT) | instid1(VALU_DEP_1)
	v_dual_cndmask_b32 v0, v0, v6 :: v_dual_cndmask_b32 v1, v1, v7
	v_lshl_add_u32 v0, v0, 23, 0x37800000
	s_delay_alu instid0(VALU_DEP_2) | instskip(NEXT) | instid1(VALU_DEP_1)
	v_lshlrev_b32_e32 v1, 21, v1
	v_or3_b32 v0, v5, v0, v1
	s_delay_alu instid0(VALU_DEP_1) | instskip(NEXT) | instid1(VALU_DEP_1)
	v_trunc_f32_e32 v0, v0
	v_mul_f32_e64 v1, 0x2f800000, |v0|
	v_ashrrev_i32_e32 v6, 31, v0
	s_delay_alu instid0(VALU_DEP_2) | instskip(NEXT) | instid1(VALU_DEP_1)
	v_floor_f32_e32 v1, v1
	v_fma_f32 v5, 0xcf800000, v1, |v0|
	v_cvt_u32_f32_e32 v1, v1
	s_delay_alu instid0(VALU_DEP_2) | instskip(NEXT) | instid1(VALU_DEP_2)
	v_cvt_u32_f32_e32 v0, v5
	v_xor_b32_e32 v1, v1, v6
	s_delay_alu instid0(VALU_DEP_2) | instskip(NEXT) | instid1(VALU_DEP_1)
	v_xor_b32_e32 v0, v0, v6
	v_sub_co_u32 v0, vcc_lo, v0, v6
	s_delay_alu instid0(VALU_DEP_3)
	v_sub_co_ci_u32_e32 v1, vcc_lo, v1, v6, vcc_lo
.LBB376_1116:
	s_or_b32 exec_lo, exec_lo, s0
	s_mov_b32 s0, 0
	s_branch .LBB376_1120
.LBB376_1117:
                                        ; implicit-def: $vgpr0_vgpr1
	s_mov_b32 s14, 0
	s_branch .LBB376_1126
.LBB376_1118:
	s_mov_b32 s0, -1
                                        ; implicit-def: $vgpr0_vgpr1
	s_branch .LBB376_1123
.LBB376_1119:
	s_mov_b32 s0, -1
                                        ; implicit-def: $vgpr0_vgpr1
.LBB376_1120:
	s_delay_alu instid0(SALU_CYCLE_1)
	s_and_b32 vcc_lo, exec_lo, s0
	s_cbranch_vccz .LBB376_1122
; %bb.1121:
	global_load_u8 v0, v[2:3], off
	s_waitcnt vmcnt(0)
	v_lshlrev_b32_e32 v0, 24, v0
	s_delay_alu instid0(VALU_DEP_1) | instskip(NEXT) | instid1(VALU_DEP_1)
	v_and_b32_e32 v1, 0x7f000000, v0
	v_clz_i32_u32_e32 v5, v1
	v_add_nc_u32_e32 v7, 0x1000000, v1
	v_cmp_ne_u32_e32 vcc_lo, 0, v1
	s_delay_alu instid0(VALU_DEP_3) | instskip(NEXT) | instid1(VALU_DEP_1)
	v_min_u32_e32 v5, 32, v5
	v_sub_nc_u32_e64 v5, v5, 4 clamp
	s_delay_alu instid0(VALU_DEP_1) | instskip(SKIP_1) | instid1(VALU_DEP_2)
	v_lshlrev_b32_e32 v6, v5, v1
	v_lshlrev_b32_e32 v5, 23, v5
	v_lshrrev_b32_e32 v6, 4, v6
	s_delay_alu instid0(VALU_DEP_1) | instskip(SKIP_1) | instid1(VALU_DEP_2)
	v_sub_nc_u32_e32 v5, v6, v5
	v_ashrrev_i32_e32 v6, 8, v7
	v_add_nc_u32_e32 v5, 0x3c000000, v5
	s_delay_alu instid0(VALU_DEP_1) | instskip(NEXT) | instid1(VALU_DEP_1)
	v_and_or_b32 v5, 0x7f800000, v6, v5
	v_cndmask_b32_e32 v1, 0, v5, vcc_lo
	s_delay_alu instid0(VALU_DEP_1) | instskip(NEXT) | instid1(VALU_DEP_1)
	v_and_or_b32 v0, 0x80000000, v0, v1
	v_trunc_f32_e32 v0, v0
	s_delay_alu instid0(VALU_DEP_1) | instskip(SKIP_1) | instid1(VALU_DEP_2)
	v_mul_f32_e64 v1, 0x2f800000, |v0|
	v_ashrrev_i32_e32 v6, 31, v0
	v_floor_f32_e32 v1, v1
	s_delay_alu instid0(VALU_DEP_1) | instskip(SKIP_1) | instid1(VALU_DEP_2)
	v_fma_f32 v5, 0xcf800000, v1, |v0|
	v_cvt_u32_f32_e32 v1, v1
	v_cvt_u32_f32_e32 v0, v5
	s_delay_alu instid0(VALU_DEP_2) | instskip(NEXT) | instid1(VALU_DEP_2)
	v_xor_b32_e32 v1, v1, v6
	v_xor_b32_e32 v0, v0, v6
	s_delay_alu instid0(VALU_DEP_1) | instskip(NEXT) | instid1(VALU_DEP_3)
	v_sub_co_u32 v0, vcc_lo, v0, v6
	v_sub_co_ci_u32_e32 v1, vcc_lo, v1, v6, vcc_lo
.LBB376_1122:
	s_mov_b32 s0, 0
.LBB376_1123:
	s_delay_alu instid0(SALU_CYCLE_1)
	s_and_not1_b32 vcc_lo, exec_lo, s0
	s_cbranch_vccnz .LBB376_1125
; %bb.1124:
	global_load_u8 v0, v[2:3], off
	s_waitcnt vmcnt(0)
	v_lshlrev_b32_e32 v1, 25, v0
	v_lshlrev_b16 v0, 8, v0
	s_delay_alu instid0(VALU_DEP_1) | instskip(SKIP_1) | instid1(VALU_DEP_2)
	v_and_or_b32 v6, 0x7f00, v0, 0.5
	v_bfe_i32 v0, v0, 0, 16
	v_add_f32_e32 v6, -0.5, v6
	v_lshrrev_b32_e32 v5, 4, v1
	v_cmp_gt_u32_e32 vcc_lo, 0x8000000, v1
	s_delay_alu instid0(VALU_DEP_2) | instskip(NEXT) | instid1(VALU_DEP_1)
	v_or_b32_e32 v5, 0x70000000, v5
	v_mul_f32_e32 v5, 0x7800000, v5
	s_delay_alu instid0(VALU_DEP_1) | instskip(NEXT) | instid1(VALU_DEP_1)
	v_cndmask_b32_e32 v1, v5, v6, vcc_lo
	v_and_or_b32 v0, 0x80000000, v0, v1
	s_delay_alu instid0(VALU_DEP_1) | instskip(NEXT) | instid1(VALU_DEP_1)
	v_trunc_f32_e32 v0, v0
	v_mul_f32_e64 v1, 0x2f800000, |v0|
	v_ashrrev_i32_e32 v6, 31, v0
	s_delay_alu instid0(VALU_DEP_2) | instskip(NEXT) | instid1(VALU_DEP_1)
	v_floor_f32_e32 v1, v1
	v_fma_f32 v5, 0xcf800000, v1, |v0|
	v_cvt_u32_f32_e32 v1, v1
	s_delay_alu instid0(VALU_DEP_2) | instskip(NEXT) | instid1(VALU_DEP_2)
	v_cvt_u32_f32_e32 v0, v5
	v_xor_b32_e32 v1, v1, v6
	s_delay_alu instid0(VALU_DEP_2) | instskip(NEXT) | instid1(VALU_DEP_1)
	v_xor_b32_e32 v0, v0, v6
	v_sub_co_u32 v0, vcc_lo, v0, v6
	s_delay_alu instid0(VALU_DEP_3)
	v_sub_co_ci_u32_e32 v1, vcc_lo, v1, v6, vcc_lo
.LBB376_1125:
	s_mov_b32 s0, -1
	s_mov_b32 s14, 0
	s_cbranch_execnz .LBB376_1134
.LBB376_1126:
	v_cmp_lt_i16_e32 vcc_lo, 14, v11
	s_cbranch_vccz .LBB376_1129
; %bb.1127:
	v_cmp_eq_u16_e32 vcc_lo, 15, v11
	s_cbranch_vccz .LBB376_1130
; %bb.1128:
	global_load_u16 v0, v[2:3], off
	s_mov_b32 s3, 0
	s_mov_b32 s0, -1
	s_waitcnt vmcnt(0)
	v_lshlrev_b32_e32 v0, 16, v0
	s_delay_alu instid0(VALU_DEP_1) | instskip(NEXT) | instid1(VALU_DEP_1)
	v_trunc_f32_e32 v0, v0
	v_mul_f32_e64 v1, 0x2f800000, |v0|
	v_ashrrev_i32_e32 v6, 31, v0
	s_delay_alu instid0(VALU_DEP_2) | instskip(NEXT) | instid1(VALU_DEP_1)
	v_floor_f32_e32 v1, v1
	v_fma_f32 v5, 0xcf800000, v1, |v0|
	v_cvt_u32_f32_e32 v1, v1
	s_delay_alu instid0(VALU_DEP_2) | instskip(NEXT) | instid1(VALU_DEP_2)
	v_cvt_u32_f32_e32 v0, v5
	v_xor_b32_e32 v1, v1, v6
	s_delay_alu instid0(VALU_DEP_2) | instskip(NEXT) | instid1(VALU_DEP_1)
	v_xor_b32_e32 v0, v0, v6
	v_sub_co_u32 v0, vcc_lo, v0, v6
	s_delay_alu instid0(VALU_DEP_3)
	v_sub_co_ci_u32_e32 v1, vcc_lo, v1, v6, vcc_lo
	s_branch .LBB376_1131
.LBB376_1129:
	s_mov_b32 s1, -1
                                        ; implicit-def: $vgpr0_vgpr1
	s_branch .LBB376_1132
.LBB376_1130:
	s_mov_b32 s3, -1
                                        ; implicit-def: $vgpr0_vgpr1
.LBB376_1131:
	s_mov_b32 s1, 0
.LBB376_1132:
	s_delay_alu instid0(SALU_CYCLE_1)
	s_and_b32 vcc_lo, exec_lo, s1
	s_cbranch_vccz .LBB376_1134
; %bb.1133:
	v_cmp_ne_u16_e64 s3, 11, v11
	s_mov_b32 s14, -1
                                        ; implicit-def: $vgpr0_vgpr1
.LBB376_1134:
	s_delay_alu instid0(VALU_DEP_1)
	s_and_b32 vcc_lo, exec_lo, s3
	s_mov_b32 s3, s13
	s_cbranch_vccnz .LBB376_1158
; %bb.1135:
	s_and_not1_b32 vcc_lo, exec_lo, s14
	s_cbranch_vccnz .LBB376_1137
.LBB376_1136:
	global_load_u8 v0, v[2:3], off
	s_mov_b32 s0, 0
	s_waitcnt vmcnt(1)
	v_mov_b32_e32 v1, s0
	s_mov_b32 s0, -1
	s_waitcnt vmcnt(0)
	v_cmp_ne_u16_e32 vcc_lo, 0, v0
	v_cndmask_b32_e64 v0, 0, 1, vcc_lo
.LBB376_1137:
.LBB376_1138:
	s_and_not1_b32 vcc_lo, exec_lo, s0
	s_cbranch_vccnz .LBB376_1962
.LBB376_1139:
	s_lshl_b32 s9, s9, 7
	v_cmp_gt_i16_e32 vcc_lo, 11, v11
	v_add_nc_u32_e32 v6, s9, v4
	s_delay_alu instid0(VALU_DEP_1) | instskip(SKIP_1) | instid1(VALU_DEP_1)
	v_ashrrev_i32_e32 v2, 31, v6
	v_add_co_u32 v4, s0, s6, v6
	v_add_co_ci_u32_e64 v5, s0, s7, v2, s0
	s_cbranch_vccnz .LBB376_1146
; %bb.1140:
	v_cmp_lt_i16_e32 vcc_lo, 25, v11
	s_mov_b32 s15, 0
	s_cbranch_vccz .LBB376_1152
; %bb.1141:
	v_cmp_lt_i16_e32 vcc_lo, 28, v11
	s_cbranch_vccz .LBB376_1154
; %bb.1142:
	v_cmp_lt_i16_e32 vcc_lo, 43, v11
	;; [unrolled: 3-line block ×3, first 2 shown]
	s_cbranch_vccz .LBB376_1162
; %bb.1144:
	v_cmp_eq_u16_e32 vcc_lo, 46, v11
	s_mov_b32 s1, 0
	s_cbranch_vccz .LBB376_1206
; %bb.1145:
	global_load_b32 v2, v[4:5], off
	s_mov_b32 s14, 0
	s_mov_b32 s0, -1
	s_waitcnt vmcnt(0)
	v_lshlrev_b32_e32 v2, 16, v2
	s_delay_alu instid0(VALU_DEP_1) | instskip(NEXT) | instid1(VALU_DEP_1)
	v_trunc_f32_e32 v2, v2
	v_mul_f32_e64 v3, 0x2f800000, |v2|
	v_ashrrev_i32_e32 v8, 31, v2
	s_delay_alu instid0(VALU_DEP_2) | instskip(NEXT) | instid1(VALU_DEP_1)
	v_floor_f32_e32 v3, v3
	v_fma_f32 v7, 0xcf800000, v3, |v2|
	v_cvt_u32_f32_e32 v3, v3
	s_delay_alu instid0(VALU_DEP_2) | instskip(NEXT) | instid1(VALU_DEP_2)
	v_cvt_u32_f32_e32 v2, v7
	v_xor_b32_e32 v3, v3, v8
	s_delay_alu instid0(VALU_DEP_2) | instskip(NEXT) | instid1(VALU_DEP_1)
	v_xor_b32_e32 v2, v2, v8
	v_sub_co_u32 v2, vcc_lo, v2, v8
	s_delay_alu instid0(VALU_DEP_3)
	v_sub_co_ci_u32_e32 v3, vcc_lo, v3, v8, vcc_lo
	s_branch .LBB376_1208
.LBB376_1146:
	s_mov_b32 s0, 0
                                        ; implicit-def: $vgpr2_vgpr3
	s_cbranch_execz .LBB376_1269
; %bb.1147:
	v_cmp_gt_i16_e32 vcc_lo, 5, v11
	s_cbranch_vccnz .LBB376_1153
; %bb.1148:
	v_cmp_gt_i16_e32 vcc_lo, 8, v11
	s_cbranch_vccnz .LBB376_1155
	;; [unrolled: 3-line block ×3, first 2 shown]
; %bb.1150:
	v_cmp_lt_i16_e32 vcc_lo, 9, v11
	s_cbranch_vccz .LBB376_1163
; %bb.1151:
	global_load_b64 v[2:3], v[4:5], off
	s_mov_b32 s0, 0
	s_waitcnt vmcnt(0)
	v_trunc_f64_e32 v[2:3], v[2:3]
	s_delay_alu instid0(VALU_DEP_1) | instskip(NEXT) | instid1(VALU_DEP_1)
	v_ldexp_f64 v[7:8], v[2:3], 0xffffffe0
	v_floor_f64_e32 v[7:8], v[7:8]
	s_delay_alu instid0(VALU_DEP_1) | instskip(SKIP_1) | instid1(VALU_DEP_2)
	v_fma_f64 v[12:13], 0xc1f00000, v[7:8], v[2:3]
	v_cvt_i32_f64_e32 v3, v[7:8]
	v_cvt_u32_f64_e32 v2, v[12:13]
	s_branch .LBB376_1164
.LBB376_1152:
	s_mov_b32 s0, 0
	s_mov_b32 s14, 0
                                        ; implicit-def: $vgpr2_vgpr3
	s_cbranch_execnz .LBB376_1237
	s_branch .LBB376_1265
.LBB376_1153:
                                        ; implicit-def: $vgpr2_vgpr3
	s_branch .LBB376_1182
.LBB376_1154:
	s_mov_b32 s1, -1
	s_mov_b32 s0, 0
	s_mov_b32 s14, 0
                                        ; implicit-def: $vgpr2_vgpr3
	s_branch .LBB376_1218
.LBB376_1155:
	s_mov_b32 s0, -1
                                        ; implicit-def: $vgpr2_vgpr3
	s_branch .LBB376_1170
.LBB376_1156:
	s_mov_b32 s1, -1
	s_mov_b32 s0, 0
	s_mov_b32 s14, 0
                                        ; implicit-def: $vgpr2_vgpr3
	s_branch .LBB376_1213
.LBB376_1157:
	s_mov_b32 s0, -1
                                        ; implicit-def: $vgpr2_vgpr3
	s_branch .LBB376_1167
.LBB376_1158:
	s_cbranch_execnz .LBB376_1202
; %bb.1159:
	s_or_b32 s3, s13, exec_lo
                                        ; implicit-def: $vgpr0_vgpr1
	s_cbranch_execz .LBB376_1136
	s_branch .LBB376_1137
.LBB376_1160:
	s_or_saveexec_b32 s17, s17
                                        ; implicit-def: $sgpr18
	s_delay_alu instid0(SALU_CYCLE_1)
	s_xor_b32 exec_lo, exec_lo, s17
	s_cbranch_execz .LBB376_927
.LBB376_1161:
	v_add_f32_e64 v5, 0x46000000, |v4|
	s_and_not1_b32 s16, s16, exec_lo
	s_mov_b32 s18, 0
	s_delay_alu instid0(VALU_DEP_1) | instskip(NEXT) | instid1(VALU_DEP_1)
	v_and_b32_e32 v5, 0xff, v5
	v_cmp_ne_u32_e32 vcc_lo, 0, v5
	s_and_b32 s19, vcc_lo, exec_lo
	s_delay_alu instid0(SALU_CYCLE_1)
	s_or_b32 s16, s16, s19
	s_or_b32 exec_lo, exec_lo, s17
	v_mov_b32_e32 v7, s18
	s_and_saveexec_b32 s17, s16
	s_cbranch_execnz .LBB376_928
	s_branch .LBB376_929
.LBB376_1162:
	s_mov_b32 s1, -1
	s_mov_b32 s0, 0
	s_mov_b32 s14, 0
	s_branch .LBB376_1207
.LBB376_1163:
	s_mov_b32 s0, -1
                                        ; implicit-def: $vgpr2_vgpr3
.LBB376_1164:
	s_delay_alu instid0(SALU_CYCLE_1)
	s_and_not1_b32 vcc_lo, exec_lo, s0
	s_cbranch_vccnz .LBB376_1166
; %bb.1165:
	global_load_b32 v2, v[4:5], off
	s_waitcnt vmcnt(0)
	v_trunc_f32_e32 v2, v2
	s_delay_alu instid0(VALU_DEP_1) | instskip(SKIP_1) | instid1(VALU_DEP_2)
	v_mul_f32_e64 v3, 0x2f800000, |v2|
	v_ashrrev_i32_e32 v8, 31, v2
	v_floor_f32_e32 v3, v3
	s_delay_alu instid0(VALU_DEP_1) | instskip(SKIP_1) | instid1(VALU_DEP_2)
	v_fma_f32 v7, 0xcf800000, v3, |v2|
	v_cvt_u32_f32_e32 v3, v3
	v_cvt_u32_f32_e32 v2, v7
	s_delay_alu instid0(VALU_DEP_2) | instskip(NEXT) | instid1(VALU_DEP_2)
	v_xor_b32_e32 v3, v3, v8
	v_xor_b32_e32 v2, v2, v8
	s_delay_alu instid0(VALU_DEP_1) | instskip(NEXT) | instid1(VALU_DEP_3)
	v_sub_co_u32 v2, vcc_lo, v2, v8
	v_sub_co_ci_u32_e32 v3, vcc_lo, v3, v8, vcc_lo
.LBB376_1166:
	s_mov_b32 s0, 0
.LBB376_1167:
	s_delay_alu instid0(SALU_CYCLE_1)
	s_and_not1_b32 vcc_lo, exec_lo, s0
	s_cbranch_vccnz .LBB376_1169
; %bb.1168:
	global_load_b32 v2, v[4:5], off
	s_waitcnt vmcnt(0)
	v_cvt_f32_f16_e32 v2, v2
	s_delay_alu instid0(VALU_DEP_1) | instskip(NEXT) | instid1(VALU_DEP_1)
	v_cvt_i32_f32_e32 v2, v2
	v_ashrrev_i32_e32 v3, 31, v2
.LBB376_1169:
	s_mov_b32 s0, 0
.LBB376_1170:
	s_delay_alu instid0(SALU_CYCLE_1)
	s_and_not1_b32 vcc_lo, exec_lo, s0
	s_cbranch_vccnz .LBB376_1181
; %bb.1171:
	v_cmp_gt_i16_e32 vcc_lo, 6, v11
	s_cbranch_vccnz .LBB376_1174
; %bb.1172:
	v_cmp_lt_i16_e32 vcc_lo, 6, v11
	s_cbranch_vccz .LBB376_1175
; %bb.1173:
	global_load_b64 v[2:3], v[4:5], off
	s_mov_b32 s0, 0
	s_waitcnt vmcnt(0)
	v_trunc_f64_e32 v[2:3], v[2:3]
	s_delay_alu instid0(VALU_DEP_1) | instskip(NEXT) | instid1(VALU_DEP_1)
	v_ldexp_f64 v[7:8], v[2:3], 0xffffffe0
	v_floor_f64_e32 v[7:8], v[7:8]
	s_delay_alu instid0(VALU_DEP_1) | instskip(SKIP_1) | instid1(VALU_DEP_2)
	v_fma_f64 v[12:13], 0xc1f00000, v[7:8], v[2:3]
	v_cvt_i32_f64_e32 v3, v[7:8]
	v_cvt_u32_f64_e32 v2, v[12:13]
	s_branch .LBB376_1176
.LBB376_1174:
	s_mov_b32 s0, -1
                                        ; implicit-def: $vgpr2_vgpr3
	s_branch .LBB376_1179
.LBB376_1175:
	s_mov_b32 s0, -1
                                        ; implicit-def: $vgpr2_vgpr3
.LBB376_1176:
	s_delay_alu instid0(SALU_CYCLE_1)
	s_and_not1_b32 vcc_lo, exec_lo, s0
	s_cbranch_vccnz .LBB376_1178
; %bb.1177:
	global_load_b32 v2, v[4:5], off
	s_waitcnt vmcnt(0)
	v_trunc_f32_e32 v2, v2
	s_delay_alu instid0(VALU_DEP_1) | instskip(SKIP_1) | instid1(VALU_DEP_2)
	v_mul_f32_e64 v3, 0x2f800000, |v2|
	v_ashrrev_i32_e32 v8, 31, v2
	v_floor_f32_e32 v3, v3
	s_delay_alu instid0(VALU_DEP_1) | instskip(SKIP_1) | instid1(VALU_DEP_2)
	v_fma_f32 v7, 0xcf800000, v3, |v2|
	v_cvt_u32_f32_e32 v3, v3
	v_cvt_u32_f32_e32 v2, v7
	s_delay_alu instid0(VALU_DEP_2) | instskip(NEXT) | instid1(VALU_DEP_2)
	v_xor_b32_e32 v3, v3, v8
	v_xor_b32_e32 v2, v2, v8
	s_delay_alu instid0(VALU_DEP_1) | instskip(NEXT) | instid1(VALU_DEP_3)
	v_sub_co_u32 v2, vcc_lo, v2, v8
	v_sub_co_ci_u32_e32 v3, vcc_lo, v3, v8, vcc_lo
.LBB376_1178:
	s_mov_b32 s0, 0
.LBB376_1179:
	s_delay_alu instid0(SALU_CYCLE_1)
	s_and_not1_b32 vcc_lo, exec_lo, s0
	s_cbranch_vccnz .LBB376_1181
; %bb.1180:
	global_load_u16 v2, v[4:5], off
	s_waitcnt vmcnt(0)
	v_cvt_f32_f16_e32 v2, v2
	s_delay_alu instid0(VALU_DEP_1) | instskip(NEXT) | instid1(VALU_DEP_1)
	v_cvt_i32_f32_e32 v2, v2
	v_ashrrev_i32_e32 v3, 31, v2
.LBB376_1181:
	s_cbranch_execnz .LBB376_1201
.LBB376_1182:
	v_cmp_gt_i16_e32 vcc_lo, 2, v11
	s_cbranch_vccnz .LBB376_1186
; %bb.1183:
	v_cmp_gt_i16_e32 vcc_lo, 3, v11
	s_cbranch_vccnz .LBB376_1187
; %bb.1184:
	v_cmp_lt_i16_e32 vcc_lo, 3, v11
	s_cbranch_vccz .LBB376_1188
; %bb.1185:
	global_load_b64 v[2:3], v[4:5], off
	s_mov_b32 s0, 0
	s_branch .LBB376_1189
.LBB376_1186:
	s_mov_b32 s0, -1
                                        ; implicit-def: $vgpr2_vgpr3
	s_branch .LBB376_1195
.LBB376_1187:
	s_mov_b32 s0, -1
                                        ; implicit-def: $vgpr2_vgpr3
	s_branch .LBB376_1192
.LBB376_1188:
	s_mov_b32 s0, -1
                                        ; implicit-def: $vgpr2_vgpr3
.LBB376_1189:
	s_delay_alu instid0(SALU_CYCLE_1)
	s_and_not1_b32 vcc_lo, exec_lo, s0
	s_cbranch_vccnz .LBB376_1191
; %bb.1190:
	global_load_b32 v2, v[4:5], off
	s_waitcnt vmcnt(0)
	v_ashrrev_i32_e32 v3, 31, v2
.LBB376_1191:
	s_mov_b32 s0, 0
.LBB376_1192:
	s_delay_alu instid0(SALU_CYCLE_1)
	s_and_not1_b32 vcc_lo, exec_lo, s0
	s_cbranch_vccnz .LBB376_1194
; %bb.1193:
	global_load_u16 v2, v[4:5], off
	s_waitcnt vmcnt(0)
	v_bfe_i32 v2, v2, 0, 16
	s_delay_alu instid0(VALU_DEP_1)
	v_ashrrev_i32_e32 v3, 31, v2
.LBB376_1194:
	s_mov_b32 s0, 0
.LBB376_1195:
	s_delay_alu instid0(SALU_CYCLE_1)
	s_and_not1_b32 vcc_lo, exec_lo, s0
	s_cbranch_vccnz .LBB376_1201
; %bb.1196:
	v_cmp_lt_i16_e32 vcc_lo, 0, v11
	s_mov_b32 s0, 0
	s_cbranch_vccz .LBB376_1198
; %bb.1197:
	global_load_i8 v2, v[4:5], off
	s_waitcnt vmcnt(0)
	v_bfe_i32 v2, v2, 0, 16
	s_delay_alu instid0(VALU_DEP_1)
	v_ashrrev_i32_e32 v3, 31, v2
	s_branch .LBB376_1199
.LBB376_1198:
	s_mov_b32 s0, -1
                                        ; implicit-def: $vgpr2_vgpr3
.LBB376_1199:
	s_delay_alu instid0(SALU_CYCLE_1)
	s_and_not1_b32 vcc_lo, exec_lo, s0
	s_cbranch_vccnz .LBB376_1201
; %bb.1200:
	global_load_u8 v2, v[4:5], off
	s_mov_b32 s0, 0
	s_waitcnt vmcnt(0)
	v_dual_mov_b32 v3, s0 :: v_dual_and_b32 v2, 0xffff, v2
.LBB376_1201:
	s_branch .LBB376_1270
.LBB376_1202:
	s_trap 2
	s_sendmsg_rtn_b32 s0, sendmsg(MSG_RTN_GET_DOORBELL)
	s_mov_b32 ttmp2, m0
	s_waitcnt lgkmcnt(0)
	s_and_b32 s0, s0, 0x3ff
	s_delay_alu instid0(SALU_CYCLE_1) | instskip(NEXT) | instid1(SALU_CYCLE_1)
	s_bitset1_b32 s0, 10
	s_mov_b32 m0, s0
	s_sendmsg sendmsg(MSG_INTERRUPT)
	s_mov_b32 m0, ttmp2
.LBB376_1203:                           ; =>This Inner Loop Header: Depth=1
	s_sethalt 5
	s_branch .LBB376_1203
.LBB376_1204:
	s_or_saveexec_b32 s18, s18
                                        ; implicit-def: $sgpr19
	s_delay_alu instid0(SALU_CYCLE_1)
	s_xor_b32 exec_lo, exec_lo, s18
	s_cbranch_execz .LBB376_939
.LBB376_1205:
	v_add_f32_e64 v5, 0x42800000, |v4|
	s_and_not1_b32 s17, s17, exec_lo
	s_mov_b32 s19, 0
	s_delay_alu instid0(VALU_DEP_1) | instskip(NEXT) | instid1(VALU_DEP_1)
	v_and_b32_e32 v5, 0xff, v5
	v_cmp_ne_u32_e32 vcc_lo, 0, v5
	s_and_b32 s20, vcc_lo, exec_lo
	s_delay_alu instid0(SALU_CYCLE_1)
	s_or_b32 s17, s17, s20
	s_or_b32 exec_lo, exec_lo, s18
	v_mov_b32_e32 v7, s19
	s_and_saveexec_b32 s18, s17
	s_cbranch_execnz .LBB376_940
	s_branch .LBB376_941
.LBB376_1206:
	s_mov_b32 s14, -1
	s_mov_b32 s0, 0
.LBB376_1207:
                                        ; implicit-def: $vgpr2_vgpr3
.LBB376_1208:
	s_and_b32 vcc_lo, exec_lo, s1
	s_cbranch_vccz .LBB376_1212
; %bb.1209:
	v_cmp_eq_u16_e32 vcc_lo, 44, v11
	s_cbranch_vccz .LBB376_1211
; %bb.1210:
	global_load_u8 v2, v[4:5], off
	s_mov_b32 s14, 0
	s_mov_b32 s0, -1
	s_waitcnt vmcnt(0)
	v_lshlrev_b32_e32 v3, 23, v2
	s_delay_alu instid0(VALU_DEP_1) | instskip(NEXT) | instid1(VALU_DEP_1)
	v_trunc_f32_e32 v3, v3
	v_mul_f32_e64 v7, 0x2f800000, |v3|
	s_delay_alu instid0(VALU_DEP_1) | instskip(NEXT) | instid1(VALU_DEP_1)
	v_floor_f32_e32 v7, v7
	v_fma_f32 v8, 0xcf800000, v7, |v3|
	v_ashrrev_i32_e32 v3, 31, v3
	v_cvt_u32_f32_e32 v7, v7
	s_delay_alu instid0(VALU_DEP_3) | instskip(NEXT) | instid1(VALU_DEP_2)
	v_cvt_u32_f32_e32 v8, v8
	v_xor_b32_e32 v7, v7, v3
	s_delay_alu instid0(VALU_DEP_2) | instskip(NEXT) | instid1(VALU_DEP_1)
	v_xor_b32_e32 v8, v8, v3
	v_sub_co_u32 v8, vcc_lo, v8, v3
	s_delay_alu instid0(VALU_DEP_3) | instskip(SKIP_1) | instid1(VALU_DEP_2)
	v_sub_co_ci_u32_e32 v3, vcc_lo, v7, v3, vcc_lo
	v_cmp_ne_u32_e32 vcc_lo, 0, v2
	v_dual_cndmask_b32 v2, 0, v8 :: v_dual_cndmask_b32 v3, 0, v3
	s_branch .LBB376_1212
.LBB376_1211:
	s_mov_b32 s14, -1
                                        ; implicit-def: $vgpr2_vgpr3
.LBB376_1212:
	s_mov_b32 s1, 0
.LBB376_1213:
	s_delay_alu instid0(SALU_CYCLE_1)
	s_and_b32 vcc_lo, exec_lo, s1
	s_cbranch_vccz .LBB376_1217
; %bb.1214:
	v_cmp_eq_u16_e32 vcc_lo, 29, v11
	s_cbranch_vccz .LBB376_1216
; %bb.1215:
	global_load_b64 v[2:3], v[4:5], off
	s_mov_b32 s14, 0
	s_mov_b32 s0, -1
	s_branch .LBB376_1217
.LBB376_1216:
	s_mov_b32 s14, -1
                                        ; implicit-def: $vgpr2_vgpr3
.LBB376_1217:
	s_mov_b32 s1, 0
.LBB376_1218:
	s_delay_alu instid0(SALU_CYCLE_1)
	s_and_b32 vcc_lo, exec_lo, s1
	s_cbranch_vccz .LBB376_1236
; %bb.1219:
	v_cmp_gt_i16_e32 vcc_lo, 27, v11
	s_cbranch_vccnz .LBB376_1222
; %bb.1220:
	v_cmp_lt_i16_e32 vcc_lo, 27, v11
	s_cbranch_vccz .LBB376_1223
; %bb.1221:
	global_load_b32 v2, v[4:5], off
	s_waitcnt vmcnt(1)
	v_mov_b32_e32 v3, 0
	s_mov_b32 s0, 0
	s_branch .LBB376_1224
.LBB376_1222:
	s_mov_b32 s0, -1
                                        ; implicit-def: $vgpr2_vgpr3
	s_branch .LBB376_1227
.LBB376_1223:
	s_mov_b32 s0, -1
                                        ; implicit-def: $vgpr2_vgpr3
.LBB376_1224:
	s_delay_alu instid0(SALU_CYCLE_1)
	s_and_not1_b32 vcc_lo, exec_lo, s0
	s_cbranch_vccnz .LBB376_1226
; %bb.1225:
	global_load_u16 v2, v[4:5], off
	s_mov_b32 s0, 0
	s_waitcnt vmcnt(0)
	v_dual_mov_b32 v3, s0 :: v_dual_and_b32 v2, 0xffff, v2
.LBB376_1226:
	s_mov_b32 s0, 0
.LBB376_1227:
	s_delay_alu instid0(SALU_CYCLE_1)
	s_and_not1_b32 vcc_lo, exec_lo, s0
	s_cbranch_vccnz .LBB376_1235
; %bb.1228:
	global_load_u8 v7, v[4:5], off
	s_mov_b32 s16, 0
	s_mov_b32 s17, exec_lo
                                        ; implicit-def: $sgpr0_sgpr1
	s_waitcnt vmcnt(0)
	v_cmpx_lt_i16_e32 0x7f, v7
	s_xor_b32 s17, exec_lo, s17
; %bb.1229:
	v_cmp_ne_u16_e32 vcc_lo, 0x80, v7
	s_mov_b64 s[0:1], 0
	s_and_b32 s16, vcc_lo, exec_lo
; %bb.1230:
	s_or_saveexec_b32 s17, s17
	v_dual_mov_b32 v3, s1 :: v_dual_mov_b32 v2, s0
	s_xor_b32 exec_lo, exec_lo, s17
; %bb.1231:
	v_cmp_ne_u16_e32 vcc_lo, 0, v7
	v_mov_b32_e32 v2, 0
	v_mov_b32_e32 v3, 0
	s_and_not1_b32 s0, s16, exec_lo
	s_and_b32 s1, vcc_lo, exec_lo
	s_delay_alu instid0(SALU_CYCLE_1)
	s_or_b32 s16, s0, s1
; %bb.1232:
	s_or_b32 exec_lo, exec_lo, s17
	s_and_saveexec_b32 s0, s16
	s_cbranch_execz .LBB376_1234
; %bb.1233:
	v_and_b32_e32 v2, 0xffff, v7
	v_lshlrev_b32_e32 v7, 24, v7
	s_delay_alu instid0(VALU_DEP_2) | instskip(NEXT) | instid1(VALU_DEP_2)
	v_and_b32_e32 v3, 7, v2
	v_and_b32_e32 v7, 0x80000000, v7
	s_delay_alu instid0(VALU_DEP_2) | instskip(NEXT) | instid1(VALU_DEP_1)
	v_clz_i32_u32_e32 v8, v3
	v_min_u32_e32 v8, 32, v8
	s_delay_alu instid0(VALU_DEP_1) | instskip(SKIP_1) | instid1(VALU_DEP_2)
	v_subrev_nc_u32_e32 v9, 28, v8
	v_sub_nc_u32_e32 v8, 29, v8
	v_lshlrev_b32_e32 v9, v9, v2
	v_bfe_u32 v2, v2, 3, 4
	s_delay_alu instid0(VALU_DEP_2) | instskip(NEXT) | instid1(VALU_DEP_2)
	v_and_b32_e32 v9, 7, v9
	v_cmp_eq_u32_e32 vcc_lo, 0, v2
	s_delay_alu instid0(VALU_DEP_2) | instskip(NEXT) | instid1(VALU_DEP_1)
	v_dual_cndmask_b32 v2, v2, v8 :: v_dual_cndmask_b32 v3, v3, v9
	v_lshl_add_u32 v2, v2, 23, 0x3b800000
	s_delay_alu instid0(VALU_DEP_2) | instskip(NEXT) | instid1(VALU_DEP_1)
	v_lshlrev_b32_e32 v3, 20, v3
	v_or3_b32 v2, v7, v2, v3
	s_delay_alu instid0(VALU_DEP_1) | instskip(NEXT) | instid1(VALU_DEP_1)
	v_trunc_f32_e32 v2, v2
	v_mul_f32_e64 v3, 0x2f800000, |v2|
	v_ashrrev_i32_e32 v8, 31, v2
	s_delay_alu instid0(VALU_DEP_2) | instskip(NEXT) | instid1(VALU_DEP_1)
	v_floor_f32_e32 v3, v3
	v_fma_f32 v7, 0xcf800000, v3, |v2|
	v_cvt_u32_f32_e32 v3, v3
	s_delay_alu instid0(VALU_DEP_2) | instskip(NEXT) | instid1(VALU_DEP_2)
	v_cvt_u32_f32_e32 v2, v7
	v_xor_b32_e32 v3, v3, v8
	s_delay_alu instid0(VALU_DEP_2) | instskip(NEXT) | instid1(VALU_DEP_1)
	v_xor_b32_e32 v2, v2, v8
	v_sub_co_u32 v2, vcc_lo, v2, v8
	s_delay_alu instid0(VALU_DEP_3)
	v_sub_co_ci_u32_e32 v3, vcc_lo, v3, v8, vcc_lo
.LBB376_1234:
	s_or_b32 exec_lo, exec_lo, s0
.LBB376_1235:
	s_mov_b32 s0, -1
.LBB376_1236:
	s_branch .LBB376_1265
.LBB376_1237:
	v_cmp_lt_i16_e32 vcc_lo, 22, v11
	s_cbranch_vccz .LBB376_1247
; %bb.1238:
	v_cmp_gt_i16_e32 vcc_lo, 24, v11
	s_cbranch_vccnz .LBB376_1248
; %bb.1239:
	v_cmp_lt_i16_e32 vcc_lo, 24, v11
	s_cbranch_vccz .LBB376_1249
; %bb.1240:
	global_load_u8 v7, v[4:5], off
	s_mov_b32 s16, exec_lo
                                        ; implicit-def: $sgpr0_sgpr1
	s_waitcnt vmcnt(0)
	v_cmpx_lt_i16_e32 0x7f, v7
	s_xor_b32 s16, exec_lo, s16
; %bb.1241:
	v_cmp_ne_u16_e32 vcc_lo, 0x80, v7
	s_mov_b64 s[0:1], 0
	s_and_b32 s15, vcc_lo, exec_lo
; %bb.1242:
	s_or_saveexec_b32 s16, s16
	v_dual_mov_b32 v3, s1 :: v_dual_mov_b32 v2, s0
	s_xor_b32 exec_lo, exec_lo, s16
; %bb.1243:
	v_cmp_ne_u16_e32 vcc_lo, 0, v7
	v_mov_b32_e32 v2, 0
	v_mov_b32_e32 v3, 0
	s_and_not1_b32 s0, s15, exec_lo
	s_and_b32 s1, vcc_lo, exec_lo
	s_delay_alu instid0(SALU_CYCLE_1)
	s_or_b32 s15, s0, s1
; %bb.1244:
	s_or_b32 exec_lo, exec_lo, s16
	s_and_saveexec_b32 s0, s15
	s_cbranch_execz .LBB376_1246
; %bb.1245:
	v_and_b32_e32 v2, 0xffff, v7
	v_lshlrev_b32_e32 v7, 24, v7
	s_delay_alu instid0(VALU_DEP_2) | instskip(NEXT) | instid1(VALU_DEP_2)
	v_and_b32_e32 v3, 3, v2
	v_and_b32_e32 v7, 0x80000000, v7
	s_delay_alu instid0(VALU_DEP_2) | instskip(NEXT) | instid1(VALU_DEP_1)
	v_clz_i32_u32_e32 v8, v3
	v_min_u32_e32 v8, 32, v8
	s_delay_alu instid0(VALU_DEP_1) | instskip(SKIP_1) | instid1(VALU_DEP_2)
	v_subrev_nc_u32_e32 v9, 29, v8
	v_sub_nc_u32_e32 v8, 30, v8
	v_lshlrev_b32_e32 v9, v9, v2
	v_bfe_u32 v2, v2, 2, 5
	s_delay_alu instid0(VALU_DEP_2) | instskip(NEXT) | instid1(VALU_DEP_2)
	v_and_b32_e32 v9, 3, v9
	v_cmp_eq_u32_e32 vcc_lo, 0, v2
	s_delay_alu instid0(VALU_DEP_2) | instskip(NEXT) | instid1(VALU_DEP_1)
	v_dual_cndmask_b32 v2, v2, v8 :: v_dual_cndmask_b32 v3, v3, v9
	v_lshl_add_u32 v2, v2, 23, 0x37800000
	s_delay_alu instid0(VALU_DEP_2) | instskip(NEXT) | instid1(VALU_DEP_1)
	v_lshlrev_b32_e32 v3, 21, v3
	v_or3_b32 v2, v7, v2, v3
	s_delay_alu instid0(VALU_DEP_1) | instskip(NEXT) | instid1(VALU_DEP_1)
	v_trunc_f32_e32 v2, v2
	v_mul_f32_e64 v3, 0x2f800000, |v2|
	v_ashrrev_i32_e32 v8, 31, v2
	s_delay_alu instid0(VALU_DEP_2) | instskip(NEXT) | instid1(VALU_DEP_1)
	v_floor_f32_e32 v3, v3
	v_fma_f32 v7, 0xcf800000, v3, |v2|
	v_cvt_u32_f32_e32 v3, v3
	s_delay_alu instid0(VALU_DEP_2) | instskip(NEXT) | instid1(VALU_DEP_2)
	v_cvt_u32_f32_e32 v2, v7
	v_xor_b32_e32 v3, v3, v8
	s_delay_alu instid0(VALU_DEP_2) | instskip(NEXT) | instid1(VALU_DEP_1)
	v_xor_b32_e32 v2, v2, v8
	v_sub_co_u32 v2, vcc_lo, v2, v8
	s_delay_alu instid0(VALU_DEP_3)
	v_sub_co_ci_u32_e32 v3, vcc_lo, v3, v8, vcc_lo
.LBB376_1246:
	s_or_b32 exec_lo, exec_lo, s0
	s_mov_b32 s0, 0
	s_branch .LBB376_1250
.LBB376_1247:
	s_mov_b32 s1, -1
                                        ; implicit-def: $vgpr2_vgpr3
	s_branch .LBB376_1256
.LBB376_1248:
	s_mov_b32 s0, -1
                                        ; implicit-def: $vgpr2_vgpr3
	s_branch .LBB376_1253
.LBB376_1249:
	s_mov_b32 s0, -1
                                        ; implicit-def: $vgpr2_vgpr3
.LBB376_1250:
	s_delay_alu instid0(SALU_CYCLE_1)
	s_and_b32 vcc_lo, exec_lo, s0
	s_cbranch_vccz .LBB376_1252
; %bb.1251:
	global_load_u8 v2, v[4:5], off
	s_waitcnt vmcnt(0)
	v_lshlrev_b32_e32 v2, 24, v2
	s_delay_alu instid0(VALU_DEP_1) | instskip(NEXT) | instid1(VALU_DEP_1)
	v_and_b32_e32 v3, 0x7f000000, v2
	v_clz_i32_u32_e32 v7, v3
	v_add_nc_u32_e32 v9, 0x1000000, v3
	v_cmp_ne_u32_e32 vcc_lo, 0, v3
	s_delay_alu instid0(VALU_DEP_3) | instskip(NEXT) | instid1(VALU_DEP_1)
	v_min_u32_e32 v7, 32, v7
	v_sub_nc_u32_e64 v7, v7, 4 clamp
	s_delay_alu instid0(VALU_DEP_1) | instskip(SKIP_1) | instid1(VALU_DEP_2)
	v_lshlrev_b32_e32 v8, v7, v3
	v_lshlrev_b32_e32 v7, 23, v7
	v_lshrrev_b32_e32 v8, 4, v8
	s_delay_alu instid0(VALU_DEP_1) | instskip(SKIP_1) | instid1(VALU_DEP_2)
	v_sub_nc_u32_e32 v7, v8, v7
	v_ashrrev_i32_e32 v8, 8, v9
	v_add_nc_u32_e32 v7, 0x3c000000, v7
	s_delay_alu instid0(VALU_DEP_1) | instskip(NEXT) | instid1(VALU_DEP_1)
	v_and_or_b32 v7, 0x7f800000, v8, v7
	v_cndmask_b32_e32 v3, 0, v7, vcc_lo
	s_delay_alu instid0(VALU_DEP_1) | instskip(NEXT) | instid1(VALU_DEP_1)
	v_and_or_b32 v2, 0x80000000, v2, v3
	v_trunc_f32_e32 v2, v2
	s_delay_alu instid0(VALU_DEP_1) | instskip(SKIP_1) | instid1(VALU_DEP_2)
	v_mul_f32_e64 v3, 0x2f800000, |v2|
	v_ashrrev_i32_e32 v8, 31, v2
	v_floor_f32_e32 v3, v3
	s_delay_alu instid0(VALU_DEP_1) | instskip(SKIP_1) | instid1(VALU_DEP_2)
	v_fma_f32 v7, 0xcf800000, v3, |v2|
	v_cvt_u32_f32_e32 v3, v3
	v_cvt_u32_f32_e32 v2, v7
	s_delay_alu instid0(VALU_DEP_2) | instskip(NEXT) | instid1(VALU_DEP_2)
	v_xor_b32_e32 v3, v3, v8
	v_xor_b32_e32 v2, v2, v8
	s_delay_alu instid0(VALU_DEP_1) | instskip(NEXT) | instid1(VALU_DEP_3)
	v_sub_co_u32 v2, vcc_lo, v2, v8
	v_sub_co_ci_u32_e32 v3, vcc_lo, v3, v8, vcc_lo
.LBB376_1252:
	s_mov_b32 s0, 0
.LBB376_1253:
	s_delay_alu instid0(SALU_CYCLE_1)
	s_and_not1_b32 vcc_lo, exec_lo, s0
	s_cbranch_vccnz .LBB376_1255
; %bb.1254:
	global_load_u8 v2, v[4:5], off
	s_waitcnt vmcnt(0)
	v_lshlrev_b32_e32 v3, 25, v2
	v_lshlrev_b16 v2, 8, v2
	s_delay_alu instid0(VALU_DEP_1) | instskip(SKIP_1) | instid1(VALU_DEP_2)
	v_and_or_b32 v8, 0x7f00, v2, 0.5
	v_bfe_i32 v2, v2, 0, 16
	v_add_f32_e32 v8, -0.5, v8
	v_lshrrev_b32_e32 v7, 4, v3
	v_cmp_gt_u32_e32 vcc_lo, 0x8000000, v3
	s_delay_alu instid0(VALU_DEP_2) | instskip(NEXT) | instid1(VALU_DEP_1)
	v_or_b32_e32 v7, 0x70000000, v7
	v_mul_f32_e32 v7, 0x7800000, v7
	s_delay_alu instid0(VALU_DEP_1) | instskip(NEXT) | instid1(VALU_DEP_1)
	v_cndmask_b32_e32 v3, v7, v8, vcc_lo
	v_and_or_b32 v2, 0x80000000, v2, v3
	s_delay_alu instid0(VALU_DEP_1) | instskip(NEXT) | instid1(VALU_DEP_1)
	v_trunc_f32_e32 v2, v2
	v_mul_f32_e64 v3, 0x2f800000, |v2|
	v_ashrrev_i32_e32 v8, 31, v2
	s_delay_alu instid0(VALU_DEP_2) | instskip(NEXT) | instid1(VALU_DEP_1)
	v_floor_f32_e32 v3, v3
	v_fma_f32 v7, 0xcf800000, v3, |v2|
	v_cvt_u32_f32_e32 v3, v3
	s_delay_alu instid0(VALU_DEP_2) | instskip(NEXT) | instid1(VALU_DEP_2)
	v_cvt_u32_f32_e32 v2, v7
	v_xor_b32_e32 v3, v3, v8
	s_delay_alu instid0(VALU_DEP_2) | instskip(NEXT) | instid1(VALU_DEP_1)
	v_xor_b32_e32 v2, v2, v8
	v_sub_co_u32 v2, vcc_lo, v2, v8
	s_delay_alu instid0(VALU_DEP_3)
	v_sub_co_ci_u32_e32 v3, vcc_lo, v3, v8, vcc_lo
.LBB376_1255:
	s_mov_b32 s1, 0
	s_mov_b32 s0, -1
.LBB376_1256:
	s_and_not1_b32 vcc_lo, exec_lo, s1
	s_mov_b32 s15, 0
	s_cbranch_vccnz .LBB376_1265
; %bb.1257:
	v_cmp_lt_i16_e32 vcc_lo, 14, v11
	s_cbranch_vccz .LBB376_1260
; %bb.1258:
	v_cmp_eq_u16_e32 vcc_lo, 15, v11
	s_cbranch_vccz .LBB376_1261
; %bb.1259:
	global_load_u16 v2, v[4:5], off
	s_mov_b32 s14, 0
	s_mov_b32 s0, -1
	s_waitcnt vmcnt(0)
	v_lshlrev_b32_e32 v2, 16, v2
	s_delay_alu instid0(VALU_DEP_1) | instskip(NEXT) | instid1(VALU_DEP_1)
	v_trunc_f32_e32 v2, v2
	v_mul_f32_e64 v3, 0x2f800000, |v2|
	v_ashrrev_i32_e32 v8, 31, v2
	s_delay_alu instid0(VALU_DEP_2) | instskip(NEXT) | instid1(VALU_DEP_1)
	v_floor_f32_e32 v3, v3
	v_fma_f32 v7, 0xcf800000, v3, |v2|
	v_cvt_u32_f32_e32 v3, v3
	s_delay_alu instid0(VALU_DEP_2) | instskip(NEXT) | instid1(VALU_DEP_2)
	v_cvt_u32_f32_e32 v2, v7
	v_xor_b32_e32 v3, v3, v8
	s_delay_alu instid0(VALU_DEP_2) | instskip(NEXT) | instid1(VALU_DEP_1)
	v_xor_b32_e32 v2, v2, v8
	v_sub_co_u32 v2, vcc_lo, v2, v8
	s_delay_alu instid0(VALU_DEP_3)
	v_sub_co_ci_u32_e32 v3, vcc_lo, v3, v8, vcc_lo
	s_branch .LBB376_1262
.LBB376_1260:
	s_mov_b32 s1, -1
                                        ; implicit-def: $vgpr2_vgpr3
	s_branch .LBB376_1263
.LBB376_1261:
	s_mov_b32 s14, -1
                                        ; implicit-def: $vgpr2_vgpr3
.LBB376_1262:
	s_mov_b32 s1, 0
.LBB376_1263:
	s_delay_alu instid0(SALU_CYCLE_1)
	s_and_b32 vcc_lo, exec_lo, s1
	s_cbranch_vccz .LBB376_1265
; %bb.1264:
	v_cmp_ne_u16_e64 s14, 11, v11
	s_mov_b32 s15, -1
                                        ; implicit-def: $vgpr2_vgpr3
.LBB376_1265:
	s_delay_alu instid0(VALU_DEP_1)
	s_and_b32 vcc_lo, exec_lo, s14
	s_cbranch_vccnz .LBB376_1289
; %bb.1266:
	s_and_not1_b32 vcc_lo, exec_lo, s15
	s_cbranch_vccnz .LBB376_1268
.LBB376_1267:
	global_load_u8 v2, v[4:5], off
	s_mov_b32 s0, 0
	s_waitcnt vmcnt(1)
	v_mov_b32_e32 v3, s0
	s_mov_b32 s0, -1
	s_waitcnt vmcnt(0)
	v_cmp_ne_u16_e32 vcc_lo, 0, v2
	v_cndmask_b32_e64 v2, 0, 1, vcc_lo
.LBB376_1268:
.LBB376_1269:
	s_and_not1_b32 vcc_lo, exec_lo, s0
	s_cbranch_vccnz .LBB376_1962
.LBB376_1270:
	v_add_nc_u32_e32 v8, s9, v6
	v_cmp_gt_i16_e32 vcc_lo, 11, v11
	s_delay_alu instid0(VALU_DEP_2) | instskip(SKIP_1) | instid1(VALU_DEP_1)
	v_ashrrev_i32_e32 v4, 31, v8
	v_add_co_u32 v6, s0, s6, v8
	v_add_co_ci_u32_e64 v7, s0, s7, v4, s0
	s_cbranch_vccnz .LBB376_1277
; %bb.1271:
	v_cmp_lt_i16_e32 vcc_lo, 25, v11
	s_mov_b32 s15, 0
	s_cbranch_vccz .LBB376_1283
; %bb.1272:
	v_cmp_lt_i16_e32 vcc_lo, 28, v11
	s_cbranch_vccz .LBB376_1285
; %bb.1273:
	v_cmp_lt_i16_e32 vcc_lo, 43, v11
	;; [unrolled: 3-line block ×3, first 2 shown]
	s_cbranch_vccz .LBB376_1291
; %bb.1275:
	v_cmp_eq_u16_e32 vcc_lo, 46, v11
	s_mov_b32 s1, 0
	s_cbranch_vccz .LBB376_1334
; %bb.1276:
	global_load_b32 v4, v[6:7], off
	s_mov_b32 s14, 0
	s_mov_b32 s0, -1
	s_waitcnt vmcnt(0)
	v_lshlrev_b32_e32 v4, 16, v4
	s_delay_alu instid0(VALU_DEP_1) | instskip(NEXT) | instid1(VALU_DEP_1)
	v_trunc_f32_e32 v4, v4
	v_mul_f32_e64 v5, 0x2f800000, |v4|
	v_ashrrev_i32_e32 v12, 31, v4
	s_delay_alu instid0(VALU_DEP_2) | instskip(NEXT) | instid1(VALU_DEP_1)
	v_floor_f32_e32 v5, v5
	v_fma_f32 v9, 0xcf800000, v5, |v4|
	v_cvt_u32_f32_e32 v5, v5
	s_delay_alu instid0(VALU_DEP_2) | instskip(NEXT) | instid1(VALU_DEP_2)
	v_cvt_u32_f32_e32 v4, v9
	v_xor_b32_e32 v5, v5, v12
	s_delay_alu instid0(VALU_DEP_2) | instskip(NEXT) | instid1(VALU_DEP_1)
	v_xor_b32_e32 v4, v4, v12
	v_sub_co_u32 v4, vcc_lo, v4, v12
	s_delay_alu instid0(VALU_DEP_3)
	v_sub_co_ci_u32_e32 v5, vcc_lo, v5, v12, vcc_lo
	s_branch .LBB376_1336
.LBB376_1277:
	s_mov_b32 s0, 0
                                        ; implicit-def: $vgpr4_vgpr5
	s_cbranch_execz .LBB376_1398
; %bb.1278:
	v_cmp_gt_i16_e32 vcc_lo, 5, v11
	s_cbranch_vccnz .LBB376_1284
; %bb.1279:
	v_cmp_gt_i16_e32 vcc_lo, 8, v11
	s_cbranch_vccnz .LBB376_1286
; %bb.1280:
	v_cmp_gt_i16_e32 vcc_lo, 9, v11
	s_cbranch_vccnz .LBB376_1288
; %bb.1281:
	v_cmp_lt_i16_e32 vcc_lo, 9, v11
	s_cbranch_vccz .LBB376_1292
; %bb.1282:
	global_load_b64 v[4:5], v[6:7], off
	s_mov_b32 s0, 0
	s_waitcnt vmcnt(0)
	v_trunc_f64_e32 v[4:5], v[4:5]
	s_delay_alu instid0(VALU_DEP_1) | instskip(NEXT) | instid1(VALU_DEP_1)
	v_ldexp_f64 v[12:13], v[4:5], 0xffffffe0
	v_floor_f64_e32 v[12:13], v[12:13]
	s_delay_alu instid0(VALU_DEP_1) | instskip(SKIP_1) | instid1(VALU_DEP_2)
	v_fma_f64 v[14:15], 0xc1f00000, v[12:13], v[4:5]
	v_cvt_i32_f64_e32 v5, v[12:13]
	v_cvt_u32_f64_e32 v4, v[14:15]
	s_branch .LBB376_1293
.LBB376_1283:
	s_mov_b32 s1, -1
	s_mov_b32 s0, 0
	s_mov_b32 s14, 0
                                        ; implicit-def: $vgpr4_vgpr5
	s_branch .LBB376_1365
.LBB376_1284:
	s_mov_b32 s0, -1
                                        ; implicit-def: $vgpr4_vgpr5
	s_branch .LBB376_1311
.LBB376_1285:
	s_mov_b32 s1, -1
	s_mov_b32 s0, 0
	s_mov_b32 s14, 0
                                        ; implicit-def: $vgpr4_vgpr5
	s_branch .LBB376_1346
.LBB376_1286:
	s_mov_b32 s0, -1
                                        ; implicit-def: $vgpr4_vgpr5
	s_branch .LBB376_1299
.LBB376_1287:
	s_mov_b32 s1, -1
	s_mov_b32 s0, 0
	s_mov_b32 s14, 0
                                        ; implicit-def: $vgpr4_vgpr5
	s_branch .LBB376_1341
.LBB376_1288:
	s_mov_b32 s0, -1
                                        ; implicit-def: $vgpr4_vgpr5
	s_branch .LBB376_1296
.LBB376_1289:
	s_cbranch_execnz .LBB376_1332
; %bb.1290:
	s_or_b32 s3, s3, exec_lo
                                        ; implicit-def: $vgpr2_vgpr3
	s_cbranch_execz .LBB376_1267
	s_branch .LBB376_1268
.LBB376_1291:
	s_mov_b32 s1, -1
	s_mov_b32 s0, 0
	s_mov_b32 s14, 0
	s_branch .LBB376_1335
.LBB376_1292:
	s_mov_b32 s0, -1
                                        ; implicit-def: $vgpr4_vgpr5
.LBB376_1293:
	s_delay_alu instid0(SALU_CYCLE_1)
	s_and_not1_b32 vcc_lo, exec_lo, s0
	s_cbranch_vccnz .LBB376_1295
; %bb.1294:
	global_load_b32 v4, v[6:7], off
	s_waitcnt vmcnt(0)
	v_trunc_f32_e32 v4, v4
	s_delay_alu instid0(VALU_DEP_1) | instskip(SKIP_1) | instid1(VALU_DEP_2)
	v_mul_f32_e64 v5, 0x2f800000, |v4|
	v_ashrrev_i32_e32 v12, 31, v4
	v_floor_f32_e32 v5, v5
	s_delay_alu instid0(VALU_DEP_1) | instskip(SKIP_1) | instid1(VALU_DEP_2)
	v_fma_f32 v9, 0xcf800000, v5, |v4|
	v_cvt_u32_f32_e32 v5, v5
	v_cvt_u32_f32_e32 v4, v9
	s_delay_alu instid0(VALU_DEP_2) | instskip(NEXT) | instid1(VALU_DEP_2)
	v_xor_b32_e32 v5, v5, v12
	v_xor_b32_e32 v4, v4, v12
	s_delay_alu instid0(VALU_DEP_1) | instskip(NEXT) | instid1(VALU_DEP_3)
	v_sub_co_u32 v4, vcc_lo, v4, v12
	v_sub_co_ci_u32_e32 v5, vcc_lo, v5, v12, vcc_lo
.LBB376_1295:
	s_mov_b32 s0, 0
.LBB376_1296:
	s_delay_alu instid0(SALU_CYCLE_1)
	s_and_not1_b32 vcc_lo, exec_lo, s0
	s_cbranch_vccnz .LBB376_1298
; %bb.1297:
	global_load_b32 v4, v[6:7], off
	s_waitcnt vmcnt(0)
	v_cvt_f32_f16_e32 v4, v4
	s_delay_alu instid0(VALU_DEP_1) | instskip(NEXT) | instid1(VALU_DEP_1)
	v_cvt_i32_f32_e32 v4, v4
	v_ashrrev_i32_e32 v5, 31, v4
.LBB376_1298:
	s_mov_b32 s0, 0
.LBB376_1299:
	s_delay_alu instid0(SALU_CYCLE_1)
	s_and_not1_b32 vcc_lo, exec_lo, s0
	s_cbranch_vccnz .LBB376_1310
; %bb.1300:
	v_cmp_gt_i16_e32 vcc_lo, 6, v11
	s_cbranch_vccnz .LBB376_1303
; %bb.1301:
	v_cmp_lt_i16_e32 vcc_lo, 6, v11
	s_cbranch_vccz .LBB376_1304
; %bb.1302:
	global_load_b64 v[4:5], v[6:7], off
	s_mov_b32 s0, 0
	s_waitcnt vmcnt(0)
	v_trunc_f64_e32 v[4:5], v[4:5]
	s_delay_alu instid0(VALU_DEP_1) | instskip(NEXT) | instid1(VALU_DEP_1)
	v_ldexp_f64 v[12:13], v[4:5], 0xffffffe0
	v_floor_f64_e32 v[12:13], v[12:13]
	s_delay_alu instid0(VALU_DEP_1) | instskip(SKIP_1) | instid1(VALU_DEP_2)
	v_fma_f64 v[14:15], 0xc1f00000, v[12:13], v[4:5]
	v_cvt_i32_f64_e32 v5, v[12:13]
	v_cvt_u32_f64_e32 v4, v[14:15]
	s_branch .LBB376_1305
.LBB376_1303:
	s_mov_b32 s0, -1
                                        ; implicit-def: $vgpr4_vgpr5
	s_branch .LBB376_1308
.LBB376_1304:
	s_mov_b32 s0, -1
                                        ; implicit-def: $vgpr4_vgpr5
.LBB376_1305:
	s_delay_alu instid0(SALU_CYCLE_1)
	s_and_not1_b32 vcc_lo, exec_lo, s0
	s_cbranch_vccnz .LBB376_1307
; %bb.1306:
	global_load_b32 v4, v[6:7], off
	s_waitcnt vmcnt(0)
	v_trunc_f32_e32 v4, v4
	s_delay_alu instid0(VALU_DEP_1) | instskip(SKIP_1) | instid1(VALU_DEP_2)
	v_mul_f32_e64 v5, 0x2f800000, |v4|
	v_ashrrev_i32_e32 v12, 31, v4
	v_floor_f32_e32 v5, v5
	s_delay_alu instid0(VALU_DEP_1) | instskip(SKIP_1) | instid1(VALU_DEP_2)
	v_fma_f32 v9, 0xcf800000, v5, |v4|
	v_cvt_u32_f32_e32 v5, v5
	v_cvt_u32_f32_e32 v4, v9
	s_delay_alu instid0(VALU_DEP_2) | instskip(NEXT) | instid1(VALU_DEP_2)
	v_xor_b32_e32 v5, v5, v12
	v_xor_b32_e32 v4, v4, v12
	s_delay_alu instid0(VALU_DEP_1) | instskip(NEXT) | instid1(VALU_DEP_3)
	v_sub_co_u32 v4, vcc_lo, v4, v12
	v_sub_co_ci_u32_e32 v5, vcc_lo, v5, v12, vcc_lo
.LBB376_1307:
	s_mov_b32 s0, 0
.LBB376_1308:
	s_delay_alu instid0(SALU_CYCLE_1)
	s_and_not1_b32 vcc_lo, exec_lo, s0
	s_cbranch_vccnz .LBB376_1310
; %bb.1309:
	global_load_u16 v4, v[6:7], off
	s_waitcnt vmcnt(0)
	v_cvt_f32_f16_e32 v4, v4
	s_delay_alu instid0(VALU_DEP_1) | instskip(NEXT) | instid1(VALU_DEP_1)
	v_cvt_i32_f32_e32 v4, v4
	v_ashrrev_i32_e32 v5, 31, v4
.LBB376_1310:
	s_mov_b32 s0, 0
.LBB376_1311:
	s_delay_alu instid0(SALU_CYCLE_1)
	s_and_not1_b32 vcc_lo, exec_lo, s0
	s_cbranch_vccnz .LBB376_1331
; %bb.1312:
	v_cmp_gt_i16_e32 vcc_lo, 2, v11
	s_cbranch_vccnz .LBB376_1316
; %bb.1313:
	v_cmp_gt_i16_e32 vcc_lo, 3, v11
	s_cbranch_vccnz .LBB376_1317
; %bb.1314:
	v_cmp_lt_i16_e32 vcc_lo, 3, v11
	s_cbranch_vccz .LBB376_1318
; %bb.1315:
	global_load_b64 v[4:5], v[6:7], off
	s_mov_b32 s0, 0
	s_branch .LBB376_1319
.LBB376_1316:
	s_mov_b32 s0, -1
                                        ; implicit-def: $vgpr4_vgpr5
	s_branch .LBB376_1325
.LBB376_1317:
	s_mov_b32 s0, -1
                                        ; implicit-def: $vgpr4_vgpr5
	s_branch .LBB376_1322
.LBB376_1318:
	s_mov_b32 s0, -1
                                        ; implicit-def: $vgpr4_vgpr5
.LBB376_1319:
	s_delay_alu instid0(SALU_CYCLE_1)
	s_and_not1_b32 vcc_lo, exec_lo, s0
	s_cbranch_vccnz .LBB376_1321
; %bb.1320:
	global_load_b32 v4, v[6:7], off
	s_waitcnt vmcnt(0)
	v_ashrrev_i32_e32 v5, 31, v4
.LBB376_1321:
	s_mov_b32 s0, 0
.LBB376_1322:
	s_delay_alu instid0(SALU_CYCLE_1)
	s_and_not1_b32 vcc_lo, exec_lo, s0
	s_cbranch_vccnz .LBB376_1324
; %bb.1323:
	global_load_u16 v4, v[6:7], off
	s_waitcnt vmcnt(0)
	v_bfe_i32 v4, v4, 0, 16
	s_delay_alu instid0(VALU_DEP_1)
	v_ashrrev_i32_e32 v5, 31, v4
.LBB376_1324:
	s_mov_b32 s0, 0
.LBB376_1325:
	s_delay_alu instid0(SALU_CYCLE_1)
	s_and_not1_b32 vcc_lo, exec_lo, s0
	s_cbranch_vccnz .LBB376_1331
; %bb.1326:
	v_cmp_lt_i16_e32 vcc_lo, 0, v11
	s_mov_b32 s0, 0
	s_cbranch_vccz .LBB376_1328
; %bb.1327:
	global_load_i8 v4, v[6:7], off
	s_waitcnt vmcnt(0)
	v_bfe_i32 v4, v4, 0, 16
	s_delay_alu instid0(VALU_DEP_1)
	v_ashrrev_i32_e32 v5, 31, v4
	s_branch .LBB376_1329
.LBB376_1328:
	s_mov_b32 s0, -1
                                        ; implicit-def: $vgpr4_vgpr5
.LBB376_1329:
	s_delay_alu instid0(SALU_CYCLE_1)
	s_and_not1_b32 vcc_lo, exec_lo, s0
	s_cbranch_vccnz .LBB376_1331
; %bb.1330:
	global_load_u8 v4, v[6:7], off
	s_mov_b32 s0, 0
	s_waitcnt vmcnt(0)
	v_dual_mov_b32 v5, s0 :: v_dual_and_b32 v4, 0xffff, v4
.LBB376_1331:
	s_branch .LBB376_1399
.LBB376_1332:
	s_trap 2
	s_sendmsg_rtn_b32 s0, sendmsg(MSG_RTN_GET_DOORBELL)
	s_mov_b32 ttmp2, m0
	s_waitcnt lgkmcnt(0)
	s_and_b32 s0, s0, 0x3ff
	s_delay_alu instid0(SALU_CYCLE_1) | instskip(NEXT) | instid1(SALU_CYCLE_1)
	s_bitset1_b32 s0, 10
	s_mov_b32 m0, s0
	s_sendmsg sendmsg(MSG_INTERRUPT)
	s_mov_b32 m0, ttmp2
.LBB376_1333:                           ; =>This Inner Loop Header: Depth=1
	s_sethalt 5
	s_branch .LBB376_1333
.LBB376_1334:
	s_mov_b32 s14, -1
	s_mov_b32 s0, 0
.LBB376_1335:
                                        ; implicit-def: $vgpr4_vgpr5
.LBB376_1336:
	s_and_b32 vcc_lo, exec_lo, s1
	s_cbranch_vccz .LBB376_1340
; %bb.1337:
	v_cmp_eq_u16_e32 vcc_lo, 44, v11
	s_cbranch_vccz .LBB376_1339
; %bb.1338:
	global_load_u8 v4, v[6:7], off
	s_mov_b32 s14, 0
	s_mov_b32 s0, -1
	s_waitcnt vmcnt(0)
	v_lshlrev_b32_e32 v5, 23, v4
	s_delay_alu instid0(VALU_DEP_1) | instskip(NEXT) | instid1(VALU_DEP_1)
	v_trunc_f32_e32 v5, v5
	v_mul_f32_e64 v9, 0x2f800000, |v5|
	s_delay_alu instid0(VALU_DEP_1) | instskip(NEXT) | instid1(VALU_DEP_1)
	v_floor_f32_e32 v9, v9
	v_fma_f32 v12, 0xcf800000, v9, |v5|
	v_ashrrev_i32_e32 v5, 31, v5
	v_cvt_u32_f32_e32 v9, v9
	s_delay_alu instid0(VALU_DEP_3) | instskip(NEXT) | instid1(VALU_DEP_2)
	v_cvt_u32_f32_e32 v12, v12
	v_xor_b32_e32 v9, v9, v5
	s_delay_alu instid0(VALU_DEP_2) | instskip(NEXT) | instid1(VALU_DEP_1)
	v_xor_b32_e32 v12, v12, v5
	v_sub_co_u32 v12, vcc_lo, v12, v5
	s_delay_alu instid0(VALU_DEP_3) | instskip(SKIP_1) | instid1(VALU_DEP_2)
	v_sub_co_ci_u32_e32 v5, vcc_lo, v9, v5, vcc_lo
	v_cmp_ne_u32_e32 vcc_lo, 0, v4
	v_dual_cndmask_b32 v5, 0, v5 :: v_dual_cndmask_b32 v4, 0, v12
	s_branch .LBB376_1340
.LBB376_1339:
	s_mov_b32 s14, -1
                                        ; implicit-def: $vgpr4_vgpr5
.LBB376_1340:
	s_mov_b32 s1, 0
.LBB376_1341:
	s_delay_alu instid0(SALU_CYCLE_1)
	s_and_b32 vcc_lo, exec_lo, s1
	s_cbranch_vccz .LBB376_1345
; %bb.1342:
	v_cmp_eq_u16_e32 vcc_lo, 29, v11
	s_cbranch_vccz .LBB376_1344
; %bb.1343:
	global_load_b64 v[4:5], v[6:7], off
	s_mov_b32 s14, 0
	s_mov_b32 s0, -1
	s_branch .LBB376_1345
.LBB376_1344:
	s_mov_b32 s14, -1
                                        ; implicit-def: $vgpr4_vgpr5
.LBB376_1345:
	s_mov_b32 s1, 0
.LBB376_1346:
	s_delay_alu instid0(SALU_CYCLE_1)
	s_and_b32 vcc_lo, exec_lo, s1
	s_cbranch_vccz .LBB376_1364
; %bb.1347:
	v_cmp_gt_i16_e32 vcc_lo, 27, v11
	s_cbranch_vccnz .LBB376_1350
; %bb.1348:
	v_cmp_lt_i16_e32 vcc_lo, 27, v11
	s_cbranch_vccz .LBB376_1351
; %bb.1349:
	global_load_b32 v4, v[6:7], off
	s_waitcnt vmcnt(1)
	v_mov_b32_e32 v5, 0
	s_mov_b32 s0, 0
	s_branch .LBB376_1352
.LBB376_1350:
	s_mov_b32 s0, -1
                                        ; implicit-def: $vgpr4_vgpr5
	s_branch .LBB376_1355
.LBB376_1351:
	s_mov_b32 s0, -1
                                        ; implicit-def: $vgpr4_vgpr5
.LBB376_1352:
	s_delay_alu instid0(SALU_CYCLE_1)
	s_and_not1_b32 vcc_lo, exec_lo, s0
	s_cbranch_vccnz .LBB376_1354
; %bb.1353:
	global_load_u16 v4, v[6:7], off
	s_mov_b32 s0, 0
	s_waitcnt vmcnt(0)
	v_dual_mov_b32 v5, s0 :: v_dual_and_b32 v4, 0xffff, v4
.LBB376_1354:
	s_mov_b32 s0, 0
.LBB376_1355:
	s_delay_alu instid0(SALU_CYCLE_1)
	s_and_not1_b32 vcc_lo, exec_lo, s0
	s_cbranch_vccnz .LBB376_1363
; %bb.1356:
	global_load_u8 v9, v[6:7], off
	s_mov_b32 s16, 0
	s_mov_b32 s17, exec_lo
                                        ; implicit-def: $sgpr0_sgpr1
	s_waitcnt vmcnt(0)
	v_cmpx_lt_i16_e32 0x7f, v9
	s_xor_b32 s17, exec_lo, s17
; %bb.1357:
	v_cmp_ne_u16_e32 vcc_lo, 0x80, v9
	s_mov_b64 s[0:1], 0
	s_and_b32 s16, vcc_lo, exec_lo
; %bb.1358:
	s_or_saveexec_b32 s17, s17
	v_dual_mov_b32 v5, s1 :: v_dual_mov_b32 v4, s0
	s_xor_b32 exec_lo, exec_lo, s17
; %bb.1359:
	v_cmp_ne_u16_e32 vcc_lo, 0, v9
	v_mov_b32_e32 v4, 0
	v_mov_b32_e32 v5, 0
	s_and_not1_b32 s0, s16, exec_lo
	s_and_b32 s1, vcc_lo, exec_lo
	s_delay_alu instid0(SALU_CYCLE_1)
	s_or_b32 s16, s0, s1
; %bb.1360:
	s_or_b32 exec_lo, exec_lo, s17
	s_and_saveexec_b32 s0, s16
	s_cbranch_execz .LBB376_1362
; %bb.1361:
	v_and_b32_e32 v4, 0xffff, v9
	v_lshlrev_b32_e32 v9, 24, v9
	s_delay_alu instid0(VALU_DEP_2) | instskip(NEXT) | instid1(VALU_DEP_2)
	v_and_b32_e32 v5, 7, v4
	v_and_b32_e32 v9, 0x80000000, v9
	s_delay_alu instid0(VALU_DEP_2) | instskip(NEXT) | instid1(VALU_DEP_1)
	v_clz_i32_u32_e32 v12, v5
	v_min_u32_e32 v12, 32, v12
	s_delay_alu instid0(VALU_DEP_1) | instskip(SKIP_1) | instid1(VALU_DEP_2)
	v_subrev_nc_u32_e32 v13, 28, v12
	v_sub_nc_u32_e32 v12, 29, v12
	v_lshlrev_b32_e32 v13, v13, v4
	v_bfe_u32 v4, v4, 3, 4
	s_delay_alu instid0(VALU_DEP_1) | instskip(NEXT) | instid1(VALU_DEP_3)
	v_cmp_eq_u32_e32 vcc_lo, 0, v4
	v_dual_cndmask_b32 v4, v4, v12 :: v_dual_and_b32 v13, 7, v13
	s_delay_alu instid0(VALU_DEP_1) | instskip(NEXT) | instid1(VALU_DEP_2)
	v_cndmask_b32_e32 v5, v5, v13, vcc_lo
	v_lshl_add_u32 v4, v4, 23, 0x3b800000
	s_delay_alu instid0(VALU_DEP_2) | instskip(NEXT) | instid1(VALU_DEP_1)
	v_lshlrev_b32_e32 v5, 20, v5
	v_or3_b32 v4, v9, v4, v5
	s_delay_alu instid0(VALU_DEP_1) | instskip(NEXT) | instid1(VALU_DEP_1)
	v_trunc_f32_e32 v4, v4
	v_mul_f32_e64 v5, 0x2f800000, |v4|
	v_ashrrev_i32_e32 v12, 31, v4
	s_delay_alu instid0(VALU_DEP_2) | instskip(NEXT) | instid1(VALU_DEP_1)
	v_floor_f32_e32 v5, v5
	v_fma_f32 v9, 0xcf800000, v5, |v4|
	v_cvt_u32_f32_e32 v5, v5
	s_delay_alu instid0(VALU_DEP_2) | instskip(NEXT) | instid1(VALU_DEP_2)
	v_cvt_u32_f32_e32 v4, v9
	v_xor_b32_e32 v5, v5, v12
	s_delay_alu instid0(VALU_DEP_2) | instskip(NEXT) | instid1(VALU_DEP_1)
	v_xor_b32_e32 v4, v4, v12
	v_sub_co_u32 v4, vcc_lo, v4, v12
	s_delay_alu instid0(VALU_DEP_3)
	v_sub_co_ci_u32_e32 v5, vcc_lo, v5, v12, vcc_lo
.LBB376_1362:
	s_or_b32 exec_lo, exec_lo, s0
.LBB376_1363:
	s_mov_b32 s0, -1
.LBB376_1364:
	s_mov_b32 s1, 0
.LBB376_1365:
	s_delay_alu instid0(SALU_CYCLE_1)
	s_and_b32 vcc_lo, exec_lo, s1
	s_cbranch_vccz .LBB376_1394
; %bb.1366:
	v_cmp_lt_i16_e32 vcc_lo, 22, v11
	s_cbranch_vccz .LBB376_1376
; %bb.1367:
	v_cmp_gt_i16_e32 vcc_lo, 24, v11
	s_cbranch_vccnz .LBB376_1377
; %bb.1368:
	v_cmp_lt_i16_e32 vcc_lo, 24, v11
	s_cbranch_vccz .LBB376_1378
; %bb.1369:
	global_load_u8 v9, v[6:7], off
	s_mov_b32 s16, exec_lo
                                        ; implicit-def: $sgpr0_sgpr1
	s_waitcnt vmcnt(0)
	v_cmpx_lt_i16_e32 0x7f, v9
	s_xor_b32 s16, exec_lo, s16
; %bb.1370:
	v_cmp_ne_u16_e32 vcc_lo, 0x80, v9
	s_mov_b64 s[0:1], 0
	s_and_b32 s15, vcc_lo, exec_lo
; %bb.1371:
	s_or_saveexec_b32 s16, s16
	v_dual_mov_b32 v5, s1 :: v_dual_mov_b32 v4, s0
	s_xor_b32 exec_lo, exec_lo, s16
; %bb.1372:
	v_cmp_ne_u16_e32 vcc_lo, 0, v9
	v_mov_b32_e32 v4, 0
	v_mov_b32_e32 v5, 0
	s_and_not1_b32 s0, s15, exec_lo
	s_and_b32 s1, vcc_lo, exec_lo
	s_delay_alu instid0(SALU_CYCLE_1)
	s_or_b32 s15, s0, s1
; %bb.1373:
	s_or_b32 exec_lo, exec_lo, s16
	s_and_saveexec_b32 s0, s15
	s_cbranch_execz .LBB376_1375
; %bb.1374:
	v_and_b32_e32 v4, 0xffff, v9
	v_lshlrev_b32_e32 v9, 24, v9
	s_delay_alu instid0(VALU_DEP_2) | instskip(NEXT) | instid1(VALU_DEP_2)
	v_and_b32_e32 v5, 3, v4
	v_and_b32_e32 v9, 0x80000000, v9
	s_delay_alu instid0(VALU_DEP_2) | instskip(NEXT) | instid1(VALU_DEP_1)
	v_clz_i32_u32_e32 v12, v5
	v_min_u32_e32 v12, 32, v12
	s_delay_alu instid0(VALU_DEP_1) | instskip(SKIP_1) | instid1(VALU_DEP_2)
	v_subrev_nc_u32_e32 v13, 29, v12
	v_sub_nc_u32_e32 v12, 30, v12
	v_lshlrev_b32_e32 v13, v13, v4
	v_bfe_u32 v4, v4, 2, 5
	s_delay_alu instid0(VALU_DEP_1) | instskip(NEXT) | instid1(VALU_DEP_3)
	v_cmp_eq_u32_e32 vcc_lo, 0, v4
	v_dual_cndmask_b32 v4, v4, v12 :: v_dual_and_b32 v13, 3, v13
	s_delay_alu instid0(VALU_DEP_1) | instskip(NEXT) | instid1(VALU_DEP_2)
	v_cndmask_b32_e32 v5, v5, v13, vcc_lo
	v_lshl_add_u32 v4, v4, 23, 0x37800000
	s_delay_alu instid0(VALU_DEP_2) | instskip(NEXT) | instid1(VALU_DEP_1)
	v_lshlrev_b32_e32 v5, 21, v5
	v_or3_b32 v4, v9, v4, v5
	s_delay_alu instid0(VALU_DEP_1) | instskip(NEXT) | instid1(VALU_DEP_1)
	v_trunc_f32_e32 v4, v4
	v_mul_f32_e64 v5, 0x2f800000, |v4|
	v_ashrrev_i32_e32 v12, 31, v4
	s_delay_alu instid0(VALU_DEP_2) | instskip(NEXT) | instid1(VALU_DEP_1)
	v_floor_f32_e32 v5, v5
	v_fma_f32 v9, 0xcf800000, v5, |v4|
	v_cvt_u32_f32_e32 v5, v5
	s_delay_alu instid0(VALU_DEP_2) | instskip(NEXT) | instid1(VALU_DEP_2)
	v_cvt_u32_f32_e32 v4, v9
	v_xor_b32_e32 v5, v5, v12
	s_delay_alu instid0(VALU_DEP_2) | instskip(NEXT) | instid1(VALU_DEP_1)
	v_xor_b32_e32 v4, v4, v12
	v_sub_co_u32 v4, vcc_lo, v4, v12
	s_delay_alu instid0(VALU_DEP_3)
	v_sub_co_ci_u32_e32 v5, vcc_lo, v5, v12, vcc_lo
.LBB376_1375:
	s_or_b32 exec_lo, exec_lo, s0
	s_mov_b32 s0, 0
	s_branch .LBB376_1379
.LBB376_1376:
	s_mov_b32 s1, -1
                                        ; implicit-def: $vgpr4_vgpr5
	s_branch .LBB376_1385
.LBB376_1377:
	s_mov_b32 s0, -1
                                        ; implicit-def: $vgpr4_vgpr5
	s_branch .LBB376_1382
.LBB376_1378:
	s_mov_b32 s0, -1
                                        ; implicit-def: $vgpr4_vgpr5
.LBB376_1379:
	s_delay_alu instid0(SALU_CYCLE_1)
	s_and_b32 vcc_lo, exec_lo, s0
	s_cbranch_vccz .LBB376_1381
; %bb.1380:
	global_load_u8 v4, v[6:7], off
	s_waitcnt vmcnt(0)
	v_lshlrev_b32_e32 v4, 24, v4
	s_delay_alu instid0(VALU_DEP_1) | instskip(NEXT) | instid1(VALU_DEP_1)
	v_and_b32_e32 v5, 0x7f000000, v4
	v_clz_i32_u32_e32 v9, v5
	v_add_nc_u32_e32 v13, 0x1000000, v5
	v_cmp_ne_u32_e32 vcc_lo, 0, v5
	s_delay_alu instid0(VALU_DEP_3) | instskip(NEXT) | instid1(VALU_DEP_1)
	v_min_u32_e32 v9, 32, v9
	v_sub_nc_u32_e64 v9, v9, 4 clamp
	s_delay_alu instid0(VALU_DEP_1) | instskip(SKIP_1) | instid1(VALU_DEP_2)
	v_lshlrev_b32_e32 v12, v9, v5
	v_lshlrev_b32_e32 v9, 23, v9
	v_lshrrev_b32_e32 v12, 4, v12
	s_delay_alu instid0(VALU_DEP_1) | instskip(SKIP_1) | instid1(VALU_DEP_2)
	v_sub_nc_u32_e32 v9, v12, v9
	v_ashrrev_i32_e32 v12, 8, v13
	v_add_nc_u32_e32 v9, 0x3c000000, v9
	s_delay_alu instid0(VALU_DEP_1) | instskip(NEXT) | instid1(VALU_DEP_1)
	v_and_or_b32 v9, 0x7f800000, v12, v9
	v_cndmask_b32_e32 v5, 0, v9, vcc_lo
	s_delay_alu instid0(VALU_DEP_1) | instskip(NEXT) | instid1(VALU_DEP_1)
	v_and_or_b32 v4, 0x80000000, v4, v5
	v_trunc_f32_e32 v4, v4
	s_delay_alu instid0(VALU_DEP_1) | instskip(SKIP_1) | instid1(VALU_DEP_2)
	v_mul_f32_e64 v5, 0x2f800000, |v4|
	v_ashrrev_i32_e32 v12, 31, v4
	v_floor_f32_e32 v5, v5
	s_delay_alu instid0(VALU_DEP_1) | instskip(SKIP_1) | instid1(VALU_DEP_2)
	v_fma_f32 v9, 0xcf800000, v5, |v4|
	v_cvt_u32_f32_e32 v5, v5
	v_cvt_u32_f32_e32 v4, v9
	s_delay_alu instid0(VALU_DEP_2) | instskip(NEXT) | instid1(VALU_DEP_2)
	v_xor_b32_e32 v5, v5, v12
	v_xor_b32_e32 v4, v4, v12
	s_delay_alu instid0(VALU_DEP_1) | instskip(NEXT) | instid1(VALU_DEP_3)
	v_sub_co_u32 v4, vcc_lo, v4, v12
	v_sub_co_ci_u32_e32 v5, vcc_lo, v5, v12, vcc_lo
.LBB376_1381:
	s_mov_b32 s0, 0
.LBB376_1382:
	s_delay_alu instid0(SALU_CYCLE_1)
	s_and_not1_b32 vcc_lo, exec_lo, s0
	s_cbranch_vccnz .LBB376_1384
; %bb.1383:
	global_load_u8 v4, v[6:7], off
	s_waitcnt vmcnt(0)
	v_lshlrev_b32_e32 v5, 25, v4
	v_lshlrev_b16 v4, 8, v4
	s_delay_alu instid0(VALU_DEP_2) | instskip(NEXT) | instid1(VALU_DEP_2)
	v_lshrrev_b32_e32 v9, 4, v5
	v_and_or_b32 v12, 0x7f00, v4, 0.5
	v_cmp_gt_u32_e32 vcc_lo, 0x8000000, v5
	v_bfe_i32 v4, v4, 0, 16
	s_delay_alu instid0(VALU_DEP_4) | instskip(NEXT) | instid1(VALU_DEP_1)
	v_or_b32_e32 v9, 0x70000000, v9
	v_dual_add_f32 v12, -0.5, v12 :: v_dual_mul_f32 v9, 0x7800000, v9
	s_delay_alu instid0(VALU_DEP_1) | instskip(NEXT) | instid1(VALU_DEP_1)
	v_cndmask_b32_e32 v5, v9, v12, vcc_lo
	v_and_or_b32 v4, 0x80000000, v4, v5
	s_delay_alu instid0(VALU_DEP_1) | instskip(NEXT) | instid1(VALU_DEP_1)
	v_trunc_f32_e32 v4, v4
	v_mul_f32_e64 v5, 0x2f800000, |v4|
	v_ashrrev_i32_e32 v12, 31, v4
	s_delay_alu instid0(VALU_DEP_2) | instskip(NEXT) | instid1(VALU_DEP_1)
	v_floor_f32_e32 v5, v5
	v_fma_f32 v9, 0xcf800000, v5, |v4|
	v_cvt_u32_f32_e32 v5, v5
	s_delay_alu instid0(VALU_DEP_2) | instskip(NEXT) | instid1(VALU_DEP_2)
	v_cvt_u32_f32_e32 v4, v9
	v_xor_b32_e32 v5, v5, v12
	s_delay_alu instid0(VALU_DEP_2) | instskip(NEXT) | instid1(VALU_DEP_1)
	v_xor_b32_e32 v4, v4, v12
	v_sub_co_u32 v4, vcc_lo, v4, v12
	s_delay_alu instid0(VALU_DEP_3)
	v_sub_co_ci_u32_e32 v5, vcc_lo, v5, v12, vcc_lo
.LBB376_1384:
	s_mov_b32 s1, 0
	s_mov_b32 s0, -1
.LBB376_1385:
	s_and_not1_b32 vcc_lo, exec_lo, s1
	s_mov_b32 s15, 0
	s_cbranch_vccnz .LBB376_1394
; %bb.1386:
	v_cmp_lt_i16_e32 vcc_lo, 14, v11
	s_cbranch_vccz .LBB376_1389
; %bb.1387:
	v_cmp_eq_u16_e32 vcc_lo, 15, v11
	s_cbranch_vccz .LBB376_1390
; %bb.1388:
	global_load_u16 v4, v[6:7], off
	s_mov_b32 s14, 0
	s_mov_b32 s0, -1
	s_waitcnt vmcnt(0)
	v_lshlrev_b32_e32 v4, 16, v4
	s_delay_alu instid0(VALU_DEP_1) | instskip(NEXT) | instid1(VALU_DEP_1)
	v_trunc_f32_e32 v4, v4
	v_mul_f32_e64 v5, 0x2f800000, |v4|
	v_ashrrev_i32_e32 v12, 31, v4
	s_delay_alu instid0(VALU_DEP_2) | instskip(NEXT) | instid1(VALU_DEP_1)
	v_floor_f32_e32 v5, v5
	v_fma_f32 v9, 0xcf800000, v5, |v4|
	v_cvt_u32_f32_e32 v5, v5
	s_delay_alu instid0(VALU_DEP_2) | instskip(NEXT) | instid1(VALU_DEP_2)
	v_cvt_u32_f32_e32 v4, v9
	v_xor_b32_e32 v5, v5, v12
	s_delay_alu instid0(VALU_DEP_2) | instskip(NEXT) | instid1(VALU_DEP_1)
	v_xor_b32_e32 v4, v4, v12
	v_sub_co_u32 v4, vcc_lo, v4, v12
	s_delay_alu instid0(VALU_DEP_3)
	v_sub_co_ci_u32_e32 v5, vcc_lo, v5, v12, vcc_lo
	s_branch .LBB376_1391
.LBB376_1389:
	s_mov_b32 s1, -1
                                        ; implicit-def: $vgpr4_vgpr5
	s_branch .LBB376_1392
.LBB376_1390:
	s_mov_b32 s14, -1
                                        ; implicit-def: $vgpr4_vgpr5
.LBB376_1391:
	s_mov_b32 s1, 0
.LBB376_1392:
	s_delay_alu instid0(SALU_CYCLE_1)
	s_and_b32 vcc_lo, exec_lo, s1
	s_cbranch_vccz .LBB376_1394
; %bb.1393:
	v_cmp_ne_u16_e64 s14, 11, v11
	s_mov_b32 s15, -1
                                        ; implicit-def: $vgpr4_vgpr5
.LBB376_1394:
	s_delay_alu instid0(VALU_DEP_1)
	s_and_b32 vcc_lo, exec_lo, s14
	s_cbranch_vccnz .LBB376_1410
; %bb.1395:
	s_and_not1_b32 vcc_lo, exec_lo, s15
	s_cbranch_vccnz .LBB376_1397
.LBB376_1396:
	global_load_u8 v4, v[6:7], off
	s_mov_b32 s0, 0
	s_waitcnt vmcnt(1)
	v_mov_b32_e32 v5, s0
	s_mov_b32 s0, -1
	s_waitcnt vmcnt(0)
	v_cmp_ne_u16_e32 vcc_lo, 0, v4
	v_cndmask_b32_e64 v4, 0, 1, vcc_lo
.LBB376_1397:
.LBB376_1398:
	s_and_not1_b32 vcc_lo, exec_lo, s0
	s_cbranch_vccnz .LBB376_1962
.LBB376_1399:
	v_add_nc_u32_e32 v6, s9, v8
	v_cmp_gt_i16_e32 vcc_lo, 11, v11
	s_delay_alu instid0(VALU_DEP_2) | instskip(SKIP_1) | instid1(VALU_DEP_1)
	v_ashrrev_i32_e32 v7, 31, v6
	v_add_co_u32 v8, s0, s6, v6
	v_add_co_ci_u32_e64 v9, s0, s7, v7, s0
	s_cbranch_vccnz .LBB376_1406
; %bb.1400:
	v_cmp_lt_i16_e32 vcc_lo, 25, v11
	s_mov_b32 s7, 0
	s_cbranch_vccz .LBB376_1407
; %bb.1401:
	v_cmp_lt_i16_e32 vcc_lo, 28, v11
	s_cbranch_vccz .LBB376_1408
; %bb.1402:
	v_cmp_lt_i16_e32 vcc_lo, 43, v11
	;; [unrolled: 3-line block ×3, first 2 shown]
	s_cbranch_vccz .LBB376_1412
; %bb.1404:
	v_cmp_eq_u16_e32 vcc_lo, 46, v11
	s_mov_b32 s1, 0
	s_cbranch_vccz .LBB376_1415
; %bb.1405:
	global_load_b32 v6, v[8:9], off
	s_mov_b32 s6, 0
	s_mov_b32 s0, -1
	s_waitcnt vmcnt(0)
	v_lshlrev_b32_e32 v6, 16, v6
	s_delay_alu instid0(VALU_DEP_1) | instskip(NEXT) | instid1(VALU_DEP_1)
	v_trunc_f32_e32 v6, v6
	v_mul_f32_e64 v7, 0x2f800000, |v6|
	v_ashrrev_i32_e32 v13, 31, v6
	s_delay_alu instid0(VALU_DEP_2) | instskip(NEXT) | instid1(VALU_DEP_1)
	v_floor_f32_e32 v7, v7
	v_fma_f32 v12, 0xcf800000, v7, |v6|
	v_cvt_u32_f32_e32 v7, v7
	s_delay_alu instid0(VALU_DEP_2) | instskip(NEXT) | instid1(VALU_DEP_2)
	v_cvt_u32_f32_e32 v6, v12
	v_xor_b32_e32 v7, v7, v13
	s_delay_alu instid0(VALU_DEP_2) | instskip(NEXT) | instid1(VALU_DEP_1)
	v_xor_b32_e32 v6, v6, v13
	v_sub_co_u32 v6, vcc_lo, v6, v13
	s_delay_alu instid0(VALU_DEP_3)
	v_sub_co_ci_u32_e32 v7, vcc_lo, v7, v13, vcc_lo
	s_branch .LBB376_1417
.LBB376_1406:
	s_mov_b32 s1, -1
	s_mov_b32 s0, 0
                                        ; implicit-def: $vgpr6_vgpr7
	s_branch .LBB376_1479
.LBB376_1407:
	s_mov_b32 s1, -1
	s_mov_b32 s0, 0
	s_mov_b32 s6, 0
                                        ; implicit-def: $vgpr6_vgpr7
	s_branch .LBB376_1446
.LBB376_1408:
	s_mov_b32 s1, -1
	s_mov_b32 s0, 0
	s_mov_b32 s6, 0
                                        ; implicit-def: $vgpr6_vgpr7
	s_branch .LBB376_1427
.LBB376_1409:
	s_mov_b32 s1, -1
	s_mov_b32 s0, 0
	s_mov_b32 s6, 0
                                        ; implicit-def: $vgpr6_vgpr7
	s_branch .LBB376_1422
.LBB376_1410:
	s_cbranch_execnz .LBB376_1413
; %bb.1411:
	s_or_b32 s3, s3, exec_lo
                                        ; implicit-def: $vgpr4_vgpr5
	s_cbranch_execz .LBB376_1396
	s_branch .LBB376_1397
.LBB376_1412:
	s_mov_b32 s1, -1
	s_mov_b32 s0, 0
	s_mov_b32 s6, 0
	s_branch .LBB376_1416
.LBB376_1413:
	s_trap 2
	s_sendmsg_rtn_b32 s0, sendmsg(MSG_RTN_GET_DOORBELL)
	s_mov_b32 ttmp2, m0
	s_waitcnt lgkmcnt(0)
	s_and_b32 s0, s0, 0x3ff
	s_delay_alu instid0(SALU_CYCLE_1) | instskip(NEXT) | instid1(SALU_CYCLE_1)
	s_bitset1_b32 s0, 10
	s_mov_b32 m0, s0
	s_sendmsg sendmsg(MSG_INTERRUPT)
	s_mov_b32 m0, ttmp2
.LBB376_1414:                           ; =>This Inner Loop Header: Depth=1
	s_sethalt 5
	s_branch .LBB376_1414
.LBB376_1415:
	s_mov_b32 s6, -1
	s_mov_b32 s0, 0
.LBB376_1416:
                                        ; implicit-def: $vgpr6_vgpr7
.LBB376_1417:
	s_and_b32 vcc_lo, exec_lo, s1
	s_cbranch_vccz .LBB376_1421
; %bb.1418:
	v_cmp_eq_u16_e32 vcc_lo, 44, v11
	s_cbranch_vccz .LBB376_1420
; %bb.1419:
	global_load_u8 v6, v[8:9], off
	s_mov_b32 s6, 0
	s_mov_b32 s0, -1
	s_waitcnt vmcnt(0)
	v_lshlrev_b32_e32 v7, 23, v6
	s_delay_alu instid0(VALU_DEP_1) | instskip(NEXT) | instid1(VALU_DEP_1)
	v_trunc_f32_e32 v7, v7
	v_mul_f32_e64 v12, 0x2f800000, |v7|
	s_delay_alu instid0(VALU_DEP_1) | instskip(NEXT) | instid1(VALU_DEP_1)
	v_floor_f32_e32 v12, v12
	v_fma_f32 v13, 0xcf800000, v12, |v7|
	v_ashrrev_i32_e32 v7, 31, v7
	v_cvt_u32_f32_e32 v12, v12
	s_delay_alu instid0(VALU_DEP_3) | instskip(NEXT) | instid1(VALU_DEP_2)
	v_cvt_u32_f32_e32 v13, v13
	v_xor_b32_e32 v12, v12, v7
	s_delay_alu instid0(VALU_DEP_2) | instskip(NEXT) | instid1(VALU_DEP_1)
	v_xor_b32_e32 v13, v13, v7
	v_sub_co_u32 v13, vcc_lo, v13, v7
	s_delay_alu instid0(VALU_DEP_3) | instskip(SKIP_1) | instid1(VALU_DEP_2)
	v_sub_co_ci_u32_e32 v7, vcc_lo, v12, v7, vcc_lo
	v_cmp_ne_u32_e32 vcc_lo, 0, v6
	v_dual_cndmask_b32 v6, 0, v13 :: v_dual_cndmask_b32 v7, 0, v7
	s_branch .LBB376_1421
.LBB376_1420:
	s_mov_b32 s6, -1
                                        ; implicit-def: $vgpr6_vgpr7
.LBB376_1421:
	s_mov_b32 s1, 0
.LBB376_1422:
	s_delay_alu instid0(SALU_CYCLE_1)
	s_and_b32 vcc_lo, exec_lo, s1
	s_cbranch_vccz .LBB376_1426
; %bb.1423:
	v_cmp_eq_u16_e32 vcc_lo, 29, v11
	s_cbranch_vccz .LBB376_1425
; %bb.1424:
	global_load_b64 v[6:7], v[8:9], off
	s_mov_b32 s6, 0
	s_mov_b32 s0, -1
	s_branch .LBB376_1426
.LBB376_1425:
	s_mov_b32 s6, -1
                                        ; implicit-def: $vgpr6_vgpr7
.LBB376_1426:
	s_mov_b32 s1, 0
.LBB376_1427:
	s_delay_alu instid0(SALU_CYCLE_1)
	s_and_b32 vcc_lo, exec_lo, s1
	s_cbranch_vccz .LBB376_1445
; %bb.1428:
	v_cmp_gt_i16_e32 vcc_lo, 27, v11
	s_cbranch_vccnz .LBB376_1431
; %bb.1429:
	v_cmp_lt_i16_e32 vcc_lo, 27, v11
	s_cbranch_vccz .LBB376_1432
; %bb.1430:
	global_load_b32 v6, v[8:9], off
	s_waitcnt vmcnt(1)
	v_mov_b32_e32 v7, 0
	s_mov_b32 s0, 0
	s_branch .LBB376_1433
.LBB376_1431:
	s_mov_b32 s0, -1
                                        ; implicit-def: $vgpr6_vgpr7
	s_branch .LBB376_1436
.LBB376_1432:
	s_mov_b32 s0, -1
                                        ; implicit-def: $vgpr6_vgpr7
.LBB376_1433:
	s_delay_alu instid0(SALU_CYCLE_1)
	s_and_not1_b32 vcc_lo, exec_lo, s0
	s_cbranch_vccnz .LBB376_1435
; %bb.1434:
	global_load_u16 v6, v[8:9], off
	s_mov_b32 s0, 0
	s_waitcnt vmcnt(0)
	v_dual_mov_b32 v7, s0 :: v_dual_and_b32 v6, 0xffff, v6
.LBB376_1435:
	s_mov_b32 s0, 0
.LBB376_1436:
	s_delay_alu instid0(SALU_CYCLE_1)
	s_and_not1_b32 vcc_lo, exec_lo, s0
	s_cbranch_vccnz .LBB376_1444
; %bb.1437:
	global_load_u8 v12, v[8:9], off
	s_mov_b32 s9, 0
	s_mov_b32 s14, exec_lo
                                        ; implicit-def: $sgpr0_sgpr1
	s_waitcnt vmcnt(0)
	v_cmpx_lt_i16_e32 0x7f, v12
	s_xor_b32 s14, exec_lo, s14
; %bb.1438:
	v_cmp_ne_u16_e32 vcc_lo, 0x80, v12
	s_mov_b64 s[0:1], 0
	s_and_b32 s9, vcc_lo, exec_lo
; %bb.1439:
	s_or_saveexec_b32 s14, s14
	v_dual_mov_b32 v7, s1 :: v_dual_mov_b32 v6, s0
	s_xor_b32 exec_lo, exec_lo, s14
; %bb.1440:
	v_cmp_ne_u16_e32 vcc_lo, 0, v12
	v_mov_b32_e32 v6, 0
	v_mov_b32_e32 v7, 0
	s_and_not1_b32 s0, s9, exec_lo
	s_and_b32 s1, vcc_lo, exec_lo
	s_delay_alu instid0(SALU_CYCLE_1)
	s_or_b32 s9, s0, s1
; %bb.1441:
	s_or_b32 exec_lo, exec_lo, s14
	s_and_saveexec_b32 s0, s9
	s_cbranch_execz .LBB376_1443
; %bb.1442:
	v_and_b32_e32 v6, 0xffff, v12
	v_lshlrev_b32_e32 v12, 24, v12
	s_delay_alu instid0(VALU_DEP_2) | instskip(NEXT) | instid1(VALU_DEP_2)
	v_and_b32_e32 v7, 7, v6
	v_and_b32_e32 v12, 0x80000000, v12
	s_delay_alu instid0(VALU_DEP_2) | instskip(NEXT) | instid1(VALU_DEP_1)
	v_clz_i32_u32_e32 v13, v7
	v_min_u32_e32 v13, 32, v13
	s_delay_alu instid0(VALU_DEP_1) | instskip(SKIP_1) | instid1(VALU_DEP_2)
	v_subrev_nc_u32_e32 v14, 28, v13
	v_sub_nc_u32_e32 v13, 29, v13
	v_lshlrev_b32_e32 v14, v14, v6
	v_bfe_u32 v6, v6, 3, 4
	s_delay_alu instid0(VALU_DEP_2) | instskip(NEXT) | instid1(VALU_DEP_2)
	v_and_b32_e32 v14, 7, v14
	v_cmp_eq_u32_e32 vcc_lo, 0, v6
	s_delay_alu instid0(VALU_DEP_2) | instskip(NEXT) | instid1(VALU_DEP_1)
	v_dual_cndmask_b32 v6, v6, v13 :: v_dual_cndmask_b32 v7, v7, v14
	v_lshl_add_u32 v6, v6, 23, 0x3b800000
	s_delay_alu instid0(VALU_DEP_2) | instskip(NEXT) | instid1(VALU_DEP_1)
	v_lshlrev_b32_e32 v7, 20, v7
	v_or3_b32 v6, v12, v6, v7
	s_delay_alu instid0(VALU_DEP_1) | instskip(NEXT) | instid1(VALU_DEP_1)
	v_trunc_f32_e32 v6, v6
	v_mul_f32_e64 v7, 0x2f800000, |v6|
	v_ashrrev_i32_e32 v13, 31, v6
	s_delay_alu instid0(VALU_DEP_2) | instskip(NEXT) | instid1(VALU_DEP_1)
	v_floor_f32_e32 v7, v7
	v_fma_f32 v12, 0xcf800000, v7, |v6|
	v_cvt_u32_f32_e32 v7, v7
	s_delay_alu instid0(VALU_DEP_2) | instskip(NEXT) | instid1(VALU_DEP_2)
	v_cvt_u32_f32_e32 v6, v12
	v_xor_b32_e32 v7, v7, v13
	s_delay_alu instid0(VALU_DEP_2) | instskip(NEXT) | instid1(VALU_DEP_1)
	v_xor_b32_e32 v6, v6, v13
	v_sub_co_u32 v6, vcc_lo, v6, v13
	s_delay_alu instid0(VALU_DEP_3)
	v_sub_co_ci_u32_e32 v7, vcc_lo, v7, v13, vcc_lo
.LBB376_1443:
	s_or_b32 exec_lo, exec_lo, s0
.LBB376_1444:
	s_mov_b32 s0, -1
.LBB376_1445:
	s_mov_b32 s1, 0
.LBB376_1446:
	s_delay_alu instid0(SALU_CYCLE_1)
	s_and_b32 vcc_lo, exec_lo, s1
	s_cbranch_vccz .LBB376_1475
; %bb.1447:
	v_cmp_lt_i16_e32 vcc_lo, 22, v11
	s_cbranch_vccz .LBB376_1457
; %bb.1448:
	v_cmp_gt_i16_e32 vcc_lo, 24, v11
	s_cbranch_vccnz .LBB376_1458
; %bb.1449:
	v_cmp_lt_i16_e32 vcc_lo, 24, v11
	s_cbranch_vccz .LBB376_1459
; %bb.1450:
	global_load_u8 v12, v[8:9], off
	s_mov_b32 s9, exec_lo
                                        ; implicit-def: $sgpr0_sgpr1
	s_waitcnt vmcnt(0)
	v_cmpx_lt_i16_e32 0x7f, v12
	s_xor_b32 s9, exec_lo, s9
; %bb.1451:
	v_cmp_ne_u16_e32 vcc_lo, 0x80, v12
	s_mov_b64 s[0:1], 0
	s_and_b32 s7, vcc_lo, exec_lo
; %bb.1452:
	s_or_saveexec_b32 s9, s9
	v_dual_mov_b32 v7, s1 :: v_dual_mov_b32 v6, s0
	s_xor_b32 exec_lo, exec_lo, s9
; %bb.1453:
	v_cmp_ne_u16_e32 vcc_lo, 0, v12
	v_mov_b32_e32 v6, 0
	v_mov_b32_e32 v7, 0
	s_and_not1_b32 s0, s7, exec_lo
	s_and_b32 s1, vcc_lo, exec_lo
	s_delay_alu instid0(SALU_CYCLE_1)
	s_or_b32 s7, s0, s1
; %bb.1454:
	s_or_b32 exec_lo, exec_lo, s9
	s_and_saveexec_b32 s0, s7
	s_cbranch_execz .LBB376_1456
; %bb.1455:
	v_and_b32_e32 v6, 0xffff, v12
	v_lshlrev_b32_e32 v12, 24, v12
	s_delay_alu instid0(VALU_DEP_2) | instskip(NEXT) | instid1(VALU_DEP_2)
	v_and_b32_e32 v7, 3, v6
	v_and_b32_e32 v12, 0x80000000, v12
	s_delay_alu instid0(VALU_DEP_2) | instskip(NEXT) | instid1(VALU_DEP_1)
	v_clz_i32_u32_e32 v13, v7
	v_min_u32_e32 v13, 32, v13
	s_delay_alu instid0(VALU_DEP_1) | instskip(SKIP_1) | instid1(VALU_DEP_2)
	v_subrev_nc_u32_e32 v14, 29, v13
	v_sub_nc_u32_e32 v13, 30, v13
	v_lshlrev_b32_e32 v14, v14, v6
	v_bfe_u32 v6, v6, 2, 5
	s_delay_alu instid0(VALU_DEP_2) | instskip(NEXT) | instid1(VALU_DEP_2)
	v_and_b32_e32 v14, 3, v14
	v_cmp_eq_u32_e32 vcc_lo, 0, v6
	s_delay_alu instid0(VALU_DEP_2) | instskip(NEXT) | instid1(VALU_DEP_1)
	v_dual_cndmask_b32 v6, v6, v13 :: v_dual_cndmask_b32 v7, v7, v14
	v_lshl_add_u32 v6, v6, 23, 0x37800000
	s_delay_alu instid0(VALU_DEP_2) | instskip(NEXT) | instid1(VALU_DEP_1)
	v_lshlrev_b32_e32 v7, 21, v7
	v_or3_b32 v6, v12, v6, v7
	s_delay_alu instid0(VALU_DEP_1) | instskip(NEXT) | instid1(VALU_DEP_1)
	v_trunc_f32_e32 v6, v6
	v_mul_f32_e64 v7, 0x2f800000, |v6|
	v_ashrrev_i32_e32 v13, 31, v6
	s_delay_alu instid0(VALU_DEP_2) | instskip(NEXT) | instid1(VALU_DEP_1)
	v_floor_f32_e32 v7, v7
	v_fma_f32 v12, 0xcf800000, v7, |v6|
	v_cvt_u32_f32_e32 v7, v7
	s_delay_alu instid0(VALU_DEP_2) | instskip(NEXT) | instid1(VALU_DEP_2)
	v_cvt_u32_f32_e32 v6, v12
	v_xor_b32_e32 v7, v7, v13
	s_delay_alu instid0(VALU_DEP_2) | instskip(NEXT) | instid1(VALU_DEP_1)
	v_xor_b32_e32 v6, v6, v13
	v_sub_co_u32 v6, vcc_lo, v6, v13
	s_delay_alu instid0(VALU_DEP_3)
	v_sub_co_ci_u32_e32 v7, vcc_lo, v7, v13, vcc_lo
.LBB376_1456:
	s_or_b32 exec_lo, exec_lo, s0
	s_mov_b32 s0, 0
	s_branch .LBB376_1460
.LBB376_1457:
	s_mov_b32 s1, -1
                                        ; implicit-def: $vgpr6_vgpr7
	s_branch .LBB376_1466
.LBB376_1458:
	s_mov_b32 s0, -1
                                        ; implicit-def: $vgpr6_vgpr7
	s_branch .LBB376_1463
.LBB376_1459:
	s_mov_b32 s0, -1
                                        ; implicit-def: $vgpr6_vgpr7
.LBB376_1460:
	s_delay_alu instid0(SALU_CYCLE_1)
	s_and_b32 vcc_lo, exec_lo, s0
	s_cbranch_vccz .LBB376_1462
; %bb.1461:
	global_load_u8 v6, v[8:9], off
	s_waitcnt vmcnt(0)
	v_lshlrev_b32_e32 v6, 24, v6
	s_delay_alu instid0(VALU_DEP_1) | instskip(NEXT) | instid1(VALU_DEP_1)
	v_and_b32_e32 v7, 0x7f000000, v6
	v_clz_i32_u32_e32 v12, v7
	v_add_nc_u32_e32 v14, 0x1000000, v7
	v_cmp_ne_u32_e32 vcc_lo, 0, v7
	s_delay_alu instid0(VALU_DEP_3) | instskip(NEXT) | instid1(VALU_DEP_1)
	v_min_u32_e32 v12, 32, v12
	v_sub_nc_u32_e64 v12, v12, 4 clamp
	s_delay_alu instid0(VALU_DEP_1) | instskip(SKIP_1) | instid1(VALU_DEP_2)
	v_lshlrev_b32_e32 v13, v12, v7
	v_lshlrev_b32_e32 v12, 23, v12
	v_lshrrev_b32_e32 v13, 4, v13
	s_delay_alu instid0(VALU_DEP_1) | instskip(SKIP_1) | instid1(VALU_DEP_2)
	v_sub_nc_u32_e32 v12, v13, v12
	v_ashrrev_i32_e32 v13, 8, v14
	v_add_nc_u32_e32 v12, 0x3c000000, v12
	s_delay_alu instid0(VALU_DEP_1) | instskip(NEXT) | instid1(VALU_DEP_1)
	v_and_or_b32 v12, 0x7f800000, v13, v12
	v_cndmask_b32_e32 v7, 0, v12, vcc_lo
	s_delay_alu instid0(VALU_DEP_1) | instskip(NEXT) | instid1(VALU_DEP_1)
	v_and_or_b32 v6, 0x80000000, v6, v7
	v_trunc_f32_e32 v6, v6
	s_delay_alu instid0(VALU_DEP_1) | instskip(SKIP_1) | instid1(VALU_DEP_2)
	v_mul_f32_e64 v7, 0x2f800000, |v6|
	v_ashrrev_i32_e32 v13, 31, v6
	v_floor_f32_e32 v7, v7
	s_delay_alu instid0(VALU_DEP_1) | instskip(SKIP_1) | instid1(VALU_DEP_2)
	v_fma_f32 v12, 0xcf800000, v7, |v6|
	v_cvt_u32_f32_e32 v7, v7
	v_cvt_u32_f32_e32 v6, v12
	s_delay_alu instid0(VALU_DEP_2) | instskip(NEXT) | instid1(VALU_DEP_2)
	v_xor_b32_e32 v7, v7, v13
	v_xor_b32_e32 v6, v6, v13
	s_delay_alu instid0(VALU_DEP_1) | instskip(NEXT) | instid1(VALU_DEP_3)
	v_sub_co_u32 v6, vcc_lo, v6, v13
	v_sub_co_ci_u32_e32 v7, vcc_lo, v7, v13, vcc_lo
.LBB376_1462:
	s_mov_b32 s0, 0
.LBB376_1463:
	s_delay_alu instid0(SALU_CYCLE_1)
	s_and_not1_b32 vcc_lo, exec_lo, s0
	s_cbranch_vccnz .LBB376_1465
; %bb.1464:
	global_load_u8 v6, v[8:9], off
	s_waitcnt vmcnt(0)
	v_lshlrev_b32_e32 v7, 25, v6
	v_lshlrev_b16 v6, 8, v6
	s_delay_alu instid0(VALU_DEP_2) | instskip(NEXT) | instid1(VALU_DEP_2)
	v_lshrrev_b32_e32 v12, 4, v7
	v_and_or_b32 v13, 0x7f00, v6, 0.5
	v_bfe_i32 v6, v6, 0, 16
	s_delay_alu instid0(VALU_DEP_3) | instskip(NEXT) | instid1(VALU_DEP_1)
	v_or_b32_e32 v12, 0x70000000, v12
	v_dual_add_f32 v13, -0.5, v13 :: v_dual_mul_f32 v12, 0x7800000, v12
	v_cmp_gt_u32_e32 vcc_lo, 0x8000000, v7
	s_delay_alu instid0(VALU_DEP_2) | instskip(NEXT) | instid1(VALU_DEP_1)
	v_cndmask_b32_e32 v7, v12, v13, vcc_lo
	v_and_or_b32 v6, 0x80000000, v6, v7
	s_delay_alu instid0(VALU_DEP_1) | instskip(NEXT) | instid1(VALU_DEP_1)
	v_trunc_f32_e32 v6, v6
	v_mul_f32_e64 v7, 0x2f800000, |v6|
	v_ashrrev_i32_e32 v13, 31, v6
	s_delay_alu instid0(VALU_DEP_2) | instskip(NEXT) | instid1(VALU_DEP_1)
	v_floor_f32_e32 v7, v7
	v_fma_f32 v12, 0xcf800000, v7, |v6|
	v_cvt_u32_f32_e32 v7, v7
	s_delay_alu instid0(VALU_DEP_2) | instskip(NEXT) | instid1(VALU_DEP_2)
	v_cvt_u32_f32_e32 v6, v12
	v_xor_b32_e32 v7, v7, v13
	s_delay_alu instid0(VALU_DEP_2) | instskip(NEXT) | instid1(VALU_DEP_1)
	v_xor_b32_e32 v6, v6, v13
	v_sub_co_u32 v6, vcc_lo, v6, v13
	s_delay_alu instid0(VALU_DEP_3)
	v_sub_co_ci_u32_e32 v7, vcc_lo, v7, v13, vcc_lo
.LBB376_1465:
	s_mov_b32 s1, 0
	s_mov_b32 s0, -1
.LBB376_1466:
	s_and_not1_b32 vcc_lo, exec_lo, s1
	s_mov_b32 s7, 0
	s_cbranch_vccnz .LBB376_1475
; %bb.1467:
	v_cmp_lt_i16_e32 vcc_lo, 14, v11
	s_cbranch_vccz .LBB376_1470
; %bb.1468:
	v_cmp_eq_u16_e32 vcc_lo, 15, v11
	s_cbranch_vccz .LBB376_1471
; %bb.1469:
	global_load_u16 v6, v[8:9], off
	s_mov_b32 s6, 0
	s_mov_b32 s0, -1
	s_waitcnt vmcnt(0)
	v_lshlrev_b32_e32 v6, 16, v6
	s_delay_alu instid0(VALU_DEP_1) | instskip(NEXT) | instid1(VALU_DEP_1)
	v_trunc_f32_e32 v6, v6
	v_mul_f32_e64 v7, 0x2f800000, |v6|
	v_ashrrev_i32_e32 v13, 31, v6
	s_delay_alu instid0(VALU_DEP_2) | instskip(NEXT) | instid1(VALU_DEP_1)
	v_floor_f32_e32 v7, v7
	v_fma_f32 v12, 0xcf800000, v7, |v6|
	v_cvt_u32_f32_e32 v7, v7
	s_delay_alu instid0(VALU_DEP_2) | instskip(NEXT) | instid1(VALU_DEP_2)
	v_cvt_u32_f32_e32 v6, v12
	v_xor_b32_e32 v7, v7, v13
	s_delay_alu instid0(VALU_DEP_2) | instskip(NEXT) | instid1(VALU_DEP_1)
	v_xor_b32_e32 v6, v6, v13
	v_sub_co_u32 v6, vcc_lo, v6, v13
	s_delay_alu instid0(VALU_DEP_3)
	v_sub_co_ci_u32_e32 v7, vcc_lo, v7, v13, vcc_lo
	s_branch .LBB376_1472
.LBB376_1470:
	s_mov_b32 s1, -1
                                        ; implicit-def: $vgpr6_vgpr7
	s_branch .LBB376_1473
.LBB376_1471:
	s_mov_b32 s6, -1
                                        ; implicit-def: $vgpr6_vgpr7
.LBB376_1472:
	s_mov_b32 s1, 0
.LBB376_1473:
	s_delay_alu instid0(SALU_CYCLE_1)
	s_and_b32 vcc_lo, exec_lo, s1
	s_cbranch_vccz .LBB376_1475
; %bb.1474:
	v_cmp_ne_u16_e64 s6, 11, v11
	s_mov_b32 s7, -1
                                        ; implicit-def: $vgpr6_vgpr7
.LBB376_1475:
	s_delay_alu instid0(VALU_DEP_1)
	s_and_b32 vcc_lo, exec_lo, s6
	s_cbranch_vccnz .LBB376_2008
; %bb.1476:
	s_and_not1_b32 vcc_lo, exec_lo, s7
	s_cbranch_vccnz .LBB376_1478
.LBB376_1477:
	global_load_u8 v6, v[8:9], off
	s_mov_b32 s0, 0
	s_waitcnt vmcnt(1)
	v_mov_b32_e32 v7, s0
	s_mov_b32 s0, -1
	s_waitcnt vmcnt(0)
	v_cmp_ne_u16_e32 vcc_lo, 0, v6
	v_cndmask_b32_e64 v6, 0, 1, vcc_lo
.LBB376_1478:
	s_mov_b32 s1, 0
.LBB376_1479:
	s_delay_alu instid0(SALU_CYCLE_1)
	s_and_b32 vcc_lo, exec_lo, s1
	s_cbranch_vccz .LBB376_1528
; %bb.1480:
	v_cmp_gt_i16_e32 vcc_lo, 5, v11
	s_cbranch_vccnz .LBB376_1485
; %bb.1481:
	v_cmp_gt_i16_e32 vcc_lo, 8, v11
	s_cbranch_vccnz .LBB376_1486
	;; [unrolled: 3-line block ×3, first 2 shown]
; %bb.1483:
	v_cmp_lt_i16_e32 vcc_lo, 9, v11
	s_cbranch_vccz .LBB376_1488
; %bb.1484:
	global_load_b64 v[6:7], v[8:9], off
	s_mov_b32 s0, 0
	s_waitcnt vmcnt(0)
	v_trunc_f64_e32 v[6:7], v[6:7]
	s_delay_alu instid0(VALU_DEP_1) | instskip(NEXT) | instid1(VALU_DEP_1)
	v_ldexp_f64 v[12:13], v[6:7], 0xffffffe0
	v_floor_f64_e32 v[12:13], v[12:13]
	s_delay_alu instid0(VALU_DEP_1) | instskip(SKIP_1) | instid1(VALU_DEP_2)
	v_fma_f64 v[14:15], 0xc1f00000, v[12:13], v[6:7]
	v_cvt_i32_f64_e32 v7, v[12:13]
	v_cvt_u32_f64_e32 v6, v[14:15]
	s_branch .LBB376_1489
.LBB376_1485:
	s_mov_b32 s0, -1
                                        ; implicit-def: $vgpr6_vgpr7
	s_branch .LBB376_1507
.LBB376_1486:
	s_mov_b32 s0, -1
                                        ; implicit-def: $vgpr6_vgpr7
	s_branch .LBB376_1495
.LBB376_1487:
	s_mov_b32 s0, -1
                                        ; implicit-def: $vgpr6_vgpr7
	s_branch .LBB376_1492
.LBB376_1488:
	s_mov_b32 s0, -1
                                        ; implicit-def: $vgpr6_vgpr7
.LBB376_1489:
	s_delay_alu instid0(SALU_CYCLE_1)
	s_and_not1_b32 vcc_lo, exec_lo, s0
	s_cbranch_vccnz .LBB376_1491
; %bb.1490:
	global_load_b32 v6, v[8:9], off
	s_waitcnt vmcnt(0)
	v_trunc_f32_e32 v6, v6
	s_delay_alu instid0(VALU_DEP_1) | instskip(SKIP_1) | instid1(VALU_DEP_2)
	v_mul_f32_e64 v7, 0x2f800000, |v6|
	v_ashrrev_i32_e32 v13, 31, v6
	v_floor_f32_e32 v7, v7
	s_delay_alu instid0(VALU_DEP_1) | instskip(SKIP_1) | instid1(VALU_DEP_2)
	v_fma_f32 v12, 0xcf800000, v7, |v6|
	v_cvt_u32_f32_e32 v7, v7
	v_cvt_u32_f32_e32 v6, v12
	s_delay_alu instid0(VALU_DEP_2) | instskip(NEXT) | instid1(VALU_DEP_2)
	v_xor_b32_e32 v7, v7, v13
	v_xor_b32_e32 v6, v6, v13
	s_delay_alu instid0(VALU_DEP_1) | instskip(NEXT) | instid1(VALU_DEP_3)
	v_sub_co_u32 v6, vcc_lo, v6, v13
	v_sub_co_ci_u32_e32 v7, vcc_lo, v7, v13, vcc_lo
.LBB376_1491:
	s_mov_b32 s0, 0
.LBB376_1492:
	s_delay_alu instid0(SALU_CYCLE_1)
	s_and_not1_b32 vcc_lo, exec_lo, s0
	s_cbranch_vccnz .LBB376_1494
; %bb.1493:
	global_load_b32 v6, v[8:9], off
	s_waitcnt vmcnt(0)
	v_cvt_f32_f16_e32 v6, v6
	s_delay_alu instid0(VALU_DEP_1) | instskip(NEXT) | instid1(VALU_DEP_1)
	v_cvt_i32_f32_e32 v6, v6
	v_ashrrev_i32_e32 v7, 31, v6
.LBB376_1494:
	s_mov_b32 s0, 0
.LBB376_1495:
	s_delay_alu instid0(SALU_CYCLE_1)
	s_and_not1_b32 vcc_lo, exec_lo, s0
	s_cbranch_vccnz .LBB376_1506
; %bb.1496:
	v_cmp_gt_i16_e32 vcc_lo, 6, v11
	s_cbranch_vccnz .LBB376_1499
; %bb.1497:
	v_cmp_lt_i16_e32 vcc_lo, 6, v11
	s_cbranch_vccz .LBB376_1500
; %bb.1498:
	global_load_b64 v[6:7], v[8:9], off
	s_mov_b32 s0, 0
	s_waitcnt vmcnt(0)
	v_trunc_f64_e32 v[6:7], v[6:7]
	s_delay_alu instid0(VALU_DEP_1) | instskip(NEXT) | instid1(VALU_DEP_1)
	v_ldexp_f64 v[12:13], v[6:7], 0xffffffe0
	v_floor_f64_e32 v[12:13], v[12:13]
	s_delay_alu instid0(VALU_DEP_1) | instskip(SKIP_1) | instid1(VALU_DEP_2)
	v_fma_f64 v[14:15], 0xc1f00000, v[12:13], v[6:7]
	v_cvt_i32_f64_e32 v7, v[12:13]
	v_cvt_u32_f64_e32 v6, v[14:15]
	s_branch .LBB376_1501
.LBB376_1499:
	s_mov_b32 s0, -1
                                        ; implicit-def: $vgpr6_vgpr7
	s_branch .LBB376_1504
.LBB376_1500:
	s_mov_b32 s0, -1
                                        ; implicit-def: $vgpr6_vgpr7
.LBB376_1501:
	s_delay_alu instid0(SALU_CYCLE_1)
	s_and_not1_b32 vcc_lo, exec_lo, s0
	s_cbranch_vccnz .LBB376_1503
; %bb.1502:
	global_load_b32 v6, v[8:9], off
	s_waitcnt vmcnt(0)
	v_trunc_f32_e32 v6, v6
	s_delay_alu instid0(VALU_DEP_1) | instskip(SKIP_1) | instid1(VALU_DEP_2)
	v_mul_f32_e64 v7, 0x2f800000, |v6|
	v_ashrrev_i32_e32 v13, 31, v6
	v_floor_f32_e32 v7, v7
	s_delay_alu instid0(VALU_DEP_1) | instskip(SKIP_1) | instid1(VALU_DEP_2)
	v_fma_f32 v12, 0xcf800000, v7, |v6|
	v_cvt_u32_f32_e32 v7, v7
	v_cvt_u32_f32_e32 v6, v12
	s_delay_alu instid0(VALU_DEP_2) | instskip(NEXT) | instid1(VALU_DEP_2)
	v_xor_b32_e32 v7, v7, v13
	v_xor_b32_e32 v6, v6, v13
	s_delay_alu instid0(VALU_DEP_1) | instskip(NEXT) | instid1(VALU_DEP_3)
	v_sub_co_u32 v6, vcc_lo, v6, v13
	v_sub_co_ci_u32_e32 v7, vcc_lo, v7, v13, vcc_lo
.LBB376_1503:
	s_mov_b32 s0, 0
.LBB376_1504:
	s_delay_alu instid0(SALU_CYCLE_1)
	s_and_not1_b32 vcc_lo, exec_lo, s0
	s_cbranch_vccnz .LBB376_1506
; %bb.1505:
	global_load_u16 v6, v[8:9], off
	s_waitcnt vmcnt(0)
	v_cvt_f32_f16_e32 v6, v6
	s_delay_alu instid0(VALU_DEP_1) | instskip(NEXT) | instid1(VALU_DEP_1)
	v_cvt_i32_f32_e32 v6, v6
	v_ashrrev_i32_e32 v7, 31, v6
.LBB376_1506:
	s_mov_b32 s0, 0
.LBB376_1507:
	s_delay_alu instid0(SALU_CYCLE_1)
	s_and_not1_b32 vcc_lo, exec_lo, s0
	s_cbranch_vccnz .LBB376_1527
; %bb.1508:
	v_cmp_gt_i16_e32 vcc_lo, 2, v11
	s_cbranch_vccnz .LBB376_1512
; %bb.1509:
	v_cmp_gt_i16_e32 vcc_lo, 3, v11
	s_cbranch_vccnz .LBB376_1513
; %bb.1510:
	v_cmp_lt_i16_e32 vcc_lo, 3, v11
	s_cbranch_vccz .LBB376_1514
; %bb.1511:
	global_load_b64 v[6:7], v[8:9], off
	s_mov_b32 s0, 0
	s_branch .LBB376_1515
.LBB376_1512:
	s_mov_b32 s0, -1
                                        ; implicit-def: $vgpr6_vgpr7
	s_branch .LBB376_1521
.LBB376_1513:
	s_mov_b32 s0, -1
                                        ; implicit-def: $vgpr6_vgpr7
	s_branch .LBB376_1518
.LBB376_1514:
	s_mov_b32 s0, -1
                                        ; implicit-def: $vgpr6_vgpr7
.LBB376_1515:
	s_delay_alu instid0(SALU_CYCLE_1)
	s_and_not1_b32 vcc_lo, exec_lo, s0
	s_cbranch_vccnz .LBB376_1517
; %bb.1516:
	global_load_b32 v6, v[8:9], off
	s_waitcnt vmcnt(0)
	v_ashrrev_i32_e32 v7, 31, v6
.LBB376_1517:
	s_mov_b32 s0, 0
.LBB376_1518:
	s_delay_alu instid0(SALU_CYCLE_1)
	s_and_not1_b32 vcc_lo, exec_lo, s0
	s_cbranch_vccnz .LBB376_1520
; %bb.1519:
	global_load_u16 v6, v[8:9], off
	s_waitcnt vmcnt(0)
	v_bfe_i32 v6, v6, 0, 16
	s_delay_alu instid0(VALU_DEP_1)
	v_ashrrev_i32_e32 v7, 31, v6
.LBB376_1520:
	s_mov_b32 s0, 0
.LBB376_1521:
	s_delay_alu instid0(SALU_CYCLE_1)
	s_and_not1_b32 vcc_lo, exec_lo, s0
	s_cbranch_vccnz .LBB376_1527
; %bb.1522:
	v_cmp_lt_i16_e32 vcc_lo, 0, v11
	s_mov_b32 s0, 0
	s_cbranch_vccz .LBB376_1524
; %bb.1523:
	global_load_i8 v6, v[8:9], off
	s_waitcnt vmcnt(0)
	v_bfe_i32 v6, v6, 0, 16
	s_delay_alu instid0(VALU_DEP_1)
	v_ashrrev_i32_e32 v7, 31, v6
	s_branch .LBB376_1525
.LBB376_1524:
	s_mov_b32 s0, -1
                                        ; implicit-def: $vgpr6_vgpr7
.LBB376_1525:
	s_delay_alu instid0(SALU_CYCLE_1)
	s_and_not1_b32 vcc_lo, exec_lo, s0
	s_cbranch_vccnz .LBB376_1527
; %bb.1526:
	global_load_u8 v6, v[8:9], off
	s_mov_b32 s0, 0
	s_waitcnt vmcnt(0)
	v_dual_mov_b32 v7, s0 :: v_dual_and_b32 v6, 0xffff, v6
.LBB376_1527:
	s_mov_b32 s0, -1
.LBB376_1528:
	s_delay_alu instid0(SALU_CYCLE_1)
	s_and_not1_b32 vcc_lo, exec_lo, s0
	s_cbranch_vccnz .LBB376_1962
; %bb.1529:
	v_mul_lo_u32 v10, s8, v10
	s_waitcnt vmcnt(0)
	v_cmp_lt_i64_e32 vcc_lo, s[10:11], v[0:1]
	v_and_b32_e64 v12, 0xff, s2
	s_delay_alu instid0(VALU_DEP_1) | instskip(NEXT) | instid1(VALU_DEP_4)
	v_cmp_gt_i16_e64 s0, 11, v12
	v_ashrrev_i32_e32 v9, 31, v10
	v_cndmask_b32_e32 v1, s11, v1, vcc_lo
	v_cndmask_b32_e32 v0, s10, v0, vcc_lo
	v_add_co_u32 v8, vcc_lo, s4, v10
	s_delay_alu instid0(VALU_DEP_4)
	v_add_co_ci_u32_e32 v9, vcc_lo, s5, v9, vcc_lo
	s_and_b32 vcc_lo, exec_lo, s0
	s_cbranch_vccnz .LBB376_1607
; %bb.1530:
	v_cmp_lt_i16_e32 vcc_lo, 25, v12
	s_mov_b32 s6, -1
	s_mov_b32 s1, 0
	s_mov_b32 s2, 0
	;; [unrolled: 1-line block ×3, first 2 shown]
	s_cbranch_vccz .LBB376_1563
; %bb.1531:
	v_cmp_lt_i16_e32 vcc_lo, 28, v12
	s_cbranch_vccz .LBB376_1546
; %bb.1532:
	v_cmp_lt_i16_e32 vcc_lo, 43, v12
	;; [unrolled: 3-line block ×3, first 2 shown]
	s_cbranch_vccz .LBB376_1536
; %bb.1534:
	v_cmp_eq_u16_e32 vcc_lo, 46, v12
	s_mov_b32 s0, -1
	s_mov_b32 s6, 0
	s_cbranch_vccz .LBB376_1536
; %bb.1535:
	v_xor_b32_e32 v11, v0, v1
	v_cls_i32_e32 v13, v1
	s_mov_b32 s2, -1
	s_mov_b32 s0, 0
	s_delay_alu instid0(VALU_DEP_2) | instskip(NEXT) | instid1(VALU_DEP_2)
	v_ashrrev_i32_e32 v11, 31, v11
	v_add_nc_u32_e32 v13, -1, v13
	s_delay_alu instid0(VALU_DEP_2) | instskip(NEXT) | instid1(VALU_DEP_1)
	v_add_nc_u32_e32 v11, 32, v11
	v_min_u32_e32 v11, v13, v11
	s_delay_alu instid0(VALU_DEP_1) | instskip(SKIP_1) | instid1(VALU_DEP_2)
	v_lshlrev_b64 v[13:14], v11, v[0:1]
	v_sub_nc_u32_e32 v11, 32, v11
	v_min_u32_e32 v13, 1, v13
	s_delay_alu instid0(VALU_DEP_1) | instskip(NEXT) | instid1(VALU_DEP_1)
	v_or_b32_e32 v13, v14, v13
	v_cvt_f32_i32_e32 v13, v13
	s_delay_alu instid0(VALU_DEP_1) | instskip(NEXT) | instid1(VALU_DEP_1)
	v_ldexp_f32 v11, v13, v11
	v_bfe_u32 v13, v11, 16, 1
	s_delay_alu instid0(VALU_DEP_1) | instskip(NEXT) | instid1(VALU_DEP_1)
	v_add3_u32 v11, v11, v13, 0x7fff
	v_lshrrev_b32_e32 v11, 16, v11
	global_store_b32 v[8:9], v11, off
.LBB376_1536:
	s_and_b32 vcc_lo, exec_lo, s6
	s_cbranch_vccz .LBB376_1541
; %bb.1537:
	v_cmp_eq_u16_e32 vcc_lo, 44, v12
	s_mov_b32 s0, -1
	s_cbranch_vccz .LBB376_1541
; %bb.1538:
	v_xor_b32_e32 v11, v0, v1
	v_cls_i32_e32 v13, v1
	s_mov_b32 s2, -1
	s_mov_b32 s6, exec_lo
	s_delay_alu instid0(VALU_DEP_2) | instskip(NEXT) | instid1(VALU_DEP_2)
	v_ashrrev_i32_e32 v11, 31, v11
	v_add_nc_u32_e32 v13, -1, v13
	s_delay_alu instid0(VALU_DEP_2) | instskip(NEXT) | instid1(VALU_DEP_1)
	v_add_nc_u32_e32 v11, 32, v11
	v_min_u32_e32 v11, v13, v11
	s_delay_alu instid0(VALU_DEP_1) | instskip(SKIP_1) | instid1(VALU_DEP_2)
	v_lshlrev_b64 v[13:14], v11, v[0:1]
	v_sub_nc_u32_e32 v11, 32, v11
	v_min_u32_e32 v13, 1, v13
	s_delay_alu instid0(VALU_DEP_1) | instskip(NEXT) | instid1(VALU_DEP_1)
	v_or_b32_e32 v13, v14, v13
	v_cvt_f32_i32_e32 v13, v13
	s_delay_alu instid0(VALU_DEP_1) | instskip(SKIP_1) | instid1(VALU_DEP_2)
	v_ldexp_f32 v11, v13, v11
	v_mov_b32_e32 v13, 0xff
	v_bfe_u32 v14, v11, 23, 8
	s_delay_alu instid0(VALU_DEP_1)
	v_cmpx_ne_u32_e32 0xff, v14
; %bb.1539:
	v_and_b32_e32 v13, 0x400000, v11
	v_and_or_b32 v14, 0x3fffff, v11, v14
	v_lshrrev_b32_e32 v11, 23, v11
	s_delay_alu instid0(VALU_DEP_3) | instskip(NEXT) | instid1(VALU_DEP_3)
	v_cmp_ne_u32_e32 vcc_lo, 0, v13
	v_cmp_ne_u32_e64 s0, 0, v14
	s_delay_alu instid0(VALU_DEP_1) | instskip(NEXT) | instid1(SALU_CYCLE_1)
	s_and_b32 s0, vcc_lo, s0
	v_cndmask_b32_e64 v13, 0, 1, s0
	s_delay_alu instid0(VALU_DEP_1)
	v_add_nc_u32_e32 v13, v11, v13
; %bb.1540:
	s_or_b32 exec_lo, exec_lo, s6
	s_mov_b32 s0, 0
	global_store_b8 v[8:9], v13, off
.LBB376_1541:
	s_mov_b32 s6, 0
.LBB376_1542:
	s_delay_alu instid0(SALU_CYCLE_1)
	s_and_b32 vcc_lo, exec_lo, s6
	s_cbranch_vccz .LBB376_1545
; %bb.1543:
	v_cmp_eq_u16_e32 vcc_lo, 29, v12
	s_mov_b32 s0, -1
	s_cbranch_vccz .LBB376_1545
; %bb.1544:
	s_mov_b32 s0, 0
	s_mov_b32 s2, -1
	global_store_b64 v[8:9], v[0:1], off
.LBB376_1545:
	s_mov_b32 s6, 0
.LBB376_1546:
	s_delay_alu instid0(SALU_CYCLE_1)
	s_and_b32 vcc_lo, exec_lo, s6
	s_cbranch_vccz .LBB376_1562
; %bb.1547:
	v_cmp_gt_i16_e32 vcc_lo, 27, v12
	s_mov_b32 s2, -1
	s_cbranch_vccnz .LBB376_1553
; %bb.1548:
	v_cmp_lt_i16_e32 vcc_lo, 27, v12
	s_cbranch_vccz .LBB376_1550
; %bb.1549:
	s_mov_b32 s2, 0
	global_store_b32 v[8:9], v0, off
.LBB376_1550:
	s_and_not1_b32 vcc_lo, exec_lo, s2
	s_cbranch_vccnz .LBB376_1552
; %bb.1551:
	global_store_b16 v[8:9], v0, off
.LBB376_1552:
	s_mov_b32 s2, 0
.LBB376_1553:
	s_delay_alu instid0(SALU_CYCLE_1)
	s_and_not1_b32 vcc_lo, exec_lo, s2
	s_cbranch_vccnz .LBB376_1561
; %bb.1554:
	v_xor_b32_e32 v11, v0, v1
	v_cls_i32_e32 v13, v1
	s_mov_b32 s2, exec_lo
	s_delay_alu instid0(VALU_DEP_2) | instskip(NEXT) | instid1(VALU_DEP_2)
	v_ashrrev_i32_e32 v11, 31, v11
	v_add_nc_u32_e32 v13, -1, v13
	s_delay_alu instid0(VALU_DEP_2) | instskip(NEXT) | instid1(VALU_DEP_1)
	v_add_nc_u32_e32 v11, 32, v11
	v_min_u32_e32 v11, v13, v11
	s_delay_alu instid0(VALU_DEP_1) | instskip(SKIP_1) | instid1(VALU_DEP_2)
	v_lshlrev_b64 v[13:14], v11, v[0:1]
	v_sub_nc_u32_e32 v11, 32, v11
	v_min_u32_e32 v13, 1, v13
	s_delay_alu instid0(VALU_DEP_1) | instskip(SKIP_1) | instid1(VALU_DEP_2)
	v_or_b32_e32 v13, v14, v13
	v_mov_b32_e32 v14, 0x80
	v_cvt_f32_i32_e32 v13, v13
	s_delay_alu instid0(VALU_DEP_1) | instskip(NEXT) | instid1(VALU_DEP_1)
	v_ldexp_f32 v11, v13, v11
	v_and_b32_e32 v13, 0x7fffffff, v11
	s_delay_alu instid0(VALU_DEP_1)
	v_cmpx_gt_u32_e32 0x43800000, v13
	s_cbranch_execz .LBB376_1560
; %bb.1555:
	v_cmp_lt_u32_e32 vcc_lo, 0x3bffffff, v13
	s_mov_b32 s6, 0
                                        ; implicit-def: $vgpr13
	s_and_saveexec_b32 s7, vcc_lo
	s_delay_alu instid0(SALU_CYCLE_1)
	s_xor_b32 s7, exec_lo, s7
	s_cbranch_execz .LBB376_2010
; %bb.1556:
	v_bfe_u32 v13, v11, 20, 1
	s_mov_b32 s6, exec_lo
	s_delay_alu instid0(VALU_DEP_1) | instskip(NEXT) | instid1(VALU_DEP_1)
	v_add3_u32 v13, v11, v13, 0x487ffff
	v_lshrrev_b32_e32 v13, 20, v13
	s_or_saveexec_b32 s7, s7
                                        ; implicit-def: $sgpr9
	s_delay_alu instid0(SALU_CYCLE_1)
	s_xor_b32 exec_lo, exec_lo, s7
	s_cbranch_execnz .LBB376_2011
.LBB376_1557:
	s_or_b32 exec_lo, exec_lo, s7
	v_mov_b32_e32 v14, s9
	s_and_saveexec_b32 s7, s6
.LBB376_1558:
	v_lshrrev_b32_e32 v11, 24, v11
	s_delay_alu instid0(VALU_DEP_1)
	v_and_or_b32 v14, 0x80, v11, v13
.LBB376_1559:
	s_or_b32 exec_lo, exec_lo, s7
.LBB376_1560:
	s_delay_alu instid0(SALU_CYCLE_1)
	s_or_b32 exec_lo, exec_lo, s2
	global_store_b8 v[8:9], v14, off
.LBB376_1561:
	s_mov_b32 s2, -1
.LBB376_1562:
	s_mov_b32 s6, 0
.LBB376_1563:
	s_delay_alu instid0(SALU_CYCLE_1)
	s_and_b32 vcc_lo, exec_lo, s6
	s_cbranch_vccz .LBB376_1603
; %bb.1564:
	v_cmp_lt_i16_e32 vcc_lo, 22, v12
	s_mov_b32 s1, -1
	s_cbranch_vccz .LBB376_1596
; %bb.1565:
	v_cmp_gt_i16_e32 vcc_lo, 24, v12
	s_cbranch_vccnz .LBB376_1585
; %bb.1566:
	v_cmp_lt_i16_e32 vcc_lo, 24, v12
	s_cbranch_vccz .LBB376_1574
; %bb.1567:
	v_xor_b32_e32 v11, v0, v1
	v_cls_i32_e32 v13, v1
	s_mov_b32 s1, exec_lo
	s_delay_alu instid0(VALU_DEP_2) | instskip(NEXT) | instid1(VALU_DEP_2)
	v_ashrrev_i32_e32 v11, 31, v11
	v_add_nc_u32_e32 v13, -1, v13
	s_delay_alu instid0(VALU_DEP_2) | instskip(NEXT) | instid1(VALU_DEP_1)
	v_add_nc_u32_e32 v11, 32, v11
	v_min_u32_e32 v11, v13, v11
	s_delay_alu instid0(VALU_DEP_1) | instskip(SKIP_1) | instid1(VALU_DEP_2)
	v_lshlrev_b64 v[13:14], v11, v[0:1]
	v_sub_nc_u32_e32 v11, 32, v11
	v_min_u32_e32 v13, 1, v13
	s_delay_alu instid0(VALU_DEP_1) | instskip(SKIP_1) | instid1(VALU_DEP_2)
	v_or_b32_e32 v13, v14, v13
	v_mov_b32_e32 v14, 0x80
	v_cvt_f32_i32_e32 v13, v13
	s_delay_alu instid0(VALU_DEP_1) | instskip(NEXT) | instid1(VALU_DEP_1)
	v_ldexp_f32 v11, v13, v11
	v_and_b32_e32 v13, 0x7fffffff, v11
	s_delay_alu instid0(VALU_DEP_1)
	v_cmpx_gt_u32_e32 0x47800000, v13
	s_cbranch_execz .LBB376_1573
; %bb.1568:
	v_cmp_lt_u32_e32 vcc_lo, 0x37ffffff, v13
	s_mov_b32 s2, 0
                                        ; implicit-def: $vgpr13
	s_and_saveexec_b32 s6, vcc_lo
	s_delay_alu instid0(SALU_CYCLE_1)
	s_xor_b32 s6, exec_lo, s6
	s_cbranch_execz .LBB376_2016
; %bb.1569:
	v_bfe_u32 v13, v11, 21, 1
	s_mov_b32 s2, exec_lo
	s_delay_alu instid0(VALU_DEP_1) | instskip(NEXT) | instid1(VALU_DEP_1)
	v_add3_u32 v13, v11, v13, 0x88fffff
	v_lshrrev_b32_e32 v13, 21, v13
	s_or_saveexec_b32 s6, s6
                                        ; implicit-def: $sgpr7
	s_delay_alu instid0(SALU_CYCLE_1)
	s_xor_b32 exec_lo, exec_lo, s6
	s_cbranch_execnz .LBB376_2017
.LBB376_1570:
	s_or_b32 exec_lo, exec_lo, s6
	v_mov_b32_e32 v14, s7
	s_and_saveexec_b32 s6, s2
.LBB376_1571:
	v_lshrrev_b32_e32 v11, 24, v11
	s_delay_alu instid0(VALU_DEP_1)
	v_and_or_b32 v14, 0x80, v11, v13
.LBB376_1572:
	s_or_b32 exec_lo, exec_lo, s6
.LBB376_1573:
	s_delay_alu instid0(SALU_CYCLE_1)
	s_or_b32 exec_lo, exec_lo, s1
	s_mov_b32 s1, 0
	global_store_b8 v[8:9], v14, off
.LBB376_1574:
	s_and_b32 vcc_lo, exec_lo, s1
	s_cbranch_vccz .LBB376_1584
; %bb.1575:
	v_xor_b32_e32 v11, v0, v1
	v_cls_i32_e32 v13, v1
	s_mov_b32 s1, exec_lo
	s_delay_alu instid0(VALU_DEP_2) | instskip(NEXT) | instid1(VALU_DEP_2)
	v_ashrrev_i32_e32 v11, 31, v11
	v_add_nc_u32_e32 v13, -1, v13
	s_delay_alu instid0(VALU_DEP_2) | instskip(NEXT) | instid1(VALU_DEP_1)
	v_add_nc_u32_e32 v11, 32, v11
	v_min_u32_e32 v11, v13, v11
	s_delay_alu instid0(VALU_DEP_1) | instskip(SKIP_1) | instid1(VALU_DEP_2)
	v_lshlrev_b64 v[13:14], v11, v[0:1]
	v_sub_nc_u32_e32 v11, 32, v11
	v_min_u32_e32 v13, 1, v13
	s_delay_alu instid0(VALU_DEP_1) | instskip(NEXT) | instid1(VALU_DEP_1)
	v_or_b32_e32 v13, v14, v13
	v_cvt_f32_i32_e32 v13, v13
	s_delay_alu instid0(VALU_DEP_1) | instskip(NEXT) | instid1(VALU_DEP_1)
	v_ldexp_f32 v11, v13, v11
                                        ; implicit-def: $vgpr13
	v_and_b32_e32 v14, 0x7fffffff, v11
	s_delay_alu instid0(VALU_DEP_1)
	v_cmpx_gt_u32_e32 0x43f00000, v14
	s_xor_b32 s1, exec_lo, s1
	s_cbranch_execz .LBB376_1581
; %bb.1576:
	s_mov_b32 s2, exec_lo
                                        ; implicit-def: $vgpr13
	v_cmpx_lt_u32_e32 0x3c7fffff, v14
	s_xor_b32 s2, exec_lo, s2
; %bb.1577:
	v_bfe_u32 v13, v11, 20, 1
	s_delay_alu instid0(VALU_DEP_1) | instskip(NEXT) | instid1(VALU_DEP_1)
	v_add3_u32 v13, v11, v13, 0x407ffff
	v_and_b32_e32 v14, 0xff00000, v13
	v_lshrrev_b32_e32 v13, 20, v13
	s_delay_alu instid0(VALU_DEP_2) | instskip(NEXT) | instid1(VALU_DEP_2)
	v_cmp_ne_u32_e32 vcc_lo, 0x7f00000, v14
	v_cndmask_b32_e32 v13, 0x7e, v13, vcc_lo
; %bb.1578:
	s_and_not1_saveexec_b32 s2, s2
; %bb.1579:
	v_add_f32_e64 v13, 0x46800000, |v11|
; %bb.1580:
	s_or_b32 exec_lo, exec_lo, s2
                                        ; implicit-def: $vgpr14
.LBB376_1581:
	s_and_not1_saveexec_b32 s1, s1
; %bb.1582:
	v_mov_b32_e32 v13, 0x7f
	v_cmp_lt_u32_e32 vcc_lo, 0x7f800000, v14
	s_delay_alu instid0(VALU_DEP_2)
	v_cndmask_b32_e32 v13, 0x7e, v13, vcc_lo
; %bb.1583:
	s_or_b32 exec_lo, exec_lo, s1
	v_lshrrev_b32_e32 v11, 24, v11
	s_delay_alu instid0(VALU_DEP_1)
	v_and_or_b32 v11, 0x80, v11, v13
	global_store_b8 v[8:9], v11, off
.LBB376_1584:
	s_mov_b32 s1, 0
.LBB376_1585:
	s_delay_alu instid0(SALU_CYCLE_1)
	s_and_not1_b32 vcc_lo, exec_lo, s1
	s_cbranch_vccnz .LBB376_1595
; %bb.1586:
	v_xor_b32_e32 v11, v0, v1
	v_cls_i32_e32 v13, v1
	s_mov_b32 s1, exec_lo
	s_delay_alu instid0(VALU_DEP_2) | instskip(NEXT) | instid1(VALU_DEP_2)
	v_ashrrev_i32_e32 v11, 31, v11
	v_add_nc_u32_e32 v13, -1, v13
	s_delay_alu instid0(VALU_DEP_2) | instskip(NEXT) | instid1(VALU_DEP_1)
	v_add_nc_u32_e32 v11, 32, v11
	v_min_u32_e32 v11, v13, v11
	s_delay_alu instid0(VALU_DEP_1) | instskip(SKIP_1) | instid1(VALU_DEP_2)
	v_lshlrev_b64 v[13:14], v11, v[0:1]
	v_sub_nc_u32_e32 v11, 32, v11
	v_min_u32_e32 v13, 1, v13
	s_delay_alu instid0(VALU_DEP_1) | instskip(NEXT) | instid1(VALU_DEP_1)
	v_or_b32_e32 v13, v14, v13
	v_cvt_f32_i32_e32 v13, v13
	s_delay_alu instid0(VALU_DEP_1) | instskip(NEXT) | instid1(VALU_DEP_1)
	v_ldexp_f32 v11, v13, v11
                                        ; implicit-def: $vgpr13
	v_and_b32_e32 v14, 0x7fffffff, v11
	s_delay_alu instid0(VALU_DEP_1)
	v_cmpx_gt_u32_e32 0x47800000, v14
	s_xor_b32 s1, exec_lo, s1
	s_cbranch_execz .LBB376_1592
; %bb.1587:
	s_mov_b32 s2, exec_lo
                                        ; implicit-def: $vgpr13
	v_cmpx_lt_u32_e32 0x387fffff, v14
	s_xor_b32 s2, exec_lo, s2
; %bb.1588:
	v_bfe_u32 v13, v11, 21, 1
	s_delay_alu instid0(VALU_DEP_1) | instskip(NEXT) | instid1(VALU_DEP_1)
	v_add3_u32 v13, v11, v13, 0x80fffff
	v_lshrrev_b32_e32 v13, 21, v13
; %bb.1589:
	s_and_not1_saveexec_b32 s2, s2
; %bb.1590:
	v_add_f32_e64 v13, 0x43000000, |v11|
; %bb.1591:
	s_or_b32 exec_lo, exec_lo, s2
                                        ; implicit-def: $vgpr14
.LBB376_1592:
	s_and_not1_saveexec_b32 s1, s1
; %bb.1593:
	v_mov_b32_e32 v13, 0x7f
	v_cmp_lt_u32_e32 vcc_lo, 0x7f800000, v14
	s_delay_alu instid0(VALU_DEP_2)
	v_cndmask_b32_e32 v13, 0x7c, v13, vcc_lo
; %bb.1594:
	s_or_b32 exec_lo, exec_lo, s1
	v_lshrrev_b32_e32 v11, 24, v11
	s_delay_alu instid0(VALU_DEP_1)
	v_and_or_b32 v11, 0x80, v11, v13
	global_store_b8 v[8:9], v11, off
.LBB376_1595:
	s_mov_b32 s1, 0
	s_mov_b32 s2, -1
.LBB376_1596:
	s_and_not1_b32 vcc_lo, exec_lo, s1
	s_mov_b32 s1, 0
	s_cbranch_vccnz .LBB376_1603
; %bb.1597:
	v_cmp_lt_i16_e32 vcc_lo, 14, v12
	s_mov_b32 s1, -1
	s_cbranch_vccz .LBB376_1601
; %bb.1598:
	v_cmp_eq_u16_e32 vcc_lo, 15, v12
	s_mov_b32 s0, -1
	s_cbranch_vccz .LBB376_1600
; %bb.1599:
	v_xor_b32_e32 v11, v0, v1
	v_cls_i32_e32 v13, v1
	s_mov_b32 s2, -1
	s_mov_b32 s0, 0
	s_delay_alu instid0(VALU_DEP_2) | instskip(NEXT) | instid1(VALU_DEP_2)
	v_ashrrev_i32_e32 v11, 31, v11
	v_add_nc_u32_e32 v13, -1, v13
	s_delay_alu instid0(VALU_DEP_2) | instskip(NEXT) | instid1(VALU_DEP_1)
	v_add_nc_u32_e32 v11, 32, v11
	v_min_u32_e32 v11, v13, v11
	s_delay_alu instid0(VALU_DEP_1) | instskip(SKIP_1) | instid1(VALU_DEP_2)
	v_lshlrev_b64 v[13:14], v11, v[0:1]
	v_sub_nc_u32_e32 v11, 32, v11
	v_min_u32_e32 v13, 1, v13
	s_delay_alu instid0(VALU_DEP_1) | instskip(NEXT) | instid1(VALU_DEP_1)
	v_or_b32_e32 v13, v14, v13
	v_cvt_f32_i32_e32 v13, v13
	s_delay_alu instid0(VALU_DEP_1) | instskip(NEXT) | instid1(VALU_DEP_1)
	v_ldexp_f32 v11, v13, v11
	v_bfe_u32 v13, v11, 16, 1
	s_delay_alu instid0(VALU_DEP_1)
	v_add3_u32 v11, v11, v13, 0x7fff
	global_store_d16_hi_b16 v[8:9], v11, off
.LBB376_1600:
	s_mov_b32 s1, 0
.LBB376_1601:
	s_delay_alu instid0(SALU_CYCLE_1)
	s_and_b32 vcc_lo, exec_lo, s1
	s_mov_b32 s1, 0
	s_cbranch_vccz .LBB376_1603
; %bb.1602:
	v_cmp_ne_u16_e64 s0, 11, v12
	s_mov_b32 s1, -1
.LBB376_1603:
	s_delay_alu instid0(VALU_DEP_1)
	s_and_b32 vcc_lo, exec_lo, s0
	s_cbranch_vccnz .LBB376_2014
; %bb.1604:
	s_and_not1_b32 vcc_lo, exec_lo, s1
	s_cbranch_vccnz .LBB376_1606
.LBB376_1605:
	v_cmp_ne_u64_e32 vcc_lo, 0, v[0:1]
	s_mov_b32 s2, -1
	v_cndmask_b32_e64 v11, 0, 1, vcc_lo
	global_store_b8 v[8:9], v11, off
.LBB376_1606:
	s_mov_b32 s0, 0
	s_branch .LBB376_1608
.LBB376_1607:
	s_mov_b32 s0, -1
	s_mov_b32 s2, 0
.LBB376_1608:
	s_and_b32 vcc_lo, exec_lo, s0
	s_cbranch_vccz .LBB376_1647
; %bb.1609:
	v_cmp_gt_i16_e32 vcc_lo, 5, v12
	s_mov_b32 s0, -1
	s_cbranch_vccnz .LBB376_1630
; %bb.1610:
	v_cmp_gt_i16_e32 vcc_lo, 8, v12
	s_cbranch_vccnz .LBB376_1620
; %bb.1611:
	v_cmp_gt_i16_e32 vcc_lo, 9, v12
	s_cbranch_vccnz .LBB376_1617
; %bb.1612:
	v_cmp_lt_i16_e32 vcc_lo, 9, v12
	s_cbranch_vccz .LBB376_1614
; %bb.1613:
	v_cvt_f64_i32_e32 v[13:14], v1
	v_cvt_f64_u32_e32 v[15:16], v0
	s_mov_b32 s0, 0
	s_delay_alu instid0(VALU_DEP_2) | instskip(NEXT) | instid1(VALU_DEP_1)
	v_ldexp_f64 v[13:14], v[13:14], 32
	v_add_f64 v[13:14], v[13:14], v[15:16]
	v_mov_b32_e32 v15, 0
	s_delay_alu instid0(VALU_DEP_1)
	v_mov_b32_e32 v16, v15
	global_store_b128 v[8:9], v[13:16], off
.LBB376_1614:
	s_and_not1_b32 vcc_lo, exec_lo, s0
	s_cbranch_vccnz .LBB376_1616
; %bb.1615:
	v_xor_b32_e32 v11, v0, v1
	v_cls_i32_e32 v13, v1
	s_delay_alu instid0(VALU_DEP_2) | instskip(NEXT) | instid1(VALU_DEP_2)
	v_ashrrev_i32_e32 v11, 31, v11
	v_add_nc_u32_e32 v13, -1, v13
	s_delay_alu instid0(VALU_DEP_2) | instskip(NEXT) | instid1(VALU_DEP_1)
	v_add_nc_u32_e32 v11, 32, v11
	v_min_u32_e32 v11, v13, v11
	s_delay_alu instid0(VALU_DEP_1) | instskip(SKIP_1) | instid1(VALU_DEP_2)
	v_lshlrev_b64 v[13:14], v11, v[0:1]
	v_sub_nc_u32_e32 v11, 32, v11
	v_min_u32_e32 v13, 1, v13
	s_delay_alu instid0(VALU_DEP_1) | instskip(SKIP_1) | instid1(VALU_DEP_2)
	v_or_b32_e32 v13, v14, v13
	v_mov_b32_e32 v14, 0
	v_cvt_f32_i32_e32 v13, v13
	s_delay_alu instid0(VALU_DEP_1)
	v_ldexp_f32 v13, v13, v11
	global_store_b64 v[8:9], v[13:14], off
.LBB376_1616:
	s_mov_b32 s0, 0
.LBB376_1617:
	s_delay_alu instid0(SALU_CYCLE_1)
	s_and_not1_b32 vcc_lo, exec_lo, s0
	s_cbranch_vccnz .LBB376_1619
; %bb.1618:
	v_xor_b32_e32 v11, v0, v1
	v_cls_i32_e32 v13, v1
	s_delay_alu instid0(VALU_DEP_2) | instskip(NEXT) | instid1(VALU_DEP_2)
	v_ashrrev_i32_e32 v11, 31, v11
	v_add_nc_u32_e32 v13, -1, v13
	s_delay_alu instid0(VALU_DEP_2) | instskip(NEXT) | instid1(VALU_DEP_1)
	v_add_nc_u32_e32 v11, 32, v11
	v_min_u32_e32 v11, v13, v11
	s_delay_alu instid0(VALU_DEP_1) | instskip(SKIP_1) | instid1(VALU_DEP_2)
	v_lshlrev_b64 v[13:14], v11, v[0:1]
	v_sub_nc_u32_e32 v11, 32, v11
	v_min_u32_e32 v13, 1, v13
	s_delay_alu instid0(VALU_DEP_1) | instskip(NEXT) | instid1(VALU_DEP_1)
	v_or_b32_e32 v13, v14, v13
	v_cvt_f32_i32_e32 v13, v13
	s_delay_alu instid0(VALU_DEP_1) | instskip(NEXT) | instid1(VALU_DEP_1)
	v_ldexp_f32 v11, v13, v11
	v_cvt_f16_f32_e32 v11, v11
	s_delay_alu instid0(VALU_DEP_1)
	v_and_b32_e32 v11, 0xffff, v11
	global_store_b32 v[8:9], v11, off
.LBB376_1619:
	s_mov_b32 s0, 0
.LBB376_1620:
	s_delay_alu instid0(SALU_CYCLE_1)
	s_and_not1_b32 vcc_lo, exec_lo, s0
	s_cbranch_vccnz .LBB376_1629
; %bb.1621:
	v_cmp_gt_i16_e32 vcc_lo, 6, v12
	s_mov_b32 s0, -1
	s_cbranch_vccnz .LBB376_1627
; %bb.1622:
	v_cmp_lt_i16_e32 vcc_lo, 6, v12
	s_cbranch_vccz .LBB376_1624
; %bb.1623:
	v_cvt_f64_i32_e32 v[13:14], v1
	v_cvt_f64_u32_e32 v[15:16], v0
	s_mov_b32 s0, 0
	s_delay_alu instid0(VALU_DEP_2) | instskip(NEXT) | instid1(VALU_DEP_1)
	v_ldexp_f64 v[13:14], v[13:14], 32
	v_add_f64 v[13:14], v[13:14], v[15:16]
	global_store_b64 v[8:9], v[13:14], off
.LBB376_1624:
	s_and_not1_b32 vcc_lo, exec_lo, s0
	s_cbranch_vccnz .LBB376_1626
; %bb.1625:
	v_xor_b32_e32 v11, v0, v1
	v_cls_i32_e32 v13, v1
	s_delay_alu instid0(VALU_DEP_2) | instskip(NEXT) | instid1(VALU_DEP_2)
	v_ashrrev_i32_e32 v11, 31, v11
	v_add_nc_u32_e32 v13, -1, v13
	s_delay_alu instid0(VALU_DEP_2) | instskip(NEXT) | instid1(VALU_DEP_1)
	v_add_nc_u32_e32 v11, 32, v11
	v_min_u32_e32 v11, v13, v11
	s_delay_alu instid0(VALU_DEP_1) | instskip(SKIP_1) | instid1(VALU_DEP_2)
	v_lshlrev_b64 v[13:14], v11, v[0:1]
	v_sub_nc_u32_e32 v11, 32, v11
	v_min_u32_e32 v13, 1, v13
	s_delay_alu instid0(VALU_DEP_1) | instskip(NEXT) | instid1(VALU_DEP_1)
	v_or_b32_e32 v13, v14, v13
	v_cvt_f32_i32_e32 v13, v13
	s_delay_alu instid0(VALU_DEP_1)
	v_ldexp_f32 v11, v13, v11
	global_store_b32 v[8:9], v11, off
.LBB376_1626:
	s_mov_b32 s0, 0
.LBB376_1627:
	s_delay_alu instid0(SALU_CYCLE_1)
	s_and_not1_b32 vcc_lo, exec_lo, s0
	s_cbranch_vccnz .LBB376_1629
; %bb.1628:
	v_xor_b32_e32 v11, v0, v1
	v_cls_i32_e32 v13, v1
	s_delay_alu instid0(VALU_DEP_2) | instskip(NEXT) | instid1(VALU_DEP_2)
	v_ashrrev_i32_e32 v11, 31, v11
	v_add_nc_u32_e32 v13, -1, v13
	s_delay_alu instid0(VALU_DEP_2) | instskip(NEXT) | instid1(VALU_DEP_1)
	v_add_nc_u32_e32 v11, 32, v11
	v_min_u32_e32 v11, v13, v11
	s_delay_alu instid0(VALU_DEP_1) | instskip(SKIP_1) | instid1(VALU_DEP_2)
	v_lshlrev_b64 v[13:14], v11, v[0:1]
	v_sub_nc_u32_e32 v11, 32, v11
	v_min_u32_e32 v13, 1, v13
	s_delay_alu instid0(VALU_DEP_1) | instskip(NEXT) | instid1(VALU_DEP_1)
	v_or_b32_e32 v13, v14, v13
	v_cvt_f32_i32_e32 v13, v13
	s_delay_alu instid0(VALU_DEP_1) | instskip(NEXT) | instid1(VALU_DEP_1)
	v_ldexp_f32 v11, v13, v11
	v_cvt_f16_f32_e32 v11, v11
	global_store_b16 v[8:9], v11, off
.LBB376_1629:
	s_mov_b32 s0, 0
.LBB376_1630:
	s_delay_alu instid0(SALU_CYCLE_1)
	s_and_not1_b32 vcc_lo, exec_lo, s0
	s_cbranch_vccnz .LBB376_1646
; %bb.1631:
	v_cmp_gt_i16_e32 vcc_lo, 2, v12
	s_mov_b32 s0, -1
	s_cbranch_vccnz .LBB376_1641
; %bb.1632:
	v_cmp_gt_i16_e32 vcc_lo, 3, v12
	s_cbranch_vccnz .LBB376_1638
; %bb.1633:
	v_cmp_lt_i16_e32 vcc_lo, 3, v12
	s_cbranch_vccz .LBB376_1635
; %bb.1634:
	s_mov_b32 s0, 0
	global_store_b64 v[8:9], v[0:1], off
.LBB376_1635:
	s_and_not1_b32 vcc_lo, exec_lo, s0
	s_cbranch_vccnz .LBB376_1637
; %bb.1636:
	global_store_b32 v[8:9], v0, off
.LBB376_1637:
	s_mov_b32 s0, 0
.LBB376_1638:
	s_delay_alu instid0(SALU_CYCLE_1)
	s_and_not1_b32 vcc_lo, exec_lo, s0
	s_cbranch_vccnz .LBB376_1640
; %bb.1639:
	global_store_b16 v[8:9], v0, off
.LBB376_1640:
	s_mov_b32 s0, 0
.LBB376_1641:
	s_delay_alu instid0(SALU_CYCLE_1)
	s_and_not1_b32 vcc_lo, exec_lo, s0
	s_cbranch_vccnz .LBB376_1646
; %bb.1642:
	v_cmp_lt_i16_e32 vcc_lo, 0, v12
	s_mov_b32 s0, -1
	s_cbranch_vccz .LBB376_1644
; %bb.1643:
	s_mov_b32 s0, 0
	global_store_b8 v[8:9], v0, off
.LBB376_1644:
	s_and_not1_b32 vcc_lo, exec_lo, s0
	s_cbranch_vccnz .LBB376_1646
; %bb.1645:
	global_store_b8 v[8:9], v0, off
.LBB376_1646:
	s_mov_b32 s2, -1
.LBB376_1647:
	s_delay_alu instid0(SALU_CYCLE_1)
	s_and_not1_b32 vcc_lo, exec_lo, s2
	s_cbranch_vccnz .LBB376_1962
; %bb.1648:
	s_lshl_b32 s1, s8, 7
	v_cmp_lt_i64_e32 vcc_lo, s[10:11], v[2:3]
	v_add_nc_u32_e32 v8, s1, v10
	v_cmp_gt_i16_e64 s0, 11, v12
	v_cndmask_b32_e32 v1, s11, v3, vcc_lo
	s_delay_alu instid0(VALU_DEP_3) | instskip(SKIP_2) | instid1(VALU_DEP_3)
	v_ashrrev_i32_e32 v3, 31, v8
	v_cndmask_b32_e32 v0, s10, v2, vcc_lo
	v_add_co_u32 v2, vcc_lo, s4, v8
	v_add_co_ci_u32_e32 v3, vcc_lo, s5, v3, vcc_lo
	s_and_b32 vcc_lo, exec_lo, s0
	s_cbranch_vccnz .LBB376_1726
; %bb.1649:
	v_cmp_lt_i16_e32 vcc_lo, 25, v12
	s_mov_b32 s7, -1
	s_mov_b32 s2, 0
	s_mov_b32 s6, 0
	;; [unrolled: 1-line block ×3, first 2 shown]
	s_cbranch_vccz .LBB376_1682
; %bb.1650:
	v_cmp_lt_i16_e32 vcc_lo, 28, v12
	s_cbranch_vccz .LBB376_1665
; %bb.1651:
	v_cmp_lt_i16_e32 vcc_lo, 43, v12
	;; [unrolled: 3-line block ×3, first 2 shown]
	s_cbranch_vccz .LBB376_1655
; %bb.1653:
	v_cmp_eq_u16_e32 vcc_lo, 46, v12
	s_mov_b32 s0, -1
	s_mov_b32 s7, 0
	s_cbranch_vccz .LBB376_1655
; %bb.1654:
	v_xor_b32_e32 v9, v0, v1
	v_cls_i32_e32 v10, v1
	s_mov_b32 s6, -1
	s_mov_b32 s0, 0
	s_delay_alu instid0(VALU_DEP_2) | instskip(NEXT) | instid1(VALU_DEP_2)
	v_ashrrev_i32_e32 v9, 31, v9
	v_add_nc_u32_e32 v10, -1, v10
	s_delay_alu instid0(VALU_DEP_2) | instskip(NEXT) | instid1(VALU_DEP_1)
	v_add_nc_u32_e32 v9, 32, v9
	v_min_u32_e32 v11, v10, v9
	s_delay_alu instid0(VALU_DEP_1) | instskip(NEXT) | instid1(VALU_DEP_1)
	v_lshlrev_b64 v[9:10], v11, v[0:1]
	v_min_u32_e32 v9, 1, v9
	s_delay_alu instid0(VALU_DEP_1) | instskip(SKIP_1) | instid1(VALU_DEP_2)
	v_or_b32_e32 v9, v10, v9
	v_sub_nc_u32_e32 v10, 32, v11
	v_cvt_f32_i32_e32 v9, v9
	s_delay_alu instid0(VALU_DEP_1) | instskip(NEXT) | instid1(VALU_DEP_1)
	v_ldexp_f32 v9, v9, v10
	v_bfe_u32 v10, v9, 16, 1
	s_delay_alu instid0(VALU_DEP_1) | instskip(NEXT) | instid1(VALU_DEP_1)
	v_add3_u32 v9, v9, v10, 0x7fff
	v_lshrrev_b32_e32 v9, 16, v9
	global_store_b32 v[2:3], v9, off
.LBB376_1655:
	s_and_b32 vcc_lo, exec_lo, s7
	s_cbranch_vccz .LBB376_1660
; %bb.1656:
	v_cmp_eq_u16_e32 vcc_lo, 44, v12
	s_mov_b32 s0, -1
	s_cbranch_vccz .LBB376_1660
; %bb.1657:
	v_xor_b32_e32 v9, v0, v1
	v_cls_i32_e32 v10, v1
	s_mov_b32 s6, -1
	s_mov_b32 s7, exec_lo
	s_delay_alu instid0(VALU_DEP_2) | instskip(NEXT) | instid1(VALU_DEP_2)
	v_ashrrev_i32_e32 v9, 31, v9
	v_add_nc_u32_e32 v10, -1, v10
	s_delay_alu instid0(VALU_DEP_2) | instskip(NEXT) | instid1(VALU_DEP_1)
	v_add_nc_u32_e32 v9, 32, v9
	v_min_u32_e32 v11, v10, v9
	s_delay_alu instid0(VALU_DEP_1) | instskip(NEXT) | instid1(VALU_DEP_1)
	v_lshlrev_b64 v[9:10], v11, v[0:1]
	v_min_u32_e32 v9, 1, v9
	s_delay_alu instid0(VALU_DEP_1) | instskip(SKIP_1) | instid1(VALU_DEP_2)
	v_or_b32_e32 v9, v10, v9
	v_sub_nc_u32_e32 v10, 32, v11
	v_cvt_f32_i32_e32 v9, v9
	s_delay_alu instid0(VALU_DEP_1) | instskip(SKIP_1) | instid1(VALU_DEP_2)
	v_ldexp_f32 v9, v9, v10
	v_mov_b32_e32 v10, 0xff
	v_bfe_u32 v11, v9, 23, 8
	s_delay_alu instid0(VALU_DEP_1)
	v_cmpx_ne_u32_e32 0xff, v11
; %bb.1658:
	v_and_b32_e32 v10, 0x400000, v9
	v_and_or_b32 v11, 0x3fffff, v9, v11
	v_lshrrev_b32_e32 v9, 23, v9
	s_delay_alu instid0(VALU_DEP_3) | instskip(NEXT) | instid1(VALU_DEP_3)
	v_cmp_ne_u32_e32 vcc_lo, 0, v10
	v_cmp_ne_u32_e64 s0, 0, v11
	s_delay_alu instid0(VALU_DEP_1) | instskip(NEXT) | instid1(SALU_CYCLE_1)
	s_and_b32 s0, vcc_lo, s0
	v_cndmask_b32_e64 v10, 0, 1, s0
	s_delay_alu instid0(VALU_DEP_1)
	v_add_nc_u32_e32 v10, v9, v10
; %bb.1659:
	s_or_b32 exec_lo, exec_lo, s7
	s_mov_b32 s0, 0
	global_store_b8 v[2:3], v10, off
.LBB376_1660:
	s_mov_b32 s7, 0
.LBB376_1661:
	s_delay_alu instid0(SALU_CYCLE_1)
	s_and_b32 vcc_lo, exec_lo, s7
	s_cbranch_vccz .LBB376_1664
; %bb.1662:
	v_cmp_eq_u16_e32 vcc_lo, 29, v12
	s_mov_b32 s0, -1
	s_cbranch_vccz .LBB376_1664
; %bb.1663:
	s_mov_b32 s0, 0
	s_mov_b32 s6, -1
	global_store_b64 v[2:3], v[0:1], off
.LBB376_1664:
	s_mov_b32 s7, 0
.LBB376_1665:
	s_delay_alu instid0(SALU_CYCLE_1)
	s_and_b32 vcc_lo, exec_lo, s7
	s_cbranch_vccz .LBB376_1681
; %bb.1666:
	v_cmp_gt_i16_e32 vcc_lo, 27, v12
	s_mov_b32 s6, -1
	s_cbranch_vccnz .LBB376_1672
; %bb.1667:
	v_cmp_lt_i16_e32 vcc_lo, 27, v12
	s_cbranch_vccz .LBB376_1669
; %bb.1668:
	s_mov_b32 s6, 0
	global_store_b32 v[2:3], v0, off
.LBB376_1669:
	s_and_not1_b32 vcc_lo, exec_lo, s6
	s_cbranch_vccnz .LBB376_1671
; %bb.1670:
	global_store_b16 v[2:3], v0, off
.LBB376_1671:
	s_mov_b32 s6, 0
.LBB376_1672:
	s_delay_alu instid0(SALU_CYCLE_1)
	s_and_not1_b32 vcc_lo, exec_lo, s6
	s_cbranch_vccnz .LBB376_1680
; %bb.1673:
	v_xor_b32_e32 v9, v0, v1
	v_cls_i32_e32 v10, v1
	s_mov_b32 s6, exec_lo
	s_delay_alu instid0(VALU_DEP_2) | instskip(NEXT) | instid1(VALU_DEP_2)
	v_ashrrev_i32_e32 v9, 31, v9
	v_add_nc_u32_e32 v10, -1, v10
	s_delay_alu instid0(VALU_DEP_2) | instskip(NEXT) | instid1(VALU_DEP_1)
	v_add_nc_u32_e32 v9, 32, v9
	v_min_u32_e32 v11, v10, v9
	s_delay_alu instid0(VALU_DEP_1) | instskip(NEXT) | instid1(VALU_DEP_1)
	v_lshlrev_b64 v[9:10], v11, v[0:1]
	v_min_u32_e32 v9, 1, v9
	s_delay_alu instid0(VALU_DEP_1) | instskip(SKIP_2) | instid1(VALU_DEP_3)
	v_or_b32_e32 v9, v10, v9
	v_sub_nc_u32_e32 v10, 32, v11
	v_mov_b32_e32 v11, 0x80
	v_cvt_f32_i32_e32 v9, v9
	s_delay_alu instid0(VALU_DEP_1) | instskip(NEXT) | instid1(VALU_DEP_1)
	v_ldexp_f32 v9, v9, v10
	v_and_b32_e32 v10, 0x7fffffff, v9
	s_delay_alu instid0(VALU_DEP_1)
	v_cmpx_gt_u32_e32 0x43800000, v10
	s_cbranch_execz .LBB376_1679
; %bb.1674:
	v_cmp_lt_u32_e32 vcc_lo, 0x3bffffff, v10
	s_mov_b32 s7, 0
                                        ; implicit-def: $vgpr10
	s_and_saveexec_b32 s8, vcc_lo
	s_delay_alu instid0(SALU_CYCLE_1)
	s_xor_b32 s8, exec_lo, s8
	s_cbranch_execz .LBB376_2018
; %bb.1675:
	v_bfe_u32 v10, v9, 20, 1
	s_mov_b32 s7, exec_lo
	s_delay_alu instid0(VALU_DEP_1) | instskip(NEXT) | instid1(VALU_DEP_1)
	v_add3_u32 v10, v9, v10, 0x487ffff
	v_lshrrev_b32_e32 v10, 20, v10
	s_or_saveexec_b32 s8, s8
                                        ; implicit-def: $sgpr9
	s_delay_alu instid0(SALU_CYCLE_1)
	s_xor_b32 exec_lo, exec_lo, s8
	s_cbranch_execnz .LBB376_2019
.LBB376_1676:
	s_or_b32 exec_lo, exec_lo, s8
	v_mov_b32_e32 v11, s9
	s_and_saveexec_b32 s8, s7
.LBB376_1677:
	v_lshrrev_b32_e32 v9, 24, v9
	s_delay_alu instid0(VALU_DEP_1)
	v_and_or_b32 v11, 0x80, v9, v10
.LBB376_1678:
	s_or_b32 exec_lo, exec_lo, s8
.LBB376_1679:
	s_delay_alu instid0(SALU_CYCLE_1)
	s_or_b32 exec_lo, exec_lo, s6
	global_store_b8 v[2:3], v11, off
.LBB376_1680:
	s_mov_b32 s6, -1
.LBB376_1681:
	s_mov_b32 s7, 0
.LBB376_1682:
	s_delay_alu instid0(SALU_CYCLE_1)
	s_and_b32 vcc_lo, exec_lo, s7
	s_cbranch_vccz .LBB376_1722
; %bb.1683:
	v_cmp_lt_i16_e32 vcc_lo, 22, v12
	s_mov_b32 s2, -1
	s_cbranch_vccz .LBB376_1715
; %bb.1684:
	v_cmp_gt_i16_e32 vcc_lo, 24, v12
	s_cbranch_vccnz .LBB376_1704
; %bb.1685:
	v_cmp_lt_i16_e32 vcc_lo, 24, v12
	s_cbranch_vccz .LBB376_1693
; %bb.1686:
	v_xor_b32_e32 v9, v0, v1
	v_cls_i32_e32 v10, v1
	s_mov_b32 s2, exec_lo
	s_delay_alu instid0(VALU_DEP_2) | instskip(NEXT) | instid1(VALU_DEP_2)
	v_ashrrev_i32_e32 v9, 31, v9
	v_add_nc_u32_e32 v10, -1, v10
	s_delay_alu instid0(VALU_DEP_2) | instskip(NEXT) | instid1(VALU_DEP_1)
	v_add_nc_u32_e32 v9, 32, v9
	v_min_u32_e32 v11, v10, v9
	s_delay_alu instid0(VALU_DEP_1) | instskip(NEXT) | instid1(VALU_DEP_1)
	v_lshlrev_b64 v[9:10], v11, v[0:1]
	v_min_u32_e32 v9, 1, v9
	s_delay_alu instid0(VALU_DEP_1) | instskip(SKIP_2) | instid1(VALU_DEP_3)
	v_or_b32_e32 v9, v10, v9
	v_sub_nc_u32_e32 v10, 32, v11
	v_mov_b32_e32 v11, 0x80
	v_cvt_f32_i32_e32 v9, v9
	s_delay_alu instid0(VALU_DEP_1) | instskip(NEXT) | instid1(VALU_DEP_1)
	v_ldexp_f32 v9, v9, v10
	v_and_b32_e32 v10, 0x7fffffff, v9
	s_delay_alu instid0(VALU_DEP_1)
	v_cmpx_gt_u32_e32 0x47800000, v10
	s_cbranch_execz .LBB376_1692
; %bb.1687:
	v_cmp_lt_u32_e32 vcc_lo, 0x37ffffff, v10
	s_mov_b32 s6, 0
                                        ; implicit-def: $vgpr10
	s_and_saveexec_b32 s7, vcc_lo
	s_delay_alu instid0(SALU_CYCLE_1)
	s_xor_b32 s7, exec_lo, s7
	s_cbranch_execz .LBB376_2024
; %bb.1688:
	v_bfe_u32 v10, v9, 21, 1
	s_mov_b32 s6, exec_lo
	s_delay_alu instid0(VALU_DEP_1) | instskip(NEXT) | instid1(VALU_DEP_1)
	v_add3_u32 v10, v9, v10, 0x88fffff
	v_lshrrev_b32_e32 v10, 21, v10
	s_or_saveexec_b32 s7, s7
                                        ; implicit-def: $sgpr8
	s_delay_alu instid0(SALU_CYCLE_1)
	s_xor_b32 exec_lo, exec_lo, s7
	s_cbranch_execnz .LBB376_2025
.LBB376_1689:
	s_or_b32 exec_lo, exec_lo, s7
	v_mov_b32_e32 v11, s8
	s_and_saveexec_b32 s7, s6
.LBB376_1690:
	v_lshrrev_b32_e32 v9, 24, v9
	s_delay_alu instid0(VALU_DEP_1)
	v_and_or_b32 v11, 0x80, v9, v10
.LBB376_1691:
	s_or_b32 exec_lo, exec_lo, s7
.LBB376_1692:
	s_delay_alu instid0(SALU_CYCLE_1)
	s_or_b32 exec_lo, exec_lo, s2
	s_mov_b32 s2, 0
	global_store_b8 v[2:3], v11, off
.LBB376_1693:
	s_and_b32 vcc_lo, exec_lo, s2
	s_cbranch_vccz .LBB376_1703
; %bb.1694:
	v_xor_b32_e32 v9, v0, v1
	v_cls_i32_e32 v10, v1
	s_mov_b32 s2, exec_lo
	s_delay_alu instid0(VALU_DEP_2) | instskip(NEXT) | instid1(VALU_DEP_2)
	v_ashrrev_i32_e32 v9, 31, v9
	v_add_nc_u32_e32 v10, -1, v10
	s_delay_alu instid0(VALU_DEP_2) | instskip(NEXT) | instid1(VALU_DEP_1)
	v_add_nc_u32_e32 v9, 32, v9
	v_min_u32_e32 v11, v10, v9
	s_delay_alu instid0(VALU_DEP_1) | instskip(NEXT) | instid1(VALU_DEP_1)
	v_lshlrev_b64 v[9:10], v11, v[0:1]
	v_min_u32_e32 v9, 1, v9
	s_delay_alu instid0(VALU_DEP_1) | instskip(SKIP_1) | instid1(VALU_DEP_2)
	v_or_b32_e32 v9, v10, v9
	v_sub_nc_u32_e32 v10, 32, v11
	v_cvt_f32_i32_e32 v9, v9
	s_delay_alu instid0(VALU_DEP_1) | instskip(NEXT) | instid1(VALU_DEP_1)
	v_ldexp_f32 v9, v9, v10
                                        ; implicit-def: $vgpr10
	v_and_b32_e32 v11, 0x7fffffff, v9
	s_delay_alu instid0(VALU_DEP_1)
	v_cmpx_gt_u32_e32 0x43f00000, v11
	s_xor_b32 s2, exec_lo, s2
	s_cbranch_execz .LBB376_1700
; %bb.1695:
	s_mov_b32 s6, exec_lo
                                        ; implicit-def: $vgpr10
	v_cmpx_lt_u32_e32 0x3c7fffff, v11
	s_xor_b32 s6, exec_lo, s6
; %bb.1696:
	v_bfe_u32 v10, v9, 20, 1
	s_delay_alu instid0(VALU_DEP_1) | instskip(NEXT) | instid1(VALU_DEP_1)
	v_add3_u32 v10, v9, v10, 0x407ffff
	v_and_b32_e32 v11, 0xff00000, v10
	v_lshrrev_b32_e32 v10, 20, v10
	s_delay_alu instid0(VALU_DEP_2) | instskip(NEXT) | instid1(VALU_DEP_2)
	v_cmp_ne_u32_e32 vcc_lo, 0x7f00000, v11
	v_cndmask_b32_e32 v10, 0x7e, v10, vcc_lo
; %bb.1697:
	s_and_not1_saveexec_b32 s6, s6
; %bb.1698:
	v_add_f32_e64 v10, 0x46800000, |v9|
; %bb.1699:
	s_or_b32 exec_lo, exec_lo, s6
                                        ; implicit-def: $vgpr11
.LBB376_1700:
	s_and_not1_saveexec_b32 s2, s2
; %bb.1701:
	v_mov_b32_e32 v10, 0x7f
	v_cmp_lt_u32_e32 vcc_lo, 0x7f800000, v11
	s_delay_alu instid0(VALU_DEP_2)
	v_cndmask_b32_e32 v10, 0x7e, v10, vcc_lo
; %bb.1702:
	s_or_b32 exec_lo, exec_lo, s2
	v_lshrrev_b32_e32 v9, 24, v9
	s_delay_alu instid0(VALU_DEP_1)
	v_and_or_b32 v9, 0x80, v9, v10
	global_store_b8 v[2:3], v9, off
.LBB376_1703:
	s_mov_b32 s2, 0
.LBB376_1704:
	s_delay_alu instid0(SALU_CYCLE_1)
	s_and_not1_b32 vcc_lo, exec_lo, s2
	s_cbranch_vccnz .LBB376_1714
; %bb.1705:
	v_xor_b32_e32 v9, v0, v1
	v_cls_i32_e32 v10, v1
	s_mov_b32 s2, exec_lo
	s_delay_alu instid0(VALU_DEP_2) | instskip(NEXT) | instid1(VALU_DEP_2)
	v_ashrrev_i32_e32 v9, 31, v9
	v_add_nc_u32_e32 v10, -1, v10
	s_delay_alu instid0(VALU_DEP_2) | instskip(NEXT) | instid1(VALU_DEP_1)
	v_add_nc_u32_e32 v9, 32, v9
	v_min_u32_e32 v11, v10, v9
	s_delay_alu instid0(VALU_DEP_1) | instskip(NEXT) | instid1(VALU_DEP_1)
	v_lshlrev_b64 v[9:10], v11, v[0:1]
	v_min_u32_e32 v9, 1, v9
	s_delay_alu instid0(VALU_DEP_1) | instskip(SKIP_1) | instid1(VALU_DEP_2)
	v_or_b32_e32 v9, v10, v9
	v_sub_nc_u32_e32 v10, 32, v11
	v_cvt_f32_i32_e32 v9, v9
	s_delay_alu instid0(VALU_DEP_1) | instskip(NEXT) | instid1(VALU_DEP_1)
	v_ldexp_f32 v9, v9, v10
                                        ; implicit-def: $vgpr10
	v_and_b32_e32 v11, 0x7fffffff, v9
	s_delay_alu instid0(VALU_DEP_1)
	v_cmpx_gt_u32_e32 0x47800000, v11
	s_xor_b32 s2, exec_lo, s2
	s_cbranch_execz .LBB376_1711
; %bb.1706:
	s_mov_b32 s6, exec_lo
                                        ; implicit-def: $vgpr10
	v_cmpx_lt_u32_e32 0x387fffff, v11
	s_xor_b32 s6, exec_lo, s6
; %bb.1707:
	v_bfe_u32 v10, v9, 21, 1
	s_delay_alu instid0(VALU_DEP_1) | instskip(NEXT) | instid1(VALU_DEP_1)
	v_add3_u32 v10, v9, v10, 0x80fffff
	v_lshrrev_b32_e32 v10, 21, v10
; %bb.1708:
	s_and_not1_saveexec_b32 s6, s6
; %bb.1709:
	v_add_f32_e64 v10, 0x43000000, |v9|
; %bb.1710:
	s_or_b32 exec_lo, exec_lo, s6
                                        ; implicit-def: $vgpr11
.LBB376_1711:
	s_and_not1_saveexec_b32 s2, s2
; %bb.1712:
	v_mov_b32_e32 v10, 0x7f
	v_cmp_lt_u32_e32 vcc_lo, 0x7f800000, v11
	s_delay_alu instid0(VALU_DEP_2)
	v_cndmask_b32_e32 v10, 0x7c, v10, vcc_lo
; %bb.1713:
	s_or_b32 exec_lo, exec_lo, s2
	v_lshrrev_b32_e32 v9, 24, v9
	s_delay_alu instid0(VALU_DEP_1)
	v_and_or_b32 v9, 0x80, v9, v10
	global_store_b8 v[2:3], v9, off
.LBB376_1714:
	s_mov_b32 s2, 0
	s_mov_b32 s6, -1
.LBB376_1715:
	s_and_not1_b32 vcc_lo, exec_lo, s2
	s_mov_b32 s2, 0
	s_cbranch_vccnz .LBB376_1722
; %bb.1716:
	v_cmp_lt_i16_e32 vcc_lo, 14, v12
	s_mov_b32 s2, -1
	s_cbranch_vccz .LBB376_1720
; %bb.1717:
	v_cmp_eq_u16_e32 vcc_lo, 15, v12
	s_mov_b32 s0, -1
	s_cbranch_vccz .LBB376_1719
; %bb.1718:
	v_xor_b32_e32 v9, v0, v1
	v_cls_i32_e32 v10, v1
	s_mov_b32 s6, -1
	s_mov_b32 s0, 0
	s_delay_alu instid0(VALU_DEP_2) | instskip(NEXT) | instid1(VALU_DEP_2)
	v_ashrrev_i32_e32 v9, 31, v9
	v_add_nc_u32_e32 v10, -1, v10
	s_delay_alu instid0(VALU_DEP_2) | instskip(NEXT) | instid1(VALU_DEP_1)
	v_add_nc_u32_e32 v9, 32, v9
	v_min_u32_e32 v11, v10, v9
	s_delay_alu instid0(VALU_DEP_1) | instskip(NEXT) | instid1(VALU_DEP_1)
	v_lshlrev_b64 v[9:10], v11, v[0:1]
	v_min_u32_e32 v9, 1, v9
	s_delay_alu instid0(VALU_DEP_1) | instskip(SKIP_1) | instid1(VALU_DEP_2)
	v_or_b32_e32 v9, v10, v9
	v_sub_nc_u32_e32 v10, 32, v11
	v_cvt_f32_i32_e32 v9, v9
	s_delay_alu instid0(VALU_DEP_1) | instskip(NEXT) | instid1(VALU_DEP_1)
	v_ldexp_f32 v9, v9, v10
	v_bfe_u32 v10, v9, 16, 1
	s_delay_alu instid0(VALU_DEP_1)
	v_add3_u32 v9, v9, v10, 0x7fff
	global_store_d16_hi_b16 v[2:3], v9, off
.LBB376_1719:
	s_mov_b32 s2, 0
.LBB376_1720:
	s_delay_alu instid0(SALU_CYCLE_1)
	s_and_b32 vcc_lo, exec_lo, s2
	s_mov_b32 s2, 0
	s_cbranch_vccz .LBB376_1722
; %bb.1721:
	v_cmp_ne_u16_e64 s0, 11, v12
	s_mov_b32 s2, -1
.LBB376_1722:
	s_delay_alu instid0(VALU_DEP_1)
	s_and_b32 vcc_lo, exec_lo, s0
	s_cbranch_vccnz .LBB376_2022
; %bb.1723:
	s_and_not1_b32 vcc_lo, exec_lo, s2
	s_cbranch_vccnz .LBB376_1725
.LBB376_1724:
	v_cmp_ne_u64_e32 vcc_lo, 0, v[0:1]
	s_mov_b32 s6, -1
	v_cndmask_b32_e64 v9, 0, 1, vcc_lo
	global_store_b8 v[2:3], v9, off
.LBB376_1725:
	s_mov_b32 s0, 0
	s_branch .LBB376_1727
.LBB376_1726:
	s_mov_b32 s0, -1
	s_mov_b32 s6, 0
.LBB376_1727:
	s_and_b32 vcc_lo, exec_lo, s0
	s_cbranch_vccz .LBB376_1766
; %bb.1728:
	v_cmp_gt_i16_e32 vcc_lo, 5, v12
	s_mov_b32 s0, -1
	s_cbranch_vccnz .LBB376_1749
; %bb.1729:
	v_cmp_gt_i16_e32 vcc_lo, 8, v12
	s_cbranch_vccnz .LBB376_1739
; %bb.1730:
	v_cmp_gt_i16_e32 vcc_lo, 9, v12
	s_cbranch_vccnz .LBB376_1736
; %bb.1731:
	v_cmp_lt_i16_e32 vcc_lo, 9, v12
	s_cbranch_vccz .LBB376_1733
; %bb.1732:
	v_cvt_f64_i32_e32 v[9:10], v1
	v_cvt_f64_u32_e32 v[13:14], v0
	v_mov_b32_e32 v15, 0
	s_mov_b32 s0, 0
	s_delay_alu instid0(VALU_DEP_1) | instskip(NEXT) | instid1(VALU_DEP_4)
	v_mov_b32_e32 v16, v15
	v_ldexp_f64 v[9:10], v[9:10], 32
	s_delay_alu instid0(VALU_DEP_1)
	v_add_f64 v[13:14], v[9:10], v[13:14]
	global_store_b128 v[2:3], v[13:16], off
.LBB376_1733:
	s_and_not1_b32 vcc_lo, exec_lo, s0
	s_cbranch_vccnz .LBB376_1735
; %bb.1734:
	v_xor_b32_e32 v9, v0, v1
	v_cls_i32_e32 v10, v1
	s_delay_alu instid0(VALU_DEP_2) | instskip(NEXT) | instid1(VALU_DEP_2)
	v_ashrrev_i32_e32 v9, 31, v9
	v_add_nc_u32_e32 v10, -1, v10
	s_delay_alu instid0(VALU_DEP_2) | instskip(NEXT) | instid1(VALU_DEP_1)
	v_add_nc_u32_e32 v9, 32, v9
	v_min_u32_e32 v11, v10, v9
	s_delay_alu instid0(VALU_DEP_1) | instskip(NEXT) | instid1(VALU_DEP_1)
	v_lshlrev_b64 v[9:10], v11, v[0:1]
	v_min_u32_e32 v9, 1, v9
	s_delay_alu instid0(VALU_DEP_1) | instskip(SKIP_1) | instid1(VALU_DEP_2)
	v_or_b32_e32 v9, v10, v9
	v_sub_nc_u32_e32 v10, 32, v11
	v_cvt_f32_i32_e32 v9, v9
	s_delay_alu instid0(VALU_DEP_1)
	v_ldexp_f32 v9, v9, v10
	v_mov_b32_e32 v10, 0
	global_store_b64 v[2:3], v[9:10], off
.LBB376_1735:
	s_mov_b32 s0, 0
.LBB376_1736:
	s_delay_alu instid0(SALU_CYCLE_1)
	s_and_not1_b32 vcc_lo, exec_lo, s0
	s_cbranch_vccnz .LBB376_1738
; %bb.1737:
	v_xor_b32_e32 v9, v0, v1
	v_cls_i32_e32 v10, v1
	s_delay_alu instid0(VALU_DEP_2) | instskip(NEXT) | instid1(VALU_DEP_2)
	v_ashrrev_i32_e32 v9, 31, v9
	v_add_nc_u32_e32 v10, -1, v10
	s_delay_alu instid0(VALU_DEP_2) | instskip(NEXT) | instid1(VALU_DEP_1)
	v_add_nc_u32_e32 v9, 32, v9
	v_min_u32_e32 v11, v10, v9
	s_delay_alu instid0(VALU_DEP_1) | instskip(NEXT) | instid1(VALU_DEP_1)
	v_lshlrev_b64 v[9:10], v11, v[0:1]
	v_min_u32_e32 v9, 1, v9
	s_delay_alu instid0(VALU_DEP_1) | instskip(SKIP_1) | instid1(VALU_DEP_2)
	v_or_b32_e32 v9, v10, v9
	v_sub_nc_u32_e32 v10, 32, v11
	v_cvt_f32_i32_e32 v9, v9
	s_delay_alu instid0(VALU_DEP_1) | instskip(NEXT) | instid1(VALU_DEP_1)
	v_ldexp_f32 v9, v9, v10
	v_cvt_f16_f32_e32 v9, v9
	s_delay_alu instid0(VALU_DEP_1)
	v_and_b32_e32 v9, 0xffff, v9
	global_store_b32 v[2:3], v9, off
.LBB376_1738:
	s_mov_b32 s0, 0
.LBB376_1739:
	s_delay_alu instid0(SALU_CYCLE_1)
	s_and_not1_b32 vcc_lo, exec_lo, s0
	s_cbranch_vccnz .LBB376_1748
; %bb.1740:
	v_cmp_gt_i16_e32 vcc_lo, 6, v12
	s_mov_b32 s0, -1
	s_cbranch_vccnz .LBB376_1746
; %bb.1741:
	v_cmp_lt_i16_e32 vcc_lo, 6, v12
	s_cbranch_vccz .LBB376_1743
; %bb.1742:
	v_cvt_f64_i32_e32 v[9:10], v1
	v_cvt_f64_u32_e32 v[13:14], v0
	s_mov_b32 s0, 0
	s_delay_alu instid0(VALU_DEP_2) | instskip(NEXT) | instid1(VALU_DEP_1)
	v_ldexp_f64 v[9:10], v[9:10], 32
	v_add_f64 v[9:10], v[9:10], v[13:14]
	global_store_b64 v[2:3], v[9:10], off
.LBB376_1743:
	s_and_not1_b32 vcc_lo, exec_lo, s0
	s_cbranch_vccnz .LBB376_1745
; %bb.1744:
	v_xor_b32_e32 v9, v0, v1
	v_cls_i32_e32 v10, v1
	s_delay_alu instid0(VALU_DEP_2) | instskip(NEXT) | instid1(VALU_DEP_2)
	v_ashrrev_i32_e32 v9, 31, v9
	v_add_nc_u32_e32 v10, -1, v10
	s_delay_alu instid0(VALU_DEP_2) | instskip(NEXT) | instid1(VALU_DEP_1)
	v_add_nc_u32_e32 v9, 32, v9
	v_min_u32_e32 v11, v10, v9
	s_delay_alu instid0(VALU_DEP_1) | instskip(NEXT) | instid1(VALU_DEP_1)
	v_lshlrev_b64 v[9:10], v11, v[0:1]
	v_min_u32_e32 v9, 1, v9
	s_delay_alu instid0(VALU_DEP_1) | instskip(SKIP_1) | instid1(VALU_DEP_2)
	v_or_b32_e32 v9, v10, v9
	v_sub_nc_u32_e32 v10, 32, v11
	v_cvt_f32_i32_e32 v9, v9
	s_delay_alu instid0(VALU_DEP_1)
	v_ldexp_f32 v9, v9, v10
	global_store_b32 v[2:3], v9, off
.LBB376_1745:
	s_mov_b32 s0, 0
.LBB376_1746:
	s_delay_alu instid0(SALU_CYCLE_1)
	s_and_not1_b32 vcc_lo, exec_lo, s0
	s_cbranch_vccnz .LBB376_1748
; %bb.1747:
	v_xor_b32_e32 v9, v0, v1
	v_cls_i32_e32 v10, v1
	s_delay_alu instid0(VALU_DEP_2) | instskip(NEXT) | instid1(VALU_DEP_2)
	v_ashrrev_i32_e32 v9, 31, v9
	v_add_nc_u32_e32 v10, -1, v10
	s_delay_alu instid0(VALU_DEP_2) | instskip(NEXT) | instid1(VALU_DEP_1)
	v_add_nc_u32_e32 v9, 32, v9
	v_min_u32_e32 v11, v10, v9
	s_delay_alu instid0(VALU_DEP_1) | instskip(NEXT) | instid1(VALU_DEP_1)
	v_lshlrev_b64 v[9:10], v11, v[0:1]
	v_min_u32_e32 v9, 1, v9
	s_delay_alu instid0(VALU_DEP_1) | instskip(SKIP_1) | instid1(VALU_DEP_2)
	v_or_b32_e32 v9, v10, v9
	v_sub_nc_u32_e32 v10, 32, v11
	v_cvt_f32_i32_e32 v9, v9
	s_delay_alu instid0(VALU_DEP_1) | instskip(NEXT) | instid1(VALU_DEP_1)
	v_ldexp_f32 v9, v9, v10
	v_cvt_f16_f32_e32 v9, v9
	global_store_b16 v[2:3], v9, off
.LBB376_1748:
	s_mov_b32 s0, 0
.LBB376_1749:
	s_delay_alu instid0(SALU_CYCLE_1)
	s_and_not1_b32 vcc_lo, exec_lo, s0
	s_cbranch_vccnz .LBB376_1765
; %bb.1750:
	v_cmp_gt_i16_e32 vcc_lo, 2, v12
	s_mov_b32 s0, -1
	s_cbranch_vccnz .LBB376_1760
; %bb.1751:
	v_cmp_gt_i16_e32 vcc_lo, 3, v12
	s_cbranch_vccnz .LBB376_1757
; %bb.1752:
	v_cmp_lt_i16_e32 vcc_lo, 3, v12
	s_cbranch_vccz .LBB376_1754
; %bb.1753:
	s_mov_b32 s0, 0
	global_store_b64 v[2:3], v[0:1], off
.LBB376_1754:
	s_and_not1_b32 vcc_lo, exec_lo, s0
	s_cbranch_vccnz .LBB376_1756
; %bb.1755:
	global_store_b32 v[2:3], v0, off
.LBB376_1756:
	s_mov_b32 s0, 0
.LBB376_1757:
	s_delay_alu instid0(SALU_CYCLE_1)
	s_and_not1_b32 vcc_lo, exec_lo, s0
	s_cbranch_vccnz .LBB376_1759
; %bb.1758:
	global_store_b16 v[2:3], v0, off
.LBB376_1759:
	s_mov_b32 s0, 0
.LBB376_1760:
	s_delay_alu instid0(SALU_CYCLE_1)
	s_and_not1_b32 vcc_lo, exec_lo, s0
	s_cbranch_vccnz .LBB376_1765
; %bb.1761:
	v_cmp_lt_i16_e32 vcc_lo, 0, v12
	s_mov_b32 s0, -1
	s_cbranch_vccz .LBB376_1763
; %bb.1762:
	s_mov_b32 s0, 0
	global_store_b8 v[2:3], v0, off
.LBB376_1763:
	s_and_not1_b32 vcc_lo, exec_lo, s0
	s_cbranch_vccnz .LBB376_1765
; %bb.1764:
	global_store_b8 v[2:3], v0, off
.LBB376_1765:
	s_mov_b32 s6, -1
.LBB376_1766:
	s_delay_alu instid0(SALU_CYCLE_1)
	s_and_not1_b32 vcc_lo, exec_lo, s6
	s_cbranch_vccnz .LBB376_1962
; %bb.1767:
	v_add_nc_u32_e32 v8, s1, v8
	v_cmp_lt_i64_e32 vcc_lo, s[10:11], v[4:5]
	v_cmp_gt_i16_e64 s0, 11, v12
	s_delay_alu instid0(VALU_DEP_3) | instskip(SKIP_3) | instid1(VALU_DEP_4)
	v_ashrrev_i32_e32 v3, 31, v8
	v_cndmask_b32_e32 v1, s11, v5, vcc_lo
	v_cndmask_b32_e32 v0, s10, v4, vcc_lo
	v_add_co_u32 v2, vcc_lo, s4, v8
	v_add_co_ci_u32_e32 v3, vcc_lo, s5, v3, vcc_lo
	s_and_b32 vcc_lo, exec_lo, s0
	s_cbranch_vccnz .LBB376_1845
; %bb.1768:
	v_cmp_lt_i16_e32 vcc_lo, 25, v12
	s_mov_b32 s7, -1
	s_mov_b32 s2, 0
	s_mov_b32 s6, 0
	;; [unrolled: 1-line block ×3, first 2 shown]
	s_cbranch_vccz .LBB376_1801
; %bb.1769:
	v_cmp_lt_i16_e32 vcc_lo, 28, v12
	s_cbranch_vccz .LBB376_1784
; %bb.1770:
	v_cmp_lt_i16_e32 vcc_lo, 43, v12
	;; [unrolled: 3-line block ×3, first 2 shown]
	s_cbranch_vccz .LBB376_1774
; %bb.1772:
	v_cmp_eq_u16_e32 vcc_lo, 46, v12
	s_mov_b32 s0, -1
	s_mov_b32 s7, 0
	s_cbranch_vccz .LBB376_1774
; %bb.1773:
	v_xor_b32_e32 v4, v0, v1
	v_cls_i32_e32 v5, v1
	s_mov_b32 s6, -1
	s_mov_b32 s0, 0
	s_delay_alu instid0(VALU_DEP_2) | instskip(NEXT) | instid1(VALU_DEP_2)
	v_ashrrev_i32_e32 v4, 31, v4
	v_add_nc_u32_e32 v5, -1, v5
	s_delay_alu instid0(VALU_DEP_2) | instskip(NEXT) | instid1(VALU_DEP_1)
	v_add_nc_u32_e32 v4, 32, v4
	v_min_u32_e32 v9, v5, v4
	s_delay_alu instid0(VALU_DEP_1) | instskip(NEXT) | instid1(VALU_DEP_1)
	v_lshlrev_b64 v[4:5], v9, v[0:1]
	v_min_u32_e32 v4, 1, v4
	s_delay_alu instid0(VALU_DEP_1) | instskip(SKIP_1) | instid1(VALU_DEP_2)
	v_or_b32_e32 v4, v5, v4
	v_sub_nc_u32_e32 v5, 32, v9
	v_cvt_f32_i32_e32 v4, v4
	s_delay_alu instid0(VALU_DEP_1) | instskip(NEXT) | instid1(VALU_DEP_1)
	v_ldexp_f32 v4, v4, v5
	v_bfe_u32 v5, v4, 16, 1
	s_delay_alu instid0(VALU_DEP_1) | instskip(NEXT) | instid1(VALU_DEP_1)
	v_add3_u32 v4, v4, v5, 0x7fff
	v_lshrrev_b32_e32 v4, 16, v4
	global_store_b32 v[2:3], v4, off
.LBB376_1774:
	s_and_b32 vcc_lo, exec_lo, s7
	s_cbranch_vccz .LBB376_1779
; %bb.1775:
	v_cmp_eq_u16_e32 vcc_lo, 44, v12
	s_mov_b32 s0, -1
	s_cbranch_vccz .LBB376_1779
; %bb.1776:
	v_xor_b32_e32 v4, v0, v1
	v_cls_i32_e32 v5, v1
	s_mov_b32 s6, -1
	s_mov_b32 s7, exec_lo
	s_delay_alu instid0(VALU_DEP_2) | instskip(NEXT) | instid1(VALU_DEP_2)
	v_ashrrev_i32_e32 v4, 31, v4
	v_add_nc_u32_e32 v5, -1, v5
	s_delay_alu instid0(VALU_DEP_2) | instskip(NEXT) | instid1(VALU_DEP_1)
	v_add_nc_u32_e32 v4, 32, v4
	v_min_u32_e32 v9, v5, v4
	s_delay_alu instid0(VALU_DEP_1) | instskip(NEXT) | instid1(VALU_DEP_1)
	v_lshlrev_b64 v[4:5], v9, v[0:1]
	v_min_u32_e32 v4, 1, v4
	s_delay_alu instid0(VALU_DEP_1) | instskip(SKIP_1) | instid1(VALU_DEP_2)
	v_or_b32_e32 v4, v5, v4
	v_sub_nc_u32_e32 v5, 32, v9
	v_cvt_f32_i32_e32 v4, v4
	s_delay_alu instid0(VALU_DEP_1) | instskip(SKIP_1) | instid1(VALU_DEP_2)
	v_ldexp_f32 v4, v4, v5
	v_mov_b32_e32 v5, 0xff
	v_bfe_u32 v9, v4, 23, 8
	s_delay_alu instid0(VALU_DEP_1)
	v_cmpx_ne_u32_e32 0xff, v9
; %bb.1777:
	v_and_b32_e32 v5, 0x400000, v4
	v_and_or_b32 v9, 0x3fffff, v4, v9
	v_lshrrev_b32_e32 v4, 23, v4
	s_delay_alu instid0(VALU_DEP_3) | instskip(NEXT) | instid1(VALU_DEP_3)
	v_cmp_ne_u32_e32 vcc_lo, 0, v5
	v_cmp_ne_u32_e64 s0, 0, v9
	s_delay_alu instid0(VALU_DEP_1) | instskip(NEXT) | instid1(SALU_CYCLE_1)
	s_and_b32 s0, vcc_lo, s0
	v_cndmask_b32_e64 v5, 0, 1, s0
	s_delay_alu instid0(VALU_DEP_1)
	v_add_nc_u32_e32 v5, v4, v5
; %bb.1778:
	s_or_b32 exec_lo, exec_lo, s7
	s_mov_b32 s0, 0
	global_store_b8 v[2:3], v5, off
.LBB376_1779:
	s_mov_b32 s7, 0
.LBB376_1780:
	s_delay_alu instid0(SALU_CYCLE_1)
	s_and_b32 vcc_lo, exec_lo, s7
	s_cbranch_vccz .LBB376_1783
; %bb.1781:
	v_cmp_eq_u16_e32 vcc_lo, 29, v12
	s_mov_b32 s0, -1
	s_cbranch_vccz .LBB376_1783
; %bb.1782:
	s_mov_b32 s0, 0
	s_mov_b32 s6, -1
	global_store_b64 v[2:3], v[0:1], off
.LBB376_1783:
	s_mov_b32 s7, 0
.LBB376_1784:
	s_delay_alu instid0(SALU_CYCLE_1)
	s_and_b32 vcc_lo, exec_lo, s7
	s_cbranch_vccz .LBB376_1800
; %bb.1785:
	v_cmp_gt_i16_e32 vcc_lo, 27, v12
	s_mov_b32 s6, -1
	s_cbranch_vccnz .LBB376_1791
; %bb.1786:
	v_cmp_lt_i16_e32 vcc_lo, 27, v12
	s_cbranch_vccz .LBB376_1788
; %bb.1787:
	s_mov_b32 s6, 0
	global_store_b32 v[2:3], v0, off
.LBB376_1788:
	s_and_not1_b32 vcc_lo, exec_lo, s6
	s_cbranch_vccnz .LBB376_1790
; %bb.1789:
	global_store_b16 v[2:3], v0, off
.LBB376_1790:
	s_mov_b32 s6, 0
.LBB376_1791:
	s_delay_alu instid0(SALU_CYCLE_1)
	s_and_not1_b32 vcc_lo, exec_lo, s6
	s_cbranch_vccnz .LBB376_1799
; %bb.1792:
	v_xor_b32_e32 v4, v0, v1
	v_cls_i32_e32 v5, v1
	s_mov_b32 s6, exec_lo
	s_delay_alu instid0(VALU_DEP_2) | instskip(NEXT) | instid1(VALU_DEP_2)
	v_ashrrev_i32_e32 v4, 31, v4
	v_add_nc_u32_e32 v5, -1, v5
	s_delay_alu instid0(VALU_DEP_2) | instskip(NEXT) | instid1(VALU_DEP_1)
	v_add_nc_u32_e32 v4, 32, v4
	v_min_u32_e32 v9, v5, v4
	s_delay_alu instid0(VALU_DEP_1) | instskip(NEXT) | instid1(VALU_DEP_1)
	v_lshlrev_b64 v[4:5], v9, v[0:1]
	v_min_u32_e32 v4, 1, v4
	s_delay_alu instid0(VALU_DEP_1) | instskip(SKIP_2) | instid1(VALU_DEP_3)
	v_or_b32_e32 v4, v5, v4
	v_sub_nc_u32_e32 v5, 32, v9
	v_mov_b32_e32 v9, 0x80
	v_cvt_f32_i32_e32 v4, v4
	s_delay_alu instid0(VALU_DEP_1) | instskip(NEXT) | instid1(VALU_DEP_1)
	v_ldexp_f32 v4, v4, v5
	v_and_b32_e32 v5, 0x7fffffff, v4
	s_delay_alu instid0(VALU_DEP_1)
	v_cmpx_gt_u32_e32 0x43800000, v5
	s_cbranch_execz .LBB376_1798
; %bb.1793:
	v_cmp_lt_u32_e32 vcc_lo, 0x3bffffff, v5
	s_mov_b32 s7, 0
                                        ; implicit-def: $vgpr5
	s_and_saveexec_b32 s8, vcc_lo
	s_delay_alu instid0(SALU_CYCLE_1)
	s_xor_b32 s8, exec_lo, s8
	s_cbranch_execz .LBB376_2026
; %bb.1794:
	v_bfe_u32 v5, v4, 20, 1
	s_mov_b32 s7, exec_lo
	s_delay_alu instid0(VALU_DEP_1) | instskip(NEXT) | instid1(VALU_DEP_1)
	v_add3_u32 v5, v4, v5, 0x487ffff
	v_lshrrev_b32_e32 v5, 20, v5
	s_or_saveexec_b32 s8, s8
                                        ; implicit-def: $sgpr9
	s_delay_alu instid0(SALU_CYCLE_1)
	s_xor_b32 exec_lo, exec_lo, s8
	s_cbranch_execnz .LBB376_2027
.LBB376_1795:
	s_or_b32 exec_lo, exec_lo, s8
	v_mov_b32_e32 v9, s9
	s_and_saveexec_b32 s8, s7
.LBB376_1796:
	v_lshrrev_b32_e32 v4, 24, v4
	s_delay_alu instid0(VALU_DEP_1)
	v_and_or_b32 v9, 0x80, v4, v5
.LBB376_1797:
	s_or_b32 exec_lo, exec_lo, s8
.LBB376_1798:
	s_delay_alu instid0(SALU_CYCLE_1)
	s_or_b32 exec_lo, exec_lo, s6
	global_store_b8 v[2:3], v9, off
.LBB376_1799:
	s_mov_b32 s6, -1
.LBB376_1800:
	s_mov_b32 s7, 0
.LBB376_1801:
	s_delay_alu instid0(SALU_CYCLE_1)
	s_and_b32 vcc_lo, exec_lo, s7
	s_cbranch_vccz .LBB376_1841
; %bb.1802:
	v_cmp_lt_i16_e32 vcc_lo, 22, v12
	s_mov_b32 s2, -1
	s_cbranch_vccz .LBB376_1834
; %bb.1803:
	v_cmp_gt_i16_e32 vcc_lo, 24, v12
	s_cbranch_vccnz .LBB376_1823
; %bb.1804:
	v_cmp_lt_i16_e32 vcc_lo, 24, v12
	s_cbranch_vccz .LBB376_1812
; %bb.1805:
	v_xor_b32_e32 v4, v0, v1
	v_cls_i32_e32 v5, v1
	s_mov_b32 s2, exec_lo
	s_delay_alu instid0(VALU_DEP_2) | instskip(NEXT) | instid1(VALU_DEP_2)
	v_ashrrev_i32_e32 v4, 31, v4
	v_add_nc_u32_e32 v5, -1, v5
	s_delay_alu instid0(VALU_DEP_2) | instskip(NEXT) | instid1(VALU_DEP_1)
	v_add_nc_u32_e32 v4, 32, v4
	v_min_u32_e32 v9, v5, v4
	s_delay_alu instid0(VALU_DEP_1) | instskip(NEXT) | instid1(VALU_DEP_1)
	v_lshlrev_b64 v[4:5], v9, v[0:1]
	v_min_u32_e32 v4, 1, v4
	s_delay_alu instid0(VALU_DEP_1) | instskip(SKIP_2) | instid1(VALU_DEP_3)
	v_or_b32_e32 v4, v5, v4
	v_sub_nc_u32_e32 v5, 32, v9
	v_mov_b32_e32 v9, 0x80
	v_cvt_f32_i32_e32 v4, v4
	s_delay_alu instid0(VALU_DEP_1) | instskip(NEXT) | instid1(VALU_DEP_1)
	v_ldexp_f32 v4, v4, v5
	v_and_b32_e32 v5, 0x7fffffff, v4
	s_delay_alu instid0(VALU_DEP_1)
	v_cmpx_gt_u32_e32 0x47800000, v5
	s_cbranch_execz .LBB376_1811
; %bb.1806:
	v_cmp_lt_u32_e32 vcc_lo, 0x37ffffff, v5
	s_mov_b32 s6, 0
                                        ; implicit-def: $vgpr5
	s_and_saveexec_b32 s7, vcc_lo
	s_delay_alu instid0(SALU_CYCLE_1)
	s_xor_b32 s7, exec_lo, s7
	s_cbranch_execz .LBB376_2032
; %bb.1807:
	v_bfe_u32 v5, v4, 21, 1
	s_mov_b32 s6, exec_lo
	s_delay_alu instid0(VALU_DEP_1) | instskip(NEXT) | instid1(VALU_DEP_1)
	v_add3_u32 v5, v4, v5, 0x88fffff
	v_lshrrev_b32_e32 v5, 21, v5
	s_or_saveexec_b32 s7, s7
                                        ; implicit-def: $sgpr8
	s_delay_alu instid0(SALU_CYCLE_1)
	s_xor_b32 exec_lo, exec_lo, s7
	s_cbranch_execnz .LBB376_2033
.LBB376_1808:
	s_or_b32 exec_lo, exec_lo, s7
	v_mov_b32_e32 v9, s8
	s_and_saveexec_b32 s7, s6
.LBB376_1809:
	v_lshrrev_b32_e32 v4, 24, v4
	s_delay_alu instid0(VALU_DEP_1)
	v_and_or_b32 v9, 0x80, v4, v5
.LBB376_1810:
	s_or_b32 exec_lo, exec_lo, s7
.LBB376_1811:
	s_delay_alu instid0(SALU_CYCLE_1)
	s_or_b32 exec_lo, exec_lo, s2
	s_mov_b32 s2, 0
	global_store_b8 v[2:3], v9, off
.LBB376_1812:
	s_and_b32 vcc_lo, exec_lo, s2
	s_cbranch_vccz .LBB376_1822
; %bb.1813:
	v_xor_b32_e32 v4, v0, v1
	v_cls_i32_e32 v5, v1
	s_mov_b32 s2, exec_lo
	s_delay_alu instid0(VALU_DEP_2) | instskip(NEXT) | instid1(VALU_DEP_2)
	v_ashrrev_i32_e32 v4, 31, v4
	v_add_nc_u32_e32 v5, -1, v5
	s_delay_alu instid0(VALU_DEP_2) | instskip(NEXT) | instid1(VALU_DEP_1)
	v_add_nc_u32_e32 v4, 32, v4
	v_min_u32_e32 v9, v5, v4
	s_delay_alu instid0(VALU_DEP_1) | instskip(NEXT) | instid1(VALU_DEP_1)
	v_lshlrev_b64 v[4:5], v9, v[0:1]
	v_min_u32_e32 v4, 1, v4
	s_delay_alu instid0(VALU_DEP_1) | instskip(SKIP_1) | instid1(VALU_DEP_2)
	v_or_b32_e32 v4, v5, v4
	v_sub_nc_u32_e32 v5, 32, v9
	v_cvt_f32_i32_e32 v4, v4
	s_delay_alu instid0(VALU_DEP_1) | instskip(NEXT) | instid1(VALU_DEP_1)
	v_ldexp_f32 v4, v4, v5
                                        ; implicit-def: $vgpr5
	v_and_b32_e32 v9, 0x7fffffff, v4
	s_delay_alu instid0(VALU_DEP_1)
	v_cmpx_gt_u32_e32 0x43f00000, v9
	s_xor_b32 s2, exec_lo, s2
	s_cbranch_execz .LBB376_1819
; %bb.1814:
	s_mov_b32 s6, exec_lo
                                        ; implicit-def: $vgpr5
	v_cmpx_lt_u32_e32 0x3c7fffff, v9
	s_xor_b32 s6, exec_lo, s6
; %bb.1815:
	v_bfe_u32 v5, v4, 20, 1
	s_delay_alu instid0(VALU_DEP_1) | instskip(NEXT) | instid1(VALU_DEP_1)
	v_add3_u32 v5, v4, v5, 0x407ffff
	v_and_b32_e32 v9, 0xff00000, v5
	v_lshrrev_b32_e32 v5, 20, v5
	s_delay_alu instid0(VALU_DEP_2) | instskip(NEXT) | instid1(VALU_DEP_2)
	v_cmp_ne_u32_e32 vcc_lo, 0x7f00000, v9
	v_cndmask_b32_e32 v5, 0x7e, v5, vcc_lo
; %bb.1816:
	s_and_not1_saveexec_b32 s6, s6
; %bb.1817:
	v_add_f32_e64 v5, 0x46800000, |v4|
; %bb.1818:
	s_or_b32 exec_lo, exec_lo, s6
                                        ; implicit-def: $vgpr9
.LBB376_1819:
	s_and_not1_saveexec_b32 s2, s2
; %bb.1820:
	v_mov_b32_e32 v5, 0x7f
	v_cmp_lt_u32_e32 vcc_lo, 0x7f800000, v9
	s_delay_alu instid0(VALU_DEP_2)
	v_cndmask_b32_e32 v5, 0x7e, v5, vcc_lo
; %bb.1821:
	s_or_b32 exec_lo, exec_lo, s2
	v_lshrrev_b32_e32 v4, 24, v4
	s_delay_alu instid0(VALU_DEP_1)
	v_and_or_b32 v4, 0x80, v4, v5
	global_store_b8 v[2:3], v4, off
.LBB376_1822:
	s_mov_b32 s2, 0
.LBB376_1823:
	s_delay_alu instid0(SALU_CYCLE_1)
	s_and_not1_b32 vcc_lo, exec_lo, s2
	s_cbranch_vccnz .LBB376_1833
; %bb.1824:
	v_xor_b32_e32 v4, v0, v1
	v_cls_i32_e32 v5, v1
	s_mov_b32 s2, exec_lo
	s_delay_alu instid0(VALU_DEP_2) | instskip(NEXT) | instid1(VALU_DEP_2)
	v_ashrrev_i32_e32 v4, 31, v4
	v_add_nc_u32_e32 v5, -1, v5
	s_delay_alu instid0(VALU_DEP_2) | instskip(NEXT) | instid1(VALU_DEP_1)
	v_add_nc_u32_e32 v4, 32, v4
	v_min_u32_e32 v9, v5, v4
	s_delay_alu instid0(VALU_DEP_1) | instskip(NEXT) | instid1(VALU_DEP_1)
	v_lshlrev_b64 v[4:5], v9, v[0:1]
	v_min_u32_e32 v4, 1, v4
	s_delay_alu instid0(VALU_DEP_1) | instskip(SKIP_1) | instid1(VALU_DEP_2)
	v_or_b32_e32 v4, v5, v4
	v_sub_nc_u32_e32 v5, 32, v9
	v_cvt_f32_i32_e32 v4, v4
	s_delay_alu instid0(VALU_DEP_1) | instskip(NEXT) | instid1(VALU_DEP_1)
	v_ldexp_f32 v4, v4, v5
                                        ; implicit-def: $vgpr5
	v_and_b32_e32 v9, 0x7fffffff, v4
	s_delay_alu instid0(VALU_DEP_1)
	v_cmpx_gt_u32_e32 0x47800000, v9
	s_xor_b32 s2, exec_lo, s2
	s_cbranch_execz .LBB376_1830
; %bb.1825:
	s_mov_b32 s6, exec_lo
                                        ; implicit-def: $vgpr5
	v_cmpx_lt_u32_e32 0x387fffff, v9
	s_xor_b32 s6, exec_lo, s6
; %bb.1826:
	v_bfe_u32 v5, v4, 21, 1
	s_delay_alu instid0(VALU_DEP_1) | instskip(NEXT) | instid1(VALU_DEP_1)
	v_add3_u32 v5, v4, v5, 0x80fffff
	v_lshrrev_b32_e32 v5, 21, v5
; %bb.1827:
	s_and_not1_saveexec_b32 s6, s6
; %bb.1828:
	v_add_f32_e64 v5, 0x43000000, |v4|
; %bb.1829:
	s_or_b32 exec_lo, exec_lo, s6
                                        ; implicit-def: $vgpr9
.LBB376_1830:
	s_and_not1_saveexec_b32 s2, s2
; %bb.1831:
	v_mov_b32_e32 v5, 0x7f
	v_cmp_lt_u32_e32 vcc_lo, 0x7f800000, v9
	s_delay_alu instid0(VALU_DEP_2)
	v_cndmask_b32_e32 v5, 0x7c, v5, vcc_lo
; %bb.1832:
	s_or_b32 exec_lo, exec_lo, s2
	v_lshrrev_b32_e32 v4, 24, v4
	s_delay_alu instid0(VALU_DEP_1)
	v_and_or_b32 v4, 0x80, v4, v5
	global_store_b8 v[2:3], v4, off
.LBB376_1833:
	s_mov_b32 s2, 0
	s_mov_b32 s6, -1
.LBB376_1834:
	s_and_not1_b32 vcc_lo, exec_lo, s2
	s_mov_b32 s2, 0
	s_cbranch_vccnz .LBB376_1841
; %bb.1835:
	v_cmp_lt_i16_e32 vcc_lo, 14, v12
	s_mov_b32 s2, -1
	s_cbranch_vccz .LBB376_1839
; %bb.1836:
	v_cmp_eq_u16_e32 vcc_lo, 15, v12
	s_mov_b32 s0, -1
	s_cbranch_vccz .LBB376_1838
; %bb.1837:
	v_xor_b32_e32 v4, v0, v1
	v_cls_i32_e32 v5, v1
	s_mov_b32 s6, -1
	s_mov_b32 s0, 0
	s_delay_alu instid0(VALU_DEP_2) | instskip(NEXT) | instid1(VALU_DEP_2)
	v_ashrrev_i32_e32 v4, 31, v4
	v_add_nc_u32_e32 v5, -1, v5
	s_delay_alu instid0(VALU_DEP_2) | instskip(NEXT) | instid1(VALU_DEP_1)
	v_add_nc_u32_e32 v4, 32, v4
	v_min_u32_e32 v9, v5, v4
	s_delay_alu instid0(VALU_DEP_1) | instskip(NEXT) | instid1(VALU_DEP_1)
	v_lshlrev_b64 v[4:5], v9, v[0:1]
	v_min_u32_e32 v4, 1, v4
	s_delay_alu instid0(VALU_DEP_1) | instskip(SKIP_1) | instid1(VALU_DEP_2)
	v_or_b32_e32 v4, v5, v4
	v_sub_nc_u32_e32 v5, 32, v9
	v_cvt_f32_i32_e32 v4, v4
	s_delay_alu instid0(VALU_DEP_1) | instskip(NEXT) | instid1(VALU_DEP_1)
	v_ldexp_f32 v4, v4, v5
	v_bfe_u32 v5, v4, 16, 1
	s_delay_alu instid0(VALU_DEP_1)
	v_add3_u32 v4, v4, v5, 0x7fff
	global_store_d16_hi_b16 v[2:3], v4, off
.LBB376_1838:
	s_mov_b32 s2, 0
.LBB376_1839:
	s_delay_alu instid0(SALU_CYCLE_1)
	s_and_b32 vcc_lo, exec_lo, s2
	s_mov_b32 s2, 0
	s_cbranch_vccz .LBB376_1841
; %bb.1840:
	v_cmp_ne_u16_e64 s0, 11, v12
	s_mov_b32 s2, -1
.LBB376_1841:
	s_delay_alu instid0(VALU_DEP_1)
	s_and_b32 vcc_lo, exec_lo, s0
	s_cbranch_vccnz .LBB376_2030
; %bb.1842:
	s_and_not1_b32 vcc_lo, exec_lo, s2
	s_cbranch_vccnz .LBB376_1844
.LBB376_1843:
	v_cmp_ne_u64_e32 vcc_lo, 0, v[0:1]
	s_mov_b32 s6, -1
	v_cndmask_b32_e64 v4, 0, 1, vcc_lo
	global_store_b8 v[2:3], v4, off
.LBB376_1844:
	s_mov_b32 s0, 0
	s_branch .LBB376_1846
.LBB376_1845:
	s_mov_b32 s0, -1
	s_mov_b32 s6, 0
.LBB376_1846:
	s_and_b32 vcc_lo, exec_lo, s0
	s_cbranch_vccz .LBB376_1885
; %bb.1847:
	v_cmp_gt_i16_e32 vcc_lo, 5, v12
	s_mov_b32 s0, -1
	s_cbranch_vccnz .LBB376_1868
; %bb.1848:
	v_cmp_gt_i16_e32 vcc_lo, 8, v12
	s_cbranch_vccnz .LBB376_1858
; %bb.1849:
	v_cmp_gt_i16_e32 vcc_lo, 9, v12
	s_cbranch_vccnz .LBB376_1855
; %bb.1850:
	v_cmp_lt_i16_e32 vcc_lo, 9, v12
	s_cbranch_vccz .LBB376_1852
; %bb.1851:
	v_cvt_f64_i32_e32 v[4:5], v1
	v_cvt_f64_u32_e32 v[9:10], v0
	v_mov_b32_e32 v15, 0
	s_mov_b32 s0, 0
	s_delay_alu instid0(VALU_DEP_1) | instskip(NEXT) | instid1(VALU_DEP_4)
	v_mov_b32_e32 v16, v15
	v_ldexp_f64 v[4:5], v[4:5], 32
	s_delay_alu instid0(VALU_DEP_1)
	v_add_f64 v[13:14], v[4:5], v[9:10]
	global_store_b128 v[2:3], v[13:16], off
.LBB376_1852:
	s_and_not1_b32 vcc_lo, exec_lo, s0
	s_cbranch_vccnz .LBB376_1854
; %bb.1853:
	v_xor_b32_e32 v4, v0, v1
	v_cls_i32_e32 v5, v1
	s_delay_alu instid0(VALU_DEP_2) | instskip(NEXT) | instid1(VALU_DEP_2)
	v_ashrrev_i32_e32 v4, 31, v4
	v_add_nc_u32_e32 v5, -1, v5
	s_delay_alu instid0(VALU_DEP_2) | instskip(NEXT) | instid1(VALU_DEP_1)
	v_add_nc_u32_e32 v4, 32, v4
	v_min_u32_e32 v9, v5, v4
	s_delay_alu instid0(VALU_DEP_1) | instskip(NEXT) | instid1(VALU_DEP_1)
	v_lshlrev_b64 v[4:5], v9, v[0:1]
	v_min_u32_e32 v4, 1, v4
	s_delay_alu instid0(VALU_DEP_1) | instskip(SKIP_1) | instid1(VALU_DEP_2)
	v_or_b32_e32 v4, v5, v4
	v_sub_nc_u32_e32 v5, 32, v9
	v_cvt_f32_i32_e32 v4, v4
	s_delay_alu instid0(VALU_DEP_1)
	v_ldexp_f32 v4, v4, v5
	v_mov_b32_e32 v5, 0
	global_store_b64 v[2:3], v[4:5], off
.LBB376_1854:
	s_mov_b32 s0, 0
.LBB376_1855:
	s_delay_alu instid0(SALU_CYCLE_1)
	s_and_not1_b32 vcc_lo, exec_lo, s0
	s_cbranch_vccnz .LBB376_1857
; %bb.1856:
	v_xor_b32_e32 v4, v0, v1
	v_cls_i32_e32 v5, v1
	s_delay_alu instid0(VALU_DEP_2) | instskip(NEXT) | instid1(VALU_DEP_2)
	v_ashrrev_i32_e32 v4, 31, v4
	v_add_nc_u32_e32 v5, -1, v5
	s_delay_alu instid0(VALU_DEP_2) | instskip(NEXT) | instid1(VALU_DEP_1)
	v_add_nc_u32_e32 v4, 32, v4
	v_min_u32_e32 v9, v5, v4
	s_delay_alu instid0(VALU_DEP_1) | instskip(NEXT) | instid1(VALU_DEP_1)
	v_lshlrev_b64 v[4:5], v9, v[0:1]
	v_min_u32_e32 v4, 1, v4
	s_delay_alu instid0(VALU_DEP_1) | instskip(SKIP_1) | instid1(VALU_DEP_2)
	v_or_b32_e32 v4, v5, v4
	v_sub_nc_u32_e32 v5, 32, v9
	v_cvt_f32_i32_e32 v4, v4
	s_delay_alu instid0(VALU_DEP_1) | instskip(NEXT) | instid1(VALU_DEP_1)
	v_ldexp_f32 v4, v4, v5
	v_cvt_f16_f32_e32 v4, v4
	s_delay_alu instid0(VALU_DEP_1)
	v_and_b32_e32 v4, 0xffff, v4
	global_store_b32 v[2:3], v4, off
.LBB376_1857:
	s_mov_b32 s0, 0
.LBB376_1858:
	s_delay_alu instid0(SALU_CYCLE_1)
	s_and_not1_b32 vcc_lo, exec_lo, s0
	s_cbranch_vccnz .LBB376_1867
; %bb.1859:
	v_cmp_gt_i16_e32 vcc_lo, 6, v12
	s_mov_b32 s0, -1
	s_cbranch_vccnz .LBB376_1865
; %bb.1860:
	v_cmp_lt_i16_e32 vcc_lo, 6, v12
	s_cbranch_vccz .LBB376_1862
; %bb.1861:
	v_cvt_f64_i32_e32 v[4:5], v1
	v_cvt_f64_u32_e32 v[9:10], v0
	s_mov_b32 s0, 0
	s_delay_alu instid0(VALU_DEP_2) | instskip(NEXT) | instid1(VALU_DEP_1)
	v_ldexp_f64 v[4:5], v[4:5], 32
	v_add_f64 v[4:5], v[4:5], v[9:10]
	global_store_b64 v[2:3], v[4:5], off
.LBB376_1862:
	s_and_not1_b32 vcc_lo, exec_lo, s0
	s_cbranch_vccnz .LBB376_1864
; %bb.1863:
	v_xor_b32_e32 v4, v0, v1
	v_cls_i32_e32 v5, v1
	s_delay_alu instid0(VALU_DEP_2) | instskip(NEXT) | instid1(VALU_DEP_2)
	v_ashrrev_i32_e32 v4, 31, v4
	v_add_nc_u32_e32 v5, -1, v5
	s_delay_alu instid0(VALU_DEP_2) | instskip(NEXT) | instid1(VALU_DEP_1)
	v_add_nc_u32_e32 v4, 32, v4
	v_min_u32_e32 v9, v5, v4
	s_delay_alu instid0(VALU_DEP_1) | instskip(NEXT) | instid1(VALU_DEP_1)
	v_lshlrev_b64 v[4:5], v9, v[0:1]
	v_min_u32_e32 v4, 1, v4
	s_delay_alu instid0(VALU_DEP_1) | instskip(SKIP_1) | instid1(VALU_DEP_2)
	v_or_b32_e32 v4, v5, v4
	v_sub_nc_u32_e32 v5, 32, v9
	v_cvt_f32_i32_e32 v4, v4
	s_delay_alu instid0(VALU_DEP_1)
	v_ldexp_f32 v4, v4, v5
	global_store_b32 v[2:3], v4, off
.LBB376_1864:
	s_mov_b32 s0, 0
.LBB376_1865:
	s_delay_alu instid0(SALU_CYCLE_1)
	s_and_not1_b32 vcc_lo, exec_lo, s0
	s_cbranch_vccnz .LBB376_1867
; %bb.1866:
	v_xor_b32_e32 v4, v0, v1
	v_cls_i32_e32 v5, v1
	s_delay_alu instid0(VALU_DEP_2) | instskip(NEXT) | instid1(VALU_DEP_2)
	v_ashrrev_i32_e32 v4, 31, v4
	v_add_nc_u32_e32 v5, -1, v5
	s_delay_alu instid0(VALU_DEP_2) | instskip(NEXT) | instid1(VALU_DEP_1)
	v_add_nc_u32_e32 v4, 32, v4
	v_min_u32_e32 v9, v5, v4
	s_delay_alu instid0(VALU_DEP_1) | instskip(NEXT) | instid1(VALU_DEP_1)
	v_lshlrev_b64 v[4:5], v9, v[0:1]
	v_min_u32_e32 v4, 1, v4
	s_delay_alu instid0(VALU_DEP_1) | instskip(SKIP_1) | instid1(VALU_DEP_2)
	v_or_b32_e32 v4, v5, v4
	v_sub_nc_u32_e32 v5, 32, v9
	v_cvt_f32_i32_e32 v4, v4
	s_delay_alu instid0(VALU_DEP_1) | instskip(NEXT) | instid1(VALU_DEP_1)
	v_ldexp_f32 v4, v4, v5
	v_cvt_f16_f32_e32 v4, v4
	global_store_b16 v[2:3], v4, off
.LBB376_1867:
	s_mov_b32 s0, 0
.LBB376_1868:
	s_delay_alu instid0(SALU_CYCLE_1)
	s_and_not1_b32 vcc_lo, exec_lo, s0
	s_cbranch_vccnz .LBB376_1884
; %bb.1869:
	v_cmp_gt_i16_e32 vcc_lo, 2, v12
	s_mov_b32 s0, -1
	s_cbranch_vccnz .LBB376_1879
; %bb.1870:
	v_cmp_gt_i16_e32 vcc_lo, 3, v12
	s_cbranch_vccnz .LBB376_1876
; %bb.1871:
	v_cmp_lt_i16_e32 vcc_lo, 3, v12
	s_cbranch_vccz .LBB376_1873
; %bb.1872:
	s_mov_b32 s0, 0
	global_store_b64 v[2:3], v[0:1], off
.LBB376_1873:
	s_and_not1_b32 vcc_lo, exec_lo, s0
	s_cbranch_vccnz .LBB376_1875
; %bb.1874:
	global_store_b32 v[2:3], v0, off
.LBB376_1875:
	s_mov_b32 s0, 0
.LBB376_1876:
	s_delay_alu instid0(SALU_CYCLE_1)
	s_and_not1_b32 vcc_lo, exec_lo, s0
	s_cbranch_vccnz .LBB376_1878
; %bb.1877:
	global_store_b16 v[2:3], v0, off
.LBB376_1878:
	s_mov_b32 s0, 0
.LBB376_1879:
	s_delay_alu instid0(SALU_CYCLE_1)
	s_and_not1_b32 vcc_lo, exec_lo, s0
	s_cbranch_vccnz .LBB376_1884
; %bb.1880:
	v_cmp_lt_i16_e32 vcc_lo, 0, v12
	s_mov_b32 s0, -1
	s_cbranch_vccz .LBB376_1882
; %bb.1881:
	s_mov_b32 s0, 0
	global_store_b8 v[2:3], v0, off
.LBB376_1882:
	s_and_not1_b32 vcc_lo, exec_lo, s0
	s_cbranch_vccnz .LBB376_1884
; %bb.1883:
	global_store_b8 v[2:3], v0, off
.LBB376_1884:
	s_mov_b32 s6, -1
.LBB376_1885:
	s_delay_alu instid0(SALU_CYCLE_1)
	s_and_not1_b32 vcc_lo, exec_lo, s6
	s_cbranch_vccnz .LBB376_1962
; %bb.1886:
	v_add_nc_u32_e32 v2, s1, v8
	v_cmp_lt_i64_e32 vcc_lo, s[10:11], v[6:7]
	v_cmp_gt_i16_e64 s0, 11, v12
	s_delay_alu instid0(VALU_DEP_3) | instskip(SKIP_3) | instid1(VALU_DEP_4)
	v_ashrrev_i32_e32 v3, 31, v2
	v_cndmask_b32_e32 v1, s11, v7, vcc_lo
	v_cndmask_b32_e32 v0, s10, v6, vcc_lo
	v_add_co_u32 v2, vcc_lo, s4, v2
	v_add_co_ci_u32_e32 v3, vcc_lo, s5, v3, vcc_lo
	s_and_b32 vcc_lo, exec_lo, s0
	s_cbranch_vccnz .LBB376_2007
; %bb.1887:
	v_cmp_lt_i16_e32 vcc_lo, 25, v12
	s_mov_b32 s2, -1
	s_mov_b32 s1, 0
	s_mov_b32 s0, 0
	s_cbranch_vccz .LBB376_1920
; %bb.1888:
	v_cmp_lt_i16_e32 vcc_lo, 28, v12
	s_cbranch_vccz .LBB376_1904
; %bb.1889:
	v_cmp_lt_i16_e32 vcc_lo, 43, v12
	;; [unrolled: 3-line block ×3, first 2 shown]
	s_cbranch_vccz .LBB376_1894
; %bb.1891:
	v_cmp_eq_u16_e32 vcc_lo, 46, v12
	s_mov_b32 s0, -1
	s_cbranch_vccz .LBB376_1893
; %bb.1892:
	v_xor_b32_e32 v4, v0, v1
	v_cls_i32_e32 v5, v1
	s_mov_b32 s0, 0
	s_delay_alu instid0(VALU_DEP_2) | instskip(NEXT) | instid1(VALU_DEP_2)
	v_ashrrev_i32_e32 v4, 31, v4
	v_add_nc_u32_e32 v5, -1, v5
	s_delay_alu instid0(VALU_DEP_2) | instskip(NEXT) | instid1(VALU_DEP_1)
	v_add_nc_u32_e32 v4, 32, v4
	v_min_u32_e32 v6, v5, v4
	s_delay_alu instid0(VALU_DEP_1) | instskip(NEXT) | instid1(VALU_DEP_1)
	v_lshlrev_b64 v[4:5], v6, v[0:1]
	v_min_u32_e32 v4, 1, v4
	s_delay_alu instid0(VALU_DEP_1) | instskip(SKIP_1) | instid1(VALU_DEP_2)
	v_or_b32_e32 v4, v5, v4
	v_sub_nc_u32_e32 v5, 32, v6
	v_cvt_f32_i32_e32 v4, v4
	s_delay_alu instid0(VALU_DEP_1) | instskip(NEXT) | instid1(VALU_DEP_1)
	v_ldexp_f32 v4, v4, v5
	v_bfe_u32 v5, v4, 16, 1
	s_delay_alu instid0(VALU_DEP_1) | instskip(NEXT) | instid1(VALU_DEP_1)
	v_add3_u32 v4, v4, v5, 0x7fff
	v_lshrrev_b32_e32 v4, 16, v4
	global_store_b32 v[2:3], v4, off
.LBB376_1893:
	s_mov_b32 s2, 0
.LBB376_1894:
	s_delay_alu instid0(SALU_CYCLE_1)
	s_and_b32 vcc_lo, exec_lo, s2
	s_cbranch_vccz .LBB376_1899
; %bb.1895:
	v_cmp_eq_u16_e32 vcc_lo, 44, v12
	s_mov_b32 s0, -1
	s_cbranch_vccz .LBB376_1899
; %bb.1896:
	v_xor_b32_e32 v4, v0, v1
	v_cls_i32_e32 v5, v1
	s_mov_b32 s2, exec_lo
	s_delay_alu instid0(VALU_DEP_2) | instskip(NEXT) | instid1(VALU_DEP_2)
	v_ashrrev_i32_e32 v4, 31, v4
	v_add_nc_u32_e32 v5, -1, v5
	s_delay_alu instid0(VALU_DEP_2) | instskip(NEXT) | instid1(VALU_DEP_1)
	v_add_nc_u32_e32 v4, 32, v4
	v_min_u32_e32 v6, v5, v4
	s_delay_alu instid0(VALU_DEP_1) | instskip(NEXT) | instid1(VALU_DEP_1)
	v_lshlrev_b64 v[4:5], v6, v[0:1]
	v_min_u32_e32 v4, 1, v4
	s_delay_alu instid0(VALU_DEP_1) | instskip(SKIP_1) | instid1(VALU_DEP_2)
	v_or_b32_e32 v4, v5, v4
	v_sub_nc_u32_e32 v5, 32, v6
	v_cvt_f32_i32_e32 v4, v4
	s_delay_alu instid0(VALU_DEP_1) | instskip(SKIP_1) | instid1(VALU_DEP_2)
	v_ldexp_f32 v4, v4, v5
	v_mov_b32_e32 v5, 0xff
	v_bfe_u32 v6, v4, 23, 8
	s_delay_alu instid0(VALU_DEP_1)
	v_cmpx_ne_u32_e32 0xff, v6
; %bb.1897:
	v_and_b32_e32 v5, 0x400000, v4
	v_and_or_b32 v6, 0x3fffff, v4, v6
	v_lshrrev_b32_e32 v4, 23, v4
	s_delay_alu instid0(VALU_DEP_3) | instskip(NEXT) | instid1(VALU_DEP_3)
	v_cmp_ne_u32_e32 vcc_lo, 0, v5
	v_cmp_ne_u32_e64 s0, 0, v6
	s_delay_alu instid0(VALU_DEP_1) | instskip(NEXT) | instid1(SALU_CYCLE_1)
	s_and_b32 s0, vcc_lo, s0
	v_cndmask_b32_e64 v5, 0, 1, s0
	s_delay_alu instid0(VALU_DEP_1)
	v_add_nc_u32_e32 v5, v4, v5
; %bb.1898:
	s_or_b32 exec_lo, exec_lo, s2
	s_mov_b32 s0, 0
	global_store_b8 v[2:3], v5, off
.LBB376_1899:
	s_mov_b32 s2, 0
.LBB376_1900:
	s_delay_alu instid0(SALU_CYCLE_1)
	s_and_b32 vcc_lo, exec_lo, s2
	s_cbranch_vccz .LBB376_1903
; %bb.1901:
	v_cmp_eq_u16_e32 vcc_lo, 29, v12
	s_mov_b32 s0, -1
	s_cbranch_vccz .LBB376_1903
; %bb.1902:
	s_mov_b32 s0, 0
	global_store_b64 v[2:3], v[0:1], off
.LBB376_1903:
	s_mov_b32 s2, 0
.LBB376_1904:
	s_delay_alu instid0(SALU_CYCLE_1)
	s_and_b32 vcc_lo, exec_lo, s2
	s_cbranch_vccz .LBB376_1919
; %bb.1905:
	v_cmp_gt_i16_e32 vcc_lo, 27, v12
	s_mov_b32 s2, -1
	s_cbranch_vccnz .LBB376_1911
; %bb.1906:
	v_cmp_lt_i16_e32 vcc_lo, 27, v12
	s_cbranch_vccz .LBB376_1908
; %bb.1907:
	s_mov_b32 s2, 0
	global_store_b32 v[2:3], v0, off
.LBB376_1908:
	s_and_not1_b32 vcc_lo, exec_lo, s2
	s_cbranch_vccnz .LBB376_1910
; %bb.1909:
	global_store_b16 v[2:3], v0, off
.LBB376_1910:
	s_mov_b32 s2, 0
.LBB376_1911:
	s_delay_alu instid0(SALU_CYCLE_1)
	s_and_not1_b32 vcc_lo, exec_lo, s2
	s_cbranch_vccnz .LBB376_1919
; %bb.1912:
	v_xor_b32_e32 v4, v0, v1
	v_cls_i32_e32 v5, v1
	s_mov_b32 s2, exec_lo
	s_delay_alu instid0(VALU_DEP_2) | instskip(NEXT) | instid1(VALU_DEP_2)
	v_ashrrev_i32_e32 v4, 31, v4
	v_add_nc_u32_e32 v5, -1, v5
	s_delay_alu instid0(VALU_DEP_2) | instskip(NEXT) | instid1(VALU_DEP_1)
	v_add_nc_u32_e32 v4, 32, v4
	v_min_u32_e32 v6, v5, v4
	s_delay_alu instid0(VALU_DEP_1) | instskip(NEXT) | instid1(VALU_DEP_1)
	v_lshlrev_b64 v[4:5], v6, v[0:1]
	v_min_u32_e32 v4, 1, v4
	s_delay_alu instid0(VALU_DEP_1) | instskip(SKIP_2) | instid1(VALU_DEP_3)
	v_or_b32_e32 v4, v5, v4
	v_sub_nc_u32_e32 v5, 32, v6
	v_mov_b32_e32 v6, 0x80
	v_cvt_f32_i32_e32 v4, v4
	s_delay_alu instid0(VALU_DEP_1) | instskip(NEXT) | instid1(VALU_DEP_1)
	v_ldexp_f32 v4, v4, v5
	v_and_b32_e32 v5, 0x7fffffff, v4
	s_delay_alu instid0(VALU_DEP_1)
	v_cmpx_gt_u32_e32 0x43800000, v5
	s_cbranch_execz .LBB376_1918
; %bb.1913:
	v_cmp_lt_u32_e32 vcc_lo, 0x3bffffff, v5
	s_mov_b32 s4, 0
                                        ; implicit-def: $vgpr5
	s_and_saveexec_b32 s5, vcc_lo
	s_delay_alu instid0(SALU_CYCLE_1)
	s_xor_b32 s5, exec_lo, s5
	s_cbranch_execz .LBB376_2034
; %bb.1914:
	v_bfe_u32 v5, v4, 20, 1
	s_mov_b32 s4, exec_lo
	s_delay_alu instid0(VALU_DEP_1) | instskip(NEXT) | instid1(VALU_DEP_1)
	v_add3_u32 v5, v4, v5, 0x487ffff
	v_lshrrev_b32_e32 v5, 20, v5
	s_or_saveexec_b32 s5, s5
                                        ; implicit-def: $sgpr6
	s_delay_alu instid0(SALU_CYCLE_1)
	s_xor_b32 exec_lo, exec_lo, s5
	s_cbranch_execnz .LBB376_2035
.LBB376_1915:
	s_or_b32 exec_lo, exec_lo, s5
	v_mov_b32_e32 v6, s6
	s_and_saveexec_b32 s5, s4
.LBB376_1916:
	v_lshrrev_b32_e32 v4, 24, v4
	s_delay_alu instid0(VALU_DEP_1)
	v_and_or_b32 v6, 0x80, v4, v5
.LBB376_1917:
	s_or_b32 exec_lo, exec_lo, s5
.LBB376_1918:
	s_delay_alu instid0(SALU_CYCLE_1)
	s_or_b32 exec_lo, exec_lo, s2
	global_store_b8 v[2:3], v6, off
.LBB376_1919:
	s_mov_b32 s2, 0
.LBB376_1920:
	s_delay_alu instid0(SALU_CYCLE_1)
	s_and_b32 vcc_lo, exec_lo, s2
	s_cbranch_vccz .LBB376_1960
; %bb.1921:
	v_cmp_lt_i16_e32 vcc_lo, 22, v12
	s_mov_b32 s1, -1
	s_cbranch_vccz .LBB376_1953
; %bb.1922:
	v_cmp_gt_i16_e32 vcc_lo, 24, v12
	s_cbranch_vccnz .LBB376_1942
; %bb.1923:
	v_cmp_lt_i16_e32 vcc_lo, 24, v12
	s_cbranch_vccz .LBB376_1931
; %bb.1924:
	v_xor_b32_e32 v4, v0, v1
	v_cls_i32_e32 v5, v1
	s_mov_b32 s1, exec_lo
	s_delay_alu instid0(VALU_DEP_2) | instskip(NEXT) | instid1(VALU_DEP_2)
	v_ashrrev_i32_e32 v4, 31, v4
	v_add_nc_u32_e32 v5, -1, v5
	s_delay_alu instid0(VALU_DEP_2) | instskip(NEXT) | instid1(VALU_DEP_1)
	v_add_nc_u32_e32 v4, 32, v4
	v_min_u32_e32 v6, v5, v4
	s_delay_alu instid0(VALU_DEP_1) | instskip(NEXT) | instid1(VALU_DEP_1)
	v_lshlrev_b64 v[4:5], v6, v[0:1]
	v_min_u32_e32 v4, 1, v4
	s_delay_alu instid0(VALU_DEP_1) | instskip(SKIP_2) | instid1(VALU_DEP_3)
	v_or_b32_e32 v4, v5, v4
	v_sub_nc_u32_e32 v5, 32, v6
	v_mov_b32_e32 v6, 0x80
	v_cvt_f32_i32_e32 v4, v4
	s_delay_alu instid0(VALU_DEP_1) | instskip(NEXT) | instid1(VALU_DEP_1)
	v_ldexp_f32 v4, v4, v5
	v_and_b32_e32 v5, 0x7fffffff, v4
	s_delay_alu instid0(VALU_DEP_1)
	v_cmpx_gt_u32_e32 0x47800000, v5
	s_cbranch_execz .LBB376_1930
; %bb.1925:
	v_cmp_lt_u32_e32 vcc_lo, 0x37ffffff, v5
	s_mov_b32 s2, 0
                                        ; implicit-def: $vgpr5
	s_and_saveexec_b32 s4, vcc_lo
	s_delay_alu instid0(SALU_CYCLE_1)
	s_xor_b32 s4, exec_lo, s4
	s_cbranch_execz .LBB376_2040
; %bb.1926:
	v_bfe_u32 v5, v4, 21, 1
	s_mov_b32 s2, exec_lo
	s_delay_alu instid0(VALU_DEP_1) | instskip(NEXT) | instid1(VALU_DEP_1)
	v_add3_u32 v5, v4, v5, 0x88fffff
	v_lshrrev_b32_e32 v5, 21, v5
	s_or_saveexec_b32 s4, s4
                                        ; implicit-def: $sgpr5
	s_delay_alu instid0(SALU_CYCLE_1)
	s_xor_b32 exec_lo, exec_lo, s4
	s_cbranch_execnz .LBB376_2041
.LBB376_1927:
	s_or_b32 exec_lo, exec_lo, s4
	v_mov_b32_e32 v6, s5
	s_and_saveexec_b32 s4, s2
.LBB376_1928:
	v_lshrrev_b32_e32 v4, 24, v4
	s_delay_alu instid0(VALU_DEP_1)
	v_and_or_b32 v6, 0x80, v4, v5
.LBB376_1929:
	s_or_b32 exec_lo, exec_lo, s4
.LBB376_1930:
	s_delay_alu instid0(SALU_CYCLE_1)
	s_or_b32 exec_lo, exec_lo, s1
	s_mov_b32 s1, 0
	global_store_b8 v[2:3], v6, off
.LBB376_1931:
	s_and_b32 vcc_lo, exec_lo, s1
	s_cbranch_vccz .LBB376_1941
; %bb.1932:
	v_xor_b32_e32 v4, v0, v1
	v_cls_i32_e32 v5, v1
	s_mov_b32 s1, exec_lo
	s_delay_alu instid0(VALU_DEP_2) | instskip(NEXT) | instid1(VALU_DEP_2)
	v_ashrrev_i32_e32 v4, 31, v4
	v_add_nc_u32_e32 v5, -1, v5
	s_delay_alu instid0(VALU_DEP_2) | instskip(NEXT) | instid1(VALU_DEP_1)
	v_add_nc_u32_e32 v4, 32, v4
	v_min_u32_e32 v6, v5, v4
	s_delay_alu instid0(VALU_DEP_1) | instskip(NEXT) | instid1(VALU_DEP_1)
	v_lshlrev_b64 v[4:5], v6, v[0:1]
	v_min_u32_e32 v4, 1, v4
	s_delay_alu instid0(VALU_DEP_1) | instskip(SKIP_1) | instid1(VALU_DEP_2)
	v_or_b32_e32 v4, v5, v4
	v_sub_nc_u32_e32 v5, 32, v6
	v_cvt_f32_i32_e32 v4, v4
	s_delay_alu instid0(VALU_DEP_1) | instskip(NEXT) | instid1(VALU_DEP_1)
	v_ldexp_f32 v4, v4, v5
                                        ; implicit-def: $vgpr5
	v_and_b32_e32 v6, 0x7fffffff, v4
	s_delay_alu instid0(VALU_DEP_1)
	v_cmpx_gt_u32_e32 0x43f00000, v6
	s_xor_b32 s1, exec_lo, s1
	s_cbranch_execz .LBB376_1938
; %bb.1933:
	s_mov_b32 s2, exec_lo
                                        ; implicit-def: $vgpr5
	v_cmpx_lt_u32_e32 0x3c7fffff, v6
	s_xor_b32 s2, exec_lo, s2
; %bb.1934:
	v_bfe_u32 v5, v4, 20, 1
	s_delay_alu instid0(VALU_DEP_1) | instskip(NEXT) | instid1(VALU_DEP_1)
	v_add3_u32 v5, v4, v5, 0x407ffff
	v_and_b32_e32 v6, 0xff00000, v5
	v_lshrrev_b32_e32 v5, 20, v5
	s_delay_alu instid0(VALU_DEP_2) | instskip(NEXT) | instid1(VALU_DEP_2)
	v_cmp_ne_u32_e32 vcc_lo, 0x7f00000, v6
	v_cndmask_b32_e32 v5, 0x7e, v5, vcc_lo
; %bb.1935:
	s_and_not1_saveexec_b32 s2, s2
; %bb.1936:
	v_add_f32_e64 v5, 0x46800000, |v4|
; %bb.1937:
	s_or_b32 exec_lo, exec_lo, s2
                                        ; implicit-def: $vgpr6
.LBB376_1938:
	s_and_not1_saveexec_b32 s1, s1
; %bb.1939:
	v_mov_b32_e32 v5, 0x7f
	v_cmp_lt_u32_e32 vcc_lo, 0x7f800000, v6
	s_delay_alu instid0(VALU_DEP_2)
	v_cndmask_b32_e32 v5, 0x7e, v5, vcc_lo
; %bb.1940:
	s_or_b32 exec_lo, exec_lo, s1
	v_lshrrev_b32_e32 v4, 24, v4
	s_delay_alu instid0(VALU_DEP_1)
	v_and_or_b32 v4, 0x80, v4, v5
	global_store_b8 v[2:3], v4, off
.LBB376_1941:
	s_mov_b32 s1, 0
.LBB376_1942:
	s_delay_alu instid0(SALU_CYCLE_1)
	s_and_not1_b32 vcc_lo, exec_lo, s1
	s_cbranch_vccnz .LBB376_1952
; %bb.1943:
	v_xor_b32_e32 v4, v0, v1
	v_cls_i32_e32 v5, v1
	s_mov_b32 s1, exec_lo
	s_delay_alu instid0(VALU_DEP_2) | instskip(NEXT) | instid1(VALU_DEP_2)
	v_ashrrev_i32_e32 v4, 31, v4
	v_add_nc_u32_e32 v5, -1, v5
	s_delay_alu instid0(VALU_DEP_2) | instskip(NEXT) | instid1(VALU_DEP_1)
	v_add_nc_u32_e32 v4, 32, v4
	v_min_u32_e32 v6, v5, v4
	s_delay_alu instid0(VALU_DEP_1) | instskip(NEXT) | instid1(VALU_DEP_1)
	v_lshlrev_b64 v[4:5], v6, v[0:1]
	v_min_u32_e32 v4, 1, v4
	s_delay_alu instid0(VALU_DEP_1) | instskip(SKIP_1) | instid1(VALU_DEP_2)
	v_or_b32_e32 v4, v5, v4
	v_sub_nc_u32_e32 v5, 32, v6
	v_cvt_f32_i32_e32 v4, v4
	s_delay_alu instid0(VALU_DEP_1) | instskip(NEXT) | instid1(VALU_DEP_1)
	v_ldexp_f32 v4, v4, v5
                                        ; implicit-def: $vgpr5
	v_and_b32_e32 v6, 0x7fffffff, v4
	s_delay_alu instid0(VALU_DEP_1)
	v_cmpx_gt_u32_e32 0x47800000, v6
	s_xor_b32 s1, exec_lo, s1
	s_cbranch_execz .LBB376_1949
; %bb.1944:
	s_mov_b32 s2, exec_lo
                                        ; implicit-def: $vgpr5
	v_cmpx_lt_u32_e32 0x387fffff, v6
	s_xor_b32 s2, exec_lo, s2
; %bb.1945:
	v_bfe_u32 v5, v4, 21, 1
	s_delay_alu instid0(VALU_DEP_1) | instskip(NEXT) | instid1(VALU_DEP_1)
	v_add3_u32 v5, v4, v5, 0x80fffff
	v_lshrrev_b32_e32 v5, 21, v5
; %bb.1946:
	s_and_not1_saveexec_b32 s2, s2
; %bb.1947:
	v_add_f32_e64 v5, 0x43000000, |v4|
; %bb.1948:
	s_or_b32 exec_lo, exec_lo, s2
                                        ; implicit-def: $vgpr6
.LBB376_1949:
	s_and_not1_saveexec_b32 s1, s1
; %bb.1950:
	v_mov_b32_e32 v5, 0x7f
	v_cmp_lt_u32_e32 vcc_lo, 0x7f800000, v6
	s_delay_alu instid0(VALU_DEP_2)
	v_cndmask_b32_e32 v5, 0x7c, v5, vcc_lo
; %bb.1951:
	s_or_b32 exec_lo, exec_lo, s1
	v_lshrrev_b32_e32 v4, 24, v4
	s_delay_alu instid0(VALU_DEP_1)
	v_and_or_b32 v4, 0x80, v4, v5
	global_store_b8 v[2:3], v4, off
.LBB376_1952:
	s_mov_b32 s1, 0
.LBB376_1953:
	s_delay_alu instid0(SALU_CYCLE_1)
	s_and_not1_b32 vcc_lo, exec_lo, s1
	s_mov_b32 s1, 0
	s_cbranch_vccnz .LBB376_1960
; %bb.1954:
	v_cmp_lt_i16_e32 vcc_lo, 14, v12
	s_mov_b32 s1, -1
	s_cbranch_vccz .LBB376_1958
; %bb.1955:
	v_cmp_eq_u16_e32 vcc_lo, 15, v12
	s_mov_b32 s0, -1
	s_cbranch_vccz .LBB376_1957
; %bb.1956:
	v_xor_b32_e32 v4, v0, v1
	v_cls_i32_e32 v5, v1
	s_mov_b32 s0, 0
	s_delay_alu instid0(VALU_DEP_2) | instskip(NEXT) | instid1(VALU_DEP_2)
	v_ashrrev_i32_e32 v4, 31, v4
	v_add_nc_u32_e32 v5, -1, v5
	s_delay_alu instid0(VALU_DEP_2) | instskip(NEXT) | instid1(VALU_DEP_1)
	v_add_nc_u32_e32 v4, 32, v4
	v_min_u32_e32 v6, v5, v4
	s_delay_alu instid0(VALU_DEP_1) | instskip(NEXT) | instid1(VALU_DEP_1)
	v_lshlrev_b64 v[4:5], v6, v[0:1]
	v_min_u32_e32 v4, 1, v4
	s_delay_alu instid0(VALU_DEP_1) | instskip(SKIP_1) | instid1(VALU_DEP_2)
	v_or_b32_e32 v4, v5, v4
	v_sub_nc_u32_e32 v5, 32, v6
	v_cvt_f32_i32_e32 v4, v4
	s_delay_alu instid0(VALU_DEP_1) | instskip(NEXT) | instid1(VALU_DEP_1)
	v_ldexp_f32 v4, v4, v5
	v_bfe_u32 v5, v4, 16, 1
	s_delay_alu instid0(VALU_DEP_1)
	v_add3_u32 v4, v4, v5, 0x7fff
	global_store_d16_hi_b16 v[2:3], v4, off
.LBB376_1957:
	s_mov_b32 s1, 0
.LBB376_1958:
	s_delay_alu instid0(SALU_CYCLE_1)
	s_and_b32 vcc_lo, exec_lo, s1
	s_mov_b32 s1, 0
	s_cbranch_vccz .LBB376_1960
; %bb.1959:
	v_cmp_ne_u16_e64 s0, 11, v12
	s_mov_b32 s1, -1
.LBB376_1960:
	s_delay_alu instid0(VALU_DEP_1)
	s_and_b32 vcc_lo, exec_lo, s0
	s_cbranch_vccnz .LBB376_2038
.LBB376_1961:
	s_mov_b32 s0, 0
	s_branch .LBB376_1963
.LBB376_1962:
	s_mov_b32 s0, 0
	s_mov_b32 s1, 0
                                        ; implicit-def: $vgpr12
                                        ; implicit-def: $vgpr2_vgpr3
                                        ; implicit-def: $vgpr0_vgpr1
.LBB376_1963:
	s_and_not1_b32 s2, s13, exec_lo
	s_and_b32 s4, s3, exec_lo
	s_and_b32 s0, s0, exec_lo
	;; [unrolled: 1-line block ×3, first 2 shown]
	s_or_b32 s13, s2, s4
.LBB376_1964:
	s_or_b32 exec_lo, exec_lo, s12
	s_and_saveexec_b32 s1, s13
	s_cbranch_execz .LBB376_1967
; %bb.1965:
	; divergent unreachable
	s_or_b32 exec_lo, exec_lo, s1
	s_and_saveexec_b32 s1, s3
	s_delay_alu instid0(SALU_CYCLE_1)
	s_xor_b32 s1, exec_lo, s1
	s_cbranch_execnz .LBB376_1968
.LBB376_1966:
	s_or_b32 exec_lo, exec_lo, s1
	s_and_saveexec_b32 s1, s0
	s_cbranch_execnz .LBB376_1969
	s_branch .LBB376_2006
.LBB376_1967:
	s_or_b32 exec_lo, exec_lo, s1
	s_and_saveexec_b32 s1, s3
	s_delay_alu instid0(SALU_CYCLE_1)
	s_xor_b32 s1, exec_lo, s1
	s_cbranch_execz .LBB376_1966
.LBB376_1968:
	s_waitcnt vmcnt(0)
	v_cmp_ne_u64_e32 vcc_lo, 0, v[0:1]
	v_cndmask_b32_e64 v4, 0, 1, vcc_lo
	global_store_b8 v[2:3], v4, off
	s_or_b32 exec_lo, exec_lo, s1
	s_and_saveexec_b32 s1, s0
	s_cbranch_execz .LBB376_2006
.LBB376_1969:
	v_cmp_gt_i16_e32 vcc_lo, 5, v12
	s_mov_b32 s0, -1
	s_cbranch_vccnz .LBB376_1990
; %bb.1970:
	v_cmp_gt_i16_e32 vcc_lo, 8, v12
	s_cbranch_vccnz .LBB376_1980
; %bb.1971:
	v_cmp_gt_i16_e32 vcc_lo, 9, v12
	s_cbranch_vccnz .LBB376_1977
; %bb.1972:
	v_cmp_lt_i16_e32 vcc_lo, 9, v12
	s_cbranch_vccz .LBB376_1974
; %bb.1973:
	s_waitcnt vmcnt(0)
	v_cvt_f64_i32_e32 v[4:5], v1
	v_cvt_f64_u32_e32 v[6:7], v0
	s_mov_b32 s0, 0
	s_delay_alu instid0(VALU_DEP_2) | instskip(NEXT) | instid1(VALU_DEP_1)
	v_ldexp_f64 v[4:5], v[4:5], 32
	v_add_f64 v[4:5], v[4:5], v[6:7]
	v_mov_b32_e32 v6, 0
	s_delay_alu instid0(VALU_DEP_1)
	v_mov_b32_e32 v7, v6
	global_store_b128 v[2:3], v[4:7], off
.LBB376_1974:
	s_and_not1_b32 vcc_lo, exec_lo, s0
	s_cbranch_vccnz .LBB376_1976
; %bb.1975:
	s_waitcnt vmcnt(0)
	v_xor_b32_e32 v4, v0, v1
	v_cls_i32_e32 v5, v1
	s_delay_alu instid0(VALU_DEP_2) | instskip(NEXT) | instid1(VALU_DEP_2)
	v_ashrrev_i32_e32 v4, 31, v4
	v_add_nc_u32_e32 v5, -1, v5
	s_delay_alu instid0(VALU_DEP_2) | instskip(NEXT) | instid1(VALU_DEP_1)
	v_add_nc_u32_e32 v4, 32, v4
	v_min_u32_e32 v6, v5, v4
	s_delay_alu instid0(VALU_DEP_1) | instskip(NEXT) | instid1(VALU_DEP_1)
	v_lshlrev_b64 v[4:5], v6, v[0:1]
	v_min_u32_e32 v4, 1, v4
	s_delay_alu instid0(VALU_DEP_1) | instskip(SKIP_1) | instid1(VALU_DEP_2)
	v_or_b32_e32 v4, v5, v4
	v_sub_nc_u32_e32 v5, 32, v6
	v_cvt_f32_i32_e32 v4, v4
	s_delay_alu instid0(VALU_DEP_1)
	v_ldexp_f32 v4, v4, v5
	v_mov_b32_e32 v5, 0
	global_store_b64 v[2:3], v[4:5], off
.LBB376_1976:
	s_mov_b32 s0, 0
.LBB376_1977:
	s_delay_alu instid0(SALU_CYCLE_1)
	s_and_not1_b32 vcc_lo, exec_lo, s0
	s_cbranch_vccnz .LBB376_1979
; %bb.1978:
	s_waitcnt vmcnt(0)
	v_xor_b32_e32 v4, v0, v1
	v_cls_i32_e32 v5, v1
	s_delay_alu instid0(VALU_DEP_2) | instskip(NEXT) | instid1(VALU_DEP_2)
	v_ashrrev_i32_e32 v4, 31, v4
	v_add_nc_u32_e32 v5, -1, v5
	s_delay_alu instid0(VALU_DEP_2) | instskip(NEXT) | instid1(VALU_DEP_1)
	v_add_nc_u32_e32 v4, 32, v4
	v_min_u32_e32 v6, v5, v4
	s_delay_alu instid0(VALU_DEP_1) | instskip(NEXT) | instid1(VALU_DEP_1)
	v_lshlrev_b64 v[4:5], v6, v[0:1]
	v_min_u32_e32 v4, 1, v4
	s_delay_alu instid0(VALU_DEP_1) | instskip(SKIP_1) | instid1(VALU_DEP_2)
	v_or_b32_e32 v4, v5, v4
	v_sub_nc_u32_e32 v5, 32, v6
	v_cvt_f32_i32_e32 v4, v4
	s_delay_alu instid0(VALU_DEP_1) | instskip(NEXT) | instid1(VALU_DEP_1)
	v_ldexp_f32 v4, v4, v5
	v_cvt_f16_f32_e32 v4, v4
	s_delay_alu instid0(VALU_DEP_1)
	v_and_b32_e32 v4, 0xffff, v4
	global_store_b32 v[2:3], v4, off
.LBB376_1979:
	s_mov_b32 s0, 0
.LBB376_1980:
	s_delay_alu instid0(SALU_CYCLE_1)
	s_and_not1_b32 vcc_lo, exec_lo, s0
	s_cbranch_vccnz .LBB376_1989
; %bb.1981:
	v_cmp_gt_i16_e32 vcc_lo, 6, v12
	s_mov_b32 s0, -1
	s_cbranch_vccnz .LBB376_1987
; %bb.1982:
	v_cmp_lt_i16_e32 vcc_lo, 6, v12
	s_cbranch_vccz .LBB376_1984
; %bb.1983:
	s_waitcnt vmcnt(0)
	v_cvt_f64_i32_e32 v[4:5], v1
	v_cvt_f64_u32_e32 v[6:7], v0
	s_mov_b32 s0, 0
	s_delay_alu instid0(VALU_DEP_2) | instskip(NEXT) | instid1(VALU_DEP_1)
	v_ldexp_f64 v[4:5], v[4:5], 32
	v_add_f64 v[4:5], v[4:5], v[6:7]
	global_store_b64 v[2:3], v[4:5], off
.LBB376_1984:
	s_and_not1_b32 vcc_lo, exec_lo, s0
	s_cbranch_vccnz .LBB376_1986
; %bb.1985:
	s_waitcnt vmcnt(0)
	v_xor_b32_e32 v4, v0, v1
	v_cls_i32_e32 v5, v1
	s_delay_alu instid0(VALU_DEP_2) | instskip(NEXT) | instid1(VALU_DEP_2)
	v_ashrrev_i32_e32 v4, 31, v4
	v_add_nc_u32_e32 v5, -1, v5
	s_delay_alu instid0(VALU_DEP_2) | instskip(NEXT) | instid1(VALU_DEP_1)
	v_add_nc_u32_e32 v4, 32, v4
	v_min_u32_e32 v6, v5, v4
	s_delay_alu instid0(VALU_DEP_1) | instskip(NEXT) | instid1(VALU_DEP_1)
	v_lshlrev_b64 v[4:5], v6, v[0:1]
	v_min_u32_e32 v4, 1, v4
	s_delay_alu instid0(VALU_DEP_1) | instskip(SKIP_1) | instid1(VALU_DEP_2)
	v_or_b32_e32 v4, v5, v4
	v_sub_nc_u32_e32 v5, 32, v6
	v_cvt_f32_i32_e32 v4, v4
	s_delay_alu instid0(VALU_DEP_1)
	v_ldexp_f32 v4, v4, v5
	global_store_b32 v[2:3], v4, off
.LBB376_1986:
	s_mov_b32 s0, 0
.LBB376_1987:
	s_delay_alu instid0(SALU_CYCLE_1)
	s_and_not1_b32 vcc_lo, exec_lo, s0
	s_cbranch_vccnz .LBB376_1989
; %bb.1988:
	s_waitcnt vmcnt(0)
	v_xor_b32_e32 v4, v0, v1
	v_cls_i32_e32 v5, v1
	s_delay_alu instid0(VALU_DEP_2) | instskip(NEXT) | instid1(VALU_DEP_2)
	v_ashrrev_i32_e32 v4, 31, v4
	v_add_nc_u32_e32 v5, -1, v5
	s_delay_alu instid0(VALU_DEP_2) | instskip(NEXT) | instid1(VALU_DEP_1)
	v_add_nc_u32_e32 v4, 32, v4
	v_min_u32_e32 v6, v5, v4
	s_delay_alu instid0(VALU_DEP_1) | instskip(NEXT) | instid1(VALU_DEP_1)
	v_lshlrev_b64 v[4:5], v6, v[0:1]
	v_min_u32_e32 v4, 1, v4
	s_delay_alu instid0(VALU_DEP_1) | instskip(SKIP_1) | instid1(VALU_DEP_2)
	v_or_b32_e32 v4, v5, v4
	v_sub_nc_u32_e32 v5, 32, v6
	v_cvt_f32_i32_e32 v4, v4
	s_delay_alu instid0(VALU_DEP_1) | instskip(NEXT) | instid1(VALU_DEP_1)
	v_ldexp_f32 v4, v4, v5
	v_cvt_f16_f32_e32 v4, v4
	global_store_b16 v[2:3], v4, off
.LBB376_1989:
	s_mov_b32 s0, 0
.LBB376_1990:
	s_delay_alu instid0(SALU_CYCLE_1)
	s_and_not1_b32 vcc_lo, exec_lo, s0
	s_cbranch_vccnz .LBB376_2006
; %bb.1991:
	v_cmp_gt_i16_e32 vcc_lo, 2, v12
	s_mov_b32 s0, -1
	s_cbranch_vccnz .LBB376_2001
; %bb.1992:
	v_cmp_gt_i16_e32 vcc_lo, 3, v12
	s_cbranch_vccnz .LBB376_1998
; %bb.1993:
	v_cmp_lt_i16_e32 vcc_lo, 3, v12
	s_cbranch_vccz .LBB376_1995
; %bb.1994:
	s_mov_b32 s0, 0
	s_waitcnt vmcnt(0)
	global_store_b64 v[2:3], v[0:1], off
.LBB376_1995:
	s_and_not1_b32 vcc_lo, exec_lo, s0
	s_cbranch_vccnz .LBB376_1997
; %bb.1996:
	s_waitcnt vmcnt(0)
	global_store_b32 v[2:3], v0, off
.LBB376_1997:
	s_mov_b32 s0, 0
.LBB376_1998:
	s_delay_alu instid0(SALU_CYCLE_1)
	s_and_not1_b32 vcc_lo, exec_lo, s0
	s_cbranch_vccnz .LBB376_2000
; %bb.1999:
	s_waitcnt vmcnt(0)
	global_store_b16 v[2:3], v0, off
.LBB376_2000:
	s_mov_b32 s0, 0
.LBB376_2001:
	s_delay_alu instid0(SALU_CYCLE_1)
	s_and_not1_b32 vcc_lo, exec_lo, s0
	s_cbranch_vccnz .LBB376_2006
; %bb.2002:
	v_cmp_lt_i16_e32 vcc_lo, 0, v12
	s_mov_b32 s0, -1
	s_cbranch_vccz .LBB376_2004
; %bb.2003:
	s_mov_b32 s0, 0
	s_waitcnt vmcnt(0)
	global_store_b8 v[2:3], v0, off
.LBB376_2004:
	s_and_not1_b32 vcc_lo, exec_lo, s0
	s_cbranch_vccnz .LBB376_2006
; %bb.2005:
	s_waitcnt vmcnt(0)
	global_store_b8 v[2:3], v0, off
	s_nop 0
	s_sendmsg sendmsg(MSG_DEALLOC_VGPRS)
	s_endpgm
.LBB376_2006:
	s_nop 0
	s_sendmsg sendmsg(MSG_DEALLOC_VGPRS)
	s_endpgm
.LBB376_2007:
	s_mov_b32 s1, 0
	s_mov_b32 s0, -1
	s_branch .LBB376_1963
.LBB376_2008:
	s_cbranch_execnz .LBB376_2012
; %bb.2009:
	s_or_b32 s3, s3, exec_lo
                                        ; implicit-def: $vgpr6_vgpr7
	s_cbranch_execz .LBB376_1477
	s_branch .LBB376_1478
.LBB376_2010:
	s_or_saveexec_b32 s7, s7
                                        ; implicit-def: $sgpr9
	s_delay_alu instid0(SALU_CYCLE_1)
	s_xor_b32 exec_lo, exec_lo, s7
	s_cbranch_execz .LBB376_1557
.LBB376_2011:
	v_add_f32_e64 v13, 0x46000000, |v11|
	s_and_not1_b32 s6, s6, exec_lo
	s_mov_b32 s9, 0
	s_delay_alu instid0(VALU_DEP_1) | instskip(NEXT) | instid1(VALU_DEP_1)
	v_and_b32_e32 v13, 0xff, v13
	v_cmp_ne_u32_e32 vcc_lo, 0, v13
	s_and_b32 s14, vcc_lo, exec_lo
	s_delay_alu instid0(SALU_CYCLE_1)
	s_or_b32 s6, s6, s14
	s_or_b32 exec_lo, exec_lo, s7
	v_mov_b32_e32 v14, s9
	s_and_saveexec_b32 s7, s6
	s_cbranch_execnz .LBB376_1558
	s_branch .LBB376_1559
.LBB376_2012:
	s_trap 2
	s_sendmsg_rtn_b32 s0, sendmsg(MSG_RTN_GET_DOORBELL)
	s_mov_b32 ttmp2, m0
	s_waitcnt lgkmcnt(0)
	s_and_b32 s0, s0, 0x3ff
	s_delay_alu instid0(SALU_CYCLE_1) | instskip(NEXT) | instid1(SALU_CYCLE_1)
	s_bitset1_b32 s0, 10
	s_mov_b32 m0, s0
	s_sendmsg sendmsg(MSG_INTERRUPT)
	s_mov_b32 m0, ttmp2
.LBB376_2013:                           ; =>This Inner Loop Header: Depth=1
	s_sethalt 5
	s_branch .LBB376_2013
.LBB376_2014:
	s_cbranch_execnz .LBB376_2020
; %bb.2015:
	s_or_b32 s3, s3, exec_lo
	s_cbranch_execz .LBB376_1605
	s_branch .LBB376_1606
.LBB376_2016:
	s_or_saveexec_b32 s6, s6
                                        ; implicit-def: $sgpr7
	s_delay_alu instid0(SALU_CYCLE_1)
	s_xor_b32 exec_lo, exec_lo, s6
	s_cbranch_execz .LBB376_1570
.LBB376_2017:
	v_add_f32_e64 v13, 0x42800000, |v11|
	s_and_not1_b32 s2, s2, exec_lo
	s_mov_b32 s7, 0
	s_delay_alu instid0(VALU_DEP_1) | instskip(NEXT) | instid1(VALU_DEP_1)
	v_and_b32_e32 v13, 0xff, v13
	v_cmp_ne_u32_e32 vcc_lo, 0, v13
	s_and_b32 s9, vcc_lo, exec_lo
	s_delay_alu instid0(SALU_CYCLE_1)
	s_or_b32 s2, s2, s9
	s_or_b32 exec_lo, exec_lo, s6
	v_mov_b32_e32 v14, s7
	s_and_saveexec_b32 s6, s2
	s_cbranch_execnz .LBB376_1571
	s_branch .LBB376_1572
.LBB376_2018:
	s_or_saveexec_b32 s8, s8
                                        ; implicit-def: $sgpr9
	s_delay_alu instid0(SALU_CYCLE_1)
	s_xor_b32 exec_lo, exec_lo, s8
	s_cbranch_execz .LBB376_1676
.LBB376_2019:
	v_add_f32_e64 v10, 0x46000000, |v9|
	s_and_not1_b32 s7, s7, exec_lo
	s_mov_b32 s9, 0
	s_delay_alu instid0(VALU_DEP_1) | instskip(NEXT) | instid1(VALU_DEP_1)
	v_and_b32_e32 v10, 0xff, v10
	v_cmp_ne_u32_e32 vcc_lo, 0, v10
	s_and_b32 s14, vcc_lo, exec_lo
	s_delay_alu instid0(SALU_CYCLE_1)
	s_or_b32 s7, s7, s14
	s_or_b32 exec_lo, exec_lo, s8
	v_mov_b32_e32 v11, s9
	s_and_saveexec_b32 s8, s7
	s_cbranch_execnz .LBB376_1677
	s_branch .LBB376_1678
.LBB376_2020:
	s_trap 2
	s_sendmsg_rtn_b32 s0, sendmsg(MSG_RTN_GET_DOORBELL)
	s_mov_b32 ttmp2, m0
	s_waitcnt lgkmcnt(0)
	s_and_b32 s0, s0, 0x3ff
	s_delay_alu instid0(SALU_CYCLE_1) | instskip(NEXT) | instid1(SALU_CYCLE_1)
	s_bitset1_b32 s0, 10
	s_mov_b32 m0, s0
	s_sendmsg sendmsg(MSG_INTERRUPT)
	s_mov_b32 m0, ttmp2
.LBB376_2021:                           ; =>This Inner Loop Header: Depth=1
	s_sethalt 5
	s_branch .LBB376_2021
.LBB376_2022:
	s_cbranch_execnz .LBB376_2028
; %bb.2023:
	s_or_b32 s3, s3, exec_lo
	s_cbranch_execz .LBB376_1724
	s_branch .LBB376_1725
.LBB376_2024:
	s_or_saveexec_b32 s7, s7
                                        ; implicit-def: $sgpr8
	s_delay_alu instid0(SALU_CYCLE_1)
	s_xor_b32 exec_lo, exec_lo, s7
	s_cbranch_execz .LBB376_1689
.LBB376_2025:
	v_add_f32_e64 v10, 0x42800000, |v9|
	s_and_not1_b32 s6, s6, exec_lo
	s_mov_b32 s8, 0
	s_delay_alu instid0(VALU_DEP_1) | instskip(NEXT) | instid1(VALU_DEP_1)
	v_and_b32_e32 v10, 0xff, v10
	v_cmp_ne_u32_e32 vcc_lo, 0, v10
	s_and_b32 s9, vcc_lo, exec_lo
	s_delay_alu instid0(SALU_CYCLE_1)
	s_or_b32 s6, s6, s9
	s_or_b32 exec_lo, exec_lo, s7
	v_mov_b32_e32 v11, s8
	s_and_saveexec_b32 s7, s6
	s_cbranch_execnz .LBB376_1690
	s_branch .LBB376_1691
.LBB376_2026:
	s_or_saveexec_b32 s8, s8
                                        ; implicit-def: $sgpr9
	s_delay_alu instid0(SALU_CYCLE_1)
	s_xor_b32 exec_lo, exec_lo, s8
	s_cbranch_execz .LBB376_1795
.LBB376_2027:
	v_add_f32_e64 v5, 0x46000000, |v4|
	s_and_not1_b32 s7, s7, exec_lo
	s_mov_b32 s9, 0
	s_delay_alu instid0(VALU_DEP_1) | instskip(NEXT) | instid1(VALU_DEP_1)
	v_and_b32_e32 v5, 0xff, v5
	v_cmp_ne_u32_e32 vcc_lo, 0, v5
	s_and_b32 s14, vcc_lo, exec_lo
	s_delay_alu instid0(SALU_CYCLE_1)
	s_or_b32 s7, s7, s14
	s_or_b32 exec_lo, exec_lo, s8
	v_mov_b32_e32 v9, s9
	s_and_saveexec_b32 s8, s7
	s_cbranch_execnz .LBB376_1796
	s_branch .LBB376_1797
.LBB376_2028:
	s_trap 2
	s_sendmsg_rtn_b32 s0, sendmsg(MSG_RTN_GET_DOORBELL)
	s_mov_b32 ttmp2, m0
	s_waitcnt lgkmcnt(0)
	s_and_b32 s0, s0, 0x3ff
	s_delay_alu instid0(SALU_CYCLE_1) | instskip(NEXT) | instid1(SALU_CYCLE_1)
	s_bitset1_b32 s0, 10
	s_mov_b32 m0, s0
	s_sendmsg sendmsg(MSG_INTERRUPT)
	s_mov_b32 m0, ttmp2
.LBB376_2029:                           ; =>This Inner Loop Header: Depth=1
	s_sethalt 5
	s_branch .LBB376_2029
.LBB376_2030:
	s_cbranch_execnz .LBB376_2036
; %bb.2031:
	s_or_b32 s3, s3, exec_lo
	s_cbranch_execz .LBB376_1843
	s_branch .LBB376_1844
.LBB376_2032:
	s_or_saveexec_b32 s7, s7
                                        ; implicit-def: $sgpr8
	s_delay_alu instid0(SALU_CYCLE_1)
	s_xor_b32 exec_lo, exec_lo, s7
	s_cbranch_execz .LBB376_1808
.LBB376_2033:
	v_add_f32_e64 v5, 0x42800000, |v4|
	s_and_not1_b32 s6, s6, exec_lo
	s_mov_b32 s8, 0
	s_delay_alu instid0(VALU_DEP_1) | instskip(NEXT) | instid1(VALU_DEP_1)
	v_and_b32_e32 v5, 0xff, v5
	v_cmp_ne_u32_e32 vcc_lo, 0, v5
	s_and_b32 s9, vcc_lo, exec_lo
	s_delay_alu instid0(SALU_CYCLE_1)
	s_or_b32 s6, s6, s9
	s_or_b32 exec_lo, exec_lo, s7
	v_mov_b32_e32 v9, s8
	s_and_saveexec_b32 s7, s6
	s_cbranch_execnz .LBB376_1809
	s_branch .LBB376_1810
.LBB376_2034:
	s_or_saveexec_b32 s5, s5
                                        ; implicit-def: $sgpr6
	s_delay_alu instid0(SALU_CYCLE_1)
	s_xor_b32 exec_lo, exec_lo, s5
	s_cbranch_execz .LBB376_1915
.LBB376_2035:
	v_add_f32_e64 v5, 0x46000000, |v4|
	s_and_not1_b32 s4, s4, exec_lo
	s_mov_b32 s6, 0
	s_delay_alu instid0(VALU_DEP_1) | instskip(NEXT) | instid1(VALU_DEP_1)
	v_and_b32_e32 v5, 0xff, v5
	v_cmp_ne_u32_e32 vcc_lo, 0, v5
	s_and_b32 s7, vcc_lo, exec_lo
	s_delay_alu instid0(SALU_CYCLE_1)
	s_or_b32 s4, s4, s7
	s_or_b32 exec_lo, exec_lo, s5
	v_mov_b32_e32 v6, s6
	s_and_saveexec_b32 s5, s4
	s_cbranch_execnz .LBB376_1916
	s_branch .LBB376_1917
.LBB376_2036:
	s_trap 2
	s_sendmsg_rtn_b32 s0, sendmsg(MSG_RTN_GET_DOORBELL)
	s_mov_b32 ttmp2, m0
	s_waitcnt lgkmcnt(0)
	s_and_b32 s0, s0, 0x3ff
	s_delay_alu instid0(SALU_CYCLE_1) | instskip(NEXT) | instid1(SALU_CYCLE_1)
	s_bitset1_b32 s0, 10
	s_mov_b32 m0, s0
	s_sendmsg sendmsg(MSG_INTERRUPT)
	s_mov_b32 m0, ttmp2
.LBB376_2037:                           ; =>This Inner Loop Header: Depth=1
	s_sethalt 5
	s_branch .LBB376_2037
.LBB376_2038:
	s_cbranch_execnz .LBB376_2042
; %bb.2039:
	s_mov_b32 s1, 0
	s_or_b32 s3, s3, exec_lo
	s_branch .LBB376_1961
.LBB376_2040:
	s_or_saveexec_b32 s4, s4
                                        ; implicit-def: $sgpr5
	s_delay_alu instid0(SALU_CYCLE_1)
	s_xor_b32 exec_lo, exec_lo, s4
	s_cbranch_execz .LBB376_1927
.LBB376_2041:
	v_add_f32_e64 v5, 0x42800000, |v4|
	s_and_not1_b32 s2, s2, exec_lo
	s_mov_b32 s5, 0
	s_delay_alu instid0(VALU_DEP_1) | instskip(NEXT) | instid1(VALU_DEP_1)
	v_and_b32_e32 v5, 0xff, v5
	v_cmp_ne_u32_e32 vcc_lo, 0, v5
	s_and_b32 s6, vcc_lo, exec_lo
	s_delay_alu instid0(SALU_CYCLE_1)
	s_or_b32 s2, s2, s6
	s_or_b32 exec_lo, exec_lo, s4
	v_mov_b32_e32 v6, s5
	s_and_saveexec_b32 s4, s2
	s_cbranch_execnz .LBB376_1928
	s_branch .LBB376_1929
.LBB376_2042:
	s_trap 2
	s_sendmsg_rtn_b32 s0, sendmsg(MSG_RTN_GET_DOORBELL)
	s_mov_b32 ttmp2, m0
	s_waitcnt lgkmcnt(0)
	s_and_b32 s0, s0, 0x3ff
	s_delay_alu instid0(SALU_CYCLE_1) | instskip(NEXT) | instid1(SALU_CYCLE_1)
	s_bitset1_b32 s0, 10
	s_mov_b32 m0, s0
	s_sendmsg sendmsg(MSG_INTERRUPT)
	s_mov_b32 m0, ttmp2
.LBB376_2043:                           ; =>This Inner Loop Header: Depth=1
	s_sethalt 5
	s_branch .LBB376_2043
	.section	.rodata,"a",@progbits
	.p2align	6, 0x0
	.amdhsa_kernel _ZN2at6native32elementwise_kernel_manual_unrollILi128ELi4EZNS0_15gpu_kernel_implIZZZNS0_21clamp_min_kernel_cudaERNS_18TensorIteratorBaseERKN3c106ScalarEENKUlvE_clEvENKUlvE2_clEvEUllE_EEvS4_RKT_EUlibE_EEviT1_
		.amdhsa_group_segment_fixed_size 0
		.amdhsa_private_segment_fixed_size 0
		.amdhsa_kernarg_size 48
		.amdhsa_user_sgpr_count 15
		.amdhsa_user_sgpr_dispatch_ptr 0
		.amdhsa_user_sgpr_queue_ptr 0
		.amdhsa_user_sgpr_kernarg_segment_ptr 1
		.amdhsa_user_sgpr_dispatch_id 0
		.amdhsa_user_sgpr_private_segment_size 0
		.amdhsa_wavefront_size32 1
		.amdhsa_uses_dynamic_stack 0
		.amdhsa_enable_private_segment 0
		.amdhsa_system_sgpr_workgroup_id_x 1
		.amdhsa_system_sgpr_workgroup_id_y 0
		.amdhsa_system_sgpr_workgroup_id_z 0
		.amdhsa_system_sgpr_workgroup_info 0
		.amdhsa_system_vgpr_workitem_id 0
		.amdhsa_next_free_vgpr 17
		.amdhsa_next_free_sgpr 27
		.amdhsa_reserve_vcc 1
		.amdhsa_float_round_mode_32 0
		.amdhsa_float_round_mode_16_64 0
		.amdhsa_float_denorm_mode_32 3
		.amdhsa_float_denorm_mode_16_64 3
		.amdhsa_dx10_clamp 1
		.amdhsa_ieee_mode 1
		.amdhsa_fp16_overflow 0
		.amdhsa_workgroup_processor_mode 1
		.amdhsa_memory_ordered 1
		.amdhsa_forward_progress 0
		.amdhsa_shared_vgpr_count 0
		.amdhsa_exception_fp_ieee_invalid_op 0
		.amdhsa_exception_fp_denorm_src 0
		.amdhsa_exception_fp_ieee_div_zero 0
		.amdhsa_exception_fp_ieee_overflow 0
		.amdhsa_exception_fp_ieee_underflow 0
		.amdhsa_exception_fp_ieee_inexact 0
		.amdhsa_exception_int_div_zero 0
	.end_amdhsa_kernel
	.section	.text._ZN2at6native32elementwise_kernel_manual_unrollILi128ELi4EZNS0_15gpu_kernel_implIZZZNS0_21clamp_min_kernel_cudaERNS_18TensorIteratorBaseERKN3c106ScalarEENKUlvE_clEvENKUlvE2_clEvEUllE_EEvS4_RKT_EUlibE_EEviT1_,"axG",@progbits,_ZN2at6native32elementwise_kernel_manual_unrollILi128ELi4EZNS0_15gpu_kernel_implIZZZNS0_21clamp_min_kernel_cudaERNS_18TensorIteratorBaseERKN3c106ScalarEENKUlvE_clEvENKUlvE2_clEvEUllE_EEvS4_RKT_EUlibE_EEviT1_,comdat
.Lfunc_end376:
	.size	_ZN2at6native32elementwise_kernel_manual_unrollILi128ELi4EZNS0_15gpu_kernel_implIZZZNS0_21clamp_min_kernel_cudaERNS_18TensorIteratorBaseERKN3c106ScalarEENKUlvE_clEvENKUlvE2_clEvEUllE_EEvS4_RKT_EUlibE_EEviT1_, .Lfunc_end376-_ZN2at6native32elementwise_kernel_manual_unrollILi128ELi4EZNS0_15gpu_kernel_implIZZZNS0_21clamp_min_kernel_cudaERNS_18TensorIteratorBaseERKN3c106ScalarEENKUlvE_clEvENKUlvE2_clEvEUllE_EEvS4_RKT_EUlibE_EEviT1_
                                        ; -- End function
	.section	.AMDGPU.csdata,"",@progbits
; Kernel info:
; codeLenInByte = 45964
; NumSgprs: 29
; NumVgprs: 17
; ScratchSize: 0
; MemoryBound: 1
; FloatMode: 240
; IeeeMode: 1
; LDSByteSize: 0 bytes/workgroup (compile time only)
; SGPRBlocks: 3
; VGPRBlocks: 2
; NumSGPRsForWavesPerEU: 29
; NumVGPRsForWavesPerEU: 17
; Occupancy: 16
; WaveLimiterHint : 0
; COMPUTE_PGM_RSRC2:SCRATCH_EN: 0
; COMPUTE_PGM_RSRC2:USER_SGPR: 15
; COMPUTE_PGM_RSRC2:TRAP_HANDLER: 0
; COMPUTE_PGM_RSRC2:TGID_X_EN: 1
; COMPUTE_PGM_RSRC2:TGID_Y_EN: 0
; COMPUTE_PGM_RSRC2:TGID_Z_EN: 0
; COMPUTE_PGM_RSRC2:TIDIG_COMP_CNT: 0
	.section	.text._ZN2at6native32elementwise_kernel_manual_unrollILi128ELi4EZNS0_15gpu_kernel_implIZZZNS0_21clamp_min_kernel_cudaERNS_18TensorIteratorBaseERKN3c106ScalarEENKUlvE_clEvENKUlvE2_clEvEUllE_EEvS4_RKT_EUlibE0_EEviT1_,"axG",@progbits,_ZN2at6native32elementwise_kernel_manual_unrollILi128ELi4EZNS0_15gpu_kernel_implIZZZNS0_21clamp_min_kernel_cudaERNS_18TensorIteratorBaseERKN3c106ScalarEENKUlvE_clEvENKUlvE2_clEvEUllE_EEvS4_RKT_EUlibE0_EEviT1_,comdat
	.globl	_ZN2at6native32elementwise_kernel_manual_unrollILi128ELi4EZNS0_15gpu_kernel_implIZZZNS0_21clamp_min_kernel_cudaERNS_18TensorIteratorBaseERKN3c106ScalarEENKUlvE_clEvENKUlvE2_clEvEUllE_EEvS4_RKT_EUlibE0_EEviT1_ ; -- Begin function _ZN2at6native32elementwise_kernel_manual_unrollILi128ELi4EZNS0_15gpu_kernel_implIZZZNS0_21clamp_min_kernel_cudaERNS_18TensorIteratorBaseERKN3c106ScalarEENKUlvE_clEvENKUlvE2_clEvEUllE_EEvS4_RKT_EUlibE0_EEviT1_
	.p2align	8
	.type	_ZN2at6native32elementwise_kernel_manual_unrollILi128ELi4EZNS0_15gpu_kernel_implIZZZNS0_21clamp_min_kernel_cudaERNS_18TensorIteratorBaseERKN3c106ScalarEENKUlvE_clEvENKUlvE2_clEvEUllE_EEvS4_RKT_EUlibE0_EEviT1_,@function
_ZN2at6native32elementwise_kernel_manual_unrollILi128ELi4EZNS0_15gpu_kernel_implIZZZNS0_21clamp_min_kernel_cudaERNS_18TensorIteratorBaseERKN3c106ScalarEENKUlvE_clEvENKUlvE2_clEvEUllE_EEvS4_RKT_EUlibE0_EEviT1_: ; @_ZN2at6native32elementwise_kernel_manual_unrollILi128ELi4EZNS0_15gpu_kernel_implIZZZNS0_21clamp_min_kernel_cudaERNS_18TensorIteratorBaseERKN3c106ScalarEENKUlvE_clEvENKUlvE2_clEvEUllE_EEvS4_RKT_EUlibE0_EEviT1_
; %bb.0:
	s_clause 0x1
	s_load_b32 s26, s[0:1], 0x8
	s_load_b32 s34, s[0:1], 0x0
	v_lshl_or_b32 v8, s15, 9, v0
	s_or_b32 s16, s0, 8
	s_mov_b32 s3, -1
	s_mov_b32 s28, 0
	s_mov_b32 s17, s1
	v_or_b32_e32 v5, 0x180, v8
	s_mov_b32 s8, 0
	s_mov_b32 s2, exec_lo
	s_waitcnt lgkmcnt(0)
	s_add_i32 s27, s26, -1
	s_delay_alu instid0(SALU_CYCLE_1)
	s_cmp_gt_u32 s27, 1
	s_cselect_b32 s29, -1, 0
	v_cmpx_le_i32_e64 s34, v5
	s_xor_b32 s30, exec_lo, s2
	s_cbranch_execz .LBB377_1064
; %bb.1:
	s_clause 0x5
	s_load_b32 s31, s[16:17], 0x160
	s_load_b64 s[18:19], s[16:17], 0x158
	s_load_b128 s[12:15], s[16:17], 0x4
	s_load_b64 s[20:21], s[16:17], 0x14
	s_load_b128 s[8:11], s[16:17], 0xc4
	s_load_b128 s[4:7], s[16:17], 0x148
	s_cmp_lg_u32 s26, 0
	s_mov_b32 s40, 0
	s_cselect_b32 s36, -1, 0
	s_add_u32 s22, s16, 0xc4
	s_addc_u32 s23, s17, 0
	s_min_u32 s35, s27, 15
	s_cmp_gt_u32 s26, 1
	s_mov_b32 s38, 0
	s_cselect_b32 s33, -1, 0
	s_mov_b32 s37, 0
	s_mov_b32 s39, exec_lo
	s_waitcnt lgkmcnt(0)
	v_lshrrev_b16 v7, 8, s31
	v_cmpx_gt_i32_e64 s34, v8
	s_cbranch_execz .LBB377_261
; %bb.2:
	s_and_not1_b32 vcc_lo, exec_lo, s29
	s_cbranch_vccnz .LBB377_7
; %bb.3:
	v_dual_mov_b32 v0, 0 :: v_dual_mov_b32 v1, 0
	s_and_not1_b32 vcc_lo, exec_lo, s36
	s_cbranch_vccnz .LBB377_12
; %bb.4:
	v_mov_b32_e32 v0, 0
	s_add_i32 s41, s35, 1
	s_cmp_eq_u32 s27, 2
	s_cbranch_scc1 .LBB377_8
; %bb.5:
	v_dual_mov_b32 v1, 0 :: v_dual_mov_b32 v0, 0
	v_mov_b32_e32 v2, v8
	s_and_b32 s38, s41, 28
	s_mov_b32 s42, 0
	s_mov_b64 s[2:3], s[22:23]
	s_mov_b64 s[24:25], s[16:17]
.LBB377_6:                              ; =>This Inner Loop Header: Depth=1
	s_clause 0x1
	s_load_b256 s[44:51], s[24:25], 0x4
	s_load_b128 s[60:63], s[24:25], 0x24
	s_load_b256 s[52:59], s[2:3], 0x0
	s_add_u32 s24, s24, 48
	s_addc_u32 s25, s25, 0
	s_add_i32 s42, s42, 4
	s_add_u32 s2, s2, 32
	s_addc_u32 s3, s3, 0
	s_cmp_lg_u32 s38, s42
	s_waitcnt lgkmcnt(0)
	v_mul_hi_u32 v3, s45, v2
	s_delay_alu instid0(VALU_DEP_1) | instskip(NEXT) | instid1(VALU_DEP_1)
	v_add_nc_u32_e32 v3, v2, v3
	v_lshrrev_b32_e32 v3, s46, v3
	s_delay_alu instid0(VALU_DEP_1) | instskip(SKIP_1) | instid1(VALU_DEP_2)
	v_mul_hi_u32 v4, s48, v3
	v_mul_lo_u32 v6, v3, s44
	v_add_nc_u32_e32 v4, v3, v4
	s_delay_alu instid0(VALU_DEP_2) | instskip(NEXT) | instid1(VALU_DEP_2)
	v_sub_nc_u32_e32 v2, v2, v6
	v_lshrrev_b32_e32 v4, s49, v4
	s_delay_alu instid0(VALU_DEP_2) | instskip(SKIP_1) | instid1(VALU_DEP_3)
	v_mul_lo_u32 v6, v2, s52
	v_mul_lo_u32 v10, v2, s53
	v_mul_hi_u32 v5, s51, v4
	s_delay_alu instid0(VALU_DEP_1) | instskip(NEXT) | instid1(VALU_DEP_1)
	v_add_nc_u32_e32 v5, v4, v5
	v_lshrrev_b32_e32 v5, s60, v5
	s_delay_alu instid0(VALU_DEP_1) | instskip(SKIP_1) | instid1(VALU_DEP_2)
	v_mul_hi_u32 v9, s62, v5
	v_mul_lo_u32 v11, v5, s50
	v_add_nc_u32_e32 v2, v5, v9
	v_mul_lo_u32 v9, v4, s47
	s_delay_alu instid0(VALU_DEP_3) | instskip(NEXT) | instid1(VALU_DEP_3)
	v_sub_nc_u32_e32 v4, v4, v11
	v_lshrrev_b32_e32 v2, s63, v2
	s_delay_alu instid0(VALU_DEP_2) | instskip(SKIP_2) | instid1(VALU_DEP_4)
	v_mul_lo_u32 v11, v4, s56
	v_mul_lo_u32 v4, v4, s57
	v_sub_nc_u32_e32 v3, v3, v9
	v_mul_lo_u32 v12, v2, s61
	s_delay_alu instid0(VALU_DEP_2) | instskip(SKIP_1) | instid1(VALU_DEP_3)
	v_mul_lo_u32 v9, v3, s54
	v_mul_lo_u32 v3, v3, s55
	v_sub_nc_u32_e32 v5, v5, v12
	s_delay_alu instid0(VALU_DEP_3) | instskip(NEXT) | instid1(VALU_DEP_2)
	v_add3_u32 v0, v6, v0, v9
	v_mul_lo_u32 v12, v5, s58
	v_mul_lo_u32 v5, v5, s59
	v_add3_u32 v1, v10, v1, v3
	s_delay_alu instid0(VALU_DEP_3) | instskip(NEXT) | instid1(VALU_DEP_2)
	v_add3_u32 v0, v11, v0, v12
	v_add3_u32 v1, v4, v1, v5
	s_cbranch_scc1 .LBB377_6
	s_branch .LBB377_9
.LBB377_7:
	s_mov_b32 s37, -1
                                        ; implicit-def: $vgpr0
                                        ; implicit-def: $vgpr1
	s_branch .LBB377_12
.LBB377_8:
	v_dual_mov_b32 v2, v8 :: v_dual_mov_b32 v1, 0
.LBB377_9:
	s_and_b32 s41, s41, 3
	s_delay_alu instid0(SALU_CYCLE_1)
	s_cmp_eq_u32 s41, 0
	s_cbranch_scc1 .LBB377_12
; %bb.10:
	s_lshl_b32 s2, s38, 3
	s_mul_i32 s24, s38, 12
	s_add_u32 s2, s2, s16
	s_addc_u32 s3, s17, 0
	s_add_u32 s2, s2, 0xc4
	s_addc_u32 s3, s3, 0
	;; [unrolled: 2-line block ×3, first 2 shown]
	.p2align	6
.LBB377_11:                             ; =>This Inner Loop Header: Depth=1
	s_clause 0x1
	s_load_b64 s[42:43], s[24:25], 0x4
	s_load_b32 s38, s[24:25], 0xc
	s_load_b64 s[44:45], s[2:3], 0x0
	s_add_u32 s24, s24, 12
	s_addc_u32 s25, s25, 0
	s_add_u32 s2, s2, 8
	s_addc_u32 s3, s3, 0
	s_add_i32 s41, s41, -1
	s_delay_alu instid0(SALU_CYCLE_1) | instskip(SKIP_2) | instid1(VALU_DEP_1)
	s_cmp_lg_u32 s41, 0
	s_waitcnt lgkmcnt(0)
	v_mul_hi_u32 v3, s43, v2
	v_add_nc_u32_e32 v3, v2, v3
	s_delay_alu instid0(VALU_DEP_1) | instskip(NEXT) | instid1(VALU_DEP_1)
	v_lshrrev_b32_e32 v6, s38, v3
	v_mul_lo_u32 v3, v6, s42
	s_delay_alu instid0(VALU_DEP_1) | instskip(NEXT) | instid1(VALU_DEP_1)
	v_sub_nc_u32_e32 v2, v2, v3
	v_mad_u64_u32 v[3:4], null, v2, s44, v[0:1]
	v_mad_u64_u32 v[4:5], null, v2, s45, v[1:2]
	v_mov_b32_e32 v2, v6
	s_delay_alu instid0(VALU_DEP_2)
	v_dual_mov_b32 v0, v3 :: v_dual_mov_b32 v1, v4
	s_cbranch_scc1 .LBB377_11
.LBB377_12:
	s_and_not1_b32 vcc_lo, exec_lo, s37
	s_cbranch_vccnz .LBB377_15
; %bb.13:
	v_mul_hi_u32 v0, s13, v8
	s_and_not1_b32 vcc_lo, exec_lo, s33
	s_delay_alu instid0(VALU_DEP_1) | instskip(NEXT) | instid1(VALU_DEP_1)
	v_add_nc_u32_e32 v0, v8, v0
	v_lshrrev_b32_e32 v2, s14, v0
	s_delay_alu instid0(VALU_DEP_1) | instskip(NEXT) | instid1(VALU_DEP_1)
	v_mul_lo_u32 v0, v2, s12
	v_sub_nc_u32_e32 v1, v8, v0
	s_delay_alu instid0(VALU_DEP_1)
	v_mul_lo_u32 v0, v1, s8
	v_mul_lo_u32 v1, v1, s9
	s_cbranch_vccnz .LBB377_15
; %bb.14:
	v_mul_hi_u32 v3, s20, v2
	s_delay_alu instid0(VALU_DEP_1) | instskip(NEXT) | instid1(VALU_DEP_1)
	v_add_nc_u32_e32 v3, v2, v3
	v_lshrrev_b32_e32 v3, s21, v3
	s_delay_alu instid0(VALU_DEP_1) | instskip(NEXT) | instid1(VALU_DEP_1)
	v_mul_lo_u32 v3, v3, s15
	v_sub_nc_u32_e32 v5, v2, v3
	s_delay_alu instid0(VALU_DEP_1) | instskip(NEXT) | instid1(VALU_DEP_1)
	v_mad_u64_u32 v[2:3], null, v5, s10, v[0:1]
	v_mad_u64_u32 v[3:4], null, v5, s11, v[1:2]
	s_delay_alu instid0(VALU_DEP_1)
	v_dual_mov_b32 v0, v2 :: v_dual_mov_b32 v1, v3
.LBB377_15:
	v_cmp_gt_i16_e32 vcc_lo, 11, v7
	s_delay_alu instid0(VALU_DEP_2) | instskip(NEXT) | instid1(VALU_DEP_1)
	v_add_co_u32 v1, s2, s6, v1
	v_add_co_ci_u32_e64 v2, null, s7, 0, s2
	s_mov_b32 s24, 0
	s_cbranch_vccnz .LBB377_22
; %bb.16:
	v_cmp_lt_i16_e32 vcc_lo, 25, v7
	s_cbranch_vccz .LBB377_70
; %bb.17:
	v_cmp_lt_i16_e32 vcc_lo, 28, v7
	s_cbranch_vccz .LBB377_71
; %bb.18:
	v_cmp_lt_i16_e32 vcc_lo, 43, v7
	s_cbranch_vccz .LBB377_73
; %bb.19:
	v_cmp_lt_i16_e32 vcc_lo, 45, v7
	s_cbranch_vccz .LBB377_75
; %bb.20:
	v_cmp_eq_u16_e32 vcc_lo, 46, v7
	s_mov_b32 s3, 0
	s_cbranch_vccz .LBB377_77
; %bb.21:
	global_load_b32 v3, v[1:2], off
	s_mov_b32 s2, -1
	s_waitcnt vmcnt(0)
	v_lshlrev_b32_e32 v3, 16, v3
	s_delay_alu instid0(VALU_DEP_1) | instskip(NEXT) | instid1(VALU_DEP_1)
	v_trunc_f32_e32 v3, v3
	v_mul_f32_e64 v4, 0x2f800000, |v3|
	v_ashrrev_i32_e32 v6, 31, v3
	s_delay_alu instid0(VALU_DEP_2) | instskip(NEXT) | instid1(VALU_DEP_1)
	v_floor_f32_e32 v4, v4
	v_fma_f32 v5, 0xcf800000, v4, |v3|
	v_cvt_u32_f32_e32 v4, v4
	s_delay_alu instid0(VALU_DEP_2) | instskip(NEXT) | instid1(VALU_DEP_2)
	v_cvt_u32_f32_e32 v3, v5
	v_xor_b32_e32 v4, v4, v6
	s_delay_alu instid0(VALU_DEP_2) | instskip(NEXT) | instid1(VALU_DEP_1)
	v_xor_b32_e32 v3, v3, v6
	v_sub_co_u32 v3, vcc_lo, v3, v6
	s_delay_alu instid0(VALU_DEP_3)
	v_sub_co_ci_u32_e32 v4, vcc_lo, v4, v6, vcc_lo
	s_branch .LBB377_79
.LBB377_22:
	s_mov_b32 s2, 0
                                        ; implicit-def: $vgpr3_vgpr4
	s_cbranch_execnz .LBB377_211
.LBB377_23:
	s_and_not1_b32 vcc_lo, exec_lo, s2
	s_cbranch_vccnz .LBB377_258
.LBB377_24:
	s_waitcnt vmcnt(0)
	s_delay_alu instid0(VALU_DEP_1) | instskip(SKIP_3) | instid1(VALU_DEP_1)
	v_cmp_lt_i64_e32 vcc_lo, s[18:19], v[3:4]
	v_and_b32_e64 v5, 0xff, s31
	s_mov_b32 s3, 0
	s_mov_b32 s37, -1
	v_cmp_gt_i16_e64 s2, 11, v5
	v_cndmask_b32_e32 v1, s18, v3, vcc_lo
	v_add_co_u32 v3, s25, s4, v0
	v_cndmask_b32_e32 v2, s19, v4, vcc_lo
	v_add_co_ci_u32_e64 v4, null, s5, 0, s25
	s_and_b32 vcc_lo, exec_lo, s2
	s_mov_b32 s25, 0
	s_cbranch_vccnz .LBB377_31
; %bb.25:
	v_cmp_lt_i16_e32 vcc_lo, 25, v5
	s_cbranch_vccz .LBB377_72
; %bb.26:
	v_cmp_lt_i16_e32 vcc_lo, 28, v5
	s_cbranch_vccz .LBB377_74
	;; [unrolled: 3-line block ×4, first 2 shown]
; %bb.29:
	v_cmp_eq_u16_e32 vcc_lo, 46, v5
	s_mov_b32 s2, 0
	s_mov_b32 s3, -1
	s_cbranch_vccz .LBB377_83
; %bb.30:
	v_xor_b32_e32 v0, v1, v2
	v_cls_i32_e32 v6, v2
	s_mov_b32 s25, -1
	s_mov_b32 s3, 0
	s_delay_alu instid0(VALU_DEP_2) | instskip(NEXT) | instid1(VALU_DEP_2)
	v_ashrrev_i32_e32 v0, 31, v0
	v_add_nc_u32_e32 v6, -1, v6
	s_delay_alu instid0(VALU_DEP_2) | instskip(NEXT) | instid1(VALU_DEP_1)
	v_add_nc_u32_e32 v0, 32, v0
	v_min_u32_e32 v0, v6, v0
	s_delay_alu instid0(VALU_DEP_1) | instskip(SKIP_1) | instid1(VALU_DEP_2)
	v_lshlrev_b64 v[9:10], v0, v[1:2]
	v_sub_nc_u32_e32 v0, 32, v0
	v_min_u32_e32 v6, 1, v9
	s_delay_alu instid0(VALU_DEP_1) | instskip(NEXT) | instid1(VALU_DEP_1)
	v_or_b32_e32 v6, v10, v6
	v_cvt_f32_i32_e32 v6, v6
	s_delay_alu instid0(VALU_DEP_1) | instskip(NEXT) | instid1(VALU_DEP_1)
	v_ldexp_f32 v0, v6, v0
	v_bfe_u32 v6, v0, 16, 1
	s_delay_alu instid0(VALU_DEP_1) | instskip(NEXT) | instid1(VALU_DEP_1)
	v_add3_u32 v0, v0, v6, 0x7fff
	v_lshrrev_b32_e32 v0, 16, v0
	global_store_b32 v[3:4], v0, off
	s_branch .LBB377_83
.LBB377_31:
	s_and_b32 vcc_lo, exec_lo, s37
	s_cbranch_vccz .LBB377_152
; %bb.32:
	v_cmp_gt_i16_e32 vcc_lo, 5, v5
	s_mov_b32 s2, -1
	s_cbranch_vccnz .LBB377_53
; %bb.33:
	v_cmp_gt_i16_e32 vcc_lo, 8, v5
	s_cbranch_vccnz .LBB377_43
; %bb.34:
	v_cmp_gt_i16_e32 vcc_lo, 9, v5
	s_cbranch_vccnz .LBB377_40
; %bb.35:
	v_cmp_lt_i16_e32 vcc_lo, 9, v5
	s_cbranch_vccz .LBB377_37
; %bb.36:
	v_cvt_f64_i32_e32 v[9:10], v2
	v_cvt_f64_u32_e32 v[11:12], v1
	s_mov_b32 s2, 0
	s_delay_alu instid0(VALU_DEP_2) | instskip(NEXT) | instid1(VALU_DEP_1)
	v_ldexp_f64 v[9:10], v[9:10], 32
	v_add_f64 v[9:10], v[9:10], v[11:12]
	v_mov_b32_e32 v11, 0
	s_delay_alu instid0(VALU_DEP_1)
	v_mov_b32_e32 v12, v11
	global_store_b128 v[3:4], v[9:12], off
.LBB377_37:
	s_and_not1_b32 vcc_lo, exec_lo, s2
	s_cbranch_vccnz .LBB377_39
; %bb.38:
	v_xor_b32_e32 v0, v1, v2
	v_cls_i32_e32 v6, v2
	s_delay_alu instid0(VALU_DEP_2) | instskip(NEXT) | instid1(VALU_DEP_2)
	v_ashrrev_i32_e32 v0, 31, v0
	v_add_nc_u32_e32 v6, -1, v6
	s_delay_alu instid0(VALU_DEP_2) | instskip(NEXT) | instid1(VALU_DEP_1)
	v_add_nc_u32_e32 v0, 32, v0
	v_min_u32_e32 v0, v6, v0
	s_delay_alu instid0(VALU_DEP_1) | instskip(SKIP_1) | instid1(VALU_DEP_2)
	v_lshlrev_b64 v[9:10], v0, v[1:2]
	v_sub_nc_u32_e32 v0, 32, v0
	v_min_u32_e32 v6, 1, v9
	s_delay_alu instid0(VALU_DEP_1) | instskip(SKIP_1) | instid1(VALU_DEP_2)
	v_or_b32_e32 v6, v10, v6
	v_mov_b32_e32 v10, 0
	v_cvt_f32_i32_e32 v6, v6
	s_delay_alu instid0(VALU_DEP_1)
	v_ldexp_f32 v9, v6, v0
	global_store_b64 v[3:4], v[9:10], off
.LBB377_39:
	s_mov_b32 s2, 0
.LBB377_40:
	s_delay_alu instid0(SALU_CYCLE_1)
	s_and_not1_b32 vcc_lo, exec_lo, s2
	s_cbranch_vccnz .LBB377_42
; %bb.41:
	v_xor_b32_e32 v0, v1, v2
	v_cls_i32_e32 v6, v2
	s_delay_alu instid0(VALU_DEP_2) | instskip(NEXT) | instid1(VALU_DEP_2)
	v_ashrrev_i32_e32 v0, 31, v0
	v_add_nc_u32_e32 v6, -1, v6
	s_delay_alu instid0(VALU_DEP_2) | instskip(NEXT) | instid1(VALU_DEP_1)
	v_add_nc_u32_e32 v0, 32, v0
	v_min_u32_e32 v0, v6, v0
	s_delay_alu instid0(VALU_DEP_1) | instskip(SKIP_1) | instid1(VALU_DEP_2)
	v_lshlrev_b64 v[9:10], v0, v[1:2]
	v_sub_nc_u32_e32 v0, 32, v0
	v_min_u32_e32 v6, 1, v9
	s_delay_alu instid0(VALU_DEP_1) | instskip(NEXT) | instid1(VALU_DEP_1)
	v_or_b32_e32 v6, v10, v6
	v_cvt_f32_i32_e32 v6, v6
	s_delay_alu instid0(VALU_DEP_1) | instskip(NEXT) | instid1(VALU_DEP_1)
	v_ldexp_f32 v0, v6, v0
	v_cvt_f16_f32_e32 v0, v0
	s_delay_alu instid0(VALU_DEP_1)
	v_and_b32_e32 v0, 0xffff, v0
	global_store_b32 v[3:4], v0, off
.LBB377_42:
	s_mov_b32 s2, 0
.LBB377_43:
	s_delay_alu instid0(SALU_CYCLE_1)
	s_and_not1_b32 vcc_lo, exec_lo, s2
	s_cbranch_vccnz .LBB377_52
; %bb.44:
	v_cmp_gt_i16_e32 vcc_lo, 6, v5
	s_mov_b32 s2, -1
	s_cbranch_vccnz .LBB377_50
; %bb.45:
	v_cmp_lt_i16_e32 vcc_lo, 6, v5
	s_cbranch_vccz .LBB377_47
; %bb.46:
	v_cvt_f64_i32_e32 v[9:10], v2
	v_cvt_f64_u32_e32 v[11:12], v1
	s_mov_b32 s2, 0
	s_delay_alu instid0(VALU_DEP_2) | instskip(NEXT) | instid1(VALU_DEP_1)
	v_ldexp_f64 v[9:10], v[9:10], 32
	v_add_f64 v[9:10], v[9:10], v[11:12]
	global_store_b64 v[3:4], v[9:10], off
.LBB377_47:
	s_and_not1_b32 vcc_lo, exec_lo, s2
	s_cbranch_vccnz .LBB377_49
; %bb.48:
	v_xor_b32_e32 v0, v1, v2
	v_cls_i32_e32 v6, v2
	s_delay_alu instid0(VALU_DEP_2) | instskip(NEXT) | instid1(VALU_DEP_2)
	v_ashrrev_i32_e32 v0, 31, v0
	v_add_nc_u32_e32 v6, -1, v6
	s_delay_alu instid0(VALU_DEP_2) | instskip(NEXT) | instid1(VALU_DEP_1)
	v_add_nc_u32_e32 v0, 32, v0
	v_min_u32_e32 v0, v6, v0
	s_delay_alu instid0(VALU_DEP_1) | instskip(SKIP_1) | instid1(VALU_DEP_2)
	v_lshlrev_b64 v[9:10], v0, v[1:2]
	v_sub_nc_u32_e32 v0, 32, v0
	v_min_u32_e32 v6, 1, v9
	s_delay_alu instid0(VALU_DEP_1) | instskip(NEXT) | instid1(VALU_DEP_1)
	v_or_b32_e32 v6, v10, v6
	v_cvt_f32_i32_e32 v6, v6
	s_delay_alu instid0(VALU_DEP_1)
	v_ldexp_f32 v0, v6, v0
	global_store_b32 v[3:4], v0, off
.LBB377_49:
	s_mov_b32 s2, 0
.LBB377_50:
	s_delay_alu instid0(SALU_CYCLE_1)
	s_and_not1_b32 vcc_lo, exec_lo, s2
	s_cbranch_vccnz .LBB377_52
; %bb.51:
	v_xor_b32_e32 v0, v1, v2
	v_cls_i32_e32 v6, v2
	s_delay_alu instid0(VALU_DEP_2) | instskip(NEXT) | instid1(VALU_DEP_2)
	v_ashrrev_i32_e32 v0, 31, v0
	v_add_nc_u32_e32 v6, -1, v6
	s_delay_alu instid0(VALU_DEP_2) | instskip(NEXT) | instid1(VALU_DEP_1)
	v_add_nc_u32_e32 v0, 32, v0
	v_min_u32_e32 v0, v6, v0
	s_delay_alu instid0(VALU_DEP_1) | instskip(SKIP_1) | instid1(VALU_DEP_2)
	v_lshlrev_b64 v[9:10], v0, v[1:2]
	v_sub_nc_u32_e32 v0, 32, v0
	v_min_u32_e32 v6, 1, v9
	s_delay_alu instid0(VALU_DEP_1) | instskip(NEXT) | instid1(VALU_DEP_1)
	v_or_b32_e32 v6, v10, v6
	v_cvt_f32_i32_e32 v6, v6
	s_delay_alu instid0(VALU_DEP_1) | instskip(NEXT) | instid1(VALU_DEP_1)
	v_ldexp_f32 v0, v6, v0
	v_cvt_f16_f32_e32 v0, v0
	global_store_b16 v[3:4], v0, off
.LBB377_52:
	s_mov_b32 s2, 0
.LBB377_53:
	s_delay_alu instid0(SALU_CYCLE_1)
	s_and_not1_b32 vcc_lo, exec_lo, s2
	s_cbranch_vccnz .LBB377_69
; %bb.54:
	v_cmp_gt_i16_e32 vcc_lo, 2, v5
	s_mov_b32 s2, -1
	s_cbranch_vccnz .LBB377_64
; %bb.55:
	v_cmp_gt_i16_e32 vcc_lo, 3, v5
	s_cbranch_vccnz .LBB377_61
; %bb.56:
	v_cmp_lt_i16_e32 vcc_lo, 3, v5
	s_cbranch_vccz .LBB377_58
; %bb.57:
	s_mov_b32 s2, 0
	global_store_b64 v[3:4], v[1:2], off
.LBB377_58:
	s_and_not1_b32 vcc_lo, exec_lo, s2
	s_cbranch_vccnz .LBB377_60
; %bb.59:
	global_store_b32 v[3:4], v1, off
.LBB377_60:
	s_mov_b32 s2, 0
.LBB377_61:
	s_delay_alu instid0(SALU_CYCLE_1)
	s_and_not1_b32 vcc_lo, exec_lo, s2
	s_cbranch_vccnz .LBB377_63
; %bb.62:
	global_store_b16 v[3:4], v1, off
.LBB377_63:
	s_mov_b32 s2, 0
.LBB377_64:
	s_delay_alu instid0(SALU_CYCLE_1)
	s_and_not1_b32 vcc_lo, exec_lo, s2
	s_cbranch_vccnz .LBB377_69
; %bb.65:
	v_cmp_lt_i16_e32 vcc_lo, 0, v5
	s_mov_b32 s2, -1
	s_cbranch_vccz .LBB377_67
; %bb.66:
	s_mov_b32 s2, 0
	global_store_b8 v[3:4], v1, off
.LBB377_67:
	s_and_not1_b32 vcc_lo, exec_lo, s2
	s_cbranch_vccnz .LBB377_69
; %bb.68:
	global_store_b8 v[3:4], v1, off
.LBB377_69:
	s_branch .LBB377_153
.LBB377_70:
	s_mov_b32 s2, 0
                                        ; implicit-def: $vgpr3_vgpr4
	s_cbranch_execnz .LBB377_180
	s_branch .LBB377_210
.LBB377_71:
	s_mov_b32 s3, -1
	s_mov_b32 s2, 0
                                        ; implicit-def: $vgpr3_vgpr4
	s_branch .LBB377_161
.LBB377_72:
	s_mov_b32 s2, -1
	s_branch .LBB377_110
.LBB377_73:
	s_mov_b32 s3, -1
	s_mov_b32 s2, 0
                                        ; implicit-def: $vgpr3_vgpr4
	s_branch .LBB377_156
.LBB377_74:
	s_mov_b32 s2, -1
	s_branch .LBB377_93
.LBB377_75:
	s_mov_b32 s3, -1
	s_branch .LBB377_78
.LBB377_76:
	s_mov_b32 s2, -1
	s_branch .LBB377_89
.LBB377_77:
	s_mov_b32 s24, -1
.LBB377_78:
	s_mov_b32 s2, 0
                                        ; implicit-def: $vgpr3_vgpr4
.LBB377_79:
	s_and_b32 vcc_lo, exec_lo, s3
	s_cbranch_vccz .LBB377_155
; %bb.80:
	v_cmp_eq_u16_e32 vcc_lo, 44, v7
	s_cbranch_vccz .LBB377_154
; %bb.81:
	global_load_u8 v3, v[1:2], off
	s_mov_b32 s24, 0
	s_mov_b32 s2, -1
	s_waitcnt vmcnt(0)
	v_lshlrev_b32_e32 v4, 23, v3
	s_delay_alu instid0(VALU_DEP_1) | instskip(NEXT) | instid1(VALU_DEP_1)
	v_trunc_f32_e32 v4, v4
	v_mul_f32_e64 v5, 0x2f800000, |v4|
	s_delay_alu instid0(VALU_DEP_1) | instskip(NEXT) | instid1(VALU_DEP_1)
	v_floor_f32_e32 v5, v5
	v_fma_f32 v6, 0xcf800000, v5, |v4|
	v_ashrrev_i32_e32 v4, 31, v4
	v_cvt_u32_f32_e32 v5, v5
	s_delay_alu instid0(VALU_DEP_3) | instskip(NEXT) | instid1(VALU_DEP_2)
	v_cvt_u32_f32_e32 v6, v6
	v_xor_b32_e32 v5, v5, v4
	s_delay_alu instid0(VALU_DEP_2) | instskip(NEXT) | instid1(VALU_DEP_1)
	v_xor_b32_e32 v6, v6, v4
	v_sub_co_u32 v6, vcc_lo, v6, v4
	s_delay_alu instid0(VALU_DEP_3) | instskip(SKIP_1) | instid1(VALU_DEP_2)
	v_sub_co_ci_u32_e32 v4, vcc_lo, v5, v4, vcc_lo
	v_cmp_ne_u32_e32 vcc_lo, 0, v3
	v_dual_cndmask_b32 v3, 0, v6 :: v_dual_cndmask_b32 v4, 0, v4
	s_branch .LBB377_155
.LBB377_82:
	s_mov_b32 s2, -1
.LBB377_83:
	s_delay_alu instid0(SALU_CYCLE_1)
	s_and_b32 vcc_lo, exec_lo, s2
	s_cbranch_vccz .LBB377_88
; %bb.84:
	v_cmp_eq_u16_e32 vcc_lo, 44, v5
	s_mov_b32 s3, -1
	s_cbranch_vccz .LBB377_88
; %bb.85:
	v_xor_b32_e32 v0, v1, v2
	v_cls_i32_e32 v6, v2
	s_mov_b32 s25, -1
	s_mov_b32 s3, exec_lo
	s_delay_alu instid0(VALU_DEP_2) | instskip(NEXT) | instid1(VALU_DEP_2)
	v_ashrrev_i32_e32 v0, 31, v0
	v_add_nc_u32_e32 v6, -1, v6
	s_delay_alu instid0(VALU_DEP_2) | instskip(NEXT) | instid1(VALU_DEP_1)
	v_add_nc_u32_e32 v0, 32, v0
	v_min_u32_e32 v0, v6, v0
	s_delay_alu instid0(VALU_DEP_1) | instskip(SKIP_1) | instid1(VALU_DEP_2)
	v_lshlrev_b64 v[9:10], v0, v[1:2]
	v_sub_nc_u32_e32 v0, 32, v0
	v_min_u32_e32 v6, 1, v9
	s_delay_alu instid0(VALU_DEP_1) | instskip(NEXT) | instid1(VALU_DEP_1)
	v_or_b32_e32 v6, v10, v6
	v_cvt_f32_i32_e32 v6, v6
	s_delay_alu instid0(VALU_DEP_1) | instskip(SKIP_1) | instid1(VALU_DEP_2)
	v_ldexp_f32 v0, v6, v0
	v_mov_b32_e32 v6, 0xff
	v_bfe_u32 v9, v0, 23, 8
	s_delay_alu instid0(VALU_DEP_1)
	v_cmpx_ne_u32_e32 0xff, v9
; %bb.86:
	v_and_b32_e32 v6, 0x400000, v0
	v_and_or_b32 v9, 0x3fffff, v0, v9
	v_lshrrev_b32_e32 v0, 23, v0
	s_delay_alu instid0(VALU_DEP_3) | instskip(NEXT) | instid1(VALU_DEP_3)
	v_cmp_ne_u32_e32 vcc_lo, 0, v6
	v_cmp_ne_u32_e64 s2, 0, v9
	s_delay_alu instid0(VALU_DEP_1) | instskip(NEXT) | instid1(SALU_CYCLE_1)
	s_and_b32 s2, vcc_lo, s2
	v_cndmask_b32_e64 v6, 0, 1, s2
	s_delay_alu instid0(VALU_DEP_1)
	v_add_nc_u32_e32 v6, v0, v6
; %bb.87:
	s_or_b32 exec_lo, exec_lo, s3
	s_mov_b32 s3, 0
	global_store_b8 v[3:4], v6, off
.LBB377_88:
	s_mov_b32 s2, 0
.LBB377_89:
	s_delay_alu instid0(SALU_CYCLE_1)
	s_and_b32 vcc_lo, exec_lo, s2
	s_cbranch_vccz .LBB377_92
; %bb.90:
	v_cmp_eq_u16_e32 vcc_lo, 29, v5
	s_mov_b32 s3, -1
	s_cbranch_vccz .LBB377_92
; %bb.91:
	s_mov_b32 s25, -1
	s_mov_b32 s3, 0
	global_store_b64 v[3:4], v[1:2], off
.LBB377_92:
	s_mov_b32 s2, 0
.LBB377_93:
	s_delay_alu instid0(SALU_CYCLE_1)
	s_and_b32 vcc_lo, exec_lo, s2
	s_cbranch_vccz .LBB377_109
; %bb.94:
	v_cmp_gt_i16_e32 vcc_lo, 27, v5
	s_mov_b32 s2, -1
	s_cbranch_vccnz .LBB377_100
; %bb.95:
	v_cmp_lt_i16_e32 vcc_lo, 27, v5
	s_cbranch_vccz .LBB377_97
; %bb.96:
	s_mov_b32 s2, 0
	global_store_b32 v[3:4], v1, off
.LBB377_97:
	s_and_not1_b32 vcc_lo, exec_lo, s2
	s_cbranch_vccnz .LBB377_99
; %bb.98:
	global_store_b16 v[3:4], v1, off
.LBB377_99:
	s_mov_b32 s2, 0
.LBB377_100:
	s_delay_alu instid0(SALU_CYCLE_1)
	s_and_not1_b32 vcc_lo, exec_lo, s2
	s_cbranch_vccnz .LBB377_108
; %bb.101:
	v_xor_b32_e32 v0, v1, v2
	v_cls_i32_e32 v6, v2
	s_mov_b32 s2, exec_lo
	s_delay_alu instid0(VALU_DEP_2) | instskip(NEXT) | instid1(VALU_DEP_2)
	v_ashrrev_i32_e32 v0, 31, v0
	v_add_nc_u32_e32 v6, -1, v6
	s_delay_alu instid0(VALU_DEP_2) | instskip(NEXT) | instid1(VALU_DEP_1)
	v_add_nc_u32_e32 v0, 32, v0
	v_min_u32_e32 v0, v6, v0
	s_delay_alu instid0(VALU_DEP_1) | instskip(SKIP_1) | instid1(VALU_DEP_2)
	v_lshlrev_b64 v[9:10], v0, v[1:2]
	v_sub_nc_u32_e32 v0, 32, v0
	v_min_u32_e32 v6, 1, v9
	v_mov_b32_e32 v9, 0x80
	s_delay_alu instid0(VALU_DEP_2) | instskip(NEXT) | instid1(VALU_DEP_1)
	v_or_b32_e32 v6, v10, v6
	v_cvt_f32_i32_e32 v6, v6
	s_delay_alu instid0(VALU_DEP_1) | instskip(NEXT) | instid1(VALU_DEP_1)
	v_ldexp_f32 v0, v6, v0
	v_and_b32_e32 v6, 0x7fffffff, v0
	s_delay_alu instid0(VALU_DEP_1)
	v_cmpx_gt_u32_e32 0x43800000, v6
	s_cbranch_execz .LBB377_107
; %bb.102:
	v_cmp_lt_u32_e32 vcc_lo, 0x3bffffff, v6
	s_mov_b32 s25, 0
                                        ; implicit-def: $vgpr6
	s_and_saveexec_b32 s37, vcc_lo
	s_delay_alu instid0(SALU_CYCLE_1)
	s_xor_b32 s37, exec_lo, s37
	s_cbranch_execz .LBB377_337
; %bb.103:
	v_bfe_u32 v6, v0, 20, 1
	s_mov_b32 s25, exec_lo
	s_delay_alu instid0(VALU_DEP_1) | instskip(NEXT) | instid1(VALU_DEP_1)
	v_add3_u32 v6, v0, v6, 0x487ffff
	v_lshrrev_b32_e32 v6, 20, v6
	s_or_saveexec_b32 s37, s37
                                        ; implicit-def: $sgpr38
	s_delay_alu instid0(SALU_CYCLE_1)
	s_xor_b32 exec_lo, exec_lo, s37
	s_cbranch_execnz .LBB377_338
.LBB377_104:
	s_or_b32 exec_lo, exec_lo, s37
	v_mov_b32_e32 v9, s38
	s_and_saveexec_b32 s37, s25
.LBB377_105:
	v_lshrrev_b32_e32 v0, 24, v0
	s_delay_alu instid0(VALU_DEP_1)
	v_and_or_b32 v9, 0x80, v0, v6
.LBB377_106:
	s_or_b32 exec_lo, exec_lo, s37
.LBB377_107:
	s_delay_alu instid0(SALU_CYCLE_1)
	s_or_b32 exec_lo, exec_lo, s2
	global_store_b8 v[3:4], v9, off
.LBB377_108:
	s_mov_b32 s25, -1
.LBB377_109:
	s_mov_b32 s2, 0
.LBB377_110:
	s_delay_alu instid0(SALU_CYCLE_1)
	s_and_b32 vcc_lo, exec_lo, s2
	s_cbranch_vccz .LBB377_151
; %bb.111:
	v_cmp_lt_i16_e32 vcc_lo, 22, v5
	s_mov_b32 s2, -1
	s_cbranch_vccz .LBB377_143
; %bb.112:
	v_cmp_gt_i16_e32 vcc_lo, 24, v5
	s_cbranch_vccnz .LBB377_132
; %bb.113:
	v_cmp_lt_i16_e32 vcc_lo, 24, v5
	s_cbranch_vccz .LBB377_121
; %bb.114:
	v_xor_b32_e32 v0, v1, v2
	v_cls_i32_e32 v6, v2
	s_mov_b32 s2, exec_lo
	s_delay_alu instid0(VALU_DEP_2) | instskip(NEXT) | instid1(VALU_DEP_2)
	v_ashrrev_i32_e32 v0, 31, v0
	v_add_nc_u32_e32 v6, -1, v6
	s_delay_alu instid0(VALU_DEP_2) | instskip(NEXT) | instid1(VALU_DEP_1)
	v_add_nc_u32_e32 v0, 32, v0
	v_min_u32_e32 v0, v6, v0
	s_delay_alu instid0(VALU_DEP_1) | instskip(SKIP_1) | instid1(VALU_DEP_2)
	v_lshlrev_b64 v[9:10], v0, v[1:2]
	v_sub_nc_u32_e32 v0, 32, v0
	v_min_u32_e32 v6, 1, v9
	v_mov_b32_e32 v9, 0x80
	s_delay_alu instid0(VALU_DEP_2) | instskip(NEXT) | instid1(VALU_DEP_1)
	v_or_b32_e32 v6, v10, v6
	v_cvt_f32_i32_e32 v6, v6
	s_delay_alu instid0(VALU_DEP_1) | instskip(NEXT) | instid1(VALU_DEP_1)
	v_ldexp_f32 v0, v6, v0
	v_and_b32_e32 v6, 0x7fffffff, v0
	s_delay_alu instid0(VALU_DEP_1)
	v_cmpx_gt_u32_e32 0x47800000, v6
	s_cbranch_execz .LBB377_120
; %bb.115:
	v_cmp_lt_u32_e32 vcc_lo, 0x37ffffff, v6
	s_mov_b32 s25, 0
                                        ; implicit-def: $vgpr6
	s_and_saveexec_b32 s37, vcc_lo
	s_delay_alu instid0(SALU_CYCLE_1)
	s_xor_b32 s37, exec_lo, s37
	s_cbranch_execz .LBB377_341
; %bb.116:
	v_bfe_u32 v6, v0, 21, 1
	s_mov_b32 s25, exec_lo
	s_delay_alu instid0(VALU_DEP_1) | instskip(NEXT) | instid1(VALU_DEP_1)
	v_add3_u32 v6, v0, v6, 0x88fffff
	v_lshrrev_b32_e32 v6, 21, v6
	s_or_saveexec_b32 s37, s37
                                        ; implicit-def: $sgpr38
	s_delay_alu instid0(SALU_CYCLE_1)
	s_xor_b32 exec_lo, exec_lo, s37
	s_cbranch_execnz .LBB377_342
.LBB377_117:
	s_or_b32 exec_lo, exec_lo, s37
	v_mov_b32_e32 v9, s38
	s_and_saveexec_b32 s37, s25
.LBB377_118:
	v_lshrrev_b32_e32 v0, 24, v0
	s_delay_alu instid0(VALU_DEP_1)
	v_and_or_b32 v9, 0x80, v0, v6
.LBB377_119:
	s_or_b32 exec_lo, exec_lo, s37
.LBB377_120:
	s_delay_alu instid0(SALU_CYCLE_1)
	s_or_b32 exec_lo, exec_lo, s2
	s_mov_b32 s2, 0
	global_store_b8 v[3:4], v9, off
.LBB377_121:
	s_and_b32 vcc_lo, exec_lo, s2
	s_cbranch_vccz .LBB377_131
; %bb.122:
	v_xor_b32_e32 v0, v1, v2
	v_cls_i32_e32 v6, v2
	s_mov_b32 s2, exec_lo
	s_delay_alu instid0(VALU_DEP_2) | instskip(NEXT) | instid1(VALU_DEP_2)
	v_ashrrev_i32_e32 v0, 31, v0
	v_add_nc_u32_e32 v6, -1, v6
	s_delay_alu instid0(VALU_DEP_2) | instskip(NEXT) | instid1(VALU_DEP_1)
	v_add_nc_u32_e32 v0, 32, v0
	v_min_u32_e32 v0, v6, v0
	s_delay_alu instid0(VALU_DEP_1) | instskip(SKIP_1) | instid1(VALU_DEP_2)
	v_lshlrev_b64 v[9:10], v0, v[1:2]
	v_sub_nc_u32_e32 v0, 32, v0
	v_min_u32_e32 v6, 1, v9
	s_delay_alu instid0(VALU_DEP_1) | instskip(NEXT) | instid1(VALU_DEP_1)
	v_or_b32_e32 v6, v10, v6
	v_cvt_f32_i32_e32 v6, v6
	s_delay_alu instid0(VALU_DEP_1) | instskip(NEXT) | instid1(VALU_DEP_1)
	v_ldexp_f32 v0, v6, v0
                                        ; implicit-def: $vgpr6
	v_and_b32_e32 v9, 0x7fffffff, v0
	s_delay_alu instid0(VALU_DEP_1)
	v_cmpx_gt_u32_e32 0x43f00000, v9
	s_xor_b32 s2, exec_lo, s2
	s_cbranch_execz .LBB377_128
; %bb.123:
	s_mov_b32 s25, exec_lo
                                        ; implicit-def: $vgpr6
	v_cmpx_lt_u32_e32 0x3c7fffff, v9
	s_xor_b32 s25, exec_lo, s25
; %bb.124:
	v_bfe_u32 v6, v0, 20, 1
	s_delay_alu instid0(VALU_DEP_1) | instskip(NEXT) | instid1(VALU_DEP_1)
	v_add3_u32 v6, v0, v6, 0x407ffff
	v_and_b32_e32 v9, 0xff00000, v6
	v_lshrrev_b32_e32 v6, 20, v6
	s_delay_alu instid0(VALU_DEP_2) | instskip(NEXT) | instid1(VALU_DEP_2)
	v_cmp_ne_u32_e32 vcc_lo, 0x7f00000, v9
	v_cndmask_b32_e32 v6, 0x7e, v6, vcc_lo
; %bb.125:
	s_and_not1_saveexec_b32 s25, s25
; %bb.126:
	v_add_f32_e64 v6, 0x46800000, |v0|
; %bb.127:
	s_or_b32 exec_lo, exec_lo, s25
                                        ; implicit-def: $vgpr9
.LBB377_128:
	s_and_not1_saveexec_b32 s2, s2
; %bb.129:
	v_mov_b32_e32 v6, 0x7f
	v_cmp_lt_u32_e32 vcc_lo, 0x7f800000, v9
	s_delay_alu instid0(VALU_DEP_2)
	v_cndmask_b32_e32 v6, 0x7e, v6, vcc_lo
; %bb.130:
	s_or_b32 exec_lo, exec_lo, s2
	v_lshrrev_b32_e32 v0, 24, v0
	s_delay_alu instid0(VALU_DEP_1)
	v_and_or_b32 v0, 0x80, v0, v6
	global_store_b8 v[3:4], v0, off
.LBB377_131:
	s_mov_b32 s2, 0
.LBB377_132:
	s_delay_alu instid0(SALU_CYCLE_1)
	s_and_not1_b32 vcc_lo, exec_lo, s2
	s_cbranch_vccnz .LBB377_142
; %bb.133:
	v_xor_b32_e32 v0, v1, v2
	v_cls_i32_e32 v6, v2
	s_mov_b32 s2, exec_lo
	s_delay_alu instid0(VALU_DEP_2) | instskip(NEXT) | instid1(VALU_DEP_2)
	v_ashrrev_i32_e32 v0, 31, v0
	v_add_nc_u32_e32 v6, -1, v6
	s_delay_alu instid0(VALU_DEP_2) | instskip(NEXT) | instid1(VALU_DEP_1)
	v_add_nc_u32_e32 v0, 32, v0
	v_min_u32_e32 v0, v6, v0
	s_delay_alu instid0(VALU_DEP_1) | instskip(SKIP_1) | instid1(VALU_DEP_2)
	v_lshlrev_b64 v[9:10], v0, v[1:2]
	v_sub_nc_u32_e32 v0, 32, v0
	v_min_u32_e32 v6, 1, v9
	s_delay_alu instid0(VALU_DEP_1) | instskip(NEXT) | instid1(VALU_DEP_1)
	v_or_b32_e32 v6, v10, v6
	v_cvt_f32_i32_e32 v6, v6
	s_delay_alu instid0(VALU_DEP_1) | instskip(NEXT) | instid1(VALU_DEP_1)
	v_ldexp_f32 v0, v6, v0
                                        ; implicit-def: $vgpr6
	v_and_b32_e32 v9, 0x7fffffff, v0
	s_delay_alu instid0(VALU_DEP_1)
	v_cmpx_gt_u32_e32 0x47800000, v9
	s_xor_b32 s2, exec_lo, s2
	s_cbranch_execz .LBB377_139
; %bb.134:
	s_mov_b32 s25, exec_lo
                                        ; implicit-def: $vgpr6
	v_cmpx_lt_u32_e32 0x387fffff, v9
	s_xor_b32 s25, exec_lo, s25
; %bb.135:
	v_bfe_u32 v6, v0, 21, 1
	s_delay_alu instid0(VALU_DEP_1) | instskip(NEXT) | instid1(VALU_DEP_1)
	v_add3_u32 v6, v0, v6, 0x80fffff
	v_lshrrev_b32_e32 v6, 21, v6
; %bb.136:
	s_and_not1_saveexec_b32 s25, s25
; %bb.137:
	v_add_f32_e64 v6, 0x43000000, |v0|
; %bb.138:
	s_or_b32 exec_lo, exec_lo, s25
                                        ; implicit-def: $vgpr9
.LBB377_139:
	s_and_not1_saveexec_b32 s2, s2
; %bb.140:
	v_mov_b32_e32 v6, 0x7f
	v_cmp_lt_u32_e32 vcc_lo, 0x7f800000, v9
	s_delay_alu instid0(VALU_DEP_2)
	v_cndmask_b32_e32 v6, 0x7c, v6, vcc_lo
; %bb.141:
	s_or_b32 exec_lo, exec_lo, s2
	v_lshrrev_b32_e32 v0, 24, v0
	s_delay_alu instid0(VALU_DEP_1)
	v_and_or_b32 v0, 0x80, v0, v6
	global_store_b8 v[3:4], v0, off
.LBB377_142:
	s_mov_b32 s2, 0
	s_mov_b32 s25, -1
.LBB377_143:
	s_and_not1_b32 vcc_lo, exec_lo, s2
	s_cbranch_vccnz .LBB377_151
; %bb.144:
	v_cmp_lt_i16_e32 vcc_lo, 14, v5
	s_mov_b32 s2, -1
	s_cbranch_vccz .LBB377_148
; %bb.145:
	v_cmp_eq_u16_e32 vcc_lo, 15, v5
	s_mov_b32 s3, -1
	s_cbranch_vccz .LBB377_147
; %bb.146:
	v_xor_b32_e32 v0, v1, v2
	v_cls_i32_e32 v6, v2
	s_mov_b32 s25, -1
	s_mov_b32 s3, 0
	s_delay_alu instid0(VALU_DEP_2) | instskip(NEXT) | instid1(VALU_DEP_2)
	v_ashrrev_i32_e32 v0, 31, v0
	v_add_nc_u32_e32 v6, -1, v6
	s_delay_alu instid0(VALU_DEP_2) | instskip(NEXT) | instid1(VALU_DEP_1)
	v_add_nc_u32_e32 v0, 32, v0
	v_min_u32_e32 v0, v6, v0
	s_delay_alu instid0(VALU_DEP_1) | instskip(SKIP_1) | instid1(VALU_DEP_2)
	v_lshlrev_b64 v[9:10], v0, v[1:2]
	v_sub_nc_u32_e32 v0, 32, v0
	v_min_u32_e32 v6, 1, v9
	s_delay_alu instid0(VALU_DEP_1) | instskip(NEXT) | instid1(VALU_DEP_1)
	v_or_b32_e32 v6, v10, v6
	v_cvt_f32_i32_e32 v6, v6
	s_delay_alu instid0(VALU_DEP_1) | instskip(NEXT) | instid1(VALU_DEP_1)
	v_ldexp_f32 v0, v6, v0
	v_bfe_u32 v6, v0, 16, 1
	s_delay_alu instid0(VALU_DEP_1)
	v_add3_u32 v0, v0, v6, 0x7fff
	global_store_d16_hi_b16 v[3:4], v0, off
.LBB377_147:
	s_mov_b32 s2, 0
.LBB377_148:
	s_delay_alu instid0(SALU_CYCLE_1)
	s_and_b32 vcc_lo, exec_lo, s2
	s_cbranch_vccz .LBB377_151
; %bb.149:
	v_cmp_eq_u16_e32 vcc_lo, 11, v5
	s_mov_b32 s3, -1
	s_cbranch_vccz .LBB377_151
; %bb.150:
	v_cmp_ne_u64_e32 vcc_lo, 0, v[1:2]
	s_mov_b32 s25, -1
	s_mov_b32 s3, 0
	v_cndmask_b32_e64 v0, 0, 1, vcc_lo
	global_store_b8 v[3:4], v0, off
.LBB377_151:
.LBB377_152:
	s_and_not1_b32 vcc_lo, exec_lo, s25
	s_cbranch_vccnz .LBB377_259
.LBB377_153:
	v_add_nc_u32_e32 v8, 0x80, v8
	s_mov_b32 s2, -1
	s_branch .LBB377_260
.LBB377_154:
	s_mov_b32 s24, -1
                                        ; implicit-def: $vgpr3_vgpr4
.LBB377_155:
	s_mov_b32 s3, 0
.LBB377_156:
	s_delay_alu instid0(SALU_CYCLE_1)
	s_and_b32 vcc_lo, exec_lo, s3
	s_cbranch_vccz .LBB377_160
; %bb.157:
	v_cmp_eq_u16_e32 vcc_lo, 29, v7
	s_cbranch_vccz .LBB377_159
; %bb.158:
	global_load_b64 v[3:4], v[1:2], off
	s_mov_b32 s2, -1
	s_mov_b32 s24, 0
	s_branch .LBB377_160
.LBB377_159:
	s_mov_b32 s24, -1
                                        ; implicit-def: $vgpr3_vgpr4
.LBB377_160:
	s_mov_b32 s3, 0
.LBB377_161:
	s_delay_alu instid0(SALU_CYCLE_1)
	s_and_b32 vcc_lo, exec_lo, s3
	s_cbranch_vccz .LBB377_179
; %bb.162:
	v_cmp_gt_i16_e32 vcc_lo, 27, v7
	s_cbranch_vccnz .LBB377_165
; %bb.163:
	v_cmp_lt_i16_e32 vcc_lo, 27, v7
	s_cbranch_vccz .LBB377_166
; %bb.164:
	global_load_b32 v3, v[1:2], off
	s_waitcnt vmcnt(1)
	v_mov_b32_e32 v4, 0
	s_mov_b32 s2, 0
	s_branch .LBB377_167
.LBB377_165:
	s_mov_b32 s2, -1
                                        ; implicit-def: $vgpr3_vgpr4
	s_branch .LBB377_170
.LBB377_166:
	s_mov_b32 s2, -1
                                        ; implicit-def: $vgpr3_vgpr4
.LBB377_167:
	s_delay_alu instid0(SALU_CYCLE_1)
	s_and_not1_b32 vcc_lo, exec_lo, s2
	s_cbranch_vccnz .LBB377_169
; %bb.168:
	global_load_u16 v3, v[1:2], off
	s_mov_b32 s2, 0
	s_waitcnt vmcnt(0)
	v_dual_mov_b32 v4, s2 :: v_dual_and_b32 v3, 0xffff, v3
.LBB377_169:
	s_mov_b32 s2, 0
.LBB377_170:
	s_delay_alu instid0(SALU_CYCLE_1)
	s_and_not1_b32 vcc_lo, exec_lo, s2
	s_cbranch_vccnz .LBB377_178
; %bb.171:
	global_load_u8 v5, v[1:2], off
	s_mov_b32 s25, 0
	s_mov_b32 s37, exec_lo
                                        ; implicit-def: $sgpr2_sgpr3
	s_waitcnt vmcnt(0)
	v_cmpx_lt_i16_e32 0x7f, v5
	s_xor_b32 s37, exec_lo, s37
; %bb.172:
	v_cmp_ne_u16_e32 vcc_lo, 0x80, v5
	s_mov_b64 s[2:3], 0
	s_and_b32 s25, vcc_lo, exec_lo
; %bb.173:
	s_or_saveexec_b32 s37, s37
	v_dual_mov_b32 v4, s3 :: v_dual_mov_b32 v3, s2
	s_xor_b32 exec_lo, exec_lo, s37
; %bb.174:
	v_cmp_ne_u16_e32 vcc_lo, 0, v5
	v_mov_b32_e32 v3, 0
	v_mov_b32_e32 v4, 0
	s_and_not1_b32 s2, s25, exec_lo
	s_and_b32 s3, vcc_lo, exec_lo
	s_delay_alu instid0(SALU_CYCLE_1)
	s_or_b32 s25, s2, s3
; %bb.175:
	s_or_b32 exec_lo, exec_lo, s37
	s_and_saveexec_b32 s2, s25
	s_cbranch_execz .LBB377_177
; %bb.176:
	v_and_b32_e32 v3, 0xffff, v5
	v_lshlrev_b32_e32 v5, 24, v5
	s_delay_alu instid0(VALU_DEP_2) | instskip(NEXT) | instid1(VALU_DEP_2)
	v_and_b32_e32 v4, 7, v3
	v_and_b32_e32 v5, 0x80000000, v5
	s_delay_alu instid0(VALU_DEP_2) | instskip(NEXT) | instid1(VALU_DEP_1)
	v_clz_i32_u32_e32 v6, v4
	v_min_u32_e32 v6, 32, v6
	s_delay_alu instid0(VALU_DEP_1) | instskip(SKIP_1) | instid1(VALU_DEP_2)
	v_subrev_nc_u32_e32 v9, 28, v6
	v_sub_nc_u32_e32 v6, 29, v6
	v_lshlrev_b32_e32 v9, v9, v3
	v_bfe_u32 v3, v3, 3, 4
	s_delay_alu instid0(VALU_DEP_2) | instskip(NEXT) | instid1(VALU_DEP_2)
	v_and_b32_e32 v9, 7, v9
	v_cmp_eq_u32_e32 vcc_lo, 0, v3
	s_delay_alu instid0(VALU_DEP_2) | instskip(NEXT) | instid1(VALU_DEP_1)
	v_dual_cndmask_b32 v3, v3, v6 :: v_dual_cndmask_b32 v4, v4, v9
	v_lshl_add_u32 v3, v3, 23, 0x3b800000
	s_delay_alu instid0(VALU_DEP_2) | instskip(NEXT) | instid1(VALU_DEP_1)
	v_lshlrev_b32_e32 v4, 20, v4
	v_or3_b32 v3, v5, v3, v4
	s_delay_alu instid0(VALU_DEP_1) | instskip(NEXT) | instid1(VALU_DEP_1)
	v_trunc_f32_e32 v3, v3
	v_mul_f32_e64 v4, 0x2f800000, |v3|
	v_ashrrev_i32_e32 v6, 31, v3
	s_delay_alu instid0(VALU_DEP_2) | instskip(NEXT) | instid1(VALU_DEP_1)
	v_floor_f32_e32 v4, v4
	v_fma_f32 v5, 0xcf800000, v4, |v3|
	v_cvt_u32_f32_e32 v4, v4
	s_delay_alu instid0(VALU_DEP_2) | instskip(NEXT) | instid1(VALU_DEP_2)
	v_cvt_u32_f32_e32 v3, v5
	v_xor_b32_e32 v4, v4, v6
	s_delay_alu instid0(VALU_DEP_2) | instskip(NEXT) | instid1(VALU_DEP_1)
	v_xor_b32_e32 v3, v3, v6
	v_sub_co_u32 v3, vcc_lo, v3, v6
	s_delay_alu instid0(VALU_DEP_3)
	v_sub_co_ci_u32_e32 v4, vcc_lo, v4, v6, vcc_lo
.LBB377_177:
	s_or_b32 exec_lo, exec_lo, s2
.LBB377_178:
	s_mov_b32 s2, -1
.LBB377_179:
	s_branch .LBB377_210
.LBB377_180:
	v_cmp_lt_i16_e32 vcc_lo, 22, v7
	s_cbranch_vccz .LBB377_190
; %bb.181:
	v_cmp_gt_i16_e32 vcc_lo, 24, v7
	s_cbranch_vccnz .LBB377_191
; %bb.182:
	v_cmp_lt_i16_e32 vcc_lo, 24, v7
	s_cbranch_vccz .LBB377_192
; %bb.183:
	global_load_u8 v5, v[1:2], off
	s_mov_b32 s25, 0
	s_mov_b32 s37, exec_lo
                                        ; implicit-def: $sgpr2_sgpr3
	s_waitcnt vmcnt(0)
	v_cmpx_lt_i16_e32 0x7f, v5
	s_xor_b32 s37, exec_lo, s37
; %bb.184:
	v_cmp_ne_u16_e32 vcc_lo, 0x80, v5
	s_mov_b64 s[2:3], 0
	s_and_b32 s25, vcc_lo, exec_lo
; %bb.185:
	s_or_saveexec_b32 s37, s37
	v_dual_mov_b32 v4, s3 :: v_dual_mov_b32 v3, s2
	s_xor_b32 exec_lo, exec_lo, s37
; %bb.186:
	v_cmp_ne_u16_e32 vcc_lo, 0, v5
	v_mov_b32_e32 v3, 0
	v_mov_b32_e32 v4, 0
	s_and_not1_b32 s2, s25, exec_lo
	s_and_b32 s3, vcc_lo, exec_lo
	s_delay_alu instid0(SALU_CYCLE_1)
	s_or_b32 s25, s2, s3
; %bb.187:
	s_or_b32 exec_lo, exec_lo, s37
	s_and_saveexec_b32 s2, s25
	s_cbranch_execz .LBB377_189
; %bb.188:
	v_and_b32_e32 v3, 0xffff, v5
	v_lshlrev_b32_e32 v5, 24, v5
	s_delay_alu instid0(VALU_DEP_2) | instskip(NEXT) | instid1(VALU_DEP_2)
	v_and_b32_e32 v4, 3, v3
	v_and_b32_e32 v5, 0x80000000, v5
	s_delay_alu instid0(VALU_DEP_2) | instskip(NEXT) | instid1(VALU_DEP_1)
	v_clz_i32_u32_e32 v6, v4
	v_min_u32_e32 v6, 32, v6
	s_delay_alu instid0(VALU_DEP_1) | instskip(SKIP_1) | instid1(VALU_DEP_2)
	v_subrev_nc_u32_e32 v9, 29, v6
	v_sub_nc_u32_e32 v6, 30, v6
	v_lshlrev_b32_e32 v9, v9, v3
	v_bfe_u32 v3, v3, 2, 5
	s_delay_alu instid0(VALU_DEP_2) | instskip(NEXT) | instid1(VALU_DEP_2)
	v_and_b32_e32 v9, 3, v9
	v_cmp_eq_u32_e32 vcc_lo, 0, v3
	s_delay_alu instid0(VALU_DEP_2) | instskip(NEXT) | instid1(VALU_DEP_1)
	v_dual_cndmask_b32 v3, v3, v6 :: v_dual_cndmask_b32 v4, v4, v9
	v_lshl_add_u32 v3, v3, 23, 0x37800000
	s_delay_alu instid0(VALU_DEP_2) | instskip(NEXT) | instid1(VALU_DEP_1)
	v_lshlrev_b32_e32 v4, 21, v4
	v_or3_b32 v3, v5, v3, v4
	s_delay_alu instid0(VALU_DEP_1) | instskip(NEXT) | instid1(VALU_DEP_1)
	v_trunc_f32_e32 v3, v3
	v_mul_f32_e64 v4, 0x2f800000, |v3|
	v_ashrrev_i32_e32 v6, 31, v3
	s_delay_alu instid0(VALU_DEP_2) | instskip(NEXT) | instid1(VALU_DEP_1)
	v_floor_f32_e32 v4, v4
	v_fma_f32 v5, 0xcf800000, v4, |v3|
	v_cvt_u32_f32_e32 v4, v4
	s_delay_alu instid0(VALU_DEP_2) | instskip(NEXT) | instid1(VALU_DEP_2)
	v_cvt_u32_f32_e32 v3, v5
	v_xor_b32_e32 v4, v4, v6
	s_delay_alu instid0(VALU_DEP_2) | instskip(NEXT) | instid1(VALU_DEP_1)
	v_xor_b32_e32 v3, v3, v6
	v_sub_co_u32 v3, vcc_lo, v3, v6
	s_delay_alu instid0(VALU_DEP_3)
	v_sub_co_ci_u32_e32 v4, vcc_lo, v4, v6, vcc_lo
.LBB377_189:
	s_or_b32 exec_lo, exec_lo, s2
	s_mov_b32 s2, 0
	s_branch .LBB377_193
.LBB377_190:
	s_mov_b32 s3, -1
                                        ; implicit-def: $vgpr3_vgpr4
	s_branch .LBB377_199
.LBB377_191:
	s_mov_b32 s2, -1
                                        ; implicit-def: $vgpr3_vgpr4
	s_branch .LBB377_196
.LBB377_192:
	s_mov_b32 s2, -1
                                        ; implicit-def: $vgpr3_vgpr4
.LBB377_193:
	s_delay_alu instid0(SALU_CYCLE_1)
	s_and_b32 vcc_lo, exec_lo, s2
	s_cbranch_vccz .LBB377_195
; %bb.194:
	global_load_u8 v3, v[1:2], off
	s_waitcnt vmcnt(0)
	v_lshlrev_b32_e32 v3, 24, v3
	s_delay_alu instid0(VALU_DEP_1) | instskip(NEXT) | instid1(VALU_DEP_1)
	v_and_b32_e32 v4, 0x7f000000, v3
	v_clz_i32_u32_e32 v5, v4
	v_add_nc_u32_e32 v9, 0x1000000, v4
	v_cmp_ne_u32_e32 vcc_lo, 0, v4
	s_delay_alu instid0(VALU_DEP_3) | instskip(NEXT) | instid1(VALU_DEP_1)
	v_min_u32_e32 v5, 32, v5
	v_sub_nc_u32_e64 v5, v5, 4 clamp
	s_delay_alu instid0(VALU_DEP_1) | instskip(SKIP_1) | instid1(VALU_DEP_2)
	v_lshlrev_b32_e32 v6, v5, v4
	v_lshlrev_b32_e32 v5, 23, v5
	v_lshrrev_b32_e32 v6, 4, v6
	s_delay_alu instid0(VALU_DEP_1) | instskip(SKIP_1) | instid1(VALU_DEP_2)
	v_sub_nc_u32_e32 v5, v6, v5
	v_ashrrev_i32_e32 v6, 8, v9
	v_add_nc_u32_e32 v5, 0x3c000000, v5
	s_delay_alu instid0(VALU_DEP_1) | instskip(NEXT) | instid1(VALU_DEP_1)
	v_and_or_b32 v5, 0x7f800000, v6, v5
	v_cndmask_b32_e32 v4, 0, v5, vcc_lo
	s_delay_alu instid0(VALU_DEP_1) | instskip(NEXT) | instid1(VALU_DEP_1)
	v_and_or_b32 v3, 0x80000000, v3, v4
	v_trunc_f32_e32 v3, v3
	s_delay_alu instid0(VALU_DEP_1) | instskip(SKIP_1) | instid1(VALU_DEP_2)
	v_mul_f32_e64 v4, 0x2f800000, |v3|
	v_ashrrev_i32_e32 v6, 31, v3
	v_floor_f32_e32 v4, v4
	s_delay_alu instid0(VALU_DEP_1) | instskip(SKIP_1) | instid1(VALU_DEP_2)
	v_fma_f32 v5, 0xcf800000, v4, |v3|
	v_cvt_u32_f32_e32 v4, v4
	v_cvt_u32_f32_e32 v3, v5
	s_delay_alu instid0(VALU_DEP_2) | instskip(NEXT) | instid1(VALU_DEP_2)
	v_xor_b32_e32 v4, v4, v6
	v_xor_b32_e32 v3, v3, v6
	s_delay_alu instid0(VALU_DEP_1) | instskip(NEXT) | instid1(VALU_DEP_3)
	v_sub_co_u32 v3, vcc_lo, v3, v6
	v_sub_co_ci_u32_e32 v4, vcc_lo, v4, v6, vcc_lo
.LBB377_195:
	s_mov_b32 s2, 0
.LBB377_196:
	s_delay_alu instid0(SALU_CYCLE_1)
	s_and_not1_b32 vcc_lo, exec_lo, s2
	s_cbranch_vccnz .LBB377_198
; %bb.197:
	global_load_u8 v3, v[1:2], off
	s_waitcnt vmcnt(0)
	v_lshlrev_b32_e32 v4, 25, v3
	v_lshlrev_b16 v3, 8, v3
	s_delay_alu instid0(VALU_DEP_2) | instskip(NEXT) | instid1(VALU_DEP_2)
	v_lshrrev_b32_e32 v5, 4, v4
	v_and_or_b32 v6, 0x7f00, v3, 0.5
	v_bfe_i32 v3, v3, 0, 16
	s_delay_alu instid0(VALU_DEP_3) | instskip(NEXT) | instid1(VALU_DEP_1)
	v_or_b32_e32 v5, 0x70000000, v5
	v_dual_add_f32 v6, -0.5, v6 :: v_dual_mul_f32 v5, 0x7800000, v5
	v_cmp_gt_u32_e32 vcc_lo, 0x8000000, v4
	s_delay_alu instid0(VALU_DEP_2) | instskip(NEXT) | instid1(VALU_DEP_1)
	v_cndmask_b32_e32 v4, v5, v6, vcc_lo
	v_and_or_b32 v3, 0x80000000, v3, v4
	s_delay_alu instid0(VALU_DEP_1) | instskip(NEXT) | instid1(VALU_DEP_1)
	v_trunc_f32_e32 v3, v3
	v_mul_f32_e64 v4, 0x2f800000, |v3|
	v_ashrrev_i32_e32 v6, 31, v3
	s_delay_alu instid0(VALU_DEP_2) | instskip(NEXT) | instid1(VALU_DEP_1)
	v_floor_f32_e32 v4, v4
	v_fma_f32 v5, 0xcf800000, v4, |v3|
	v_cvt_u32_f32_e32 v4, v4
	s_delay_alu instid0(VALU_DEP_2) | instskip(NEXT) | instid1(VALU_DEP_2)
	v_cvt_u32_f32_e32 v3, v5
	v_xor_b32_e32 v4, v4, v6
	s_delay_alu instid0(VALU_DEP_2) | instskip(NEXT) | instid1(VALU_DEP_1)
	v_xor_b32_e32 v3, v3, v6
	v_sub_co_u32 v3, vcc_lo, v3, v6
	s_delay_alu instid0(VALU_DEP_3)
	v_sub_co_ci_u32_e32 v4, vcc_lo, v4, v6, vcc_lo
.LBB377_198:
	s_mov_b32 s3, 0
	s_mov_b32 s2, -1
.LBB377_199:
	s_and_not1_b32 vcc_lo, exec_lo, s3
	s_cbranch_vccnz .LBB377_210
; %bb.200:
	v_cmp_lt_i16_e32 vcc_lo, 14, v7
	s_cbranch_vccz .LBB377_203
; %bb.201:
	v_cmp_eq_u16_e32 vcc_lo, 15, v7
	s_cbranch_vccz .LBB377_204
; %bb.202:
	global_load_u16 v3, v[1:2], off
	s_mov_b32 s2, -1
	s_mov_b32 s24, 0
	s_waitcnt vmcnt(0)
	v_lshlrev_b32_e32 v3, 16, v3
	s_delay_alu instid0(VALU_DEP_1) | instskip(NEXT) | instid1(VALU_DEP_1)
	v_trunc_f32_e32 v3, v3
	v_mul_f32_e64 v4, 0x2f800000, |v3|
	v_ashrrev_i32_e32 v6, 31, v3
	s_delay_alu instid0(VALU_DEP_2) | instskip(NEXT) | instid1(VALU_DEP_1)
	v_floor_f32_e32 v4, v4
	v_fma_f32 v5, 0xcf800000, v4, |v3|
	v_cvt_u32_f32_e32 v4, v4
	s_delay_alu instid0(VALU_DEP_2) | instskip(NEXT) | instid1(VALU_DEP_2)
	v_cvt_u32_f32_e32 v3, v5
	v_xor_b32_e32 v4, v4, v6
	s_delay_alu instid0(VALU_DEP_2) | instskip(NEXT) | instid1(VALU_DEP_1)
	v_xor_b32_e32 v3, v3, v6
	v_sub_co_u32 v3, vcc_lo, v3, v6
	s_delay_alu instid0(VALU_DEP_3)
	v_sub_co_ci_u32_e32 v4, vcc_lo, v4, v6, vcc_lo
	s_branch .LBB377_205
.LBB377_203:
	s_mov_b32 s3, -1
                                        ; implicit-def: $vgpr3_vgpr4
	s_branch .LBB377_206
.LBB377_204:
	s_mov_b32 s24, -1
                                        ; implicit-def: $vgpr3_vgpr4
.LBB377_205:
	s_mov_b32 s3, 0
.LBB377_206:
	s_delay_alu instid0(SALU_CYCLE_1)
	s_and_b32 vcc_lo, exec_lo, s3
	s_cbranch_vccz .LBB377_210
; %bb.207:
	v_cmp_eq_u16_e32 vcc_lo, 11, v7
	s_cbranch_vccz .LBB377_209
; %bb.208:
	global_load_u8 v3, v[1:2], off
	s_mov_b32 s24, 0
	s_mov_b32 s2, -1
	s_waitcnt vmcnt(1)
	v_mov_b32_e32 v4, s24
	s_waitcnt vmcnt(0)
	v_cmp_ne_u16_e32 vcc_lo, 0, v3
	v_cndmask_b32_e64 v3, 0, 1, vcc_lo
	s_branch .LBB377_210
.LBB377_209:
	s_mov_b32 s24, -1
                                        ; implicit-def: $vgpr3_vgpr4
.LBB377_210:
	s_branch .LBB377_23
.LBB377_211:
	v_cmp_gt_i16_e32 vcc_lo, 5, v7
	s_cbranch_vccnz .LBB377_216
; %bb.212:
	v_cmp_gt_i16_e32 vcc_lo, 8, v7
	s_cbranch_vccnz .LBB377_217
; %bb.213:
	;; [unrolled: 3-line block ×3, first 2 shown]
	v_cmp_lt_i16_e32 vcc_lo, 9, v7
	s_cbranch_vccz .LBB377_219
; %bb.215:
	global_load_b64 v[3:4], v[1:2], off
	s_mov_b32 s2, 0
	s_waitcnt vmcnt(0)
	v_trunc_f64_e32 v[3:4], v[3:4]
	s_delay_alu instid0(VALU_DEP_1) | instskip(NEXT) | instid1(VALU_DEP_1)
	v_ldexp_f64 v[5:6], v[3:4], 0xffffffe0
	v_floor_f64_e32 v[5:6], v[5:6]
	s_delay_alu instid0(VALU_DEP_1) | instskip(SKIP_1) | instid1(VALU_DEP_2)
	v_fma_f64 v[9:10], 0xc1f00000, v[5:6], v[3:4]
	v_cvt_i32_f64_e32 v4, v[5:6]
	v_cvt_u32_f64_e32 v3, v[9:10]
	s_branch .LBB377_220
.LBB377_216:
                                        ; implicit-def: $vgpr3_vgpr4
	s_branch .LBB377_238
.LBB377_217:
	s_mov_b32 s2, -1
                                        ; implicit-def: $vgpr3_vgpr4
	s_branch .LBB377_226
.LBB377_218:
	s_mov_b32 s2, -1
                                        ; implicit-def: $vgpr3_vgpr4
	s_branch .LBB377_223
.LBB377_219:
	s_mov_b32 s2, -1
                                        ; implicit-def: $vgpr3_vgpr4
.LBB377_220:
	s_delay_alu instid0(SALU_CYCLE_1)
	s_and_not1_b32 vcc_lo, exec_lo, s2
	s_cbranch_vccnz .LBB377_222
; %bb.221:
	global_load_b32 v3, v[1:2], off
	s_waitcnt vmcnt(0)
	v_trunc_f32_e32 v3, v3
	s_delay_alu instid0(VALU_DEP_1) | instskip(SKIP_1) | instid1(VALU_DEP_2)
	v_mul_f32_e64 v4, 0x2f800000, |v3|
	v_ashrrev_i32_e32 v6, 31, v3
	v_floor_f32_e32 v4, v4
	s_delay_alu instid0(VALU_DEP_1) | instskip(SKIP_1) | instid1(VALU_DEP_2)
	v_fma_f32 v5, 0xcf800000, v4, |v3|
	v_cvt_u32_f32_e32 v4, v4
	v_cvt_u32_f32_e32 v3, v5
	s_delay_alu instid0(VALU_DEP_2) | instskip(NEXT) | instid1(VALU_DEP_2)
	v_xor_b32_e32 v4, v4, v6
	v_xor_b32_e32 v3, v3, v6
	s_delay_alu instid0(VALU_DEP_1) | instskip(NEXT) | instid1(VALU_DEP_3)
	v_sub_co_u32 v3, vcc_lo, v3, v6
	v_sub_co_ci_u32_e32 v4, vcc_lo, v4, v6, vcc_lo
.LBB377_222:
	s_mov_b32 s2, 0
.LBB377_223:
	s_delay_alu instid0(SALU_CYCLE_1)
	s_and_not1_b32 vcc_lo, exec_lo, s2
	s_cbranch_vccnz .LBB377_225
; %bb.224:
	global_load_b32 v3, v[1:2], off
	s_waitcnt vmcnt(0)
	v_cvt_f32_f16_e32 v3, v3
	s_delay_alu instid0(VALU_DEP_1) | instskip(NEXT) | instid1(VALU_DEP_1)
	v_cvt_i32_f32_e32 v3, v3
	v_ashrrev_i32_e32 v4, 31, v3
.LBB377_225:
	s_mov_b32 s2, 0
.LBB377_226:
	s_delay_alu instid0(SALU_CYCLE_1)
	s_and_not1_b32 vcc_lo, exec_lo, s2
	s_cbranch_vccnz .LBB377_237
; %bb.227:
	v_cmp_gt_i16_e32 vcc_lo, 6, v7
	s_cbranch_vccnz .LBB377_230
; %bb.228:
	v_cmp_lt_i16_e32 vcc_lo, 6, v7
	s_cbranch_vccz .LBB377_231
; %bb.229:
	global_load_b64 v[3:4], v[1:2], off
	s_mov_b32 s2, 0
	s_waitcnt vmcnt(0)
	v_trunc_f64_e32 v[3:4], v[3:4]
	s_delay_alu instid0(VALU_DEP_1) | instskip(NEXT) | instid1(VALU_DEP_1)
	v_ldexp_f64 v[5:6], v[3:4], 0xffffffe0
	v_floor_f64_e32 v[5:6], v[5:6]
	s_delay_alu instid0(VALU_DEP_1) | instskip(SKIP_1) | instid1(VALU_DEP_2)
	v_fma_f64 v[9:10], 0xc1f00000, v[5:6], v[3:4]
	v_cvt_i32_f64_e32 v4, v[5:6]
	v_cvt_u32_f64_e32 v3, v[9:10]
	s_branch .LBB377_232
.LBB377_230:
	s_mov_b32 s2, -1
                                        ; implicit-def: $vgpr3_vgpr4
	s_branch .LBB377_235
.LBB377_231:
	s_mov_b32 s2, -1
                                        ; implicit-def: $vgpr3_vgpr4
.LBB377_232:
	s_delay_alu instid0(SALU_CYCLE_1)
	s_and_not1_b32 vcc_lo, exec_lo, s2
	s_cbranch_vccnz .LBB377_234
; %bb.233:
	global_load_b32 v3, v[1:2], off
	s_waitcnt vmcnt(0)
	v_trunc_f32_e32 v3, v3
	s_delay_alu instid0(VALU_DEP_1) | instskip(SKIP_1) | instid1(VALU_DEP_2)
	v_mul_f32_e64 v4, 0x2f800000, |v3|
	v_ashrrev_i32_e32 v6, 31, v3
	v_floor_f32_e32 v4, v4
	s_delay_alu instid0(VALU_DEP_1) | instskip(SKIP_1) | instid1(VALU_DEP_2)
	v_fma_f32 v5, 0xcf800000, v4, |v3|
	v_cvt_u32_f32_e32 v4, v4
	v_cvt_u32_f32_e32 v3, v5
	s_delay_alu instid0(VALU_DEP_2) | instskip(NEXT) | instid1(VALU_DEP_2)
	v_xor_b32_e32 v4, v4, v6
	v_xor_b32_e32 v3, v3, v6
	s_delay_alu instid0(VALU_DEP_1) | instskip(NEXT) | instid1(VALU_DEP_3)
	v_sub_co_u32 v3, vcc_lo, v3, v6
	v_sub_co_ci_u32_e32 v4, vcc_lo, v4, v6, vcc_lo
.LBB377_234:
	s_mov_b32 s2, 0
.LBB377_235:
	s_delay_alu instid0(SALU_CYCLE_1)
	s_and_not1_b32 vcc_lo, exec_lo, s2
	s_cbranch_vccnz .LBB377_237
; %bb.236:
	global_load_u16 v3, v[1:2], off
	s_waitcnt vmcnt(0)
	v_cvt_f32_f16_e32 v3, v3
	s_delay_alu instid0(VALU_DEP_1) | instskip(NEXT) | instid1(VALU_DEP_1)
	v_cvt_i32_f32_e32 v3, v3
	v_ashrrev_i32_e32 v4, 31, v3
.LBB377_237:
	s_cbranch_execnz .LBB377_257
.LBB377_238:
	v_cmp_gt_i16_e32 vcc_lo, 2, v7
	s_cbranch_vccnz .LBB377_242
; %bb.239:
	v_cmp_gt_i16_e32 vcc_lo, 3, v7
	s_cbranch_vccnz .LBB377_243
; %bb.240:
	v_cmp_lt_i16_e32 vcc_lo, 3, v7
	s_cbranch_vccz .LBB377_244
; %bb.241:
	global_load_b64 v[3:4], v[1:2], off
	s_mov_b32 s2, 0
	s_branch .LBB377_245
.LBB377_242:
	s_mov_b32 s2, -1
                                        ; implicit-def: $vgpr3_vgpr4
	s_branch .LBB377_251
.LBB377_243:
	s_mov_b32 s2, -1
                                        ; implicit-def: $vgpr3_vgpr4
	s_branch .LBB377_248
.LBB377_244:
	s_mov_b32 s2, -1
                                        ; implicit-def: $vgpr3_vgpr4
.LBB377_245:
	s_delay_alu instid0(SALU_CYCLE_1)
	s_and_not1_b32 vcc_lo, exec_lo, s2
	s_cbranch_vccnz .LBB377_247
; %bb.246:
	global_load_b32 v3, v[1:2], off
	s_waitcnt vmcnt(0)
	v_ashrrev_i32_e32 v4, 31, v3
.LBB377_247:
	s_mov_b32 s2, 0
.LBB377_248:
	s_delay_alu instid0(SALU_CYCLE_1)
	s_and_not1_b32 vcc_lo, exec_lo, s2
	s_cbranch_vccnz .LBB377_250
; %bb.249:
	global_load_u16 v3, v[1:2], off
	s_waitcnt vmcnt(0)
	v_bfe_i32 v3, v3, 0, 16
	s_delay_alu instid0(VALU_DEP_1)
	v_ashrrev_i32_e32 v4, 31, v3
.LBB377_250:
	s_mov_b32 s2, 0
.LBB377_251:
	s_delay_alu instid0(SALU_CYCLE_1)
	s_and_not1_b32 vcc_lo, exec_lo, s2
	s_cbranch_vccnz .LBB377_257
; %bb.252:
	v_cmp_lt_i16_e32 vcc_lo, 0, v7
	s_mov_b32 s2, 0
	s_cbranch_vccz .LBB377_254
; %bb.253:
	global_load_i8 v3, v[1:2], off
	s_waitcnt vmcnt(0)
	v_bfe_i32 v3, v3, 0, 16
	s_delay_alu instid0(VALU_DEP_1)
	v_ashrrev_i32_e32 v4, 31, v3
	s_branch .LBB377_255
.LBB377_254:
	s_mov_b32 s2, -1
                                        ; implicit-def: $vgpr3_vgpr4
.LBB377_255:
	s_delay_alu instid0(SALU_CYCLE_1)
	s_and_not1_b32 vcc_lo, exec_lo, s2
	s_cbranch_vccnz .LBB377_257
; %bb.256:
	global_load_u8 v1, v[1:2], off
	s_mov_b32 s2, 0
	s_waitcnt vmcnt(0)
	v_dual_mov_b32 v4, s2 :: v_dual_and_b32 v3, 0xffff, v1
.LBB377_257:
	s_branch .LBB377_24
.LBB377_258:
	s_mov_b32 s3, 0
.LBB377_259:
	s_mov_b32 s2, 0
                                        ; implicit-def: $vgpr8
.LBB377_260:
	s_and_b32 s37, s3, exec_lo
	s_and_b32 s38, s24, exec_lo
	s_or_not1_b32 s3, s2, exec_lo
.LBB377_261:
	s_or_b32 exec_lo, exec_lo, s39
	s_mov_b32 s24, 0
	s_mov_b32 s2, 0
                                        ; implicit-def: $vgpr1_vgpr2
                                        ; implicit-def: $vgpr0
                                        ; implicit-def: $vgpr5_vgpr6
	s_and_saveexec_b32 s39, s3
	s_cbranch_execz .LBB377_894
; %bb.262:
	s_mov_b32 s2, -1
	s_mov_b32 s40, s38
	s_mov_b32 s41, s37
	s_mov_b32 s42, exec_lo
	v_cmpx_gt_i32_e64 s34, v8
	s_cbranch_execz .LBB377_529
; %bb.263:
	s_and_not1_b32 vcc_lo, exec_lo, s29
	s_cbranch_vccnz .LBB377_268
; %bb.264:
	v_dual_mov_b32 v0, 0 :: v_dual_mov_b32 v1, 0
	s_and_not1_b32 vcc_lo, exec_lo, s36
	s_mov_b32 s40, 0
	s_cbranch_vccnz .LBB377_273
; %bb.265:
	v_mov_b32_e32 v0, 0
	s_add_i32 s43, s35, 1
	s_cmp_eq_u32 s27, 2
	s_mov_b32 s41, 0
	s_cbranch_scc1 .LBB377_269
; %bb.266:
	v_dual_mov_b32 v1, 0 :: v_dual_mov_b32 v0, 0
	v_mov_b32_e32 v2, v8
	s_and_b32 s41, s43, 28
	s_mov_b32 s44, 0
	s_mov_b64 s[2:3], s[22:23]
	s_mov_b64 s[24:25], s[16:17]
.LBB377_267:                            ; =>This Inner Loop Header: Depth=1
	s_clause 0x1
	s_load_b256 s[48:55], s[24:25], 0x4
	s_load_b128 s[64:67], s[24:25], 0x24
	s_load_b256 s[56:63], s[2:3], 0x0
	s_add_u32 s24, s24, 48
	s_addc_u32 s25, s25, 0
	s_add_i32 s44, s44, 4
	s_add_u32 s2, s2, 32
	s_addc_u32 s3, s3, 0
	s_cmp_eq_u32 s41, s44
	s_waitcnt vmcnt(0) lgkmcnt(0)
	v_mul_hi_u32 v3, s49, v2
	s_delay_alu instid0(VALU_DEP_1) | instskip(NEXT) | instid1(VALU_DEP_1)
	v_add_nc_u32_e32 v3, v2, v3
	v_lshrrev_b32_e32 v3, s50, v3
	s_delay_alu instid0(VALU_DEP_1) | instskip(SKIP_1) | instid1(VALU_DEP_2)
	v_mul_hi_u32 v4, s52, v3
	v_mul_lo_u32 v6, v3, s48
	v_add_nc_u32_e32 v4, v3, v4
	s_delay_alu instid0(VALU_DEP_2) | instskip(NEXT) | instid1(VALU_DEP_2)
	v_sub_nc_u32_e32 v2, v2, v6
	v_lshrrev_b32_e32 v4, s53, v4
	s_delay_alu instid0(VALU_DEP_2) | instskip(SKIP_1) | instid1(VALU_DEP_3)
	v_mul_lo_u32 v6, v2, s56
	v_mul_lo_u32 v10, v2, s57
	v_mul_hi_u32 v5, s55, v4
	s_delay_alu instid0(VALU_DEP_1) | instskip(NEXT) | instid1(VALU_DEP_1)
	v_add_nc_u32_e32 v5, v4, v5
	v_lshrrev_b32_e32 v5, s64, v5
	s_delay_alu instid0(VALU_DEP_1) | instskip(SKIP_1) | instid1(VALU_DEP_2)
	v_mul_hi_u32 v9, s66, v5
	v_mul_lo_u32 v11, v5, s54
	v_add_nc_u32_e32 v2, v5, v9
	v_mul_lo_u32 v9, v4, s51
	s_delay_alu instid0(VALU_DEP_3) | instskip(NEXT) | instid1(VALU_DEP_3)
	v_sub_nc_u32_e32 v4, v4, v11
	v_lshrrev_b32_e32 v2, s67, v2
	s_delay_alu instid0(VALU_DEP_2) | instskip(SKIP_2) | instid1(VALU_DEP_4)
	v_mul_lo_u32 v11, v4, s60
	v_mul_lo_u32 v4, v4, s61
	v_sub_nc_u32_e32 v3, v3, v9
	v_mul_lo_u32 v12, v2, s65
	s_delay_alu instid0(VALU_DEP_2) | instskip(SKIP_1) | instid1(VALU_DEP_3)
	v_mul_lo_u32 v9, v3, s58
	v_mul_lo_u32 v3, v3, s59
	v_sub_nc_u32_e32 v5, v5, v12
	s_delay_alu instid0(VALU_DEP_3) | instskip(NEXT) | instid1(VALU_DEP_2)
	v_add3_u32 v0, v6, v0, v9
	v_mul_lo_u32 v12, v5, s62
	v_mul_lo_u32 v5, v5, s63
	v_add3_u32 v1, v10, v1, v3
	s_delay_alu instid0(VALU_DEP_3) | instskip(NEXT) | instid1(VALU_DEP_2)
	v_add3_u32 v0, v11, v0, v12
	v_add3_u32 v1, v4, v1, v5
	s_cbranch_scc0 .LBB377_267
	s_branch .LBB377_270
.LBB377_268:
	s_mov_b32 s40, -1
                                        ; implicit-def: $vgpr0
                                        ; implicit-def: $vgpr1
	s_branch .LBB377_273
.LBB377_269:
	v_dual_mov_b32 v2, v8 :: v_dual_mov_b32 v1, 0
.LBB377_270:
	s_and_b32 s43, s43, 3
	s_delay_alu instid0(SALU_CYCLE_1)
	s_cmp_eq_u32 s43, 0
	s_cbranch_scc1 .LBB377_273
; %bb.271:
	s_lshl_b32 s2, s41, 3
	s_mul_i32 s24, s41, 12
	s_add_u32 s2, s2, s16
	s_addc_u32 s3, s17, 0
	s_add_u32 s2, s2, 0xc4
	s_addc_u32 s3, s3, 0
	;; [unrolled: 2-line block ×3, first 2 shown]
	.p2align	6
.LBB377_272:                            ; =>This Inner Loop Header: Depth=1
	s_clause 0x1
	s_load_b64 s[44:45], s[24:25], 0x4
	s_load_b32 s41, s[24:25], 0xc
	s_load_b64 s[46:47], s[2:3], 0x0
	s_add_u32 s24, s24, 12
	s_addc_u32 s25, s25, 0
	s_add_u32 s2, s2, 8
	s_addc_u32 s3, s3, 0
	s_add_i32 s43, s43, -1
	s_delay_alu instid0(SALU_CYCLE_1) | instskip(SKIP_2) | instid1(VALU_DEP_1)
	s_cmp_lg_u32 s43, 0
	s_waitcnt vmcnt(0) lgkmcnt(0)
	v_mul_hi_u32 v3, s45, v2
	v_add_nc_u32_e32 v3, v2, v3
	s_delay_alu instid0(VALU_DEP_1) | instskip(NEXT) | instid1(VALU_DEP_1)
	v_lshrrev_b32_e32 v6, s41, v3
	v_mul_lo_u32 v3, v6, s44
	s_delay_alu instid0(VALU_DEP_1) | instskip(NEXT) | instid1(VALU_DEP_1)
	v_sub_nc_u32_e32 v2, v2, v3
	v_mad_u64_u32 v[3:4], null, v2, s46, v[0:1]
	v_mad_u64_u32 v[4:5], null, v2, s47, v[1:2]
	v_mov_b32_e32 v2, v6
	s_delay_alu instid0(VALU_DEP_2)
	v_dual_mov_b32 v0, v3 :: v_dual_mov_b32 v1, v4
	s_cbranch_scc1 .LBB377_272
.LBB377_273:
	s_and_not1_b32 vcc_lo, exec_lo, s40
	s_cbranch_vccnz .LBB377_276
; %bb.274:
	v_mul_hi_u32 v0, s13, v8
	s_and_not1_b32 vcc_lo, exec_lo, s33
	s_delay_alu instid0(VALU_DEP_1) | instskip(NEXT) | instid1(VALU_DEP_1)
	v_add_nc_u32_e32 v0, v8, v0
	v_lshrrev_b32_e32 v2, s14, v0
	s_delay_alu instid0(VALU_DEP_1) | instskip(NEXT) | instid1(VALU_DEP_1)
	v_mul_lo_u32 v0, v2, s12
	v_sub_nc_u32_e32 v1, v8, v0
	s_delay_alu instid0(VALU_DEP_1)
	v_mul_lo_u32 v0, v1, s8
	v_mul_lo_u32 v1, v1, s9
	s_cbranch_vccnz .LBB377_276
; %bb.275:
	s_waitcnt vmcnt(0)
	v_mul_hi_u32 v3, s20, v2
	s_delay_alu instid0(VALU_DEP_1) | instskip(NEXT) | instid1(VALU_DEP_1)
	v_add_nc_u32_e32 v3, v2, v3
	v_lshrrev_b32_e32 v3, s21, v3
	s_delay_alu instid0(VALU_DEP_1) | instskip(NEXT) | instid1(VALU_DEP_1)
	v_mul_lo_u32 v3, v3, s15
	v_sub_nc_u32_e32 v5, v2, v3
	s_delay_alu instid0(VALU_DEP_1) | instskip(NEXT) | instid1(VALU_DEP_1)
	v_mad_u64_u32 v[2:3], null, v5, s10, v[0:1]
	v_mad_u64_u32 v[3:4], null, v5, s11, v[1:2]
	s_delay_alu instid0(VALU_DEP_1)
	v_dual_mov_b32 v0, v2 :: v_dual_mov_b32 v1, v3
.LBB377_276:
	v_cmp_gt_i16_e32 vcc_lo, 11, v7
	s_delay_alu instid0(VALU_DEP_2) | instskip(NEXT) | instid1(VALU_DEP_1)
	v_add_co_u32 v1, s2, s6, v1
	v_add_co_ci_u32_e64 v2, null, s7, 0, s2
	s_mov_b32 s2, 0
	s_cbranch_vccnz .LBB377_283
; %bb.277:
	v_cmp_lt_i16_e32 vcc_lo, 25, v7
	s_cbranch_vccz .LBB377_332
; %bb.278:
	v_cmp_lt_i16_e32 vcc_lo, 28, v7
	s_cbranch_vccz .LBB377_333
	;; [unrolled: 3-line block ×4, first 2 shown]
; %bb.281:
	v_cmp_eq_u16_e32 vcc_lo, 46, v7
	s_mov_b32 s3, 0
	s_cbranch_vccz .LBB377_343
; %bb.282:
	global_load_b32 v3, v[1:2], off
	s_mov_b32 s2, -1
	s_mov_b32 s24, 0
	s_waitcnt vmcnt(0)
	v_lshlrev_b32_e32 v3, 16, v3
	s_delay_alu instid0(VALU_DEP_1) | instskip(NEXT) | instid1(VALU_DEP_1)
	v_trunc_f32_e32 v3, v3
	v_mul_f32_e64 v4, 0x2f800000, |v3|
	v_ashrrev_i32_e32 v6, 31, v3
	s_delay_alu instid0(VALU_DEP_2) | instskip(NEXT) | instid1(VALU_DEP_1)
	v_floor_f32_e32 v4, v4
	v_fma_f32 v5, 0xcf800000, v4, |v3|
	v_cvt_u32_f32_e32 v4, v4
	s_delay_alu instid0(VALU_DEP_2) | instskip(NEXT) | instid1(VALU_DEP_2)
	v_cvt_u32_f32_e32 v3, v5
	v_xor_b32_e32 v4, v4, v6
	s_delay_alu instid0(VALU_DEP_2) | instskip(NEXT) | instid1(VALU_DEP_1)
	v_xor_b32_e32 v3, v3, v6
	v_sub_co_u32 v3, vcc_lo, v3, v6
	s_delay_alu instid0(VALU_DEP_3)
	v_sub_co_ci_u32_e32 v4, vcc_lo, v4, v6, vcc_lo
	s_branch .LBB377_345
.LBB377_283:
	s_mov_b32 s24, s38
                                        ; implicit-def: $vgpr3_vgpr4
	s_cbranch_execnz .LBB377_478
.LBB377_284:
	s_and_not1_b32 vcc_lo, exec_lo, s2
	s_cbranch_vccnz .LBB377_526
.LBB377_285:
	s_waitcnt vmcnt(0)
	s_delay_alu instid0(VALU_DEP_1) | instskip(SKIP_2) | instid1(VALU_DEP_1)
	v_cmp_lt_i64_e32 vcc_lo, s[18:19], v[3:4]
	v_and_b32_e64 v5, 0xff, s31
	s_mov_b32 s3, 0
	v_cmp_gt_i16_e64 s2, 11, v5
	v_cndmask_b32_e32 v1, s18, v3, vcc_lo
	v_add_co_u32 v3, s25, s4, v0
	v_cndmask_b32_e32 v2, s19, v4, vcc_lo
	v_add_co_ci_u32_e64 v4, null, s5, 0, s25
	s_mov_b32 s25, -1
	s_and_b32 vcc_lo, exec_lo, s2
	s_mov_b32 s2, s37
	s_cbranch_vccnz .LBB377_292
; %bb.286:
	v_cmp_lt_i16_e32 vcc_lo, 25, v5
	s_cbranch_vccz .LBB377_334
; %bb.287:
	v_cmp_lt_i16_e32 vcc_lo, 28, v5
	s_cbranch_vccz .LBB377_336
	;; [unrolled: 3-line block ×4, first 2 shown]
; %bb.290:
	v_cmp_eq_u16_e32 vcc_lo, 46, v5
	s_mov_b32 s25, 0
	s_mov_b32 s2, -1
	s_cbranch_vccz .LBB377_349
; %bb.291:
	v_xor_b32_e32 v0, v1, v2
	v_cls_i32_e32 v6, v2
	s_mov_b32 s3, -1
	s_mov_b32 s2, 0
	s_delay_alu instid0(VALU_DEP_2) | instskip(NEXT) | instid1(VALU_DEP_2)
	v_ashrrev_i32_e32 v0, 31, v0
	v_add_nc_u32_e32 v6, -1, v6
	s_delay_alu instid0(VALU_DEP_2) | instskip(NEXT) | instid1(VALU_DEP_1)
	v_add_nc_u32_e32 v0, 32, v0
	v_min_u32_e32 v0, v6, v0
	s_delay_alu instid0(VALU_DEP_1) | instskip(SKIP_1) | instid1(VALU_DEP_2)
	v_lshlrev_b64 v[9:10], v0, v[1:2]
	v_sub_nc_u32_e32 v0, 32, v0
	v_min_u32_e32 v6, 1, v9
	s_delay_alu instid0(VALU_DEP_1) | instskip(NEXT) | instid1(VALU_DEP_1)
	v_or_b32_e32 v6, v10, v6
	v_cvt_f32_i32_e32 v6, v6
	s_delay_alu instid0(VALU_DEP_1) | instskip(NEXT) | instid1(VALU_DEP_1)
	v_ldexp_f32 v0, v6, v0
	v_bfe_u32 v6, v0, 16, 1
	s_delay_alu instid0(VALU_DEP_1) | instskip(NEXT) | instid1(VALU_DEP_1)
	v_add3_u32 v0, v0, v6, 0x7fff
	v_lshrrev_b32_e32 v0, 16, v0
	global_store_b32 v[3:4], v0, off
	s_branch .LBB377_349
.LBB377_292:
	s_and_b32 vcc_lo, exec_lo, s25
	s_cbranch_vccz .LBB377_418
; %bb.293:
	v_cmp_gt_i16_e32 vcc_lo, 5, v5
	s_mov_b32 s3, -1
	s_cbranch_vccnz .LBB377_314
; %bb.294:
	v_cmp_gt_i16_e32 vcc_lo, 8, v5
	s_cbranch_vccnz .LBB377_304
; %bb.295:
	v_cmp_gt_i16_e32 vcc_lo, 9, v5
	s_cbranch_vccnz .LBB377_301
; %bb.296:
	v_cmp_lt_i16_e32 vcc_lo, 9, v5
	s_cbranch_vccz .LBB377_298
; %bb.297:
	v_cvt_f64_i32_e32 v[9:10], v2
	v_cvt_f64_u32_e32 v[11:12], v1
	s_mov_b32 s3, 0
	s_delay_alu instid0(VALU_DEP_2) | instskip(NEXT) | instid1(VALU_DEP_1)
	v_ldexp_f64 v[9:10], v[9:10], 32
	v_add_f64 v[9:10], v[9:10], v[11:12]
	v_mov_b32_e32 v11, 0
	s_delay_alu instid0(VALU_DEP_1)
	v_mov_b32_e32 v12, v11
	global_store_b128 v[3:4], v[9:12], off
.LBB377_298:
	s_and_not1_b32 vcc_lo, exec_lo, s3
	s_cbranch_vccnz .LBB377_300
; %bb.299:
	v_xor_b32_e32 v0, v1, v2
	v_cls_i32_e32 v6, v2
	s_delay_alu instid0(VALU_DEP_2) | instskip(NEXT) | instid1(VALU_DEP_2)
	v_ashrrev_i32_e32 v0, 31, v0
	v_add_nc_u32_e32 v6, -1, v6
	s_delay_alu instid0(VALU_DEP_2) | instskip(NEXT) | instid1(VALU_DEP_1)
	v_add_nc_u32_e32 v0, 32, v0
	v_min_u32_e32 v0, v6, v0
	s_delay_alu instid0(VALU_DEP_1) | instskip(SKIP_1) | instid1(VALU_DEP_2)
	v_lshlrev_b64 v[9:10], v0, v[1:2]
	v_sub_nc_u32_e32 v0, 32, v0
	v_min_u32_e32 v6, 1, v9
	s_delay_alu instid0(VALU_DEP_1) | instskip(SKIP_1) | instid1(VALU_DEP_2)
	v_or_b32_e32 v6, v10, v6
	v_mov_b32_e32 v10, 0
	v_cvt_f32_i32_e32 v6, v6
	s_delay_alu instid0(VALU_DEP_1)
	v_ldexp_f32 v9, v6, v0
	global_store_b64 v[3:4], v[9:10], off
.LBB377_300:
	s_mov_b32 s3, 0
.LBB377_301:
	s_delay_alu instid0(SALU_CYCLE_1)
	s_and_not1_b32 vcc_lo, exec_lo, s3
	s_cbranch_vccnz .LBB377_303
; %bb.302:
	v_xor_b32_e32 v0, v1, v2
	v_cls_i32_e32 v6, v2
	s_delay_alu instid0(VALU_DEP_2) | instskip(NEXT) | instid1(VALU_DEP_2)
	v_ashrrev_i32_e32 v0, 31, v0
	v_add_nc_u32_e32 v6, -1, v6
	s_delay_alu instid0(VALU_DEP_2) | instskip(NEXT) | instid1(VALU_DEP_1)
	v_add_nc_u32_e32 v0, 32, v0
	v_min_u32_e32 v0, v6, v0
	s_delay_alu instid0(VALU_DEP_1) | instskip(SKIP_1) | instid1(VALU_DEP_2)
	v_lshlrev_b64 v[9:10], v0, v[1:2]
	v_sub_nc_u32_e32 v0, 32, v0
	v_min_u32_e32 v6, 1, v9
	s_delay_alu instid0(VALU_DEP_1) | instskip(NEXT) | instid1(VALU_DEP_1)
	v_or_b32_e32 v6, v10, v6
	v_cvt_f32_i32_e32 v6, v6
	s_delay_alu instid0(VALU_DEP_1) | instskip(NEXT) | instid1(VALU_DEP_1)
	v_ldexp_f32 v0, v6, v0
	v_cvt_f16_f32_e32 v0, v0
	s_delay_alu instid0(VALU_DEP_1)
	v_and_b32_e32 v0, 0xffff, v0
	global_store_b32 v[3:4], v0, off
.LBB377_303:
	s_mov_b32 s3, 0
.LBB377_304:
	s_delay_alu instid0(SALU_CYCLE_1)
	s_and_not1_b32 vcc_lo, exec_lo, s3
	s_cbranch_vccnz .LBB377_313
; %bb.305:
	v_cmp_gt_i16_e32 vcc_lo, 6, v5
	s_mov_b32 s3, -1
	s_cbranch_vccnz .LBB377_311
; %bb.306:
	v_cmp_lt_i16_e32 vcc_lo, 6, v5
	s_cbranch_vccz .LBB377_308
; %bb.307:
	v_cvt_f64_i32_e32 v[9:10], v2
	v_cvt_f64_u32_e32 v[11:12], v1
	s_mov_b32 s3, 0
	s_delay_alu instid0(VALU_DEP_2) | instskip(NEXT) | instid1(VALU_DEP_1)
	v_ldexp_f64 v[9:10], v[9:10], 32
	v_add_f64 v[9:10], v[9:10], v[11:12]
	global_store_b64 v[3:4], v[9:10], off
.LBB377_308:
	s_and_not1_b32 vcc_lo, exec_lo, s3
	s_cbranch_vccnz .LBB377_310
; %bb.309:
	v_xor_b32_e32 v0, v1, v2
	v_cls_i32_e32 v6, v2
	s_delay_alu instid0(VALU_DEP_2) | instskip(NEXT) | instid1(VALU_DEP_2)
	v_ashrrev_i32_e32 v0, 31, v0
	v_add_nc_u32_e32 v6, -1, v6
	s_delay_alu instid0(VALU_DEP_2) | instskip(NEXT) | instid1(VALU_DEP_1)
	v_add_nc_u32_e32 v0, 32, v0
	v_min_u32_e32 v0, v6, v0
	s_delay_alu instid0(VALU_DEP_1) | instskip(SKIP_1) | instid1(VALU_DEP_2)
	v_lshlrev_b64 v[9:10], v0, v[1:2]
	v_sub_nc_u32_e32 v0, 32, v0
	v_min_u32_e32 v6, 1, v9
	s_delay_alu instid0(VALU_DEP_1) | instskip(NEXT) | instid1(VALU_DEP_1)
	v_or_b32_e32 v6, v10, v6
	v_cvt_f32_i32_e32 v6, v6
	s_delay_alu instid0(VALU_DEP_1)
	v_ldexp_f32 v0, v6, v0
	global_store_b32 v[3:4], v0, off
.LBB377_310:
	s_mov_b32 s3, 0
.LBB377_311:
	s_delay_alu instid0(SALU_CYCLE_1)
	s_and_not1_b32 vcc_lo, exec_lo, s3
	s_cbranch_vccnz .LBB377_313
; %bb.312:
	v_xor_b32_e32 v0, v1, v2
	v_cls_i32_e32 v6, v2
	s_delay_alu instid0(VALU_DEP_2) | instskip(NEXT) | instid1(VALU_DEP_2)
	v_ashrrev_i32_e32 v0, 31, v0
	v_add_nc_u32_e32 v6, -1, v6
	s_delay_alu instid0(VALU_DEP_2) | instskip(NEXT) | instid1(VALU_DEP_1)
	v_add_nc_u32_e32 v0, 32, v0
	v_min_u32_e32 v0, v6, v0
	s_delay_alu instid0(VALU_DEP_1) | instskip(SKIP_1) | instid1(VALU_DEP_2)
	v_lshlrev_b64 v[9:10], v0, v[1:2]
	v_sub_nc_u32_e32 v0, 32, v0
	v_min_u32_e32 v6, 1, v9
	s_delay_alu instid0(VALU_DEP_1) | instskip(NEXT) | instid1(VALU_DEP_1)
	v_or_b32_e32 v6, v10, v6
	v_cvt_f32_i32_e32 v6, v6
	s_delay_alu instid0(VALU_DEP_1) | instskip(NEXT) | instid1(VALU_DEP_1)
	v_ldexp_f32 v0, v6, v0
	v_cvt_f16_f32_e32 v0, v0
	global_store_b16 v[3:4], v0, off
.LBB377_313:
	s_mov_b32 s3, 0
.LBB377_314:
	s_delay_alu instid0(SALU_CYCLE_1)
	s_and_not1_b32 vcc_lo, exec_lo, s3
	s_cbranch_vccnz .LBB377_330
; %bb.315:
	v_cmp_gt_i16_e32 vcc_lo, 2, v5
	s_mov_b32 s3, -1
	s_cbranch_vccnz .LBB377_325
; %bb.316:
	v_cmp_gt_i16_e32 vcc_lo, 3, v5
	s_cbranch_vccnz .LBB377_322
; %bb.317:
	v_cmp_lt_i16_e32 vcc_lo, 3, v5
	s_cbranch_vccz .LBB377_319
; %bb.318:
	s_mov_b32 s3, 0
	global_store_b64 v[3:4], v[1:2], off
.LBB377_319:
	s_and_not1_b32 vcc_lo, exec_lo, s3
	s_cbranch_vccnz .LBB377_321
; %bb.320:
	global_store_b32 v[3:4], v1, off
.LBB377_321:
	s_mov_b32 s3, 0
.LBB377_322:
	s_delay_alu instid0(SALU_CYCLE_1)
	s_and_not1_b32 vcc_lo, exec_lo, s3
	s_cbranch_vccnz .LBB377_324
; %bb.323:
	global_store_b16 v[3:4], v1, off
.LBB377_324:
	s_mov_b32 s3, 0
.LBB377_325:
	s_delay_alu instid0(SALU_CYCLE_1)
	s_and_not1_b32 vcc_lo, exec_lo, s3
	s_cbranch_vccnz .LBB377_330
; %bb.326:
	v_cmp_lt_i16_e32 vcc_lo, 0, v5
	s_mov_b32 s3, -1
	s_cbranch_vccz .LBB377_328
; %bb.327:
	s_mov_b32 s3, 0
	global_store_b8 v[3:4], v1, off
.LBB377_328:
	s_and_not1_b32 vcc_lo, exec_lo, s3
	s_cbranch_vccnz .LBB377_330
; %bb.329:
	global_store_b8 v[3:4], v1, off
.LBB377_330:
	s_branch .LBB377_419
.LBB377_331:
	s_mov_b32 s3, 0
	s_branch .LBB377_527
.LBB377_332:
	s_mov_b32 s3, -1
	s_mov_b32 s24, s38
                                        ; implicit-def: $vgpr3_vgpr4
	s_branch .LBB377_446
.LBB377_333:
	s_mov_b32 s3, -1
	s_mov_b32 s24, s38
                                        ; implicit-def: $vgpr3_vgpr4
	s_branch .LBB377_427
.LBB377_334:
	s_mov_b32 s2, s37
	s_branch .LBB377_376
.LBB377_335:
	s_mov_b32 s3, -1
	s_mov_b32 s24, s38
                                        ; implicit-def: $vgpr3_vgpr4
	s_branch .LBB377_422
.LBB377_336:
	s_mov_b32 s2, s37
	s_branch .LBB377_359
.LBB377_337:
	s_or_saveexec_b32 s37, s37
                                        ; implicit-def: $sgpr38
	s_delay_alu instid0(SALU_CYCLE_1)
	s_xor_b32 exec_lo, exec_lo, s37
	s_cbranch_execz .LBB377_104
.LBB377_338:
	v_add_f32_e64 v6, 0x46000000, |v0|
	s_and_not1_b32 s25, s25, exec_lo
	s_mov_b32 s38, 0
	s_delay_alu instid0(VALU_DEP_1) | instskip(NEXT) | instid1(VALU_DEP_1)
	v_and_b32_e32 v6, 0xff, v6
	v_cmp_ne_u32_e32 vcc_lo, 0, v6
	s_and_b32 s41, vcc_lo, exec_lo
	s_delay_alu instid0(SALU_CYCLE_1)
	s_or_b32 s25, s25, s41
	s_or_b32 exec_lo, exec_lo, s37
	v_mov_b32_e32 v9, s38
	s_and_saveexec_b32 s37, s25
	s_cbranch_execnz .LBB377_105
	s_branch .LBB377_106
.LBB377_339:
	s_mov_b32 s3, -1
	s_mov_b32 s24, s38
	s_branch .LBB377_344
.LBB377_340:
	s_mov_b32 s2, s37
	s_branch .LBB377_355
.LBB377_341:
	s_or_saveexec_b32 s37, s37
                                        ; implicit-def: $sgpr38
	s_delay_alu instid0(SALU_CYCLE_1)
	s_xor_b32 exec_lo, exec_lo, s37
	s_cbranch_execz .LBB377_117
.LBB377_342:
	v_add_f32_e64 v6, 0x42800000, |v0|
	s_and_not1_b32 s25, s25, exec_lo
	s_mov_b32 s38, 0
	s_delay_alu instid0(VALU_DEP_1) | instskip(NEXT) | instid1(VALU_DEP_1)
	v_and_b32_e32 v6, 0xff, v6
	v_cmp_ne_u32_e32 vcc_lo, 0, v6
	s_and_b32 s41, vcc_lo, exec_lo
	s_delay_alu instid0(SALU_CYCLE_1)
	s_or_b32 s25, s25, s41
	s_or_b32 exec_lo, exec_lo, s37
	v_mov_b32_e32 v9, s38
	s_and_saveexec_b32 s37, s25
	s_cbranch_execnz .LBB377_118
	s_branch .LBB377_119
.LBB377_343:
	s_mov_b32 s24, -1
.LBB377_344:
                                        ; implicit-def: $vgpr3_vgpr4
.LBB377_345:
	s_and_b32 vcc_lo, exec_lo, s3
	s_cbranch_vccz .LBB377_421
; %bb.346:
	v_cmp_eq_u16_e32 vcc_lo, 44, v7
	s_cbranch_vccz .LBB377_420
; %bb.347:
	global_load_u8 v3, v[1:2], off
	s_mov_b32 s24, 0
	s_mov_b32 s2, -1
	s_waitcnt vmcnt(0)
	v_lshlrev_b32_e32 v4, 23, v3
	s_delay_alu instid0(VALU_DEP_1) | instskip(NEXT) | instid1(VALU_DEP_1)
	v_trunc_f32_e32 v4, v4
	v_mul_f32_e64 v5, 0x2f800000, |v4|
	s_delay_alu instid0(VALU_DEP_1) | instskip(NEXT) | instid1(VALU_DEP_1)
	v_floor_f32_e32 v5, v5
	v_fma_f32 v6, 0xcf800000, v5, |v4|
	v_ashrrev_i32_e32 v4, 31, v4
	v_cvt_u32_f32_e32 v5, v5
	s_delay_alu instid0(VALU_DEP_3) | instskip(NEXT) | instid1(VALU_DEP_2)
	v_cvt_u32_f32_e32 v6, v6
	v_xor_b32_e32 v5, v5, v4
	s_delay_alu instid0(VALU_DEP_2) | instskip(NEXT) | instid1(VALU_DEP_1)
	v_xor_b32_e32 v6, v6, v4
	v_sub_co_u32 v6, vcc_lo, v6, v4
	s_delay_alu instid0(VALU_DEP_3) | instskip(SKIP_1) | instid1(VALU_DEP_2)
	v_sub_co_ci_u32_e32 v4, vcc_lo, v5, v4, vcc_lo
	v_cmp_ne_u32_e32 vcc_lo, 0, v3
	v_dual_cndmask_b32 v3, 0, v6 :: v_dual_cndmask_b32 v4, 0, v4
	s_branch .LBB377_421
.LBB377_348:
	s_mov_b32 s2, s37
.LBB377_349:
	s_and_b32 vcc_lo, exec_lo, s25
	s_cbranch_vccz .LBB377_354
; %bb.350:
	v_cmp_eq_u16_e32 vcc_lo, 44, v5
	s_mov_b32 s2, -1
	s_cbranch_vccz .LBB377_354
; %bb.351:
	v_xor_b32_e32 v0, v1, v2
	v_cls_i32_e32 v6, v2
	s_mov_b32 s3, -1
	s_mov_b32 s25, exec_lo
	s_delay_alu instid0(VALU_DEP_2) | instskip(NEXT) | instid1(VALU_DEP_2)
	v_ashrrev_i32_e32 v0, 31, v0
	v_add_nc_u32_e32 v6, -1, v6
	s_delay_alu instid0(VALU_DEP_2) | instskip(NEXT) | instid1(VALU_DEP_1)
	v_add_nc_u32_e32 v0, 32, v0
	v_min_u32_e32 v0, v6, v0
	s_delay_alu instid0(VALU_DEP_1) | instskip(SKIP_1) | instid1(VALU_DEP_2)
	v_lshlrev_b64 v[9:10], v0, v[1:2]
	v_sub_nc_u32_e32 v0, 32, v0
	v_min_u32_e32 v6, 1, v9
	s_delay_alu instid0(VALU_DEP_1) | instskip(NEXT) | instid1(VALU_DEP_1)
	v_or_b32_e32 v6, v10, v6
	v_cvt_f32_i32_e32 v6, v6
	s_delay_alu instid0(VALU_DEP_1) | instskip(SKIP_1) | instid1(VALU_DEP_2)
	v_ldexp_f32 v0, v6, v0
	v_mov_b32_e32 v6, 0xff
	v_bfe_u32 v9, v0, 23, 8
	s_delay_alu instid0(VALU_DEP_1)
	v_cmpx_ne_u32_e32 0xff, v9
; %bb.352:
	v_and_b32_e32 v6, 0x400000, v0
	v_and_or_b32 v9, 0x3fffff, v0, v9
	v_lshrrev_b32_e32 v0, 23, v0
	s_delay_alu instid0(VALU_DEP_3) | instskip(NEXT) | instid1(VALU_DEP_3)
	v_cmp_ne_u32_e32 vcc_lo, 0, v6
	v_cmp_ne_u32_e64 s2, 0, v9
	s_delay_alu instid0(VALU_DEP_1) | instskip(NEXT) | instid1(SALU_CYCLE_1)
	s_and_b32 s2, vcc_lo, s2
	v_cndmask_b32_e64 v6, 0, 1, s2
	s_delay_alu instid0(VALU_DEP_1)
	v_add_nc_u32_e32 v6, v0, v6
; %bb.353:
	s_or_b32 exec_lo, exec_lo, s25
	s_mov_b32 s2, 0
	global_store_b8 v[3:4], v6, off
.LBB377_354:
	s_mov_b32 s25, 0
.LBB377_355:
	s_delay_alu instid0(SALU_CYCLE_1)
	s_and_b32 vcc_lo, exec_lo, s25
	s_cbranch_vccz .LBB377_358
; %bb.356:
	v_cmp_eq_u16_e32 vcc_lo, 29, v5
	s_mov_b32 s2, -1
	s_cbranch_vccz .LBB377_358
; %bb.357:
	s_mov_b32 s3, -1
	s_mov_b32 s2, 0
	global_store_b64 v[3:4], v[1:2], off
.LBB377_358:
	s_mov_b32 s25, 0
.LBB377_359:
	s_delay_alu instid0(SALU_CYCLE_1)
	s_and_b32 vcc_lo, exec_lo, s25
	s_cbranch_vccz .LBB377_375
; %bb.360:
	v_cmp_gt_i16_e32 vcc_lo, 27, v5
	s_mov_b32 s3, -1
	s_cbranch_vccnz .LBB377_366
; %bb.361:
	v_cmp_lt_i16_e32 vcc_lo, 27, v5
	s_cbranch_vccz .LBB377_363
; %bb.362:
	s_mov_b32 s3, 0
	global_store_b32 v[3:4], v1, off
.LBB377_363:
	s_and_not1_b32 vcc_lo, exec_lo, s3
	s_cbranch_vccnz .LBB377_365
; %bb.364:
	global_store_b16 v[3:4], v1, off
.LBB377_365:
	s_mov_b32 s3, 0
.LBB377_366:
	s_delay_alu instid0(SALU_CYCLE_1)
	s_and_not1_b32 vcc_lo, exec_lo, s3
	s_cbranch_vccnz .LBB377_374
; %bb.367:
	v_xor_b32_e32 v0, v1, v2
	v_cls_i32_e32 v6, v2
	s_mov_b32 s3, exec_lo
	s_delay_alu instid0(VALU_DEP_2) | instskip(NEXT) | instid1(VALU_DEP_2)
	v_ashrrev_i32_e32 v0, 31, v0
	v_add_nc_u32_e32 v6, -1, v6
	s_delay_alu instid0(VALU_DEP_2) | instskip(NEXT) | instid1(VALU_DEP_1)
	v_add_nc_u32_e32 v0, 32, v0
	v_min_u32_e32 v0, v6, v0
	s_delay_alu instid0(VALU_DEP_1) | instskip(SKIP_1) | instid1(VALU_DEP_2)
	v_lshlrev_b64 v[9:10], v0, v[1:2]
	v_sub_nc_u32_e32 v0, 32, v0
	v_min_u32_e32 v6, 1, v9
	v_mov_b32_e32 v9, 0x80
	s_delay_alu instid0(VALU_DEP_2) | instskip(NEXT) | instid1(VALU_DEP_1)
	v_or_b32_e32 v6, v10, v6
	v_cvt_f32_i32_e32 v6, v6
	s_delay_alu instid0(VALU_DEP_1) | instskip(NEXT) | instid1(VALU_DEP_1)
	v_ldexp_f32 v0, v6, v0
	v_and_b32_e32 v6, 0x7fffffff, v0
	s_delay_alu instid0(VALU_DEP_1)
	v_cmpx_gt_u32_e32 0x43800000, v6
	s_cbranch_execz .LBB377_373
; %bb.368:
	v_cmp_lt_u32_e32 vcc_lo, 0x3bffffff, v6
	s_mov_b32 s25, 0
                                        ; implicit-def: $vgpr6
	s_and_saveexec_b32 s40, vcc_lo
	s_delay_alu instid0(SALU_CYCLE_1)
	s_xor_b32 s40, exec_lo, s40
	s_cbranch_execz .LBB377_555
; %bb.369:
	v_bfe_u32 v6, v0, 20, 1
	s_mov_b32 s25, exec_lo
	s_delay_alu instid0(VALU_DEP_1) | instskip(NEXT) | instid1(VALU_DEP_1)
	v_add3_u32 v6, v0, v6, 0x487ffff
	v_lshrrev_b32_e32 v6, 20, v6
	s_or_saveexec_b32 s40, s40
                                        ; implicit-def: $sgpr41
	s_delay_alu instid0(SALU_CYCLE_1)
	s_xor_b32 exec_lo, exec_lo, s40
	s_cbranch_execnz .LBB377_556
.LBB377_370:
	s_or_b32 exec_lo, exec_lo, s40
	v_mov_b32_e32 v9, s41
	s_and_saveexec_b32 s40, s25
.LBB377_371:
	v_lshrrev_b32_e32 v0, 24, v0
	s_delay_alu instid0(VALU_DEP_1)
	v_and_or_b32 v9, 0x80, v0, v6
.LBB377_372:
	s_or_b32 exec_lo, exec_lo, s40
.LBB377_373:
	s_delay_alu instid0(SALU_CYCLE_1)
	s_or_b32 exec_lo, exec_lo, s3
	global_store_b8 v[3:4], v9, off
.LBB377_374:
	s_mov_b32 s3, -1
.LBB377_375:
	s_mov_b32 s25, 0
.LBB377_376:
	s_delay_alu instid0(SALU_CYCLE_1)
	s_and_b32 vcc_lo, exec_lo, s25
	s_cbranch_vccz .LBB377_417
; %bb.377:
	v_cmp_lt_i16_e32 vcc_lo, 22, v5
	s_mov_b32 s25, -1
	s_cbranch_vccz .LBB377_409
; %bb.378:
	v_cmp_gt_i16_e32 vcc_lo, 24, v5
	s_mov_b32 s3, -1
	s_cbranch_vccnz .LBB377_398
; %bb.379:
	v_cmp_lt_i16_e32 vcc_lo, 24, v5
	s_cbranch_vccz .LBB377_387
; %bb.380:
	v_xor_b32_e32 v0, v1, v2
	v_cls_i32_e32 v6, v2
	s_mov_b32 s3, exec_lo
	s_delay_alu instid0(VALU_DEP_2) | instskip(NEXT) | instid1(VALU_DEP_2)
	v_ashrrev_i32_e32 v0, 31, v0
	v_add_nc_u32_e32 v6, -1, v6
	s_delay_alu instid0(VALU_DEP_2) | instskip(NEXT) | instid1(VALU_DEP_1)
	v_add_nc_u32_e32 v0, 32, v0
	v_min_u32_e32 v0, v6, v0
	s_delay_alu instid0(VALU_DEP_1) | instskip(SKIP_1) | instid1(VALU_DEP_2)
	v_lshlrev_b64 v[9:10], v0, v[1:2]
	v_sub_nc_u32_e32 v0, 32, v0
	v_min_u32_e32 v6, 1, v9
	v_mov_b32_e32 v9, 0x80
	s_delay_alu instid0(VALU_DEP_2) | instskip(NEXT) | instid1(VALU_DEP_1)
	v_or_b32_e32 v6, v10, v6
	v_cvt_f32_i32_e32 v6, v6
	s_delay_alu instid0(VALU_DEP_1) | instskip(NEXT) | instid1(VALU_DEP_1)
	v_ldexp_f32 v0, v6, v0
	v_and_b32_e32 v6, 0x7fffffff, v0
	s_delay_alu instid0(VALU_DEP_1)
	v_cmpx_gt_u32_e32 0x47800000, v6
	s_cbranch_execz .LBB377_386
; %bb.381:
	v_cmp_lt_u32_e32 vcc_lo, 0x37ffffff, v6
	s_mov_b32 s25, 0
                                        ; implicit-def: $vgpr6
	s_and_saveexec_b32 s40, vcc_lo
	s_delay_alu instid0(SALU_CYCLE_1)
	s_xor_b32 s40, exec_lo, s40
	s_cbranch_execz .LBB377_558
; %bb.382:
	v_bfe_u32 v6, v0, 21, 1
	s_mov_b32 s25, exec_lo
	s_delay_alu instid0(VALU_DEP_1) | instskip(NEXT) | instid1(VALU_DEP_1)
	v_add3_u32 v6, v0, v6, 0x88fffff
	v_lshrrev_b32_e32 v6, 21, v6
	s_or_saveexec_b32 s40, s40
                                        ; implicit-def: $sgpr41
	s_delay_alu instid0(SALU_CYCLE_1)
	s_xor_b32 exec_lo, exec_lo, s40
	s_cbranch_execnz .LBB377_559
.LBB377_383:
	s_or_b32 exec_lo, exec_lo, s40
	v_mov_b32_e32 v9, s41
	s_and_saveexec_b32 s40, s25
.LBB377_384:
	v_lshrrev_b32_e32 v0, 24, v0
	s_delay_alu instid0(VALU_DEP_1)
	v_and_or_b32 v9, 0x80, v0, v6
.LBB377_385:
	s_or_b32 exec_lo, exec_lo, s40
.LBB377_386:
	s_delay_alu instid0(SALU_CYCLE_1)
	s_or_b32 exec_lo, exec_lo, s3
	s_mov_b32 s3, 0
	global_store_b8 v[3:4], v9, off
.LBB377_387:
	s_and_b32 vcc_lo, exec_lo, s3
	s_cbranch_vccz .LBB377_397
; %bb.388:
	v_xor_b32_e32 v0, v1, v2
	v_cls_i32_e32 v6, v2
	s_mov_b32 s3, exec_lo
	s_delay_alu instid0(VALU_DEP_2) | instskip(NEXT) | instid1(VALU_DEP_2)
	v_ashrrev_i32_e32 v0, 31, v0
	v_add_nc_u32_e32 v6, -1, v6
	s_delay_alu instid0(VALU_DEP_2) | instskip(NEXT) | instid1(VALU_DEP_1)
	v_add_nc_u32_e32 v0, 32, v0
	v_min_u32_e32 v0, v6, v0
	s_delay_alu instid0(VALU_DEP_1) | instskip(SKIP_1) | instid1(VALU_DEP_2)
	v_lshlrev_b64 v[9:10], v0, v[1:2]
	v_sub_nc_u32_e32 v0, 32, v0
	v_min_u32_e32 v6, 1, v9
	s_delay_alu instid0(VALU_DEP_1) | instskip(NEXT) | instid1(VALU_DEP_1)
	v_or_b32_e32 v6, v10, v6
	v_cvt_f32_i32_e32 v6, v6
	s_delay_alu instid0(VALU_DEP_1) | instskip(NEXT) | instid1(VALU_DEP_1)
	v_ldexp_f32 v0, v6, v0
                                        ; implicit-def: $vgpr6
	v_and_b32_e32 v9, 0x7fffffff, v0
	s_delay_alu instid0(VALU_DEP_1)
	v_cmpx_gt_u32_e32 0x43f00000, v9
	s_xor_b32 s3, exec_lo, s3
	s_cbranch_execz .LBB377_394
; %bb.389:
	s_mov_b32 s25, exec_lo
                                        ; implicit-def: $vgpr6
	v_cmpx_lt_u32_e32 0x3c7fffff, v9
	s_xor_b32 s25, exec_lo, s25
; %bb.390:
	v_bfe_u32 v6, v0, 20, 1
	s_delay_alu instid0(VALU_DEP_1) | instskip(NEXT) | instid1(VALU_DEP_1)
	v_add3_u32 v6, v0, v6, 0x407ffff
	v_and_b32_e32 v9, 0xff00000, v6
	v_lshrrev_b32_e32 v6, 20, v6
	s_delay_alu instid0(VALU_DEP_2) | instskip(NEXT) | instid1(VALU_DEP_2)
	v_cmp_ne_u32_e32 vcc_lo, 0x7f00000, v9
	v_cndmask_b32_e32 v6, 0x7e, v6, vcc_lo
; %bb.391:
	s_and_not1_saveexec_b32 s25, s25
; %bb.392:
	v_add_f32_e64 v6, 0x46800000, |v0|
; %bb.393:
	s_or_b32 exec_lo, exec_lo, s25
                                        ; implicit-def: $vgpr9
.LBB377_394:
	s_and_not1_saveexec_b32 s3, s3
; %bb.395:
	v_mov_b32_e32 v6, 0x7f
	v_cmp_lt_u32_e32 vcc_lo, 0x7f800000, v9
	s_delay_alu instid0(VALU_DEP_2)
	v_cndmask_b32_e32 v6, 0x7e, v6, vcc_lo
; %bb.396:
	s_or_b32 exec_lo, exec_lo, s3
	v_lshrrev_b32_e32 v0, 24, v0
	s_delay_alu instid0(VALU_DEP_1)
	v_and_or_b32 v0, 0x80, v0, v6
	global_store_b8 v[3:4], v0, off
.LBB377_397:
	s_mov_b32 s3, 0
.LBB377_398:
	s_delay_alu instid0(SALU_CYCLE_1)
	s_and_not1_b32 vcc_lo, exec_lo, s3
	s_cbranch_vccnz .LBB377_408
; %bb.399:
	v_xor_b32_e32 v0, v1, v2
	v_cls_i32_e32 v6, v2
	s_mov_b32 s3, exec_lo
	s_delay_alu instid0(VALU_DEP_2) | instskip(NEXT) | instid1(VALU_DEP_2)
	v_ashrrev_i32_e32 v0, 31, v0
	v_add_nc_u32_e32 v6, -1, v6
	s_delay_alu instid0(VALU_DEP_2) | instskip(NEXT) | instid1(VALU_DEP_1)
	v_add_nc_u32_e32 v0, 32, v0
	v_min_u32_e32 v0, v6, v0
	s_delay_alu instid0(VALU_DEP_1) | instskip(SKIP_1) | instid1(VALU_DEP_2)
	v_lshlrev_b64 v[9:10], v0, v[1:2]
	v_sub_nc_u32_e32 v0, 32, v0
	v_min_u32_e32 v6, 1, v9
	s_delay_alu instid0(VALU_DEP_1) | instskip(NEXT) | instid1(VALU_DEP_1)
	v_or_b32_e32 v6, v10, v6
	v_cvt_f32_i32_e32 v6, v6
	s_delay_alu instid0(VALU_DEP_1) | instskip(NEXT) | instid1(VALU_DEP_1)
	v_ldexp_f32 v0, v6, v0
                                        ; implicit-def: $vgpr6
	v_and_b32_e32 v9, 0x7fffffff, v0
	s_delay_alu instid0(VALU_DEP_1)
	v_cmpx_gt_u32_e32 0x47800000, v9
	s_xor_b32 s3, exec_lo, s3
	s_cbranch_execz .LBB377_405
; %bb.400:
	s_mov_b32 s25, exec_lo
                                        ; implicit-def: $vgpr6
	v_cmpx_lt_u32_e32 0x387fffff, v9
	s_xor_b32 s25, exec_lo, s25
; %bb.401:
	v_bfe_u32 v6, v0, 21, 1
	s_delay_alu instid0(VALU_DEP_1) | instskip(NEXT) | instid1(VALU_DEP_1)
	v_add3_u32 v6, v0, v6, 0x80fffff
	v_lshrrev_b32_e32 v6, 21, v6
; %bb.402:
	s_and_not1_saveexec_b32 s25, s25
; %bb.403:
	v_add_f32_e64 v6, 0x43000000, |v0|
; %bb.404:
	s_or_b32 exec_lo, exec_lo, s25
                                        ; implicit-def: $vgpr9
.LBB377_405:
	s_and_not1_saveexec_b32 s3, s3
; %bb.406:
	v_mov_b32_e32 v6, 0x7f
	v_cmp_lt_u32_e32 vcc_lo, 0x7f800000, v9
	s_delay_alu instid0(VALU_DEP_2)
	v_cndmask_b32_e32 v6, 0x7c, v6, vcc_lo
; %bb.407:
	s_or_b32 exec_lo, exec_lo, s3
	v_lshrrev_b32_e32 v0, 24, v0
	s_delay_alu instid0(VALU_DEP_1)
	v_and_or_b32 v0, 0x80, v0, v6
	global_store_b8 v[3:4], v0, off
.LBB377_408:
	s_mov_b32 s25, 0
	s_mov_b32 s3, -1
.LBB377_409:
	s_and_not1_b32 vcc_lo, exec_lo, s25
	s_cbranch_vccnz .LBB377_417
; %bb.410:
	v_cmp_lt_i16_e32 vcc_lo, 14, v5
	s_mov_b32 s25, -1
	s_cbranch_vccz .LBB377_414
; %bb.411:
	v_cmp_eq_u16_e32 vcc_lo, 15, v5
	s_mov_b32 s2, -1
	s_cbranch_vccz .LBB377_413
; %bb.412:
	v_xor_b32_e32 v0, v1, v2
	v_cls_i32_e32 v6, v2
	s_mov_b32 s3, -1
	s_mov_b32 s2, 0
	s_delay_alu instid0(VALU_DEP_2) | instskip(NEXT) | instid1(VALU_DEP_2)
	v_ashrrev_i32_e32 v0, 31, v0
	v_add_nc_u32_e32 v6, -1, v6
	s_delay_alu instid0(VALU_DEP_2) | instskip(NEXT) | instid1(VALU_DEP_1)
	v_add_nc_u32_e32 v0, 32, v0
	v_min_u32_e32 v0, v6, v0
	s_delay_alu instid0(VALU_DEP_1) | instskip(SKIP_1) | instid1(VALU_DEP_2)
	v_lshlrev_b64 v[9:10], v0, v[1:2]
	v_sub_nc_u32_e32 v0, 32, v0
	v_min_u32_e32 v6, 1, v9
	s_delay_alu instid0(VALU_DEP_1) | instskip(NEXT) | instid1(VALU_DEP_1)
	v_or_b32_e32 v6, v10, v6
	v_cvt_f32_i32_e32 v6, v6
	s_delay_alu instid0(VALU_DEP_1) | instskip(NEXT) | instid1(VALU_DEP_1)
	v_ldexp_f32 v0, v6, v0
	v_bfe_u32 v6, v0, 16, 1
	s_delay_alu instid0(VALU_DEP_1)
	v_add3_u32 v0, v0, v6, 0x7fff
	global_store_d16_hi_b16 v[3:4], v0, off
.LBB377_413:
	s_mov_b32 s25, 0
.LBB377_414:
	s_delay_alu instid0(SALU_CYCLE_1)
	s_and_b32 vcc_lo, exec_lo, s25
	s_cbranch_vccz .LBB377_417
; %bb.415:
	v_cmp_eq_u16_e32 vcc_lo, 11, v5
	s_mov_b32 s2, -1
	s_cbranch_vccz .LBB377_417
; %bb.416:
	v_cmp_ne_u64_e32 vcc_lo, 0, v[1:2]
	s_mov_b32 s3, -1
	s_mov_b32 s2, 0
	v_cndmask_b32_e64 v0, 0, 1, vcc_lo
	global_store_b8 v[3:4], v0, off
.LBB377_417:
.LBB377_418:
	s_and_not1_b32 vcc_lo, exec_lo, s3
	s_cbranch_vccnz .LBB377_331
.LBB377_419:
	v_add_nc_u32_e32 v8, 0x80, v8
	s_mov_b32 s3, -1
	s_branch .LBB377_528
.LBB377_420:
	s_mov_b32 s24, -1
                                        ; implicit-def: $vgpr3_vgpr4
.LBB377_421:
	s_mov_b32 s3, 0
.LBB377_422:
	s_delay_alu instid0(SALU_CYCLE_1)
	s_and_b32 vcc_lo, exec_lo, s3
	s_cbranch_vccz .LBB377_426
; %bb.423:
	v_cmp_eq_u16_e32 vcc_lo, 29, v7
	s_cbranch_vccz .LBB377_425
; %bb.424:
	global_load_b64 v[3:4], v[1:2], off
	s_mov_b32 s2, -1
	s_mov_b32 s24, 0
	s_branch .LBB377_426
.LBB377_425:
	s_mov_b32 s24, -1
                                        ; implicit-def: $vgpr3_vgpr4
.LBB377_426:
	s_mov_b32 s3, 0
.LBB377_427:
	s_delay_alu instid0(SALU_CYCLE_1)
	s_and_b32 vcc_lo, exec_lo, s3
	s_cbranch_vccz .LBB377_445
; %bb.428:
	v_cmp_gt_i16_e32 vcc_lo, 27, v7
	s_cbranch_vccnz .LBB377_431
; %bb.429:
	v_cmp_lt_i16_e32 vcc_lo, 27, v7
	s_cbranch_vccz .LBB377_432
; %bb.430:
	global_load_b32 v3, v[1:2], off
	s_waitcnt vmcnt(1)
	v_mov_b32_e32 v4, 0
	s_mov_b32 s2, 0
	s_branch .LBB377_433
.LBB377_431:
	s_mov_b32 s2, -1
                                        ; implicit-def: $vgpr3_vgpr4
	s_branch .LBB377_436
.LBB377_432:
	s_mov_b32 s2, -1
                                        ; implicit-def: $vgpr3_vgpr4
.LBB377_433:
	s_delay_alu instid0(SALU_CYCLE_1)
	s_and_not1_b32 vcc_lo, exec_lo, s2
	s_cbranch_vccnz .LBB377_435
; %bb.434:
	global_load_u16 v3, v[1:2], off
	s_mov_b32 s2, 0
	s_waitcnt vmcnt(0)
	v_dual_mov_b32 v4, s2 :: v_dual_and_b32 v3, 0xffff, v3
.LBB377_435:
	s_mov_b32 s2, 0
.LBB377_436:
	s_delay_alu instid0(SALU_CYCLE_1)
	s_and_not1_b32 vcc_lo, exec_lo, s2
	s_cbranch_vccnz .LBB377_444
; %bb.437:
	global_load_u8 v5, v[1:2], off
	s_mov_b32 s25, 0
	s_mov_b32 s40, exec_lo
                                        ; implicit-def: $sgpr2_sgpr3
	s_waitcnt vmcnt(0)
	v_cmpx_lt_i16_e32 0x7f, v5
	s_xor_b32 s40, exec_lo, s40
; %bb.438:
	v_cmp_ne_u16_e32 vcc_lo, 0x80, v5
	s_mov_b64 s[2:3], 0
	s_and_b32 s25, vcc_lo, exec_lo
; %bb.439:
	s_or_saveexec_b32 s40, s40
	v_dual_mov_b32 v4, s3 :: v_dual_mov_b32 v3, s2
	s_xor_b32 exec_lo, exec_lo, s40
; %bb.440:
	v_cmp_ne_u16_e32 vcc_lo, 0, v5
	v_mov_b32_e32 v3, 0
	v_mov_b32_e32 v4, 0
	s_and_not1_b32 s2, s25, exec_lo
	s_and_b32 s3, vcc_lo, exec_lo
	s_delay_alu instid0(SALU_CYCLE_1)
	s_or_b32 s25, s2, s3
; %bb.441:
	s_or_b32 exec_lo, exec_lo, s40
	s_and_saveexec_b32 s2, s25
	s_cbranch_execz .LBB377_443
; %bb.442:
	v_and_b32_e32 v3, 0xffff, v5
	v_lshlrev_b32_e32 v5, 24, v5
	s_delay_alu instid0(VALU_DEP_2) | instskip(NEXT) | instid1(VALU_DEP_2)
	v_and_b32_e32 v4, 7, v3
	v_and_b32_e32 v5, 0x80000000, v5
	s_delay_alu instid0(VALU_DEP_2) | instskip(NEXT) | instid1(VALU_DEP_1)
	v_clz_i32_u32_e32 v6, v4
	v_min_u32_e32 v6, 32, v6
	s_delay_alu instid0(VALU_DEP_1) | instskip(SKIP_1) | instid1(VALU_DEP_2)
	v_subrev_nc_u32_e32 v9, 28, v6
	v_sub_nc_u32_e32 v6, 29, v6
	v_lshlrev_b32_e32 v9, v9, v3
	v_bfe_u32 v3, v3, 3, 4
	s_delay_alu instid0(VALU_DEP_2) | instskip(NEXT) | instid1(VALU_DEP_2)
	v_and_b32_e32 v9, 7, v9
	v_cmp_eq_u32_e32 vcc_lo, 0, v3
	s_delay_alu instid0(VALU_DEP_2) | instskip(NEXT) | instid1(VALU_DEP_1)
	v_dual_cndmask_b32 v3, v3, v6 :: v_dual_cndmask_b32 v4, v4, v9
	v_lshl_add_u32 v3, v3, 23, 0x3b800000
	s_delay_alu instid0(VALU_DEP_2) | instskip(NEXT) | instid1(VALU_DEP_1)
	v_lshlrev_b32_e32 v4, 20, v4
	v_or3_b32 v3, v5, v3, v4
	s_delay_alu instid0(VALU_DEP_1) | instskip(NEXT) | instid1(VALU_DEP_1)
	v_trunc_f32_e32 v3, v3
	v_mul_f32_e64 v4, 0x2f800000, |v3|
	v_ashrrev_i32_e32 v6, 31, v3
	s_delay_alu instid0(VALU_DEP_2) | instskip(NEXT) | instid1(VALU_DEP_1)
	v_floor_f32_e32 v4, v4
	v_fma_f32 v5, 0xcf800000, v4, |v3|
	v_cvt_u32_f32_e32 v4, v4
	s_delay_alu instid0(VALU_DEP_2) | instskip(NEXT) | instid1(VALU_DEP_2)
	v_cvt_u32_f32_e32 v3, v5
	v_xor_b32_e32 v4, v4, v6
	s_delay_alu instid0(VALU_DEP_2) | instskip(NEXT) | instid1(VALU_DEP_1)
	v_xor_b32_e32 v3, v3, v6
	v_sub_co_u32 v3, vcc_lo, v3, v6
	s_delay_alu instid0(VALU_DEP_3)
	v_sub_co_ci_u32_e32 v4, vcc_lo, v4, v6, vcc_lo
.LBB377_443:
	s_or_b32 exec_lo, exec_lo, s2
.LBB377_444:
	s_mov_b32 s2, -1
.LBB377_445:
	s_mov_b32 s3, 0
.LBB377_446:
	s_delay_alu instid0(SALU_CYCLE_1)
	s_and_b32 vcc_lo, exec_lo, s3
	s_cbranch_vccz .LBB377_477
; %bb.447:
	v_cmp_lt_i16_e32 vcc_lo, 22, v7
	s_cbranch_vccz .LBB377_457
; %bb.448:
	v_cmp_gt_i16_e32 vcc_lo, 24, v7
	s_cbranch_vccnz .LBB377_458
; %bb.449:
	v_cmp_lt_i16_e32 vcc_lo, 24, v7
	s_cbranch_vccz .LBB377_459
; %bb.450:
	global_load_u8 v5, v[1:2], off
	s_mov_b32 s25, 0
	s_mov_b32 s40, exec_lo
                                        ; implicit-def: $sgpr2_sgpr3
	s_waitcnt vmcnt(0)
	v_cmpx_lt_i16_e32 0x7f, v5
	s_xor_b32 s40, exec_lo, s40
; %bb.451:
	v_cmp_ne_u16_e32 vcc_lo, 0x80, v5
	s_mov_b64 s[2:3], 0
	s_and_b32 s25, vcc_lo, exec_lo
; %bb.452:
	s_or_saveexec_b32 s40, s40
	v_dual_mov_b32 v4, s3 :: v_dual_mov_b32 v3, s2
	s_xor_b32 exec_lo, exec_lo, s40
; %bb.453:
	v_cmp_ne_u16_e32 vcc_lo, 0, v5
	v_mov_b32_e32 v3, 0
	v_mov_b32_e32 v4, 0
	s_and_not1_b32 s2, s25, exec_lo
	s_and_b32 s3, vcc_lo, exec_lo
	s_delay_alu instid0(SALU_CYCLE_1)
	s_or_b32 s25, s2, s3
; %bb.454:
	s_or_b32 exec_lo, exec_lo, s40
	s_and_saveexec_b32 s2, s25
	s_cbranch_execz .LBB377_456
; %bb.455:
	v_and_b32_e32 v3, 0xffff, v5
	v_lshlrev_b32_e32 v5, 24, v5
	s_delay_alu instid0(VALU_DEP_2) | instskip(NEXT) | instid1(VALU_DEP_2)
	v_and_b32_e32 v4, 3, v3
	v_and_b32_e32 v5, 0x80000000, v5
	s_delay_alu instid0(VALU_DEP_2) | instskip(NEXT) | instid1(VALU_DEP_1)
	v_clz_i32_u32_e32 v6, v4
	v_min_u32_e32 v6, 32, v6
	s_delay_alu instid0(VALU_DEP_1) | instskip(SKIP_1) | instid1(VALU_DEP_2)
	v_subrev_nc_u32_e32 v9, 29, v6
	v_sub_nc_u32_e32 v6, 30, v6
	v_lshlrev_b32_e32 v9, v9, v3
	v_bfe_u32 v3, v3, 2, 5
	s_delay_alu instid0(VALU_DEP_2) | instskip(NEXT) | instid1(VALU_DEP_2)
	v_and_b32_e32 v9, 3, v9
	v_cmp_eq_u32_e32 vcc_lo, 0, v3
	s_delay_alu instid0(VALU_DEP_2) | instskip(NEXT) | instid1(VALU_DEP_1)
	v_dual_cndmask_b32 v3, v3, v6 :: v_dual_cndmask_b32 v4, v4, v9
	v_lshl_add_u32 v3, v3, 23, 0x37800000
	s_delay_alu instid0(VALU_DEP_2) | instskip(NEXT) | instid1(VALU_DEP_1)
	v_lshlrev_b32_e32 v4, 21, v4
	v_or3_b32 v3, v5, v3, v4
	s_delay_alu instid0(VALU_DEP_1) | instskip(NEXT) | instid1(VALU_DEP_1)
	v_trunc_f32_e32 v3, v3
	v_mul_f32_e64 v4, 0x2f800000, |v3|
	v_ashrrev_i32_e32 v6, 31, v3
	s_delay_alu instid0(VALU_DEP_2) | instskip(NEXT) | instid1(VALU_DEP_1)
	v_floor_f32_e32 v4, v4
	v_fma_f32 v5, 0xcf800000, v4, |v3|
	v_cvt_u32_f32_e32 v4, v4
	s_delay_alu instid0(VALU_DEP_2) | instskip(NEXT) | instid1(VALU_DEP_2)
	v_cvt_u32_f32_e32 v3, v5
	v_xor_b32_e32 v4, v4, v6
	s_delay_alu instid0(VALU_DEP_2) | instskip(NEXT) | instid1(VALU_DEP_1)
	v_xor_b32_e32 v3, v3, v6
	v_sub_co_u32 v3, vcc_lo, v3, v6
	s_delay_alu instid0(VALU_DEP_3)
	v_sub_co_ci_u32_e32 v4, vcc_lo, v4, v6, vcc_lo
.LBB377_456:
	s_or_b32 exec_lo, exec_lo, s2
	s_mov_b32 s2, 0
	s_branch .LBB377_460
.LBB377_457:
	s_mov_b32 s3, -1
                                        ; implicit-def: $vgpr3_vgpr4
	s_branch .LBB377_466
.LBB377_458:
	s_mov_b32 s2, -1
                                        ; implicit-def: $vgpr3_vgpr4
	s_branch .LBB377_463
.LBB377_459:
	s_mov_b32 s2, -1
                                        ; implicit-def: $vgpr3_vgpr4
.LBB377_460:
	s_delay_alu instid0(SALU_CYCLE_1)
	s_and_b32 vcc_lo, exec_lo, s2
	s_cbranch_vccz .LBB377_462
; %bb.461:
	global_load_u8 v3, v[1:2], off
	s_waitcnt vmcnt(0)
	v_lshlrev_b32_e32 v3, 24, v3
	s_delay_alu instid0(VALU_DEP_1) | instskip(NEXT) | instid1(VALU_DEP_1)
	v_and_b32_e32 v4, 0x7f000000, v3
	v_clz_i32_u32_e32 v5, v4
	v_add_nc_u32_e32 v9, 0x1000000, v4
	v_cmp_ne_u32_e32 vcc_lo, 0, v4
	s_delay_alu instid0(VALU_DEP_3) | instskip(NEXT) | instid1(VALU_DEP_1)
	v_min_u32_e32 v5, 32, v5
	v_sub_nc_u32_e64 v5, v5, 4 clamp
	s_delay_alu instid0(VALU_DEP_1) | instskip(SKIP_1) | instid1(VALU_DEP_2)
	v_lshlrev_b32_e32 v6, v5, v4
	v_lshlrev_b32_e32 v5, 23, v5
	v_lshrrev_b32_e32 v6, 4, v6
	s_delay_alu instid0(VALU_DEP_1) | instskip(SKIP_1) | instid1(VALU_DEP_2)
	v_sub_nc_u32_e32 v5, v6, v5
	v_ashrrev_i32_e32 v6, 8, v9
	v_add_nc_u32_e32 v5, 0x3c000000, v5
	s_delay_alu instid0(VALU_DEP_1) | instskip(NEXT) | instid1(VALU_DEP_1)
	v_and_or_b32 v5, 0x7f800000, v6, v5
	v_cndmask_b32_e32 v4, 0, v5, vcc_lo
	s_delay_alu instid0(VALU_DEP_1) | instskip(NEXT) | instid1(VALU_DEP_1)
	v_and_or_b32 v3, 0x80000000, v3, v4
	v_trunc_f32_e32 v3, v3
	s_delay_alu instid0(VALU_DEP_1) | instskip(SKIP_1) | instid1(VALU_DEP_2)
	v_mul_f32_e64 v4, 0x2f800000, |v3|
	v_ashrrev_i32_e32 v6, 31, v3
	v_floor_f32_e32 v4, v4
	s_delay_alu instid0(VALU_DEP_1) | instskip(SKIP_1) | instid1(VALU_DEP_2)
	v_fma_f32 v5, 0xcf800000, v4, |v3|
	v_cvt_u32_f32_e32 v4, v4
	v_cvt_u32_f32_e32 v3, v5
	s_delay_alu instid0(VALU_DEP_2) | instskip(NEXT) | instid1(VALU_DEP_2)
	v_xor_b32_e32 v4, v4, v6
	v_xor_b32_e32 v3, v3, v6
	s_delay_alu instid0(VALU_DEP_1) | instskip(NEXT) | instid1(VALU_DEP_3)
	v_sub_co_u32 v3, vcc_lo, v3, v6
	v_sub_co_ci_u32_e32 v4, vcc_lo, v4, v6, vcc_lo
.LBB377_462:
	s_mov_b32 s2, 0
.LBB377_463:
	s_delay_alu instid0(SALU_CYCLE_1)
	s_and_not1_b32 vcc_lo, exec_lo, s2
	s_cbranch_vccnz .LBB377_465
; %bb.464:
	global_load_u8 v3, v[1:2], off
	s_waitcnt vmcnt(0)
	v_lshlrev_b32_e32 v4, 25, v3
	v_lshlrev_b16 v3, 8, v3
	s_delay_alu instid0(VALU_DEP_2) | instskip(NEXT) | instid1(VALU_DEP_2)
	v_lshrrev_b32_e32 v5, 4, v4
	v_and_or_b32 v6, 0x7f00, v3, 0.5
	v_bfe_i32 v3, v3, 0, 16
	s_delay_alu instid0(VALU_DEP_3) | instskip(NEXT) | instid1(VALU_DEP_1)
	v_or_b32_e32 v5, 0x70000000, v5
	v_dual_add_f32 v6, -0.5, v6 :: v_dual_mul_f32 v5, 0x7800000, v5
	v_cmp_gt_u32_e32 vcc_lo, 0x8000000, v4
	s_delay_alu instid0(VALU_DEP_2) | instskip(NEXT) | instid1(VALU_DEP_1)
	v_cndmask_b32_e32 v4, v5, v6, vcc_lo
	v_and_or_b32 v3, 0x80000000, v3, v4
	s_delay_alu instid0(VALU_DEP_1) | instskip(NEXT) | instid1(VALU_DEP_1)
	v_trunc_f32_e32 v3, v3
	v_mul_f32_e64 v4, 0x2f800000, |v3|
	v_ashrrev_i32_e32 v6, 31, v3
	s_delay_alu instid0(VALU_DEP_2) | instskip(NEXT) | instid1(VALU_DEP_1)
	v_floor_f32_e32 v4, v4
	v_fma_f32 v5, 0xcf800000, v4, |v3|
	v_cvt_u32_f32_e32 v4, v4
	s_delay_alu instid0(VALU_DEP_2) | instskip(NEXT) | instid1(VALU_DEP_2)
	v_cvt_u32_f32_e32 v3, v5
	v_xor_b32_e32 v4, v4, v6
	s_delay_alu instid0(VALU_DEP_2) | instskip(NEXT) | instid1(VALU_DEP_1)
	v_xor_b32_e32 v3, v3, v6
	v_sub_co_u32 v3, vcc_lo, v3, v6
	s_delay_alu instid0(VALU_DEP_3)
	v_sub_co_ci_u32_e32 v4, vcc_lo, v4, v6, vcc_lo
.LBB377_465:
	s_mov_b32 s3, 0
	s_mov_b32 s2, -1
.LBB377_466:
	s_and_not1_b32 vcc_lo, exec_lo, s3
	s_cbranch_vccnz .LBB377_477
; %bb.467:
	v_cmp_lt_i16_e32 vcc_lo, 14, v7
	s_cbranch_vccz .LBB377_470
; %bb.468:
	v_cmp_eq_u16_e32 vcc_lo, 15, v7
	s_cbranch_vccz .LBB377_471
; %bb.469:
	global_load_u16 v3, v[1:2], off
	s_mov_b32 s2, -1
	s_mov_b32 s24, 0
	s_waitcnt vmcnt(0)
	v_lshlrev_b32_e32 v3, 16, v3
	s_delay_alu instid0(VALU_DEP_1) | instskip(NEXT) | instid1(VALU_DEP_1)
	v_trunc_f32_e32 v3, v3
	v_mul_f32_e64 v4, 0x2f800000, |v3|
	v_ashrrev_i32_e32 v6, 31, v3
	s_delay_alu instid0(VALU_DEP_2) | instskip(NEXT) | instid1(VALU_DEP_1)
	v_floor_f32_e32 v4, v4
	v_fma_f32 v5, 0xcf800000, v4, |v3|
	v_cvt_u32_f32_e32 v4, v4
	s_delay_alu instid0(VALU_DEP_2) | instskip(NEXT) | instid1(VALU_DEP_2)
	v_cvt_u32_f32_e32 v3, v5
	v_xor_b32_e32 v4, v4, v6
	s_delay_alu instid0(VALU_DEP_2) | instskip(NEXT) | instid1(VALU_DEP_1)
	v_xor_b32_e32 v3, v3, v6
	v_sub_co_u32 v3, vcc_lo, v3, v6
	s_delay_alu instid0(VALU_DEP_3)
	v_sub_co_ci_u32_e32 v4, vcc_lo, v4, v6, vcc_lo
	s_branch .LBB377_472
.LBB377_470:
	s_mov_b32 s3, -1
                                        ; implicit-def: $vgpr3_vgpr4
	s_branch .LBB377_473
.LBB377_471:
	s_mov_b32 s24, -1
                                        ; implicit-def: $vgpr3_vgpr4
.LBB377_472:
	s_mov_b32 s3, 0
.LBB377_473:
	s_delay_alu instid0(SALU_CYCLE_1)
	s_and_b32 vcc_lo, exec_lo, s3
	s_cbranch_vccz .LBB377_477
; %bb.474:
	v_cmp_eq_u16_e32 vcc_lo, 11, v7
	s_cbranch_vccz .LBB377_476
; %bb.475:
	global_load_u8 v3, v[1:2], off
	s_mov_b32 s24, 0
	s_mov_b32 s2, -1
	s_waitcnt vmcnt(1)
	v_mov_b32_e32 v4, s24
	s_waitcnt vmcnt(0)
	v_cmp_ne_u16_e32 vcc_lo, 0, v3
	v_cndmask_b32_e64 v3, 0, 1, vcc_lo
	s_branch .LBB377_477
.LBB377_476:
	s_mov_b32 s24, -1
                                        ; implicit-def: $vgpr3_vgpr4
.LBB377_477:
	s_branch .LBB377_284
.LBB377_478:
	v_cmp_gt_i16_e32 vcc_lo, 5, v7
	s_cbranch_vccnz .LBB377_483
; %bb.479:
	v_cmp_gt_i16_e32 vcc_lo, 8, v7
	s_cbranch_vccnz .LBB377_484
; %bb.480:
	;; [unrolled: 3-line block ×3, first 2 shown]
	v_cmp_lt_i16_e32 vcc_lo, 9, v7
	s_cbranch_vccz .LBB377_486
; %bb.482:
	global_load_b64 v[3:4], v[1:2], off
	s_mov_b32 s2, 0
	s_waitcnt vmcnt(0)
	v_trunc_f64_e32 v[3:4], v[3:4]
	s_delay_alu instid0(VALU_DEP_1) | instskip(NEXT) | instid1(VALU_DEP_1)
	v_ldexp_f64 v[5:6], v[3:4], 0xffffffe0
	v_floor_f64_e32 v[5:6], v[5:6]
	s_delay_alu instid0(VALU_DEP_1) | instskip(SKIP_1) | instid1(VALU_DEP_2)
	v_fma_f64 v[9:10], 0xc1f00000, v[5:6], v[3:4]
	v_cvt_i32_f64_e32 v4, v[5:6]
	v_cvt_u32_f64_e32 v3, v[9:10]
	s_branch .LBB377_487
.LBB377_483:
	s_mov_b32 s2, -1
                                        ; implicit-def: $vgpr3_vgpr4
	s_branch .LBB377_505
.LBB377_484:
	s_mov_b32 s2, -1
                                        ; implicit-def: $vgpr3_vgpr4
	s_branch .LBB377_493
.LBB377_485:
	s_mov_b32 s2, -1
                                        ; implicit-def: $vgpr3_vgpr4
	s_branch .LBB377_490
.LBB377_486:
	s_mov_b32 s2, -1
                                        ; implicit-def: $vgpr3_vgpr4
.LBB377_487:
	s_delay_alu instid0(SALU_CYCLE_1)
	s_and_not1_b32 vcc_lo, exec_lo, s2
	s_cbranch_vccnz .LBB377_489
; %bb.488:
	global_load_b32 v3, v[1:2], off
	s_waitcnt vmcnt(0)
	v_trunc_f32_e32 v3, v3
	s_delay_alu instid0(VALU_DEP_1) | instskip(SKIP_1) | instid1(VALU_DEP_2)
	v_mul_f32_e64 v4, 0x2f800000, |v3|
	v_ashrrev_i32_e32 v6, 31, v3
	v_floor_f32_e32 v4, v4
	s_delay_alu instid0(VALU_DEP_1) | instskip(SKIP_1) | instid1(VALU_DEP_2)
	v_fma_f32 v5, 0xcf800000, v4, |v3|
	v_cvt_u32_f32_e32 v4, v4
	v_cvt_u32_f32_e32 v3, v5
	s_delay_alu instid0(VALU_DEP_2) | instskip(NEXT) | instid1(VALU_DEP_2)
	v_xor_b32_e32 v4, v4, v6
	v_xor_b32_e32 v3, v3, v6
	s_delay_alu instid0(VALU_DEP_1) | instskip(NEXT) | instid1(VALU_DEP_3)
	v_sub_co_u32 v3, vcc_lo, v3, v6
	v_sub_co_ci_u32_e32 v4, vcc_lo, v4, v6, vcc_lo
.LBB377_489:
	s_mov_b32 s2, 0
.LBB377_490:
	s_delay_alu instid0(SALU_CYCLE_1)
	s_and_not1_b32 vcc_lo, exec_lo, s2
	s_cbranch_vccnz .LBB377_492
; %bb.491:
	global_load_b32 v3, v[1:2], off
	s_waitcnt vmcnt(0)
	v_cvt_f32_f16_e32 v3, v3
	s_delay_alu instid0(VALU_DEP_1) | instskip(NEXT) | instid1(VALU_DEP_1)
	v_cvt_i32_f32_e32 v3, v3
	v_ashrrev_i32_e32 v4, 31, v3
.LBB377_492:
	s_mov_b32 s2, 0
.LBB377_493:
	s_delay_alu instid0(SALU_CYCLE_1)
	s_and_not1_b32 vcc_lo, exec_lo, s2
	s_cbranch_vccnz .LBB377_504
; %bb.494:
	v_cmp_gt_i16_e32 vcc_lo, 6, v7
	s_cbranch_vccnz .LBB377_497
; %bb.495:
	v_cmp_lt_i16_e32 vcc_lo, 6, v7
	s_cbranch_vccz .LBB377_498
; %bb.496:
	global_load_b64 v[3:4], v[1:2], off
	s_mov_b32 s2, 0
	s_waitcnt vmcnt(0)
	v_trunc_f64_e32 v[3:4], v[3:4]
	s_delay_alu instid0(VALU_DEP_1) | instskip(NEXT) | instid1(VALU_DEP_1)
	v_ldexp_f64 v[5:6], v[3:4], 0xffffffe0
	v_floor_f64_e32 v[5:6], v[5:6]
	s_delay_alu instid0(VALU_DEP_1) | instskip(SKIP_1) | instid1(VALU_DEP_2)
	v_fma_f64 v[9:10], 0xc1f00000, v[5:6], v[3:4]
	v_cvt_i32_f64_e32 v4, v[5:6]
	v_cvt_u32_f64_e32 v3, v[9:10]
	s_branch .LBB377_499
.LBB377_497:
	s_mov_b32 s2, -1
                                        ; implicit-def: $vgpr3_vgpr4
	s_branch .LBB377_502
.LBB377_498:
	s_mov_b32 s2, -1
                                        ; implicit-def: $vgpr3_vgpr4
.LBB377_499:
	s_delay_alu instid0(SALU_CYCLE_1)
	s_and_not1_b32 vcc_lo, exec_lo, s2
	s_cbranch_vccnz .LBB377_501
; %bb.500:
	global_load_b32 v3, v[1:2], off
	s_waitcnt vmcnt(0)
	v_trunc_f32_e32 v3, v3
	s_delay_alu instid0(VALU_DEP_1) | instskip(SKIP_1) | instid1(VALU_DEP_2)
	v_mul_f32_e64 v4, 0x2f800000, |v3|
	v_ashrrev_i32_e32 v6, 31, v3
	v_floor_f32_e32 v4, v4
	s_delay_alu instid0(VALU_DEP_1) | instskip(SKIP_1) | instid1(VALU_DEP_2)
	v_fma_f32 v5, 0xcf800000, v4, |v3|
	v_cvt_u32_f32_e32 v4, v4
	v_cvt_u32_f32_e32 v3, v5
	s_delay_alu instid0(VALU_DEP_2) | instskip(NEXT) | instid1(VALU_DEP_2)
	v_xor_b32_e32 v4, v4, v6
	v_xor_b32_e32 v3, v3, v6
	s_delay_alu instid0(VALU_DEP_1) | instskip(NEXT) | instid1(VALU_DEP_3)
	v_sub_co_u32 v3, vcc_lo, v3, v6
	v_sub_co_ci_u32_e32 v4, vcc_lo, v4, v6, vcc_lo
.LBB377_501:
	s_mov_b32 s2, 0
.LBB377_502:
	s_delay_alu instid0(SALU_CYCLE_1)
	s_and_not1_b32 vcc_lo, exec_lo, s2
	s_cbranch_vccnz .LBB377_504
; %bb.503:
	global_load_u16 v3, v[1:2], off
	s_waitcnt vmcnt(0)
	v_cvt_f32_f16_e32 v3, v3
	s_delay_alu instid0(VALU_DEP_1) | instskip(NEXT) | instid1(VALU_DEP_1)
	v_cvt_i32_f32_e32 v3, v3
	v_ashrrev_i32_e32 v4, 31, v3
.LBB377_504:
	s_mov_b32 s2, 0
.LBB377_505:
	s_delay_alu instid0(SALU_CYCLE_1)
	s_and_not1_b32 vcc_lo, exec_lo, s2
	s_cbranch_vccnz .LBB377_525
; %bb.506:
	v_cmp_gt_i16_e32 vcc_lo, 2, v7
	s_cbranch_vccnz .LBB377_510
; %bb.507:
	v_cmp_gt_i16_e32 vcc_lo, 3, v7
	s_cbranch_vccnz .LBB377_511
; %bb.508:
	v_cmp_lt_i16_e32 vcc_lo, 3, v7
	s_cbranch_vccz .LBB377_512
; %bb.509:
	global_load_b64 v[3:4], v[1:2], off
	s_mov_b32 s2, 0
	s_branch .LBB377_513
.LBB377_510:
	s_mov_b32 s2, -1
                                        ; implicit-def: $vgpr3_vgpr4
	s_branch .LBB377_519
.LBB377_511:
	s_mov_b32 s2, -1
                                        ; implicit-def: $vgpr3_vgpr4
	s_branch .LBB377_516
.LBB377_512:
	s_mov_b32 s2, -1
                                        ; implicit-def: $vgpr3_vgpr4
.LBB377_513:
	s_delay_alu instid0(SALU_CYCLE_1)
	s_and_not1_b32 vcc_lo, exec_lo, s2
	s_cbranch_vccnz .LBB377_515
; %bb.514:
	global_load_b32 v3, v[1:2], off
	s_waitcnt vmcnt(0)
	v_ashrrev_i32_e32 v4, 31, v3
.LBB377_515:
	s_mov_b32 s2, 0
.LBB377_516:
	s_delay_alu instid0(SALU_CYCLE_1)
	s_and_not1_b32 vcc_lo, exec_lo, s2
	s_cbranch_vccnz .LBB377_518
; %bb.517:
	global_load_u16 v3, v[1:2], off
	s_waitcnt vmcnt(0)
	v_bfe_i32 v3, v3, 0, 16
	s_delay_alu instid0(VALU_DEP_1)
	v_ashrrev_i32_e32 v4, 31, v3
.LBB377_518:
	s_mov_b32 s2, 0
.LBB377_519:
	s_delay_alu instid0(SALU_CYCLE_1)
	s_and_not1_b32 vcc_lo, exec_lo, s2
	s_cbranch_vccnz .LBB377_525
; %bb.520:
	v_cmp_lt_i16_e32 vcc_lo, 0, v7
	s_mov_b32 s2, 0
	s_cbranch_vccz .LBB377_522
; %bb.521:
	global_load_i8 v3, v[1:2], off
	s_waitcnt vmcnt(0)
	v_bfe_i32 v3, v3, 0, 16
	s_delay_alu instid0(VALU_DEP_1)
	v_ashrrev_i32_e32 v4, 31, v3
	s_branch .LBB377_523
.LBB377_522:
	s_mov_b32 s2, -1
                                        ; implicit-def: $vgpr3_vgpr4
.LBB377_523:
	s_delay_alu instid0(SALU_CYCLE_1)
	s_and_not1_b32 vcc_lo, exec_lo, s2
	s_cbranch_vccnz .LBB377_525
; %bb.524:
	global_load_u8 v1, v[1:2], off
	s_mov_b32 s2, 0
	s_waitcnt vmcnt(0)
	v_dual_mov_b32 v4, s2 :: v_dual_and_b32 v3, 0xffff, v1
.LBB377_525:
	s_branch .LBB377_285
.LBB377_526:
	s_mov_b32 s3, 0
	s_mov_b32 s2, s37
.LBB377_527:
                                        ; implicit-def: $vgpr8
.LBB377_528:
	s_and_not1_b32 s25, s37, exec_lo
	s_and_b32 s2, s2, exec_lo
	s_and_not1_b32 s40, s38, exec_lo
	s_and_b32 s24, s24, exec_lo
	s_or_b32 s41, s25, s2
	s_or_b32 s40, s40, s24
	s_or_not1_b32 s2, s3, exec_lo
.LBB377_529:
	s_or_b32 exec_lo, exec_lo, s42
	s_mov_b32 s3, 0
	s_mov_b32 s25, 0
	;; [unrolled: 1-line block ×3, first 2 shown]
                                        ; implicit-def: $vgpr1_vgpr2
                                        ; implicit-def: $vgpr0
                                        ; implicit-def: $vgpr5_vgpr6
	s_and_saveexec_b32 s42, s2
	s_cbranch_execz .LBB377_893
; %bb.530:
	s_mov_b32 s45, -1
	s_mov_b32 s24, s40
	s_mov_b32 s25, s41
	s_mov_b32 s43, exec_lo
	v_cmpx_gt_i32_e64 s34, v8
	s_cbranch_execz .LBB377_798
; %bb.531:
	s_and_not1_b32 vcc_lo, exec_lo, s29
	s_cbranch_vccnz .LBB377_536
; %bb.532:
	v_dual_mov_b32 v0, 0 :: v_dual_mov_b32 v1, 0
	s_and_not1_b32 vcc_lo, exec_lo, s36
	s_mov_b32 s44, 0
	s_cbranch_vccnz .LBB377_541
; %bb.533:
	v_mov_b32_e32 v0, 0
	s_add_i32 s46, s35, 1
	s_cmp_eq_u32 s27, 2
	s_mov_b32 s45, 0
	s_cbranch_scc1 .LBB377_537
; %bb.534:
	v_dual_mov_b32 v1, 0 :: v_dual_mov_b32 v0, 0
	v_mov_b32_e32 v2, v8
	s_and_b32 s45, s46, 28
	s_mov_b32 s47, 0
	s_mov_b64 s[2:3], s[22:23]
	s_mov_b64 s[24:25], s[16:17]
.LBB377_535:                            ; =>This Inner Loop Header: Depth=1
	s_clause 0x1
	s_load_b256 s[48:55], s[24:25], 0x4
	s_load_b128 s[64:67], s[24:25], 0x24
	s_load_b256 s[56:63], s[2:3], 0x0
	s_add_u32 s24, s24, 48
	s_addc_u32 s25, s25, 0
	s_add_i32 s47, s47, 4
	s_add_u32 s2, s2, 32
	s_addc_u32 s3, s3, 0
	s_cmp_eq_u32 s45, s47
	s_waitcnt vmcnt(0) lgkmcnt(0)
	v_mul_hi_u32 v3, s49, v2
	s_delay_alu instid0(VALU_DEP_1) | instskip(NEXT) | instid1(VALU_DEP_1)
	v_add_nc_u32_e32 v3, v2, v3
	v_lshrrev_b32_e32 v3, s50, v3
	s_delay_alu instid0(VALU_DEP_1) | instskip(SKIP_1) | instid1(VALU_DEP_2)
	v_mul_hi_u32 v4, s52, v3
	v_mul_lo_u32 v6, v3, s48
	v_add_nc_u32_e32 v4, v3, v4
	s_delay_alu instid0(VALU_DEP_2) | instskip(NEXT) | instid1(VALU_DEP_2)
	v_sub_nc_u32_e32 v2, v2, v6
	v_lshrrev_b32_e32 v4, s53, v4
	s_delay_alu instid0(VALU_DEP_2) | instskip(SKIP_1) | instid1(VALU_DEP_3)
	v_mul_lo_u32 v6, v2, s56
	v_mul_lo_u32 v10, v2, s57
	v_mul_hi_u32 v5, s55, v4
	s_delay_alu instid0(VALU_DEP_1) | instskip(NEXT) | instid1(VALU_DEP_1)
	v_add_nc_u32_e32 v5, v4, v5
	v_lshrrev_b32_e32 v5, s64, v5
	s_delay_alu instid0(VALU_DEP_1) | instskip(SKIP_1) | instid1(VALU_DEP_2)
	v_mul_hi_u32 v9, s66, v5
	v_mul_lo_u32 v11, v5, s54
	v_add_nc_u32_e32 v2, v5, v9
	v_mul_lo_u32 v9, v4, s51
	s_delay_alu instid0(VALU_DEP_3) | instskip(NEXT) | instid1(VALU_DEP_3)
	v_sub_nc_u32_e32 v4, v4, v11
	v_lshrrev_b32_e32 v2, s67, v2
	s_delay_alu instid0(VALU_DEP_2) | instskip(SKIP_2) | instid1(VALU_DEP_4)
	v_mul_lo_u32 v11, v4, s60
	v_mul_lo_u32 v4, v4, s61
	v_sub_nc_u32_e32 v3, v3, v9
	v_mul_lo_u32 v12, v2, s65
	s_delay_alu instid0(VALU_DEP_2) | instskip(SKIP_1) | instid1(VALU_DEP_3)
	v_mul_lo_u32 v9, v3, s58
	v_mul_lo_u32 v3, v3, s59
	v_sub_nc_u32_e32 v5, v5, v12
	s_delay_alu instid0(VALU_DEP_3) | instskip(NEXT) | instid1(VALU_DEP_2)
	v_add3_u32 v0, v6, v0, v9
	v_mul_lo_u32 v12, v5, s62
	v_mul_lo_u32 v5, v5, s63
	v_add3_u32 v1, v10, v1, v3
	s_delay_alu instid0(VALU_DEP_3) | instskip(NEXT) | instid1(VALU_DEP_2)
	v_add3_u32 v0, v11, v0, v12
	v_add3_u32 v1, v4, v1, v5
	s_cbranch_scc0 .LBB377_535
	s_branch .LBB377_538
.LBB377_536:
	s_mov_b32 s44, -1
                                        ; implicit-def: $vgpr0
                                        ; implicit-def: $vgpr1
	s_branch .LBB377_541
.LBB377_537:
	v_dual_mov_b32 v2, v8 :: v_dual_mov_b32 v1, 0
.LBB377_538:
	s_and_b32 s46, s46, 3
	s_delay_alu instid0(SALU_CYCLE_1)
	s_cmp_eq_u32 s46, 0
	s_cbranch_scc1 .LBB377_541
; %bb.539:
	s_lshl_b32 s2, s45, 3
	s_mul_i32 s24, s45, 12
	s_add_u32 s2, s2, s16
	s_addc_u32 s3, s17, 0
	s_add_u32 s2, s2, 0xc4
	s_addc_u32 s3, s3, 0
	;; [unrolled: 2-line block ×3, first 2 shown]
	.p2align	6
.LBB377_540:                            ; =>This Inner Loop Header: Depth=1
	s_clause 0x1
	s_load_b64 s[48:49], s[24:25], 0x4
	s_load_b32 s45, s[24:25], 0xc
	s_load_b64 s[50:51], s[2:3], 0x0
	s_add_u32 s24, s24, 12
	s_addc_u32 s25, s25, 0
	s_add_u32 s2, s2, 8
	s_addc_u32 s3, s3, 0
	s_add_i32 s46, s46, -1
	s_delay_alu instid0(SALU_CYCLE_1) | instskip(SKIP_2) | instid1(VALU_DEP_1)
	s_cmp_lg_u32 s46, 0
	s_waitcnt vmcnt(0) lgkmcnt(0)
	v_mul_hi_u32 v3, s49, v2
	v_add_nc_u32_e32 v3, v2, v3
	s_delay_alu instid0(VALU_DEP_1) | instskip(NEXT) | instid1(VALU_DEP_1)
	v_lshrrev_b32_e32 v6, s45, v3
	v_mul_lo_u32 v3, v6, s48
	s_delay_alu instid0(VALU_DEP_1) | instskip(NEXT) | instid1(VALU_DEP_1)
	v_sub_nc_u32_e32 v2, v2, v3
	v_mad_u64_u32 v[3:4], null, v2, s50, v[0:1]
	v_mad_u64_u32 v[4:5], null, v2, s51, v[1:2]
	v_mov_b32_e32 v2, v6
	s_delay_alu instid0(VALU_DEP_2)
	v_dual_mov_b32 v0, v3 :: v_dual_mov_b32 v1, v4
	s_cbranch_scc1 .LBB377_540
.LBB377_541:
	s_and_not1_b32 vcc_lo, exec_lo, s44
	s_cbranch_vccnz .LBB377_544
; %bb.542:
	v_mul_hi_u32 v0, s13, v8
	s_and_not1_b32 vcc_lo, exec_lo, s33
	s_delay_alu instid0(VALU_DEP_1) | instskip(NEXT) | instid1(VALU_DEP_1)
	v_add_nc_u32_e32 v0, v8, v0
	v_lshrrev_b32_e32 v2, s14, v0
	s_delay_alu instid0(VALU_DEP_1) | instskip(NEXT) | instid1(VALU_DEP_1)
	v_mul_lo_u32 v0, v2, s12
	v_sub_nc_u32_e32 v1, v8, v0
	s_delay_alu instid0(VALU_DEP_1)
	v_mul_lo_u32 v0, v1, s8
	v_mul_lo_u32 v1, v1, s9
	s_cbranch_vccnz .LBB377_544
; %bb.543:
	s_waitcnt vmcnt(0)
	v_mul_hi_u32 v3, s20, v2
	s_delay_alu instid0(VALU_DEP_1) | instskip(NEXT) | instid1(VALU_DEP_1)
	v_add_nc_u32_e32 v3, v2, v3
	v_lshrrev_b32_e32 v3, s21, v3
	s_delay_alu instid0(VALU_DEP_1) | instskip(NEXT) | instid1(VALU_DEP_1)
	v_mul_lo_u32 v3, v3, s15
	v_sub_nc_u32_e32 v5, v2, v3
	s_delay_alu instid0(VALU_DEP_1) | instskip(NEXT) | instid1(VALU_DEP_1)
	v_mad_u64_u32 v[2:3], null, v5, s10, v[0:1]
	v_mad_u64_u32 v[3:4], null, v5, s11, v[1:2]
	s_delay_alu instid0(VALU_DEP_1)
	v_dual_mov_b32 v0, v2 :: v_dual_mov_b32 v1, v3
.LBB377_544:
	v_cmp_gt_i16_e32 vcc_lo, 11, v7
	s_delay_alu instid0(VALU_DEP_2) | instskip(NEXT) | instid1(VALU_DEP_1)
	v_add_co_u32 v1, s2, s6, v1
	v_add_co_ci_u32_e64 v2, null, s7, 0, s2
	s_mov_b32 s2, 0
	s_cbranch_vccnz .LBB377_551
; %bb.545:
	v_cmp_lt_i16_e32 vcc_lo, 25, v7
	s_cbranch_vccz .LBB377_552
; %bb.546:
	v_cmp_lt_i16_e32 vcc_lo, 28, v7
	s_cbranch_vccz .LBB377_553
	;; [unrolled: 3-line block ×4, first 2 shown]
; %bb.549:
	v_cmp_eq_u16_e32 vcc_lo, 46, v7
	s_mov_b32 s3, 0
	s_cbranch_vccz .LBB377_560
; %bb.550:
	global_load_b32 v3, v[1:2], off
	s_mov_b32 s2, -1
	s_mov_b32 s24, 0
	s_waitcnt vmcnt(0)
	v_lshlrev_b32_e32 v3, 16, v3
	s_delay_alu instid0(VALU_DEP_1) | instskip(NEXT) | instid1(VALU_DEP_1)
	v_trunc_f32_e32 v3, v3
	v_mul_f32_e64 v4, 0x2f800000, |v3|
	v_ashrrev_i32_e32 v6, 31, v3
	s_delay_alu instid0(VALU_DEP_2) | instskip(NEXT) | instid1(VALU_DEP_1)
	v_floor_f32_e32 v4, v4
	v_fma_f32 v5, 0xcf800000, v4, |v3|
	v_cvt_u32_f32_e32 v4, v4
	s_delay_alu instid0(VALU_DEP_2) | instskip(NEXT) | instid1(VALU_DEP_2)
	v_cvt_u32_f32_e32 v3, v5
	v_xor_b32_e32 v4, v4, v6
	s_delay_alu instid0(VALU_DEP_2) | instskip(NEXT) | instid1(VALU_DEP_1)
	v_xor_b32_e32 v3, v3, v6
	v_sub_co_u32 v3, vcc_lo, v3, v6
	s_delay_alu instid0(VALU_DEP_3)
	v_sub_co_ci_u32_e32 v4, vcc_lo, v4, v6, vcc_lo
	s_branch .LBB377_562
.LBB377_551:
	s_mov_b32 s3, -1
	s_mov_b32 s24, s40
                                        ; implicit-def: $vgpr3_vgpr4
	s_branch .LBB377_623
.LBB377_552:
	s_mov_b32 s3, -1
	s_mov_b32 s24, s40
                                        ; implicit-def: $vgpr3_vgpr4
	s_branch .LBB377_591
.LBB377_553:
	s_mov_b32 s3, -1
	s_mov_b32 s24, s40
                                        ; implicit-def: $vgpr3_vgpr4
	s_branch .LBB377_572
.LBB377_554:
	s_mov_b32 s3, -1
	s_mov_b32 s24, s40
                                        ; implicit-def: $vgpr3_vgpr4
	s_branch .LBB377_567
.LBB377_555:
	s_or_saveexec_b32 s40, s40
                                        ; implicit-def: $sgpr41
	s_delay_alu instid0(SALU_CYCLE_1)
	s_xor_b32 exec_lo, exec_lo, s40
	s_cbranch_execz .LBB377_370
.LBB377_556:
	v_add_f32_e64 v6, 0x46000000, |v0|
	s_and_not1_b32 s25, s25, exec_lo
	s_mov_b32 s41, 0
	s_delay_alu instid0(VALU_DEP_1) | instskip(NEXT) | instid1(VALU_DEP_1)
	v_and_b32_e32 v6, 0xff, v6
	v_cmp_ne_u32_e32 vcc_lo, 0, v6
	s_and_b32 s43, vcc_lo, exec_lo
	s_delay_alu instid0(SALU_CYCLE_1)
	s_or_b32 s25, s25, s43
	s_or_b32 exec_lo, exec_lo, s40
	v_mov_b32_e32 v9, s41
	s_and_saveexec_b32 s40, s25
	s_cbranch_execnz .LBB377_371
	s_branch .LBB377_372
.LBB377_557:
	s_mov_b32 s3, -1
	s_mov_b32 s24, s40
	s_branch .LBB377_561
.LBB377_558:
	s_or_saveexec_b32 s40, s40
                                        ; implicit-def: $sgpr41
	s_delay_alu instid0(SALU_CYCLE_1)
	s_xor_b32 exec_lo, exec_lo, s40
	s_cbranch_execz .LBB377_383
.LBB377_559:
	v_add_f32_e64 v6, 0x42800000, |v0|
	s_and_not1_b32 s25, s25, exec_lo
	s_mov_b32 s41, 0
	s_delay_alu instid0(VALU_DEP_1) | instskip(NEXT) | instid1(VALU_DEP_1)
	v_and_b32_e32 v6, 0xff, v6
	v_cmp_ne_u32_e32 vcc_lo, 0, v6
	s_and_b32 s43, vcc_lo, exec_lo
	s_delay_alu instid0(SALU_CYCLE_1)
	s_or_b32 s25, s25, s43
	s_or_b32 exec_lo, exec_lo, s40
	v_mov_b32_e32 v9, s41
	s_and_saveexec_b32 s40, s25
	s_cbranch_execnz .LBB377_384
	s_branch .LBB377_385
.LBB377_560:
	s_mov_b32 s24, -1
.LBB377_561:
                                        ; implicit-def: $vgpr3_vgpr4
.LBB377_562:
	s_and_b32 vcc_lo, exec_lo, s3
	s_cbranch_vccz .LBB377_566
; %bb.563:
	v_cmp_eq_u16_e32 vcc_lo, 44, v7
	s_cbranch_vccz .LBB377_565
; %bb.564:
	global_load_u8 v3, v[1:2], off
	s_mov_b32 s24, 0
	s_mov_b32 s2, -1
	s_waitcnt vmcnt(0)
	v_lshlrev_b32_e32 v4, 23, v3
	s_delay_alu instid0(VALU_DEP_1) | instskip(NEXT) | instid1(VALU_DEP_1)
	v_trunc_f32_e32 v4, v4
	v_mul_f32_e64 v5, 0x2f800000, |v4|
	s_delay_alu instid0(VALU_DEP_1) | instskip(NEXT) | instid1(VALU_DEP_1)
	v_floor_f32_e32 v5, v5
	v_fma_f32 v6, 0xcf800000, v5, |v4|
	v_ashrrev_i32_e32 v4, 31, v4
	v_cvt_u32_f32_e32 v5, v5
	s_delay_alu instid0(VALU_DEP_3) | instskip(NEXT) | instid1(VALU_DEP_2)
	v_cvt_u32_f32_e32 v6, v6
	v_xor_b32_e32 v5, v5, v4
	s_delay_alu instid0(VALU_DEP_2) | instskip(NEXT) | instid1(VALU_DEP_1)
	v_xor_b32_e32 v6, v6, v4
	v_sub_co_u32 v6, vcc_lo, v6, v4
	s_delay_alu instid0(VALU_DEP_3) | instskip(SKIP_1) | instid1(VALU_DEP_2)
	v_sub_co_ci_u32_e32 v4, vcc_lo, v5, v4, vcc_lo
	v_cmp_ne_u32_e32 vcc_lo, 0, v3
	v_dual_cndmask_b32 v3, 0, v6 :: v_dual_cndmask_b32 v4, 0, v4
	s_branch .LBB377_566
.LBB377_565:
	s_mov_b32 s24, -1
                                        ; implicit-def: $vgpr3_vgpr4
.LBB377_566:
	s_mov_b32 s3, 0
.LBB377_567:
	s_delay_alu instid0(SALU_CYCLE_1)
	s_and_b32 vcc_lo, exec_lo, s3
	s_cbranch_vccz .LBB377_571
; %bb.568:
	v_cmp_eq_u16_e32 vcc_lo, 29, v7
	s_cbranch_vccz .LBB377_570
; %bb.569:
	global_load_b64 v[3:4], v[1:2], off
	s_mov_b32 s2, -1
	s_mov_b32 s24, 0
	s_branch .LBB377_571
.LBB377_570:
	s_mov_b32 s24, -1
                                        ; implicit-def: $vgpr3_vgpr4
.LBB377_571:
	s_mov_b32 s3, 0
.LBB377_572:
	s_delay_alu instid0(SALU_CYCLE_1)
	s_and_b32 vcc_lo, exec_lo, s3
	s_cbranch_vccz .LBB377_590
; %bb.573:
	v_cmp_gt_i16_e32 vcc_lo, 27, v7
	s_cbranch_vccnz .LBB377_576
; %bb.574:
	v_cmp_lt_i16_e32 vcc_lo, 27, v7
	s_cbranch_vccz .LBB377_577
; %bb.575:
	global_load_b32 v3, v[1:2], off
	s_waitcnt vmcnt(1)
	v_mov_b32_e32 v4, 0
	s_mov_b32 s2, 0
	s_branch .LBB377_578
.LBB377_576:
	s_mov_b32 s2, -1
                                        ; implicit-def: $vgpr3_vgpr4
	s_branch .LBB377_581
.LBB377_577:
	s_mov_b32 s2, -1
                                        ; implicit-def: $vgpr3_vgpr4
.LBB377_578:
	s_delay_alu instid0(SALU_CYCLE_1)
	s_and_not1_b32 vcc_lo, exec_lo, s2
	s_cbranch_vccnz .LBB377_580
; %bb.579:
	global_load_u16 v3, v[1:2], off
	s_mov_b32 s2, 0
	s_waitcnt vmcnt(0)
	v_dual_mov_b32 v4, s2 :: v_dual_and_b32 v3, 0xffff, v3
.LBB377_580:
	s_mov_b32 s2, 0
.LBB377_581:
	s_delay_alu instid0(SALU_CYCLE_1)
	s_and_not1_b32 vcc_lo, exec_lo, s2
	s_cbranch_vccnz .LBB377_589
; %bb.582:
	global_load_u8 v5, v[1:2], off
	s_mov_b32 s25, 0
	s_mov_b32 s44, exec_lo
                                        ; implicit-def: $sgpr2_sgpr3
	s_waitcnt vmcnt(0)
	v_cmpx_lt_i16_e32 0x7f, v5
	s_xor_b32 s44, exec_lo, s44
; %bb.583:
	v_cmp_ne_u16_e32 vcc_lo, 0x80, v5
	s_mov_b64 s[2:3], 0
	s_and_b32 s25, vcc_lo, exec_lo
; %bb.584:
	s_or_saveexec_b32 s44, s44
	v_dual_mov_b32 v4, s3 :: v_dual_mov_b32 v3, s2
	s_xor_b32 exec_lo, exec_lo, s44
; %bb.585:
	v_cmp_ne_u16_e32 vcc_lo, 0, v5
	v_mov_b32_e32 v3, 0
	v_mov_b32_e32 v4, 0
	s_and_not1_b32 s2, s25, exec_lo
	s_and_b32 s3, vcc_lo, exec_lo
	s_delay_alu instid0(SALU_CYCLE_1)
	s_or_b32 s25, s2, s3
; %bb.586:
	s_or_b32 exec_lo, exec_lo, s44
	s_and_saveexec_b32 s2, s25
	s_cbranch_execz .LBB377_588
; %bb.587:
	v_and_b32_e32 v3, 0xffff, v5
	v_lshlrev_b32_e32 v5, 24, v5
	s_delay_alu instid0(VALU_DEP_2) | instskip(NEXT) | instid1(VALU_DEP_2)
	v_and_b32_e32 v4, 7, v3
	v_and_b32_e32 v5, 0x80000000, v5
	s_delay_alu instid0(VALU_DEP_2) | instskip(NEXT) | instid1(VALU_DEP_1)
	v_clz_i32_u32_e32 v6, v4
	v_min_u32_e32 v6, 32, v6
	s_delay_alu instid0(VALU_DEP_1) | instskip(SKIP_1) | instid1(VALU_DEP_2)
	v_subrev_nc_u32_e32 v9, 28, v6
	v_sub_nc_u32_e32 v6, 29, v6
	v_lshlrev_b32_e32 v9, v9, v3
	v_bfe_u32 v3, v3, 3, 4
	s_delay_alu instid0(VALU_DEP_2) | instskip(NEXT) | instid1(VALU_DEP_2)
	v_and_b32_e32 v9, 7, v9
	v_cmp_eq_u32_e32 vcc_lo, 0, v3
	s_delay_alu instid0(VALU_DEP_2) | instskip(NEXT) | instid1(VALU_DEP_1)
	v_dual_cndmask_b32 v3, v3, v6 :: v_dual_cndmask_b32 v4, v4, v9
	v_lshl_add_u32 v3, v3, 23, 0x3b800000
	s_delay_alu instid0(VALU_DEP_2) | instskip(NEXT) | instid1(VALU_DEP_1)
	v_lshlrev_b32_e32 v4, 20, v4
	v_or3_b32 v3, v5, v3, v4
	s_delay_alu instid0(VALU_DEP_1) | instskip(NEXT) | instid1(VALU_DEP_1)
	v_trunc_f32_e32 v3, v3
	v_mul_f32_e64 v4, 0x2f800000, |v3|
	v_ashrrev_i32_e32 v6, 31, v3
	s_delay_alu instid0(VALU_DEP_2) | instskip(NEXT) | instid1(VALU_DEP_1)
	v_floor_f32_e32 v4, v4
	v_fma_f32 v5, 0xcf800000, v4, |v3|
	v_cvt_u32_f32_e32 v4, v4
	s_delay_alu instid0(VALU_DEP_2) | instskip(NEXT) | instid1(VALU_DEP_2)
	v_cvt_u32_f32_e32 v3, v5
	v_xor_b32_e32 v4, v4, v6
	s_delay_alu instid0(VALU_DEP_2) | instskip(NEXT) | instid1(VALU_DEP_1)
	v_xor_b32_e32 v3, v3, v6
	v_sub_co_u32 v3, vcc_lo, v3, v6
	s_delay_alu instid0(VALU_DEP_3)
	v_sub_co_ci_u32_e32 v4, vcc_lo, v4, v6, vcc_lo
.LBB377_588:
	s_or_b32 exec_lo, exec_lo, s2
.LBB377_589:
	s_mov_b32 s2, -1
.LBB377_590:
	s_mov_b32 s3, 0
.LBB377_591:
	s_delay_alu instid0(SALU_CYCLE_1)
	s_and_b32 vcc_lo, exec_lo, s3
	s_cbranch_vccz .LBB377_622
; %bb.592:
	v_cmp_lt_i16_e32 vcc_lo, 22, v7
	s_cbranch_vccz .LBB377_602
; %bb.593:
	v_cmp_gt_i16_e32 vcc_lo, 24, v7
	s_cbranch_vccnz .LBB377_603
; %bb.594:
	v_cmp_lt_i16_e32 vcc_lo, 24, v7
	s_cbranch_vccz .LBB377_604
; %bb.595:
	global_load_u8 v5, v[1:2], off
	s_mov_b32 s25, 0
	s_mov_b32 s44, exec_lo
                                        ; implicit-def: $sgpr2_sgpr3
	s_waitcnt vmcnt(0)
	v_cmpx_lt_i16_e32 0x7f, v5
	s_xor_b32 s44, exec_lo, s44
; %bb.596:
	v_cmp_ne_u16_e32 vcc_lo, 0x80, v5
	s_mov_b64 s[2:3], 0
	s_and_b32 s25, vcc_lo, exec_lo
; %bb.597:
	s_or_saveexec_b32 s44, s44
	v_dual_mov_b32 v4, s3 :: v_dual_mov_b32 v3, s2
	s_xor_b32 exec_lo, exec_lo, s44
; %bb.598:
	v_cmp_ne_u16_e32 vcc_lo, 0, v5
	v_mov_b32_e32 v3, 0
	v_mov_b32_e32 v4, 0
	s_and_not1_b32 s2, s25, exec_lo
	s_and_b32 s3, vcc_lo, exec_lo
	s_delay_alu instid0(SALU_CYCLE_1)
	s_or_b32 s25, s2, s3
; %bb.599:
	s_or_b32 exec_lo, exec_lo, s44
	s_and_saveexec_b32 s2, s25
	s_cbranch_execz .LBB377_601
; %bb.600:
	v_and_b32_e32 v3, 0xffff, v5
	v_lshlrev_b32_e32 v5, 24, v5
	s_delay_alu instid0(VALU_DEP_2) | instskip(NEXT) | instid1(VALU_DEP_2)
	v_and_b32_e32 v4, 3, v3
	v_and_b32_e32 v5, 0x80000000, v5
	s_delay_alu instid0(VALU_DEP_2) | instskip(NEXT) | instid1(VALU_DEP_1)
	v_clz_i32_u32_e32 v6, v4
	v_min_u32_e32 v6, 32, v6
	s_delay_alu instid0(VALU_DEP_1) | instskip(SKIP_1) | instid1(VALU_DEP_2)
	v_subrev_nc_u32_e32 v9, 29, v6
	v_sub_nc_u32_e32 v6, 30, v6
	v_lshlrev_b32_e32 v9, v9, v3
	v_bfe_u32 v3, v3, 2, 5
	s_delay_alu instid0(VALU_DEP_2) | instskip(NEXT) | instid1(VALU_DEP_2)
	v_and_b32_e32 v9, 3, v9
	v_cmp_eq_u32_e32 vcc_lo, 0, v3
	s_delay_alu instid0(VALU_DEP_2) | instskip(NEXT) | instid1(VALU_DEP_1)
	v_dual_cndmask_b32 v3, v3, v6 :: v_dual_cndmask_b32 v4, v4, v9
	v_lshl_add_u32 v3, v3, 23, 0x37800000
	s_delay_alu instid0(VALU_DEP_2) | instskip(NEXT) | instid1(VALU_DEP_1)
	v_lshlrev_b32_e32 v4, 21, v4
	v_or3_b32 v3, v5, v3, v4
	s_delay_alu instid0(VALU_DEP_1) | instskip(NEXT) | instid1(VALU_DEP_1)
	v_trunc_f32_e32 v3, v3
	v_mul_f32_e64 v4, 0x2f800000, |v3|
	v_ashrrev_i32_e32 v6, 31, v3
	s_delay_alu instid0(VALU_DEP_2) | instskip(NEXT) | instid1(VALU_DEP_1)
	v_floor_f32_e32 v4, v4
	v_fma_f32 v5, 0xcf800000, v4, |v3|
	v_cvt_u32_f32_e32 v4, v4
	s_delay_alu instid0(VALU_DEP_2) | instskip(NEXT) | instid1(VALU_DEP_2)
	v_cvt_u32_f32_e32 v3, v5
	v_xor_b32_e32 v4, v4, v6
	s_delay_alu instid0(VALU_DEP_2) | instskip(NEXT) | instid1(VALU_DEP_1)
	v_xor_b32_e32 v3, v3, v6
	v_sub_co_u32 v3, vcc_lo, v3, v6
	s_delay_alu instid0(VALU_DEP_3)
	v_sub_co_ci_u32_e32 v4, vcc_lo, v4, v6, vcc_lo
.LBB377_601:
	s_or_b32 exec_lo, exec_lo, s2
	s_mov_b32 s2, 0
	s_branch .LBB377_605
.LBB377_602:
	s_mov_b32 s3, -1
                                        ; implicit-def: $vgpr3_vgpr4
	s_branch .LBB377_611
.LBB377_603:
	s_mov_b32 s2, -1
                                        ; implicit-def: $vgpr3_vgpr4
	s_branch .LBB377_608
.LBB377_604:
	s_mov_b32 s2, -1
                                        ; implicit-def: $vgpr3_vgpr4
.LBB377_605:
	s_delay_alu instid0(SALU_CYCLE_1)
	s_and_b32 vcc_lo, exec_lo, s2
	s_cbranch_vccz .LBB377_607
; %bb.606:
	global_load_u8 v3, v[1:2], off
	s_waitcnt vmcnt(0)
	v_lshlrev_b32_e32 v3, 24, v3
	s_delay_alu instid0(VALU_DEP_1) | instskip(NEXT) | instid1(VALU_DEP_1)
	v_and_b32_e32 v4, 0x7f000000, v3
	v_clz_i32_u32_e32 v5, v4
	v_add_nc_u32_e32 v9, 0x1000000, v4
	v_cmp_ne_u32_e32 vcc_lo, 0, v4
	s_delay_alu instid0(VALU_DEP_3) | instskip(NEXT) | instid1(VALU_DEP_1)
	v_min_u32_e32 v5, 32, v5
	v_sub_nc_u32_e64 v5, v5, 4 clamp
	s_delay_alu instid0(VALU_DEP_1) | instskip(SKIP_1) | instid1(VALU_DEP_2)
	v_lshlrev_b32_e32 v6, v5, v4
	v_lshlrev_b32_e32 v5, 23, v5
	v_lshrrev_b32_e32 v6, 4, v6
	s_delay_alu instid0(VALU_DEP_1) | instskip(SKIP_1) | instid1(VALU_DEP_2)
	v_sub_nc_u32_e32 v5, v6, v5
	v_ashrrev_i32_e32 v6, 8, v9
	v_add_nc_u32_e32 v5, 0x3c000000, v5
	s_delay_alu instid0(VALU_DEP_1) | instskip(NEXT) | instid1(VALU_DEP_1)
	v_and_or_b32 v5, 0x7f800000, v6, v5
	v_cndmask_b32_e32 v4, 0, v5, vcc_lo
	s_delay_alu instid0(VALU_DEP_1) | instskip(NEXT) | instid1(VALU_DEP_1)
	v_and_or_b32 v3, 0x80000000, v3, v4
	v_trunc_f32_e32 v3, v3
	s_delay_alu instid0(VALU_DEP_1) | instskip(SKIP_1) | instid1(VALU_DEP_2)
	v_mul_f32_e64 v4, 0x2f800000, |v3|
	v_ashrrev_i32_e32 v6, 31, v3
	v_floor_f32_e32 v4, v4
	s_delay_alu instid0(VALU_DEP_1) | instskip(SKIP_1) | instid1(VALU_DEP_2)
	v_fma_f32 v5, 0xcf800000, v4, |v3|
	v_cvt_u32_f32_e32 v4, v4
	v_cvt_u32_f32_e32 v3, v5
	s_delay_alu instid0(VALU_DEP_2) | instskip(NEXT) | instid1(VALU_DEP_2)
	v_xor_b32_e32 v4, v4, v6
	v_xor_b32_e32 v3, v3, v6
	s_delay_alu instid0(VALU_DEP_1) | instskip(NEXT) | instid1(VALU_DEP_3)
	v_sub_co_u32 v3, vcc_lo, v3, v6
	v_sub_co_ci_u32_e32 v4, vcc_lo, v4, v6, vcc_lo
.LBB377_607:
	s_mov_b32 s2, 0
.LBB377_608:
	s_delay_alu instid0(SALU_CYCLE_1)
	s_and_not1_b32 vcc_lo, exec_lo, s2
	s_cbranch_vccnz .LBB377_610
; %bb.609:
	global_load_u8 v3, v[1:2], off
	s_waitcnt vmcnt(0)
	v_lshlrev_b32_e32 v4, 25, v3
	v_lshlrev_b16 v3, 8, v3
	s_delay_alu instid0(VALU_DEP_2) | instskip(NEXT) | instid1(VALU_DEP_2)
	v_lshrrev_b32_e32 v5, 4, v4
	v_and_or_b32 v6, 0x7f00, v3, 0.5
	v_bfe_i32 v3, v3, 0, 16
	s_delay_alu instid0(VALU_DEP_3) | instskip(NEXT) | instid1(VALU_DEP_1)
	v_or_b32_e32 v5, 0x70000000, v5
	v_dual_add_f32 v6, -0.5, v6 :: v_dual_mul_f32 v5, 0x7800000, v5
	v_cmp_gt_u32_e32 vcc_lo, 0x8000000, v4
	s_delay_alu instid0(VALU_DEP_2) | instskip(NEXT) | instid1(VALU_DEP_1)
	v_cndmask_b32_e32 v4, v5, v6, vcc_lo
	v_and_or_b32 v3, 0x80000000, v3, v4
	s_delay_alu instid0(VALU_DEP_1) | instskip(NEXT) | instid1(VALU_DEP_1)
	v_trunc_f32_e32 v3, v3
	v_mul_f32_e64 v4, 0x2f800000, |v3|
	v_ashrrev_i32_e32 v6, 31, v3
	s_delay_alu instid0(VALU_DEP_2) | instskip(NEXT) | instid1(VALU_DEP_1)
	v_floor_f32_e32 v4, v4
	v_fma_f32 v5, 0xcf800000, v4, |v3|
	v_cvt_u32_f32_e32 v4, v4
	s_delay_alu instid0(VALU_DEP_2) | instskip(NEXT) | instid1(VALU_DEP_2)
	v_cvt_u32_f32_e32 v3, v5
	v_xor_b32_e32 v4, v4, v6
	s_delay_alu instid0(VALU_DEP_2) | instskip(NEXT) | instid1(VALU_DEP_1)
	v_xor_b32_e32 v3, v3, v6
	v_sub_co_u32 v3, vcc_lo, v3, v6
	s_delay_alu instid0(VALU_DEP_3)
	v_sub_co_ci_u32_e32 v4, vcc_lo, v4, v6, vcc_lo
.LBB377_610:
	s_mov_b32 s3, 0
	s_mov_b32 s2, -1
.LBB377_611:
	s_and_not1_b32 vcc_lo, exec_lo, s3
	s_cbranch_vccnz .LBB377_622
; %bb.612:
	v_cmp_lt_i16_e32 vcc_lo, 14, v7
	s_cbranch_vccz .LBB377_615
; %bb.613:
	v_cmp_eq_u16_e32 vcc_lo, 15, v7
	s_cbranch_vccz .LBB377_616
; %bb.614:
	global_load_u16 v3, v[1:2], off
	s_mov_b32 s2, -1
	s_mov_b32 s24, 0
	s_waitcnt vmcnt(0)
	v_lshlrev_b32_e32 v3, 16, v3
	s_delay_alu instid0(VALU_DEP_1) | instskip(NEXT) | instid1(VALU_DEP_1)
	v_trunc_f32_e32 v3, v3
	v_mul_f32_e64 v4, 0x2f800000, |v3|
	v_ashrrev_i32_e32 v6, 31, v3
	s_delay_alu instid0(VALU_DEP_2) | instskip(NEXT) | instid1(VALU_DEP_1)
	v_floor_f32_e32 v4, v4
	v_fma_f32 v5, 0xcf800000, v4, |v3|
	v_cvt_u32_f32_e32 v4, v4
	s_delay_alu instid0(VALU_DEP_2) | instskip(NEXT) | instid1(VALU_DEP_2)
	v_cvt_u32_f32_e32 v3, v5
	v_xor_b32_e32 v4, v4, v6
	s_delay_alu instid0(VALU_DEP_2) | instskip(NEXT) | instid1(VALU_DEP_1)
	v_xor_b32_e32 v3, v3, v6
	v_sub_co_u32 v3, vcc_lo, v3, v6
	s_delay_alu instid0(VALU_DEP_3)
	v_sub_co_ci_u32_e32 v4, vcc_lo, v4, v6, vcc_lo
	s_branch .LBB377_617
.LBB377_615:
	s_mov_b32 s3, -1
                                        ; implicit-def: $vgpr3_vgpr4
	s_branch .LBB377_618
.LBB377_616:
	s_mov_b32 s24, -1
                                        ; implicit-def: $vgpr3_vgpr4
.LBB377_617:
	s_mov_b32 s3, 0
.LBB377_618:
	s_delay_alu instid0(SALU_CYCLE_1)
	s_and_b32 vcc_lo, exec_lo, s3
	s_cbranch_vccz .LBB377_622
; %bb.619:
	v_cmp_eq_u16_e32 vcc_lo, 11, v7
	s_cbranch_vccz .LBB377_621
; %bb.620:
	global_load_u8 v3, v[1:2], off
	s_mov_b32 s24, 0
	s_mov_b32 s2, -1
	s_waitcnt vmcnt(1)
	v_mov_b32_e32 v4, s24
	s_waitcnt vmcnt(0)
	v_cmp_ne_u16_e32 vcc_lo, 0, v3
	v_cndmask_b32_e64 v3, 0, 1, vcc_lo
	s_branch .LBB377_622
.LBB377_621:
	s_mov_b32 s24, -1
                                        ; implicit-def: $vgpr3_vgpr4
.LBB377_622:
	s_mov_b32 s3, 0
.LBB377_623:
	s_delay_alu instid0(SALU_CYCLE_1)
	s_and_b32 vcc_lo, exec_lo, s3
	s_cbranch_vccz .LBB377_672
; %bb.624:
	v_cmp_gt_i16_e32 vcc_lo, 5, v7
	s_cbranch_vccnz .LBB377_629
; %bb.625:
	v_cmp_gt_i16_e32 vcc_lo, 8, v7
	s_cbranch_vccnz .LBB377_630
	;; [unrolled: 3-line block ×3, first 2 shown]
; %bb.627:
	v_cmp_lt_i16_e32 vcc_lo, 9, v7
	s_cbranch_vccz .LBB377_632
; %bb.628:
	global_load_b64 v[3:4], v[1:2], off
	s_mov_b32 s2, 0
	s_waitcnt vmcnt(0)
	v_trunc_f64_e32 v[3:4], v[3:4]
	s_delay_alu instid0(VALU_DEP_1) | instskip(NEXT) | instid1(VALU_DEP_1)
	v_ldexp_f64 v[5:6], v[3:4], 0xffffffe0
	v_floor_f64_e32 v[5:6], v[5:6]
	s_delay_alu instid0(VALU_DEP_1) | instskip(SKIP_1) | instid1(VALU_DEP_2)
	v_fma_f64 v[9:10], 0xc1f00000, v[5:6], v[3:4]
	v_cvt_i32_f64_e32 v4, v[5:6]
	v_cvt_u32_f64_e32 v3, v[9:10]
	s_branch .LBB377_633
.LBB377_629:
	s_mov_b32 s2, -1
                                        ; implicit-def: $vgpr3_vgpr4
	s_branch .LBB377_651
.LBB377_630:
	s_mov_b32 s2, -1
                                        ; implicit-def: $vgpr3_vgpr4
	s_branch .LBB377_639
.LBB377_631:
	s_mov_b32 s2, -1
                                        ; implicit-def: $vgpr3_vgpr4
	s_branch .LBB377_636
.LBB377_632:
	s_mov_b32 s2, -1
                                        ; implicit-def: $vgpr3_vgpr4
.LBB377_633:
	s_delay_alu instid0(SALU_CYCLE_1)
	s_and_not1_b32 vcc_lo, exec_lo, s2
	s_cbranch_vccnz .LBB377_635
; %bb.634:
	global_load_b32 v3, v[1:2], off
	s_waitcnt vmcnt(0)
	v_trunc_f32_e32 v3, v3
	s_delay_alu instid0(VALU_DEP_1) | instskip(SKIP_1) | instid1(VALU_DEP_2)
	v_mul_f32_e64 v4, 0x2f800000, |v3|
	v_ashrrev_i32_e32 v6, 31, v3
	v_floor_f32_e32 v4, v4
	s_delay_alu instid0(VALU_DEP_1) | instskip(SKIP_1) | instid1(VALU_DEP_2)
	v_fma_f32 v5, 0xcf800000, v4, |v3|
	v_cvt_u32_f32_e32 v4, v4
	v_cvt_u32_f32_e32 v3, v5
	s_delay_alu instid0(VALU_DEP_2) | instskip(NEXT) | instid1(VALU_DEP_2)
	v_xor_b32_e32 v4, v4, v6
	v_xor_b32_e32 v3, v3, v6
	s_delay_alu instid0(VALU_DEP_1) | instskip(NEXT) | instid1(VALU_DEP_3)
	v_sub_co_u32 v3, vcc_lo, v3, v6
	v_sub_co_ci_u32_e32 v4, vcc_lo, v4, v6, vcc_lo
.LBB377_635:
	s_mov_b32 s2, 0
.LBB377_636:
	s_delay_alu instid0(SALU_CYCLE_1)
	s_and_not1_b32 vcc_lo, exec_lo, s2
	s_cbranch_vccnz .LBB377_638
; %bb.637:
	global_load_b32 v3, v[1:2], off
	s_waitcnt vmcnt(0)
	v_cvt_f32_f16_e32 v3, v3
	s_delay_alu instid0(VALU_DEP_1) | instskip(NEXT) | instid1(VALU_DEP_1)
	v_cvt_i32_f32_e32 v3, v3
	v_ashrrev_i32_e32 v4, 31, v3
.LBB377_638:
	s_mov_b32 s2, 0
.LBB377_639:
	s_delay_alu instid0(SALU_CYCLE_1)
	s_and_not1_b32 vcc_lo, exec_lo, s2
	s_cbranch_vccnz .LBB377_650
; %bb.640:
	v_cmp_gt_i16_e32 vcc_lo, 6, v7
	s_cbranch_vccnz .LBB377_643
; %bb.641:
	v_cmp_lt_i16_e32 vcc_lo, 6, v7
	s_cbranch_vccz .LBB377_644
; %bb.642:
	global_load_b64 v[3:4], v[1:2], off
	s_mov_b32 s2, 0
	s_waitcnt vmcnt(0)
	v_trunc_f64_e32 v[3:4], v[3:4]
	s_delay_alu instid0(VALU_DEP_1) | instskip(NEXT) | instid1(VALU_DEP_1)
	v_ldexp_f64 v[5:6], v[3:4], 0xffffffe0
	v_floor_f64_e32 v[5:6], v[5:6]
	s_delay_alu instid0(VALU_DEP_1) | instskip(SKIP_1) | instid1(VALU_DEP_2)
	v_fma_f64 v[9:10], 0xc1f00000, v[5:6], v[3:4]
	v_cvt_i32_f64_e32 v4, v[5:6]
	v_cvt_u32_f64_e32 v3, v[9:10]
	s_branch .LBB377_645
.LBB377_643:
	s_mov_b32 s2, -1
                                        ; implicit-def: $vgpr3_vgpr4
	s_branch .LBB377_648
.LBB377_644:
	s_mov_b32 s2, -1
                                        ; implicit-def: $vgpr3_vgpr4
.LBB377_645:
	s_delay_alu instid0(SALU_CYCLE_1)
	s_and_not1_b32 vcc_lo, exec_lo, s2
	s_cbranch_vccnz .LBB377_647
; %bb.646:
	global_load_b32 v3, v[1:2], off
	s_waitcnt vmcnt(0)
	v_trunc_f32_e32 v3, v3
	s_delay_alu instid0(VALU_DEP_1) | instskip(SKIP_1) | instid1(VALU_DEP_2)
	v_mul_f32_e64 v4, 0x2f800000, |v3|
	v_ashrrev_i32_e32 v6, 31, v3
	v_floor_f32_e32 v4, v4
	s_delay_alu instid0(VALU_DEP_1) | instskip(SKIP_1) | instid1(VALU_DEP_2)
	v_fma_f32 v5, 0xcf800000, v4, |v3|
	v_cvt_u32_f32_e32 v4, v4
	v_cvt_u32_f32_e32 v3, v5
	s_delay_alu instid0(VALU_DEP_2) | instskip(NEXT) | instid1(VALU_DEP_2)
	v_xor_b32_e32 v4, v4, v6
	v_xor_b32_e32 v3, v3, v6
	s_delay_alu instid0(VALU_DEP_1) | instskip(NEXT) | instid1(VALU_DEP_3)
	v_sub_co_u32 v3, vcc_lo, v3, v6
	v_sub_co_ci_u32_e32 v4, vcc_lo, v4, v6, vcc_lo
.LBB377_647:
	s_mov_b32 s2, 0
.LBB377_648:
	s_delay_alu instid0(SALU_CYCLE_1)
	s_and_not1_b32 vcc_lo, exec_lo, s2
	s_cbranch_vccnz .LBB377_650
; %bb.649:
	global_load_u16 v3, v[1:2], off
	s_waitcnt vmcnt(0)
	v_cvt_f32_f16_e32 v3, v3
	s_delay_alu instid0(VALU_DEP_1) | instskip(NEXT) | instid1(VALU_DEP_1)
	v_cvt_i32_f32_e32 v3, v3
	v_ashrrev_i32_e32 v4, 31, v3
.LBB377_650:
	s_mov_b32 s2, 0
.LBB377_651:
	s_delay_alu instid0(SALU_CYCLE_1)
	s_and_not1_b32 vcc_lo, exec_lo, s2
	s_cbranch_vccnz .LBB377_671
; %bb.652:
	v_cmp_gt_i16_e32 vcc_lo, 2, v7
	s_cbranch_vccnz .LBB377_656
; %bb.653:
	v_cmp_gt_i16_e32 vcc_lo, 3, v7
	s_cbranch_vccnz .LBB377_657
; %bb.654:
	v_cmp_lt_i16_e32 vcc_lo, 3, v7
	s_cbranch_vccz .LBB377_658
; %bb.655:
	global_load_b64 v[3:4], v[1:2], off
	s_mov_b32 s2, 0
	s_branch .LBB377_659
.LBB377_656:
	s_mov_b32 s2, -1
                                        ; implicit-def: $vgpr3_vgpr4
	s_branch .LBB377_665
.LBB377_657:
	s_mov_b32 s2, -1
                                        ; implicit-def: $vgpr3_vgpr4
	s_branch .LBB377_662
.LBB377_658:
	s_mov_b32 s2, -1
                                        ; implicit-def: $vgpr3_vgpr4
.LBB377_659:
	s_delay_alu instid0(SALU_CYCLE_1)
	s_and_not1_b32 vcc_lo, exec_lo, s2
	s_cbranch_vccnz .LBB377_661
; %bb.660:
	global_load_b32 v3, v[1:2], off
	s_waitcnt vmcnt(0)
	v_ashrrev_i32_e32 v4, 31, v3
.LBB377_661:
	s_mov_b32 s2, 0
.LBB377_662:
	s_delay_alu instid0(SALU_CYCLE_1)
	s_and_not1_b32 vcc_lo, exec_lo, s2
	s_cbranch_vccnz .LBB377_664
; %bb.663:
	global_load_u16 v3, v[1:2], off
	s_waitcnt vmcnt(0)
	v_bfe_i32 v3, v3, 0, 16
	s_delay_alu instid0(VALU_DEP_1)
	v_ashrrev_i32_e32 v4, 31, v3
.LBB377_664:
	s_mov_b32 s2, 0
.LBB377_665:
	s_delay_alu instid0(SALU_CYCLE_1)
	s_and_not1_b32 vcc_lo, exec_lo, s2
	s_cbranch_vccnz .LBB377_671
; %bb.666:
	v_cmp_lt_i16_e32 vcc_lo, 0, v7
	s_mov_b32 s2, 0
	s_cbranch_vccz .LBB377_668
; %bb.667:
	global_load_i8 v3, v[1:2], off
	s_waitcnt vmcnt(0)
	v_bfe_i32 v3, v3, 0, 16
	s_delay_alu instid0(VALU_DEP_1)
	v_ashrrev_i32_e32 v4, 31, v3
	s_branch .LBB377_669
.LBB377_668:
	s_mov_b32 s2, -1
                                        ; implicit-def: $vgpr3_vgpr4
.LBB377_669:
	s_delay_alu instid0(SALU_CYCLE_1)
	s_and_not1_b32 vcc_lo, exec_lo, s2
	s_cbranch_vccnz .LBB377_671
; %bb.670:
	global_load_u8 v1, v[1:2], off
	s_mov_b32 s2, 0
	s_waitcnt vmcnt(0)
	v_dual_mov_b32 v4, s2 :: v_dual_and_b32 v3, 0xffff, v1
.LBB377_671:
	s_mov_b32 s2, -1
.LBB377_672:
	s_delay_alu instid0(SALU_CYCLE_1)
	s_and_not1_b32 vcc_lo, exec_lo, s2
	s_cbranch_vccnz .LBB377_680
; %bb.673:
	s_waitcnt vmcnt(0)
	s_delay_alu instid0(VALU_DEP_1) | instskip(SKIP_2) | instid1(VALU_DEP_1)
	v_cmp_lt_i64_e32 vcc_lo, s[18:19], v[3:4]
	v_and_b32_e64 v5, 0xff, s31
	s_mov_b32 s3, 0
	v_cmp_gt_i16_e64 s2, 11, v5
	v_cndmask_b32_e32 v1, s18, v3, vcc_lo
	v_add_co_u32 v3, s25, s4, v0
	v_cndmask_b32_e32 v2, s19, v4, vcc_lo
	v_add_co_ci_u32_e64 v4, null, s5, 0, s25
	s_mov_b32 s25, -1
	s_and_b32 vcc_lo, exec_lo, s2
	s_mov_b32 s2, s41
	s_cbranch_vccnz .LBB377_681
; %bb.674:
	v_cmp_lt_i16_e32 vcc_lo, 25, v5
	s_cbranch_vccz .LBB377_722
; %bb.675:
	v_cmp_lt_i16_e32 vcc_lo, 28, v5
	s_cbranch_vccz .LBB377_723
	;; [unrolled: 3-line block ×4, first 2 shown]
; %bb.678:
	v_cmp_eq_u16_e32 vcc_lo, 46, v5
	s_mov_b32 s25, 0
	s_mov_b32 s2, -1
	s_cbranch_vccz .LBB377_726
; %bb.679:
	v_xor_b32_e32 v0, v1, v2
	v_cls_i32_e32 v6, v2
	s_mov_b32 s3, -1
	s_mov_b32 s2, 0
	s_delay_alu instid0(VALU_DEP_2) | instskip(NEXT) | instid1(VALU_DEP_2)
	v_ashrrev_i32_e32 v0, 31, v0
	v_add_nc_u32_e32 v6, -1, v6
	s_delay_alu instid0(VALU_DEP_2) | instskip(NEXT) | instid1(VALU_DEP_1)
	v_add_nc_u32_e32 v0, 32, v0
	v_min_u32_e32 v0, v6, v0
	s_delay_alu instid0(VALU_DEP_1) | instskip(SKIP_1) | instid1(VALU_DEP_2)
	v_lshlrev_b64 v[9:10], v0, v[1:2]
	v_sub_nc_u32_e32 v0, 32, v0
	v_min_u32_e32 v6, 1, v9
	s_delay_alu instid0(VALU_DEP_1) | instskip(NEXT) | instid1(VALU_DEP_1)
	v_or_b32_e32 v6, v10, v6
	v_cvt_f32_i32_e32 v6, v6
	s_delay_alu instid0(VALU_DEP_1) | instskip(NEXT) | instid1(VALU_DEP_1)
	v_ldexp_f32 v0, v6, v0
	v_bfe_u32 v6, v0, 16, 1
	s_delay_alu instid0(VALU_DEP_1) | instskip(NEXT) | instid1(VALU_DEP_1)
	v_add3_u32 v0, v0, v6, 0x7fff
	v_lshrrev_b32_e32 v0, 16, v0
	global_store_b32 v[3:4], v0, off
	s_branch .LBB377_726
.LBB377_680:
	s_mov_b32 s3, 0
	s_mov_b32 s2, s41
	s_branch .LBB377_721
.LBB377_681:
	s_and_b32 vcc_lo, exec_lo, s25
	s_cbranch_vccz .LBB377_795
; %bb.682:
	v_cmp_gt_i16_e32 vcc_lo, 5, v5
	s_mov_b32 s3, -1
	s_cbranch_vccnz .LBB377_703
; %bb.683:
	v_cmp_gt_i16_e32 vcc_lo, 8, v5
	s_cbranch_vccnz .LBB377_693
; %bb.684:
	v_cmp_gt_i16_e32 vcc_lo, 9, v5
	s_cbranch_vccnz .LBB377_690
; %bb.685:
	v_cmp_lt_i16_e32 vcc_lo, 9, v5
	s_cbranch_vccz .LBB377_687
; %bb.686:
	v_cvt_f64_i32_e32 v[9:10], v2
	v_cvt_f64_u32_e32 v[11:12], v1
	s_mov_b32 s3, 0
	s_delay_alu instid0(VALU_DEP_2) | instskip(NEXT) | instid1(VALU_DEP_1)
	v_ldexp_f64 v[9:10], v[9:10], 32
	v_add_f64 v[9:10], v[9:10], v[11:12]
	v_mov_b32_e32 v11, 0
	s_delay_alu instid0(VALU_DEP_1)
	v_mov_b32_e32 v12, v11
	global_store_b128 v[3:4], v[9:12], off
.LBB377_687:
	s_and_not1_b32 vcc_lo, exec_lo, s3
	s_cbranch_vccnz .LBB377_689
; %bb.688:
	v_xor_b32_e32 v0, v1, v2
	v_cls_i32_e32 v6, v2
	s_delay_alu instid0(VALU_DEP_2) | instskip(NEXT) | instid1(VALU_DEP_2)
	v_ashrrev_i32_e32 v0, 31, v0
	v_add_nc_u32_e32 v6, -1, v6
	s_delay_alu instid0(VALU_DEP_2) | instskip(NEXT) | instid1(VALU_DEP_1)
	v_add_nc_u32_e32 v0, 32, v0
	v_min_u32_e32 v0, v6, v0
	s_delay_alu instid0(VALU_DEP_1) | instskip(SKIP_1) | instid1(VALU_DEP_2)
	v_lshlrev_b64 v[9:10], v0, v[1:2]
	v_sub_nc_u32_e32 v0, 32, v0
	v_min_u32_e32 v6, 1, v9
	s_delay_alu instid0(VALU_DEP_1) | instskip(SKIP_1) | instid1(VALU_DEP_2)
	v_or_b32_e32 v6, v10, v6
	v_mov_b32_e32 v10, 0
	v_cvt_f32_i32_e32 v6, v6
	s_delay_alu instid0(VALU_DEP_1)
	v_ldexp_f32 v9, v6, v0
	global_store_b64 v[3:4], v[9:10], off
.LBB377_689:
	s_mov_b32 s3, 0
.LBB377_690:
	s_delay_alu instid0(SALU_CYCLE_1)
	s_and_not1_b32 vcc_lo, exec_lo, s3
	s_cbranch_vccnz .LBB377_692
; %bb.691:
	v_xor_b32_e32 v0, v1, v2
	v_cls_i32_e32 v6, v2
	s_delay_alu instid0(VALU_DEP_2) | instskip(NEXT) | instid1(VALU_DEP_2)
	v_ashrrev_i32_e32 v0, 31, v0
	v_add_nc_u32_e32 v6, -1, v6
	s_delay_alu instid0(VALU_DEP_2) | instskip(NEXT) | instid1(VALU_DEP_1)
	v_add_nc_u32_e32 v0, 32, v0
	v_min_u32_e32 v0, v6, v0
	s_delay_alu instid0(VALU_DEP_1) | instskip(SKIP_1) | instid1(VALU_DEP_2)
	v_lshlrev_b64 v[9:10], v0, v[1:2]
	v_sub_nc_u32_e32 v0, 32, v0
	v_min_u32_e32 v6, 1, v9
	s_delay_alu instid0(VALU_DEP_1) | instskip(NEXT) | instid1(VALU_DEP_1)
	v_or_b32_e32 v6, v10, v6
	v_cvt_f32_i32_e32 v6, v6
	s_delay_alu instid0(VALU_DEP_1) | instskip(NEXT) | instid1(VALU_DEP_1)
	v_ldexp_f32 v0, v6, v0
	v_cvt_f16_f32_e32 v0, v0
	s_delay_alu instid0(VALU_DEP_1)
	v_and_b32_e32 v0, 0xffff, v0
	global_store_b32 v[3:4], v0, off
.LBB377_692:
	s_mov_b32 s3, 0
.LBB377_693:
	s_delay_alu instid0(SALU_CYCLE_1)
	s_and_not1_b32 vcc_lo, exec_lo, s3
	s_cbranch_vccnz .LBB377_702
; %bb.694:
	v_cmp_gt_i16_e32 vcc_lo, 6, v5
	s_mov_b32 s3, -1
	s_cbranch_vccnz .LBB377_700
; %bb.695:
	v_cmp_lt_i16_e32 vcc_lo, 6, v5
	s_cbranch_vccz .LBB377_697
; %bb.696:
	v_cvt_f64_i32_e32 v[9:10], v2
	v_cvt_f64_u32_e32 v[11:12], v1
	s_mov_b32 s3, 0
	s_delay_alu instid0(VALU_DEP_2) | instskip(NEXT) | instid1(VALU_DEP_1)
	v_ldexp_f64 v[9:10], v[9:10], 32
	v_add_f64 v[9:10], v[9:10], v[11:12]
	global_store_b64 v[3:4], v[9:10], off
.LBB377_697:
	s_and_not1_b32 vcc_lo, exec_lo, s3
	s_cbranch_vccnz .LBB377_699
; %bb.698:
	v_xor_b32_e32 v0, v1, v2
	v_cls_i32_e32 v6, v2
	s_delay_alu instid0(VALU_DEP_2) | instskip(NEXT) | instid1(VALU_DEP_2)
	v_ashrrev_i32_e32 v0, 31, v0
	v_add_nc_u32_e32 v6, -1, v6
	s_delay_alu instid0(VALU_DEP_2) | instskip(NEXT) | instid1(VALU_DEP_1)
	v_add_nc_u32_e32 v0, 32, v0
	v_min_u32_e32 v0, v6, v0
	s_delay_alu instid0(VALU_DEP_1) | instskip(SKIP_1) | instid1(VALU_DEP_2)
	v_lshlrev_b64 v[9:10], v0, v[1:2]
	v_sub_nc_u32_e32 v0, 32, v0
	v_min_u32_e32 v6, 1, v9
	s_delay_alu instid0(VALU_DEP_1) | instskip(NEXT) | instid1(VALU_DEP_1)
	v_or_b32_e32 v6, v10, v6
	v_cvt_f32_i32_e32 v6, v6
	s_delay_alu instid0(VALU_DEP_1)
	v_ldexp_f32 v0, v6, v0
	global_store_b32 v[3:4], v0, off
.LBB377_699:
	s_mov_b32 s3, 0
.LBB377_700:
	s_delay_alu instid0(SALU_CYCLE_1)
	s_and_not1_b32 vcc_lo, exec_lo, s3
	s_cbranch_vccnz .LBB377_702
; %bb.701:
	v_xor_b32_e32 v0, v1, v2
	v_cls_i32_e32 v6, v2
	s_delay_alu instid0(VALU_DEP_2) | instskip(NEXT) | instid1(VALU_DEP_2)
	v_ashrrev_i32_e32 v0, 31, v0
	v_add_nc_u32_e32 v6, -1, v6
	s_delay_alu instid0(VALU_DEP_2) | instskip(NEXT) | instid1(VALU_DEP_1)
	v_add_nc_u32_e32 v0, 32, v0
	v_min_u32_e32 v0, v6, v0
	s_delay_alu instid0(VALU_DEP_1) | instskip(SKIP_1) | instid1(VALU_DEP_2)
	v_lshlrev_b64 v[9:10], v0, v[1:2]
	v_sub_nc_u32_e32 v0, 32, v0
	v_min_u32_e32 v6, 1, v9
	s_delay_alu instid0(VALU_DEP_1) | instskip(NEXT) | instid1(VALU_DEP_1)
	v_or_b32_e32 v6, v10, v6
	v_cvt_f32_i32_e32 v6, v6
	s_delay_alu instid0(VALU_DEP_1) | instskip(NEXT) | instid1(VALU_DEP_1)
	v_ldexp_f32 v0, v6, v0
	v_cvt_f16_f32_e32 v0, v0
	global_store_b16 v[3:4], v0, off
.LBB377_702:
	s_mov_b32 s3, 0
.LBB377_703:
	s_delay_alu instid0(SALU_CYCLE_1)
	s_and_not1_b32 vcc_lo, exec_lo, s3
	s_cbranch_vccnz .LBB377_719
; %bb.704:
	v_cmp_gt_i16_e32 vcc_lo, 2, v5
	s_mov_b32 s3, -1
	s_cbranch_vccnz .LBB377_714
; %bb.705:
	v_cmp_gt_i16_e32 vcc_lo, 3, v5
	s_cbranch_vccnz .LBB377_711
; %bb.706:
	v_cmp_lt_i16_e32 vcc_lo, 3, v5
	s_cbranch_vccz .LBB377_708
; %bb.707:
	s_mov_b32 s3, 0
	global_store_b64 v[3:4], v[1:2], off
.LBB377_708:
	s_and_not1_b32 vcc_lo, exec_lo, s3
	s_cbranch_vccnz .LBB377_710
; %bb.709:
	global_store_b32 v[3:4], v1, off
.LBB377_710:
	s_mov_b32 s3, 0
.LBB377_711:
	s_delay_alu instid0(SALU_CYCLE_1)
	s_and_not1_b32 vcc_lo, exec_lo, s3
	s_cbranch_vccnz .LBB377_713
; %bb.712:
	global_store_b16 v[3:4], v1, off
.LBB377_713:
	s_mov_b32 s3, 0
.LBB377_714:
	s_delay_alu instid0(SALU_CYCLE_1)
	s_and_not1_b32 vcc_lo, exec_lo, s3
	s_cbranch_vccnz .LBB377_719
; %bb.715:
	v_cmp_lt_i16_e32 vcc_lo, 0, v5
	s_mov_b32 s3, -1
	s_cbranch_vccz .LBB377_717
; %bb.716:
	s_mov_b32 s3, 0
	global_store_b8 v[3:4], v1, off
.LBB377_717:
	s_and_not1_b32 vcc_lo, exec_lo, s3
	s_cbranch_vccnz .LBB377_719
; %bb.718:
	global_store_b8 v[3:4], v1, off
.LBB377_719:
	s_branch .LBB377_796
.LBB377_720:
	s_mov_b32 s3, 0
.LBB377_721:
                                        ; implicit-def: $vgpr8
	s_branch .LBB377_797
.LBB377_722:
	s_mov_b32 s2, s41
	s_branch .LBB377_753
.LBB377_723:
	s_mov_b32 s2, s41
	s_branch .LBB377_736
.LBB377_724:
	s_mov_b32 s2, s41
	s_branch .LBB377_732
.LBB377_725:
	s_mov_b32 s2, s41
.LBB377_726:
	s_and_b32 vcc_lo, exec_lo, s25
	s_cbranch_vccz .LBB377_731
; %bb.727:
	v_cmp_eq_u16_e32 vcc_lo, 44, v5
	s_mov_b32 s2, -1
	s_cbranch_vccz .LBB377_731
; %bb.728:
	v_xor_b32_e32 v0, v1, v2
	v_cls_i32_e32 v6, v2
	s_mov_b32 s3, -1
	s_mov_b32 s25, exec_lo
	s_delay_alu instid0(VALU_DEP_2) | instskip(NEXT) | instid1(VALU_DEP_2)
	v_ashrrev_i32_e32 v0, 31, v0
	v_add_nc_u32_e32 v6, -1, v6
	s_delay_alu instid0(VALU_DEP_2) | instskip(NEXT) | instid1(VALU_DEP_1)
	v_add_nc_u32_e32 v0, 32, v0
	v_min_u32_e32 v0, v6, v0
	s_delay_alu instid0(VALU_DEP_1) | instskip(SKIP_1) | instid1(VALU_DEP_2)
	v_lshlrev_b64 v[9:10], v0, v[1:2]
	v_sub_nc_u32_e32 v0, 32, v0
	v_min_u32_e32 v6, 1, v9
	s_delay_alu instid0(VALU_DEP_1) | instskip(NEXT) | instid1(VALU_DEP_1)
	v_or_b32_e32 v6, v10, v6
	v_cvt_f32_i32_e32 v6, v6
	s_delay_alu instid0(VALU_DEP_1) | instskip(SKIP_1) | instid1(VALU_DEP_2)
	v_ldexp_f32 v0, v6, v0
	v_mov_b32_e32 v6, 0xff
	v_bfe_u32 v9, v0, 23, 8
	s_delay_alu instid0(VALU_DEP_1)
	v_cmpx_ne_u32_e32 0xff, v9
; %bb.729:
	v_and_b32_e32 v6, 0x400000, v0
	v_and_or_b32 v9, 0x3fffff, v0, v9
	v_lshrrev_b32_e32 v0, 23, v0
	s_delay_alu instid0(VALU_DEP_3) | instskip(NEXT) | instid1(VALU_DEP_3)
	v_cmp_ne_u32_e32 vcc_lo, 0, v6
	v_cmp_ne_u32_e64 s2, 0, v9
	s_delay_alu instid0(VALU_DEP_1) | instskip(NEXT) | instid1(SALU_CYCLE_1)
	s_and_b32 s2, vcc_lo, s2
	v_cndmask_b32_e64 v6, 0, 1, s2
	s_delay_alu instid0(VALU_DEP_1)
	v_add_nc_u32_e32 v6, v0, v6
; %bb.730:
	s_or_b32 exec_lo, exec_lo, s25
	s_mov_b32 s2, 0
	global_store_b8 v[3:4], v6, off
.LBB377_731:
	s_mov_b32 s25, 0
.LBB377_732:
	s_delay_alu instid0(SALU_CYCLE_1)
	s_and_b32 vcc_lo, exec_lo, s25
	s_cbranch_vccz .LBB377_735
; %bb.733:
	v_cmp_eq_u16_e32 vcc_lo, 29, v5
	s_mov_b32 s2, -1
	s_cbranch_vccz .LBB377_735
; %bb.734:
	s_mov_b32 s3, -1
	s_mov_b32 s2, 0
	global_store_b64 v[3:4], v[1:2], off
.LBB377_735:
	s_mov_b32 s25, 0
.LBB377_736:
	s_delay_alu instid0(SALU_CYCLE_1)
	s_and_b32 vcc_lo, exec_lo, s25
	s_cbranch_vccz .LBB377_752
; %bb.737:
	v_cmp_gt_i16_e32 vcc_lo, 27, v5
	s_mov_b32 s3, -1
	s_cbranch_vccnz .LBB377_743
; %bb.738:
	v_cmp_lt_i16_e32 vcc_lo, 27, v5
	s_cbranch_vccz .LBB377_740
; %bb.739:
	s_mov_b32 s3, 0
	global_store_b32 v[3:4], v1, off
.LBB377_740:
	s_and_not1_b32 vcc_lo, exec_lo, s3
	s_cbranch_vccnz .LBB377_742
; %bb.741:
	global_store_b16 v[3:4], v1, off
.LBB377_742:
	s_mov_b32 s3, 0
.LBB377_743:
	s_delay_alu instid0(SALU_CYCLE_1)
	s_and_not1_b32 vcc_lo, exec_lo, s3
	s_cbranch_vccnz .LBB377_751
; %bb.744:
	v_xor_b32_e32 v0, v1, v2
	v_cls_i32_e32 v6, v2
	s_mov_b32 s3, exec_lo
	s_delay_alu instid0(VALU_DEP_2) | instskip(NEXT) | instid1(VALU_DEP_2)
	v_ashrrev_i32_e32 v0, 31, v0
	v_add_nc_u32_e32 v6, -1, v6
	s_delay_alu instid0(VALU_DEP_2) | instskip(NEXT) | instid1(VALU_DEP_1)
	v_add_nc_u32_e32 v0, 32, v0
	v_min_u32_e32 v0, v6, v0
	s_delay_alu instid0(VALU_DEP_1) | instskip(SKIP_1) | instid1(VALU_DEP_2)
	v_lshlrev_b64 v[9:10], v0, v[1:2]
	v_sub_nc_u32_e32 v0, 32, v0
	v_min_u32_e32 v6, 1, v9
	v_mov_b32_e32 v9, 0x80
	s_delay_alu instid0(VALU_DEP_2) | instskip(NEXT) | instid1(VALU_DEP_1)
	v_or_b32_e32 v6, v10, v6
	v_cvt_f32_i32_e32 v6, v6
	s_delay_alu instid0(VALU_DEP_1) | instskip(NEXT) | instid1(VALU_DEP_1)
	v_ldexp_f32 v0, v6, v0
	v_and_b32_e32 v6, 0x7fffffff, v0
	s_delay_alu instid0(VALU_DEP_1)
	v_cmpx_gt_u32_e32 0x43800000, v6
	s_cbranch_execz .LBB377_750
; %bb.745:
	v_cmp_lt_u32_e32 vcc_lo, 0x3bffffff, v6
	s_mov_b32 s25, 0
                                        ; implicit-def: $vgpr6
	s_and_saveexec_b32 s44, vcc_lo
	s_delay_alu instid0(SALU_CYCLE_1)
	s_xor_b32 s44, exec_lo, s44
	s_cbranch_execz .LBB377_824
; %bb.746:
	v_bfe_u32 v6, v0, 20, 1
	s_mov_b32 s25, exec_lo
	s_delay_alu instid0(VALU_DEP_1) | instskip(NEXT) | instid1(VALU_DEP_1)
	v_add3_u32 v6, v0, v6, 0x487ffff
	v_lshrrev_b32_e32 v6, 20, v6
	s_or_saveexec_b32 s44, s44
                                        ; implicit-def: $sgpr45
	s_delay_alu instid0(SALU_CYCLE_1)
	s_xor_b32 exec_lo, exec_lo, s44
	s_cbranch_execnz .LBB377_825
.LBB377_747:
	s_or_b32 exec_lo, exec_lo, s44
	v_mov_b32_e32 v9, s45
	s_and_saveexec_b32 s44, s25
.LBB377_748:
	v_lshrrev_b32_e32 v0, 24, v0
	s_delay_alu instid0(VALU_DEP_1)
	v_and_or_b32 v9, 0x80, v0, v6
.LBB377_749:
	s_or_b32 exec_lo, exec_lo, s44
.LBB377_750:
	s_delay_alu instid0(SALU_CYCLE_1)
	s_or_b32 exec_lo, exec_lo, s3
	global_store_b8 v[3:4], v9, off
.LBB377_751:
	s_mov_b32 s3, -1
.LBB377_752:
	s_mov_b32 s25, 0
.LBB377_753:
	s_delay_alu instid0(SALU_CYCLE_1)
	s_and_b32 vcc_lo, exec_lo, s25
	s_cbranch_vccz .LBB377_794
; %bb.754:
	v_cmp_lt_i16_e32 vcc_lo, 22, v5
	s_mov_b32 s25, -1
	s_cbranch_vccz .LBB377_786
; %bb.755:
	v_cmp_gt_i16_e32 vcc_lo, 24, v5
	s_mov_b32 s3, -1
	s_cbranch_vccnz .LBB377_775
; %bb.756:
	v_cmp_lt_i16_e32 vcc_lo, 24, v5
	s_cbranch_vccz .LBB377_764
; %bb.757:
	v_xor_b32_e32 v0, v1, v2
	v_cls_i32_e32 v6, v2
	s_mov_b32 s3, exec_lo
	s_delay_alu instid0(VALU_DEP_2) | instskip(NEXT) | instid1(VALU_DEP_2)
	v_ashrrev_i32_e32 v0, 31, v0
	v_add_nc_u32_e32 v6, -1, v6
	s_delay_alu instid0(VALU_DEP_2) | instskip(NEXT) | instid1(VALU_DEP_1)
	v_add_nc_u32_e32 v0, 32, v0
	v_min_u32_e32 v0, v6, v0
	s_delay_alu instid0(VALU_DEP_1) | instskip(SKIP_1) | instid1(VALU_DEP_2)
	v_lshlrev_b64 v[9:10], v0, v[1:2]
	v_sub_nc_u32_e32 v0, 32, v0
	v_min_u32_e32 v6, 1, v9
	v_mov_b32_e32 v9, 0x80
	s_delay_alu instid0(VALU_DEP_2) | instskip(NEXT) | instid1(VALU_DEP_1)
	v_or_b32_e32 v6, v10, v6
	v_cvt_f32_i32_e32 v6, v6
	s_delay_alu instid0(VALU_DEP_1) | instskip(NEXT) | instid1(VALU_DEP_1)
	v_ldexp_f32 v0, v6, v0
	v_and_b32_e32 v6, 0x7fffffff, v0
	s_delay_alu instid0(VALU_DEP_1)
	v_cmpx_gt_u32_e32 0x47800000, v6
	s_cbranch_execz .LBB377_763
; %bb.758:
	v_cmp_lt_u32_e32 vcc_lo, 0x37ffffff, v6
	s_mov_b32 s25, 0
                                        ; implicit-def: $vgpr6
	s_and_saveexec_b32 s44, vcc_lo
	s_delay_alu instid0(SALU_CYCLE_1)
	s_xor_b32 s44, exec_lo, s44
	s_cbranch_execz .LBB377_827
; %bb.759:
	v_bfe_u32 v6, v0, 21, 1
	s_mov_b32 s25, exec_lo
	s_delay_alu instid0(VALU_DEP_1) | instskip(NEXT) | instid1(VALU_DEP_1)
	v_add3_u32 v6, v0, v6, 0x88fffff
	v_lshrrev_b32_e32 v6, 21, v6
	s_or_saveexec_b32 s44, s44
                                        ; implicit-def: $sgpr45
	s_delay_alu instid0(SALU_CYCLE_1)
	s_xor_b32 exec_lo, exec_lo, s44
	s_cbranch_execnz .LBB377_828
.LBB377_760:
	s_or_b32 exec_lo, exec_lo, s44
	v_mov_b32_e32 v9, s45
	s_and_saveexec_b32 s44, s25
.LBB377_761:
	v_lshrrev_b32_e32 v0, 24, v0
	s_delay_alu instid0(VALU_DEP_1)
	v_and_or_b32 v9, 0x80, v0, v6
.LBB377_762:
	s_or_b32 exec_lo, exec_lo, s44
.LBB377_763:
	s_delay_alu instid0(SALU_CYCLE_1)
	s_or_b32 exec_lo, exec_lo, s3
	s_mov_b32 s3, 0
	global_store_b8 v[3:4], v9, off
.LBB377_764:
	s_and_b32 vcc_lo, exec_lo, s3
	s_cbranch_vccz .LBB377_774
; %bb.765:
	v_xor_b32_e32 v0, v1, v2
	v_cls_i32_e32 v6, v2
	s_mov_b32 s3, exec_lo
	s_delay_alu instid0(VALU_DEP_2) | instskip(NEXT) | instid1(VALU_DEP_2)
	v_ashrrev_i32_e32 v0, 31, v0
	v_add_nc_u32_e32 v6, -1, v6
	s_delay_alu instid0(VALU_DEP_2) | instskip(NEXT) | instid1(VALU_DEP_1)
	v_add_nc_u32_e32 v0, 32, v0
	v_min_u32_e32 v0, v6, v0
	s_delay_alu instid0(VALU_DEP_1) | instskip(SKIP_1) | instid1(VALU_DEP_2)
	v_lshlrev_b64 v[9:10], v0, v[1:2]
	v_sub_nc_u32_e32 v0, 32, v0
	v_min_u32_e32 v6, 1, v9
	s_delay_alu instid0(VALU_DEP_1) | instskip(NEXT) | instid1(VALU_DEP_1)
	v_or_b32_e32 v6, v10, v6
	v_cvt_f32_i32_e32 v6, v6
	s_delay_alu instid0(VALU_DEP_1) | instskip(NEXT) | instid1(VALU_DEP_1)
	v_ldexp_f32 v0, v6, v0
                                        ; implicit-def: $vgpr6
	v_and_b32_e32 v9, 0x7fffffff, v0
	s_delay_alu instid0(VALU_DEP_1)
	v_cmpx_gt_u32_e32 0x43f00000, v9
	s_xor_b32 s3, exec_lo, s3
	s_cbranch_execz .LBB377_771
; %bb.766:
	s_mov_b32 s25, exec_lo
                                        ; implicit-def: $vgpr6
	v_cmpx_lt_u32_e32 0x3c7fffff, v9
	s_xor_b32 s25, exec_lo, s25
; %bb.767:
	v_bfe_u32 v6, v0, 20, 1
	s_delay_alu instid0(VALU_DEP_1) | instskip(NEXT) | instid1(VALU_DEP_1)
	v_add3_u32 v6, v0, v6, 0x407ffff
	v_and_b32_e32 v9, 0xff00000, v6
	v_lshrrev_b32_e32 v6, 20, v6
	s_delay_alu instid0(VALU_DEP_2) | instskip(NEXT) | instid1(VALU_DEP_2)
	v_cmp_ne_u32_e32 vcc_lo, 0x7f00000, v9
	v_cndmask_b32_e32 v6, 0x7e, v6, vcc_lo
; %bb.768:
	s_and_not1_saveexec_b32 s25, s25
; %bb.769:
	v_add_f32_e64 v6, 0x46800000, |v0|
; %bb.770:
	s_or_b32 exec_lo, exec_lo, s25
                                        ; implicit-def: $vgpr9
.LBB377_771:
	s_and_not1_saveexec_b32 s3, s3
; %bb.772:
	v_mov_b32_e32 v6, 0x7f
	v_cmp_lt_u32_e32 vcc_lo, 0x7f800000, v9
	s_delay_alu instid0(VALU_DEP_2)
	v_cndmask_b32_e32 v6, 0x7e, v6, vcc_lo
; %bb.773:
	s_or_b32 exec_lo, exec_lo, s3
	v_lshrrev_b32_e32 v0, 24, v0
	s_delay_alu instid0(VALU_DEP_1)
	v_and_or_b32 v0, 0x80, v0, v6
	global_store_b8 v[3:4], v0, off
.LBB377_774:
	s_mov_b32 s3, 0
.LBB377_775:
	s_delay_alu instid0(SALU_CYCLE_1)
	s_and_not1_b32 vcc_lo, exec_lo, s3
	s_cbranch_vccnz .LBB377_785
; %bb.776:
	v_xor_b32_e32 v0, v1, v2
	v_cls_i32_e32 v6, v2
	s_mov_b32 s3, exec_lo
	s_delay_alu instid0(VALU_DEP_2) | instskip(NEXT) | instid1(VALU_DEP_2)
	v_ashrrev_i32_e32 v0, 31, v0
	v_add_nc_u32_e32 v6, -1, v6
	s_delay_alu instid0(VALU_DEP_2) | instskip(NEXT) | instid1(VALU_DEP_1)
	v_add_nc_u32_e32 v0, 32, v0
	v_min_u32_e32 v0, v6, v0
	s_delay_alu instid0(VALU_DEP_1) | instskip(SKIP_1) | instid1(VALU_DEP_2)
	v_lshlrev_b64 v[9:10], v0, v[1:2]
	v_sub_nc_u32_e32 v0, 32, v0
	v_min_u32_e32 v6, 1, v9
	s_delay_alu instid0(VALU_DEP_1) | instskip(NEXT) | instid1(VALU_DEP_1)
	v_or_b32_e32 v6, v10, v6
	v_cvt_f32_i32_e32 v6, v6
	s_delay_alu instid0(VALU_DEP_1) | instskip(NEXT) | instid1(VALU_DEP_1)
	v_ldexp_f32 v0, v6, v0
                                        ; implicit-def: $vgpr6
	v_and_b32_e32 v9, 0x7fffffff, v0
	s_delay_alu instid0(VALU_DEP_1)
	v_cmpx_gt_u32_e32 0x47800000, v9
	s_xor_b32 s3, exec_lo, s3
	s_cbranch_execz .LBB377_782
; %bb.777:
	s_mov_b32 s25, exec_lo
                                        ; implicit-def: $vgpr6
	v_cmpx_lt_u32_e32 0x387fffff, v9
	s_xor_b32 s25, exec_lo, s25
; %bb.778:
	v_bfe_u32 v6, v0, 21, 1
	s_delay_alu instid0(VALU_DEP_1) | instskip(NEXT) | instid1(VALU_DEP_1)
	v_add3_u32 v6, v0, v6, 0x80fffff
	v_lshrrev_b32_e32 v6, 21, v6
; %bb.779:
	s_and_not1_saveexec_b32 s25, s25
; %bb.780:
	v_add_f32_e64 v6, 0x43000000, |v0|
; %bb.781:
	s_or_b32 exec_lo, exec_lo, s25
                                        ; implicit-def: $vgpr9
.LBB377_782:
	s_and_not1_saveexec_b32 s3, s3
; %bb.783:
	v_mov_b32_e32 v6, 0x7f
	v_cmp_lt_u32_e32 vcc_lo, 0x7f800000, v9
	s_delay_alu instid0(VALU_DEP_2)
	v_cndmask_b32_e32 v6, 0x7c, v6, vcc_lo
; %bb.784:
	s_or_b32 exec_lo, exec_lo, s3
	v_lshrrev_b32_e32 v0, 24, v0
	s_delay_alu instid0(VALU_DEP_1)
	v_and_or_b32 v0, 0x80, v0, v6
	global_store_b8 v[3:4], v0, off
.LBB377_785:
	s_mov_b32 s25, 0
	s_mov_b32 s3, -1
.LBB377_786:
	s_and_not1_b32 vcc_lo, exec_lo, s25
	s_cbranch_vccnz .LBB377_794
; %bb.787:
	v_cmp_lt_i16_e32 vcc_lo, 14, v5
	s_mov_b32 s25, -1
	s_cbranch_vccz .LBB377_791
; %bb.788:
	v_cmp_eq_u16_e32 vcc_lo, 15, v5
	s_mov_b32 s2, -1
	s_cbranch_vccz .LBB377_790
; %bb.789:
	v_xor_b32_e32 v0, v1, v2
	v_cls_i32_e32 v6, v2
	s_mov_b32 s3, -1
	s_mov_b32 s2, 0
	s_delay_alu instid0(VALU_DEP_2) | instskip(NEXT) | instid1(VALU_DEP_2)
	v_ashrrev_i32_e32 v0, 31, v0
	v_add_nc_u32_e32 v6, -1, v6
	s_delay_alu instid0(VALU_DEP_2) | instskip(NEXT) | instid1(VALU_DEP_1)
	v_add_nc_u32_e32 v0, 32, v0
	v_min_u32_e32 v0, v6, v0
	s_delay_alu instid0(VALU_DEP_1) | instskip(SKIP_1) | instid1(VALU_DEP_2)
	v_lshlrev_b64 v[9:10], v0, v[1:2]
	v_sub_nc_u32_e32 v0, 32, v0
	v_min_u32_e32 v6, 1, v9
	s_delay_alu instid0(VALU_DEP_1) | instskip(NEXT) | instid1(VALU_DEP_1)
	v_or_b32_e32 v6, v10, v6
	v_cvt_f32_i32_e32 v6, v6
	s_delay_alu instid0(VALU_DEP_1) | instskip(NEXT) | instid1(VALU_DEP_1)
	v_ldexp_f32 v0, v6, v0
	v_bfe_u32 v6, v0, 16, 1
	s_delay_alu instid0(VALU_DEP_1)
	v_add3_u32 v0, v0, v6, 0x7fff
	global_store_d16_hi_b16 v[3:4], v0, off
.LBB377_790:
	s_mov_b32 s25, 0
.LBB377_791:
	s_delay_alu instid0(SALU_CYCLE_1)
	s_and_b32 vcc_lo, exec_lo, s25
	s_cbranch_vccz .LBB377_794
; %bb.792:
	v_cmp_eq_u16_e32 vcc_lo, 11, v5
	s_mov_b32 s2, -1
	s_cbranch_vccz .LBB377_794
; %bb.793:
	v_cmp_ne_u64_e32 vcc_lo, 0, v[1:2]
	s_mov_b32 s3, -1
	s_mov_b32 s2, 0
	v_cndmask_b32_e64 v0, 0, 1, vcc_lo
	global_store_b8 v[3:4], v0, off
.LBB377_794:
.LBB377_795:
	s_and_not1_b32 vcc_lo, exec_lo, s3
	s_cbranch_vccnz .LBB377_720
.LBB377_796:
	v_add_nc_u32_e32 v8, 0x80, v8
	s_mov_b32 s3, -1
.LBB377_797:
	s_and_not1_b32 s25, s41, exec_lo
	s_and_b32 s2, s2, exec_lo
	s_and_not1_b32 s44, s40, exec_lo
	s_and_b32 s24, s24, exec_lo
	s_or_b32 s25, s25, s2
	s_or_b32 s24, s44, s24
	s_or_not1_b32 s45, s3, exec_lo
.LBB377_798:
	s_or_b32 exec_lo, exec_lo, s43
	s_mov_b32 s2, 0
	s_mov_b32 s3, 0
	;; [unrolled: 1-line block ×3, first 2 shown]
                                        ; implicit-def: $vgpr1_vgpr2
                                        ; implicit-def: $vgpr0
                                        ; implicit-def: $vgpr5_vgpr6
	s_and_saveexec_b32 s43, s45
	s_cbranch_execz .LBB377_892
; %bb.799:
	v_cmp_gt_i32_e32 vcc_lo, s34, v8
	s_mov_b32 s45, s24
                                        ; implicit-def: $vgpr1_vgpr2
                                        ; implicit-def: $vgpr0
                                        ; implicit-def: $vgpr5_vgpr6
	s_and_saveexec_b32 s34, vcc_lo
	s_cbranch_execz .LBB377_891
; %bb.800:
	s_and_not1_b32 vcc_lo, exec_lo, s29
	s_cbranch_vccnz .LBB377_805
; %bb.801:
	v_dual_mov_b32 v0, 0 :: v_dual_mov_b32 v1, 0
	s_and_not1_b32 vcc_lo, exec_lo, s36
	s_mov_b32 s36, 0
	s_cbranch_vccnz .LBB377_810
; %bb.802:
	v_mov_b32_e32 v0, 0
	s_add_i32 s44, s35, 1
	s_cmp_eq_u32 s27, 2
	s_mov_b32 s35, 0
	s_cbranch_scc1 .LBB377_806
; %bb.803:
	v_dual_mov_b32 v1, 0 :: v_dual_mov_b32 v0, 0
	v_mov_b32_e32 v2, v8
	s_and_b32 s35, s44, 28
	s_mov_b32 s45, 0
	s_mov_b64 s[2:3], s[16:17]
.LBB377_804:                            ; =>This Inner Loop Header: Depth=1
	s_clause 0x1
	s_load_b256 s[48:55], s[2:3], 0x4
	s_load_b128 s[64:67], s[2:3], 0x24
	s_load_b256 s[56:63], s[22:23], 0x0
	s_add_u32 s2, s2, 48
	s_addc_u32 s3, s3, 0
	s_add_i32 s45, s45, 4
	s_add_u32 s22, s22, 32
	s_addc_u32 s23, s23, 0
	s_cmp_eq_u32 s35, s45
	s_waitcnt vmcnt(0) lgkmcnt(0)
	v_mul_hi_u32 v3, s49, v2
	s_delay_alu instid0(VALU_DEP_1) | instskip(NEXT) | instid1(VALU_DEP_1)
	v_add_nc_u32_e32 v3, v2, v3
	v_lshrrev_b32_e32 v3, s50, v3
	s_delay_alu instid0(VALU_DEP_1) | instskip(SKIP_1) | instid1(VALU_DEP_2)
	v_mul_hi_u32 v4, s52, v3
	v_mul_lo_u32 v6, v3, s48
	v_add_nc_u32_e32 v4, v3, v4
	s_delay_alu instid0(VALU_DEP_2) | instskip(NEXT) | instid1(VALU_DEP_2)
	v_sub_nc_u32_e32 v2, v2, v6
	v_lshrrev_b32_e32 v4, s53, v4
	s_delay_alu instid0(VALU_DEP_2) | instskip(SKIP_1) | instid1(VALU_DEP_3)
	v_mul_lo_u32 v6, v2, s56
	v_mul_lo_u32 v10, v2, s57
	v_mul_hi_u32 v5, s55, v4
	s_delay_alu instid0(VALU_DEP_1) | instskip(NEXT) | instid1(VALU_DEP_1)
	v_add_nc_u32_e32 v5, v4, v5
	v_lshrrev_b32_e32 v5, s64, v5
	s_delay_alu instid0(VALU_DEP_1) | instskip(SKIP_1) | instid1(VALU_DEP_2)
	v_mul_hi_u32 v9, s66, v5
	v_mul_lo_u32 v11, v5, s54
	v_add_nc_u32_e32 v2, v5, v9
	v_mul_lo_u32 v9, v4, s51
	s_delay_alu instid0(VALU_DEP_3) | instskip(NEXT) | instid1(VALU_DEP_3)
	v_sub_nc_u32_e32 v4, v4, v11
	v_lshrrev_b32_e32 v2, s67, v2
	s_delay_alu instid0(VALU_DEP_2) | instskip(SKIP_2) | instid1(VALU_DEP_4)
	v_mul_lo_u32 v11, v4, s60
	v_mul_lo_u32 v4, v4, s61
	v_sub_nc_u32_e32 v3, v3, v9
	v_mul_lo_u32 v12, v2, s65
	s_delay_alu instid0(VALU_DEP_2) | instskip(SKIP_1) | instid1(VALU_DEP_3)
	v_mul_lo_u32 v9, v3, s58
	v_mul_lo_u32 v3, v3, s59
	v_sub_nc_u32_e32 v5, v5, v12
	s_delay_alu instid0(VALU_DEP_3) | instskip(NEXT) | instid1(VALU_DEP_2)
	v_add3_u32 v0, v6, v0, v9
	v_mul_lo_u32 v12, v5, s62
	v_mul_lo_u32 v5, v5, s63
	v_add3_u32 v1, v10, v1, v3
	s_delay_alu instid0(VALU_DEP_3) | instskip(NEXT) | instid1(VALU_DEP_2)
	v_add3_u32 v0, v11, v0, v12
	v_add3_u32 v1, v4, v1, v5
	s_cbranch_scc0 .LBB377_804
	s_branch .LBB377_807
.LBB377_805:
	s_mov_b32 s36, -1
                                        ; implicit-def: $vgpr0
                                        ; implicit-def: $vgpr1
	s_branch .LBB377_810
.LBB377_806:
	v_dual_mov_b32 v2, v8 :: v_dual_mov_b32 v1, 0
.LBB377_807:
	s_and_b32 s44, s44, 3
	s_delay_alu instid0(SALU_CYCLE_1)
	s_cmp_eq_u32 s44, 0
	s_cbranch_scc1 .LBB377_810
; %bb.808:
	s_lshl_b32 s2, s35, 3
	s_mul_i32 s22, s35, 12
	s_add_u32 s2, s2, s16
	s_addc_u32 s3, s17, 0
	s_add_u32 s2, s2, 0xc4
	s_addc_u32 s3, s3, 0
	;; [unrolled: 2-line block ×3, first 2 shown]
.LBB377_809:                            ; =>This Inner Loop Header: Depth=1
	s_clause 0x1
	s_load_b64 s[46:47], s[22:23], 0x4
	s_load_b32 s35, s[22:23], 0xc
	s_load_b64 s[48:49], s[2:3], 0x0
	s_add_u32 s22, s22, 12
	s_addc_u32 s23, s23, 0
	s_add_u32 s2, s2, 8
	s_addc_u32 s3, s3, 0
	s_add_i32 s44, s44, -1
	s_delay_alu instid0(SALU_CYCLE_1) | instskip(SKIP_2) | instid1(VALU_DEP_1)
	s_cmp_lg_u32 s44, 0
	s_waitcnt vmcnt(0) lgkmcnt(0)
	v_mul_hi_u32 v3, s47, v2
	v_add_nc_u32_e32 v3, v2, v3
	s_delay_alu instid0(VALU_DEP_1) | instskip(NEXT) | instid1(VALU_DEP_1)
	v_lshrrev_b32_e32 v6, s35, v3
	v_mul_lo_u32 v3, v6, s46
	s_delay_alu instid0(VALU_DEP_1) | instskip(NEXT) | instid1(VALU_DEP_1)
	v_sub_nc_u32_e32 v2, v2, v3
	v_mad_u64_u32 v[3:4], null, v2, s48, v[0:1]
	v_mad_u64_u32 v[4:5], null, v2, s49, v[1:2]
	v_mov_b32_e32 v2, v6
	s_delay_alu instid0(VALU_DEP_2)
	v_dual_mov_b32 v0, v3 :: v_dual_mov_b32 v1, v4
	s_cbranch_scc1 .LBB377_809
.LBB377_810:
	s_and_not1_b32 vcc_lo, exec_lo, s36
	s_cbranch_vccnz .LBB377_813
; %bb.811:
	v_mul_hi_u32 v0, s13, v8
	s_and_not1_b32 vcc_lo, exec_lo, s33
	s_delay_alu instid0(VALU_DEP_1) | instskip(NEXT) | instid1(VALU_DEP_1)
	v_add_nc_u32_e32 v0, v8, v0
	v_lshrrev_b32_e32 v2, s14, v0
	s_delay_alu instid0(VALU_DEP_1) | instskip(NEXT) | instid1(VALU_DEP_1)
	v_mul_lo_u32 v0, v2, s12
	v_sub_nc_u32_e32 v1, v8, v0
	s_delay_alu instid0(VALU_DEP_1)
	v_mul_lo_u32 v0, v1, s8
	v_mul_lo_u32 v1, v1, s9
	s_cbranch_vccnz .LBB377_813
; %bb.812:
	s_waitcnt vmcnt(0)
	v_mul_hi_u32 v3, s20, v2
	s_delay_alu instid0(VALU_DEP_1) | instskip(NEXT) | instid1(VALU_DEP_1)
	v_add_nc_u32_e32 v3, v2, v3
	v_lshrrev_b32_e32 v3, s21, v3
	s_delay_alu instid0(VALU_DEP_1) | instskip(NEXT) | instid1(VALU_DEP_1)
	v_mul_lo_u32 v3, v3, s15
	v_sub_nc_u32_e32 v5, v2, v3
	s_delay_alu instid0(VALU_DEP_1) | instskip(NEXT) | instid1(VALU_DEP_1)
	v_mad_u64_u32 v[2:3], null, v5, s10, v[0:1]
	v_mad_u64_u32 v[3:4], null, v5, s11, v[1:2]
	s_delay_alu instid0(VALU_DEP_1)
	v_dual_mov_b32 v0, v2 :: v_dual_mov_b32 v1, v3
.LBB377_813:
	v_cmp_gt_i16_e32 vcc_lo, 11, v7
	s_delay_alu instid0(VALU_DEP_2) | instskip(NEXT) | instid1(VALU_DEP_1)
	v_add_co_u32 v1, s2, s6, v1
	v_add_co_ci_u32_e64 v2, null, s7, 0, s2
	s_mov_b32 s2, 0
	s_cbranch_vccnz .LBB377_820
; %bb.814:
	v_cmp_lt_i16_e32 vcc_lo, 25, v7
	s_mov_b32 s7, 0
	s_cbranch_vccz .LBB377_821
; %bb.815:
	v_cmp_lt_i16_e32 vcc_lo, 28, v7
	s_cbranch_vccz .LBB377_822
; %bb.816:
	v_cmp_lt_i16_e32 vcc_lo, 43, v7
	;; [unrolled: 3-line block ×3, first 2 shown]
	s_cbranch_vccz .LBB377_826
; %bb.818:
	v_cmp_eq_u16_e32 vcc_lo, 46, v7
	s_mov_b32 s3, 0
	s_cbranch_vccz .LBB377_829
; %bb.819:
	global_load_b32 v3, v[1:2], off
	s_mov_b32 s6, 0
	s_mov_b32 s2, -1
	s_waitcnt vmcnt(0)
	v_lshlrev_b32_e32 v3, 16, v3
	s_delay_alu instid0(VALU_DEP_1) | instskip(NEXT) | instid1(VALU_DEP_1)
	v_trunc_f32_e32 v3, v3
	v_mul_f32_e64 v4, 0x2f800000, |v3|
	s_delay_alu instid0(VALU_DEP_1) | instskip(NEXT) | instid1(VALU_DEP_1)
	v_floor_f32_e32 v4, v4
	v_fma_f32 v5, 0xcf800000, v4, |v3|
	v_ashrrev_i32_e32 v3, 31, v3
	v_cvt_u32_f32_e32 v4, v4
	s_delay_alu instid0(VALU_DEP_3) | instskip(NEXT) | instid1(VALU_DEP_2)
	v_cvt_u32_f32_e32 v5, v5
	v_xor_b32_e32 v4, v4, v3
	s_delay_alu instid0(VALU_DEP_2) | instskip(NEXT) | instid1(VALU_DEP_1)
	v_xor_b32_e32 v5, v5, v3
	v_sub_co_u32 v5, vcc_lo, v5, v3
	s_delay_alu instid0(VALU_DEP_3)
	v_sub_co_ci_u32_e32 v6, vcc_lo, v4, v3, vcc_lo
	s_branch .LBB377_831
.LBB377_820:
	s_mov_b32 s3, -1
	s_mov_b32 s7, 0
	s_mov_b32 s6, s24
                                        ; implicit-def: $vgpr5_vgpr6
	s_branch .LBB377_890
.LBB377_821:
	s_mov_b32 s3, -1
	s_mov_b32 s6, s24
                                        ; implicit-def: $vgpr5_vgpr6
	s_branch .LBB377_860
.LBB377_822:
	s_mov_b32 s3, -1
	s_mov_b32 s6, s24
                                        ; implicit-def: $vgpr5_vgpr6
	s_branch .LBB377_841
.LBB377_823:
	s_mov_b32 s3, -1
	s_mov_b32 s6, s24
                                        ; implicit-def: $vgpr5_vgpr6
	s_branch .LBB377_836
.LBB377_824:
	s_or_saveexec_b32 s44, s44
                                        ; implicit-def: $sgpr45
	s_delay_alu instid0(SALU_CYCLE_1)
	s_xor_b32 exec_lo, exec_lo, s44
	s_cbranch_execz .LBB377_747
.LBB377_825:
	v_add_f32_e64 v6, 0x46000000, |v0|
	s_and_not1_b32 s25, s25, exec_lo
	s_mov_b32 s45, 0
	s_delay_alu instid0(VALU_DEP_1) | instskip(NEXT) | instid1(VALU_DEP_1)
	v_and_b32_e32 v6, 0xff, v6
	v_cmp_ne_u32_e32 vcc_lo, 0, v6
	s_and_b32 s46, vcc_lo, exec_lo
	s_delay_alu instid0(SALU_CYCLE_1)
	s_or_b32 s25, s25, s46
	s_or_b32 exec_lo, exec_lo, s44
	v_mov_b32_e32 v9, s45
	s_and_saveexec_b32 s44, s25
	s_cbranch_execnz .LBB377_748
	s_branch .LBB377_749
.LBB377_826:
	s_mov_b32 s3, -1
	s_mov_b32 s6, s24
	s_branch .LBB377_830
.LBB377_827:
	s_or_saveexec_b32 s44, s44
                                        ; implicit-def: $sgpr45
	s_delay_alu instid0(SALU_CYCLE_1)
	s_xor_b32 exec_lo, exec_lo, s44
	s_cbranch_execz .LBB377_760
.LBB377_828:
	v_add_f32_e64 v6, 0x42800000, |v0|
	s_and_not1_b32 s25, s25, exec_lo
	s_mov_b32 s45, 0
	s_delay_alu instid0(VALU_DEP_1) | instskip(NEXT) | instid1(VALU_DEP_1)
	v_and_b32_e32 v6, 0xff, v6
	v_cmp_ne_u32_e32 vcc_lo, 0, v6
	s_and_b32 s46, vcc_lo, exec_lo
	s_delay_alu instid0(SALU_CYCLE_1)
	s_or_b32 s25, s25, s46
	s_or_b32 exec_lo, exec_lo, s44
	v_mov_b32_e32 v9, s45
	s_and_saveexec_b32 s44, s25
	s_cbranch_execnz .LBB377_761
	s_branch .LBB377_762
.LBB377_829:
	s_mov_b32 s6, -1
.LBB377_830:
                                        ; implicit-def: $vgpr5_vgpr6
.LBB377_831:
	s_and_b32 vcc_lo, exec_lo, s3
	s_cbranch_vccz .LBB377_835
; %bb.832:
	v_cmp_eq_u16_e32 vcc_lo, 44, v7
	s_cbranch_vccz .LBB377_834
; %bb.833:
	global_load_u8 v3, v[1:2], off
	s_mov_b32 s6, 0
	s_mov_b32 s2, -1
	s_waitcnt vmcnt(0)
	v_lshlrev_b32_e32 v4, 23, v3
	s_delay_alu instid0(VALU_DEP_1) | instskip(NEXT) | instid1(VALU_DEP_1)
	v_trunc_f32_e32 v4, v4
	v_mul_f32_e64 v5, 0x2f800000, |v4|
	s_delay_alu instid0(VALU_DEP_1) | instskip(NEXT) | instid1(VALU_DEP_1)
	v_floor_f32_e32 v5, v5
	v_fma_f32 v6, 0xcf800000, v5, |v4|
	v_ashrrev_i32_e32 v4, 31, v4
	v_cvt_u32_f32_e32 v5, v5
	s_delay_alu instid0(VALU_DEP_3) | instskip(NEXT) | instid1(VALU_DEP_2)
	v_cvt_u32_f32_e32 v6, v6
	v_xor_b32_e32 v5, v5, v4
	s_delay_alu instid0(VALU_DEP_2) | instskip(NEXT) | instid1(VALU_DEP_1)
	v_xor_b32_e32 v6, v6, v4
	v_sub_co_u32 v8, vcc_lo, v6, v4
	s_delay_alu instid0(VALU_DEP_3) | instskip(SKIP_1) | instid1(VALU_DEP_3)
	v_sub_co_ci_u32_e32 v4, vcc_lo, v5, v4, vcc_lo
	v_cmp_ne_u32_e32 vcc_lo, 0, v3
	v_cndmask_b32_e32 v5, 0, v8, vcc_lo
	s_delay_alu instid0(VALU_DEP_3)
	v_cndmask_b32_e32 v6, 0, v4, vcc_lo
	s_branch .LBB377_835
.LBB377_834:
	s_mov_b32 s6, -1
                                        ; implicit-def: $vgpr5_vgpr6
.LBB377_835:
	s_mov_b32 s3, 0
.LBB377_836:
	s_delay_alu instid0(SALU_CYCLE_1)
	s_and_b32 vcc_lo, exec_lo, s3
	s_cbranch_vccz .LBB377_840
; %bb.837:
	v_cmp_eq_u16_e32 vcc_lo, 29, v7
	s_cbranch_vccz .LBB377_839
; %bb.838:
	global_load_b64 v[5:6], v[1:2], off
	s_mov_b32 s6, 0
	s_mov_b32 s2, -1
	s_branch .LBB377_840
.LBB377_839:
	s_mov_b32 s6, -1
                                        ; implicit-def: $vgpr5_vgpr6
.LBB377_840:
	s_mov_b32 s3, 0
.LBB377_841:
	s_delay_alu instid0(SALU_CYCLE_1)
	s_and_b32 vcc_lo, exec_lo, s3
	s_cbranch_vccz .LBB377_859
; %bb.842:
	v_cmp_gt_i16_e32 vcc_lo, 27, v7
	s_cbranch_vccnz .LBB377_845
; %bb.843:
	v_cmp_lt_i16_e32 vcc_lo, 27, v7
	s_cbranch_vccz .LBB377_846
; %bb.844:
	global_load_b32 v5, v[1:2], off
	s_waitcnt vmcnt(1)
	v_mov_b32_e32 v6, 0
	s_mov_b32 s2, 0
	s_branch .LBB377_847
.LBB377_845:
	s_mov_b32 s2, -1
                                        ; implicit-def: $vgpr5_vgpr6
	s_branch .LBB377_850
.LBB377_846:
	s_mov_b32 s2, -1
                                        ; implicit-def: $vgpr5_vgpr6
.LBB377_847:
	s_delay_alu instid0(SALU_CYCLE_1)
	s_and_not1_b32 vcc_lo, exec_lo, s2
	s_cbranch_vccnz .LBB377_849
; %bb.848:
	global_load_u16 v3, v[1:2], off
	s_mov_b32 s2, 0
	s_waitcnt vmcnt(0)
	v_dual_mov_b32 v6, s2 :: v_dual_and_b32 v5, 0xffff, v3
.LBB377_849:
	s_mov_b32 s2, 0
.LBB377_850:
	s_delay_alu instid0(SALU_CYCLE_1)
	s_and_not1_b32 vcc_lo, exec_lo, s2
	s_cbranch_vccnz .LBB377_858
; %bb.851:
	global_load_u8 v3, v[1:2], off
	s_mov_b32 s8, 0
	s_mov_b32 s9, exec_lo
                                        ; implicit-def: $sgpr2_sgpr3
	s_waitcnt vmcnt(0)
	v_cmpx_lt_i16_e32 0x7f, v3
	s_xor_b32 s9, exec_lo, s9
; %bb.852:
	v_cmp_ne_u16_e32 vcc_lo, 0x80, v3
	s_mov_b64 s[2:3], 0
	s_and_b32 s8, vcc_lo, exec_lo
; %bb.853:
	s_or_saveexec_b32 s9, s9
	v_dual_mov_b32 v6, s3 :: v_dual_mov_b32 v5, s2
	s_xor_b32 exec_lo, exec_lo, s9
; %bb.854:
	v_cmp_ne_u16_e32 vcc_lo, 0, v3
	v_mov_b32_e32 v5, 0
	v_mov_b32_e32 v6, 0
	s_and_not1_b32 s2, s8, exec_lo
	s_and_b32 s3, vcc_lo, exec_lo
	s_delay_alu instid0(SALU_CYCLE_1)
	s_or_b32 s8, s2, s3
; %bb.855:
	s_or_b32 exec_lo, exec_lo, s9
	s_and_saveexec_b32 s2, s8
	s_cbranch_execz .LBB377_857
; %bb.856:
	v_and_b32_e32 v4, 0xffff, v3
	v_lshlrev_b32_e32 v3, 24, v3
	s_delay_alu instid0(VALU_DEP_2) | instskip(NEXT) | instid1(VALU_DEP_2)
	v_and_b32_e32 v5, 7, v4
	v_and_b32_e32 v3, 0x80000000, v3
	s_delay_alu instid0(VALU_DEP_2) | instskip(NEXT) | instid1(VALU_DEP_1)
	v_clz_i32_u32_e32 v6, v5
	v_min_u32_e32 v6, 32, v6
	s_delay_alu instid0(VALU_DEP_1) | instskip(SKIP_1) | instid1(VALU_DEP_2)
	v_subrev_nc_u32_e32 v8, 28, v6
	v_sub_nc_u32_e32 v6, 29, v6
	v_lshlrev_b32_e32 v8, v8, v4
	v_bfe_u32 v4, v4, 3, 4
	s_delay_alu instid0(VALU_DEP_2) | instskip(NEXT) | instid1(VALU_DEP_2)
	v_and_b32_e32 v8, 7, v8
	v_cmp_eq_u32_e32 vcc_lo, 0, v4
	s_delay_alu instid0(VALU_DEP_2) | instskip(NEXT) | instid1(VALU_DEP_1)
	v_dual_cndmask_b32 v4, v4, v6 :: v_dual_cndmask_b32 v5, v5, v8
	v_lshl_add_u32 v4, v4, 23, 0x3b800000
	s_delay_alu instid0(VALU_DEP_2) | instskip(NEXT) | instid1(VALU_DEP_1)
	v_lshlrev_b32_e32 v5, 20, v5
	v_or3_b32 v3, v3, v4, v5
	s_delay_alu instid0(VALU_DEP_1) | instskip(NEXT) | instid1(VALU_DEP_1)
	v_trunc_f32_e32 v3, v3
	v_mul_f32_e64 v4, 0x2f800000, |v3|
	s_delay_alu instid0(VALU_DEP_1) | instskip(NEXT) | instid1(VALU_DEP_1)
	v_floor_f32_e32 v4, v4
	v_fma_f32 v5, 0xcf800000, v4, |v3|
	v_ashrrev_i32_e32 v3, 31, v3
	v_cvt_u32_f32_e32 v4, v4
	s_delay_alu instid0(VALU_DEP_3) | instskip(NEXT) | instid1(VALU_DEP_2)
	v_cvt_u32_f32_e32 v5, v5
	v_xor_b32_e32 v4, v4, v3
	s_delay_alu instid0(VALU_DEP_2) | instskip(NEXT) | instid1(VALU_DEP_1)
	v_xor_b32_e32 v5, v5, v3
	v_sub_co_u32 v5, vcc_lo, v5, v3
	s_delay_alu instid0(VALU_DEP_3)
	v_sub_co_ci_u32_e32 v6, vcc_lo, v4, v3, vcc_lo
.LBB377_857:
	s_or_b32 exec_lo, exec_lo, s2
.LBB377_858:
	s_mov_b32 s2, -1
.LBB377_859:
	s_mov_b32 s3, 0
.LBB377_860:
	s_delay_alu instid0(SALU_CYCLE_1)
	s_and_b32 vcc_lo, exec_lo, s3
	s_cbranch_vccz .LBB377_889
; %bb.861:
	v_cmp_lt_i16_e32 vcc_lo, 22, v7
	s_cbranch_vccz .LBB377_871
; %bb.862:
	v_cmp_gt_i16_e32 vcc_lo, 24, v7
	s_cbranch_vccnz .LBB377_872
; %bb.863:
	v_cmp_lt_i16_e32 vcc_lo, 24, v7
	s_cbranch_vccz .LBB377_873
; %bb.864:
	global_load_u8 v3, v[1:2], off
	s_mov_b32 s8, exec_lo
                                        ; implicit-def: $sgpr2_sgpr3
	s_waitcnt vmcnt(0)
	v_cmpx_lt_i16_e32 0x7f, v3
	s_xor_b32 s8, exec_lo, s8
; %bb.865:
	v_cmp_ne_u16_e32 vcc_lo, 0x80, v3
	s_mov_b64 s[2:3], 0
	s_and_b32 s7, vcc_lo, exec_lo
; %bb.866:
	s_or_saveexec_b32 s8, s8
	v_dual_mov_b32 v6, s3 :: v_dual_mov_b32 v5, s2
	s_xor_b32 exec_lo, exec_lo, s8
; %bb.867:
	v_cmp_ne_u16_e32 vcc_lo, 0, v3
	v_mov_b32_e32 v5, 0
	v_mov_b32_e32 v6, 0
	s_and_not1_b32 s2, s7, exec_lo
	s_and_b32 s3, vcc_lo, exec_lo
	s_delay_alu instid0(SALU_CYCLE_1)
	s_or_b32 s7, s2, s3
; %bb.868:
	s_or_b32 exec_lo, exec_lo, s8
	s_and_saveexec_b32 s2, s7
	s_cbranch_execz .LBB377_870
; %bb.869:
	v_and_b32_e32 v4, 0xffff, v3
	v_lshlrev_b32_e32 v3, 24, v3
	s_delay_alu instid0(VALU_DEP_2) | instskip(NEXT) | instid1(VALU_DEP_2)
	v_and_b32_e32 v5, 3, v4
	v_and_b32_e32 v3, 0x80000000, v3
	s_delay_alu instid0(VALU_DEP_2) | instskip(NEXT) | instid1(VALU_DEP_1)
	v_clz_i32_u32_e32 v6, v5
	v_min_u32_e32 v6, 32, v6
	s_delay_alu instid0(VALU_DEP_1) | instskip(SKIP_1) | instid1(VALU_DEP_2)
	v_subrev_nc_u32_e32 v8, 29, v6
	v_sub_nc_u32_e32 v6, 30, v6
	v_lshlrev_b32_e32 v8, v8, v4
	v_bfe_u32 v4, v4, 2, 5
	s_delay_alu instid0(VALU_DEP_2) | instskip(NEXT) | instid1(VALU_DEP_2)
	v_and_b32_e32 v8, 3, v8
	v_cmp_eq_u32_e32 vcc_lo, 0, v4
	s_delay_alu instid0(VALU_DEP_2) | instskip(NEXT) | instid1(VALU_DEP_1)
	v_dual_cndmask_b32 v4, v4, v6 :: v_dual_cndmask_b32 v5, v5, v8
	v_lshl_add_u32 v4, v4, 23, 0x37800000
	s_delay_alu instid0(VALU_DEP_2) | instskip(NEXT) | instid1(VALU_DEP_1)
	v_lshlrev_b32_e32 v5, 21, v5
	v_or3_b32 v3, v3, v4, v5
	s_delay_alu instid0(VALU_DEP_1) | instskip(NEXT) | instid1(VALU_DEP_1)
	v_trunc_f32_e32 v3, v3
	v_mul_f32_e64 v4, 0x2f800000, |v3|
	s_delay_alu instid0(VALU_DEP_1) | instskip(NEXT) | instid1(VALU_DEP_1)
	v_floor_f32_e32 v4, v4
	v_fma_f32 v5, 0xcf800000, v4, |v3|
	v_ashrrev_i32_e32 v3, 31, v3
	v_cvt_u32_f32_e32 v4, v4
	s_delay_alu instid0(VALU_DEP_3) | instskip(NEXT) | instid1(VALU_DEP_2)
	v_cvt_u32_f32_e32 v5, v5
	v_xor_b32_e32 v4, v4, v3
	s_delay_alu instid0(VALU_DEP_2) | instskip(NEXT) | instid1(VALU_DEP_1)
	v_xor_b32_e32 v5, v5, v3
	v_sub_co_u32 v5, vcc_lo, v5, v3
	s_delay_alu instid0(VALU_DEP_3)
	v_sub_co_ci_u32_e32 v6, vcc_lo, v4, v3, vcc_lo
.LBB377_870:
	s_or_b32 exec_lo, exec_lo, s2
	s_mov_b32 s2, 0
	s_branch .LBB377_874
.LBB377_871:
	s_mov_b32 s3, -1
                                        ; implicit-def: $vgpr5_vgpr6
	s_branch .LBB377_880
.LBB377_872:
	s_mov_b32 s2, -1
                                        ; implicit-def: $vgpr5_vgpr6
	s_branch .LBB377_877
.LBB377_873:
	s_mov_b32 s2, -1
                                        ; implicit-def: $vgpr5_vgpr6
.LBB377_874:
	s_delay_alu instid0(SALU_CYCLE_1)
	s_and_b32 vcc_lo, exec_lo, s2
	s_cbranch_vccz .LBB377_876
; %bb.875:
	global_load_u8 v3, v[1:2], off
	s_waitcnt vmcnt(0)
	v_lshlrev_b32_e32 v3, 24, v3
	s_delay_alu instid0(VALU_DEP_1) | instskip(NEXT) | instid1(VALU_DEP_1)
	v_and_b32_e32 v4, 0x7f000000, v3
	v_clz_i32_u32_e32 v5, v4
	v_add_nc_u32_e32 v8, 0x1000000, v4
	v_cmp_ne_u32_e32 vcc_lo, 0, v4
	s_delay_alu instid0(VALU_DEP_3) | instskip(NEXT) | instid1(VALU_DEP_1)
	v_min_u32_e32 v5, 32, v5
	v_sub_nc_u32_e64 v5, v5, 4 clamp
	s_delay_alu instid0(VALU_DEP_1) | instskip(SKIP_1) | instid1(VALU_DEP_2)
	v_lshlrev_b32_e32 v6, v5, v4
	v_lshlrev_b32_e32 v5, 23, v5
	v_lshrrev_b32_e32 v6, 4, v6
	s_delay_alu instid0(VALU_DEP_1) | instskip(SKIP_1) | instid1(VALU_DEP_2)
	v_sub_nc_u32_e32 v5, v6, v5
	v_ashrrev_i32_e32 v6, 8, v8
	v_add_nc_u32_e32 v5, 0x3c000000, v5
	s_delay_alu instid0(VALU_DEP_1) | instskip(NEXT) | instid1(VALU_DEP_1)
	v_and_or_b32 v5, 0x7f800000, v6, v5
	v_cndmask_b32_e32 v4, 0, v5, vcc_lo
	s_delay_alu instid0(VALU_DEP_1) | instskip(NEXT) | instid1(VALU_DEP_1)
	v_and_or_b32 v3, 0x80000000, v3, v4
	v_trunc_f32_e32 v3, v3
	s_delay_alu instid0(VALU_DEP_1) | instskip(NEXT) | instid1(VALU_DEP_1)
	v_mul_f32_e64 v4, 0x2f800000, |v3|
	v_floor_f32_e32 v4, v4
	s_delay_alu instid0(VALU_DEP_1) | instskip(SKIP_2) | instid1(VALU_DEP_3)
	v_fma_f32 v5, 0xcf800000, v4, |v3|
	v_ashrrev_i32_e32 v3, 31, v3
	v_cvt_u32_f32_e32 v4, v4
	v_cvt_u32_f32_e32 v5, v5
	s_delay_alu instid0(VALU_DEP_2) | instskip(NEXT) | instid1(VALU_DEP_2)
	v_xor_b32_e32 v4, v4, v3
	v_xor_b32_e32 v5, v5, v3
	s_delay_alu instid0(VALU_DEP_1) | instskip(NEXT) | instid1(VALU_DEP_3)
	v_sub_co_u32 v5, vcc_lo, v5, v3
	v_sub_co_ci_u32_e32 v6, vcc_lo, v4, v3, vcc_lo
.LBB377_876:
	s_mov_b32 s2, 0
.LBB377_877:
	s_delay_alu instid0(SALU_CYCLE_1)
	s_and_not1_b32 vcc_lo, exec_lo, s2
	s_cbranch_vccnz .LBB377_879
; %bb.878:
	global_load_u8 v3, v[1:2], off
	s_waitcnt vmcnt(0)
	v_lshlrev_b32_e32 v4, 25, v3
	v_lshlrev_b16 v3, 8, v3
	s_delay_alu instid0(VALU_DEP_2) | instskip(NEXT) | instid1(VALU_DEP_2)
	v_lshrrev_b32_e32 v5, 4, v4
	v_and_or_b32 v6, 0x7f00, v3, 0.5
	v_bfe_i32 v3, v3, 0, 16
	s_delay_alu instid0(VALU_DEP_3) | instskip(NEXT) | instid1(VALU_DEP_1)
	v_or_b32_e32 v5, 0x70000000, v5
	v_dual_add_f32 v6, -0.5, v6 :: v_dual_mul_f32 v5, 0x7800000, v5
	v_cmp_gt_u32_e32 vcc_lo, 0x8000000, v4
	s_delay_alu instid0(VALU_DEP_2) | instskip(NEXT) | instid1(VALU_DEP_1)
	v_cndmask_b32_e32 v4, v5, v6, vcc_lo
	v_and_or_b32 v3, 0x80000000, v3, v4
	s_delay_alu instid0(VALU_DEP_1) | instskip(NEXT) | instid1(VALU_DEP_1)
	v_trunc_f32_e32 v3, v3
	v_mul_f32_e64 v4, 0x2f800000, |v3|
	s_delay_alu instid0(VALU_DEP_1) | instskip(NEXT) | instid1(VALU_DEP_1)
	v_floor_f32_e32 v4, v4
	v_fma_f32 v5, 0xcf800000, v4, |v3|
	v_ashrrev_i32_e32 v3, 31, v3
	v_cvt_u32_f32_e32 v4, v4
	s_delay_alu instid0(VALU_DEP_3) | instskip(NEXT) | instid1(VALU_DEP_2)
	v_cvt_u32_f32_e32 v5, v5
	v_xor_b32_e32 v4, v4, v3
	s_delay_alu instid0(VALU_DEP_2) | instskip(NEXT) | instid1(VALU_DEP_1)
	v_xor_b32_e32 v5, v5, v3
	v_sub_co_u32 v5, vcc_lo, v5, v3
	s_delay_alu instid0(VALU_DEP_3)
	v_sub_co_ci_u32_e32 v6, vcc_lo, v4, v3, vcc_lo
.LBB377_879:
	s_mov_b32 s3, 0
	s_mov_b32 s2, -1
.LBB377_880:
	s_and_not1_b32 vcc_lo, exec_lo, s3
	s_mov_b32 s7, 0
	s_cbranch_vccnz .LBB377_889
; %bb.881:
	v_cmp_lt_i16_e32 vcc_lo, 14, v7
	s_cbranch_vccz .LBB377_884
; %bb.882:
	v_cmp_eq_u16_e32 vcc_lo, 15, v7
	s_cbranch_vccz .LBB377_885
; %bb.883:
	global_load_u16 v3, v[1:2], off
	s_mov_b32 s6, 0
	s_mov_b32 s2, -1
	s_waitcnt vmcnt(0)
	v_lshlrev_b32_e32 v3, 16, v3
	s_delay_alu instid0(VALU_DEP_1) | instskip(NEXT) | instid1(VALU_DEP_1)
	v_trunc_f32_e32 v3, v3
	v_mul_f32_e64 v4, 0x2f800000, |v3|
	s_delay_alu instid0(VALU_DEP_1) | instskip(NEXT) | instid1(VALU_DEP_1)
	v_floor_f32_e32 v4, v4
	v_fma_f32 v5, 0xcf800000, v4, |v3|
	v_ashrrev_i32_e32 v3, 31, v3
	v_cvt_u32_f32_e32 v4, v4
	s_delay_alu instid0(VALU_DEP_3) | instskip(NEXT) | instid1(VALU_DEP_2)
	v_cvt_u32_f32_e32 v5, v5
	v_xor_b32_e32 v4, v4, v3
	s_delay_alu instid0(VALU_DEP_2) | instskip(NEXT) | instid1(VALU_DEP_1)
	v_xor_b32_e32 v5, v5, v3
	v_sub_co_u32 v5, vcc_lo, v5, v3
	s_delay_alu instid0(VALU_DEP_3)
	v_sub_co_ci_u32_e32 v6, vcc_lo, v4, v3, vcc_lo
	s_branch .LBB377_886
.LBB377_884:
	s_mov_b32 s3, -1
                                        ; implicit-def: $vgpr5_vgpr6
	s_branch .LBB377_887
.LBB377_885:
	s_mov_b32 s6, -1
                                        ; implicit-def: $vgpr5_vgpr6
.LBB377_886:
	s_mov_b32 s3, 0
.LBB377_887:
	s_delay_alu instid0(SALU_CYCLE_1)
	s_and_b32 vcc_lo, exec_lo, s3
	s_cbranch_vccz .LBB377_889
; %bb.888:
	v_cmp_ne_u16_e32 vcc_lo, 11, v7
	s_and_not1_b32 s3, s6, exec_lo
	s_mov_b32 s7, -1
                                        ; implicit-def: $vgpr5_vgpr6
	s_and_b32 s6, vcc_lo, exec_lo
	s_delay_alu instid0(SALU_CYCLE_1)
	s_or_b32 s6, s3, s6
.LBB377_889:
	s_mov_b32 s3, 0
.LBB377_890:
	s_and_not1_b32 s8, s24, exec_lo
	s_and_b32 s6, s6, exec_lo
	s_and_b32 s44, s2, exec_lo
	;; [unrolled: 1-line block ×4, first 2 shown]
	s_or_b32 s45, s8, s6
.LBB377_891:
	s_or_b32 exec_lo, exec_lo, s34
	s_delay_alu instid0(SALU_CYCLE_1)
	s_and_not1_b32 s6, s24, exec_lo
	s_and_b32 s7, s45, exec_lo
	s_and_b32 s44, s44, exec_lo
	s_and_b32 s3, s3, exec_lo
	s_and_b32 s2, s2, exec_lo
	s_or_b32 s24, s6, s7
.LBB377_892:
	s_or_b32 exec_lo, exec_lo, s43
	s_delay_alu instid0(SALU_CYCLE_1)
	s_and_not1_b32 s6, s41, exec_lo
	s_and_b32 s7, s25, exec_lo
	s_and_b32 s43, s44, exec_lo
	s_or_b32 s41, s6, s7
	s_and_not1_b32 s6, s40, exec_lo
	s_and_b32 s7, s24, exec_lo
	s_and_b32 s25, s3, exec_lo
	;; [unrolled: 1-line block ×3, first 2 shown]
	s_or_b32 s40, s6, s7
.LBB377_893:
	s_or_b32 exec_lo, exec_lo, s42
	s_delay_alu instid0(SALU_CYCLE_1)
	s_and_not1_b32 s2, s37, exec_lo
	s_and_b32 s6, s41, exec_lo
	s_and_b32 s7, s40, exec_lo
	s_or_b32 s37, s2, s6
	s_and_not1_b32 s6, s38, exec_lo
	s_and_b32 s2, s43, exec_lo
	s_and_b32 s24, s25, exec_lo
	;; [unrolled: 1-line block ×3, first 2 shown]
	s_or_b32 s38, s6, s7
.LBB377_894:
	s_or_b32 exec_lo, exec_lo, s39
	s_mov_b32 s3, 0
	s_and_saveexec_b32 s6, s38
	s_cbranch_execnz .LBB377_906
; %bb.895:
	s_or_b32 exec_lo, exec_lo, s6
	s_and_saveexec_b32 s6, s40
	s_delay_alu instid0(SALU_CYCLE_1)
	s_xor_b32 s6, exec_lo, s6
	s_cbranch_execz .LBB377_897
.LBB377_896:
	global_load_u8 v3, v[1:2], off
	s_mov_b32 s7, 0
	s_or_b32 s2, s2, exec_lo
	s_waitcnt vmcnt(1)
	v_mov_b32_e32 v6, s7
	s_waitcnt vmcnt(0)
	v_cmp_ne_u16_e32 vcc_lo, 0, v3
	v_cndmask_b32_e64 v5, 0, 1, vcc_lo
.LBB377_897:
	s_or_b32 exec_lo, exec_lo, s6
	s_and_saveexec_b32 s6, s24
	s_cbranch_execz .LBB377_945
; %bb.898:
	v_cmp_gt_i16_e32 vcc_lo, 5, v7
	s_cbranch_vccnz .LBB377_903
; %bb.899:
	v_cmp_gt_i16_e32 vcc_lo, 8, v7
	s_cbranch_vccnz .LBB377_904
	;; [unrolled: 3-line block ×3, first 2 shown]
; %bb.901:
	v_cmp_lt_i16_e32 vcc_lo, 9, v7
	s_cbranch_vccz .LBB377_908
; %bb.902:
	global_load_b64 v[3:4], v[1:2], off
	s_mov_b32 s7, 0
	s_waitcnt vmcnt(0)
	v_trunc_f64_e32 v[3:4], v[3:4]
	s_delay_alu instid0(VALU_DEP_1) | instskip(NEXT) | instid1(VALU_DEP_1)
	v_ldexp_f64 v[5:6], v[3:4], 0xffffffe0
	v_floor_f64_e32 v[5:6], v[5:6]
	s_delay_alu instid0(VALU_DEP_1) | instskip(SKIP_1) | instid1(VALU_DEP_2)
	v_fma_f64 v[3:4], 0xc1f00000, v[5:6], v[3:4]
	v_cvt_i32_f64_e32 v6, v[5:6]
	v_cvt_u32_f64_e32 v5, v[3:4]
	s_branch .LBB377_909
.LBB377_903:
                                        ; implicit-def: $vgpr5_vgpr6
	s_branch .LBB377_926
.LBB377_904:
                                        ; implicit-def: $vgpr5_vgpr6
	s_branch .LBB377_915
.LBB377_905:
	s_mov_b32 s7, -1
                                        ; implicit-def: $vgpr5_vgpr6
	s_branch .LBB377_912
.LBB377_906:
	s_cbranch_execnz .LBB377_1176
; %bb.907:
	s_mov_b32 s3, exec_lo
	s_and_not1_b32 s40, s40, exec_lo
                                        ; implicit-def: $vgpr5_vgpr6
	s_or_b32 exec_lo, exec_lo, s6
	s_and_saveexec_b32 s6, s40
	s_delay_alu instid0(SALU_CYCLE_1)
	s_xor_b32 s6, exec_lo, s6
	s_cbranch_execnz .LBB377_896
	s_branch .LBB377_897
.LBB377_908:
	s_mov_b32 s7, -1
                                        ; implicit-def: $vgpr5_vgpr6
.LBB377_909:
	s_delay_alu instid0(SALU_CYCLE_1)
	s_and_not1_b32 vcc_lo, exec_lo, s7
	s_cbranch_vccnz .LBB377_911
; %bb.910:
	global_load_b32 v3, v[1:2], off
	s_waitcnt vmcnt(0)
	v_trunc_f32_e32 v3, v3
	s_delay_alu instid0(VALU_DEP_1) | instskip(NEXT) | instid1(VALU_DEP_1)
	v_mul_f32_e64 v4, 0x2f800000, |v3|
	v_floor_f32_e32 v4, v4
	s_delay_alu instid0(VALU_DEP_1) | instskip(SKIP_2) | instid1(VALU_DEP_3)
	v_fma_f32 v5, 0xcf800000, v4, |v3|
	v_ashrrev_i32_e32 v3, 31, v3
	v_cvt_u32_f32_e32 v4, v4
	v_cvt_u32_f32_e32 v5, v5
	s_delay_alu instid0(VALU_DEP_2) | instskip(NEXT) | instid1(VALU_DEP_2)
	v_xor_b32_e32 v4, v4, v3
	v_xor_b32_e32 v5, v5, v3
	s_delay_alu instid0(VALU_DEP_1) | instskip(NEXT) | instid1(VALU_DEP_3)
	v_sub_co_u32 v5, vcc_lo, v5, v3
	v_sub_co_ci_u32_e32 v6, vcc_lo, v4, v3, vcc_lo
.LBB377_911:
	s_mov_b32 s7, 0
.LBB377_912:
	s_delay_alu instid0(SALU_CYCLE_1)
	s_and_not1_b32 vcc_lo, exec_lo, s7
	s_cbranch_vccnz .LBB377_914
; %bb.913:
	global_load_b32 v3, v[1:2], off
	s_waitcnt vmcnt(0)
	v_cvt_f32_f16_e32 v3, v3
	s_delay_alu instid0(VALU_DEP_1) | instskip(NEXT) | instid1(VALU_DEP_1)
	v_cvt_i32_f32_e32 v5, v3
	v_ashrrev_i32_e32 v6, 31, v5
.LBB377_914:
	s_cbranch_execnz .LBB377_925
.LBB377_915:
	v_cmp_gt_i16_e32 vcc_lo, 6, v7
	s_cbranch_vccnz .LBB377_918
; %bb.916:
	v_cmp_lt_i16_e32 vcc_lo, 6, v7
	s_cbranch_vccz .LBB377_919
; %bb.917:
	global_load_b64 v[3:4], v[1:2], off
	s_mov_b32 s7, 0
	s_waitcnt vmcnt(0)
	v_trunc_f64_e32 v[3:4], v[3:4]
	s_delay_alu instid0(VALU_DEP_1) | instskip(NEXT) | instid1(VALU_DEP_1)
	v_ldexp_f64 v[5:6], v[3:4], 0xffffffe0
	v_floor_f64_e32 v[5:6], v[5:6]
	s_delay_alu instid0(VALU_DEP_1) | instskip(SKIP_1) | instid1(VALU_DEP_2)
	v_fma_f64 v[3:4], 0xc1f00000, v[5:6], v[3:4]
	v_cvt_i32_f64_e32 v6, v[5:6]
	v_cvt_u32_f64_e32 v5, v[3:4]
	s_branch .LBB377_920
.LBB377_918:
	s_mov_b32 s7, -1
                                        ; implicit-def: $vgpr5_vgpr6
	s_branch .LBB377_923
.LBB377_919:
	s_mov_b32 s7, -1
                                        ; implicit-def: $vgpr5_vgpr6
.LBB377_920:
	s_delay_alu instid0(SALU_CYCLE_1)
	s_and_not1_b32 vcc_lo, exec_lo, s7
	s_cbranch_vccnz .LBB377_922
; %bb.921:
	global_load_b32 v3, v[1:2], off
	s_waitcnt vmcnt(0)
	v_trunc_f32_e32 v3, v3
	s_delay_alu instid0(VALU_DEP_1) | instskip(NEXT) | instid1(VALU_DEP_1)
	v_mul_f32_e64 v4, 0x2f800000, |v3|
	v_floor_f32_e32 v4, v4
	s_delay_alu instid0(VALU_DEP_1) | instskip(SKIP_2) | instid1(VALU_DEP_3)
	v_fma_f32 v5, 0xcf800000, v4, |v3|
	v_ashrrev_i32_e32 v3, 31, v3
	v_cvt_u32_f32_e32 v4, v4
	v_cvt_u32_f32_e32 v5, v5
	s_delay_alu instid0(VALU_DEP_2) | instskip(NEXT) | instid1(VALU_DEP_2)
	v_xor_b32_e32 v4, v4, v3
	v_xor_b32_e32 v5, v5, v3
	s_delay_alu instid0(VALU_DEP_1) | instskip(NEXT) | instid1(VALU_DEP_3)
	v_sub_co_u32 v5, vcc_lo, v5, v3
	v_sub_co_ci_u32_e32 v6, vcc_lo, v4, v3, vcc_lo
.LBB377_922:
	s_mov_b32 s7, 0
.LBB377_923:
	s_delay_alu instid0(SALU_CYCLE_1)
	s_and_not1_b32 vcc_lo, exec_lo, s7
	s_cbranch_vccnz .LBB377_925
; %bb.924:
	global_load_u16 v3, v[1:2], off
	s_waitcnt vmcnt(0)
	v_cvt_f32_f16_e32 v3, v3
	s_delay_alu instid0(VALU_DEP_1) | instskip(NEXT) | instid1(VALU_DEP_1)
	v_cvt_i32_f32_e32 v5, v3
	v_ashrrev_i32_e32 v6, 31, v5
.LBB377_925:
	s_cbranch_execnz .LBB377_944
.LBB377_926:
	v_cmp_gt_i16_e32 vcc_lo, 2, v7
	s_cbranch_vccnz .LBB377_930
; %bb.927:
	v_cmp_gt_i16_e32 vcc_lo, 3, v7
	s_cbranch_vccnz .LBB377_931
; %bb.928:
	v_cmp_lt_i16_e32 vcc_lo, 3, v7
	s_cbranch_vccz .LBB377_932
; %bb.929:
	global_load_b64 v[5:6], v[1:2], off
	s_mov_b32 s7, 0
	s_branch .LBB377_933
.LBB377_930:
                                        ; implicit-def: $vgpr5_vgpr6
	s_branch .LBB377_939
.LBB377_931:
	s_mov_b32 s7, -1
                                        ; implicit-def: $vgpr5_vgpr6
	s_branch .LBB377_936
.LBB377_932:
	s_mov_b32 s7, -1
                                        ; implicit-def: $vgpr5_vgpr6
.LBB377_933:
	s_delay_alu instid0(SALU_CYCLE_1)
	s_and_not1_b32 vcc_lo, exec_lo, s7
	s_cbranch_vccnz .LBB377_935
; %bb.934:
	global_load_b32 v5, v[1:2], off
	s_waitcnt vmcnt(0)
	v_ashrrev_i32_e32 v6, 31, v5
.LBB377_935:
	s_mov_b32 s7, 0
.LBB377_936:
	s_delay_alu instid0(SALU_CYCLE_1)
	s_and_not1_b32 vcc_lo, exec_lo, s7
	s_cbranch_vccnz .LBB377_938
; %bb.937:
	global_load_u16 v3, v[1:2], off
	s_waitcnt vmcnt(0)
	v_bfe_i32 v5, v3, 0, 16
	s_delay_alu instid0(VALU_DEP_1)
	v_ashrrev_i32_e32 v6, 31, v5
.LBB377_938:
	s_cbranch_execnz .LBB377_944
.LBB377_939:
	v_cmp_lt_i16_e32 vcc_lo, 0, v7
	s_mov_b32 s7, 0
	s_cbranch_vccz .LBB377_941
; %bb.940:
	global_load_i8 v3, v[1:2], off
	s_waitcnt vmcnt(0)
	v_bfe_i32 v5, v3, 0, 16
	s_delay_alu instid0(VALU_DEP_1)
	v_ashrrev_i32_e32 v6, 31, v5
	s_branch .LBB377_942
.LBB377_941:
	s_mov_b32 s7, -1
                                        ; implicit-def: $vgpr5_vgpr6
.LBB377_942:
	s_delay_alu instid0(SALU_CYCLE_1)
	s_and_not1_b32 vcc_lo, exec_lo, s7
	s_cbranch_vccnz .LBB377_944
; %bb.943:
	global_load_u8 v1, v[1:2], off
	s_mov_b32 s7, 0
	s_waitcnt vmcnt(0)
	v_dual_mov_b32 v6, s7 :: v_dual_and_b32 v5, 0xffff, v1
.LBB377_944:
	s_or_b32 s2, s2, exec_lo
.LBB377_945:
	s_or_b32 exec_lo, exec_lo, s6
	s_mov_b32 s8, 0
	s_mov_b32 s7, 0
                                        ; implicit-def: $vgpr7
                                        ; implicit-def: $vgpr3_vgpr4
                                        ; implicit-def: $vgpr1_vgpr2
	s_and_saveexec_b32 s6, s2
	s_cbranch_execz .LBB377_1022
; %bb.946:
	v_and_b32_e64 v7, 0xff, s31
	s_waitcnt vmcnt(0)
	s_delay_alu instid0(VALU_DEP_2) | instskip(SKIP_1) | instid1(VALU_DEP_1)
	v_cmp_lt_i64_e32 vcc_lo, s[18:19], v[5:6]
	v_add_co_u32 v3, s4, s4, v0
	v_add_co_ci_u32_e64 v4, null, s5, 0, s4
	v_cmp_gt_i16_e64 s2, 11, v7
	v_cndmask_b32_e32 v2, s19, v6, vcc_lo
	v_cndmask_b32_e32 v1, s18, v5, vcc_lo
	s_mov_b32 s4, -1
	s_delay_alu instid0(VALU_DEP_3)
	s_and_b32 vcc_lo, exec_lo, s2
	s_mov_b32 s2, s37
	s_cbranch_vccnz .LBB377_1021
; %bb.947:
	v_cmp_lt_i16_e32 vcc_lo, 25, v7
	s_mov_b32 s2, s37
	s_cbranch_vccz .LBB377_980
; %bb.948:
	v_cmp_lt_i16_e32 vcc_lo, 28, v7
	s_mov_b32 s2, s37
	s_cbranch_vccz .LBB377_964
	;; [unrolled: 4-line block ×4, first 2 shown]
; %bb.951:
	v_cmp_eq_u16_e32 vcc_lo, 46, v7
	s_mov_b32 s2, -1
	s_cbranch_vccz .LBB377_953
; %bb.952:
	v_xor_b32_e32 v0, v1, v2
	v_cls_i32_e32 v5, v2
	s_mov_b32 s2, 0
	s_delay_alu instid0(VALU_DEP_2) | instskip(NEXT) | instid1(VALU_DEP_2)
	v_ashrrev_i32_e32 v0, 31, v0
	v_add_nc_u32_e32 v5, -1, v5
	s_delay_alu instid0(VALU_DEP_2) | instskip(NEXT) | instid1(VALU_DEP_1)
	v_add_nc_u32_e32 v0, 32, v0
	v_min_u32_e32 v0, v5, v0
	s_delay_alu instid0(VALU_DEP_1) | instskip(SKIP_1) | instid1(VALU_DEP_2)
	v_lshlrev_b64 v[5:6], v0, v[1:2]
	v_sub_nc_u32_e32 v0, 32, v0
	v_min_u32_e32 v5, 1, v5
	s_delay_alu instid0(VALU_DEP_1) | instskip(NEXT) | instid1(VALU_DEP_1)
	v_or_b32_e32 v5, v6, v5
	v_cvt_f32_i32_e32 v5, v5
	s_delay_alu instid0(VALU_DEP_1) | instskip(NEXT) | instid1(VALU_DEP_1)
	v_ldexp_f32 v0, v5, v0
	v_bfe_u32 v5, v0, 16, 1
	s_delay_alu instid0(VALU_DEP_1) | instskip(NEXT) | instid1(VALU_DEP_1)
	v_add3_u32 v0, v0, v5, 0x7fff
	v_lshrrev_b32_e32 v0, 16, v0
	global_store_b32 v[3:4], v0, off
.LBB377_953:
	s_mov_b32 s4, 0
.LBB377_954:
	s_delay_alu instid0(SALU_CYCLE_1)
	s_and_b32 vcc_lo, exec_lo, s4
	s_cbranch_vccz .LBB377_959
; %bb.955:
	v_cmp_eq_u16_e32 vcc_lo, 44, v7
	s_mov_b32 s2, -1
	s_cbranch_vccz .LBB377_959
; %bb.956:
	v_xor_b32_e32 v0, v1, v2
	v_cls_i32_e32 v5, v2
	s_mov_b32 s4, exec_lo
	s_delay_alu instid0(VALU_DEP_2) | instskip(NEXT) | instid1(VALU_DEP_2)
	v_ashrrev_i32_e32 v0, 31, v0
	v_add_nc_u32_e32 v5, -1, v5
	s_delay_alu instid0(VALU_DEP_2) | instskip(NEXT) | instid1(VALU_DEP_1)
	v_add_nc_u32_e32 v0, 32, v0
	v_min_u32_e32 v0, v5, v0
	s_delay_alu instid0(VALU_DEP_1) | instskip(SKIP_1) | instid1(VALU_DEP_2)
	v_lshlrev_b64 v[5:6], v0, v[1:2]
	v_sub_nc_u32_e32 v0, 32, v0
	v_min_u32_e32 v5, 1, v5
	s_delay_alu instid0(VALU_DEP_1) | instskip(NEXT) | instid1(VALU_DEP_1)
	v_or_b32_e32 v5, v6, v5
	v_cvt_f32_i32_e32 v5, v5
	s_delay_alu instid0(VALU_DEP_1) | instskip(SKIP_1) | instid1(VALU_DEP_2)
	v_ldexp_f32 v0, v5, v0
	v_mov_b32_e32 v5, 0xff
	v_bfe_u32 v6, v0, 23, 8
	s_delay_alu instid0(VALU_DEP_1)
	v_cmpx_ne_u32_e32 0xff, v6
; %bb.957:
	v_and_b32_e32 v5, 0x400000, v0
	v_and_or_b32 v6, 0x3fffff, v0, v6
	v_lshrrev_b32_e32 v0, 23, v0
	s_delay_alu instid0(VALU_DEP_3) | instskip(NEXT) | instid1(VALU_DEP_3)
	v_cmp_ne_u32_e32 vcc_lo, 0, v5
	v_cmp_ne_u32_e64 s2, 0, v6
	s_delay_alu instid0(VALU_DEP_1) | instskip(NEXT) | instid1(SALU_CYCLE_1)
	s_and_b32 s2, vcc_lo, s2
	v_cndmask_b32_e64 v5, 0, 1, s2
	s_delay_alu instid0(VALU_DEP_1)
	v_add_nc_u32_e32 v5, v0, v5
; %bb.958:
	s_or_b32 exec_lo, exec_lo, s4
	s_mov_b32 s2, 0
	global_store_b8 v[3:4], v5, off
.LBB377_959:
	s_mov_b32 s4, 0
.LBB377_960:
	s_delay_alu instid0(SALU_CYCLE_1)
	s_and_b32 vcc_lo, exec_lo, s4
	s_cbranch_vccz .LBB377_963
; %bb.961:
	v_cmp_eq_u16_e32 vcc_lo, 29, v7
	s_mov_b32 s2, -1
	s_cbranch_vccz .LBB377_963
; %bb.962:
	s_mov_b32 s2, 0
	global_store_b64 v[3:4], v[1:2], off
.LBB377_963:
	s_mov_b32 s4, 0
.LBB377_964:
	s_delay_alu instid0(SALU_CYCLE_1)
	s_and_b32 vcc_lo, exec_lo, s4
	s_cbranch_vccz .LBB377_979
; %bb.965:
	v_cmp_gt_i16_e32 vcc_lo, 27, v7
	s_mov_b32 s4, -1
	s_cbranch_vccnz .LBB377_971
; %bb.966:
	v_cmp_lt_i16_e32 vcc_lo, 27, v7
	s_cbranch_vccz .LBB377_968
; %bb.967:
	s_mov_b32 s4, 0
	global_store_b32 v[3:4], v1, off
.LBB377_968:
	s_and_not1_b32 vcc_lo, exec_lo, s4
	s_cbranch_vccnz .LBB377_970
; %bb.969:
	global_store_b16 v[3:4], v1, off
.LBB377_970:
	s_mov_b32 s4, 0
.LBB377_971:
	s_delay_alu instid0(SALU_CYCLE_1)
	s_and_not1_b32 vcc_lo, exec_lo, s4
	s_cbranch_vccnz .LBB377_979
; %bb.972:
	v_xor_b32_e32 v0, v1, v2
	v_cls_i32_e32 v5, v2
	s_mov_b32 s4, exec_lo
	s_delay_alu instid0(VALU_DEP_2) | instskip(NEXT) | instid1(VALU_DEP_2)
	v_ashrrev_i32_e32 v0, 31, v0
	v_add_nc_u32_e32 v5, -1, v5
	s_delay_alu instid0(VALU_DEP_2) | instskip(NEXT) | instid1(VALU_DEP_1)
	v_add_nc_u32_e32 v0, 32, v0
	v_min_u32_e32 v0, v5, v0
	s_delay_alu instid0(VALU_DEP_1) | instskip(SKIP_1) | instid1(VALU_DEP_2)
	v_lshlrev_b64 v[5:6], v0, v[1:2]
	v_sub_nc_u32_e32 v0, 32, v0
	v_min_u32_e32 v5, 1, v5
	s_delay_alu instid0(VALU_DEP_1) | instskip(SKIP_1) | instid1(VALU_DEP_2)
	v_or_b32_e32 v5, v6, v5
	v_mov_b32_e32 v6, 0x80
	v_cvt_f32_i32_e32 v5, v5
	s_delay_alu instid0(VALU_DEP_1) | instskip(NEXT) | instid1(VALU_DEP_1)
	v_ldexp_f32 v0, v5, v0
	v_and_b32_e32 v5, 0x7fffffff, v0
	s_delay_alu instid0(VALU_DEP_1)
	v_cmpx_gt_u32_e32 0x43800000, v5
	s_cbranch_execz .LBB377_978
; %bb.973:
	v_cmp_lt_u32_e32 vcc_lo, 0x3bffffff, v5
	s_mov_b32 s5, 0
                                        ; implicit-def: $vgpr5
	s_and_saveexec_b32 s7, vcc_lo
	s_delay_alu instid0(SALU_CYCLE_1)
	s_xor_b32 s7, exec_lo, s7
	s_cbranch_execz .LBB377_1262
; %bb.974:
	v_bfe_u32 v5, v0, 20, 1
	s_mov_b32 s5, exec_lo
	s_delay_alu instid0(VALU_DEP_1) | instskip(NEXT) | instid1(VALU_DEP_1)
	v_add3_u32 v5, v0, v5, 0x487ffff
	v_lshrrev_b32_e32 v5, 20, v5
	s_or_saveexec_b32 s7, s7
                                        ; implicit-def: $sgpr8
	s_delay_alu instid0(SALU_CYCLE_1)
	s_xor_b32 exec_lo, exec_lo, s7
	s_cbranch_execnz .LBB377_1263
.LBB377_975:
	s_or_b32 exec_lo, exec_lo, s7
	v_mov_b32_e32 v6, s8
	s_and_saveexec_b32 s7, s5
.LBB377_976:
	v_lshrrev_b32_e32 v0, 24, v0
	s_delay_alu instid0(VALU_DEP_1)
	v_and_or_b32 v6, 0x80, v0, v5
.LBB377_977:
	s_or_b32 exec_lo, exec_lo, s7
.LBB377_978:
	s_delay_alu instid0(SALU_CYCLE_1)
	s_or_b32 exec_lo, exec_lo, s4
	global_store_b8 v[3:4], v6, off
.LBB377_979:
	s_mov_b32 s4, 0
.LBB377_980:
	s_delay_alu instid0(SALU_CYCLE_1)
	s_and_b32 vcc_lo, exec_lo, s4
	s_mov_b32 s4, 0
	s_cbranch_vccz .LBB377_1020
; %bb.981:
	v_cmp_lt_i16_e32 vcc_lo, 22, v7
	s_mov_b32 s5, -1
	s_cbranch_vccz .LBB377_1013
; %bb.982:
	v_cmp_gt_i16_e32 vcc_lo, 24, v7
	s_cbranch_vccnz .LBB377_1002
; %bb.983:
	v_cmp_lt_i16_e32 vcc_lo, 24, v7
	s_cbranch_vccz .LBB377_991
; %bb.984:
	v_xor_b32_e32 v0, v1, v2
	v_cls_i32_e32 v5, v2
	s_mov_b32 s5, exec_lo
	s_delay_alu instid0(VALU_DEP_2) | instskip(NEXT) | instid1(VALU_DEP_2)
	v_ashrrev_i32_e32 v0, 31, v0
	v_add_nc_u32_e32 v5, -1, v5
	s_delay_alu instid0(VALU_DEP_2) | instskip(NEXT) | instid1(VALU_DEP_1)
	v_add_nc_u32_e32 v0, 32, v0
	v_min_u32_e32 v0, v5, v0
	s_delay_alu instid0(VALU_DEP_1) | instskip(SKIP_1) | instid1(VALU_DEP_2)
	v_lshlrev_b64 v[5:6], v0, v[1:2]
	v_sub_nc_u32_e32 v0, 32, v0
	v_min_u32_e32 v5, 1, v5
	s_delay_alu instid0(VALU_DEP_1) | instskip(SKIP_1) | instid1(VALU_DEP_2)
	v_or_b32_e32 v5, v6, v5
	v_mov_b32_e32 v6, 0x80
	v_cvt_f32_i32_e32 v5, v5
	s_delay_alu instid0(VALU_DEP_1) | instskip(NEXT) | instid1(VALU_DEP_1)
	v_ldexp_f32 v0, v5, v0
	v_and_b32_e32 v5, 0x7fffffff, v0
	s_delay_alu instid0(VALU_DEP_1)
	v_cmpx_gt_u32_e32 0x47800000, v5
	s_cbranch_execz .LBB377_990
; %bb.985:
	v_cmp_lt_u32_e32 vcc_lo, 0x37ffffff, v5
	s_mov_b32 s7, 0
                                        ; implicit-def: $vgpr5
	s_and_saveexec_b32 s8, vcc_lo
	s_delay_alu instid0(SALU_CYCLE_1)
	s_xor_b32 s8, exec_lo, s8
	s_cbranch_execz .LBB377_1306
; %bb.986:
	v_bfe_u32 v5, v0, 21, 1
	s_mov_b32 s7, exec_lo
	s_delay_alu instid0(VALU_DEP_1) | instskip(NEXT) | instid1(VALU_DEP_1)
	v_add3_u32 v5, v0, v5, 0x88fffff
	v_lshrrev_b32_e32 v5, 21, v5
	s_or_saveexec_b32 s8, s8
                                        ; implicit-def: $sgpr9
	s_delay_alu instid0(SALU_CYCLE_1)
	s_xor_b32 exec_lo, exec_lo, s8
	s_cbranch_execnz .LBB377_1307
.LBB377_987:
	s_or_b32 exec_lo, exec_lo, s8
	v_mov_b32_e32 v6, s9
	s_and_saveexec_b32 s8, s7
.LBB377_988:
	v_lshrrev_b32_e32 v0, 24, v0
	s_delay_alu instid0(VALU_DEP_1)
	v_and_or_b32 v6, 0x80, v0, v5
.LBB377_989:
	s_or_b32 exec_lo, exec_lo, s8
.LBB377_990:
	s_delay_alu instid0(SALU_CYCLE_1)
	s_or_b32 exec_lo, exec_lo, s5
	s_mov_b32 s5, 0
	global_store_b8 v[3:4], v6, off
.LBB377_991:
	s_and_b32 vcc_lo, exec_lo, s5
	s_cbranch_vccz .LBB377_1001
; %bb.992:
	v_xor_b32_e32 v0, v1, v2
	v_cls_i32_e32 v5, v2
	s_mov_b32 s5, exec_lo
	s_delay_alu instid0(VALU_DEP_2) | instskip(NEXT) | instid1(VALU_DEP_2)
	v_ashrrev_i32_e32 v0, 31, v0
	v_add_nc_u32_e32 v5, -1, v5
	s_delay_alu instid0(VALU_DEP_2) | instskip(NEXT) | instid1(VALU_DEP_1)
	v_add_nc_u32_e32 v0, 32, v0
	v_min_u32_e32 v0, v5, v0
	s_delay_alu instid0(VALU_DEP_1) | instskip(SKIP_1) | instid1(VALU_DEP_2)
	v_lshlrev_b64 v[5:6], v0, v[1:2]
	v_sub_nc_u32_e32 v0, 32, v0
	v_min_u32_e32 v5, 1, v5
	s_delay_alu instid0(VALU_DEP_1) | instskip(NEXT) | instid1(VALU_DEP_1)
	v_or_b32_e32 v5, v6, v5
	v_cvt_f32_i32_e32 v5, v5
	s_delay_alu instid0(VALU_DEP_1) | instskip(NEXT) | instid1(VALU_DEP_1)
	v_ldexp_f32 v0, v5, v0
                                        ; implicit-def: $vgpr5
	v_and_b32_e32 v6, 0x7fffffff, v0
	s_delay_alu instid0(VALU_DEP_1)
	v_cmpx_gt_u32_e32 0x43f00000, v6
	s_xor_b32 s5, exec_lo, s5
	s_cbranch_execz .LBB377_998
; %bb.993:
	s_mov_b32 s7, exec_lo
                                        ; implicit-def: $vgpr5
	v_cmpx_lt_u32_e32 0x3c7fffff, v6
	s_xor_b32 s7, exec_lo, s7
; %bb.994:
	v_bfe_u32 v5, v0, 20, 1
	s_delay_alu instid0(VALU_DEP_1) | instskip(NEXT) | instid1(VALU_DEP_1)
	v_add3_u32 v5, v0, v5, 0x407ffff
	v_and_b32_e32 v6, 0xff00000, v5
	v_lshrrev_b32_e32 v5, 20, v5
	s_delay_alu instid0(VALU_DEP_2) | instskip(NEXT) | instid1(VALU_DEP_2)
	v_cmp_ne_u32_e32 vcc_lo, 0x7f00000, v6
	v_cndmask_b32_e32 v5, 0x7e, v5, vcc_lo
; %bb.995:
	s_and_not1_saveexec_b32 s7, s7
; %bb.996:
	v_add_f32_e64 v5, 0x46800000, |v0|
; %bb.997:
	s_or_b32 exec_lo, exec_lo, s7
                                        ; implicit-def: $vgpr6
.LBB377_998:
	s_and_not1_saveexec_b32 s5, s5
; %bb.999:
	v_mov_b32_e32 v5, 0x7f
	v_cmp_lt_u32_e32 vcc_lo, 0x7f800000, v6
	s_delay_alu instid0(VALU_DEP_2)
	v_cndmask_b32_e32 v5, 0x7e, v5, vcc_lo
; %bb.1000:
	s_or_b32 exec_lo, exec_lo, s5
	v_lshrrev_b32_e32 v0, 24, v0
	s_delay_alu instid0(VALU_DEP_1)
	v_and_or_b32 v0, 0x80, v0, v5
	global_store_b8 v[3:4], v0, off
.LBB377_1001:
	s_mov_b32 s5, 0
.LBB377_1002:
	s_delay_alu instid0(SALU_CYCLE_1)
	s_and_not1_b32 vcc_lo, exec_lo, s5
	s_cbranch_vccnz .LBB377_1012
; %bb.1003:
	v_xor_b32_e32 v0, v1, v2
	v_cls_i32_e32 v5, v2
	s_mov_b32 s5, exec_lo
	s_delay_alu instid0(VALU_DEP_2) | instskip(NEXT) | instid1(VALU_DEP_2)
	v_ashrrev_i32_e32 v0, 31, v0
	v_add_nc_u32_e32 v5, -1, v5
	s_delay_alu instid0(VALU_DEP_2) | instskip(NEXT) | instid1(VALU_DEP_1)
	v_add_nc_u32_e32 v0, 32, v0
	v_min_u32_e32 v0, v5, v0
	s_delay_alu instid0(VALU_DEP_1) | instskip(SKIP_1) | instid1(VALU_DEP_2)
	v_lshlrev_b64 v[5:6], v0, v[1:2]
	v_sub_nc_u32_e32 v0, 32, v0
	v_min_u32_e32 v5, 1, v5
	s_delay_alu instid0(VALU_DEP_1) | instskip(NEXT) | instid1(VALU_DEP_1)
	v_or_b32_e32 v5, v6, v5
	v_cvt_f32_i32_e32 v5, v5
	s_delay_alu instid0(VALU_DEP_1) | instskip(NEXT) | instid1(VALU_DEP_1)
	v_ldexp_f32 v0, v5, v0
                                        ; implicit-def: $vgpr5
	v_and_b32_e32 v6, 0x7fffffff, v0
	s_delay_alu instid0(VALU_DEP_1)
	v_cmpx_gt_u32_e32 0x47800000, v6
	s_xor_b32 s5, exec_lo, s5
	s_cbranch_execz .LBB377_1009
; %bb.1004:
	s_mov_b32 s7, exec_lo
                                        ; implicit-def: $vgpr5
	v_cmpx_lt_u32_e32 0x387fffff, v6
	s_xor_b32 s7, exec_lo, s7
; %bb.1005:
	v_bfe_u32 v5, v0, 21, 1
	s_delay_alu instid0(VALU_DEP_1) | instskip(NEXT) | instid1(VALU_DEP_1)
	v_add3_u32 v5, v0, v5, 0x80fffff
	v_lshrrev_b32_e32 v5, 21, v5
; %bb.1006:
	s_and_not1_saveexec_b32 s7, s7
; %bb.1007:
	v_add_f32_e64 v5, 0x43000000, |v0|
; %bb.1008:
	s_or_b32 exec_lo, exec_lo, s7
                                        ; implicit-def: $vgpr6
.LBB377_1009:
	s_and_not1_saveexec_b32 s5, s5
; %bb.1010:
	v_mov_b32_e32 v5, 0x7f
	v_cmp_lt_u32_e32 vcc_lo, 0x7f800000, v6
	s_delay_alu instid0(VALU_DEP_2)
	v_cndmask_b32_e32 v5, 0x7c, v5, vcc_lo
; %bb.1011:
	s_or_b32 exec_lo, exec_lo, s5
	v_lshrrev_b32_e32 v0, 24, v0
	s_delay_alu instid0(VALU_DEP_1)
	v_and_or_b32 v0, 0x80, v0, v5
	global_store_b8 v[3:4], v0, off
.LBB377_1012:
	s_mov_b32 s5, 0
.LBB377_1013:
	s_delay_alu instid0(SALU_CYCLE_1)
	s_and_not1_b32 vcc_lo, exec_lo, s5
	s_mov_b32 s8, 0
	s_cbranch_vccnz .LBB377_1021
; %bb.1014:
	v_cmp_lt_i16_e32 vcc_lo, 14, v7
	s_mov_b32 s5, -1
	s_cbranch_vccz .LBB377_1018
; %bb.1015:
	v_cmp_eq_u16_e32 vcc_lo, 15, v7
	s_mov_b32 s2, -1
	s_cbranch_vccz .LBB377_1017
; %bb.1016:
	v_xor_b32_e32 v0, v1, v2
	v_cls_i32_e32 v5, v2
	s_mov_b32 s2, 0
	s_delay_alu instid0(VALU_DEP_2) | instskip(NEXT) | instid1(VALU_DEP_2)
	v_ashrrev_i32_e32 v0, 31, v0
	v_add_nc_u32_e32 v5, -1, v5
	s_delay_alu instid0(VALU_DEP_2) | instskip(NEXT) | instid1(VALU_DEP_1)
	v_add_nc_u32_e32 v0, 32, v0
	v_min_u32_e32 v0, v5, v0
	s_delay_alu instid0(VALU_DEP_1) | instskip(SKIP_1) | instid1(VALU_DEP_2)
	v_lshlrev_b64 v[5:6], v0, v[1:2]
	v_sub_nc_u32_e32 v0, 32, v0
	v_min_u32_e32 v5, 1, v5
	s_delay_alu instid0(VALU_DEP_1) | instskip(NEXT) | instid1(VALU_DEP_1)
	v_or_b32_e32 v5, v6, v5
	v_cvt_f32_i32_e32 v5, v5
	s_delay_alu instid0(VALU_DEP_1) | instskip(NEXT) | instid1(VALU_DEP_1)
	v_ldexp_f32 v0, v5, v0
	v_bfe_u32 v5, v0, 16, 1
	s_delay_alu instid0(VALU_DEP_1)
	v_add3_u32 v0, v0, v5, 0x7fff
	global_store_d16_hi_b16 v[3:4], v0, off
.LBB377_1017:
	s_mov_b32 s5, 0
.LBB377_1018:
	s_delay_alu instid0(SALU_CYCLE_1)
	s_and_b32 vcc_lo, exec_lo, s5
	s_cbranch_vccz .LBB377_1021
; %bb.1019:
	v_cmp_ne_u16_e32 vcc_lo, 11, v7
	s_and_not1_b32 s2, s2, exec_lo
	s_mov_b32 s8, -1
	s_and_b32 s5, vcc_lo, exec_lo
	s_delay_alu instid0(SALU_CYCLE_1)
	s_or_b32 s2, s2, s5
	s_branch .LBB377_1021
.LBB377_1020:
	s_mov_b32 s8, 0
.LBB377_1021:
	s_and_b32 s7, s4, exec_lo
	s_and_not1_b32 s4, s37, exec_lo
	s_and_b32 s2, s2, exec_lo
	s_and_b32 s8, s8, exec_lo
	s_or_b32 s37, s4, s2
.LBB377_1022:
	s_or_b32 exec_lo, exec_lo, s6
	s_and_saveexec_b32 s2, s37
	s_cbranch_execnz .LBB377_1136
; %bb.1023:
	s_or_b32 exec_lo, exec_lo, s2
	s_and_saveexec_b32 s2, s8
	s_delay_alu instid0(SALU_CYCLE_1)
	s_xor_b32 s2, exec_lo, s2
	s_cbranch_execz .LBB377_1025
.LBB377_1024:
	v_cmp_ne_u64_e32 vcc_lo, 0, v[1:2]
	v_cndmask_b32_e64 v0, 0, 1, vcc_lo
	s_waitcnt vmcnt(0)
	global_store_b8 v[3:4], v0, off
.LBB377_1025:
	s_or_b32 exec_lo, exec_lo, s2
	s_and_saveexec_b32 s2, s7
	s_delay_alu instid0(SALU_CYCLE_1)
	s_xor_b32 s2, exec_lo, s2
	s_cbranch_execz .LBB377_1063
; %bb.1026:
	v_cmp_gt_i16_e32 vcc_lo, 5, v7
	s_mov_b32 s4, -1
	s_cbranch_vccnz .LBB377_1047
; %bb.1027:
	v_cmp_gt_i16_e32 vcc_lo, 8, v7
	s_cbranch_vccnz .LBB377_1037
; %bb.1028:
	v_cmp_gt_i16_e32 vcc_lo, 9, v7
	s_cbranch_vccnz .LBB377_1034
; %bb.1029:
	v_cmp_lt_i16_e32 vcc_lo, 9, v7
	s_cbranch_vccz .LBB377_1031
; %bb.1030:
	s_waitcnt vmcnt(0)
	v_cvt_f64_i32_e32 v[5:6], v2
	v_cvt_f64_u32_e32 v[8:9], v1
	v_mov_b32_e32 v10, 0
	s_mov_b32 s4, 0
	s_delay_alu instid0(VALU_DEP_1) | instskip(NEXT) | instid1(VALU_DEP_4)
	v_mov_b32_e32 v11, v10
	v_ldexp_f64 v[5:6], v[5:6], 32
	s_delay_alu instid0(VALU_DEP_1)
	v_add_f64 v[8:9], v[5:6], v[8:9]
	global_store_b128 v[3:4], v[8:11], off
.LBB377_1031:
	s_and_not1_b32 vcc_lo, exec_lo, s4
	s_cbranch_vccnz .LBB377_1033
; %bb.1032:
	v_xor_b32_e32 v0, v1, v2
	s_waitcnt vmcnt(0)
	v_cls_i32_e32 v5, v2
	s_delay_alu instid0(VALU_DEP_2) | instskip(NEXT) | instid1(VALU_DEP_2)
	v_ashrrev_i32_e32 v0, 31, v0
	v_add_nc_u32_e32 v5, -1, v5
	s_delay_alu instid0(VALU_DEP_2) | instskip(NEXT) | instid1(VALU_DEP_1)
	v_add_nc_u32_e32 v0, 32, v0
	v_min_u32_e32 v0, v5, v0
	s_delay_alu instid0(VALU_DEP_1) | instskip(SKIP_1) | instid1(VALU_DEP_2)
	v_lshlrev_b64 v[5:6], v0, v[1:2]
	v_sub_nc_u32_e32 v0, 32, v0
	v_min_u32_e32 v5, 1, v5
	s_delay_alu instid0(VALU_DEP_1) | instskip(SKIP_1) | instid1(VALU_DEP_2)
	v_or_b32_e32 v5, v6, v5
	v_mov_b32_e32 v6, 0
	v_cvt_f32_i32_e32 v5, v5
	s_delay_alu instid0(VALU_DEP_1)
	v_ldexp_f32 v5, v5, v0
	global_store_b64 v[3:4], v[5:6], off
.LBB377_1033:
	s_mov_b32 s4, 0
.LBB377_1034:
	s_delay_alu instid0(SALU_CYCLE_1)
	s_and_not1_b32 vcc_lo, exec_lo, s4
	s_cbranch_vccnz .LBB377_1036
; %bb.1035:
	v_xor_b32_e32 v0, v1, v2
	s_waitcnt vmcnt(0)
	v_cls_i32_e32 v5, v2
	s_delay_alu instid0(VALU_DEP_2) | instskip(NEXT) | instid1(VALU_DEP_2)
	v_ashrrev_i32_e32 v0, 31, v0
	v_add_nc_u32_e32 v5, -1, v5
	s_delay_alu instid0(VALU_DEP_2) | instskip(NEXT) | instid1(VALU_DEP_1)
	v_add_nc_u32_e32 v0, 32, v0
	v_min_u32_e32 v0, v5, v0
	s_delay_alu instid0(VALU_DEP_1) | instskip(SKIP_1) | instid1(VALU_DEP_2)
	v_lshlrev_b64 v[5:6], v0, v[1:2]
	v_sub_nc_u32_e32 v0, 32, v0
	v_min_u32_e32 v5, 1, v5
	s_delay_alu instid0(VALU_DEP_1) | instskip(NEXT) | instid1(VALU_DEP_1)
	v_or_b32_e32 v5, v6, v5
	v_cvt_f32_i32_e32 v5, v5
	s_delay_alu instid0(VALU_DEP_1) | instskip(NEXT) | instid1(VALU_DEP_1)
	v_ldexp_f32 v0, v5, v0
	v_cvt_f16_f32_e32 v0, v0
	s_delay_alu instid0(VALU_DEP_1)
	v_and_b32_e32 v0, 0xffff, v0
	global_store_b32 v[3:4], v0, off
.LBB377_1036:
	s_mov_b32 s4, 0
.LBB377_1037:
	s_delay_alu instid0(SALU_CYCLE_1)
	s_and_not1_b32 vcc_lo, exec_lo, s4
	s_cbranch_vccnz .LBB377_1046
; %bb.1038:
	v_cmp_gt_i16_e32 vcc_lo, 6, v7
	s_mov_b32 s4, -1
	s_cbranch_vccnz .LBB377_1044
; %bb.1039:
	v_cmp_lt_i16_e32 vcc_lo, 6, v7
	s_cbranch_vccz .LBB377_1041
; %bb.1040:
	s_waitcnt vmcnt(0)
	v_cvt_f64_i32_e32 v[5:6], v2
	v_cvt_f64_u32_e32 v[8:9], v1
	s_mov_b32 s4, 0
	s_delay_alu instid0(VALU_DEP_2) | instskip(NEXT) | instid1(VALU_DEP_1)
	v_ldexp_f64 v[5:6], v[5:6], 32
	v_add_f64 v[5:6], v[5:6], v[8:9]
	global_store_b64 v[3:4], v[5:6], off
.LBB377_1041:
	s_and_not1_b32 vcc_lo, exec_lo, s4
	s_cbranch_vccnz .LBB377_1043
; %bb.1042:
	v_xor_b32_e32 v0, v1, v2
	s_waitcnt vmcnt(0)
	v_cls_i32_e32 v5, v2
	s_delay_alu instid0(VALU_DEP_2) | instskip(NEXT) | instid1(VALU_DEP_2)
	v_ashrrev_i32_e32 v0, 31, v0
	v_add_nc_u32_e32 v5, -1, v5
	s_delay_alu instid0(VALU_DEP_2) | instskip(NEXT) | instid1(VALU_DEP_1)
	v_add_nc_u32_e32 v0, 32, v0
	v_min_u32_e32 v0, v5, v0
	s_delay_alu instid0(VALU_DEP_1) | instskip(SKIP_1) | instid1(VALU_DEP_2)
	v_lshlrev_b64 v[5:6], v0, v[1:2]
	v_sub_nc_u32_e32 v0, 32, v0
	v_min_u32_e32 v5, 1, v5
	s_delay_alu instid0(VALU_DEP_1) | instskip(NEXT) | instid1(VALU_DEP_1)
	v_or_b32_e32 v5, v6, v5
	v_cvt_f32_i32_e32 v5, v5
	s_delay_alu instid0(VALU_DEP_1)
	v_ldexp_f32 v0, v5, v0
	global_store_b32 v[3:4], v0, off
.LBB377_1043:
	s_mov_b32 s4, 0
.LBB377_1044:
	s_delay_alu instid0(SALU_CYCLE_1)
	s_and_not1_b32 vcc_lo, exec_lo, s4
	s_cbranch_vccnz .LBB377_1046
; %bb.1045:
	v_xor_b32_e32 v0, v1, v2
	s_waitcnt vmcnt(0)
	v_cls_i32_e32 v5, v2
	s_delay_alu instid0(VALU_DEP_2) | instskip(NEXT) | instid1(VALU_DEP_2)
	v_ashrrev_i32_e32 v0, 31, v0
	v_add_nc_u32_e32 v5, -1, v5
	s_delay_alu instid0(VALU_DEP_2) | instskip(NEXT) | instid1(VALU_DEP_1)
	v_add_nc_u32_e32 v0, 32, v0
	v_min_u32_e32 v0, v5, v0
	s_delay_alu instid0(VALU_DEP_1) | instskip(SKIP_1) | instid1(VALU_DEP_2)
	v_lshlrev_b64 v[5:6], v0, v[1:2]
	v_sub_nc_u32_e32 v0, 32, v0
	v_min_u32_e32 v5, 1, v5
	s_delay_alu instid0(VALU_DEP_1) | instskip(NEXT) | instid1(VALU_DEP_1)
	v_or_b32_e32 v5, v6, v5
	v_cvt_f32_i32_e32 v5, v5
	s_delay_alu instid0(VALU_DEP_1) | instskip(NEXT) | instid1(VALU_DEP_1)
	v_ldexp_f32 v0, v5, v0
	v_cvt_f16_f32_e32 v0, v0
	global_store_b16 v[3:4], v0, off
.LBB377_1046:
	s_mov_b32 s4, 0
.LBB377_1047:
	s_delay_alu instid0(SALU_CYCLE_1)
	s_and_not1_b32 vcc_lo, exec_lo, s4
	s_cbranch_vccnz .LBB377_1063
; %bb.1048:
	v_cmp_gt_i16_e32 vcc_lo, 2, v7
	s_mov_b32 s4, -1
	s_cbranch_vccnz .LBB377_1058
; %bb.1049:
	v_cmp_gt_i16_e32 vcc_lo, 3, v7
	s_cbranch_vccnz .LBB377_1055
; %bb.1050:
	v_cmp_lt_i16_e32 vcc_lo, 3, v7
	s_cbranch_vccz .LBB377_1052
; %bb.1051:
	s_mov_b32 s4, 0
	s_waitcnt vmcnt(0)
	global_store_b64 v[3:4], v[1:2], off
.LBB377_1052:
	s_and_not1_b32 vcc_lo, exec_lo, s4
	s_cbranch_vccnz .LBB377_1054
; %bb.1053:
	s_waitcnt vmcnt(0)
	global_store_b32 v[3:4], v1, off
.LBB377_1054:
	s_mov_b32 s4, 0
.LBB377_1055:
	s_delay_alu instid0(SALU_CYCLE_1)
	s_and_not1_b32 vcc_lo, exec_lo, s4
	s_cbranch_vccnz .LBB377_1057
; %bb.1056:
	s_waitcnt vmcnt(0)
	global_store_b16 v[3:4], v1, off
.LBB377_1057:
	s_mov_b32 s4, 0
.LBB377_1058:
	s_delay_alu instid0(SALU_CYCLE_1)
	s_and_not1_b32 vcc_lo, exec_lo, s4
	s_cbranch_vccnz .LBB377_1063
; %bb.1059:
	v_cmp_lt_i16_e32 vcc_lo, 0, v7
	s_mov_b32 s4, -1
	s_cbranch_vccz .LBB377_1061
; %bb.1060:
	s_mov_b32 s4, 0
	s_waitcnt vmcnt(0)
	global_store_b8 v[3:4], v1, off
.LBB377_1061:
	s_and_not1_b32 vcc_lo, exec_lo, s4
	s_cbranch_vccnz .LBB377_1063
; %bb.1062:
	s_waitcnt vmcnt(0)
	global_store_b8 v[3:4], v1, off
.LBB377_1063:
	s_or_b32 exec_lo, exec_lo, s2
	s_delay_alu instid0(SALU_CYCLE_1)
	s_and_b32 s8, s3, exec_lo
                                        ; implicit-def: $vgpr5
                                        ; implicit-def: $vgpr8
.LBB377_1064:
	s_or_saveexec_b32 s9, s30
	s_mov_b32 s2, 0
                                        ; implicit-def: $vgpr0_vgpr1
                                        ; implicit-def: $sgpr6
                                        ; implicit-def: $vgpr2_vgpr3
	s_xor_b32 exec_lo, exec_lo, s9
	s_cbranch_execz .LBB377_2022
; %bb.1065:
	v_cndmask_b32_e64 v0, 0, 1, s29
	s_and_not1_b32 vcc_lo, exec_lo, s29
	s_cbranch_vccnz .LBB377_1071
; %bb.1066:
	s_waitcnt vmcnt(0)
	v_dual_mov_b32 v3, 0 :: v_dual_mov_b32 v4, 0
	s_cmp_lg_u32 s26, 0
	s_mov_b32 s6, 0
	s_cbranch_scc0 .LBB377_1075
; %bb.1067:
	s_min_u32 s7, s27, 15
	v_mov_b32_e32 v3, 0
	s_add_i32 s7, s7, 1
	s_cmp_eq_u32 s27, 2
	s_mov_b32 s10, 0
	s_cbranch_scc1 .LBB377_1072
; %bb.1068:
	v_dual_mov_b32 v4, 0 :: v_dual_mov_b32 v3, 0
	v_mov_b32_e32 v1, v8
	s_add_u32 s2, s16, 0xc4
	s_addc_u32 s3, s17, 0
	s_and_b32 s10, s7, 28
	s_mov_b32 s11, 0
	s_mov_b64 s[4:5], s[16:17]
.LBB377_1069:                           ; =>This Inner Loop Header: Depth=1
	s_clause 0x1
	s_load_b256 s[36:43], s[4:5], 0x4
	s_load_b128 s[12:15], s[4:5], 0x24
	s_load_b256 s[44:51], s[2:3], 0x0
	s_add_u32 s4, s4, 48
	s_addc_u32 s5, s5, 0
	s_add_i32 s11, s11, 4
	s_add_u32 s2, s2, 32
	s_addc_u32 s3, s3, 0
	s_cmp_lg_u32 s10, s11
	s_waitcnt lgkmcnt(0)
	v_mul_hi_u32 v2, s37, v1
	s_delay_alu instid0(VALU_DEP_1) | instskip(NEXT) | instid1(VALU_DEP_1)
	v_add_nc_u32_e32 v2, v1, v2
	v_lshrrev_b32_e32 v2, s38, v2
	s_delay_alu instid0(VALU_DEP_1) | instskip(SKIP_1) | instid1(VALU_DEP_2)
	v_mul_hi_u32 v6, s40, v2
	v_mul_lo_u32 v9, v2, s36
	v_add_nc_u32_e32 v6, v2, v6
	s_delay_alu instid0(VALU_DEP_2) | instskip(NEXT) | instid1(VALU_DEP_2)
	v_sub_nc_u32_e32 v1, v1, v9
	v_lshrrev_b32_e32 v6, s41, v6
	s_delay_alu instid0(VALU_DEP_2) | instskip(SKIP_1) | instid1(VALU_DEP_3)
	v_mul_lo_u32 v9, v1, s44
	v_mul_lo_u32 v11, v1, s45
	v_mul_hi_u32 v7, s43, v6
	s_delay_alu instid0(VALU_DEP_1) | instskip(NEXT) | instid1(VALU_DEP_1)
	v_add_nc_u32_e32 v7, v6, v7
	v_lshrrev_b32_e32 v7, s12, v7
	s_delay_alu instid0(VALU_DEP_1) | instskip(SKIP_1) | instid1(VALU_DEP_2)
	v_mul_hi_u32 v10, s14, v7
	v_mul_lo_u32 v12, v7, s42
	v_add_nc_u32_e32 v1, v7, v10
	v_mul_lo_u32 v10, v6, s39
	s_delay_alu instid0(VALU_DEP_3) | instskip(NEXT) | instid1(VALU_DEP_3)
	v_sub_nc_u32_e32 v6, v6, v12
	v_lshrrev_b32_e32 v1, s15, v1
	s_delay_alu instid0(VALU_DEP_2) | instskip(SKIP_2) | instid1(VALU_DEP_4)
	v_mul_lo_u32 v12, v6, s48
	v_mul_lo_u32 v6, v6, s49
	v_sub_nc_u32_e32 v2, v2, v10
	v_mul_lo_u32 v13, v1, s13
	s_delay_alu instid0(VALU_DEP_2) | instskip(SKIP_1) | instid1(VALU_DEP_3)
	v_mul_lo_u32 v10, v2, s46
	v_mul_lo_u32 v2, v2, s47
	v_sub_nc_u32_e32 v7, v7, v13
	s_delay_alu instid0(VALU_DEP_3) | instskip(NEXT) | instid1(VALU_DEP_2)
	v_add3_u32 v3, v9, v3, v10
	v_mul_lo_u32 v13, v7, s50
	v_mul_lo_u32 v7, v7, s51
	v_add3_u32 v2, v11, v4, v2
	s_delay_alu instid0(VALU_DEP_3) | instskip(NEXT) | instid1(VALU_DEP_2)
	v_add3_u32 v3, v12, v3, v13
	v_add3_u32 v4, v6, v2, v7
	s_cbranch_scc1 .LBB377_1069
; %bb.1070:
	s_and_b32 s7, s7, 3
	s_delay_alu instid0(SALU_CYCLE_1)
	s_cmp_eq_u32 s7, 0
	s_cbranch_scc0 .LBB377_1073
	s_branch .LBB377_1075
.LBB377_1071:
	s_mov_b32 s6, -1
                                        ; implicit-def: $vgpr3
                                        ; implicit-def: $vgpr4
	s_branch .LBB377_1075
.LBB377_1072:
	v_dual_mov_b32 v1, v8 :: v_dual_mov_b32 v4, 0
	s_and_b32 s7, s7, 3
	s_delay_alu instid0(SALU_CYCLE_1)
	s_cmp_eq_u32 s7, 0
	s_cbranch_scc1 .LBB377_1075
.LBB377_1073:
	s_lshl_b32 s2, s10, 3
	s_mul_i32 s4, s10, 12
	s_add_u32 s2, s2, s16
	s_addc_u32 s3, 0, s17
	s_add_u32 s2, s2, 0xc4
	s_addc_u32 s3, s3, 0
	;; [unrolled: 2-line block ×3, first 2 shown]
	.p2align	6
.LBB377_1074:                           ; =>This Inner Loop Header: Depth=1
	s_clause 0x1
	s_load_b64 s[10:11], s[4:5], 0x4
	s_load_b32 s14, s[4:5], 0xc
	s_load_b64 s[12:13], s[2:3], 0x0
	s_add_u32 s4, s4, 12
	s_addc_u32 s5, s5, 0
	s_add_u32 s2, s2, 8
	s_addc_u32 s3, s3, 0
	s_add_i32 s7, s7, -1
	s_delay_alu instid0(SALU_CYCLE_1) | instskip(SKIP_2) | instid1(VALU_DEP_1)
	s_cmp_lg_u32 s7, 0
	s_waitcnt lgkmcnt(0)
	v_mul_hi_u32 v2, s11, v1
	v_add_nc_u32_e32 v2, v1, v2
	s_delay_alu instid0(VALU_DEP_1) | instskip(NEXT) | instid1(VALU_DEP_1)
	v_lshrrev_b32_e32 v9, s14, v2
	v_mul_lo_u32 v2, v9, s10
	s_delay_alu instid0(VALU_DEP_1) | instskip(NEXT) | instid1(VALU_DEP_1)
	v_sub_nc_u32_e32 v1, v1, v2
	v_mad_u64_u32 v[6:7], null, v1, s12, v[3:4]
	v_mad_u64_u32 v[2:3], null, v1, s13, v[4:5]
	v_mov_b32_e32 v1, v9
	s_delay_alu instid0(VALU_DEP_3) | instskip(NEXT) | instid1(VALU_DEP_3)
	v_mov_b32_e32 v3, v6
	v_mov_b32_e32 v4, v2
	s_cbranch_scc1 .LBB377_1074
.LBB377_1075:
	s_and_not1_b32 vcc_lo, exec_lo, s6
	s_cbranch_vccnz .LBB377_1078
; %bb.1076:
	s_clause 0x1
	s_load_b128 s[4:7], s[16:17], 0x4
	s_load_b64 s[2:3], s[16:17], 0xc4
	s_cmp_lt_u32 s26, 2
	s_waitcnt lgkmcnt(0)
	v_mul_hi_u32 v1, s5, v8
	s_delay_alu instid0(VALU_DEP_1) | instskip(NEXT) | instid1(VALU_DEP_1)
	v_add_nc_u32_e32 v1, v8, v1
	v_lshrrev_b32_e32 v1, s6, v1
	s_delay_alu instid0(VALU_DEP_1) | instskip(NEXT) | instid1(VALU_DEP_1)
	v_mul_lo_u32 v2, v1, s4
	v_sub_nc_u32_e32 v2, v8, v2
	s_waitcnt vmcnt(0)
	s_delay_alu instid0(VALU_DEP_1)
	v_mul_lo_u32 v3, v2, s2
	v_mul_lo_u32 v4, v2, s3
	s_cbranch_scc1 .LBB377_1078
; %bb.1077:
	s_clause 0x1
	s_load_b128 s[4:7], s[16:17], 0x10
	s_load_b64 s[2:3], s[16:17], 0xcc
	s_waitcnt lgkmcnt(0)
	v_mul_hi_u32 v2, s5, v1
	s_delay_alu instid0(VALU_DEP_1) | instskip(NEXT) | instid1(VALU_DEP_1)
	v_add_nc_u32_e32 v2, v1, v2
	v_lshrrev_b32_e32 v2, s6, v2
	s_delay_alu instid0(VALU_DEP_1) | instskip(NEXT) | instid1(VALU_DEP_1)
	v_mul_lo_u32 v2, v2, s4
	v_sub_nc_u32_e32 v6, v1, v2
	s_delay_alu instid0(VALU_DEP_1) | instskip(SKIP_1) | instid1(VALU_DEP_1)
	v_mad_u64_u32 v[1:2], null, v6, s2, v[3:4]
	v_mad_u64_u32 v[2:3], null, v6, s3, v[4:5]
	v_dual_mov_b32 v3, v1 :: v_dual_mov_b32 v4, v2
.LBB377_1078:
	v_cmp_ne_u32_e32 vcc_lo, 1, v0
	v_add_nc_u32_e32 v1, 0x80, v8
	s_cbranch_vccnz .LBB377_1084
; %bb.1079:
	v_mov_b32_e32 v2, 0
	s_waitcnt vmcnt(0)
	v_mov_b32_e32 v6, 0
	s_cmp_lg_u32 s26, 0
	s_mov_b32 s6, 0
	s_cbranch_scc0 .LBB377_1088
; %bb.1080:
	s_min_u32 s7, s27, 15
	v_mov_b32_e32 v2, 0
	s_add_i32 s7, s7, 1
	s_cmp_eq_u32 s27, 2
	s_mov_b32 s10, 0
	s_cbranch_scc1 .LBB377_1085
; %bb.1081:
	v_dual_mov_b32 v6, 0 :: v_dual_mov_b32 v7, v1
	v_mov_b32_e32 v2, 0
	s_add_u32 s2, s16, 0xc4
	s_addc_u32 s3, s17, 0
	s_and_b32 s10, s7, 28
	s_mov_b32 s11, 0
	s_mov_b64 s[4:5], s[16:17]
.LBB377_1082:                           ; =>This Inner Loop Header: Depth=1
	s_clause 0x1
	s_load_b256 s[36:43], s[4:5], 0x4
	s_load_b128 s[12:15], s[4:5], 0x24
	s_load_b256 s[44:51], s[2:3], 0x0
	s_add_u32 s4, s4, 48
	s_addc_u32 s5, s5, 0
	s_add_i32 s11, s11, 4
	s_add_u32 s2, s2, 32
	s_addc_u32 s3, s3, 0
	s_cmp_lg_u32 s10, s11
	s_waitcnt lgkmcnt(0)
	v_mul_hi_u32 v9, s37, v7
	s_delay_alu instid0(VALU_DEP_1) | instskip(NEXT) | instid1(VALU_DEP_1)
	v_add_nc_u32_e32 v9, v7, v9
	v_lshrrev_b32_e32 v9, s38, v9
	s_delay_alu instid0(VALU_DEP_1) | instskip(SKIP_1) | instid1(VALU_DEP_2)
	v_mul_hi_u32 v10, s40, v9
	v_mul_lo_u32 v12, v9, s36
	v_add_nc_u32_e32 v10, v9, v10
	s_delay_alu instid0(VALU_DEP_2) | instskip(NEXT) | instid1(VALU_DEP_2)
	v_sub_nc_u32_e32 v7, v7, v12
	v_lshrrev_b32_e32 v10, s41, v10
	s_delay_alu instid0(VALU_DEP_2) | instskip(SKIP_1) | instid1(VALU_DEP_3)
	v_mul_lo_u32 v12, v7, s44
	v_mul_lo_u32 v14, v7, s45
	v_mul_hi_u32 v11, s43, v10
	s_delay_alu instid0(VALU_DEP_1) | instskip(NEXT) | instid1(VALU_DEP_1)
	v_add_nc_u32_e32 v11, v10, v11
	v_lshrrev_b32_e32 v11, s12, v11
	s_delay_alu instid0(VALU_DEP_1) | instskip(SKIP_1) | instid1(VALU_DEP_2)
	v_mul_hi_u32 v13, s14, v11
	v_mul_lo_u32 v15, v11, s42
	v_add_nc_u32_e32 v7, v11, v13
	v_mul_lo_u32 v13, v10, s39
	s_delay_alu instid0(VALU_DEP_3) | instskip(NEXT) | instid1(VALU_DEP_3)
	v_sub_nc_u32_e32 v10, v10, v15
	v_lshrrev_b32_e32 v7, s15, v7
	s_delay_alu instid0(VALU_DEP_2) | instskip(SKIP_2) | instid1(VALU_DEP_4)
	v_mul_lo_u32 v15, v10, s48
	v_mul_lo_u32 v10, v10, s49
	v_sub_nc_u32_e32 v9, v9, v13
	v_mul_lo_u32 v16, v7, s13
	s_delay_alu instid0(VALU_DEP_2) | instskip(SKIP_1) | instid1(VALU_DEP_3)
	v_mul_lo_u32 v13, v9, s46
	v_mul_lo_u32 v9, v9, s47
	v_sub_nc_u32_e32 v11, v11, v16
	s_delay_alu instid0(VALU_DEP_3) | instskip(NEXT) | instid1(VALU_DEP_2)
	v_add3_u32 v2, v12, v2, v13
	v_mul_lo_u32 v16, v11, s50
	v_mul_lo_u32 v11, v11, s51
	v_add3_u32 v6, v14, v6, v9
	s_delay_alu instid0(VALU_DEP_3) | instskip(NEXT) | instid1(VALU_DEP_2)
	v_add3_u32 v2, v15, v2, v16
	v_add3_u32 v6, v10, v6, v11
	s_cbranch_scc1 .LBB377_1082
; %bb.1083:
	s_and_b32 s7, s7, 3
	s_delay_alu instid0(SALU_CYCLE_1)
	s_cmp_eq_u32 s7, 0
	s_cbranch_scc0 .LBB377_1086
	s_branch .LBB377_1088
.LBB377_1084:
	s_mov_b32 s6, -1
                                        ; implicit-def: $vgpr2
                                        ; implicit-def: $vgpr6
	s_branch .LBB377_1088
.LBB377_1085:
	v_dual_mov_b32 v7, v1 :: v_dual_mov_b32 v6, 0
	s_and_b32 s7, s7, 3
	s_delay_alu instid0(SALU_CYCLE_1)
	s_cmp_eq_u32 s7, 0
	s_cbranch_scc1 .LBB377_1088
.LBB377_1086:
	s_lshl_b32 s2, s10, 3
	s_mul_i32 s4, s10, 12
	s_add_u32 s2, s2, s16
	s_addc_u32 s3, 0, s17
	s_add_u32 s2, s2, 0xc4
	s_addc_u32 s3, s3, 0
	;; [unrolled: 2-line block ×3, first 2 shown]
	.p2align	6
.LBB377_1087:                           ; =>This Inner Loop Header: Depth=1
	s_clause 0x1
	s_load_b64 s[10:11], s[4:5], 0x4
	s_load_b32 s14, s[4:5], 0xc
	s_load_b64 s[12:13], s[2:3], 0x0
	s_add_u32 s4, s4, 12
	s_addc_u32 s5, s5, 0
	s_add_u32 s2, s2, 8
	s_addc_u32 s3, s3, 0
	s_add_i32 s7, s7, -1
	s_delay_alu instid0(SALU_CYCLE_1) | instskip(SKIP_2) | instid1(VALU_DEP_1)
	s_cmp_lg_u32 s7, 0
	s_waitcnt lgkmcnt(0)
	v_mul_hi_u32 v9, s11, v7
	v_add_nc_u32_e32 v9, v7, v9
	s_delay_alu instid0(VALU_DEP_1) | instskip(NEXT) | instid1(VALU_DEP_1)
	v_lshrrev_b32_e32 v12, s14, v9
	v_mul_lo_u32 v9, v12, s10
	s_delay_alu instid0(VALU_DEP_1) | instskip(NEXT) | instid1(VALU_DEP_1)
	v_sub_nc_u32_e32 v7, v7, v9
	v_mad_u64_u32 v[9:10], null, v7, s12, v[2:3]
	v_mad_u64_u32 v[10:11], null, v7, s13, v[6:7]
	s_delay_alu instid0(VALU_DEP_2) | instskip(NEXT) | instid1(VALU_DEP_2)
	v_dual_mov_b32 v7, v12 :: v_dual_mov_b32 v2, v9
	v_mov_b32_e32 v6, v10
	s_cbranch_scc1 .LBB377_1087
.LBB377_1088:
	s_and_not1_b32 vcc_lo, exec_lo, s6
	s_cbranch_vccnz .LBB377_1091
; %bb.1089:
	s_clause 0x1
	s_load_b128 s[4:7], s[16:17], 0x4
	s_load_b64 s[2:3], s[16:17], 0xc4
	s_cmp_lt_u32 s26, 2
	s_waitcnt lgkmcnt(0)
	v_mul_hi_u32 v2, s5, v1
	s_delay_alu instid0(VALU_DEP_1) | instskip(NEXT) | instid1(VALU_DEP_1)
	v_add_nc_u32_e32 v2, v1, v2
	v_lshrrev_b32_e32 v7, s6, v2
	s_delay_alu instid0(VALU_DEP_1) | instskip(NEXT) | instid1(VALU_DEP_1)
	v_mul_lo_u32 v2, v7, s4
	v_sub_nc_u32_e32 v1, v1, v2
	s_delay_alu instid0(VALU_DEP_1)
	v_mul_lo_u32 v2, v1, s2
	s_waitcnt vmcnt(0)
	v_mul_lo_u32 v6, v1, s3
	s_cbranch_scc1 .LBB377_1091
; %bb.1090:
	s_clause 0x1
	s_load_b128 s[4:7], s[16:17], 0x10
	s_load_b64 s[2:3], s[16:17], 0xcc
	s_waitcnt lgkmcnt(0)
	v_mul_hi_u32 v1, s5, v7
	s_delay_alu instid0(VALU_DEP_1) | instskip(NEXT) | instid1(VALU_DEP_1)
	v_add_nc_u32_e32 v1, v7, v1
	v_lshrrev_b32_e32 v1, s6, v1
	s_delay_alu instid0(VALU_DEP_1) | instskip(NEXT) | instid1(VALU_DEP_1)
	v_mul_lo_u32 v1, v1, s4
	v_sub_nc_u32_e32 v7, v7, v1
	s_delay_alu instid0(VALU_DEP_1) | instskip(SKIP_1) | instid1(VALU_DEP_2)
	v_mad_u64_u32 v[9:10], null, v7, s2, v[2:3]
	v_mad_u64_u32 v[1:2], null, v7, s3, v[6:7]
	v_mov_b32_e32 v2, v9
	s_delay_alu instid0(VALU_DEP_2)
	v_mov_b32_e32 v6, v1
.LBB377_1091:
	v_cmp_ne_u32_e32 vcc_lo, 1, v0
	v_add_nc_u32_e32 v7, 0x100, v8
	s_cbranch_vccnz .LBB377_1097
; %bb.1092:
	v_dual_mov_b32 v1, 0 :: v_dual_mov_b32 v8, 0
	s_cmp_lg_u32 s26, 0
	s_mov_b32 s6, 0
	s_cbranch_scc0 .LBB377_1101
; %bb.1093:
	s_min_u32 s7, s27, 15
	v_mov_b32_e32 v1, 0
	s_add_i32 s7, s7, 1
	s_cmp_eq_u32 s27, 2
	s_mov_b32 s10, 0
	s_cbranch_scc1 .LBB377_1098
; %bb.1094:
	v_dual_mov_b32 v8, 0 :: v_dual_mov_b32 v1, 0
	v_mov_b32_e32 v9, v7
	s_add_u32 s2, s16, 0xc4
	s_addc_u32 s3, s17, 0
	s_and_b32 s10, s7, 28
	s_mov_b32 s11, 0
	s_mov_b64 s[4:5], s[16:17]
.LBB377_1095:                           ; =>This Inner Loop Header: Depth=1
	s_clause 0x1
	s_load_b256 s[36:43], s[4:5], 0x4
	s_load_b128 s[12:15], s[4:5], 0x24
	s_load_b256 s[44:51], s[2:3], 0x0
	s_add_u32 s4, s4, 48
	s_addc_u32 s5, s5, 0
	s_add_i32 s11, s11, 4
	s_add_u32 s2, s2, 32
	s_addc_u32 s3, s3, 0
	s_cmp_lg_u32 s10, s11
	s_waitcnt lgkmcnt(0)
	v_mul_hi_u32 v10, s37, v9
	s_delay_alu instid0(VALU_DEP_1) | instskip(NEXT) | instid1(VALU_DEP_1)
	v_add_nc_u32_e32 v10, v9, v10
	v_lshrrev_b32_e32 v10, s38, v10
	s_delay_alu instid0(VALU_DEP_1) | instskip(SKIP_1) | instid1(VALU_DEP_2)
	v_mul_hi_u32 v11, s40, v10
	v_mul_lo_u32 v13, v10, s36
	v_add_nc_u32_e32 v11, v10, v11
	s_delay_alu instid0(VALU_DEP_2) | instskip(NEXT) | instid1(VALU_DEP_2)
	v_sub_nc_u32_e32 v9, v9, v13
	v_lshrrev_b32_e32 v11, s41, v11
	s_delay_alu instid0(VALU_DEP_2) | instskip(SKIP_1) | instid1(VALU_DEP_3)
	v_mul_lo_u32 v13, v9, s44
	v_mul_lo_u32 v15, v9, s45
	v_mul_hi_u32 v12, s43, v11
	s_delay_alu instid0(VALU_DEP_1) | instskip(NEXT) | instid1(VALU_DEP_1)
	v_add_nc_u32_e32 v12, v11, v12
	v_lshrrev_b32_e32 v12, s12, v12
	s_delay_alu instid0(VALU_DEP_1) | instskip(SKIP_1) | instid1(VALU_DEP_2)
	v_mul_hi_u32 v14, s14, v12
	v_mul_lo_u32 v16, v12, s42
	v_add_nc_u32_e32 v9, v12, v14
	v_mul_lo_u32 v14, v11, s39
	s_delay_alu instid0(VALU_DEP_3) | instskip(NEXT) | instid1(VALU_DEP_3)
	v_sub_nc_u32_e32 v11, v11, v16
	v_lshrrev_b32_e32 v9, s15, v9
	s_delay_alu instid0(VALU_DEP_2) | instskip(SKIP_2) | instid1(VALU_DEP_4)
	v_mul_lo_u32 v16, v11, s48
	v_mul_lo_u32 v11, v11, s49
	v_sub_nc_u32_e32 v10, v10, v14
	v_mul_lo_u32 v17, v9, s13
	s_delay_alu instid0(VALU_DEP_2) | instskip(SKIP_1) | instid1(VALU_DEP_3)
	v_mul_lo_u32 v14, v10, s46
	v_mul_lo_u32 v10, v10, s47
	v_sub_nc_u32_e32 v12, v12, v17
	s_delay_alu instid0(VALU_DEP_3) | instskip(NEXT) | instid1(VALU_DEP_2)
	v_add3_u32 v1, v13, v1, v14
	v_mul_lo_u32 v17, v12, s50
	v_mul_lo_u32 v12, v12, s51
	v_add3_u32 v8, v15, v8, v10
	s_delay_alu instid0(VALU_DEP_3) | instskip(NEXT) | instid1(VALU_DEP_2)
	v_add3_u32 v1, v16, v1, v17
	v_add3_u32 v8, v11, v8, v12
	s_cbranch_scc1 .LBB377_1095
; %bb.1096:
	s_and_b32 s7, s7, 3
	s_delay_alu instid0(SALU_CYCLE_1)
	s_cmp_eq_u32 s7, 0
	s_cbranch_scc0 .LBB377_1099
	s_branch .LBB377_1101
.LBB377_1097:
	s_mov_b32 s6, -1
                                        ; implicit-def: $vgpr1
                                        ; implicit-def: $vgpr8
	s_branch .LBB377_1101
.LBB377_1098:
	v_dual_mov_b32 v9, v7 :: v_dual_mov_b32 v8, 0
	s_and_b32 s7, s7, 3
	s_delay_alu instid0(SALU_CYCLE_1)
	s_cmp_eq_u32 s7, 0
	s_cbranch_scc1 .LBB377_1101
.LBB377_1099:
	s_lshl_b32 s2, s10, 3
	s_mul_i32 s4, s10, 12
	s_add_u32 s2, s2, s16
	s_addc_u32 s3, 0, s17
	s_add_u32 s2, s2, 0xc4
	s_addc_u32 s3, s3, 0
	;; [unrolled: 2-line block ×3, first 2 shown]
	.p2align	6
.LBB377_1100:                           ; =>This Inner Loop Header: Depth=1
	s_clause 0x1
	s_load_b64 s[10:11], s[4:5], 0x4
	s_load_b32 s14, s[4:5], 0xc
	s_load_b64 s[12:13], s[2:3], 0x0
	s_add_u32 s4, s4, 12
	s_addc_u32 s5, s5, 0
	s_add_u32 s2, s2, 8
	s_addc_u32 s3, s3, 0
	s_add_i32 s7, s7, -1
	s_delay_alu instid0(SALU_CYCLE_1) | instskip(SKIP_2) | instid1(VALU_DEP_1)
	s_cmp_lg_u32 s7, 0
	s_waitcnt lgkmcnt(0)
	v_mul_hi_u32 v10, s11, v9
	v_add_nc_u32_e32 v10, v9, v10
	s_delay_alu instid0(VALU_DEP_1) | instskip(NEXT) | instid1(VALU_DEP_1)
	v_lshrrev_b32_e32 v13, s14, v10
	v_mul_lo_u32 v10, v13, s10
	s_delay_alu instid0(VALU_DEP_1) | instskip(NEXT) | instid1(VALU_DEP_1)
	v_sub_nc_u32_e32 v9, v9, v10
	v_mad_u64_u32 v[10:11], null, v9, s12, v[1:2]
	v_mad_u64_u32 v[11:12], null, v9, s13, v[8:9]
	v_mov_b32_e32 v9, v13
	s_delay_alu instid0(VALU_DEP_2)
	v_dual_mov_b32 v1, v10 :: v_dual_mov_b32 v8, v11
	s_cbranch_scc1 .LBB377_1100
.LBB377_1101:
	s_and_not1_b32 vcc_lo, exec_lo, s6
	s_cbranch_vccnz .LBB377_1104
; %bb.1102:
	s_clause 0x1
	s_load_b128 s[4:7], s[16:17], 0x4
	s_load_b64 s[2:3], s[16:17], 0xc4
	s_cmp_lt_u32 s26, 2
	s_waitcnt lgkmcnt(0)
	v_mul_hi_u32 v1, s5, v7
	s_delay_alu instid0(VALU_DEP_1) | instskip(NEXT) | instid1(VALU_DEP_1)
	v_add_nc_u32_e32 v1, v7, v1
	v_lshrrev_b32_e32 v9, s6, v1
	s_delay_alu instid0(VALU_DEP_1) | instskip(NEXT) | instid1(VALU_DEP_1)
	v_mul_lo_u32 v1, v9, s4
	v_sub_nc_u32_e32 v7, v7, v1
	s_delay_alu instid0(VALU_DEP_1)
	v_mul_lo_u32 v1, v7, s2
	v_mul_lo_u32 v8, v7, s3
	s_cbranch_scc1 .LBB377_1104
; %bb.1103:
	s_clause 0x1
	s_load_b128 s[4:7], s[16:17], 0x10
	s_load_b64 s[2:3], s[16:17], 0xcc
	s_waitcnt lgkmcnt(0)
	v_mul_hi_u32 v7, s5, v9
	s_delay_alu instid0(VALU_DEP_1) | instskip(NEXT) | instid1(VALU_DEP_1)
	v_add_nc_u32_e32 v7, v9, v7
	v_lshrrev_b32_e32 v7, s6, v7
	s_delay_alu instid0(VALU_DEP_1) | instskip(NEXT) | instid1(VALU_DEP_1)
	v_mul_lo_u32 v7, v7, s4
	v_sub_nc_u32_e32 v7, v9, v7
	s_delay_alu instid0(VALU_DEP_1) | instskip(NEXT) | instid1(VALU_DEP_1)
	v_mad_u64_u32 v[9:10], null, v7, s2, v[1:2]
	v_mad_u64_u32 v[10:11], null, v7, s3, v[8:9]
	s_delay_alu instid0(VALU_DEP_1)
	v_dual_mov_b32 v1, v9 :: v_dual_mov_b32 v8, v10
.LBB377_1104:
	v_cmp_ne_u32_e32 vcc_lo, 1, v0
	s_cbranch_vccnz .LBB377_1110
; %bb.1105:
	v_mov_b32_e32 v0, 0
	v_mov_b32_e32 v10, 0
	s_cmp_lg_u32 s26, 0
	s_mov_b32 s6, 0
	s_cbranch_scc0 .LBB377_1114
; %bb.1106:
	s_min_u32 s7, s27, 15
	v_mov_b32_e32 v0, 0
	s_add_i32 s7, s7, 1
	s_cmp_eq_u32 s27, 2
	s_mov_b32 s10, 0
	s_cbranch_scc1 .LBB377_1111
; %bb.1107:
	s_waitcnt vmcnt(0)
	v_dual_mov_b32 v10, 0 :: v_dual_mov_b32 v7, v5
	v_mov_b32_e32 v0, 0
	s_add_u32 s2, s16, 0xc4
	s_addc_u32 s3, s17, 0
	s_and_b32 s10, s7, 28
	s_mov_b32 s11, 0
	s_mov_b64 s[4:5], s[16:17]
.LBB377_1108:                           ; =>This Inner Loop Header: Depth=1
	s_clause 0x1
	s_load_b256 s[36:43], s[4:5], 0x4
	s_load_b128 s[12:15], s[4:5], 0x24
	s_load_b256 s[44:51], s[2:3], 0x0
	s_add_u32 s4, s4, 48
	s_addc_u32 s5, s5, 0
	s_add_i32 s11, s11, 4
	s_add_u32 s2, s2, 32
	s_addc_u32 s3, s3, 0
	s_cmp_lg_u32 s10, s11
	s_waitcnt lgkmcnt(0)
	v_mul_hi_u32 v9, s37, v7
	s_delay_alu instid0(VALU_DEP_1) | instskip(NEXT) | instid1(VALU_DEP_1)
	v_add_nc_u32_e32 v9, v7, v9
	v_lshrrev_b32_e32 v9, s38, v9
	s_delay_alu instid0(VALU_DEP_1) | instskip(SKIP_1) | instid1(VALU_DEP_2)
	v_mul_hi_u32 v11, s40, v9
	v_mul_lo_u32 v13, v9, s36
	v_add_nc_u32_e32 v11, v9, v11
	s_delay_alu instid0(VALU_DEP_2) | instskip(NEXT) | instid1(VALU_DEP_2)
	v_sub_nc_u32_e32 v7, v7, v13
	v_lshrrev_b32_e32 v11, s41, v11
	s_delay_alu instid0(VALU_DEP_2) | instskip(SKIP_1) | instid1(VALU_DEP_3)
	v_mul_lo_u32 v13, v7, s44
	v_mul_lo_u32 v15, v7, s45
	v_mul_hi_u32 v12, s43, v11
	s_delay_alu instid0(VALU_DEP_1) | instskip(NEXT) | instid1(VALU_DEP_1)
	v_add_nc_u32_e32 v12, v11, v12
	v_lshrrev_b32_e32 v12, s12, v12
	s_delay_alu instid0(VALU_DEP_1) | instskip(SKIP_1) | instid1(VALU_DEP_2)
	v_mul_hi_u32 v14, s14, v12
	v_mul_lo_u32 v16, v12, s42
	v_add_nc_u32_e32 v7, v12, v14
	v_mul_lo_u32 v14, v11, s39
	s_delay_alu instid0(VALU_DEP_3) | instskip(NEXT) | instid1(VALU_DEP_3)
	v_sub_nc_u32_e32 v11, v11, v16
	v_lshrrev_b32_e32 v7, s15, v7
	s_delay_alu instid0(VALU_DEP_2) | instskip(SKIP_2) | instid1(VALU_DEP_4)
	v_mul_lo_u32 v16, v11, s48
	v_mul_lo_u32 v11, v11, s49
	v_sub_nc_u32_e32 v9, v9, v14
	v_mul_lo_u32 v17, v7, s13
	s_delay_alu instid0(VALU_DEP_2) | instskip(SKIP_1) | instid1(VALU_DEP_3)
	v_mul_lo_u32 v14, v9, s46
	v_mul_lo_u32 v9, v9, s47
	v_sub_nc_u32_e32 v12, v12, v17
	s_delay_alu instid0(VALU_DEP_3) | instskip(NEXT) | instid1(VALU_DEP_2)
	v_add3_u32 v0, v13, v0, v14
	v_mul_lo_u32 v17, v12, s50
	v_mul_lo_u32 v12, v12, s51
	v_add3_u32 v9, v15, v10, v9
	s_delay_alu instid0(VALU_DEP_3) | instskip(NEXT) | instid1(VALU_DEP_2)
	v_add3_u32 v0, v16, v0, v17
	v_add3_u32 v10, v11, v9, v12
	s_cbranch_scc1 .LBB377_1108
; %bb.1109:
	s_and_b32 s7, s7, 3
	s_delay_alu instid0(SALU_CYCLE_1)
	s_cmp_eq_u32 s7, 0
	s_cbranch_scc0 .LBB377_1112
	s_branch .LBB377_1114
.LBB377_1110:
	s_mov_b32 s6, -1
                                        ; implicit-def: $vgpr0
                                        ; implicit-def: $vgpr10
	s_branch .LBB377_1114
.LBB377_1111:
	s_waitcnt vmcnt(0)
	v_dual_mov_b32 v7, v5 :: v_dual_mov_b32 v10, 0
	s_and_b32 s7, s7, 3
	s_delay_alu instid0(SALU_CYCLE_1)
	s_cmp_eq_u32 s7, 0
	s_cbranch_scc1 .LBB377_1114
.LBB377_1112:
	s_lshl_b32 s2, s10, 3
	s_mul_i32 s4, s10, 12
	s_add_u32 s2, s2, s16
	s_addc_u32 s3, 0, s17
	s_add_u32 s2, s2, 0xc4
	s_addc_u32 s3, s3, 0
	;; [unrolled: 2-line block ×3, first 2 shown]
	.p2align	6
.LBB377_1113:                           ; =>This Inner Loop Header: Depth=1
	s_clause 0x1
	s_load_b64 s[10:11], s[4:5], 0x4
	s_load_b32 s14, s[4:5], 0xc
	s_load_b64 s[12:13], s[2:3], 0x0
	s_add_u32 s4, s4, 12
	s_addc_u32 s5, s5, 0
	s_add_u32 s2, s2, 8
	s_addc_u32 s3, s3, 0
	s_add_i32 s7, s7, -1
	s_delay_alu instid0(SALU_CYCLE_1) | instskip(SKIP_2) | instid1(VALU_DEP_1)
	s_cmp_lg_u32 s7, 0
	s_waitcnt lgkmcnt(0)
	v_mul_hi_u32 v9, s11, v7
	v_add_nc_u32_e32 v9, v7, v9
	s_delay_alu instid0(VALU_DEP_1) | instskip(NEXT) | instid1(VALU_DEP_1)
	v_lshrrev_b32_e32 v9, s14, v9
	v_mul_lo_u32 v11, v9, s10
	s_delay_alu instid0(VALU_DEP_1) | instskip(NEXT) | instid1(VALU_DEP_1)
	v_sub_nc_u32_e32 v7, v7, v11
	v_mad_u64_u32 v[11:12], null, v7, s12, v[0:1]
	s_delay_alu instid0(VALU_DEP_1) | instskip(SKIP_1) | instid1(VALU_DEP_2)
	v_mad_u64_u32 v[12:13], null, v7, s13, v[10:11]
	v_dual_mov_b32 v7, v9 :: v_dual_mov_b32 v0, v11
	v_mov_b32_e32 v10, v12
	s_cbranch_scc1 .LBB377_1113
.LBB377_1114:
	s_and_not1_b32 vcc_lo, exec_lo, s6
	s_cbranch_vccnz .LBB377_1117
; %bb.1115:
	s_clause 0x1
	s_load_b128 s[4:7], s[16:17], 0x4
	s_load_b64 s[2:3], s[16:17], 0xc4
	s_cmp_lt_u32 s26, 2
	s_waitcnt vmcnt(0) lgkmcnt(0)
	v_mul_hi_u32 v0, s5, v5
	s_delay_alu instid0(VALU_DEP_1) | instskip(NEXT) | instid1(VALU_DEP_1)
	v_add_nc_u32_e32 v0, v5, v0
	v_lshrrev_b32_e32 v7, s6, v0
	s_delay_alu instid0(VALU_DEP_1) | instskip(NEXT) | instid1(VALU_DEP_1)
	v_mul_lo_u32 v0, v7, s4
	v_sub_nc_u32_e32 v5, v5, v0
	s_delay_alu instid0(VALU_DEP_1)
	v_mul_lo_u32 v0, v5, s2
	v_mul_lo_u32 v10, v5, s3
	s_cbranch_scc1 .LBB377_1117
; %bb.1116:
	s_clause 0x1
	s_load_b128 s[4:7], s[16:17], 0x10
	s_load_b64 s[2:3], s[16:17], 0xcc
	s_waitcnt lgkmcnt(0)
	v_mul_hi_u32 v5, s5, v7
	s_delay_alu instid0(VALU_DEP_1) | instskip(NEXT) | instid1(VALU_DEP_1)
	v_add_nc_u32_e32 v5, v7, v5
	v_lshrrev_b32_e32 v5, s6, v5
	s_delay_alu instid0(VALU_DEP_1) | instskip(NEXT) | instid1(VALU_DEP_1)
	v_mul_lo_u32 v5, v5, s4
	v_sub_nc_u32_e32 v5, v7, v5
	s_delay_alu instid0(VALU_DEP_1) | instskip(NEXT) | instid1(VALU_DEP_1)
	v_mad_u64_u32 v[11:12], null, v5, s2, v[0:1]
	v_mad_u64_u32 v[12:13], null, v5, s3, v[10:11]
	v_mov_b32_e32 v0, v11
	s_delay_alu instid0(VALU_DEP_2)
	v_mov_b32_e32 v10, v12
.LBB377_1117:
	s_clause 0x1
	s_load_b32 s0, s[0:1], 0x168
	s_load_b128 s[4:7], s[16:17], 0x148
	s_waitcnt lgkmcnt(0)
	s_lshr_b32 s0, s0, 8
	s_delay_alu instid0(SALU_CYCLE_1) | instskip(SKIP_2) | instid1(VALU_DEP_1)
	v_and_b32_e64 v14, 0xff, s0
	s_waitcnt vmcnt(0)
	v_add_co_u32 v11, s0, s6, v4
	v_add_co_ci_u32_e64 v12, null, s7, 0, s0
	s_delay_alu instid0(VALU_DEP_3)
	v_cmp_gt_i16_e32 vcc_lo, 11, v14
	s_mov_b32 s0, 0
	s_cbranch_vccnz .LBB377_1124
; %bb.1118:
	v_cmp_lt_i16_e32 vcc_lo, 25, v14
	s_mov_b32 s3, 0
	s_cbranch_vccz .LBB377_1130
; %bb.1119:
	v_cmp_lt_i16_e32 vcc_lo, 28, v14
	s_cbranch_vccz .LBB377_1132
; %bb.1120:
	v_cmp_lt_i16_e32 vcc_lo, 43, v14
	;; [unrolled: 3-line block ×3, first 2 shown]
	s_cbranch_vccz .LBB377_1138
; %bb.1122:
	v_cmp_eq_u16_e32 vcc_lo, 46, v14
	s_mov_b32 s1, 0
	s_cbranch_vccz .LBB377_1180
; %bb.1123:
	global_load_b32 v4, v[11:12], off
	s_mov_b32 s2, 0
	s_mov_b32 s0, -1
	s_waitcnt vmcnt(0)
	v_lshlrev_b32_e32 v4, 16, v4
	s_delay_alu instid0(VALU_DEP_1) | instskip(NEXT) | instid1(VALU_DEP_1)
	v_trunc_f32_e32 v4, v4
	v_mul_f32_e64 v5, 0x2f800000, |v4|
	v_ashrrev_i32_e32 v9, 31, v4
	s_delay_alu instid0(VALU_DEP_2) | instskip(NEXT) | instid1(VALU_DEP_1)
	v_floor_f32_e32 v5, v5
	v_fma_f32 v7, 0xcf800000, v5, |v4|
	v_cvt_u32_f32_e32 v5, v5
	s_delay_alu instid0(VALU_DEP_2) | instskip(NEXT) | instid1(VALU_DEP_2)
	v_cvt_u32_f32_e32 v4, v7
	v_xor_b32_e32 v5, v5, v9
	s_delay_alu instid0(VALU_DEP_2) | instskip(NEXT) | instid1(VALU_DEP_1)
	v_xor_b32_e32 v4, v4, v9
	v_sub_co_u32 v4, vcc_lo, v4, v9
	s_delay_alu instid0(VALU_DEP_3)
	v_sub_co_ci_u32_e32 v5, vcc_lo, v5, v9, vcc_lo
	s_branch .LBB377_1182
.LBB377_1124:
	s_mov_b32 s10, s8
                                        ; implicit-def: $vgpr4_vgpr5
	s_cbranch_execz .LBB377_1240
; %bb.1125:
	v_cmp_gt_i16_e32 vcc_lo, 5, v14
	s_cbranch_vccnz .LBB377_1131
; %bb.1126:
	v_cmp_gt_i16_e32 vcc_lo, 8, v14
	s_cbranch_vccnz .LBB377_1133
	;; [unrolled: 3-line block ×3, first 2 shown]
; %bb.1128:
	v_cmp_lt_i16_e32 vcc_lo, 9, v14
	s_cbranch_vccz .LBB377_1139
; %bb.1129:
	global_load_b64 v[4:5], v[11:12], off
	s_mov_b32 s0, 0
	s_waitcnt vmcnt(0)
	v_trunc_f64_e32 v[4:5], v[4:5]
	s_delay_alu instid0(VALU_DEP_1) | instskip(NEXT) | instid1(VALU_DEP_1)
	v_ldexp_f64 v[15:16], v[4:5], 0xffffffe0
	v_floor_f64_e32 v[15:16], v[15:16]
	s_delay_alu instid0(VALU_DEP_1) | instskip(SKIP_1) | instid1(VALU_DEP_2)
	v_fma_f64 v[17:18], 0xc1f00000, v[15:16], v[4:5]
	v_cvt_i32_f64_e32 v5, v[15:16]
	v_cvt_u32_f64_e32 v4, v[17:18]
	s_branch .LBB377_1140
.LBB377_1130:
	s_mov_b32 s2, 0
                                        ; implicit-def: $vgpr4_vgpr5
	s_cbranch_execnz .LBB377_1209
	s_branch .LBB377_1236
.LBB377_1131:
                                        ; implicit-def: $vgpr4_vgpr5
	s_branch .LBB377_1157
.LBB377_1132:
	s_mov_b32 s2, 0
                                        ; implicit-def: $vgpr4_vgpr5
	s_cbranch_execz .LBB377_1208
	s_branch .LBB377_1191
.LBB377_1133:
                                        ; implicit-def: $vgpr4_vgpr5
	s_branch .LBB377_1146
.LBB377_1134:
	s_mov_b32 s2, 0
                                        ; implicit-def: $vgpr4_vgpr5
	s_cbranch_execnz .LBB377_1187
	s_branch .LBB377_1190
.LBB377_1135:
	s_mov_b32 s0, -1
                                        ; implicit-def: $vgpr4_vgpr5
	s_branch .LBB377_1143
.LBB377_1136:
	s_cbranch_execnz .LBB377_1178
; %bb.1137:
	s_or_b32 s3, s3, exec_lo
	s_and_not1_b32 s8, s8, exec_lo
	s_or_b32 exec_lo, exec_lo, s2
	s_and_saveexec_b32 s2, s8
	s_delay_alu instid0(SALU_CYCLE_1)
	s_xor_b32 s2, exec_lo, s2
	s_cbranch_execnz .LBB377_1024
	s_branch .LBB377_1025
.LBB377_1138:
	s_mov_b32 s1, -1
	s_mov_b32 s2, 0
	s_branch .LBB377_1181
.LBB377_1139:
	s_mov_b32 s0, -1
                                        ; implicit-def: $vgpr4_vgpr5
.LBB377_1140:
	s_delay_alu instid0(SALU_CYCLE_1)
	s_and_not1_b32 vcc_lo, exec_lo, s0
	s_cbranch_vccnz .LBB377_1142
; %bb.1141:
	global_load_b32 v4, v[11:12], off
	s_waitcnt vmcnt(0)
	v_trunc_f32_e32 v4, v4
	s_delay_alu instid0(VALU_DEP_1) | instskip(SKIP_1) | instid1(VALU_DEP_2)
	v_mul_f32_e64 v5, 0x2f800000, |v4|
	v_ashrrev_i32_e32 v9, 31, v4
	v_floor_f32_e32 v5, v5
	s_delay_alu instid0(VALU_DEP_1) | instskip(SKIP_1) | instid1(VALU_DEP_2)
	v_fma_f32 v7, 0xcf800000, v5, |v4|
	v_cvt_u32_f32_e32 v5, v5
	v_cvt_u32_f32_e32 v4, v7
	s_delay_alu instid0(VALU_DEP_2) | instskip(NEXT) | instid1(VALU_DEP_2)
	v_xor_b32_e32 v5, v5, v9
	v_xor_b32_e32 v4, v4, v9
	s_delay_alu instid0(VALU_DEP_1) | instskip(NEXT) | instid1(VALU_DEP_3)
	v_sub_co_u32 v4, vcc_lo, v4, v9
	v_sub_co_ci_u32_e32 v5, vcc_lo, v5, v9, vcc_lo
.LBB377_1142:
	s_mov_b32 s0, 0
.LBB377_1143:
	s_delay_alu instid0(SALU_CYCLE_1)
	s_and_not1_b32 vcc_lo, exec_lo, s0
	s_cbranch_vccnz .LBB377_1145
; %bb.1144:
	global_load_b32 v4, v[11:12], off
	s_waitcnt vmcnt(0)
	v_cvt_f32_f16_e32 v4, v4
	s_delay_alu instid0(VALU_DEP_1) | instskip(NEXT) | instid1(VALU_DEP_1)
	v_cvt_i32_f32_e32 v4, v4
	v_ashrrev_i32_e32 v5, 31, v4
.LBB377_1145:
	s_cbranch_execnz .LBB377_1156
.LBB377_1146:
	v_cmp_gt_i16_e32 vcc_lo, 6, v14
	s_cbranch_vccnz .LBB377_1149
; %bb.1147:
	v_cmp_lt_i16_e32 vcc_lo, 6, v14
	s_cbranch_vccz .LBB377_1150
; %bb.1148:
	global_load_b64 v[4:5], v[11:12], off
	s_mov_b32 s0, 0
	s_waitcnt vmcnt(0)
	v_trunc_f64_e32 v[4:5], v[4:5]
	s_delay_alu instid0(VALU_DEP_1) | instskip(NEXT) | instid1(VALU_DEP_1)
	v_ldexp_f64 v[15:16], v[4:5], 0xffffffe0
	v_floor_f64_e32 v[15:16], v[15:16]
	s_delay_alu instid0(VALU_DEP_1) | instskip(SKIP_1) | instid1(VALU_DEP_2)
	v_fma_f64 v[17:18], 0xc1f00000, v[15:16], v[4:5]
	v_cvt_i32_f64_e32 v5, v[15:16]
	v_cvt_u32_f64_e32 v4, v[17:18]
	s_branch .LBB377_1151
.LBB377_1149:
	s_mov_b32 s0, -1
                                        ; implicit-def: $vgpr4_vgpr5
	s_branch .LBB377_1154
.LBB377_1150:
	s_mov_b32 s0, -1
                                        ; implicit-def: $vgpr4_vgpr5
.LBB377_1151:
	s_delay_alu instid0(SALU_CYCLE_1)
	s_and_not1_b32 vcc_lo, exec_lo, s0
	s_cbranch_vccnz .LBB377_1153
; %bb.1152:
	global_load_b32 v4, v[11:12], off
	s_waitcnt vmcnt(0)
	v_trunc_f32_e32 v4, v4
	s_delay_alu instid0(VALU_DEP_1) | instskip(SKIP_1) | instid1(VALU_DEP_2)
	v_mul_f32_e64 v5, 0x2f800000, |v4|
	v_ashrrev_i32_e32 v9, 31, v4
	v_floor_f32_e32 v5, v5
	s_delay_alu instid0(VALU_DEP_1) | instskip(SKIP_1) | instid1(VALU_DEP_2)
	v_fma_f32 v7, 0xcf800000, v5, |v4|
	v_cvt_u32_f32_e32 v5, v5
	v_cvt_u32_f32_e32 v4, v7
	s_delay_alu instid0(VALU_DEP_2) | instskip(NEXT) | instid1(VALU_DEP_2)
	v_xor_b32_e32 v5, v5, v9
	v_xor_b32_e32 v4, v4, v9
	s_delay_alu instid0(VALU_DEP_1) | instskip(NEXT) | instid1(VALU_DEP_3)
	v_sub_co_u32 v4, vcc_lo, v4, v9
	v_sub_co_ci_u32_e32 v5, vcc_lo, v5, v9, vcc_lo
.LBB377_1153:
	s_mov_b32 s0, 0
.LBB377_1154:
	s_delay_alu instid0(SALU_CYCLE_1)
	s_and_not1_b32 vcc_lo, exec_lo, s0
	s_cbranch_vccnz .LBB377_1156
; %bb.1155:
	global_load_u16 v4, v[11:12], off
	s_waitcnt vmcnt(0)
	v_cvt_f32_f16_e32 v4, v4
	s_delay_alu instid0(VALU_DEP_1) | instskip(NEXT) | instid1(VALU_DEP_1)
	v_cvt_i32_f32_e32 v4, v4
	v_ashrrev_i32_e32 v5, 31, v4
.LBB377_1156:
	s_cbranch_execnz .LBB377_1175
.LBB377_1157:
	v_cmp_gt_i16_e32 vcc_lo, 2, v14
	s_cbranch_vccnz .LBB377_1161
; %bb.1158:
	v_cmp_gt_i16_e32 vcc_lo, 3, v14
	s_cbranch_vccnz .LBB377_1162
; %bb.1159:
	v_cmp_lt_i16_e32 vcc_lo, 3, v14
	s_cbranch_vccz .LBB377_1163
; %bb.1160:
	global_load_b64 v[4:5], v[11:12], off
	s_mov_b32 s0, 0
	s_branch .LBB377_1164
.LBB377_1161:
                                        ; implicit-def: $vgpr4_vgpr5
	s_branch .LBB377_1170
.LBB377_1162:
	s_mov_b32 s0, -1
                                        ; implicit-def: $vgpr4_vgpr5
	s_branch .LBB377_1167
.LBB377_1163:
	s_mov_b32 s0, -1
                                        ; implicit-def: $vgpr4_vgpr5
.LBB377_1164:
	s_delay_alu instid0(SALU_CYCLE_1)
	s_and_not1_b32 vcc_lo, exec_lo, s0
	s_cbranch_vccnz .LBB377_1166
; %bb.1165:
	global_load_b32 v4, v[11:12], off
	s_waitcnt vmcnt(0)
	v_ashrrev_i32_e32 v5, 31, v4
.LBB377_1166:
	s_mov_b32 s0, 0
.LBB377_1167:
	s_delay_alu instid0(SALU_CYCLE_1)
	s_and_not1_b32 vcc_lo, exec_lo, s0
	s_cbranch_vccnz .LBB377_1169
; %bb.1168:
	global_load_u16 v4, v[11:12], off
	s_waitcnt vmcnt(0)
	v_bfe_i32 v4, v4, 0, 16
	s_delay_alu instid0(VALU_DEP_1)
	v_ashrrev_i32_e32 v5, 31, v4
.LBB377_1169:
	s_cbranch_execnz .LBB377_1175
.LBB377_1170:
	v_cmp_lt_i16_e32 vcc_lo, 0, v14
	s_mov_b32 s0, 0
	s_cbranch_vccz .LBB377_1172
; %bb.1171:
	global_load_i8 v4, v[11:12], off
	s_waitcnt vmcnt(0)
	v_bfe_i32 v4, v4, 0, 16
	s_delay_alu instid0(VALU_DEP_1)
	v_ashrrev_i32_e32 v5, 31, v4
	s_branch .LBB377_1173
.LBB377_1172:
	s_mov_b32 s0, -1
                                        ; implicit-def: $vgpr4_vgpr5
.LBB377_1173:
	s_delay_alu instid0(SALU_CYCLE_1)
	s_and_not1_b32 vcc_lo, exec_lo, s0
	s_cbranch_vccnz .LBB377_1175
; %bb.1174:
	global_load_u8 v4, v[11:12], off
	s_mov_b32 s0, 0
	s_waitcnt vmcnt(0)
	v_dual_mov_b32 v5, s0 :: v_dual_and_b32 v4, 0xffff, v4
.LBB377_1175:
	s_branch .LBB377_1241
.LBB377_1176:
	s_trap 2
	s_sendmsg_rtn_b32 s0, sendmsg(MSG_RTN_GET_DOORBELL)
	s_mov_b32 ttmp2, m0
	s_waitcnt lgkmcnt(0)
	s_and_b32 s0, s0, 0x3ff
	s_delay_alu instid0(SALU_CYCLE_1) | instskip(NEXT) | instid1(SALU_CYCLE_1)
	s_bitset1_b32 s0, 10
	s_mov_b32 m0, s0
	s_sendmsg sendmsg(MSG_INTERRUPT)
	s_mov_b32 m0, ttmp2
.LBB377_1177:                           ; =>This Inner Loop Header: Depth=1
	s_sethalt 5
	s_branch .LBB377_1177
.LBB377_1178:
	s_trap 2
	s_sendmsg_rtn_b32 s0, sendmsg(MSG_RTN_GET_DOORBELL)
	s_mov_b32 ttmp2, m0
	s_waitcnt lgkmcnt(0)
	s_and_b32 s0, s0, 0x3ff
	s_delay_alu instid0(SALU_CYCLE_1) | instskip(NEXT) | instid1(SALU_CYCLE_1)
	s_bitset1_b32 s0, 10
	s_mov_b32 m0, s0
	s_sendmsg sendmsg(MSG_INTERRUPT)
	s_mov_b32 m0, ttmp2
.LBB377_1179:                           ; =>This Inner Loop Header: Depth=1
	s_sethalt 5
	s_branch .LBB377_1179
.LBB377_1180:
	s_mov_b32 s2, -1
.LBB377_1181:
                                        ; implicit-def: $vgpr4_vgpr5
.LBB377_1182:
	s_and_b32 vcc_lo, exec_lo, s1
	s_cbranch_vccz .LBB377_1185
; %bb.1183:
	v_cmp_eq_u16_e32 vcc_lo, 44, v14
	s_cbranch_vccz .LBB377_1186
; %bb.1184:
	global_load_u8 v4, v[11:12], off
	s_mov_b32 s2, 0
	s_mov_b32 s0, -1
	s_waitcnt vmcnt(0)
	v_lshlrev_b32_e32 v5, 23, v4
	s_delay_alu instid0(VALU_DEP_1) | instskip(NEXT) | instid1(VALU_DEP_1)
	v_trunc_f32_e32 v5, v5
	v_mul_f32_e64 v7, 0x2f800000, |v5|
	s_delay_alu instid0(VALU_DEP_1) | instskip(NEXT) | instid1(VALU_DEP_1)
	v_floor_f32_e32 v7, v7
	v_fma_f32 v9, 0xcf800000, v7, |v5|
	v_ashrrev_i32_e32 v5, 31, v5
	v_cvt_u32_f32_e32 v7, v7
	s_delay_alu instid0(VALU_DEP_3) | instskip(NEXT) | instid1(VALU_DEP_2)
	v_cvt_u32_f32_e32 v9, v9
	v_xor_b32_e32 v7, v7, v5
	s_delay_alu instid0(VALU_DEP_2) | instskip(NEXT) | instid1(VALU_DEP_1)
	v_xor_b32_e32 v9, v9, v5
	v_sub_co_u32 v9, vcc_lo, v9, v5
	s_delay_alu instid0(VALU_DEP_3) | instskip(SKIP_1) | instid1(VALU_DEP_3)
	v_sub_co_ci_u32_e32 v5, vcc_lo, v7, v5, vcc_lo
	v_cmp_ne_u32_e32 vcc_lo, 0, v4
	v_cndmask_b32_e32 v4, 0, v9, vcc_lo
	s_delay_alu instid0(VALU_DEP_3)
	v_cndmask_b32_e32 v5, 0, v5, vcc_lo
.LBB377_1185:
	s_branch .LBB377_1190
.LBB377_1186:
	s_mov_b32 s2, -1
                                        ; implicit-def: $vgpr4_vgpr5
	s_branch .LBB377_1190
.LBB377_1187:
	v_cmp_eq_u16_e32 vcc_lo, 29, v14
	s_cbranch_vccz .LBB377_1189
; %bb.1188:
	global_load_b64 v[4:5], v[11:12], off
	s_mov_b32 s2, 0
	s_mov_b32 s0, -1
	s_branch .LBB377_1190
.LBB377_1189:
	s_mov_b32 s2, -1
                                        ; implicit-def: $vgpr4_vgpr5
.LBB377_1190:
	s_branch .LBB377_1208
.LBB377_1191:
	v_cmp_gt_i16_e32 vcc_lo, 27, v14
	s_cbranch_vccnz .LBB377_1194
; %bb.1192:
	v_cmp_lt_i16_e32 vcc_lo, 27, v14
	s_cbranch_vccz .LBB377_1195
; %bb.1193:
	global_load_b32 v4, v[11:12], off
	s_waitcnt vmcnt(1)
	v_mov_b32_e32 v5, 0
	s_mov_b32 s0, 0
	s_branch .LBB377_1196
.LBB377_1194:
	s_mov_b32 s0, -1
                                        ; implicit-def: $vgpr4_vgpr5
	s_branch .LBB377_1199
.LBB377_1195:
	s_mov_b32 s0, -1
                                        ; implicit-def: $vgpr4_vgpr5
.LBB377_1196:
	s_delay_alu instid0(SALU_CYCLE_1)
	s_and_not1_b32 vcc_lo, exec_lo, s0
	s_cbranch_vccnz .LBB377_1198
; %bb.1197:
	global_load_u16 v4, v[11:12], off
	s_mov_b32 s0, 0
	s_waitcnt vmcnt(0)
	v_dual_mov_b32 v5, s0 :: v_dual_and_b32 v4, 0xffff, v4
.LBB377_1198:
	s_mov_b32 s0, 0
.LBB377_1199:
	s_delay_alu instid0(SALU_CYCLE_1)
	s_and_not1_b32 vcc_lo, exec_lo, s0
	s_cbranch_vccnz .LBB377_1207
; %bb.1200:
	global_load_u8 v7, v[11:12], off
	s_mov_b32 s10, 0
	s_mov_b32 s11, exec_lo
                                        ; implicit-def: $sgpr0_sgpr1
	s_waitcnt vmcnt(0)
	v_cmpx_lt_i16_e32 0x7f, v7
	s_xor_b32 s11, exec_lo, s11
; %bb.1201:
	v_cmp_ne_u16_e32 vcc_lo, 0x80, v7
	s_mov_b64 s[0:1], 0
	s_and_b32 s10, vcc_lo, exec_lo
; %bb.1202:
	s_or_saveexec_b32 s11, s11
	v_dual_mov_b32 v5, s1 :: v_dual_mov_b32 v4, s0
	s_xor_b32 exec_lo, exec_lo, s11
; %bb.1203:
	v_cmp_ne_u16_e32 vcc_lo, 0, v7
	v_mov_b32_e32 v4, 0
	v_mov_b32_e32 v5, 0
	s_and_not1_b32 s0, s10, exec_lo
	s_and_b32 s1, vcc_lo, exec_lo
	s_delay_alu instid0(SALU_CYCLE_1)
	s_or_b32 s10, s0, s1
; %bb.1204:
	s_or_b32 exec_lo, exec_lo, s11
	s_and_saveexec_b32 s0, s10
	s_cbranch_execz .LBB377_1206
; %bb.1205:
	v_and_b32_e32 v4, 0xffff, v7
	v_lshlrev_b32_e32 v7, 24, v7
	s_delay_alu instid0(VALU_DEP_2) | instskip(NEXT) | instid1(VALU_DEP_2)
	v_and_b32_e32 v5, 7, v4
	v_and_b32_e32 v7, 0x80000000, v7
	s_delay_alu instid0(VALU_DEP_2) | instskip(NEXT) | instid1(VALU_DEP_1)
	v_clz_i32_u32_e32 v9, v5
	v_min_u32_e32 v9, 32, v9
	s_delay_alu instid0(VALU_DEP_1) | instskip(SKIP_1) | instid1(VALU_DEP_2)
	v_subrev_nc_u32_e32 v13, 28, v9
	v_sub_nc_u32_e32 v9, 29, v9
	v_lshlrev_b32_e32 v13, v13, v4
	v_bfe_u32 v4, v4, 3, 4
	s_delay_alu instid0(VALU_DEP_2) | instskip(NEXT) | instid1(VALU_DEP_2)
	v_and_b32_e32 v13, 7, v13
	v_cmp_eq_u32_e32 vcc_lo, 0, v4
	v_cndmask_b32_e32 v4, v4, v9, vcc_lo
	s_delay_alu instid0(VALU_DEP_3) | instskip(NEXT) | instid1(VALU_DEP_2)
	v_cndmask_b32_e32 v5, v5, v13, vcc_lo
	v_lshl_add_u32 v4, v4, 23, 0x3b800000
	s_delay_alu instid0(VALU_DEP_2) | instskip(NEXT) | instid1(VALU_DEP_1)
	v_lshlrev_b32_e32 v5, 20, v5
	v_or3_b32 v4, v7, v4, v5
	s_delay_alu instid0(VALU_DEP_1) | instskip(NEXT) | instid1(VALU_DEP_1)
	v_trunc_f32_e32 v4, v4
	v_mul_f32_e64 v5, 0x2f800000, |v4|
	v_ashrrev_i32_e32 v9, 31, v4
	s_delay_alu instid0(VALU_DEP_2) | instskip(NEXT) | instid1(VALU_DEP_1)
	v_floor_f32_e32 v5, v5
	v_fma_f32 v7, 0xcf800000, v5, |v4|
	v_cvt_u32_f32_e32 v5, v5
	s_delay_alu instid0(VALU_DEP_2) | instskip(NEXT) | instid1(VALU_DEP_2)
	v_cvt_u32_f32_e32 v4, v7
	v_xor_b32_e32 v5, v5, v9
	s_delay_alu instid0(VALU_DEP_2) | instskip(NEXT) | instid1(VALU_DEP_1)
	v_xor_b32_e32 v4, v4, v9
	v_sub_co_u32 v4, vcc_lo, v4, v9
	s_delay_alu instid0(VALU_DEP_3)
	v_sub_co_ci_u32_e32 v5, vcc_lo, v5, v9, vcc_lo
.LBB377_1206:
	s_or_b32 exec_lo, exec_lo, s0
.LBB377_1207:
	s_mov_b32 s0, -1
.LBB377_1208:
	s_branch .LBB377_1236
.LBB377_1209:
	v_cmp_lt_i16_e32 vcc_lo, 22, v14
	s_cbranch_vccz .LBB377_1219
; %bb.1210:
	v_cmp_gt_i16_e32 vcc_lo, 24, v14
	s_cbranch_vccnz .LBB377_1220
; %bb.1211:
	v_cmp_lt_i16_e32 vcc_lo, 24, v14
	s_cbranch_vccz .LBB377_1221
; %bb.1212:
	global_load_u8 v7, v[11:12], off
	s_mov_b32 s10, exec_lo
                                        ; implicit-def: $sgpr0_sgpr1
	s_waitcnt vmcnt(0)
	v_cmpx_lt_i16_e32 0x7f, v7
	s_xor_b32 s10, exec_lo, s10
; %bb.1213:
	v_cmp_ne_u16_e32 vcc_lo, 0x80, v7
	s_mov_b64 s[0:1], 0
	s_and_b32 s3, vcc_lo, exec_lo
; %bb.1214:
	s_or_saveexec_b32 s10, s10
	v_dual_mov_b32 v5, s1 :: v_dual_mov_b32 v4, s0
	s_xor_b32 exec_lo, exec_lo, s10
; %bb.1215:
	v_cmp_ne_u16_e32 vcc_lo, 0, v7
	v_mov_b32_e32 v4, 0
	v_mov_b32_e32 v5, 0
	s_and_not1_b32 s0, s3, exec_lo
	s_and_b32 s1, vcc_lo, exec_lo
	s_delay_alu instid0(SALU_CYCLE_1)
	s_or_b32 s3, s0, s1
; %bb.1216:
	s_or_b32 exec_lo, exec_lo, s10
	s_and_saveexec_b32 s0, s3
	s_cbranch_execz .LBB377_1218
; %bb.1217:
	v_and_b32_e32 v4, 0xffff, v7
	v_lshlrev_b32_e32 v7, 24, v7
	s_delay_alu instid0(VALU_DEP_2) | instskip(NEXT) | instid1(VALU_DEP_2)
	v_and_b32_e32 v5, 3, v4
	v_and_b32_e32 v7, 0x80000000, v7
	s_delay_alu instid0(VALU_DEP_2) | instskip(NEXT) | instid1(VALU_DEP_1)
	v_clz_i32_u32_e32 v9, v5
	v_min_u32_e32 v9, 32, v9
	s_delay_alu instid0(VALU_DEP_1) | instskip(SKIP_1) | instid1(VALU_DEP_2)
	v_subrev_nc_u32_e32 v13, 29, v9
	v_sub_nc_u32_e32 v9, 30, v9
	v_lshlrev_b32_e32 v13, v13, v4
	v_bfe_u32 v4, v4, 2, 5
	s_delay_alu instid0(VALU_DEP_2) | instskip(NEXT) | instid1(VALU_DEP_2)
	v_and_b32_e32 v13, 3, v13
	v_cmp_eq_u32_e32 vcc_lo, 0, v4
	v_cndmask_b32_e32 v4, v4, v9, vcc_lo
	s_delay_alu instid0(VALU_DEP_3) | instskip(NEXT) | instid1(VALU_DEP_2)
	v_cndmask_b32_e32 v5, v5, v13, vcc_lo
	v_lshl_add_u32 v4, v4, 23, 0x37800000
	s_delay_alu instid0(VALU_DEP_2) | instskip(NEXT) | instid1(VALU_DEP_1)
	v_lshlrev_b32_e32 v5, 21, v5
	v_or3_b32 v4, v7, v4, v5
	s_delay_alu instid0(VALU_DEP_1) | instskip(NEXT) | instid1(VALU_DEP_1)
	v_trunc_f32_e32 v4, v4
	v_mul_f32_e64 v5, 0x2f800000, |v4|
	v_ashrrev_i32_e32 v9, 31, v4
	s_delay_alu instid0(VALU_DEP_2) | instskip(NEXT) | instid1(VALU_DEP_1)
	v_floor_f32_e32 v5, v5
	v_fma_f32 v7, 0xcf800000, v5, |v4|
	v_cvt_u32_f32_e32 v5, v5
	s_delay_alu instid0(VALU_DEP_2) | instskip(NEXT) | instid1(VALU_DEP_2)
	v_cvt_u32_f32_e32 v4, v7
	v_xor_b32_e32 v5, v5, v9
	s_delay_alu instid0(VALU_DEP_2) | instskip(NEXT) | instid1(VALU_DEP_1)
	v_xor_b32_e32 v4, v4, v9
	v_sub_co_u32 v4, vcc_lo, v4, v9
	s_delay_alu instid0(VALU_DEP_3)
	v_sub_co_ci_u32_e32 v5, vcc_lo, v5, v9, vcc_lo
.LBB377_1218:
	s_or_b32 exec_lo, exec_lo, s0
	s_mov_b32 s0, 0
	s_branch .LBB377_1222
.LBB377_1219:
                                        ; implicit-def: $vgpr4_vgpr5
	s_mov_b32 s3, 0
	s_branch .LBB377_1228
.LBB377_1220:
	s_mov_b32 s0, -1
                                        ; implicit-def: $vgpr4_vgpr5
	s_branch .LBB377_1225
.LBB377_1221:
	s_mov_b32 s0, -1
                                        ; implicit-def: $vgpr4_vgpr5
.LBB377_1222:
	s_delay_alu instid0(SALU_CYCLE_1)
	s_and_b32 vcc_lo, exec_lo, s0
	s_cbranch_vccz .LBB377_1224
; %bb.1223:
	global_load_u8 v4, v[11:12], off
	s_waitcnt vmcnt(0)
	v_lshlrev_b32_e32 v4, 24, v4
	s_delay_alu instid0(VALU_DEP_1) | instskip(NEXT) | instid1(VALU_DEP_1)
	v_and_b32_e32 v5, 0x7f000000, v4
	v_clz_i32_u32_e32 v7, v5
	v_add_nc_u32_e32 v13, 0x1000000, v5
	v_cmp_ne_u32_e32 vcc_lo, 0, v5
	s_delay_alu instid0(VALU_DEP_3) | instskip(NEXT) | instid1(VALU_DEP_1)
	v_min_u32_e32 v7, 32, v7
	v_sub_nc_u32_e64 v7, v7, 4 clamp
	s_delay_alu instid0(VALU_DEP_1) | instskip(SKIP_1) | instid1(VALU_DEP_2)
	v_lshlrev_b32_e32 v9, v7, v5
	v_lshlrev_b32_e32 v7, 23, v7
	v_lshrrev_b32_e32 v9, 4, v9
	s_delay_alu instid0(VALU_DEP_1) | instskip(SKIP_1) | instid1(VALU_DEP_2)
	v_sub_nc_u32_e32 v7, v9, v7
	v_ashrrev_i32_e32 v9, 8, v13
	v_add_nc_u32_e32 v7, 0x3c000000, v7
	s_delay_alu instid0(VALU_DEP_1) | instskip(NEXT) | instid1(VALU_DEP_1)
	v_and_or_b32 v7, 0x7f800000, v9, v7
	v_cndmask_b32_e32 v5, 0, v7, vcc_lo
	s_delay_alu instid0(VALU_DEP_1) | instskip(NEXT) | instid1(VALU_DEP_1)
	v_and_or_b32 v4, 0x80000000, v4, v5
	v_trunc_f32_e32 v4, v4
	s_delay_alu instid0(VALU_DEP_1) | instskip(SKIP_1) | instid1(VALU_DEP_2)
	v_mul_f32_e64 v5, 0x2f800000, |v4|
	v_ashrrev_i32_e32 v9, 31, v4
	v_floor_f32_e32 v5, v5
	s_delay_alu instid0(VALU_DEP_1) | instskip(SKIP_1) | instid1(VALU_DEP_2)
	v_fma_f32 v7, 0xcf800000, v5, |v4|
	v_cvt_u32_f32_e32 v5, v5
	v_cvt_u32_f32_e32 v4, v7
	s_delay_alu instid0(VALU_DEP_2) | instskip(NEXT) | instid1(VALU_DEP_2)
	v_xor_b32_e32 v5, v5, v9
	v_xor_b32_e32 v4, v4, v9
	s_delay_alu instid0(VALU_DEP_1) | instskip(NEXT) | instid1(VALU_DEP_3)
	v_sub_co_u32 v4, vcc_lo, v4, v9
	v_sub_co_ci_u32_e32 v5, vcc_lo, v5, v9, vcc_lo
.LBB377_1224:
	s_mov_b32 s0, 0
.LBB377_1225:
	s_delay_alu instid0(SALU_CYCLE_1)
	s_and_not1_b32 vcc_lo, exec_lo, s0
	s_cbranch_vccnz .LBB377_1227
; %bb.1226:
	global_load_u8 v4, v[11:12], off
	s_waitcnt vmcnt(0)
	v_lshlrev_b32_e32 v5, 25, v4
	v_lshlrev_b16 v4, 8, v4
	s_delay_alu instid0(VALU_DEP_2) | instskip(NEXT) | instid1(VALU_DEP_2)
	v_lshrrev_b32_e32 v7, 4, v5
	v_and_or_b32 v9, 0x7f00, v4, 0.5
	v_cmp_gt_u32_e32 vcc_lo, 0x8000000, v5
	v_bfe_i32 v4, v4, 0, 16
	s_delay_alu instid0(VALU_DEP_4) | instskip(NEXT) | instid1(VALU_DEP_4)
	v_or_b32_e32 v7, 0x70000000, v7
	v_add_f32_e32 v9, -0.5, v9
	s_delay_alu instid0(VALU_DEP_2) | instskip(NEXT) | instid1(VALU_DEP_1)
	v_mul_f32_e32 v7, 0x7800000, v7
	v_cndmask_b32_e32 v5, v7, v9, vcc_lo
	s_delay_alu instid0(VALU_DEP_1) | instskip(NEXT) | instid1(VALU_DEP_1)
	v_and_or_b32 v4, 0x80000000, v4, v5
	v_trunc_f32_e32 v4, v4
	s_delay_alu instid0(VALU_DEP_1) | instskip(SKIP_1) | instid1(VALU_DEP_2)
	v_mul_f32_e64 v5, 0x2f800000, |v4|
	v_ashrrev_i32_e32 v9, 31, v4
	v_floor_f32_e32 v5, v5
	s_delay_alu instid0(VALU_DEP_1) | instskip(SKIP_1) | instid1(VALU_DEP_2)
	v_fma_f32 v7, 0xcf800000, v5, |v4|
	v_cvt_u32_f32_e32 v5, v5
	v_cvt_u32_f32_e32 v4, v7
	s_delay_alu instid0(VALU_DEP_2) | instskip(NEXT) | instid1(VALU_DEP_2)
	v_xor_b32_e32 v5, v5, v9
	v_xor_b32_e32 v4, v4, v9
	s_delay_alu instid0(VALU_DEP_1) | instskip(NEXT) | instid1(VALU_DEP_3)
	v_sub_co_u32 v4, vcc_lo, v4, v9
	v_sub_co_ci_u32_e32 v5, vcc_lo, v5, v9, vcc_lo
.LBB377_1227:
	s_mov_b32 s0, -1
	s_mov_b32 s3, 0
	s_cbranch_execnz .LBB377_1236
.LBB377_1228:
	v_cmp_lt_i16_e32 vcc_lo, 14, v14
	s_cbranch_vccz .LBB377_1231
; %bb.1229:
	v_cmp_eq_u16_e32 vcc_lo, 15, v14
	s_cbranch_vccz .LBB377_1232
; %bb.1230:
	global_load_u16 v4, v[11:12], off
	s_mov_b32 s2, 0
	s_mov_b32 s0, -1
	s_waitcnt vmcnt(0)
	v_lshlrev_b32_e32 v4, 16, v4
	s_delay_alu instid0(VALU_DEP_1) | instskip(NEXT) | instid1(VALU_DEP_1)
	v_trunc_f32_e32 v4, v4
	v_mul_f32_e64 v5, 0x2f800000, |v4|
	v_ashrrev_i32_e32 v9, 31, v4
	s_delay_alu instid0(VALU_DEP_2) | instskip(NEXT) | instid1(VALU_DEP_1)
	v_floor_f32_e32 v5, v5
	v_fma_f32 v7, 0xcf800000, v5, |v4|
	v_cvt_u32_f32_e32 v5, v5
	s_delay_alu instid0(VALU_DEP_2) | instskip(NEXT) | instid1(VALU_DEP_2)
	v_cvt_u32_f32_e32 v4, v7
	v_xor_b32_e32 v5, v5, v9
	s_delay_alu instid0(VALU_DEP_2) | instskip(NEXT) | instid1(VALU_DEP_1)
	v_xor_b32_e32 v4, v4, v9
	v_sub_co_u32 v4, vcc_lo, v4, v9
	s_delay_alu instid0(VALU_DEP_3)
	v_sub_co_ci_u32_e32 v5, vcc_lo, v5, v9, vcc_lo
	s_branch .LBB377_1233
.LBB377_1231:
	s_mov_b32 s1, -1
                                        ; implicit-def: $vgpr4_vgpr5
	s_branch .LBB377_1234
.LBB377_1232:
	s_mov_b32 s2, -1
                                        ; implicit-def: $vgpr4_vgpr5
.LBB377_1233:
	s_mov_b32 s1, 0
.LBB377_1234:
	s_delay_alu instid0(SALU_CYCLE_1)
	s_and_b32 vcc_lo, exec_lo, s1
	s_cbranch_vccz .LBB377_1236
; %bb.1235:
	v_cmp_ne_u16_e64 s2, 11, v14
	s_mov_b32 s3, -1
                                        ; implicit-def: $vgpr4_vgpr5
.LBB377_1236:
	s_delay_alu instid0(VALU_DEP_1)
	s_and_b32 vcc_lo, exec_lo, s2
	s_mov_b32 s10, s8
	s_cbranch_vccnz .LBB377_1260
; %bb.1237:
	s_and_not1_b32 vcc_lo, exec_lo, s3
	s_cbranch_vccnz .LBB377_1239
.LBB377_1238:
	global_load_u8 v4, v[11:12], off
	s_mov_b32 s0, 0
	s_waitcnt vmcnt(1)
	v_mov_b32_e32 v5, s0
	s_mov_b32 s0, -1
	s_waitcnt vmcnt(0)
	v_cmp_ne_u16_e32 vcc_lo, 0, v4
	v_cndmask_b32_e64 v4, 0, 1, vcc_lo
.LBB377_1239:
.LBB377_1240:
	s_and_not1_b32 vcc_lo, exec_lo, s0
	s_cbranch_vccnz .LBB377_2020
.LBB377_1241:
	v_cmp_gt_i16_e32 vcc_lo, 11, v14
	v_add_co_u32 v11, s0, s6, v6
	s_delay_alu instid0(VALU_DEP_1)
	v_add_co_ci_u32_e64 v12, null, s7, 0, s0
	s_mov_b32 s0, 0
	s_cbranch_vccnz .LBB377_1248
; %bb.1242:
	v_cmp_lt_i16_e32 vcc_lo, 25, v14
	s_mov_b32 s3, 0
	s_cbranch_vccz .LBB377_1254
; %bb.1243:
	v_cmp_lt_i16_e32 vcc_lo, 28, v14
	s_cbranch_vccz .LBB377_1256
; %bb.1244:
	v_cmp_lt_i16_e32 vcc_lo, 43, v14
	;; [unrolled: 3-line block ×3, first 2 shown]
	s_cbranch_vccz .LBB377_1264
; %bb.1246:
	v_cmp_eq_u16_e32 vcc_lo, 46, v14
	s_mov_b32 s1, 0
	s_cbranch_vccz .LBB377_1308
; %bb.1247:
	global_load_b32 v6, v[11:12], off
	s_mov_b32 s2, 0
	s_mov_b32 s0, -1
	s_waitcnt vmcnt(0)
	v_lshlrev_b32_e32 v6, 16, v6
	s_delay_alu instid0(VALU_DEP_1) | instskip(NEXT) | instid1(VALU_DEP_1)
	v_trunc_f32_e32 v6, v6
	v_mul_f32_e64 v7, 0x2f800000, |v6|
	v_ashrrev_i32_e32 v13, 31, v6
	s_delay_alu instid0(VALU_DEP_2) | instskip(NEXT) | instid1(VALU_DEP_1)
	v_floor_f32_e32 v7, v7
	v_fma_f32 v9, 0xcf800000, v7, |v6|
	v_cvt_u32_f32_e32 v7, v7
	s_delay_alu instid0(VALU_DEP_2) | instskip(NEXT) | instid1(VALU_DEP_2)
	v_cvt_u32_f32_e32 v6, v9
	v_xor_b32_e32 v7, v7, v13
	s_delay_alu instid0(VALU_DEP_2) | instskip(NEXT) | instid1(VALU_DEP_1)
	v_xor_b32_e32 v6, v6, v13
	v_sub_co_u32 v6, vcc_lo, v6, v13
	s_delay_alu instid0(VALU_DEP_3)
	v_sub_co_ci_u32_e32 v7, vcc_lo, v7, v13, vcc_lo
	s_branch .LBB377_1310
.LBB377_1248:
                                        ; implicit-def: $vgpr6_vgpr7
	s_cbranch_execz .LBB377_1371
; %bb.1249:
	v_cmp_gt_i16_e32 vcc_lo, 5, v14
	s_cbranch_vccnz .LBB377_1255
; %bb.1250:
	v_cmp_gt_i16_e32 vcc_lo, 8, v14
	s_cbranch_vccnz .LBB377_1257
	;; [unrolled: 3-line block ×3, first 2 shown]
; %bb.1252:
	v_cmp_lt_i16_e32 vcc_lo, 9, v14
	s_cbranch_vccz .LBB377_1265
; %bb.1253:
	global_load_b64 v[6:7], v[11:12], off
	s_mov_b32 s0, 0
	s_waitcnt vmcnt(0)
	v_trunc_f64_e32 v[6:7], v[6:7]
	s_delay_alu instid0(VALU_DEP_1) | instskip(NEXT) | instid1(VALU_DEP_1)
	v_ldexp_f64 v[15:16], v[6:7], 0xffffffe0
	v_floor_f64_e32 v[15:16], v[15:16]
	s_delay_alu instid0(VALU_DEP_1) | instskip(SKIP_1) | instid1(VALU_DEP_2)
	v_fma_f64 v[17:18], 0xc1f00000, v[15:16], v[6:7]
	v_cvt_i32_f64_e32 v7, v[15:16]
	v_cvt_u32_f64_e32 v6, v[17:18]
	s_branch .LBB377_1266
.LBB377_1254:
	s_mov_b32 s2, 0
                                        ; implicit-def: $vgpr6_vgpr7
	s_cbranch_execnz .LBB377_1339
	s_branch .LBB377_1367
.LBB377_1255:
                                        ; implicit-def: $vgpr6_vgpr7
	s_branch .LBB377_1284
.LBB377_1256:
	s_mov_b32 s1, -1
	s_mov_b32 s2, 0
                                        ; implicit-def: $vgpr6_vgpr7
	s_branch .LBB377_1320
.LBB377_1257:
	s_mov_b32 s0, -1
                                        ; implicit-def: $vgpr6_vgpr7
	s_branch .LBB377_1272
.LBB377_1258:
	s_mov_b32 s1, -1
	s_mov_b32 s2, 0
                                        ; implicit-def: $vgpr6_vgpr7
	s_branch .LBB377_1315
.LBB377_1259:
	s_mov_b32 s0, -1
                                        ; implicit-def: $vgpr6_vgpr7
	s_branch .LBB377_1269
.LBB377_1260:
	s_cbranch_execnz .LBB377_1304
; %bb.1261:
	s_or_b32 s10, s8, exec_lo
                                        ; implicit-def: $vgpr4_vgpr5
	s_cbranch_execz .LBB377_1238
	s_branch .LBB377_1239
.LBB377_1262:
	s_or_saveexec_b32 s7, s7
                                        ; implicit-def: $sgpr8
	s_delay_alu instid0(SALU_CYCLE_1)
	s_xor_b32 exec_lo, exec_lo, s7
	s_cbranch_execz .LBB377_975
.LBB377_1263:
	v_add_f32_e64 v5, 0x46000000, |v0|
	s_and_not1_b32 s5, s5, exec_lo
	s_mov_b32 s8, 0
	s_delay_alu instid0(VALU_DEP_1) | instskip(NEXT) | instid1(VALU_DEP_1)
	v_and_b32_e32 v5, 0xff, v5
	v_cmp_ne_u32_e32 vcc_lo, 0, v5
	s_and_b32 s9, vcc_lo, exec_lo
	s_delay_alu instid0(SALU_CYCLE_1)
	s_or_b32 s5, s5, s9
	s_or_b32 exec_lo, exec_lo, s7
	v_mov_b32_e32 v6, s8
	s_and_saveexec_b32 s7, s5
	s_cbranch_execnz .LBB377_976
	s_branch .LBB377_977
.LBB377_1264:
	s_mov_b32 s1, -1
	s_mov_b32 s2, 0
	s_branch .LBB377_1309
.LBB377_1265:
	s_mov_b32 s0, -1
                                        ; implicit-def: $vgpr6_vgpr7
.LBB377_1266:
	s_delay_alu instid0(SALU_CYCLE_1)
	s_and_not1_b32 vcc_lo, exec_lo, s0
	s_cbranch_vccnz .LBB377_1268
; %bb.1267:
	global_load_b32 v6, v[11:12], off
	s_waitcnt vmcnt(0)
	v_trunc_f32_e32 v6, v6
	s_delay_alu instid0(VALU_DEP_1) | instskip(SKIP_1) | instid1(VALU_DEP_2)
	v_mul_f32_e64 v7, 0x2f800000, |v6|
	v_ashrrev_i32_e32 v13, 31, v6
	v_floor_f32_e32 v7, v7
	s_delay_alu instid0(VALU_DEP_1) | instskip(SKIP_1) | instid1(VALU_DEP_2)
	v_fma_f32 v9, 0xcf800000, v7, |v6|
	v_cvt_u32_f32_e32 v7, v7
	v_cvt_u32_f32_e32 v6, v9
	s_delay_alu instid0(VALU_DEP_2) | instskip(NEXT) | instid1(VALU_DEP_2)
	v_xor_b32_e32 v7, v7, v13
	v_xor_b32_e32 v6, v6, v13
	s_delay_alu instid0(VALU_DEP_1) | instskip(NEXT) | instid1(VALU_DEP_3)
	v_sub_co_u32 v6, vcc_lo, v6, v13
	v_sub_co_ci_u32_e32 v7, vcc_lo, v7, v13, vcc_lo
.LBB377_1268:
	s_mov_b32 s0, 0
.LBB377_1269:
	s_delay_alu instid0(SALU_CYCLE_1)
	s_and_not1_b32 vcc_lo, exec_lo, s0
	s_cbranch_vccnz .LBB377_1271
; %bb.1270:
	global_load_b32 v6, v[11:12], off
	s_waitcnt vmcnt(0)
	v_cvt_f32_f16_e32 v6, v6
	s_delay_alu instid0(VALU_DEP_1) | instskip(NEXT) | instid1(VALU_DEP_1)
	v_cvt_i32_f32_e32 v6, v6
	v_ashrrev_i32_e32 v7, 31, v6
.LBB377_1271:
	s_mov_b32 s0, 0
.LBB377_1272:
	s_delay_alu instid0(SALU_CYCLE_1)
	s_and_not1_b32 vcc_lo, exec_lo, s0
	s_cbranch_vccnz .LBB377_1283
; %bb.1273:
	v_cmp_gt_i16_e32 vcc_lo, 6, v14
	s_cbranch_vccnz .LBB377_1276
; %bb.1274:
	v_cmp_lt_i16_e32 vcc_lo, 6, v14
	s_cbranch_vccz .LBB377_1277
; %bb.1275:
	global_load_b64 v[6:7], v[11:12], off
	s_mov_b32 s0, 0
	s_waitcnt vmcnt(0)
	v_trunc_f64_e32 v[6:7], v[6:7]
	s_delay_alu instid0(VALU_DEP_1) | instskip(NEXT) | instid1(VALU_DEP_1)
	v_ldexp_f64 v[15:16], v[6:7], 0xffffffe0
	v_floor_f64_e32 v[15:16], v[15:16]
	s_delay_alu instid0(VALU_DEP_1) | instskip(SKIP_1) | instid1(VALU_DEP_2)
	v_fma_f64 v[17:18], 0xc1f00000, v[15:16], v[6:7]
	v_cvt_i32_f64_e32 v7, v[15:16]
	v_cvt_u32_f64_e32 v6, v[17:18]
	s_branch .LBB377_1278
.LBB377_1276:
	s_mov_b32 s0, -1
                                        ; implicit-def: $vgpr6_vgpr7
	s_branch .LBB377_1281
.LBB377_1277:
	s_mov_b32 s0, -1
                                        ; implicit-def: $vgpr6_vgpr7
.LBB377_1278:
	s_delay_alu instid0(SALU_CYCLE_1)
	s_and_not1_b32 vcc_lo, exec_lo, s0
	s_cbranch_vccnz .LBB377_1280
; %bb.1279:
	global_load_b32 v6, v[11:12], off
	s_waitcnt vmcnt(0)
	v_trunc_f32_e32 v6, v6
	s_delay_alu instid0(VALU_DEP_1) | instskip(SKIP_1) | instid1(VALU_DEP_2)
	v_mul_f32_e64 v7, 0x2f800000, |v6|
	v_ashrrev_i32_e32 v13, 31, v6
	v_floor_f32_e32 v7, v7
	s_delay_alu instid0(VALU_DEP_1) | instskip(SKIP_1) | instid1(VALU_DEP_2)
	v_fma_f32 v9, 0xcf800000, v7, |v6|
	v_cvt_u32_f32_e32 v7, v7
	v_cvt_u32_f32_e32 v6, v9
	s_delay_alu instid0(VALU_DEP_2) | instskip(NEXT) | instid1(VALU_DEP_2)
	v_xor_b32_e32 v7, v7, v13
	v_xor_b32_e32 v6, v6, v13
	s_delay_alu instid0(VALU_DEP_1) | instskip(NEXT) | instid1(VALU_DEP_3)
	v_sub_co_u32 v6, vcc_lo, v6, v13
	v_sub_co_ci_u32_e32 v7, vcc_lo, v7, v13, vcc_lo
.LBB377_1280:
	s_mov_b32 s0, 0
.LBB377_1281:
	s_delay_alu instid0(SALU_CYCLE_1)
	s_and_not1_b32 vcc_lo, exec_lo, s0
	s_cbranch_vccnz .LBB377_1283
; %bb.1282:
	global_load_u16 v6, v[11:12], off
	s_waitcnt vmcnt(0)
	v_cvt_f32_f16_e32 v6, v6
	s_delay_alu instid0(VALU_DEP_1) | instskip(NEXT) | instid1(VALU_DEP_1)
	v_cvt_i32_f32_e32 v6, v6
	v_ashrrev_i32_e32 v7, 31, v6
.LBB377_1283:
	s_cbranch_execnz .LBB377_1303
.LBB377_1284:
	v_cmp_gt_i16_e32 vcc_lo, 2, v14
	s_cbranch_vccnz .LBB377_1288
; %bb.1285:
	v_cmp_gt_i16_e32 vcc_lo, 3, v14
	s_cbranch_vccnz .LBB377_1289
; %bb.1286:
	v_cmp_lt_i16_e32 vcc_lo, 3, v14
	s_cbranch_vccz .LBB377_1290
; %bb.1287:
	global_load_b64 v[6:7], v[11:12], off
	s_mov_b32 s0, 0
	s_branch .LBB377_1291
.LBB377_1288:
	s_mov_b32 s0, -1
                                        ; implicit-def: $vgpr6_vgpr7
	s_branch .LBB377_1297
.LBB377_1289:
	s_mov_b32 s0, -1
                                        ; implicit-def: $vgpr6_vgpr7
	s_branch .LBB377_1294
.LBB377_1290:
	s_mov_b32 s0, -1
                                        ; implicit-def: $vgpr6_vgpr7
.LBB377_1291:
	s_delay_alu instid0(SALU_CYCLE_1)
	s_and_not1_b32 vcc_lo, exec_lo, s0
	s_cbranch_vccnz .LBB377_1293
; %bb.1292:
	global_load_b32 v6, v[11:12], off
	s_waitcnt vmcnt(0)
	v_ashrrev_i32_e32 v7, 31, v6
.LBB377_1293:
	s_mov_b32 s0, 0
.LBB377_1294:
	s_delay_alu instid0(SALU_CYCLE_1)
	s_and_not1_b32 vcc_lo, exec_lo, s0
	s_cbranch_vccnz .LBB377_1296
; %bb.1295:
	global_load_u16 v6, v[11:12], off
	s_waitcnt vmcnt(0)
	v_bfe_i32 v6, v6, 0, 16
	s_delay_alu instid0(VALU_DEP_1)
	v_ashrrev_i32_e32 v7, 31, v6
.LBB377_1296:
	s_mov_b32 s0, 0
.LBB377_1297:
	s_delay_alu instid0(SALU_CYCLE_1)
	s_and_not1_b32 vcc_lo, exec_lo, s0
	s_cbranch_vccnz .LBB377_1303
; %bb.1298:
	v_cmp_lt_i16_e32 vcc_lo, 0, v14
	s_mov_b32 s0, 0
	s_cbranch_vccz .LBB377_1300
; %bb.1299:
	global_load_i8 v6, v[11:12], off
	s_waitcnt vmcnt(0)
	v_bfe_i32 v6, v6, 0, 16
	s_delay_alu instid0(VALU_DEP_1)
	v_ashrrev_i32_e32 v7, 31, v6
	s_branch .LBB377_1301
.LBB377_1300:
	s_mov_b32 s0, -1
                                        ; implicit-def: $vgpr6_vgpr7
.LBB377_1301:
	s_delay_alu instid0(SALU_CYCLE_1)
	s_and_not1_b32 vcc_lo, exec_lo, s0
	s_cbranch_vccnz .LBB377_1303
; %bb.1302:
	global_load_u8 v6, v[11:12], off
	s_mov_b32 s0, 0
	s_waitcnt vmcnt(0)
	v_dual_mov_b32 v7, s0 :: v_dual_and_b32 v6, 0xffff, v6
.LBB377_1303:
	s_branch .LBB377_1372
.LBB377_1304:
	s_trap 2
	s_sendmsg_rtn_b32 s0, sendmsg(MSG_RTN_GET_DOORBELL)
	s_mov_b32 ttmp2, m0
	s_waitcnt lgkmcnt(0)
	s_and_b32 s0, s0, 0x3ff
	s_delay_alu instid0(SALU_CYCLE_1) | instskip(NEXT) | instid1(SALU_CYCLE_1)
	s_bitset1_b32 s0, 10
	s_mov_b32 m0, s0
	s_sendmsg sendmsg(MSG_INTERRUPT)
	s_mov_b32 m0, ttmp2
.LBB377_1305:                           ; =>This Inner Loop Header: Depth=1
	s_sethalt 5
	s_branch .LBB377_1305
.LBB377_1306:
	s_or_saveexec_b32 s8, s8
                                        ; implicit-def: $sgpr9
	s_delay_alu instid0(SALU_CYCLE_1)
	s_xor_b32 exec_lo, exec_lo, s8
	s_cbranch_execz .LBB377_987
.LBB377_1307:
	v_add_f32_e64 v5, 0x42800000, |v0|
	s_and_not1_b32 s7, s7, exec_lo
	s_mov_b32 s9, 0
	s_delay_alu instid0(VALU_DEP_1) | instskip(NEXT) | instid1(VALU_DEP_1)
	v_and_b32_e32 v5, 0xff, v5
	v_cmp_ne_u32_e32 vcc_lo, 0, v5
	s_and_b32 s10, vcc_lo, exec_lo
	s_delay_alu instid0(SALU_CYCLE_1)
	s_or_b32 s7, s7, s10
	s_or_b32 exec_lo, exec_lo, s8
	v_mov_b32_e32 v6, s9
	s_and_saveexec_b32 s8, s7
	s_cbranch_execnz .LBB377_988
	s_branch .LBB377_989
.LBB377_1308:
	s_mov_b32 s2, -1
.LBB377_1309:
                                        ; implicit-def: $vgpr6_vgpr7
.LBB377_1310:
	s_and_b32 vcc_lo, exec_lo, s1
	s_cbranch_vccz .LBB377_1314
; %bb.1311:
	v_cmp_eq_u16_e32 vcc_lo, 44, v14
	s_cbranch_vccz .LBB377_1313
; %bb.1312:
	global_load_u8 v6, v[11:12], off
	s_mov_b32 s2, 0
	s_mov_b32 s0, -1
	s_waitcnt vmcnt(0)
	v_lshlrev_b32_e32 v7, 23, v6
	s_delay_alu instid0(VALU_DEP_1) | instskip(NEXT) | instid1(VALU_DEP_1)
	v_trunc_f32_e32 v7, v7
	v_mul_f32_e64 v9, 0x2f800000, |v7|
	s_delay_alu instid0(VALU_DEP_1) | instskip(NEXT) | instid1(VALU_DEP_1)
	v_floor_f32_e32 v9, v9
	v_fma_f32 v13, 0xcf800000, v9, |v7|
	v_ashrrev_i32_e32 v7, 31, v7
	v_cvt_u32_f32_e32 v9, v9
	s_delay_alu instid0(VALU_DEP_3) | instskip(NEXT) | instid1(VALU_DEP_2)
	v_cvt_u32_f32_e32 v13, v13
	v_xor_b32_e32 v9, v9, v7
	s_delay_alu instid0(VALU_DEP_2) | instskip(NEXT) | instid1(VALU_DEP_1)
	v_xor_b32_e32 v13, v13, v7
	v_sub_co_u32 v13, vcc_lo, v13, v7
	s_delay_alu instid0(VALU_DEP_3) | instskip(SKIP_1) | instid1(VALU_DEP_2)
	v_sub_co_ci_u32_e32 v7, vcc_lo, v9, v7, vcc_lo
	v_cmp_ne_u32_e32 vcc_lo, 0, v6
	v_dual_cndmask_b32 v6, 0, v13 :: v_dual_cndmask_b32 v7, 0, v7
	s_branch .LBB377_1314
.LBB377_1313:
	s_mov_b32 s2, -1
                                        ; implicit-def: $vgpr6_vgpr7
.LBB377_1314:
	s_mov_b32 s1, 0
.LBB377_1315:
	s_delay_alu instid0(SALU_CYCLE_1)
	s_and_b32 vcc_lo, exec_lo, s1
	s_cbranch_vccz .LBB377_1319
; %bb.1316:
	v_cmp_eq_u16_e32 vcc_lo, 29, v14
	s_cbranch_vccz .LBB377_1318
; %bb.1317:
	global_load_b64 v[6:7], v[11:12], off
	s_mov_b32 s2, 0
	s_mov_b32 s0, -1
	s_branch .LBB377_1319
.LBB377_1318:
	s_mov_b32 s2, -1
                                        ; implicit-def: $vgpr6_vgpr7
.LBB377_1319:
	s_mov_b32 s1, 0
.LBB377_1320:
	s_delay_alu instid0(SALU_CYCLE_1)
	s_and_b32 vcc_lo, exec_lo, s1
	s_cbranch_vccz .LBB377_1338
; %bb.1321:
	v_cmp_gt_i16_e32 vcc_lo, 27, v14
	s_cbranch_vccnz .LBB377_1324
; %bb.1322:
	v_cmp_lt_i16_e32 vcc_lo, 27, v14
	s_cbranch_vccz .LBB377_1325
; %bb.1323:
	global_load_b32 v6, v[11:12], off
	s_waitcnt vmcnt(1)
	v_mov_b32_e32 v7, 0
	s_mov_b32 s0, 0
	s_branch .LBB377_1326
.LBB377_1324:
	s_mov_b32 s0, -1
                                        ; implicit-def: $vgpr6_vgpr7
	s_branch .LBB377_1329
.LBB377_1325:
	s_mov_b32 s0, -1
                                        ; implicit-def: $vgpr6_vgpr7
.LBB377_1326:
	s_delay_alu instid0(SALU_CYCLE_1)
	s_and_not1_b32 vcc_lo, exec_lo, s0
	s_cbranch_vccnz .LBB377_1328
; %bb.1327:
	global_load_u16 v6, v[11:12], off
	s_mov_b32 s0, 0
	s_waitcnt vmcnt(0)
	v_dual_mov_b32 v7, s0 :: v_dual_and_b32 v6, 0xffff, v6
.LBB377_1328:
	s_mov_b32 s0, 0
.LBB377_1329:
	s_delay_alu instid0(SALU_CYCLE_1)
	s_and_not1_b32 vcc_lo, exec_lo, s0
	s_cbranch_vccnz .LBB377_1337
; %bb.1330:
	global_load_u8 v9, v[11:12], off
	s_mov_b32 s11, 0
	s_mov_b32 s12, exec_lo
                                        ; implicit-def: $sgpr0_sgpr1
	s_waitcnt vmcnt(0)
	v_cmpx_lt_i16_e32 0x7f, v9
	s_xor_b32 s12, exec_lo, s12
; %bb.1331:
	v_cmp_ne_u16_e32 vcc_lo, 0x80, v9
	s_mov_b64 s[0:1], 0
	s_and_b32 s11, vcc_lo, exec_lo
; %bb.1332:
	s_or_saveexec_b32 s12, s12
	v_dual_mov_b32 v7, s1 :: v_dual_mov_b32 v6, s0
	s_xor_b32 exec_lo, exec_lo, s12
; %bb.1333:
	v_cmp_ne_u16_e32 vcc_lo, 0, v9
	v_mov_b32_e32 v6, 0
	v_mov_b32_e32 v7, 0
	s_and_not1_b32 s0, s11, exec_lo
	s_and_b32 s1, vcc_lo, exec_lo
	s_delay_alu instid0(SALU_CYCLE_1)
	s_or_b32 s11, s0, s1
; %bb.1334:
	s_or_b32 exec_lo, exec_lo, s12
	s_and_saveexec_b32 s0, s11
	s_cbranch_execz .LBB377_1336
; %bb.1335:
	v_and_b32_e32 v6, 0xffff, v9
	v_lshlrev_b32_e32 v9, 24, v9
	s_delay_alu instid0(VALU_DEP_2) | instskip(NEXT) | instid1(VALU_DEP_2)
	v_and_b32_e32 v7, 7, v6
	v_and_b32_e32 v9, 0x80000000, v9
	s_delay_alu instid0(VALU_DEP_2) | instskip(NEXT) | instid1(VALU_DEP_1)
	v_clz_i32_u32_e32 v13, v7
	v_min_u32_e32 v13, 32, v13
	s_delay_alu instid0(VALU_DEP_1) | instskip(SKIP_1) | instid1(VALU_DEP_2)
	v_subrev_nc_u32_e32 v15, 28, v13
	v_sub_nc_u32_e32 v13, 29, v13
	v_lshlrev_b32_e32 v15, v15, v6
	v_bfe_u32 v6, v6, 3, 4
	s_delay_alu instid0(VALU_DEP_2) | instskip(NEXT) | instid1(VALU_DEP_2)
	v_and_b32_e32 v15, 7, v15
	v_cmp_eq_u32_e32 vcc_lo, 0, v6
	s_delay_alu instid0(VALU_DEP_2) | instskip(NEXT) | instid1(VALU_DEP_1)
	v_dual_cndmask_b32 v6, v6, v13 :: v_dual_cndmask_b32 v7, v7, v15
	v_lshl_add_u32 v6, v6, 23, 0x3b800000
	s_delay_alu instid0(VALU_DEP_2) | instskip(NEXT) | instid1(VALU_DEP_1)
	v_lshlrev_b32_e32 v7, 20, v7
	v_or3_b32 v6, v9, v6, v7
	s_delay_alu instid0(VALU_DEP_1) | instskip(NEXT) | instid1(VALU_DEP_1)
	v_trunc_f32_e32 v6, v6
	v_mul_f32_e64 v7, 0x2f800000, |v6|
	v_ashrrev_i32_e32 v13, 31, v6
	s_delay_alu instid0(VALU_DEP_2) | instskip(NEXT) | instid1(VALU_DEP_1)
	v_floor_f32_e32 v7, v7
	v_fma_f32 v9, 0xcf800000, v7, |v6|
	v_cvt_u32_f32_e32 v7, v7
	s_delay_alu instid0(VALU_DEP_2) | instskip(NEXT) | instid1(VALU_DEP_2)
	v_cvt_u32_f32_e32 v6, v9
	v_xor_b32_e32 v7, v7, v13
	s_delay_alu instid0(VALU_DEP_2) | instskip(NEXT) | instid1(VALU_DEP_1)
	v_xor_b32_e32 v6, v6, v13
	v_sub_co_u32 v6, vcc_lo, v6, v13
	s_delay_alu instid0(VALU_DEP_3)
	v_sub_co_ci_u32_e32 v7, vcc_lo, v7, v13, vcc_lo
.LBB377_1336:
	s_or_b32 exec_lo, exec_lo, s0
.LBB377_1337:
	s_mov_b32 s0, -1
.LBB377_1338:
	s_branch .LBB377_1367
.LBB377_1339:
	v_cmp_lt_i16_e32 vcc_lo, 22, v14
	s_cbranch_vccz .LBB377_1349
; %bb.1340:
	v_cmp_gt_i16_e32 vcc_lo, 24, v14
	s_cbranch_vccnz .LBB377_1350
; %bb.1341:
	v_cmp_lt_i16_e32 vcc_lo, 24, v14
	s_cbranch_vccz .LBB377_1351
; %bb.1342:
	global_load_u8 v9, v[11:12], off
	s_mov_b32 s11, exec_lo
                                        ; implicit-def: $sgpr0_sgpr1
	s_waitcnt vmcnt(0)
	v_cmpx_lt_i16_e32 0x7f, v9
	s_xor_b32 s11, exec_lo, s11
; %bb.1343:
	v_cmp_ne_u16_e32 vcc_lo, 0x80, v9
	s_mov_b64 s[0:1], 0
	s_and_b32 s3, vcc_lo, exec_lo
; %bb.1344:
	s_or_saveexec_b32 s11, s11
	v_dual_mov_b32 v7, s1 :: v_dual_mov_b32 v6, s0
	s_xor_b32 exec_lo, exec_lo, s11
; %bb.1345:
	v_cmp_ne_u16_e32 vcc_lo, 0, v9
	v_mov_b32_e32 v6, 0
	v_mov_b32_e32 v7, 0
	s_and_not1_b32 s0, s3, exec_lo
	s_and_b32 s1, vcc_lo, exec_lo
	s_delay_alu instid0(SALU_CYCLE_1)
	s_or_b32 s3, s0, s1
; %bb.1346:
	s_or_b32 exec_lo, exec_lo, s11
	s_and_saveexec_b32 s0, s3
	s_cbranch_execz .LBB377_1348
; %bb.1347:
	v_and_b32_e32 v6, 0xffff, v9
	v_lshlrev_b32_e32 v9, 24, v9
	s_delay_alu instid0(VALU_DEP_2) | instskip(NEXT) | instid1(VALU_DEP_2)
	v_and_b32_e32 v7, 3, v6
	v_and_b32_e32 v9, 0x80000000, v9
	s_delay_alu instid0(VALU_DEP_2) | instskip(NEXT) | instid1(VALU_DEP_1)
	v_clz_i32_u32_e32 v13, v7
	v_min_u32_e32 v13, 32, v13
	s_delay_alu instid0(VALU_DEP_1) | instskip(SKIP_1) | instid1(VALU_DEP_2)
	v_subrev_nc_u32_e32 v15, 29, v13
	v_sub_nc_u32_e32 v13, 30, v13
	v_lshlrev_b32_e32 v15, v15, v6
	v_bfe_u32 v6, v6, 2, 5
	s_delay_alu instid0(VALU_DEP_2) | instskip(NEXT) | instid1(VALU_DEP_2)
	v_and_b32_e32 v15, 3, v15
	v_cmp_eq_u32_e32 vcc_lo, 0, v6
	s_delay_alu instid0(VALU_DEP_2) | instskip(NEXT) | instid1(VALU_DEP_1)
	v_dual_cndmask_b32 v6, v6, v13 :: v_dual_cndmask_b32 v7, v7, v15
	v_lshl_add_u32 v6, v6, 23, 0x37800000
	s_delay_alu instid0(VALU_DEP_2) | instskip(NEXT) | instid1(VALU_DEP_1)
	v_lshlrev_b32_e32 v7, 21, v7
	v_or3_b32 v6, v9, v6, v7
	s_delay_alu instid0(VALU_DEP_1) | instskip(NEXT) | instid1(VALU_DEP_1)
	v_trunc_f32_e32 v6, v6
	v_mul_f32_e64 v7, 0x2f800000, |v6|
	v_ashrrev_i32_e32 v13, 31, v6
	s_delay_alu instid0(VALU_DEP_2) | instskip(NEXT) | instid1(VALU_DEP_1)
	v_floor_f32_e32 v7, v7
	v_fma_f32 v9, 0xcf800000, v7, |v6|
	v_cvt_u32_f32_e32 v7, v7
	s_delay_alu instid0(VALU_DEP_2) | instskip(NEXT) | instid1(VALU_DEP_2)
	v_cvt_u32_f32_e32 v6, v9
	v_xor_b32_e32 v7, v7, v13
	s_delay_alu instid0(VALU_DEP_2) | instskip(NEXT) | instid1(VALU_DEP_1)
	v_xor_b32_e32 v6, v6, v13
	v_sub_co_u32 v6, vcc_lo, v6, v13
	s_delay_alu instid0(VALU_DEP_3)
	v_sub_co_ci_u32_e32 v7, vcc_lo, v7, v13, vcc_lo
.LBB377_1348:
	s_or_b32 exec_lo, exec_lo, s0
	s_mov_b32 s0, 0
	s_branch .LBB377_1352
.LBB377_1349:
	s_mov_b32 s1, -1
                                        ; implicit-def: $vgpr6_vgpr7
	s_branch .LBB377_1358
.LBB377_1350:
	s_mov_b32 s0, -1
                                        ; implicit-def: $vgpr6_vgpr7
	s_branch .LBB377_1355
.LBB377_1351:
	s_mov_b32 s0, -1
                                        ; implicit-def: $vgpr6_vgpr7
.LBB377_1352:
	s_delay_alu instid0(SALU_CYCLE_1)
	s_and_b32 vcc_lo, exec_lo, s0
	s_cbranch_vccz .LBB377_1354
; %bb.1353:
	global_load_u8 v6, v[11:12], off
	s_waitcnt vmcnt(0)
	v_lshlrev_b32_e32 v6, 24, v6
	s_delay_alu instid0(VALU_DEP_1) | instskip(NEXT) | instid1(VALU_DEP_1)
	v_and_b32_e32 v7, 0x7f000000, v6
	v_clz_i32_u32_e32 v9, v7
	v_add_nc_u32_e32 v15, 0x1000000, v7
	v_cmp_ne_u32_e32 vcc_lo, 0, v7
	s_delay_alu instid0(VALU_DEP_3) | instskip(NEXT) | instid1(VALU_DEP_1)
	v_min_u32_e32 v9, 32, v9
	v_sub_nc_u32_e64 v9, v9, 4 clamp
	s_delay_alu instid0(VALU_DEP_1) | instskip(SKIP_1) | instid1(VALU_DEP_2)
	v_lshlrev_b32_e32 v13, v9, v7
	v_lshlrev_b32_e32 v9, 23, v9
	v_lshrrev_b32_e32 v13, 4, v13
	s_delay_alu instid0(VALU_DEP_1) | instskip(SKIP_1) | instid1(VALU_DEP_2)
	v_sub_nc_u32_e32 v9, v13, v9
	v_ashrrev_i32_e32 v13, 8, v15
	v_add_nc_u32_e32 v9, 0x3c000000, v9
	s_delay_alu instid0(VALU_DEP_1) | instskip(NEXT) | instid1(VALU_DEP_1)
	v_and_or_b32 v9, 0x7f800000, v13, v9
	v_cndmask_b32_e32 v7, 0, v9, vcc_lo
	s_delay_alu instid0(VALU_DEP_1) | instskip(NEXT) | instid1(VALU_DEP_1)
	v_and_or_b32 v6, 0x80000000, v6, v7
	v_trunc_f32_e32 v6, v6
	s_delay_alu instid0(VALU_DEP_1) | instskip(SKIP_1) | instid1(VALU_DEP_2)
	v_mul_f32_e64 v7, 0x2f800000, |v6|
	v_ashrrev_i32_e32 v13, 31, v6
	v_floor_f32_e32 v7, v7
	s_delay_alu instid0(VALU_DEP_1) | instskip(SKIP_1) | instid1(VALU_DEP_2)
	v_fma_f32 v9, 0xcf800000, v7, |v6|
	v_cvt_u32_f32_e32 v7, v7
	v_cvt_u32_f32_e32 v6, v9
	s_delay_alu instid0(VALU_DEP_2) | instskip(NEXT) | instid1(VALU_DEP_2)
	v_xor_b32_e32 v7, v7, v13
	v_xor_b32_e32 v6, v6, v13
	s_delay_alu instid0(VALU_DEP_1) | instskip(NEXT) | instid1(VALU_DEP_3)
	v_sub_co_u32 v6, vcc_lo, v6, v13
	v_sub_co_ci_u32_e32 v7, vcc_lo, v7, v13, vcc_lo
.LBB377_1354:
	s_mov_b32 s0, 0
.LBB377_1355:
	s_delay_alu instid0(SALU_CYCLE_1)
	s_and_not1_b32 vcc_lo, exec_lo, s0
	s_cbranch_vccnz .LBB377_1357
; %bb.1356:
	global_load_u8 v6, v[11:12], off
	s_waitcnt vmcnt(0)
	v_lshlrev_b32_e32 v7, 25, v6
	v_lshlrev_b16 v6, 8, v6
	s_delay_alu instid0(VALU_DEP_2) | instskip(NEXT) | instid1(VALU_DEP_2)
	v_lshrrev_b32_e32 v9, 4, v7
	v_and_or_b32 v13, 0x7f00, v6, 0.5
	v_cmp_gt_u32_e32 vcc_lo, 0x8000000, v7
	v_bfe_i32 v6, v6, 0, 16
	s_delay_alu instid0(VALU_DEP_4) | instskip(NEXT) | instid1(VALU_DEP_4)
	v_or_b32_e32 v9, 0x70000000, v9
	v_add_f32_e32 v13, -0.5, v13
	s_delay_alu instid0(VALU_DEP_2) | instskip(NEXT) | instid1(VALU_DEP_1)
	v_mul_f32_e32 v9, 0x7800000, v9
	v_cndmask_b32_e32 v7, v9, v13, vcc_lo
	s_delay_alu instid0(VALU_DEP_1) | instskip(NEXT) | instid1(VALU_DEP_1)
	v_and_or_b32 v6, 0x80000000, v6, v7
	v_trunc_f32_e32 v6, v6
	s_delay_alu instid0(VALU_DEP_1) | instskip(SKIP_1) | instid1(VALU_DEP_2)
	v_mul_f32_e64 v7, 0x2f800000, |v6|
	v_ashrrev_i32_e32 v13, 31, v6
	v_floor_f32_e32 v7, v7
	s_delay_alu instid0(VALU_DEP_1) | instskip(SKIP_1) | instid1(VALU_DEP_2)
	v_fma_f32 v9, 0xcf800000, v7, |v6|
	v_cvt_u32_f32_e32 v7, v7
	v_cvt_u32_f32_e32 v6, v9
	s_delay_alu instid0(VALU_DEP_2) | instskip(NEXT) | instid1(VALU_DEP_2)
	v_xor_b32_e32 v7, v7, v13
	v_xor_b32_e32 v6, v6, v13
	s_delay_alu instid0(VALU_DEP_1) | instskip(NEXT) | instid1(VALU_DEP_3)
	v_sub_co_u32 v6, vcc_lo, v6, v13
	v_sub_co_ci_u32_e32 v7, vcc_lo, v7, v13, vcc_lo
.LBB377_1357:
	s_mov_b32 s1, 0
	s_mov_b32 s0, -1
.LBB377_1358:
	s_and_not1_b32 vcc_lo, exec_lo, s1
	s_mov_b32 s3, 0
	s_cbranch_vccnz .LBB377_1367
; %bb.1359:
	v_cmp_lt_i16_e32 vcc_lo, 14, v14
	s_cbranch_vccz .LBB377_1362
; %bb.1360:
	v_cmp_eq_u16_e32 vcc_lo, 15, v14
	s_cbranch_vccz .LBB377_1363
; %bb.1361:
	global_load_u16 v6, v[11:12], off
	s_mov_b32 s2, 0
	s_mov_b32 s0, -1
	s_waitcnt vmcnt(0)
	v_lshlrev_b32_e32 v6, 16, v6
	s_delay_alu instid0(VALU_DEP_1) | instskip(NEXT) | instid1(VALU_DEP_1)
	v_trunc_f32_e32 v6, v6
	v_mul_f32_e64 v7, 0x2f800000, |v6|
	v_ashrrev_i32_e32 v13, 31, v6
	s_delay_alu instid0(VALU_DEP_2) | instskip(NEXT) | instid1(VALU_DEP_1)
	v_floor_f32_e32 v7, v7
	v_fma_f32 v9, 0xcf800000, v7, |v6|
	v_cvt_u32_f32_e32 v7, v7
	s_delay_alu instid0(VALU_DEP_2) | instskip(NEXT) | instid1(VALU_DEP_2)
	v_cvt_u32_f32_e32 v6, v9
	v_xor_b32_e32 v7, v7, v13
	s_delay_alu instid0(VALU_DEP_2) | instskip(NEXT) | instid1(VALU_DEP_1)
	v_xor_b32_e32 v6, v6, v13
	v_sub_co_u32 v6, vcc_lo, v6, v13
	s_delay_alu instid0(VALU_DEP_3)
	v_sub_co_ci_u32_e32 v7, vcc_lo, v7, v13, vcc_lo
	s_branch .LBB377_1364
.LBB377_1362:
	s_mov_b32 s1, -1
                                        ; implicit-def: $vgpr6_vgpr7
	s_branch .LBB377_1365
.LBB377_1363:
	s_mov_b32 s2, -1
                                        ; implicit-def: $vgpr6_vgpr7
.LBB377_1364:
	s_mov_b32 s1, 0
.LBB377_1365:
	s_delay_alu instid0(SALU_CYCLE_1)
	s_and_b32 vcc_lo, exec_lo, s1
	s_cbranch_vccz .LBB377_1367
; %bb.1366:
	v_cmp_ne_u16_e64 s2, 11, v14
	s_mov_b32 s3, -1
                                        ; implicit-def: $vgpr6_vgpr7
.LBB377_1367:
	s_delay_alu instid0(VALU_DEP_1)
	s_and_b32 vcc_lo, exec_lo, s2
	s_cbranch_vccnz .LBB377_1391
; %bb.1368:
	s_and_not1_b32 vcc_lo, exec_lo, s3
	s_cbranch_vccnz .LBB377_1370
.LBB377_1369:
	global_load_u8 v6, v[11:12], off
	s_mov_b32 s0, 0
	s_waitcnt vmcnt(1)
	v_mov_b32_e32 v7, s0
	s_mov_b32 s0, -1
	s_waitcnt vmcnt(0)
	v_cmp_ne_u16_e32 vcc_lo, 0, v6
	v_cndmask_b32_e64 v6, 0, 1, vcc_lo
.LBB377_1370:
.LBB377_1371:
	s_and_not1_b32 vcc_lo, exec_lo, s0
	s_cbranch_vccnz .LBB377_2020
.LBB377_1372:
	v_cmp_gt_i16_e32 vcc_lo, 11, v14
	v_add_co_u32 v11, s0, s6, v8
	s_delay_alu instid0(VALU_DEP_1)
	v_add_co_ci_u32_e64 v12, null, s7, 0, s0
	s_mov_b32 s0, 0
	s_cbranch_vccnz .LBB377_1379
; %bb.1373:
	v_cmp_lt_i16_e32 vcc_lo, 25, v14
	s_mov_b32 s3, 0
	s_cbranch_vccz .LBB377_1385
; %bb.1374:
	v_cmp_lt_i16_e32 vcc_lo, 28, v14
	s_cbranch_vccz .LBB377_1387
; %bb.1375:
	v_cmp_lt_i16_e32 vcc_lo, 43, v14
	;; [unrolled: 3-line block ×3, first 2 shown]
	s_cbranch_vccz .LBB377_1393
; %bb.1377:
	v_cmp_eq_u16_e32 vcc_lo, 46, v14
	s_mov_b32 s1, 0
	s_cbranch_vccz .LBB377_1436
; %bb.1378:
	global_load_b32 v8, v[11:12], off
	s_mov_b32 s2, 0
	s_mov_b32 s0, -1
	s_waitcnt vmcnt(0)
	v_lshlrev_b32_e32 v8, 16, v8
	s_delay_alu instid0(VALU_DEP_1) | instskip(NEXT) | instid1(VALU_DEP_1)
	v_trunc_f32_e32 v8, v8
	v_mul_f32_e64 v9, 0x2f800000, |v8|
	v_ashrrev_i32_e32 v15, 31, v8
	s_delay_alu instid0(VALU_DEP_2) | instskip(NEXT) | instid1(VALU_DEP_1)
	v_floor_f32_e32 v9, v9
	v_fma_f32 v13, 0xcf800000, v9, |v8|
	v_cvt_u32_f32_e32 v9, v9
	s_delay_alu instid0(VALU_DEP_2) | instskip(NEXT) | instid1(VALU_DEP_2)
	v_cvt_u32_f32_e32 v8, v13
	v_xor_b32_e32 v9, v9, v15
	s_delay_alu instid0(VALU_DEP_2) | instskip(NEXT) | instid1(VALU_DEP_1)
	v_xor_b32_e32 v8, v8, v15
	v_sub_co_u32 v8, vcc_lo, v8, v15
	s_delay_alu instid0(VALU_DEP_3)
	v_sub_co_ci_u32_e32 v9, vcc_lo, v9, v15, vcc_lo
	s_branch .LBB377_1438
.LBB377_1379:
                                        ; implicit-def: $vgpr8_vgpr9
	s_cbranch_execz .LBB377_1500
; %bb.1380:
	v_cmp_gt_i16_e32 vcc_lo, 5, v14
	s_cbranch_vccnz .LBB377_1386
; %bb.1381:
	v_cmp_gt_i16_e32 vcc_lo, 8, v14
	s_cbranch_vccnz .LBB377_1388
	;; [unrolled: 3-line block ×3, first 2 shown]
; %bb.1383:
	v_cmp_lt_i16_e32 vcc_lo, 9, v14
	s_cbranch_vccz .LBB377_1394
; %bb.1384:
	global_load_b64 v[8:9], v[11:12], off
	s_mov_b32 s0, 0
	s_waitcnt vmcnt(0)
	v_trunc_f64_e32 v[8:9], v[8:9]
	s_delay_alu instid0(VALU_DEP_1) | instskip(NEXT) | instid1(VALU_DEP_1)
	v_ldexp_f64 v[15:16], v[8:9], 0xffffffe0
	v_floor_f64_e32 v[15:16], v[15:16]
	s_delay_alu instid0(VALU_DEP_1) | instskip(SKIP_1) | instid1(VALU_DEP_2)
	v_fma_f64 v[17:18], 0xc1f00000, v[15:16], v[8:9]
	v_cvt_i32_f64_e32 v9, v[15:16]
	v_cvt_u32_f64_e32 v8, v[17:18]
	s_branch .LBB377_1395
.LBB377_1385:
	s_mov_b32 s1, -1
	s_mov_b32 s2, 0
                                        ; implicit-def: $vgpr8_vgpr9
	s_branch .LBB377_1467
.LBB377_1386:
	s_mov_b32 s0, -1
                                        ; implicit-def: $vgpr8_vgpr9
	s_branch .LBB377_1413
.LBB377_1387:
	s_mov_b32 s1, -1
	s_mov_b32 s2, 0
                                        ; implicit-def: $vgpr8_vgpr9
	s_branch .LBB377_1448
.LBB377_1388:
	s_mov_b32 s0, -1
                                        ; implicit-def: $vgpr8_vgpr9
	s_branch .LBB377_1401
.LBB377_1389:
	s_mov_b32 s1, -1
	s_mov_b32 s2, 0
                                        ; implicit-def: $vgpr8_vgpr9
	s_branch .LBB377_1443
.LBB377_1390:
	s_mov_b32 s0, -1
                                        ; implicit-def: $vgpr8_vgpr9
	s_branch .LBB377_1398
.LBB377_1391:
	s_cbranch_execnz .LBB377_1434
; %bb.1392:
	s_or_b32 s10, s10, exec_lo
                                        ; implicit-def: $vgpr6_vgpr7
	s_cbranch_execz .LBB377_1369
	s_branch .LBB377_1370
.LBB377_1393:
	s_mov_b32 s1, -1
	s_mov_b32 s2, 0
	s_branch .LBB377_1437
.LBB377_1394:
	s_mov_b32 s0, -1
                                        ; implicit-def: $vgpr8_vgpr9
.LBB377_1395:
	s_delay_alu instid0(SALU_CYCLE_1)
	s_and_not1_b32 vcc_lo, exec_lo, s0
	s_cbranch_vccnz .LBB377_1397
; %bb.1396:
	global_load_b32 v8, v[11:12], off
	s_waitcnt vmcnt(0)
	v_trunc_f32_e32 v8, v8
	s_delay_alu instid0(VALU_DEP_1) | instskip(SKIP_1) | instid1(VALU_DEP_2)
	v_mul_f32_e64 v9, 0x2f800000, |v8|
	v_ashrrev_i32_e32 v15, 31, v8
	v_floor_f32_e32 v9, v9
	s_delay_alu instid0(VALU_DEP_1) | instskip(SKIP_1) | instid1(VALU_DEP_2)
	v_fma_f32 v13, 0xcf800000, v9, |v8|
	v_cvt_u32_f32_e32 v9, v9
	v_cvt_u32_f32_e32 v8, v13
	s_delay_alu instid0(VALU_DEP_2) | instskip(NEXT) | instid1(VALU_DEP_2)
	v_xor_b32_e32 v9, v9, v15
	v_xor_b32_e32 v8, v8, v15
	s_delay_alu instid0(VALU_DEP_1) | instskip(NEXT) | instid1(VALU_DEP_3)
	v_sub_co_u32 v8, vcc_lo, v8, v15
	v_sub_co_ci_u32_e32 v9, vcc_lo, v9, v15, vcc_lo
.LBB377_1397:
	s_mov_b32 s0, 0
.LBB377_1398:
	s_delay_alu instid0(SALU_CYCLE_1)
	s_and_not1_b32 vcc_lo, exec_lo, s0
	s_cbranch_vccnz .LBB377_1400
; %bb.1399:
	global_load_b32 v8, v[11:12], off
	s_waitcnt vmcnt(0)
	v_cvt_f32_f16_e32 v8, v8
	s_delay_alu instid0(VALU_DEP_1) | instskip(NEXT) | instid1(VALU_DEP_1)
	v_cvt_i32_f32_e32 v8, v8
	v_ashrrev_i32_e32 v9, 31, v8
.LBB377_1400:
	s_mov_b32 s0, 0
.LBB377_1401:
	s_delay_alu instid0(SALU_CYCLE_1)
	s_and_not1_b32 vcc_lo, exec_lo, s0
	s_cbranch_vccnz .LBB377_1412
; %bb.1402:
	v_cmp_gt_i16_e32 vcc_lo, 6, v14
	s_cbranch_vccnz .LBB377_1405
; %bb.1403:
	v_cmp_lt_i16_e32 vcc_lo, 6, v14
	s_cbranch_vccz .LBB377_1406
; %bb.1404:
	global_load_b64 v[8:9], v[11:12], off
	s_mov_b32 s0, 0
	s_waitcnt vmcnt(0)
	v_trunc_f64_e32 v[8:9], v[8:9]
	s_delay_alu instid0(VALU_DEP_1) | instskip(NEXT) | instid1(VALU_DEP_1)
	v_ldexp_f64 v[15:16], v[8:9], 0xffffffe0
	v_floor_f64_e32 v[15:16], v[15:16]
	s_delay_alu instid0(VALU_DEP_1) | instskip(SKIP_1) | instid1(VALU_DEP_2)
	v_fma_f64 v[17:18], 0xc1f00000, v[15:16], v[8:9]
	v_cvt_i32_f64_e32 v9, v[15:16]
	v_cvt_u32_f64_e32 v8, v[17:18]
	s_branch .LBB377_1407
.LBB377_1405:
	s_mov_b32 s0, -1
                                        ; implicit-def: $vgpr8_vgpr9
	s_branch .LBB377_1410
.LBB377_1406:
	s_mov_b32 s0, -1
                                        ; implicit-def: $vgpr8_vgpr9
.LBB377_1407:
	s_delay_alu instid0(SALU_CYCLE_1)
	s_and_not1_b32 vcc_lo, exec_lo, s0
	s_cbranch_vccnz .LBB377_1409
; %bb.1408:
	global_load_b32 v8, v[11:12], off
	s_waitcnt vmcnt(0)
	v_trunc_f32_e32 v8, v8
	s_delay_alu instid0(VALU_DEP_1) | instskip(SKIP_1) | instid1(VALU_DEP_2)
	v_mul_f32_e64 v9, 0x2f800000, |v8|
	v_ashrrev_i32_e32 v15, 31, v8
	v_floor_f32_e32 v9, v9
	s_delay_alu instid0(VALU_DEP_1) | instskip(SKIP_1) | instid1(VALU_DEP_2)
	v_fma_f32 v13, 0xcf800000, v9, |v8|
	v_cvt_u32_f32_e32 v9, v9
	v_cvt_u32_f32_e32 v8, v13
	s_delay_alu instid0(VALU_DEP_2) | instskip(NEXT) | instid1(VALU_DEP_2)
	v_xor_b32_e32 v9, v9, v15
	v_xor_b32_e32 v8, v8, v15
	s_delay_alu instid0(VALU_DEP_1) | instskip(NEXT) | instid1(VALU_DEP_3)
	v_sub_co_u32 v8, vcc_lo, v8, v15
	v_sub_co_ci_u32_e32 v9, vcc_lo, v9, v15, vcc_lo
.LBB377_1409:
	s_mov_b32 s0, 0
.LBB377_1410:
	s_delay_alu instid0(SALU_CYCLE_1)
	s_and_not1_b32 vcc_lo, exec_lo, s0
	s_cbranch_vccnz .LBB377_1412
; %bb.1411:
	global_load_u16 v8, v[11:12], off
	s_waitcnt vmcnt(0)
	v_cvt_f32_f16_e32 v8, v8
	s_delay_alu instid0(VALU_DEP_1) | instskip(NEXT) | instid1(VALU_DEP_1)
	v_cvt_i32_f32_e32 v8, v8
	v_ashrrev_i32_e32 v9, 31, v8
.LBB377_1412:
	s_mov_b32 s0, 0
.LBB377_1413:
	s_delay_alu instid0(SALU_CYCLE_1)
	s_and_not1_b32 vcc_lo, exec_lo, s0
	s_cbranch_vccnz .LBB377_1433
; %bb.1414:
	v_cmp_gt_i16_e32 vcc_lo, 2, v14
	s_cbranch_vccnz .LBB377_1418
; %bb.1415:
	v_cmp_gt_i16_e32 vcc_lo, 3, v14
	s_cbranch_vccnz .LBB377_1419
; %bb.1416:
	v_cmp_lt_i16_e32 vcc_lo, 3, v14
	s_cbranch_vccz .LBB377_1420
; %bb.1417:
	global_load_b64 v[8:9], v[11:12], off
	s_mov_b32 s0, 0
	s_branch .LBB377_1421
.LBB377_1418:
	s_mov_b32 s0, -1
                                        ; implicit-def: $vgpr8_vgpr9
	s_branch .LBB377_1427
.LBB377_1419:
	s_mov_b32 s0, -1
                                        ; implicit-def: $vgpr8_vgpr9
	s_branch .LBB377_1424
.LBB377_1420:
	s_mov_b32 s0, -1
                                        ; implicit-def: $vgpr8_vgpr9
.LBB377_1421:
	s_delay_alu instid0(SALU_CYCLE_1)
	s_and_not1_b32 vcc_lo, exec_lo, s0
	s_cbranch_vccnz .LBB377_1423
; %bb.1422:
	global_load_b32 v8, v[11:12], off
	s_waitcnt vmcnt(0)
	v_ashrrev_i32_e32 v9, 31, v8
.LBB377_1423:
	s_mov_b32 s0, 0
.LBB377_1424:
	s_delay_alu instid0(SALU_CYCLE_1)
	s_and_not1_b32 vcc_lo, exec_lo, s0
	s_cbranch_vccnz .LBB377_1426
; %bb.1425:
	global_load_u16 v8, v[11:12], off
	s_waitcnt vmcnt(0)
	v_bfe_i32 v8, v8, 0, 16
	s_delay_alu instid0(VALU_DEP_1)
	v_ashrrev_i32_e32 v9, 31, v8
.LBB377_1426:
	s_mov_b32 s0, 0
.LBB377_1427:
	s_delay_alu instid0(SALU_CYCLE_1)
	s_and_not1_b32 vcc_lo, exec_lo, s0
	s_cbranch_vccnz .LBB377_1433
; %bb.1428:
	v_cmp_lt_i16_e32 vcc_lo, 0, v14
	s_mov_b32 s0, 0
	s_cbranch_vccz .LBB377_1430
; %bb.1429:
	global_load_i8 v8, v[11:12], off
	s_waitcnt vmcnt(0)
	v_bfe_i32 v8, v8, 0, 16
	s_delay_alu instid0(VALU_DEP_1)
	v_ashrrev_i32_e32 v9, 31, v8
	s_branch .LBB377_1431
.LBB377_1430:
	s_mov_b32 s0, -1
                                        ; implicit-def: $vgpr8_vgpr9
.LBB377_1431:
	s_delay_alu instid0(SALU_CYCLE_1)
	s_and_not1_b32 vcc_lo, exec_lo, s0
	s_cbranch_vccnz .LBB377_1433
; %bb.1432:
	global_load_u8 v8, v[11:12], off
	s_mov_b32 s0, 0
	s_waitcnt vmcnt(0)
	v_dual_mov_b32 v9, s0 :: v_dual_and_b32 v8, 0xffff, v8
.LBB377_1433:
	s_branch .LBB377_1501
.LBB377_1434:
	s_trap 2
	s_sendmsg_rtn_b32 s0, sendmsg(MSG_RTN_GET_DOORBELL)
	s_mov_b32 ttmp2, m0
	s_waitcnt lgkmcnt(0)
	s_and_b32 s0, s0, 0x3ff
	s_delay_alu instid0(SALU_CYCLE_1) | instskip(NEXT) | instid1(SALU_CYCLE_1)
	s_bitset1_b32 s0, 10
	s_mov_b32 m0, s0
	s_sendmsg sendmsg(MSG_INTERRUPT)
	s_mov_b32 m0, ttmp2
.LBB377_1435:                           ; =>This Inner Loop Header: Depth=1
	s_sethalt 5
	s_branch .LBB377_1435
.LBB377_1436:
	s_mov_b32 s2, -1
.LBB377_1437:
                                        ; implicit-def: $vgpr8_vgpr9
.LBB377_1438:
	s_and_b32 vcc_lo, exec_lo, s1
	s_cbranch_vccz .LBB377_1442
; %bb.1439:
	v_cmp_eq_u16_e32 vcc_lo, 44, v14
	s_cbranch_vccz .LBB377_1441
; %bb.1440:
	global_load_u8 v8, v[11:12], off
	s_mov_b32 s2, 0
	s_mov_b32 s0, -1
	s_waitcnt vmcnt(0)
	v_lshlrev_b32_e32 v9, 23, v8
	s_delay_alu instid0(VALU_DEP_1) | instskip(NEXT) | instid1(VALU_DEP_1)
	v_trunc_f32_e32 v9, v9
	v_mul_f32_e64 v13, 0x2f800000, |v9|
	s_delay_alu instid0(VALU_DEP_1) | instskip(NEXT) | instid1(VALU_DEP_1)
	v_floor_f32_e32 v13, v13
	v_fma_f32 v15, 0xcf800000, v13, |v9|
	v_ashrrev_i32_e32 v9, 31, v9
	v_cvt_u32_f32_e32 v13, v13
	s_delay_alu instid0(VALU_DEP_3) | instskip(NEXT) | instid1(VALU_DEP_2)
	v_cvt_u32_f32_e32 v15, v15
	v_xor_b32_e32 v13, v13, v9
	s_delay_alu instid0(VALU_DEP_2) | instskip(NEXT) | instid1(VALU_DEP_1)
	v_xor_b32_e32 v15, v15, v9
	v_sub_co_u32 v15, vcc_lo, v15, v9
	s_delay_alu instid0(VALU_DEP_3) | instskip(SKIP_1) | instid1(VALU_DEP_2)
	v_sub_co_ci_u32_e32 v9, vcc_lo, v13, v9, vcc_lo
	v_cmp_ne_u32_e32 vcc_lo, 0, v8
	v_dual_cndmask_b32 v8, 0, v15 :: v_dual_cndmask_b32 v9, 0, v9
	s_branch .LBB377_1442
.LBB377_1441:
	s_mov_b32 s2, -1
                                        ; implicit-def: $vgpr8_vgpr9
.LBB377_1442:
	s_mov_b32 s1, 0
.LBB377_1443:
	s_delay_alu instid0(SALU_CYCLE_1)
	s_and_b32 vcc_lo, exec_lo, s1
	s_cbranch_vccz .LBB377_1447
; %bb.1444:
	v_cmp_eq_u16_e32 vcc_lo, 29, v14
	s_cbranch_vccz .LBB377_1446
; %bb.1445:
	global_load_b64 v[8:9], v[11:12], off
	s_mov_b32 s2, 0
	s_mov_b32 s0, -1
	s_branch .LBB377_1447
.LBB377_1446:
	s_mov_b32 s2, -1
                                        ; implicit-def: $vgpr8_vgpr9
.LBB377_1447:
	s_mov_b32 s1, 0
.LBB377_1448:
	s_delay_alu instid0(SALU_CYCLE_1)
	s_and_b32 vcc_lo, exec_lo, s1
	s_cbranch_vccz .LBB377_1466
; %bb.1449:
	v_cmp_gt_i16_e32 vcc_lo, 27, v14
	s_cbranch_vccnz .LBB377_1452
; %bb.1450:
	v_cmp_lt_i16_e32 vcc_lo, 27, v14
	s_cbranch_vccz .LBB377_1453
; %bb.1451:
	global_load_b32 v8, v[11:12], off
	s_waitcnt vmcnt(1)
	v_mov_b32_e32 v9, 0
	s_mov_b32 s0, 0
	s_branch .LBB377_1454
.LBB377_1452:
	s_mov_b32 s0, -1
                                        ; implicit-def: $vgpr8_vgpr9
	s_branch .LBB377_1457
.LBB377_1453:
	s_mov_b32 s0, -1
                                        ; implicit-def: $vgpr8_vgpr9
.LBB377_1454:
	s_delay_alu instid0(SALU_CYCLE_1)
	s_and_not1_b32 vcc_lo, exec_lo, s0
	s_cbranch_vccnz .LBB377_1456
; %bb.1455:
	global_load_u16 v8, v[11:12], off
	s_mov_b32 s0, 0
	s_waitcnt vmcnt(0)
	v_dual_mov_b32 v9, s0 :: v_dual_and_b32 v8, 0xffff, v8
.LBB377_1456:
	s_mov_b32 s0, 0
.LBB377_1457:
	s_delay_alu instid0(SALU_CYCLE_1)
	s_and_not1_b32 vcc_lo, exec_lo, s0
	s_cbranch_vccnz .LBB377_1465
; %bb.1458:
	global_load_u8 v13, v[11:12], off
	s_mov_b32 s11, 0
	s_mov_b32 s12, exec_lo
                                        ; implicit-def: $sgpr0_sgpr1
	s_waitcnt vmcnt(0)
	v_cmpx_lt_i16_e32 0x7f, v13
	s_xor_b32 s12, exec_lo, s12
; %bb.1459:
	v_cmp_ne_u16_e32 vcc_lo, 0x80, v13
	s_mov_b64 s[0:1], 0
	s_and_b32 s11, vcc_lo, exec_lo
; %bb.1460:
	s_or_saveexec_b32 s12, s12
	v_dual_mov_b32 v9, s1 :: v_dual_mov_b32 v8, s0
	s_xor_b32 exec_lo, exec_lo, s12
; %bb.1461:
	v_cmp_ne_u16_e32 vcc_lo, 0, v13
	v_mov_b32_e32 v8, 0
	v_mov_b32_e32 v9, 0
	s_and_not1_b32 s0, s11, exec_lo
	s_and_b32 s1, vcc_lo, exec_lo
	s_delay_alu instid0(SALU_CYCLE_1)
	s_or_b32 s11, s0, s1
; %bb.1462:
	s_or_b32 exec_lo, exec_lo, s12
	s_and_saveexec_b32 s0, s11
	s_cbranch_execz .LBB377_1464
; %bb.1463:
	v_and_b32_e32 v8, 0xffff, v13
	v_lshlrev_b32_e32 v13, 24, v13
	s_delay_alu instid0(VALU_DEP_2) | instskip(NEXT) | instid1(VALU_DEP_2)
	v_and_b32_e32 v9, 7, v8
	v_and_b32_e32 v13, 0x80000000, v13
	s_delay_alu instid0(VALU_DEP_2) | instskip(NEXT) | instid1(VALU_DEP_1)
	v_clz_i32_u32_e32 v15, v9
	v_min_u32_e32 v15, 32, v15
	s_delay_alu instid0(VALU_DEP_1) | instskip(SKIP_1) | instid1(VALU_DEP_2)
	v_subrev_nc_u32_e32 v16, 28, v15
	v_sub_nc_u32_e32 v15, 29, v15
	v_lshlrev_b32_e32 v16, v16, v8
	v_bfe_u32 v8, v8, 3, 4
	s_delay_alu instid0(VALU_DEP_2) | instskip(NEXT) | instid1(VALU_DEP_2)
	v_and_b32_e32 v16, 7, v16
	v_cmp_eq_u32_e32 vcc_lo, 0, v8
	s_delay_alu instid0(VALU_DEP_2) | instskip(NEXT) | instid1(VALU_DEP_1)
	v_dual_cndmask_b32 v8, v8, v15 :: v_dual_cndmask_b32 v9, v9, v16
	v_lshl_add_u32 v8, v8, 23, 0x3b800000
	s_delay_alu instid0(VALU_DEP_2) | instskip(NEXT) | instid1(VALU_DEP_1)
	v_lshlrev_b32_e32 v9, 20, v9
	v_or3_b32 v8, v13, v8, v9
	s_delay_alu instid0(VALU_DEP_1) | instskip(NEXT) | instid1(VALU_DEP_1)
	v_trunc_f32_e32 v8, v8
	v_mul_f32_e64 v9, 0x2f800000, |v8|
	v_ashrrev_i32_e32 v15, 31, v8
	s_delay_alu instid0(VALU_DEP_2) | instskip(NEXT) | instid1(VALU_DEP_1)
	v_floor_f32_e32 v9, v9
	v_fma_f32 v13, 0xcf800000, v9, |v8|
	v_cvt_u32_f32_e32 v9, v9
	s_delay_alu instid0(VALU_DEP_2) | instskip(NEXT) | instid1(VALU_DEP_2)
	v_cvt_u32_f32_e32 v8, v13
	v_xor_b32_e32 v9, v9, v15
	s_delay_alu instid0(VALU_DEP_2) | instskip(NEXT) | instid1(VALU_DEP_1)
	v_xor_b32_e32 v8, v8, v15
	v_sub_co_u32 v8, vcc_lo, v8, v15
	s_delay_alu instid0(VALU_DEP_3)
	v_sub_co_ci_u32_e32 v9, vcc_lo, v9, v15, vcc_lo
.LBB377_1464:
	s_or_b32 exec_lo, exec_lo, s0
.LBB377_1465:
	s_mov_b32 s0, -1
.LBB377_1466:
	s_mov_b32 s1, 0
.LBB377_1467:
	s_delay_alu instid0(SALU_CYCLE_1)
	s_and_b32 vcc_lo, exec_lo, s1
	s_cbranch_vccz .LBB377_1496
; %bb.1468:
	v_cmp_lt_i16_e32 vcc_lo, 22, v14
	s_cbranch_vccz .LBB377_1478
; %bb.1469:
	v_cmp_gt_i16_e32 vcc_lo, 24, v14
	s_cbranch_vccnz .LBB377_1479
; %bb.1470:
	v_cmp_lt_i16_e32 vcc_lo, 24, v14
	s_cbranch_vccz .LBB377_1480
; %bb.1471:
	global_load_u8 v13, v[11:12], off
	s_mov_b32 s11, exec_lo
                                        ; implicit-def: $sgpr0_sgpr1
	s_waitcnt vmcnt(0)
	v_cmpx_lt_i16_e32 0x7f, v13
	s_xor_b32 s11, exec_lo, s11
; %bb.1472:
	v_cmp_ne_u16_e32 vcc_lo, 0x80, v13
	s_mov_b64 s[0:1], 0
	s_and_b32 s3, vcc_lo, exec_lo
; %bb.1473:
	s_or_saveexec_b32 s11, s11
	v_dual_mov_b32 v9, s1 :: v_dual_mov_b32 v8, s0
	s_xor_b32 exec_lo, exec_lo, s11
; %bb.1474:
	v_cmp_ne_u16_e32 vcc_lo, 0, v13
	v_mov_b32_e32 v8, 0
	v_mov_b32_e32 v9, 0
	s_and_not1_b32 s0, s3, exec_lo
	s_and_b32 s1, vcc_lo, exec_lo
	s_delay_alu instid0(SALU_CYCLE_1)
	s_or_b32 s3, s0, s1
; %bb.1475:
	s_or_b32 exec_lo, exec_lo, s11
	s_and_saveexec_b32 s0, s3
	s_cbranch_execz .LBB377_1477
; %bb.1476:
	v_and_b32_e32 v8, 0xffff, v13
	v_lshlrev_b32_e32 v13, 24, v13
	s_delay_alu instid0(VALU_DEP_2) | instskip(NEXT) | instid1(VALU_DEP_2)
	v_and_b32_e32 v9, 3, v8
	v_and_b32_e32 v13, 0x80000000, v13
	s_delay_alu instid0(VALU_DEP_2) | instskip(NEXT) | instid1(VALU_DEP_1)
	v_clz_i32_u32_e32 v15, v9
	v_min_u32_e32 v15, 32, v15
	s_delay_alu instid0(VALU_DEP_1) | instskip(SKIP_1) | instid1(VALU_DEP_2)
	v_subrev_nc_u32_e32 v16, 29, v15
	v_sub_nc_u32_e32 v15, 30, v15
	v_lshlrev_b32_e32 v16, v16, v8
	v_bfe_u32 v8, v8, 2, 5
	s_delay_alu instid0(VALU_DEP_2) | instskip(NEXT) | instid1(VALU_DEP_2)
	v_and_b32_e32 v16, 3, v16
	v_cmp_eq_u32_e32 vcc_lo, 0, v8
	s_delay_alu instid0(VALU_DEP_2) | instskip(NEXT) | instid1(VALU_DEP_1)
	v_dual_cndmask_b32 v8, v8, v15 :: v_dual_cndmask_b32 v9, v9, v16
	v_lshl_add_u32 v8, v8, 23, 0x37800000
	s_delay_alu instid0(VALU_DEP_2) | instskip(NEXT) | instid1(VALU_DEP_1)
	v_lshlrev_b32_e32 v9, 21, v9
	v_or3_b32 v8, v13, v8, v9
	s_delay_alu instid0(VALU_DEP_1) | instskip(NEXT) | instid1(VALU_DEP_1)
	v_trunc_f32_e32 v8, v8
	v_mul_f32_e64 v9, 0x2f800000, |v8|
	v_ashrrev_i32_e32 v15, 31, v8
	s_delay_alu instid0(VALU_DEP_2) | instskip(NEXT) | instid1(VALU_DEP_1)
	v_floor_f32_e32 v9, v9
	v_fma_f32 v13, 0xcf800000, v9, |v8|
	v_cvt_u32_f32_e32 v9, v9
	s_delay_alu instid0(VALU_DEP_2) | instskip(NEXT) | instid1(VALU_DEP_2)
	v_cvt_u32_f32_e32 v8, v13
	v_xor_b32_e32 v9, v9, v15
	s_delay_alu instid0(VALU_DEP_2) | instskip(NEXT) | instid1(VALU_DEP_1)
	v_xor_b32_e32 v8, v8, v15
	v_sub_co_u32 v8, vcc_lo, v8, v15
	s_delay_alu instid0(VALU_DEP_3)
	v_sub_co_ci_u32_e32 v9, vcc_lo, v9, v15, vcc_lo
.LBB377_1477:
	s_or_b32 exec_lo, exec_lo, s0
	s_mov_b32 s0, 0
	s_branch .LBB377_1481
.LBB377_1478:
	s_mov_b32 s1, -1
                                        ; implicit-def: $vgpr8_vgpr9
	s_branch .LBB377_1487
.LBB377_1479:
	s_mov_b32 s0, -1
                                        ; implicit-def: $vgpr8_vgpr9
	s_branch .LBB377_1484
.LBB377_1480:
	s_mov_b32 s0, -1
                                        ; implicit-def: $vgpr8_vgpr9
.LBB377_1481:
	s_delay_alu instid0(SALU_CYCLE_1)
	s_and_b32 vcc_lo, exec_lo, s0
	s_cbranch_vccz .LBB377_1483
; %bb.1482:
	global_load_u8 v8, v[11:12], off
	s_waitcnt vmcnt(0)
	v_lshlrev_b32_e32 v8, 24, v8
	s_delay_alu instid0(VALU_DEP_1) | instskip(NEXT) | instid1(VALU_DEP_1)
	v_and_b32_e32 v9, 0x7f000000, v8
	v_clz_i32_u32_e32 v13, v9
	v_add_nc_u32_e32 v16, 0x1000000, v9
	v_cmp_ne_u32_e32 vcc_lo, 0, v9
	s_delay_alu instid0(VALU_DEP_3) | instskip(NEXT) | instid1(VALU_DEP_1)
	v_min_u32_e32 v13, 32, v13
	v_sub_nc_u32_e64 v13, v13, 4 clamp
	s_delay_alu instid0(VALU_DEP_1) | instskip(SKIP_1) | instid1(VALU_DEP_2)
	v_lshlrev_b32_e32 v15, v13, v9
	v_lshlrev_b32_e32 v13, 23, v13
	v_lshrrev_b32_e32 v15, 4, v15
	s_delay_alu instid0(VALU_DEP_1) | instskip(SKIP_1) | instid1(VALU_DEP_2)
	v_sub_nc_u32_e32 v13, v15, v13
	v_ashrrev_i32_e32 v15, 8, v16
	v_add_nc_u32_e32 v13, 0x3c000000, v13
	s_delay_alu instid0(VALU_DEP_1) | instskip(NEXT) | instid1(VALU_DEP_1)
	v_and_or_b32 v13, 0x7f800000, v15, v13
	v_cndmask_b32_e32 v9, 0, v13, vcc_lo
	s_delay_alu instid0(VALU_DEP_1) | instskip(NEXT) | instid1(VALU_DEP_1)
	v_and_or_b32 v8, 0x80000000, v8, v9
	v_trunc_f32_e32 v8, v8
	s_delay_alu instid0(VALU_DEP_1) | instskip(SKIP_1) | instid1(VALU_DEP_2)
	v_mul_f32_e64 v9, 0x2f800000, |v8|
	v_ashrrev_i32_e32 v15, 31, v8
	v_floor_f32_e32 v9, v9
	s_delay_alu instid0(VALU_DEP_1) | instskip(SKIP_1) | instid1(VALU_DEP_2)
	v_fma_f32 v13, 0xcf800000, v9, |v8|
	v_cvt_u32_f32_e32 v9, v9
	v_cvt_u32_f32_e32 v8, v13
	s_delay_alu instid0(VALU_DEP_2) | instskip(NEXT) | instid1(VALU_DEP_2)
	v_xor_b32_e32 v9, v9, v15
	v_xor_b32_e32 v8, v8, v15
	s_delay_alu instid0(VALU_DEP_1) | instskip(NEXT) | instid1(VALU_DEP_3)
	v_sub_co_u32 v8, vcc_lo, v8, v15
	v_sub_co_ci_u32_e32 v9, vcc_lo, v9, v15, vcc_lo
.LBB377_1483:
	s_mov_b32 s0, 0
.LBB377_1484:
	s_delay_alu instid0(SALU_CYCLE_1)
	s_and_not1_b32 vcc_lo, exec_lo, s0
	s_cbranch_vccnz .LBB377_1486
; %bb.1485:
	global_load_u8 v8, v[11:12], off
	s_waitcnt vmcnt(0)
	v_lshlrev_b32_e32 v9, 25, v8
	v_lshlrev_b16 v8, 8, v8
	s_delay_alu instid0(VALU_DEP_2) | instskip(NEXT) | instid1(VALU_DEP_2)
	v_lshrrev_b32_e32 v13, 4, v9
	v_and_or_b32 v15, 0x7f00, v8, 0.5
	v_cmp_gt_u32_e32 vcc_lo, 0x8000000, v9
	v_bfe_i32 v8, v8, 0, 16
	s_delay_alu instid0(VALU_DEP_4) | instskip(NEXT) | instid1(VALU_DEP_4)
	v_or_b32_e32 v13, 0x70000000, v13
	v_add_f32_e32 v15, -0.5, v15
	s_delay_alu instid0(VALU_DEP_2) | instskip(NEXT) | instid1(VALU_DEP_1)
	v_mul_f32_e32 v13, 0x7800000, v13
	v_cndmask_b32_e32 v9, v13, v15, vcc_lo
	s_delay_alu instid0(VALU_DEP_1) | instskip(NEXT) | instid1(VALU_DEP_1)
	v_and_or_b32 v8, 0x80000000, v8, v9
	v_trunc_f32_e32 v8, v8
	s_delay_alu instid0(VALU_DEP_1) | instskip(SKIP_1) | instid1(VALU_DEP_2)
	v_mul_f32_e64 v9, 0x2f800000, |v8|
	v_ashrrev_i32_e32 v15, 31, v8
	v_floor_f32_e32 v9, v9
	s_delay_alu instid0(VALU_DEP_1) | instskip(SKIP_1) | instid1(VALU_DEP_2)
	v_fma_f32 v13, 0xcf800000, v9, |v8|
	v_cvt_u32_f32_e32 v9, v9
	v_cvt_u32_f32_e32 v8, v13
	s_delay_alu instid0(VALU_DEP_2) | instskip(NEXT) | instid1(VALU_DEP_2)
	v_xor_b32_e32 v9, v9, v15
	v_xor_b32_e32 v8, v8, v15
	s_delay_alu instid0(VALU_DEP_1) | instskip(NEXT) | instid1(VALU_DEP_3)
	v_sub_co_u32 v8, vcc_lo, v8, v15
	v_sub_co_ci_u32_e32 v9, vcc_lo, v9, v15, vcc_lo
.LBB377_1486:
	s_mov_b32 s1, 0
	s_mov_b32 s0, -1
.LBB377_1487:
	s_and_not1_b32 vcc_lo, exec_lo, s1
	s_mov_b32 s3, 0
	s_cbranch_vccnz .LBB377_1496
; %bb.1488:
	v_cmp_lt_i16_e32 vcc_lo, 14, v14
	s_cbranch_vccz .LBB377_1491
; %bb.1489:
	v_cmp_eq_u16_e32 vcc_lo, 15, v14
	s_cbranch_vccz .LBB377_1492
; %bb.1490:
	global_load_u16 v8, v[11:12], off
	s_mov_b32 s2, 0
	s_mov_b32 s0, -1
	s_waitcnt vmcnt(0)
	v_lshlrev_b32_e32 v8, 16, v8
	s_delay_alu instid0(VALU_DEP_1) | instskip(NEXT) | instid1(VALU_DEP_1)
	v_trunc_f32_e32 v8, v8
	v_mul_f32_e64 v9, 0x2f800000, |v8|
	v_ashrrev_i32_e32 v15, 31, v8
	s_delay_alu instid0(VALU_DEP_2) | instskip(NEXT) | instid1(VALU_DEP_1)
	v_floor_f32_e32 v9, v9
	v_fma_f32 v13, 0xcf800000, v9, |v8|
	v_cvt_u32_f32_e32 v9, v9
	s_delay_alu instid0(VALU_DEP_2) | instskip(NEXT) | instid1(VALU_DEP_2)
	v_cvt_u32_f32_e32 v8, v13
	v_xor_b32_e32 v9, v9, v15
	s_delay_alu instid0(VALU_DEP_2) | instskip(NEXT) | instid1(VALU_DEP_1)
	v_xor_b32_e32 v8, v8, v15
	v_sub_co_u32 v8, vcc_lo, v8, v15
	s_delay_alu instid0(VALU_DEP_3)
	v_sub_co_ci_u32_e32 v9, vcc_lo, v9, v15, vcc_lo
	s_branch .LBB377_1493
.LBB377_1491:
	s_mov_b32 s1, -1
                                        ; implicit-def: $vgpr8_vgpr9
	s_branch .LBB377_1494
.LBB377_1492:
	s_mov_b32 s2, -1
                                        ; implicit-def: $vgpr8_vgpr9
.LBB377_1493:
	s_mov_b32 s1, 0
.LBB377_1494:
	s_delay_alu instid0(SALU_CYCLE_1)
	s_and_b32 vcc_lo, exec_lo, s1
	s_cbranch_vccz .LBB377_1496
; %bb.1495:
	v_cmp_ne_u16_e64 s2, 11, v14
	s_mov_b32 s3, -1
                                        ; implicit-def: $vgpr8_vgpr9
.LBB377_1496:
	s_delay_alu instid0(VALU_DEP_1)
	s_and_b32 vcc_lo, exec_lo, s2
	s_cbranch_vccnz .LBB377_1512
; %bb.1497:
	s_and_not1_b32 vcc_lo, exec_lo, s3
	s_cbranch_vccnz .LBB377_1499
.LBB377_1498:
	global_load_u8 v8, v[11:12], off
	s_mov_b32 s0, 0
	s_waitcnt vmcnt(1)
	v_mov_b32_e32 v9, s0
	s_mov_b32 s0, -1
	s_waitcnt vmcnt(0)
	v_cmp_ne_u16_e32 vcc_lo, 0, v8
	v_cndmask_b32_e64 v8, 0, 1, vcc_lo
.LBB377_1499:
.LBB377_1500:
	s_and_not1_b32 vcc_lo, exec_lo, s0
	s_cbranch_vccnz .LBB377_2020
.LBB377_1501:
	v_cmp_gt_i16_e32 vcc_lo, 11, v14
	v_add_co_u32 v12, s0, s6, v10
	s_delay_alu instid0(VALU_DEP_1)
	v_add_co_ci_u32_e64 v13, null, s7, 0, s0
	s_mov_b32 s0, 0
	s_cbranch_vccnz .LBB377_1508
; %bb.1502:
	v_cmp_lt_i16_e32 vcc_lo, 25, v14
	s_mov_b32 s3, 0
	s_cbranch_vccz .LBB377_1509
; %bb.1503:
	v_cmp_lt_i16_e32 vcc_lo, 28, v14
	s_cbranch_vccz .LBB377_1510
; %bb.1504:
	v_cmp_lt_i16_e32 vcc_lo, 43, v14
	;; [unrolled: 3-line block ×3, first 2 shown]
	s_cbranch_vccz .LBB377_1514
; %bb.1506:
	v_cmp_eq_u16_e32 vcc_lo, 46, v14
	s_mov_b32 s1, 0
	s_cbranch_vccz .LBB377_1517
; %bb.1507:
	global_load_b32 v10, v[12:13], off
	s_mov_b32 s2, 0
	s_mov_b32 s0, -1
	s_waitcnt vmcnt(0)
	v_lshlrev_b32_e32 v10, 16, v10
	s_delay_alu instid0(VALU_DEP_1) | instskip(NEXT) | instid1(VALU_DEP_1)
	v_trunc_f32_e32 v10, v10
	v_mul_f32_e64 v11, 0x2f800000, |v10|
	v_ashrrev_i32_e32 v16, 31, v10
	s_delay_alu instid0(VALU_DEP_2) | instskip(NEXT) | instid1(VALU_DEP_1)
	v_floor_f32_e32 v11, v11
	v_fma_f32 v15, 0xcf800000, v11, |v10|
	v_cvt_u32_f32_e32 v11, v11
	s_delay_alu instid0(VALU_DEP_2) | instskip(NEXT) | instid1(VALU_DEP_2)
	v_cvt_u32_f32_e32 v10, v15
	v_xor_b32_e32 v11, v11, v16
	s_delay_alu instid0(VALU_DEP_2) | instskip(NEXT) | instid1(VALU_DEP_1)
	v_xor_b32_e32 v10, v10, v16
	v_sub_co_u32 v10, vcc_lo, v10, v16
	s_delay_alu instid0(VALU_DEP_3)
	v_sub_co_ci_u32_e32 v11, vcc_lo, v11, v16, vcc_lo
	s_branch .LBB377_1519
.LBB377_1508:
	s_mov_b32 s1, -1
                                        ; implicit-def: $vgpr10_vgpr11
	s_branch .LBB377_1581
.LBB377_1509:
	s_mov_b32 s1, -1
	s_mov_b32 s2, 0
                                        ; implicit-def: $vgpr10_vgpr11
	s_branch .LBB377_1548
.LBB377_1510:
	s_mov_b32 s1, -1
	s_mov_b32 s2, 0
                                        ; implicit-def: $vgpr10_vgpr11
	s_branch .LBB377_1529
.LBB377_1511:
	s_mov_b32 s1, -1
	s_mov_b32 s2, 0
                                        ; implicit-def: $vgpr10_vgpr11
	s_branch .LBB377_1524
.LBB377_1512:
	s_cbranch_execnz .LBB377_1515
; %bb.1513:
	s_or_b32 s10, s10, exec_lo
                                        ; implicit-def: $vgpr8_vgpr9
	s_cbranch_execz .LBB377_1498
	s_branch .LBB377_1499
.LBB377_1514:
	s_mov_b32 s1, -1
	s_mov_b32 s2, 0
	s_branch .LBB377_1518
.LBB377_1515:
	s_trap 2
	s_sendmsg_rtn_b32 s0, sendmsg(MSG_RTN_GET_DOORBELL)
	s_mov_b32 ttmp2, m0
	s_waitcnt lgkmcnt(0)
	s_and_b32 s0, s0, 0x3ff
	s_delay_alu instid0(SALU_CYCLE_1) | instskip(NEXT) | instid1(SALU_CYCLE_1)
	s_bitset1_b32 s0, 10
	s_mov_b32 m0, s0
	s_sendmsg sendmsg(MSG_INTERRUPT)
	s_mov_b32 m0, ttmp2
.LBB377_1516:                           ; =>This Inner Loop Header: Depth=1
	s_sethalt 5
	s_branch .LBB377_1516
.LBB377_1517:
	s_mov_b32 s2, -1
.LBB377_1518:
                                        ; implicit-def: $vgpr10_vgpr11
.LBB377_1519:
	s_and_b32 vcc_lo, exec_lo, s1
	s_cbranch_vccz .LBB377_1523
; %bb.1520:
	v_cmp_eq_u16_e32 vcc_lo, 44, v14
	s_cbranch_vccz .LBB377_1522
; %bb.1521:
	global_load_u8 v10, v[12:13], off
	s_mov_b32 s2, 0
	s_mov_b32 s0, -1
	s_waitcnt vmcnt(0)
	v_lshlrev_b32_e32 v11, 23, v10
	s_delay_alu instid0(VALU_DEP_1) | instskip(NEXT) | instid1(VALU_DEP_1)
	v_trunc_f32_e32 v11, v11
	v_mul_f32_e64 v15, 0x2f800000, |v11|
	s_delay_alu instid0(VALU_DEP_1) | instskip(NEXT) | instid1(VALU_DEP_1)
	v_floor_f32_e32 v15, v15
	v_fma_f32 v16, 0xcf800000, v15, |v11|
	v_ashrrev_i32_e32 v11, 31, v11
	v_cvt_u32_f32_e32 v15, v15
	s_delay_alu instid0(VALU_DEP_3) | instskip(NEXT) | instid1(VALU_DEP_2)
	v_cvt_u32_f32_e32 v16, v16
	v_xor_b32_e32 v15, v15, v11
	s_delay_alu instid0(VALU_DEP_2) | instskip(NEXT) | instid1(VALU_DEP_1)
	v_xor_b32_e32 v16, v16, v11
	v_sub_co_u32 v16, vcc_lo, v16, v11
	s_delay_alu instid0(VALU_DEP_3) | instskip(SKIP_1) | instid1(VALU_DEP_2)
	v_sub_co_ci_u32_e32 v11, vcc_lo, v15, v11, vcc_lo
	v_cmp_ne_u32_e32 vcc_lo, 0, v10
	v_dual_cndmask_b32 v10, 0, v16 :: v_dual_cndmask_b32 v11, 0, v11
	s_branch .LBB377_1523
.LBB377_1522:
	s_mov_b32 s2, -1
                                        ; implicit-def: $vgpr10_vgpr11
.LBB377_1523:
	s_mov_b32 s1, 0
.LBB377_1524:
	s_delay_alu instid0(SALU_CYCLE_1)
	s_and_b32 vcc_lo, exec_lo, s1
	s_cbranch_vccz .LBB377_1528
; %bb.1525:
	v_cmp_eq_u16_e32 vcc_lo, 29, v14
	s_cbranch_vccz .LBB377_1527
; %bb.1526:
	global_load_b64 v[10:11], v[12:13], off
	s_mov_b32 s2, 0
	s_mov_b32 s0, -1
	s_branch .LBB377_1528
.LBB377_1527:
	s_mov_b32 s2, -1
                                        ; implicit-def: $vgpr10_vgpr11
.LBB377_1528:
	s_mov_b32 s1, 0
.LBB377_1529:
	s_delay_alu instid0(SALU_CYCLE_1)
	s_and_b32 vcc_lo, exec_lo, s1
	s_cbranch_vccz .LBB377_1547
; %bb.1530:
	v_cmp_gt_i16_e32 vcc_lo, 27, v14
	s_cbranch_vccnz .LBB377_1533
; %bb.1531:
	v_cmp_lt_i16_e32 vcc_lo, 27, v14
	s_cbranch_vccz .LBB377_1534
; %bb.1532:
	global_load_b32 v10, v[12:13], off
	s_waitcnt vmcnt(1)
	v_mov_b32_e32 v11, 0
	s_mov_b32 s0, 0
	s_branch .LBB377_1535
.LBB377_1533:
	s_mov_b32 s0, -1
                                        ; implicit-def: $vgpr10_vgpr11
	s_branch .LBB377_1538
.LBB377_1534:
	s_mov_b32 s0, -1
                                        ; implicit-def: $vgpr10_vgpr11
.LBB377_1535:
	s_delay_alu instid0(SALU_CYCLE_1)
	s_and_not1_b32 vcc_lo, exec_lo, s0
	s_cbranch_vccnz .LBB377_1537
; %bb.1536:
	global_load_u16 v10, v[12:13], off
	s_mov_b32 s0, 0
	s_waitcnt vmcnt(0)
	v_dual_mov_b32 v11, s0 :: v_dual_and_b32 v10, 0xffff, v10
.LBB377_1537:
	s_mov_b32 s0, 0
.LBB377_1538:
	s_delay_alu instid0(SALU_CYCLE_1)
	s_and_not1_b32 vcc_lo, exec_lo, s0
	s_cbranch_vccnz .LBB377_1546
; %bb.1539:
	global_load_u8 v15, v[12:13], off
	s_mov_b32 s6, 0
	s_mov_b32 s7, exec_lo
                                        ; implicit-def: $sgpr0_sgpr1
	s_waitcnt vmcnt(0)
	v_cmpx_lt_i16_e32 0x7f, v15
	s_xor_b32 s7, exec_lo, s7
; %bb.1540:
	v_cmp_ne_u16_e32 vcc_lo, 0x80, v15
	s_mov_b64 s[0:1], 0
	s_and_b32 s6, vcc_lo, exec_lo
; %bb.1541:
	s_or_saveexec_b32 s7, s7
	v_dual_mov_b32 v11, s1 :: v_dual_mov_b32 v10, s0
	s_xor_b32 exec_lo, exec_lo, s7
; %bb.1542:
	v_cmp_ne_u16_e32 vcc_lo, 0, v15
	v_mov_b32_e32 v10, 0
	v_mov_b32_e32 v11, 0
	s_and_not1_b32 s0, s6, exec_lo
	s_and_b32 s1, vcc_lo, exec_lo
	s_delay_alu instid0(SALU_CYCLE_1)
	s_or_b32 s6, s0, s1
; %bb.1543:
	s_or_b32 exec_lo, exec_lo, s7
	s_and_saveexec_b32 s0, s6
	s_cbranch_execz .LBB377_1545
; %bb.1544:
	v_and_b32_e32 v10, 0xffff, v15
	v_lshlrev_b32_e32 v15, 24, v15
	s_delay_alu instid0(VALU_DEP_2) | instskip(NEXT) | instid1(VALU_DEP_2)
	v_and_b32_e32 v11, 7, v10
	v_and_b32_e32 v15, 0x80000000, v15
	s_delay_alu instid0(VALU_DEP_2) | instskip(NEXT) | instid1(VALU_DEP_1)
	v_clz_i32_u32_e32 v16, v11
	v_min_u32_e32 v16, 32, v16
	s_delay_alu instid0(VALU_DEP_1) | instskip(SKIP_1) | instid1(VALU_DEP_2)
	v_subrev_nc_u32_e32 v17, 28, v16
	v_sub_nc_u32_e32 v16, 29, v16
	v_lshlrev_b32_e32 v17, v17, v10
	v_bfe_u32 v10, v10, 3, 4
	s_delay_alu instid0(VALU_DEP_2) | instskip(NEXT) | instid1(VALU_DEP_2)
	v_and_b32_e32 v17, 7, v17
	v_cmp_eq_u32_e32 vcc_lo, 0, v10
	s_delay_alu instid0(VALU_DEP_2) | instskip(NEXT) | instid1(VALU_DEP_1)
	v_dual_cndmask_b32 v10, v10, v16 :: v_dual_cndmask_b32 v11, v11, v17
	v_lshl_add_u32 v10, v10, 23, 0x3b800000
	s_delay_alu instid0(VALU_DEP_2) | instskip(NEXT) | instid1(VALU_DEP_1)
	v_lshlrev_b32_e32 v11, 20, v11
	v_or3_b32 v10, v15, v10, v11
	s_delay_alu instid0(VALU_DEP_1) | instskip(NEXT) | instid1(VALU_DEP_1)
	v_trunc_f32_e32 v10, v10
	v_mul_f32_e64 v11, 0x2f800000, |v10|
	v_ashrrev_i32_e32 v16, 31, v10
	s_delay_alu instid0(VALU_DEP_2) | instskip(NEXT) | instid1(VALU_DEP_1)
	v_floor_f32_e32 v11, v11
	v_fma_f32 v15, 0xcf800000, v11, |v10|
	v_cvt_u32_f32_e32 v11, v11
	s_delay_alu instid0(VALU_DEP_2) | instskip(NEXT) | instid1(VALU_DEP_2)
	v_cvt_u32_f32_e32 v10, v15
	v_xor_b32_e32 v11, v11, v16
	s_delay_alu instid0(VALU_DEP_2) | instskip(NEXT) | instid1(VALU_DEP_1)
	v_xor_b32_e32 v10, v10, v16
	v_sub_co_u32 v10, vcc_lo, v10, v16
	s_delay_alu instid0(VALU_DEP_3)
	v_sub_co_ci_u32_e32 v11, vcc_lo, v11, v16, vcc_lo
.LBB377_1545:
	s_or_b32 exec_lo, exec_lo, s0
.LBB377_1546:
	s_mov_b32 s0, -1
.LBB377_1547:
	s_mov_b32 s1, 0
.LBB377_1548:
	s_delay_alu instid0(SALU_CYCLE_1)
	s_and_b32 vcc_lo, exec_lo, s1
	s_cbranch_vccz .LBB377_1577
; %bb.1549:
	v_cmp_lt_i16_e32 vcc_lo, 22, v14
	s_cbranch_vccz .LBB377_1559
; %bb.1550:
	v_cmp_gt_i16_e32 vcc_lo, 24, v14
	s_cbranch_vccnz .LBB377_1560
; %bb.1551:
	v_cmp_lt_i16_e32 vcc_lo, 24, v14
	s_cbranch_vccz .LBB377_1561
; %bb.1552:
	global_load_u8 v15, v[12:13], off
	s_mov_b32 s6, exec_lo
                                        ; implicit-def: $sgpr0_sgpr1
	s_waitcnt vmcnt(0)
	v_cmpx_lt_i16_e32 0x7f, v15
	s_xor_b32 s6, exec_lo, s6
; %bb.1553:
	v_cmp_ne_u16_e32 vcc_lo, 0x80, v15
	s_mov_b64 s[0:1], 0
	s_and_b32 s3, vcc_lo, exec_lo
; %bb.1554:
	s_or_saveexec_b32 s6, s6
	v_dual_mov_b32 v11, s1 :: v_dual_mov_b32 v10, s0
	s_xor_b32 exec_lo, exec_lo, s6
; %bb.1555:
	v_cmp_ne_u16_e32 vcc_lo, 0, v15
	v_mov_b32_e32 v10, 0
	v_mov_b32_e32 v11, 0
	s_and_not1_b32 s0, s3, exec_lo
	s_and_b32 s1, vcc_lo, exec_lo
	s_delay_alu instid0(SALU_CYCLE_1)
	s_or_b32 s3, s0, s1
; %bb.1556:
	s_or_b32 exec_lo, exec_lo, s6
	s_and_saveexec_b32 s0, s3
	s_cbranch_execz .LBB377_1558
; %bb.1557:
	v_and_b32_e32 v10, 0xffff, v15
	v_lshlrev_b32_e32 v15, 24, v15
	s_delay_alu instid0(VALU_DEP_2) | instskip(NEXT) | instid1(VALU_DEP_2)
	v_and_b32_e32 v11, 3, v10
	v_and_b32_e32 v15, 0x80000000, v15
	s_delay_alu instid0(VALU_DEP_2) | instskip(NEXT) | instid1(VALU_DEP_1)
	v_clz_i32_u32_e32 v16, v11
	v_min_u32_e32 v16, 32, v16
	s_delay_alu instid0(VALU_DEP_1) | instskip(SKIP_1) | instid1(VALU_DEP_2)
	v_subrev_nc_u32_e32 v17, 29, v16
	v_sub_nc_u32_e32 v16, 30, v16
	v_lshlrev_b32_e32 v17, v17, v10
	v_bfe_u32 v10, v10, 2, 5
	s_delay_alu instid0(VALU_DEP_2) | instskip(NEXT) | instid1(VALU_DEP_2)
	v_and_b32_e32 v17, 3, v17
	v_cmp_eq_u32_e32 vcc_lo, 0, v10
	s_delay_alu instid0(VALU_DEP_2) | instskip(NEXT) | instid1(VALU_DEP_1)
	v_dual_cndmask_b32 v10, v10, v16 :: v_dual_cndmask_b32 v11, v11, v17
	v_lshl_add_u32 v10, v10, 23, 0x37800000
	s_delay_alu instid0(VALU_DEP_2) | instskip(NEXT) | instid1(VALU_DEP_1)
	v_lshlrev_b32_e32 v11, 21, v11
	v_or3_b32 v10, v15, v10, v11
	s_delay_alu instid0(VALU_DEP_1) | instskip(NEXT) | instid1(VALU_DEP_1)
	v_trunc_f32_e32 v10, v10
	v_mul_f32_e64 v11, 0x2f800000, |v10|
	v_ashrrev_i32_e32 v16, 31, v10
	s_delay_alu instid0(VALU_DEP_2) | instskip(NEXT) | instid1(VALU_DEP_1)
	v_floor_f32_e32 v11, v11
	v_fma_f32 v15, 0xcf800000, v11, |v10|
	v_cvt_u32_f32_e32 v11, v11
	s_delay_alu instid0(VALU_DEP_2) | instskip(NEXT) | instid1(VALU_DEP_2)
	v_cvt_u32_f32_e32 v10, v15
	v_xor_b32_e32 v11, v11, v16
	s_delay_alu instid0(VALU_DEP_2) | instskip(NEXT) | instid1(VALU_DEP_1)
	v_xor_b32_e32 v10, v10, v16
	v_sub_co_u32 v10, vcc_lo, v10, v16
	s_delay_alu instid0(VALU_DEP_3)
	v_sub_co_ci_u32_e32 v11, vcc_lo, v11, v16, vcc_lo
.LBB377_1558:
	s_or_b32 exec_lo, exec_lo, s0
	s_mov_b32 s0, 0
	s_branch .LBB377_1562
.LBB377_1559:
	s_mov_b32 s1, -1
                                        ; implicit-def: $vgpr10_vgpr11
	s_branch .LBB377_1568
.LBB377_1560:
	s_mov_b32 s0, -1
                                        ; implicit-def: $vgpr10_vgpr11
	s_branch .LBB377_1565
.LBB377_1561:
	s_mov_b32 s0, -1
                                        ; implicit-def: $vgpr10_vgpr11
.LBB377_1562:
	s_delay_alu instid0(SALU_CYCLE_1)
	s_and_b32 vcc_lo, exec_lo, s0
	s_cbranch_vccz .LBB377_1564
; %bb.1563:
	global_load_u8 v10, v[12:13], off
	s_waitcnt vmcnt(0)
	v_lshlrev_b32_e32 v10, 24, v10
	s_delay_alu instid0(VALU_DEP_1) | instskip(NEXT) | instid1(VALU_DEP_1)
	v_and_b32_e32 v11, 0x7f000000, v10
	v_clz_i32_u32_e32 v15, v11
	v_add_nc_u32_e32 v17, 0x1000000, v11
	v_cmp_ne_u32_e32 vcc_lo, 0, v11
	s_delay_alu instid0(VALU_DEP_3) | instskip(NEXT) | instid1(VALU_DEP_1)
	v_min_u32_e32 v15, 32, v15
	v_sub_nc_u32_e64 v15, v15, 4 clamp
	s_delay_alu instid0(VALU_DEP_1) | instskip(SKIP_1) | instid1(VALU_DEP_2)
	v_lshlrev_b32_e32 v16, v15, v11
	v_lshlrev_b32_e32 v15, 23, v15
	v_lshrrev_b32_e32 v16, 4, v16
	s_delay_alu instid0(VALU_DEP_1) | instskip(SKIP_1) | instid1(VALU_DEP_2)
	v_sub_nc_u32_e32 v15, v16, v15
	v_ashrrev_i32_e32 v16, 8, v17
	v_add_nc_u32_e32 v15, 0x3c000000, v15
	s_delay_alu instid0(VALU_DEP_1) | instskip(NEXT) | instid1(VALU_DEP_1)
	v_and_or_b32 v15, 0x7f800000, v16, v15
	v_cndmask_b32_e32 v11, 0, v15, vcc_lo
	s_delay_alu instid0(VALU_DEP_1) | instskip(NEXT) | instid1(VALU_DEP_1)
	v_and_or_b32 v10, 0x80000000, v10, v11
	v_trunc_f32_e32 v10, v10
	s_delay_alu instid0(VALU_DEP_1) | instskip(SKIP_1) | instid1(VALU_DEP_2)
	v_mul_f32_e64 v11, 0x2f800000, |v10|
	v_ashrrev_i32_e32 v16, 31, v10
	v_floor_f32_e32 v11, v11
	s_delay_alu instid0(VALU_DEP_1) | instskip(SKIP_1) | instid1(VALU_DEP_2)
	v_fma_f32 v15, 0xcf800000, v11, |v10|
	v_cvt_u32_f32_e32 v11, v11
	v_cvt_u32_f32_e32 v10, v15
	s_delay_alu instid0(VALU_DEP_2) | instskip(NEXT) | instid1(VALU_DEP_2)
	v_xor_b32_e32 v11, v11, v16
	v_xor_b32_e32 v10, v10, v16
	s_delay_alu instid0(VALU_DEP_1) | instskip(NEXT) | instid1(VALU_DEP_3)
	v_sub_co_u32 v10, vcc_lo, v10, v16
	v_sub_co_ci_u32_e32 v11, vcc_lo, v11, v16, vcc_lo
.LBB377_1564:
	s_mov_b32 s0, 0
.LBB377_1565:
	s_delay_alu instid0(SALU_CYCLE_1)
	s_and_not1_b32 vcc_lo, exec_lo, s0
	s_cbranch_vccnz .LBB377_1567
; %bb.1566:
	global_load_u8 v10, v[12:13], off
	s_waitcnt vmcnt(0)
	v_lshlrev_b32_e32 v11, 25, v10
	v_lshlrev_b16 v10, 8, v10
	s_delay_alu instid0(VALU_DEP_1) | instskip(SKIP_1) | instid1(VALU_DEP_2)
	v_and_or_b32 v16, 0x7f00, v10, 0.5
	v_bfe_i32 v10, v10, 0, 16
	v_add_f32_e32 v16, -0.5, v16
	v_lshrrev_b32_e32 v15, 4, v11
	v_cmp_gt_u32_e32 vcc_lo, 0x8000000, v11
	s_delay_alu instid0(VALU_DEP_2) | instskip(NEXT) | instid1(VALU_DEP_1)
	v_or_b32_e32 v15, 0x70000000, v15
	v_mul_f32_e32 v15, 0x7800000, v15
	s_delay_alu instid0(VALU_DEP_1) | instskip(NEXT) | instid1(VALU_DEP_1)
	v_cndmask_b32_e32 v11, v15, v16, vcc_lo
	v_and_or_b32 v10, 0x80000000, v10, v11
	s_delay_alu instid0(VALU_DEP_1) | instskip(NEXT) | instid1(VALU_DEP_1)
	v_trunc_f32_e32 v10, v10
	v_mul_f32_e64 v11, 0x2f800000, |v10|
	v_ashrrev_i32_e32 v16, 31, v10
	s_delay_alu instid0(VALU_DEP_2) | instskip(NEXT) | instid1(VALU_DEP_1)
	v_floor_f32_e32 v11, v11
	v_fma_f32 v15, 0xcf800000, v11, |v10|
	v_cvt_u32_f32_e32 v11, v11
	s_delay_alu instid0(VALU_DEP_2) | instskip(NEXT) | instid1(VALU_DEP_2)
	v_cvt_u32_f32_e32 v10, v15
	v_xor_b32_e32 v11, v11, v16
	s_delay_alu instid0(VALU_DEP_2) | instskip(NEXT) | instid1(VALU_DEP_1)
	v_xor_b32_e32 v10, v10, v16
	v_sub_co_u32 v10, vcc_lo, v10, v16
	s_delay_alu instid0(VALU_DEP_3)
	v_sub_co_ci_u32_e32 v11, vcc_lo, v11, v16, vcc_lo
.LBB377_1567:
	s_mov_b32 s1, 0
	s_mov_b32 s0, -1
.LBB377_1568:
	s_and_not1_b32 vcc_lo, exec_lo, s1
	s_mov_b32 s3, 0
	s_cbranch_vccnz .LBB377_1577
; %bb.1569:
	v_cmp_lt_i16_e32 vcc_lo, 14, v14
	s_cbranch_vccz .LBB377_1572
; %bb.1570:
	v_cmp_eq_u16_e32 vcc_lo, 15, v14
	s_cbranch_vccz .LBB377_1573
; %bb.1571:
	global_load_u16 v10, v[12:13], off
	s_mov_b32 s2, 0
	s_mov_b32 s0, -1
	s_waitcnt vmcnt(0)
	v_lshlrev_b32_e32 v10, 16, v10
	s_delay_alu instid0(VALU_DEP_1) | instskip(NEXT) | instid1(VALU_DEP_1)
	v_trunc_f32_e32 v10, v10
	v_mul_f32_e64 v11, 0x2f800000, |v10|
	v_ashrrev_i32_e32 v16, 31, v10
	s_delay_alu instid0(VALU_DEP_2) | instskip(NEXT) | instid1(VALU_DEP_1)
	v_floor_f32_e32 v11, v11
	v_fma_f32 v15, 0xcf800000, v11, |v10|
	v_cvt_u32_f32_e32 v11, v11
	s_delay_alu instid0(VALU_DEP_2) | instskip(NEXT) | instid1(VALU_DEP_2)
	v_cvt_u32_f32_e32 v10, v15
	v_xor_b32_e32 v11, v11, v16
	s_delay_alu instid0(VALU_DEP_2) | instskip(NEXT) | instid1(VALU_DEP_1)
	v_xor_b32_e32 v10, v10, v16
	v_sub_co_u32 v10, vcc_lo, v10, v16
	s_delay_alu instid0(VALU_DEP_3)
	v_sub_co_ci_u32_e32 v11, vcc_lo, v11, v16, vcc_lo
	s_branch .LBB377_1574
.LBB377_1572:
	s_mov_b32 s1, -1
                                        ; implicit-def: $vgpr10_vgpr11
	s_branch .LBB377_1575
.LBB377_1573:
	s_mov_b32 s2, -1
                                        ; implicit-def: $vgpr10_vgpr11
.LBB377_1574:
	s_mov_b32 s1, 0
.LBB377_1575:
	s_delay_alu instid0(SALU_CYCLE_1)
	s_and_b32 vcc_lo, exec_lo, s1
	s_cbranch_vccz .LBB377_1577
; %bb.1576:
	v_cmp_ne_u16_e64 s2, 11, v14
	s_mov_b32 s3, -1
                                        ; implicit-def: $vgpr10_vgpr11
.LBB377_1577:
	s_delay_alu instid0(VALU_DEP_1)
	s_and_b32 vcc_lo, exec_lo, s2
	s_cbranch_vccnz .LBB377_1640
; %bb.1578:
	s_and_not1_b32 vcc_lo, exec_lo, s3
	s_cbranch_vccnz .LBB377_1580
.LBB377_1579:
	global_load_u8 v10, v[12:13], off
	s_mov_b32 s0, 0
	s_waitcnt vmcnt(1)
	v_mov_b32_e32 v11, s0
	s_mov_b32 s0, -1
	s_waitcnt vmcnt(0)
	v_cmp_ne_u16_e32 vcc_lo, 0, v10
	v_cndmask_b32_e64 v10, 0, 1, vcc_lo
.LBB377_1580:
	s_mov_b32 s1, 0
.LBB377_1581:
	s_delay_alu instid0(SALU_CYCLE_1)
	s_and_b32 vcc_lo, exec_lo, s1
	s_cbranch_vccz .LBB377_1630
; %bb.1582:
	v_cmp_gt_i16_e32 vcc_lo, 5, v14
	s_cbranch_vccnz .LBB377_1587
; %bb.1583:
	v_cmp_gt_i16_e32 vcc_lo, 8, v14
	s_cbranch_vccnz .LBB377_1588
	;; [unrolled: 3-line block ×3, first 2 shown]
; %bb.1585:
	v_cmp_lt_i16_e32 vcc_lo, 9, v14
	s_cbranch_vccz .LBB377_1590
; %bb.1586:
	global_load_b64 v[10:11], v[12:13], off
	s_mov_b32 s0, 0
	s_waitcnt vmcnt(0)
	v_trunc_f64_e32 v[10:11], v[10:11]
	s_delay_alu instid0(VALU_DEP_1) | instskip(NEXT) | instid1(VALU_DEP_1)
	v_ldexp_f64 v[15:16], v[10:11], 0xffffffe0
	v_floor_f64_e32 v[15:16], v[15:16]
	s_delay_alu instid0(VALU_DEP_1) | instskip(SKIP_1) | instid1(VALU_DEP_2)
	v_fma_f64 v[17:18], 0xc1f00000, v[15:16], v[10:11]
	v_cvt_i32_f64_e32 v11, v[15:16]
	v_cvt_u32_f64_e32 v10, v[17:18]
	s_branch .LBB377_1591
.LBB377_1587:
	s_mov_b32 s0, -1
                                        ; implicit-def: $vgpr10_vgpr11
	s_branch .LBB377_1609
.LBB377_1588:
	s_mov_b32 s0, -1
                                        ; implicit-def: $vgpr10_vgpr11
	s_branch .LBB377_1597
.LBB377_1589:
	s_mov_b32 s0, -1
                                        ; implicit-def: $vgpr10_vgpr11
	s_branch .LBB377_1594
.LBB377_1590:
	s_mov_b32 s0, -1
                                        ; implicit-def: $vgpr10_vgpr11
.LBB377_1591:
	s_delay_alu instid0(SALU_CYCLE_1)
	s_and_not1_b32 vcc_lo, exec_lo, s0
	s_cbranch_vccnz .LBB377_1593
; %bb.1592:
	global_load_b32 v10, v[12:13], off
	s_waitcnt vmcnt(0)
	v_trunc_f32_e32 v10, v10
	s_delay_alu instid0(VALU_DEP_1) | instskip(SKIP_1) | instid1(VALU_DEP_2)
	v_mul_f32_e64 v11, 0x2f800000, |v10|
	v_ashrrev_i32_e32 v16, 31, v10
	v_floor_f32_e32 v11, v11
	s_delay_alu instid0(VALU_DEP_1) | instskip(SKIP_1) | instid1(VALU_DEP_2)
	v_fma_f32 v15, 0xcf800000, v11, |v10|
	v_cvt_u32_f32_e32 v11, v11
	v_cvt_u32_f32_e32 v10, v15
	s_delay_alu instid0(VALU_DEP_2) | instskip(NEXT) | instid1(VALU_DEP_2)
	v_xor_b32_e32 v11, v11, v16
	v_xor_b32_e32 v10, v10, v16
	s_delay_alu instid0(VALU_DEP_1) | instskip(NEXT) | instid1(VALU_DEP_3)
	v_sub_co_u32 v10, vcc_lo, v10, v16
	v_sub_co_ci_u32_e32 v11, vcc_lo, v11, v16, vcc_lo
.LBB377_1593:
	s_mov_b32 s0, 0
.LBB377_1594:
	s_delay_alu instid0(SALU_CYCLE_1)
	s_and_not1_b32 vcc_lo, exec_lo, s0
	s_cbranch_vccnz .LBB377_1596
; %bb.1595:
	global_load_b32 v10, v[12:13], off
	s_waitcnt vmcnt(0)
	v_cvt_f32_f16_e32 v10, v10
	s_delay_alu instid0(VALU_DEP_1) | instskip(NEXT) | instid1(VALU_DEP_1)
	v_cvt_i32_f32_e32 v10, v10
	v_ashrrev_i32_e32 v11, 31, v10
.LBB377_1596:
	s_mov_b32 s0, 0
.LBB377_1597:
	s_delay_alu instid0(SALU_CYCLE_1)
	s_and_not1_b32 vcc_lo, exec_lo, s0
	s_cbranch_vccnz .LBB377_1608
; %bb.1598:
	v_cmp_gt_i16_e32 vcc_lo, 6, v14
	s_cbranch_vccnz .LBB377_1601
; %bb.1599:
	v_cmp_lt_i16_e32 vcc_lo, 6, v14
	s_cbranch_vccz .LBB377_1602
; %bb.1600:
	global_load_b64 v[10:11], v[12:13], off
	s_mov_b32 s0, 0
	s_waitcnt vmcnt(0)
	v_trunc_f64_e32 v[10:11], v[10:11]
	s_delay_alu instid0(VALU_DEP_1) | instskip(NEXT) | instid1(VALU_DEP_1)
	v_ldexp_f64 v[15:16], v[10:11], 0xffffffe0
	v_floor_f64_e32 v[15:16], v[15:16]
	s_delay_alu instid0(VALU_DEP_1) | instskip(SKIP_1) | instid1(VALU_DEP_2)
	v_fma_f64 v[17:18], 0xc1f00000, v[15:16], v[10:11]
	v_cvt_i32_f64_e32 v11, v[15:16]
	v_cvt_u32_f64_e32 v10, v[17:18]
	s_branch .LBB377_1603
.LBB377_1601:
	s_mov_b32 s0, -1
                                        ; implicit-def: $vgpr10_vgpr11
	s_branch .LBB377_1606
.LBB377_1602:
	s_mov_b32 s0, -1
                                        ; implicit-def: $vgpr10_vgpr11
.LBB377_1603:
	s_delay_alu instid0(SALU_CYCLE_1)
	s_and_not1_b32 vcc_lo, exec_lo, s0
	s_cbranch_vccnz .LBB377_1605
; %bb.1604:
	global_load_b32 v10, v[12:13], off
	s_waitcnt vmcnt(0)
	v_trunc_f32_e32 v10, v10
	s_delay_alu instid0(VALU_DEP_1) | instskip(SKIP_1) | instid1(VALU_DEP_2)
	v_mul_f32_e64 v11, 0x2f800000, |v10|
	v_ashrrev_i32_e32 v16, 31, v10
	v_floor_f32_e32 v11, v11
	s_delay_alu instid0(VALU_DEP_1) | instskip(SKIP_1) | instid1(VALU_DEP_2)
	v_fma_f32 v15, 0xcf800000, v11, |v10|
	v_cvt_u32_f32_e32 v11, v11
	v_cvt_u32_f32_e32 v10, v15
	s_delay_alu instid0(VALU_DEP_2) | instskip(NEXT) | instid1(VALU_DEP_2)
	v_xor_b32_e32 v11, v11, v16
	v_xor_b32_e32 v10, v10, v16
	s_delay_alu instid0(VALU_DEP_1) | instskip(NEXT) | instid1(VALU_DEP_3)
	v_sub_co_u32 v10, vcc_lo, v10, v16
	v_sub_co_ci_u32_e32 v11, vcc_lo, v11, v16, vcc_lo
.LBB377_1605:
	s_mov_b32 s0, 0
.LBB377_1606:
	s_delay_alu instid0(SALU_CYCLE_1)
	s_and_not1_b32 vcc_lo, exec_lo, s0
	s_cbranch_vccnz .LBB377_1608
; %bb.1607:
	global_load_u16 v10, v[12:13], off
	s_waitcnt vmcnt(0)
	v_cvt_f32_f16_e32 v10, v10
	s_delay_alu instid0(VALU_DEP_1) | instskip(NEXT) | instid1(VALU_DEP_1)
	v_cvt_i32_f32_e32 v10, v10
	v_ashrrev_i32_e32 v11, 31, v10
.LBB377_1608:
	s_mov_b32 s0, 0
.LBB377_1609:
	s_delay_alu instid0(SALU_CYCLE_1)
	s_and_not1_b32 vcc_lo, exec_lo, s0
	s_cbranch_vccnz .LBB377_1629
; %bb.1610:
	v_cmp_gt_i16_e32 vcc_lo, 2, v14
	s_cbranch_vccnz .LBB377_1614
; %bb.1611:
	v_cmp_gt_i16_e32 vcc_lo, 3, v14
	s_cbranch_vccnz .LBB377_1615
; %bb.1612:
	v_cmp_lt_i16_e32 vcc_lo, 3, v14
	s_cbranch_vccz .LBB377_1616
; %bb.1613:
	global_load_b64 v[10:11], v[12:13], off
	s_mov_b32 s0, 0
	s_branch .LBB377_1617
.LBB377_1614:
	s_mov_b32 s0, -1
                                        ; implicit-def: $vgpr10_vgpr11
	s_branch .LBB377_1623
.LBB377_1615:
	s_mov_b32 s0, -1
                                        ; implicit-def: $vgpr10_vgpr11
	s_branch .LBB377_1620
.LBB377_1616:
	s_mov_b32 s0, -1
                                        ; implicit-def: $vgpr10_vgpr11
.LBB377_1617:
	s_delay_alu instid0(SALU_CYCLE_1)
	s_and_not1_b32 vcc_lo, exec_lo, s0
	s_cbranch_vccnz .LBB377_1619
; %bb.1618:
	global_load_b32 v10, v[12:13], off
	s_waitcnt vmcnt(0)
	v_ashrrev_i32_e32 v11, 31, v10
.LBB377_1619:
	s_mov_b32 s0, 0
.LBB377_1620:
	s_delay_alu instid0(SALU_CYCLE_1)
	s_and_not1_b32 vcc_lo, exec_lo, s0
	s_cbranch_vccnz .LBB377_1622
; %bb.1621:
	global_load_u16 v10, v[12:13], off
	s_waitcnt vmcnt(0)
	v_bfe_i32 v10, v10, 0, 16
	s_delay_alu instid0(VALU_DEP_1)
	v_ashrrev_i32_e32 v11, 31, v10
.LBB377_1622:
	s_mov_b32 s0, 0
.LBB377_1623:
	s_delay_alu instid0(SALU_CYCLE_1)
	s_and_not1_b32 vcc_lo, exec_lo, s0
	s_cbranch_vccnz .LBB377_1629
; %bb.1624:
	v_cmp_lt_i16_e32 vcc_lo, 0, v14
	s_mov_b32 s0, 0
	s_cbranch_vccz .LBB377_1626
; %bb.1625:
	global_load_i8 v10, v[12:13], off
	s_waitcnt vmcnt(0)
	v_bfe_i32 v10, v10, 0, 16
	s_delay_alu instid0(VALU_DEP_1)
	v_ashrrev_i32_e32 v11, 31, v10
	s_branch .LBB377_1627
.LBB377_1626:
	s_mov_b32 s0, -1
                                        ; implicit-def: $vgpr10_vgpr11
.LBB377_1627:
	s_delay_alu instid0(SALU_CYCLE_1)
	s_and_not1_b32 vcc_lo, exec_lo, s0
	s_cbranch_vccnz .LBB377_1629
; %bb.1628:
	global_load_u8 v10, v[12:13], off
	s_mov_b32 s0, 0
	s_waitcnt vmcnt(0)
	v_dual_mov_b32 v11, s0 :: v_dual_and_b32 v10, 0xffff, v10
.LBB377_1629:
	s_mov_b32 s0, -1
.LBB377_1630:
	s_delay_alu instid0(SALU_CYCLE_1)
	s_and_not1_b32 vcc_lo, exec_lo, s0
	s_cbranch_vccnz .LBB377_2020
; %bb.1631:
	s_clause 0x1
	s_load_b64 s[2:3], s[16:17], 0x158
	s_load_b32 s0, s[16:17], 0x160
	v_add_co_u32 v12, s1, s4, v3
	s_delay_alu instid0(VALU_DEP_1) | instskip(SKIP_4) | instid1(SALU_CYCLE_1)
	v_add_co_ci_u32_e64 v13, null, s5, 0, s1
	s_mov_b32 s7, 0
	s_waitcnt vmcnt(0) lgkmcnt(0)
	v_cmp_lt_i64_e32 vcc_lo, s[2:3], v[4:5]
	s_and_b32 s6, s0, 0xff
	v_cmp_lt_i16_e64 s0, s6, 11
	v_cndmask_b32_e32 v5, s3, v5, vcc_lo
	v_cndmask_b32_e32 v4, s2, v4, vcc_lo
	s_delay_alu instid0(VALU_DEP_3)
	s_and_b32 vcc_lo, exec_lo, s0
	s_mov_b32 s0, -1
	s_cbranch_vccnz .LBB377_1714
; %bb.1632:
	v_cmp_gt_i16_e64 s0, s6, 25
	s_mov_b32 s11, -1
	s_mov_b32 s1, 0
	s_delay_alu instid0(VALU_DEP_1)
	s_and_b32 vcc_lo, exec_lo, s0
	s_mov_b32 s0, 0
	s_cbranch_vccz .LBB377_1670
; %bb.1633:
	v_cmp_gt_i16_e64 s0, s6, 28
	s_delay_alu instid0(VALU_DEP_1)
	s_and_b32 vcc_lo, exec_lo, s0
	s_cbranch_vccz .LBB377_1638
; %bb.1634:
	v_cmp_gt_i16_e64 s0, s6, 43
	s_delay_alu instid0(VALU_DEP_1)
	s_and_b32 vcc_lo, exec_lo, s0
	;; [unrolled: 5-line block ×3, first 2 shown]
	s_cbranch_vccz .LBB377_1642
; %bb.1636:
	v_cmp_eq_u16_e64 s7, s6, 46
	s_mov_b32 s0, -1
	s_mov_b32 s11, 0
	s_delay_alu instid0(VALU_DEP_1)
	s_and_b32 vcc_lo, exec_lo, s7
	s_mov_b32 s7, 0
	s_cbranch_vccz .LBB377_1643
; %bb.1637:
	v_xor_b32_e32 v3, v4, v5
	v_cls_i32_e32 v14, v5
	s_mov_b32 s7, -1
	s_mov_b32 s0, 0
	s_delay_alu instid0(VALU_DEP_2) | instskip(NEXT) | instid1(VALU_DEP_2)
	v_ashrrev_i32_e32 v3, 31, v3
	v_add_nc_u32_e32 v14, -1, v14
	s_delay_alu instid0(VALU_DEP_2) | instskip(NEXT) | instid1(VALU_DEP_1)
	v_add_nc_u32_e32 v3, 32, v3
	v_min_u32_e32 v3, v14, v3
	s_delay_alu instid0(VALU_DEP_1) | instskip(SKIP_1) | instid1(VALU_DEP_2)
	v_lshlrev_b64 v[14:15], v3, v[4:5]
	v_sub_nc_u32_e32 v3, 32, v3
	v_min_u32_e32 v14, 1, v14
	s_delay_alu instid0(VALU_DEP_1) | instskip(NEXT) | instid1(VALU_DEP_1)
	v_or_b32_e32 v14, v15, v14
	v_cvt_f32_i32_e32 v14, v14
	s_delay_alu instid0(VALU_DEP_1) | instskip(NEXT) | instid1(VALU_DEP_1)
	v_ldexp_f32 v3, v14, v3
	v_bfe_u32 v14, v3, 16, 1
	s_delay_alu instid0(VALU_DEP_1) | instskip(NEXT) | instid1(VALU_DEP_1)
	v_add3_u32 v3, v3, v14, 0x7fff
	v_lshrrev_b32_e32 v3, 16, v3
	global_store_b32 v[12:13], v3, off
	s_branch .LBB377_1643
.LBB377_1638:
	s_mov_b32 s0, 0
	s_branch .LBB377_1653
.LBB377_1639:
	s_mov_b32 s0, 0
	s_branch .LBB377_1649
.LBB377_1640:
	s_cbranch_execnz .LBB377_1765
; %bb.1641:
	s_or_b32 s10, s10, exec_lo
                                        ; implicit-def: $vgpr10_vgpr11
	s_cbranch_execz .LBB377_1579
	s_branch .LBB377_1580
.LBB377_1642:
	s_mov_b32 s0, 0
.LBB377_1643:
	s_and_b32 vcc_lo, exec_lo, s11
	s_cbranch_vccz .LBB377_1648
; %bb.1644:
	v_cmp_eq_u16_e64 s0, s6, 44
	s_delay_alu instid0(VALU_DEP_1)
	s_and_b32 vcc_lo, exec_lo, s0
	s_mov_b32 s0, -1
	s_cbranch_vccz .LBB377_1648
; %bb.1645:
	v_xor_b32_e32 v3, v4, v5
	v_cls_i32_e32 v14, v5
	s_mov_b32 s7, -1
	s_mov_b32 s11, exec_lo
	s_delay_alu instid0(VALU_DEP_2) | instskip(NEXT) | instid1(VALU_DEP_2)
	v_ashrrev_i32_e32 v3, 31, v3
	v_add_nc_u32_e32 v14, -1, v14
	s_delay_alu instid0(VALU_DEP_2) | instskip(NEXT) | instid1(VALU_DEP_1)
	v_add_nc_u32_e32 v3, 32, v3
	v_min_u32_e32 v3, v14, v3
	s_delay_alu instid0(VALU_DEP_1) | instskip(SKIP_1) | instid1(VALU_DEP_2)
	v_lshlrev_b64 v[14:15], v3, v[4:5]
	v_sub_nc_u32_e32 v3, 32, v3
	v_min_u32_e32 v14, 1, v14
	s_delay_alu instid0(VALU_DEP_1) | instskip(NEXT) | instid1(VALU_DEP_1)
	v_or_b32_e32 v14, v15, v14
	v_cvt_f32_i32_e32 v14, v14
	s_delay_alu instid0(VALU_DEP_1) | instskip(SKIP_1) | instid1(VALU_DEP_2)
	v_ldexp_f32 v3, v14, v3
	v_mov_b32_e32 v14, 0xff
	v_bfe_u32 v15, v3, 23, 8
	s_delay_alu instid0(VALU_DEP_1)
	v_cmpx_ne_u32_e32 0xff, v15
; %bb.1646:
	v_and_b32_e32 v14, 0x400000, v3
	v_and_or_b32 v15, 0x3fffff, v3, v15
	v_lshrrev_b32_e32 v3, 23, v3
	s_delay_alu instid0(VALU_DEP_3) | instskip(NEXT) | instid1(VALU_DEP_3)
	v_cmp_ne_u32_e32 vcc_lo, 0, v14
	v_cmp_ne_u32_e64 s0, 0, v15
	s_delay_alu instid0(VALU_DEP_1) | instskip(NEXT) | instid1(SALU_CYCLE_1)
	s_and_b32 s0, vcc_lo, s0
	v_cndmask_b32_e64 v14, 0, 1, s0
	s_delay_alu instid0(VALU_DEP_1)
	v_add_nc_u32_e32 v14, v3, v14
; %bb.1647:
	s_or_b32 exec_lo, exec_lo, s11
	s_mov_b32 s0, 0
	global_store_b8 v[12:13], v14, off
.LBB377_1648:
	s_mov_b32 s11, 0
.LBB377_1649:
	s_delay_alu instid0(SALU_CYCLE_1)
	s_and_b32 vcc_lo, exec_lo, s11
	s_cbranch_vccz .LBB377_1652
; %bb.1650:
	v_cmp_eq_u16_e64 s0, s6, 29
	s_delay_alu instid0(VALU_DEP_1)
	s_and_b32 vcc_lo, exec_lo, s0
	s_mov_b32 s0, -1
	s_cbranch_vccz .LBB377_1652
; %bb.1651:
	s_mov_b32 s0, 0
	s_mov_b32 s7, -1
	global_store_b64 v[12:13], v[4:5], off
.LBB377_1652:
	s_mov_b32 s11, 0
.LBB377_1653:
	s_delay_alu instid0(SALU_CYCLE_1)
	s_and_b32 vcc_lo, exec_lo, s11
	s_cbranch_vccz .LBB377_1669
; %bb.1654:
	v_cmp_lt_i16_e64 s7, s6, 27
	s_delay_alu instid0(VALU_DEP_1)
	s_and_b32 vcc_lo, exec_lo, s7
	s_mov_b32 s7, -1
	s_cbranch_vccnz .LBB377_1660
; %bb.1655:
	v_cmp_gt_i16_e64 s7, s6, 27
	s_delay_alu instid0(VALU_DEP_1)
	s_and_b32 vcc_lo, exec_lo, s7
	s_mov_b32 s7, -1
	s_cbranch_vccz .LBB377_1657
; %bb.1656:
	s_mov_b32 s7, 0
	global_store_b32 v[12:13], v4, off
.LBB377_1657:
	s_and_not1_b32 vcc_lo, exec_lo, s7
	s_cbranch_vccnz .LBB377_1659
; %bb.1658:
	global_store_b16 v[12:13], v4, off
.LBB377_1659:
	s_mov_b32 s7, 0
.LBB377_1660:
	s_delay_alu instid0(SALU_CYCLE_1)
	s_and_not1_b32 vcc_lo, exec_lo, s7
	s_cbranch_vccnz .LBB377_1668
; %bb.1661:
	v_xor_b32_e32 v3, v4, v5
	v_cls_i32_e32 v14, v5
	s_mov_b32 s7, exec_lo
	s_delay_alu instid0(VALU_DEP_2) | instskip(NEXT) | instid1(VALU_DEP_2)
	v_ashrrev_i32_e32 v3, 31, v3
	v_add_nc_u32_e32 v14, -1, v14
	s_delay_alu instid0(VALU_DEP_2) | instskip(NEXT) | instid1(VALU_DEP_1)
	v_add_nc_u32_e32 v3, 32, v3
	v_min_u32_e32 v3, v14, v3
	s_delay_alu instid0(VALU_DEP_1) | instskip(SKIP_1) | instid1(VALU_DEP_2)
	v_lshlrev_b64 v[14:15], v3, v[4:5]
	v_sub_nc_u32_e32 v3, 32, v3
	v_min_u32_e32 v14, 1, v14
	s_delay_alu instid0(VALU_DEP_1) | instskip(SKIP_1) | instid1(VALU_DEP_2)
	v_or_b32_e32 v14, v15, v14
	v_mov_b32_e32 v15, 0x80
	v_cvt_f32_i32_e32 v14, v14
	s_delay_alu instid0(VALU_DEP_1) | instskip(NEXT) | instid1(VALU_DEP_1)
	v_ldexp_f32 v3, v14, v3
	v_and_b32_e32 v14, 0x7fffffff, v3
	s_delay_alu instid0(VALU_DEP_1)
	v_cmpx_gt_u32_e32 0x43800000, v14
	s_cbranch_execz .LBB377_1667
; %bb.1662:
	v_cmp_lt_u32_e32 vcc_lo, 0x3bffffff, v14
	s_mov_b32 s11, 0
                                        ; implicit-def: $vgpr14
	s_and_saveexec_b32 s12, vcc_lo
	s_delay_alu instid0(SALU_CYCLE_1)
	s_xor_b32 s12, exec_lo, s12
	s_cbranch_execz .LBB377_1762
; %bb.1663:
	v_bfe_u32 v14, v3, 20, 1
	s_mov_b32 s11, exec_lo
	s_delay_alu instid0(VALU_DEP_1) | instskip(NEXT) | instid1(VALU_DEP_1)
	v_add3_u32 v14, v3, v14, 0x487ffff
	v_lshrrev_b32_e32 v14, 20, v14
	s_or_saveexec_b32 s12, s12
                                        ; implicit-def: $sgpr13
	s_delay_alu instid0(SALU_CYCLE_1)
	s_xor_b32 exec_lo, exec_lo, s12
	s_cbranch_execnz .LBB377_1763
.LBB377_1664:
	s_or_b32 exec_lo, exec_lo, s12
	v_mov_b32_e32 v15, s13
	s_and_saveexec_b32 s12, s11
.LBB377_1665:
	v_lshrrev_b32_e32 v3, 24, v3
	s_delay_alu instid0(VALU_DEP_1)
	v_and_or_b32 v15, 0x80, v3, v14
.LBB377_1666:
	s_or_b32 exec_lo, exec_lo, s12
.LBB377_1667:
	s_delay_alu instid0(SALU_CYCLE_1)
	s_or_b32 exec_lo, exec_lo, s7
	global_store_b8 v[12:13], v15, off
.LBB377_1668:
	s_mov_b32 s7, -1
.LBB377_1669:
	s_mov_b32 s11, 0
.LBB377_1670:
	s_delay_alu instid0(SALU_CYCLE_1)
	s_and_b32 vcc_lo, exec_lo, s11
	s_cbranch_vccz .LBB377_1710
; %bb.1671:
	v_cmp_gt_i16_e64 s1, s6, 22
	s_delay_alu instid0(VALU_DEP_1)
	s_and_b32 vcc_lo, exec_lo, s1
	s_mov_b32 s1, -1
	s_cbranch_vccz .LBB377_1703
; %bb.1672:
	v_cmp_lt_i16_e64 s1, s6, 24
	s_delay_alu instid0(VALU_DEP_1)
	s_and_b32 vcc_lo, exec_lo, s1
	s_mov_b32 s1, -1
	s_cbranch_vccnz .LBB377_1692
; %bb.1673:
	v_cmp_gt_i16_e64 s1, s6, 24
	s_delay_alu instid0(VALU_DEP_1)
	s_and_b32 vcc_lo, exec_lo, s1
	s_mov_b32 s1, -1
	s_cbranch_vccz .LBB377_1681
; %bb.1674:
	v_xor_b32_e32 v3, v4, v5
	v_cls_i32_e32 v14, v5
	s_mov_b32 s1, exec_lo
	s_delay_alu instid0(VALU_DEP_2) | instskip(NEXT) | instid1(VALU_DEP_2)
	v_ashrrev_i32_e32 v3, 31, v3
	v_add_nc_u32_e32 v14, -1, v14
	s_delay_alu instid0(VALU_DEP_2) | instskip(NEXT) | instid1(VALU_DEP_1)
	v_add_nc_u32_e32 v3, 32, v3
	v_min_u32_e32 v3, v14, v3
	s_delay_alu instid0(VALU_DEP_1) | instskip(SKIP_1) | instid1(VALU_DEP_2)
	v_lshlrev_b64 v[14:15], v3, v[4:5]
	v_sub_nc_u32_e32 v3, 32, v3
	v_min_u32_e32 v14, 1, v14
	s_delay_alu instid0(VALU_DEP_1) | instskip(SKIP_1) | instid1(VALU_DEP_2)
	v_or_b32_e32 v14, v15, v14
	v_mov_b32_e32 v15, 0x80
	v_cvt_f32_i32_e32 v14, v14
	s_delay_alu instid0(VALU_DEP_1) | instskip(NEXT) | instid1(VALU_DEP_1)
	v_ldexp_f32 v3, v14, v3
	v_and_b32_e32 v14, 0x7fffffff, v3
	s_delay_alu instid0(VALU_DEP_1)
	v_cmpx_gt_u32_e32 0x47800000, v14
	s_cbranch_execz .LBB377_1680
; %bb.1675:
	v_cmp_lt_u32_e32 vcc_lo, 0x37ffffff, v14
	s_mov_b32 s7, 0
                                        ; implicit-def: $vgpr14
	s_and_saveexec_b32 s11, vcc_lo
	s_delay_alu instid0(SALU_CYCLE_1)
	s_xor_b32 s11, exec_lo, s11
	s_cbranch_execz .LBB377_1769
; %bb.1676:
	v_bfe_u32 v14, v3, 21, 1
	s_mov_b32 s7, exec_lo
	s_delay_alu instid0(VALU_DEP_1) | instskip(NEXT) | instid1(VALU_DEP_1)
	v_add3_u32 v14, v3, v14, 0x88fffff
	v_lshrrev_b32_e32 v14, 21, v14
	s_or_saveexec_b32 s11, s11
                                        ; implicit-def: $sgpr12
	s_delay_alu instid0(SALU_CYCLE_1)
	s_xor_b32 exec_lo, exec_lo, s11
	s_cbranch_execnz .LBB377_1770
.LBB377_1677:
	s_or_b32 exec_lo, exec_lo, s11
	v_mov_b32_e32 v15, s12
	s_and_saveexec_b32 s11, s7
.LBB377_1678:
	v_lshrrev_b32_e32 v3, 24, v3
	s_delay_alu instid0(VALU_DEP_1)
	v_and_or_b32 v15, 0x80, v3, v14
.LBB377_1679:
	s_or_b32 exec_lo, exec_lo, s11
.LBB377_1680:
	s_delay_alu instid0(SALU_CYCLE_1)
	s_or_b32 exec_lo, exec_lo, s1
	s_mov_b32 s1, 0
	global_store_b8 v[12:13], v15, off
.LBB377_1681:
	s_and_b32 vcc_lo, exec_lo, s1
	s_cbranch_vccz .LBB377_1691
; %bb.1682:
	v_xor_b32_e32 v3, v4, v5
	v_cls_i32_e32 v14, v5
	s_mov_b32 s1, exec_lo
	s_delay_alu instid0(VALU_DEP_2) | instskip(NEXT) | instid1(VALU_DEP_2)
	v_ashrrev_i32_e32 v3, 31, v3
	v_add_nc_u32_e32 v14, -1, v14
	s_delay_alu instid0(VALU_DEP_2) | instskip(NEXT) | instid1(VALU_DEP_1)
	v_add_nc_u32_e32 v3, 32, v3
	v_min_u32_e32 v3, v14, v3
	s_delay_alu instid0(VALU_DEP_1) | instskip(SKIP_1) | instid1(VALU_DEP_2)
	v_lshlrev_b64 v[14:15], v3, v[4:5]
	v_sub_nc_u32_e32 v3, 32, v3
	v_min_u32_e32 v14, 1, v14
	s_delay_alu instid0(VALU_DEP_1) | instskip(NEXT) | instid1(VALU_DEP_1)
	v_or_b32_e32 v14, v15, v14
	v_cvt_f32_i32_e32 v14, v14
	s_delay_alu instid0(VALU_DEP_1) | instskip(NEXT) | instid1(VALU_DEP_1)
	v_ldexp_f32 v3, v14, v3
                                        ; implicit-def: $vgpr14
	v_and_b32_e32 v15, 0x7fffffff, v3
	s_delay_alu instid0(VALU_DEP_1)
	v_cmpx_gt_u32_e32 0x43f00000, v15
	s_xor_b32 s1, exec_lo, s1
	s_cbranch_execz .LBB377_1688
; %bb.1683:
	s_mov_b32 s7, exec_lo
                                        ; implicit-def: $vgpr14
	v_cmpx_lt_u32_e32 0x3c7fffff, v15
	s_xor_b32 s7, exec_lo, s7
; %bb.1684:
	v_bfe_u32 v14, v3, 20, 1
	s_delay_alu instid0(VALU_DEP_1) | instskip(NEXT) | instid1(VALU_DEP_1)
	v_add3_u32 v14, v3, v14, 0x407ffff
	v_and_b32_e32 v15, 0xff00000, v14
	v_lshrrev_b32_e32 v14, 20, v14
	s_delay_alu instid0(VALU_DEP_2) | instskip(NEXT) | instid1(VALU_DEP_2)
	v_cmp_ne_u32_e32 vcc_lo, 0x7f00000, v15
	v_cndmask_b32_e32 v14, 0x7e, v14, vcc_lo
; %bb.1685:
	s_and_not1_saveexec_b32 s7, s7
; %bb.1686:
	v_add_f32_e64 v14, 0x46800000, |v3|
; %bb.1687:
	s_or_b32 exec_lo, exec_lo, s7
                                        ; implicit-def: $vgpr15
.LBB377_1688:
	s_and_not1_saveexec_b32 s1, s1
; %bb.1689:
	v_mov_b32_e32 v14, 0x7f
	v_cmp_lt_u32_e32 vcc_lo, 0x7f800000, v15
	s_delay_alu instid0(VALU_DEP_2)
	v_cndmask_b32_e32 v14, 0x7e, v14, vcc_lo
; %bb.1690:
	s_or_b32 exec_lo, exec_lo, s1
	v_lshrrev_b32_e32 v3, 24, v3
	s_delay_alu instid0(VALU_DEP_1)
	v_and_or_b32 v3, 0x80, v3, v14
	global_store_b8 v[12:13], v3, off
.LBB377_1691:
	s_mov_b32 s1, 0
.LBB377_1692:
	s_delay_alu instid0(SALU_CYCLE_1)
	s_and_not1_b32 vcc_lo, exec_lo, s1
	s_cbranch_vccnz .LBB377_1702
; %bb.1693:
	v_xor_b32_e32 v3, v4, v5
	v_cls_i32_e32 v14, v5
	s_mov_b32 s1, exec_lo
	s_delay_alu instid0(VALU_DEP_2) | instskip(NEXT) | instid1(VALU_DEP_2)
	v_ashrrev_i32_e32 v3, 31, v3
	v_add_nc_u32_e32 v14, -1, v14
	s_delay_alu instid0(VALU_DEP_2) | instskip(NEXT) | instid1(VALU_DEP_1)
	v_add_nc_u32_e32 v3, 32, v3
	v_min_u32_e32 v3, v14, v3
	s_delay_alu instid0(VALU_DEP_1) | instskip(SKIP_1) | instid1(VALU_DEP_2)
	v_lshlrev_b64 v[14:15], v3, v[4:5]
	v_sub_nc_u32_e32 v3, 32, v3
	v_min_u32_e32 v14, 1, v14
	s_delay_alu instid0(VALU_DEP_1) | instskip(NEXT) | instid1(VALU_DEP_1)
	v_or_b32_e32 v14, v15, v14
	v_cvt_f32_i32_e32 v14, v14
	s_delay_alu instid0(VALU_DEP_1) | instskip(NEXT) | instid1(VALU_DEP_1)
	v_ldexp_f32 v3, v14, v3
                                        ; implicit-def: $vgpr14
	v_and_b32_e32 v15, 0x7fffffff, v3
	s_delay_alu instid0(VALU_DEP_1)
	v_cmpx_gt_u32_e32 0x47800000, v15
	s_xor_b32 s1, exec_lo, s1
	s_cbranch_execz .LBB377_1699
; %bb.1694:
	s_mov_b32 s7, exec_lo
                                        ; implicit-def: $vgpr14
	v_cmpx_lt_u32_e32 0x387fffff, v15
	s_xor_b32 s7, exec_lo, s7
; %bb.1695:
	v_bfe_u32 v14, v3, 21, 1
	s_delay_alu instid0(VALU_DEP_1) | instskip(NEXT) | instid1(VALU_DEP_1)
	v_add3_u32 v14, v3, v14, 0x80fffff
	v_lshrrev_b32_e32 v14, 21, v14
; %bb.1696:
	s_and_not1_saveexec_b32 s7, s7
; %bb.1697:
	v_add_f32_e64 v14, 0x43000000, |v3|
; %bb.1698:
	s_or_b32 exec_lo, exec_lo, s7
                                        ; implicit-def: $vgpr15
.LBB377_1699:
	s_and_not1_saveexec_b32 s1, s1
; %bb.1700:
	v_mov_b32_e32 v14, 0x7f
	v_cmp_lt_u32_e32 vcc_lo, 0x7f800000, v15
	s_delay_alu instid0(VALU_DEP_2)
	v_cndmask_b32_e32 v14, 0x7c, v14, vcc_lo
; %bb.1701:
	s_or_b32 exec_lo, exec_lo, s1
	v_lshrrev_b32_e32 v3, 24, v3
	s_delay_alu instid0(VALU_DEP_1)
	v_and_or_b32 v3, 0x80, v3, v14
	global_store_b8 v[12:13], v3, off
.LBB377_1702:
	s_mov_b32 s1, 0
	s_mov_b32 s7, -1
.LBB377_1703:
	s_and_not1_b32 vcc_lo, exec_lo, s1
	s_mov_b32 s1, 0
	s_cbranch_vccnz .LBB377_1710
; %bb.1704:
	v_cmp_gt_i16_e64 s1, s6, 14
	s_delay_alu instid0(VALU_DEP_1)
	s_and_b32 vcc_lo, exec_lo, s1
	s_mov_b32 s1, -1
	s_cbranch_vccz .LBB377_1708
; %bb.1705:
	v_cmp_eq_u16_e64 s0, s6, 15
	s_delay_alu instid0(VALU_DEP_1)
	s_and_b32 vcc_lo, exec_lo, s0
	s_mov_b32 s0, -1
	s_cbranch_vccz .LBB377_1707
; %bb.1706:
	v_xor_b32_e32 v3, v4, v5
	v_cls_i32_e32 v14, v5
	s_mov_b32 s7, -1
	s_mov_b32 s0, 0
	s_delay_alu instid0(VALU_DEP_2) | instskip(NEXT) | instid1(VALU_DEP_2)
	v_ashrrev_i32_e32 v3, 31, v3
	v_add_nc_u32_e32 v14, -1, v14
	s_delay_alu instid0(VALU_DEP_2) | instskip(NEXT) | instid1(VALU_DEP_1)
	v_add_nc_u32_e32 v3, 32, v3
	v_min_u32_e32 v3, v14, v3
	s_delay_alu instid0(VALU_DEP_1) | instskip(SKIP_1) | instid1(VALU_DEP_2)
	v_lshlrev_b64 v[14:15], v3, v[4:5]
	v_sub_nc_u32_e32 v3, 32, v3
	v_min_u32_e32 v14, 1, v14
	s_delay_alu instid0(VALU_DEP_1) | instskip(NEXT) | instid1(VALU_DEP_1)
	v_or_b32_e32 v14, v15, v14
	v_cvt_f32_i32_e32 v14, v14
	s_delay_alu instid0(VALU_DEP_1) | instskip(NEXT) | instid1(VALU_DEP_1)
	v_ldexp_f32 v3, v14, v3
	v_bfe_u32 v14, v3, 16, 1
	s_delay_alu instid0(VALU_DEP_1)
	v_add3_u32 v3, v3, v14, 0x7fff
	global_store_d16_hi_b16 v[12:13], v3, off
.LBB377_1707:
	s_mov_b32 s1, 0
.LBB377_1708:
	s_delay_alu instid0(SALU_CYCLE_1)
	s_and_b32 vcc_lo, exec_lo, s1
	s_mov_b32 s1, 0
	s_cbranch_vccz .LBB377_1710
; %bb.1709:
	v_cmp_ne_u16_e64 s0, s6, 11
	s_mov_b32 s1, -1
.LBB377_1710:
	s_delay_alu instid0(VALU_DEP_1)
	s_and_b32 vcc_lo, exec_lo, s0
	s_cbranch_vccnz .LBB377_1767
; %bb.1711:
	s_and_not1_b32 vcc_lo, exec_lo, s1
	s_cbranch_vccnz .LBB377_1713
.LBB377_1712:
	v_cmp_ne_u64_e32 vcc_lo, 0, v[4:5]
	s_mov_b32 s7, -1
	v_cndmask_b32_e64 v3, 0, 1, vcc_lo
	global_store_b8 v[12:13], v3, off
.LBB377_1713:
	s_mov_b32 s0, 0
.LBB377_1714:
	s_delay_alu instid0(SALU_CYCLE_1)
	s_and_b32 vcc_lo, exec_lo, s0
	s_cbranch_vccz .LBB377_1753
; %bb.1715:
	v_cmp_lt_i16_e64 s0, s6, 5
	s_delay_alu instid0(VALU_DEP_1)
	s_and_b32 vcc_lo, exec_lo, s0
	s_mov_b32 s0, -1
	s_cbranch_vccnz .LBB377_1736
; %bb.1716:
	v_cmp_lt_i16_e64 s0, s6, 8
	s_delay_alu instid0(VALU_DEP_1)
	s_and_b32 vcc_lo, exec_lo, s0
	s_mov_b32 s0, -1
	s_cbranch_vccnz .LBB377_1726
	;; [unrolled: 6-line block ×3, first 2 shown]
; %bb.1718:
	v_cmp_gt_i16_e64 s0, s6, 9
	s_delay_alu instid0(VALU_DEP_1)
	s_and_b32 vcc_lo, exec_lo, s0
	s_mov_b32 s0, -1
	s_cbranch_vccz .LBB377_1720
; %bb.1719:
	v_cvt_f64_i32_e32 v[14:15], v5
	v_cvt_f64_u32_e32 v[16:17], v4
	s_mov_b32 s0, 0
	s_delay_alu instid0(VALU_DEP_2) | instskip(NEXT) | instid1(VALU_DEP_1)
	v_ldexp_f64 v[14:15], v[14:15], 32
	v_add_f64 v[14:15], v[14:15], v[16:17]
	v_mov_b32_e32 v16, 0
	s_delay_alu instid0(VALU_DEP_1)
	v_mov_b32_e32 v17, v16
	global_store_b128 v[12:13], v[14:17], off
.LBB377_1720:
	s_and_not1_b32 vcc_lo, exec_lo, s0
	s_cbranch_vccnz .LBB377_1722
; %bb.1721:
	v_xor_b32_e32 v3, v4, v5
	v_cls_i32_e32 v14, v5
	s_delay_alu instid0(VALU_DEP_2) | instskip(NEXT) | instid1(VALU_DEP_2)
	v_ashrrev_i32_e32 v3, 31, v3
	v_add_nc_u32_e32 v14, -1, v14
	s_delay_alu instid0(VALU_DEP_2) | instskip(NEXT) | instid1(VALU_DEP_1)
	v_add_nc_u32_e32 v3, 32, v3
	v_min_u32_e32 v3, v14, v3
	s_delay_alu instid0(VALU_DEP_1) | instskip(SKIP_1) | instid1(VALU_DEP_2)
	v_lshlrev_b64 v[14:15], v3, v[4:5]
	v_sub_nc_u32_e32 v3, 32, v3
	v_min_u32_e32 v14, 1, v14
	s_delay_alu instid0(VALU_DEP_1) | instskip(SKIP_1) | instid1(VALU_DEP_2)
	v_or_b32_e32 v14, v15, v14
	v_mov_b32_e32 v15, 0
	v_cvt_f32_i32_e32 v14, v14
	s_delay_alu instid0(VALU_DEP_1)
	v_ldexp_f32 v14, v14, v3
	global_store_b64 v[12:13], v[14:15], off
.LBB377_1722:
	s_mov_b32 s0, 0
.LBB377_1723:
	s_delay_alu instid0(SALU_CYCLE_1)
	s_and_not1_b32 vcc_lo, exec_lo, s0
	s_cbranch_vccnz .LBB377_1725
; %bb.1724:
	v_xor_b32_e32 v3, v4, v5
	v_cls_i32_e32 v14, v5
	s_delay_alu instid0(VALU_DEP_2) | instskip(NEXT) | instid1(VALU_DEP_2)
	v_ashrrev_i32_e32 v3, 31, v3
	v_add_nc_u32_e32 v14, -1, v14
	s_delay_alu instid0(VALU_DEP_2) | instskip(NEXT) | instid1(VALU_DEP_1)
	v_add_nc_u32_e32 v3, 32, v3
	v_min_u32_e32 v3, v14, v3
	s_delay_alu instid0(VALU_DEP_1) | instskip(SKIP_1) | instid1(VALU_DEP_2)
	v_lshlrev_b64 v[14:15], v3, v[4:5]
	v_sub_nc_u32_e32 v3, 32, v3
	v_min_u32_e32 v14, 1, v14
	s_delay_alu instid0(VALU_DEP_1) | instskip(NEXT) | instid1(VALU_DEP_1)
	v_or_b32_e32 v14, v15, v14
	v_cvt_f32_i32_e32 v14, v14
	s_delay_alu instid0(VALU_DEP_1) | instskip(NEXT) | instid1(VALU_DEP_1)
	v_ldexp_f32 v3, v14, v3
	v_cvt_f16_f32_e32 v3, v3
	s_delay_alu instid0(VALU_DEP_1)
	v_and_b32_e32 v3, 0xffff, v3
	global_store_b32 v[12:13], v3, off
.LBB377_1725:
	s_mov_b32 s0, 0
.LBB377_1726:
	s_delay_alu instid0(SALU_CYCLE_1)
	s_and_not1_b32 vcc_lo, exec_lo, s0
	s_cbranch_vccnz .LBB377_1735
; %bb.1727:
	v_cmp_lt_i16_e64 s0, s6, 6
	s_delay_alu instid0(VALU_DEP_1)
	s_and_b32 vcc_lo, exec_lo, s0
	s_mov_b32 s0, -1
	s_cbranch_vccnz .LBB377_1733
; %bb.1728:
	v_cmp_gt_i16_e64 s0, s6, 6
	s_delay_alu instid0(VALU_DEP_1)
	s_and_b32 vcc_lo, exec_lo, s0
	s_mov_b32 s0, -1
	s_cbranch_vccz .LBB377_1730
; %bb.1729:
	v_cvt_f64_i32_e32 v[14:15], v5
	v_cvt_f64_u32_e32 v[16:17], v4
	s_mov_b32 s0, 0
	s_delay_alu instid0(VALU_DEP_2) | instskip(NEXT) | instid1(VALU_DEP_1)
	v_ldexp_f64 v[14:15], v[14:15], 32
	v_add_f64 v[14:15], v[14:15], v[16:17]
	global_store_b64 v[12:13], v[14:15], off
.LBB377_1730:
	s_and_not1_b32 vcc_lo, exec_lo, s0
	s_cbranch_vccnz .LBB377_1732
; %bb.1731:
	v_xor_b32_e32 v3, v4, v5
	v_cls_i32_e32 v14, v5
	s_delay_alu instid0(VALU_DEP_2) | instskip(NEXT) | instid1(VALU_DEP_2)
	v_ashrrev_i32_e32 v3, 31, v3
	v_add_nc_u32_e32 v14, -1, v14
	s_delay_alu instid0(VALU_DEP_2) | instskip(NEXT) | instid1(VALU_DEP_1)
	v_add_nc_u32_e32 v3, 32, v3
	v_min_u32_e32 v3, v14, v3
	s_delay_alu instid0(VALU_DEP_1) | instskip(SKIP_1) | instid1(VALU_DEP_2)
	v_lshlrev_b64 v[14:15], v3, v[4:5]
	v_sub_nc_u32_e32 v3, 32, v3
	v_min_u32_e32 v14, 1, v14
	s_delay_alu instid0(VALU_DEP_1) | instskip(NEXT) | instid1(VALU_DEP_1)
	v_or_b32_e32 v14, v15, v14
	v_cvt_f32_i32_e32 v14, v14
	s_delay_alu instid0(VALU_DEP_1)
	v_ldexp_f32 v3, v14, v3
	global_store_b32 v[12:13], v3, off
.LBB377_1732:
	s_mov_b32 s0, 0
.LBB377_1733:
	s_delay_alu instid0(SALU_CYCLE_1)
	s_and_not1_b32 vcc_lo, exec_lo, s0
	s_cbranch_vccnz .LBB377_1735
; %bb.1734:
	v_xor_b32_e32 v3, v4, v5
	v_cls_i32_e32 v14, v5
	s_delay_alu instid0(VALU_DEP_2) | instskip(NEXT) | instid1(VALU_DEP_2)
	v_ashrrev_i32_e32 v3, 31, v3
	v_add_nc_u32_e32 v14, -1, v14
	s_delay_alu instid0(VALU_DEP_2) | instskip(NEXT) | instid1(VALU_DEP_1)
	v_add_nc_u32_e32 v3, 32, v3
	v_min_u32_e32 v3, v14, v3
	s_delay_alu instid0(VALU_DEP_1) | instskip(SKIP_1) | instid1(VALU_DEP_2)
	v_lshlrev_b64 v[14:15], v3, v[4:5]
	v_sub_nc_u32_e32 v3, 32, v3
	v_min_u32_e32 v14, 1, v14
	s_delay_alu instid0(VALU_DEP_1) | instskip(NEXT) | instid1(VALU_DEP_1)
	v_or_b32_e32 v14, v15, v14
	v_cvt_f32_i32_e32 v14, v14
	s_delay_alu instid0(VALU_DEP_1) | instskip(NEXT) | instid1(VALU_DEP_1)
	v_ldexp_f32 v3, v14, v3
	v_cvt_f16_f32_e32 v3, v3
	global_store_b16 v[12:13], v3, off
.LBB377_1735:
	s_mov_b32 s0, 0
.LBB377_1736:
	s_delay_alu instid0(SALU_CYCLE_1)
	s_and_not1_b32 vcc_lo, exec_lo, s0
	s_cbranch_vccnz .LBB377_1752
; %bb.1737:
	v_cmp_lt_i16_e64 s0, s6, 2
	s_delay_alu instid0(VALU_DEP_1)
	s_and_b32 vcc_lo, exec_lo, s0
	s_mov_b32 s0, -1
	s_cbranch_vccnz .LBB377_1747
; %bb.1738:
	v_cmp_lt_i16_e64 s0, s6, 3
	s_delay_alu instid0(VALU_DEP_1)
	s_and_b32 vcc_lo, exec_lo, s0
	s_mov_b32 s0, -1
	s_cbranch_vccnz .LBB377_1744
; %bb.1739:
	v_cmp_gt_i16_e64 s0, s6, 3
	s_delay_alu instid0(VALU_DEP_1)
	s_and_b32 vcc_lo, exec_lo, s0
	s_mov_b32 s0, -1
	s_cbranch_vccz .LBB377_1741
; %bb.1740:
	s_mov_b32 s0, 0
	global_store_b64 v[12:13], v[4:5], off
.LBB377_1741:
	s_and_not1_b32 vcc_lo, exec_lo, s0
	s_cbranch_vccnz .LBB377_1743
; %bb.1742:
	global_store_b32 v[12:13], v4, off
.LBB377_1743:
	s_mov_b32 s0, 0
.LBB377_1744:
	s_delay_alu instid0(SALU_CYCLE_1)
	s_and_not1_b32 vcc_lo, exec_lo, s0
	s_cbranch_vccnz .LBB377_1746
; %bb.1745:
	global_store_b16 v[12:13], v4, off
.LBB377_1746:
	s_mov_b32 s0, 0
.LBB377_1747:
	s_delay_alu instid0(SALU_CYCLE_1)
	s_and_not1_b32 vcc_lo, exec_lo, s0
	s_cbranch_vccnz .LBB377_1752
; %bb.1748:
	v_cmp_gt_i16_e64 s0, s6, 0
	s_delay_alu instid0(VALU_DEP_1)
	s_and_b32 vcc_lo, exec_lo, s0
	s_mov_b32 s0, -1
	s_cbranch_vccz .LBB377_1750
; %bb.1749:
	s_mov_b32 s0, 0
	global_store_b8 v[12:13], v4, off
.LBB377_1750:
	s_and_not1_b32 vcc_lo, exec_lo, s0
	s_cbranch_vccnz .LBB377_1752
; %bb.1751:
	global_store_b8 v[12:13], v4, off
.LBB377_1752:
	s_mov_b32 s7, -1
.LBB377_1753:
	s_delay_alu instid0(SALU_CYCLE_1)
	s_and_not1_b32 vcc_lo, exec_lo, s7
	s_cbranch_vccnz .LBB377_2020
; %bb.1754:
	v_cmp_lt_i64_e32 vcc_lo, s[2:3], v[6:7]
	v_cmp_lt_i16_e64 s0, s6, 11
	v_add_co_u32 v5, s1, s4, v2
	s_mov_b32 s7, 0
	v_cndmask_b32_e32 v4, s3, v7, vcc_lo
	v_cndmask_b32_e32 v3, s2, v6, vcc_lo
	v_add_co_ci_u32_e64 v6, null, s5, 0, s1
	s_and_b32 vcc_lo, exec_lo, s0
	s_mov_b32 s0, -1
	s_cbranch_vccnz .LBB377_1843
; %bb.1755:
	v_cmp_gt_i16_e64 s0, s6, 25
	s_mov_b32 s11, -1
	s_mov_b32 s1, 0
	s_delay_alu instid0(VALU_DEP_1)
	s_and_b32 vcc_lo, exec_lo, s0
	s_mov_b32 s0, 0
	s_cbranch_vccz .LBB377_1799
; %bb.1756:
	v_cmp_gt_i16_e64 s0, s6, 28
	s_delay_alu instid0(VALU_DEP_1)
	s_and_b32 vcc_lo, exec_lo, s0
	s_cbranch_vccz .LBB377_1761
; %bb.1757:
	v_cmp_gt_i16_e64 s0, s6, 43
	s_delay_alu instid0(VALU_DEP_1)
	s_and_b32 vcc_lo, exec_lo, s0
	;; [unrolled: 5-line block ×3, first 2 shown]
	s_cbranch_vccz .LBB377_1771
; %bb.1759:
	v_cmp_eq_u16_e64 s7, s6, 46
	s_mov_b32 s0, -1
	s_mov_b32 s11, 0
	s_delay_alu instid0(VALU_DEP_1)
	s_and_b32 vcc_lo, exec_lo, s7
	s_mov_b32 s7, 0
	s_cbranch_vccz .LBB377_1772
; %bb.1760:
	v_xor_b32_e32 v2, v3, v4
	v_cls_i32_e32 v7, v4
	s_mov_b32 s7, -1
	s_mov_b32 s0, 0
	s_delay_alu instid0(VALU_DEP_2) | instskip(NEXT) | instid1(VALU_DEP_2)
	v_ashrrev_i32_e32 v2, 31, v2
	v_add_nc_u32_e32 v7, -1, v7
	s_delay_alu instid0(VALU_DEP_2) | instskip(NEXT) | instid1(VALU_DEP_1)
	v_add_nc_u32_e32 v2, 32, v2
	v_min_u32_e32 v2, v7, v2
	s_delay_alu instid0(VALU_DEP_1) | instskip(SKIP_1) | instid1(VALU_DEP_2)
	v_lshlrev_b64 v[12:13], v2, v[3:4]
	v_sub_nc_u32_e32 v2, 32, v2
	v_min_u32_e32 v7, 1, v12
	s_delay_alu instid0(VALU_DEP_1) | instskip(NEXT) | instid1(VALU_DEP_1)
	v_or_b32_e32 v7, v13, v7
	v_cvt_f32_i32_e32 v7, v7
	s_delay_alu instid0(VALU_DEP_1) | instskip(NEXT) | instid1(VALU_DEP_1)
	v_ldexp_f32 v2, v7, v2
	v_bfe_u32 v7, v2, 16, 1
	s_delay_alu instid0(VALU_DEP_1) | instskip(NEXT) | instid1(VALU_DEP_1)
	v_add3_u32 v2, v2, v7, 0x7fff
	v_lshrrev_b32_e32 v2, 16, v2
	global_store_b32 v[5:6], v2, off
	s_branch .LBB377_1772
.LBB377_1761:
	s_mov_b32 s0, 0
	s_branch .LBB377_1782
.LBB377_1762:
	s_or_saveexec_b32 s12, s12
                                        ; implicit-def: $sgpr13
	s_delay_alu instid0(SALU_CYCLE_1)
	s_xor_b32 exec_lo, exec_lo, s12
	s_cbranch_execz .LBB377_1664
.LBB377_1763:
	v_add_f32_e64 v14, 0x46000000, |v3|
	s_and_not1_b32 s11, s11, exec_lo
	s_mov_b32 s13, 0
	s_delay_alu instid0(VALU_DEP_1) | instskip(NEXT) | instid1(VALU_DEP_1)
	v_and_b32_e32 v14, 0xff, v14
	v_cmp_ne_u32_e32 vcc_lo, 0, v14
	s_and_b32 s14, vcc_lo, exec_lo
	s_delay_alu instid0(SALU_CYCLE_1)
	s_or_b32 s11, s11, s14
	s_or_b32 exec_lo, exec_lo, s12
	v_mov_b32_e32 v15, s13
	s_and_saveexec_b32 s12, s11
	s_cbranch_execnz .LBB377_1665
	s_branch .LBB377_1666
.LBB377_1764:
	s_mov_b32 s0, 0
	s_branch .LBB377_1778
.LBB377_1765:
	s_trap 2
	s_sendmsg_rtn_b32 s0, sendmsg(MSG_RTN_GET_DOORBELL)
	s_mov_b32 ttmp2, m0
	s_waitcnt lgkmcnt(0)
	s_and_b32 s0, s0, 0x3ff
	s_delay_alu instid0(SALU_CYCLE_1) | instskip(NEXT) | instid1(SALU_CYCLE_1)
	s_bitset1_b32 s0, 10
	s_mov_b32 m0, s0
	s_sendmsg sendmsg(MSG_INTERRUPT)
	s_mov_b32 m0, ttmp2
.LBB377_1766:                           ; =>This Inner Loop Header: Depth=1
	s_sethalt 5
	s_branch .LBB377_1766
.LBB377_1767:
	s_cbranch_execnz .LBB377_1894
; %bb.1768:
	s_or_b32 s10, s10, exec_lo
	s_cbranch_execz .LBB377_1712
	s_branch .LBB377_1713
.LBB377_1769:
	s_or_saveexec_b32 s11, s11
                                        ; implicit-def: $sgpr12
	s_delay_alu instid0(SALU_CYCLE_1)
	s_xor_b32 exec_lo, exec_lo, s11
	s_cbranch_execz .LBB377_1677
.LBB377_1770:
	v_add_f32_e64 v14, 0x42800000, |v3|
	s_and_not1_b32 s7, s7, exec_lo
	s_mov_b32 s12, 0
	s_delay_alu instid0(VALU_DEP_1) | instskip(NEXT) | instid1(VALU_DEP_1)
	v_and_b32_e32 v14, 0xff, v14
	v_cmp_ne_u32_e32 vcc_lo, 0, v14
	s_and_b32 s13, vcc_lo, exec_lo
	s_delay_alu instid0(SALU_CYCLE_1)
	s_or_b32 s7, s7, s13
	s_or_b32 exec_lo, exec_lo, s11
	v_mov_b32_e32 v15, s12
	s_and_saveexec_b32 s11, s7
	s_cbranch_execnz .LBB377_1678
	s_branch .LBB377_1679
.LBB377_1771:
	s_mov_b32 s0, 0
.LBB377_1772:
	s_and_b32 vcc_lo, exec_lo, s11
	s_cbranch_vccz .LBB377_1777
; %bb.1773:
	v_cmp_eq_u16_e64 s0, s6, 44
	s_delay_alu instid0(VALU_DEP_1)
	s_and_b32 vcc_lo, exec_lo, s0
	s_mov_b32 s0, -1
	s_cbranch_vccz .LBB377_1777
; %bb.1774:
	v_xor_b32_e32 v2, v3, v4
	v_cls_i32_e32 v7, v4
	s_mov_b32 s7, -1
	s_mov_b32 s11, exec_lo
	s_delay_alu instid0(VALU_DEP_2) | instskip(NEXT) | instid1(VALU_DEP_2)
	v_ashrrev_i32_e32 v2, 31, v2
	v_add_nc_u32_e32 v7, -1, v7
	s_delay_alu instid0(VALU_DEP_2) | instskip(NEXT) | instid1(VALU_DEP_1)
	v_add_nc_u32_e32 v2, 32, v2
	v_min_u32_e32 v2, v7, v2
	s_delay_alu instid0(VALU_DEP_1) | instskip(SKIP_1) | instid1(VALU_DEP_2)
	v_lshlrev_b64 v[12:13], v2, v[3:4]
	v_sub_nc_u32_e32 v2, 32, v2
	v_min_u32_e32 v7, 1, v12
	s_delay_alu instid0(VALU_DEP_1) | instskip(NEXT) | instid1(VALU_DEP_1)
	v_or_b32_e32 v7, v13, v7
	v_cvt_f32_i32_e32 v7, v7
	s_delay_alu instid0(VALU_DEP_1) | instskip(SKIP_1) | instid1(VALU_DEP_2)
	v_ldexp_f32 v2, v7, v2
	v_mov_b32_e32 v7, 0xff
	v_bfe_u32 v12, v2, 23, 8
	s_delay_alu instid0(VALU_DEP_1)
	v_cmpx_ne_u32_e32 0xff, v12
; %bb.1775:
	v_and_b32_e32 v7, 0x400000, v2
	v_and_or_b32 v12, 0x3fffff, v2, v12
	v_lshrrev_b32_e32 v2, 23, v2
	s_delay_alu instid0(VALU_DEP_3) | instskip(NEXT) | instid1(VALU_DEP_3)
	v_cmp_ne_u32_e32 vcc_lo, 0, v7
	v_cmp_ne_u32_e64 s0, 0, v12
	s_delay_alu instid0(VALU_DEP_1) | instskip(NEXT) | instid1(SALU_CYCLE_1)
	s_and_b32 s0, vcc_lo, s0
	v_cndmask_b32_e64 v7, 0, 1, s0
	s_delay_alu instid0(VALU_DEP_1)
	v_add_nc_u32_e32 v7, v2, v7
; %bb.1776:
	s_or_b32 exec_lo, exec_lo, s11
	s_mov_b32 s0, 0
	global_store_b8 v[5:6], v7, off
.LBB377_1777:
	s_mov_b32 s11, 0
.LBB377_1778:
	s_delay_alu instid0(SALU_CYCLE_1)
	s_and_b32 vcc_lo, exec_lo, s11
	s_cbranch_vccz .LBB377_1781
; %bb.1779:
	v_cmp_eq_u16_e64 s0, s6, 29
	s_delay_alu instid0(VALU_DEP_1)
	s_and_b32 vcc_lo, exec_lo, s0
	s_mov_b32 s0, -1
	s_cbranch_vccz .LBB377_1781
; %bb.1780:
	s_mov_b32 s0, 0
	s_mov_b32 s7, -1
	global_store_b64 v[5:6], v[3:4], off
.LBB377_1781:
	s_mov_b32 s11, 0
.LBB377_1782:
	s_delay_alu instid0(SALU_CYCLE_1)
	s_and_b32 vcc_lo, exec_lo, s11
	s_cbranch_vccz .LBB377_1798
; %bb.1783:
	v_cmp_lt_i16_e64 s7, s6, 27
	s_delay_alu instid0(VALU_DEP_1)
	s_and_b32 vcc_lo, exec_lo, s7
	s_mov_b32 s7, -1
	s_cbranch_vccnz .LBB377_1789
; %bb.1784:
	v_cmp_gt_i16_e64 s7, s6, 27
	s_delay_alu instid0(VALU_DEP_1)
	s_and_b32 vcc_lo, exec_lo, s7
	s_mov_b32 s7, -1
	s_cbranch_vccz .LBB377_1786
; %bb.1785:
	s_mov_b32 s7, 0
	global_store_b32 v[5:6], v3, off
.LBB377_1786:
	s_and_not1_b32 vcc_lo, exec_lo, s7
	s_cbranch_vccnz .LBB377_1788
; %bb.1787:
	global_store_b16 v[5:6], v3, off
.LBB377_1788:
	s_mov_b32 s7, 0
.LBB377_1789:
	s_delay_alu instid0(SALU_CYCLE_1)
	s_and_not1_b32 vcc_lo, exec_lo, s7
	s_cbranch_vccnz .LBB377_1797
; %bb.1790:
	v_xor_b32_e32 v2, v3, v4
	v_cls_i32_e32 v7, v4
	s_mov_b32 s7, exec_lo
	s_delay_alu instid0(VALU_DEP_2) | instskip(NEXT) | instid1(VALU_DEP_2)
	v_ashrrev_i32_e32 v2, 31, v2
	v_add_nc_u32_e32 v7, -1, v7
	s_delay_alu instid0(VALU_DEP_2) | instskip(NEXT) | instid1(VALU_DEP_1)
	v_add_nc_u32_e32 v2, 32, v2
	v_min_u32_e32 v2, v7, v2
	s_delay_alu instid0(VALU_DEP_1) | instskip(SKIP_1) | instid1(VALU_DEP_2)
	v_lshlrev_b64 v[12:13], v2, v[3:4]
	v_sub_nc_u32_e32 v2, 32, v2
	v_min_u32_e32 v7, 1, v12
	v_mov_b32_e32 v12, 0x80
	s_delay_alu instid0(VALU_DEP_2) | instskip(NEXT) | instid1(VALU_DEP_1)
	v_or_b32_e32 v7, v13, v7
	v_cvt_f32_i32_e32 v7, v7
	s_delay_alu instid0(VALU_DEP_1) | instskip(NEXT) | instid1(VALU_DEP_1)
	v_ldexp_f32 v2, v7, v2
	v_and_b32_e32 v7, 0x7fffffff, v2
	s_delay_alu instid0(VALU_DEP_1)
	v_cmpx_gt_u32_e32 0x43800000, v7
	s_cbranch_execz .LBB377_1796
; %bb.1791:
	v_cmp_lt_u32_e32 vcc_lo, 0x3bffffff, v7
	s_mov_b32 s11, 0
                                        ; implicit-def: $vgpr7
	s_and_saveexec_b32 s12, vcc_lo
	s_delay_alu instid0(SALU_CYCLE_1)
	s_xor_b32 s12, exec_lo, s12
	s_cbranch_execz .LBB377_1891
; %bb.1792:
	v_bfe_u32 v7, v2, 20, 1
	s_mov_b32 s11, exec_lo
	s_delay_alu instid0(VALU_DEP_1) | instskip(NEXT) | instid1(VALU_DEP_1)
	v_add3_u32 v7, v2, v7, 0x487ffff
	v_lshrrev_b32_e32 v7, 20, v7
	s_or_saveexec_b32 s12, s12
                                        ; implicit-def: $sgpr13
	s_delay_alu instid0(SALU_CYCLE_1)
	s_xor_b32 exec_lo, exec_lo, s12
	s_cbranch_execnz .LBB377_1892
.LBB377_1793:
	s_or_b32 exec_lo, exec_lo, s12
	v_mov_b32_e32 v12, s13
	s_and_saveexec_b32 s12, s11
.LBB377_1794:
	v_lshrrev_b32_e32 v2, 24, v2
	s_delay_alu instid0(VALU_DEP_1)
	v_and_or_b32 v12, 0x80, v2, v7
.LBB377_1795:
	s_or_b32 exec_lo, exec_lo, s12
.LBB377_1796:
	s_delay_alu instid0(SALU_CYCLE_1)
	s_or_b32 exec_lo, exec_lo, s7
	global_store_b8 v[5:6], v12, off
.LBB377_1797:
	s_mov_b32 s7, -1
.LBB377_1798:
	s_mov_b32 s11, 0
.LBB377_1799:
	s_delay_alu instid0(SALU_CYCLE_1)
	s_and_b32 vcc_lo, exec_lo, s11
	s_cbranch_vccz .LBB377_1839
; %bb.1800:
	v_cmp_gt_i16_e64 s1, s6, 22
	s_delay_alu instid0(VALU_DEP_1)
	s_and_b32 vcc_lo, exec_lo, s1
	s_mov_b32 s1, -1
	s_cbranch_vccz .LBB377_1832
; %bb.1801:
	v_cmp_lt_i16_e64 s1, s6, 24
	s_delay_alu instid0(VALU_DEP_1)
	s_and_b32 vcc_lo, exec_lo, s1
	s_mov_b32 s1, -1
	s_cbranch_vccnz .LBB377_1821
; %bb.1802:
	v_cmp_gt_i16_e64 s1, s6, 24
	s_delay_alu instid0(VALU_DEP_1)
	s_and_b32 vcc_lo, exec_lo, s1
	s_mov_b32 s1, -1
	s_cbranch_vccz .LBB377_1810
; %bb.1803:
	v_xor_b32_e32 v2, v3, v4
	v_cls_i32_e32 v7, v4
	s_mov_b32 s1, exec_lo
	s_delay_alu instid0(VALU_DEP_2) | instskip(NEXT) | instid1(VALU_DEP_2)
	v_ashrrev_i32_e32 v2, 31, v2
	v_add_nc_u32_e32 v7, -1, v7
	s_delay_alu instid0(VALU_DEP_2) | instskip(NEXT) | instid1(VALU_DEP_1)
	v_add_nc_u32_e32 v2, 32, v2
	v_min_u32_e32 v2, v7, v2
	s_delay_alu instid0(VALU_DEP_1) | instskip(SKIP_1) | instid1(VALU_DEP_2)
	v_lshlrev_b64 v[12:13], v2, v[3:4]
	v_sub_nc_u32_e32 v2, 32, v2
	v_min_u32_e32 v7, 1, v12
	v_mov_b32_e32 v12, 0x80
	s_delay_alu instid0(VALU_DEP_2) | instskip(NEXT) | instid1(VALU_DEP_1)
	v_or_b32_e32 v7, v13, v7
	v_cvt_f32_i32_e32 v7, v7
	s_delay_alu instid0(VALU_DEP_1) | instskip(NEXT) | instid1(VALU_DEP_1)
	v_ldexp_f32 v2, v7, v2
	v_and_b32_e32 v7, 0x7fffffff, v2
	s_delay_alu instid0(VALU_DEP_1)
	v_cmpx_gt_u32_e32 0x47800000, v7
	s_cbranch_execz .LBB377_1809
; %bb.1804:
	v_cmp_lt_u32_e32 vcc_lo, 0x37ffffff, v7
	s_mov_b32 s7, 0
                                        ; implicit-def: $vgpr7
	s_and_saveexec_b32 s11, vcc_lo
	s_delay_alu instid0(SALU_CYCLE_1)
	s_xor_b32 s11, exec_lo, s11
	s_cbranch_execz .LBB377_1898
; %bb.1805:
	v_bfe_u32 v7, v2, 21, 1
	s_mov_b32 s7, exec_lo
	s_delay_alu instid0(VALU_DEP_1) | instskip(NEXT) | instid1(VALU_DEP_1)
	v_add3_u32 v7, v2, v7, 0x88fffff
	v_lshrrev_b32_e32 v7, 21, v7
	s_or_saveexec_b32 s11, s11
                                        ; implicit-def: $sgpr12
	s_delay_alu instid0(SALU_CYCLE_1)
	s_xor_b32 exec_lo, exec_lo, s11
	s_cbranch_execnz .LBB377_1899
.LBB377_1806:
	s_or_b32 exec_lo, exec_lo, s11
	v_mov_b32_e32 v12, s12
	s_and_saveexec_b32 s11, s7
.LBB377_1807:
	v_lshrrev_b32_e32 v2, 24, v2
	s_delay_alu instid0(VALU_DEP_1)
	v_and_or_b32 v12, 0x80, v2, v7
.LBB377_1808:
	s_or_b32 exec_lo, exec_lo, s11
.LBB377_1809:
	s_delay_alu instid0(SALU_CYCLE_1)
	s_or_b32 exec_lo, exec_lo, s1
	s_mov_b32 s1, 0
	global_store_b8 v[5:6], v12, off
.LBB377_1810:
	s_and_b32 vcc_lo, exec_lo, s1
	s_cbranch_vccz .LBB377_1820
; %bb.1811:
	v_xor_b32_e32 v2, v3, v4
	v_cls_i32_e32 v7, v4
	s_mov_b32 s1, exec_lo
	s_delay_alu instid0(VALU_DEP_2) | instskip(NEXT) | instid1(VALU_DEP_2)
	v_ashrrev_i32_e32 v2, 31, v2
	v_add_nc_u32_e32 v7, -1, v7
	s_delay_alu instid0(VALU_DEP_2) | instskip(NEXT) | instid1(VALU_DEP_1)
	v_add_nc_u32_e32 v2, 32, v2
	v_min_u32_e32 v2, v7, v2
	s_delay_alu instid0(VALU_DEP_1) | instskip(SKIP_1) | instid1(VALU_DEP_2)
	v_lshlrev_b64 v[12:13], v2, v[3:4]
	v_sub_nc_u32_e32 v2, 32, v2
	v_min_u32_e32 v7, 1, v12
	s_delay_alu instid0(VALU_DEP_1) | instskip(NEXT) | instid1(VALU_DEP_1)
	v_or_b32_e32 v7, v13, v7
	v_cvt_f32_i32_e32 v7, v7
	s_delay_alu instid0(VALU_DEP_1) | instskip(NEXT) | instid1(VALU_DEP_1)
	v_ldexp_f32 v2, v7, v2
                                        ; implicit-def: $vgpr7
	v_and_b32_e32 v12, 0x7fffffff, v2
	s_delay_alu instid0(VALU_DEP_1)
	v_cmpx_gt_u32_e32 0x43f00000, v12
	s_xor_b32 s1, exec_lo, s1
	s_cbranch_execz .LBB377_1817
; %bb.1812:
	s_mov_b32 s7, exec_lo
                                        ; implicit-def: $vgpr7
	v_cmpx_lt_u32_e32 0x3c7fffff, v12
	s_xor_b32 s7, exec_lo, s7
; %bb.1813:
	v_bfe_u32 v7, v2, 20, 1
	s_delay_alu instid0(VALU_DEP_1) | instskip(NEXT) | instid1(VALU_DEP_1)
	v_add3_u32 v7, v2, v7, 0x407ffff
	v_and_b32_e32 v12, 0xff00000, v7
	v_lshrrev_b32_e32 v7, 20, v7
	s_delay_alu instid0(VALU_DEP_2) | instskip(NEXT) | instid1(VALU_DEP_2)
	v_cmp_ne_u32_e32 vcc_lo, 0x7f00000, v12
	v_cndmask_b32_e32 v7, 0x7e, v7, vcc_lo
; %bb.1814:
	s_and_not1_saveexec_b32 s7, s7
; %bb.1815:
	v_add_f32_e64 v7, 0x46800000, |v2|
; %bb.1816:
	s_or_b32 exec_lo, exec_lo, s7
                                        ; implicit-def: $vgpr12
.LBB377_1817:
	s_and_not1_saveexec_b32 s1, s1
; %bb.1818:
	v_mov_b32_e32 v7, 0x7f
	v_cmp_lt_u32_e32 vcc_lo, 0x7f800000, v12
	s_delay_alu instid0(VALU_DEP_2)
	v_cndmask_b32_e32 v7, 0x7e, v7, vcc_lo
; %bb.1819:
	s_or_b32 exec_lo, exec_lo, s1
	v_lshrrev_b32_e32 v2, 24, v2
	s_delay_alu instid0(VALU_DEP_1)
	v_and_or_b32 v2, 0x80, v2, v7
	global_store_b8 v[5:6], v2, off
.LBB377_1820:
	s_mov_b32 s1, 0
.LBB377_1821:
	s_delay_alu instid0(SALU_CYCLE_1)
	s_and_not1_b32 vcc_lo, exec_lo, s1
	s_cbranch_vccnz .LBB377_1831
; %bb.1822:
	v_xor_b32_e32 v2, v3, v4
	v_cls_i32_e32 v7, v4
	s_mov_b32 s1, exec_lo
	s_delay_alu instid0(VALU_DEP_2) | instskip(NEXT) | instid1(VALU_DEP_2)
	v_ashrrev_i32_e32 v2, 31, v2
	v_add_nc_u32_e32 v7, -1, v7
	s_delay_alu instid0(VALU_DEP_2) | instskip(NEXT) | instid1(VALU_DEP_1)
	v_add_nc_u32_e32 v2, 32, v2
	v_min_u32_e32 v2, v7, v2
	s_delay_alu instid0(VALU_DEP_1) | instskip(SKIP_1) | instid1(VALU_DEP_2)
	v_lshlrev_b64 v[12:13], v2, v[3:4]
	v_sub_nc_u32_e32 v2, 32, v2
	v_min_u32_e32 v7, 1, v12
	s_delay_alu instid0(VALU_DEP_1) | instskip(NEXT) | instid1(VALU_DEP_1)
	v_or_b32_e32 v7, v13, v7
	v_cvt_f32_i32_e32 v7, v7
	s_delay_alu instid0(VALU_DEP_1) | instskip(NEXT) | instid1(VALU_DEP_1)
	v_ldexp_f32 v2, v7, v2
                                        ; implicit-def: $vgpr7
	v_and_b32_e32 v12, 0x7fffffff, v2
	s_delay_alu instid0(VALU_DEP_1)
	v_cmpx_gt_u32_e32 0x47800000, v12
	s_xor_b32 s1, exec_lo, s1
	s_cbranch_execz .LBB377_1828
; %bb.1823:
	s_mov_b32 s7, exec_lo
                                        ; implicit-def: $vgpr7
	v_cmpx_lt_u32_e32 0x387fffff, v12
	s_xor_b32 s7, exec_lo, s7
; %bb.1824:
	v_bfe_u32 v7, v2, 21, 1
	s_delay_alu instid0(VALU_DEP_1) | instskip(NEXT) | instid1(VALU_DEP_1)
	v_add3_u32 v7, v2, v7, 0x80fffff
	v_lshrrev_b32_e32 v7, 21, v7
; %bb.1825:
	s_and_not1_saveexec_b32 s7, s7
; %bb.1826:
	v_add_f32_e64 v7, 0x43000000, |v2|
; %bb.1827:
	s_or_b32 exec_lo, exec_lo, s7
                                        ; implicit-def: $vgpr12
.LBB377_1828:
	s_and_not1_saveexec_b32 s1, s1
; %bb.1829:
	v_mov_b32_e32 v7, 0x7f
	v_cmp_lt_u32_e32 vcc_lo, 0x7f800000, v12
	s_delay_alu instid0(VALU_DEP_2)
	v_cndmask_b32_e32 v7, 0x7c, v7, vcc_lo
; %bb.1830:
	s_or_b32 exec_lo, exec_lo, s1
	v_lshrrev_b32_e32 v2, 24, v2
	s_delay_alu instid0(VALU_DEP_1)
	v_and_or_b32 v2, 0x80, v2, v7
	global_store_b8 v[5:6], v2, off
.LBB377_1831:
	s_mov_b32 s1, 0
	s_mov_b32 s7, -1
.LBB377_1832:
	s_and_not1_b32 vcc_lo, exec_lo, s1
	s_mov_b32 s1, 0
	s_cbranch_vccnz .LBB377_1839
; %bb.1833:
	v_cmp_gt_i16_e64 s1, s6, 14
	s_delay_alu instid0(VALU_DEP_1)
	s_and_b32 vcc_lo, exec_lo, s1
	s_mov_b32 s1, -1
	s_cbranch_vccz .LBB377_1837
; %bb.1834:
	v_cmp_eq_u16_e64 s0, s6, 15
	s_delay_alu instid0(VALU_DEP_1)
	s_and_b32 vcc_lo, exec_lo, s0
	s_mov_b32 s0, -1
	s_cbranch_vccz .LBB377_1836
; %bb.1835:
	v_xor_b32_e32 v2, v3, v4
	v_cls_i32_e32 v7, v4
	s_mov_b32 s7, -1
	s_mov_b32 s0, 0
	s_delay_alu instid0(VALU_DEP_2) | instskip(NEXT) | instid1(VALU_DEP_2)
	v_ashrrev_i32_e32 v2, 31, v2
	v_add_nc_u32_e32 v7, -1, v7
	s_delay_alu instid0(VALU_DEP_2) | instskip(NEXT) | instid1(VALU_DEP_1)
	v_add_nc_u32_e32 v2, 32, v2
	v_min_u32_e32 v2, v7, v2
	s_delay_alu instid0(VALU_DEP_1) | instskip(SKIP_1) | instid1(VALU_DEP_2)
	v_lshlrev_b64 v[12:13], v2, v[3:4]
	v_sub_nc_u32_e32 v2, 32, v2
	v_min_u32_e32 v7, 1, v12
	s_delay_alu instid0(VALU_DEP_1) | instskip(NEXT) | instid1(VALU_DEP_1)
	v_or_b32_e32 v7, v13, v7
	v_cvt_f32_i32_e32 v7, v7
	s_delay_alu instid0(VALU_DEP_1) | instskip(NEXT) | instid1(VALU_DEP_1)
	v_ldexp_f32 v2, v7, v2
	v_bfe_u32 v7, v2, 16, 1
	s_delay_alu instid0(VALU_DEP_1)
	v_add3_u32 v2, v2, v7, 0x7fff
	global_store_d16_hi_b16 v[5:6], v2, off
.LBB377_1836:
	s_mov_b32 s1, 0
.LBB377_1837:
	s_delay_alu instid0(SALU_CYCLE_1)
	s_and_b32 vcc_lo, exec_lo, s1
	s_mov_b32 s1, 0
	s_cbranch_vccz .LBB377_1839
; %bb.1838:
	v_cmp_ne_u16_e64 s0, s6, 11
	s_mov_b32 s1, -1
.LBB377_1839:
	s_delay_alu instid0(VALU_DEP_1)
	s_and_b32 vcc_lo, exec_lo, s0
	s_cbranch_vccnz .LBB377_1896
; %bb.1840:
	s_and_not1_b32 vcc_lo, exec_lo, s1
	s_cbranch_vccnz .LBB377_1842
.LBB377_1841:
	v_cmp_ne_u64_e32 vcc_lo, 0, v[3:4]
	s_mov_b32 s7, -1
	v_cndmask_b32_e64 v2, 0, 1, vcc_lo
	global_store_b8 v[5:6], v2, off
.LBB377_1842:
	s_mov_b32 s0, 0
.LBB377_1843:
	s_delay_alu instid0(SALU_CYCLE_1)
	s_and_b32 vcc_lo, exec_lo, s0
	s_cbranch_vccz .LBB377_1882
; %bb.1844:
	v_cmp_lt_i16_e64 s0, s6, 5
	s_delay_alu instid0(VALU_DEP_1)
	s_and_b32 vcc_lo, exec_lo, s0
	s_mov_b32 s0, -1
	s_cbranch_vccnz .LBB377_1865
; %bb.1845:
	v_cmp_lt_i16_e64 s0, s6, 8
	s_delay_alu instid0(VALU_DEP_1)
	s_and_b32 vcc_lo, exec_lo, s0
	s_mov_b32 s0, -1
	s_cbranch_vccnz .LBB377_1855
	;; [unrolled: 6-line block ×3, first 2 shown]
; %bb.1847:
	v_cmp_gt_i16_e64 s0, s6, 9
	s_delay_alu instid0(VALU_DEP_1)
	s_and_b32 vcc_lo, exec_lo, s0
	s_mov_b32 s0, -1
	s_cbranch_vccz .LBB377_1849
; %bb.1848:
	v_cvt_f64_i32_e32 v[12:13], v4
	v_cvt_f64_u32_e32 v[14:15], v3
	s_mov_b32 s0, 0
	s_delay_alu instid0(VALU_DEP_2) | instskip(NEXT) | instid1(VALU_DEP_1)
	v_ldexp_f64 v[12:13], v[12:13], 32
	v_add_f64 v[12:13], v[12:13], v[14:15]
	v_mov_b32_e32 v14, 0
	s_delay_alu instid0(VALU_DEP_1)
	v_mov_b32_e32 v15, v14
	global_store_b128 v[5:6], v[12:15], off
.LBB377_1849:
	s_and_not1_b32 vcc_lo, exec_lo, s0
	s_cbranch_vccnz .LBB377_1851
; %bb.1850:
	v_xor_b32_e32 v2, v3, v4
	v_cls_i32_e32 v7, v4
	s_delay_alu instid0(VALU_DEP_2) | instskip(NEXT) | instid1(VALU_DEP_2)
	v_ashrrev_i32_e32 v2, 31, v2
	v_add_nc_u32_e32 v7, -1, v7
	s_delay_alu instid0(VALU_DEP_2) | instskip(NEXT) | instid1(VALU_DEP_1)
	v_add_nc_u32_e32 v2, 32, v2
	v_min_u32_e32 v2, v7, v2
	s_delay_alu instid0(VALU_DEP_1) | instskip(SKIP_1) | instid1(VALU_DEP_2)
	v_lshlrev_b64 v[12:13], v2, v[3:4]
	v_sub_nc_u32_e32 v2, 32, v2
	v_min_u32_e32 v7, 1, v12
	s_delay_alu instid0(VALU_DEP_1) | instskip(SKIP_1) | instid1(VALU_DEP_2)
	v_or_b32_e32 v7, v13, v7
	v_mov_b32_e32 v13, 0
	v_cvt_f32_i32_e32 v7, v7
	s_delay_alu instid0(VALU_DEP_1)
	v_ldexp_f32 v12, v7, v2
	global_store_b64 v[5:6], v[12:13], off
.LBB377_1851:
	s_mov_b32 s0, 0
.LBB377_1852:
	s_delay_alu instid0(SALU_CYCLE_1)
	s_and_not1_b32 vcc_lo, exec_lo, s0
	s_cbranch_vccnz .LBB377_1854
; %bb.1853:
	v_xor_b32_e32 v2, v3, v4
	v_cls_i32_e32 v7, v4
	s_delay_alu instid0(VALU_DEP_2) | instskip(NEXT) | instid1(VALU_DEP_2)
	v_ashrrev_i32_e32 v2, 31, v2
	v_add_nc_u32_e32 v7, -1, v7
	s_delay_alu instid0(VALU_DEP_2) | instskip(NEXT) | instid1(VALU_DEP_1)
	v_add_nc_u32_e32 v2, 32, v2
	v_min_u32_e32 v2, v7, v2
	s_delay_alu instid0(VALU_DEP_1) | instskip(SKIP_1) | instid1(VALU_DEP_2)
	v_lshlrev_b64 v[12:13], v2, v[3:4]
	v_sub_nc_u32_e32 v2, 32, v2
	v_min_u32_e32 v7, 1, v12
	s_delay_alu instid0(VALU_DEP_1) | instskip(NEXT) | instid1(VALU_DEP_1)
	v_or_b32_e32 v7, v13, v7
	v_cvt_f32_i32_e32 v7, v7
	s_delay_alu instid0(VALU_DEP_1) | instskip(NEXT) | instid1(VALU_DEP_1)
	v_ldexp_f32 v2, v7, v2
	v_cvt_f16_f32_e32 v2, v2
	s_delay_alu instid0(VALU_DEP_1)
	v_and_b32_e32 v2, 0xffff, v2
	global_store_b32 v[5:6], v2, off
.LBB377_1854:
	s_mov_b32 s0, 0
.LBB377_1855:
	s_delay_alu instid0(SALU_CYCLE_1)
	s_and_not1_b32 vcc_lo, exec_lo, s0
	s_cbranch_vccnz .LBB377_1864
; %bb.1856:
	v_cmp_lt_i16_e64 s0, s6, 6
	s_delay_alu instid0(VALU_DEP_1)
	s_and_b32 vcc_lo, exec_lo, s0
	s_mov_b32 s0, -1
	s_cbranch_vccnz .LBB377_1862
; %bb.1857:
	v_cmp_gt_i16_e64 s0, s6, 6
	s_delay_alu instid0(VALU_DEP_1)
	s_and_b32 vcc_lo, exec_lo, s0
	s_mov_b32 s0, -1
	s_cbranch_vccz .LBB377_1859
; %bb.1858:
	v_cvt_f64_i32_e32 v[12:13], v4
	v_cvt_f64_u32_e32 v[14:15], v3
	s_mov_b32 s0, 0
	s_delay_alu instid0(VALU_DEP_2) | instskip(NEXT) | instid1(VALU_DEP_1)
	v_ldexp_f64 v[12:13], v[12:13], 32
	v_add_f64 v[12:13], v[12:13], v[14:15]
	global_store_b64 v[5:6], v[12:13], off
.LBB377_1859:
	s_and_not1_b32 vcc_lo, exec_lo, s0
	s_cbranch_vccnz .LBB377_1861
; %bb.1860:
	v_xor_b32_e32 v2, v3, v4
	v_cls_i32_e32 v7, v4
	s_delay_alu instid0(VALU_DEP_2) | instskip(NEXT) | instid1(VALU_DEP_2)
	v_ashrrev_i32_e32 v2, 31, v2
	v_add_nc_u32_e32 v7, -1, v7
	s_delay_alu instid0(VALU_DEP_2) | instskip(NEXT) | instid1(VALU_DEP_1)
	v_add_nc_u32_e32 v2, 32, v2
	v_min_u32_e32 v2, v7, v2
	s_delay_alu instid0(VALU_DEP_1) | instskip(SKIP_1) | instid1(VALU_DEP_2)
	v_lshlrev_b64 v[12:13], v2, v[3:4]
	v_sub_nc_u32_e32 v2, 32, v2
	v_min_u32_e32 v7, 1, v12
	s_delay_alu instid0(VALU_DEP_1) | instskip(NEXT) | instid1(VALU_DEP_1)
	v_or_b32_e32 v7, v13, v7
	v_cvt_f32_i32_e32 v7, v7
	s_delay_alu instid0(VALU_DEP_1)
	v_ldexp_f32 v2, v7, v2
	global_store_b32 v[5:6], v2, off
.LBB377_1861:
	s_mov_b32 s0, 0
.LBB377_1862:
	s_delay_alu instid0(SALU_CYCLE_1)
	s_and_not1_b32 vcc_lo, exec_lo, s0
	s_cbranch_vccnz .LBB377_1864
; %bb.1863:
	v_xor_b32_e32 v2, v3, v4
	v_cls_i32_e32 v7, v4
	s_delay_alu instid0(VALU_DEP_2) | instskip(NEXT) | instid1(VALU_DEP_2)
	v_ashrrev_i32_e32 v2, 31, v2
	v_add_nc_u32_e32 v7, -1, v7
	s_delay_alu instid0(VALU_DEP_2) | instskip(NEXT) | instid1(VALU_DEP_1)
	v_add_nc_u32_e32 v2, 32, v2
	v_min_u32_e32 v2, v7, v2
	s_delay_alu instid0(VALU_DEP_1) | instskip(SKIP_1) | instid1(VALU_DEP_2)
	v_lshlrev_b64 v[12:13], v2, v[3:4]
	v_sub_nc_u32_e32 v2, 32, v2
	v_min_u32_e32 v7, 1, v12
	s_delay_alu instid0(VALU_DEP_1) | instskip(NEXT) | instid1(VALU_DEP_1)
	v_or_b32_e32 v7, v13, v7
	v_cvt_f32_i32_e32 v7, v7
	s_delay_alu instid0(VALU_DEP_1) | instskip(NEXT) | instid1(VALU_DEP_1)
	v_ldexp_f32 v2, v7, v2
	v_cvt_f16_f32_e32 v2, v2
	global_store_b16 v[5:6], v2, off
.LBB377_1864:
	s_mov_b32 s0, 0
.LBB377_1865:
	s_delay_alu instid0(SALU_CYCLE_1)
	s_and_not1_b32 vcc_lo, exec_lo, s0
	s_cbranch_vccnz .LBB377_1881
; %bb.1866:
	v_cmp_lt_i16_e64 s0, s6, 2
	s_delay_alu instid0(VALU_DEP_1)
	s_and_b32 vcc_lo, exec_lo, s0
	s_mov_b32 s0, -1
	s_cbranch_vccnz .LBB377_1876
; %bb.1867:
	v_cmp_lt_i16_e64 s0, s6, 3
	s_delay_alu instid0(VALU_DEP_1)
	s_and_b32 vcc_lo, exec_lo, s0
	s_mov_b32 s0, -1
	s_cbranch_vccnz .LBB377_1873
; %bb.1868:
	v_cmp_gt_i16_e64 s0, s6, 3
	s_delay_alu instid0(VALU_DEP_1)
	s_and_b32 vcc_lo, exec_lo, s0
	s_mov_b32 s0, -1
	s_cbranch_vccz .LBB377_1870
; %bb.1869:
	s_mov_b32 s0, 0
	global_store_b64 v[5:6], v[3:4], off
.LBB377_1870:
	s_and_not1_b32 vcc_lo, exec_lo, s0
	s_cbranch_vccnz .LBB377_1872
; %bb.1871:
	global_store_b32 v[5:6], v3, off
.LBB377_1872:
	s_mov_b32 s0, 0
.LBB377_1873:
	s_delay_alu instid0(SALU_CYCLE_1)
	s_and_not1_b32 vcc_lo, exec_lo, s0
	s_cbranch_vccnz .LBB377_1875
; %bb.1874:
	global_store_b16 v[5:6], v3, off
.LBB377_1875:
	s_mov_b32 s0, 0
.LBB377_1876:
	s_delay_alu instid0(SALU_CYCLE_1)
	s_and_not1_b32 vcc_lo, exec_lo, s0
	s_cbranch_vccnz .LBB377_1881
; %bb.1877:
	v_cmp_gt_i16_e64 s0, s6, 0
	s_delay_alu instid0(VALU_DEP_1)
	s_and_b32 vcc_lo, exec_lo, s0
	s_mov_b32 s0, -1
	s_cbranch_vccz .LBB377_1879
; %bb.1878:
	s_mov_b32 s0, 0
	global_store_b8 v[5:6], v3, off
.LBB377_1879:
	s_and_not1_b32 vcc_lo, exec_lo, s0
	s_cbranch_vccnz .LBB377_1881
; %bb.1880:
	global_store_b8 v[5:6], v3, off
.LBB377_1881:
	s_mov_b32 s7, -1
.LBB377_1882:
	s_delay_alu instid0(SALU_CYCLE_1)
	s_and_not1_b32 vcc_lo, exec_lo, s7
	s_cbranch_vccnz .LBB377_2020
; %bb.1883:
	v_cmp_lt_i64_e32 vcc_lo, s[2:3], v[8:9]
	v_cmp_lt_i16_e64 s0, s6, 11
	v_add_co_u32 v4, s1, s4, v1
	s_delay_alu instid0(VALU_DEP_1)
	v_add_co_ci_u32_e64 v5, null, s5, 0, s1
	v_cndmask_b32_e32 v3, s3, v9, vcc_lo
	v_cndmask_b32_e32 v2, s2, v8, vcc_lo
	s_mov_b32 s7, 0
	s_and_b32 vcc_lo, exec_lo, s0
	s_mov_b32 s0, -1
	s_cbranch_vccnz .LBB377_1972
; %bb.1884:
	v_cmp_gt_i16_e64 s0, s6, 25
	s_mov_b32 s11, -1
	s_mov_b32 s1, 0
	s_delay_alu instid0(VALU_DEP_1)
	s_and_b32 vcc_lo, exec_lo, s0
	s_mov_b32 s0, 0
	s_cbranch_vccz .LBB377_1928
; %bb.1885:
	v_cmp_gt_i16_e64 s0, s6, 28
	s_delay_alu instid0(VALU_DEP_1)
	s_and_b32 vcc_lo, exec_lo, s0
	s_cbranch_vccz .LBB377_1890
; %bb.1886:
	v_cmp_gt_i16_e64 s0, s6, 43
	s_delay_alu instid0(VALU_DEP_1)
	s_and_b32 vcc_lo, exec_lo, s0
	;; [unrolled: 5-line block ×3, first 2 shown]
	s_cbranch_vccz .LBB377_1900
; %bb.1888:
	v_cmp_eq_u16_e64 s7, s6, 46
	s_mov_b32 s0, -1
	s_mov_b32 s11, 0
	s_delay_alu instid0(VALU_DEP_1)
	s_and_b32 vcc_lo, exec_lo, s7
	s_mov_b32 s7, 0
	s_cbranch_vccz .LBB377_1901
; %bb.1889:
	v_xor_b32_e32 v1, v2, v3
	v_cls_i32_e32 v6, v3
	s_mov_b32 s7, -1
	s_mov_b32 s0, 0
	s_delay_alu instid0(VALU_DEP_2) | instskip(NEXT) | instid1(VALU_DEP_2)
	v_ashrrev_i32_e32 v1, 31, v1
	v_add_nc_u32_e32 v6, -1, v6
	s_delay_alu instid0(VALU_DEP_2) | instskip(NEXT) | instid1(VALU_DEP_1)
	v_add_nc_u32_e32 v1, 32, v1
	v_min_u32_e32 v1, v6, v1
	s_delay_alu instid0(VALU_DEP_1) | instskip(SKIP_1) | instid1(VALU_DEP_2)
	v_lshlrev_b64 v[6:7], v1, v[2:3]
	v_sub_nc_u32_e32 v1, 32, v1
	v_min_u32_e32 v6, 1, v6
	s_delay_alu instid0(VALU_DEP_1) | instskip(NEXT) | instid1(VALU_DEP_1)
	v_or_b32_e32 v6, v7, v6
	v_cvt_f32_i32_e32 v6, v6
	s_delay_alu instid0(VALU_DEP_1) | instskip(NEXT) | instid1(VALU_DEP_1)
	v_ldexp_f32 v1, v6, v1
	v_bfe_u32 v6, v1, 16, 1
	s_delay_alu instid0(VALU_DEP_1) | instskip(NEXT) | instid1(VALU_DEP_1)
	v_add3_u32 v1, v1, v6, 0x7fff
	v_lshrrev_b32_e32 v1, 16, v1
	global_store_b32 v[4:5], v1, off
	s_branch .LBB377_1901
.LBB377_1890:
	s_mov_b32 s0, 0
	s_branch .LBB377_1911
.LBB377_1891:
	s_or_saveexec_b32 s12, s12
                                        ; implicit-def: $sgpr13
	s_delay_alu instid0(SALU_CYCLE_1)
	s_xor_b32 exec_lo, exec_lo, s12
	s_cbranch_execz .LBB377_1793
.LBB377_1892:
	v_add_f32_e64 v7, 0x46000000, |v2|
	s_and_not1_b32 s11, s11, exec_lo
	s_mov_b32 s13, 0
	s_delay_alu instid0(VALU_DEP_1) | instskip(NEXT) | instid1(VALU_DEP_1)
	v_and_b32_e32 v7, 0xff, v7
	v_cmp_ne_u32_e32 vcc_lo, 0, v7
	s_and_b32 s14, vcc_lo, exec_lo
	s_delay_alu instid0(SALU_CYCLE_1)
	s_or_b32 s11, s11, s14
	s_or_b32 exec_lo, exec_lo, s12
	v_mov_b32_e32 v12, s13
	s_and_saveexec_b32 s12, s11
	s_cbranch_execnz .LBB377_1794
	s_branch .LBB377_1795
.LBB377_1893:
	s_mov_b32 s0, 0
	s_branch .LBB377_1907
.LBB377_1894:
	s_trap 2
	s_sendmsg_rtn_b32 s0, sendmsg(MSG_RTN_GET_DOORBELL)
	s_mov_b32 ttmp2, m0
	s_waitcnt lgkmcnt(0)
	s_and_b32 s0, s0, 0x3ff
	s_delay_alu instid0(SALU_CYCLE_1) | instskip(NEXT) | instid1(SALU_CYCLE_1)
	s_bitset1_b32 s0, 10
	s_mov_b32 m0, s0
	s_sendmsg sendmsg(MSG_INTERRUPT)
	s_mov_b32 m0, ttmp2
.LBB377_1895:                           ; =>This Inner Loop Header: Depth=1
	s_sethalt 5
	s_branch .LBB377_1895
.LBB377_1896:
	s_cbranch_execnz .LBB377_2069
; %bb.1897:
	s_or_b32 s10, s10, exec_lo
	s_cbranch_execz .LBB377_1841
	s_branch .LBB377_1842
.LBB377_1898:
	s_or_saveexec_b32 s11, s11
                                        ; implicit-def: $sgpr12
	s_delay_alu instid0(SALU_CYCLE_1)
	s_xor_b32 exec_lo, exec_lo, s11
	s_cbranch_execz .LBB377_1806
.LBB377_1899:
	v_add_f32_e64 v7, 0x42800000, |v2|
	s_and_not1_b32 s7, s7, exec_lo
	s_mov_b32 s12, 0
	s_delay_alu instid0(VALU_DEP_1) | instskip(NEXT) | instid1(VALU_DEP_1)
	v_and_b32_e32 v7, 0xff, v7
	v_cmp_ne_u32_e32 vcc_lo, 0, v7
	s_and_b32 s13, vcc_lo, exec_lo
	s_delay_alu instid0(SALU_CYCLE_1)
	s_or_b32 s7, s7, s13
	s_or_b32 exec_lo, exec_lo, s11
	v_mov_b32_e32 v12, s12
	s_and_saveexec_b32 s11, s7
	s_cbranch_execnz .LBB377_1807
	s_branch .LBB377_1808
.LBB377_1900:
	s_mov_b32 s0, 0
.LBB377_1901:
	s_and_b32 vcc_lo, exec_lo, s11
	s_cbranch_vccz .LBB377_1906
; %bb.1902:
	v_cmp_eq_u16_e64 s0, s6, 44
	s_delay_alu instid0(VALU_DEP_1)
	s_and_b32 vcc_lo, exec_lo, s0
	s_mov_b32 s0, -1
	s_cbranch_vccz .LBB377_1906
; %bb.1903:
	v_xor_b32_e32 v1, v2, v3
	v_cls_i32_e32 v6, v3
	s_mov_b32 s7, -1
	s_mov_b32 s11, exec_lo
	s_delay_alu instid0(VALU_DEP_2) | instskip(NEXT) | instid1(VALU_DEP_2)
	v_ashrrev_i32_e32 v1, 31, v1
	v_add_nc_u32_e32 v6, -1, v6
	s_delay_alu instid0(VALU_DEP_2) | instskip(NEXT) | instid1(VALU_DEP_1)
	v_add_nc_u32_e32 v1, 32, v1
	v_min_u32_e32 v1, v6, v1
	s_delay_alu instid0(VALU_DEP_1) | instskip(SKIP_1) | instid1(VALU_DEP_2)
	v_lshlrev_b64 v[6:7], v1, v[2:3]
	v_sub_nc_u32_e32 v1, 32, v1
	v_min_u32_e32 v6, 1, v6
	s_delay_alu instid0(VALU_DEP_1) | instskip(NEXT) | instid1(VALU_DEP_1)
	v_or_b32_e32 v6, v7, v6
	v_cvt_f32_i32_e32 v6, v6
	s_delay_alu instid0(VALU_DEP_1) | instskip(SKIP_1) | instid1(VALU_DEP_2)
	v_ldexp_f32 v1, v6, v1
	v_mov_b32_e32 v6, 0xff
	v_bfe_u32 v7, v1, 23, 8
	s_delay_alu instid0(VALU_DEP_1)
	v_cmpx_ne_u32_e32 0xff, v7
; %bb.1904:
	v_and_b32_e32 v6, 0x400000, v1
	v_and_or_b32 v7, 0x3fffff, v1, v7
	v_lshrrev_b32_e32 v1, 23, v1
	s_delay_alu instid0(VALU_DEP_3) | instskip(NEXT) | instid1(VALU_DEP_3)
	v_cmp_ne_u32_e32 vcc_lo, 0, v6
	v_cmp_ne_u32_e64 s0, 0, v7
	s_delay_alu instid0(VALU_DEP_1) | instskip(NEXT) | instid1(SALU_CYCLE_1)
	s_and_b32 s0, vcc_lo, s0
	v_cndmask_b32_e64 v6, 0, 1, s0
	s_delay_alu instid0(VALU_DEP_1)
	v_add_nc_u32_e32 v6, v1, v6
; %bb.1905:
	s_or_b32 exec_lo, exec_lo, s11
	s_mov_b32 s0, 0
	global_store_b8 v[4:5], v6, off
.LBB377_1906:
	s_mov_b32 s11, 0
.LBB377_1907:
	s_delay_alu instid0(SALU_CYCLE_1)
	s_and_b32 vcc_lo, exec_lo, s11
	s_cbranch_vccz .LBB377_1910
; %bb.1908:
	v_cmp_eq_u16_e64 s0, s6, 29
	s_delay_alu instid0(VALU_DEP_1)
	s_and_b32 vcc_lo, exec_lo, s0
	s_mov_b32 s0, -1
	s_cbranch_vccz .LBB377_1910
; %bb.1909:
	s_mov_b32 s0, 0
	s_mov_b32 s7, -1
	global_store_b64 v[4:5], v[2:3], off
.LBB377_1910:
	s_mov_b32 s11, 0
.LBB377_1911:
	s_delay_alu instid0(SALU_CYCLE_1)
	s_and_b32 vcc_lo, exec_lo, s11
	s_cbranch_vccz .LBB377_1927
; %bb.1912:
	v_cmp_lt_i16_e64 s7, s6, 27
	s_delay_alu instid0(VALU_DEP_1)
	s_and_b32 vcc_lo, exec_lo, s7
	s_mov_b32 s7, -1
	s_cbranch_vccnz .LBB377_1918
; %bb.1913:
	v_cmp_gt_i16_e64 s7, s6, 27
	s_delay_alu instid0(VALU_DEP_1)
	s_and_b32 vcc_lo, exec_lo, s7
	s_mov_b32 s7, -1
	s_cbranch_vccz .LBB377_1915
; %bb.1914:
	s_mov_b32 s7, 0
	global_store_b32 v[4:5], v2, off
.LBB377_1915:
	s_and_not1_b32 vcc_lo, exec_lo, s7
	s_cbranch_vccnz .LBB377_1917
; %bb.1916:
	global_store_b16 v[4:5], v2, off
.LBB377_1917:
	s_mov_b32 s7, 0
.LBB377_1918:
	s_delay_alu instid0(SALU_CYCLE_1)
	s_and_not1_b32 vcc_lo, exec_lo, s7
	s_cbranch_vccnz .LBB377_1926
; %bb.1919:
	v_xor_b32_e32 v1, v2, v3
	v_cls_i32_e32 v6, v3
	s_mov_b32 s7, exec_lo
	s_delay_alu instid0(VALU_DEP_2) | instskip(NEXT) | instid1(VALU_DEP_2)
	v_ashrrev_i32_e32 v1, 31, v1
	v_add_nc_u32_e32 v6, -1, v6
	s_delay_alu instid0(VALU_DEP_2) | instskip(NEXT) | instid1(VALU_DEP_1)
	v_add_nc_u32_e32 v1, 32, v1
	v_min_u32_e32 v1, v6, v1
	s_delay_alu instid0(VALU_DEP_1) | instskip(SKIP_1) | instid1(VALU_DEP_2)
	v_lshlrev_b64 v[6:7], v1, v[2:3]
	v_sub_nc_u32_e32 v1, 32, v1
	v_min_u32_e32 v6, 1, v6
	s_delay_alu instid0(VALU_DEP_1) | instskip(SKIP_1) | instid1(VALU_DEP_2)
	v_or_b32_e32 v6, v7, v6
	v_mov_b32_e32 v7, 0x80
	v_cvt_f32_i32_e32 v6, v6
	s_delay_alu instid0(VALU_DEP_1) | instskip(NEXT) | instid1(VALU_DEP_1)
	v_ldexp_f32 v1, v6, v1
	v_and_b32_e32 v6, 0x7fffffff, v1
	s_delay_alu instid0(VALU_DEP_1)
	v_cmpx_gt_u32_e32 0x43800000, v6
	s_cbranch_execz .LBB377_1925
; %bb.1920:
	v_cmp_lt_u32_e32 vcc_lo, 0x3bffffff, v6
	s_mov_b32 s11, 0
                                        ; implicit-def: $vgpr6
	s_and_saveexec_b32 s12, vcc_lo
	s_delay_alu instid0(SALU_CYCLE_1)
	s_xor_b32 s12, exec_lo, s12
	s_cbranch_execz .LBB377_2066
; %bb.1921:
	v_bfe_u32 v6, v1, 20, 1
	s_mov_b32 s11, exec_lo
	s_delay_alu instid0(VALU_DEP_1) | instskip(NEXT) | instid1(VALU_DEP_1)
	v_add3_u32 v6, v1, v6, 0x487ffff
	v_lshrrev_b32_e32 v6, 20, v6
	s_or_saveexec_b32 s12, s12
                                        ; implicit-def: $sgpr13
	s_delay_alu instid0(SALU_CYCLE_1)
	s_xor_b32 exec_lo, exec_lo, s12
	s_cbranch_execnz .LBB377_2067
.LBB377_1922:
	s_or_b32 exec_lo, exec_lo, s12
	v_mov_b32_e32 v7, s13
	s_and_saveexec_b32 s12, s11
.LBB377_1923:
	v_lshrrev_b32_e32 v1, 24, v1
	s_delay_alu instid0(VALU_DEP_1)
	v_and_or_b32 v7, 0x80, v1, v6
.LBB377_1924:
	s_or_b32 exec_lo, exec_lo, s12
.LBB377_1925:
	s_delay_alu instid0(SALU_CYCLE_1)
	s_or_b32 exec_lo, exec_lo, s7
	global_store_b8 v[4:5], v7, off
.LBB377_1926:
	s_mov_b32 s7, -1
.LBB377_1927:
	s_mov_b32 s11, 0
.LBB377_1928:
	s_delay_alu instid0(SALU_CYCLE_1)
	s_and_b32 vcc_lo, exec_lo, s11
	s_cbranch_vccz .LBB377_1968
; %bb.1929:
	v_cmp_gt_i16_e64 s1, s6, 22
	s_delay_alu instid0(VALU_DEP_1)
	s_and_b32 vcc_lo, exec_lo, s1
	s_mov_b32 s1, -1
	s_cbranch_vccz .LBB377_1961
; %bb.1930:
	v_cmp_lt_i16_e64 s1, s6, 24
	s_delay_alu instid0(VALU_DEP_1)
	s_and_b32 vcc_lo, exec_lo, s1
	s_mov_b32 s1, -1
	s_cbranch_vccnz .LBB377_1950
; %bb.1931:
	v_cmp_gt_i16_e64 s1, s6, 24
	s_delay_alu instid0(VALU_DEP_1)
	s_and_b32 vcc_lo, exec_lo, s1
	s_mov_b32 s1, -1
	s_cbranch_vccz .LBB377_1939
; %bb.1932:
	v_xor_b32_e32 v1, v2, v3
	v_cls_i32_e32 v6, v3
	s_mov_b32 s1, exec_lo
	s_delay_alu instid0(VALU_DEP_2) | instskip(NEXT) | instid1(VALU_DEP_2)
	v_ashrrev_i32_e32 v1, 31, v1
	v_add_nc_u32_e32 v6, -1, v6
	s_delay_alu instid0(VALU_DEP_2) | instskip(NEXT) | instid1(VALU_DEP_1)
	v_add_nc_u32_e32 v1, 32, v1
	v_min_u32_e32 v1, v6, v1
	s_delay_alu instid0(VALU_DEP_1) | instskip(SKIP_1) | instid1(VALU_DEP_2)
	v_lshlrev_b64 v[6:7], v1, v[2:3]
	v_sub_nc_u32_e32 v1, 32, v1
	v_min_u32_e32 v6, 1, v6
	s_delay_alu instid0(VALU_DEP_1) | instskip(SKIP_1) | instid1(VALU_DEP_2)
	v_or_b32_e32 v6, v7, v6
	v_mov_b32_e32 v7, 0x80
	v_cvt_f32_i32_e32 v6, v6
	s_delay_alu instid0(VALU_DEP_1) | instskip(NEXT) | instid1(VALU_DEP_1)
	v_ldexp_f32 v1, v6, v1
	v_and_b32_e32 v6, 0x7fffffff, v1
	s_delay_alu instid0(VALU_DEP_1)
	v_cmpx_gt_u32_e32 0x47800000, v6
	s_cbranch_execz .LBB377_1938
; %bb.1933:
	v_cmp_lt_u32_e32 vcc_lo, 0x37ffffff, v6
	s_mov_b32 s7, 0
                                        ; implicit-def: $vgpr6
	s_and_saveexec_b32 s11, vcc_lo
	s_delay_alu instid0(SALU_CYCLE_1)
	s_xor_b32 s11, exec_lo, s11
	s_cbranch_execz .LBB377_2073
; %bb.1934:
	v_bfe_u32 v6, v1, 21, 1
	s_mov_b32 s7, exec_lo
	s_delay_alu instid0(VALU_DEP_1) | instskip(NEXT) | instid1(VALU_DEP_1)
	v_add3_u32 v6, v1, v6, 0x88fffff
	v_lshrrev_b32_e32 v6, 21, v6
	s_or_saveexec_b32 s11, s11
                                        ; implicit-def: $sgpr12
	s_delay_alu instid0(SALU_CYCLE_1)
	s_xor_b32 exec_lo, exec_lo, s11
	s_cbranch_execnz .LBB377_2074
.LBB377_1935:
	s_or_b32 exec_lo, exec_lo, s11
	v_mov_b32_e32 v7, s12
	s_and_saveexec_b32 s11, s7
.LBB377_1936:
	v_lshrrev_b32_e32 v1, 24, v1
	s_delay_alu instid0(VALU_DEP_1)
	v_and_or_b32 v7, 0x80, v1, v6
.LBB377_1937:
	s_or_b32 exec_lo, exec_lo, s11
.LBB377_1938:
	s_delay_alu instid0(SALU_CYCLE_1)
	s_or_b32 exec_lo, exec_lo, s1
	s_mov_b32 s1, 0
	global_store_b8 v[4:5], v7, off
.LBB377_1939:
	s_and_b32 vcc_lo, exec_lo, s1
	s_cbranch_vccz .LBB377_1949
; %bb.1940:
	v_xor_b32_e32 v1, v2, v3
	v_cls_i32_e32 v6, v3
	s_mov_b32 s1, exec_lo
	s_delay_alu instid0(VALU_DEP_2) | instskip(NEXT) | instid1(VALU_DEP_2)
	v_ashrrev_i32_e32 v1, 31, v1
	v_add_nc_u32_e32 v6, -1, v6
	s_delay_alu instid0(VALU_DEP_2) | instskip(NEXT) | instid1(VALU_DEP_1)
	v_add_nc_u32_e32 v1, 32, v1
	v_min_u32_e32 v1, v6, v1
	s_delay_alu instid0(VALU_DEP_1) | instskip(SKIP_1) | instid1(VALU_DEP_2)
	v_lshlrev_b64 v[6:7], v1, v[2:3]
	v_sub_nc_u32_e32 v1, 32, v1
	v_min_u32_e32 v6, 1, v6
	s_delay_alu instid0(VALU_DEP_1) | instskip(NEXT) | instid1(VALU_DEP_1)
	v_or_b32_e32 v6, v7, v6
	v_cvt_f32_i32_e32 v6, v6
	s_delay_alu instid0(VALU_DEP_1) | instskip(NEXT) | instid1(VALU_DEP_1)
	v_ldexp_f32 v1, v6, v1
                                        ; implicit-def: $vgpr6
	v_and_b32_e32 v7, 0x7fffffff, v1
	s_delay_alu instid0(VALU_DEP_1)
	v_cmpx_gt_u32_e32 0x43f00000, v7
	s_xor_b32 s1, exec_lo, s1
	s_cbranch_execz .LBB377_1946
; %bb.1941:
	s_mov_b32 s7, exec_lo
                                        ; implicit-def: $vgpr6
	v_cmpx_lt_u32_e32 0x3c7fffff, v7
	s_xor_b32 s7, exec_lo, s7
; %bb.1942:
	v_bfe_u32 v6, v1, 20, 1
	s_delay_alu instid0(VALU_DEP_1) | instskip(NEXT) | instid1(VALU_DEP_1)
	v_add3_u32 v6, v1, v6, 0x407ffff
	v_and_b32_e32 v7, 0xff00000, v6
	v_lshrrev_b32_e32 v6, 20, v6
	s_delay_alu instid0(VALU_DEP_2) | instskip(NEXT) | instid1(VALU_DEP_2)
	v_cmp_ne_u32_e32 vcc_lo, 0x7f00000, v7
	v_cndmask_b32_e32 v6, 0x7e, v6, vcc_lo
; %bb.1943:
	s_and_not1_saveexec_b32 s7, s7
; %bb.1944:
	v_add_f32_e64 v6, 0x46800000, |v1|
; %bb.1945:
	s_or_b32 exec_lo, exec_lo, s7
                                        ; implicit-def: $vgpr7
.LBB377_1946:
	s_and_not1_saveexec_b32 s1, s1
; %bb.1947:
	v_mov_b32_e32 v6, 0x7f
	v_cmp_lt_u32_e32 vcc_lo, 0x7f800000, v7
	s_delay_alu instid0(VALU_DEP_2)
	v_cndmask_b32_e32 v6, 0x7e, v6, vcc_lo
; %bb.1948:
	s_or_b32 exec_lo, exec_lo, s1
	v_lshrrev_b32_e32 v1, 24, v1
	s_delay_alu instid0(VALU_DEP_1)
	v_and_or_b32 v1, 0x80, v1, v6
	global_store_b8 v[4:5], v1, off
.LBB377_1949:
	s_mov_b32 s1, 0
.LBB377_1950:
	s_delay_alu instid0(SALU_CYCLE_1)
	s_and_not1_b32 vcc_lo, exec_lo, s1
	s_cbranch_vccnz .LBB377_1960
; %bb.1951:
	v_xor_b32_e32 v1, v2, v3
	v_cls_i32_e32 v6, v3
	s_mov_b32 s1, exec_lo
	s_delay_alu instid0(VALU_DEP_2) | instskip(NEXT) | instid1(VALU_DEP_2)
	v_ashrrev_i32_e32 v1, 31, v1
	v_add_nc_u32_e32 v6, -1, v6
	s_delay_alu instid0(VALU_DEP_2) | instskip(NEXT) | instid1(VALU_DEP_1)
	v_add_nc_u32_e32 v1, 32, v1
	v_min_u32_e32 v1, v6, v1
	s_delay_alu instid0(VALU_DEP_1) | instskip(SKIP_1) | instid1(VALU_DEP_2)
	v_lshlrev_b64 v[6:7], v1, v[2:3]
	v_sub_nc_u32_e32 v1, 32, v1
	v_min_u32_e32 v6, 1, v6
	s_delay_alu instid0(VALU_DEP_1) | instskip(NEXT) | instid1(VALU_DEP_1)
	v_or_b32_e32 v6, v7, v6
	v_cvt_f32_i32_e32 v6, v6
	s_delay_alu instid0(VALU_DEP_1) | instskip(NEXT) | instid1(VALU_DEP_1)
	v_ldexp_f32 v1, v6, v1
                                        ; implicit-def: $vgpr6
	v_and_b32_e32 v7, 0x7fffffff, v1
	s_delay_alu instid0(VALU_DEP_1)
	v_cmpx_gt_u32_e32 0x47800000, v7
	s_xor_b32 s1, exec_lo, s1
	s_cbranch_execz .LBB377_1957
; %bb.1952:
	s_mov_b32 s7, exec_lo
                                        ; implicit-def: $vgpr6
	v_cmpx_lt_u32_e32 0x387fffff, v7
	s_xor_b32 s7, exec_lo, s7
; %bb.1953:
	v_bfe_u32 v6, v1, 21, 1
	s_delay_alu instid0(VALU_DEP_1) | instskip(NEXT) | instid1(VALU_DEP_1)
	v_add3_u32 v6, v1, v6, 0x80fffff
	v_lshrrev_b32_e32 v6, 21, v6
; %bb.1954:
	s_and_not1_saveexec_b32 s7, s7
; %bb.1955:
	v_add_f32_e64 v6, 0x43000000, |v1|
; %bb.1956:
	s_or_b32 exec_lo, exec_lo, s7
                                        ; implicit-def: $vgpr7
.LBB377_1957:
	s_and_not1_saveexec_b32 s1, s1
; %bb.1958:
	v_mov_b32_e32 v6, 0x7f
	v_cmp_lt_u32_e32 vcc_lo, 0x7f800000, v7
	s_delay_alu instid0(VALU_DEP_2)
	v_cndmask_b32_e32 v6, 0x7c, v6, vcc_lo
; %bb.1959:
	s_or_b32 exec_lo, exec_lo, s1
	v_lshrrev_b32_e32 v1, 24, v1
	s_delay_alu instid0(VALU_DEP_1)
	v_and_or_b32 v1, 0x80, v1, v6
	global_store_b8 v[4:5], v1, off
.LBB377_1960:
	s_mov_b32 s1, 0
	s_mov_b32 s7, -1
.LBB377_1961:
	s_and_not1_b32 vcc_lo, exec_lo, s1
	s_mov_b32 s1, 0
	s_cbranch_vccnz .LBB377_1968
; %bb.1962:
	v_cmp_gt_i16_e64 s1, s6, 14
	s_delay_alu instid0(VALU_DEP_1)
	s_and_b32 vcc_lo, exec_lo, s1
	s_mov_b32 s1, -1
	s_cbranch_vccz .LBB377_1966
; %bb.1963:
	v_cmp_eq_u16_e64 s0, s6, 15
	s_delay_alu instid0(VALU_DEP_1)
	s_and_b32 vcc_lo, exec_lo, s0
	s_mov_b32 s0, -1
	s_cbranch_vccz .LBB377_1965
; %bb.1964:
	v_xor_b32_e32 v1, v2, v3
	v_cls_i32_e32 v6, v3
	s_mov_b32 s7, -1
	s_mov_b32 s0, 0
	s_delay_alu instid0(VALU_DEP_2) | instskip(NEXT) | instid1(VALU_DEP_2)
	v_ashrrev_i32_e32 v1, 31, v1
	v_add_nc_u32_e32 v6, -1, v6
	s_delay_alu instid0(VALU_DEP_2) | instskip(NEXT) | instid1(VALU_DEP_1)
	v_add_nc_u32_e32 v1, 32, v1
	v_min_u32_e32 v1, v6, v1
	s_delay_alu instid0(VALU_DEP_1) | instskip(SKIP_1) | instid1(VALU_DEP_2)
	v_lshlrev_b64 v[6:7], v1, v[2:3]
	v_sub_nc_u32_e32 v1, 32, v1
	v_min_u32_e32 v6, 1, v6
	s_delay_alu instid0(VALU_DEP_1) | instskip(NEXT) | instid1(VALU_DEP_1)
	v_or_b32_e32 v6, v7, v6
	v_cvt_f32_i32_e32 v6, v6
	s_delay_alu instid0(VALU_DEP_1) | instskip(NEXT) | instid1(VALU_DEP_1)
	v_ldexp_f32 v1, v6, v1
	v_bfe_u32 v6, v1, 16, 1
	s_delay_alu instid0(VALU_DEP_1)
	v_add3_u32 v1, v1, v6, 0x7fff
	global_store_d16_hi_b16 v[4:5], v1, off
.LBB377_1965:
	s_mov_b32 s1, 0
.LBB377_1966:
	s_delay_alu instid0(SALU_CYCLE_1)
	s_and_b32 vcc_lo, exec_lo, s1
	s_mov_b32 s1, 0
	s_cbranch_vccz .LBB377_1968
; %bb.1967:
	v_cmp_ne_u16_e64 s0, s6, 11
	s_mov_b32 s1, -1
.LBB377_1968:
	s_delay_alu instid0(VALU_DEP_1)
	s_and_b32 vcc_lo, exec_lo, s0
	s_cbranch_vccnz .LBB377_2071
; %bb.1969:
	s_and_not1_b32 vcc_lo, exec_lo, s1
	s_cbranch_vccnz .LBB377_1971
.LBB377_1970:
	v_cmp_ne_u64_e32 vcc_lo, 0, v[2:3]
	s_mov_b32 s7, -1
	v_cndmask_b32_e64 v1, 0, 1, vcc_lo
	global_store_b8 v[4:5], v1, off
.LBB377_1971:
	s_mov_b32 s0, 0
.LBB377_1972:
	s_delay_alu instid0(SALU_CYCLE_1)
	s_and_b32 vcc_lo, exec_lo, s0
	s_cbranch_vccz .LBB377_2011
; %bb.1973:
	v_cmp_lt_i16_e64 s0, s6, 5
	s_delay_alu instid0(VALU_DEP_1)
	s_and_b32 vcc_lo, exec_lo, s0
	s_mov_b32 s0, -1
	s_cbranch_vccnz .LBB377_1994
; %bb.1974:
	v_cmp_lt_i16_e64 s0, s6, 8
	s_delay_alu instid0(VALU_DEP_1)
	s_and_b32 vcc_lo, exec_lo, s0
	s_mov_b32 s0, -1
	s_cbranch_vccnz .LBB377_1984
	;; [unrolled: 6-line block ×3, first 2 shown]
; %bb.1976:
	v_cmp_gt_i16_e64 s0, s6, 9
	s_delay_alu instid0(VALU_DEP_1)
	s_and_b32 vcc_lo, exec_lo, s0
	s_mov_b32 s0, -1
	s_cbranch_vccz .LBB377_1978
; %bb.1977:
	v_cvt_f64_i32_e32 v[6:7], v3
	v_cvt_f64_u32_e32 v[8:9], v2
	s_mov_b32 s0, 0
	s_delay_alu instid0(VALU_DEP_2) | instskip(NEXT) | instid1(VALU_DEP_1)
	v_ldexp_f64 v[6:7], v[6:7], 32
	v_add_f64 v[6:7], v[6:7], v[8:9]
	v_mov_b32_e32 v8, 0
	s_delay_alu instid0(VALU_DEP_1)
	v_mov_b32_e32 v9, v8
	global_store_b128 v[4:5], v[6:9], off
.LBB377_1978:
	s_and_not1_b32 vcc_lo, exec_lo, s0
	s_cbranch_vccnz .LBB377_1980
; %bb.1979:
	v_xor_b32_e32 v1, v2, v3
	v_cls_i32_e32 v6, v3
	s_delay_alu instid0(VALU_DEP_2) | instskip(NEXT) | instid1(VALU_DEP_2)
	v_ashrrev_i32_e32 v1, 31, v1
	v_add_nc_u32_e32 v6, -1, v6
	s_delay_alu instid0(VALU_DEP_2) | instskip(NEXT) | instid1(VALU_DEP_1)
	v_add_nc_u32_e32 v1, 32, v1
	v_min_u32_e32 v1, v6, v1
	s_delay_alu instid0(VALU_DEP_1) | instskip(SKIP_1) | instid1(VALU_DEP_2)
	v_lshlrev_b64 v[6:7], v1, v[2:3]
	v_sub_nc_u32_e32 v1, 32, v1
	v_min_u32_e32 v6, 1, v6
	s_delay_alu instid0(VALU_DEP_1) | instskip(SKIP_1) | instid1(VALU_DEP_2)
	v_or_b32_e32 v6, v7, v6
	v_mov_b32_e32 v7, 0
	v_cvt_f32_i32_e32 v6, v6
	s_delay_alu instid0(VALU_DEP_1)
	v_ldexp_f32 v6, v6, v1
	global_store_b64 v[4:5], v[6:7], off
.LBB377_1980:
	s_mov_b32 s0, 0
.LBB377_1981:
	s_delay_alu instid0(SALU_CYCLE_1)
	s_and_not1_b32 vcc_lo, exec_lo, s0
	s_cbranch_vccnz .LBB377_1983
; %bb.1982:
	v_xor_b32_e32 v1, v2, v3
	v_cls_i32_e32 v6, v3
	s_delay_alu instid0(VALU_DEP_2) | instskip(NEXT) | instid1(VALU_DEP_2)
	v_ashrrev_i32_e32 v1, 31, v1
	v_add_nc_u32_e32 v6, -1, v6
	s_delay_alu instid0(VALU_DEP_2) | instskip(NEXT) | instid1(VALU_DEP_1)
	v_add_nc_u32_e32 v1, 32, v1
	v_min_u32_e32 v1, v6, v1
	s_delay_alu instid0(VALU_DEP_1) | instskip(SKIP_1) | instid1(VALU_DEP_2)
	v_lshlrev_b64 v[6:7], v1, v[2:3]
	v_sub_nc_u32_e32 v1, 32, v1
	v_min_u32_e32 v6, 1, v6
	s_delay_alu instid0(VALU_DEP_1) | instskip(NEXT) | instid1(VALU_DEP_1)
	v_or_b32_e32 v6, v7, v6
	v_cvt_f32_i32_e32 v6, v6
	s_delay_alu instid0(VALU_DEP_1) | instskip(NEXT) | instid1(VALU_DEP_1)
	v_ldexp_f32 v1, v6, v1
	v_cvt_f16_f32_e32 v1, v1
	s_delay_alu instid0(VALU_DEP_1)
	v_and_b32_e32 v1, 0xffff, v1
	global_store_b32 v[4:5], v1, off
.LBB377_1983:
	s_mov_b32 s0, 0
.LBB377_1984:
	s_delay_alu instid0(SALU_CYCLE_1)
	s_and_not1_b32 vcc_lo, exec_lo, s0
	s_cbranch_vccnz .LBB377_1993
; %bb.1985:
	v_cmp_lt_i16_e64 s0, s6, 6
	s_delay_alu instid0(VALU_DEP_1)
	s_and_b32 vcc_lo, exec_lo, s0
	s_mov_b32 s0, -1
	s_cbranch_vccnz .LBB377_1991
; %bb.1986:
	v_cmp_gt_i16_e64 s0, s6, 6
	s_delay_alu instid0(VALU_DEP_1)
	s_and_b32 vcc_lo, exec_lo, s0
	s_mov_b32 s0, -1
	s_cbranch_vccz .LBB377_1988
; %bb.1987:
	v_cvt_f64_i32_e32 v[6:7], v3
	v_cvt_f64_u32_e32 v[8:9], v2
	s_mov_b32 s0, 0
	s_delay_alu instid0(VALU_DEP_2) | instskip(NEXT) | instid1(VALU_DEP_1)
	v_ldexp_f64 v[6:7], v[6:7], 32
	v_add_f64 v[6:7], v[6:7], v[8:9]
	global_store_b64 v[4:5], v[6:7], off
.LBB377_1988:
	s_and_not1_b32 vcc_lo, exec_lo, s0
	s_cbranch_vccnz .LBB377_1990
; %bb.1989:
	v_xor_b32_e32 v1, v2, v3
	v_cls_i32_e32 v6, v3
	s_delay_alu instid0(VALU_DEP_2) | instskip(NEXT) | instid1(VALU_DEP_2)
	v_ashrrev_i32_e32 v1, 31, v1
	v_add_nc_u32_e32 v6, -1, v6
	s_delay_alu instid0(VALU_DEP_2) | instskip(NEXT) | instid1(VALU_DEP_1)
	v_add_nc_u32_e32 v1, 32, v1
	v_min_u32_e32 v1, v6, v1
	s_delay_alu instid0(VALU_DEP_1) | instskip(SKIP_1) | instid1(VALU_DEP_2)
	v_lshlrev_b64 v[6:7], v1, v[2:3]
	v_sub_nc_u32_e32 v1, 32, v1
	v_min_u32_e32 v6, 1, v6
	s_delay_alu instid0(VALU_DEP_1) | instskip(NEXT) | instid1(VALU_DEP_1)
	v_or_b32_e32 v6, v7, v6
	v_cvt_f32_i32_e32 v6, v6
	s_delay_alu instid0(VALU_DEP_1)
	v_ldexp_f32 v1, v6, v1
	global_store_b32 v[4:5], v1, off
.LBB377_1990:
	s_mov_b32 s0, 0
.LBB377_1991:
	s_delay_alu instid0(SALU_CYCLE_1)
	s_and_not1_b32 vcc_lo, exec_lo, s0
	s_cbranch_vccnz .LBB377_1993
; %bb.1992:
	v_xor_b32_e32 v1, v2, v3
	v_cls_i32_e32 v6, v3
	s_delay_alu instid0(VALU_DEP_2) | instskip(NEXT) | instid1(VALU_DEP_2)
	v_ashrrev_i32_e32 v1, 31, v1
	v_add_nc_u32_e32 v6, -1, v6
	s_delay_alu instid0(VALU_DEP_2) | instskip(NEXT) | instid1(VALU_DEP_1)
	v_add_nc_u32_e32 v1, 32, v1
	v_min_u32_e32 v1, v6, v1
	s_delay_alu instid0(VALU_DEP_1) | instskip(SKIP_1) | instid1(VALU_DEP_2)
	v_lshlrev_b64 v[6:7], v1, v[2:3]
	v_sub_nc_u32_e32 v1, 32, v1
	v_min_u32_e32 v6, 1, v6
	s_delay_alu instid0(VALU_DEP_1) | instskip(NEXT) | instid1(VALU_DEP_1)
	v_or_b32_e32 v6, v7, v6
	v_cvt_f32_i32_e32 v6, v6
	s_delay_alu instid0(VALU_DEP_1) | instskip(NEXT) | instid1(VALU_DEP_1)
	v_ldexp_f32 v1, v6, v1
	v_cvt_f16_f32_e32 v1, v1
	global_store_b16 v[4:5], v1, off
.LBB377_1993:
	s_mov_b32 s0, 0
.LBB377_1994:
	s_delay_alu instid0(SALU_CYCLE_1)
	s_and_not1_b32 vcc_lo, exec_lo, s0
	s_cbranch_vccnz .LBB377_2010
; %bb.1995:
	v_cmp_lt_i16_e64 s0, s6, 2
	s_delay_alu instid0(VALU_DEP_1)
	s_and_b32 vcc_lo, exec_lo, s0
	s_mov_b32 s0, -1
	s_cbranch_vccnz .LBB377_2005
; %bb.1996:
	v_cmp_lt_i16_e64 s0, s6, 3
	s_delay_alu instid0(VALU_DEP_1)
	s_and_b32 vcc_lo, exec_lo, s0
	s_mov_b32 s0, -1
	s_cbranch_vccnz .LBB377_2002
; %bb.1997:
	v_cmp_gt_i16_e64 s0, s6, 3
	s_delay_alu instid0(VALU_DEP_1)
	s_and_b32 vcc_lo, exec_lo, s0
	s_mov_b32 s0, -1
	s_cbranch_vccz .LBB377_1999
; %bb.1998:
	s_mov_b32 s0, 0
	global_store_b64 v[4:5], v[2:3], off
.LBB377_1999:
	s_and_not1_b32 vcc_lo, exec_lo, s0
	s_cbranch_vccnz .LBB377_2001
; %bb.2000:
	global_store_b32 v[4:5], v2, off
.LBB377_2001:
	s_mov_b32 s0, 0
.LBB377_2002:
	s_delay_alu instid0(SALU_CYCLE_1)
	s_and_not1_b32 vcc_lo, exec_lo, s0
	s_cbranch_vccnz .LBB377_2004
; %bb.2003:
	global_store_b16 v[4:5], v2, off
.LBB377_2004:
	s_mov_b32 s0, 0
.LBB377_2005:
	s_delay_alu instid0(SALU_CYCLE_1)
	s_and_not1_b32 vcc_lo, exec_lo, s0
	s_cbranch_vccnz .LBB377_2010
; %bb.2006:
	v_cmp_gt_i16_e64 s0, s6, 0
	s_delay_alu instid0(VALU_DEP_1)
	s_and_b32 vcc_lo, exec_lo, s0
	s_mov_b32 s0, -1
	s_cbranch_vccz .LBB377_2008
; %bb.2007:
	s_mov_b32 s0, 0
	global_store_b8 v[4:5], v2, off
.LBB377_2008:
	s_and_not1_b32 vcc_lo, exec_lo, s0
	s_cbranch_vccnz .LBB377_2010
; %bb.2009:
	global_store_b8 v[4:5], v2, off
.LBB377_2010:
	s_mov_b32 s7, -1
.LBB377_2011:
	s_delay_alu instid0(SALU_CYCLE_1)
	s_and_not1_b32 vcc_lo, exec_lo, s7
	s_cbranch_vccnz .LBB377_2020
; %bb.2012:
	v_cmp_lt_i64_e32 vcc_lo, s[2:3], v[10:11]
	v_cmp_lt_i16_e64 s0, s6, 11
	s_mov_b32 s1, 0
	v_cndmask_b32_e32 v2, s2, v10, vcc_lo
	v_add_co_u32 v0, s2, s4, v0
	v_cndmask_b32_e32 v3, s3, v11, vcc_lo
	v_add_co_ci_u32_e64 v1, null, s5, 0, s2
	s_and_b32 vcc_lo, exec_lo, s0
	s_mov_b32 s0, -1
	s_cbranch_vccnz .LBB377_2021
; %bb.2013:
	v_cmp_gt_i16_e64 s0, s6, 25
	s_mov_b32 s2, -1
	s_delay_alu instid0(VALU_DEP_1)
	s_and_b32 vcc_lo, exec_lo, s0
	s_mov_b32 s0, 0
	s_cbranch_vccz .LBB377_2102
; %bb.2014:
	v_cmp_gt_i16_e64 s0, s6, 28
	s_delay_alu instid0(VALU_DEP_1)
	s_and_b32 vcc_lo, exec_lo, s0
	s_cbranch_vccz .LBB377_2065
; %bb.2015:
	v_cmp_gt_i16_e64 s0, s6, 43
	s_delay_alu instid0(VALU_DEP_1)
	s_and_b32 vcc_lo, exec_lo, s0
	;; [unrolled: 5-line block ×3, first 2 shown]
	s_cbranch_vccz .LBB377_2075
; %bb.2017:
	v_cmp_eq_u16_e64 s0, s6, 46
	s_delay_alu instid0(VALU_DEP_1)
	s_and_b32 vcc_lo, exec_lo, s0
	s_mov_b32 s0, -1
	s_cbranch_vccz .LBB377_2019
; %bb.2018:
	v_xor_b32_e32 v4, v2, v3
	v_cls_i32_e32 v5, v3
	s_mov_b32 s0, 0
	s_delay_alu instid0(VALU_DEP_2) | instskip(NEXT) | instid1(VALU_DEP_2)
	v_ashrrev_i32_e32 v4, 31, v4
	v_add_nc_u32_e32 v5, -1, v5
	s_delay_alu instid0(VALU_DEP_2) | instskip(NEXT) | instid1(VALU_DEP_1)
	v_add_nc_u32_e32 v4, 32, v4
	v_min_u32_e32 v6, v5, v4
	s_delay_alu instid0(VALU_DEP_1) | instskip(NEXT) | instid1(VALU_DEP_1)
	v_lshlrev_b64 v[4:5], v6, v[2:3]
	v_min_u32_e32 v4, 1, v4
	s_delay_alu instid0(VALU_DEP_1) | instskip(SKIP_1) | instid1(VALU_DEP_2)
	v_or_b32_e32 v4, v5, v4
	v_sub_nc_u32_e32 v5, 32, v6
	v_cvt_f32_i32_e32 v4, v4
	s_delay_alu instid0(VALU_DEP_1) | instskip(NEXT) | instid1(VALU_DEP_1)
	v_ldexp_f32 v4, v4, v5
	v_bfe_u32 v5, v4, 16, 1
	s_delay_alu instid0(VALU_DEP_1) | instskip(NEXT) | instid1(VALU_DEP_1)
	v_add3_u32 v4, v4, v5, 0x7fff
	v_lshrrev_b32_e32 v4, 16, v4
	global_store_b32 v[0:1], v4, off
.LBB377_2019:
	s_mov_b32 s2, 0
	s_branch .LBB377_2076
.LBB377_2020:
	s_mov_b32 s0, 0
	s_mov_b32 s1, 0
                                        ; implicit-def: $vgpr0_vgpr1
                                        ; implicit-def: $sgpr6
                                        ; implicit-def: $vgpr2_vgpr3
.LBB377_2021:
	s_and_b32 s2, s0, exec_lo
	s_and_not1_b32 s0, s8, exec_lo
	s_and_b32 s3, s10, exec_lo
	s_and_b32 s28, s1, exec_lo
	s_or_b32 s8, s0, s3
.LBB377_2022:
	s_or_b32 exec_lo, exec_lo, s9
	s_and_saveexec_b32 s0, s8
	s_cbranch_execz .LBB377_2025
; %bb.2023:
	; divergent unreachable
	s_or_b32 exec_lo, exec_lo, s0
	s_and_saveexec_b32 s0, s28
	s_delay_alu instid0(SALU_CYCLE_1)
	s_xor_b32 s0, exec_lo, s0
	s_cbranch_execnz .LBB377_2026
.LBB377_2024:
	s_or_b32 exec_lo, exec_lo, s0
	s_and_saveexec_b32 s0, s2
	s_cbranch_execnz .LBB377_2027
	s_branch .LBB377_2064
.LBB377_2025:
	s_or_b32 exec_lo, exec_lo, s0
	s_and_saveexec_b32 s0, s28
	s_delay_alu instid0(SALU_CYCLE_1)
	s_xor_b32 s0, exec_lo, s0
	s_cbranch_execz .LBB377_2024
.LBB377_2026:
	s_waitcnt vmcnt(0)
	v_cmp_ne_u64_e32 vcc_lo, 0, v[2:3]
	v_cndmask_b32_e64 v4, 0, 1, vcc_lo
	global_store_b8 v[0:1], v4, off
	s_or_b32 exec_lo, exec_lo, s0
	s_and_saveexec_b32 s0, s2
	s_cbranch_execz .LBB377_2064
.LBB377_2027:
	v_cmp_lt_i16_e64 s0, s6, 5
	s_delay_alu instid0(VALU_DEP_1)
	s_and_b32 vcc_lo, exec_lo, s0
	s_mov_b32 s0, -1
	s_cbranch_vccnz .LBB377_2048
; %bb.2028:
	v_cmp_lt_i16_e64 s0, s6, 8
	s_delay_alu instid0(VALU_DEP_1)
	s_and_b32 vcc_lo, exec_lo, s0
	s_mov_b32 s0, -1
	s_cbranch_vccnz .LBB377_2038
; %bb.2029:
	;; [unrolled: 6-line block ×3, first 2 shown]
	v_cmp_gt_i16_e64 s0, s6, 9
	s_delay_alu instid0(VALU_DEP_1)
	s_and_b32 vcc_lo, exec_lo, s0
	s_mov_b32 s0, -1
	s_cbranch_vccz .LBB377_2032
; %bb.2031:
	s_waitcnt vmcnt(0)
	v_cvt_f64_i32_e32 v[4:5], v3
	v_cvt_f64_u32_e32 v[6:7], v2
	s_mov_b32 s0, 0
	s_delay_alu instid0(VALU_DEP_2) | instskip(NEXT) | instid1(VALU_DEP_1)
	v_ldexp_f64 v[4:5], v[4:5], 32
	v_add_f64 v[4:5], v[4:5], v[6:7]
	v_mov_b32_e32 v6, 0
	s_delay_alu instid0(VALU_DEP_1)
	v_mov_b32_e32 v7, v6
	global_store_b128 v[0:1], v[4:7], off
.LBB377_2032:
	s_and_not1_b32 vcc_lo, exec_lo, s0
	s_cbranch_vccnz .LBB377_2034
; %bb.2033:
	s_waitcnt vmcnt(0)
	v_xor_b32_e32 v4, v2, v3
	v_cls_i32_e32 v5, v3
	s_delay_alu instid0(VALU_DEP_2) | instskip(NEXT) | instid1(VALU_DEP_2)
	v_ashrrev_i32_e32 v4, 31, v4
	v_add_nc_u32_e32 v5, -1, v5
	s_delay_alu instid0(VALU_DEP_2) | instskip(NEXT) | instid1(VALU_DEP_1)
	v_add_nc_u32_e32 v4, 32, v4
	v_min_u32_e32 v6, v5, v4
	s_delay_alu instid0(VALU_DEP_1) | instskip(NEXT) | instid1(VALU_DEP_1)
	v_lshlrev_b64 v[4:5], v6, v[2:3]
	v_min_u32_e32 v4, 1, v4
	s_delay_alu instid0(VALU_DEP_1) | instskip(SKIP_1) | instid1(VALU_DEP_2)
	v_or_b32_e32 v4, v5, v4
	v_sub_nc_u32_e32 v5, 32, v6
	v_cvt_f32_i32_e32 v4, v4
	s_delay_alu instid0(VALU_DEP_1)
	v_ldexp_f32 v4, v4, v5
	v_mov_b32_e32 v5, 0
	global_store_b64 v[0:1], v[4:5], off
.LBB377_2034:
	s_mov_b32 s0, 0
.LBB377_2035:
	s_delay_alu instid0(SALU_CYCLE_1)
	s_and_not1_b32 vcc_lo, exec_lo, s0
	s_cbranch_vccnz .LBB377_2037
; %bb.2036:
	s_waitcnt vmcnt(0)
	v_xor_b32_e32 v4, v2, v3
	v_cls_i32_e32 v5, v3
	s_delay_alu instid0(VALU_DEP_2) | instskip(NEXT) | instid1(VALU_DEP_2)
	v_ashrrev_i32_e32 v4, 31, v4
	v_add_nc_u32_e32 v5, -1, v5
	s_delay_alu instid0(VALU_DEP_2) | instskip(NEXT) | instid1(VALU_DEP_1)
	v_add_nc_u32_e32 v4, 32, v4
	v_min_u32_e32 v6, v5, v4
	s_delay_alu instid0(VALU_DEP_1) | instskip(NEXT) | instid1(VALU_DEP_1)
	v_lshlrev_b64 v[4:5], v6, v[2:3]
	v_min_u32_e32 v4, 1, v4
	s_delay_alu instid0(VALU_DEP_1) | instskip(SKIP_1) | instid1(VALU_DEP_2)
	v_or_b32_e32 v4, v5, v4
	v_sub_nc_u32_e32 v5, 32, v6
	v_cvt_f32_i32_e32 v4, v4
	s_delay_alu instid0(VALU_DEP_1) | instskip(NEXT) | instid1(VALU_DEP_1)
	v_ldexp_f32 v4, v4, v5
	v_cvt_f16_f32_e32 v4, v4
	s_delay_alu instid0(VALU_DEP_1)
	v_and_b32_e32 v4, 0xffff, v4
	global_store_b32 v[0:1], v4, off
.LBB377_2037:
	s_mov_b32 s0, 0
.LBB377_2038:
	s_delay_alu instid0(SALU_CYCLE_1)
	s_and_not1_b32 vcc_lo, exec_lo, s0
	s_cbranch_vccnz .LBB377_2047
; %bb.2039:
	v_cmp_lt_i16_e64 s0, s6, 6
	s_delay_alu instid0(VALU_DEP_1)
	s_and_b32 vcc_lo, exec_lo, s0
	s_mov_b32 s0, -1
	s_cbranch_vccnz .LBB377_2045
; %bb.2040:
	v_cmp_gt_i16_e64 s0, s6, 6
	s_delay_alu instid0(VALU_DEP_1)
	s_and_b32 vcc_lo, exec_lo, s0
	s_mov_b32 s0, -1
	s_cbranch_vccz .LBB377_2042
; %bb.2041:
	s_waitcnt vmcnt(0)
	v_cvt_f64_i32_e32 v[4:5], v3
	v_cvt_f64_u32_e32 v[6:7], v2
	s_mov_b32 s0, 0
	s_delay_alu instid0(VALU_DEP_2) | instskip(NEXT) | instid1(VALU_DEP_1)
	v_ldexp_f64 v[4:5], v[4:5], 32
	v_add_f64 v[4:5], v[4:5], v[6:7]
	global_store_b64 v[0:1], v[4:5], off
.LBB377_2042:
	s_and_not1_b32 vcc_lo, exec_lo, s0
	s_cbranch_vccnz .LBB377_2044
; %bb.2043:
	s_waitcnt vmcnt(0)
	v_xor_b32_e32 v4, v2, v3
	v_cls_i32_e32 v5, v3
	s_delay_alu instid0(VALU_DEP_2) | instskip(NEXT) | instid1(VALU_DEP_2)
	v_ashrrev_i32_e32 v4, 31, v4
	v_add_nc_u32_e32 v5, -1, v5
	s_delay_alu instid0(VALU_DEP_2) | instskip(NEXT) | instid1(VALU_DEP_1)
	v_add_nc_u32_e32 v4, 32, v4
	v_min_u32_e32 v6, v5, v4
	s_delay_alu instid0(VALU_DEP_1) | instskip(NEXT) | instid1(VALU_DEP_1)
	v_lshlrev_b64 v[4:5], v6, v[2:3]
	v_min_u32_e32 v4, 1, v4
	s_delay_alu instid0(VALU_DEP_1) | instskip(SKIP_1) | instid1(VALU_DEP_2)
	v_or_b32_e32 v4, v5, v4
	v_sub_nc_u32_e32 v5, 32, v6
	v_cvt_f32_i32_e32 v4, v4
	s_delay_alu instid0(VALU_DEP_1)
	v_ldexp_f32 v4, v4, v5
	global_store_b32 v[0:1], v4, off
.LBB377_2044:
	s_mov_b32 s0, 0
.LBB377_2045:
	s_delay_alu instid0(SALU_CYCLE_1)
	s_and_not1_b32 vcc_lo, exec_lo, s0
	s_cbranch_vccnz .LBB377_2047
; %bb.2046:
	s_waitcnt vmcnt(0)
	v_xor_b32_e32 v4, v2, v3
	v_cls_i32_e32 v5, v3
	s_delay_alu instid0(VALU_DEP_2) | instskip(NEXT) | instid1(VALU_DEP_2)
	v_ashrrev_i32_e32 v4, 31, v4
	v_add_nc_u32_e32 v5, -1, v5
	s_delay_alu instid0(VALU_DEP_2) | instskip(NEXT) | instid1(VALU_DEP_1)
	v_add_nc_u32_e32 v4, 32, v4
	v_min_u32_e32 v6, v5, v4
	s_delay_alu instid0(VALU_DEP_1) | instskip(NEXT) | instid1(VALU_DEP_1)
	v_lshlrev_b64 v[4:5], v6, v[2:3]
	v_min_u32_e32 v4, 1, v4
	s_delay_alu instid0(VALU_DEP_1) | instskip(SKIP_1) | instid1(VALU_DEP_2)
	v_or_b32_e32 v4, v5, v4
	v_sub_nc_u32_e32 v5, 32, v6
	v_cvt_f32_i32_e32 v4, v4
	s_delay_alu instid0(VALU_DEP_1) | instskip(NEXT) | instid1(VALU_DEP_1)
	v_ldexp_f32 v4, v4, v5
	v_cvt_f16_f32_e32 v4, v4
	global_store_b16 v[0:1], v4, off
.LBB377_2047:
	s_mov_b32 s0, 0
.LBB377_2048:
	s_delay_alu instid0(SALU_CYCLE_1)
	s_and_not1_b32 vcc_lo, exec_lo, s0
	s_cbranch_vccnz .LBB377_2064
; %bb.2049:
	v_cmp_lt_i16_e64 s0, s6, 2
	s_delay_alu instid0(VALU_DEP_1)
	s_and_b32 vcc_lo, exec_lo, s0
	s_mov_b32 s0, -1
	s_cbranch_vccnz .LBB377_2059
; %bb.2050:
	v_cmp_lt_i16_e64 s0, s6, 3
	s_delay_alu instid0(VALU_DEP_1)
	s_and_b32 vcc_lo, exec_lo, s0
	s_mov_b32 s0, -1
	s_cbranch_vccnz .LBB377_2056
; %bb.2051:
	v_cmp_gt_i16_e64 s0, s6, 3
	s_delay_alu instid0(VALU_DEP_1)
	s_and_b32 vcc_lo, exec_lo, s0
	s_mov_b32 s0, -1
	s_cbranch_vccz .LBB377_2053
; %bb.2052:
	s_mov_b32 s0, 0
	s_waitcnt vmcnt(0)
	global_store_b64 v[0:1], v[2:3], off
.LBB377_2053:
	s_and_not1_b32 vcc_lo, exec_lo, s0
	s_cbranch_vccnz .LBB377_2055
; %bb.2054:
	global_store_b32 v[0:1], v2, off
.LBB377_2055:
	s_mov_b32 s0, 0
.LBB377_2056:
	s_delay_alu instid0(SALU_CYCLE_1)
	s_and_not1_b32 vcc_lo, exec_lo, s0
	s_cbranch_vccnz .LBB377_2058
; %bb.2057:
	global_store_b16 v[0:1], v2, off
.LBB377_2058:
	s_mov_b32 s0, 0
.LBB377_2059:
	s_delay_alu instid0(SALU_CYCLE_1)
	s_and_not1_b32 vcc_lo, exec_lo, s0
	s_cbranch_vccnz .LBB377_2064
; %bb.2060:
	v_cmp_gt_i16_e64 s0, s6, 0
	s_delay_alu instid0(VALU_DEP_1)
	s_and_b32 vcc_lo, exec_lo, s0
	s_mov_b32 s0, -1
	s_cbranch_vccz .LBB377_2062
; %bb.2061:
	s_mov_b32 s0, 0
	global_store_b8 v[0:1], v2, off
.LBB377_2062:
	s_and_not1_b32 vcc_lo, exec_lo, s0
	s_cbranch_vccnz .LBB377_2064
; %bb.2063:
	global_store_b8 v[0:1], v2, off
	s_nop 0
	s_sendmsg sendmsg(MSG_DEALLOC_VGPRS)
	s_endpgm
.LBB377_2064:
	s_nop 0
	s_sendmsg sendmsg(MSG_DEALLOC_VGPRS)
	s_endpgm
.LBB377_2065:
	s_mov_b32 s0, 0
	s_branch .LBB377_2086
.LBB377_2066:
	s_or_saveexec_b32 s12, s12
                                        ; implicit-def: $sgpr13
	s_delay_alu instid0(SALU_CYCLE_1)
	s_xor_b32 exec_lo, exec_lo, s12
	s_cbranch_execz .LBB377_1922
.LBB377_2067:
	v_add_f32_e64 v6, 0x46000000, |v1|
	s_and_not1_b32 s11, s11, exec_lo
	s_mov_b32 s13, 0
	s_delay_alu instid0(VALU_DEP_1) | instskip(NEXT) | instid1(VALU_DEP_1)
	v_and_b32_e32 v6, 0xff, v6
	v_cmp_ne_u32_e32 vcc_lo, 0, v6
	s_and_b32 s14, vcc_lo, exec_lo
	s_delay_alu instid0(SALU_CYCLE_1)
	s_or_b32 s11, s11, s14
	s_or_b32 exec_lo, exec_lo, s12
	v_mov_b32_e32 v7, s13
	s_and_saveexec_b32 s12, s11
	s_cbranch_execnz .LBB377_1923
	s_branch .LBB377_1924
.LBB377_2068:
	s_mov_b32 s0, 0
	s_branch .LBB377_2082
.LBB377_2069:
	s_trap 2
	s_sendmsg_rtn_b32 s0, sendmsg(MSG_RTN_GET_DOORBELL)
	s_mov_b32 ttmp2, m0
	s_waitcnt lgkmcnt(0)
	s_and_b32 s0, s0, 0x3ff
	s_delay_alu instid0(SALU_CYCLE_1) | instskip(NEXT) | instid1(SALU_CYCLE_1)
	s_bitset1_b32 s0, 10
	s_mov_b32 m0, s0
	s_sendmsg sendmsg(MSG_INTERRUPT)
	s_mov_b32 m0, ttmp2
.LBB377_2070:                           ; =>This Inner Loop Header: Depth=1
	s_sethalt 5
	s_branch .LBB377_2070
.LBB377_2071:
	s_cbranch_execnz .LBB377_2146
; %bb.2072:
	s_or_b32 s10, s10, exec_lo
	s_cbranch_execz .LBB377_1970
	s_branch .LBB377_1971
.LBB377_2073:
	s_or_saveexec_b32 s11, s11
                                        ; implicit-def: $sgpr12
	s_delay_alu instid0(SALU_CYCLE_1)
	s_xor_b32 exec_lo, exec_lo, s11
	s_cbranch_execz .LBB377_1935
.LBB377_2074:
	v_add_f32_e64 v6, 0x42800000, |v1|
	s_and_not1_b32 s7, s7, exec_lo
	s_mov_b32 s12, 0
	s_delay_alu instid0(VALU_DEP_1) | instskip(NEXT) | instid1(VALU_DEP_1)
	v_and_b32_e32 v6, 0xff, v6
	v_cmp_ne_u32_e32 vcc_lo, 0, v6
	s_and_b32 s13, vcc_lo, exec_lo
	s_delay_alu instid0(SALU_CYCLE_1)
	s_or_b32 s7, s7, s13
	s_or_b32 exec_lo, exec_lo, s11
	v_mov_b32_e32 v7, s12
	s_and_saveexec_b32 s11, s7
	s_cbranch_execnz .LBB377_1936
	s_branch .LBB377_1937
.LBB377_2075:
	s_mov_b32 s0, 0
.LBB377_2076:
	s_and_b32 vcc_lo, exec_lo, s2
	s_cbranch_vccz .LBB377_2081
; %bb.2077:
	v_cmp_eq_u16_e64 s0, s6, 44
	s_delay_alu instid0(VALU_DEP_1)
	s_and_b32 vcc_lo, exec_lo, s0
	s_mov_b32 s0, -1
	s_cbranch_vccz .LBB377_2081
; %bb.2078:
	v_xor_b32_e32 v4, v2, v3
	v_cls_i32_e32 v5, v3
	s_mov_b32 s2, exec_lo
	s_delay_alu instid0(VALU_DEP_2) | instskip(NEXT) | instid1(VALU_DEP_2)
	v_ashrrev_i32_e32 v4, 31, v4
	v_add_nc_u32_e32 v5, -1, v5
	s_delay_alu instid0(VALU_DEP_2) | instskip(NEXT) | instid1(VALU_DEP_1)
	v_add_nc_u32_e32 v4, 32, v4
	v_min_u32_e32 v6, v5, v4
	s_delay_alu instid0(VALU_DEP_1) | instskip(NEXT) | instid1(VALU_DEP_1)
	v_lshlrev_b64 v[4:5], v6, v[2:3]
	v_min_u32_e32 v4, 1, v4
	s_delay_alu instid0(VALU_DEP_1) | instskip(SKIP_1) | instid1(VALU_DEP_2)
	v_or_b32_e32 v4, v5, v4
	v_sub_nc_u32_e32 v5, 32, v6
	v_cvt_f32_i32_e32 v4, v4
	s_delay_alu instid0(VALU_DEP_1) | instskip(SKIP_1) | instid1(VALU_DEP_2)
	v_ldexp_f32 v4, v4, v5
	v_mov_b32_e32 v5, 0xff
	v_bfe_u32 v6, v4, 23, 8
	s_delay_alu instid0(VALU_DEP_1)
	v_cmpx_ne_u32_e32 0xff, v6
; %bb.2079:
	v_and_b32_e32 v5, 0x400000, v4
	v_and_or_b32 v6, 0x3fffff, v4, v6
	v_lshrrev_b32_e32 v4, 23, v4
	s_delay_alu instid0(VALU_DEP_3) | instskip(NEXT) | instid1(VALU_DEP_3)
	v_cmp_ne_u32_e32 vcc_lo, 0, v5
	v_cmp_ne_u32_e64 s0, 0, v6
	s_delay_alu instid0(VALU_DEP_1) | instskip(NEXT) | instid1(SALU_CYCLE_1)
	s_and_b32 s0, vcc_lo, s0
	v_cndmask_b32_e64 v5, 0, 1, s0
	s_delay_alu instid0(VALU_DEP_1)
	v_add_nc_u32_e32 v5, v4, v5
; %bb.2080:
	s_or_b32 exec_lo, exec_lo, s2
	s_mov_b32 s0, 0
	global_store_b8 v[0:1], v5, off
.LBB377_2081:
	s_mov_b32 s2, 0
.LBB377_2082:
	s_delay_alu instid0(SALU_CYCLE_1)
	s_and_b32 vcc_lo, exec_lo, s2
	s_cbranch_vccz .LBB377_2085
; %bb.2083:
	v_cmp_eq_u16_e64 s0, s6, 29
	s_delay_alu instid0(VALU_DEP_1)
	s_and_b32 vcc_lo, exec_lo, s0
	s_mov_b32 s0, -1
	s_cbranch_vccz .LBB377_2085
; %bb.2084:
	s_mov_b32 s0, 0
	global_store_b64 v[0:1], v[2:3], off
.LBB377_2085:
	s_mov_b32 s2, 0
.LBB377_2086:
	s_delay_alu instid0(SALU_CYCLE_1)
	s_and_b32 vcc_lo, exec_lo, s2
	s_cbranch_vccz .LBB377_2101
; %bb.2087:
	v_cmp_lt_i16_e64 s2, s6, 27
	s_delay_alu instid0(VALU_DEP_1)
	s_and_b32 vcc_lo, exec_lo, s2
	s_mov_b32 s2, -1
	s_cbranch_vccnz .LBB377_2093
; %bb.2088:
	v_cmp_gt_i16_e64 s2, s6, 27
	s_delay_alu instid0(VALU_DEP_1)
	s_and_b32 vcc_lo, exec_lo, s2
	s_mov_b32 s2, -1
	s_cbranch_vccz .LBB377_2090
; %bb.2089:
	s_mov_b32 s2, 0
	global_store_b32 v[0:1], v2, off
.LBB377_2090:
	s_and_not1_b32 vcc_lo, exec_lo, s2
	s_cbranch_vccnz .LBB377_2092
; %bb.2091:
	global_store_b16 v[0:1], v2, off
.LBB377_2092:
	s_mov_b32 s2, 0
.LBB377_2093:
	s_delay_alu instid0(SALU_CYCLE_1)
	s_and_not1_b32 vcc_lo, exec_lo, s2
	s_cbranch_vccnz .LBB377_2101
; %bb.2094:
	v_xor_b32_e32 v4, v2, v3
	v_cls_i32_e32 v5, v3
	s_mov_b32 s2, exec_lo
	s_delay_alu instid0(VALU_DEP_2) | instskip(NEXT) | instid1(VALU_DEP_2)
	v_ashrrev_i32_e32 v4, 31, v4
	v_add_nc_u32_e32 v5, -1, v5
	s_delay_alu instid0(VALU_DEP_2) | instskip(NEXT) | instid1(VALU_DEP_1)
	v_add_nc_u32_e32 v4, 32, v4
	v_min_u32_e32 v6, v5, v4
	s_delay_alu instid0(VALU_DEP_1) | instskip(NEXT) | instid1(VALU_DEP_1)
	v_lshlrev_b64 v[4:5], v6, v[2:3]
	v_min_u32_e32 v4, 1, v4
	s_delay_alu instid0(VALU_DEP_1) | instskip(SKIP_2) | instid1(VALU_DEP_3)
	v_or_b32_e32 v4, v5, v4
	v_sub_nc_u32_e32 v5, 32, v6
	v_mov_b32_e32 v6, 0x80
	v_cvt_f32_i32_e32 v4, v4
	s_delay_alu instid0(VALU_DEP_1) | instskip(NEXT) | instid1(VALU_DEP_1)
	v_ldexp_f32 v4, v4, v5
	v_and_b32_e32 v5, 0x7fffffff, v4
	s_delay_alu instid0(VALU_DEP_1)
	v_cmpx_gt_u32_e32 0x43800000, v5
	s_cbranch_execz .LBB377_2100
; %bb.2095:
	v_cmp_lt_u32_e32 vcc_lo, 0x3bffffff, v5
	s_mov_b32 s3, 0
                                        ; implicit-def: $vgpr5
	s_and_saveexec_b32 s4, vcc_lo
	s_delay_alu instid0(SALU_CYCLE_1)
	s_xor_b32 s4, exec_lo, s4
	s_cbranch_execz .LBB377_2144
; %bb.2096:
	v_bfe_u32 v5, v4, 20, 1
	s_mov_b32 s3, exec_lo
	s_delay_alu instid0(VALU_DEP_1) | instskip(NEXT) | instid1(VALU_DEP_1)
	v_add3_u32 v5, v4, v5, 0x487ffff
	v_lshrrev_b32_e32 v5, 20, v5
	s_or_saveexec_b32 s4, s4
                                        ; implicit-def: $sgpr5
	s_delay_alu instid0(SALU_CYCLE_1)
	s_xor_b32 exec_lo, exec_lo, s4
	s_cbranch_execnz .LBB377_2145
.LBB377_2097:
	s_or_b32 exec_lo, exec_lo, s4
	v_mov_b32_e32 v6, s5
	s_and_saveexec_b32 s4, s3
.LBB377_2098:
	v_lshrrev_b32_e32 v4, 24, v4
	s_delay_alu instid0(VALU_DEP_1)
	v_and_or_b32 v6, 0x80, v4, v5
.LBB377_2099:
	s_or_b32 exec_lo, exec_lo, s4
.LBB377_2100:
	s_delay_alu instid0(SALU_CYCLE_1)
	s_or_b32 exec_lo, exec_lo, s2
	global_store_b8 v[0:1], v6, off
.LBB377_2101:
	s_mov_b32 s2, 0
.LBB377_2102:
	s_delay_alu instid0(SALU_CYCLE_1)
	s_and_b32 vcc_lo, exec_lo, s2
	s_cbranch_vccz .LBB377_2142
; %bb.2103:
	v_cmp_gt_i16_e64 s1, s6, 22
	s_delay_alu instid0(VALU_DEP_1)
	s_and_b32 vcc_lo, exec_lo, s1
	s_mov_b32 s1, -1
	s_cbranch_vccz .LBB377_2135
; %bb.2104:
	v_cmp_lt_i16_e64 s1, s6, 24
	s_delay_alu instid0(VALU_DEP_1)
	s_and_b32 vcc_lo, exec_lo, s1
	s_mov_b32 s1, -1
	s_cbranch_vccnz .LBB377_2124
; %bb.2105:
	v_cmp_gt_i16_e64 s1, s6, 24
	s_delay_alu instid0(VALU_DEP_1)
	s_and_b32 vcc_lo, exec_lo, s1
	s_mov_b32 s1, -1
	s_cbranch_vccz .LBB377_2113
; %bb.2106:
	v_xor_b32_e32 v4, v2, v3
	v_cls_i32_e32 v5, v3
	s_mov_b32 s1, exec_lo
	s_delay_alu instid0(VALU_DEP_2) | instskip(NEXT) | instid1(VALU_DEP_2)
	v_ashrrev_i32_e32 v4, 31, v4
	v_add_nc_u32_e32 v5, -1, v5
	s_delay_alu instid0(VALU_DEP_2) | instskip(NEXT) | instid1(VALU_DEP_1)
	v_add_nc_u32_e32 v4, 32, v4
	v_min_u32_e32 v6, v5, v4
	s_delay_alu instid0(VALU_DEP_1) | instskip(NEXT) | instid1(VALU_DEP_1)
	v_lshlrev_b64 v[4:5], v6, v[2:3]
	v_min_u32_e32 v4, 1, v4
	s_delay_alu instid0(VALU_DEP_1) | instskip(SKIP_2) | instid1(VALU_DEP_3)
	v_or_b32_e32 v4, v5, v4
	v_sub_nc_u32_e32 v5, 32, v6
	v_mov_b32_e32 v6, 0x80
	v_cvt_f32_i32_e32 v4, v4
	s_delay_alu instid0(VALU_DEP_1) | instskip(NEXT) | instid1(VALU_DEP_1)
	v_ldexp_f32 v4, v4, v5
	v_and_b32_e32 v5, 0x7fffffff, v4
	s_delay_alu instid0(VALU_DEP_1)
	v_cmpx_gt_u32_e32 0x47800000, v5
	s_cbranch_execz .LBB377_2112
; %bb.2107:
	v_cmp_lt_u32_e32 vcc_lo, 0x37ffffff, v5
	s_mov_b32 s2, 0
                                        ; implicit-def: $vgpr5
	s_and_saveexec_b32 s3, vcc_lo
	s_delay_alu instid0(SALU_CYCLE_1)
	s_xor_b32 s3, exec_lo, s3
	s_cbranch_execz .LBB377_2150
; %bb.2108:
	v_bfe_u32 v5, v4, 21, 1
	s_mov_b32 s2, exec_lo
	s_delay_alu instid0(VALU_DEP_1) | instskip(NEXT) | instid1(VALU_DEP_1)
	v_add3_u32 v5, v4, v5, 0x88fffff
	v_lshrrev_b32_e32 v5, 21, v5
	s_or_saveexec_b32 s3, s3
                                        ; implicit-def: $sgpr4
	s_delay_alu instid0(SALU_CYCLE_1)
	s_xor_b32 exec_lo, exec_lo, s3
	s_cbranch_execnz .LBB377_2151
.LBB377_2109:
	s_or_b32 exec_lo, exec_lo, s3
	v_mov_b32_e32 v6, s4
	s_and_saveexec_b32 s3, s2
.LBB377_2110:
	v_lshrrev_b32_e32 v4, 24, v4
	s_delay_alu instid0(VALU_DEP_1)
	v_and_or_b32 v6, 0x80, v4, v5
.LBB377_2111:
	s_or_b32 exec_lo, exec_lo, s3
.LBB377_2112:
	s_delay_alu instid0(SALU_CYCLE_1)
	s_or_b32 exec_lo, exec_lo, s1
	s_mov_b32 s1, 0
	global_store_b8 v[0:1], v6, off
.LBB377_2113:
	s_and_b32 vcc_lo, exec_lo, s1
	s_cbranch_vccz .LBB377_2123
; %bb.2114:
	v_xor_b32_e32 v4, v2, v3
	v_cls_i32_e32 v5, v3
	s_mov_b32 s1, exec_lo
	s_delay_alu instid0(VALU_DEP_2) | instskip(NEXT) | instid1(VALU_DEP_2)
	v_ashrrev_i32_e32 v4, 31, v4
	v_add_nc_u32_e32 v5, -1, v5
	s_delay_alu instid0(VALU_DEP_2) | instskip(NEXT) | instid1(VALU_DEP_1)
	v_add_nc_u32_e32 v4, 32, v4
	v_min_u32_e32 v6, v5, v4
	s_delay_alu instid0(VALU_DEP_1) | instskip(NEXT) | instid1(VALU_DEP_1)
	v_lshlrev_b64 v[4:5], v6, v[2:3]
	v_min_u32_e32 v4, 1, v4
	s_delay_alu instid0(VALU_DEP_1) | instskip(SKIP_1) | instid1(VALU_DEP_2)
	v_or_b32_e32 v4, v5, v4
	v_sub_nc_u32_e32 v5, 32, v6
	v_cvt_f32_i32_e32 v4, v4
	s_delay_alu instid0(VALU_DEP_1) | instskip(NEXT) | instid1(VALU_DEP_1)
	v_ldexp_f32 v4, v4, v5
                                        ; implicit-def: $vgpr5
	v_and_b32_e32 v6, 0x7fffffff, v4
	s_delay_alu instid0(VALU_DEP_1)
	v_cmpx_gt_u32_e32 0x43f00000, v6
	s_xor_b32 s1, exec_lo, s1
	s_cbranch_execz .LBB377_2120
; %bb.2115:
	s_mov_b32 s2, exec_lo
                                        ; implicit-def: $vgpr5
	v_cmpx_lt_u32_e32 0x3c7fffff, v6
	s_xor_b32 s2, exec_lo, s2
; %bb.2116:
	v_bfe_u32 v5, v4, 20, 1
	s_delay_alu instid0(VALU_DEP_1) | instskip(NEXT) | instid1(VALU_DEP_1)
	v_add3_u32 v5, v4, v5, 0x407ffff
	v_and_b32_e32 v6, 0xff00000, v5
	v_lshrrev_b32_e32 v5, 20, v5
	s_delay_alu instid0(VALU_DEP_2) | instskip(NEXT) | instid1(VALU_DEP_2)
	v_cmp_ne_u32_e32 vcc_lo, 0x7f00000, v6
	v_cndmask_b32_e32 v5, 0x7e, v5, vcc_lo
; %bb.2117:
	s_and_not1_saveexec_b32 s2, s2
; %bb.2118:
	v_add_f32_e64 v5, 0x46800000, |v4|
; %bb.2119:
	s_or_b32 exec_lo, exec_lo, s2
                                        ; implicit-def: $vgpr6
.LBB377_2120:
	s_and_not1_saveexec_b32 s1, s1
; %bb.2121:
	v_mov_b32_e32 v5, 0x7f
	v_cmp_lt_u32_e32 vcc_lo, 0x7f800000, v6
	s_delay_alu instid0(VALU_DEP_2)
	v_cndmask_b32_e32 v5, 0x7e, v5, vcc_lo
; %bb.2122:
	s_or_b32 exec_lo, exec_lo, s1
	v_lshrrev_b32_e32 v4, 24, v4
	s_delay_alu instid0(VALU_DEP_1)
	v_and_or_b32 v4, 0x80, v4, v5
	global_store_b8 v[0:1], v4, off
.LBB377_2123:
	s_mov_b32 s1, 0
.LBB377_2124:
	s_delay_alu instid0(SALU_CYCLE_1)
	s_and_not1_b32 vcc_lo, exec_lo, s1
	s_cbranch_vccnz .LBB377_2134
; %bb.2125:
	v_xor_b32_e32 v4, v2, v3
	v_cls_i32_e32 v5, v3
	s_mov_b32 s1, exec_lo
	s_delay_alu instid0(VALU_DEP_2) | instskip(NEXT) | instid1(VALU_DEP_2)
	v_ashrrev_i32_e32 v4, 31, v4
	v_add_nc_u32_e32 v5, -1, v5
	s_delay_alu instid0(VALU_DEP_2) | instskip(NEXT) | instid1(VALU_DEP_1)
	v_add_nc_u32_e32 v4, 32, v4
	v_min_u32_e32 v6, v5, v4
	s_delay_alu instid0(VALU_DEP_1) | instskip(NEXT) | instid1(VALU_DEP_1)
	v_lshlrev_b64 v[4:5], v6, v[2:3]
	v_min_u32_e32 v4, 1, v4
	s_delay_alu instid0(VALU_DEP_1) | instskip(SKIP_1) | instid1(VALU_DEP_2)
	v_or_b32_e32 v4, v5, v4
	v_sub_nc_u32_e32 v5, 32, v6
	v_cvt_f32_i32_e32 v4, v4
	s_delay_alu instid0(VALU_DEP_1) | instskip(NEXT) | instid1(VALU_DEP_1)
	v_ldexp_f32 v4, v4, v5
                                        ; implicit-def: $vgpr5
	v_and_b32_e32 v6, 0x7fffffff, v4
	s_delay_alu instid0(VALU_DEP_1)
	v_cmpx_gt_u32_e32 0x47800000, v6
	s_xor_b32 s1, exec_lo, s1
	s_cbranch_execz .LBB377_2131
; %bb.2126:
	s_mov_b32 s2, exec_lo
                                        ; implicit-def: $vgpr5
	v_cmpx_lt_u32_e32 0x387fffff, v6
	s_xor_b32 s2, exec_lo, s2
; %bb.2127:
	v_bfe_u32 v5, v4, 21, 1
	s_delay_alu instid0(VALU_DEP_1) | instskip(NEXT) | instid1(VALU_DEP_1)
	v_add3_u32 v5, v4, v5, 0x80fffff
	v_lshrrev_b32_e32 v5, 21, v5
; %bb.2128:
	s_and_not1_saveexec_b32 s2, s2
; %bb.2129:
	v_add_f32_e64 v5, 0x43000000, |v4|
; %bb.2130:
	s_or_b32 exec_lo, exec_lo, s2
                                        ; implicit-def: $vgpr6
.LBB377_2131:
	s_and_not1_saveexec_b32 s1, s1
; %bb.2132:
	v_mov_b32_e32 v5, 0x7f
	v_cmp_lt_u32_e32 vcc_lo, 0x7f800000, v6
	s_delay_alu instid0(VALU_DEP_2)
	v_cndmask_b32_e32 v5, 0x7c, v5, vcc_lo
; %bb.2133:
	s_or_b32 exec_lo, exec_lo, s1
	v_lshrrev_b32_e32 v4, 24, v4
	s_delay_alu instid0(VALU_DEP_1)
	v_and_or_b32 v4, 0x80, v4, v5
	global_store_b8 v[0:1], v4, off
.LBB377_2134:
	s_mov_b32 s1, 0
.LBB377_2135:
	s_delay_alu instid0(SALU_CYCLE_1)
	s_and_not1_b32 vcc_lo, exec_lo, s1
	s_mov_b32 s1, 0
	s_cbranch_vccnz .LBB377_2142
; %bb.2136:
	v_cmp_gt_i16_e64 s1, s6, 14
	s_delay_alu instid0(VALU_DEP_1)
	s_and_b32 vcc_lo, exec_lo, s1
	s_mov_b32 s1, -1
	s_cbranch_vccz .LBB377_2140
; %bb.2137:
	v_cmp_eq_u16_e64 s0, s6, 15
	s_delay_alu instid0(VALU_DEP_1)
	s_and_b32 vcc_lo, exec_lo, s0
	s_mov_b32 s0, -1
	s_cbranch_vccz .LBB377_2139
; %bb.2138:
	v_xor_b32_e32 v4, v2, v3
	v_cls_i32_e32 v5, v3
	s_mov_b32 s0, 0
	s_delay_alu instid0(VALU_DEP_2) | instskip(NEXT) | instid1(VALU_DEP_2)
	v_ashrrev_i32_e32 v4, 31, v4
	v_add_nc_u32_e32 v5, -1, v5
	s_delay_alu instid0(VALU_DEP_2) | instskip(NEXT) | instid1(VALU_DEP_1)
	v_add_nc_u32_e32 v4, 32, v4
	v_min_u32_e32 v6, v5, v4
	s_delay_alu instid0(VALU_DEP_1) | instskip(NEXT) | instid1(VALU_DEP_1)
	v_lshlrev_b64 v[4:5], v6, v[2:3]
	v_min_u32_e32 v4, 1, v4
	s_delay_alu instid0(VALU_DEP_1) | instskip(SKIP_1) | instid1(VALU_DEP_2)
	v_or_b32_e32 v4, v5, v4
	v_sub_nc_u32_e32 v5, 32, v6
	v_cvt_f32_i32_e32 v4, v4
	s_delay_alu instid0(VALU_DEP_1) | instskip(NEXT) | instid1(VALU_DEP_1)
	v_ldexp_f32 v4, v4, v5
	v_bfe_u32 v5, v4, 16, 1
	s_delay_alu instid0(VALU_DEP_1)
	v_add3_u32 v4, v4, v5, 0x7fff
	global_store_d16_hi_b16 v[0:1], v4, off
.LBB377_2139:
	s_mov_b32 s1, 0
.LBB377_2140:
	s_delay_alu instid0(SALU_CYCLE_1)
	s_and_b32 vcc_lo, exec_lo, s1
	s_mov_b32 s1, 0
	s_cbranch_vccz .LBB377_2142
; %bb.2141:
	v_cmp_ne_u16_e64 s0, s6, 11
	s_mov_b32 s1, -1
.LBB377_2142:
	s_delay_alu instid0(VALU_DEP_1)
	s_and_b32 vcc_lo, exec_lo, s0
	s_cbranch_vccnz .LBB377_2148
.LBB377_2143:
	s_mov_b32 s0, 0
	s_branch .LBB377_2021
.LBB377_2144:
	s_or_saveexec_b32 s4, s4
                                        ; implicit-def: $sgpr5
	s_delay_alu instid0(SALU_CYCLE_1)
	s_xor_b32 exec_lo, exec_lo, s4
	s_cbranch_execz .LBB377_2097
.LBB377_2145:
	v_add_f32_e64 v5, 0x46000000, |v4|
	s_and_not1_b32 s3, s3, exec_lo
	s_mov_b32 s5, 0
	s_delay_alu instid0(VALU_DEP_1) | instskip(NEXT) | instid1(VALU_DEP_1)
	v_and_b32_e32 v5, 0xff, v5
	v_cmp_ne_u32_e32 vcc_lo, 0, v5
	s_and_b32 s7, vcc_lo, exec_lo
	s_delay_alu instid0(SALU_CYCLE_1)
	s_or_b32 s3, s3, s7
	s_or_b32 exec_lo, exec_lo, s4
	v_mov_b32_e32 v6, s5
	s_and_saveexec_b32 s4, s3
	s_cbranch_execnz .LBB377_2098
	s_branch .LBB377_2099
.LBB377_2146:
	s_trap 2
	s_sendmsg_rtn_b32 s0, sendmsg(MSG_RTN_GET_DOORBELL)
	s_mov_b32 ttmp2, m0
	s_waitcnt lgkmcnt(0)
	s_and_b32 s0, s0, 0x3ff
	s_delay_alu instid0(SALU_CYCLE_1) | instskip(NEXT) | instid1(SALU_CYCLE_1)
	s_bitset1_b32 s0, 10
	s_mov_b32 m0, s0
	s_sendmsg sendmsg(MSG_INTERRUPT)
	s_mov_b32 m0, ttmp2
.LBB377_2147:                           ; =>This Inner Loop Header: Depth=1
	s_sethalt 5
	s_branch .LBB377_2147
.LBB377_2148:
	s_cbranch_execnz .LBB377_2152
; %bb.2149:
	s_mov_b32 s1, 0
	s_or_b32 s10, s10, exec_lo
	s_branch .LBB377_2143
.LBB377_2150:
	s_or_saveexec_b32 s3, s3
                                        ; implicit-def: $sgpr4
	s_delay_alu instid0(SALU_CYCLE_1)
	s_xor_b32 exec_lo, exec_lo, s3
	s_cbranch_execz .LBB377_2109
.LBB377_2151:
	v_add_f32_e64 v5, 0x42800000, |v4|
	s_and_not1_b32 s2, s2, exec_lo
	s_mov_b32 s4, 0
	s_delay_alu instid0(VALU_DEP_1) | instskip(NEXT) | instid1(VALU_DEP_1)
	v_and_b32_e32 v5, 0xff, v5
	v_cmp_ne_u32_e32 vcc_lo, 0, v5
	s_and_b32 s5, vcc_lo, exec_lo
	s_delay_alu instid0(SALU_CYCLE_1)
	s_or_b32 s2, s2, s5
	s_or_b32 exec_lo, exec_lo, s3
	v_mov_b32_e32 v6, s4
	s_and_saveexec_b32 s3, s2
	s_cbranch_execnz .LBB377_2110
	s_branch .LBB377_2111
.LBB377_2152:
	s_trap 2
	s_sendmsg_rtn_b32 s0, sendmsg(MSG_RTN_GET_DOORBELL)
	s_mov_b32 ttmp2, m0
	s_waitcnt lgkmcnt(0)
	s_and_b32 s0, s0, 0x3ff
	s_delay_alu instid0(SALU_CYCLE_1) | instskip(NEXT) | instid1(SALU_CYCLE_1)
	s_bitset1_b32 s0, 10
	s_mov_b32 m0, s0
	s_sendmsg sendmsg(MSG_INTERRUPT)
	s_mov_b32 m0, ttmp2
.LBB377_2153:                           ; =>This Inner Loop Header: Depth=1
	s_sethalt 5
	s_branch .LBB377_2153
	.section	.rodata,"a",@progbits
	.p2align	6, 0x0
	.amdhsa_kernel _ZN2at6native32elementwise_kernel_manual_unrollILi128ELi4EZNS0_15gpu_kernel_implIZZZNS0_21clamp_min_kernel_cudaERNS_18TensorIteratorBaseERKN3c106ScalarEENKUlvE_clEvENKUlvE2_clEvEUllE_EEvS4_RKT_EUlibE0_EEviT1_
		.amdhsa_group_segment_fixed_size 0
		.amdhsa_private_segment_fixed_size 0
		.amdhsa_kernarg_size 368
		.amdhsa_user_sgpr_count 15
		.amdhsa_user_sgpr_dispatch_ptr 0
		.amdhsa_user_sgpr_queue_ptr 0
		.amdhsa_user_sgpr_kernarg_segment_ptr 1
		.amdhsa_user_sgpr_dispatch_id 0
		.amdhsa_user_sgpr_private_segment_size 0
		.amdhsa_wavefront_size32 1
		.amdhsa_uses_dynamic_stack 0
		.amdhsa_enable_private_segment 0
		.amdhsa_system_sgpr_workgroup_id_x 1
		.amdhsa_system_sgpr_workgroup_id_y 0
		.amdhsa_system_sgpr_workgroup_id_z 0
		.amdhsa_system_sgpr_workgroup_info 0
		.amdhsa_system_vgpr_workitem_id 0
		.amdhsa_next_free_vgpr 19
		.amdhsa_next_free_sgpr 68
		.amdhsa_reserve_vcc 1
		.amdhsa_float_round_mode_32 0
		.amdhsa_float_round_mode_16_64 0
		.amdhsa_float_denorm_mode_32 3
		.amdhsa_float_denorm_mode_16_64 3
		.amdhsa_dx10_clamp 1
		.amdhsa_ieee_mode 1
		.amdhsa_fp16_overflow 0
		.amdhsa_workgroup_processor_mode 1
		.amdhsa_memory_ordered 1
		.amdhsa_forward_progress 0
		.amdhsa_shared_vgpr_count 0
		.amdhsa_exception_fp_ieee_invalid_op 0
		.amdhsa_exception_fp_denorm_src 0
		.amdhsa_exception_fp_ieee_div_zero 0
		.amdhsa_exception_fp_ieee_overflow 0
		.amdhsa_exception_fp_ieee_underflow 0
		.amdhsa_exception_fp_ieee_inexact 0
		.amdhsa_exception_int_div_zero 0
	.end_amdhsa_kernel
	.section	.text._ZN2at6native32elementwise_kernel_manual_unrollILi128ELi4EZNS0_15gpu_kernel_implIZZZNS0_21clamp_min_kernel_cudaERNS_18TensorIteratorBaseERKN3c106ScalarEENKUlvE_clEvENKUlvE2_clEvEUllE_EEvS4_RKT_EUlibE0_EEviT1_,"axG",@progbits,_ZN2at6native32elementwise_kernel_manual_unrollILi128ELi4EZNS0_15gpu_kernel_implIZZZNS0_21clamp_min_kernel_cudaERNS_18TensorIteratorBaseERKN3c106ScalarEENKUlvE_clEvENKUlvE2_clEvEUllE_EEvS4_RKT_EUlibE0_EEviT1_,comdat
.Lfunc_end377:
	.size	_ZN2at6native32elementwise_kernel_manual_unrollILi128ELi4EZNS0_15gpu_kernel_implIZZZNS0_21clamp_min_kernel_cudaERNS_18TensorIteratorBaseERKN3c106ScalarEENKUlvE_clEvENKUlvE2_clEvEUllE_EEvS4_RKT_EUlibE0_EEviT1_, .Lfunc_end377-_ZN2at6native32elementwise_kernel_manual_unrollILi128ELi4EZNS0_15gpu_kernel_implIZZZNS0_21clamp_min_kernel_cudaERNS_18TensorIteratorBaseERKN3c106ScalarEENKUlvE_clEvENKUlvE2_clEvEUllE_EEvS4_RKT_EUlibE0_EEviT1_
                                        ; -- End function
	.section	.AMDGPU.csdata,"",@progbits
; Kernel info:
; codeLenInByte = 53300
; NumSgprs: 70
; NumVgprs: 19
; ScratchSize: 0
; MemoryBound: 1
; FloatMode: 240
; IeeeMode: 1
; LDSByteSize: 0 bytes/workgroup (compile time only)
; SGPRBlocks: 8
; VGPRBlocks: 2
; NumSGPRsForWavesPerEU: 70
; NumVGPRsForWavesPerEU: 19
; Occupancy: 16
; WaveLimiterHint : 1
; COMPUTE_PGM_RSRC2:SCRATCH_EN: 0
; COMPUTE_PGM_RSRC2:USER_SGPR: 15
; COMPUTE_PGM_RSRC2:TRAP_HANDLER: 0
; COMPUTE_PGM_RSRC2:TGID_X_EN: 1
; COMPUTE_PGM_RSRC2:TGID_Y_EN: 0
; COMPUTE_PGM_RSRC2:TGID_Z_EN: 0
; COMPUTE_PGM_RSRC2:TIDIG_COMP_CNT: 0
	.section	.text._ZN2at6native29vectorized_elementwise_kernelILi16EZZZNS0_21clamp_min_kernel_cudaERNS_18TensorIteratorBaseERKN3c106ScalarEENKUlvE_clEvENKUlvE3_clEvEUlsE_St5arrayIPcLm2EEEEviT0_T1_,"axG",@progbits,_ZN2at6native29vectorized_elementwise_kernelILi16EZZZNS0_21clamp_min_kernel_cudaERNS_18TensorIteratorBaseERKN3c106ScalarEENKUlvE_clEvENKUlvE3_clEvEUlsE_St5arrayIPcLm2EEEEviT0_T1_,comdat
	.globl	_ZN2at6native29vectorized_elementwise_kernelILi16EZZZNS0_21clamp_min_kernel_cudaERNS_18TensorIteratorBaseERKN3c106ScalarEENKUlvE_clEvENKUlvE3_clEvEUlsE_St5arrayIPcLm2EEEEviT0_T1_ ; -- Begin function _ZN2at6native29vectorized_elementwise_kernelILi16EZZZNS0_21clamp_min_kernel_cudaERNS_18TensorIteratorBaseERKN3c106ScalarEENKUlvE_clEvENKUlvE3_clEvEUlsE_St5arrayIPcLm2EEEEviT0_T1_
	.p2align	8
	.type	_ZN2at6native29vectorized_elementwise_kernelILi16EZZZNS0_21clamp_min_kernel_cudaERNS_18TensorIteratorBaseERKN3c106ScalarEENKUlvE_clEvENKUlvE3_clEvEUlsE_St5arrayIPcLm2EEEEviT0_T1_,@function
_ZN2at6native29vectorized_elementwise_kernelILi16EZZZNS0_21clamp_min_kernel_cudaERNS_18TensorIteratorBaseERKN3c106ScalarEENKUlvE_clEvENKUlvE3_clEvEUlsE_St5arrayIPcLm2EEEEviT0_T1_: ; @_ZN2at6native29vectorized_elementwise_kernelILi16EZZZNS0_21clamp_min_kernel_cudaERNS_18TensorIteratorBaseERKN3c106ScalarEENKUlvE_clEvENKUlvE3_clEvEUlsE_St5arrayIPcLm2EEEEviT0_T1_
; %bb.0:
	s_clause 0x1
	s_load_b64 s[8:9], s[0:1], 0x0
	s_load_b128 s[4:7], s[0:1], 0x8
	s_lshl_b32 s2, s15, 11
	s_mov_b32 s0, -1
	s_waitcnt lgkmcnt(0)
	s_sub_i32 s1, s8, s2
	s_delay_alu instid0(SALU_CYCLE_1)
	s_cmpk_gt_i32 s1, 0x7ff
	s_cbranch_scc0 .LBB378_2
; %bb.1:
	s_ashr_i32 s3, s2, 31
	v_lshlrev_b32_e32 v5, 4, v0
	s_lshl_b64 s[10:11], s[2:3], 1
	s_mov_b32 s0, 0
	s_add_u32 s12, s6, s10
	s_addc_u32 s13, s7, s11
	s_add_u32 s10, s4, s10
	global_load_b128 v[1:4], v5, s[12:13]
	s_addc_u32 s11, s5, s11
	s_waitcnt vmcnt(0)
	v_lshrrev_b32_e32 v6, 16, v1
	v_lshrrev_b32_e32 v7, 16, v2
	;; [unrolled: 1-line block ×4, first 2 shown]
	v_max_i16 v1, v1, s9
	v_max_i16 v2, v2, s9
	;; [unrolled: 1-line block ×8, first 2 shown]
	s_delay_alu instid0(VALU_DEP_4) | instskip(NEXT) | instid1(VALU_DEP_4)
	v_perm_b32 v4, v9, v4, 0x5040100
	v_perm_b32 v3, v8, v3, 0x5040100
	s_delay_alu instid0(VALU_DEP_4) | instskip(NEXT) | instid1(VALU_DEP_4)
	v_perm_b32 v2, v7, v2, 0x5040100
	v_perm_b32 v1, v6, v1, 0x5040100
	global_store_b128 v5, v[1:4], s[10:11]
.LBB378_2:
	s_and_not1_b32 vcc_lo, exec_lo, s0
	s_cbranch_vccnz .LBB378_28
; %bb.3:
	v_cmp_gt_i32_e32 vcc_lo, s1, v0
	v_dual_mov_b32 v4, 0 :: v_dual_mov_b32 v5, v0
	v_or_b32_e32 v1, s2, v0
	v_or_b32_e32 v3, 0x100, v0
	v_mov_b32_e32 v2, 0
	s_and_saveexec_b32 s3, vcc_lo
	s_cbranch_execz .LBB378_5
; %bb.4:
	v_mov_b32_e32 v2, 0
	s_delay_alu instid0(VALU_DEP_1) | instskip(NEXT) | instid1(VALU_DEP_1)
	v_lshlrev_b64 v[5:6], 1, v[1:2]
	v_add_co_u32 v5, s0, s6, v5
	s_delay_alu instid0(VALU_DEP_1)
	v_add_co_ci_u32_e64 v6, s0, s7, v6, s0
	global_load_u16 v2, v[5:6], off
	v_or_b32_e32 v5, 0x100, v0
.LBB378_5:
	s_or_b32 exec_lo, exec_lo, s3
	s_delay_alu instid0(SALU_CYCLE_1) | instskip(NEXT) | instid1(VALU_DEP_1)
	s_mov_b32 s3, exec_lo
	v_cmpx_gt_i32_e64 s1, v5
	s_cbranch_execz .LBB378_7
; %bb.6:
	v_dual_mov_b32 v7, 0 :: v_dual_add_nc_u32 v6, s2, v5
	v_add_nc_u32_e32 v5, 0x100, v5
	s_delay_alu instid0(VALU_DEP_2) | instskip(NEXT) | instid1(VALU_DEP_1)
	v_lshlrev_b64 v[6:7], 1, v[6:7]
	v_add_co_u32 v6, s0, s6, v6
	s_delay_alu instid0(VALU_DEP_1)
	v_add_co_ci_u32_e64 v7, s0, s7, v7, s0
	global_load_u16 v4, v[6:7], off
.LBB378_7:
	s_or_b32 exec_lo, exec_lo, s3
	v_dual_mov_b32 v6, 0 :: v_dual_mov_b32 v7, 0
	s_mov_b32 s3, exec_lo
	v_cmpx_gt_i32_e64 s1, v5
	s_cbranch_execz .LBB378_9
; %bb.8:
	v_dual_mov_b32 v8, 0 :: v_dual_add_nc_u32 v7, s2, v5
	v_add_nc_u32_e32 v5, 0x100, v5
	s_delay_alu instid0(VALU_DEP_2) | instskip(NEXT) | instid1(VALU_DEP_1)
	v_lshlrev_b64 v[7:8], 1, v[7:8]
	v_add_co_u32 v7, s0, s6, v7
	s_delay_alu instid0(VALU_DEP_1)
	v_add_co_ci_u32_e64 v8, s0, s7, v8, s0
	global_load_u16 v7, v[7:8], off
.LBB378_9:
	s_or_b32 exec_lo, exec_lo, s3
	s_delay_alu instid0(SALU_CYCLE_1)
	s_mov_b32 s3, exec_lo
	v_cmpx_gt_i32_e64 s1, v5
	s_cbranch_execz .LBB378_11
; %bb.10:
	v_dual_mov_b32 v9, 0 :: v_dual_add_nc_u32 v8, s2, v5
	v_add_nc_u32_e32 v5, 0x100, v5
	s_delay_alu instid0(VALU_DEP_2) | instskip(NEXT) | instid1(VALU_DEP_1)
	v_lshlrev_b64 v[8:9], 1, v[8:9]
	v_add_co_u32 v8, s0, s6, v8
	s_delay_alu instid0(VALU_DEP_1)
	v_add_co_ci_u32_e64 v9, s0, s7, v9, s0
	global_load_u16 v6, v[8:9], off
.LBB378_11:
	s_or_b32 exec_lo, exec_lo, s3
	v_dual_mov_b32 v8, 0 :: v_dual_mov_b32 v9, 0
	s_mov_b32 s3, exec_lo
	v_cmpx_gt_i32_e64 s1, v5
	s_cbranch_execz .LBB378_13
; %bb.12:
	v_dual_mov_b32 v10, 0 :: v_dual_add_nc_u32 v9, s2, v5
	v_add_nc_u32_e32 v5, 0x100, v5
	s_delay_alu instid0(VALU_DEP_2) | instskip(NEXT) | instid1(VALU_DEP_1)
	v_lshlrev_b64 v[9:10], 1, v[9:10]
	v_add_co_u32 v9, s0, s6, v9
	s_delay_alu instid0(VALU_DEP_1)
	v_add_co_ci_u32_e64 v10, s0, s7, v10, s0
	global_load_u16 v9, v[9:10], off
.LBB378_13:
	s_or_b32 exec_lo, exec_lo, s3
	s_delay_alu instid0(SALU_CYCLE_1)
	;; [unrolled: 30-line block ×3, first 2 shown]
	s_mov_b32 s3, exec_lo
	v_cmpx_gt_i32_e64 s1, v5
	s_cbranch_execz .LBB378_19
; %bb.18:
	v_dual_mov_b32 v13, 0 :: v_dual_add_nc_u32 v12, s2, v5
	s_delay_alu instid0(VALU_DEP_1) | instskip(NEXT) | instid1(VALU_DEP_1)
	v_lshlrev_b64 v[12:13], 1, v[12:13]
	v_add_co_u32 v12, s0, s6, v12
	s_delay_alu instid0(VALU_DEP_1)
	v_add_co_ci_u32_e64 v13, s0, s7, v13, s0
	global_load_u16 v10, v[12:13], off
.LBB378_19:
	s_or_b32 exec_lo, exec_lo, s3
	s_waitcnt vmcnt(0)
	v_max_i16 v2, v2, s9
	v_max_i16 v4, v4, s9
	;; [unrolled: 1-line block ×3, first 2 shown]
	v_or_b32_e32 v12, 0x300, v0
	v_max_i16 v6, v6, s9
	v_cmp_gt_i32_e64 s0, s1, v3
	v_perm_b32 v4, v4, v2, 0x5040100
	v_max_i16 v9, v9, s9
	v_max_i16 v8, v8, s9
	v_and_b32_e32 v13, 0xffff, v5
	v_or_b32_e32 v14, 0x700, v0
	v_cndmask_b32_e64 v7, v2, v4, s0
	v_perm_b32 v4, v6, v5, 0x5040100
	v_max_i16 v5, v10, s9
	v_or_b32_e32 v10, 0x500, v0
	v_cmp_gt_i32_e64 s0, s1, v12
	v_max_i16 v2, v11, s9
	v_perm_b32 v8, v8, v9, 0x5040100
	s_delay_alu instid0(VALU_DEP_3) | instskip(SKIP_1) | instid1(VALU_DEP_4)
	v_cndmask_b32_e64 v6, v13, v4, s0
	v_cmp_gt_i32_e64 s0, s1, v10
	v_and_b32_e32 v11, 0xffff, v2
	v_perm_b32 v2, v5, v2, 0x5040100
	s_delay_alu instid0(VALU_DEP_3) | instskip(SKIP_1) | instid1(VALU_DEP_1)
	v_cndmask_b32_e64 v5, v9, v8, s0
	v_cmp_gt_i32_e64 s0, s1, v14
	v_cndmask_b32_e64 v4, v11, v2, s0
	s_and_saveexec_b32 s0, vcc_lo
	s_cbranch_execnz .LBB378_29
; %bb.20:
	s_or_b32 exec_lo, exec_lo, s0
	s_delay_alu instid0(SALU_CYCLE_1)
	s_mov_b32 s0, exec_lo
	v_cmpx_gt_i32_e64 s1, v0
	s_cbranch_execnz .LBB378_30
.LBB378_21:
	s_or_b32 exec_lo, exec_lo, s0
	s_delay_alu instid0(SALU_CYCLE_1)
	s_mov_b32 s0, exec_lo
	v_cmpx_gt_i32_e64 s1, v0
	s_cbranch_execnz .LBB378_31
.LBB378_22:
	s_or_b32 exec_lo, exec_lo, s0
	s_delay_alu instid0(SALU_CYCLE_1)
	s_mov_b32 s0, exec_lo
	v_cmpx_gt_i32_e64 s1, v0
	s_cbranch_execnz .LBB378_32
.LBB378_23:
	s_or_b32 exec_lo, exec_lo, s0
	s_delay_alu instid0(SALU_CYCLE_1)
	s_mov_b32 s0, exec_lo
	v_cmpx_gt_i32_e64 s1, v0
	s_cbranch_execnz .LBB378_33
.LBB378_24:
	s_or_b32 exec_lo, exec_lo, s0
	s_delay_alu instid0(SALU_CYCLE_1)
	s_mov_b32 s0, exec_lo
	v_cmpx_gt_i32_e64 s1, v0
	s_cbranch_execnz .LBB378_34
.LBB378_25:
	s_or_b32 exec_lo, exec_lo, s0
	s_delay_alu instid0(SALU_CYCLE_1)
	s_mov_b32 s0, exec_lo
	v_cmpx_gt_i32_e64 s1, v0
	s_cbranch_execnz .LBB378_35
.LBB378_26:
	s_or_b32 exec_lo, exec_lo, s0
	s_delay_alu instid0(SALU_CYCLE_1)
	s_mov_b32 s0, exec_lo
	v_cmpx_gt_i32_e64 s1, v0
	s_cbranch_execz .LBB378_28
.LBB378_27:
	v_dual_mov_b32 v1, 0 :: v_dual_add_nc_u32 v0, s2, v0
	s_delay_alu instid0(VALU_DEP_1) | instskip(NEXT) | instid1(VALU_DEP_1)
	v_lshlrev_b64 v[0:1], 1, v[0:1]
	v_add_co_u32 v0, vcc_lo, s4, v0
	s_delay_alu instid0(VALU_DEP_2)
	v_add_co_ci_u32_e32 v1, vcc_lo, s5, v1, vcc_lo
	global_store_d16_hi_b16 v[0:1], v4, off
.LBB378_28:
	s_nop 0
	s_sendmsg sendmsg(MSG_DEALLOC_VGPRS)
	s_endpgm
.LBB378_29:
	v_mov_b32_e32 v2, 0
	s_delay_alu instid0(VALU_DEP_1) | instskip(NEXT) | instid1(VALU_DEP_1)
	v_lshlrev_b64 v[0:1], 1, v[1:2]
	v_add_co_u32 v8, vcc_lo, s4, v0
	s_delay_alu instid0(VALU_DEP_2) | instskip(SKIP_3) | instid1(SALU_CYCLE_1)
	v_add_co_ci_u32_e32 v9, vcc_lo, s5, v1, vcc_lo
	v_mov_b32_e32 v0, v3
	global_store_b16 v[8:9], v7, off
	s_or_b32 exec_lo, exec_lo, s0
	s_mov_b32 s0, exec_lo
	v_cmpx_gt_i32_e64 s1, v0
	s_cbranch_execz .LBB378_21
.LBB378_30:
	v_dual_mov_b32 v2, 0 :: v_dual_add_nc_u32 v1, s2, v0
	v_add_nc_u32_e32 v0, 0x100, v0
	s_delay_alu instid0(VALU_DEP_2) | instskip(NEXT) | instid1(VALU_DEP_1)
	v_lshlrev_b64 v[1:2], 1, v[1:2]
	v_add_co_u32 v1, vcc_lo, s4, v1
	s_delay_alu instid0(VALU_DEP_2) | instskip(SKIP_2) | instid1(SALU_CYCLE_1)
	v_add_co_ci_u32_e32 v2, vcc_lo, s5, v2, vcc_lo
	global_store_d16_hi_b16 v[1:2], v7, off
	s_or_b32 exec_lo, exec_lo, s0
	s_mov_b32 s0, exec_lo
	v_cmpx_gt_i32_e64 s1, v0
	s_cbranch_execz .LBB378_22
.LBB378_31:
	v_dual_mov_b32 v2, 0 :: v_dual_add_nc_u32 v1, s2, v0
	v_add_nc_u32_e32 v0, 0x100, v0
	s_delay_alu instid0(VALU_DEP_2) | instskip(NEXT) | instid1(VALU_DEP_1)
	v_lshlrev_b64 v[1:2], 1, v[1:2]
	v_add_co_u32 v1, vcc_lo, s4, v1
	s_delay_alu instid0(VALU_DEP_2) | instskip(SKIP_2) | instid1(SALU_CYCLE_1)
	v_add_co_ci_u32_e32 v2, vcc_lo, s5, v2, vcc_lo
	global_store_b16 v[1:2], v6, off
	s_or_b32 exec_lo, exec_lo, s0
	s_mov_b32 s0, exec_lo
	v_cmpx_gt_i32_e64 s1, v0
	s_cbranch_execz .LBB378_23
.LBB378_32:
	v_dual_mov_b32 v2, 0 :: v_dual_add_nc_u32 v1, s2, v0
	v_add_nc_u32_e32 v0, 0x100, v0
	s_delay_alu instid0(VALU_DEP_2) | instskip(NEXT) | instid1(VALU_DEP_1)
	v_lshlrev_b64 v[1:2], 1, v[1:2]
	v_add_co_u32 v1, vcc_lo, s4, v1
	s_delay_alu instid0(VALU_DEP_2) | instskip(SKIP_2) | instid1(SALU_CYCLE_1)
	v_add_co_ci_u32_e32 v2, vcc_lo, s5, v2, vcc_lo
	global_store_d16_hi_b16 v[1:2], v6, off
	s_or_b32 exec_lo, exec_lo, s0
	s_mov_b32 s0, exec_lo
	v_cmpx_gt_i32_e64 s1, v0
	s_cbranch_execz .LBB378_24
.LBB378_33:
	v_dual_mov_b32 v2, 0 :: v_dual_add_nc_u32 v1, s2, v0
	v_add_nc_u32_e32 v0, 0x100, v0
	s_delay_alu instid0(VALU_DEP_2) | instskip(NEXT) | instid1(VALU_DEP_1)
	v_lshlrev_b64 v[1:2], 1, v[1:2]
	v_add_co_u32 v1, vcc_lo, s4, v1
	s_delay_alu instid0(VALU_DEP_2) | instskip(SKIP_2) | instid1(SALU_CYCLE_1)
	v_add_co_ci_u32_e32 v2, vcc_lo, s5, v2, vcc_lo
	global_store_b16 v[1:2], v5, off
	s_or_b32 exec_lo, exec_lo, s0
	s_mov_b32 s0, exec_lo
	v_cmpx_gt_i32_e64 s1, v0
	s_cbranch_execz .LBB378_25
.LBB378_34:
	v_dual_mov_b32 v2, 0 :: v_dual_add_nc_u32 v1, s2, v0
	v_add_nc_u32_e32 v0, 0x100, v0
	s_delay_alu instid0(VALU_DEP_2) | instskip(NEXT) | instid1(VALU_DEP_1)
	v_lshlrev_b64 v[1:2], 1, v[1:2]
	v_add_co_u32 v1, vcc_lo, s4, v1
	s_delay_alu instid0(VALU_DEP_2) | instskip(SKIP_2) | instid1(SALU_CYCLE_1)
	v_add_co_ci_u32_e32 v2, vcc_lo, s5, v2, vcc_lo
	global_store_d16_hi_b16 v[1:2], v5, off
	s_or_b32 exec_lo, exec_lo, s0
	s_mov_b32 s0, exec_lo
	v_cmpx_gt_i32_e64 s1, v0
	s_cbranch_execz .LBB378_26
.LBB378_35:
	v_dual_mov_b32 v2, 0 :: v_dual_add_nc_u32 v1, s2, v0
	v_add_nc_u32_e32 v0, 0x100, v0
	s_delay_alu instid0(VALU_DEP_2) | instskip(NEXT) | instid1(VALU_DEP_1)
	v_lshlrev_b64 v[1:2], 1, v[1:2]
	v_add_co_u32 v1, vcc_lo, s4, v1
	s_delay_alu instid0(VALU_DEP_2) | instskip(SKIP_2) | instid1(SALU_CYCLE_1)
	v_add_co_ci_u32_e32 v2, vcc_lo, s5, v2, vcc_lo
	global_store_b16 v[1:2], v4, off
	s_or_b32 exec_lo, exec_lo, s0
	s_mov_b32 s0, exec_lo
	v_cmpx_gt_i32_e64 s1, v0
	s_cbranch_execnz .LBB378_27
	s_branch .LBB378_28
	.section	.rodata,"a",@progbits
	.p2align	6, 0x0
	.amdhsa_kernel _ZN2at6native29vectorized_elementwise_kernelILi16EZZZNS0_21clamp_min_kernel_cudaERNS_18TensorIteratorBaseERKN3c106ScalarEENKUlvE_clEvENKUlvE3_clEvEUlsE_St5arrayIPcLm2EEEEviT0_T1_
		.amdhsa_group_segment_fixed_size 0
		.amdhsa_private_segment_fixed_size 0
		.amdhsa_kernarg_size 24
		.amdhsa_user_sgpr_count 15
		.amdhsa_user_sgpr_dispatch_ptr 0
		.amdhsa_user_sgpr_queue_ptr 0
		.amdhsa_user_sgpr_kernarg_segment_ptr 1
		.amdhsa_user_sgpr_dispatch_id 0
		.amdhsa_user_sgpr_private_segment_size 0
		.amdhsa_wavefront_size32 1
		.amdhsa_uses_dynamic_stack 0
		.amdhsa_enable_private_segment 0
		.amdhsa_system_sgpr_workgroup_id_x 1
		.amdhsa_system_sgpr_workgroup_id_y 0
		.amdhsa_system_sgpr_workgroup_id_z 0
		.amdhsa_system_sgpr_workgroup_info 0
		.amdhsa_system_vgpr_workitem_id 0
		.amdhsa_next_free_vgpr 15
		.amdhsa_next_free_sgpr 16
		.amdhsa_reserve_vcc 1
		.amdhsa_float_round_mode_32 0
		.amdhsa_float_round_mode_16_64 0
		.amdhsa_float_denorm_mode_32 3
		.amdhsa_float_denorm_mode_16_64 3
		.amdhsa_dx10_clamp 1
		.amdhsa_ieee_mode 1
		.amdhsa_fp16_overflow 0
		.amdhsa_workgroup_processor_mode 1
		.amdhsa_memory_ordered 1
		.amdhsa_forward_progress 0
		.amdhsa_shared_vgpr_count 0
		.amdhsa_exception_fp_ieee_invalid_op 0
		.amdhsa_exception_fp_denorm_src 0
		.amdhsa_exception_fp_ieee_div_zero 0
		.amdhsa_exception_fp_ieee_overflow 0
		.amdhsa_exception_fp_ieee_underflow 0
		.amdhsa_exception_fp_ieee_inexact 0
		.amdhsa_exception_int_div_zero 0
	.end_amdhsa_kernel
	.section	.text._ZN2at6native29vectorized_elementwise_kernelILi16EZZZNS0_21clamp_min_kernel_cudaERNS_18TensorIteratorBaseERKN3c106ScalarEENKUlvE_clEvENKUlvE3_clEvEUlsE_St5arrayIPcLm2EEEEviT0_T1_,"axG",@progbits,_ZN2at6native29vectorized_elementwise_kernelILi16EZZZNS0_21clamp_min_kernel_cudaERNS_18TensorIteratorBaseERKN3c106ScalarEENKUlvE_clEvENKUlvE3_clEvEUlsE_St5arrayIPcLm2EEEEviT0_T1_,comdat
.Lfunc_end378:
	.size	_ZN2at6native29vectorized_elementwise_kernelILi16EZZZNS0_21clamp_min_kernel_cudaERNS_18TensorIteratorBaseERKN3c106ScalarEENKUlvE_clEvENKUlvE3_clEvEUlsE_St5arrayIPcLm2EEEEviT0_T1_, .Lfunc_end378-_ZN2at6native29vectorized_elementwise_kernelILi16EZZZNS0_21clamp_min_kernel_cudaERNS_18TensorIteratorBaseERKN3c106ScalarEENKUlvE_clEvENKUlvE3_clEvEUlsE_St5arrayIPcLm2EEEEviT0_T1_
                                        ; -- End function
	.section	.AMDGPU.csdata,"",@progbits
; Kernel info:
; codeLenInByte = 1860
; NumSgprs: 18
; NumVgprs: 15
; ScratchSize: 0
; MemoryBound: 0
; FloatMode: 240
; IeeeMode: 1
; LDSByteSize: 0 bytes/workgroup (compile time only)
; SGPRBlocks: 2
; VGPRBlocks: 1
; NumSGPRsForWavesPerEU: 18
; NumVGPRsForWavesPerEU: 15
; Occupancy: 16
; WaveLimiterHint : 0
; COMPUTE_PGM_RSRC2:SCRATCH_EN: 0
; COMPUTE_PGM_RSRC2:USER_SGPR: 15
; COMPUTE_PGM_RSRC2:TRAP_HANDLER: 0
; COMPUTE_PGM_RSRC2:TGID_X_EN: 1
; COMPUTE_PGM_RSRC2:TGID_Y_EN: 0
; COMPUTE_PGM_RSRC2:TGID_Z_EN: 0
; COMPUTE_PGM_RSRC2:TIDIG_COMP_CNT: 0
	.section	.text._ZN2at6native29vectorized_elementwise_kernelILi8EZZZNS0_21clamp_min_kernel_cudaERNS_18TensorIteratorBaseERKN3c106ScalarEENKUlvE_clEvENKUlvE3_clEvEUlsE_St5arrayIPcLm2EEEEviT0_T1_,"axG",@progbits,_ZN2at6native29vectorized_elementwise_kernelILi8EZZZNS0_21clamp_min_kernel_cudaERNS_18TensorIteratorBaseERKN3c106ScalarEENKUlvE_clEvENKUlvE3_clEvEUlsE_St5arrayIPcLm2EEEEviT0_T1_,comdat
	.globl	_ZN2at6native29vectorized_elementwise_kernelILi8EZZZNS0_21clamp_min_kernel_cudaERNS_18TensorIteratorBaseERKN3c106ScalarEENKUlvE_clEvENKUlvE3_clEvEUlsE_St5arrayIPcLm2EEEEviT0_T1_ ; -- Begin function _ZN2at6native29vectorized_elementwise_kernelILi8EZZZNS0_21clamp_min_kernel_cudaERNS_18TensorIteratorBaseERKN3c106ScalarEENKUlvE_clEvENKUlvE3_clEvEUlsE_St5arrayIPcLm2EEEEviT0_T1_
	.p2align	8
	.type	_ZN2at6native29vectorized_elementwise_kernelILi8EZZZNS0_21clamp_min_kernel_cudaERNS_18TensorIteratorBaseERKN3c106ScalarEENKUlvE_clEvENKUlvE3_clEvEUlsE_St5arrayIPcLm2EEEEviT0_T1_,@function
_ZN2at6native29vectorized_elementwise_kernelILi8EZZZNS0_21clamp_min_kernel_cudaERNS_18TensorIteratorBaseERKN3c106ScalarEENKUlvE_clEvENKUlvE3_clEvEUlsE_St5arrayIPcLm2EEEEviT0_T1_: ; @_ZN2at6native29vectorized_elementwise_kernelILi8EZZZNS0_21clamp_min_kernel_cudaERNS_18TensorIteratorBaseERKN3c106ScalarEENKUlvE_clEvENKUlvE3_clEvEUlsE_St5arrayIPcLm2EEEEviT0_T1_
; %bb.0:
	s_clause 0x1
	s_load_b64 s[8:9], s[0:1], 0x0
	s_load_b128 s[4:7], s[0:1], 0x8
	s_lshl_b32 s2, s15, 11
	s_mov_b32 s0, -1
	s_waitcnt lgkmcnt(0)
	s_sub_i32 s1, s8, s2
	s_delay_alu instid0(SALU_CYCLE_1)
	s_cmpk_gt_i32 s1, 0x7ff
	s_cbranch_scc0 .LBB379_2
; %bb.1:
	s_ashr_i32 s3, s2, 31
	v_lshlrev_b32_e32 v5, 4, v0
	s_lshl_b64 s[10:11], s[2:3], 1
	s_mov_b32 s0, 0
	s_add_u32 s12, s6, s10
	s_addc_u32 s13, s7, s11
	s_add_u32 s10, s4, s10
	global_load_b128 v[1:4], v5, s[12:13]
	s_addc_u32 s11, s5, s11
	s_waitcnt vmcnt(0)
	v_lshrrev_b32_e32 v6, 16, v1
	v_lshrrev_b32_e32 v7, 16, v2
	;; [unrolled: 1-line block ×4, first 2 shown]
	v_max_i16 v1, v1, s9
	v_max_i16 v2, v2, s9
	;; [unrolled: 1-line block ×8, first 2 shown]
	s_delay_alu instid0(VALU_DEP_4) | instskip(NEXT) | instid1(VALU_DEP_4)
	v_perm_b32 v4, v9, v4, 0x5040100
	v_perm_b32 v3, v8, v3, 0x5040100
	s_delay_alu instid0(VALU_DEP_4) | instskip(NEXT) | instid1(VALU_DEP_4)
	v_perm_b32 v2, v7, v2, 0x5040100
	v_perm_b32 v1, v6, v1, 0x5040100
	global_store_b128 v5, v[1:4], s[10:11]
.LBB379_2:
	s_and_not1_b32 vcc_lo, exec_lo, s0
	s_cbranch_vccnz .LBB379_28
; %bb.3:
	v_cmp_gt_i32_e32 vcc_lo, s1, v0
	v_dual_mov_b32 v4, 0 :: v_dual_mov_b32 v5, v0
	v_or_b32_e32 v1, s2, v0
	v_or_b32_e32 v3, 0x100, v0
	v_mov_b32_e32 v2, 0
	s_and_saveexec_b32 s3, vcc_lo
	s_cbranch_execz .LBB379_5
; %bb.4:
	v_mov_b32_e32 v2, 0
	s_delay_alu instid0(VALU_DEP_1) | instskip(NEXT) | instid1(VALU_DEP_1)
	v_lshlrev_b64 v[5:6], 1, v[1:2]
	v_add_co_u32 v5, s0, s6, v5
	s_delay_alu instid0(VALU_DEP_1)
	v_add_co_ci_u32_e64 v6, s0, s7, v6, s0
	global_load_u16 v2, v[5:6], off
	v_or_b32_e32 v5, 0x100, v0
.LBB379_5:
	s_or_b32 exec_lo, exec_lo, s3
	s_delay_alu instid0(SALU_CYCLE_1) | instskip(NEXT) | instid1(VALU_DEP_1)
	s_mov_b32 s3, exec_lo
	v_cmpx_gt_i32_e64 s1, v5
	s_cbranch_execz .LBB379_7
; %bb.6:
	v_dual_mov_b32 v7, 0 :: v_dual_add_nc_u32 v6, s2, v5
	v_add_nc_u32_e32 v5, 0x100, v5
	s_delay_alu instid0(VALU_DEP_2) | instskip(NEXT) | instid1(VALU_DEP_1)
	v_lshlrev_b64 v[6:7], 1, v[6:7]
	v_add_co_u32 v6, s0, s6, v6
	s_delay_alu instid0(VALU_DEP_1)
	v_add_co_ci_u32_e64 v7, s0, s7, v7, s0
	global_load_u16 v4, v[6:7], off
.LBB379_7:
	s_or_b32 exec_lo, exec_lo, s3
	v_dual_mov_b32 v6, 0 :: v_dual_mov_b32 v7, 0
	s_mov_b32 s3, exec_lo
	v_cmpx_gt_i32_e64 s1, v5
	s_cbranch_execz .LBB379_9
; %bb.8:
	v_dual_mov_b32 v8, 0 :: v_dual_add_nc_u32 v7, s2, v5
	v_add_nc_u32_e32 v5, 0x100, v5
	s_delay_alu instid0(VALU_DEP_2) | instskip(NEXT) | instid1(VALU_DEP_1)
	v_lshlrev_b64 v[7:8], 1, v[7:8]
	v_add_co_u32 v7, s0, s6, v7
	s_delay_alu instid0(VALU_DEP_1)
	v_add_co_ci_u32_e64 v8, s0, s7, v8, s0
	global_load_u16 v7, v[7:8], off
.LBB379_9:
	s_or_b32 exec_lo, exec_lo, s3
	s_delay_alu instid0(SALU_CYCLE_1)
	s_mov_b32 s3, exec_lo
	v_cmpx_gt_i32_e64 s1, v5
	s_cbranch_execz .LBB379_11
; %bb.10:
	v_dual_mov_b32 v9, 0 :: v_dual_add_nc_u32 v8, s2, v5
	v_add_nc_u32_e32 v5, 0x100, v5
	s_delay_alu instid0(VALU_DEP_2) | instskip(NEXT) | instid1(VALU_DEP_1)
	v_lshlrev_b64 v[8:9], 1, v[8:9]
	v_add_co_u32 v8, s0, s6, v8
	s_delay_alu instid0(VALU_DEP_1)
	v_add_co_ci_u32_e64 v9, s0, s7, v9, s0
	global_load_u16 v6, v[8:9], off
.LBB379_11:
	s_or_b32 exec_lo, exec_lo, s3
	v_dual_mov_b32 v8, 0 :: v_dual_mov_b32 v9, 0
	s_mov_b32 s3, exec_lo
	v_cmpx_gt_i32_e64 s1, v5
	s_cbranch_execz .LBB379_13
; %bb.12:
	v_dual_mov_b32 v10, 0 :: v_dual_add_nc_u32 v9, s2, v5
	v_add_nc_u32_e32 v5, 0x100, v5
	s_delay_alu instid0(VALU_DEP_2) | instskip(NEXT) | instid1(VALU_DEP_1)
	v_lshlrev_b64 v[9:10], 1, v[9:10]
	v_add_co_u32 v9, s0, s6, v9
	s_delay_alu instid0(VALU_DEP_1)
	v_add_co_ci_u32_e64 v10, s0, s7, v10, s0
	global_load_u16 v9, v[9:10], off
.LBB379_13:
	s_or_b32 exec_lo, exec_lo, s3
	s_delay_alu instid0(SALU_CYCLE_1)
	;; [unrolled: 30-line block ×3, first 2 shown]
	s_mov_b32 s3, exec_lo
	v_cmpx_gt_i32_e64 s1, v5
	s_cbranch_execz .LBB379_19
; %bb.18:
	v_dual_mov_b32 v13, 0 :: v_dual_add_nc_u32 v12, s2, v5
	s_delay_alu instid0(VALU_DEP_1) | instskip(NEXT) | instid1(VALU_DEP_1)
	v_lshlrev_b64 v[12:13], 1, v[12:13]
	v_add_co_u32 v12, s0, s6, v12
	s_delay_alu instid0(VALU_DEP_1)
	v_add_co_ci_u32_e64 v13, s0, s7, v13, s0
	global_load_u16 v10, v[12:13], off
.LBB379_19:
	s_or_b32 exec_lo, exec_lo, s3
	s_waitcnt vmcnt(0)
	v_max_i16 v2, v2, s9
	v_max_i16 v4, v4, s9
	;; [unrolled: 1-line block ×3, first 2 shown]
	v_or_b32_e32 v12, 0x300, v0
	v_max_i16 v6, v6, s9
	v_cmp_gt_i32_e64 s0, s1, v3
	v_perm_b32 v4, v4, v2, 0x5040100
	v_max_i16 v9, v9, s9
	v_max_i16 v8, v8, s9
	v_and_b32_e32 v13, 0xffff, v5
	v_or_b32_e32 v14, 0x700, v0
	v_cndmask_b32_e64 v7, v2, v4, s0
	v_perm_b32 v4, v6, v5, 0x5040100
	v_max_i16 v5, v10, s9
	v_or_b32_e32 v10, 0x500, v0
	v_cmp_gt_i32_e64 s0, s1, v12
	v_max_i16 v2, v11, s9
	v_perm_b32 v8, v8, v9, 0x5040100
	s_delay_alu instid0(VALU_DEP_3) | instskip(SKIP_1) | instid1(VALU_DEP_4)
	v_cndmask_b32_e64 v6, v13, v4, s0
	v_cmp_gt_i32_e64 s0, s1, v10
	v_and_b32_e32 v11, 0xffff, v2
	v_perm_b32 v2, v5, v2, 0x5040100
	s_delay_alu instid0(VALU_DEP_3) | instskip(SKIP_1) | instid1(VALU_DEP_1)
	v_cndmask_b32_e64 v5, v9, v8, s0
	v_cmp_gt_i32_e64 s0, s1, v14
	v_cndmask_b32_e64 v4, v11, v2, s0
	s_and_saveexec_b32 s0, vcc_lo
	s_cbranch_execnz .LBB379_29
; %bb.20:
	s_or_b32 exec_lo, exec_lo, s0
	s_delay_alu instid0(SALU_CYCLE_1)
	s_mov_b32 s0, exec_lo
	v_cmpx_gt_i32_e64 s1, v0
	s_cbranch_execnz .LBB379_30
.LBB379_21:
	s_or_b32 exec_lo, exec_lo, s0
	s_delay_alu instid0(SALU_CYCLE_1)
	s_mov_b32 s0, exec_lo
	v_cmpx_gt_i32_e64 s1, v0
	s_cbranch_execnz .LBB379_31
.LBB379_22:
	s_or_b32 exec_lo, exec_lo, s0
	s_delay_alu instid0(SALU_CYCLE_1)
	s_mov_b32 s0, exec_lo
	v_cmpx_gt_i32_e64 s1, v0
	s_cbranch_execnz .LBB379_32
.LBB379_23:
	s_or_b32 exec_lo, exec_lo, s0
	s_delay_alu instid0(SALU_CYCLE_1)
	s_mov_b32 s0, exec_lo
	v_cmpx_gt_i32_e64 s1, v0
	s_cbranch_execnz .LBB379_33
.LBB379_24:
	s_or_b32 exec_lo, exec_lo, s0
	s_delay_alu instid0(SALU_CYCLE_1)
	s_mov_b32 s0, exec_lo
	v_cmpx_gt_i32_e64 s1, v0
	s_cbranch_execnz .LBB379_34
.LBB379_25:
	s_or_b32 exec_lo, exec_lo, s0
	s_delay_alu instid0(SALU_CYCLE_1)
	s_mov_b32 s0, exec_lo
	v_cmpx_gt_i32_e64 s1, v0
	s_cbranch_execnz .LBB379_35
.LBB379_26:
	s_or_b32 exec_lo, exec_lo, s0
	s_delay_alu instid0(SALU_CYCLE_1)
	s_mov_b32 s0, exec_lo
	v_cmpx_gt_i32_e64 s1, v0
	s_cbranch_execz .LBB379_28
.LBB379_27:
	v_dual_mov_b32 v1, 0 :: v_dual_add_nc_u32 v0, s2, v0
	s_delay_alu instid0(VALU_DEP_1) | instskip(NEXT) | instid1(VALU_DEP_1)
	v_lshlrev_b64 v[0:1], 1, v[0:1]
	v_add_co_u32 v0, vcc_lo, s4, v0
	s_delay_alu instid0(VALU_DEP_2)
	v_add_co_ci_u32_e32 v1, vcc_lo, s5, v1, vcc_lo
	global_store_d16_hi_b16 v[0:1], v4, off
.LBB379_28:
	s_nop 0
	s_sendmsg sendmsg(MSG_DEALLOC_VGPRS)
	s_endpgm
.LBB379_29:
	v_mov_b32_e32 v2, 0
	s_delay_alu instid0(VALU_DEP_1) | instskip(NEXT) | instid1(VALU_DEP_1)
	v_lshlrev_b64 v[0:1], 1, v[1:2]
	v_add_co_u32 v8, vcc_lo, s4, v0
	s_delay_alu instid0(VALU_DEP_2) | instskip(SKIP_3) | instid1(SALU_CYCLE_1)
	v_add_co_ci_u32_e32 v9, vcc_lo, s5, v1, vcc_lo
	v_mov_b32_e32 v0, v3
	global_store_b16 v[8:9], v7, off
	s_or_b32 exec_lo, exec_lo, s0
	s_mov_b32 s0, exec_lo
	v_cmpx_gt_i32_e64 s1, v0
	s_cbranch_execz .LBB379_21
.LBB379_30:
	v_dual_mov_b32 v2, 0 :: v_dual_add_nc_u32 v1, s2, v0
	v_add_nc_u32_e32 v0, 0x100, v0
	s_delay_alu instid0(VALU_DEP_2) | instskip(NEXT) | instid1(VALU_DEP_1)
	v_lshlrev_b64 v[1:2], 1, v[1:2]
	v_add_co_u32 v1, vcc_lo, s4, v1
	s_delay_alu instid0(VALU_DEP_2) | instskip(SKIP_2) | instid1(SALU_CYCLE_1)
	v_add_co_ci_u32_e32 v2, vcc_lo, s5, v2, vcc_lo
	global_store_d16_hi_b16 v[1:2], v7, off
	s_or_b32 exec_lo, exec_lo, s0
	s_mov_b32 s0, exec_lo
	v_cmpx_gt_i32_e64 s1, v0
	s_cbranch_execz .LBB379_22
.LBB379_31:
	v_dual_mov_b32 v2, 0 :: v_dual_add_nc_u32 v1, s2, v0
	v_add_nc_u32_e32 v0, 0x100, v0
	s_delay_alu instid0(VALU_DEP_2) | instskip(NEXT) | instid1(VALU_DEP_1)
	v_lshlrev_b64 v[1:2], 1, v[1:2]
	v_add_co_u32 v1, vcc_lo, s4, v1
	s_delay_alu instid0(VALU_DEP_2) | instskip(SKIP_2) | instid1(SALU_CYCLE_1)
	v_add_co_ci_u32_e32 v2, vcc_lo, s5, v2, vcc_lo
	global_store_b16 v[1:2], v6, off
	s_or_b32 exec_lo, exec_lo, s0
	s_mov_b32 s0, exec_lo
	v_cmpx_gt_i32_e64 s1, v0
	s_cbranch_execz .LBB379_23
.LBB379_32:
	v_dual_mov_b32 v2, 0 :: v_dual_add_nc_u32 v1, s2, v0
	v_add_nc_u32_e32 v0, 0x100, v0
	s_delay_alu instid0(VALU_DEP_2) | instskip(NEXT) | instid1(VALU_DEP_1)
	v_lshlrev_b64 v[1:2], 1, v[1:2]
	v_add_co_u32 v1, vcc_lo, s4, v1
	s_delay_alu instid0(VALU_DEP_2) | instskip(SKIP_2) | instid1(SALU_CYCLE_1)
	v_add_co_ci_u32_e32 v2, vcc_lo, s5, v2, vcc_lo
	global_store_d16_hi_b16 v[1:2], v6, off
	s_or_b32 exec_lo, exec_lo, s0
	s_mov_b32 s0, exec_lo
	v_cmpx_gt_i32_e64 s1, v0
	s_cbranch_execz .LBB379_24
.LBB379_33:
	v_dual_mov_b32 v2, 0 :: v_dual_add_nc_u32 v1, s2, v0
	v_add_nc_u32_e32 v0, 0x100, v0
	s_delay_alu instid0(VALU_DEP_2) | instskip(NEXT) | instid1(VALU_DEP_1)
	v_lshlrev_b64 v[1:2], 1, v[1:2]
	v_add_co_u32 v1, vcc_lo, s4, v1
	s_delay_alu instid0(VALU_DEP_2) | instskip(SKIP_2) | instid1(SALU_CYCLE_1)
	v_add_co_ci_u32_e32 v2, vcc_lo, s5, v2, vcc_lo
	global_store_b16 v[1:2], v5, off
	s_or_b32 exec_lo, exec_lo, s0
	s_mov_b32 s0, exec_lo
	v_cmpx_gt_i32_e64 s1, v0
	s_cbranch_execz .LBB379_25
.LBB379_34:
	v_dual_mov_b32 v2, 0 :: v_dual_add_nc_u32 v1, s2, v0
	v_add_nc_u32_e32 v0, 0x100, v0
	s_delay_alu instid0(VALU_DEP_2) | instskip(NEXT) | instid1(VALU_DEP_1)
	v_lshlrev_b64 v[1:2], 1, v[1:2]
	v_add_co_u32 v1, vcc_lo, s4, v1
	s_delay_alu instid0(VALU_DEP_2) | instskip(SKIP_2) | instid1(SALU_CYCLE_1)
	v_add_co_ci_u32_e32 v2, vcc_lo, s5, v2, vcc_lo
	global_store_d16_hi_b16 v[1:2], v5, off
	s_or_b32 exec_lo, exec_lo, s0
	s_mov_b32 s0, exec_lo
	v_cmpx_gt_i32_e64 s1, v0
	s_cbranch_execz .LBB379_26
.LBB379_35:
	v_dual_mov_b32 v2, 0 :: v_dual_add_nc_u32 v1, s2, v0
	v_add_nc_u32_e32 v0, 0x100, v0
	s_delay_alu instid0(VALU_DEP_2) | instskip(NEXT) | instid1(VALU_DEP_1)
	v_lshlrev_b64 v[1:2], 1, v[1:2]
	v_add_co_u32 v1, vcc_lo, s4, v1
	s_delay_alu instid0(VALU_DEP_2) | instskip(SKIP_2) | instid1(SALU_CYCLE_1)
	v_add_co_ci_u32_e32 v2, vcc_lo, s5, v2, vcc_lo
	global_store_b16 v[1:2], v4, off
	s_or_b32 exec_lo, exec_lo, s0
	s_mov_b32 s0, exec_lo
	v_cmpx_gt_i32_e64 s1, v0
	s_cbranch_execnz .LBB379_27
	s_branch .LBB379_28
	.section	.rodata,"a",@progbits
	.p2align	6, 0x0
	.amdhsa_kernel _ZN2at6native29vectorized_elementwise_kernelILi8EZZZNS0_21clamp_min_kernel_cudaERNS_18TensorIteratorBaseERKN3c106ScalarEENKUlvE_clEvENKUlvE3_clEvEUlsE_St5arrayIPcLm2EEEEviT0_T1_
		.amdhsa_group_segment_fixed_size 0
		.amdhsa_private_segment_fixed_size 0
		.amdhsa_kernarg_size 24
		.amdhsa_user_sgpr_count 15
		.amdhsa_user_sgpr_dispatch_ptr 0
		.amdhsa_user_sgpr_queue_ptr 0
		.amdhsa_user_sgpr_kernarg_segment_ptr 1
		.amdhsa_user_sgpr_dispatch_id 0
		.amdhsa_user_sgpr_private_segment_size 0
		.amdhsa_wavefront_size32 1
		.amdhsa_uses_dynamic_stack 0
		.amdhsa_enable_private_segment 0
		.amdhsa_system_sgpr_workgroup_id_x 1
		.amdhsa_system_sgpr_workgroup_id_y 0
		.amdhsa_system_sgpr_workgroup_id_z 0
		.amdhsa_system_sgpr_workgroup_info 0
		.amdhsa_system_vgpr_workitem_id 0
		.amdhsa_next_free_vgpr 15
		.amdhsa_next_free_sgpr 16
		.amdhsa_reserve_vcc 1
		.amdhsa_float_round_mode_32 0
		.amdhsa_float_round_mode_16_64 0
		.amdhsa_float_denorm_mode_32 3
		.amdhsa_float_denorm_mode_16_64 3
		.amdhsa_dx10_clamp 1
		.amdhsa_ieee_mode 1
		.amdhsa_fp16_overflow 0
		.amdhsa_workgroup_processor_mode 1
		.amdhsa_memory_ordered 1
		.amdhsa_forward_progress 0
		.amdhsa_shared_vgpr_count 0
		.amdhsa_exception_fp_ieee_invalid_op 0
		.amdhsa_exception_fp_denorm_src 0
		.amdhsa_exception_fp_ieee_div_zero 0
		.amdhsa_exception_fp_ieee_overflow 0
		.amdhsa_exception_fp_ieee_underflow 0
		.amdhsa_exception_fp_ieee_inexact 0
		.amdhsa_exception_int_div_zero 0
	.end_amdhsa_kernel
	.section	.text._ZN2at6native29vectorized_elementwise_kernelILi8EZZZNS0_21clamp_min_kernel_cudaERNS_18TensorIteratorBaseERKN3c106ScalarEENKUlvE_clEvENKUlvE3_clEvEUlsE_St5arrayIPcLm2EEEEviT0_T1_,"axG",@progbits,_ZN2at6native29vectorized_elementwise_kernelILi8EZZZNS0_21clamp_min_kernel_cudaERNS_18TensorIteratorBaseERKN3c106ScalarEENKUlvE_clEvENKUlvE3_clEvEUlsE_St5arrayIPcLm2EEEEviT0_T1_,comdat
.Lfunc_end379:
	.size	_ZN2at6native29vectorized_elementwise_kernelILi8EZZZNS0_21clamp_min_kernel_cudaERNS_18TensorIteratorBaseERKN3c106ScalarEENKUlvE_clEvENKUlvE3_clEvEUlsE_St5arrayIPcLm2EEEEviT0_T1_, .Lfunc_end379-_ZN2at6native29vectorized_elementwise_kernelILi8EZZZNS0_21clamp_min_kernel_cudaERNS_18TensorIteratorBaseERKN3c106ScalarEENKUlvE_clEvENKUlvE3_clEvEUlsE_St5arrayIPcLm2EEEEviT0_T1_
                                        ; -- End function
	.section	.AMDGPU.csdata,"",@progbits
; Kernel info:
; codeLenInByte = 1860
; NumSgprs: 18
; NumVgprs: 15
; ScratchSize: 0
; MemoryBound: 0
; FloatMode: 240
; IeeeMode: 1
; LDSByteSize: 0 bytes/workgroup (compile time only)
; SGPRBlocks: 2
; VGPRBlocks: 1
; NumSGPRsForWavesPerEU: 18
; NumVGPRsForWavesPerEU: 15
; Occupancy: 16
; WaveLimiterHint : 0
; COMPUTE_PGM_RSRC2:SCRATCH_EN: 0
; COMPUTE_PGM_RSRC2:USER_SGPR: 15
; COMPUTE_PGM_RSRC2:TRAP_HANDLER: 0
; COMPUTE_PGM_RSRC2:TGID_X_EN: 1
; COMPUTE_PGM_RSRC2:TGID_Y_EN: 0
; COMPUTE_PGM_RSRC2:TGID_Z_EN: 0
; COMPUTE_PGM_RSRC2:TIDIG_COMP_CNT: 0
	.section	.text._ZN2at6native29vectorized_elementwise_kernelILi4EZZZNS0_21clamp_min_kernel_cudaERNS_18TensorIteratorBaseERKN3c106ScalarEENKUlvE_clEvENKUlvE3_clEvEUlsE_St5arrayIPcLm2EEEEviT0_T1_,"axG",@progbits,_ZN2at6native29vectorized_elementwise_kernelILi4EZZZNS0_21clamp_min_kernel_cudaERNS_18TensorIteratorBaseERKN3c106ScalarEENKUlvE_clEvENKUlvE3_clEvEUlsE_St5arrayIPcLm2EEEEviT0_T1_,comdat
	.globl	_ZN2at6native29vectorized_elementwise_kernelILi4EZZZNS0_21clamp_min_kernel_cudaERNS_18TensorIteratorBaseERKN3c106ScalarEENKUlvE_clEvENKUlvE3_clEvEUlsE_St5arrayIPcLm2EEEEviT0_T1_ ; -- Begin function _ZN2at6native29vectorized_elementwise_kernelILi4EZZZNS0_21clamp_min_kernel_cudaERNS_18TensorIteratorBaseERKN3c106ScalarEENKUlvE_clEvENKUlvE3_clEvEUlsE_St5arrayIPcLm2EEEEviT0_T1_
	.p2align	8
	.type	_ZN2at6native29vectorized_elementwise_kernelILi4EZZZNS0_21clamp_min_kernel_cudaERNS_18TensorIteratorBaseERKN3c106ScalarEENKUlvE_clEvENKUlvE3_clEvEUlsE_St5arrayIPcLm2EEEEviT0_T1_,@function
_ZN2at6native29vectorized_elementwise_kernelILi4EZZZNS0_21clamp_min_kernel_cudaERNS_18TensorIteratorBaseERKN3c106ScalarEENKUlvE_clEvENKUlvE3_clEvEUlsE_St5arrayIPcLm2EEEEviT0_T1_: ; @_ZN2at6native29vectorized_elementwise_kernelILi4EZZZNS0_21clamp_min_kernel_cudaERNS_18TensorIteratorBaseERKN3c106ScalarEENKUlvE_clEvENKUlvE3_clEvEUlsE_St5arrayIPcLm2EEEEviT0_T1_
; %bb.0:
	s_clause 0x1
	s_load_b64 s[8:9], s[0:1], 0x0
	s_load_b128 s[4:7], s[0:1], 0x8
	s_lshl_b32 s2, s15, 11
	s_mov_b32 s0, -1
	s_waitcnt lgkmcnt(0)
	s_sub_i32 s1, s8, s2
	s_delay_alu instid0(SALU_CYCLE_1)
	s_cmpk_gt_i32 s1, 0x7ff
	s_cbranch_scc0 .LBB380_2
; %bb.1:
	s_ashr_i32 s3, s2, 31
	v_lshlrev_b32_e32 v5, 3, v0
	s_lshl_b64 s[10:11], s[2:3], 1
	s_mov_b32 s0, 0
	s_add_u32 s12, s6, s10
	s_addc_u32 s13, s7, s11
	s_add_u32 s10, s4, s10
	s_clause 0x1
	global_load_b64 v[1:2], v5, s[12:13]
	global_load_b64 v[3:4], v5, s[12:13] offset:2048
	s_addc_u32 s11, s5, s11
	s_waitcnt vmcnt(1)
	v_lshrrev_b32_e32 v6, 16, v1
	v_lshrrev_b32_e32 v7, 16, v2
	s_waitcnt vmcnt(0)
	v_lshrrev_b32_e32 v8, 16, v3
	v_lshrrev_b32_e32 v9, 16, v4
	v_max_i16 v1, v1, s9
	v_max_i16 v2, v2, s9
	;; [unrolled: 1-line block ×8, first 2 shown]
	v_and_b32_e32 v2, 0xffff, v2
	v_and_b32_e32 v1, 0xffff, v1
	v_lshlrev_b32_e32 v7, 16, v7
	v_lshlrev_b32_e32 v6, 16, v6
	v_and_b32_e32 v4, 0xffff, v4
	v_and_b32_e32 v3, 0xffff, v3
	v_lshlrev_b32_e32 v9, 16, v9
	v_lshlrev_b32_e32 v8, 16, v8
	v_or_b32_e32 v2, v7, v2
	v_or_b32_e32 v1, v6, v1
	s_delay_alu instid0(VALU_DEP_4) | instskip(NEXT) | instid1(VALU_DEP_4)
	v_or_b32_e32 v4, v9, v4
	v_or_b32_e32 v3, v8, v3
	s_clause 0x1
	global_store_b64 v5, v[1:2], s[10:11]
	global_store_b64 v5, v[3:4], s[10:11] offset:2048
.LBB380_2:
	s_and_not1_b32 vcc_lo, exec_lo, s0
	s_cbranch_vccnz .LBB380_28
; %bb.3:
	v_cmp_gt_i32_e32 vcc_lo, s1, v0
	v_dual_mov_b32 v4, 0 :: v_dual_mov_b32 v5, v0
	v_or_b32_e32 v1, s2, v0
	v_or_b32_e32 v3, 0x100, v0
	v_mov_b32_e32 v2, 0
	s_and_saveexec_b32 s3, vcc_lo
	s_cbranch_execz .LBB380_5
; %bb.4:
	v_mov_b32_e32 v2, 0
	s_delay_alu instid0(VALU_DEP_1) | instskip(NEXT) | instid1(VALU_DEP_1)
	v_lshlrev_b64 v[5:6], 1, v[1:2]
	v_add_co_u32 v5, s0, s6, v5
	s_delay_alu instid0(VALU_DEP_1)
	v_add_co_ci_u32_e64 v6, s0, s7, v6, s0
	global_load_u16 v2, v[5:6], off
	v_or_b32_e32 v5, 0x100, v0
.LBB380_5:
	s_or_b32 exec_lo, exec_lo, s3
	s_delay_alu instid0(SALU_CYCLE_1) | instskip(NEXT) | instid1(VALU_DEP_1)
	s_mov_b32 s3, exec_lo
	v_cmpx_gt_i32_e64 s1, v5
	s_cbranch_execz .LBB380_7
; %bb.6:
	v_dual_mov_b32 v7, 0 :: v_dual_add_nc_u32 v6, s2, v5
	v_add_nc_u32_e32 v5, 0x100, v5
	s_delay_alu instid0(VALU_DEP_2) | instskip(NEXT) | instid1(VALU_DEP_1)
	v_lshlrev_b64 v[6:7], 1, v[6:7]
	v_add_co_u32 v6, s0, s6, v6
	s_delay_alu instid0(VALU_DEP_1)
	v_add_co_ci_u32_e64 v7, s0, s7, v7, s0
	global_load_u16 v4, v[6:7], off
.LBB380_7:
	s_or_b32 exec_lo, exec_lo, s3
	v_dual_mov_b32 v6, 0 :: v_dual_mov_b32 v7, 0
	s_mov_b32 s3, exec_lo
	v_cmpx_gt_i32_e64 s1, v5
	s_cbranch_execz .LBB380_9
; %bb.8:
	v_dual_mov_b32 v8, 0 :: v_dual_add_nc_u32 v7, s2, v5
	v_add_nc_u32_e32 v5, 0x100, v5
	s_delay_alu instid0(VALU_DEP_2) | instskip(NEXT) | instid1(VALU_DEP_1)
	v_lshlrev_b64 v[7:8], 1, v[7:8]
	v_add_co_u32 v7, s0, s6, v7
	s_delay_alu instid0(VALU_DEP_1)
	v_add_co_ci_u32_e64 v8, s0, s7, v8, s0
	global_load_u16 v7, v[7:8], off
.LBB380_9:
	s_or_b32 exec_lo, exec_lo, s3
	s_delay_alu instid0(SALU_CYCLE_1)
	s_mov_b32 s3, exec_lo
	v_cmpx_gt_i32_e64 s1, v5
	s_cbranch_execz .LBB380_11
; %bb.10:
	v_dual_mov_b32 v9, 0 :: v_dual_add_nc_u32 v8, s2, v5
	v_add_nc_u32_e32 v5, 0x100, v5
	s_delay_alu instid0(VALU_DEP_2) | instskip(NEXT) | instid1(VALU_DEP_1)
	v_lshlrev_b64 v[8:9], 1, v[8:9]
	v_add_co_u32 v8, s0, s6, v8
	s_delay_alu instid0(VALU_DEP_1)
	v_add_co_ci_u32_e64 v9, s0, s7, v9, s0
	global_load_u16 v6, v[8:9], off
.LBB380_11:
	s_or_b32 exec_lo, exec_lo, s3
	v_dual_mov_b32 v8, 0 :: v_dual_mov_b32 v9, 0
	s_mov_b32 s3, exec_lo
	v_cmpx_gt_i32_e64 s1, v5
	s_cbranch_execz .LBB380_13
; %bb.12:
	v_dual_mov_b32 v10, 0 :: v_dual_add_nc_u32 v9, s2, v5
	v_add_nc_u32_e32 v5, 0x100, v5
	s_delay_alu instid0(VALU_DEP_2) | instskip(NEXT) | instid1(VALU_DEP_1)
	v_lshlrev_b64 v[9:10], 1, v[9:10]
	v_add_co_u32 v9, s0, s6, v9
	s_delay_alu instid0(VALU_DEP_1)
	v_add_co_ci_u32_e64 v10, s0, s7, v10, s0
	global_load_u16 v9, v[9:10], off
.LBB380_13:
	s_or_b32 exec_lo, exec_lo, s3
	s_delay_alu instid0(SALU_CYCLE_1)
	;; [unrolled: 30-line block ×3, first 2 shown]
	s_mov_b32 s3, exec_lo
	v_cmpx_gt_i32_e64 s1, v5
	s_cbranch_execz .LBB380_19
; %bb.18:
	v_dual_mov_b32 v13, 0 :: v_dual_add_nc_u32 v12, s2, v5
	s_delay_alu instid0(VALU_DEP_1) | instskip(NEXT) | instid1(VALU_DEP_1)
	v_lshlrev_b64 v[12:13], 1, v[12:13]
	v_add_co_u32 v12, s0, s6, v12
	s_delay_alu instid0(VALU_DEP_1)
	v_add_co_ci_u32_e64 v13, s0, s7, v13, s0
	global_load_u16 v10, v[12:13], off
.LBB380_19:
	s_or_b32 exec_lo, exec_lo, s3
	s_waitcnt vmcnt(0)
	v_max_i16 v2, v2, s9
	v_max_i16 v4, v4, s9
	v_max_i16 v5, v7, s9
	v_or_b32_e32 v12, 0x300, v0
	v_max_i16 v6, v6, s9
	v_cmp_gt_i32_e64 s0, s1, v3
	v_perm_b32 v4, v4, v2, 0x5040100
	v_max_i16 v9, v9, s9
	v_max_i16 v8, v8, s9
	v_and_b32_e32 v13, 0xffff, v5
	v_or_b32_e32 v14, 0x700, v0
	v_cndmask_b32_e64 v7, v2, v4, s0
	v_perm_b32 v4, v6, v5, 0x5040100
	v_max_i16 v5, v10, s9
	v_or_b32_e32 v10, 0x500, v0
	v_cmp_gt_i32_e64 s0, s1, v12
	v_max_i16 v2, v11, s9
	v_perm_b32 v8, v8, v9, 0x5040100
	s_delay_alu instid0(VALU_DEP_3) | instskip(SKIP_1) | instid1(VALU_DEP_4)
	v_cndmask_b32_e64 v6, v13, v4, s0
	v_cmp_gt_i32_e64 s0, s1, v10
	v_and_b32_e32 v11, 0xffff, v2
	v_perm_b32 v2, v5, v2, 0x5040100
	s_delay_alu instid0(VALU_DEP_3) | instskip(SKIP_1) | instid1(VALU_DEP_1)
	v_cndmask_b32_e64 v5, v9, v8, s0
	v_cmp_gt_i32_e64 s0, s1, v14
	v_cndmask_b32_e64 v4, v11, v2, s0
	s_and_saveexec_b32 s0, vcc_lo
	s_cbranch_execnz .LBB380_29
; %bb.20:
	s_or_b32 exec_lo, exec_lo, s0
	s_delay_alu instid0(SALU_CYCLE_1)
	s_mov_b32 s0, exec_lo
	v_cmpx_gt_i32_e64 s1, v0
	s_cbranch_execnz .LBB380_30
.LBB380_21:
	s_or_b32 exec_lo, exec_lo, s0
	s_delay_alu instid0(SALU_CYCLE_1)
	s_mov_b32 s0, exec_lo
	v_cmpx_gt_i32_e64 s1, v0
	s_cbranch_execnz .LBB380_31
.LBB380_22:
	s_or_b32 exec_lo, exec_lo, s0
	s_delay_alu instid0(SALU_CYCLE_1)
	s_mov_b32 s0, exec_lo
	v_cmpx_gt_i32_e64 s1, v0
	s_cbranch_execnz .LBB380_32
.LBB380_23:
	s_or_b32 exec_lo, exec_lo, s0
	s_delay_alu instid0(SALU_CYCLE_1)
	s_mov_b32 s0, exec_lo
	v_cmpx_gt_i32_e64 s1, v0
	s_cbranch_execnz .LBB380_33
.LBB380_24:
	s_or_b32 exec_lo, exec_lo, s0
	s_delay_alu instid0(SALU_CYCLE_1)
	s_mov_b32 s0, exec_lo
	v_cmpx_gt_i32_e64 s1, v0
	s_cbranch_execnz .LBB380_34
.LBB380_25:
	s_or_b32 exec_lo, exec_lo, s0
	s_delay_alu instid0(SALU_CYCLE_1)
	s_mov_b32 s0, exec_lo
	v_cmpx_gt_i32_e64 s1, v0
	s_cbranch_execnz .LBB380_35
.LBB380_26:
	s_or_b32 exec_lo, exec_lo, s0
	s_delay_alu instid0(SALU_CYCLE_1)
	s_mov_b32 s0, exec_lo
	v_cmpx_gt_i32_e64 s1, v0
	s_cbranch_execz .LBB380_28
.LBB380_27:
	v_dual_mov_b32 v1, 0 :: v_dual_add_nc_u32 v0, s2, v0
	s_delay_alu instid0(VALU_DEP_1) | instskip(NEXT) | instid1(VALU_DEP_1)
	v_lshlrev_b64 v[0:1], 1, v[0:1]
	v_add_co_u32 v0, vcc_lo, s4, v0
	s_delay_alu instid0(VALU_DEP_2)
	v_add_co_ci_u32_e32 v1, vcc_lo, s5, v1, vcc_lo
	global_store_d16_hi_b16 v[0:1], v4, off
.LBB380_28:
	s_nop 0
	s_sendmsg sendmsg(MSG_DEALLOC_VGPRS)
	s_endpgm
.LBB380_29:
	v_mov_b32_e32 v2, 0
	s_delay_alu instid0(VALU_DEP_1) | instskip(NEXT) | instid1(VALU_DEP_1)
	v_lshlrev_b64 v[0:1], 1, v[1:2]
	v_add_co_u32 v8, vcc_lo, s4, v0
	s_delay_alu instid0(VALU_DEP_2) | instskip(SKIP_3) | instid1(SALU_CYCLE_1)
	v_add_co_ci_u32_e32 v9, vcc_lo, s5, v1, vcc_lo
	v_mov_b32_e32 v0, v3
	global_store_b16 v[8:9], v7, off
	s_or_b32 exec_lo, exec_lo, s0
	s_mov_b32 s0, exec_lo
	v_cmpx_gt_i32_e64 s1, v0
	s_cbranch_execz .LBB380_21
.LBB380_30:
	v_dual_mov_b32 v2, 0 :: v_dual_add_nc_u32 v1, s2, v0
	v_add_nc_u32_e32 v0, 0x100, v0
	s_delay_alu instid0(VALU_DEP_2) | instskip(NEXT) | instid1(VALU_DEP_1)
	v_lshlrev_b64 v[1:2], 1, v[1:2]
	v_add_co_u32 v1, vcc_lo, s4, v1
	s_delay_alu instid0(VALU_DEP_2) | instskip(SKIP_2) | instid1(SALU_CYCLE_1)
	v_add_co_ci_u32_e32 v2, vcc_lo, s5, v2, vcc_lo
	global_store_d16_hi_b16 v[1:2], v7, off
	s_or_b32 exec_lo, exec_lo, s0
	s_mov_b32 s0, exec_lo
	v_cmpx_gt_i32_e64 s1, v0
	s_cbranch_execz .LBB380_22
.LBB380_31:
	v_dual_mov_b32 v2, 0 :: v_dual_add_nc_u32 v1, s2, v0
	v_add_nc_u32_e32 v0, 0x100, v0
	s_delay_alu instid0(VALU_DEP_2) | instskip(NEXT) | instid1(VALU_DEP_1)
	v_lshlrev_b64 v[1:2], 1, v[1:2]
	v_add_co_u32 v1, vcc_lo, s4, v1
	s_delay_alu instid0(VALU_DEP_2) | instskip(SKIP_2) | instid1(SALU_CYCLE_1)
	v_add_co_ci_u32_e32 v2, vcc_lo, s5, v2, vcc_lo
	global_store_b16 v[1:2], v6, off
	s_or_b32 exec_lo, exec_lo, s0
	s_mov_b32 s0, exec_lo
	v_cmpx_gt_i32_e64 s1, v0
	s_cbranch_execz .LBB380_23
.LBB380_32:
	v_dual_mov_b32 v2, 0 :: v_dual_add_nc_u32 v1, s2, v0
	v_add_nc_u32_e32 v0, 0x100, v0
	s_delay_alu instid0(VALU_DEP_2) | instskip(NEXT) | instid1(VALU_DEP_1)
	v_lshlrev_b64 v[1:2], 1, v[1:2]
	v_add_co_u32 v1, vcc_lo, s4, v1
	s_delay_alu instid0(VALU_DEP_2) | instskip(SKIP_2) | instid1(SALU_CYCLE_1)
	v_add_co_ci_u32_e32 v2, vcc_lo, s5, v2, vcc_lo
	global_store_d16_hi_b16 v[1:2], v6, off
	s_or_b32 exec_lo, exec_lo, s0
	s_mov_b32 s0, exec_lo
	v_cmpx_gt_i32_e64 s1, v0
	s_cbranch_execz .LBB380_24
.LBB380_33:
	v_dual_mov_b32 v2, 0 :: v_dual_add_nc_u32 v1, s2, v0
	v_add_nc_u32_e32 v0, 0x100, v0
	s_delay_alu instid0(VALU_DEP_2) | instskip(NEXT) | instid1(VALU_DEP_1)
	v_lshlrev_b64 v[1:2], 1, v[1:2]
	v_add_co_u32 v1, vcc_lo, s4, v1
	s_delay_alu instid0(VALU_DEP_2) | instskip(SKIP_2) | instid1(SALU_CYCLE_1)
	v_add_co_ci_u32_e32 v2, vcc_lo, s5, v2, vcc_lo
	global_store_b16 v[1:2], v5, off
	s_or_b32 exec_lo, exec_lo, s0
	s_mov_b32 s0, exec_lo
	v_cmpx_gt_i32_e64 s1, v0
	s_cbranch_execz .LBB380_25
.LBB380_34:
	v_dual_mov_b32 v2, 0 :: v_dual_add_nc_u32 v1, s2, v0
	v_add_nc_u32_e32 v0, 0x100, v0
	s_delay_alu instid0(VALU_DEP_2) | instskip(NEXT) | instid1(VALU_DEP_1)
	v_lshlrev_b64 v[1:2], 1, v[1:2]
	v_add_co_u32 v1, vcc_lo, s4, v1
	s_delay_alu instid0(VALU_DEP_2) | instskip(SKIP_2) | instid1(SALU_CYCLE_1)
	v_add_co_ci_u32_e32 v2, vcc_lo, s5, v2, vcc_lo
	global_store_d16_hi_b16 v[1:2], v5, off
	s_or_b32 exec_lo, exec_lo, s0
	s_mov_b32 s0, exec_lo
	v_cmpx_gt_i32_e64 s1, v0
	s_cbranch_execz .LBB380_26
.LBB380_35:
	v_dual_mov_b32 v2, 0 :: v_dual_add_nc_u32 v1, s2, v0
	v_add_nc_u32_e32 v0, 0x100, v0
	s_delay_alu instid0(VALU_DEP_2) | instskip(NEXT) | instid1(VALU_DEP_1)
	v_lshlrev_b64 v[1:2], 1, v[1:2]
	v_add_co_u32 v1, vcc_lo, s4, v1
	s_delay_alu instid0(VALU_DEP_2) | instskip(SKIP_2) | instid1(SALU_CYCLE_1)
	v_add_co_ci_u32_e32 v2, vcc_lo, s5, v2, vcc_lo
	global_store_b16 v[1:2], v4, off
	s_or_b32 exec_lo, exec_lo, s0
	s_mov_b32 s0, exec_lo
	v_cmpx_gt_i32_e64 s1, v0
	s_cbranch_execnz .LBB380_27
	s_branch .LBB380_28
	.section	.rodata,"a",@progbits
	.p2align	6, 0x0
	.amdhsa_kernel _ZN2at6native29vectorized_elementwise_kernelILi4EZZZNS0_21clamp_min_kernel_cudaERNS_18TensorIteratorBaseERKN3c106ScalarEENKUlvE_clEvENKUlvE3_clEvEUlsE_St5arrayIPcLm2EEEEviT0_T1_
		.amdhsa_group_segment_fixed_size 0
		.amdhsa_private_segment_fixed_size 0
		.amdhsa_kernarg_size 24
		.amdhsa_user_sgpr_count 15
		.amdhsa_user_sgpr_dispatch_ptr 0
		.amdhsa_user_sgpr_queue_ptr 0
		.amdhsa_user_sgpr_kernarg_segment_ptr 1
		.amdhsa_user_sgpr_dispatch_id 0
		.amdhsa_user_sgpr_private_segment_size 0
		.amdhsa_wavefront_size32 1
		.amdhsa_uses_dynamic_stack 0
		.amdhsa_enable_private_segment 0
		.amdhsa_system_sgpr_workgroup_id_x 1
		.amdhsa_system_sgpr_workgroup_id_y 0
		.amdhsa_system_sgpr_workgroup_id_z 0
		.amdhsa_system_sgpr_workgroup_info 0
		.amdhsa_system_vgpr_workitem_id 0
		.amdhsa_next_free_vgpr 15
		.amdhsa_next_free_sgpr 16
		.amdhsa_reserve_vcc 1
		.amdhsa_float_round_mode_32 0
		.amdhsa_float_round_mode_16_64 0
		.amdhsa_float_denorm_mode_32 3
		.amdhsa_float_denorm_mode_16_64 3
		.amdhsa_dx10_clamp 1
		.amdhsa_ieee_mode 1
		.amdhsa_fp16_overflow 0
		.amdhsa_workgroup_processor_mode 1
		.amdhsa_memory_ordered 1
		.amdhsa_forward_progress 0
		.amdhsa_shared_vgpr_count 0
		.amdhsa_exception_fp_ieee_invalid_op 0
		.amdhsa_exception_fp_denorm_src 0
		.amdhsa_exception_fp_ieee_div_zero 0
		.amdhsa_exception_fp_ieee_overflow 0
		.amdhsa_exception_fp_ieee_underflow 0
		.amdhsa_exception_fp_ieee_inexact 0
		.amdhsa_exception_int_div_zero 0
	.end_amdhsa_kernel
	.section	.text._ZN2at6native29vectorized_elementwise_kernelILi4EZZZNS0_21clamp_min_kernel_cudaERNS_18TensorIteratorBaseERKN3c106ScalarEENKUlvE_clEvENKUlvE3_clEvEUlsE_St5arrayIPcLm2EEEEviT0_T1_,"axG",@progbits,_ZN2at6native29vectorized_elementwise_kernelILi4EZZZNS0_21clamp_min_kernel_cudaERNS_18TensorIteratorBaseERKN3c106ScalarEENKUlvE_clEvENKUlvE3_clEvEUlsE_St5arrayIPcLm2EEEEviT0_T1_,comdat
.Lfunc_end380:
	.size	_ZN2at6native29vectorized_elementwise_kernelILi4EZZZNS0_21clamp_min_kernel_cudaERNS_18TensorIteratorBaseERKN3c106ScalarEENKUlvE_clEvENKUlvE3_clEvEUlsE_St5arrayIPcLm2EEEEviT0_T1_, .Lfunc_end380-_ZN2at6native29vectorized_elementwise_kernelILi4EZZZNS0_21clamp_min_kernel_cudaERNS_18TensorIteratorBaseERKN3c106ScalarEENKUlvE_clEvENKUlvE3_clEvEUlsE_St5arrayIPcLm2EEEEviT0_T1_
                                        ; -- End function
	.section	.AMDGPU.csdata,"",@progbits
; Kernel info:
; codeLenInByte = 1900
; NumSgprs: 18
; NumVgprs: 15
; ScratchSize: 0
; MemoryBound: 0
; FloatMode: 240
; IeeeMode: 1
; LDSByteSize: 0 bytes/workgroup (compile time only)
; SGPRBlocks: 2
; VGPRBlocks: 1
; NumSGPRsForWavesPerEU: 18
; NumVGPRsForWavesPerEU: 15
; Occupancy: 16
; WaveLimiterHint : 1
; COMPUTE_PGM_RSRC2:SCRATCH_EN: 0
; COMPUTE_PGM_RSRC2:USER_SGPR: 15
; COMPUTE_PGM_RSRC2:TRAP_HANDLER: 0
; COMPUTE_PGM_RSRC2:TGID_X_EN: 1
; COMPUTE_PGM_RSRC2:TGID_Y_EN: 0
; COMPUTE_PGM_RSRC2:TGID_Z_EN: 0
; COMPUTE_PGM_RSRC2:TIDIG_COMP_CNT: 0
	.section	.text._ZN2at6native29vectorized_elementwise_kernelILi2EZZZNS0_21clamp_min_kernel_cudaERNS_18TensorIteratorBaseERKN3c106ScalarEENKUlvE_clEvENKUlvE3_clEvEUlsE_St5arrayIPcLm2EEEEviT0_T1_,"axG",@progbits,_ZN2at6native29vectorized_elementwise_kernelILi2EZZZNS0_21clamp_min_kernel_cudaERNS_18TensorIteratorBaseERKN3c106ScalarEENKUlvE_clEvENKUlvE3_clEvEUlsE_St5arrayIPcLm2EEEEviT0_T1_,comdat
	.globl	_ZN2at6native29vectorized_elementwise_kernelILi2EZZZNS0_21clamp_min_kernel_cudaERNS_18TensorIteratorBaseERKN3c106ScalarEENKUlvE_clEvENKUlvE3_clEvEUlsE_St5arrayIPcLm2EEEEviT0_T1_ ; -- Begin function _ZN2at6native29vectorized_elementwise_kernelILi2EZZZNS0_21clamp_min_kernel_cudaERNS_18TensorIteratorBaseERKN3c106ScalarEENKUlvE_clEvENKUlvE3_clEvEUlsE_St5arrayIPcLm2EEEEviT0_T1_
	.p2align	8
	.type	_ZN2at6native29vectorized_elementwise_kernelILi2EZZZNS0_21clamp_min_kernel_cudaERNS_18TensorIteratorBaseERKN3c106ScalarEENKUlvE_clEvENKUlvE3_clEvEUlsE_St5arrayIPcLm2EEEEviT0_T1_,@function
_ZN2at6native29vectorized_elementwise_kernelILi2EZZZNS0_21clamp_min_kernel_cudaERNS_18TensorIteratorBaseERKN3c106ScalarEENKUlvE_clEvENKUlvE3_clEvEUlsE_St5arrayIPcLm2EEEEviT0_T1_: ; @_ZN2at6native29vectorized_elementwise_kernelILi2EZZZNS0_21clamp_min_kernel_cudaERNS_18TensorIteratorBaseERKN3c106ScalarEENKUlvE_clEvENKUlvE3_clEvEUlsE_St5arrayIPcLm2EEEEviT0_T1_
; %bb.0:
	s_clause 0x1
	s_load_b64 s[8:9], s[0:1], 0x0
	s_load_b128 s[4:7], s[0:1], 0x8
	s_lshl_b32 s2, s15, 11
	s_mov_b32 s0, -1
	s_waitcnt lgkmcnt(0)
	s_sub_i32 s1, s8, s2
	s_delay_alu instid0(SALU_CYCLE_1)
	s_cmpk_gt_i32 s1, 0x7ff
	s_cbranch_scc0 .LBB381_2
; %bb.1:
	s_ashr_i32 s3, s2, 31
	v_lshlrev_b32_e32 v1, 2, v0
	s_lshl_b64 s[10:11], s[2:3], 1
	s_mov_b32 s0, 0
	s_add_u32 s12, s6, s10
	s_addc_u32 s13, s7, s11
	s_add_u32 s10, s4, s10
	s_clause 0x3
	global_load_b32 v2, v1, s[12:13]
	global_load_b32 v3, v1, s[12:13] offset:1024
	global_load_b32 v4, v1, s[12:13] offset:2048
	;; [unrolled: 1-line block ×3, first 2 shown]
	s_addc_u32 s11, s5, s11
	s_waitcnt vmcnt(3)
	v_lshrrev_b32_e32 v6, 16, v2
	s_waitcnt vmcnt(2)
	v_lshrrev_b32_e32 v7, 16, v3
	;; [unrolled: 2-line block ×4, first 2 shown]
	v_max_i16 v2, v2, s9
	v_max_i16 v6, v6, s9
	v_max_i16 v3, v3, s9
	v_max_i16 v7, v7, s9
	v_max_i16 v4, v4, s9
	v_max_i16 v8, v8, s9
	v_max_i16 v5, v5, s9
	v_max_i16 v9, v9, s9
	v_and_b32_e32 v2, 0xffff, v2
	v_lshlrev_b32_e32 v6, 16, v6
	v_and_b32_e32 v3, 0xffff, v3
	v_lshlrev_b32_e32 v7, 16, v7
	;; [unrolled: 2-line block ×4, first 2 shown]
	v_or_b32_e32 v2, v6, v2
	v_or_b32_e32 v3, v7, v3
	;; [unrolled: 1-line block ×3, first 2 shown]
	s_delay_alu instid0(VALU_DEP_4)
	v_or_b32_e32 v5, v9, v5
	s_clause 0x3
	global_store_b32 v1, v2, s[10:11]
	global_store_b32 v1, v3, s[10:11] offset:1024
	global_store_b32 v1, v4, s[10:11] offset:2048
	;; [unrolled: 1-line block ×3, first 2 shown]
.LBB381_2:
	s_and_not1_b32 vcc_lo, exec_lo, s0
	s_cbranch_vccnz .LBB381_28
; %bb.3:
	v_cmp_gt_i32_e32 vcc_lo, s1, v0
	v_dual_mov_b32 v4, 0 :: v_dual_mov_b32 v5, v0
	v_or_b32_e32 v1, s2, v0
	v_or_b32_e32 v3, 0x100, v0
	v_mov_b32_e32 v2, 0
	s_and_saveexec_b32 s3, vcc_lo
	s_cbranch_execz .LBB381_5
; %bb.4:
	v_mov_b32_e32 v2, 0
	s_delay_alu instid0(VALU_DEP_1) | instskip(NEXT) | instid1(VALU_DEP_1)
	v_lshlrev_b64 v[5:6], 1, v[1:2]
	v_add_co_u32 v5, s0, s6, v5
	s_delay_alu instid0(VALU_DEP_1)
	v_add_co_ci_u32_e64 v6, s0, s7, v6, s0
	global_load_u16 v2, v[5:6], off
	v_or_b32_e32 v5, 0x100, v0
.LBB381_5:
	s_or_b32 exec_lo, exec_lo, s3
	s_delay_alu instid0(SALU_CYCLE_1) | instskip(NEXT) | instid1(VALU_DEP_1)
	s_mov_b32 s3, exec_lo
	v_cmpx_gt_i32_e64 s1, v5
	s_cbranch_execz .LBB381_7
; %bb.6:
	v_dual_mov_b32 v7, 0 :: v_dual_add_nc_u32 v6, s2, v5
	v_add_nc_u32_e32 v5, 0x100, v5
	s_delay_alu instid0(VALU_DEP_2) | instskip(NEXT) | instid1(VALU_DEP_1)
	v_lshlrev_b64 v[6:7], 1, v[6:7]
	v_add_co_u32 v6, s0, s6, v6
	s_delay_alu instid0(VALU_DEP_1)
	v_add_co_ci_u32_e64 v7, s0, s7, v7, s0
	global_load_u16 v4, v[6:7], off
.LBB381_7:
	s_or_b32 exec_lo, exec_lo, s3
	v_dual_mov_b32 v6, 0 :: v_dual_mov_b32 v7, 0
	s_mov_b32 s3, exec_lo
	v_cmpx_gt_i32_e64 s1, v5
	s_cbranch_execz .LBB381_9
; %bb.8:
	v_dual_mov_b32 v8, 0 :: v_dual_add_nc_u32 v7, s2, v5
	v_add_nc_u32_e32 v5, 0x100, v5
	s_delay_alu instid0(VALU_DEP_2) | instskip(NEXT) | instid1(VALU_DEP_1)
	v_lshlrev_b64 v[7:8], 1, v[7:8]
	v_add_co_u32 v7, s0, s6, v7
	s_delay_alu instid0(VALU_DEP_1)
	v_add_co_ci_u32_e64 v8, s0, s7, v8, s0
	global_load_u16 v7, v[7:8], off
.LBB381_9:
	s_or_b32 exec_lo, exec_lo, s3
	s_delay_alu instid0(SALU_CYCLE_1)
	s_mov_b32 s3, exec_lo
	v_cmpx_gt_i32_e64 s1, v5
	s_cbranch_execz .LBB381_11
; %bb.10:
	v_dual_mov_b32 v9, 0 :: v_dual_add_nc_u32 v8, s2, v5
	v_add_nc_u32_e32 v5, 0x100, v5
	s_delay_alu instid0(VALU_DEP_2) | instskip(NEXT) | instid1(VALU_DEP_1)
	v_lshlrev_b64 v[8:9], 1, v[8:9]
	v_add_co_u32 v8, s0, s6, v8
	s_delay_alu instid0(VALU_DEP_1)
	v_add_co_ci_u32_e64 v9, s0, s7, v9, s0
	global_load_u16 v6, v[8:9], off
.LBB381_11:
	s_or_b32 exec_lo, exec_lo, s3
	v_dual_mov_b32 v8, 0 :: v_dual_mov_b32 v9, 0
	s_mov_b32 s3, exec_lo
	v_cmpx_gt_i32_e64 s1, v5
	s_cbranch_execz .LBB381_13
; %bb.12:
	v_dual_mov_b32 v10, 0 :: v_dual_add_nc_u32 v9, s2, v5
	v_add_nc_u32_e32 v5, 0x100, v5
	s_delay_alu instid0(VALU_DEP_2) | instskip(NEXT) | instid1(VALU_DEP_1)
	v_lshlrev_b64 v[9:10], 1, v[9:10]
	v_add_co_u32 v9, s0, s6, v9
	s_delay_alu instid0(VALU_DEP_1)
	v_add_co_ci_u32_e64 v10, s0, s7, v10, s0
	global_load_u16 v9, v[9:10], off
.LBB381_13:
	s_or_b32 exec_lo, exec_lo, s3
	s_delay_alu instid0(SALU_CYCLE_1)
	;; [unrolled: 30-line block ×3, first 2 shown]
	s_mov_b32 s3, exec_lo
	v_cmpx_gt_i32_e64 s1, v5
	s_cbranch_execz .LBB381_19
; %bb.18:
	v_dual_mov_b32 v13, 0 :: v_dual_add_nc_u32 v12, s2, v5
	s_delay_alu instid0(VALU_DEP_1) | instskip(NEXT) | instid1(VALU_DEP_1)
	v_lshlrev_b64 v[12:13], 1, v[12:13]
	v_add_co_u32 v12, s0, s6, v12
	s_delay_alu instid0(VALU_DEP_1)
	v_add_co_ci_u32_e64 v13, s0, s7, v13, s0
	global_load_u16 v10, v[12:13], off
.LBB381_19:
	s_or_b32 exec_lo, exec_lo, s3
	s_waitcnt vmcnt(0)
	v_max_i16 v2, v2, s9
	v_max_i16 v4, v4, s9
	;; [unrolled: 1-line block ×3, first 2 shown]
	v_or_b32_e32 v12, 0x300, v0
	v_max_i16 v6, v6, s9
	v_cmp_gt_i32_e64 s0, s1, v3
	v_perm_b32 v4, v4, v2, 0x5040100
	v_max_i16 v9, v9, s9
	v_max_i16 v8, v8, s9
	v_and_b32_e32 v13, 0xffff, v5
	v_or_b32_e32 v14, 0x700, v0
	v_cndmask_b32_e64 v7, v2, v4, s0
	v_perm_b32 v4, v6, v5, 0x5040100
	v_max_i16 v5, v10, s9
	v_or_b32_e32 v10, 0x500, v0
	v_cmp_gt_i32_e64 s0, s1, v12
	v_max_i16 v2, v11, s9
	v_perm_b32 v8, v8, v9, 0x5040100
	s_delay_alu instid0(VALU_DEP_3) | instskip(SKIP_1) | instid1(VALU_DEP_4)
	v_cndmask_b32_e64 v6, v13, v4, s0
	v_cmp_gt_i32_e64 s0, s1, v10
	v_and_b32_e32 v11, 0xffff, v2
	v_perm_b32 v2, v5, v2, 0x5040100
	s_delay_alu instid0(VALU_DEP_3) | instskip(SKIP_1) | instid1(VALU_DEP_1)
	v_cndmask_b32_e64 v5, v9, v8, s0
	v_cmp_gt_i32_e64 s0, s1, v14
	v_cndmask_b32_e64 v4, v11, v2, s0
	s_and_saveexec_b32 s0, vcc_lo
	s_cbranch_execnz .LBB381_29
; %bb.20:
	s_or_b32 exec_lo, exec_lo, s0
	s_delay_alu instid0(SALU_CYCLE_1)
	s_mov_b32 s0, exec_lo
	v_cmpx_gt_i32_e64 s1, v0
	s_cbranch_execnz .LBB381_30
.LBB381_21:
	s_or_b32 exec_lo, exec_lo, s0
	s_delay_alu instid0(SALU_CYCLE_1)
	s_mov_b32 s0, exec_lo
	v_cmpx_gt_i32_e64 s1, v0
	s_cbranch_execnz .LBB381_31
.LBB381_22:
	s_or_b32 exec_lo, exec_lo, s0
	s_delay_alu instid0(SALU_CYCLE_1)
	s_mov_b32 s0, exec_lo
	v_cmpx_gt_i32_e64 s1, v0
	s_cbranch_execnz .LBB381_32
.LBB381_23:
	s_or_b32 exec_lo, exec_lo, s0
	s_delay_alu instid0(SALU_CYCLE_1)
	s_mov_b32 s0, exec_lo
	v_cmpx_gt_i32_e64 s1, v0
	s_cbranch_execnz .LBB381_33
.LBB381_24:
	s_or_b32 exec_lo, exec_lo, s0
	s_delay_alu instid0(SALU_CYCLE_1)
	s_mov_b32 s0, exec_lo
	v_cmpx_gt_i32_e64 s1, v0
	s_cbranch_execnz .LBB381_34
.LBB381_25:
	s_or_b32 exec_lo, exec_lo, s0
	s_delay_alu instid0(SALU_CYCLE_1)
	s_mov_b32 s0, exec_lo
	v_cmpx_gt_i32_e64 s1, v0
	s_cbranch_execnz .LBB381_35
.LBB381_26:
	s_or_b32 exec_lo, exec_lo, s0
	s_delay_alu instid0(SALU_CYCLE_1)
	s_mov_b32 s0, exec_lo
	v_cmpx_gt_i32_e64 s1, v0
	s_cbranch_execz .LBB381_28
.LBB381_27:
	v_dual_mov_b32 v1, 0 :: v_dual_add_nc_u32 v0, s2, v0
	s_delay_alu instid0(VALU_DEP_1) | instskip(NEXT) | instid1(VALU_DEP_1)
	v_lshlrev_b64 v[0:1], 1, v[0:1]
	v_add_co_u32 v0, vcc_lo, s4, v0
	s_delay_alu instid0(VALU_DEP_2)
	v_add_co_ci_u32_e32 v1, vcc_lo, s5, v1, vcc_lo
	global_store_d16_hi_b16 v[0:1], v4, off
.LBB381_28:
	s_nop 0
	s_sendmsg sendmsg(MSG_DEALLOC_VGPRS)
	s_endpgm
.LBB381_29:
	v_mov_b32_e32 v2, 0
	s_delay_alu instid0(VALU_DEP_1) | instskip(NEXT) | instid1(VALU_DEP_1)
	v_lshlrev_b64 v[0:1], 1, v[1:2]
	v_add_co_u32 v8, vcc_lo, s4, v0
	s_delay_alu instid0(VALU_DEP_2) | instskip(SKIP_3) | instid1(SALU_CYCLE_1)
	v_add_co_ci_u32_e32 v9, vcc_lo, s5, v1, vcc_lo
	v_mov_b32_e32 v0, v3
	global_store_b16 v[8:9], v7, off
	s_or_b32 exec_lo, exec_lo, s0
	s_mov_b32 s0, exec_lo
	v_cmpx_gt_i32_e64 s1, v0
	s_cbranch_execz .LBB381_21
.LBB381_30:
	v_dual_mov_b32 v2, 0 :: v_dual_add_nc_u32 v1, s2, v0
	v_add_nc_u32_e32 v0, 0x100, v0
	s_delay_alu instid0(VALU_DEP_2) | instskip(NEXT) | instid1(VALU_DEP_1)
	v_lshlrev_b64 v[1:2], 1, v[1:2]
	v_add_co_u32 v1, vcc_lo, s4, v1
	s_delay_alu instid0(VALU_DEP_2) | instskip(SKIP_2) | instid1(SALU_CYCLE_1)
	v_add_co_ci_u32_e32 v2, vcc_lo, s5, v2, vcc_lo
	global_store_d16_hi_b16 v[1:2], v7, off
	s_or_b32 exec_lo, exec_lo, s0
	s_mov_b32 s0, exec_lo
	v_cmpx_gt_i32_e64 s1, v0
	s_cbranch_execz .LBB381_22
.LBB381_31:
	v_dual_mov_b32 v2, 0 :: v_dual_add_nc_u32 v1, s2, v0
	v_add_nc_u32_e32 v0, 0x100, v0
	s_delay_alu instid0(VALU_DEP_2) | instskip(NEXT) | instid1(VALU_DEP_1)
	v_lshlrev_b64 v[1:2], 1, v[1:2]
	v_add_co_u32 v1, vcc_lo, s4, v1
	s_delay_alu instid0(VALU_DEP_2) | instskip(SKIP_2) | instid1(SALU_CYCLE_1)
	v_add_co_ci_u32_e32 v2, vcc_lo, s5, v2, vcc_lo
	global_store_b16 v[1:2], v6, off
	s_or_b32 exec_lo, exec_lo, s0
	s_mov_b32 s0, exec_lo
	v_cmpx_gt_i32_e64 s1, v0
	s_cbranch_execz .LBB381_23
.LBB381_32:
	v_dual_mov_b32 v2, 0 :: v_dual_add_nc_u32 v1, s2, v0
	v_add_nc_u32_e32 v0, 0x100, v0
	s_delay_alu instid0(VALU_DEP_2) | instskip(NEXT) | instid1(VALU_DEP_1)
	v_lshlrev_b64 v[1:2], 1, v[1:2]
	v_add_co_u32 v1, vcc_lo, s4, v1
	s_delay_alu instid0(VALU_DEP_2) | instskip(SKIP_2) | instid1(SALU_CYCLE_1)
	v_add_co_ci_u32_e32 v2, vcc_lo, s5, v2, vcc_lo
	global_store_d16_hi_b16 v[1:2], v6, off
	s_or_b32 exec_lo, exec_lo, s0
	s_mov_b32 s0, exec_lo
	v_cmpx_gt_i32_e64 s1, v0
	s_cbranch_execz .LBB381_24
.LBB381_33:
	v_dual_mov_b32 v2, 0 :: v_dual_add_nc_u32 v1, s2, v0
	v_add_nc_u32_e32 v0, 0x100, v0
	s_delay_alu instid0(VALU_DEP_2) | instskip(NEXT) | instid1(VALU_DEP_1)
	v_lshlrev_b64 v[1:2], 1, v[1:2]
	v_add_co_u32 v1, vcc_lo, s4, v1
	s_delay_alu instid0(VALU_DEP_2) | instskip(SKIP_2) | instid1(SALU_CYCLE_1)
	v_add_co_ci_u32_e32 v2, vcc_lo, s5, v2, vcc_lo
	global_store_b16 v[1:2], v5, off
	s_or_b32 exec_lo, exec_lo, s0
	s_mov_b32 s0, exec_lo
	v_cmpx_gt_i32_e64 s1, v0
	s_cbranch_execz .LBB381_25
.LBB381_34:
	v_dual_mov_b32 v2, 0 :: v_dual_add_nc_u32 v1, s2, v0
	v_add_nc_u32_e32 v0, 0x100, v0
	s_delay_alu instid0(VALU_DEP_2) | instskip(NEXT) | instid1(VALU_DEP_1)
	v_lshlrev_b64 v[1:2], 1, v[1:2]
	v_add_co_u32 v1, vcc_lo, s4, v1
	s_delay_alu instid0(VALU_DEP_2) | instskip(SKIP_2) | instid1(SALU_CYCLE_1)
	v_add_co_ci_u32_e32 v2, vcc_lo, s5, v2, vcc_lo
	global_store_d16_hi_b16 v[1:2], v5, off
	s_or_b32 exec_lo, exec_lo, s0
	s_mov_b32 s0, exec_lo
	v_cmpx_gt_i32_e64 s1, v0
	s_cbranch_execz .LBB381_26
.LBB381_35:
	v_dual_mov_b32 v2, 0 :: v_dual_add_nc_u32 v1, s2, v0
	v_add_nc_u32_e32 v0, 0x100, v0
	s_delay_alu instid0(VALU_DEP_2) | instskip(NEXT) | instid1(VALU_DEP_1)
	v_lshlrev_b64 v[1:2], 1, v[1:2]
	v_add_co_u32 v1, vcc_lo, s4, v1
	s_delay_alu instid0(VALU_DEP_2) | instskip(SKIP_2) | instid1(SALU_CYCLE_1)
	v_add_co_ci_u32_e32 v2, vcc_lo, s5, v2, vcc_lo
	global_store_b16 v[1:2], v4, off
	s_or_b32 exec_lo, exec_lo, s0
	s_mov_b32 s0, exec_lo
	v_cmpx_gt_i32_e64 s1, v0
	s_cbranch_execnz .LBB381_27
	s_branch .LBB381_28
	.section	.rodata,"a",@progbits
	.p2align	6, 0x0
	.amdhsa_kernel _ZN2at6native29vectorized_elementwise_kernelILi2EZZZNS0_21clamp_min_kernel_cudaERNS_18TensorIteratorBaseERKN3c106ScalarEENKUlvE_clEvENKUlvE3_clEvEUlsE_St5arrayIPcLm2EEEEviT0_T1_
		.amdhsa_group_segment_fixed_size 0
		.amdhsa_private_segment_fixed_size 0
		.amdhsa_kernarg_size 24
		.amdhsa_user_sgpr_count 15
		.amdhsa_user_sgpr_dispatch_ptr 0
		.amdhsa_user_sgpr_queue_ptr 0
		.amdhsa_user_sgpr_kernarg_segment_ptr 1
		.amdhsa_user_sgpr_dispatch_id 0
		.amdhsa_user_sgpr_private_segment_size 0
		.amdhsa_wavefront_size32 1
		.amdhsa_uses_dynamic_stack 0
		.amdhsa_enable_private_segment 0
		.amdhsa_system_sgpr_workgroup_id_x 1
		.amdhsa_system_sgpr_workgroup_id_y 0
		.amdhsa_system_sgpr_workgroup_id_z 0
		.amdhsa_system_sgpr_workgroup_info 0
		.amdhsa_system_vgpr_workitem_id 0
		.amdhsa_next_free_vgpr 15
		.amdhsa_next_free_sgpr 16
		.amdhsa_reserve_vcc 1
		.amdhsa_float_round_mode_32 0
		.amdhsa_float_round_mode_16_64 0
		.amdhsa_float_denorm_mode_32 3
		.amdhsa_float_denorm_mode_16_64 3
		.amdhsa_dx10_clamp 1
		.amdhsa_ieee_mode 1
		.amdhsa_fp16_overflow 0
		.amdhsa_workgroup_processor_mode 1
		.amdhsa_memory_ordered 1
		.amdhsa_forward_progress 0
		.amdhsa_shared_vgpr_count 0
		.amdhsa_exception_fp_ieee_invalid_op 0
		.amdhsa_exception_fp_denorm_src 0
		.amdhsa_exception_fp_ieee_div_zero 0
		.amdhsa_exception_fp_ieee_overflow 0
		.amdhsa_exception_fp_ieee_underflow 0
		.amdhsa_exception_fp_ieee_inexact 0
		.amdhsa_exception_int_div_zero 0
	.end_amdhsa_kernel
	.section	.text._ZN2at6native29vectorized_elementwise_kernelILi2EZZZNS0_21clamp_min_kernel_cudaERNS_18TensorIteratorBaseERKN3c106ScalarEENKUlvE_clEvENKUlvE3_clEvEUlsE_St5arrayIPcLm2EEEEviT0_T1_,"axG",@progbits,_ZN2at6native29vectorized_elementwise_kernelILi2EZZZNS0_21clamp_min_kernel_cudaERNS_18TensorIteratorBaseERKN3c106ScalarEENKUlvE_clEvENKUlvE3_clEvEUlsE_St5arrayIPcLm2EEEEviT0_T1_,comdat
.Lfunc_end381:
	.size	_ZN2at6native29vectorized_elementwise_kernelILi2EZZZNS0_21clamp_min_kernel_cudaERNS_18TensorIteratorBaseERKN3c106ScalarEENKUlvE_clEvENKUlvE3_clEvEUlsE_St5arrayIPcLm2EEEEviT0_T1_, .Lfunc_end381-_ZN2at6native29vectorized_elementwise_kernelILi2EZZZNS0_21clamp_min_kernel_cudaERNS_18TensorIteratorBaseERKN3c106ScalarEENKUlvE_clEvENKUlvE3_clEvEUlsE_St5arrayIPcLm2EEEEviT0_T1_
                                        ; -- End function
	.section	.AMDGPU.csdata,"",@progbits
; Kernel info:
; codeLenInByte = 1940
; NumSgprs: 18
; NumVgprs: 15
; ScratchSize: 0
; MemoryBound: 0
; FloatMode: 240
; IeeeMode: 1
; LDSByteSize: 0 bytes/workgroup (compile time only)
; SGPRBlocks: 2
; VGPRBlocks: 1
; NumSGPRsForWavesPerEU: 18
; NumVGPRsForWavesPerEU: 15
; Occupancy: 16
; WaveLimiterHint : 1
; COMPUTE_PGM_RSRC2:SCRATCH_EN: 0
; COMPUTE_PGM_RSRC2:USER_SGPR: 15
; COMPUTE_PGM_RSRC2:TRAP_HANDLER: 0
; COMPUTE_PGM_RSRC2:TGID_X_EN: 1
; COMPUTE_PGM_RSRC2:TGID_Y_EN: 0
; COMPUTE_PGM_RSRC2:TGID_Z_EN: 0
; COMPUTE_PGM_RSRC2:TIDIG_COMP_CNT: 0
	.section	.text._ZN2at6native27unrolled_elementwise_kernelIZZZNS0_21clamp_min_kernel_cudaERNS_18TensorIteratorBaseERKN3c106ScalarEENKUlvE_clEvENKUlvE3_clEvEUlsE_St5arrayIPcLm2EELi4E23TrivialOffsetCalculatorILi1EjESF_NS0_6memory15LoadWithoutCastENSG_16StoreWithoutCastEEEviT_T0_T2_T3_T4_T5_,"axG",@progbits,_ZN2at6native27unrolled_elementwise_kernelIZZZNS0_21clamp_min_kernel_cudaERNS_18TensorIteratorBaseERKN3c106ScalarEENKUlvE_clEvENKUlvE3_clEvEUlsE_St5arrayIPcLm2EELi4E23TrivialOffsetCalculatorILi1EjESF_NS0_6memory15LoadWithoutCastENSG_16StoreWithoutCastEEEviT_T0_T2_T3_T4_T5_,comdat
	.globl	_ZN2at6native27unrolled_elementwise_kernelIZZZNS0_21clamp_min_kernel_cudaERNS_18TensorIteratorBaseERKN3c106ScalarEENKUlvE_clEvENKUlvE3_clEvEUlsE_St5arrayIPcLm2EELi4E23TrivialOffsetCalculatorILi1EjESF_NS0_6memory15LoadWithoutCastENSG_16StoreWithoutCastEEEviT_T0_T2_T3_T4_T5_ ; -- Begin function _ZN2at6native27unrolled_elementwise_kernelIZZZNS0_21clamp_min_kernel_cudaERNS_18TensorIteratorBaseERKN3c106ScalarEENKUlvE_clEvENKUlvE3_clEvEUlsE_St5arrayIPcLm2EELi4E23TrivialOffsetCalculatorILi1EjESF_NS0_6memory15LoadWithoutCastENSG_16StoreWithoutCastEEEviT_T0_T2_T3_T4_T5_
	.p2align	8
	.type	_ZN2at6native27unrolled_elementwise_kernelIZZZNS0_21clamp_min_kernel_cudaERNS_18TensorIteratorBaseERKN3c106ScalarEENKUlvE_clEvENKUlvE3_clEvEUlsE_St5arrayIPcLm2EELi4E23TrivialOffsetCalculatorILi1EjESF_NS0_6memory15LoadWithoutCastENSG_16StoreWithoutCastEEEviT_T0_T2_T3_T4_T5_,@function
_ZN2at6native27unrolled_elementwise_kernelIZZZNS0_21clamp_min_kernel_cudaERNS_18TensorIteratorBaseERKN3c106ScalarEENKUlvE_clEvENKUlvE3_clEvEUlsE_St5arrayIPcLm2EELi4E23TrivialOffsetCalculatorILi1EjESF_NS0_6memory15LoadWithoutCastENSG_16StoreWithoutCastEEEviT_T0_T2_T3_T4_T5_: ; @_ZN2at6native27unrolled_elementwise_kernelIZZZNS0_21clamp_min_kernel_cudaERNS_18TensorIteratorBaseERKN3c106ScalarEENKUlvE_clEvENKUlvE3_clEvEUlsE_St5arrayIPcLm2EELi4E23TrivialOffsetCalculatorILi1EjESF_NS0_6memory15LoadWithoutCastENSG_16StoreWithoutCastEEEviT_T0_T2_T3_T4_T5_
; %bb.0:
	s_clause 0x1
	s_load_b64 s[2:3], s[0:1], 0x0
	s_load_b128 s[4:7], s[0:1], 0x8
	s_lshl_b32 s1, s15, 10
	v_dual_mov_b32 v4, 0 :: v_dual_mov_b32 v5, v0
	v_mov_b32_e32 v2, 0
	v_or_b32_e32 v1, s1, v0
	v_or_b32_e32 v3, 0x100, v0
	s_waitcnt lgkmcnt(0)
	s_sub_i32 s2, s2, s1
	s_delay_alu instid0(SALU_CYCLE_1)
	v_cmp_gt_i32_e32 vcc_lo, s2, v0
	s_and_saveexec_b32 s8, vcc_lo
	s_cbranch_execz .LBB382_2
; %bb.1:
	v_mov_b32_e32 v2, 0
	s_delay_alu instid0(VALU_DEP_1) | instskip(NEXT) | instid1(VALU_DEP_1)
	v_lshlrev_b64 v[5:6], 1, v[1:2]
	v_add_co_u32 v5, s0, s6, v5
	s_delay_alu instid0(VALU_DEP_1)
	v_add_co_ci_u32_e64 v6, s0, s7, v6, s0
	global_load_u16 v2, v[5:6], off
	v_or_b32_e32 v5, 0x100, v0
.LBB382_2:
	s_or_b32 exec_lo, exec_lo, s8
	s_delay_alu instid0(SALU_CYCLE_1) | instskip(NEXT) | instid1(VALU_DEP_1)
	s_mov_b32 s8, exec_lo
	v_cmpx_gt_i32_e64 s2, v5
	s_cbranch_execz .LBB382_4
; %bb.3:
	v_dual_mov_b32 v7, 0 :: v_dual_add_nc_u32 v6, s1, v5
	v_add_nc_u32_e32 v5, 0x100, v5
	s_delay_alu instid0(VALU_DEP_2) | instskip(NEXT) | instid1(VALU_DEP_1)
	v_lshlrev_b64 v[6:7], 1, v[6:7]
	v_add_co_u32 v6, s0, s6, v6
	s_delay_alu instid0(VALU_DEP_1)
	v_add_co_ci_u32_e64 v7, s0, s7, v7, s0
	global_load_u16 v4, v[6:7], off
.LBB382_4:
	s_or_b32 exec_lo, exec_lo, s8
	v_dual_mov_b32 v6, 0 :: v_dual_mov_b32 v7, 0
	s_mov_b32 s8, exec_lo
	v_cmpx_gt_i32_e64 s2, v5
	s_cbranch_execz .LBB382_6
; %bb.5:
	v_dual_mov_b32 v8, 0 :: v_dual_add_nc_u32 v7, s1, v5
	v_add_nc_u32_e32 v5, 0x100, v5
	s_delay_alu instid0(VALU_DEP_2) | instskip(NEXT) | instid1(VALU_DEP_1)
	v_lshlrev_b64 v[7:8], 1, v[7:8]
	v_add_co_u32 v7, s0, s6, v7
	s_delay_alu instid0(VALU_DEP_1)
	v_add_co_ci_u32_e64 v8, s0, s7, v8, s0
	global_load_u16 v7, v[7:8], off
.LBB382_6:
	s_or_b32 exec_lo, exec_lo, s8
	s_delay_alu instid0(SALU_CYCLE_1)
	s_mov_b32 s8, exec_lo
	v_cmpx_gt_i32_e64 s2, v5
	s_cbranch_execz .LBB382_8
; %bb.7:
	v_dual_mov_b32 v6, 0 :: v_dual_add_nc_u32 v5, s1, v5
	s_delay_alu instid0(VALU_DEP_1) | instskip(NEXT) | instid1(VALU_DEP_1)
	v_lshlrev_b64 v[5:6], 1, v[5:6]
	v_add_co_u32 v5, s0, s6, v5
	s_delay_alu instid0(VALU_DEP_1)
	v_add_co_ci_u32_e64 v6, s0, s7, v6, s0
	global_load_u16 v6, v[5:6], off
.LBB382_8:
	s_or_b32 exec_lo, exec_lo, s8
	s_waitcnt vmcnt(0)
	v_max_i16 v2, v2, s3
	v_max_i16 v4, v4, s3
	;; [unrolled: 1-line block ×4, first 2 shown]
	v_or_b32_e32 v7, 0x300, v0
	v_cmp_gt_i32_e64 s0, s2, v3
	v_perm_b32 v4, v4, v2, 0x5040100
	v_and_b32_e32 v8, 0xffff, v5
	v_perm_b32 v6, v6, v5, 0x5040100
	s_delay_alu instid0(VALU_DEP_3) | instskip(SKIP_1) | instid1(VALU_DEP_1)
	v_cndmask_b32_e64 v5, v2, v4, s0
	v_cmp_gt_i32_e64 s0, s2, v7
	v_cndmask_b32_e64 v4, v8, v6, s0
	s_and_saveexec_b32 s0, vcc_lo
	s_cbranch_execnz .LBB382_13
; %bb.9:
	s_or_b32 exec_lo, exec_lo, s0
	s_delay_alu instid0(SALU_CYCLE_1)
	s_mov_b32 s0, exec_lo
	v_cmpx_gt_i32_e64 s2, v0
	s_cbranch_execnz .LBB382_14
.LBB382_10:
	s_or_b32 exec_lo, exec_lo, s0
	s_delay_alu instid0(SALU_CYCLE_1)
	s_mov_b32 s0, exec_lo
	v_cmpx_gt_i32_e64 s2, v0
	s_cbranch_execnz .LBB382_15
.LBB382_11:
	s_or_b32 exec_lo, exec_lo, s0
	s_delay_alu instid0(SALU_CYCLE_1)
	s_mov_b32 s0, exec_lo
	v_cmpx_gt_i32_e64 s2, v0
	s_cbranch_execnz .LBB382_16
.LBB382_12:
	s_nop 0
	s_sendmsg sendmsg(MSG_DEALLOC_VGPRS)
	s_endpgm
.LBB382_13:
	v_mov_b32_e32 v2, 0
	s_delay_alu instid0(VALU_DEP_1) | instskip(NEXT) | instid1(VALU_DEP_1)
	v_lshlrev_b64 v[0:1], 1, v[1:2]
	v_add_co_u32 v6, vcc_lo, s4, v0
	s_delay_alu instid0(VALU_DEP_2) | instskip(SKIP_3) | instid1(SALU_CYCLE_1)
	v_add_co_ci_u32_e32 v7, vcc_lo, s5, v1, vcc_lo
	v_mov_b32_e32 v0, v3
	global_store_b16 v[6:7], v5, off
	s_or_b32 exec_lo, exec_lo, s0
	s_mov_b32 s0, exec_lo
	v_cmpx_gt_i32_e64 s2, v0
	s_cbranch_execz .LBB382_10
.LBB382_14:
	v_dual_mov_b32 v2, 0 :: v_dual_add_nc_u32 v1, s1, v0
	v_add_nc_u32_e32 v0, 0x100, v0
	s_delay_alu instid0(VALU_DEP_2) | instskip(NEXT) | instid1(VALU_DEP_1)
	v_lshlrev_b64 v[1:2], 1, v[1:2]
	v_add_co_u32 v1, vcc_lo, s4, v1
	s_delay_alu instid0(VALU_DEP_2) | instskip(SKIP_2) | instid1(SALU_CYCLE_1)
	v_add_co_ci_u32_e32 v2, vcc_lo, s5, v2, vcc_lo
	global_store_d16_hi_b16 v[1:2], v5, off
	s_or_b32 exec_lo, exec_lo, s0
	s_mov_b32 s0, exec_lo
	v_cmpx_gt_i32_e64 s2, v0
	s_cbranch_execz .LBB382_11
.LBB382_15:
	v_dual_mov_b32 v2, 0 :: v_dual_add_nc_u32 v1, s1, v0
	v_add_nc_u32_e32 v0, 0x100, v0
	s_delay_alu instid0(VALU_DEP_2) | instskip(NEXT) | instid1(VALU_DEP_1)
	v_lshlrev_b64 v[1:2], 1, v[1:2]
	v_add_co_u32 v1, vcc_lo, s4, v1
	s_delay_alu instid0(VALU_DEP_2) | instskip(SKIP_2) | instid1(SALU_CYCLE_1)
	v_add_co_ci_u32_e32 v2, vcc_lo, s5, v2, vcc_lo
	global_store_b16 v[1:2], v4, off
	s_or_b32 exec_lo, exec_lo, s0
	s_mov_b32 s0, exec_lo
	v_cmpx_gt_i32_e64 s2, v0
	s_cbranch_execz .LBB382_12
.LBB382_16:
	v_dual_mov_b32 v1, 0 :: v_dual_add_nc_u32 v0, s1, v0
	s_delay_alu instid0(VALU_DEP_1) | instskip(NEXT) | instid1(VALU_DEP_1)
	v_lshlrev_b64 v[0:1], 1, v[0:1]
	v_add_co_u32 v0, vcc_lo, s4, v0
	s_delay_alu instid0(VALU_DEP_2)
	v_add_co_ci_u32_e32 v1, vcc_lo, s5, v1, vcc_lo
	global_store_d16_hi_b16 v[0:1], v4, off
	s_nop 0
	s_sendmsg sendmsg(MSG_DEALLOC_VGPRS)
	s_endpgm
	.section	.rodata,"a",@progbits
	.p2align	6, 0x0
	.amdhsa_kernel _ZN2at6native27unrolled_elementwise_kernelIZZZNS0_21clamp_min_kernel_cudaERNS_18TensorIteratorBaseERKN3c106ScalarEENKUlvE_clEvENKUlvE3_clEvEUlsE_St5arrayIPcLm2EELi4E23TrivialOffsetCalculatorILi1EjESF_NS0_6memory15LoadWithoutCastENSG_16StoreWithoutCastEEEviT_T0_T2_T3_T4_T5_
		.amdhsa_group_segment_fixed_size 0
		.amdhsa_private_segment_fixed_size 0
		.amdhsa_kernarg_size 28
		.amdhsa_user_sgpr_count 15
		.amdhsa_user_sgpr_dispatch_ptr 0
		.amdhsa_user_sgpr_queue_ptr 0
		.amdhsa_user_sgpr_kernarg_segment_ptr 1
		.amdhsa_user_sgpr_dispatch_id 0
		.amdhsa_user_sgpr_private_segment_size 0
		.amdhsa_wavefront_size32 1
		.amdhsa_uses_dynamic_stack 0
		.amdhsa_enable_private_segment 0
		.amdhsa_system_sgpr_workgroup_id_x 1
		.amdhsa_system_sgpr_workgroup_id_y 0
		.amdhsa_system_sgpr_workgroup_id_z 0
		.amdhsa_system_sgpr_workgroup_info 0
		.amdhsa_system_vgpr_workitem_id 0
		.amdhsa_next_free_vgpr 9
		.amdhsa_next_free_sgpr 16
		.amdhsa_reserve_vcc 1
		.amdhsa_float_round_mode_32 0
		.amdhsa_float_round_mode_16_64 0
		.amdhsa_float_denorm_mode_32 3
		.amdhsa_float_denorm_mode_16_64 3
		.amdhsa_dx10_clamp 1
		.amdhsa_ieee_mode 1
		.amdhsa_fp16_overflow 0
		.amdhsa_workgroup_processor_mode 1
		.amdhsa_memory_ordered 1
		.amdhsa_forward_progress 0
		.amdhsa_shared_vgpr_count 0
		.amdhsa_exception_fp_ieee_invalid_op 0
		.amdhsa_exception_fp_denorm_src 0
		.amdhsa_exception_fp_ieee_div_zero 0
		.amdhsa_exception_fp_ieee_overflow 0
		.amdhsa_exception_fp_ieee_underflow 0
		.amdhsa_exception_fp_ieee_inexact 0
		.amdhsa_exception_int_div_zero 0
	.end_amdhsa_kernel
	.section	.text._ZN2at6native27unrolled_elementwise_kernelIZZZNS0_21clamp_min_kernel_cudaERNS_18TensorIteratorBaseERKN3c106ScalarEENKUlvE_clEvENKUlvE3_clEvEUlsE_St5arrayIPcLm2EELi4E23TrivialOffsetCalculatorILi1EjESF_NS0_6memory15LoadWithoutCastENSG_16StoreWithoutCastEEEviT_T0_T2_T3_T4_T5_,"axG",@progbits,_ZN2at6native27unrolled_elementwise_kernelIZZZNS0_21clamp_min_kernel_cudaERNS_18TensorIteratorBaseERKN3c106ScalarEENKUlvE_clEvENKUlvE3_clEvEUlsE_St5arrayIPcLm2EELi4E23TrivialOffsetCalculatorILi1EjESF_NS0_6memory15LoadWithoutCastENSG_16StoreWithoutCastEEEviT_T0_T2_T3_T4_T5_,comdat
.Lfunc_end382:
	.size	_ZN2at6native27unrolled_elementwise_kernelIZZZNS0_21clamp_min_kernel_cudaERNS_18TensorIteratorBaseERKN3c106ScalarEENKUlvE_clEvENKUlvE3_clEvEUlsE_St5arrayIPcLm2EELi4E23TrivialOffsetCalculatorILi1EjESF_NS0_6memory15LoadWithoutCastENSG_16StoreWithoutCastEEEviT_T0_T2_T3_T4_T5_, .Lfunc_end382-_ZN2at6native27unrolled_elementwise_kernelIZZZNS0_21clamp_min_kernel_cudaERNS_18TensorIteratorBaseERKN3c106ScalarEENKUlvE_clEvENKUlvE3_clEvEUlsE_St5arrayIPcLm2EELi4E23TrivialOffsetCalculatorILi1EjESF_NS0_6memory15LoadWithoutCastENSG_16StoreWithoutCastEEEviT_T0_T2_T3_T4_T5_
                                        ; -- End function
	.section	.AMDGPU.csdata,"",@progbits
; Kernel info:
; codeLenInByte = 832
; NumSgprs: 18
; NumVgprs: 9
; ScratchSize: 0
; MemoryBound: 0
; FloatMode: 240
; IeeeMode: 1
; LDSByteSize: 0 bytes/workgroup (compile time only)
; SGPRBlocks: 2
; VGPRBlocks: 1
; NumSGPRsForWavesPerEU: 18
; NumVGPRsForWavesPerEU: 9
; Occupancy: 16
; WaveLimiterHint : 0
; COMPUTE_PGM_RSRC2:SCRATCH_EN: 0
; COMPUTE_PGM_RSRC2:USER_SGPR: 15
; COMPUTE_PGM_RSRC2:TRAP_HANDLER: 0
; COMPUTE_PGM_RSRC2:TGID_X_EN: 1
; COMPUTE_PGM_RSRC2:TGID_Y_EN: 0
; COMPUTE_PGM_RSRC2:TGID_Z_EN: 0
; COMPUTE_PGM_RSRC2:TIDIG_COMP_CNT: 0
	.section	.text._ZN2at6native32elementwise_kernel_manual_unrollILi128ELi8EZNS0_22gpu_kernel_impl_nocastIZZZNS0_21clamp_min_kernel_cudaERNS_18TensorIteratorBaseERKN3c106ScalarEENKUlvE_clEvENKUlvE3_clEvEUlsE_EEvS4_RKT_EUlibE_EEviT1_,"axG",@progbits,_ZN2at6native32elementwise_kernel_manual_unrollILi128ELi8EZNS0_22gpu_kernel_impl_nocastIZZZNS0_21clamp_min_kernel_cudaERNS_18TensorIteratorBaseERKN3c106ScalarEENKUlvE_clEvENKUlvE3_clEvEUlsE_EEvS4_RKT_EUlibE_EEviT1_,comdat
	.globl	_ZN2at6native32elementwise_kernel_manual_unrollILi128ELi8EZNS0_22gpu_kernel_impl_nocastIZZZNS0_21clamp_min_kernel_cudaERNS_18TensorIteratorBaseERKN3c106ScalarEENKUlvE_clEvENKUlvE3_clEvEUlsE_EEvS4_RKT_EUlibE_EEviT1_ ; -- Begin function _ZN2at6native32elementwise_kernel_manual_unrollILi128ELi8EZNS0_22gpu_kernel_impl_nocastIZZZNS0_21clamp_min_kernel_cudaERNS_18TensorIteratorBaseERKN3c106ScalarEENKUlvE_clEvENKUlvE3_clEvEUlsE_EEvS4_RKT_EUlibE_EEviT1_
	.p2align	8
	.type	_ZN2at6native32elementwise_kernel_manual_unrollILi128ELi8EZNS0_22gpu_kernel_impl_nocastIZZZNS0_21clamp_min_kernel_cudaERNS_18TensorIteratorBaseERKN3c106ScalarEENKUlvE_clEvENKUlvE3_clEvEUlsE_EEvS4_RKT_EUlibE_EEviT1_,@function
_ZN2at6native32elementwise_kernel_manual_unrollILi128ELi8EZNS0_22gpu_kernel_impl_nocastIZZZNS0_21clamp_min_kernel_cudaERNS_18TensorIteratorBaseERKN3c106ScalarEENKUlvE_clEvENKUlvE3_clEvEUlsE_EEvS4_RKT_EUlibE_EEviT1_: ; @_ZN2at6native32elementwise_kernel_manual_unrollILi128ELi8EZNS0_22gpu_kernel_impl_nocastIZZZNS0_21clamp_min_kernel_cudaERNS_18TensorIteratorBaseERKN3c106ScalarEENKUlvE_clEvENKUlvE3_clEvEUlsE_EEvS4_RKT_EUlibE_EEviT1_
; %bb.0:
	s_clause 0x1
	s_load_b32 s22, s[0:1], 0x8
	s_load_b32 s28, s[0:1], 0x0
	v_lshl_or_b32 v12, s15, 10, v0
	s_or_b32 s0, s0, 8
	s_mov_b32 s2, exec_lo
	s_delay_alu instid0(VALU_DEP_1) | instskip(SKIP_2) | instid1(SALU_CYCLE_1)
	v_or_b32_e32 v16, 0x380, v12
	s_waitcnt lgkmcnt(0)
	s_add_i32 s23, s22, -1
	s_cmp_gt_u32 s23, 1
	s_cselect_b32 s24, -1, 0
	v_cmpx_le_i32_e64 s28, v16
	s_xor_b32 s25, exec_lo, s2
	s_cbranch_execz .LBB383_7
; %bb.1:
	s_clause 0x4
	s_load_b128 s[12:15], s[0:1], 0x4
	s_load_b64 s[2:3], s[0:1], 0x14
	s_load_b128 s[8:11], s[0:1], 0xc4
	s_load_b128 s[4:7], s[0:1], 0x148
	s_load_b32 s26, s[0:1], 0x158
	s_cmp_lg_u32 s22, 0
	s_mov_b32 s31, exec_lo
	s_cselect_b32 s30, -1, 0
	s_add_u32 s16, s0, 0xc4
	s_addc_u32 s17, s1, 0
	s_min_u32 s29, s23, 15
	s_cmp_gt_u32 s22, 1
	s_cselect_b32 s27, -1, 0
	v_cmpx_gt_i32_e64 s28, v12
	s_cbranch_execz .LBB383_14
; %bb.2:
	s_and_not1_b32 vcc_lo, exec_lo, s24
	s_cbranch_vccnz .LBB383_21
; %bb.3:
	v_dual_mov_b32 v0, 0 :: v_dual_mov_b32 v1, 0
	s_and_not1_b32 vcc_lo, exec_lo, s30
	s_mov_b32 s33, 0
	s_cbranch_vccnz .LBB383_125
; %bb.4:
	v_mov_b32_e32 v0, 0
	s_add_i32 s35, s29, 1
	s_cmp_eq_u32 s23, 2
	s_mov_b32 s34, 0
	s_cbranch_scc1 .LBB383_121
; %bb.5:
	v_dual_mov_b32 v1, 0 :: v_dual_mov_b32 v0, 0
	v_mov_b32_e32 v2, v12
	s_and_b32 s34, s35, 28
	s_mov_b32 s36, 0
	s_mov_b64 s[18:19], s[16:17]
	s_mov_b64 s[20:21], s[0:1]
.LBB383_6:                              ; =>This Inner Loop Header: Depth=1
	s_clause 0x1
	s_load_b256 s[40:47], s[20:21], 0x4
	s_load_b128 s[56:59], s[20:21], 0x24
	s_load_b256 s[48:55], s[18:19], 0x0
	s_add_u32 s20, s20, 48
	s_addc_u32 s21, s21, 0
	s_add_i32 s36, s36, 4
	s_add_u32 s18, s18, 32
	s_addc_u32 s19, s19, 0
	s_cmp_lg_u32 s34, s36
	s_waitcnt lgkmcnt(0)
	v_mul_hi_u32 v3, s41, v2
	s_delay_alu instid0(VALU_DEP_1) | instskip(NEXT) | instid1(VALU_DEP_1)
	v_add_nc_u32_e32 v3, v2, v3
	v_lshrrev_b32_e32 v3, s42, v3
	s_delay_alu instid0(VALU_DEP_1) | instskip(SKIP_1) | instid1(VALU_DEP_2)
	v_mul_hi_u32 v4, s44, v3
	v_mul_lo_u32 v6, v3, s40
	v_add_nc_u32_e32 v4, v3, v4
	s_delay_alu instid0(VALU_DEP_2) | instskip(NEXT) | instid1(VALU_DEP_2)
	v_sub_nc_u32_e32 v2, v2, v6
	v_lshrrev_b32_e32 v4, s45, v4
	s_delay_alu instid0(VALU_DEP_2) | instskip(SKIP_1) | instid1(VALU_DEP_3)
	v_mul_lo_u32 v6, v2, s48
	v_mul_lo_u32 v8, v2, s49
	v_mul_hi_u32 v5, s47, v4
	s_delay_alu instid0(VALU_DEP_1) | instskip(NEXT) | instid1(VALU_DEP_1)
	v_add_nc_u32_e32 v5, v4, v5
	v_lshrrev_b32_e32 v5, s56, v5
	s_delay_alu instid0(VALU_DEP_1) | instskip(SKIP_1) | instid1(VALU_DEP_2)
	v_mul_hi_u32 v7, s58, v5
	v_mul_lo_u32 v9, v5, s46
	v_add_nc_u32_e32 v2, v5, v7
	v_mul_lo_u32 v7, v4, s43
	s_delay_alu instid0(VALU_DEP_3) | instskip(NEXT) | instid1(VALU_DEP_3)
	v_sub_nc_u32_e32 v4, v4, v9
	v_lshrrev_b32_e32 v2, s59, v2
	s_delay_alu instid0(VALU_DEP_2) | instskip(SKIP_2) | instid1(VALU_DEP_4)
	v_mul_lo_u32 v9, v4, s52
	v_mul_lo_u32 v4, v4, s53
	v_sub_nc_u32_e32 v3, v3, v7
	v_mul_lo_u32 v10, v2, s57
	s_delay_alu instid0(VALU_DEP_2) | instskip(SKIP_1) | instid1(VALU_DEP_3)
	v_mul_lo_u32 v7, v3, s50
	v_mul_lo_u32 v3, v3, s51
	v_sub_nc_u32_e32 v5, v5, v10
	s_delay_alu instid0(VALU_DEP_3) | instskip(NEXT) | instid1(VALU_DEP_2)
	v_add3_u32 v0, v6, v0, v7
	v_mul_lo_u32 v10, v5, s54
	v_mul_lo_u32 v5, v5, s55
	v_add3_u32 v1, v8, v1, v3
	s_delay_alu instid0(VALU_DEP_3) | instskip(NEXT) | instid1(VALU_DEP_2)
	v_add3_u32 v0, v9, v0, v10
	v_add3_u32 v1, v4, v1, v5
	s_cbranch_scc1 .LBB383_6
	s_branch .LBB383_122
.LBB383_7:
	s_and_not1_saveexec_b32 s2, s25
	s_cbranch_execz .LBB383_206
.LBB383_8:
	v_cndmask_b32_e64 v14, 0, 1, s24
	s_and_not1_b32 vcc_lo, exec_lo, s24
	s_cbranch_vccnz .LBB383_20
; %bb.9:
	v_dual_mov_b32 v0, 0 :: v_dual_mov_b32 v1, 0
	s_cmp_lg_u32 s22, 0
	s_mov_b32 s6, 0
	s_cbranch_scc0 .LBB383_26
; %bb.10:
	s_min_u32 s7, s23, 15
	v_mov_b32_e32 v0, 0
	s_add_i32 s7, s7, 1
	s_cmp_eq_u32 s23, 2
	s_mov_b32 s8, 0
	s_cbranch_scc1 .LBB383_23
; %bb.11:
	v_dual_mov_b32 v1, 0 :: v_dual_mov_b32 v0, 0
	v_mov_b32_e32 v2, v12
	s_add_u32 s2, s0, 0xc4
	s_addc_u32 s3, s1, 0
	s_and_b32 s8, s7, 28
	s_mov_b32 s9, 0
	s_mov_b64 s[4:5], s[0:1]
.LBB383_12:                             ; =>This Inner Loop Header: Depth=1
	s_clause 0x1
	s_load_b256 s[12:19], s[4:5], 0x4
	s_load_b128 s[36:39], s[4:5], 0x24
	s_load_b256 s[24:31], s[2:3], 0x0
	s_add_u32 s4, s4, 48
	s_addc_u32 s5, s5, 0
	s_add_i32 s9, s9, 4
	s_add_u32 s2, s2, 32
	s_addc_u32 s3, s3, 0
	s_cmp_lg_u32 s8, s9
	s_waitcnt lgkmcnt(0)
	v_mul_hi_u32 v3, s13, v2
	s_delay_alu instid0(VALU_DEP_1) | instskip(NEXT) | instid1(VALU_DEP_1)
	v_add_nc_u32_e32 v3, v2, v3
	v_lshrrev_b32_e32 v3, s14, v3
	s_delay_alu instid0(VALU_DEP_1) | instskip(SKIP_1) | instid1(VALU_DEP_2)
	v_mul_hi_u32 v4, s16, v3
	v_mul_lo_u32 v6, v3, s12
	v_add_nc_u32_e32 v4, v3, v4
	s_delay_alu instid0(VALU_DEP_2) | instskip(NEXT) | instid1(VALU_DEP_2)
	v_sub_nc_u32_e32 v2, v2, v6
	v_lshrrev_b32_e32 v4, s17, v4
	s_delay_alu instid0(VALU_DEP_2) | instskip(SKIP_1) | instid1(VALU_DEP_3)
	v_mul_lo_u32 v6, v2, s24
	v_mul_lo_u32 v8, v2, s25
	v_mul_hi_u32 v5, s19, v4
	s_delay_alu instid0(VALU_DEP_1) | instskip(NEXT) | instid1(VALU_DEP_1)
	v_add_nc_u32_e32 v5, v4, v5
	v_lshrrev_b32_e32 v5, s36, v5
	s_delay_alu instid0(VALU_DEP_1) | instskip(SKIP_1) | instid1(VALU_DEP_2)
	v_mul_hi_u32 v7, s38, v5
	v_mul_lo_u32 v9, v5, s18
	v_add_nc_u32_e32 v2, v5, v7
	v_mul_lo_u32 v7, v4, s15
	s_delay_alu instid0(VALU_DEP_3) | instskip(NEXT) | instid1(VALU_DEP_3)
	v_sub_nc_u32_e32 v4, v4, v9
	v_lshrrev_b32_e32 v2, s39, v2
	s_delay_alu instid0(VALU_DEP_2) | instskip(SKIP_2) | instid1(VALU_DEP_4)
	v_mul_lo_u32 v9, v4, s28
	v_mul_lo_u32 v4, v4, s29
	v_sub_nc_u32_e32 v3, v3, v7
	v_mul_lo_u32 v10, v2, s37
	s_delay_alu instid0(VALU_DEP_2) | instskip(SKIP_1) | instid1(VALU_DEP_3)
	v_mul_lo_u32 v7, v3, s26
	v_mul_lo_u32 v3, v3, s27
	v_sub_nc_u32_e32 v5, v5, v10
	s_delay_alu instid0(VALU_DEP_3) | instskip(NEXT) | instid1(VALU_DEP_2)
	v_add3_u32 v0, v6, v0, v7
	v_mul_lo_u32 v10, v5, s30
	v_mul_lo_u32 v5, v5, s31
	v_add3_u32 v1, v8, v1, v3
	s_delay_alu instid0(VALU_DEP_3) | instskip(NEXT) | instid1(VALU_DEP_2)
	v_add3_u32 v0, v9, v0, v10
	v_add3_u32 v1, v4, v1, v5
	s_cbranch_scc1 .LBB383_12
; %bb.13:
	s_and_b32 s7, s7, 3
	s_delay_alu instid0(SALU_CYCLE_1)
	s_cmp_eq_u32 s7, 0
	s_cbranch_scc0 .LBB383_24
	s_branch .LBB383_26
.LBB383_14:
	s_or_b32 exec_lo, exec_lo, s31
	s_delay_alu instid0(SALU_CYCLE_1)
	s_mov_b32 s31, exec_lo
	v_cmpx_gt_i32_e64 s28, v12
	s_cbranch_execz .LBB383_129
.LBB383_15:
	s_and_not1_b32 vcc_lo, exec_lo, s24
	s_cbranch_vccnz .LBB383_22
; %bb.16:
	v_dual_mov_b32 v0, 0 :: v_dual_mov_b32 v1, 0
	s_and_not1_b32 vcc_lo, exec_lo, s30
	s_mov_b32 s33, 0
	s_cbranch_vccnz .LBB383_140
; %bb.17:
	v_mov_b32_e32 v0, 0
	s_add_i32 s35, s29, 1
	s_cmp_eq_u32 s23, 2
	s_mov_b32 s34, 0
	s_cbranch_scc1 .LBB383_136
; %bb.18:
	v_dual_mov_b32 v1, 0 :: v_dual_mov_b32 v0, 0
	v_mov_b32_e32 v2, v12
	s_and_b32 s34, s35, 28
	s_mov_b32 s36, 0
	s_mov_b64 s[18:19], s[16:17]
	s_mov_b64 s[20:21], s[0:1]
.LBB383_19:                             ; =>This Inner Loop Header: Depth=1
	s_clause 0x1
	s_load_b256 s[40:47], s[20:21], 0x4
	s_load_b128 s[56:59], s[20:21], 0x24
	s_load_b256 s[48:55], s[18:19], 0x0
	s_add_u32 s20, s20, 48
	s_addc_u32 s21, s21, 0
	s_add_i32 s36, s36, 4
	s_add_u32 s18, s18, 32
	s_addc_u32 s19, s19, 0
	s_cmp_eq_u32 s34, s36
	s_waitcnt lgkmcnt(0)
	v_mul_hi_u32 v3, s41, v2
	s_delay_alu instid0(VALU_DEP_1) | instskip(NEXT) | instid1(VALU_DEP_1)
	v_add_nc_u32_e32 v3, v2, v3
	v_lshrrev_b32_e32 v3, s42, v3
	s_delay_alu instid0(VALU_DEP_1) | instskip(SKIP_1) | instid1(VALU_DEP_2)
	v_mul_hi_u32 v4, s44, v3
	v_mul_lo_u32 v6, v3, s40
	v_add_nc_u32_e32 v4, v3, v4
	s_delay_alu instid0(VALU_DEP_2) | instskip(NEXT) | instid1(VALU_DEP_2)
	v_sub_nc_u32_e32 v2, v2, v6
	v_lshrrev_b32_e32 v4, s45, v4
	s_delay_alu instid0(VALU_DEP_2) | instskip(SKIP_1) | instid1(VALU_DEP_3)
	v_mul_lo_u32 v6, v2, s48
	v_mul_lo_u32 v8, v2, s49
	v_mul_hi_u32 v5, s47, v4
	s_delay_alu instid0(VALU_DEP_1) | instskip(NEXT) | instid1(VALU_DEP_1)
	v_add_nc_u32_e32 v5, v4, v5
	v_lshrrev_b32_e32 v5, s56, v5
	s_delay_alu instid0(VALU_DEP_1) | instskip(SKIP_1) | instid1(VALU_DEP_2)
	v_mul_hi_u32 v7, s58, v5
	v_mul_lo_u32 v9, v5, s46
	v_add_nc_u32_e32 v2, v5, v7
	v_mul_lo_u32 v7, v4, s43
	s_delay_alu instid0(VALU_DEP_3) | instskip(NEXT) | instid1(VALU_DEP_3)
	v_sub_nc_u32_e32 v4, v4, v9
	v_lshrrev_b32_e32 v2, s59, v2
	s_delay_alu instid0(VALU_DEP_2) | instskip(SKIP_2) | instid1(VALU_DEP_4)
	v_mul_lo_u32 v9, v4, s52
	v_mul_lo_u32 v4, v4, s53
	v_sub_nc_u32_e32 v3, v3, v7
	v_mul_lo_u32 v10, v2, s57
	s_delay_alu instid0(VALU_DEP_2) | instskip(SKIP_1) | instid1(VALU_DEP_3)
	v_mul_lo_u32 v7, v3, s50
	v_mul_lo_u32 v3, v3, s51
	v_sub_nc_u32_e32 v5, v5, v10
	s_delay_alu instid0(VALU_DEP_3) | instskip(NEXT) | instid1(VALU_DEP_2)
	v_add3_u32 v0, v6, v0, v7
	v_mul_lo_u32 v10, v5, s54
	v_mul_lo_u32 v5, v5, s55
	v_add3_u32 v1, v8, v1, v3
	s_delay_alu instid0(VALU_DEP_3) | instskip(NEXT) | instid1(VALU_DEP_2)
	v_add3_u32 v0, v9, v0, v10
	v_add3_u32 v1, v4, v1, v5
	s_cbranch_scc0 .LBB383_19
	s_branch .LBB383_137
.LBB383_20:
	s_mov_b32 s6, -1
                                        ; implicit-def: $vgpr0
                                        ; implicit-def: $vgpr1
	s_branch .LBB383_26
.LBB383_21:
	s_mov_b32 s33, -1
                                        ; implicit-def: $vgpr0
                                        ; implicit-def: $vgpr1
	s_branch .LBB383_125
.LBB383_22:
	s_mov_b32 s33, -1
                                        ; implicit-def: $vgpr0
                                        ; implicit-def: $vgpr1
	s_branch .LBB383_140
.LBB383_23:
	v_dual_mov_b32 v2, v12 :: v_dual_mov_b32 v1, 0
	s_and_b32 s7, s7, 3
	s_delay_alu instid0(SALU_CYCLE_1)
	s_cmp_eq_u32 s7, 0
	s_cbranch_scc1 .LBB383_26
.LBB383_24:
	s_lshl_b32 s2, s8, 3
	s_mul_i32 s4, s8, 12
	s_add_u32 s2, s2, s0
	s_addc_u32 s3, 0, s1
	s_add_u32 s2, s2, 0xc4
	s_addc_u32 s3, s3, 0
	;; [unrolled: 2-line block ×3, first 2 shown]
	.p2align	6
.LBB383_25:                             ; =>This Inner Loop Header: Depth=1
	s_clause 0x1
	s_load_b64 s[8:9], s[4:5], 0x4
	s_load_b32 s12, s[4:5], 0xc
	s_load_b64 s[10:11], s[2:3], 0x0
	s_add_u32 s4, s4, 12
	s_addc_u32 s5, s5, 0
	s_add_u32 s2, s2, 8
	s_addc_u32 s3, s3, 0
	s_add_i32 s7, s7, -1
	s_delay_alu instid0(SALU_CYCLE_1) | instskip(SKIP_2) | instid1(VALU_DEP_1)
	s_cmp_lg_u32 s7, 0
	s_waitcnt lgkmcnt(0)
	v_mul_hi_u32 v3, s9, v2
	v_add_nc_u32_e32 v3, v2, v3
	s_delay_alu instid0(VALU_DEP_1) | instskip(NEXT) | instid1(VALU_DEP_1)
	v_lshrrev_b32_e32 v6, s12, v3
	v_mul_lo_u32 v3, v6, s8
	s_delay_alu instid0(VALU_DEP_1) | instskip(NEXT) | instid1(VALU_DEP_1)
	v_sub_nc_u32_e32 v2, v2, v3
	v_mad_u64_u32 v[3:4], null, v2, s10, v[0:1]
	v_mad_u64_u32 v[4:5], null, v2, s11, v[1:2]
	v_mov_b32_e32 v2, v6
	s_delay_alu instid0(VALU_DEP_2)
	v_dual_mov_b32 v0, v3 :: v_dual_mov_b32 v1, v4
	s_cbranch_scc1 .LBB383_25
.LBB383_26:
	s_and_not1_b32 vcc_lo, exec_lo, s6
	s_cbranch_vccnz .LBB383_29
; %bb.27:
	s_clause 0x1
	s_load_b128 s[4:7], s[0:1], 0x4
	s_load_b64 s[2:3], s[0:1], 0xc4
	s_cmp_lt_u32 s22, 2
	s_waitcnt lgkmcnt(0)
	v_mul_hi_u32 v0, s5, v12
	s_delay_alu instid0(VALU_DEP_1) | instskip(NEXT) | instid1(VALU_DEP_1)
	v_add_nc_u32_e32 v0, v12, v0
	v_lshrrev_b32_e32 v2, s6, v0
	s_delay_alu instid0(VALU_DEP_1) | instskip(NEXT) | instid1(VALU_DEP_1)
	v_mul_lo_u32 v0, v2, s4
	v_sub_nc_u32_e32 v1, v12, v0
	s_delay_alu instid0(VALU_DEP_1)
	v_mul_lo_u32 v0, v1, s2
	v_mul_lo_u32 v1, v1, s3
	s_cbranch_scc1 .LBB383_29
; %bb.28:
	s_clause 0x1
	s_load_b128 s[4:7], s[0:1], 0x10
	s_load_b64 s[2:3], s[0:1], 0xcc
	s_waitcnt lgkmcnt(0)
	v_mul_hi_u32 v3, s5, v2
	s_delay_alu instid0(VALU_DEP_1) | instskip(NEXT) | instid1(VALU_DEP_1)
	v_add_nc_u32_e32 v3, v2, v3
	v_lshrrev_b32_e32 v3, s6, v3
	s_delay_alu instid0(VALU_DEP_1) | instskip(NEXT) | instid1(VALU_DEP_1)
	v_mul_lo_u32 v3, v3, s4
	v_sub_nc_u32_e32 v5, v2, v3
	s_delay_alu instid0(VALU_DEP_1) | instskip(NEXT) | instid1(VALU_DEP_1)
	v_mad_u64_u32 v[2:3], null, v5, s2, v[0:1]
	v_mad_u64_u32 v[3:4], null, v5, s3, v[1:2]
	s_delay_alu instid0(VALU_DEP_1)
	v_dual_mov_b32 v0, v2 :: v_dual_mov_b32 v1, v3
.LBB383_29:
	v_cmp_ne_u32_e32 vcc_lo, 1, v14
	v_add_nc_u32_e32 v4, 0x80, v12
	s_cbranch_vccnz .LBB383_35
; %bb.30:
	v_dual_mov_b32 v2, 0 :: v_dual_mov_b32 v3, 0
	s_cmp_lg_u32 s22, 0
	s_mov_b32 s6, 0
	s_cbranch_scc0 .LBB383_39
; %bb.31:
	s_min_u32 s7, s23, 15
	v_mov_b32_e32 v2, 0
	s_add_i32 s7, s7, 1
	s_cmp_eq_u32 s23, 2
	s_mov_b32 s8, 0
	s_cbranch_scc1 .LBB383_36
; %bb.32:
	v_dual_mov_b32 v3, 0 :: v_dual_mov_b32 v2, 0
	v_mov_b32_e32 v5, v4
	s_add_u32 s2, s0, 0xc4
	s_addc_u32 s3, s1, 0
	s_and_b32 s8, s7, 28
	s_mov_b32 s9, 0
	s_mov_b64 s[4:5], s[0:1]
.LBB383_33:                             ; =>This Inner Loop Header: Depth=1
	s_clause 0x1
	s_load_b256 s[12:19], s[4:5], 0x4
	s_load_b128 s[36:39], s[4:5], 0x24
	s_load_b256 s[24:31], s[2:3], 0x0
	s_add_u32 s4, s4, 48
	s_addc_u32 s5, s5, 0
	s_add_i32 s9, s9, 4
	s_add_u32 s2, s2, 32
	s_addc_u32 s3, s3, 0
	s_cmp_lg_u32 s8, s9
	s_waitcnt lgkmcnt(0)
	v_mul_hi_u32 v6, s13, v5
	s_delay_alu instid0(VALU_DEP_1) | instskip(NEXT) | instid1(VALU_DEP_1)
	v_add_nc_u32_e32 v6, v5, v6
	v_lshrrev_b32_e32 v6, s14, v6
	s_delay_alu instid0(VALU_DEP_1) | instskip(SKIP_1) | instid1(VALU_DEP_2)
	v_mul_hi_u32 v7, s16, v6
	v_mul_lo_u32 v9, v6, s12
	v_add_nc_u32_e32 v7, v6, v7
	s_delay_alu instid0(VALU_DEP_2) | instskip(NEXT) | instid1(VALU_DEP_2)
	v_sub_nc_u32_e32 v5, v5, v9
	v_lshrrev_b32_e32 v7, s17, v7
	s_delay_alu instid0(VALU_DEP_2) | instskip(SKIP_1) | instid1(VALU_DEP_3)
	v_mul_lo_u32 v9, v5, s24
	v_mul_lo_u32 v11, v5, s25
	v_mul_hi_u32 v8, s19, v7
	s_delay_alu instid0(VALU_DEP_1) | instskip(NEXT) | instid1(VALU_DEP_1)
	v_add_nc_u32_e32 v8, v7, v8
	v_lshrrev_b32_e32 v8, s36, v8
	s_delay_alu instid0(VALU_DEP_1) | instskip(SKIP_1) | instid1(VALU_DEP_2)
	v_mul_hi_u32 v10, s38, v8
	v_mul_lo_u32 v13, v8, s18
	v_add_nc_u32_e32 v5, v8, v10
	v_mul_lo_u32 v10, v7, s15
	s_delay_alu instid0(VALU_DEP_3) | instskip(NEXT) | instid1(VALU_DEP_3)
	v_sub_nc_u32_e32 v7, v7, v13
	v_lshrrev_b32_e32 v5, s39, v5
	s_delay_alu instid0(VALU_DEP_2) | instskip(SKIP_2) | instid1(VALU_DEP_4)
	v_mul_lo_u32 v13, v7, s28
	v_mul_lo_u32 v7, v7, s29
	v_sub_nc_u32_e32 v6, v6, v10
	v_mul_lo_u32 v15, v5, s37
	s_delay_alu instid0(VALU_DEP_2) | instskip(SKIP_1) | instid1(VALU_DEP_3)
	v_mul_lo_u32 v10, v6, s26
	v_mul_lo_u32 v6, v6, s27
	v_sub_nc_u32_e32 v8, v8, v15
	s_delay_alu instid0(VALU_DEP_3) | instskip(NEXT) | instid1(VALU_DEP_2)
	v_add3_u32 v2, v9, v2, v10
	v_mul_lo_u32 v15, v8, s30
	v_mul_lo_u32 v8, v8, s31
	v_add3_u32 v3, v11, v3, v6
	s_delay_alu instid0(VALU_DEP_3) | instskip(NEXT) | instid1(VALU_DEP_2)
	v_add3_u32 v2, v13, v2, v15
	v_add3_u32 v3, v7, v3, v8
	s_cbranch_scc1 .LBB383_33
; %bb.34:
	s_and_b32 s7, s7, 3
	s_delay_alu instid0(SALU_CYCLE_1)
	s_cmp_eq_u32 s7, 0
	s_cbranch_scc0 .LBB383_37
	s_branch .LBB383_39
.LBB383_35:
	s_mov_b32 s6, -1
                                        ; implicit-def: $vgpr2
                                        ; implicit-def: $vgpr3
	s_branch .LBB383_39
.LBB383_36:
	v_mov_b32_e32 v5, v4
	v_mov_b32_e32 v3, 0
	s_and_b32 s7, s7, 3
	s_delay_alu instid0(SALU_CYCLE_1)
	s_cmp_eq_u32 s7, 0
	s_cbranch_scc1 .LBB383_39
.LBB383_37:
	s_lshl_b32 s2, s8, 3
	s_mul_i32 s4, s8, 12
	s_add_u32 s2, s2, s0
	s_addc_u32 s3, 0, s1
	s_add_u32 s2, s2, 0xc4
	s_addc_u32 s3, s3, 0
	;; [unrolled: 2-line block ×3, first 2 shown]
	.p2align	6
.LBB383_38:                             ; =>This Inner Loop Header: Depth=1
	s_clause 0x1
	s_load_b64 s[8:9], s[4:5], 0x4
	s_load_b32 s12, s[4:5], 0xc
	s_load_b64 s[10:11], s[2:3], 0x0
	s_add_u32 s4, s4, 12
	s_addc_u32 s5, s5, 0
	s_add_u32 s2, s2, 8
	s_addc_u32 s3, s3, 0
	s_add_i32 s7, s7, -1
	s_delay_alu instid0(SALU_CYCLE_1) | instskip(SKIP_2) | instid1(VALU_DEP_1)
	s_cmp_lg_u32 s7, 0
	s_waitcnt lgkmcnt(0)
	v_mul_hi_u32 v6, s9, v5
	v_add_nc_u32_e32 v6, v5, v6
	s_delay_alu instid0(VALU_DEP_1) | instskip(NEXT) | instid1(VALU_DEP_1)
	v_lshrrev_b32_e32 v9, s12, v6
	v_mul_lo_u32 v6, v9, s8
	s_delay_alu instid0(VALU_DEP_1) | instskip(NEXT) | instid1(VALU_DEP_1)
	v_sub_nc_u32_e32 v5, v5, v6
	v_mad_u64_u32 v[6:7], null, v5, s10, v[2:3]
	v_mad_u64_u32 v[7:8], null, v5, s11, v[3:4]
	s_delay_alu instid0(VALU_DEP_2) | instskip(NEXT) | instid1(VALU_DEP_2)
	v_dual_mov_b32 v5, v9 :: v_dual_mov_b32 v2, v6
	v_mov_b32_e32 v3, v7
	s_cbranch_scc1 .LBB383_38
.LBB383_39:
	s_and_not1_b32 vcc_lo, exec_lo, s6
	s_cbranch_vccnz .LBB383_42
; %bb.40:
	s_clause 0x1
	s_load_b128 s[4:7], s[0:1], 0x4
	s_load_b64 s[2:3], s[0:1], 0xc4
	s_cmp_lt_u32 s22, 2
	s_waitcnt lgkmcnt(0)
	v_mul_hi_u32 v2, s5, v4
	s_delay_alu instid0(VALU_DEP_1) | instskip(NEXT) | instid1(VALU_DEP_1)
	v_add_nc_u32_e32 v2, v4, v2
	v_lshrrev_b32_e32 v5, s6, v2
	s_delay_alu instid0(VALU_DEP_1) | instskip(NEXT) | instid1(VALU_DEP_1)
	v_mul_lo_u32 v2, v5, s4
	v_sub_nc_u32_e32 v3, v4, v2
	s_delay_alu instid0(VALU_DEP_1)
	v_mul_lo_u32 v2, v3, s2
	v_mul_lo_u32 v3, v3, s3
	s_cbranch_scc1 .LBB383_42
; %bb.41:
	s_clause 0x1
	s_load_b128 s[4:7], s[0:1], 0x10
	s_load_b64 s[2:3], s[0:1], 0xcc
	s_waitcnt lgkmcnt(0)
	v_mul_hi_u32 v4, s5, v5
	s_delay_alu instid0(VALU_DEP_1) | instskip(NEXT) | instid1(VALU_DEP_1)
	v_add_nc_u32_e32 v4, v5, v4
	v_lshrrev_b32_e32 v4, s6, v4
	s_delay_alu instid0(VALU_DEP_1) | instskip(NEXT) | instid1(VALU_DEP_1)
	v_mul_lo_u32 v4, v4, s4
	v_sub_nc_u32_e32 v7, v5, v4
	s_delay_alu instid0(VALU_DEP_1) | instskip(NEXT) | instid1(VALU_DEP_1)
	v_mad_u64_u32 v[4:5], null, v7, s2, v[2:3]
	v_mad_u64_u32 v[5:6], null, v7, s3, v[3:4]
	s_delay_alu instid0(VALU_DEP_1)
	v_dual_mov_b32 v2, v4 :: v_dual_mov_b32 v3, v5
.LBB383_42:
	v_cmp_ne_u32_e32 vcc_lo, 1, v14
	v_add_nc_u32_e32 v6, 0x100, v12
	s_cbranch_vccnz .LBB383_48
; %bb.43:
	v_dual_mov_b32 v4, 0 :: v_dual_mov_b32 v5, 0
	s_cmp_lg_u32 s22, 0
	s_mov_b32 s6, 0
	s_cbranch_scc0 .LBB383_52
; %bb.44:
	s_min_u32 s7, s23, 15
	v_mov_b32_e32 v4, 0
	s_add_i32 s7, s7, 1
	s_cmp_eq_u32 s23, 2
	s_mov_b32 s8, 0
	s_cbranch_scc1 .LBB383_49
; %bb.45:
	v_dual_mov_b32 v5, 0 :: v_dual_mov_b32 v4, 0
	v_mov_b32_e32 v7, v6
	s_add_u32 s2, s0, 0xc4
	s_addc_u32 s3, s1, 0
	s_and_b32 s8, s7, 28
	s_mov_b32 s9, 0
	s_mov_b64 s[4:5], s[0:1]
.LBB383_46:                             ; =>This Inner Loop Header: Depth=1
	s_clause 0x1
	s_load_b256 s[12:19], s[4:5], 0x4
	s_load_b128 s[36:39], s[4:5], 0x24
	s_load_b256 s[24:31], s[2:3], 0x0
	s_add_u32 s4, s4, 48
	s_addc_u32 s5, s5, 0
	s_add_i32 s9, s9, 4
	s_add_u32 s2, s2, 32
	s_addc_u32 s3, s3, 0
	s_cmp_lg_u32 s8, s9
	s_waitcnt lgkmcnt(0)
	v_mul_hi_u32 v8, s13, v7
	s_delay_alu instid0(VALU_DEP_1) | instskip(NEXT) | instid1(VALU_DEP_1)
	v_add_nc_u32_e32 v8, v7, v8
	v_lshrrev_b32_e32 v8, s14, v8
	s_delay_alu instid0(VALU_DEP_1) | instskip(SKIP_1) | instid1(VALU_DEP_2)
	v_mul_hi_u32 v9, s16, v8
	v_mul_lo_u32 v11, v8, s12
	v_add_nc_u32_e32 v9, v8, v9
	s_delay_alu instid0(VALU_DEP_2) | instskip(NEXT) | instid1(VALU_DEP_2)
	v_sub_nc_u32_e32 v7, v7, v11
	v_lshrrev_b32_e32 v9, s17, v9
	s_delay_alu instid0(VALU_DEP_2) | instskip(SKIP_1) | instid1(VALU_DEP_3)
	v_mul_lo_u32 v11, v7, s24
	v_mul_lo_u32 v15, v7, s25
	v_mul_hi_u32 v10, s19, v9
	s_delay_alu instid0(VALU_DEP_1) | instskip(NEXT) | instid1(VALU_DEP_1)
	v_add_nc_u32_e32 v10, v9, v10
	v_lshrrev_b32_e32 v10, s36, v10
	s_delay_alu instid0(VALU_DEP_1) | instskip(SKIP_1) | instid1(VALU_DEP_2)
	v_mul_hi_u32 v13, s38, v10
	v_mul_lo_u32 v17, v10, s18
	v_add_nc_u32_e32 v7, v10, v13
	v_mul_lo_u32 v13, v9, s15
	s_delay_alu instid0(VALU_DEP_3) | instskip(NEXT) | instid1(VALU_DEP_3)
	v_sub_nc_u32_e32 v9, v9, v17
	v_lshrrev_b32_e32 v7, s39, v7
	s_delay_alu instid0(VALU_DEP_2) | instskip(SKIP_2) | instid1(VALU_DEP_4)
	v_mul_lo_u32 v17, v9, s28
	v_mul_lo_u32 v9, v9, s29
	v_sub_nc_u32_e32 v8, v8, v13
	v_mul_lo_u32 v18, v7, s37
	s_delay_alu instid0(VALU_DEP_2) | instskip(SKIP_1) | instid1(VALU_DEP_3)
	v_mul_lo_u32 v13, v8, s26
	v_mul_lo_u32 v8, v8, s27
	v_sub_nc_u32_e32 v10, v10, v18
	s_delay_alu instid0(VALU_DEP_3) | instskip(NEXT) | instid1(VALU_DEP_2)
	v_add3_u32 v4, v11, v4, v13
	v_mul_lo_u32 v18, v10, s30
	v_mul_lo_u32 v10, v10, s31
	v_add3_u32 v5, v15, v5, v8
	s_delay_alu instid0(VALU_DEP_3) | instskip(NEXT) | instid1(VALU_DEP_2)
	v_add3_u32 v4, v17, v4, v18
	v_add3_u32 v5, v9, v5, v10
	s_cbranch_scc1 .LBB383_46
; %bb.47:
	s_and_b32 s7, s7, 3
	s_delay_alu instid0(SALU_CYCLE_1)
	s_cmp_eq_u32 s7, 0
	s_cbranch_scc0 .LBB383_50
	s_branch .LBB383_52
.LBB383_48:
	s_mov_b32 s6, -1
                                        ; implicit-def: $vgpr4
                                        ; implicit-def: $vgpr5
	s_branch .LBB383_52
.LBB383_49:
	v_mov_b32_e32 v7, v6
	v_mov_b32_e32 v5, 0
	s_and_b32 s7, s7, 3
	s_delay_alu instid0(SALU_CYCLE_1)
	s_cmp_eq_u32 s7, 0
	s_cbranch_scc1 .LBB383_52
.LBB383_50:
	s_lshl_b32 s2, s8, 3
	s_mul_i32 s4, s8, 12
	s_add_u32 s2, s2, s0
	s_addc_u32 s3, 0, s1
	s_add_u32 s2, s2, 0xc4
	s_addc_u32 s3, s3, 0
	;; [unrolled: 2-line block ×3, first 2 shown]
	.p2align	6
.LBB383_51:                             ; =>This Inner Loop Header: Depth=1
	s_clause 0x1
	s_load_b64 s[8:9], s[4:5], 0x4
	s_load_b32 s12, s[4:5], 0xc
	s_load_b64 s[10:11], s[2:3], 0x0
	s_add_u32 s4, s4, 12
	s_addc_u32 s5, s5, 0
	s_add_u32 s2, s2, 8
	s_addc_u32 s3, s3, 0
	s_add_i32 s7, s7, -1
	s_delay_alu instid0(SALU_CYCLE_1) | instskip(SKIP_2) | instid1(VALU_DEP_1)
	s_cmp_lg_u32 s7, 0
	s_waitcnt lgkmcnt(0)
	v_mul_hi_u32 v8, s9, v7
	v_add_nc_u32_e32 v8, v7, v8
	s_delay_alu instid0(VALU_DEP_1) | instskip(NEXT) | instid1(VALU_DEP_1)
	v_lshrrev_b32_e32 v11, s12, v8
	v_mul_lo_u32 v8, v11, s8
	s_delay_alu instid0(VALU_DEP_1) | instskip(NEXT) | instid1(VALU_DEP_1)
	v_sub_nc_u32_e32 v7, v7, v8
	v_mad_u64_u32 v[8:9], null, v7, s10, v[4:5]
	v_mad_u64_u32 v[9:10], null, v7, s11, v[5:6]
	s_delay_alu instid0(VALU_DEP_2) | instskip(NEXT) | instid1(VALU_DEP_2)
	v_dual_mov_b32 v7, v11 :: v_dual_mov_b32 v4, v8
	v_mov_b32_e32 v5, v9
	s_cbranch_scc1 .LBB383_51
.LBB383_52:
	s_and_not1_b32 vcc_lo, exec_lo, s6
	s_cbranch_vccnz .LBB383_55
; %bb.53:
	s_clause 0x1
	s_load_b128 s[4:7], s[0:1], 0x4
	s_load_b64 s[2:3], s[0:1], 0xc4
	s_cmp_lt_u32 s22, 2
	s_waitcnt lgkmcnt(0)
	v_mul_hi_u32 v4, s5, v6
	s_delay_alu instid0(VALU_DEP_1) | instskip(NEXT) | instid1(VALU_DEP_1)
	v_add_nc_u32_e32 v4, v6, v4
	v_lshrrev_b32_e32 v7, s6, v4
	s_delay_alu instid0(VALU_DEP_1) | instskip(NEXT) | instid1(VALU_DEP_1)
	v_mul_lo_u32 v4, v7, s4
	v_sub_nc_u32_e32 v5, v6, v4
	s_delay_alu instid0(VALU_DEP_1)
	v_mul_lo_u32 v4, v5, s2
	v_mul_lo_u32 v5, v5, s3
	s_cbranch_scc1 .LBB383_55
; %bb.54:
	s_clause 0x1
	s_load_b128 s[4:7], s[0:1], 0x10
	s_load_b64 s[2:3], s[0:1], 0xcc
	s_waitcnt lgkmcnt(0)
	v_mul_hi_u32 v6, s5, v7
	s_delay_alu instid0(VALU_DEP_1) | instskip(NEXT) | instid1(VALU_DEP_1)
	v_add_nc_u32_e32 v6, v7, v6
	v_lshrrev_b32_e32 v6, s6, v6
	s_delay_alu instid0(VALU_DEP_1) | instskip(NEXT) | instid1(VALU_DEP_1)
	v_mul_lo_u32 v6, v6, s4
	v_sub_nc_u32_e32 v9, v7, v6
	s_delay_alu instid0(VALU_DEP_1) | instskip(NEXT) | instid1(VALU_DEP_1)
	v_mad_u64_u32 v[6:7], null, v9, s2, v[4:5]
	v_mad_u64_u32 v[7:8], null, v9, s3, v[5:6]
	s_delay_alu instid0(VALU_DEP_1)
	v_dual_mov_b32 v4, v6 :: v_dual_mov_b32 v5, v7
.LBB383_55:
	v_cmp_ne_u32_e32 vcc_lo, 1, v14
	v_add_nc_u32_e32 v8, 0x180, v12
	s_cbranch_vccnz .LBB383_61
; %bb.56:
	v_dual_mov_b32 v6, 0 :: v_dual_mov_b32 v7, 0
	s_cmp_lg_u32 s22, 0
	s_mov_b32 s6, 0
	s_cbranch_scc0 .LBB383_65
; %bb.57:
	s_min_u32 s7, s23, 15
	v_mov_b32_e32 v6, 0
	s_add_i32 s7, s7, 1
	s_cmp_eq_u32 s23, 2
	s_mov_b32 s8, 0
	s_cbranch_scc1 .LBB383_62
; %bb.58:
	v_dual_mov_b32 v7, 0 :: v_dual_mov_b32 v6, 0
	v_mov_b32_e32 v9, v8
	s_add_u32 s2, s0, 0xc4
	s_addc_u32 s3, s1, 0
	s_and_b32 s8, s7, 28
	s_mov_b32 s9, 0
	s_mov_b64 s[4:5], s[0:1]
.LBB383_59:                             ; =>This Inner Loop Header: Depth=1
	s_clause 0x1
	s_load_b256 s[12:19], s[4:5], 0x4
	s_load_b128 s[36:39], s[4:5], 0x24
	s_load_b256 s[24:31], s[2:3], 0x0
	s_add_u32 s4, s4, 48
	s_addc_u32 s5, s5, 0
	s_add_i32 s9, s9, 4
	s_add_u32 s2, s2, 32
	s_addc_u32 s3, s3, 0
	s_cmp_lg_u32 s8, s9
	s_waitcnt lgkmcnt(0)
	v_mul_hi_u32 v10, s13, v9
	s_delay_alu instid0(VALU_DEP_1) | instskip(NEXT) | instid1(VALU_DEP_1)
	v_add_nc_u32_e32 v10, v9, v10
	v_lshrrev_b32_e32 v10, s14, v10
	s_delay_alu instid0(VALU_DEP_1) | instskip(SKIP_1) | instid1(VALU_DEP_2)
	v_mul_hi_u32 v11, s16, v10
	v_mul_lo_u32 v15, v10, s12
	v_add_nc_u32_e32 v11, v10, v11
	s_delay_alu instid0(VALU_DEP_2) | instskip(NEXT) | instid1(VALU_DEP_2)
	v_sub_nc_u32_e32 v9, v9, v15
	v_lshrrev_b32_e32 v11, s17, v11
	s_delay_alu instid0(VALU_DEP_2) | instskip(SKIP_1) | instid1(VALU_DEP_3)
	v_mul_lo_u32 v15, v9, s24
	v_mul_lo_u32 v18, v9, s25
	v_mul_hi_u32 v13, s19, v11
	s_delay_alu instid0(VALU_DEP_1) | instskip(NEXT) | instid1(VALU_DEP_1)
	v_add_nc_u32_e32 v13, v11, v13
	v_lshrrev_b32_e32 v13, s36, v13
	s_delay_alu instid0(VALU_DEP_1) | instskip(SKIP_1) | instid1(VALU_DEP_2)
	v_mul_hi_u32 v17, s38, v13
	v_mul_lo_u32 v19, v13, s18
	v_add_nc_u32_e32 v9, v13, v17
	v_mul_lo_u32 v17, v11, s15
	s_delay_alu instid0(VALU_DEP_3) | instskip(NEXT) | instid1(VALU_DEP_3)
	v_sub_nc_u32_e32 v11, v11, v19
	v_lshrrev_b32_e32 v9, s39, v9
	s_delay_alu instid0(VALU_DEP_2) | instskip(SKIP_2) | instid1(VALU_DEP_4)
	v_mul_lo_u32 v19, v11, s28
	v_mul_lo_u32 v11, v11, s29
	v_sub_nc_u32_e32 v10, v10, v17
	v_mul_lo_u32 v20, v9, s37
	s_delay_alu instid0(VALU_DEP_2) | instskip(SKIP_1) | instid1(VALU_DEP_3)
	v_mul_lo_u32 v17, v10, s26
	v_mul_lo_u32 v10, v10, s27
	v_sub_nc_u32_e32 v13, v13, v20
	s_delay_alu instid0(VALU_DEP_3) | instskip(NEXT) | instid1(VALU_DEP_2)
	v_add3_u32 v6, v15, v6, v17
	v_mul_lo_u32 v20, v13, s30
	v_mul_lo_u32 v13, v13, s31
	v_add3_u32 v7, v18, v7, v10
	s_delay_alu instid0(VALU_DEP_3) | instskip(NEXT) | instid1(VALU_DEP_2)
	v_add3_u32 v6, v19, v6, v20
	v_add3_u32 v7, v11, v7, v13
	s_cbranch_scc1 .LBB383_59
; %bb.60:
	s_and_b32 s7, s7, 3
	s_delay_alu instid0(SALU_CYCLE_1)
	s_cmp_eq_u32 s7, 0
	s_cbranch_scc0 .LBB383_63
	s_branch .LBB383_65
.LBB383_61:
	s_mov_b32 s6, -1
                                        ; implicit-def: $vgpr6
                                        ; implicit-def: $vgpr7
	s_branch .LBB383_65
.LBB383_62:
	v_mov_b32_e32 v9, v8
	v_mov_b32_e32 v7, 0
	s_and_b32 s7, s7, 3
	s_delay_alu instid0(SALU_CYCLE_1)
	s_cmp_eq_u32 s7, 0
	s_cbranch_scc1 .LBB383_65
.LBB383_63:
	s_lshl_b32 s2, s8, 3
	s_mul_i32 s4, s8, 12
	s_add_u32 s2, s2, s0
	s_addc_u32 s3, 0, s1
	s_add_u32 s2, s2, 0xc4
	s_addc_u32 s3, s3, 0
	;; [unrolled: 2-line block ×3, first 2 shown]
	.p2align	6
.LBB383_64:                             ; =>This Inner Loop Header: Depth=1
	s_clause 0x1
	s_load_b64 s[8:9], s[4:5], 0x4
	s_load_b32 s12, s[4:5], 0xc
	s_load_b64 s[10:11], s[2:3], 0x0
	s_add_u32 s4, s4, 12
	s_addc_u32 s5, s5, 0
	s_add_u32 s2, s2, 8
	s_addc_u32 s3, s3, 0
	s_add_i32 s7, s7, -1
	s_delay_alu instid0(SALU_CYCLE_1) | instskip(SKIP_2) | instid1(VALU_DEP_1)
	s_cmp_lg_u32 s7, 0
	s_waitcnt lgkmcnt(0)
	v_mul_hi_u32 v10, s9, v9
	v_add_nc_u32_e32 v10, v9, v10
	s_delay_alu instid0(VALU_DEP_1) | instskip(NEXT) | instid1(VALU_DEP_1)
	v_lshrrev_b32_e32 v13, s12, v10
	v_mul_lo_u32 v10, v13, s8
	s_delay_alu instid0(VALU_DEP_1) | instskip(NEXT) | instid1(VALU_DEP_1)
	v_sub_nc_u32_e32 v9, v9, v10
	v_mad_u64_u32 v[10:11], null, v9, s10, v[6:7]
	v_mad_u64_u32 v[17:18], null, v9, s11, v[7:8]
	s_delay_alu instid0(VALU_DEP_2) | instskip(NEXT) | instid1(VALU_DEP_2)
	v_dual_mov_b32 v9, v13 :: v_dual_mov_b32 v6, v10
	v_mov_b32_e32 v7, v17
	s_cbranch_scc1 .LBB383_64
.LBB383_65:
	s_and_not1_b32 vcc_lo, exec_lo, s6
	s_cbranch_vccnz .LBB383_68
; %bb.66:
	s_clause 0x1
	s_load_b128 s[4:7], s[0:1], 0x4
	s_load_b64 s[2:3], s[0:1], 0xc4
	s_cmp_lt_u32 s22, 2
	s_waitcnt lgkmcnt(0)
	v_mul_hi_u32 v6, s5, v8
	s_delay_alu instid0(VALU_DEP_1) | instskip(NEXT) | instid1(VALU_DEP_1)
	v_add_nc_u32_e32 v6, v8, v6
	v_lshrrev_b32_e32 v9, s6, v6
	s_delay_alu instid0(VALU_DEP_1) | instskip(NEXT) | instid1(VALU_DEP_1)
	v_mul_lo_u32 v6, v9, s4
	v_sub_nc_u32_e32 v7, v8, v6
	s_delay_alu instid0(VALU_DEP_1)
	v_mul_lo_u32 v6, v7, s2
	v_mul_lo_u32 v7, v7, s3
	s_cbranch_scc1 .LBB383_68
; %bb.67:
	s_clause 0x1
	s_load_b128 s[4:7], s[0:1], 0x10
	s_load_b64 s[2:3], s[0:1], 0xcc
	s_waitcnt lgkmcnt(0)
	v_mul_hi_u32 v8, s5, v9
	s_delay_alu instid0(VALU_DEP_1) | instskip(NEXT) | instid1(VALU_DEP_1)
	v_add_nc_u32_e32 v8, v9, v8
	v_lshrrev_b32_e32 v8, s6, v8
	s_delay_alu instid0(VALU_DEP_1) | instskip(NEXT) | instid1(VALU_DEP_1)
	v_mul_lo_u32 v8, v8, s4
	v_sub_nc_u32_e32 v11, v9, v8
	s_delay_alu instid0(VALU_DEP_1) | instskip(NEXT) | instid1(VALU_DEP_1)
	v_mad_u64_u32 v[8:9], null, v11, s2, v[6:7]
	v_mad_u64_u32 v[9:10], null, v11, s3, v[7:8]
	s_delay_alu instid0(VALU_DEP_1)
	v_dual_mov_b32 v6, v8 :: v_dual_mov_b32 v7, v9
.LBB383_68:
	v_cmp_ne_u32_e32 vcc_lo, 1, v14
	v_add_nc_u32_e32 v10, 0x200, v12
	s_cbranch_vccnz .LBB383_74
; %bb.69:
	v_dual_mov_b32 v8, 0 :: v_dual_mov_b32 v9, 0
	s_cmp_lg_u32 s22, 0
	s_mov_b32 s6, 0
	s_cbranch_scc0 .LBB383_78
; %bb.70:
	s_min_u32 s7, s23, 15
	v_mov_b32_e32 v8, 0
	s_add_i32 s7, s7, 1
	s_cmp_eq_u32 s23, 2
	s_mov_b32 s8, 0
	s_cbranch_scc1 .LBB383_75
; %bb.71:
	v_dual_mov_b32 v9, 0 :: v_dual_mov_b32 v8, 0
	v_mov_b32_e32 v11, v10
	s_add_u32 s2, s0, 0xc4
	s_addc_u32 s3, s1, 0
	s_and_b32 s8, s7, 28
	s_mov_b32 s9, 0
	s_mov_b64 s[4:5], s[0:1]
.LBB383_72:                             ; =>This Inner Loop Header: Depth=1
	s_clause 0x1
	s_load_b256 s[12:19], s[4:5], 0x4
	s_load_b128 s[36:39], s[4:5], 0x24
	s_load_b256 s[24:31], s[2:3], 0x0
	s_add_u32 s4, s4, 48
	s_addc_u32 s5, s5, 0
	s_add_i32 s9, s9, 4
	s_add_u32 s2, s2, 32
	s_addc_u32 s3, s3, 0
	s_cmp_lg_u32 s8, s9
	s_waitcnt lgkmcnt(0)
	v_mul_hi_u32 v13, s13, v11
	s_delay_alu instid0(VALU_DEP_1) | instskip(NEXT) | instid1(VALU_DEP_1)
	v_add_nc_u32_e32 v13, v11, v13
	v_lshrrev_b32_e32 v13, s14, v13
	s_delay_alu instid0(VALU_DEP_1) | instskip(SKIP_1) | instid1(VALU_DEP_2)
	v_mul_hi_u32 v15, s16, v13
	v_mul_lo_u32 v18, v13, s12
	v_add_nc_u32_e32 v15, v13, v15
	s_delay_alu instid0(VALU_DEP_2) | instskip(NEXT) | instid1(VALU_DEP_2)
	v_sub_nc_u32_e32 v11, v11, v18
	v_lshrrev_b32_e32 v15, s17, v15
	s_delay_alu instid0(VALU_DEP_2) | instskip(SKIP_1) | instid1(VALU_DEP_3)
	v_mul_lo_u32 v18, v11, s24
	v_mul_lo_u32 v20, v11, s25
	v_mul_hi_u32 v17, s19, v15
	s_delay_alu instid0(VALU_DEP_1) | instskip(NEXT) | instid1(VALU_DEP_1)
	v_add_nc_u32_e32 v17, v15, v17
	v_lshrrev_b32_e32 v17, s36, v17
	s_delay_alu instid0(VALU_DEP_1) | instskip(SKIP_1) | instid1(VALU_DEP_2)
	v_mul_hi_u32 v19, s38, v17
	v_mul_lo_u32 v21, v17, s18
	v_add_nc_u32_e32 v11, v17, v19
	v_mul_lo_u32 v19, v15, s15
	s_delay_alu instid0(VALU_DEP_3) | instskip(NEXT) | instid1(VALU_DEP_3)
	v_sub_nc_u32_e32 v15, v15, v21
	v_lshrrev_b32_e32 v11, s39, v11
	s_delay_alu instid0(VALU_DEP_2) | instskip(SKIP_2) | instid1(VALU_DEP_4)
	v_mul_lo_u32 v21, v15, s28
	v_mul_lo_u32 v15, v15, s29
	v_sub_nc_u32_e32 v13, v13, v19
	v_mul_lo_u32 v22, v11, s37
	s_delay_alu instid0(VALU_DEP_2) | instskip(SKIP_1) | instid1(VALU_DEP_3)
	v_mul_lo_u32 v19, v13, s26
	v_mul_lo_u32 v13, v13, s27
	v_sub_nc_u32_e32 v17, v17, v22
	s_delay_alu instid0(VALU_DEP_3) | instskip(NEXT) | instid1(VALU_DEP_2)
	v_add3_u32 v8, v18, v8, v19
	v_mul_lo_u32 v22, v17, s30
	v_mul_lo_u32 v17, v17, s31
	v_add3_u32 v9, v20, v9, v13
	s_delay_alu instid0(VALU_DEP_3) | instskip(NEXT) | instid1(VALU_DEP_2)
	v_add3_u32 v8, v21, v8, v22
	v_add3_u32 v9, v15, v9, v17
	s_cbranch_scc1 .LBB383_72
; %bb.73:
	s_and_b32 s7, s7, 3
	s_delay_alu instid0(SALU_CYCLE_1)
	s_cmp_eq_u32 s7, 0
	s_cbranch_scc0 .LBB383_76
	s_branch .LBB383_78
.LBB383_74:
	s_mov_b32 s6, -1
                                        ; implicit-def: $vgpr8
                                        ; implicit-def: $vgpr9
	s_branch .LBB383_78
.LBB383_75:
	v_mov_b32_e32 v11, v10
	v_mov_b32_e32 v9, 0
	s_and_b32 s7, s7, 3
	s_delay_alu instid0(SALU_CYCLE_1)
	s_cmp_eq_u32 s7, 0
	s_cbranch_scc1 .LBB383_78
.LBB383_76:
	s_lshl_b32 s2, s8, 3
	s_mul_i32 s4, s8, 12
	s_add_u32 s2, s2, s0
	s_addc_u32 s3, 0, s1
	s_add_u32 s2, s2, 0xc4
	s_addc_u32 s3, s3, 0
	;; [unrolled: 2-line block ×3, first 2 shown]
	.p2align	6
.LBB383_77:                             ; =>This Inner Loop Header: Depth=1
	s_clause 0x1
	s_load_b64 s[8:9], s[4:5], 0x4
	s_load_b32 s12, s[4:5], 0xc
	s_load_b64 s[10:11], s[2:3], 0x0
	s_add_u32 s4, s4, 12
	s_addc_u32 s5, s5, 0
	s_add_u32 s2, s2, 8
	s_addc_u32 s3, s3, 0
	s_add_i32 s7, s7, -1
	s_delay_alu instid0(SALU_CYCLE_1) | instskip(SKIP_2) | instid1(VALU_DEP_1)
	s_cmp_lg_u32 s7, 0
	s_waitcnt lgkmcnt(0)
	v_mul_hi_u32 v13, s9, v11
	v_add_nc_u32_e32 v13, v11, v13
	s_delay_alu instid0(VALU_DEP_1) | instskip(NEXT) | instid1(VALU_DEP_1)
	v_lshrrev_b32_e32 v13, s12, v13
	v_mul_lo_u32 v15, v13, s8
	s_delay_alu instid0(VALU_DEP_1) | instskip(NEXT) | instid1(VALU_DEP_1)
	v_sub_nc_u32_e32 v11, v11, v15
	v_mad_u64_u32 v[17:18], null, v11, s10, v[8:9]
	v_mad_u64_u32 v[18:19], null, v11, s11, v[9:10]
	v_mov_b32_e32 v11, v13
	s_delay_alu instid0(VALU_DEP_2)
	v_dual_mov_b32 v8, v17 :: v_dual_mov_b32 v9, v18
	s_cbranch_scc1 .LBB383_77
.LBB383_78:
	s_and_not1_b32 vcc_lo, exec_lo, s6
	s_cbranch_vccnz .LBB383_81
; %bb.79:
	s_clause 0x1
	s_load_b128 s[4:7], s[0:1], 0x4
	s_load_b64 s[2:3], s[0:1], 0xc4
	s_cmp_lt_u32 s22, 2
	s_waitcnt lgkmcnt(0)
	v_mul_hi_u32 v8, s5, v10
	s_delay_alu instid0(VALU_DEP_1) | instskip(NEXT) | instid1(VALU_DEP_1)
	v_add_nc_u32_e32 v8, v10, v8
	v_lshrrev_b32_e32 v11, s6, v8
	s_delay_alu instid0(VALU_DEP_1) | instskip(NEXT) | instid1(VALU_DEP_1)
	v_mul_lo_u32 v8, v11, s4
	v_sub_nc_u32_e32 v9, v10, v8
	s_delay_alu instid0(VALU_DEP_1)
	v_mul_lo_u32 v8, v9, s2
	v_mul_lo_u32 v9, v9, s3
	s_cbranch_scc1 .LBB383_81
; %bb.80:
	s_clause 0x1
	s_load_b128 s[4:7], s[0:1], 0x10
	s_load_b64 s[2:3], s[0:1], 0xcc
	s_waitcnt lgkmcnt(0)
	v_mul_hi_u32 v10, s5, v11
	s_delay_alu instid0(VALU_DEP_1) | instskip(NEXT) | instid1(VALU_DEP_1)
	v_add_nc_u32_e32 v10, v11, v10
	v_lshrrev_b32_e32 v10, s6, v10
	s_delay_alu instid0(VALU_DEP_1) | instskip(NEXT) | instid1(VALU_DEP_1)
	v_mul_lo_u32 v10, v10, s4
	v_sub_nc_u32_e32 v13, v11, v10
	s_delay_alu instid0(VALU_DEP_1) | instskip(NEXT) | instid1(VALU_DEP_1)
	v_mad_u64_u32 v[10:11], null, v13, s2, v[8:9]
	v_mad_u64_u32 v[17:18], null, v13, s3, v[9:10]
	s_delay_alu instid0(VALU_DEP_1)
	v_dual_mov_b32 v8, v10 :: v_dual_mov_b32 v9, v17
.LBB383_81:
	v_cmp_ne_u32_e32 vcc_lo, 1, v14
	v_add_nc_u32_e32 v13, 0x280, v12
	s_cbranch_vccnz .LBB383_87
; %bb.82:
	v_dual_mov_b32 v10, 0 :: v_dual_mov_b32 v11, 0
	s_cmp_lg_u32 s22, 0
	s_mov_b32 s6, 0
	s_cbranch_scc0 .LBB383_91
; %bb.83:
	s_min_u32 s7, s23, 15
	v_mov_b32_e32 v10, 0
	s_add_i32 s7, s7, 1
	s_cmp_eq_u32 s23, 2
	s_mov_b32 s8, 0
	s_cbranch_scc1 .LBB383_88
; %bb.84:
	v_dual_mov_b32 v11, 0 :: v_dual_mov_b32 v10, 0
	v_mov_b32_e32 v15, v13
	s_add_u32 s2, s0, 0xc4
	s_addc_u32 s3, s1, 0
	s_and_b32 s8, s7, 28
	s_mov_b32 s9, 0
	s_mov_b64 s[4:5], s[0:1]
.LBB383_85:                             ; =>This Inner Loop Header: Depth=1
	s_clause 0x1
	s_load_b256 s[12:19], s[4:5], 0x4
	s_load_b128 s[36:39], s[4:5], 0x24
	s_load_b256 s[24:31], s[2:3], 0x0
	s_add_u32 s4, s4, 48
	s_addc_u32 s5, s5, 0
	s_add_i32 s9, s9, 4
	s_add_u32 s2, s2, 32
	s_addc_u32 s3, s3, 0
	s_cmp_lg_u32 s8, s9
	s_waitcnt lgkmcnt(0)
	v_mul_hi_u32 v17, s13, v15
	s_delay_alu instid0(VALU_DEP_1) | instskip(NEXT) | instid1(VALU_DEP_1)
	v_add_nc_u32_e32 v17, v15, v17
	v_lshrrev_b32_e32 v17, s14, v17
	s_delay_alu instid0(VALU_DEP_1) | instskip(SKIP_1) | instid1(VALU_DEP_2)
	v_mul_hi_u32 v18, s16, v17
	v_mul_lo_u32 v20, v17, s12
	v_add_nc_u32_e32 v18, v17, v18
	s_delay_alu instid0(VALU_DEP_2) | instskip(NEXT) | instid1(VALU_DEP_2)
	v_sub_nc_u32_e32 v15, v15, v20
	v_lshrrev_b32_e32 v18, s17, v18
	s_delay_alu instid0(VALU_DEP_2) | instskip(SKIP_1) | instid1(VALU_DEP_3)
	v_mul_lo_u32 v20, v15, s24
	v_mul_lo_u32 v22, v15, s25
	v_mul_hi_u32 v19, s19, v18
	s_delay_alu instid0(VALU_DEP_1) | instskip(NEXT) | instid1(VALU_DEP_1)
	v_add_nc_u32_e32 v19, v18, v19
	v_lshrrev_b32_e32 v19, s36, v19
	s_delay_alu instid0(VALU_DEP_1) | instskip(SKIP_1) | instid1(VALU_DEP_2)
	v_mul_hi_u32 v21, s38, v19
	v_mul_lo_u32 v23, v19, s18
	v_add_nc_u32_e32 v15, v19, v21
	v_mul_lo_u32 v21, v18, s15
	s_delay_alu instid0(VALU_DEP_3) | instskip(NEXT) | instid1(VALU_DEP_3)
	v_sub_nc_u32_e32 v18, v18, v23
	v_lshrrev_b32_e32 v15, s39, v15
	s_delay_alu instid0(VALU_DEP_2) | instskip(SKIP_2) | instid1(VALU_DEP_4)
	v_mul_lo_u32 v23, v18, s28
	v_mul_lo_u32 v18, v18, s29
	v_sub_nc_u32_e32 v17, v17, v21
	v_mul_lo_u32 v24, v15, s37
	s_delay_alu instid0(VALU_DEP_2) | instskip(SKIP_1) | instid1(VALU_DEP_3)
	v_mul_lo_u32 v21, v17, s26
	v_mul_lo_u32 v17, v17, s27
	v_sub_nc_u32_e32 v19, v19, v24
	s_delay_alu instid0(VALU_DEP_3) | instskip(NEXT) | instid1(VALU_DEP_2)
	v_add3_u32 v10, v20, v10, v21
	v_mul_lo_u32 v24, v19, s30
	v_mul_lo_u32 v19, v19, s31
	v_add3_u32 v11, v22, v11, v17
	s_delay_alu instid0(VALU_DEP_3) | instskip(NEXT) | instid1(VALU_DEP_2)
	v_add3_u32 v10, v23, v10, v24
	v_add3_u32 v11, v18, v11, v19
	s_cbranch_scc1 .LBB383_85
; %bb.86:
	s_and_b32 s7, s7, 3
	s_delay_alu instid0(SALU_CYCLE_1)
	s_cmp_eq_u32 s7, 0
	s_cbranch_scc0 .LBB383_89
	s_branch .LBB383_91
.LBB383_87:
	s_mov_b32 s6, -1
                                        ; implicit-def: $vgpr10
                                        ; implicit-def: $vgpr11
	s_branch .LBB383_91
.LBB383_88:
	v_mov_b32_e32 v15, v13
	v_mov_b32_e32 v11, 0
	s_and_b32 s7, s7, 3
	s_delay_alu instid0(SALU_CYCLE_1)
	s_cmp_eq_u32 s7, 0
	s_cbranch_scc1 .LBB383_91
.LBB383_89:
	s_lshl_b32 s2, s8, 3
	s_mul_i32 s4, s8, 12
	s_add_u32 s2, s2, s0
	s_addc_u32 s3, 0, s1
	s_add_u32 s2, s2, 0xc4
	s_addc_u32 s3, s3, 0
	;; [unrolled: 2-line block ×3, first 2 shown]
	.p2align	6
.LBB383_90:                             ; =>This Inner Loop Header: Depth=1
	s_clause 0x1
	s_load_b64 s[8:9], s[4:5], 0x4
	s_load_b32 s12, s[4:5], 0xc
	s_load_b64 s[10:11], s[2:3], 0x0
	s_add_u32 s4, s4, 12
	s_addc_u32 s5, s5, 0
	s_add_u32 s2, s2, 8
	s_addc_u32 s3, s3, 0
	s_add_i32 s7, s7, -1
	s_delay_alu instid0(SALU_CYCLE_1) | instskip(SKIP_2) | instid1(VALU_DEP_1)
	s_cmp_lg_u32 s7, 0
	s_waitcnt lgkmcnt(0)
	v_mul_hi_u32 v17, s9, v15
	v_add_nc_u32_e32 v17, v15, v17
	s_delay_alu instid0(VALU_DEP_1) | instskip(NEXT) | instid1(VALU_DEP_1)
	v_lshrrev_b32_e32 v20, s12, v17
	v_mul_lo_u32 v17, v20, s8
	s_delay_alu instid0(VALU_DEP_1) | instskip(NEXT) | instid1(VALU_DEP_1)
	v_sub_nc_u32_e32 v15, v15, v17
	v_mad_u64_u32 v[17:18], null, v15, s10, v[10:11]
	v_mad_u64_u32 v[18:19], null, v15, s11, v[11:12]
	s_delay_alu instid0(VALU_DEP_2) | instskip(NEXT) | instid1(VALU_DEP_2)
	v_dual_mov_b32 v15, v20 :: v_dual_mov_b32 v10, v17
	v_mov_b32_e32 v11, v18
	s_cbranch_scc1 .LBB383_90
.LBB383_91:
	s_and_not1_b32 vcc_lo, exec_lo, s6
	s_cbranch_vccnz .LBB383_94
; %bb.92:
	s_clause 0x1
	s_load_b128 s[4:7], s[0:1], 0x4
	s_load_b64 s[2:3], s[0:1], 0xc4
	s_cmp_lt_u32 s22, 2
	s_waitcnt lgkmcnt(0)
	v_mul_hi_u32 v10, s5, v13
	s_delay_alu instid0(VALU_DEP_1) | instskip(NEXT) | instid1(VALU_DEP_1)
	v_add_nc_u32_e32 v10, v13, v10
	v_lshrrev_b32_e32 v15, s6, v10
	s_delay_alu instid0(VALU_DEP_1) | instskip(NEXT) | instid1(VALU_DEP_1)
	v_mul_lo_u32 v10, v15, s4
	v_sub_nc_u32_e32 v11, v13, v10
	s_delay_alu instid0(VALU_DEP_1)
	v_mul_lo_u32 v10, v11, s2
	v_mul_lo_u32 v11, v11, s3
	s_cbranch_scc1 .LBB383_94
; %bb.93:
	s_clause 0x1
	s_load_b128 s[4:7], s[0:1], 0x10
	s_load_b64 s[2:3], s[0:1], 0xcc
	s_waitcnt lgkmcnt(0)
	v_mul_hi_u32 v13, s5, v15
	s_delay_alu instid0(VALU_DEP_1) | instskip(NEXT) | instid1(VALU_DEP_1)
	v_add_nc_u32_e32 v13, v15, v13
	v_lshrrev_b32_e32 v13, s6, v13
	s_delay_alu instid0(VALU_DEP_1) | instskip(NEXT) | instid1(VALU_DEP_1)
	v_mul_lo_u32 v13, v13, s4
	v_sub_nc_u32_e32 v13, v15, v13
	s_delay_alu instid0(VALU_DEP_1) | instskip(SKIP_1) | instid1(VALU_DEP_1)
	v_mad_u64_u32 v[17:18], null, v13, s2, v[10:11]
	v_mad_u64_u32 v[18:19], null, v13, s3, v[11:12]
	v_dual_mov_b32 v10, v17 :: v_dual_mov_b32 v11, v18
.LBB383_94:
	v_cmp_ne_u32_e32 vcc_lo, 1, v14
	v_add_nc_u32_e32 v15, 0x300, v12
	s_cbranch_vccnz .LBB383_100
; %bb.95:
	v_dual_mov_b32 v12, 0 :: v_dual_mov_b32 v13, 0
	s_cmp_lg_u32 s22, 0
	s_mov_b32 s6, 0
	s_cbranch_scc0 .LBB383_104
; %bb.96:
	s_min_u32 s7, s23, 15
	v_mov_b32_e32 v12, 0
	s_add_i32 s7, s7, 1
	s_cmp_eq_u32 s23, 2
	s_mov_b32 s8, 0
	s_cbranch_scc1 .LBB383_101
; %bb.97:
	v_dual_mov_b32 v13, 0 :: v_dual_mov_b32 v12, 0
	v_mov_b32_e32 v17, v15
	s_add_u32 s2, s0, 0xc4
	s_addc_u32 s3, s1, 0
	s_and_b32 s8, s7, 28
	s_mov_b32 s9, 0
	s_mov_b64 s[4:5], s[0:1]
.LBB383_98:                             ; =>This Inner Loop Header: Depth=1
	s_clause 0x1
	s_load_b256 s[12:19], s[4:5], 0x4
	s_load_b128 s[36:39], s[4:5], 0x24
	s_load_b256 s[24:31], s[2:3], 0x0
	s_add_u32 s4, s4, 48
	s_addc_u32 s5, s5, 0
	s_add_i32 s9, s9, 4
	s_add_u32 s2, s2, 32
	s_addc_u32 s3, s3, 0
	s_cmp_lg_u32 s8, s9
	s_waitcnt lgkmcnt(0)
	v_mul_hi_u32 v18, s13, v17
	s_delay_alu instid0(VALU_DEP_1) | instskip(NEXT) | instid1(VALU_DEP_1)
	v_add_nc_u32_e32 v18, v17, v18
	v_lshrrev_b32_e32 v18, s14, v18
	s_delay_alu instid0(VALU_DEP_1) | instskip(SKIP_1) | instid1(VALU_DEP_2)
	v_mul_hi_u32 v19, s16, v18
	v_mul_lo_u32 v21, v18, s12
	v_add_nc_u32_e32 v19, v18, v19
	s_delay_alu instid0(VALU_DEP_2) | instskip(NEXT) | instid1(VALU_DEP_2)
	v_sub_nc_u32_e32 v17, v17, v21
	v_lshrrev_b32_e32 v19, s17, v19
	s_delay_alu instid0(VALU_DEP_2) | instskip(SKIP_1) | instid1(VALU_DEP_3)
	v_mul_lo_u32 v21, v17, s24
	v_mul_lo_u32 v23, v17, s25
	v_mul_hi_u32 v20, s19, v19
	s_delay_alu instid0(VALU_DEP_1) | instskip(NEXT) | instid1(VALU_DEP_1)
	v_add_nc_u32_e32 v20, v19, v20
	v_lshrrev_b32_e32 v20, s36, v20
	s_delay_alu instid0(VALU_DEP_1) | instskip(SKIP_1) | instid1(VALU_DEP_2)
	v_mul_hi_u32 v22, s38, v20
	v_mul_lo_u32 v24, v20, s18
	v_add_nc_u32_e32 v17, v20, v22
	v_mul_lo_u32 v22, v19, s15
	s_delay_alu instid0(VALU_DEP_3) | instskip(NEXT) | instid1(VALU_DEP_3)
	v_sub_nc_u32_e32 v19, v19, v24
	v_lshrrev_b32_e32 v17, s39, v17
	s_delay_alu instid0(VALU_DEP_2) | instskip(SKIP_2) | instid1(VALU_DEP_4)
	v_mul_lo_u32 v24, v19, s28
	v_mul_lo_u32 v19, v19, s29
	v_sub_nc_u32_e32 v18, v18, v22
	v_mul_lo_u32 v25, v17, s37
	s_delay_alu instid0(VALU_DEP_2) | instskip(SKIP_1) | instid1(VALU_DEP_3)
	v_mul_lo_u32 v22, v18, s26
	v_mul_lo_u32 v18, v18, s27
	v_sub_nc_u32_e32 v20, v20, v25
	s_delay_alu instid0(VALU_DEP_3) | instskip(NEXT) | instid1(VALU_DEP_2)
	v_add3_u32 v12, v21, v12, v22
	v_mul_lo_u32 v25, v20, s30
	v_mul_lo_u32 v20, v20, s31
	v_add3_u32 v13, v23, v13, v18
	s_delay_alu instid0(VALU_DEP_3) | instskip(NEXT) | instid1(VALU_DEP_2)
	v_add3_u32 v12, v24, v12, v25
	v_add3_u32 v13, v19, v13, v20
	s_cbranch_scc1 .LBB383_98
; %bb.99:
	s_and_b32 s7, s7, 3
	s_delay_alu instid0(SALU_CYCLE_1)
	s_cmp_eq_u32 s7, 0
	s_cbranch_scc0 .LBB383_102
	s_branch .LBB383_104
.LBB383_100:
	s_mov_b32 s6, -1
                                        ; implicit-def: $vgpr12
                                        ; implicit-def: $vgpr13
	s_branch .LBB383_104
.LBB383_101:
	v_mov_b32_e32 v17, v15
	v_mov_b32_e32 v13, 0
	s_and_b32 s7, s7, 3
	s_delay_alu instid0(SALU_CYCLE_1)
	s_cmp_eq_u32 s7, 0
	s_cbranch_scc1 .LBB383_104
.LBB383_102:
	s_lshl_b32 s2, s8, 3
	s_mul_i32 s4, s8, 12
	s_add_u32 s2, s2, s0
	s_addc_u32 s3, 0, s1
	s_add_u32 s2, s2, 0xc4
	s_addc_u32 s3, s3, 0
	;; [unrolled: 2-line block ×3, first 2 shown]
	.p2align	6
.LBB383_103:                            ; =>This Inner Loop Header: Depth=1
	s_clause 0x1
	s_load_b64 s[8:9], s[4:5], 0x4
	s_load_b32 s12, s[4:5], 0xc
	s_load_b64 s[10:11], s[2:3], 0x0
	s_add_u32 s4, s4, 12
	s_addc_u32 s5, s5, 0
	s_add_u32 s2, s2, 8
	s_addc_u32 s3, s3, 0
	s_add_i32 s7, s7, -1
	s_delay_alu instid0(SALU_CYCLE_1) | instskip(SKIP_2) | instid1(VALU_DEP_1)
	s_cmp_lg_u32 s7, 0
	s_waitcnt lgkmcnt(0)
	v_mul_hi_u32 v18, s9, v17
	v_add_nc_u32_e32 v18, v17, v18
	s_delay_alu instid0(VALU_DEP_1) | instskip(NEXT) | instid1(VALU_DEP_1)
	v_lshrrev_b32_e32 v21, s12, v18
	v_mul_lo_u32 v18, v21, s8
	s_delay_alu instid0(VALU_DEP_1) | instskip(NEXT) | instid1(VALU_DEP_1)
	v_sub_nc_u32_e32 v17, v17, v18
	v_mad_u64_u32 v[18:19], null, v17, s10, v[12:13]
	v_mad_u64_u32 v[19:20], null, v17, s11, v[13:14]
	s_delay_alu instid0(VALU_DEP_2) | instskip(NEXT) | instid1(VALU_DEP_2)
	v_dual_mov_b32 v17, v21 :: v_dual_mov_b32 v12, v18
	v_mov_b32_e32 v13, v19
	s_cbranch_scc1 .LBB383_103
.LBB383_104:
	s_and_not1_b32 vcc_lo, exec_lo, s6
	s_cbranch_vccnz .LBB383_107
; %bb.105:
	s_clause 0x1
	s_load_b128 s[4:7], s[0:1], 0x4
	s_load_b64 s[2:3], s[0:1], 0xc4
	s_cmp_lt_u32 s22, 2
	s_waitcnt lgkmcnt(0)
	v_mul_hi_u32 v12, s5, v15
	s_delay_alu instid0(VALU_DEP_1) | instskip(NEXT) | instid1(VALU_DEP_1)
	v_add_nc_u32_e32 v12, v15, v12
	v_lshrrev_b32_e32 v17, s6, v12
	s_delay_alu instid0(VALU_DEP_1) | instskip(NEXT) | instid1(VALU_DEP_1)
	v_mul_lo_u32 v12, v17, s4
	v_sub_nc_u32_e32 v13, v15, v12
	s_delay_alu instid0(VALU_DEP_1)
	v_mul_lo_u32 v12, v13, s2
	v_mul_lo_u32 v13, v13, s3
	s_cbranch_scc1 .LBB383_107
; %bb.106:
	s_clause 0x1
	s_load_b128 s[4:7], s[0:1], 0x10
	s_load_b64 s[2:3], s[0:1], 0xcc
	s_waitcnt lgkmcnt(0)
	v_mul_hi_u32 v15, s5, v17
	s_delay_alu instid0(VALU_DEP_1) | instskip(NEXT) | instid1(VALU_DEP_1)
	v_add_nc_u32_e32 v15, v17, v15
	v_lshrrev_b32_e32 v15, s6, v15
	s_delay_alu instid0(VALU_DEP_1) | instskip(NEXT) | instid1(VALU_DEP_1)
	v_mul_lo_u32 v15, v15, s4
	v_sub_nc_u32_e32 v15, v17, v15
	s_delay_alu instid0(VALU_DEP_1) | instskip(SKIP_1) | instid1(VALU_DEP_1)
	v_mad_u64_u32 v[17:18], null, v15, s2, v[12:13]
	v_mad_u64_u32 v[18:19], null, v15, s3, v[13:14]
	v_dual_mov_b32 v12, v17 :: v_dual_mov_b32 v13, v18
.LBB383_107:
	v_cmp_ne_u32_e32 vcc_lo, 1, v14
	s_cbranch_vccnz .LBB383_113
; %bb.108:
	v_dual_mov_b32 v14, 0 :: v_dual_mov_b32 v15, 0
	s_cmp_lg_u32 s22, 0
	s_mov_b32 s6, 0
	s_cbranch_scc0 .LBB383_117
; %bb.109:
	s_min_u32 s7, s23, 15
	v_mov_b32_e32 v14, 0
	s_add_i32 s7, s7, 1
	s_cmp_eq_u32 s23, 2
	s_mov_b32 s8, 0
	s_cbranch_scc1 .LBB383_114
; %bb.110:
	v_dual_mov_b32 v15, 0 :: v_dual_mov_b32 v14, 0
	v_mov_b32_e32 v17, v16
	s_add_u32 s2, s0, 0xc4
	s_addc_u32 s3, s1, 0
	s_and_b32 s8, s7, 28
	s_mov_b32 s9, 0
	s_mov_b64 s[4:5], s[0:1]
.LBB383_111:                            ; =>This Inner Loop Header: Depth=1
	s_clause 0x1
	s_load_b256 s[12:19], s[4:5], 0x4
	s_load_b128 s[36:39], s[4:5], 0x24
	s_load_b256 s[24:31], s[2:3], 0x0
	s_add_u32 s4, s4, 48
	s_addc_u32 s5, s5, 0
	s_add_i32 s9, s9, 4
	s_add_u32 s2, s2, 32
	s_addc_u32 s3, s3, 0
	s_cmp_lg_u32 s8, s9
	s_waitcnt lgkmcnt(0)
	v_mul_hi_u32 v18, s13, v17
	s_delay_alu instid0(VALU_DEP_1) | instskip(NEXT) | instid1(VALU_DEP_1)
	v_add_nc_u32_e32 v18, v17, v18
	v_lshrrev_b32_e32 v18, s14, v18
	s_delay_alu instid0(VALU_DEP_1) | instskip(SKIP_1) | instid1(VALU_DEP_2)
	v_mul_hi_u32 v19, s16, v18
	v_mul_lo_u32 v21, v18, s12
	v_add_nc_u32_e32 v19, v18, v19
	s_delay_alu instid0(VALU_DEP_2) | instskip(NEXT) | instid1(VALU_DEP_2)
	v_sub_nc_u32_e32 v17, v17, v21
	v_lshrrev_b32_e32 v19, s17, v19
	s_delay_alu instid0(VALU_DEP_2) | instskip(SKIP_1) | instid1(VALU_DEP_3)
	v_mul_lo_u32 v21, v17, s24
	v_mul_lo_u32 v23, v17, s25
	v_mul_hi_u32 v20, s19, v19
	s_delay_alu instid0(VALU_DEP_1) | instskip(NEXT) | instid1(VALU_DEP_1)
	v_add_nc_u32_e32 v20, v19, v20
	v_lshrrev_b32_e32 v20, s36, v20
	s_delay_alu instid0(VALU_DEP_1) | instskip(SKIP_1) | instid1(VALU_DEP_2)
	v_mul_hi_u32 v22, s38, v20
	v_mul_lo_u32 v24, v20, s18
	v_add_nc_u32_e32 v17, v20, v22
	v_mul_lo_u32 v22, v19, s15
	s_delay_alu instid0(VALU_DEP_3) | instskip(NEXT) | instid1(VALU_DEP_3)
	v_sub_nc_u32_e32 v19, v19, v24
	v_lshrrev_b32_e32 v17, s39, v17
	s_delay_alu instid0(VALU_DEP_2) | instskip(SKIP_2) | instid1(VALU_DEP_4)
	v_mul_lo_u32 v24, v19, s28
	v_mul_lo_u32 v19, v19, s29
	v_sub_nc_u32_e32 v18, v18, v22
	v_mul_lo_u32 v25, v17, s37
	s_delay_alu instid0(VALU_DEP_2) | instskip(SKIP_1) | instid1(VALU_DEP_3)
	v_mul_lo_u32 v22, v18, s26
	v_mul_lo_u32 v18, v18, s27
	v_sub_nc_u32_e32 v20, v20, v25
	s_delay_alu instid0(VALU_DEP_3) | instskip(NEXT) | instid1(VALU_DEP_2)
	v_add3_u32 v14, v21, v14, v22
	v_mul_lo_u32 v25, v20, s30
	v_mul_lo_u32 v20, v20, s31
	v_add3_u32 v15, v23, v15, v18
	s_delay_alu instid0(VALU_DEP_3) | instskip(NEXT) | instid1(VALU_DEP_2)
	v_add3_u32 v14, v24, v14, v25
	v_add3_u32 v15, v19, v15, v20
	s_cbranch_scc1 .LBB383_111
; %bb.112:
	s_and_b32 s7, s7, 3
	s_delay_alu instid0(SALU_CYCLE_1)
	s_cmp_eq_u32 s7, 0
	s_cbranch_scc0 .LBB383_115
	s_branch .LBB383_117
.LBB383_113:
	s_mov_b32 s6, -1
                                        ; implicit-def: $vgpr14
                                        ; implicit-def: $vgpr15
	s_branch .LBB383_117
.LBB383_114:
	v_mov_b32_e32 v17, v16
	v_mov_b32_e32 v15, 0
	s_and_b32 s7, s7, 3
	s_delay_alu instid0(SALU_CYCLE_1)
	s_cmp_eq_u32 s7, 0
	s_cbranch_scc1 .LBB383_117
.LBB383_115:
	s_lshl_b32 s2, s8, 3
	s_mul_i32 s4, s8, 12
	s_add_u32 s2, s2, s0
	s_addc_u32 s3, 0, s1
	s_add_u32 s2, s2, 0xc4
	s_addc_u32 s3, s3, 0
	;; [unrolled: 2-line block ×3, first 2 shown]
	.p2align	6
.LBB383_116:                            ; =>This Inner Loop Header: Depth=1
	s_clause 0x1
	s_load_b64 s[8:9], s[4:5], 0x4
	s_load_b32 s12, s[4:5], 0xc
	s_load_b64 s[10:11], s[2:3], 0x0
	s_add_u32 s4, s4, 12
	s_addc_u32 s5, s5, 0
	s_add_u32 s2, s2, 8
	s_addc_u32 s3, s3, 0
	s_add_i32 s7, s7, -1
	s_delay_alu instid0(SALU_CYCLE_1) | instskip(SKIP_2) | instid1(VALU_DEP_1)
	s_cmp_lg_u32 s7, 0
	s_waitcnt lgkmcnt(0)
	v_mul_hi_u32 v18, s9, v17
	v_add_nc_u32_e32 v18, v17, v18
	s_delay_alu instid0(VALU_DEP_1) | instskip(NEXT) | instid1(VALU_DEP_1)
	v_lshrrev_b32_e32 v21, s12, v18
	v_mul_lo_u32 v18, v21, s8
	s_delay_alu instid0(VALU_DEP_1) | instskip(NEXT) | instid1(VALU_DEP_1)
	v_sub_nc_u32_e32 v17, v17, v18
	v_mad_u64_u32 v[18:19], null, v17, s10, v[14:15]
	v_mad_u64_u32 v[19:20], null, v17, s11, v[15:16]
	s_delay_alu instid0(VALU_DEP_2) | instskip(NEXT) | instid1(VALU_DEP_2)
	v_dual_mov_b32 v17, v21 :: v_dual_mov_b32 v14, v18
	v_mov_b32_e32 v15, v19
	s_cbranch_scc1 .LBB383_116
.LBB383_117:
	s_and_not1_b32 vcc_lo, exec_lo, s6
	s_cbranch_vccnz .LBB383_120
; %bb.118:
	s_clause 0x1
	s_load_b128 s[4:7], s[0:1], 0x4
	s_load_b64 s[2:3], s[0:1], 0xc4
	s_cmp_lt_u32 s22, 2
	s_waitcnt lgkmcnt(0)
	v_mul_hi_u32 v14, s5, v16
	s_delay_alu instid0(VALU_DEP_1) | instskip(NEXT) | instid1(VALU_DEP_1)
	v_add_nc_u32_e32 v14, v16, v14
	v_lshrrev_b32_e32 v17, s6, v14
	s_delay_alu instid0(VALU_DEP_1) | instskip(NEXT) | instid1(VALU_DEP_1)
	v_mul_lo_u32 v14, v17, s4
	v_sub_nc_u32_e32 v15, v16, v14
	s_delay_alu instid0(VALU_DEP_1)
	v_mul_lo_u32 v14, v15, s2
	v_mul_lo_u32 v15, v15, s3
	s_cbranch_scc1 .LBB383_120
; %bb.119:
	s_clause 0x1
	s_load_b128 s[4:7], s[0:1], 0x10
	s_load_b64 s[2:3], s[0:1], 0xcc
	s_waitcnt lgkmcnt(0)
	v_mul_hi_u32 v16, s5, v17
	s_delay_alu instid0(VALU_DEP_1) | instskip(NEXT) | instid1(VALU_DEP_1)
	v_add_nc_u32_e32 v16, v17, v16
	v_lshrrev_b32_e32 v16, s6, v16
	s_delay_alu instid0(VALU_DEP_1) | instskip(NEXT) | instid1(VALU_DEP_1)
	v_mul_lo_u32 v16, v16, s4
	v_sub_nc_u32_e32 v19, v17, v16
	s_delay_alu instid0(VALU_DEP_1) | instskip(NEXT) | instid1(VALU_DEP_1)
	v_mad_u64_u32 v[16:17], null, v19, s2, v[14:15]
	v_mad_u64_u32 v[17:18], null, v19, s3, v[15:16]
	s_delay_alu instid0(VALU_DEP_1)
	v_dual_mov_b32 v14, v16 :: v_dual_mov_b32 v15, v17
.LBB383_120:
	s_clause 0x1
	s_load_b128 s[4:7], s[0:1], 0x148
	s_load_b32 s0, s[0:1], 0x158
	s_waitcnt lgkmcnt(0)
	s_clause 0x7
	global_load_u16 v1, v1, s[6:7]
	global_load_u16 v3, v3, s[6:7]
	;; [unrolled: 1-line block ×8, first 2 shown]
	s_waitcnt vmcnt(7)
	v_max_i16 v1, v1, s0
	s_waitcnt vmcnt(6)
	v_max_i16 v3, v3, s0
	;; [unrolled: 2-line block ×8, first 2 shown]
	s_clause 0x7
	global_store_b16 v0, v1, s[4:5]
	global_store_b16 v2, v3, s[4:5]
	;; [unrolled: 1-line block ×8, first 2 shown]
	s_nop 0
	s_sendmsg sendmsg(MSG_DEALLOC_VGPRS)
	s_endpgm
.LBB383_121:
	v_dual_mov_b32 v2, v12 :: v_dual_mov_b32 v1, 0
.LBB383_122:
	s_and_b32 s35, s35, 3
	s_delay_alu instid0(SALU_CYCLE_1)
	s_cmp_eq_u32 s35, 0
	s_cbranch_scc1 .LBB383_125
; %bb.123:
	s_lshl_b32 s18, s34, 3
	s_mul_i32 s20, s34, 12
	s_add_u32 s18, s18, s0
	s_addc_u32 s19, s1, 0
	s_add_u32 s18, s18, 0xc4
	s_addc_u32 s19, s19, 0
	;; [unrolled: 2-line block ×3, first 2 shown]
	.p2align	6
.LBB383_124:                            ; =>This Inner Loop Header: Depth=1
	s_clause 0x1
	s_load_b64 s[36:37], s[20:21], 0x4
	s_load_b32 s34, s[20:21], 0xc
	s_load_b64 s[38:39], s[18:19], 0x0
	s_add_u32 s20, s20, 12
	s_addc_u32 s21, s21, 0
	s_add_u32 s18, s18, 8
	s_addc_u32 s19, s19, 0
	s_add_i32 s35, s35, -1
	s_delay_alu instid0(SALU_CYCLE_1) | instskip(SKIP_2) | instid1(VALU_DEP_1)
	s_cmp_lg_u32 s35, 0
	s_waitcnt lgkmcnt(0)
	v_mul_hi_u32 v3, s37, v2
	v_add_nc_u32_e32 v3, v2, v3
	s_delay_alu instid0(VALU_DEP_1) | instskip(NEXT) | instid1(VALU_DEP_1)
	v_lshrrev_b32_e32 v6, s34, v3
	v_mul_lo_u32 v3, v6, s36
	s_delay_alu instid0(VALU_DEP_1) | instskip(NEXT) | instid1(VALU_DEP_1)
	v_sub_nc_u32_e32 v2, v2, v3
	v_mad_u64_u32 v[3:4], null, v2, s38, v[0:1]
	v_mad_u64_u32 v[4:5], null, v2, s39, v[1:2]
	v_mov_b32_e32 v2, v6
	s_delay_alu instid0(VALU_DEP_2)
	v_dual_mov_b32 v0, v3 :: v_dual_mov_b32 v1, v4
	s_cbranch_scc1 .LBB383_124
.LBB383_125:
	s_and_not1_b32 vcc_lo, exec_lo, s33
	s_cbranch_vccnz .LBB383_128
; %bb.126:
	s_waitcnt lgkmcnt(0)
	v_mul_hi_u32 v0, s13, v12
	s_and_not1_b32 vcc_lo, exec_lo, s27
	s_delay_alu instid0(VALU_DEP_1) | instskip(NEXT) | instid1(VALU_DEP_1)
	v_add_nc_u32_e32 v0, v12, v0
	v_lshrrev_b32_e32 v2, s14, v0
	s_delay_alu instid0(VALU_DEP_1) | instskip(NEXT) | instid1(VALU_DEP_1)
	v_mul_lo_u32 v0, v2, s12
	v_sub_nc_u32_e32 v1, v12, v0
	s_delay_alu instid0(VALU_DEP_1)
	v_mul_lo_u32 v0, v1, s8
	v_mul_lo_u32 v1, v1, s9
	s_cbranch_vccnz .LBB383_128
; %bb.127:
	v_mul_hi_u32 v3, s2, v2
	s_delay_alu instid0(VALU_DEP_1) | instskip(NEXT) | instid1(VALU_DEP_1)
	v_add_nc_u32_e32 v3, v2, v3
	v_lshrrev_b32_e32 v3, s3, v3
	s_delay_alu instid0(VALU_DEP_1) | instskip(NEXT) | instid1(VALU_DEP_1)
	v_mul_lo_u32 v3, v3, s15
	v_sub_nc_u32_e32 v5, v2, v3
	s_delay_alu instid0(VALU_DEP_1) | instskip(NEXT) | instid1(VALU_DEP_1)
	v_mad_u64_u32 v[2:3], null, v5, s10, v[0:1]
	v_mad_u64_u32 v[3:4], null, v5, s11, v[1:2]
	s_delay_alu instid0(VALU_DEP_1)
	v_dual_mov_b32 v0, v2 :: v_dual_mov_b32 v1, v3
.LBB383_128:
	s_waitcnt lgkmcnt(0)
	global_load_u16 v1, v1, s[6:7]
	v_add_nc_u32_e32 v12, 0x80, v12
	s_waitcnt vmcnt(0)
	v_max_i16 v1, v1, s26
	global_store_b16 v0, v1, s[4:5]
	s_or_b32 exec_lo, exec_lo, s31
	s_delay_alu instid0(SALU_CYCLE_1)
	s_mov_b32 s31, exec_lo
	v_cmpx_gt_i32_e64 s28, v12
	s_cbranch_execnz .LBB383_15
.LBB383_129:
	s_or_b32 exec_lo, exec_lo, s31
	s_delay_alu instid0(SALU_CYCLE_1)
	s_mov_b32 s31, exec_lo
	v_cmpx_gt_i32_e64 s28, v12
	s_cbranch_execz .LBB383_144
.LBB383_130:
	s_and_not1_b32 vcc_lo, exec_lo, s24
	s_cbranch_vccnz .LBB383_135
; %bb.131:
	v_dual_mov_b32 v0, 0 :: v_dual_mov_b32 v1, 0
	s_and_not1_b32 vcc_lo, exec_lo, s30
	s_mov_b32 s33, 0
	s_cbranch_vccnz .LBB383_155
; %bb.132:
	v_mov_b32_e32 v0, 0
	s_add_i32 s35, s29, 1
	s_cmp_eq_u32 s23, 2
	s_mov_b32 s34, 0
	s_cbranch_scc1 .LBB383_151
; %bb.133:
	v_dual_mov_b32 v1, 0 :: v_dual_mov_b32 v0, 0
	v_mov_b32_e32 v2, v12
	s_and_b32 s34, s35, 28
	s_mov_b32 s36, 0
	s_mov_b64 s[18:19], s[16:17]
	s_mov_b64 s[20:21], s[0:1]
.LBB383_134:                            ; =>This Inner Loop Header: Depth=1
	s_clause 0x1
	s_load_b256 s[40:47], s[20:21], 0x4
	s_load_b128 s[56:59], s[20:21], 0x24
	s_load_b256 s[48:55], s[18:19], 0x0
	s_add_u32 s20, s20, 48
	s_addc_u32 s21, s21, 0
	s_add_i32 s36, s36, 4
	s_add_u32 s18, s18, 32
	s_addc_u32 s19, s19, 0
	s_cmp_eq_u32 s34, s36
	s_waitcnt lgkmcnt(0)
	v_mul_hi_u32 v3, s41, v2
	s_delay_alu instid0(VALU_DEP_1) | instskip(NEXT) | instid1(VALU_DEP_1)
	v_add_nc_u32_e32 v3, v2, v3
	v_lshrrev_b32_e32 v3, s42, v3
	s_delay_alu instid0(VALU_DEP_1) | instskip(SKIP_1) | instid1(VALU_DEP_2)
	v_mul_hi_u32 v4, s44, v3
	v_mul_lo_u32 v6, v3, s40
	v_add_nc_u32_e32 v4, v3, v4
	s_delay_alu instid0(VALU_DEP_2) | instskip(NEXT) | instid1(VALU_DEP_2)
	v_sub_nc_u32_e32 v2, v2, v6
	v_lshrrev_b32_e32 v4, s45, v4
	s_delay_alu instid0(VALU_DEP_2) | instskip(SKIP_1) | instid1(VALU_DEP_3)
	v_mul_lo_u32 v6, v2, s48
	v_mul_lo_u32 v8, v2, s49
	v_mul_hi_u32 v5, s47, v4
	s_delay_alu instid0(VALU_DEP_1) | instskip(NEXT) | instid1(VALU_DEP_1)
	v_add_nc_u32_e32 v5, v4, v5
	v_lshrrev_b32_e32 v5, s56, v5
	s_delay_alu instid0(VALU_DEP_1) | instskip(SKIP_1) | instid1(VALU_DEP_2)
	v_mul_hi_u32 v7, s58, v5
	v_mul_lo_u32 v9, v5, s46
	v_add_nc_u32_e32 v2, v5, v7
	v_mul_lo_u32 v7, v4, s43
	s_delay_alu instid0(VALU_DEP_3) | instskip(NEXT) | instid1(VALU_DEP_3)
	v_sub_nc_u32_e32 v4, v4, v9
	v_lshrrev_b32_e32 v2, s59, v2
	s_delay_alu instid0(VALU_DEP_2) | instskip(SKIP_2) | instid1(VALU_DEP_4)
	v_mul_lo_u32 v9, v4, s52
	v_mul_lo_u32 v4, v4, s53
	v_sub_nc_u32_e32 v3, v3, v7
	v_mul_lo_u32 v10, v2, s57
	s_delay_alu instid0(VALU_DEP_2) | instskip(SKIP_1) | instid1(VALU_DEP_3)
	v_mul_lo_u32 v7, v3, s50
	v_mul_lo_u32 v3, v3, s51
	v_sub_nc_u32_e32 v5, v5, v10
	s_delay_alu instid0(VALU_DEP_3) | instskip(NEXT) | instid1(VALU_DEP_2)
	v_add3_u32 v0, v6, v0, v7
	v_mul_lo_u32 v10, v5, s54
	v_mul_lo_u32 v5, v5, s55
	v_add3_u32 v1, v8, v1, v3
	s_delay_alu instid0(VALU_DEP_3) | instskip(NEXT) | instid1(VALU_DEP_2)
	v_add3_u32 v0, v9, v0, v10
	v_add3_u32 v1, v4, v1, v5
	s_cbranch_scc0 .LBB383_134
	s_branch .LBB383_152
.LBB383_135:
	s_mov_b32 s33, -1
                                        ; implicit-def: $vgpr0
                                        ; implicit-def: $vgpr1
	s_branch .LBB383_155
.LBB383_136:
	v_dual_mov_b32 v2, v12 :: v_dual_mov_b32 v1, 0
.LBB383_137:
	s_and_b32 s35, s35, 3
	s_delay_alu instid0(SALU_CYCLE_1)
	s_cmp_eq_u32 s35, 0
	s_cbranch_scc1 .LBB383_140
; %bb.138:
	s_lshl_b32 s18, s34, 3
	s_mul_i32 s20, s34, 12
	s_add_u32 s18, s18, s0
	s_addc_u32 s19, s1, 0
	s_add_u32 s18, s18, 0xc4
	s_addc_u32 s19, s19, 0
	;; [unrolled: 2-line block ×3, first 2 shown]
	.p2align	6
.LBB383_139:                            ; =>This Inner Loop Header: Depth=1
	s_clause 0x1
	s_load_b64 s[36:37], s[20:21], 0x4
	s_load_b32 s34, s[20:21], 0xc
	s_load_b64 s[38:39], s[18:19], 0x0
	s_add_u32 s20, s20, 12
	s_addc_u32 s21, s21, 0
	s_add_u32 s18, s18, 8
	s_addc_u32 s19, s19, 0
	s_add_i32 s35, s35, -1
	s_delay_alu instid0(SALU_CYCLE_1) | instskip(SKIP_2) | instid1(VALU_DEP_1)
	s_cmp_lg_u32 s35, 0
	s_waitcnt lgkmcnt(0)
	v_mul_hi_u32 v3, s37, v2
	v_add_nc_u32_e32 v3, v2, v3
	s_delay_alu instid0(VALU_DEP_1) | instskip(NEXT) | instid1(VALU_DEP_1)
	v_lshrrev_b32_e32 v6, s34, v3
	v_mul_lo_u32 v3, v6, s36
	s_delay_alu instid0(VALU_DEP_1) | instskip(NEXT) | instid1(VALU_DEP_1)
	v_sub_nc_u32_e32 v2, v2, v3
	v_mad_u64_u32 v[3:4], null, v2, s38, v[0:1]
	v_mad_u64_u32 v[4:5], null, v2, s39, v[1:2]
	v_mov_b32_e32 v2, v6
	s_delay_alu instid0(VALU_DEP_2)
	v_dual_mov_b32 v0, v3 :: v_dual_mov_b32 v1, v4
	s_cbranch_scc1 .LBB383_139
.LBB383_140:
	s_and_not1_b32 vcc_lo, exec_lo, s33
	s_cbranch_vccnz .LBB383_143
; %bb.141:
	s_waitcnt lgkmcnt(0)
	v_mul_hi_u32 v0, s13, v12
	s_and_not1_b32 vcc_lo, exec_lo, s27
	s_delay_alu instid0(VALU_DEP_1) | instskip(NEXT) | instid1(VALU_DEP_1)
	v_add_nc_u32_e32 v0, v12, v0
	v_lshrrev_b32_e32 v2, s14, v0
	s_delay_alu instid0(VALU_DEP_1) | instskip(NEXT) | instid1(VALU_DEP_1)
	v_mul_lo_u32 v0, v2, s12
	v_sub_nc_u32_e32 v1, v12, v0
	s_delay_alu instid0(VALU_DEP_1)
	v_mul_lo_u32 v0, v1, s8
	v_mul_lo_u32 v1, v1, s9
	s_cbranch_vccnz .LBB383_143
; %bb.142:
	v_mul_hi_u32 v3, s2, v2
	s_delay_alu instid0(VALU_DEP_1) | instskip(NEXT) | instid1(VALU_DEP_1)
	v_add_nc_u32_e32 v3, v2, v3
	v_lshrrev_b32_e32 v3, s3, v3
	s_delay_alu instid0(VALU_DEP_1) | instskip(NEXT) | instid1(VALU_DEP_1)
	v_mul_lo_u32 v3, v3, s15
	v_sub_nc_u32_e32 v5, v2, v3
	s_delay_alu instid0(VALU_DEP_1) | instskip(NEXT) | instid1(VALU_DEP_1)
	v_mad_u64_u32 v[2:3], null, v5, s10, v[0:1]
	v_mad_u64_u32 v[3:4], null, v5, s11, v[1:2]
	s_delay_alu instid0(VALU_DEP_1)
	v_dual_mov_b32 v0, v2 :: v_dual_mov_b32 v1, v3
.LBB383_143:
	s_waitcnt lgkmcnt(0)
	global_load_u16 v1, v1, s[6:7]
	v_add_nc_u32_e32 v12, 0x80, v12
	s_waitcnt vmcnt(0)
	v_max_i16 v1, v1, s26
	global_store_b16 v0, v1, s[4:5]
	s_or_b32 exec_lo, exec_lo, s31
	s_delay_alu instid0(SALU_CYCLE_1)
	s_mov_b32 s31, exec_lo
	v_cmpx_gt_i32_e64 s28, v12
	s_cbranch_execnz .LBB383_130
.LBB383_144:
	s_or_b32 exec_lo, exec_lo, s31
	s_delay_alu instid0(SALU_CYCLE_1)
	s_mov_b32 s31, exec_lo
	v_cmpx_gt_i32_e64 s28, v12
	s_cbranch_execz .LBB383_159
.LBB383_145:
	s_and_not1_b32 vcc_lo, exec_lo, s24
	s_cbranch_vccnz .LBB383_150
; %bb.146:
	v_dual_mov_b32 v0, 0 :: v_dual_mov_b32 v1, 0
	s_and_not1_b32 vcc_lo, exec_lo, s30
	s_mov_b32 s33, 0
	s_cbranch_vccnz .LBB383_170
; %bb.147:
	v_mov_b32_e32 v0, 0
	s_add_i32 s35, s29, 1
	s_cmp_eq_u32 s23, 2
	s_mov_b32 s34, 0
	s_cbranch_scc1 .LBB383_166
; %bb.148:
	v_dual_mov_b32 v1, 0 :: v_dual_mov_b32 v0, 0
	v_mov_b32_e32 v2, v12
	s_and_b32 s34, s35, 28
	s_mov_b32 s36, 0
	s_mov_b64 s[18:19], s[16:17]
	s_mov_b64 s[20:21], s[0:1]
.LBB383_149:                            ; =>This Inner Loop Header: Depth=1
	s_clause 0x1
	s_load_b256 s[40:47], s[20:21], 0x4
	s_load_b128 s[56:59], s[20:21], 0x24
	s_load_b256 s[48:55], s[18:19], 0x0
	s_add_u32 s20, s20, 48
	s_addc_u32 s21, s21, 0
	s_add_i32 s36, s36, 4
	s_add_u32 s18, s18, 32
	s_addc_u32 s19, s19, 0
	s_cmp_eq_u32 s34, s36
	s_waitcnt lgkmcnt(0)
	v_mul_hi_u32 v3, s41, v2
	s_delay_alu instid0(VALU_DEP_1) | instskip(NEXT) | instid1(VALU_DEP_1)
	v_add_nc_u32_e32 v3, v2, v3
	v_lshrrev_b32_e32 v3, s42, v3
	s_delay_alu instid0(VALU_DEP_1) | instskip(SKIP_1) | instid1(VALU_DEP_2)
	v_mul_hi_u32 v4, s44, v3
	v_mul_lo_u32 v6, v3, s40
	v_add_nc_u32_e32 v4, v3, v4
	s_delay_alu instid0(VALU_DEP_2) | instskip(NEXT) | instid1(VALU_DEP_2)
	v_sub_nc_u32_e32 v2, v2, v6
	v_lshrrev_b32_e32 v4, s45, v4
	s_delay_alu instid0(VALU_DEP_2) | instskip(SKIP_1) | instid1(VALU_DEP_3)
	v_mul_lo_u32 v6, v2, s48
	v_mul_lo_u32 v8, v2, s49
	v_mul_hi_u32 v5, s47, v4
	s_delay_alu instid0(VALU_DEP_1) | instskip(NEXT) | instid1(VALU_DEP_1)
	v_add_nc_u32_e32 v5, v4, v5
	v_lshrrev_b32_e32 v5, s56, v5
	s_delay_alu instid0(VALU_DEP_1) | instskip(SKIP_1) | instid1(VALU_DEP_2)
	v_mul_hi_u32 v7, s58, v5
	v_mul_lo_u32 v9, v5, s46
	v_add_nc_u32_e32 v2, v5, v7
	v_mul_lo_u32 v7, v4, s43
	s_delay_alu instid0(VALU_DEP_3) | instskip(NEXT) | instid1(VALU_DEP_3)
	v_sub_nc_u32_e32 v4, v4, v9
	v_lshrrev_b32_e32 v2, s59, v2
	s_delay_alu instid0(VALU_DEP_2) | instskip(SKIP_2) | instid1(VALU_DEP_4)
	v_mul_lo_u32 v9, v4, s52
	v_mul_lo_u32 v4, v4, s53
	v_sub_nc_u32_e32 v3, v3, v7
	v_mul_lo_u32 v10, v2, s57
	s_delay_alu instid0(VALU_DEP_2) | instskip(SKIP_1) | instid1(VALU_DEP_3)
	v_mul_lo_u32 v7, v3, s50
	v_mul_lo_u32 v3, v3, s51
	v_sub_nc_u32_e32 v5, v5, v10
	s_delay_alu instid0(VALU_DEP_3) | instskip(NEXT) | instid1(VALU_DEP_2)
	v_add3_u32 v0, v6, v0, v7
	v_mul_lo_u32 v10, v5, s54
	v_mul_lo_u32 v5, v5, s55
	v_add3_u32 v1, v8, v1, v3
	s_delay_alu instid0(VALU_DEP_3) | instskip(NEXT) | instid1(VALU_DEP_2)
	v_add3_u32 v0, v9, v0, v10
	v_add3_u32 v1, v4, v1, v5
	s_cbranch_scc0 .LBB383_149
	s_branch .LBB383_167
.LBB383_150:
	s_mov_b32 s33, -1
                                        ; implicit-def: $vgpr0
                                        ; implicit-def: $vgpr1
	s_branch .LBB383_170
.LBB383_151:
	v_dual_mov_b32 v2, v12 :: v_dual_mov_b32 v1, 0
.LBB383_152:
	s_and_b32 s35, s35, 3
	s_delay_alu instid0(SALU_CYCLE_1)
	s_cmp_eq_u32 s35, 0
	s_cbranch_scc1 .LBB383_155
; %bb.153:
	s_lshl_b32 s18, s34, 3
	s_mul_i32 s20, s34, 12
	s_add_u32 s18, s18, s0
	s_addc_u32 s19, s1, 0
	s_add_u32 s18, s18, 0xc4
	s_addc_u32 s19, s19, 0
	;; [unrolled: 2-line block ×3, first 2 shown]
	.p2align	6
.LBB383_154:                            ; =>This Inner Loop Header: Depth=1
	s_clause 0x1
	s_load_b64 s[36:37], s[20:21], 0x4
	s_load_b32 s34, s[20:21], 0xc
	s_load_b64 s[38:39], s[18:19], 0x0
	s_add_u32 s20, s20, 12
	s_addc_u32 s21, s21, 0
	s_add_u32 s18, s18, 8
	s_addc_u32 s19, s19, 0
	s_add_i32 s35, s35, -1
	s_delay_alu instid0(SALU_CYCLE_1) | instskip(SKIP_2) | instid1(VALU_DEP_1)
	s_cmp_lg_u32 s35, 0
	s_waitcnt lgkmcnt(0)
	v_mul_hi_u32 v3, s37, v2
	v_add_nc_u32_e32 v3, v2, v3
	s_delay_alu instid0(VALU_DEP_1) | instskip(NEXT) | instid1(VALU_DEP_1)
	v_lshrrev_b32_e32 v6, s34, v3
	v_mul_lo_u32 v3, v6, s36
	s_delay_alu instid0(VALU_DEP_1) | instskip(NEXT) | instid1(VALU_DEP_1)
	v_sub_nc_u32_e32 v2, v2, v3
	v_mad_u64_u32 v[3:4], null, v2, s38, v[0:1]
	v_mad_u64_u32 v[4:5], null, v2, s39, v[1:2]
	v_mov_b32_e32 v2, v6
	s_delay_alu instid0(VALU_DEP_2)
	v_dual_mov_b32 v0, v3 :: v_dual_mov_b32 v1, v4
	s_cbranch_scc1 .LBB383_154
.LBB383_155:
	s_and_not1_b32 vcc_lo, exec_lo, s33
	s_cbranch_vccnz .LBB383_158
; %bb.156:
	s_waitcnt lgkmcnt(0)
	v_mul_hi_u32 v0, s13, v12
	s_and_not1_b32 vcc_lo, exec_lo, s27
	s_delay_alu instid0(VALU_DEP_1) | instskip(NEXT) | instid1(VALU_DEP_1)
	v_add_nc_u32_e32 v0, v12, v0
	v_lshrrev_b32_e32 v2, s14, v0
	s_delay_alu instid0(VALU_DEP_1) | instskip(NEXT) | instid1(VALU_DEP_1)
	v_mul_lo_u32 v0, v2, s12
	v_sub_nc_u32_e32 v1, v12, v0
	s_delay_alu instid0(VALU_DEP_1)
	v_mul_lo_u32 v0, v1, s8
	v_mul_lo_u32 v1, v1, s9
	s_cbranch_vccnz .LBB383_158
; %bb.157:
	v_mul_hi_u32 v3, s2, v2
	s_delay_alu instid0(VALU_DEP_1) | instskip(NEXT) | instid1(VALU_DEP_1)
	v_add_nc_u32_e32 v3, v2, v3
	v_lshrrev_b32_e32 v3, s3, v3
	s_delay_alu instid0(VALU_DEP_1) | instskip(NEXT) | instid1(VALU_DEP_1)
	v_mul_lo_u32 v3, v3, s15
	v_sub_nc_u32_e32 v5, v2, v3
	s_delay_alu instid0(VALU_DEP_1) | instskip(NEXT) | instid1(VALU_DEP_1)
	v_mad_u64_u32 v[2:3], null, v5, s10, v[0:1]
	v_mad_u64_u32 v[3:4], null, v5, s11, v[1:2]
	s_delay_alu instid0(VALU_DEP_1)
	v_dual_mov_b32 v0, v2 :: v_dual_mov_b32 v1, v3
.LBB383_158:
	s_waitcnt lgkmcnt(0)
	global_load_u16 v1, v1, s[6:7]
	v_add_nc_u32_e32 v12, 0x80, v12
	s_waitcnt vmcnt(0)
	v_max_i16 v1, v1, s26
	global_store_b16 v0, v1, s[4:5]
	s_or_b32 exec_lo, exec_lo, s31
	s_delay_alu instid0(SALU_CYCLE_1)
	s_mov_b32 s31, exec_lo
	v_cmpx_gt_i32_e64 s28, v12
	s_cbranch_execnz .LBB383_145
.LBB383_159:
	s_or_b32 exec_lo, exec_lo, s31
	s_delay_alu instid0(SALU_CYCLE_1)
	s_mov_b32 s31, exec_lo
	v_cmpx_gt_i32_e64 s28, v12
	s_cbranch_execz .LBB383_174
.LBB383_160:
	s_and_not1_b32 vcc_lo, exec_lo, s24
	s_cbranch_vccnz .LBB383_165
; %bb.161:
	v_dual_mov_b32 v0, 0 :: v_dual_mov_b32 v1, 0
	s_and_not1_b32 vcc_lo, exec_lo, s30
	s_mov_b32 s33, 0
	s_cbranch_vccnz .LBB383_185
; %bb.162:
	v_mov_b32_e32 v0, 0
	s_add_i32 s35, s29, 1
	s_cmp_eq_u32 s23, 2
	s_mov_b32 s34, 0
	s_cbranch_scc1 .LBB383_181
; %bb.163:
	v_dual_mov_b32 v1, 0 :: v_dual_mov_b32 v0, 0
	v_mov_b32_e32 v2, v12
	s_and_b32 s34, s35, 28
	s_mov_b32 s36, 0
	s_mov_b64 s[18:19], s[16:17]
	s_mov_b64 s[20:21], s[0:1]
.LBB383_164:                            ; =>This Inner Loop Header: Depth=1
	s_clause 0x1
	s_load_b256 s[40:47], s[20:21], 0x4
	s_load_b128 s[56:59], s[20:21], 0x24
	s_load_b256 s[48:55], s[18:19], 0x0
	s_add_u32 s20, s20, 48
	s_addc_u32 s21, s21, 0
	s_add_i32 s36, s36, 4
	s_add_u32 s18, s18, 32
	s_addc_u32 s19, s19, 0
	s_cmp_eq_u32 s34, s36
	s_waitcnt lgkmcnt(0)
	v_mul_hi_u32 v3, s41, v2
	s_delay_alu instid0(VALU_DEP_1) | instskip(NEXT) | instid1(VALU_DEP_1)
	v_add_nc_u32_e32 v3, v2, v3
	v_lshrrev_b32_e32 v3, s42, v3
	s_delay_alu instid0(VALU_DEP_1) | instskip(SKIP_1) | instid1(VALU_DEP_2)
	v_mul_hi_u32 v4, s44, v3
	v_mul_lo_u32 v6, v3, s40
	v_add_nc_u32_e32 v4, v3, v4
	s_delay_alu instid0(VALU_DEP_2) | instskip(NEXT) | instid1(VALU_DEP_2)
	v_sub_nc_u32_e32 v2, v2, v6
	v_lshrrev_b32_e32 v4, s45, v4
	s_delay_alu instid0(VALU_DEP_2) | instskip(SKIP_1) | instid1(VALU_DEP_3)
	v_mul_lo_u32 v6, v2, s48
	v_mul_lo_u32 v8, v2, s49
	v_mul_hi_u32 v5, s47, v4
	s_delay_alu instid0(VALU_DEP_1) | instskip(NEXT) | instid1(VALU_DEP_1)
	v_add_nc_u32_e32 v5, v4, v5
	v_lshrrev_b32_e32 v5, s56, v5
	s_delay_alu instid0(VALU_DEP_1) | instskip(SKIP_1) | instid1(VALU_DEP_2)
	v_mul_hi_u32 v7, s58, v5
	v_mul_lo_u32 v9, v5, s46
	v_add_nc_u32_e32 v2, v5, v7
	v_mul_lo_u32 v7, v4, s43
	s_delay_alu instid0(VALU_DEP_3) | instskip(NEXT) | instid1(VALU_DEP_3)
	v_sub_nc_u32_e32 v4, v4, v9
	v_lshrrev_b32_e32 v2, s59, v2
	s_delay_alu instid0(VALU_DEP_2) | instskip(SKIP_2) | instid1(VALU_DEP_4)
	v_mul_lo_u32 v9, v4, s52
	v_mul_lo_u32 v4, v4, s53
	v_sub_nc_u32_e32 v3, v3, v7
	v_mul_lo_u32 v10, v2, s57
	s_delay_alu instid0(VALU_DEP_2) | instskip(SKIP_1) | instid1(VALU_DEP_3)
	v_mul_lo_u32 v7, v3, s50
	v_mul_lo_u32 v3, v3, s51
	v_sub_nc_u32_e32 v5, v5, v10
	s_delay_alu instid0(VALU_DEP_3) | instskip(NEXT) | instid1(VALU_DEP_2)
	v_add3_u32 v0, v6, v0, v7
	v_mul_lo_u32 v10, v5, s54
	v_mul_lo_u32 v5, v5, s55
	v_add3_u32 v1, v8, v1, v3
	s_delay_alu instid0(VALU_DEP_3) | instskip(NEXT) | instid1(VALU_DEP_2)
	v_add3_u32 v0, v9, v0, v10
	v_add3_u32 v1, v4, v1, v5
	s_cbranch_scc0 .LBB383_164
	s_branch .LBB383_182
.LBB383_165:
	s_mov_b32 s33, -1
                                        ; implicit-def: $vgpr0
                                        ; implicit-def: $vgpr1
	s_branch .LBB383_185
.LBB383_166:
	v_dual_mov_b32 v2, v12 :: v_dual_mov_b32 v1, 0
.LBB383_167:
	s_and_b32 s35, s35, 3
	s_delay_alu instid0(SALU_CYCLE_1)
	s_cmp_eq_u32 s35, 0
	s_cbranch_scc1 .LBB383_170
; %bb.168:
	s_lshl_b32 s18, s34, 3
	s_mul_i32 s20, s34, 12
	s_add_u32 s18, s18, s0
	s_addc_u32 s19, s1, 0
	s_add_u32 s18, s18, 0xc4
	s_addc_u32 s19, s19, 0
	;; [unrolled: 2-line block ×3, first 2 shown]
	.p2align	6
.LBB383_169:                            ; =>This Inner Loop Header: Depth=1
	s_clause 0x1
	s_load_b64 s[36:37], s[20:21], 0x4
	s_load_b32 s34, s[20:21], 0xc
	s_load_b64 s[38:39], s[18:19], 0x0
	s_add_u32 s20, s20, 12
	s_addc_u32 s21, s21, 0
	s_add_u32 s18, s18, 8
	s_addc_u32 s19, s19, 0
	s_add_i32 s35, s35, -1
	s_delay_alu instid0(SALU_CYCLE_1) | instskip(SKIP_2) | instid1(VALU_DEP_1)
	s_cmp_lg_u32 s35, 0
	s_waitcnt lgkmcnt(0)
	v_mul_hi_u32 v3, s37, v2
	v_add_nc_u32_e32 v3, v2, v3
	s_delay_alu instid0(VALU_DEP_1) | instskip(NEXT) | instid1(VALU_DEP_1)
	v_lshrrev_b32_e32 v6, s34, v3
	v_mul_lo_u32 v3, v6, s36
	s_delay_alu instid0(VALU_DEP_1) | instskip(NEXT) | instid1(VALU_DEP_1)
	v_sub_nc_u32_e32 v2, v2, v3
	v_mad_u64_u32 v[3:4], null, v2, s38, v[0:1]
	v_mad_u64_u32 v[4:5], null, v2, s39, v[1:2]
	v_mov_b32_e32 v2, v6
	s_delay_alu instid0(VALU_DEP_2)
	v_dual_mov_b32 v0, v3 :: v_dual_mov_b32 v1, v4
	s_cbranch_scc1 .LBB383_169
.LBB383_170:
	s_and_not1_b32 vcc_lo, exec_lo, s33
	s_cbranch_vccnz .LBB383_173
; %bb.171:
	s_waitcnt lgkmcnt(0)
	v_mul_hi_u32 v0, s13, v12
	s_and_not1_b32 vcc_lo, exec_lo, s27
	s_delay_alu instid0(VALU_DEP_1) | instskip(NEXT) | instid1(VALU_DEP_1)
	v_add_nc_u32_e32 v0, v12, v0
	v_lshrrev_b32_e32 v2, s14, v0
	s_delay_alu instid0(VALU_DEP_1) | instskip(NEXT) | instid1(VALU_DEP_1)
	v_mul_lo_u32 v0, v2, s12
	v_sub_nc_u32_e32 v1, v12, v0
	s_delay_alu instid0(VALU_DEP_1)
	v_mul_lo_u32 v0, v1, s8
	v_mul_lo_u32 v1, v1, s9
	s_cbranch_vccnz .LBB383_173
; %bb.172:
	v_mul_hi_u32 v3, s2, v2
	s_delay_alu instid0(VALU_DEP_1) | instskip(NEXT) | instid1(VALU_DEP_1)
	v_add_nc_u32_e32 v3, v2, v3
	v_lshrrev_b32_e32 v3, s3, v3
	s_delay_alu instid0(VALU_DEP_1) | instskip(NEXT) | instid1(VALU_DEP_1)
	v_mul_lo_u32 v3, v3, s15
	v_sub_nc_u32_e32 v5, v2, v3
	s_delay_alu instid0(VALU_DEP_1) | instskip(NEXT) | instid1(VALU_DEP_1)
	v_mad_u64_u32 v[2:3], null, v5, s10, v[0:1]
	v_mad_u64_u32 v[3:4], null, v5, s11, v[1:2]
	s_delay_alu instid0(VALU_DEP_1)
	v_dual_mov_b32 v0, v2 :: v_dual_mov_b32 v1, v3
.LBB383_173:
	s_waitcnt lgkmcnt(0)
	global_load_u16 v1, v1, s[6:7]
	v_add_nc_u32_e32 v12, 0x80, v12
	s_waitcnt vmcnt(0)
	v_max_i16 v1, v1, s26
	global_store_b16 v0, v1, s[4:5]
	s_or_b32 exec_lo, exec_lo, s31
	s_delay_alu instid0(SALU_CYCLE_1)
	s_mov_b32 s31, exec_lo
	v_cmpx_gt_i32_e64 s28, v12
	s_cbranch_execnz .LBB383_160
.LBB383_174:
	s_or_b32 exec_lo, exec_lo, s31
	s_delay_alu instid0(SALU_CYCLE_1)
	s_mov_b32 s31, exec_lo
	v_cmpx_gt_i32_e64 s28, v12
	s_cbranch_execz .LBB383_189
.LBB383_175:
	s_and_not1_b32 vcc_lo, exec_lo, s24
	s_cbranch_vccnz .LBB383_180
; %bb.176:
	v_dual_mov_b32 v0, 0 :: v_dual_mov_b32 v1, 0
	s_and_not1_b32 vcc_lo, exec_lo, s30
	s_mov_b32 s33, 0
	s_cbranch_vccnz .LBB383_200
; %bb.177:
	v_mov_b32_e32 v0, 0
	s_add_i32 s35, s29, 1
	s_cmp_eq_u32 s23, 2
	s_mov_b32 s34, 0
	s_cbranch_scc1 .LBB383_196
; %bb.178:
	v_dual_mov_b32 v1, 0 :: v_dual_mov_b32 v0, 0
	v_mov_b32_e32 v2, v12
	s_and_b32 s34, s35, 28
	s_mov_b32 s36, 0
	s_mov_b64 s[18:19], s[16:17]
	s_mov_b64 s[20:21], s[0:1]
.LBB383_179:                            ; =>This Inner Loop Header: Depth=1
	s_clause 0x1
	s_load_b256 s[40:47], s[20:21], 0x4
	s_load_b128 s[56:59], s[20:21], 0x24
	s_load_b256 s[48:55], s[18:19], 0x0
	s_add_u32 s20, s20, 48
	s_addc_u32 s21, s21, 0
	s_add_i32 s36, s36, 4
	s_add_u32 s18, s18, 32
	s_addc_u32 s19, s19, 0
	s_cmp_eq_u32 s34, s36
	s_waitcnt lgkmcnt(0)
	v_mul_hi_u32 v3, s41, v2
	s_delay_alu instid0(VALU_DEP_1) | instskip(NEXT) | instid1(VALU_DEP_1)
	v_add_nc_u32_e32 v3, v2, v3
	v_lshrrev_b32_e32 v3, s42, v3
	s_delay_alu instid0(VALU_DEP_1) | instskip(SKIP_1) | instid1(VALU_DEP_2)
	v_mul_hi_u32 v4, s44, v3
	v_mul_lo_u32 v6, v3, s40
	v_add_nc_u32_e32 v4, v3, v4
	s_delay_alu instid0(VALU_DEP_2) | instskip(NEXT) | instid1(VALU_DEP_2)
	v_sub_nc_u32_e32 v2, v2, v6
	v_lshrrev_b32_e32 v4, s45, v4
	s_delay_alu instid0(VALU_DEP_2) | instskip(SKIP_1) | instid1(VALU_DEP_3)
	v_mul_lo_u32 v6, v2, s48
	v_mul_lo_u32 v8, v2, s49
	v_mul_hi_u32 v5, s47, v4
	s_delay_alu instid0(VALU_DEP_1) | instskip(NEXT) | instid1(VALU_DEP_1)
	v_add_nc_u32_e32 v5, v4, v5
	v_lshrrev_b32_e32 v5, s56, v5
	s_delay_alu instid0(VALU_DEP_1) | instskip(SKIP_1) | instid1(VALU_DEP_2)
	v_mul_hi_u32 v7, s58, v5
	v_mul_lo_u32 v9, v5, s46
	v_add_nc_u32_e32 v2, v5, v7
	v_mul_lo_u32 v7, v4, s43
	s_delay_alu instid0(VALU_DEP_3) | instskip(NEXT) | instid1(VALU_DEP_3)
	v_sub_nc_u32_e32 v4, v4, v9
	v_lshrrev_b32_e32 v2, s59, v2
	s_delay_alu instid0(VALU_DEP_2) | instskip(SKIP_2) | instid1(VALU_DEP_4)
	v_mul_lo_u32 v9, v4, s52
	v_mul_lo_u32 v4, v4, s53
	v_sub_nc_u32_e32 v3, v3, v7
	v_mul_lo_u32 v10, v2, s57
	s_delay_alu instid0(VALU_DEP_2) | instskip(SKIP_1) | instid1(VALU_DEP_3)
	v_mul_lo_u32 v7, v3, s50
	v_mul_lo_u32 v3, v3, s51
	v_sub_nc_u32_e32 v5, v5, v10
	s_delay_alu instid0(VALU_DEP_3) | instskip(NEXT) | instid1(VALU_DEP_2)
	v_add3_u32 v0, v6, v0, v7
	v_mul_lo_u32 v10, v5, s54
	v_mul_lo_u32 v5, v5, s55
	v_add3_u32 v1, v8, v1, v3
	s_delay_alu instid0(VALU_DEP_3) | instskip(NEXT) | instid1(VALU_DEP_2)
	v_add3_u32 v0, v9, v0, v10
	v_add3_u32 v1, v4, v1, v5
	s_cbranch_scc0 .LBB383_179
	s_branch .LBB383_197
.LBB383_180:
	s_mov_b32 s33, -1
                                        ; implicit-def: $vgpr0
                                        ; implicit-def: $vgpr1
	s_branch .LBB383_200
.LBB383_181:
	v_dual_mov_b32 v2, v12 :: v_dual_mov_b32 v1, 0
.LBB383_182:
	s_and_b32 s35, s35, 3
	s_delay_alu instid0(SALU_CYCLE_1)
	s_cmp_eq_u32 s35, 0
	s_cbranch_scc1 .LBB383_185
; %bb.183:
	s_lshl_b32 s18, s34, 3
	s_mul_i32 s20, s34, 12
	s_add_u32 s18, s18, s0
	s_addc_u32 s19, s1, 0
	s_add_u32 s18, s18, 0xc4
	s_addc_u32 s19, s19, 0
	;; [unrolled: 2-line block ×3, first 2 shown]
	.p2align	6
.LBB383_184:                            ; =>This Inner Loop Header: Depth=1
	s_clause 0x1
	s_load_b64 s[36:37], s[20:21], 0x4
	s_load_b32 s34, s[20:21], 0xc
	s_load_b64 s[38:39], s[18:19], 0x0
	s_add_u32 s20, s20, 12
	s_addc_u32 s21, s21, 0
	s_add_u32 s18, s18, 8
	s_addc_u32 s19, s19, 0
	s_add_i32 s35, s35, -1
	s_delay_alu instid0(SALU_CYCLE_1) | instskip(SKIP_2) | instid1(VALU_DEP_1)
	s_cmp_lg_u32 s35, 0
	s_waitcnt lgkmcnt(0)
	v_mul_hi_u32 v3, s37, v2
	v_add_nc_u32_e32 v3, v2, v3
	s_delay_alu instid0(VALU_DEP_1) | instskip(NEXT) | instid1(VALU_DEP_1)
	v_lshrrev_b32_e32 v6, s34, v3
	v_mul_lo_u32 v3, v6, s36
	s_delay_alu instid0(VALU_DEP_1) | instskip(NEXT) | instid1(VALU_DEP_1)
	v_sub_nc_u32_e32 v2, v2, v3
	v_mad_u64_u32 v[3:4], null, v2, s38, v[0:1]
	v_mad_u64_u32 v[4:5], null, v2, s39, v[1:2]
	v_mov_b32_e32 v2, v6
	s_delay_alu instid0(VALU_DEP_2)
	v_dual_mov_b32 v0, v3 :: v_dual_mov_b32 v1, v4
	s_cbranch_scc1 .LBB383_184
.LBB383_185:
	s_and_not1_b32 vcc_lo, exec_lo, s33
	s_cbranch_vccnz .LBB383_188
; %bb.186:
	s_waitcnt lgkmcnt(0)
	v_mul_hi_u32 v0, s13, v12
	s_and_not1_b32 vcc_lo, exec_lo, s27
	s_delay_alu instid0(VALU_DEP_1) | instskip(NEXT) | instid1(VALU_DEP_1)
	v_add_nc_u32_e32 v0, v12, v0
	v_lshrrev_b32_e32 v2, s14, v0
	s_delay_alu instid0(VALU_DEP_1) | instskip(NEXT) | instid1(VALU_DEP_1)
	v_mul_lo_u32 v0, v2, s12
	v_sub_nc_u32_e32 v1, v12, v0
	s_delay_alu instid0(VALU_DEP_1)
	v_mul_lo_u32 v0, v1, s8
	v_mul_lo_u32 v1, v1, s9
	s_cbranch_vccnz .LBB383_188
; %bb.187:
	v_mul_hi_u32 v3, s2, v2
	s_delay_alu instid0(VALU_DEP_1) | instskip(NEXT) | instid1(VALU_DEP_1)
	v_add_nc_u32_e32 v3, v2, v3
	v_lshrrev_b32_e32 v3, s3, v3
	s_delay_alu instid0(VALU_DEP_1) | instskip(NEXT) | instid1(VALU_DEP_1)
	v_mul_lo_u32 v3, v3, s15
	v_sub_nc_u32_e32 v5, v2, v3
	s_delay_alu instid0(VALU_DEP_1) | instskip(NEXT) | instid1(VALU_DEP_1)
	v_mad_u64_u32 v[2:3], null, v5, s10, v[0:1]
	v_mad_u64_u32 v[3:4], null, v5, s11, v[1:2]
	s_delay_alu instid0(VALU_DEP_1)
	v_dual_mov_b32 v0, v2 :: v_dual_mov_b32 v1, v3
.LBB383_188:
	s_waitcnt lgkmcnt(0)
	global_load_u16 v1, v1, s[6:7]
	v_add_nc_u32_e32 v12, 0x80, v12
	s_waitcnt vmcnt(0)
	v_max_i16 v1, v1, s26
	global_store_b16 v0, v1, s[4:5]
	s_or_b32 exec_lo, exec_lo, s31
	s_delay_alu instid0(SALU_CYCLE_1)
	s_mov_b32 s31, exec_lo
	v_cmpx_gt_i32_e64 s28, v12
	s_cbranch_execnz .LBB383_175
.LBB383_189:
	s_or_b32 exec_lo, exec_lo, s31
	s_delay_alu instid0(SALU_CYCLE_1)
	s_mov_b32 s31, exec_lo
	v_cmpx_gt_i32_e64 s28, v12
	s_cbranch_execz .LBB383_204
.LBB383_190:
	s_and_not1_b32 vcc_lo, exec_lo, s24
	s_cbranch_vccnz .LBB383_195
; %bb.191:
	v_dual_mov_b32 v0, 0 :: v_dual_mov_b32 v1, 0
	s_and_not1_b32 vcc_lo, exec_lo, s30
	s_mov_b32 s33, 0
	s_cbranch_vccnz .LBB383_211
; %bb.192:
	v_mov_b32_e32 v0, 0
	s_add_i32 s35, s29, 1
	s_cmp_eq_u32 s23, 2
	s_mov_b32 s34, 0
	s_cbranch_scc1 .LBB383_207
; %bb.193:
	v_dual_mov_b32 v1, 0 :: v_dual_mov_b32 v0, 0
	v_mov_b32_e32 v2, v12
	s_and_b32 s34, s35, 28
	s_mov_b32 s36, 0
	s_mov_b64 s[18:19], s[16:17]
	s_mov_b64 s[20:21], s[0:1]
.LBB383_194:                            ; =>This Inner Loop Header: Depth=1
	s_clause 0x1
	s_load_b256 s[40:47], s[20:21], 0x4
	s_load_b128 s[56:59], s[20:21], 0x24
	s_load_b256 s[48:55], s[18:19], 0x0
	s_add_u32 s20, s20, 48
	s_addc_u32 s21, s21, 0
	s_add_i32 s36, s36, 4
	s_add_u32 s18, s18, 32
	s_addc_u32 s19, s19, 0
	s_cmp_eq_u32 s34, s36
	s_waitcnt lgkmcnt(0)
	v_mul_hi_u32 v3, s41, v2
	s_delay_alu instid0(VALU_DEP_1) | instskip(NEXT) | instid1(VALU_DEP_1)
	v_add_nc_u32_e32 v3, v2, v3
	v_lshrrev_b32_e32 v3, s42, v3
	s_delay_alu instid0(VALU_DEP_1) | instskip(SKIP_1) | instid1(VALU_DEP_2)
	v_mul_hi_u32 v4, s44, v3
	v_mul_lo_u32 v6, v3, s40
	v_add_nc_u32_e32 v4, v3, v4
	s_delay_alu instid0(VALU_DEP_2) | instskip(NEXT) | instid1(VALU_DEP_2)
	v_sub_nc_u32_e32 v2, v2, v6
	v_lshrrev_b32_e32 v4, s45, v4
	s_delay_alu instid0(VALU_DEP_2) | instskip(SKIP_1) | instid1(VALU_DEP_3)
	v_mul_lo_u32 v6, v2, s48
	v_mul_lo_u32 v8, v2, s49
	v_mul_hi_u32 v5, s47, v4
	s_delay_alu instid0(VALU_DEP_1) | instskip(NEXT) | instid1(VALU_DEP_1)
	v_add_nc_u32_e32 v5, v4, v5
	v_lshrrev_b32_e32 v5, s56, v5
	s_delay_alu instid0(VALU_DEP_1) | instskip(SKIP_1) | instid1(VALU_DEP_2)
	v_mul_hi_u32 v7, s58, v5
	v_mul_lo_u32 v9, v5, s46
	v_add_nc_u32_e32 v2, v5, v7
	v_mul_lo_u32 v7, v4, s43
	s_delay_alu instid0(VALU_DEP_3) | instskip(NEXT) | instid1(VALU_DEP_3)
	v_sub_nc_u32_e32 v4, v4, v9
	v_lshrrev_b32_e32 v2, s59, v2
	s_delay_alu instid0(VALU_DEP_2) | instskip(SKIP_2) | instid1(VALU_DEP_4)
	v_mul_lo_u32 v9, v4, s52
	v_mul_lo_u32 v4, v4, s53
	v_sub_nc_u32_e32 v3, v3, v7
	v_mul_lo_u32 v10, v2, s57
	s_delay_alu instid0(VALU_DEP_2) | instskip(SKIP_1) | instid1(VALU_DEP_3)
	v_mul_lo_u32 v7, v3, s50
	v_mul_lo_u32 v3, v3, s51
	v_sub_nc_u32_e32 v5, v5, v10
	s_delay_alu instid0(VALU_DEP_3) | instskip(NEXT) | instid1(VALU_DEP_2)
	v_add3_u32 v0, v6, v0, v7
	v_mul_lo_u32 v10, v5, s54
	v_mul_lo_u32 v5, v5, s55
	v_add3_u32 v1, v8, v1, v3
	s_delay_alu instid0(VALU_DEP_3) | instskip(NEXT) | instid1(VALU_DEP_2)
	v_add3_u32 v0, v9, v0, v10
	v_add3_u32 v1, v4, v1, v5
	s_cbranch_scc0 .LBB383_194
	s_branch .LBB383_208
.LBB383_195:
	s_mov_b32 s33, -1
                                        ; implicit-def: $vgpr0
                                        ; implicit-def: $vgpr1
	s_branch .LBB383_211
.LBB383_196:
	v_dual_mov_b32 v2, v12 :: v_dual_mov_b32 v1, 0
.LBB383_197:
	s_and_b32 s35, s35, 3
	s_delay_alu instid0(SALU_CYCLE_1)
	s_cmp_eq_u32 s35, 0
	s_cbranch_scc1 .LBB383_200
; %bb.198:
	s_lshl_b32 s18, s34, 3
	s_mul_i32 s20, s34, 12
	s_add_u32 s18, s18, s0
	s_addc_u32 s19, s1, 0
	s_add_u32 s18, s18, 0xc4
	s_addc_u32 s19, s19, 0
	;; [unrolled: 2-line block ×3, first 2 shown]
	.p2align	6
.LBB383_199:                            ; =>This Inner Loop Header: Depth=1
	s_clause 0x1
	s_load_b64 s[36:37], s[20:21], 0x4
	s_load_b32 s34, s[20:21], 0xc
	s_load_b64 s[38:39], s[18:19], 0x0
	s_add_u32 s20, s20, 12
	s_addc_u32 s21, s21, 0
	s_add_u32 s18, s18, 8
	s_addc_u32 s19, s19, 0
	s_add_i32 s35, s35, -1
	s_delay_alu instid0(SALU_CYCLE_1) | instskip(SKIP_2) | instid1(VALU_DEP_1)
	s_cmp_lg_u32 s35, 0
	s_waitcnt lgkmcnt(0)
	v_mul_hi_u32 v3, s37, v2
	v_add_nc_u32_e32 v3, v2, v3
	s_delay_alu instid0(VALU_DEP_1) | instskip(NEXT) | instid1(VALU_DEP_1)
	v_lshrrev_b32_e32 v6, s34, v3
	v_mul_lo_u32 v3, v6, s36
	s_delay_alu instid0(VALU_DEP_1) | instskip(NEXT) | instid1(VALU_DEP_1)
	v_sub_nc_u32_e32 v2, v2, v3
	v_mad_u64_u32 v[3:4], null, v2, s38, v[0:1]
	v_mad_u64_u32 v[4:5], null, v2, s39, v[1:2]
	v_mov_b32_e32 v2, v6
	s_delay_alu instid0(VALU_DEP_2)
	v_dual_mov_b32 v0, v3 :: v_dual_mov_b32 v1, v4
	s_cbranch_scc1 .LBB383_199
.LBB383_200:
	s_and_not1_b32 vcc_lo, exec_lo, s33
	s_cbranch_vccnz .LBB383_203
; %bb.201:
	s_waitcnt lgkmcnt(0)
	v_mul_hi_u32 v0, s13, v12
	s_and_not1_b32 vcc_lo, exec_lo, s27
	s_delay_alu instid0(VALU_DEP_1) | instskip(NEXT) | instid1(VALU_DEP_1)
	v_add_nc_u32_e32 v0, v12, v0
	v_lshrrev_b32_e32 v2, s14, v0
	s_delay_alu instid0(VALU_DEP_1) | instskip(NEXT) | instid1(VALU_DEP_1)
	v_mul_lo_u32 v0, v2, s12
	v_sub_nc_u32_e32 v1, v12, v0
	s_delay_alu instid0(VALU_DEP_1)
	v_mul_lo_u32 v0, v1, s8
	v_mul_lo_u32 v1, v1, s9
	s_cbranch_vccnz .LBB383_203
; %bb.202:
	v_mul_hi_u32 v3, s2, v2
	s_delay_alu instid0(VALU_DEP_1) | instskip(NEXT) | instid1(VALU_DEP_1)
	v_add_nc_u32_e32 v3, v2, v3
	v_lshrrev_b32_e32 v3, s3, v3
	s_delay_alu instid0(VALU_DEP_1) | instskip(NEXT) | instid1(VALU_DEP_1)
	v_mul_lo_u32 v3, v3, s15
	v_sub_nc_u32_e32 v5, v2, v3
	s_delay_alu instid0(VALU_DEP_1) | instskip(NEXT) | instid1(VALU_DEP_1)
	v_mad_u64_u32 v[2:3], null, v5, s10, v[0:1]
	v_mad_u64_u32 v[3:4], null, v5, s11, v[1:2]
	s_delay_alu instid0(VALU_DEP_1)
	v_dual_mov_b32 v0, v2 :: v_dual_mov_b32 v1, v3
.LBB383_203:
	s_waitcnt lgkmcnt(0)
	global_load_u16 v1, v1, s[6:7]
	v_add_nc_u32_e32 v12, 0x80, v12
	s_waitcnt vmcnt(0)
	v_max_i16 v1, v1, s26
	global_store_b16 v0, v1, s[4:5]
	s_or_b32 exec_lo, exec_lo, s31
	s_delay_alu instid0(SALU_CYCLE_1)
	s_mov_b32 s31, exec_lo
	v_cmpx_gt_i32_e64 s28, v12
	s_cbranch_execnz .LBB383_190
.LBB383_204:
	s_or_b32 exec_lo, exec_lo, s31
	s_delay_alu instid0(SALU_CYCLE_1)
	s_mov_b32 s20, exec_lo
	v_cmpx_gt_i32_e64 s28, v12
	s_cbranch_execnz .LBB383_215
.LBB383_205:
	s_or_b32 exec_lo, exec_lo, s20
                                        ; implicit-def: $vgpr16
                                        ; implicit-def: $vgpr12
	s_waitcnt lgkmcnt(0)
	s_and_not1_saveexec_b32 s2, s25
	s_cbranch_execnz .LBB383_8
.LBB383_206:
	s_nop 0
	s_sendmsg sendmsg(MSG_DEALLOC_VGPRS)
	s_endpgm
.LBB383_207:
	v_dual_mov_b32 v2, v12 :: v_dual_mov_b32 v1, 0
.LBB383_208:
	s_and_b32 s35, s35, 3
	s_delay_alu instid0(SALU_CYCLE_1)
	s_cmp_eq_u32 s35, 0
	s_cbranch_scc1 .LBB383_211
; %bb.209:
	s_lshl_b32 s18, s34, 3
	s_mul_i32 s20, s34, 12
	s_add_u32 s18, s18, s0
	s_addc_u32 s19, s1, 0
	s_add_u32 s18, s18, 0xc4
	s_addc_u32 s19, s19, 0
	s_add_u32 s20, s0, s20
	s_addc_u32 s21, s1, 0
	.p2align	6
.LBB383_210:                            ; =>This Inner Loop Header: Depth=1
	s_clause 0x1
	s_load_b64 s[36:37], s[20:21], 0x4
	s_load_b32 s34, s[20:21], 0xc
	s_load_b64 s[38:39], s[18:19], 0x0
	s_add_u32 s20, s20, 12
	s_addc_u32 s21, s21, 0
	s_add_u32 s18, s18, 8
	s_addc_u32 s19, s19, 0
	s_add_i32 s35, s35, -1
	s_delay_alu instid0(SALU_CYCLE_1) | instskip(SKIP_2) | instid1(VALU_DEP_1)
	s_cmp_lg_u32 s35, 0
	s_waitcnt lgkmcnt(0)
	v_mul_hi_u32 v3, s37, v2
	v_add_nc_u32_e32 v3, v2, v3
	s_delay_alu instid0(VALU_DEP_1) | instskip(NEXT) | instid1(VALU_DEP_1)
	v_lshrrev_b32_e32 v6, s34, v3
	v_mul_lo_u32 v3, v6, s36
	s_delay_alu instid0(VALU_DEP_1) | instskip(NEXT) | instid1(VALU_DEP_1)
	v_sub_nc_u32_e32 v2, v2, v3
	v_mad_u64_u32 v[3:4], null, v2, s38, v[0:1]
	v_mad_u64_u32 v[4:5], null, v2, s39, v[1:2]
	v_mov_b32_e32 v2, v6
	s_delay_alu instid0(VALU_DEP_2)
	v_dual_mov_b32 v0, v3 :: v_dual_mov_b32 v1, v4
	s_cbranch_scc1 .LBB383_210
.LBB383_211:
	s_and_not1_b32 vcc_lo, exec_lo, s33
	s_cbranch_vccnz .LBB383_214
; %bb.212:
	s_waitcnt lgkmcnt(0)
	v_mul_hi_u32 v0, s13, v12
	s_and_not1_b32 vcc_lo, exec_lo, s27
	s_delay_alu instid0(VALU_DEP_1) | instskip(NEXT) | instid1(VALU_DEP_1)
	v_add_nc_u32_e32 v0, v12, v0
	v_lshrrev_b32_e32 v2, s14, v0
	s_delay_alu instid0(VALU_DEP_1) | instskip(NEXT) | instid1(VALU_DEP_1)
	v_mul_lo_u32 v0, v2, s12
	v_sub_nc_u32_e32 v1, v12, v0
	s_delay_alu instid0(VALU_DEP_1)
	v_mul_lo_u32 v0, v1, s8
	v_mul_lo_u32 v1, v1, s9
	s_cbranch_vccnz .LBB383_214
; %bb.213:
	v_mul_hi_u32 v3, s2, v2
	s_delay_alu instid0(VALU_DEP_1) | instskip(NEXT) | instid1(VALU_DEP_1)
	v_add_nc_u32_e32 v3, v2, v3
	v_lshrrev_b32_e32 v3, s3, v3
	s_delay_alu instid0(VALU_DEP_1) | instskip(NEXT) | instid1(VALU_DEP_1)
	v_mul_lo_u32 v3, v3, s15
	v_sub_nc_u32_e32 v5, v2, v3
	s_delay_alu instid0(VALU_DEP_1) | instskip(NEXT) | instid1(VALU_DEP_1)
	v_mad_u64_u32 v[2:3], null, v5, s10, v[0:1]
	v_mad_u64_u32 v[3:4], null, v5, s11, v[1:2]
	s_delay_alu instid0(VALU_DEP_1)
	v_dual_mov_b32 v0, v2 :: v_dual_mov_b32 v1, v3
.LBB383_214:
	s_waitcnt lgkmcnt(0)
	global_load_u16 v1, v1, s[6:7]
	v_add_nc_u32_e32 v12, 0x80, v12
	s_waitcnt vmcnt(0)
	v_max_i16 v1, v1, s26
	global_store_b16 v0, v1, s[4:5]
	s_or_b32 exec_lo, exec_lo, s31
	s_delay_alu instid0(SALU_CYCLE_1)
	s_mov_b32 s20, exec_lo
	v_cmpx_gt_i32_e64 s28, v12
	s_cbranch_execz .LBB383_205
.LBB383_215:
	s_and_not1_b32 vcc_lo, exec_lo, s24
	s_cbranch_vccnz .LBB383_220
; %bb.216:
	v_dual_mov_b32 v0, 0 :: v_dual_mov_b32 v1, 0
	s_and_not1_b32 vcc_lo, exec_lo, s30
	s_mov_b32 s21, 0
	s_cbranch_vccnz .LBB383_225
; %bb.217:
	v_mov_b32_e32 v0, 0
	s_add_i32 s29, s29, 1
	s_cmp_eq_u32 s23, 2
	s_mov_b32 s28, 0
	s_cbranch_scc1 .LBB383_221
; %bb.218:
	v_dual_mov_b32 v1, 0 :: v_dual_mov_b32 v0, 0
	v_mov_b32_e32 v2, v12
	s_and_b32 s28, s29, 28
	s_mov_b32 s30, 0
	s_mov_b64 s[18:19], s[0:1]
.LBB383_219:                            ; =>This Inner Loop Header: Depth=1
	s_clause 0x1
	s_load_b256 s[36:43], s[18:19], 0x4
	s_load_b128 s[52:55], s[18:19], 0x24
	s_load_b256 s[44:51], s[16:17], 0x0
	s_add_u32 s18, s18, 48
	s_addc_u32 s19, s19, 0
	s_add_i32 s30, s30, 4
	s_add_u32 s16, s16, 32
	s_addc_u32 s17, s17, 0
	s_cmp_eq_u32 s28, s30
	s_waitcnt lgkmcnt(0)
	v_mul_hi_u32 v3, s37, v2
	s_delay_alu instid0(VALU_DEP_1) | instskip(NEXT) | instid1(VALU_DEP_1)
	v_add_nc_u32_e32 v3, v2, v3
	v_lshrrev_b32_e32 v3, s38, v3
	s_delay_alu instid0(VALU_DEP_1) | instskip(SKIP_1) | instid1(VALU_DEP_2)
	v_mul_hi_u32 v4, s40, v3
	v_mul_lo_u32 v6, v3, s36
	v_add_nc_u32_e32 v4, v3, v4
	s_delay_alu instid0(VALU_DEP_2) | instskip(NEXT) | instid1(VALU_DEP_2)
	v_sub_nc_u32_e32 v2, v2, v6
	v_lshrrev_b32_e32 v4, s41, v4
	s_delay_alu instid0(VALU_DEP_2) | instskip(SKIP_1) | instid1(VALU_DEP_3)
	v_mul_lo_u32 v6, v2, s44
	v_mul_lo_u32 v8, v2, s45
	v_mul_hi_u32 v5, s43, v4
	s_delay_alu instid0(VALU_DEP_1) | instskip(NEXT) | instid1(VALU_DEP_1)
	v_add_nc_u32_e32 v5, v4, v5
	v_lshrrev_b32_e32 v5, s52, v5
	s_delay_alu instid0(VALU_DEP_1) | instskip(SKIP_1) | instid1(VALU_DEP_2)
	v_mul_hi_u32 v7, s54, v5
	v_mul_lo_u32 v9, v5, s42
	v_add_nc_u32_e32 v2, v5, v7
	v_mul_lo_u32 v7, v4, s39
	s_delay_alu instid0(VALU_DEP_3) | instskip(NEXT) | instid1(VALU_DEP_3)
	v_sub_nc_u32_e32 v4, v4, v9
	v_lshrrev_b32_e32 v2, s55, v2
	s_delay_alu instid0(VALU_DEP_2) | instskip(SKIP_2) | instid1(VALU_DEP_4)
	v_mul_lo_u32 v9, v4, s48
	v_mul_lo_u32 v4, v4, s49
	v_sub_nc_u32_e32 v3, v3, v7
	v_mul_lo_u32 v10, v2, s53
	s_delay_alu instid0(VALU_DEP_2) | instskip(SKIP_1) | instid1(VALU_DEP_3)
	v_mul_lo_u32 v7, v3, s46
	v_mul_lo_u32 v3, v3, s47
	v_sub_nc_u32_e32 v5, v5, v10
	s_delay_alu instid0(VALU_DEP_3) | instskip(NEXT) | instid1(VALU_DEP_2)
	v_add3_u32 v0, v6, v0, v7
	v_mul_lo_u32 v10, v5, s50
	v_mul_lo_u32 v5, v5, s51
	v_add3_u32 v1, v8, v1, v3
	s_delay_alu instid0(VALU_DEP_3) | instskip(NEXT) | instid1(VALU_DEP_2)
	v_add3_u32 v0, v9, v0, v10
	v_add3_u32 v1, v4, v1, v5
	s_cbranch_scc0 .LBB383_219
	s_branch .LBB383_222
.LBB383_220:
	s_mov_b32 s21, -1
                                        ; implicit-def: $vgpr0
                                        ; implicit-def: $vgpr1
	s_branch .LBB383_225
.LBB383_221:
	v_dual_mov_b32 v2, v12 :: v_dual_mov_b32 v1, 0
.LBB383_222:
	s_and_b32 s29, s29, 3
	s_delay_alu instid0(SALU_CYCLE_1)
	s_cmp_eq_u32 s29, 0
	s_cbranch_scc1 .LBB383_225
; %bb.223:
	s_lshl_b32 s16, s28, 3
	s_mul_i32 s18, s28, 12
	s_add_u32 s16, s16, s0
	s_addc_u32 s17, s1, 0
	s_add_u32 s16, s16, 0xc4
	s_addc_u32 s17, s17, 0
	;; [unrolled: 2-line block ×3, first 2 shown]
	.p2align	6
.LBB383_224:                            ; =>This Inner Loop Header: Depth=1
	s_clause 0x1
	s_load_b64 s[30:31], s[18:19], 0x4
	s_load_b32 s28, s[18:19], 0xc
	s_load_b64 s[34:35], s[16:17], 0x0
	s_add_u32 s18, s18, 12
	s_addc_u32 s19, s19, 0
	s_add_u32 s16, s16, 8
	s_addc_u32 s17, s17, 0
	s_add_i32 s29, s29, -1
	s_delay_alu instid0(SALU_CYCLE_1) | instskip(SKIP_2) | instid1(VALU_DEP_1)
	s_cmp_lg_u32 s29, 0
	s_waitcnt lgkmcnt(0)
	v_mul_hi_u32 v3, s31, v2
	v_add_nc_u32_e32 v3, v2, v3
	s_delay_alu instid0(VALU_DEP_1) | instskip(NEXT) | instid1(VALU_DEP_1)
	v_lshrrev_b32_e32 v6, s28, v3
	v_mul_lo_u32 v3, v6, s30
	s_delay_alu instid0(VALU_DEP_1) | instskip(NEXT) | instid1(VALU_DEP_1)
	v_sub_nc_u32_e32 v2, v2, v3
	v_mad_u64_u32 v[3:4], null, v2, s34, v[0:1]
	v_mad_u64_u32 v[4:5], null, v2, s35, v[1:2]
	v_mov_b32_e32 v2, v6
	s_delay_alu instid0(VALU_DEP_2)
	v_dual_mov_b32 v0, v3 :: v_dual_mov_b32 v1, v4
	s_cbranch_scc1 .LBB383_224
.LBB383_225:
	s_and_not1_b32 vcc_lo, exec_lo, s21
	s_cbranch_vccnz .LBB383_228
; %bb.226:
	s_waitcnt lgkmcnt(0)
	v_mul_hi_u32 v0, s13, v12
	s_and_not1_b32 vcc_lo, exec_lo, s27
	s_delay_alu instid0(VALU_DEP_1) | instskip(NEXT) | instid1(VALU_DEP_1)
	v_add_nc_u32_e32 v0, v12, v0
	v_lshrrev_b32_e32 v2, s14, v0
	s_delay_alu instid0(VALU_DEP_1) | instskip(NEXT) | instid1(VALU_DEP_1)
	v_mul_lo_u32 v0, v2, s12
	v_sub_nc_u32_e32 v1, v12, v0
	s_delay_alu instid0(VALU_DEP_1)
	v_mul_lo_u32 v0, v1, s8
	v_mul_lo_u32 v1, v1, s9
	s_cbranch_vccnz .LBB383_228
; %bb.227:
	v_mul_hi_u32 v3, s2, v2
	s_delay_alu instid0(VALU_DEP_1) | instskip(NEXT) | instid1(VALU_DEP_1)
	v_add_nc_u32_e32 v3, v2, v3
	v_lshrrev_b32_e32 v3, s3, v3
	s_delay_alu instid0(VALU_DEP_1) | instskip(NEXT) | instid1(VALU_DEP_1)
	v_mul_lo_u32 v3, v3, s15
	v_sub_nc_u32_e32 v5, v2, v3
	s_delay_alu instid0(VALU_DEP_1) | instskip(NEXT) | instid1(VALU_DEP_1)
	v_mad_u64_u32 v[2:3], null, v5, s10, v[0:1]
	v_mad_u64_u32 v[3:4], null, v5, s11, v[1:2]
	s_delay_alu instid0(VALU_DEP_1)
	v_dual_mov_b32 v0, v2 :: v_dual_mov_b32 v1, v3
.LBB383_228:
	s_waitcnt lgkmcnt(0)
	global_load_u16 v1, v1, s[6:7]
	s_waitcnt vmcnt(0)
	v_max_i16 v1, v1, s26
	global_store_b16 v0, v1, s[4:5]
	s_or_b32 exec_lo, exec_lo, s20
                                        ; implicit-def: $vgpr16
                                        ; implicit-def: $vgpr12
	s_and_not1_saveexec_b32 s2, s25
	s_cbranch_execz .LBB383_206
	s_branch .LBB383_8
	.section	.rodata,"a",@progbits
	.p2align	6, 0x0
	.amdhsa_kernel _ZN2at6native32elementwise_kernel_manual_unrollILi128ELi8EZNS0_22gpu_kernel_impl_nocastIZZZNS0_21clamp_min_kernel_cudaERNS_18TensorIteratorBaseERKN3c106ScalarEENKUlvE_clEvENKUlvE3_clEvEUlsE_EEvS4_RKT_EUlibE_EEviT1_
		.amdhsa_group_segment_fixed_size 0
		.amdhsa_private_segment_fixed_size 0
		.amdhsa_kernarg_size 360
		.amdhsa_user_sgpr_count 15
		.amdhsa_user_sgpr_dispatch_ptr 0
		.amdhsa_user_sgpr_queue_ptr 0
		.amdhsa_user_sgpr_kernarg_segment_ptr 1
		.amdhsa_user_sgpr_dispatch_id 0
		.amdhsa_user_sgpr_private_segment_size 0
		.amdhsa_wavefront_size32 1
		.amdhsa_uses_dynamic_stack 0
		.amdhsa_enable_private_segment 0
		.amdhsa_system_sgpr_workgroup_id_x 1
		.amdhsa_system_sgpr_workgroup_id_y 0
		.amdhsa_system_sgpr_workgroup_id_z 0
		.amdhsa_system_sgpr_workgroup_info 0
		.amdhsa_system_vgpr_workitem_id 0
		.amdhsa_next_free_vgpr 26
		.amdhsa_next_free_sgpr 60
		.amdhsa_reserve_vcc 1
		.amdhsa_float_round_mode_32 0
		.amdhsa_float_round_mode_16_64 0
		.amdhsa_float_denorm_mode_32 3
		.amdhsa_float_denorm_mode_16_64 3
		.amdhsa_dx10_clamp 1
		.amdhsa_ieee_mode 1
		.amdhsa_fp16_overflow 0
		.amdhsa_workgroup_processor_mode 1
		.amdhsa_memory_ordered 1
		.amdhsa_forward_progress 0
		.amdhsa_shared_vgpr_count 0
		.amdhsa_exception_fp_ieee_invalid_op 0
		.amdhsa_exception_fp_denorm_src 0
		.amdhsa_exception_fp_ieee_div_zero 0
		.amdhsa_exception_fp_ieee_overflow 0
		.amdhsa_exception_fp_ieee_underflow 0
		.amdhsa_exception_fp_ieee_inexact 0
		.amdhsa_exception_int_div_zero 0
	.end_amdhsa_kernel
	.section	.text._ZN2at6native32elementwise_kernel_manual_unrollILi128ELi8EZNS0_22gpu_kernel_impl_nocastIZZZNS0_21clamp_min_kernel_cudaERNS_18TensorIteratorBaseERKN3c106ScalarEENKUlvE_clEvENKUlvE3_clEvEUlsE_EEvS4_RKT_EUlibE_EEviT1_,"axG",@progbits,_ZN2at6native32elementwise_kernel_manual_unrollILi128ELi8EZNS0_22gpu_kernel_impl_nocastIZZZNS0_21clamp_min_kernel_cudaERNS_18TensorIteratorBaseERKN3c106ScalarEENKUlvE_clEvENKUlvE3_clEvEUlsE_EEvS4_RKT_EUlibE_EEviT1_,comdat
.Lfunc_end383:
	.size	_ZN2at6native32elementwise_kernel_manual_unrollILi128ELi8EZNS0_22gpu_kernel_impl_nocastIZZZNS0_21clamp_min_kernel_cudaERNS_18TensorIteratorBaseERKN3c106ScalarEENKUlvE_clEvENKUlvE3_clEvEUlsE_EEvS4_RKT_EUlibE_EEviT1_, .Lfunc_end383-_ZN2at6native32elementwise_kernel_manual_unrollILi128ELi8EZNS0_22gpu_kernel_impl_nocastIZZZNS0_21clamp_min_kernel_cudaERNS_18TensorIteratorBaseERKN3c106ScalarEENKUlvE_clEvENKUlvE3_clEvEUlsE_EEvS4_RKT_EUlibE_EEviT1_
                                        ; -- End function
	.section	.AMDGPU.csdata,"",@progbits
; Kernel info:
; codeLenInByte = 13536
; NumSgprs: 62
; NumVgprs: 26
; ScratchSize: 0
; MemoryBound: 0
; FloatMode: 240
; IeeeMode: 1
; LDSByteSize: 0 bytes/workgroup (compile time only)
; SGPRBlocks: 7
; VGPRBlocks: 3
; NumSGPRsForWavesPerEU: 62
; NumVGPRsForWavesPerEU: 26
; Occupancy: 16
; WaveLimiterHint : 1
; COMPUTE_PGM_RSRC2:SCRATCH_EN: 0
; COMPUTE_PGM_RSRC2:USER_SGPR: 15
; COMPUTE_PGM_RSRC2:TRAP_HANDLER: 0
; COMPUTE_PGM_RSRC2:TGID_X_EN: 1
; COMPUTE_PGM_RSRC2:TGID_Y_EN: 0
; COMPUTE_PGM_RSRC2:TGID_Z_EN: 0
; COMPUTE_PGM_RSRC2:TIDIG_COMP_CNT: 0
	.section	.text._ZN2at6native32elementwise_kernel_manual_unrollILi128ELi4EZNS0_15gpu_kernel_implIZZZNS0_21clamp_min_kernel_cudaERNS_18TensorIteratorBaseERKN3c106ScalarEENKUlvE_clEvENKUlvE3_clEvEUlsE_EEvS4_RKT_EUlibE_EEviT1_,"axG",@progbits,_ZN2at6native32elementwise_kernel_manual_unrollILi128ELi4EZNS0_15gpu_kernel_implIZZZNS0_21clamp_min_kernel_cudaERNS_18TensorIteratorBaseERKN3c106ScalarEENKUlvE_clEvENKUlvE3_clEvEUlsE_EEvS4_RKT_EUlibE_EEviT1_,comdat
	.globl	_ZN2at6native32elementwise_kernel_manual_unrollILi128ELi4EZNS0_15gpu_kernel_implIZZZNS0_21clamp_min_kernel_cudaERNS_18TensorIteratorBaseERKN3c106ScalarEENKUlvE_clEvENKUlvE3_clEvEUlsE_EEvS4_RKT_EUlibE_EEviT1_ ; -- Begin function _ZN2at6native32elementwise_kernel_manual_unrollILi128ELi4EZNS0_15gpu_kernel_implIZZZNS0_21clamp_min_kernel_cudaERNS_18TensorIteratorBaseERKN3c106ScalarEENKUlvE_clEvENKUlvE3_clEvEUlsE_EEvS4_RKT_EUlibE_EEviT1_
	.p2align	8
	.type	_ZN2at6native32elementwise_kernel_manual_unrollILi128ELi4EZNS0_15gpu_kernel_implIZZZNS0_21clamp_min_kernel_cudaERNS_18TensorIteratorBaseERKN3c106ScalarEENKUlvE_clEvENKUlvE3_clEvEUlsE_EEvS4_RKT_EUlibE_EEviT1_,@function
_ZN2at6native32elementwise_kernel_manual_unrollILi128ELi4EZNS0_15gpu_kernel_implIZZZNS0_21clamp_min_kernel_cudaERNS_18TensorIteratorBaseERKN3c106ScalarEENKUlvE_clEvENKUlvE3_clEvEUlsE_EEvS4_RKT_EUlibE_EEviT1_: ; @_ZN2at6native32elementwise_kernel_manual_unrollILi128ELi4EZNS0_15gpu_kernel_implIZZZNS0_21clamp_min_kernel_cudaERNS_18TensorIteratorBaseERKN3c106ScalarEENKUlvE_clEvENKUlvE3_clEvEUlsE_EEvS4_RKT_EUlibE_EEviT1_
; %bb.0:
	s_clause 0x3
	s_load_b32 s8, s[0:1], 0x20
	s_load_b32 s13, s[0:1], 0x0
	s_load_b64 s[2:3], s[0:1], 0x18
	s_load_b128 s[4:7], s[0:1], 0x8
	v_lshl_or_b32 v9, s15, 9, v0
	s_mov_b32 s10, 0
	s_mov_b32 s12, 0
	s_mov_b32 s0, exec_lo
	s_delay_alu instid0(VALU_DEP_1) | instskip(SKIP_3) | instid1(VALU_DEP_1)
	v_or_b32_e32 v0, 0x180, v9
	s_waitcnt lgkmcnt(0)
	s_lshr_b32 s1, s8, 16
	s_lshr_b32 s9, s8, 24
	v_cmpx_le_i32_e64 s13, v0
	s_xor_b32 s11, exec_lo, s0
	s_cbranch_execz .LBB384_1017
; %bb.1:
	s_mov_b32 s18, -1
	s_mov_b32 s16, 0
	s_mov_b32 s14, 0
	s_mov_b32 s15, exec_lo
	v_cmpx_gt_i32_e64 s13, v9
	s_cbranch_execz .LBB384_248
; %bb.2:
	v_mul_lo_u32 v0, v9, s3
	v_cmp_lt_i16_e64 s0, s9, 11
	s_delay_alu instid0(VALU_DEP_2) | instskip(SKIP_1) | instid1(VALU_DEP_2)
	v_ashrrev_i32_e32 v1, 31, v0
	v_add_co_u32 v0, vcc_lo, s6, v0
	v_add_co_ci_u32_e32 v1, vcc_lo, s7, v1, vcc_lo
	s_delay_alu instid0(VALU_DEP_4)
	s_and_b32 vcc_lo, exec_lo, s0
	s_cbranch_vccnz .LBB384_9
; %bb.3:
	v_cmp_gt_i16_e64 s0, s9, 25
	s_delay_alu instid0(VALU_DEP_1)
	s_and_b32 vcc_lo, exec_lo, s0
	s_cbranch_vccz .LBB384_18
; %bb.4:
	v_cmp_gt_i16_e64 s0, s9, 28
	s_delay_alu instid0(VALU_DEP_1)
	s_and_b32 vcc_lo, exec_lo, s0
	s_cbranch_vccz .LBB384_21
	;; [unrolled: 5-line block ×4, first 2 shown]
; %bb.7:
	v_cmp_eq_u16_e64 s0, s9, 46
	s_delay_alu instid0(VALU_DEP_1)
	s_and_b32 vcc_lo, exec_lo, s0
	s_cbranch_vccz .LBB384_27
; %bb.8:
	global_load_b32 v2, v[0:1], off
	s_mov_b32 s0, -1
	s_waitcnt vmcnt(0)
	v_lshlrev_b32_e32 v2, 16, v2
	s_delay_alu instid0(VALU_DEP_1)
	v_cvt_i32_f32_e32 v2, v2
	s_branch .LBB384_29
.LBB384_9:
	s_mov_b32 s0, 0
                                        ; implicit-def: $vgpr2
	s_cbranch_execnz .LBB384_198
.LBB384_10:
	s_and_not1_b32 vcc_lo, exec_lo, s0
	s_cbranch_vccnz .LBB384_245
.LBB384_11:
	v_mul_lo_u32 v0, v9, s2
	s_waitcnt vmcnt(0)
	v_and_b32_e64 v3, 0xff, s1
	s_delay_alu instid0(VALU_DEP_3) | instskip(NEXT) | instid1(VALU_DEP_2)
	v_max_i16 v2, v2, s8
	v_cmp_gt_i16_e32 vcc_lo, 11, v3
	s_delay_alu instid0(VALU_DEP_4) | instskip(SKIP_1) | instid1(VALU_DEP_1)
	v_ashrrev_i32_e32 v1, 31, v0
	v_add_co_u32 v0, s0, s4, v0
	v_add_co_ci_u32_e64 v1, s0, s5, v1, s0
	s_cbranch_vccnz .LBB384_19
; %bb.12:
	v_cmp_lt_i16_e32 vcc_lo, 25, v3
	s_cbranch_vccz .LBB384_22
; %bb.13:
	v_cmp_lt_i16_e32 vcc_lo, 28, v3
	s_cbranch_vccz .LBB384_24
	;; [unrolled: 3-line block ×4, first 2 shown]
; %bb.16:
	v_cmp_eq_u16_e32 vcc_lo, 46, v3
	s_mov_b32 s17, 0
	s_mov_b32 s0, -1
	s_mov_b32 s12, 0
	s_cbranch_vccz .LBB384_33
; %bb.17:
	v_bfe_i32 v4, v2, 0, 16
	s_mov_b32 s12, -1
	s_mov_b32 s0, 0
	s_delay_alu instid0(VALU_DEP_1) | instskip(NEXT) | instid1(VALU_DEP_1)
	v_cvt_f32_i32_e32 v4, v4
	v_bfe_u32 v5, v4, 16, 1
	s_delay_alu instid0(VALU_DEP_1) | instskip(NEXT) | instid1(VALU_DEP_1)
	v_add3_u32 v4, v4, v5, 0x7fff
	v_lshrrev_b32_e32 v4, 16, v4
	global_store_b32 v[0:1], v4, off
	s_branch .LBB384_33
.LBB384_18:
	s_mov_b32 s0, 0
                                        ; implicit-def: $vgpr2
	s_cbranch_execnz .LBB384_165
	s_branch .LBB384_197
.LBB384_19:
	s_mov_b32 s0, 0
	s_mov_b32 s12, 0
	s_cbranch_execnz .LBB384_102
.LBB384_20:
	s_and_not1_b32 vcc_lo, exec_lo, s12
	s_cbranch_vccnz .LBB384_246
	s_branch .LBB384_140
.LBB384_21:
	s_mov_b32 s12, -1
	s_mov_b32 s0, 0
                                        ; implicit-def: $vgpr2
	s_branch .LBB384_148
.LBB384_22:
	s_mov_b32 s17, -1
	s_mov_b32 s0, 0
	s_mov_b32 s12, 0
	s_branch .LBB384_60
.LBB384_23:
	s_mov_b32 s12, -1
	s_mov_b32 s0, 0
                                        ; implicit-def: $vgpr2
	s_branch .LBB384_143
.LBB384_24:
	s_mov_b32 s17, -1
	s_mov_b32 s0, 0
	s_mov_b32 s12, 0
	s_branch .LBB384_43
.LBB384_25:
	s_mov_b32 s12, -1
	s_branch .LBB384_28
.LBB384_26:
	s_mov_b32 s17, -1
	s_mov_b32 s0, 0
	s_mov_b32 s12, 0
	s_branch .LBB384_39
.LBB384_27:
	s_mov_b32 s14, -1
.LBB384_28:
	s_mov_b32 s0, 0
                                        ; implicit-def: $vgpr2
.LBB384_29:
	s_and_b32 vcc_lo, exec_lo, s12
	s_cbranch_vccz .LBB384_142
; %bb.30:
	v_cmp_eq_u16_e64 s12, s9, 44
	s_delay_alu instid0(VALU_DEP_1)
	s_and_b32 vcc_lo, exec_lo, s12
	s_cbranch_vccz .LBB384_141
; %bb.31:
	global_load_u8 v2, v[0:1], off
	s_mov_b32 s14, 0
	s_mov_b32 s0, -1
	s_waitcnt vmcnt(0)
	v_lshlrev_b32_e32 v3, 23, v2
	v_cmp_ne_u32_e32 vcc_lo, 0, v2
	s_delay_alu instid0(VALU_DEP_2) | instskip(NEXT) | instid1(VALU_DEP_1)
	v_cvt_i32_f32_e32 v3, v3
	v_cndmask_b32_e32 v2, 0, v3, vcc_lo
	s_branch .LBB384_142
.LBB384_32:
	s_mov_b32 s17, -1
	s_mov_b32 s0, 0
	s_mov_b32 s12, 0
.LBB384_33:
	s_and_b32 vcc_lo, exec_lo, s17
	s_cbranch_vccz .LBB384_38
; %bb.34:
	v_cmp_eq_u16_e32 vcc_lo, 44, v3
	s_mov_b32 s0, -1
	s_cbranch_vccz .LBB384_38
; %bb.35:
	v_bfe_i32 v4, v2, 0, 16
	v_mov_b32_e32 v5, 0xff
	s_mov_b32 s12, exec_lo
	s_delay_alu instid0(VALU_DEP_2) | instskip(NEXT) | instid1(VALU_DEP_1)
	v_cvt_f32_i32_e32 v4, v4
	v_bfe_u32 v6, v4, 23, 8
	s_delay_alu instid0(VALU_DEP_1)
	v_cmpx_ne_u32_e32 0xff, v6
; %bb.36:
	v_and_b32_e32 v5, 0x400000, v4
	v_and_or_b32 v6, 0x3fffff, v4, v6
	v_lshrrev_b32_e32 v4, 23, v4
	s_delay_alu instid0(VALU_DEP_3) | instskip(NEXT) | instid1(VALU_DEP_3)
	v_cmp_ne_u32_e32 vcc_lo, 0, v5
	v_cmp_ne_u32_e64 s0, 0, v6
	s_delay_alu instid0(VALU_DEP_1) | instskip(NEXT) | instid1(SALU_CYCLE_1)
	s_and_b32 s0, vcc_lo, s0
	v_cndmask_b32_e64 v5, 0, 1, s0
	s_delay_alu instid0(VALU_DEP_1)
	v_add_nc_u32_e32 v5, v4, v5
; %bb.37:
	s_or_b32 exec_lo, exec_lo, s12
	s_mov_b32 s12, -1
	s_mov_b32 s0, 0
	global_store_b8 v[0:1], v5, off
.LBB384_38:
	s_mov_b32 s17, 0
.LBB384_39:
	s_delay_alu instid0(SALU_CYCLE_1)
	s_and_b32 vcc_lo, exec_lo, s17
	s_cbranch_vccz .LBB384_42
; %bb.40:
	v_cmp_eq_u16_e32 vcc_lo, 29, v3
	s_mov_b32 s0, -1
	s_cbranch_vccz .LBB384_42
; %bb.41:
	v_bfe_i32 v4, v2, 0, 16
	s_mov_b32 s0, 0
	s_mov_b32 s12, -1
	s_mov_b32 s17, 0
	s_delay_alu instid0(VALU_DEP_1)
	v_ashrrev_i32_e32 v5, 31, v4
	global_store_b64 v[0:1], v[4:5], off
	s_branch .LBB384_43
.LBB384_42:
	s_mov_b32 s17, 0
.LBB384_43:
	s_delay_alu instid0(SALU_CYCLE_1)
	s_and_b32 vcc_lo, exec_lo, s17
	s_cbranch_vccz .LBB384_59
; %bb.44:
	v_cmp_gt_i16_e32 vcc_lo, 27, v3
	s_mov_b32 s12, -1
	s_cbranch_vccnz .LBB384_50
; %bb.45:
	v_cmp_lt_i16_e32 vcc_lo, 27, v3
	s_cbranch_vccz .LBB384_47
; %bb.46:
	v_bfe_i32 v4, v2, 0, 16
	s_mov_b32 s12, 0
	global_store_b32 v[0:1], v4, off
.LBB384_47:
	s_and_not1_b32 vcc_lo, exec_lo, s12
	s_cbranch_vccnz .LBB384_49
; %bb.48:
	global_store_b16 v[0:1], v2, off
.LBB384_49:
	s_mov_b32 s12, 0
.LBB384_50:
	s_delay_alu instid0(SALU_CYCLE_1)
	s_and_not1_b32 vcc_lo, exec_lo, s12
	s_cbranch_vccnz .LBB384_58
; %bb.51:
	v_bfe_i32 v4, v2, 0, 16
	v_mov_b32_e32 v6, 0x80
	s_mov_b32 s12, exec_lo
	s_delay_alu instid0(VALU_DEP_2) | instskip(NEXT) | instid1(VALU_DEP_1)
	v_cvt_f32_i32_e32 v4, v4
	v_and_b32_e32 v5, 0x7fffffff, v4
	s_delay_alu instid0(VALU_DEP_1)
	v_cmpx_gt_u32_e32 0x43800000, v5
	s_cbranch_execz .LBB384_57
; %bb.52:
	v_cmp_lt_u32_e32 vcc_lo, 0x3bffffff, v5
	s_mov_b32 s17, 0
                                        ; implicit-def: $vgpr5
	s_and_saveexec_b32 s18, vcc_lo
	s_delay_alu instid0(SALU_CYCLE_1)
	s_xor_b32 s18, exec_lo, s18
	s_cbranch_execz .LBB384_272
; %bb.53:
	v_bfe_u32 v5, v4, 20, 1
	s_mov_b32 s17, exec_lo
	s_delay_alu instid0(VALU_DEP_1) | instskip(NEXT) | instid1(VALU_DEP_1)
	v_add3_u32 v5, v4, v5, 0x487ffff
	v_lshrrev_b32_e32 v5, 20, v5
	s_or_saveexec_b32 s18, s18
                                        ; implicit-def: $sgpr19
	s_delay_alu instid0(SALU_CYCLE_1)
	s_xor_b32 exec_lo, exec_lo, s18
	s_cbranch_execnz .LBB384_273
.LBB384_54:
	s_or_b32 exec_lo, exec_lo, s18
	v_mov_b32_e32 v6, s19
	s_and_saveexec_b32 s18, s17
.LBB384_55:
	v_lshrrev_b32_e32 v4, 24, v4
	s_delay_alu instid0(VALU_DEP_1)
	v_and_or_b32 v6, 0x80, v4, v5
.LBB384_56:
	s_or_b32 exec_lo, exec_lo, s18
.LBB384_57:
	s_delay_alu instid0(SALU_CYCLE_1)
	s_or_b32 exec_lo, exec_lo, s12
	global_store_b8 v[0:1], v6, off
.LBB384_58:
	s_mov_b32 s12, -1
.LBB384_59:
	s_mov_b32 s17, 0
.LBB384_60:
	s_delay_alu instid0(SALU_CYCLE_1)
	s_and_b32 vcc_lo, exec_lo, s17
	s_cbranch_vccz .LBB384_101
; %bb.61:
	v_cmp_lt_i16_e32 vcc_lo, 22, v3
	s_mov_b32 s17, -1
	s_cbranch_vccz .LBB384_93
; %bb.62:
	v_cmp_gt_i16_e32 vcc_lo, 24, v3
	s_mov_b32 s12, -1
	s_cbranch_vccnz .LBB384_82
; %bb.63:
	v_cmp_lt_i16_e32 vcc_lo, 24, v3
	s_cbranch_vccz .LBB384_71
; %bb.64:
	v_bfe_i32 v4, v2, 0, 16
	v_mov_b32_e32 v6, 0x80
	s_mov_b32 s12, exec_lo
	s_delay_alu instid0(VALU_DEP_2) | instskip(NEXT) | instid1(VALU_DEP_1)
	v_cvt_f32_i32_e32 v4, v4
	v_and_b32_e32 v5, 0x7fffffff, v4
	s_delay_alu instid0(VALU_DEP_1)
	v_cmpx_gt_u32_e32 0x47800000, v5
	s_cbranch_execz .LBB384_70
; %bb.65:
	v_cmp_lt_u32_e32 vcc_lo, 0x37ffffff, v5
	s_mov_b32 s17, 0
                                        ; implicit-def: $vgpr5
	s_and_saveexec_b32 s18, vcc_lo
	s_delay_alu instid0(SALU_CYCLE_1)
	s_xor_b32 s18, exec_lo, s18
	s_cbranch_execz .LBB384_276
; %bb.66:
	v_bfe_u32 v5, v4, 21, 1
	s_mov_b32 s17, exec_lo
	s_delay_alu instid0(VALU_DEP_1) | instskip(NEXT) | instid1(VALU_DEP_1)
	v_add3_u32 v5, v4, v5, 0x88fffff
	v_lshrrev_b32_e32 v5, 21, v5
	s_or_saveexec_b32 s18, s18
                                        ; implicit-def: $sgpr19
	s_delay_alu instid0(SALU_CYCLE_1)
	s_xor_b32 exec_lo, exec_lo, s18
	s_cbranch_execnz .LBB384_277
.LBB384_67:
	s_or_b32 exec_lo, exec_lo, s18
	v_mov_b32_e32 v6, s19
	s_and_saveexec_b32 s18, s17
.LBB384_68:
	v_lshrrev_b32_e32 v4, 24, v4
	s_delay_alu instid0(VALU_DEP_1)
	v_and_or_b32 v6, 0x80, v4, v5
.LBB384_69:
	s_or_b32 exec_lo, exec_lo, s18
.LBB384_70:
	s_delay_alu instid0(SALU_CYCLE_1)
	s_or_b32 exec_lo, exec_lo, s12
	s_mov_b32 s12, 0
	global_store_b8 v[0:1], v6, off
.LBB384_71:
	s_and_b32 vcc_lo, exec_lo, s12
	s_cbranch_vccz .LBB384_81
; %bb.72:
	v_bfe_i32 v4, v2, 0, 16
	s_mov_b32 s12, exec_lo
                                        ; implicit-def: $vgpr5
	s_delay_alu instid0(VALU_DEP_1) | instskip(NEXT) | instid1(VALU_DEP_1)
	v_cvt_f32_i32_e32 v4, v4
	v_and_b32_e32 v6, 0x7fffffff, v4
	s_delay_alu instid0(VALU_DEP_1)
	v_cmpx_gt_u32_e32 0x43f00000, v6
	s_xor_b32 s12, exec_lo, s12
	s_cbranch_execz .LBB384_78
; %bb.73:
	s_mov_b32 s17, exec_lo
                                        ; implicit-def: $vgpr5
	v_cmpx_lt_u32_e32 0x3c7fffff, v6
	s_xor_b32 s17, exec_lo, s17
; %bb.74:
	v_bfe_u32 v5, v4, 20, 1
	s_delay_alu instid0(VALU_DEP_1) | instskip(NEXT) | instid1(VALU_DEP_1)
	v_add3_u32 v5, v4, v5, 0x407ffff
	v_and_b32_e32 v6, 0xff00000, v5
	v_lshrrev_b32_e32 v5, 20, v5
	s_delay_alu instid0(VALU_DEP_2) | instskip(NEXT) | instid1(VALU_DEP_2)
	v_cmp_ne_u32_e32 vcc_lo, 0x7f00000, v6
	v_cndmask_b32_e32 v5, 0x7e, v5, vcc_lo
; %bb.75:
	s_and_not1_saveexec_b32 s17, s17
; %bb.76:
	v_add_f32_e64 v5, 0x46800000, |v4|
; %bb.77:
	s_or_b32 exec_lo, exec_lo, s17
                                        ; implicit-def: $vgpr6
.LBB384_78:
	s_and_not1_saveexec_b32 s12, s12
; %bb.79:
	v_mov_b32_e32 v5, 0x7f
	v_cmp_lt_u32_e32 vcc_lo, 0x7f800000, v6
	s_delay_alu instid0(VALU_DEP_2)
	v_cndmask_b32_e32 v5, 0x7e, v5, vcc_lo
; %bb.80:
	s_or_b32 exec_lo, exec_lo, s12
	v_lshrrev_b32_e32 v4, 24, v4
	s_delay_alu instid0(VALU_DEP_1)
	v_and_or_b32 v4, 0x80, v4, v5
	global_store_b8 v[0:1], v4, off
.LBB384_81:
	s_mov_b32 s12, 0
.LBB384_82:
	s_delay_alu instid0(SALU_CYCLE_1)
	s_and_not1_b32 vcc_lo, exec_lo, s12
	s_cbranch_vccnz .LBB384_92
; %bb.83:
	v_bfe_i32 v4, v2, 0, 16
	s_mov_b32 s12, exec_lo
                                        ; implicit-def: $vgpr5
	s_delay_alu instid0(VALU_DEP_1) | instskip(NEXT) | instid1(VALU_DEP_1)
	v_cvt_f32_i32_e32 v4, v4
	v_and_b32_e32 v6, 0x7fffffff, v4
	s_delay_alu instid0(VALU_DEP_1)
	v_cmpx_gt_u32_e32 0x47800000, v6
	s_xor_b32 s12, exec_lo, s12
	s_cbranch_execz .LBB384_89
; %bb.84:
	s_mov_b32 s17, exec_lo
                                        ; implicit-def: $vgpr5
	v_cmpx_lt_u32_e32 0x387fffff, v6
	s_xor_b32 s17, exec_lo, s17
; %bb.85:
	v_bfe_u32 v5, v4, 21, 1
	s_delay_alu instid0(VALU_DEP_1) | instskip(NEXT) | instid1(VALU_DEP_1)
	v_add3_u32 v5, v4, v5, 0x80fffff
	v_lshrrev_b32_e32 v5, 21, v5
; %bb.86:
	s_and_not1_saveexec_b32 s17, s17
; %bb.87:
	v_add_f32_e64 v5, 0x43000000, |v4|
; %bb.88:
	s_or_b32 exec_lo, exec_lo, s17
                                        ; implicit-def: $vgpr6
.LBB384_89:
	s_and_not1_saveexec_b32 s12, s12
; %bb.90:
	v_mov_b32_e32 v5, 0x7f
	v_cmp_lt_u32_e32 vcc_lo, 0x7f800000, v6
	s_delay_alu instid0(VALU_DEP_2)
	v_cndmask_b32_e32 v5, 0x7c, v5, vcc_lo
; %bb.91:
	s_or_b32 exec_lo, exec_lo, s12
	v_lshrrev_b32_e32 v4, 24, v4
	s_delay_alu instid0(VALU_DEP_1)
	v_and_or_b32 v4, 0x80, v4, v5
	global_store_b8 v[0:1], v4, off
.LBB384_92:
	s_mov_b32 s17, 0
	s_mov_b32 s12, -1
.LBB384_93:
	s_and_not1_b32 vcc_lo, exec_lo, s17
	s_cbranch_vccnz .LBB384_101
; %bb.94:
	v_cmp_lt_i16_e32 vcc_lo, 14, v3
	s_mov_b32 s17, -1
	s_cbranch_vccz .LBB384_98
; %bb.95:
	v_cmp_eq_u16_e32 vcc_lo, 15, v3
	s_mov_b32 s0, -1
	s_cbranch_vccz .LBB384_97
; %bb.96:
	v_bfe_i32 v4, v2, 0, 16
	s_mov_b32 s12, -1
	s_mov_b32 s0, 0
	s_delay_alu instid0(VALU_DEP_1) | instskip(NEXT) | instid1(VALU_DEP_1)
	v_cvt_f32_i32_e32 v4, v4
	v_bfe_u32 v5, v4, 16, 1
	s_delay_alu instid0(VALU_DEP_1)
	v_add3_u32 v4, v4, v5, 0x7fff
	global_store_d16_hi_b16 v[0:1], v4, off
.LBB384_97:
	s_mov_b32 s17, 0
.LBB384_98:
	s_delay_alu instid0(SALU_CYCLE_1)
	s_and_b32 vcc_lo, exec_lo, s17
	s_cbranch_vccz .LBB384_101
; %bb.99:
	v_cmp_eq_u16_e32 vcc_lo, 11, v3
	s_mov_b32 s0, -1
	s_cbranch_vccz .LBB384_101
; %bb.100:
	v_cmp_ne_u16_e32 vcc_lo, 0, v2
	s_mov_b32 s0, 0
	s_mov_b32 s12, -1
	v_cndmask_b32_e64 v4, 0, 1, vcc_lo
	global_store_b8 v[0:1], v4, off
.LBB384_101:
	s_branch .LBB384_20
.LBB384_102:
	v_cmp_gt_i16_e32 vcc_lo, 5, v3
	s_mov_b32 s12, -1
	s_cbranch_vccnz .LBB384_123
; %bb.103:
	v_cmp_gt_i16_e32 vcc_lo, 8, v3
	s_cbranch_vccnz .LBB384_113
; %bb.104:
	v_cmp_gt_i16_e32 vcc_lo, 9, v3
	s_cbranch_vccnz .LBB384_110
; %bb.105:
	v_cmp_lt_i16_e32 vcc_lo, 9, v3
	s_cbranch_vccz .LBB384_107
; %bb.106:
	v_bfe_i32 v4, v2, 0, 16
	v_mov_b32_e32 v6, 0
	s_mov_b32 s12, 0
	s_delay_alu instid0(VALU_DEP_2) | instskip(NEXT) | instid1(VALU_DEP_2)
	v_cvt_f64_i32_e32 v[4:5], v4
	v_mov_b32_e32 v7, v6
	global_store_b128 v[0:1], v[4:7], off
.LBB384_107:
	s_and_not1_b32 vcc_lo, exec_lo, s12
	s_cbranch_vccnz .LBB384_109
; %bb.108:
	v_bfe_i32 v4, v2, 0, 16
	v_mov_b32_e32 v5, 0
	s_delay_alu instid0(VALU_DEP_2)
	v_cvt_f32_i32_e32 v4, v4
	global_store_b64 v[0:1], v[4:5], off
.LBB384_109:
	s_mov_b32 s12, 0
.LBB384_110:
	s_delay_alu instid0(SALU_CYCLE_1)
	s_and_not1_b32 vcc_lo, exec_lo, s12
	s_cbranch_vccnz .LBB384_112
; %bb.111:
	v_cvt_f16_i16_e32 v4, v2
	s_delay_alu instid0(VALU_DEP_1)
	v_and_b32_e32 v4, 0xffff, v4
	global_store_b32 v[0:1], v4, off
.LBB384_112:
	s_mov_b32 s12, 0
.LBB384_113:
	s_delay_alu instid0(SALU_CYCLE_1)
	s_and_not1_b32 vcc_lo, exec_lo, s12
	s_cbranch_vccnz .LBB384_122
; %bb.114:
	v_cmp_gt_i16_e32 vcc_lo, 6, v3
	s_mov_b32 s12, -1
	s_cbranch_vccnz .LBB384_120
; %bb.115:
	v_cmp_lt_i16_e32 vcc_lo, 6, v3
	s_cbranch_vccz .LBB384_117
; %bb.116:
	v_bfe_i32 v4, v2, 0, 16
	s_mov_b32 s12, 0
	s_delay_alu instid0(VALU_DEP_1)
	v_cvt_f64_i32_e32 v[4:5], v4
	global_store_b64 v[0:1], v[4:5], off
.LBB384_117:
	s_and_not1_b32 vcc_lo, exec_lo, s12
	s_cbranch_vccnz .LBB384_119
; %bb.118:
	v_bfe_i32 v4, v2, 0, 16
	s_delay_alu instid0(VALU_DEP_1)
	v_cvt_f32_i32_e32 v4, v4
	global_store_b32 v[0:1], v4, off
.LBB384_119:
	s_mov_b32 s12, 0
.LBB384_120:
	s_delay_alu instid0(SALU_CYCLE_1)
	s_and_not1_b32 vcc_lo, exec_lo, s12
	s_cbranch_vccnz .LBB384_122
; %bb.121:
	v_cvt_f16_i16_e32 v4, v2
	global_store_b16 v[0:1], v4, off
.LBB384_122:
	s_mov_b32 s12, 0
.LBB384_123:
	s_delay_alu instid0(SALU_CYCLE_1)
	s_and_not1_b32 vcc_lo, exec_lo, s12
	s_cbranch_vccnz .LBB384_139
; %bb.124:
	v_cmp_gt_i16_e32 vcc_lo, 2, v3
	s_mov_b32 s12, -1
	s_cbranch_vccnz .LBB384_134
; %bb.125:
	v_cmp_gt_i16_e32 vcc_lo, 3, v3
	s_cbranch_vccnz .LBB384_131
; %bb.126:
	v_cmp_lt_i16_e32 vcc_lo, 3, v3
	s_cbranch_vccz .LBB384_128
; %bb.127:
	v_bfe_i32 v4, v2, 0, 16
	s_mov_b32 s12, 0
	s_delay_alu instid0(VALU_DEP_1)
	v_ashrrev_i32_e32 v5, 31, v4
	global_store_b64 v[0:1], v[4:5], off
.LBB384_128:
	s_and_not1_b32 vcc_lo, exec_lo, s12
	s_cbranch_vccnz .LBB384_130
; %bb.129:
	v_bfe_i32 v4, v2, 0, 16
	global_store_b32 v[0:1], v4, off
.LBB384_130:
	s_mov_b32 s12, 0
.LBB384_131:
	s_delay_alu instid0(SALU_CYCLE_1)
	s_and_not1_b32 vcc_lo, exec_lo, s12
	s_cbranch_vccnz .LBB384_133
; %bb.132:
	global_store_b16 v[0:1], v2, off
.LBB384_133:
	s_mov_b32 s12, 0
.LBB384_134:
	s_delay_alu instid0(SALU_CYCLE_1)
	s_and_not1_b32 vcc_lo, exec_lo, s12
	s_cbranch_vccnz .LBB384_139
; %bb.135:
	v_cmp_lt_i16_e32 vcc_lo, 0, v3
	s_mov_b32 s12, -1
	s_cbranch_vccz .LBB384_137
; %bb.136:
	s_mov_b32 s12, 0
	global_store_b8 v[0:1], v2, off
.LBB384_137:
	s_and_not1_b32 vcc_lo, exec_lo, s12
	s_cbranch_vccnz .LBB384_139
; %bb.138:
	global_store_b8 v[0:1], v2, off
.LBB384_139:
.LBB384_140:
	v_add_nc_u32_e32 v9, 0x80, v9
	s_mov_b32 s17, -1
	s_branch .LBB384_247
.LBB384_141:
	s_mov_b32 s14, -1
                                        ; implicit-def: $vgpr2
.LBB384_142:
	s_mov_b32 s12, 0
.LBB384_143:
	s_delay_alu instid0(SALU_CYCLE_1)
	s_and_b32 vcc_lo, exec_lo, s12
	s_cbranch_vccz .LBB384_147
; %bb.144:
	v_cmp_eq_u16_e64 s12, s9, 29
	s_delay_alu instid0(VALU_DEP_1)
	s_and_b32 vcc_lo, exec_lo, s12
	s_cbranch_vccz .LBB384_146
; %bb.145:
	global_load_b64 v[2:3], v[0:1], off
	s_mov_b32 s0, -1
	s_mov_b32 s14, 0
	s_branch .LBB384_147
.LBB384_146:
	s_mov_b32 s14, -1
                                        ; implicit-def: $vgpr2
.LBB384_147:
	s_mov_b32 s12, 0
.LBB384_148:
	s_delay_alu instid0(SALU_CYCLE_1)
	s_and_b32 vcc_lo, exec_lo, s12
	s_cbranch_vccz .LBB384_164
; %bb.149:
	v_cmp_lt_i16_e64 s0, s9, 27
	s_delay_alu instid0(VALU_DEP_1)
	s_and_b32 vcc_lo, exec_lo, s0
	s_cbranch_vccnz .LBB384_152
; %bb.150:
	v_cmp_gt_i16_e64 s0, s9, 27
	s_delay_alu instid0(VALU_DEP_1)
	s_and_b32 vcc_lo, exec_lo, s0
	s_cbranch_vccz .LBB384_153
; %bb.151:
	global_load_b32 v2, v[0:1], off
	s_mov_b32 s0, 0
	s_branch .LBB384_154
.LBB384_152:
	s_mov_b32 s0, -1
                                        ; implicit-def: $vgpr2
	s_branch .LBB384_157
.LBB384_153:
	s_mov_b32 s0, -1
                                        ; implicit-def: $vgpr2
.LBB384_154:
	s_delay_alu instid0(SALU_CYCLE_1)
	s_and_not1_b32 vcc_lo, exec_lo, s0
	s_cbranch_vccnz .LBB384_156
; %bb.155:
	global_load_u16 v2, v[0:1], off
.LBB384_156:
	s_mov_b32 s0, 0
.LBB384_157:
	s_delay_alu instid0(SALU_CYCLE_1)
	s_and_not1_b32 vcc_lo, exec_lo, s0
	s_cbranch_vccnz .LBB384_163
; %bb.158:
	global_load_u8 v3, v[0:1], off
	s_mov_b32 s0, 0
	s_mov_b32 s12, exec_lo
                                        ; implicit-def: $sgpr17
	s_waitcnt vmcnt(0)
	v_cmpx_lt_i16_e32 0x7f, v3
	s_xor_b32 s12, exec_lo, s12
	s_cbranch_execz .LBB384_174
; %bb.159:
	v_cmp_ne_u16_e32 vcc_lo, 0x80, v3
	s_mov_b32 s17, 0
	s_and_b32 s0, vcc_lo, exec_lo
	s_or_saveexec_b32 s12, s12
	v_mov_b32_e32 v2, s17
	s_xor_b32 exec_lo, exec_lo, s12
	s_cbranch_execnz .LBB384_175
.LBB384_160:
	s_or_b32 exec_lo, exec_lo, s12
	s_and_saveexec_b32 s12, s0
	s_cbranch_execz .LBB384_162
.LBB384_161:
	v_and_b32_e32 v2, 0xffff, v3
	s_delay_alu instid0(VALU_DEP_1) | instskip(NEXT) | instid1(VALU_DEP_1)
	v_and_b32_e32 v4, 7, v2
	v_clz_i32_u32_e32 v5, v4
	s_delay_alu instid0(VALU_DEP_1) | instskip(NEXT) | instid1(VALU_DEP_1)
	v_min_u32_e32 v5, 32, v5
	v_subrev_nc_u32_e32 v6, 28, v5
	v_sub_nc_u32_e32 v5, 29, v5
	s_delay_alu instid0(VALU_DEP_2) | instskip(SKIP_1) | instid1(VALU_DEP_2)
	v_lshlrev_b32_e32 v6, v6, v2
	v_bfe_u32 v2, v2, 3, 4
	v_and_b32_e32 v6, 7, v6
	s_delay_alu instid0(VALU_DEP_2) | instskip(SKIP_1) | instid1(VALU_DEP_1)
	v_cmp_eq_u32_e32 vcc_lo, 0, v2
	v_dual_cndmask_b32 v2, v2, v5 :: v_dual_lshlrev_b32 v3, 24, v3
	v_dual_cndmask_b32 v4, v4, v6 :: v_dual_and_b32 v3, 0x80000000, v3
	s_delay_alu instid0(VALU_DEP_2) | instskip(NEXT) | instid1(VALU_DEP_2)
	v_lshl_add_u32 v2, v2, 23, 0x3b800000
	v_lshlrev_b32_e32 v4, 20, v4
	s_delay_alu instid0(VALU_DEP_1) | instskip(NEXT) | instid1(VALU_DEP_1)
	v_or3_b32 v2, v3, v2, v4
	v_cvt_i32_f32_e32 v2, v2
.LBB384_162:
	s_or_b32 exec_lo, exec_lo, s12
.LBB384_163:
	s_mov_b32 s0, -1
.LBB384_164:
	s_branch .LBB384_197
.LBB384_165:
	v_cmp_gt_i16_e64 s12, s9, 22
	s_delay_alu instid0(VALU_DEP_1)
	s_and_b32 vcc_lo, exec_lo, s12
	s_cbranch_vccz .LBB384_173
; %bb.166:
	v_cmp_lt_i16_e64 s0, s9, 24
	s_delay_alu instid0(VALU_DEP_1)
	s_and_b32 vcc_lo, exec_lo, s0
	s_cbranch_vccnz .LBB384_176
; %bb.167:
	v_cmp_gt_i16_e64 s0, s9, 24
	s_delay_alu instid0(VALU_DEP_1)
	s_and_b32 vcc_lo, exec_lo, s0
	s_cbranch_vccz .LBB384_177
; %bb.168:
	global_load_u8 v3, v[0:1], off
	s_mov_b32 s0, 0
	s_mov_b32 s12, exec_lo
                                        ; implicit-def: $sgpr17
	s_waitcnt vmcnt(0)
	v_cmpx_lt_i16_e32 0x7f, v3
	s_xor_b32 s12, exec_lo, s12
	s_cbranch_execz .LBB384_189
; %bb.169:
	v_cmp_ne_u16_e32 vcc_lo, 0x80, v3
	s_mov_b32 s17, 0
	s_and_b32 s0, vcc_lo, exec_lo
	s_or_saveexec_b32 s12, s12
	v_mov_b32_e32 v2, s17
	s_xor_b32 exec_lo, exec_lo, s12
	s_cbranch_execnz .LBB384_190
.LBB384_170:
	s_or_b32 exec_lo, exec_lo, s12
	s_and_saveexec_b32 s12, s0
	s_cbranch_execz .LBB384_172
.LBB384_171:
	v_and_b32_e32 v2, 0xffff, v3
	s_delay_alu instid0(VALU_DEP_1) | instskip(NEXT) | instid1(VALU_DEP_1)
	v_and_b32_e32 v4, 3, v2
	v_clz_i32_u32_e32 v5, v4
	s_delay_alu instid0(VALU_DEP_1) | instskip(NEXT) | instid1(VALU_DEP_1)
	v_min_u32_e32 v5, 32, v5
	v_subrev_nc_u32_e32 v6, 29, v5
	v_sub_nc_u32_e32 v5, 30, v5
	s_delay_alu instid0(VALU_DEP_2) | instskip(SKIP_1) | instid1(VALU_DEP_2)
	v_lshlrev_b32_e32 v6, v6, v2
	v_bfe_u32 v2, v2, 2, 5
	v_and_b32_e32 v6, 3, v6
	s_delay_alu instid0(VALU_DEP_2) | instskip(SKIP_1) | instid1(VALU_DEP_1)
	v_cmp_eq_u32_e32 vcc_lo, 0, v2
	v_dual_cndmask_b32 v2, v2, v5 :: v_dual_lshlrev_b32 v3, 24, v3
	v_dual_cndmask_b32 v4, v4, v6 :: v_dual_and_b32 v3, 0x80000000, v3
	s_delay_alu instid0(VALU_DEP_2) | instskip(NEXT) | instid1(VALU_DEP_2)
	v_lshl_add_u32 v2, v2, 23, 0x37800000
	v_lshlrev_b32_e32 v4, 21, v4
	s_delay_alu instid0(VALU_DEP_1) | instskip(NEXT) | instid1(VALU_DEP_1)
	v_or3_b32 v2, v3, v2, v4
	v_cvt_i32_f32_e32 v2, v2
.LBB384_172:
	s_or_b32 exec_lo, exec_lo, s12
	s_mov_b32 s0, 0
	s_branch .LBB384_178
.LBB384_173:
	s_mov_b32 s12, -1
                                        ; implicit-def: $vgpr2
	s_branch .LBB384_184
.LBB384_174:
	s_or_saveexec_b32 s12, s12
	v_mov_b32_e32 v2, s17
	s_xor_b32 exec_lo, exec_lo, s12
	s_cbranch_execz .LBB384_160
.LBB384_175:
	v_cmp_ne_u16_e32 vcc_lo, 0, v3
	v_mov_b32_e32 v2, 0
	s_and_not1_b32 s0, s0, exec_lo
	s_and_b32 s17, vcc_lo, exec_lo
	s_delay_alu instid0(SALU_CYCLE_1)
	s_or_b32 s0, s0, s17
	s_or_b32 exec_lo, exec_lo, s12
	s_and_saveexec_b32 s12, s0
	s_cbranch_execnz .LBB384_161
	s_branch .LBB384_162
.LBB384_176:
	s_mov_b32 s0, -1
                                        ; implicit-def: $vgpr2
	s_branch .LBB384_181
.LBB384_177:
	s_mov_b32 s0, -1
                                        ; implicit-def: $vgpr2
.LBB384_178:
	s_delay_alu instid0(SALU_CYCLE_1)
	s_and_b32 vcc_lo, exec_lo, s0
	s_cbranch_vccz .LBB384_180
; %bb.179:
	global_load_u8 v2, v[0:1], off
	s_waitcnt vmcnt(0)
	v_lshlrev_b32_e32 v2, 24, v2
	s_delay_alu instid0(VALU_DEP_1) | instskip(NEXT) | instid1(VALU_DEP_1)
	v_and_b32_e32 v3, 0x7f000000, v2
	v_clz_i32_u32_e32 v4, v3
	v_add_nc_u32_e32 v6, 0x1000000, v3
	v_cmp_ne_u32_e32 vcc_lo, 0, v3
	s_delay_alu instid0(VALU_DEP_3) | instskip(NEXT) | instid1(VALU_DEP_1)
	v_min_u32_e32 v4, 32, v4
	v_sub_nc_u32_e64 v4, v4, 4 clamp
	s_delay_alu instid0(VALU_DEP_1) | instskip(SKIP_1) | instid1(VALU_DEP_2)
	v_lshlrev_b32_e32 v5, v4, v3
	v_lshlrev_b32_e32 v4, 23, v4
	v_lshrrev_b32_e32 v5, 4, v5
	s_delay_alu instid0(VALU_DEP_1) | instskip(SKIP_1) | instid1(VALU_DEP_2)
	v_sub_nc_u32_e32 v4, v5, v4
	v_ashrrev_i32_e32 v5, 8, v6
	v_add_nc_u32_e32 v4, 0x3c000000, v4
	s_delay_alu instid0(VALU_DEP_1) | instskip(NEXT) | instid1(VALU_DEP_1)
	v_and_or_b32 v4, 0x7f800000, v5, v4
	v_cndmask_b32_e32 v3, 0, v4, vcc_lo
	s_delay_alu instid0(VALU_DEP_1) | instskip(NEXT) | instid1(VALU_DEP_1)
	v_and_or_b32 v2, 0x80000000, v2, v3
	v_cvt_i32_f32_e32 v2, v2
.LBB384_180:
	s_mov_b32 s0, 0
.LBB384_181:
	s_delay_alu instid0(SALU_CYCLE_1)
	s_and_not1_b32 vcc_lo, exec_lo, s0
	s_cbranch_vccnz .LBB384_183
; %bb.182:
	global_load_u8 v2, v[0:1], off
	s_waitcnt vmcnt(0)
	v_lshlrev_b32_e32 v3, 25, v2
	v_lshlrev_b16 v2, 8, v2
	s_delay_alu instid0(VALU_DEP_2) | instskip(NEXT) | instid1(VALU_DEP_2)
	v_lshrrev_b32_e32 v4, 4, v3
	v_and_or_b32 v5, 0x7f00, v2, 0.5
	v_bfe_i32 v2, v2, 0, 16
	s_delay_alu instid0(VALU_DEP_3) | instskip(NEXT) | instid1(VALU_DEP_1)
	v_or_b32_e32 v4, 0x70000000, v4
	v_dual_add_f32 v5, -0.5, v5 :: v_dual_mul_f32 v4, 0x7800000, v4
	v_cmp_gt_u32_e32 vcc_lo, 0x8000000, v3
	s_delay_alu instid0(VALU_DEP_2) | instskip(NEXT) | instid1(VALU_DEP_1)
	v_cndmask_b32_e32 v3, v4, v5, vcc_lo
	v_and_or_b32 v2, 0x80000000, v2, v3
	s_delay_alu instid0(VALU_DEP_1)
	v_cvt_i32_f32_e32 v2, v2
.LBB384_183:
	s_mov_b32 s12, 0
	s_mov_b32 s0, -1
.LBB384_184:
	s_and_not1_b32 vcc_lo, exec_lo, s12
	s_cbranch_vccnz .LBB384_197
; %bb.185:
	v_cmp_gt_i16_e64 s12, s9, 14
	s_delay_alu instid0(VALU_DEP_1)
	s_and_b32 vcc_lo, exec_lo, s12
	s_cbranch_vccz .LBB384_188
; %bb.186:
	v_cmp_eq_u16_e64 s12, s9, 15
	s_delay_alu instid0(VALU_DEP_1)
	s_and_b32 vcc_lo, exec_lo, s12
	s_cbranch_vccz .LBB384_191
; %bb.187:
	global_load_u16 v2, v[0:1], off
	s_mov_b32 s0, -1
	s_mov_b32 s14, 0
	s_waitcnt vmcnt(0)
	v_lshlrev_b32_e32 v2, 16, v2
	s_delay_alu instid0(VALU_DEP_1)
	v_cvt_i32_f32_e32 v2, v2
	s_branch .LBB384_192
.LBB384_188:
	s_mov_b32 s12, -1
                                        ; implicit-def: $vgpr2
	s_branch .LBB384_193
.LBB384_189:
	s_or_saveexec_b32 s12, s12
	v_mov_b32_e32 v2, s17
	s_xor_b32 exec_lo, exec_lo, s12
	s_cbranch_execz .LBB384_170
.LBB384_190:
	v_cmp_ne_u16_e32 vcc_lo, 0, v3
	v_mov_b32_e32 v2, 0
	s_and_not1_b32 s0, s0, exec_lo
	s_and_b32 s17, vcc_lo, exec_lo
	s_delay_alu instid0(SALU_CYCLE_1)
	s_or_b32 s0, s0, s17
	s_or_b32 exec_lo, exec_lo, s12
	s_and_saveexec_b32 s12, s0
	s_cbranch_execnz .LBB384_171
	s_branch .LBB384_172
.LBB384_191:
	s_mov_b32 s14, -1
                                        ; implicit-def: $vgpr2
.LBB384_192:
	s_mov_b32 s12, 0
.LBB384_193:
	s_delay_alu instid0(SALU_CYCLE_1)
	s_and_b32 vcc_lo, exec_lo, s12
	s_cbranch_vccz .LBB384_197
; %bb.194:
	v_cmp_eq_u16_e64 s12, s9, 11
	s_delay_alu instid0(VALU_DEP_1)
	s_and_b32 vcc_lo, exec_lo, s12
	s_cbranch_vccz .LBB384_196
; %bb.195:
	global_load_u8 v2, v[0:1], off
	s_mov_b32 s14, 0
	s_mov_b32 s0, -1
	s_waitcnt vmcnt(0)
	v_cmp_ne_u16_e32 vcc_lo, 0, v2
	v_cndmask_b32_e64 v2, 0, 1, vcc_lo
	s_branch .LBB384_197
.LBB384_196:
	s_mov_b32 s14, -1
                                        ; implicit-def: $vgpr2
.LBB384_197:
	s_branch .LBB384_10
.LBB384_198:
	v_cmp_lt_i16_e64 s0, s9, 5
	s_delay_alu instid0(VALU_DEP_1)
	s_and_b32 vcc_lo, exec_lo, s0
	s_cbranch_vccnz .LBB384_203
; %bb.199:
	v_cmp_lt_i16_e64 s0, s9, 8
	s_delay_alu instid0(VALU_DEP_1)
	s_and_b32 vcc_lo, exec_lo, s0
	s_cbranch_vccnz .LBB384_204
; %bb.200:
	v_cmp_lt_i16_e64 s0, s9, 9
	s_delay_alu instid0(VALU_DEP_1)
	s_and_b32 vcc_lo, exec_lo, s0
	s_cbranch_vccnz .LBB384_205
; %bb.201:
	v_cmp_gt_i16_e64 s0, s9, 9
	s_delay_alu instid0(VALU_DEP_1)
	s_and_b32 vcc_lo, exec_lo, s0
	s_cbranch_vccz .LBB384_206
; %bb.202:
	global_load_b64 v[2:3], v[0:1], off
	s_mov_b32 s0, 0
	s_waitcnt vmcnt(0)
	v_cvt_i32_f64_e32 v2, v[2:3]
	s_branch .LBB384_207
.LBB384_203:
                                        ; implicit-def: $vgpr2
	s_branch .LBB384_225
.LBB384_204:
	s_mov_b32 s0, -1
                                        ; implicit-def: $vgpr2
	s_branch .LBB384_213
.LBB384_205:
	s_mov_b32 s0, -1
                                        ; implicit-def: $vgpr2
	s_branch .LBB384_210
.LBB384_206:
	s_mov_b32 s0, -1
                                        ; implicit-def: $vgpr2
.LBB384_207:
	s_delay_alu instid0(SALU_CYCLE_1)
	s_and_not1_b32 vcc_lo, exec_lo, s0
	s_cbranch_vccnz .LBB384_209
; %bb.208:
	global_load_b32 v2, v[0:1], off
	s_waitcnt vmcnt(0)
	v_cvt_i32_f32_e32 v2, v2
.LBB384_209:
	s_mov_b32 s0, 0
.LBB384_210:
	s_delay_alu instid0(SALU_CYCLE_1)
	s_and_not1_b32 vcc_lo, exec_lo, s0
	s_cbranch_vccnz .LBB384_212
; %bb.211:
	global_load_b32 v2, v[0:1], off
	s_waitcnt vmcnt(0)
	v_cvt_i16_f16_e32 v2, v2
.LBB384_212:
	s_mov_b32 s0, 0
.LBB384_213:
	s_delay_alu instid0(SALU_CYCLE_1)
	s_and_not1_b32 vcc_lo, exec_lo, s0
	s_cbranch_vccnz .LBB384_224
; %bb.214:
	v_cmp_lt_i16_e64 s0, s9, 6
	s_delay_alu instid0(VALU_DEP_1)
	s_and_b32 vcc_lo, exec_lo, s0
	s_cbranch_vccnz .LBB384_217
; %bb.215:
	v_cmp_gt_i16_e64 s0, s9, 6
	s_delay_alu instid0(VALU_DEP_1)
	s_and_b32 vcc_lo, exec_lo, s0
	s_cbranch_vccz .LBB384_218
; %bb.216:
	global_load_b64 v[2:3], v[0:1], off
	s_mov_b32 s0, 0
	s_waitcnt vmcnt(0)
	v_cvt_i32_f64_e32 v2, v[2:3]
	s_branch .LBB384_219
.LBB384_217:
	s_mov_b32 s0, -1
                                        ; implicit-def: $vgpr2
	s_branch .LBB384_222
.LBB384_218:
	s_mov_b32 s0, -1
                                        ; implicit-def: $vgpr2
.LBB384_219:
	s_delay_alu instid0(SALU_CYCLE_1)
	s_and_not1_b32 vcc_lo, exec_lo, s0
	s_cbranch_vccnz .LBB384_221
; %bb.220:
	global_load_b32 v2, v[0:1], off
	s_waitcnt vmcnt(0)
	v_cvt_i32_f32_e32 v2, v2
.LBB384_221:
	s_mov_b32 s0, 0
.LBB384_222:
	s_delay_alu instid0(SALU_CYCLE_1)
	s_and_not1_b32 vcc_lo, exec_lo, s0
	s_cbranch_vccnz .LBB384_224
; %bb.223:
	global_load_u16 v2, v[0:1], off
	s_waitcnt vmcnt(0)
	v_cvt_i16_f16_e32 v2, v2
.LBB384_224:
	s_cbranch_execnz .LBB384_244
.LBB384_225:
	v_cmp_lt_i16_e64 s0, s9, 2
	s_delay_alu instid0(VALU_DEP_1)
	s_and_b32 vcc_lo, exec_lo, s0
	s_cbranch_vccnz .LBB384_229
; %bb.226:
	v_cmp_lt_i16_e64 s0, s9, 3
	s_delay_alu instid0(VALU_DEP_1)
	s_and_b32 vcc_lo, exec_lo, s0
	s_cbranch_vccnz .LBB384_230
; %bb.227:
	v_cmp_gt_i16_e64 s0, s9, 3
	s_delay_alu instid0(VALU_DEP_1)
	s_and_b32 vcc_lo, exec_lo, s0
	s_cbranch_vccz .LBB384_231
; %bb.228:
	global_load_b64 v[2:3], v[0:1], off
	s_mov_b32 s0, 0
	s_branch .LBB384_232
.LBB384_229:
	s_mov_b32 s0, -1
                                        ; implicit-def: $vgpr2
	s_branch .LBB384_238
.LBB384_230:
	s_mov_b32 s0, -1
                                        ; implicit-def: $vgpr2
	s_branch .LBB384_235
.LBB384_231:
	s_mov_b32 s0, -1
                                        ; implicit-def: $vgpr2
.LBB384_232:
	s_delay_alu instid0(SALU_CYCLE_1)
	s_and_not1_b32 vcc_lo, exec_lo, s0
	s_cbranch_vccnz .LBB384_234
; %bb.233:
	global_load_b32 v2, v[0:1], off
.LBB384_234:
	s_mov_b32 s0, 0
.LBB384_235:
	s_delay_alu instid0(SALU_CYCLE_1)
	s_and_not1_b32 vcc_lo, exec_lo, s0
	s_cbranch_vccnz .LBB384_237
; %bb.236:
	global_load_u16 v2, v[0:1], off
.LBB384_237:
	s_mov_b32 s0, 0
.LBB384_238:
	s_delay_alu instid0(SALU_CYCLE_1)
	s_and_not1_b32 vcc_lo, exec_lo, s0
	s_cbranch_vccnz .LBB384_244
; %bb.239:
	v_cmp_gt_i16_e64 s0, s9, 0
	s_delay_alu instid0(VALU_DEP_1)
	s_and_b32 vcc_lo, exec_lo, s0
	s_mov_b32 s0, 0
	s_cbranch_vccz .LBB384_241
; %bb.240:
	global_load_i8 v2, v[0:1], off
	s_branch .LBB384_242
.LBB384_241:
	s_mov_b32 s0, -1
                                        ; implicit-def: $vgpr2
.LBB384_242:
	s_delay_alu instid0(SALU_CYCLE_1)
	s_and_not1_b32 vcc_lo, exec_lo, s0
	s_cbranch_vccnz .LBB384_244
; %bb.243:
	global_load_u8 v2, v[0:1], off
.LBB384_244:
	s_branch .LBB384_11
.LBB384_245:
	s_mov_b32 s0, 0
.LBB384_246:
	s_mov_b32 s17, 0
                                        ; implicit-def: $vgpr9
.LBB384_247:
	s_and_b32 s12, s0, exec_lo
	s_and_b32 s14, s14, exec_lo
	s_or_not1_b32 s18, s17, exec_lo
.LBB384_248:
	s_or_b32 exec_lo, exec_lo, s15
	s_mov_b32 s17, 0
	s_mov_b32 s0, 0
                                        ; implicit-def: $vgpr0_vgpr1
                                        ; implicit-def: $vgpr2
	s_and_saveexec_b32 s15, s18
	s_cbranch_execz .LBB384_844
; %bb.249:
	s_mov_b32 s0, -1
	s_mov_b32 s16, s14
	s_mov_b32 s17, s12
	s_mov_b32 s18, exec_lo
	v_cmpx_gt_i32_e64 s13, v9
	s_cbranch_execz .LBB384_504
; %bb.250:
	v_mul_lo_u32 v0, v9, s3
	v_cmp_lt_i16_e64 s0, s9, 11
	s_delay_alu instid0(VALU_DEP_2) | instskip(SKIP_1) | instid1(VALU_DEP_2)
	v_ashrrev_i32_e32 v1, 31, v0
	v_add_co_u32 v0, vcc_lo, s6, v0
	v_add_co_ci_u32_e32 v1, vcc_lo, s7, v1, vcc_lo
	s_delay_alu instid0(VALU_DEP_4)
	s_and_b32 vcc_lo, exec_lo, s0
	s_cbranch_vccnz .LBB384_257
; %bb.251:
	v_cmp_gt_i16_e64 s0, s9, 25
	s_delay_alu instid0(VALU_DEP_1)
	s_and_b32 vcc_lo, exec_lo, s0
	s_cbranch_vccz .LBB384_266
; %bb.252:
	v_cmp_gt_i16_e64 s0, s9, 28
	s_delay_alu instid0(VALU_DEP_1)
	s_and_b32 vcc_lo, exec_lo, s0
	s_cbranch_vccz .LBB384_268
; %bb.253:
	v_cmp_gt_i16_e64 s0, s9, 43
	s_delay_alu instid0(VALU_DEP_1)
	s_and_b32 vcc_lo, exec_lo, s0
	s_cbranch_vccz .LBB384_270
; %bb.254:
	v_cmp_gt_i16_e64 s0, s9, 45
	s_delay_alu instid0(VALU_DEP_1)
	s_and_b32 vcc_lo, exec_lo, s0
	s_cbranch_vccz .LBB384_274
; %bb.255:
	v_cmp_eq_u16_e64 s0, s9, 46
	s_mov_b32 s17, 0
	s_delay_alu instid0(VALU_DEP_1)
	s_and_b32 vcc_lo, exec_lo, s0
	s_cbranch_vccz .LBB384_278
; %bb.256:
	global_load_b32 v2, v[0:1], off
	s_mov_b32 s0, -1
	s_mov_b32 s16, 0
	s_waitcnt vmcnt(0)
	v_lshlrev_b32_e32 v2, 16, v2
	s_delay_alu instid0(VALU_DEP_1)
	v_cvt_i32_f32_e32 v2, v2
	s_branch .LBB384_280
.LBB384_257:
	s_mov_b32 s0, 0
	s_mov_b32 s16, s14
                                        ; implicit-def: $vgpr2
	s_cbranch_execnz .LBB384_453
.LBB384_258:
	s_and_not1_b32 vcc_lo, exec_lo, s0
	s_cbranch_vccnz .LBB384_501
.LBB384_259:
	v_mul_lo_u32 v0, v9, s2
	s_waitcnt vmcnt(0)
	v_and_b32_e64 v3, 0xff, s1
	s_delay_alu instid0(VALU_DEP_3) | instskip(NEXT) | instid1(VALU_DEP_2)
	v_max_i16 v2, v2, s8
	v_cmp_gt_i16_e32 vcc_lo, 11, v3
	s_delay_alu instid0(VALU_DEP_4) | instskip(SKIP_1) | instid1(VALU_DEP_1)
	v_ashrrev_i32_e32 v1, 31, v0
	v_add_co_u32 v0, s0, s4, v0
	v_add_co_ci_u32_e64 v1, s0, s5, v1, s0
	s_cbranch_vccnz .LBB384_267
; %bb.260:
	v_cmp_lt_i16_e32 vcc_lo, 25, v3
	s_cbranch_vccz .LBB384_269
; %bb.261:
	v_cmp_lt_i16_e32 vcc_lo, 28, v3
	s_cbranch_vccz .LBB384_271
	;; [unrolled: 3-line block ×4, first 2 shown]
; %bb.264:
	v_cmp_eq_u16_e32 vcc_lo, 46, v3
	s_mov_b32 s19, 0
	s_mov_b32 s0, -1
	s_mov_b32 s17, 0
	s_cbranch_vccz .LBB384_284
; %bb.265:
	v_bfe_i32 v4, v2, 0, 16
	s_mov_b32 s17, -1
	s_mov_b32 s0, 0
	s_delay_alu instid0(VALU_DEP_1) | instskip(NEXT) | instid1(VALU_DEP_1)
	v_cvt_f32_i32_e32 v4, v4
	v_bfe_u32 v5, v4, 16, 1
	s_delay_alu instid0(VALU_DEP_1) | instskip(NEXT) | instid1(VALU_DEP_1)
	v_add3_u32 v4, v4, v5, 0x7fff
	v_lshrrev_b32_e32 v4, 16, v4
	global_store_b32 v[0:1], v4, off
	s_branch .LBB384_284
.LBB384_266:
	s_mov_b32 s17, -1
	s_mov_b32 s0, 0
	s_mov_b32 s16, s14
                                        ; implicit-def: $vgpr2
	s_branch .LBB384_419
.LBB384_267:
	s_mov_b32 s19, -1
	s_mov_b32 s17, 0
	s_mov_b32 s0, s12
	s_branch .LBB384_353
.LBB384_268:
	s_mov_b32 s17, -1
	s_mov_b32 s0, 0
	s_mov_b32 s16, s14
                                        ; implicit-def: $vgpr2
	s_branch .LBB384_402
.LBB384_269:
	s_mov_b32 s19, -1
	s_mov_b32 s17, 0
	s_mov_b32 s0, s12
	s_branch .LBB384_311
.LBB384_270:
	s_mov_b32 s17, -1
	s_mov_b32 s0, 0
	s_mov_b32 s16, s14
                                        ; implicit-def: $vgpr2
	s_branch .LBB384_397
.LBB384_271:
	s_mov_b32 s19, -1
	s_mov_b32 s17, 0
	s_mov_b32 s0, s12
	s_branch .LBB384_294
.LBB384_272:
	s_or_saveexec_b32 s18, s18
                                        ; implicit-def: $sgpr19
	s_delay_alu instid0(SALU_CYCLE_1)
	s_xor_b32 exec_lo, exec_lo, s18
	s_cbranch_execz .LBB384_54
.LBB384_273:
	v_add_f32_e64 v5, 0x46000000, |v4|
	s_and_not1_b32 s17, s17, exec_lo
	s_mov_b32 s19, 0
	s_delay_alu instid0(VALU_DEP_1) | instskip(NEXT) | instid1(VALU_DEP_1)
	v_and_b32_e32 v5, 0xff, v5
	v_cmp_ne_u32_e32 vcc_lo, 0, v5
	s_and_b32 s20, vcc_lo, exec_lo
	s_delay_alu instid0(SALU_CYCLE_1)
	s_or_b32 s17, s17, s20
	s_or_b32 exec_lo, exec_lo, s18
	v_mov_b32_e32 v6, s19
	s_and_saveexec_b32 s18, s17
	s_cbranch_execnz .LBB384_55
	s_branch .LBB384_56
.LBB384_274:
	s_mov_b32 s17, -1
	s_mov_b32 s0, 0
	s_mov_b32 s16, s14
	s_branch .LBB384_279
.LBB384_275:
	s_mov_b32 s19, -1
	s_mov_b32 s17, 0
	s_mov_b32 s0, s12
	s_branch .LBB384_290
.LBB384_276:
	s_or_saveexec_b32 s18, s18
                                        ; implicit-def: $sgpr19
	s_delay_alu instid0(SALU_CYCLE_1)
	s_xor_b32 exec_lo, exec_lo, s18
	s_cbranch_execz .LBB384_67
.LBB384_277:
	v_add_f32_e64 v5, 0x42800000, |v4|
	s_and_not1_b32 s17, s17, exec_lo
	s_mov_b32 s19, 0
	s_delay_alu instid0(VALU_DEP_1) | instskip(NEXT) | instid1(VALU_DEP_1)
	v_and_b32_e32 v5, 0xff, v5
	v_cmp_ne_u32_e32 vcc_lo, 0, v5
	s_and_b32 s20, vcc_lo, exec_lo
	s_delay_alu instid0(SALU_CYCLE_1)
	s_or_b32 s17, s17, s20
	s_or_b32 exec_lo, exec_lo, s18
	v_mov_b32_e32 v6, s19
	s_and_saveexec_b32 s18, s17
	s_cbranch_execnz .LBB384_68
	s_branch .LBB384_69
.LBB384_278:
	s_mov_b32 s16, -1
	s_mov_b32 s0, 0
.LBB384_279:
                                        ; implicit-def: $vgpr2
.LBB384_280:
	s_and_b32 vcc_lo, exec_lo, s17
	s_cbranch_vccz .LBB384_396
; %bb.281:
	v_cmp_eq_u16_e64 s16, s9, 44
	s_delay_alu instid0(VALU_DEP_1)
	s_and_b32 vcc_lo, exec_lo, s16
	s_cbranch_vccz .LBB384_395
; %bb.282:
	global_load_u8 v2, v[0:1], off
	s_mov_b32 s16, 0
	s_mov_b32 s0, -1
	s_waitcnt vmcnt(0)
	v_lshlrev_b32_e32 v3, 23, v2
	v_cmp_ne_u32_e32 vcc_lo, 0, v2
	s_delay_alu instid0(VALU_DEP_2) | instskip(NEXT) | instid1(VALU_DEP_1)
	v_cvt_i32_f32_e32 v3, v3
	v_cndmask_b32_e32 v2, 0, v3, vcc_lo
	s_branch .LBB384_396
.LBB384_283:
	s_mov_b32 s19, -1
	s_mov_b32 s17, 0
	s_mov_b32 s0, s12
.LBB384_284:
	s_and_b32 vcc_lo, exec_lo, s19
	s_cbranch_vccz .LBB384_289
; %bb.285:
	v_cmp_eq_u16_e32 vcc_lo, 44, v3
	s_mov_b32 s0, -1
	s_cbranch_vccz .LBB384_289
; %bb.286:
	v_bfe_i32 v4, v2, 0, 16
	v_mov_b32_e32 v5, 0xff
	s_mov_b32 s17, exec_lo
	s_delay_alu instid0(VALU_DEP_2) | instskip(NEXT) | instid1(VALU_DEP_1)
	v_cvt_f32_i32_e32 v4, v4
	v_bfe_u32 v6, v4, 23, 8
	s_delay_alu instid0(VALU_DEP_1)
	v_cmpx_ne_u32_e32 0xff, v6
; %bb.287:
	v_and_b32_e32 v5, 0x400000, v4
	v_and_or_b32 v6, 0x3fffff, v4, v6
	v_lshrrev_b32_e32 v4, 23, v4
	s_delay_alu instid0(VALU_DEP_3) | instskip(NEXT) | instid1(VALU_DEP_3)
	v_cmp_ne_u32_e32 vcc_lo, 0, v5
	v_cmp_ne_u32_e64 s0, 0, v6
	s_delay_alu instid0(VALU_DEP_1) | instskip(NEXT) | instid1(SALU_CYCLE_1)
	s_and_b32 s0, vcc_lo, s0
	v_cndmask_b32_e64 v5, 0, 1, s0
	s_delay_alu instid0(VALU_DEP_1)
	v_add_nc_u32_e32 v5, v4, v5
; %bb.288:
	s_or_b32 exec_lo, exec_lo, s17
	s_mov_b32 s17, -1
	s_mov_b32 s0, 0
	global_store_b8 v[0:1], v5, off
.LBB384_289:
	s_mov_b32 s19, 0
.LBB384_290:
	s_delay_alu instid0(SALU_CYCLE_1)
	s_and_b32 vcc_lo, exec_lo, s19
	s_cbranch_vccz .LBB384_293
; %bb.291:
	v_cmp_eq_u16_e32 vcc_lo, 29, v3
	s_mov_b32 s0, -1
	s_cbranch_vccz .LBB384_293
; %bb.292:
	v_bfe_i32 v4, v2, 0, 16
	s_mov_b32 s0, 0
	s_mov_b32 s17, -1
	s_mov_b32 s19, 0
	s_delay_alu instid0(VALU_DEP_1)
	v_ashrrev_i32_e32 v5, 31, v4
	global_store_b64 v[0:1], v[4:5], off
	s_branch .LBB384_294
.LBB384_293:
	s_mov_b32 s19, 0
.LBB384_294:
	s_delay_alu instid0(SALU_CYCLE_1)
	s_and_b32 vcc_lo, exec_lo, s19
	s_cbranch_vccz .LBB384_310
; %bb.295:
	v_cmp_gt_i16_e32 vcc_lo, 27, v3
	s_mov_b32 s17, -1
	s_cbranch_vccnz .LBB384_301
; %bb.296:
	v_cmp_lt_i16_e32 vcc_lo, 27, v3
	s_cbranch_vccz .LBB384_298
; %bb.297:
	v_bfe_i32 v4, v2, 0, 16
	s_mov_b32 s17, 0
	global_store_b32 v[0:1], v4, off
.LBB384_298:
	s_and_not1_b32 vcc_lo, exec_lo, s17
	s_cbranch_vccnz .LBB384_300
; %bb.299:
	global_store_b16 v[0:1], v2, off
.LBB384_300:
	s_mov_b32 s17, 0
.LBB384_301:
	s_delay_alu instid0(SALU_CYCLE_1)
	s_and_not1_b32 vcc_lo, exec_lo, s17
	s_cbranch_vccnz .LBB384_309
; %bb.302:
	v_bfe_i32 v4, v2, 0, 16
	v_mov_b32_e32 v6, 0x80
	s_mov_b32 s17, exec_lo
	s_delay_alu instid0(VALU_DEP_2) | instskip(NEXT) | instid1(VALU_DEP_1)
	v_cvt_f32_i32_e32 v4, v4
	v_and_b32_e32 v5, 0x7fffffff, v4
	s_delay_alu instid0(VALU_DEP_1)
	v_cmpx_gt_u32_e32 0x43800000, v5
	s_cbranch_execz .LBB384_308
; %bb.303:
	v_cmp_lt_u32_e32 vcc_lo, 0x3bffffff, v5
	s_mov_b32 s19, 0
                                        ; implicit-def: $vgpr5
	s_and_saveexec_b32 s20, vcc_lo
	s_delay_alu instid0(SALU_CYCLE_1)
	s_xor_b32 s20, exec_lo, s20
	s_cbranch_execz .LBB384_517
; %bb.304:
	v_bfe_u32 v5, v4, 20, 1
	s_mov_b32 s19, exec_lo
	s_delay_alu instid0(VALU_DEP_1) | instskip(NEXT) | instid1(VALU_DEP_1)
	v_add3_u32 v5, v4, v5, 0x487ffff
	v_lshrrev_b32_e32 v5, 20, v5
	s_or_saveexec_b32 s20, s20
                                        ; implicit-def: $sgpr21
	s_delay_alu instid0(SALU_CYCLE_1)
	s_xor_b32 exec_lo, exec_lo, s20
	s_cbranch_execnz .LBB384_518
.LBB384_305:
	s_or_b32 exec_lo, exec_lo, s20
	v_mov_b32_e32 v6, s21
	s_and_saveexec_b32 s20, s19
.LBB384_306:
	v_lshrrev_b32_e32 v4, 24, v4
	s_delay_alu instid0(VALU_DEP_1)
	v_and_or_b32 v6, 0x80, v4, v5
.LBB384_307:
	s_or_b32 exec_lo, exec_lo, s20
.LBB384_308:
	s_delay_alu instid0(SALU_CYCLE_1)
	s_or_b32 exec_lo, exec_lo, s17
	global_store_b8 v[0:1], v6, off
.LBB384_309:
	s_mov_b32 s17, -1
.LBB384_310:
	s_mov_b32 s19, 0
.LBB384_311:
	s_delay_alu instid0(SALU_CYCLE_1)
	s_and_b32 vcc_lo, exec_lo, s19
	s_cbranch_vccz .LBB384_352
; %bb.312:
	v_cmp_lt_i16_e32 vcc_lo, 22, v3
	s_mov_b32 s19, -1
	s_cbranch_vccz .LBB384_344
; %bb.313:
	v_cmp_gt_i16_e32 vcc_lo, 24, v3
	s_mov_b32 s17, -1
	s_cbranch_vccnz .LBB384_333
; %bb.314:
	v_cmp_lt_i16_e32 vcc_lo, 24, v3
	s_cbranch_vccz .LBB384_322
; %bb.315:
	v_bfe_i32 v4, v2, 0, 16
	v_mov_b32_e32 v6, 0x80
	s_mov_b32 s17, exec_lo
	s_delay_alu instid0(VALU_DEP_2) | instskip(NEXT) | instid1(VALU_DEP_1)
	v_cvt_f32_i32_e32 v4, v4
	v_and_b32_e32 v5, 0x7fffffff, v4
	s_delay_alu instid0(VALU_DEP_1)
	v_cmpx_gt_u32_e32 0x47800000, v5
	s_cbranch_execz .LBB384_321
; %bb.316:
	v_cmp_lt_u32_e32 vcc_lo, 0x37ffffff, v5
	s_mov_b32 s19, 0
                                        ; implicit-def: $vgpr5
	s_and_saveexec_b32 s20, vcc_lo
	s_delay_alu instid0(SALU_CYCLE_1)
	s_xor_b32 s20, exec_lo, s20
	s_cbranch_execz .LBB384_520
; %bb.317:
	v_bfe_u32 v5, v4, 21, 1
	s_mov_b32 s19, exec_lo
	s_delay_alu instid0(VALU_DEP_1) | instskip(NEXT) | instid1(VALU_DEP_1)
	v_add3_u32 v5, v4, v5, 0x88fffff
	v_lshrrev_b32_e32 v5, 21, v5
	s_or_saveexec_b32 s20, s20
                                        ; implicit-def: $sgpr21
	s_delay_alu instid0(SALU_CYCLE_1)
	s_xor_b32 exec_lo, exec_lo, s20
	s_cbranch_execnz .LBB384_521
.LBB384_318:
	s_or_b32 exec_lo, exec_lo, s20
	v_mov_b32_e32 v6, s21
	s_and_saveexec_b32 s20, s19
.LBB384_319:
	v_lshrrev_b32_e32 v4, 24, v4
	s_delay_alu instid0(VALU_DEP_1)
	v_and_or_b32 v6, 0x80, v4, v5
.LBB384_320:
	s_or_b32 exec_lo, exec_lo, s20
.LBB384_321:
	s_delay_alu instid0(SALU_CYCLE_1)
	s_or_b32 exec_lo, exec_lo, s17
	s_mov_b32 s17, 0
	global_store_b8 v[0:1], v6, off
.LBB384_322:
	s_and_b32 vcc_lo, exec_lo, s17
	s_cbranch_vccz .LBB384_332
; %bb.323:
	v_bfe_i32 v4, v2, 0, 16
	s_mov_b32 s17, exec_lo
                                        ; implicit-def: $vgpr5
	s_delay_alu instid0(VALU_DEP_1) | instskip(NEXT) | instid1(VALU_DEP_1)
	v_cvt_f32_i32_e32 v4, v4
	v_and_b32_e32 v6, 0x7fffffff, v4
	s_delay_alu instid0(VALU_DEP_1)
	v_cmpx_gt_u32_e32 0x43f00000, v6
	s_xor_b32 s17, exec_lo, s17
	s_cbranch_execz .LBB384_329
; %bb.324:
	s_mov_b32 s19, exec_lo
                                        ; implicit-def: $vgpr5
	v_cmpx_lt_u32_e32 0x3c7fffff, v6
	s_xor_b32 s19, exec_lo, s19
; %bb.325:
	v_bfe_u32 v5, v4, 20, 1
	s_delay_alu instid0(VALU_DEP_1) | instskip(NEXT) | instid1(VALU_DEP_1)
	v_add3_u32 v5, v4, v5, 0x407ffff
	v_and_b32_e32 v6, 0xff00000, v5
	v_lshrrev_b32_e32 v5, 20, v5
	s_delay_alu instid0(VALU_DEP_2) | instskip(NEXT) | instid1(VALU_DEP_2)
	v_cmp_ne_u32_e32 vcc_lo, 0x7f00000, v6
	v_cndmask_b32_e32 v5, 0x7e, v5, vcc_lo
; %bb.326:
	s_and_not1_saveexec_b32 s19, s19
; %bb.327:
	v_add_f32_e64 v5, 0x46800000, |v4|
; %bb.328:
	s_or_b32 exec_lo, exec_lo, s19
                                        ; implicit-def: $vgpr6
.LBB384_329:
	s_and_not1_saveexec_b32 s17, s17
; %bb.330:
	v_mov_b32_e32 v5, 0x7f
	v_cmp_lt_u32_e32 vcc_lo, 0x7f800000, v6
	s_delay_alu instid0(VALU_DEP_2)
	v_cndmask_b32_e32 v5, 0x7e, v5, vcc_lo
; %bb.331:
	s_or_b32 exec_lo, exec_lo, s17
	v_lshrrev_b32_e32 v4, 24, v4
	s_delay_alu instid0(VALU_DEP_1)
	v_and_or_b32 v4, 0x80, v4, v5
	global_store_b8 v[0:1], v4, off
.LBB384_332:
	s_mov_b32 s17, 0
.LBB384_333:
	s_delay_alu instid0(SALU_CYCLE_1)
	s_and_not1_b32 vcc_lo, exec_lo, s17
	s_cbranch_vccnz .LBB384_343
; %bb.334:
	v_bfe_i32 v4, v2, 0, 16
	s_mov_b32 s17, exec_lo
                                        ; implicit-def: $vgpr5
	s_delay_alu instid0(VALU_DEP_1) | instskip(NEXT) | instid1(VALU_DEP_1)
	v_cvt_f32_i32_e32 v4, v4
	v_and_b32_e32 v6, 0x7fffffff, v4
	s_delay_alu instid0(VALU_DEP_1)
	v_cmpx_gt_u32_e32 0x47800000, v6
	s_xor_b32 s17, exec_lo, s17
	s_cbranch_execz .LBB384_340
; %bb.335:
	s_mov_b32 s19, exec_lo
                                        ; implicit-def: $vgpr5
	v_cmpx_lt_u32_e32 0x387fffff, v6
	s_xor_b32 s19, exec_lo, s19
; %bb.336:
	v_bfe_u32 v5, v4, 21, 1
	s_delay_alu instid0(VALU_DEP_1) | instskip(NEXT) | instid1(VALU_DEP_1)
	v_add3_u32 v5, v4, v5, 0x80fffff
	v_lshrrev_b32_e32 v5, 21, v5
; %bb.337:
	s_and_not1_saveexec_b32 s19, s19
; %bb.338:
	v_add_f32_e64 v5, 0x43000000, |v4|
; %bb.339:
	s_or_b32 exec_lo, exec_lo, s19
                                        ; implicit-def: $vgpr6
.LBB384_340:
	s_and_not1_saveexec_b32 s17, s17
; %bb.341:
	v_mov_b32_e32 v5, 0x7f
	v_cmp_lt_u32_e32 vcc_lo, 0x7f800000, v6
	s_delay_alu instid0(VALU_DEP_2)
	v_cndmask_b32_e32 v5, 0x7c, v5, vcc_lo
; %bb.342:
	s_or_b32 exec_lo, exec_lo, s17
	v_lshrrev_b32_e32 v4, 24, v4
	s_delay_alu instid0(VALU_DEP_1)
	v_and_or_b32 v4, 0x80, v4, v5
	global_store_b8 v[0:1], v4, off
.LBB384_343:
	s_mov_b32 s19, 0
	s_mov_b32 s17, -1
.LBB384_344:
	s_and_not1_b32 vcc_lo, exec_lo, s19
	s_cbranch_vccnz .LBB384_352
; %bb.345:
	v_cmp_lt_i16_e32 vcc_lo, 14, v3
	s_mov_b32 s19, -1
	s_cbranch_vccz .LBB384_349
; %bb.346:
	v_cmp_eq_u16_e32 vcc_lo, 15, v3
	s_mov_b32 s0, -1
	s_cbranch_vccz .LBB384_348
; %bb.347:
	v_bfe_i32 v4, v2, 0, 16
	s_mov_b32 s17, -1
	s_mov_b32 s0, 0
	s_delay_alu instid0(VALU_DEP_1) | instskip(NEXT) | instid1(VALU_DEP_1)
	v_cvt_f32_i32_e32 v4, v4
	v_bfe_u32 v5, v4, 16, 1
	s_delay_alu instid0(VALU_DEP_1)
	v_add3_u32 v4, v4, v5, 0x7fff
	global_store_d16_hi_b16 v[0:1], v4, off
.LBB384_348:
	s_mov_b32 s19, 0
.LBB384_349:
	s_delay_alu instid0(SALU_CYCLE_1)
	s_and_b32 vcc_lo, exec_lo, s19
	s_cbranch_vccz .LBB384_352
; %bb.350:
	v_cmp_eq_u16_e32 vcc_lo, 11, v3
	s_mov_b32 s0, -1
	s_cbranch_vccz .LBB384_352
; %bb.351:
	v_cmp_ne_u16_e32 vcc_lo, 0, v2
	s_mov_b32 s0, 0
	s_mov_b32 s17, -1
	v_cndmask_b32_e64 v4, 0, 1, vcc_lo
	global_store_b8 v[0:1], v4, off
.LBB384_352:
	s_mov_b32 s19, 0
.LBB384_353:
	s_delay_alu instid0(SALU_CYCLE_1)
	s_and_b32 vcc_lo, exec_lo, s19
	s_cbranch_vccz .LBB384_392
; %bb.354:
	v_cmp_gt_i16_e32 vcc_lo, 5, v3
	s_mov_b32 s17, -1
	s_cbranch_vccnz .LBB384_375
; %bb.355:
	v_cmp_gt_i16_e32 vcc_lo, 8, v3
	s_cbranch_vccnz .LBB384_365
; %bb.356:
	v_cmp_gt_i16_e32 vcc_lo, 9, v3
	s_cbranch_vccnz .LBB384_362
; %bb.357:
	v_cmp_lt_i16_e32 vcc_lo, 9, v3
	s_cbranch_vccz .LBB384_359
; %bb.358:
	v_bfe_i32 v4, v2, 0, 16
	v_mov_b32_e32 v6, 0
	s_mov_b32 s17, 0
	s_delay_alu instid0(VALU_DEP_2) | instskip(NEXT) | instid1(VALU_DEP_2)
	v_cvt_f64_i32_e32 v[4:5], v4
	v_mov_b32_e32 v7, v6
	global_store_b128 v[0:1], v[4:7], off
.LBB384_359:
	s_and_not1_b32 vcc_lo, exec_lo, s17
	s_cbranch_vccnz .LBB384_361
; %bb.360:
	v_bfe_i32 v4, v2, 0, 16
	v_mov_b32_e32 v5, 0
	s_delay_alu instid0(VALU_DEP_2)
	v_cvt_f32_i32_e32 v4, v4
	global_store_b64 v[0:1], v[4:5], off
.LBB384_361:
	s_mov_b32 s17, 0
.LBB384_362:
	s_delay_alu instid0(SALU_CYCLE_1)
	s_and_not1_b32 vcc_lo, exec_lo, s17
	s_cbranch_vccnz .LBB384_364
; %bb.363:
	v_cvt_f16_i16_e32 v4, v2
	s_delay_alu instid0(VALU_DEP_1)
	v_and_b32_e32 v4, 0xffff, v4
	global_store_b32 v[0:1], v4, off
.LBB384_364:
	s_mov_b32 s17, 0
.LBB384_365:
	s_delay_alu instid0(SALU_CYCLE_1)
	s_and_not1_b32 vcc_lo, exec_lo, s17
	s_cbranch_vccnz .LBB384_374
; %bb.366:
	v_cmp_gt_i16_e32 vcc_lo, 6, v3
	s_mov_b32 s17, -1
	s_cbranch_vccnz .LBB384_372
; %bb.367:
	v_cmp_lt_i16_e32 vcc_lo, 6, v3
	s_cbranch_vccz .LBB384_369
; %bb.368:
	v_bfe_i32 v4, v2, 0, 16
	s_mov_b32 s17, 0
	s_delay_alu instid0(VALU_DEP_1)
	v_cvt_f64_i32_e32 v[4:5], v4
	global_store_b64 v[0:1], v[4:5], off
.LBB384_369:
	s_and_not1_b32 vcc_lo, exec_lo, s17
	s_cbranch_vccnz .LBB384_371
; %bb.370:
	v_bfe_i32 v4, v2, 0, 16
	s_delay_alu instid0(VALU_DEP_1)
	v_cvt_f32_i32_e32 v4, v4
	global_store_b32 v[0:1], v4, off
.LBB384_371:
	s_mov_b32 s17, 0
.LBB384_372:
	s_delay_alu instid0(SALU_CYCLE_1)
	s_and_not1_b32 vcc_lo, exec_lo, s17
	s_cbranch_vccnz .LBB384_374
; %bb.373:
	v_cvt_f16_i16_e32 v4, v2
	global_store_b16 v[0:1], v4, off
.LBB384_374:
	s_mov_b32 s17, 0
.LBB384_375:
	s_delay_alu instid0(SALU_CYCLE_1)
	s_and_not1_b32 vcc_lo, exec_lo, s17
	s_cbranch_vccnz .LBB384_391
; %bb.376:
	v_cmp_gt_i16_e32 vcc_lo, 2, v3
	s_mov_b32 s17, -1
	s_cbranch_vccnz .LBB384_386
; %bb.377:
	v_cmp_gt_i16_e32 vcc_lo, 3, v3
	s_cbranch_vccnz .LBB384_383
; %bb.378:
	v_cmp_lt_i16_e32 vcc_lo, 3, v3
	s_cbranch_vccz .LBB384_380
; %bb.379:
	v_bfe_i32 v4, v2, 0, 16
	s_mov_b32 s17, 0
	s_delay_alu instid0(VALU_DEP_1)
	v_ashrrev_i32_e32 v5, 31, v4
	global_store_b64 v[0:1], v[4:5], off
.LBB384_380:
	s_and_not1_b32 vcc_lo, exec_lo, s17
	s_cbranch_vccnz .LBB384_382
; %bb.381:
	v_bfe_i32 v4, v2, 0, 16
	global_store_b32 v[0:1], v4, off
.LBB384_382:
	s_mov_b32 s17, 0
.LBB384_383:
	s_delay_alu instid0(SALU_CYCLE_1)
	s_and_not1_b32 vcc_lo, exec_lo, s17
	s_cbranch_vccnz .LBB384_385
; %bb.384:
	global_store_b16 v[0:1], v2, off
.LBB384_385:
	s_mov_b32 s17, 0
.LBB384_386:
	s_delay_alu instid0(SALU_CYCLE_1)
	s_and_not1_b32 vcc_lo, exec_lo, s17
	s_cbranch_vccnz .LBB384_391
; %bb.387:
	v_cmp_lt_i16_e32 vcc_lo, 0, v3
	s_mov_b32 s17, -1
	s_cbranch_vccz .LBB384_389
; %bb.388:
	s_mov_b32 s17, 0
	global_store_b8 v[0:1], v2, off
.LBB384_389:
	s_and_not1_b32 vcc_lo, exec_lo, s17
	s_cbranch_vccnz .LBB384_391
; %bb.390:
	global_store_b8 v[0:1], v2, off
.LBB384_391:
	s_mov_b32 s17, -1
.LBB384_392:
	s_delay_alu instid0(SALU_CYCLE_1)
	s_and_not1_b32 vcc_lo, exec_lo, s17
	s_cbranch_vccnz .LBB384_394
; %bb.393:
	v_add_nc_u32_e32 v9, 0x80, v9
	s_mov_b32 s19, -1
	s_branch .LBB384_503
.LBB384_394:
	s_mov_b32 s19, 0
	s_branch .LBB384_502
.LBB384_395:
	s_mov_b32 s16, -1
                                        ; implicit-def: $vgpr2
.LBB384_396:
	s_mov_b32 s17, 0
.LBB384_397:
	s_delay_alu instid0(SALU_CYCLE_1)
	s_and_b32 vcc_lo, exec_lo, s17
	s_cbranch_vccz .LBB384_401
; %bb.398:
	v_cmp_eq_u16_e64 s16, s9, 29
	s_delay_alu instid0(VALU_DEP_1)
	s_and_b32 vcc_lo, exec_lo, s16
	s_cbranch_vccz .LBB384_400
; %bb.399:
	global_load_b64 v[2:3], v[0:1], off
	s_mov_b32 s0, -1
	s_mov_b32 s16, 0
	s_branch .LBB384_401
.LBB384_400:
	s_mov_b32 s16, -1
                                        ; implicit-def: $vgpr2
.LBB384_401:
	s_mov_b32 s17, 0
.LBB384_402:
	s_delay_alu instid0(SALU_CYCLE_1)
	s_and_b32 vcc_lo, exec_lo, s17
	s_cbranch_vccz .LBB384_418
; %bb.403:
	v_cmp_lt_i16_e64 s0, s9, 27
	s_delay_alu instid0(VALU_DEP_1)
	s_and_b32 vcc_lo, exec_lo, s0
	s_cbranch_vccnz .LBB384_406
; %bb.404:
	v_cmp_gt_i16_e64 s0, s9, 27
	s_delay_alu instid0(VALU_DEP_1)
	s_and_b32 vcc_lo, exec_lo, s0
	s_cbranch_vccz .LBB384_407
; %bb.405:
	global_load_b32 v2, v[0:1], off
	s_mov_b32 s0, 0
	s_branch .LBB384_408
.LBB384_406:
	s_mov_b32 s0, -1
                                        ; implicit-def: $vgpr2
	s_branch .LBB384_411
.LBB384_407:
	s_mov_b32 s0, -1
                                        ; implicit-def: $vgpr2
.LBB384_408:
	s_delay_alu instid0(SALU_CYCLE_1)
	s_and_not1_b32 vcc_lo, exec_lo, s0
	s_cbranch_vccnz .LBB384_410
; %bb.409:
	global_load_u16 v2, v[0:1], off
.LBB384_410:
	s_mov_b32 s0, 0
.LBB384_411:
	s_delay_alu instid0(SALU_CYCLE_1)
	s_and_not1_b32 vcc_lo, exec_lo, s0
	s_cbranch_vccnz .LBB384_417
; %bb.412:
	global_load_u8 v3, v[0:1], off
	s_mov_b32 s0, 0
	s_mov_b32 s17, exec_lo
                                        ; implicit-def: $sgpr19
	s_waitcnt vmcnt(0)
	v_cmpx_lt_i16_e32 0x7f, v3
	s_xor_b32 s17, exec_lo, s17
	s_cbranch_execz .LBB384_429
; %bb.413:
	v_cmp_ne_u16_e32 vcc_lo, 0x80, v3
	s_mov_b32 s19, 0
	s_and_b32 s0, vcc_lo, exec_lo
	s_or_saveexec_b32 s17, s17
	v_mov_b32_e32 v2, s19
	s_xor_b32 exec_lo, exec_lo, s17
	s_cbranch_execnz .LBB384_430
.LBB384_414:
	s_or_b32 exec_lo, exec_lo, s17
	s_and_saveexec_b32 s17, s0
	s_cbranch_execz .LBB384_416
.LBB384_415:
	v_and_b32_e32 v2, 0xffff, v3
	s_delay_alu instid0(VALU_DEP_1) | instskip(NEXT) | instid1(VALU_DEP_1)
	v_and_b32_e32 v4, 7, v2
	v_clz_i32_u32_e32 v5, v4
	s_delay_alu instid0(VALU_DEP_1) | instskip(NEXT) | instid1(VALU_DEP_1)
	v_min_u32_e32 v5, 32, v5
	v_subrev_nc_u32_e32 v6, 28, v5
	v_sub_nc_u32_e32 v5, 29, v5
	s_delay_alu instid0(VALU_DEP_2) | instskip(SKIP_1) | instid1(VALU_DEP_2)
	v_lshlrev_b32_e32 v6, v6, v2
	v_bfe_u32 v2, v2, 3, 4
	v_and_b32_e32 v6, 7, v6
	s_delay_alu instid0(VALU_DEP_2) | instskip(SKIP_1) | instid1(VALU_DEP_1)
	v_cmp_eq_u32_e32 vcc_lo, 0, v2
	v_dual_cndmask_b32 v2, v2, v5 :: v_dual_lshlrev_b32 v3, 24, v3
	v_dual_cndmask_b32 v4, v4, v6 :: v_dual_and_b32 v3, 0x80000000, v3
	s_delay_alu instid0(VALU_DEP_2) | instskip(NEXT) | instid1(VALU_DEP_2)
	v_lshl_add_u32 v2, v2, 23, 0x3b800000
	v_lshlrev_b32_e32 v4, 20, v4
	s_delay_alu instid0(VALU_DEP_1) | instskip(NEXT) | instid1(VALU_DEP_1)
	v_or3_b32 v2, v3, v2, v4
	v_cvt_i32_f32_e32 v2, v2
.LBB384_416:
	s_or_b32 exec_lo, exec_lo, s17
.LBB384_417:
	s_mov_b32 s0, -1
.LBB384_418:
	s_mov_b32 s17, 0
.LBB384_419:
	s_delay_alu instid0(SALU_CYCLE_1)
	s_and_b32 vcc_lo, exec_lo, s17
	s_cbranch_vccz .LBB384_452
; %bb.420:
	v_cmp_gt_i16_e64 s17, s9, 22
	s_delay_alu instid0(VALU_DEP_1)
	s_and_b32 vcc_lo, exec_lo, s17
	s_cbranch_vccz .LBB384_428
; %bb.421:
	v_cmp_lt_i16_e64 s0, s9, 24
	s_delay_alu instid0(VALU_DEP_1)
	s_and_b32 vcc_lo, exec_lo, s0
	s_cbranch_vccnz .LBB384_431
; %bb.422:
	v_cmp_gt_i16_e64 s0, s9, 24
	s_delay_alu instid0(VALU_DEP_1)
	s_and_b32 vcc_lo, exec_lo, s0
	s_cbranch_vccz .LBB384_432
; %bb.423:
	global_load_u8 v3, v[0:1], off
	s_mov_b32 s0, 0
	s_mov_b32 s17, exec_lo
                                        ; implicit-def: $sgpr19
	s_waitcnt vmcnt(0)
	v_cmpx_lt_i16_e32 0x7f, v3
	s_xor_b32 s17, exec_lo, s17
	s_cbranch_execz .LBB384_444
; %bb.424:
	v_cmp_ne_u16_e32 vcc_lo, 0x80, v3
	s_mov_b32 s19, 0
	s_and_b32 s0, vcc_lo, exec_lo
	s_or_saveexec_b32 s17, s17
	v_mov_b32_e32 v2, s19
	s_xor_b32 exec_lo, exec_lo, s17
	s_cbranch_execnz .LBB384_445
.LBB384_425:
	s_or_b32 exec_lo, exec_lo, s17
	s_and_saveexec_b32 s17, s0
	s_cbranch_execz .LBB384_427
.LBB384_426:
	v_and_b32_e32 v2, 0xffff, v3
	s_delay_alu instid0(VALU_DEP_1) | instskip(NEXT) | instid1(VALU_DEP_1)
	v_and_b32_e32 v4, 3, v2
	v_clz_i32_u32_e32 v5, v4
	s_delay_alu instid0(VALU_DEP_1) | instskip(NEXT) | instid1(VALU_DEP_1)
	v_min_u32_e32 v5, 32, v5
	v_subrev_nc_u32_e32 v6, 29, v5
	v_sub_nc_u32_e32 v5, 30, v5
	s_delay_alu instid0(VALU_DEP_2) | instskip(SKIP_1) | instid1(VALU_DEP_2)
	v_lshlrev_b32_e32 v6, v6, v2
	v_bfe_u32 v2, v2, 2, 5
	v_and_b32_e32 v6, 3, v6
	s_delay_alu instid0(VALU_DEP_2) | instskip(SKIP_1) | instid1(VALU_DEP_1)
	v_cmp_eq_u32_e32 vcc_lo, 0, v2
	v_dual_cndmask_b32 v2, v2, v5 :: v_dual_lshlrev_b32 v3, 24, v3
	v_dual_cndmask_b32 v4, v4, v6 :: v_dual_and_b32 v3, 0x80000000, v3
	s_delay_alu instid0(VALU_DEP_2) | instskip(NEXT) | instid1(VALU_DEP_2)
	v_lshl_add_u32 v2, v2, 23, 0x37800000
	v_lshlrev_b32_e32 v4, 21, v4
	s_delay_alu instid0(VALU_DEP_1) | instskip(NEXT) | instid1(VALU_DEP_1)
	v_or3_b32 v2, v3, v2, v4
	v_cvt_i32_f32_e32 v2, v2
.LBB384_427:
	s_or_b32 exec_lo, exec_lo, s17
	s_mov_b32 s0, 0
	s_branch .LBB384_433
.LBB384_428:
	s_mov_b32 s17, -1
                                        ; implicit-def: $vgpr2
	s_branch .LBB384_439
.LBB384_429:
	s_or_saveexec_b32 s17, s17
	v_mov_b32_e32 v2, s19
	s_xor_b32 exec_lo, exec_lo, s17
	s_cbranch_execz .LBB384_414
.LBB384_430:
	v_cmp_ne_u16_e32 vcc_lo, 0, v3
	v_mov_b32_e32 v2, 0
	s_and_not1_b32 s0, s0, exec_lo
	s_and_b32 s19, vcc_lo, exec_lo
	s_delay_alu instid0(SALU_CYCLE_1)
	s_or_b32 s0, s0, s19
	s_or_b32 exec_lo, exec_lo, s17
	s_and_saveexec_b32 s17, s0
	s_cbranch_execnz .LBB384_415
	s_branch .LBB384_416
.LBB384_431:
	s_mov_b32 s0, -1
                                        ; implicit-def: $vgpr2
	s_branch .LBB384_436
.LBB384_432:
	s_mov_b32 s0, -1
                                        ; implicit-def: $vgpr2
.LBB384_433:
	s_delay_alu instid0(SALU_CYCLE_1)
	s_and_b32 vcc_lo, exec_lo, s0
	s_cbranch_vccz .LBB384_435
; %bb.434:
	global_load_u8 v2, v[0:1], off
	s_waitcnt vmcnt(0)
	v_lshlrev_b32_e32 v2, 24, v2
	s_delay_alu instid0(VALU_DEP_1) | instskip(NEXT) | instid1(VALU_DEP_1)
	v_and_b32_e32 v3, 0x7f000000, v2
	v_clz_i32_u32_e32 v4, v3
	v_add_nc_u32_e32 v6, 0x1000000, v3
	v_cmp_ne_u32_e32 vcc_lo, 0, v3
	s_delay_alu instid0(VALU_DEP_3) | instskip(NEXT) | instid1(VALU_DEP_1)
	v_min_u32_e32 v4, 32, v4
	v_sub_nc_u32_e64 v4, v4, 4 clamp
	s_delay_alu instid0(VALU_DEP_1) | instskip(SKIP_1) | instid1(VALU_DEP_2)
	v_lshlrev_b32_e32 v5, v4, v3
	v_lshlrev_b32_e32 v4, 23, v4
	v_lshrrev_b32_e32 v5, 4, v5
	s_delay_alu instid0(VALU_DEP_1) | instskip(SKIP_1) | instid1(VALU_DEP_2)
	v_sub_nc_u32_e32 v4, v5, v4
	v_ashrrev_i32_e32 v5, 8, v6
	v_add_nc_u32_e32 v4, 0x3c000000, v4
	s_delay_alu instid0(VALU_DEP_1) | instskip(NEXT) | instid1(VALU_DEP_1)
	v_and_or_b32 v4, 0x7f800000, v5, v4
	v_cndmask_b32_e32 v3, 0, v4, vcc_lo
	s_delay_alu instid0(VALU_DEP_1) | instskip(NEXT) | instid1(VALU_DEP_1)
	v_and_or_b32 v2, 0x80000000, v2, v3
	v_cvt_i32_f32_e32 v2, v2
.LBB384_435:
	s_mov_b32 s0, 0
.LBB384_436:
	s_delay_alu instid0(SALU_CYCLE_1)
	s_and_not1_b32 vcc_lo, exec_lo, s0
	s_cbranch_vccnz .LBB384_438
; %bb.437:
	global_load_u8 v2, v[0:1], off
	s_waitcnt vmcnt(0)
	v_lshlrev_b32_e32 v3, 25, v2
	v_lshlrev_b16 v2, 8, v2
	s_delay_alu instid0(VALU_DEP_2) | instskip(NEXT) | instid1(VALU_DEP_2)
	v_lshrrev_b32_e32 v4, 4, v3
	v_and_or_b32 v5, 0x7f00, v2, 0.5
	v_bfe_i32 v2, v2, 0, 16
	s_delay_alu instid0(VALU_DEP_3) | instskip(NEXT) | instid1(VALU_DEP_1)
	v_or_b32_e32 v4, 0x70000000, v4
	v_dual_add_f32 v5, -0.5, v5 :: v_dual_mul_f32 v4, 0x7800000, v4
	v_cmp_gt_u32_e32 vcc_lo, 0x8000000, v3
	s_delay_alu instid0(VALU_DEP_2) | instskip(NEXT) | instid1(VALU_DEP_1)
	v_cndmask_b32_e32 v3, v4, v5, vcc_lo
	v_and_or_b32 v2, 0x80000000, v2, v3
	s_delay_alu instid0(VALU_DEP_1)
	v_cvt_i32_f32_e32 v2, v2
.LBB384_438:
	s_mov_b32 s17, 0
	s_mov_b32 s0, -1
.LBB384_439:
	s_and_not1_b32 vcc_lo, exec_lo, s17
	s_cbranch_vccnz .LBB384_452
; %bb.440:
	v_cmp_gt_i16_e64 s17, s9, 14
	s_delay_alu instid0(VALU_DEP_1)
	s_and_b32 vcc_lo, exec_lo, s17
	s_cbranch_vccz .LBB384_443
; %bb.441:
	v_cmp_eq_u16_e64 s16, s9, 15
	s_delay_alu instid0(VALU_DEP_1)
	s_and_b32 vcc_lo, exec_lo, s16
	s_cbranch_vccz .LBB384_446
; %bb.442:
	global_load_u16 v2, v[0:1], off
	s_mov_b32 s0, -1
	s_mov_b32 s16, 0
	s_waitcnt vmcnt(0)
	v_lshlrev_b32_e32 v2, 16, v2
	s_delay_alu instid0(VALU_DEP_1)
	v_cvt_i32_f32_e32 v2, v2
	s_branch .LBB384_447
.LBB384_443:
	s_mov_b32 s17, -1
                                        ; implicit-def: $vgpr2
	s_branch .LBB384_448
.LBB384_444:
	s_or_saveexec_b32 s17, s17
	v_mov_b32_e32 v2, s19
	s_xor_b32 exec_lo, exec_lo, s17
	s_cbranch_execz .LBB384_425
.LBB384_445:
	v_cmp_ne_u16_e32 vcc_lo, 0, v3
	v_mov_b32_e32 v2, 0
	s_and_not1_b32 s0, s0, exec_lo
	s_and_b32 s19, vcc_lo, exec_lo
	s_delay_alu instid0(SALU_CYCLE_1)
	s_or_b32 s0, s0, s19
	s_or_b32 exec_lo, exec_lo, s17
	s_and_saveexec_b32 s17, s0
	s_cbranch_execnz .LBB384_426
	s_branch .LBB384_427
.LBB384_446:
	s_mov_b32 s16, -1
                                        ; implicit-def: $vgpr2
.LBB384_447:
	s_mov_b32 s17, 0
.LBB384_448:
	s_delay_alu instid0(SALU_CYCLE_1)
	s_and_b32 vcc_lo, exec_lo, s17
	s_cbranch_vccz .LBB384_452
; %bb.449:
	v_cmp_eq_u16_e64 s16, s9, 11
	s_delay_alu instid0(VALU_DEP_1)
	s_and_b32 vcc_lo, exec_lo, s16
	s_cbranch_vccz .LBB384_451
; %bb.450:
	global_load_u8 v2, v[0:1], off
	s_mov_b32 s16, 0
	s_mov_b32 s0, -1
	s_waitcnt vmcnt(0)
	v_cmp_ne_u16_e32 vcc_lo, 0, v2
	v_cndmask_b32_e64 v2, 0, 1, vcc_lo
	s_branch .LBB384_452
.LBB384_451:
	s_mov_b32 s16, -1
                                        ; implicit-def: $vgpr2
.LBB384_452:
	s_branch .LBB384_258
.LBB384_453:
	v_cmp_lt_i16_e64 s0, s9, 5
	s_delay_alu instid0(VALU_DEP_1)
	s_and_b32 vcc_lo, exec_lo, s0
	s_cbranch_vccnz .LBB384_458
; %bb.454:
	v_cmp_lt_i16_e64 s0, s9, 8
	s_delay_alu instid0(VALU_DEP_1)
	s_and_b32 vcc_lo, exec_lo, s0
	s_cbranch_vccnz .LBB384_459
; %bb.455:
	;; [unrolled: 5-line block ×3, first 2 shown]
	v_cmp_gt_i16_e64 s0, s9, 9
	s_delay_alu instid0(VALU_DEP_1)
	s_and_b32 vcc_lo, exec_lo, s0
	s_cbranch_vccz .LBB384_461
; %bb.457:
	global_load_b64 v[2:3], v[0:1], off
	s_mov_b32 s0, 0
	s_waitcnt vmcnt(0)
	v_cvt_i32_f64_e32 v2, v[2:3]
	s_branch .LBB384_462
.LBB384_458:
	s_mov_b32 s0, -1
                                        ; implicit-def: $vgpr2
	s_branch .LBB384_480
.LBB384_459:
	s_mov_b32 s0, -1
                                        ; implicit-def: $vgpr2
	s_branch .LBB384_468
.LBB384_460:
	s_mov_b32 s0, -1
                                        ; implicit-def: $vgpr2
	s_branch .LBB384_465
.LBB384_461:
	s_mov_b32 s0, -1
                                        ; implicit-def: $vgpr2
.LBB384_462:
	s_delay_alu instid0(SALU_CYCLE_1)
	s_and_not1_b32 vcc_lo, exec_lo, s0
	s_cbranch_vccnz .LBB384_464
; %bb.463:
	global_load_b32 v2, v[0:1], off
	s_waitcnt vmcnt(0)
	v_cvt_i32_f32_e32 v2, v2
.LBB384_464:
	s_mov_b32 s0, 0
.LBB384_465:
	s_delay_alu instid0(SALU_CYCLE_1)
	s_and_not1_b32 vcc_lo, exec_lo, s0
	s_cbranch_vccnz .LBB384_467
; %bb.466:
	global_load_b32 v2, v[0:1], off
	s_waitcnt vmcnt(0)
	v_cvt_i16_f16_e32 v2, v2
.LBB384_467:
	s_mov_b32 s0, 0
.LBB384_468:
	s_delay_alu instid0(SALU_CYCLE_1)
	s_and_not1_b32 vcc_lo, exec_lo, s0
	s_cbranch_vccnz .LBB384_479
; %bb.469:
	v_cmp_lt_i16_e64 s0, s9, 6
	s_delay_alu instid0(VALU_DEP_1)
	s_and_b32 vcc_lo, exec_lo, s0
	s_cbranch_vccnz .LBB384_472
; %bb.470:
	v_cmp_gt_i16_e64 s0, s9, 6
	s_delay_alu instid0(VALU_DEP_1)
	s_and_b32 vcc_lo, exec_lo, s0
	s_cbranch_vccz .LBB384_473
; %bb.471:
	global_load_b64 v[2:3], v[0:1], off
	s_mov_b32 s0, 0
	s_waitcnt vmcnt(0)
	v_cvt_i32_f64_e32 v2, v[2:3]
	s_branch .LBB384_474
.LBB384_472:
	s_mov_b32 s0, -1
                                        ; implicit-def: $vgpr2
	s_branch .LBB384_477
.LBB384_473:
	s_mov_b32 s0, -1
                                        ; implicit-def: $vgpr2
.LBB384_474:
	s_delay_alu instid0(SALU_CYCLE_1)
	s_and_not1_b32 vcc_lo, exec_lo, s0
	s_cbranch_vccnz .LBB384_476
; %bb.475:
	global_load_b32 v2, v[0:1], off
	s_waitcnt vmcnt(0)
	v_cvt_i32_f32_e32 v2, v2
.LBB384_476:
	s_mov_b32 s0, 0
.LBB384_477:
	s_delay_alu instid0(SALU_CYCLE_1)
	s_and_not1_b32 vcc_lo, exec_lo, s0
	s_cbranch_vccnz .LBB384_479
; %bb.478:
	global_load_u16 v2, v[0:1], off
	s_waitcnt vmcnt(0)
	v_cvt_i16_f16_e32 v2, v2
.LBB384_479:
	s_mov_b32 s0, 0
.LBB384_480:
	s_delay_alu instid0(SALU_CYCLE_1)
	s_and_not1_b32 vcc_lo, exec_lo, s0
	s_cbranch_vccnz .LBB384_500
; %bb.481:
	v_cmp_lt_i16_e64 s0, s9, 2
	s_delay_alu instid0(VALU_DEP_1)
	s_and_b32 vcc_lo, exec_lo, s0
	s_cbranch_vccnz .LBB384_485
; %bb.482:
	v_cmp_lt_i16_e64 s0, s9, 3
	s_delay_alu instid0(VALU_DEP_1)
	s_and_b32 vcc_lo, exec_lo, s0
	s_cbranch_vccnz .LBB384_486
; %bb.483:
	v_cmp_gt_i16_e64 s0, s9, 3
	s_delay_alu instid0(VALU_DEP_1)
	s_and_b32 vcc_lo, exec_lo, s0
	s_cbranch_vccz .LBB384_487
; %bb.484:
	global_load_b64 v[2:3], v[0:1], off
	s_mov_b32 s0, 0
	s_branch .LBB384_488
.LBB384_485:
	s_mov_b32 s0, -1
                                        ; implicit-def: $vgpr2
	s_branch .LBB384_494
.LBB384_486:
	s_mov_b32 s0, -1
                                        ; implicit-def: $vgpr2
	s_branch .LBB384_491
.LBB384_487:
	s_mov_b32 s0, -1
                                        ; implicit-def: $vgpr2
.LBB384_488:
	s_delay_alu instid0(SALU_CYCLE_1)
	s_and_not1_b32 vcc_lo, exec_lo, s0
	s_cbranch_vccnz .LBB384_490
; %bb.489:
	global_load_b32 v2, v[0:1], off
.LBB384_490:
	s_mov_b32 s0, 0
.LBB384_491:
	s_delay_alu instid0(SALU_CYCLE_1)
	s_and_not1_b32 vcc_lo, exec_lo, s0
	s_cbranch_vccnz .LBB384_493
; %bb.492:
	global_load_u16 v2, v[0:1], off
.LBB384_493:
	s_mov_b32 s0, 0
.LBB384_494:
	s_delay_alu instid0(SALU_CYCLE_1)
	s_and_not1_b32 vcc_lo, exec_lo, s0
	s_cbranch_vccnz .LBB384_500
; %bb.495:
	v_cmp_gt_i16_e64 s0, s9, 0
	s_delay_alu instid0(VALU_DEP_1)
	s_and_b32 vcc_lo, exec_lo, s0
	s_mov_b32 s0, 0
	s_cbranch_vccz .LBB384_497
; %bb.496:
	global_load_i8 v2, v[0:1], off
	s_branch .LBB384_498
.LBB384_497:
	s_mov_b32 s0, -1
                                        ; implicit-def: $vgpr2
.LBB384_498:
	s_delay_alu instid0(SALU_CYCLE_1)
	s_and_not1_b32 vcc_lo, exec_lo, s0
	s_cbranch_vccnz .LBB384_500
; %bb.499:
	global_load_u8 v2, v[0:1], off
.LBB384_500:
	s_branch .LBB384_259
.LBB384_501:
	s_mov_b32 s19, 0
	s_mov_b32 s0, s12
.LBB384_502:
                                        ; implicit-def: $vgpr9
.LBB384_503:
	s_and_not1_b32 s17, s12, exec_lo
	s_and_b32 s0, s0, exec_lo
	s_and_not1_b32 s20, s14, exec_lo
	s_and_b32 s16, s16, exec_lo
	s_or_b32 s17, s17, s0
	s_or_b32 s16, s20, s16
	s_or_not1_b32 s0, s19, exec_lo
.LBB384_504:
	s_or_b32 exec_lo, exec_lo, s18
	s_mov_b32 s19, 0
	s_mov_b32 s20, 0
	;; [unrolled: 1-line block ×3, first 2 shown]
                                        ; implicit-def: $vgpr0_vgpr1
                                        ; implicit-def: $vgpr2
	s_and_saveexec_b32 s18, s0
	s_cbranch_execz .LBB384_843
; %bb.505:
	s_mov_b32 s21, -1
	s_mov_b32 s0, s16
	s_mov_b32 s20, s17
	s_mov_b32 s19, exec_lo
	v_cmpx_gt_i32_e64 s13, v9
	s_cbranch_execz .LBB384_761
; %bb.506:
	v_mul_lo_u32 v0, v9, s3
	v_cmp_lt_i16_e64 s0, s9, 11
	s_delay_alu instid0(VALU_DEP_2) | instskip(SKIP_1) | instid1(VALU_DEP_2)
	v_ashrrev_i32_e32 v1, 31, v0
	v_add_co_u32 v0, vcc_lo, s6, v0
	v_add_co_ci_u32_e32 v1, vcc_lo, s7, v1, vcc_lo
	s_delay_alu instid0(VALU_DEP_4)
	s_and_b32 vcc_lo, exec_lo, s0
	s_cbranch_vccnz .LBB384_513
; %bb.507:
	v_cmp_gt_i16_e64 s0, s9, 25
	s_delay_alu instid0(VALU_DEP_1)
	s_and_b32 vcc_lo, exec_lo, s0
	s_cbranch_vccz .LBB384_514
; %bb.508:
	v_cmp_gt_i16_e64 s0, s9, 28
	s_delay_alu instid0(VALU_DEP_1)
	s_and_b32 vcc_lo, exec_lo, s0
	s_cbranch_vccz .LBB384_515
	;; [unrolled: 5-line block ×4, first 2 shown]
; %bb.511:
	v_cmp_eq_u16_e64 s0, s9, 46
	s_mov_b32 s21, 0
	s_delay_alu instid0(VALU_DEP_1)
	s_and_b32 vcc_lo, exec_lo, s0
	s_cbranch_vccz .LBB384_522
; %bb.512:
	global_load_b32 v2, v[0:1], off
	s_mov_b32 s0, -1
	s_mov_b32 s20, 0
	s_waitcnt vmcnt(0)
	v_lshlrev_b32_e32 v2, 16, v2
	s_delay_alu instid0(VALU_DEP_1)
	v_cvt_i32_f32_e32 v2, v2
	s_branch .LBB384_524
.LBB384_513:
	s_mov_b32 s0, 0
	s_mov_b32 s20, s16
                                        ; implicit-def: $vgpr2
	s_branch .LBB384_585
.LBB384_514:
	s_mov_b32 s0, 0
	s_mov_b32 s20, s16
                                        ; implicit-def: $vgpr2
	s_branch .LBB384_551
.LBB384_515:
	s_mov_b32 s0, 0
	s_mov_b32 s20, s16
                                        ; implicit-def: $vgpr2
	s_branch .LBB384_534
.LBB384_516:
	s_mov_b32 s0, 0
	s_mov_b32 s20, s16
                                        ; implicit-def: $vgpr2
	s_branch .LBB384_529
.LBB384_517:
	s_or_saveexec_b32 s20, s20
                                        ; implicit-def: $sgpr21
	s_delay_alu instid0(SALU_CYCLE_1)
	s_xor_b32 exec_lo, exec_lo, s20
	s_cbranch_execz .LBB384_305
.LBB384_518:
	v_add_f32_e64 v5, 0x46000000, |v4|
	s_and_not1_b32 s19, s19, exec_lo
	s_mov_b32 s21, 0
	s_delay_alu instid0(VALU_DEP_1) | instskip(NEXT) | instid1(VALU_DEP_1)
	v_and_b32_e32 v5, 0xff, v5
	v_cmp_ne_u32_e32 vcc_lo, 0, v5
	s_and_b32 s22, vcc_lo, exec_lo
	s_delay_alu instid0(SALU_CYCLE_1)
	s_or_b32 s19, s19, s22
	s_or_b32 exec_lo, exec_lo, s20
	v_mov_b32_e32 v6, s21
	s_and_saveexec_b32 s20, s19
	s_cbranch_execnz .LBB384_306
	s_branch .LBB384_307
.LBB384_519:
	s_mov_b32 s0, 0
	s_mov_b32 s20, s16
	s_branch .LBB384_523
.LBB384_520:
	s_or_saveexec_b32 s20, s20
                                        ; implicit-def: $sgpr21
	s_delay_alu instid0(SALU_CYCLE_1)
	s_xor_b32 exec_lo, exec_lo, s20
	s_cbranch_execz .LBB384_318
.LBB384_521:
	v_add_f32_e64 v5, 0x42800000, |v4|
	s_and_not1_b32 s19, s19, exec_lo
	s_mov_b32 s21, 0
	s_delay_alu instid0(VALU_DEP_1) | instskip(NEXT) | instid1(VALU_DEP_1)
	v_and_b32_e32 v5, 0xff, v5
	v_cmp_ne_u32_e32 vcc_lo, 0, v5
	s_and_b32 s22, vcc_lo, exec_lo
	s_delay_alu instid0(SALU_CYCLE_1)
	s_or_b32 s19, s19, s22
	s_or_b32 exec_lo, exec_lo, s20
	v_mov_b32_e32 v6, s21
	s_and_saveexec_b32 s20, s19
	s_cbranch_execnz .LBB384_319
	s_branch .LBB384_320
.LBB384_522:
	s_mov_b32 s20, -1
	s_mov_b32 s0, 0
.LBB384_523:
                                        ; implicit-def: $vgpr2
.LBB384_524:
	s_and_b32 vcc_lo, exec_lo, s21
	s_cbranch_vccz .LBB384_528
; %bb.525:
	v_cmp_eq_u16_e64 s20, s9, 44
	s_delay_alu instid0(VALU_DEP_1)
	s_and_b32 vcc_lo, exec_lo, s20
	s_cbranch_vccz .LBB384_527
; %bb.526:
	global_load_u8 v2, v[0:1], off
	s_mov_b32 s20, 0
	s_mov_b32 s0, -1
	s_waitcnt vmcnt(0)
	v_lshlrev_b32_e32 v3, 23, v2
	v_cmp_ne_u32_e32 vcc_lo, 0, v2
	s_delay_alu instid0(VALU_DEP_2) | instskip(NEXT) | instid1(VALU_DEP_1)
	v_cvt_i32_f32_e32 v3, v3
	v_cndmask_b32_e32 v2, 0, v3, vcc_lo
	s_branch .LBB384_528
.LBB384_527:
	s_mov_b32 s20, -1
                                        ; implicit-def: $vgpr2
.LBB384_528:
	s_mov_b32 s21, 0
.LBB384_529:
	s_delay_alu instid0(SALU_CYCLE_1)
	s_and_b32 vcc_lo, exec_lo, s21
	s_cbranch_vccz .LBB384_533
; %bb.530:
	v_cmp_eq_u16_e64 s20, s9, 29
	s_delay_alu instid0(VALU_DEP_1)
	s_and_b32 vcc_lo, exec_lo, s20
	s_cbranch_vccz .LBB384_532
; %bb.531:
	global_load_b64 v[2:3], v[0:1], off
	s_mov_b32 s0, -1
	s_mov_b32 s20, 0
	s_branch .LBB384_533
.LBB384_532:
	s_mov_b32 s20, -1
                                        ; implicit-def: $vgpr2
.LBB384_533:
	s_mov_b32 s21, 0
.LBB384_534:
	s_delay_alu instid0(SALU_CYCLE_1)
	s_and_b32 vcc_lo, exec_lo, s21
	s_cbranch_vccz .LBB384_550
; %bb.535:
	v_cmp_lt_i16_e64 s0, s9, 27
	s_delay_alu instid0(VALU_DEP_1)
	s_and_b32 vcc_lo, exec_lo, s0
	s_cbranch_vccnz .LBB384_538
; %bb.536:
	v_cmp_gt_i16_e64 s0, s9, 27
	s_delay_alu instid0(VALU_DEP_1)
	s_and_b32 vcc_lo, exec_lo, s0
	s_cbranch_vccz .LBB384_539
; %bb.537:
	global_load_b32 v2, v[0:1], off
	s_mov_b32 s0, 0
	s_branch .LBB384_540
.LBB384_538:
	s_mov_b32 s0, -1
                                        ; implicit-def: $vgpr2
	s_branch .LBB384_543
.LBB384_539:
	s_mov_b32 s0, -1
                                        ; implicit-def: $vgpr2
.LBB384_540:
	s_delay_alu instid0(SALU_CYCLE_1)
	s_and_not1_b32 vcc_lo, exec_lo, s0
	s_cbranch_vccnz .LBB384_542
; %bb.541:
	global_load_u16 v2, v[0:1], off
.LBB384_542:
	s_mov_b32 s0, 0
.LBB384_543:
	s_delay_alu instid0(SALU_CYCLE_1)
	s_and_not1_b32 vcc_lo, exec_lo, s0
	s_cbranch_vccnz .LBB384_549
; %bb.544:
	global_load_u8 v3, v[0:1], off
	s_mov_b32 s0, 0
	s_mov_b32 s21, exec_lo
                                        ; implicit-def: $sgpr22
	s_waitcnt vmcnt(0)
	v_cmpx_lt_i16_e32 0x7f, v3
	s_xor_b32 s21, exec_lo, s21
	s_cbranch_execz .LBB384_561
; %bb.545:
	v_cmp_ne_u16_e32 vcc_lo, 0x80, v3
	s_mov_b32 s22, 0
	s_and_b32 s0, vcc_lo, exec_lo
	s_or_saveexec_b32 s21, s21
	v_mov_b32_e32 v2, s22
	s_xor_b32 exec_lo, exec_lo, s21
	s_cbranch_execnz .LBB384_562
.LBB384_546:
	s_or_b32 exec_lo, exec_lo, s21
	s_and_saveexec_b32 s21, s0
	s_cbranch_execz .LBB384_548
.LBB384_547:
	v_and_b32_e32 v2, 0xffff, v3
	s_delay_alu instid0(VALU_DEP_1) | instskip(NEXT) | instid1(VALU_DEP_1)
	v_and_b32_e32 v4, 7, v2
	v_clz_i32_u32_e32 v5, v4
	s_delay_alu instid0(VALU_DEP_1) | instskip(NEXT) | instid1(VALU_DEP_1)
	v_min_u32_e32 v5, 32, v5
	v_subrev_nc_u32_e32 v6, 28, v5
	v_sub_nc_u32_e32 v5, 29, v5
	s_delay_alu instid0(VALU_DEP_2) | instskip(SKIP_1) | instid1(VALU_DEP_2)
	v_lshlrev_b32_e32 v6, v6, v2
	v_bfe_u32 v2, v2, 3, 4
	v_and_b32_e32 v6, 7, v6
	s_delay_alu instid0(VALU_DEP_2) | instskip(SKIP_1) | instid1(VALU_DEP_1)
	v_cmp_eq_u32_e32 vcc_lo, 0, v2
	v_dual_cndmask_b32 v2, v2, v5 :: v_dual_lshlrev_b32 v3, 24, v3
	v_dual_cndmask_b32 v4, v4, v6 :: v_dual_and_b32 v3, 0x80000000, v3
	s_delay_alu instid0(VALU_DEP_2) | instskip(NEXT) | instid1(VALU_DEP_2)
	v_lshl_add_u32 v2, v2, 23, 0x3b800000
	v_lshlrev_b32_e32 v4, 20, v4
	s_delay_alu instid0(VALU_DEP_1) | instskip(NEXT) | instid1(VALU_DEP_1)
	v_or3_b32 v2, v3, v2, v4
	v_cvt_i32_f32_e32 v2, v2
.LBB384_548:
	s_or_b32 exec_lo, exec_lo, s21
.LBB384_549:
	s_mov_b32 s0, -1
.LBB384_550:
	s_mov_b32 s21, 0
.LBB384_551:
	s_delay_alu instid0(SALU_CYCLE_1)
	s_and_b32 vcc_lo, exec_lo, s21
	s_cbranch_vccz .LBB384_584
; %bb.552:
	v_cmp_gt_i16_e64 s21, s9, 22
	s_delay_alu instid0(VALU_DEP_1)
	s_and_b32 vcc_lo, exec_lo, s21
	s_cbranch_vccz .LBB384_560
; %bb.553:
	v_cmp_lt_i16_e64 s0, s9, 24
	s_delay_alu instid0(VALU_DEP_1)
	s_and_b32 vcc_lo, exec_lo, s0
	s_cbranch_vccnz .LBB384_563
; %bb.554:
	v_cmp_gt_i16_e64 s0, s9, 24
	s_delay_alu instid0(VALU_DEP_1)
	s_and_b32 vcc_lo, exec_lo, s0
	s_cbranch_vccz .LBB384_564
; %bb.555:
	global_load_u8 v3, v[0:1], off
	s_mov_b32 s0, 0
	s_mov_b32 s21, exec_lo
                                        ; implicit-def: $sgpr22
	s_waitcnt vmcnt(0)
	v_cmpx_lt_i16_e32 0x7f, v3
	s_xor_b32 s21, exec_lo, s21
	s_cbranch_execz .LBB384_576
; %bb.556:
	v_cmp_ne_u16_e32 vcc_lo, 0x80, v3
	s_mov_b32 s22, 0
	s_and_b32 s0, vcc_lo, exec_lo
	s_or_saveexec_b32 s21, s21
	v_mov_b32_e32 v2, s22
	s_xor_b32 exec_lo, exec_lo, s21
	s_cbranch_execnz .LBB384_577
.LBB384_557:
	s_or_b32 exec_lo, exec_lo, s21
	s_and_saveexec_b32 s21, s0
	s_cbranch_execz .LBB384_559
.LBB384_558:
	v_and_b32_e32 v2, 0xffff, v3
	s_delay_alu instid0(VALU_DEP_1) | instskip(NEXT) | instid1(VALU_DEP_1)
	v_and_b32_e32 v4, 3, v2
	v_clz_i32_u32_e32 v5, v4
	s_delay_alu instid0(VALU_DEP_1) | instskip(NEXT) | instid1(VALU_DEP_1)
	v_min_u32_e32 v5, 32, v5
	v_subrev_nc_u32_e32 v6, 29, v5
	v_sub_nc_u32_e32 v5, 30, v5
	s_delay_alu instid0(VALU_DEP_2) | instskip(SKIP_1) | instid1(VALU_DEP_2)
	v_lshlrev_b32_e32 v6, v6, v2
	v_bfe_u32 v2, v2, 2, 5
	v_and_b32_e32 v6, 3, v6
	s_delay_alu instid0(VALU_DEP_2) | instskip(SKIP_1) | instid1(VALU_DEP_1)
	v_cmp_eq_u32_e32 vcc_lo, 0, v2
	v_dual_cndmask_b32 v2, v2, v5 :: v_dual_lshlrev_b32 v3, 24, v3
	v_dual_cndmask_b32 v4, v4, v6 :: v_dual_and_b32 v3, 0x80000000, v3
	s_delay_alu instid0(VALU_DEP_2) | instskip(NEXT) | instid1(VALU_DEP_2)
	v_lshl_add_u32 v2, v2, 23, 0x37800000
	v_lshlrev_b32_e32 v4, 21, v4
	s_delay_alu instid0(VALU_DEP_1) | instskip(NEXT) | instid1(VALU_DEP_1)
	v_or3_b32 v2, v3, v2, v4
	v_cvt_i32_f32_e32 v2, v2
.LBB384_559:
	s_or_b32 exec_lo, exec_lo, s21
	s_mov_b32 s0, 0
	s_branch .LBB384_565
.LBB384_560:
	s_mov_b32 s21, -1
                                        ; implicit-def: $vgpr2
	s_branch .LBB384_571
.LBB384_561:
	s_or_saveexec_b32 s21, s21
	v_mov_b32_e32 v2, s22
	s_xor_b32 exec_lo, exec_lo, s21
	s_cbranch_execz .LBB384_546
.LBB384_562:
	v_cmp_ne_u16_e32 vcc_lo, 0, v3
	v_mov_b32_e32 v2, 0
	s_and_not1_b32 s0, s0, exec_lo
	s_and_b32 s22, vcc_lo, exec_lo
	s_delay_alu instid0(SALU_CYCLE_1)
	s_or_b32 s0, s0, s22
	s_or_b32 exec_lo, exec_lo, s21
	s_and_saveexec_b32 s21, s0
	s_cbranch_execnz .LBB384_547
	s_branch .LBB384_548
.LBB384_563:
	s_mov_b32 s0, -1
                                        ; implicit-def: $vgpr2
	s_branch .LBB384_568
.LBB384_564:
	s_mov_b32 s0, -1
                                        ; implicit-def: $vgpr2
.LBB384_565:
	s_delay_alu instid0(SALU_CYCLE_1)
	s_and_b32 vcc_lo, exec_lo, s0
	s_cbranch_vccz .LBB384_567
; %bb.566:
	global_load_u8 v2, v[0:1], off
	s_waitcnt vmcnt(0)
	v_lshlrev_b32_e32 v2, 24, v2
	s_delay_alu instid0(VALU_DEP_1) | instskip(NEXT) | instid1(VALU_DEP_1)
	v_and_b32_e32 v3, 0x7f000000, v2
	v_clz_i32_u32_e32 v4, v3
	v_add_nc_u32_e32 v6, 0x1000000, v3
	v_cmp_ne_u32_e32 vcc_lo, 0, v3
	s_delay_alu instid0(VALU_DEP_3) | instskip(NEXT) | instid1(VALU_DEP_1)
	v_min_u32_e32 v4, 32, v4
	v_sub_nc_u32_e64 v4, v4, 4 clamp
	s_delay_alu instid0(VALU_DEP_1) | instskip(SKIP_1) | instid1(VALU_DEP_2)
	v_lshlrev_b32_e32 v5, v4, v3
	v_lshlrev_b32_e32 v4, 23, v4
	v_lshrrev_b32_e32 v5, 4, v5
	s_delay_alu instid0(VALU_DEP_1) | instskip(SKIP_1) | instid1(VALU_DEP_2)
	v_sub_nc_u32_e32 v4, v5, v4
	v_ashrrev_i32_e32 v5, 8, v6
	v_add_nc_u32_e32 v4, 0x3c000000, v4
	s_delay_alu instid0(VALU_DEP_1) | instskip(NEXT) | instid1(VALU_DEP_1)
	v_and_or_b32 v4, 0x7f800000, v5, v4
	v_cndmask_b32_e32 v3, 0, v4, vcc_lo
	s_delay_alu instid0(VALU_DEP_1) | instskip(NEXT) | instid1(VALU_DEP_1)
	v_and_or_b32 v2, 0x80000000, v2, v3
	v_cvt_i32_f32_e32 v2, v2
.LBB384_567:
	s_mov_b32 s0, 0
.LBB384_568:
	s_delay_alu instid0(SALU_CYCLE_1)
	s_and_not1_b32 vcc_lo, exec_lo, s0
	s_cbranch_vccnz .LBB384_570
; %bb.569:
	global_load_u8 v2, v[0:1], off
	s_waitcnt vmcnt(0)
	v_lshlrev_b32_e32 v3, 25, v2
	v_lshlrev_b16 v2, 8, v2
	s_delay_alu instid0(VALU_DEP_2) | instskip(NEXT) | instid1(VALU_DEP_2)
	v_lshrrev_b32_e32 v4, 4, v3
	v_and_or_b32 v5, 0x7f00, v2, 0.5
	v_bfe_i32 v2, v2, 0, 16
	s_delay_alu instid0(VALU_DEP_3) | instskip(NEXT) | instid1(VALU_DEP_1)
	v_or_b32_e32 v4, 0x70000000, v4
	v_dual_add_f32 v5, -0.5, v5 :: v_dual_mul_f32 v4, 0x7800000, v4
	v_cmp_gt_u32_e32 vcc_lo, 0x8000000, v3
	s_delay_alu instid0(VALU_DEP_2) | instskip(NEXT) | instid1(VALU_DEP_1)
	v_cndmask_b32_e32 v3, v4, v5, vcc_lo
	v_and_or_b32 v2, 0x80000000, v2, v3
	s_delay_alu instid0(VALU_DEP_1)
	v_cvt_i32_f32_e32 v2, v2
.LBB384_570:
	s_mov_b32 s21, 0
	s_mov_b32 s0, -1
.LBB384_571:
	s_and_not1_b32 vcc_lo, exec_lo, s21
	s_cbranch_vccnz .LBB384_584
; %bb.572:
	v_cmp_gt_i16_e64 s21, s9, 14
	s_delay_alu instid0(VALU_DEP_1)
	s_and_b32 vcc_lo, exec_lo, s21
	s_cbranch_vccz .LBB384_575
; %bb.573:
	v_cmp_eq_u16_e64 s20, s9, 15
	s_delay_alu instid0(VALU_DEP_1)
	s_and_b32 vcc_lo, exec_lo, s20
	s_cbranch_vccz .LBB384_578
; %bb.574:
	global_load_u16 v2, v[0:1], off
	s_mov_b32 s0, -1
	s_mov_b32 s20, 0
	s_waitcnt vmcnt(0)
	v_lshlrev_b32_e32 v2, 16, v2
	s_delay_alu instid0(VALU_DEP_1)
	v_cvt_i32_f32_e32 v2, v2
	s_branch .LBB384_579
.LBB384_575:
	s_mov_b32 s21, -1
                                        ; implicit-def: $vgpr2
	s_branch .LBB384_580
.LBB384_576:
	s_or_saveexec_b32 s21, s21
	v_mov_b32_e32 v2, s22
	s_xor_b32 exec_lo, exec_lo, s21
	s_cbranch_execz .LBB384_557
.LBB384_577:
	v_cmp_ne_u16_e32 vcc_lo, 0, v3
	v_mov_b32_e32 v2, 0
	s_and_not1_b32 s0, s0, exec_lo
	s_and_b32 s22, vcc_lo, exec_lo
	s_delay_alu instid0(SALU_CYCLE_1)
	s_or_b32 s0, s0, s22
	s_or_b32 exec_lo, exec_lo, s21
	s_and_saveexec_b32 s21, s0
	s_cbranch_execnz .LBB384_558
	s_branch .LBB384_559
.LBB384_578:
	s_mov_b32 s20, -1
                                        ; implicit-def: $vgpr2
.LBB384_579:
	s_mov_b32 s21, 0
.LBB384_580:
	s_delay_alu instid0(SALU_CYCLE_1)
	s_and_b32 vcc_lo, exec_lo, s21
	s_cbranch_vccz .LBB384_584
; %bb.581:
	v_cmp_eq_u16_e64 s20, s9, 11
	s_delay_alu instid0(VALU_DEP_1)
	s_and_b32 vcc_lo, exec_lo, s20
	s_cbranch_vccz .LBB384_583
; %bb.582:
	global_load_u8 v2, v[0:1], off
	s_mov_b32 s20, 0
	s_mov_b32 s0, -1
	s_waitcnt vmcnt(0)
	v_cmp_ne_u16_e32 vcc_lo, 0, v2
	v_cndmask_b32_e64 v2, 0, 1, vcc_lo
	s_branch .LBB384_584
.LBB384_583:
	s_mov_b32 s20, -1
                                        ; implicit-def: $vgpr2
.LBB384_584:
	s_mov_b32 s21, 0
.LBB384_585:
	s_delay_alu instid0(SALU_CYCLE_1)
	s_and_b32 vcc_lo, exec_lo, s21
	s_cbranch_vccz .LBB384_634
; %bb.586:
	v_cmp_lt_i16_e64 s0, s9, 5
	s_delay_alu instid0(VALU_DEP_1)
	s_and_b32 vcc_lo, exec_lo, s0
	s_cbranch_vccnz .LBB384_591
; %bb.587:
	v_cmp_lt_i16_e64 s0, s9, 8
	s_delay_alu instid0(VALU_DEP_1)
	s_and_b32 vcc_lo, exec_lo, s0
	s_cbranch_vccnz .LBB384_592
	;; [unrolled: 5-line block ×3, first 2 shown]
; %bb.589:
	v_cmp_gt_i16_e64 s0, s9, 9
	s_delay_alu instid0(VALU_DEP_1)
	s_and_b32 vcc_lo, exec_lo, s0
	s_cbranch_vccz .LBB384_594
; %bb.590:
	global_load_b64 v[2:3], v[0:1], off
	s_mov_b32 s0, 0
	s_waitcnt vmcnt(0)
	v_cvt_i32_f64_e32 v2, v[2:3]
	s_branch .LBB384_595
.LBB384_591:
	s_mov_b32 s0, -1
                                        ; implicit-def: $vgpr2
	s_branch .LBB384_613
.LBB384_592:
	s_mov_b32 s0, -1
                                        ; implicit-def: $vgpr2
	s_branch .LBB384_601
.LBB384_593:
	s_mov_b32 s0, -1
                                        ; implicit-def: $vgpr2
	s_branch .LBB384_598
.LBB384_594:
	s_mov_b32 s0, -1
                                        ; implicit-def: $vgpr2
.LBB384_595:
	s_delay_alu instid0(SALU_CYCLE_1)
	s_and_not1_b32 vcc_lo, exec_lo, s0
	s_cbranch_vccnz .LBB384_597
; %bb.596:
	global_load_b32 v2, v[0:1], off
	s_waitcnt vmcnt(0)
	v_cvt_i32_f32_e32 v2, v2
.LBB384_597:
	s_mov_b32 s0, 0
.LBB384_598:
	s_delay_alu instid0(SALU_CYCLE_1)
	s_and_not1_b32 vcc_lo, exec_lo, s0
	s_cbranch_vccnz .LBB384_600
; %bb.599:
	global_load_b32 v2, v[0:1], off
	s_waitcnt vmcnt(0)
	v_cvt_i16_f16_e32 v2, v2
.LBB384_600:
	s_mov_b32 s0, 0
.LBB384_601:
	s_delay_alu instid0(SALU_CYCLE_1)
	s_and_not1_b32 vcc_lo, exec_lo, s0
	s_cbranch_vccnz .LBB384_612
; %bb.602:
	v_cmp_lt_i16_e64 s0, s9, 6
	s_delay_alu instid0(VALU_DEP_1)
	s_and_b32 vcc_lo, exec_lo, s0
	s_cbranch_vccnz .LBB384_605
; %bb.603:
	v_cmp_gt_i16_e64 s0, s9, 6
	s_delay_alu instid0(VALU_DEP_1)
	s_and_b32 vcc_lo, exec_lo, s0
	s_cbranch_vccz .LBB384_606
; %bb.604:
	global_load_b64 v[2:3], v[0:1], off
	s_mov_b32 s0, 0
	s_waitcnt vmcnt(0)
	v_cvt_i32_f64_e32 v2, v[2:3]
	s_branch .LBB384_607
.LBB384_605:
	s_mov_b32 s0, -1
                                        ; implicit-def: $vgpr2
	s_branch .LBB384_610
.LBB384_606:
	s_mov_b32 s0, -1
                                        ; implicit-def: $vgpr2
.LBB384_607:
	s_delay_alu instid0(SALU_CYCLE_1)
	s_and_not1_b32 vcc_lo, exec_lo, s0
	s_cbranch_vccnz .LBB384_609
; %bb.608:
	global_load_b32 v2, v[0:1], off
	s_waitcnt vmcnt(0)
	v_cvt_i32_f32_e32 v2, v2
.LBB384_609:
	s_mov_b32 s0, 0
.LBB384_610:
	s_delay_alu instid0(SALU_CYCLE_1)
	s_and_not1_b32 vcc_lo, exec_lo, s0
	s_cbranch_vccnz .LBB384_612
; %bb.611:
	global_load_u16 v2, v[0:1], off
	s_waitcnt vmcnt(0)
	v_cvt_i16_f16_e32 v2, v2
.LBB384_612:
	s_mov_b32 s0, 0
.LBB384_613:
	s_delay_alu instid0(SALU_CYCLE_1)
	s_and_not1_b32 vcc_lo, exec_lo, s0
	s_cbranch_vccnz .LBB384_633
; %bb.614:
	v_cmp_lt_i16_e64 s0, s9, 2
	s_delay_alu instid0(VALU_DEP_1)
	s_and_b32 vcc_lo, exec_lo, s0
	s_cbranch_vccnz .LBB384_618
; %bb.615:
	v_cmp_lt_i16_e64 s0, s9, 3
	s_delay_alu instid0(VALU_DEP_1)
	s_and_b32 vcc_lo, exec_lo, s0
	s_cbranch_vccnz .LBB384_619
; %bb.616:
	v_cmp_gt_i16_e64 s0, s9, 3
	s_delay_alu instid0(VALU_DEP_1)
	s_and_b32 vcc_lo, exec_lo, s0
	s_cbranch_vccz .LBB384_620
; %bb.617:
	global_load_b64 v[2:3], v[0:1], off
	s_mov_b32 s0, 0
	s_branch .LBB384_621
.LBB384_618:
	s_mov_b32 s0, -1
                                        ; implicit-def: $vgpr2
	s_branch .LBB384_627
.LBB384_619:
	s_mov_b32 s0, -1
                                        ; implicit-def: $vgpr2
	s_branch .LBB384_624
.LBB384_620:
	s_mov_b32 s0, -1
                                        ; implicit-def: $vgpr2
.LBB384_621:
	s_delay_alu instid0(SALU_CYCLE_1)
	s_and_not1_b32 vcc_lo, exec_lo, s0
	s_cbranch_vccnz .LBB384_623
; %bb.622:
	global_load_b32 v2, v[0:1], off
.LBB384_623:
	s_mov_b32 s0, 0
.LBB384_624:
	s_delay_alu instid0(SALU_CYCLE_1)
	s_and_not1_b32 vcc_lo, exec_lo, s0
	s_cbranch_vccnz .LBB384_626
; %bb.625:
	global_load_u16 v2, v[0:1], off
.LBB384_626:
	s_mov_b32 s0, 0
.LBB384_627:
	s_delay_alu instid0(SALU_CYCLE_1)
	s_and_not1_b32 vcc_lo, exec_lo, s0
	s_cbranch_vccnz .LBB384_633
; %bb.628:
	v_cmp_gt_i16_e64 s0, s9, 0
	s_delay_alu instid0(VALU_DEP_1)
	s_and_b32 vcc_lo, exec_lo, s0
	s_mov_b32 s0, 0
	s_cbranch_vccz .LBB384_630
; %bb.629:
	global_load_i8 v2, v[0:1], off
	s_branch .LBB384_631
.LBB384_630:
	s_mov_b32 s0, -1
                                        ; implicit-def: $vgpr2
.LBB384_631:
	s_delay_alu instid0(SALU_CYCLE_1)
	s_and_not1_b32 vcc_lo, exec_lo, s0
	s_cbranch_vccnz .LBB384_633
; %bb.632:
	global_load_u8 v2, v[0:1], off
.LBB384_633:
	s_mov_b32 s0, -1
.LBB384_634:
	s_delay_alu instid0(SALU_CYCLE_1)
	s_and_not1_b32 vcc_lo, exec_lo, s0
	s_cbranch_vccnz .LBB384_642
; %bb.635:
	v_mul_lo_u32 v0, v9, s2
	s_waitcnt vmcnt(0)
	v_and_b32_e64 v3, 0xff, s1
	s_delay_alu instid0(VALU_DEP_3) | instskip(NEXT) | instid1(VALU_DEP_2)
	v_max_i16 v2, v2, s8
	v_cmp_gt_i16_e32 vcc_lo, 11, v3
	s_delay_alu instid0(VALU_DEP_4) | instskip(SKIP_1) | instid1(VALU_DEP_1)
	v_ashrrev_i32_e32 v1, 31, v0
	v_add_co_u32 v0, s0, s4, v0
	v_add_co_ci_u32_e64 v1, s0, s5, v1, s0
	s_cbranch_vccnz .LBB384_643
; %bb.636:
	v_cmp_lt_i16_e32 vcc_lo, 25, v3
	s_cbranch_vccz .LBB384_644
; %bb.637:
	v_cmp_lt_i16_e32 vcc_lo, 28, v3
	s_cbranch_vccz .LBB384_645
	;; [unrolled: 3-line block ×4, first 2 shown]
; %bb.640:
	v_cmp_eq_u16_e32 vcc_lo, 46, v3
	s_mov_b32 s22, 0
	s_mov_b32 s0, -1
	s_mov_b32 s21, 0
	s_cbranch_vccz .LBB384_648
; %bb.641:
	v_bfe_i32 v4, v2, 0, 16
	s_mov_b32 s21, -1
	s_mov_b32 s0, 0
	s_delay_alu instid0(VALU_DEP_1) | instskip(NEXT) | instid1(VALU_DEP_1)
	v_cvt_f32_i32_e32 v4, v4
	v_bfe_u32 v5, v4, 16, 1
	s_delay_alu instid0(VALU_DEP_1) | instskip(NEXT) | instid1(VALU_DEP_1)
	v_add3_u32 v4, v4, v5, 0x7fff
	v_lshrrev_b32_e32 v4, 16, v4
	global_store_b32 v[0:1], v4, off
	s_branch .LBB384_648
.LBB384_642:
	s_mov_b32 s21, 0
	s_mov_b32 s0, s17
	s_branch .LBB384_759
.LBB384_643:
	s_mov_b32 s22, -1
	s_mov_b32 s21, 0
	s_mov_b32 s0, s17
	s_branch .LBB384_717
.LBB384_644:
	s_mov_b32 s22, -1
	s_mov_b32 s21, 0
	s_mov_b32 s0, s17
	s_branch .LBB384_675
.LBB384_645:
	s_mov_b32 s22, -1
	s_mov_b32 s21, 0
	s_mov_b32 s0, s17
	s_branch .LBB384_658
.LBB384_646:
	s_mov_b32 s22, -1
	s_mov_b32 s21, 0
	s_mov_b32 s0, s17
	s_branch .LBB384_654
.LBB384_647:
	s_mov_b32 s22, -1
	s_mov_b32 s21, 0
	s_mov_b32 s0, s17
.LBB384_648:
	s_and_b32 vcc_lo, exec_lo, s22
	s_cbranch_vccz .LBB384_653
; %bb.649:
	v_cmp_eq_u16_e32 vcc_lo, 44, v3
	s_mov_b32 s0, -1
	s_cbranch_vccz .LBB384_653
; %bb.650:
	v_bfe_i32 v4, v2, 0, 16
	v_mov_b32_e32 v5, 0xff
	s_mov_b32 s21, exec_lo
	s_delay_alu instid0(VALU_DEP_2) | instskip(NEXT) | instid1(VALU_DEP_1)
	v_cvt_f32_i32_e32 v4, v4
	v_bfe_u32 v6, v4, 23, 8
	s_delay_alu instid0(VALU_DEP_1)
	v_cmpx_ne_u32_e32 0xff, v6
; %bb.651:
	v_and_b32_e32 v5, 0x400000, v4
	v_and_or_b32 v6, 0x3fffff, v4, v6
	v_lshrrev_b32_e32 v4, 23, v4
	s_delay_alu instid0(VALU_DEP_3) | instskip(NEXT) | instid1(VALU_DEP_3)
	v_cmp_ne_u32_e32 vcc_lo, 0, v5
	v_cmp_ne_u32_e64 s0, 0, v6
	s_delay_alu instid0(VALU_DEP_1) | instskip(NEXT) | instid1(SALU_CYCLE_1)
	s_and_b32 s0, vcc_lo, s0
	v_cndmask_b32_e64 v5, 0, 1, s0
	s_delay_alu instid0(VALU_DEP_1)
	v_add_nc_u32_e32 v5, v4, v5
; %bb.652:
	s_or_b32 exec_lo, exec_lo, s21
	s_mov_b32 s21, -1
	s_mov_b32 s0, 0
	global_store_b8 v[0:1], v5, off
.LBB384_653:
	s_mov_b32 s22, 0
.LBB384_654:
	s_delay_alu instid0(SALU_CYCLE_1)
	s_and_b32 vcc_lo, exec_lo, s22
	s_cbranch_vccz .LBB384_657
; %bb.655:
	v_cmp_eq_u16_e32 vcc_lo, 29, v3
	s_mov_b32 s0, -1
	s_cbranch_vccz .LBB384_657
; %bb.656:
	v_bfe_i32 v4, v2, 0, 16
	s_mov_b32 s0, 0
	s_mov_b32 s21, -1
	s_mov_b32 s22, 0
	s_delay_alu instid0(VALU_DEP_1)
	v_ashrrev_i32_e32 v5, 31, v4
	global_store_b64 v[0:1], v[4:5], off
	s_branch .LBB384_658
.LBB384_657:
	s_mov_b32 s22, 0
.LBB384_658:
	s_delay_alu instid0(SALU_CYCLE_1)
	s_and_b32 vcc_lo, exec_lo, s22
	s_cbranch_vccz .LBB384_674
; %bb.659:
	v_cmp_gt_i16_e32 vcc_lo, 27, v3
	s_mov_b32 s21, -1
	s_cbranch_vccnz .LBB384_665
; %bb.660:
	v_cmp_lt_i16_e32 vcc_lo, 27, v3
	s_cbranch_vccz .LBB384_662
; %bb.661:
	v_bfe_i32 v4, v2, 0, 16
	s_mov_b32 s21, 0
	global_store_b32 v[0:1], v4, off
.LBB384_662:
	s_and_not1_b32 vcc_lo, exec_lo, s21
	s_cbranch_vccnz .LBB384_664
; %bb.663:
	global_store_b16 v[0:1], v2, off
.LBB384_664:
	s_mov_b32 s21, 0
.LBB384_665:
	s_delay_alu instid0(SALU_CYCLE_1)
	s_and_not1_b32 vcc_lo, exec_lo, s21
	s_cbranch_vccnz .LBB384_673
; %bb.666:
	v_bfe_i32 v4, v2, 0, 16
	v_mov_b32_e32 v6, 0x80
	s_mov_b32 s21, exec_lo
	s_delay_alu instid0(VALU_DEP_2) | instskip(NEXT) | instid1(VALU_DEP_1)
	v_cvt_f32_i32_e32 v4, v4
	v_and_b32_e32 v5, 0x7fffffff, v4
	s_delay_alu instid0(VALU_DEP_1)
	v_cmpx_gt_u32_e32 0x43800000, v5
	s_cbranch_execz .LBB384_672
; %bb.667:
	v_cmp_lt_u32_e32 vcc_lo, 0x3bffffff, v5
	s_mov_b32 s22, 0
                                        ; implicit-def: $vgpr5
	s_and_saveexec_b32 s23, vcc_lo
	s_delay_alu instid0(SALU_CYCLE_1)
	s_xor_b32 s23, exec_lo, s23
	s_cbranch_execz .LBB384_774
; %bb.668:
	v_bfe_u32 v5, v4, 20, 1
	s_mov_b32 s22, exec_lo
	s_delay_alu instid0(VALU_DEP_1) | instskip(NEXT) | instid1(VALU_DEP_1)
	v_add3_u32 v5, v4, v5, 0x487ffff
	v_lshrrev_b32_e32 v5, 20, v5
	s_or_saveexec_b32 s23, s23
                                        ; implicit-def: $sgpr24
	s_delay_alu instid0(SALU_CYCLE_1)
	s_xor_b32 exec_lo, exec_lo, s23
	s_cbranch_execnz .LBB384_775
.LBB384_669:
	s_or_b32 exec_lo, exec_lo, s23
	v_mov_b32_e32 v6, s24
	s_and_saveexec_b32 s23, s22
.LBB384_670:
	v_lshrrev_b32_e32 v4, 24, v4
	s_delay_alu instid0(VALU_DEP_1)
	v_and_or_b32 v6, 0x80, v4, v5
.LBB384_671:
	s_or_b32 exec_lo, exec_lo, s23
.LBB384_672:
	s_delay_alu instid0(SALU_CYCLE_1)
	s_or_b32 exec_lo, exec_lo, s21
	global_store_b8 v[0:1], v6, off
.LBB384_673:
	s_mov_b32 s21, -1
.LBB384_674:
	s_mov_b32 s22, 0
.LBB384_675:
	s_delay_alu instid0(SALU_CYCLE_1)
	s_and_b32 vcc_lo, exec_lo, s22
	s_cbranch_vccz .LBB384_716
; %bb.676:
	v_cmp_lt_i16_e32 vcc_lo, 22, v3
	s_mov_b32 s22, -1
	s_cbranch_vccz .LBB384_708
; %bb.677:
	v_cmp_gt_i16_e32 vcc_lo, 24, v3
	s_mov_b32 s21, -1
	s_cbranch_vccnz .LBB384_697
; %bb.678:
	v_cmp_lt_i16_e32 vcc_lo, 24, v3
	s_cbranch_vccz .LBB384_686
; %bb.679:
	v_bfe_i32 v4, v2, 0, 16
	v_mov_b32_e32 v6, 0x80
	s_mov_b32 s21, exec_lo
	s_delay_alu instid0(VALU_DEP_2) | instskip(NEXT) | instid1(VALU_DEP_1)
	v_cvt_f32_i32_e32 v4, v4
	v_and_b32_e32 v5, 0x7fffffff, v4
	s_delay_alu instid0(VALU_DEP_1)
	v_cmpx_gt_u32_e32 0x47800000, v5
	s_cbranch_execz .LBB384_685
; %bb.680:
	v_cmp_lt_u32_e32 vcc_lo, 0x37ffffff, v5
	s_mov_b32 s22, 0
                                        ; implicit-def: $vgpr5
	s_and_saveexec_b32 s23, vcc_lo
	s_delay_alu instid0(SALU_CYCLE_1)
	s_xor_b32 s23, exec_lo, s23
	s_cbranch_execz .LBB384_777
; %bb.681:
	v_bfe_u32 v5, v4, 21, 1
	s_mov_b32 s22, exec_lo
	s_delay_alu instid0(VALU_DEP_1) | instskip(NEXT) | instid1(VALU_DEP_1)
	v_add3_u32 v5, v4, v5, 0x88fffff
	v_lshrrev_b32_e32 v5, 21, v5
	s_or_saveexec_b32 s23, s23
                                        ; implicit-def: $sgpr24
	s_delay_alu instid0(SALU_CYCLE_1)
	s_xor_b32 exec_lo, exec_lo, s23
	s_cbranch_execnz .LBB384_778
.LBB384_682:
	s_or_b32 exec_lo, exec_lo, s23
	v_mov_b32_e32 v6, s24
	s_and_saveexec_b32 s23, s22
.LBB384_683:
	v_lshrrev_b32_e32 v4, 24, v4
	s_delay_alu instid0(VALU_DEP_1)
	v_and_or_b32 v6, 0x80, v4, v5
.LBB384_684:
	s_or_b32 exec_lo, exec_lo, s23
.LBB384_685:
	s_delay_alu instid0(SALU_CYCLE_1)
	s_or_b32 exec_lo, exec_lo, s21
	s_mov_b32 s21, 0
	global_store_b8 v[0:1], v6, off
.LBB384_686:
	s_and_b32 vcc_lo, exec_lo, s21
	s_cbranch_vccz .LBB384_696
; %bb.687:
	v_bfe_i32 v4, v2, 0, 16
	s_mov_b32 s21, exec_lo
                                        ; implicit-def: $vgpr5
	s_delay_alu instid0(VALU_DEP_1) | instskip(NEXT) | instid1(VALU_DEP_1)
	v_cvt_f32_i32_e32 v4, v4
	v_and_b32_e32 v6, 0x7fffffff, v4
	s_delay_alu instid0(VALU_DEP_1)
	v_cmpx_gt_u32_e32 0x43f00000, v6
	s_xor_b32 s21, exec_lo, s21
	s_cbranch_execz .LBB384_693
; %bb.688:
	s_mov_b32 s22, exec_lo
                                        ; implicit-def: $vgpr5
	v_cmpx_lt_u32_e32 0x3c7fffff, v6
	s_xor_b32 s22, exec_lo, s22
; %bb.689:
	v_bfe_u32 v5, v4, 20, 1
	s_delay_alu instid0(VALU_DEP_1) | instskip(NEXT) | instid1(VALU_DEP_1)
	v_add3_u32 v5, v4, v5, 0x407ffff
	v_and_b32_e32 v6, 0xff00000, v5
	v_lshrrev_b32_e32 v5, 20, v5
	s_delay_alu instid0(VALU_DEP_2) | instskip(NEXT) | instid1(VALU_DEP_2)
	v_cmp_ne_u32_e32 vcc_lo, 0x7f00000, v6
	v_cndmask_b32_e32 v5, 0x7e, v5, vcc_lo
; %bb.690:
	s_and_not1_saveexec_b32 s22, s22
; %bb.691:
	v_add_f32_e64 v5, 0x46800000, |v4|
; %bb.692:
	s_or_b32 exec_lo, exec_lo, s22
                                        ; implicit-def: $vgpr6
.LBB384_693:
	s_and_not1_saveexec_b32 s21, s21
; %bb.694:
	v_mov_b32_e32 v5, 0x7f
	v_cmp_lt_u32_e32 vcc_lo, 0x7f800000, v6
	s_delay_alu instid0(VALU_DEP_2)
	v_cndmask_b32_e32 v5, 0x7e, v5, vcc_lo
; %bb.695:
	s_or_b32 exec_lo, exec_lo, s21
	v_lshrrev_b32_e32 v4, 24, v4
	s_delay_alu instid0(VALU_DEP_1)
	v_and_or_b32 v4, 0x80, v4, v5
	global_store_b8 v[0:1], v4, off
.LBB384_696:
	s_mov_b32 s21, 0
.LBB384_697:
	s_delay_alu instid0(SALU_CYCLE_1)
	s_and_not1_b32 vcc_lo, exec_lo, s21
	s_cbranch_vccnz .LBB384_707
; %bb.698:
	v_bfe_i32 v4, v2, 0, 16
	s_mov_b32 s21, exec_lo
                                        ; implicit-def: $vgpr5
	s_delay_alu instid0(VALU_DEP_1) | instskip(NEXT) | instid1(VALU_DEP_1)
	v_cvt_f32_i32_e32 v4, v4
	v_and_b32_e32 v6, 0x7fffffff, v4
	s_delay_alu instid0(VALU_DEP_1)
	v_cmpx_gt_u32_e32 0x47800000, v6
	s_xor_b32 s21, exec_lo, s21
	s_cbranch_execz .LBB384_704
; %bb.699:
	s_mov_b32 s22, exec_lo
                                        ; implicit-def: $vgpr5
	v_cmpx_lt_u32_e32 0x387fffff, v6
	s_xor_b32 s22, exec_lo, s22
; %bb.700:
	v_bfe_u32 v5, v4, 21, 1
	s_delay_alu instid0(VALU_DEP_1) | instskip(NEXT) | instid1(VALU_DEP_1)
	v_add3_u32 v5, v4, v5, 0x80fffff
	v_lshrrev_b32_e32 v5, 21, v5
; %bb.701:
	s_and_not1_saveexec_b32 s22, s22
; %bb.702:
	v_add_f32_e64 v5, 0x43000000, |v4|
; %bb.703:
	s_or_b32 exec_lo, exec_lo, s22
                                        ; implicit-def: $vgpr6
.LBB384_704:
	s_and_not1_saveexec_b32 s21, s21
; %bb.705:
	v_mov_b32_e32 v5, 0x7f
	v_cmp_lt_u32_e32 vcc_lo, 0x7f800000, v6
	s_delay_alu instid0(VALU_DEP_2)
	v_cndmask_b32_e32 v5, 0x7c, v5, vcc_lo
; %bb.706:
	s_or_b32 exec_lo, exec_lo, s21
	v_lshrrev_b32_e32 v4, 24, v4
	s_delay_alu instid0(VALU_DEP_1)
	v_and_or_b32 v4, 0x80, v4, v5
	global_store_b8 v[0:1], v4, off
.LBB384_707:
	s_mov_b32 s22, 0
	s_mov_b32 s21, -1
.LBB384_708:
	s_and_not1_b32 vcc_lo, exec_lo, s22
	s_cbranch_vccnz .LBB384_716
; %bb.709:
	v_cmp_lt_i16_e32 vcc_lo, 14, v3
	s_mov_b32 s22, -1
	s_cbranch_vccz .LBB384_713
; %bb.710:
	v_cmp_eq_u16_e32 vcc_lo, 15, v3
	s_mov_b32 s0, -1
	s_cbranch_vccz .LBB384_712
; %bb.711:
	v_bfe_i32 v4, v2, 0, 16
	s_mov_b32 s21, -1
	s_mov_b32 s0, 0
	s_delay_alu instid0(VALU_DEP_1) | instskip(NEXT) | instid1(VALU_DEP_1)
	v_cvt_f32_i32_e32 v4, v4
	v_bfe_u32 v5, v4, 16, 1
	s_delay_alu instid0(VALU_DEP_1)
	v_add3_u32 v4, v4, v5, 0x7fff
	global_store_d16_hi_b16 v[0:1], v4, off
.LBB384_712:
	s_mov_b32 s22, 0
.LBB384_713:
	s_delay_alu instid0(SALU_CYCLE_1)
	s_and_b32 vcc_lo, exec_lo, s22
	s_cbranch_vccz .LBB384_716
; %bb.714:
	v_cmp_eq_u16_e32 vcc_lo, 11, v3
	s_mov_b32 s0, -1
	s_cbranch_vccz .LBB384_716
; %bb.715:
	v_cmp_ne_u16_e32 vcc_lo, 0, v2
	s_mov_b32 s0, 0
	s_mov_b32 s21, -1
	v_cndmask_b32_e64 v4, 0, 1, vcc_lo
	global_store_b8 v[0:1], v4, off
.LBB384_716:
	s_mov_b32 s22, 0
.LBB384_717:
	s_delay_alu instid0(SALU_CYCLE_1)
	s_and_b32 vcc_lo, exec_lo, s22
	s_cbranch_vccz .LBB384_756
; %bb.718:
	v_cmp_gt_i16_e32 vcc_lo, 5, v3
	s_mov_b32 s21, -1
	s_cbranch_vccnz .LBB384_739
; %bb.719:
	v_cmp_gt_i16_e32 vcc_lo, 8, v3
	s_cbranch_vccnz .LBB384_729
; %bb.720:
	v_cmp_gt_i16_e32 vcc_lo, 9, v3
	s_cbranch_vccnz .LBB384_726
; %bb.721:
	v_cmp_lt_i16_e32 vcc_lo, 9, v3
	s_cbranch_vccz .LBB384_723
; %bb.722:
	v_bfe_i32 v4, v2, 0, 16
	v_mov_b32_e32 v6, 0
	s_mov_b32 s21, 0
	s_delay_alu instid0(VALU_DEP_2) | instskip(NEXT) | instid1(VALU_DEP_2)
	v_cvt_f64_i32_e32 v[4:5], v4
	v_mov_b32_e32 v7, v6
	global_store_b128 v[0:1], v[4:7], off
.LBB384_723:
	s_and_not1_b32 vcc_lo, exec_lo, s21
	s_cbranch_vccnz .LBB384_725
; %bb.724:
	v_bfe_i32 v4, v2, 0, 16
	v_mov_b32_e32 v5, 0
	s_delay_alu instid0(VALU_DEP_2)
	v_cvt_f32_i32_e32 v4, v4
	global_store_b64 v[0:1], v[4:5], off
.LBB384_725:
	s_mov_b32 s21, 0
.LBB384_726:
	s_delay_alu instid0(SALU_CYCLE_1)
	s_and_not1_b32 vcc_lo, exec_lo, s21
	s_cbranch_vccnz .LBB384_728
; %bb.727:
	v_cvt_f16_i16_e32 v4, v2
	s_delay_alu instid0(VALU_DEP_1)
	v_and_b32_e32 v4, 0xffff, v4
	global_store_b32 v[0:1], v4, off
.LBB384_728:
	s_mov_b32 s21, 0
.LBB384_729:
	s_delay_alu instid0(SALU_CYCLE_1)
	s_and_not1_b32 vcc_lo, exec_lo, s21
	s_cbranch_vccnz .LBB384_738
; %bb.730:
	v_cmp_gt_i16_e32 vcc_lo, 6, v3
	s_mov_b32 s21, -1
	s_cbranch_vccnz .LBB384_736
; %bb.731:
	v_cmp_lt_i16_e32 vcc_lo, 6, v3
	s_cbranch_vccz .LBB384_733
; %bb.732:
	v_bfe_i32 v4, v2, 0, 16
	s_mov_b32 s21, 0
	s_delay_alu instid0(VALU_DEP_1)
	v_cvt_f64_i32_e32 v[4:5], v4
	global_store_b64 v[0:1], v[4:5], off
.LBB384_733:
	s_and_not1_b32 vcc_lo, exec_lo, s21
	s_cbranch_vccnz .LBB384_735
; %bb.734:
	v_bfe_i32 v4, v2, 0, 16
	s_delay_alu instid0(VALU_DEP_1)
	v_cvt_f32_i32_e32 v4, v4
	global_store_b32 v[0:1], v4, off
.LBB384_735:
	s_mov_b32 s21, 0
.LBB384_736:
	s_delay_alu instid0(SALU_CYCLE_1)
	s_and_not1_b32 vcc_lo, exec_lo, s21
	s_cbranch_vccnz .LBB384_738
; %bb.737:
	v_cvt_f16_i16_e32 v4, v2
	global_store_b16 v[0:1], v4, off
.LBB384_738:
	s_mov_b32 s21, 0
.LBB384_739:
	s_delay_alu instid0(SALU_CYCLE_1)
	s_and_not1_b32 vcc_lo, exec_lo, s21
	s_cbranch_vccnz .LBB384_755
; %bb.740:
	v_cmp_gt_i16_e32 vcc_lo, 2, v3
	s_mov_b32 s21, -1
	s_cbranch_vccnz .LBB384_750
; %bb.741:
	v_cmp_gt_i16_e32 vcc_lo, 3, v3
	s_cbranch_vccnz .LBB384_747
; %bb.742:
	v_cmp_lt_i16_e32 vcc_lo, 3, v3
	s_cbranch_vccz .LBB384_744
; %bb.743:
	v_bfe_i32 v4, v2, 0, 16
	s_mov_b32 s21, 0
	s_delay_alu instid0(VALU_DEP_1)
	v_ashrrev_i32_e32 v5, 31, v4
	global_store_b64 v[0:1], v[4:5], off
.LBB384_744:
	s_and_not1_b32 vcc_lo, exec_lo, s21
	s_cbranch_vccnz .LBB384_746
; %bb.745:
	v_bfe_i32 v4, v2, 0, 16
	global_store_b32 v[0:1], v4, off
.LBB384_746:
	s_mov_b32 s21, 0
.LBB384_747:
	s_delay_alu instid0(SALU_CYCLE_1)
	s_and_not1_b32 vcc_lo, exec_lo, s21
	s_cbranch_vccnz .LBB384_749
; %bb.748:
	global_store_b16 v[0:1], v2, off
.LBB384_749:
	s_mov_b32 s21, 0
.LBB384_750:
	s_delay_alu instid0(SALU_CYCLE_1)
	s_and_not1_b32 vcc_lo, exec_lo, s21
	s_cbranch_vccnz .LBB384_755
; %bb.751:
	v_cmp_lt_i16_e32 vcc_lo, 0, v3
	s_mov_b32 s21, -1
	s_cbranch_vccz .LBB384_753
; %bb.752:
	s_mov_b32 s21, 0
	global_store_b8 v[0:1], v2, off
.LBB384_753:
	s_and_not1_b32 vcc_lo, exec_lo, s21
	s_cbranch_vccnz .LBB384_755
; %bb.754:
	global_store_b8 v[0:1], v2, off
.LBB384_755:
	s_mov_b32 s21, -1
.LBB384_756:
	s_delay_alu instid0(SALU_CYCLE_1)
	s_and_not1_b32 vcc_lo, exec_lo, s21
	s_cbranch_vccnz .LBB384_758
; %bb.757:
	v_add_nc_u32_e32 v9, 0x80, v9
	s_mov_b32 s21, -1
	s_branch .LBB384_760
.LBB384_758:
	s_mov_b32 s21, 0
.LBB384_759:
                                        ; implicit-def: $vgpr9
.LBB384_760:
	s_and_not1_b32 s22, s17, exec_lo
	s_and_b32 s0, s0, exec_lo
	s_and_not1_b32 s23, s16, exec_lo
	s_and_b32 s24, s20, exec_lo
	s_or_b32 s20, s22, s0
	s_or_b32 s0, s23, s24
	s_or_not1_b32 s21, s21, exec_lo
.LBB384_761:
	s_or_b32 exec_lo, exec_lo, s19
	s_mov_b32 s22, 0
	s_mov_b32 s23, 0
	;; [unrolled: 1-line block ×3, first 2 shown]
                                        ; implicit-def: $vgpr0_vgpr1
                                        ; implicit-def: $vgpr2
	s_and_saveexec_b32 s19, s21
	s_cbranch_execz .LBB384_842
; %bb.762:
	v_cmp_gt_i32_e32 vcc_lo, s13, v9
	s_mov_b32 s21, 0
	s_mov_b32 s22, s0
                                        ; implicit-def: $vgpr0_vgpr1
                                        ; implicit-def: $vgpr2
	s_and_saveexec_b32 s13, vcc_lo
	s_cbranch_execz .LBB384_841
; %bb.763:
	v_mul_lo_u32 v0, v9, s3
	v_cmp_lt_i16_e64 s21, s9, 11
	s_delay_alu instid0(VALU_DEP_2) | instskip(SKIP_1) | instid1(VALU_DEP_2)
	v_ashrrev_i32_e32 v1, 31, v0
	v_add_co_u32 v0, vcc_lo, s6, v0
	v_add_co_ci_u32_e32 v1, vcc_lo, s7, v1, vcc_lo
	s_delay_alu instid0(VALU_DEP_4)
	s_and_b32 vcc_lo, exec_lo, s21
	s_cbranch_vccnz .LBB384_770
; %bb.764:
	v_cmp_gt_i16_e64 s21, s9, 25
	s_mov_b32 s22, 0
	s_delay_alu instid0(VALU_DEP_1)
	s_and_b32 vcc_lo, exec_lo, s21
	s_cbranch_vccz .LBB384_771
; %bb.765:
	v_cmp_gt_i16_e64 s21, s9, 28
	s_delay_alu instid0(VALU_DEP_1)
	s_and_b32 vcc_lo, exec_lo, s21
	s_cbranch_vccz .LBB384_772
; %bb.766:
	v_cmp_gt_i16_e64 s21, s9, 43
	;; [unrolled: 5-line block ×3, first 2 shown]
	s_delay_alu instid0(VALU_DEP_1)
	s_and_b32 vcc_lo, exec_lo, s21
	s_cbranch_vccz .LBB384_776
; %bb.768:
	v_cmp_eq_u16_e64 s21, s9, 46
	s_delay_alu instid0(VALU_DEP_1)
	s_and_b32 vcc_lo, exec_lo, s21
	s_cbranch_vccz .LBB384_779
; %bb.769:
	global_load_b32 v2, v[0:1], off
	s_mov_b32 s21, 0
	s_mov_b32 s23, -1
	s_waitcnt vmcnt(0)
	v_lshlrev_b32_e32 v2, 16, v2
	s_delay_alu instid0(VALU_DEP_1)
	v_cvt_i32_f32_e32 v2, v2
	s_branch .LBB384_781
.LBB384_770:
	s_mov_b32 s25, -1
	s_mov_b32 s22, 0
	s_mov_b32 s21, s0
                                        ; implicit-def: $vgpr2
	s_branch .LBB384_840
.LBB384_771:
	s_mov_b32 s24, -1
	s_mov_b32 s21, s0
                                        ; implicit-def: $vgpr2
	s_branch .LBB384_808
.LBB384_772:
	s_mov_b32 s24, -1
	s_mov_b32 s21, s0
                                        ; implicit-def: $vgpr2
	s_branch .LBB384_791
.LBB384_773:
	s_mov_b32 s24, -1
	s_mov_b32 s21, s0
                                        ; implicit-def: $vgpr2
	s_branch .LBB384_786
.LBB384_774:
	s_or_saveexec_b32 s23, s23
                                        ; implicit-def: $sgpr24
	s_delay_alu instid0(SALU_CYCLE_1)
	s_xor_b32 exec_lo, exec_lo, s23
	s_cbranch_execz .LBB384_669
.LBB384_775:
	v_add_f32_e64 v5, 0x46000000, |v4|
	s_and_not1_b32 s22, s22, exec_lo
	s_mov_b32 s24, 0
	s_delay_alu instid0(VALU_DEP_1) | instskip(NEXT) | instid1(VALU_DEP_1)
	v_and_b32_e32 v5, 0xff, v5
	v_cmp_ne_u32_e32 vcc_lo, 0, v5
	s_and_b32 s25, vcc_lo, exec_lo
	s_delay_alu instid0(SALU_CYCLE_1)
	s_or_b32 s22, s22, s25
	s_or_b32 exec_lo, exec_lo, s23
	v_mov_b32_e32 v6, s24
	s_and_saveexec_b32 s23, s22
	s_cbranch_execnz .LBB384_670
	s_branch .LBB384_671
.LBB384_776:
	s_mov_b32 s24, -1
	s_mov_b32 s21, s0
	s_branch .LBB384_780
.LBB384_777:
	s_or_saveexec_b32 s23, s23
                                        ; implicit-def: $sgpr24
	s_delay_alu instid0(SALU_CYCLE_1)
	s_xor_b32 exec_lo, exec_lo, s23
	s_cbranch_execz .LBB384_682
.LBB384_778:
	v_add_f32_e64 v5, 0x42800000, |v4|
	s_and_not1_b32 s22, s22, exec_lo
	s_mov_b32 s24, 0
	s_delay_alu instid0(VALU_DEP_1) | instskip(NEXT) | instid1(VALU_DEP_1)
	v_and_b32_e32 v5, 0xff, v5
	v_cmp_ne_u32_e32 vcc_lo, 0, v5
	s_and_b32 s25, vcc_lo, exec_lo
	s_delay_alu instid0(SALU_CYCLE_1)
	s_or_b32 s22, s22, s25
	s_or_b32 exec_lo, exec_lo, s23
	v_mov_b32_e32 v6, s24
	s_and_saveexec_b32 s23, s22
	s_cbranch_execnz .LBB384_683
	s_branch .LBB384_684
.LBB384_779:
	s_mov_b32 s21, -1
.LBB384_780:
                                        ; implicit-def: $vgpr2
.LBB384_781:
	s_and_b32 vcc_lo, exec_lo, s24
	s_cbranch_vccz .LBB384_785
; %bb.782:
	v_cmp_eq_u16_e64 s21, s9, 44
	s_delay_alu instid0(VALU_DEP_1)
	s_and_b32 vcc_lo, exec_lo, s21
	s_cbranch_vccz .LBB384_784
; %bb.783:
	global_load_u8 v2, v[0:1], off
	s_mov_b32 s21, 0
	s_mov_b32 s23, -1
	s_waitcnt vmcnt(0)
	v_lshlrev_b32_e32 v3, 23, v2
	v_cmp_ne_u32_e32 vcc_lo, 0, v2
	s_delay_alu instid0(VALU_DEP_2) | instskip(NEXT) | instid1(VALU_DEP_1)
	v_cvt_i32_f32_e32 v3, v3
	v_cndmask_b32_e32 v2, 0, v3, vcc_lo
	s_branch .LBB384_785
.LBB384_784:
	s_mov_b32 s21, -1
                                        ; implicit-def: $vgpr2
.LBB384_785:
	s_mov_b32 s24, 0
.LBB384_786:
	s_delay_alu instid0(SALU_CYCLE_1)
	s_and_b32 vcc_lo, exec_lo, s24
	s_cbranch_vccz .LBB384_790
; %bb.787:
	v_cmp_eq_u16_e64 s21, s9, 29
	s_delay_alu instid0(VALU_DEP_1)
	s_and_b32 vcc_lo, exec_lo, s21
	s_cbranch_vccz .LBB384_789
; %bb.788:
	global_load_b64 v[2:3], v[0:1], off
	s_mov_b32 s21, 0
	s_mov_b32 s23, -1
	s_branch .LBB384_790
.LBB384_789:
	s_mov_b32 s21, -1
                                        ; implicit-def: $vgpr2
.LBB384_790:
	s_mov_b32 s24, 0
.LBB384_791:
	s_delay_alu instid0(SALU_CYCLE_1)
	s_and_b32 vcc_lo, exec_lo, s24
	s_cbranch_vccz .LBB384_807
; %bb.792:
	v_cmp_lt_i16_e64 s23, s9, 27
	s_delay_alu instid0(VALU_DEP_1)
	s_and_b32 vcc_lo, exec_lo, s23
	s_cbranch_vccnz .LBB384_795
; %bb.793:
	v_cmp_gt_i16_e64 s23, s9, 27
	s_delay_alu instid0(VALU_DEP_1)
	s_and_b32 vcc_lo, exec_lo, s23
	s_cbranch_vccz .LBB384_796
; %bb.794:
	global_load_b32 v2, v[0:1], off
	s_mov_b32 s23, 0
	s_branch .LBB384_797
.LBB384_795:
	s_mov_b32 s23, -1
                                        ; implicit-def: $vgpr2
	s_branch .LBB384_800
.LBB384_796:
	s_mov_b32 s23, -1
                                        ; implicit-def: $vgpr2
.LBB384_797:
	s_delay_alu instid0(SALU_CYCLE_1)
	s_and_not1_b32 vcc_lo, exec_lo, s23
	s_cbranch_vccnz .LBB384_799
; %bb.798:
	global_load_u16 v2, v[0:1], off
.LBB384_799:
	s_mov_b32 s23, 0
.LBB384_800:
	s_delay_alu instid0(SALU_CYCLE_1)
	s_and_not1_b32 vcc_lo, exec_lo, s23
	s_cbranch_vccnz .LBB384_806
; %bb.801:
	global_load_u8 v3, v[0:1], off
	s_mov_b32 s23, 0
	s_mov_b32 s24, exec_lo
                                        ; implicit-def: $sgpr25
	s_waitcnt vmcnt(0)
	v_cmpx_lt_i16_e32 0x7f, v3
	s_xor_b32 s24, exec_lo, s24
	s_cbranch_execz .LBB384_818
; %bb.802:
	v_cmp_ne_u16_e32 vcc_lo, 0x80, v3
	s_mov_b32 s25, 0
	s_and_b32 s23, vcc_lo, exec_lo
	s_or_saveexec_b32 s24, s24
	v_mov_b32_e32 v2, s25
	s_xor_b32 exec_lo, exec_lo, s24
	s_cbranch_execnz .LBB384_819
.LBB384_803:
	s_or_b32 exec_lo, exec_lo, s24
	s_and_saveexec_b32 s24, s23
	s_cbranch_execz .LBB384_805
.LBB384_804:
	v_and_b32_e32 v2, 0xffff, v3
	s_delay_alu instid0(VALU_DEP_1) | instskip(NEXT) | instid1(VALU_DEP_1)
	v_and_b32_e32 v4, 7, v2
	v_clz_i32_u32_e32 v5, v4
	s_delay_alu instid0(VALU_DEP_1) | instskip(NEXT) | instid1(VALU_DEP_1)
	v_min_u32_e32 v5, 32, v5
	v_subrev_nc_u32_e32 v6, 28, v5
	v_sub_nc_u32_e32 v5, 29, v5
	s_delay_alu instid0(VALU_DEP_2) | instskip(SKIP_1) | instid1(VALU_DEP_2)
	v_lshlrev_b32_e32 v6, v6, v2
	v_bfe_u32 v2, v2, 3, 4
	v_and_b32_e32 v6, 7, v6
	s_delay_alu instid0(VALU_DEP_2) | instskip(SKIP_1) | instid1(VALU_DEP_1)
	v_cmp_eq_u32_e32 vcc_lo, 0, v2
	v_dual_cndmask_b32 v2, v2, v5 :: v_dual_lshlrev_b32 v3, 24, v3
	v_dual_cndmask_b32 v4, v4, v6 :: v_dual_and_b32 v3, 0x80000000, v3
	s_delay_alu instid0(VALU_DEP_2) | instskip(NEXT) | instid1(VALU_DEP_2)
	v_lshl_add_u32 v2, v2, 23, 0x3b800000
	v_lshlrev_b32_e32 v4, 20, v4
	s_delay_alu instid0(VALU_DEP_1) | instskip(NEXT) | instid1(VALU_DEP_1)
	v_or3_b32 v2, v3, v2, v4
	v_cvt_i32_f32_e32 v2, v2
.LBB384_805:
	s_or_b32 exec_lo, exec_lo, s24
.LBB384_806:
	s_mov_b32 s23, -1
.LBB384_807:
	s_mov_b32 s24, 0
.LBB384_808:
	s_delay_alu instid0(SALU_CYCLE_1)
	s_and_b32 vcc_lo, exec_lo, s24
	s_cbranch_vccz .LBB384_839
; %bb.809:
	v_cmp_gt_i16_e64 s22, s9, 22
	s_delay_alu instid0(VALU_DEP_1)
	s_and_b32 vcc_lo, exec_lo, s22
	s_cbranch_vccz .LBB384_817
; %bb.810:
	v_cmp_lt_i16_e64 s22, s9, 24
	s_delay_alu instid0(VALU_DEP_1)
	s_and_b32 vcc_lo, exec_lo, s22
	s_cbranch_vccnz .LBB384_820
; %bb.811:
	v_cmp_gt_i16_e64 s22, s9, 24
	s_delay_alu instid0(VALU_DEP_1)
	s_and_b32 vcc_lo, exec_lo, s22
	s_cbranch_vccz .LBB384_821
; %bb.812:
	global_load_u8 v3, v[0:1], off
	s_mov_b32 s22, 0
	s_mov_b32 s23, exec_lo
                                        ; implicit-def: $sgpr24
	s_waitcnt vmcnt(0)
	v_cmpx_lt_i16_e32 0x7f, v3
	s_xor_b32 s23, exec_lo, s23
	s_cbranch_execz .LBB384_833
; %bb.813:
	v_cmp_ne_u16_e32 vcc_lo, 0x80, v3
	s_mov_b32 s24, 0
	s_and_b32 s22, vcc_lo, exec_lo
	s_or_saveexec_b32 s23, s23
	v_mov_b32_e32 v2, s24
	s_xor_b32 exec_lo, exec_lo, s23
	s_cbranch_execnz .LBB384_834
.LBB384_814:
	s_or_b32 exec_lo, exec_lo, s23
	s_and_saveexec_b32 s23, s22
	s_cbranch_execz .LBB384_816
.LBB384_815:
	v_and_b32_e32 v2, 0xffff, v3
	s_delay_alu instid0(VALU_DEP_1) | instskip(NEXT) | instid1(VALU_DEP_1)
	v_and_b32_e32 v4, 3, v2
	v_clz_i32_u32_e32 v5, v4
	s_delay_alu instid0(VALU_DEP_1) | instskip(NEXT) | instid1(VALU_DEP_1)
	v_min_u32_e32 v5, 32, v5
	v_subrev_nc_u32_e32 v6, 29, v5
	v_sub_nc_u32_e32 v5, 30, v5
	s_delay_alu instid0(VALU_DEP_2) | instskip(SKIP_1) | instid1(VALU_DEP_2)
	v_lshlrev_b32_e32 v6, v6, v2
	v_bfe_u32 v2, v2, 2, 5
	v_and_b32_e32 v6, 3, v6
	s_delay_alu instid0(VALU_DEP_2) | instskip(SKIP_1) | instid1(VALU_DEP_1)
	v_cmp_eq_u32_e32 vcc_lo, 0, v2
	v_dual_cndmask_b32 v2, v2, v5 :: v_dual_lshlrev_b32 v3, 24, v3
	v_dual_cndmask_b32 v4, v4, v6 :: v_dual_and_b32 v3, 0x80000000, v3
	s_delay_alu instid0(VALU_DEP_2) | instskip(NEXT) | instid1(VALU_DEP_2)
	v_lshl_add_u32 v2, v2, 23, 0x37800000
	v_lshlrev_b32_e32 v4, 21, v4
	s_delay_alu instid0(VALU_DEP_1) | instskip(NEXT) | instid1(VALU_DEP_1)
	v_or3_b32 v2, v3, v2, v4
	v_cvt_i32_f32_e32 v2, v2
.LBB384_816:
	s_or_b32 exec_lo, exec_lo, s23
	s_mov_b32 s22, 0
	s_branch .LBB384_822
.LBB384_817:
	s_mov_b32 s22, -1
                                        ; implicit-def: $vgpr2
	s_branch .LBB384_828
.LBB384_818:
	s_or_saveexec_b32 s24, s24
	v_mov_b32_e32 v2, s25
	s_xor_b32 exec_lo, exec_lo, s24
	s_cbranch_execz .LBB384_803
.LBB384_819:
	v_cmp_ne_u16_e32 vcc_lo, 0, v3
	v_mov_b32_e32 v2, 0
	s_and_not1_b32 s23, s23, exec_lo
	s_and_b32 s25, vcc_lo, exec_lo
	s_delay_alu instid0(SALU_CYCLE_1)
	s_or_b32 s23, s23, s25
	s_or_b32 exec_lo, exec_lo, s24
	s_and_saveexec_b32 s24, s23
	s_cbranch_execnz .LBB384_804
	s_branch .LBB384_805
.LBB384_820:
	s_mov_b32 s22, -1
                                        ; implicit-def: $vgpr2
	s_branch .LBB384_825
.LBB384_821:
	s_mov_b32 s22, -1
                                        ; implicit-def: $vgpr2
.LBB384_822:
	s_delay_alu instid0(SALU_CYCLE_1)
	s_and_b32 vcc_lo, exec_lo, s22
	s_cbranch_vccz .LBB384_824
; %bb.823:
	global_load_u8 v2, v[0:1], off
	s_waitcnt vmcnt(0)
	v_lshlrev_b32_e32 v2, 24, v2
	s_delay_alu instid0(VALU_DEP_1) | instskip(NEXT) | instid1(VALU_DEP_1)
	v_and_b32_e32 v3, 0x7f000000, v2
	v_clz_i32_u32_e32 v4, v3
	v_add_nc_u32_e32 v6, 0x1000000, v3
	v_cmp_ne_u32_e32 vcc_lo, 0, v3
	s_delay_alu instid0(VALU_DEP_3) | instskip(NEXT) | instid1(VALU_DEP_1)
	v_min_u32_e32 v4, 32, v4
	v_sub_nc_u32_e64 v4, v4, 4 clamp
	s_delay_alu instid0(VALU_DEP_1) | instskip(SKIP_1) | instid1(VALU_DEP_2)
	v_lshlrev_b32_e32 v5, v4, v3
	v_lshlrev_b32_e32 v4, 23, v4
	v_lshrrev_b32_e32 v5, 4, v5
	s_delay_alu instid0(VALU_DEP_1) | instskip(SKIP_1) | instid1(VALU_DEP_2)
	v_sub_nc_u32_e32 v4, v5, v4
	v_ashrrev_i32_e32 v5, 8, v6
	v_add_nc_u32_e32 v4, 0x3c000000, v4
	s_delay_alu instid0(VALU_DEP_1) | instskip(NEXT) | instid1(VALU_DEP_1)
	v_and_or_b32 v4, 0x7f800000, v5, v4
	v_cndmask_b32_e32 v3, 0, v4, vcc_lo
	s_delay_alu instid0(VALU_DEP_1) | instskip(NEXT) | instid1(VALU_DEP_1)
	v_and_or_b32 v2, 0x80000000, v2, v3
	v_cvt_i32_f32_e32 v2, v2
.LBB384_824:
	s_mov_b32 s22, 0
.LBB384_825:
	s_delay_alu instid0(SALU_CYCLE_1)
	s_and_not1_b32 vcc_lo, exec_lo, s22
	s_cbranch_vccnz .LBB384_827
; %bb.826:
	global_load_u8 v2, v[0:1], off
	s_waitcnt vmcnt(0)
	v_lshlrev_b32_e32 v3, 25, v2
	v_lshlrev_b16 v2, 8, v2
	s_delay_alu instid0(VALU_DEP_2) | instskip(NEXT) | instid1(VALU_DEP_2)
	v_lshrrev_b32_e32 v4, 4, v3
	v_and_or_b32 v5, 0x7f00, v2, 0.5
	v_bfe_i32 v2, v2, 0, 16
	s_delay_alu instid0(VALU_DEP_3) | instskip(NEXT) | instid1(VALU_DEP_1)
	v_or_b32_e32 v4, 0x70000000, v4
	v_dual_add_f32 v5, -0.5, v5 :: v_dual_mul_f32 v4, 0x7800000, v4
	v_cmp_gt_u32_e32 vcc_lo, 0x8000000, v3
	s_delay_alu instid0(VALU_DEP_2) | instskip(NEXT) | instid1(VALU_DEP_1)
	v_cndmask_b32_e32 v3, v4, v5, vcc_lo
	v_and_or_b32 v2, 0x80000000, v2, v3
	s_delay_alu instid0(VALU_DEP_1)
	v_cvt_i32_f32_e32 v2, v2
.LBB384_827:
	s_mov_b32 s22, 0
	s_mov_b32 s23, -1
.LBB384_828:
	s_and_not1_b32 vcc_lo, exec_lo, s22
	s_mov_b32 s22, 0
	s_cbranch_vccnz .LBB384_839
; %bb.829:
	v_cmp_gt_i16_e64 s22, s9, 14
	s_delay_alu instid0(VALU_DEP_1)
	s_and_b32 vcc_lo, exec_lo, s22
	s_cbranch_vccz .LBB384_832
; %bb.830:
	v_cmp_eq_u16_e64 s21, s9, 15
	s_delay_alu instid0(VALU_DEP_1)
	s_and_b32 vcc_lo, exec_lo, s21
	s_cbranch_vccz .LBB384_835
; %bb.831:
	global_load_u16 v2, v[0:1], off
	s_mov_b32 s21, 0
	s_mov_b32 s23, -1
	s_waitcnt vmcnt(0)
	v_lshlrev_b32_e32 v2, 16, v2
	s_delay_alu instid0(VALU_DEP_1)
	v_cvt_i32_f32_e32 v2, v2
	s_branch .LBB384_836
.LBB384_832:
	s_mov_b32 s22, -1
                                        ; implicit-def: $vgpr2
	s_branch .LBB384_837
.LBB384_833:
	s_or_saveexec_b32 s23, s23
	v_mov_b32_e32 v2, s24
	s_xor_b32 exec_lo, exec_lo, s23
	s_cbranch_execz .LBB384_814
.LBB384_834:
	v_cmp_ne_u16_e32 vcc_lo, 0, v3
	v_mov_b32_e32 v2, 0
	s_and_not1_b32 s22, s22, exec_lo
	s_and_b32 s24, vcc_lo, exec_lo
	s_delay_alu instid0(SALU_CYCLE_1)
	s_or_b32 s22, s22, s24
	s_or_b32 exec_lo, exec_lo, s23
	s_and_saveexec_b32 s23, s22
	s_cbranch_execnz .LBB384_815
	s_branch .LBB384_816
.LBB384_835:
	s_mov_b32 s21, -1
                                        ; implicit-def: $vgpr2
.LBB384_836:
	s_mov_b32 s22, 0
.LBB384_837:
	s_delay_alu instid0(SALU_CYCLE_1)
	s_and_b32 vcc_lo, exec_lo, s22
	s_mov_b32 s22, 0
	s_cbranch_vccz .LBB384_839
; %bb.838:
	v_cmp_ne_u16_e64 s22, s9, 11
	s_and_not1_b32 s21, s21, exec_lo
                                        ; implicit-def: $vgpr2
	s_delay_alu instid0(VALU_DEP_1)
	s_and_b32 s24, s22, exec_lo
	s_mov_b32 s22, -1
	s_or_b32 s21, s21, s24
.LBB384_839:
	s_mov_b32 s25, 0
.LBB384_840:
	s_and_b32 s24, s23, exec_lo
	s_and_b32 s23, s25, exec_lo
	s_and_not1_b32 s25, s0, exec_lo
	s_and_b32 s26, s21, exec_lo
	s_and_b32 s21, s22, exec_lo
	s_or_b32 s22, s25, s26
.LBB384_841:
	s_or_b32 exec_lo, exec_lo, s13
	s_delay_alu instid0(SALU_CYCLE_1)
	s_and_not1_b32 s0, s0, exec_lo
	s_and_b32 s13, s22, exec_lo
	s_and_b32 s24, s24, exec_lo
	s_and_b32 s23, s23, exec_lo
	s_and_b32 s22, s21, exec_lo
	s_or_b32 s0, s0, s13
.LBB384_842:
	s_or_b32 exec_lo, exec_lo, s19
	s_delay_alu instid0(SALU_CYCLE_1)
	s_and_not1_b32 s13, s17, exec_lo
	s_and_b32 s17, s20, exec_lo
	s_and_b32 s0, s0, exec_lo
	s_or_b32 s17, s13, s17
	s_and_not1_b32 s13, s16, exec_lo
	s_and_b32 s21, s24, exec_lo
	s_and_b32 s20, s23, exec_lo
	;; [unrolled: 1-line block ×3, first 2 shown]
	s_or_b32 s16, s13, s0
.LBB384_843:
	s_or_b32 exec_lo, exec_lo, s18
	s_delay_alu instid0(SALU_CYCLE_1)
	s_and_not1_b32 s0, s12, exec_lo
	s_and_b32 s12, s17, exec_lo
	s_and_not1_b32 s13, s14, exec_lo
	s_and_b32 s14, s16, exec_lo
	s_or_b32 s12, s0, s12
	s_and_b32 s0, s21, exec_lo
	s_and_b32 s17, s20, exec_lo
	;; [unrolled: 1-line block ×3, first 2 shown]
	s_or_b32 s14, s13, s14
.LBB384_844:
	s_or_b32 exec_lo, exec_lo, s15
	s_mov_b32 s13, 0
	s_and_saveexec_b32 s15, s14
	s_cbranch_execnz .LBB384_856
; %bb.845:
	s_or_b32 exec_lo, exec_lo, s15
	s_and_saveexec_b32 s14, s16
	s_delay_alu instid0(SALU_CYCLE_1)
	s_xor_b32 s14, exec_lo, s14
	s_cbranch_execz .LBB384_847
.LBB384_846:
	global_load_u8 v2, v[0:1], off
	s_or_b32 s0, s0, exec_lo
	s_waitcnt vmcnt(0)
	v_cmp_ne_u16_e32 vcc_lo, 0, v2
	v_cndmask_b32_e64 v2, 0, 1, vcc_lo
.LBB384_847:
	s_or_b32 exec_lo, exec_lo, s14
	s_and_saveexec_b32 s14, s17
	s_cbranch_execz .LBB384_895
; %bb.848:
	v_cmp_lt_i16_e64 s15, s9, 5
	s_delay_alu instid0(VALU_DEP_1)
	s_and_b32 vcc_lo, exec_lo, s15
	s_cbranch_vccnz .LBB384_853
; %bb.849:
	v_cmp_lt_i16_e64 s15, s9, 8
	s_delay_alu instid0(VALU_DEP_1)
	s_and_b32 vcc_lo, exec_lo, s15
	s_cbranch_vccnz .LBB384_854
	;; [unrolled: 5-line block ×3, first 2 shown]
; %bb.851:
	v_cmp_gt_i16_e64 s15, s9, 9
	s_delay_alu instid0(VALU_DEP_1)
	s_and_b32 vcc_lo, exec_lo, s15
	s_cbranch_vccz .LBB384_858
; %bb.852:
	global_load_b64 v[2:3], v[0:1], off
	s_mov_b32 s15, 0
	s_waitcnt vmcnt(0)
	v_cvt_i32_f64_e32 v2, v[2:3]
	s_branch .LBB384_859
.LBB384_853:
                                        ; implicit-def: $vgpr2
	s_branch .LBB384_876
.LBB384_854:
                                        ; implicit-def: $vgpr2
	s_branch .LBB384_865
.LBB384_855:
	s_mov_b32 s15, -1
                                        ; implicit-def: $vgpr2
	s_branch .LBB384_862
.LBB384_856:
	s_cbranch_execnz .LBB384_904
; %bb.857:
	s_mov_b32 s13, exec_lo
	s_and_not1_b32 s16, s16, exec_lo
                                        ; implicit-def: $vgpr2
	s_or_b32 exec_lo, exec_lo, s15
	s_and_saveexec_b32 s14, s16
	s_delay_alu instid0(SALU_CYCLE_1)
	s_xor_b32 s14, exec_lo, s14
	s_cbranch_execnz .LBB384_846
	s_branch .LBB384_847
.LBB384_858:
	s_mov_b32 s15, -1
                                        ; implicit-def: $vgpr2
.LBB384_859:
	s_delay_alu instid0(SALU_CYCLE_1)
	s_and_not1_b32 vcc_lo, exec_lo, s15
	s_cbranch_vccnz .LBB384_861
; %bb.860:
	global_load_b32 v2, v[0:1], off
	s_waitcnt vmcnt(0)
	v_cvt_i32_f32_e32 v2, v2
.LBB384_861:
	s_mov_b32 s15, 0
.LBB384_862:
	s_delay_alu instid0(SALU_CYCLE_1)
	s_and_not1_b32 vcc_lo, exec_lo, s15
	s_cbranch_vccnz .LBB384_864
; %bb.863:
	global_load_b32 v2, v[0:1], off
	s_waitcnt vmcnt(0)
	v_cvt_i16_f16_e32 v2, v2
.LBB384_864:
	s_cbranch_execnz .LBB384_875
.LBB384_865:
	v_cmp_lt_i16_e64 s15, s9, 6
	s_delay_alu instid0(VALU_DEP_1)
	s_and_b32 vcc_lo, exec_lo, s15
	s_cbranch_vccnz .LBB384_868
; %bb.866:
	v_cmp_gt_i16_e64 s15, s9, 6
	s_delay_alu instid0(VALU_DEP_1)
	s_and_b32 vcc_lo, exec_lo, s15
	s_cbranch_vccz .LBB384_869
; %bb.867:
	global_load_b64 v[2:3], v[0:1], off
	s_mov_b32 s15, 0
	s_waitcnt vmcnt(0)
	v_cvt_i32_f64_e32 v2, v[2:3]
	s_branch .LBB384_870
.LBB384_868:
	s_mov_b32 s15, -1
                                        ; implicit-def: $vgpr2
	s_branch .LBB384_873
.LBB384_869:
	s_mov_b32 s15, -1
                                        ; implicit-def: $vgpr2
.LBB384_870:
	s_delay_alu instid0(SALU_CYCLE_1)
	s_and_not1_b32 vcc_lo, exec_lo, s15
	s_cbranch_vccnz .LBB384_872
; %bb.871:
	global_load_b32 v2, v[0:1], off
	s_waitcnt vmcnt(0)
	v_cvt_i32_f32_e32 v2, v2
.LBB384_872:
	s_mov_b32 s15, 0
.LBB384_873:
	s_delay_alu instid0(SALU_CYCLE_1)
	s_and_not1_b32 vcc_lo, exec_lo, s15
	s_cbranch_vccnz .LBB384_875
; %bb.874:
	global_load_u16 v2, v[0:1], off
	s_waitcnt vmcnt(0)
	v_cvt_i16_f16_e32 v2, v2
.LBB384_875:
	s_cbranch_execnz .LBB384_894
.LBB384_876:
	v_cmp_lt_i16_e64 s15, s9, 2
	s_delay_alu instid0(VALU_DEP_1)
	s_and_b32 vcc_lo, exec_lo, s15
	s_cbranch_vccnz .LBB384_880
; %bb.877:
	v_cmp_lt_i16_e64 s15, s9, 3
	s_delay_alu instid0(VALU_DEP_1)
	s_and_b32 vcc_lo, exec_lo, s15
	s_cbranch_vccnz .LBB384_881
; %bb.878:
	v_cmp_gt_i16_e64 s15, s9, 3
	s_delay_alu instid0(VALU_DEP_1)
	s_and_b32 vcc_lo, exec_lo, s15
	s_cbranch_vccz .LBB384_882
; %bb.879:
	global_load_b64 v[2:3], v[0:1], off
	s_mov_b32 s15, 0
	s_branch .LBB384_883
.LBB384_880:
                                        ; implicit-def: $vgpr2
	s_branch .LBB384_889
.LBB384_881:
	s_mov_b32 s15, -1
                                        ; implicit-def: $vgpr2
	s_branch .LBB384_886
.LBB384_882:
	s_mov_b32 s15, -1
                                        ; implicit-def: $vgpr2
.LBB384_883:
	s_delay_alu instid0(SALU_CYCLE_1)
	s_and_not1_b32 vcc_lo, exec_lo, s15
	s_cbranch_vccnz .LBB384_885
; %bb.884:
	global_load_b32 v2, v[0:1], off
.LBB384_885:
	s_mov_b32 s15, 0
.LBB384_886:
	s_delay_alu instid0(SALU_CYCLE_1)
	s_and_not1_b32 vcc_lo, exec_lo, s15
	s_cbranch_vccnz .LBB384_888
; %bb.887:
	global_load_u16 v2, v[0:1], off
.LBB384_888:
	s_cbranch_execnz .LBB384_894
.LBB384_889:
	v_cmp_gt_i16_e64 s15, s9, 0
	s_delay_alu instid0(VALU_DEP_1)
	s_and_b32 vcc_lo, exec_lo, s15
	s_mov_b32 s15, 0
	s_cbranch_vccz .LBB384_891
; %bb.890:
	global_load_i8 v2, v[0:1], off
	s_branch .LBB384_892
.LBB384_891:
	s_mov_b32 s15, -1
                                        ; implicit-def: $vgpr2
.LBB384_892:
	s_delay_alu instid0(SALU_CYCLE_1)
	s_and_not1_b32 vcc_lo, exec_lo, s15
	s_cbranch_vccnz .LBB384_894
; %bb.893:
	global_load_u8 v2, v[0:1], off
.LBB384_894:
	s_or_b32 s0, s0, exec_lo
.LBB384_895:
	s_or_b32 exec_lo, exec_lo, s14
	s_mov_b32 s16, 0
	s_mov_b32 s15, 0
                                        ; implicit-def: $vgpr4
                                        ; implicit-def: $vgpr0_vgpr1
                                        ; implicit-def: $vgpr3
	s_and_saveexec_b32 s14, s0
	s_cbranch_execz .LBB384_975
; %bb.896:
	v_mul_lo_u32 v0, v9, s2
	v_and_b32_e64 v4, 0xff, s1
	s_waitcnt vmcnt(0)
	s_delay_alu instid0(VALU_DEP_3) | instskip(NEXT) | instid1(VALU_DEP_2)
	v_max_i16 v3, v2, s8
	v_cmp_gt_i16_e32 vcc_lo, 11, v4
	s_delay_alu instid0(VALU_DEP_4) | instskip(SKIP_1) | instid1(VALU_DEP_1)
	v_ashrrev_i32_e32 v1, 31, v0
	v_add_co_u32 v0, s0, s4, v0
	v_add_co_ci_u32_e64 v1, s0, s5, v1, s0
	s_cbranch_vccnz .LBB384_903
; %bb.897:
	v_cmp_lt_i16_e32 vcc_lo, 25, v4
	s_mov_b32 s15, -1
	s_mov_b32 s0, s12
	s_cbranch_vccz .LBB384_933
; %bb.898:
	v_cmp_lt_i16_e32 vcc_lo, 28, v4
	s_mov_b32 s0, s12
	s_cbranch_vccz .LBB384_917
; %bb.899:
	v_cmp_lt_i16_e32 vcc_lo, 43, v4
	;; [unrolled: 4-line block ×3, first 2 shown]
	s_mov_b32 s0, s12
	s_cbranch_vccz .LBB384_907
; %bb.901:
	v_cmp_eq_u16_e32 vcc_lo, 46, v4
	s_mov_b32 s0, -1
	s_cbranch_vccz .LBB384_906
; %bb.902:
	v_bfe_i32 v2, v3, 0, 16
	s_mov_b32 s0, 0
	s_mov_b32 s15, 0
	s_delay_alu instid0(VALU_DEP_1) | instskip(NEXT) | instid1(VALU_DEP_1)
	v_cvt_f32_i32_e32 v2, v2
	v_bfe_u32 v5, v2, 16, 1
	s_delay_alu instid0(VALU_DEP_1) | instskip(NEXT) | instid1(VALU_DEP_1)
	v_add3_u32 v2, v2, v5, 0x7fff
	v_lshrrev_b32_e32 v2, 16, v2
	global_store_b32 v[0:1], v2, off
	s_branch .LBB384_907
.LBB384_903:
	s_mov_b32 s15, -1
	s_mov_b32 s0, s12
	s_branch .LBB384_974
.LBB384_904:
	s_trap 2
	s_sendmsg_rtn_b32 s0, sendmsg(MSG_RTN_GET_DOORBELL)
	s_mov_b32 ttmp2, m0
	s_waitcnt lgkmcnt(0)
	s_and_b32 s0, s0, 0x3ff
	s_delay_alu instid0(SALU_CYCLE_1) | instskip(NEXT) | instid1(SALU_CYCLE_1)
	s_bitset1_b32 s0, 10
	s_mov_b32 m0, s0
	s_sendmsg sendmsg(MSG_INTERRUPT)
	s_mov_b32 m0, ttmp2
.LBB384_905:                            ; =>This Inner Loop Header: Depth=1
	s_sethalt 5
	s_branch .LBB384_905
.LBB384_906:
	s_mov_b32 s15, 0
.LBB384_907:
	s_delay_alu instid0(SALU_CYCLE_1)
	s_and_b32 vcc_lo, exec_lo, s15
	s_cbranch_vccz .LBB384_912
; %bb.908:
	v_cmp_eq_u16_e32 vcc_lo, 44, v4
	s_mov_b32 s0, -1
	s_cbranch_vccz .LBB384_912
; %bb.909:
	v_bfe_i32 v2, v3, 0, 16
	v_mov_b32_e32 v5, 0xff
	s_mov_b32 s15, exec_lo
	s_delay_alu instid0(VALU_DEP_2) | instskip(NEXT) | instid1(VALU_DEP_1)
	v_cvt_f32_i32_e32 v2, v2
	v_bfe_u32 v6, v2, 23, 8
	s_delay_alu instid0(VALU_DEP_1)
	v_cmpx_ne_u32_e32 0xff, v6
; %bb.910:
	v_and_b32_e32 v5, 0x400000, v2
	v_and_or_b32 v6, 0x3fffff, v2, v6
	v_lshrrev_b32_e32 v2, 23, v2
	s_delay_alu instid0(VALU_DEP_3) | instskip(NEXT) | instid1(VALU_DEP_3)
	v_cmp_ne_u32_e32 vcc_lo, 0, v5
	v_cmp_ne_u32_e64 s0, 0, v6
	s_delay_alu instid0(VALU_DEP_1) | instskip(NEXT) | instid1(SALU_CYCLE_1)
	s_and_b32 s0, vcc_lo, s0
	v_cndmask_b32_e64 v5, 0, 1, s0
	s_delay_alu instid0(VALU_DEP_1)
	v_add_nc_u32_e32 v5, v2, v5
; %bb.911:
	s_or_b32 exec_lo, exec_lo, s15
	s_mov_b32 s0, 0
	global_store_b8 v[0:1], v5, off
.LBB384_912:
	s_mov_b32 s15, 0
.LBB384_913:
	s_delay_alu instid0(SALU_CYCLE_1)
	s_and_b32 vcc_lo, exec_lo, s15
	s_cbranch_vccz .LBB384_916
; %bb.914:
	v_cmp_eq_u16_e32 vcc_lo, 29, v4
	s_mov_b32 s0, -1
	s_cbranch_vccz .LBB384_916
; %bb.915:
	v_bfe_i32 v5, v3, 0, 16
	s_mov_b32 s0, 0
	s_mov_b32 s15, 0
	s_delay_alu instid0(VALU_DEP_1)
	v_ashrrev_i32_e32 v6, 31, v5
	global_store_b64 v[0:1], v[5:6], off
	s_branch .LBB384_917
.LBB384_916:
	s_mov_b32 s15, 0
.LBB384_917:
	s_delay_alu instid0(SALU_CYCLE_1)
	s_and_b32 vcc_lo, exec_lo, s15
	s_cbranch_vccz .LBB384_932
; %bb.918:
	v_cmp_gt_i16_e32 vcc_lo, 27, v4
	s_mov_b32 s15, -1
	s_cbranch_vccnz .LBB384_924
; %bb.919:
	v_cmp_lt_i16_e32 vcc_lo, 27, v4
	s_cbranch_vccz .LBB384_921
; %bb.920:
	v_bfe_i32 v2, v3, 0, 16
	s_mov_b32 s15, 0
	global_store_b32 v[0:1], v2, off
.LBB384_921:
	s_and_not1_b32 vcc_lo, exec_lo, s15
	s_cbranch_vccnz .LBB384_923
; %bb.922:
	global_store_b16 v[0:1], v3, off
.LBB384_923:
	s_mov_b32 s15, 0
.LBB384_924:
	s_delay_alu instid0(SALU_CYCLE_1)
	s_and_not1_b32 vcc_lo, exec_lo, s15
	s_cbranch_vccnz .LBB384_932
; %bb.925:
	v_bfe_i32 v2, v3, 0, 16
	v_mov_b32_e32 v6, 0x80
	s_mov_b32 s15, exec_lo
	s_delay_alu instid0(VALU_DEP_2) | instskip(NEXT) | instid1(VALU_DEP_1)
	v_cvt_f32_i32_e32 v2, v2
	v_and_b32_e32 v5, 0x7fffffff, v2
	s_delay_alu instid0(VALU_DEP_1)
	v_cmpx_gt_u32_e32 0x43800000, v5
	s_cbranch_execz .LBB384_931
; %bb.926:
	v_cmp_lt_u32_e32 vcc_lo, 0x3bffffff, v5
                                        ; implicit-def: $vgpr5
	s_and_saveexec_b32 s17, vcc_lo
	s_delay_alu instid0(SALU_CYCLE_1)
	s_xor_b32 s17, exec_lo, s17
	s_cbranch_execz .LBB384_1161
; %bb.927:
	v_bfe_u32 v5, v2, 20, 1
	s_mov_b32 s16, exec_lo
	s_delay_alu instid0(VALU_DEP_1) | instskip(NEXT) | instid1(VALU_DEP_1)
	v_add3_u32 v5, v2, v5, 0x487ffff
	v_lshrrev_b32_e32 v5, 20, v5
	s_or_saveexec_b32 s17, s17
                                        ; implicit-def: $sgpr18
	s_delay_alu instid0(SALU_CYCLE_1)
	s_xor_b32 exec_lo, exec_lo, s17
	s_cbranch_execnz .LBB384_1162
.LBB384_928:
	s_or_b32 exec_lo, exec_lo, s17
	v_mov_b32_e32 v6, s18
	s_and_saveexec_b32 s17, s16
.LBB384_929:
	v_lshrrev_b32_e32 v2, 24, v2
	s_delay_alu instid0(VALU_DEP_1)
	v_and_or_b32 v6, 0x80, v2, v5
.LBB384_930:
	s_or_b32 exec_lo, exec_lo, s17
.LBB384_931:
	s_delay_alu instid0(SALU_CYCLE_1)
	s_or_b32 exec_lo, exec_lo, s15
	global_store_b8 v[0:1], v6, off
.LBB384_932:
	s_mov_b32 s15, 0
.LBB384_933:
	s_delay_alu instid0(SALU_CYCLE_1)
	s_and_b32 vcc_lo, exec_lo, s15
	s_mov_b32 s15, 0
	s_cbranch_vccz .LBB384_973
; %bb.934:
	v_cmp_lt_i16_e32 vcc_lo, 22, v4
	s_mov_b32 s16, -1
	s_cbranch_vccz .LBB384_966
; %bb.935:
	v_cmp_gt_i16_e32 vcc_lo, 24, v4
	s_cbranch_vccnz .LBB384_955
; %bb.936:
	v_cmp_lt_i16_e32 vcc_lo, 24, v4
	s_cbranch_vccz .LBB384_944
; %bb.937:
	v_bfe_i32 v2, v3, 0, 16
	v_mov_b32_e32 v6, 0x80
	s_mov_b32 s16, exec_lo
	s_delay_alu instid0(VALU_DEP_2) | instskip(NEXT) | instid1(VALU_DEP_1)
	v_cvt_f32_i32_e32 v2, v2
	v_and_b32_e32 v5, 0x7fffffff, v2
	s_delay_alu instid0(VALU_DEP_1)
	v_cmpx_gt_u32_e32 0x47800000, v5
	s_cbranch_execz .LBB384_943
; %bb.938:
	v_cmp_lt_u32_e32 vcc_lo, 0x37ffffff, v5
	s_mov_b32 s17, 0
                                        ; implicit-def: $vgpr5
	s_and_saveexec_b32 s18, vcc_lo
	s_delay_alu instid0(SALU_CYCLE_1)
	s_xor_b32 s18, exec_lo, s18
	s_cbranch_execz .LBB384_1205
; %bb.939:
	v_bfe_u32 v5, v2, 21, 1
	s_mov_b32 s17, exec_lo
	s_delay_alu instid0(VALU_DEP_1) | instskip(NEXT) | instid1(VALU_DEP_1)
	v_add3_u32 v5, v2, v5, 0x88fffff
	v_lshrrev_b32_e32 v5, 21, v5
	s_or_saveexec_b32 s18, s18
                                        ; implicit-def: $sgpr19
	s_delay_alu instid0(SALU_CYCLE_1)
	s_xor_b32 exec_lo, exec_lo, s18
	s_cbranch_execnz .LBB384_1206
.LBB384_940:
	s_or_b32 exec_lo, exec_lo, s18
	v_mov_b32_e32 v6, s19
	s_and_saveexec_b32 s18, s17
.LBB384_941:
	v_lshrrev_b32_e32 v2, 24, v2
	s_delay_alu instid0(VALU_DEP_1)
	v_and_or_b32 v6, 0x80, v2, v5
.LBB384_942:
	s_or_b32 exec_lo, exec_lo, s18
.LBB384_943:
	s_delay_alu instid0(SALU_CYCLE_1)
	s_or_b32 exec_lo, exec_lo, s16
	s_mov_b32 s16, 0
	global_store_b8 v[0:1], v6, off
.LBB384_944:
	s_and_b32 vcc_lo, exec_lo, s16
	s_cbranch_vccz .LBB384_954
; %bb.945:
	v_bfe_i32 v2, v3, 0, 16
	s_mov_b32 s16, exec_lo
                                        ; implicit-def: $vgpr5
	s_delay_alu instid0(VALU_DEP_1) | instskip(NEXT) | instid1(VALU_DEP_1)
	v_cvt_f32_i32_e32 v2, v2
	v_and_b32_e32 v6, 0x7fffffff, v2
	s_delay_alu instid0(VALU_DEP_1)
	v_cmpx_gt_u32_e32 0x43f00000, v6
	s_xor_b32 s16, exec_lo, s16
	s_cbranch_execz .LBB384_951
; %bb.946:
	s_mov_b32 s17, exec_lo
                                        ; implicit-def: $vgpr5
	v_cmpx_lt_u32_e32 0x3c7fffff, v6
	s_xor_b32 s17, exec_lo, s17
; %bb.947:
	v_bfe_u32 v5, v2, 20, 1
	s_delay_alu instid0(VALU_DEP_1) | instskip(NEXT) | instid1(VALU_DEP_1)
	v_add3_u32 v5, v2, v5, 0x407ffff
	v_and_b32_e32 v6, 0xff00000, v5
	v_lshrrev_b32_e32 v5, 20, v5
	s_delay_alu instid0(VALU_DEP_2) | instskip(NEXT) | instid1(VALU_DEP_2)
	v_cmp_ne_u32_e32 vcc_lo, 0x7f00000, v6
	v_cndmask_b32_e32 v5, 0x7e, v5, vcc_lo
; %bb.948:
	s_and_not1_saveexec_b32 s17, s17
; %bb.949:
	v_add_f32_e64 v5, 0x46800000, |v2|
; %bb.950:
	s_or_b32 exec_lo, exec_lo, s17
                                        ; implicit-def: $vgpr6
.LBB384_951:
	s_and_not1_saveexec_b32 s16, s16
; %bb.952:
	v_mov_b32_e32 v5, 0x7f
	v_cmp_lt_u32_e32 vcc_lo, 0x7f800000, v6
	s_delay_alu instid0(VALU_DEP_2)
	v_cndmask_b32_e32 v5, 0x7e, v5, vcc_lo
; %bb.953:
	s_or_b32 exec_lo, exec_lo, s16
	v_lshrrev_b32_e32 v2, 24, v2
	s_delay_alu instid0(VALU_DEP_1)
	v_and_or_b32 v2, 0x80, v2, v5
	global_store_b8 v[0:1], v2, off
.LBB384_954:
	s_mov_b32 s16, 0
.LBB384_955:
	s_delay_alu instid0(SALU_CYCLE_1)
	s_and_not1_b32 vcc_lo, exec_lo, s16
	s_cbranch_vccnz .LBB384_965
; %bb.956:
	v_bfe_i32 v2, v3, 0, 16
	s_mov_b32 s16, exec_lo
                                        ; implicit-def: $vgpr5
	s_delay_alu instid0(VALU_DEP_1) | instskip(NEXT) | instid1(VALU_DEP_1)
	v_cvt_f32_i32_e32 v2, v2
	v_and_b32_e32 v6, 0x7fffffff, v2
	s_delay_alu instid0(VALU_DEP_1)
	v_cmpx_gt_u32_e32 0x47800000, v6
	s_xor_b32 s16, exec_lo, s16
	s_cbranch_execz .LBB384_962
; %bb.957:
	s_mov_b32 s17, exec_lo
                                        ; implicit-def: $vgpr5
	v_cmpx_lt_u32_e32 0x387fffff, v6
	s_xor_b32 s17, exec_lo, s17
; %bb.958:
	v_bfe_u32 v5, v2, 21, 1
	s_delay_alu instid0(VALU_DEP_1) | instskip(NEXT) | instid1(VALU_DEP_1)
	v_add3_u32 v5, v2, v5, 0x80fffff
	v_lshrrev_b32_e32 v5, 21, v5
; %bb.959:
	s_and_not1_saveexec_b32 s17, s17
; %bb.960:
	v_add_f32_e64 v5, 0x43000000, |v2|
; %bb.961:
	s_or_b32 exec_lo, exec_lo, s17
                                        ; implicit-def: $vgpr6
.LBB384_962:
	s_and_not1_saveexec_b32 s16, s16
; %bb.963:
	v_mov_b32_e32 v5, 0x7f
	v_cmp_lt_u32_e32 vcc_lo, 0x7f800000, v6
	s_delay_alu instid0(VALU_DEP_2)
	v_cndmask_b32_e32 v5, 0x7c, v5, vcc_lo
; %bb.964:
	s_or_b32 exec_lo, exec_lo, s16
	v_lshrrev_b32_e32 v2, 24, v2
	s_delay_alu instid0(VALU_DEP_1)
	v_and_or_b32 v2, 0x80, v2, v5
	global_store_b8 v[0:1], v2, off
.LBB384_965:
	s_mov_b32 s16, 0
.LBB384_966:
	s_delay_alu instid0(SALU_CYCLE_1)
	s_and_not1_b32 vcc_lo, exec_lo, s16
	s_mov_b32 s16, 0
	s_cbranch_vccnz .LBB384_974
; %bb.967:
	v_cmp_lt_i16_e32 vcc_lo, 14, v4
	s_mov_b32 s16, -1
	s_cbranch_vccz .LBB384_971
; %bb.968:
	v_cmp_eq_u16_e32 vcc_lo, 15, v4
	s_mov_b32 s0, -1
	s_cbranch_vccz .LBB384_970
; %bb.969:
	v_bfe_i32 v2, v3, 0, 16
	s_mov_b32 s0, 0
	s_delay_alu instid0(VALU_DEP_1) | instskip(NEXT) | instid1(VALU_DEP_1)
	v_cvt_f32_i32_e32 v2, v2
	v_bfe_u32 v5, v2, 16, 1
	s_delay_alu instid0(VALU_DEP_1)
	v_add3_u32 v2, v2, v5, 0x7fff
	global_store_d16_hi_b16 v[0:1], v2, off
.LBB384_970:
	s_mov_b32 s16, 0
.LBB384_971:
	s_delay_alu instid0(SALU_CYCLE_1)
	s_and_b32 vcc_lo, exec_lo, s16
	s_mov_b32 s16, 0
	s_cbranch_vccz .LBB384_974
; %bb.972:
	v_cmp_ne_u16_e32 vcc_lo, 11, v4
	s_and_not1_b32 s0, s0, exec_lo
	s_mov_b32 s16, -1
	s_and_b32 s17, vcc_lo, exec_lo
	s_delay_alu instid0(SALU_CYCLE_1)
	s_or_b32 s0, s0, s17
	s_branch .LBB384_974
.LBB384_973:
	s_mov_b32 s16, 0
.LBB384_974:
	s_and_not1_b32 s12, s12, exec_lo
	s_and_b32 s0, s0, exec_lo
	s_and_b32 s15, s15, exec_lo
	;; [unrolled: 1-line block ×3, first 2 shown]
	s_or_b32 s12, s12, s0
.LBB384_975:
	s_or_b32 exec_lo, exec_lo, s14
	s_and_saveexec_b32 s0, s12
	s_cbranch_execnz .LBB384_1037
; %bb.976:
	s_or_b32 exec_lo, exec_lo, s0
	s_and_saveexec_b32 s0, s16
	s_delay_alu instid0(SALU_CYCLE_1)
	s_xor_b32 s0, exec_lo, s0
	s_cbranch_execz .LBB384_978
.LBB384_977:
	s_waitcnt vmcnt(0)
	v_cmp_ne_u16_e32 vcc_lo, 0, v3
	v_cndmask_b32_e64 v2, 0, 1, vcc_lo
	global_store_b8 v[0:1], v2, off
.LBB384_978:
	s_or_b32 exec_lo, exec_lo, s0
	s_and_saveexec_b32 s0, s15
	s_delay_alu instid0(SALU_CYCLE_1)
	s_xor_b32 s0, exec_lo, s0
	s_cbranch_execz .LBB384_1016
; %bb.979:
	v_cmp_gt_i16_e32 vcc_lo, 5, v4
	s_mov_b32 s12, -1
	s_cbranch_vccnz .LBB384_1000
; %bb.980:
	v_cmp_gt_i16_e32 vcc_lo, 8, v4
	s_cbranch_vccnz .LBB384_990
; %bb.981:
	v_cmp_gt_i16_e32 vcc_lo, 9, v4
	s_cbranch_vccnz .LBB384_987
; %bb.982:
	v_cmp_lt_i16_e32 vcc_lo, 9, v4
	s_cbranch_vccz .LBB384_984
; %bb.983:
	s_waitcnt vmcnt(0)
	v_bfe_i32 v2, v3, 0, 16
	v_mov_b32_e32 v7, 0
	s_mov_b32 s12, 0
	s_delay_alu instid0(VALU_DEP_2) | instskip(NEXT) | instid1(VALU_DEP_2)
	v_cvt_f64_i32_e32 v[5:6], v2
	v_mov_b32_e32 v8, v7
	global_store_b128 v[0:1], v[5:8], off
.LBB384_984:
	s_and_not1_b32 vcc_lo, exec_lo, s12
	s_cbranch_vccnz .LBB384_986
; %bb.985:
	s_waitcnt vmcnt(0)
	v_bfe_i32 v2, v3, 0, 16
	v_mov_b32_e32 v6, 0
	s_delay_alu instid0(VALU_DEP_2)
	v_cvt_f32_i32_e32 v5, v2
	global_store_b64 v[0:1], v[5:6], off
.LBB384_986:
	s_mov_b32 s12, 0
.LBB384_987:
	s_delay_alu instid0(SALU_CYCLE_1)
	s_and_not1_b32 vcc_lo, exec_lo, s12
	s_cbranch_vccnz .LBB384_989
; %bb.988:
	s_waitcnt vmcnt(0)
	v_cvt_f16_i16_e32 v2, v3
	s_delay_alu instid0(VALU_DEP_1)
	v_and_b32_e32 v2, 0xffff, v2
	global_store_b32 v[0:1], v2, off
.LBB384_989:
	s_mov_b32 s12, 0
.LBB384_990:
	s_delay_alu instid0(SALU_CYCLE_1)
	s_and_not1_b32 vcc_lo, exec_lo, s12
	s_cbranch_vccnz .LBB384_999
; %bb.991:
	v_cmp_gt_i16_e32 vcc_lo, 6, v4
	s_mov_b32 s12, -1
	s_cbranch_vccnz .LBB384_997
; %bb.992:
	v_cmp_lt_i16_e32 vcc_lo, 6, v4
	s_cbranch_vccz .LBB384_994
; %bb.993:
	s_waitcnt vmcnt(0)
	v_bfe_i32 v2, v3, 0, 16
	s_mov_b32 s12, 0
	s_delay_alu instid0(VALU_DEP_1)
	v_cvt_f64_i32_e32 v[5:6], v2
	global_store_b64 v[0:1], v[5:6], off
.LBB384_994:
	s_and_not1_b32 vcc_lo, exec_lo, s12
	s_cbranch_vccnz .LBB384_996
; %bb.995:
	s_waitcnt vmcnt(0)
	v_bfe_i32 v2, v3, 0, 16
	s_delay_alu instid0(VALU_DEP_1)
	v_cvt_f32_i32_e32 v2, v2
	global_store_b32 v[0:1], v2, off
.LBB384_996:
	s_mov_b32 s12, 0
.LBB384_997:
	s_delay_alu instid0(SALU_CYCLE_1)
	s_and_not1_b32 vcc_lo, exec_lo, s12
	s_cbranch_vccnz .LBB384_999
; %bb.998:
	s_waitcnt vmcnt(0)
	v_cvt_f16_i16_e32 v2, v3
	global_store_b16 v[0:1], v2, off
.LBB384_999:
	s_mov_b32 s12, 0
.LBB384_1000:
	s_delay_alu instid0(SALU_CYCLE_1)
	s_and_not1_b32 vcc_lo, exec_lo, s12
	s_cbranch_vccnz .LBB384_1016
; %bb.1001:
	v_cmp_gt_i16_e32 vcc_lo, 2, v4
	s_mov_b32 s12, -1
	s_cbranch_vccnz .LBB384_1011
; %bb.1002:
	v_cmp_gt_i16_e32 vcc_lo, 3, v4
	s_cbranch_vccnz .LBB384_1008
; %bb.1003:
	v_cmp_lt_i16_e32 vcc_lo, 3, v4
	s_cbranch_vccz .LBB384_1005
; %bb.1004:
	s_waitcnt vmcnt(0)
	v_bfe_i32 v5, v3, 0, 16
	s_mov_b32 s12, 0
	s_delay_alu instid0(VALU_DEP_1)
	v_ashrrev_i32_e32 v6, 31, v5
	global_store_b64 v[0:1], v[5:6], off
.LBB384_1005:
	s_and_not1_b32 vcc_lo, exec_lo, s12
	s_cbranch_vccnz .LBB384_1007
; %bb.1006:
	s_waitcnt vmcnt(0)
	v_bfe_i32 v2, v3, 0, 16
	global_store_b32 v[0:1], v2, off
.LBB384_1007:
	s_mov_b32 s12, 0
.LBB384_1008:
	s_delay_alu instid0(SALU_CYCLE_1)
	s_and_not1_b32 vcc_lo, exec_lo, s12
	s_cbranch_vccnz .LBB384_1010
; %bb.1009:
	s_waitcnt vmcnt(0)
	global_store_b16 v[0:1], v3, off
.LBB384_1010:
	s_mov_b32 s12, 0
.LBB384_1011:
	s_delay_alu instid0(SALU_CYCLE_1)
	s_and_not1_b32 vcc_lo, exec_lo, s12
	s_cbranch_vccnz .LBB384_1016
; %bb.1012:
	v_cmp_lt_i16_e32 vcc_lo, 0, v4
	s_mov_b32 s12, -1
	s_cbranch_vccz .LBB384_1014
; %bb.1013:
	s_mov_b32 s12, 0
	s_waitcnt vmcnt(0)
	global_store_b8 v[0:1], v3, off
.LBB384_1014:
	s_and_not1_b32 vcc_lo, exec_lo, s12
	s_cbranch_vccnz .LBB384_1016
; %bb.1015:
	s_waitcnt vmcnt(0)
	global_store_b8 v[0:1], v3, off
.LBB384_1016:
	s_or_b32 exec_lo, exec_lo, s0
	s_delay_alu instid0(SALU_CYCLE_1)
	s_and_b32 s12, s13, exec_lo
                                        ; implicit-def: $vgpr9
.LBB384_1017:
	s_or_saveexec_b32 s11, s11
	s_mov_b32 s0, 0
                                        ; implicit-def: $vgpr7
                                        ; implicit-def: $vgpr0_vgpr1
                                        ; implicit-def: $vgpr2
	s_xor_b32 exec_lo, exec_lo, s11
	s_cbranch_execz .LBB384_1965
; %bb.1018:
	s_waitcnt vmcnt(0)
	v_mul_lo_u32 v2, s3, v9
	v_cmp_lt_i16_e64 s0, s9, 11
	s_delay_alu instid0(VALU_DEP_2) | instskip(SKIP_1) | instid1(VALU_DEP_2)
	v_ashrrev_i32_e32 v1, 31, v2
	v_add_co_u32 v0, vcc_lo, s6, v2
	v_add_co_ci_u32_e32 v1, vcc_lo, s7, v1, vcc_lo
	s_delay_alu instid0(VALU_DEP_4)
	s_and_b32 vcc_lo, exec_lo, s0
	s_cbranch_vccnz .LBB384_1025
; %bb.1019:
	v_cmp_gt_i16_e64 s0, s9, 25
	s_mov_b32 s13, 0
	s_delay_alu instid0(VALU_DEP_1)
	s_and_b32 vcc_lo, exec_lo, s0
	s_cbranch_vccz .LBB384_1031
; %bb.1020:
	v_cmp_gt_i16_e64 s0, s9, 28
	s_delay_alu instid0(VALU_DEP_1)
	s_and_b32 vcc_lo, exec_lo, s0
	s_cbranch_vccz .LBB384_1033
; %bb.1021:
	v_cmp_gt_i16_e64 s0, s9, 43
	;; [unrolled: 5-line block ×3, first 2 shown]
	s_delay_alu instid0(VALU_DEP_1)
	s_and_b32 vcc_lo, exec_lo, s0
	s_cbranch_vccz .LBB384_1039
; %bb.1023:
	v_cmp_eq_u16_e64 s0, s9, 46
	s_delay_alu instid0(VALU_DEP_1)
	s_and_b32 vcc_lo, exec_lo, s0
	s_cbranch_vccz .LBB384_1079
; %bb.1024:
	global_load_b32 v3, v[0:1], off
	s_mov_b32 s0, 0
	s_mov_b32 s14, -1
	s_waitcnt vmcnt(0)
	v_lshlrev_b32_e32 v3, 16, v3
	s_delay_alu instid0(VALU_DEP_1)
	v_cvt_i32_f32_e32 v6, v3
	s_branch .LBB384_1081
.LBB384_1025:
	s_mov_b32 s14, 0
	s_mov_b32 s10, s12
                                        ; implicit-def: $vgpr6
	s_cbranch_execz .LBB384_1139
; %bb.1026:
	v_cmp_lt_i16_e64 s0, s9, 5
	s_delay_alu instid0(VALU_DEP_1)
	s_and_b32 vcc_lo, exec_lo, s0
	s_cbranch_vccnz .LBB384_1032
; %bb.1027:
	v_cmp_lt_i16_e64 s0, s9, 8
	s_delay_alu instid0(VALU_DEP_1)
	s_and_b32 vcc_lo, exec_lo, s0
	s_cbranch_vccnz .LBB384_1034
	;; [unrolled: 5-line block ×3, first 2 shown]
; %bb.1029:
	v_cmp_gt_i16_e64 s0, s9, 9
	s_delay_alu instid0(VALU_DEP_1)
	s_and_b32 vcc_lo, exec_lo, s0
	s_cbranch_vccz .LBB384_1040
; %bb.1030:
	global_load_b64 v[3:4], v[0:1], off
	s_mov_b32 s0, 0
	s_waitcnt vmcnt(0)
	v_cvt_i32_f64_e32 v6, v[3:4]
	s_branch .LBB384_1041
.LBB384_1031:
	s_mov_b32 s14, 0
	s_mov_b32 s0, 0
                                        ; implicit-def: $vgpr6
	s_cbranch_execnz .LBB384_1106
	s_branch .LBB384_1135
.LBB384_1032:
                                        ; implicit-def: $vgpr6
	s_branch .LBB384_1058
.LBB384_1033:
	s_mov_b32 s14, 0
	s_mov_b32 s0, 0
                                        ; implicit-def: $vgpr6
	s_cbranch_execz .LBB384_1105
	s_branch .LBB384_1090
.LBB384_1034:
                                        ; implicit-def: $vgpr6
	s_branch .LBB384_1047
.LBB384_1035:
	s_mov_b32 s14, 0
	s_mov_b32 s0, 0
                                        ; implicit-def: $vgpr6
	s_cbranch_execnz .LBB384_1086
	s_branch .LBB384_1089
.LBB384_1036:
	s_mov_b32 s0, -1
                                        ; implicit-def: $vgpr6
	s_branch .LBB384_1044
.LBB384_1037:
	s_cbranch_execnz .LBB384_1077
; %bb.1038:
	s_or_b32 s13, s13, exec_lo
	s_and_not1_b32 s16, s16, exec_lo
	s_or_b32 exec_lo, exec_lo, s0
	s_and_saveexec_b32 s0, s16
	s_delay_alu instid0(SALU_CYCLE_1)
	s_xor_b32 s0, exec_lo, s0
	s_cbranch_execnz .LBB384_977
	s_branch .LBB384_978
.LBB384_1039:
	s_mov_b32 s10, -1
	s_mov_b32 s14, 0
	s_mov_b32 s0, 0
	s_branch .LBB384_1080
.LBB384_1040:
	s_mov_b32 s0, -1
                                        ; implicit-def: $vgpr6
.LBB384_1041:
	s_delay_alu instid0(SALU_CYCLE_1)
	s_and_not1_b32 vcc_lo, exec_lo, s0
	s_cbranch_vccnz .LBB384_1043
; %bb.1042:
	global_load_b32 v3, v[0:1], off
	s_waitcnt vmcnt(0)
	v_cvt_i32_f32_e32 v6, v3
.LBB384_1043:
	s_mov_b32 s0, 0
.LBB384_1044:
	s_delay_alu instid0(SALU_CYCLE_1)
	s_and_not1_b32 vcc_lo, exec_lo, s0
	s_cbranch_vccnz .LBB384_1046
; %bb.1045:
	global_load_b32 v3, v[0:1], off
	s_waitcnt vmcnt(0)
	v_cvt_i16_f16_e32 v6, v3
.LBB384_1046:
	s_cbranch_execnz .LBB384_1057
.LBB384_1047:
	v_cmp_lt_i16_e64 s0, s9, 6
	s_delay_alu instid0(VALU_DEP_1)
	s_and_b32 vcc_lo, exec_lo, s0
	s_cbranch_vccnz .LBB384_1050
; %bb.1048:
	v_cmp_gt_i16_e64 s0, s9, 6
	s_delay_alu instid0(VALU_DEP_1)
	s_and_b32 vcc_lo, exec_lo, s0
	s_cbranch_vccz .LBB384_1051
; %bb.1049:
	global_load_b64 v[3:4], v[0:1], off
	s_mov_b32 s0, 0
	s_waitcnt vmcnt(0)
	v_cvt_i32_f64_e32 v6, v[3:4]
	s_branch .LBB384_1052
.LBB384_1050:
	s_mov_b32 s0, -1
                                        ; implicit-def: $vgpr6
	s_branch .LBB384_1055
.LBB384_1051:
	s_mov_b32 s0, -1
                                        ; implicit-def: $vgpr6
.LBB384_1052:
	s_delay_alu instid0(SALU_CYCLE_1)
	s_and_not1_b32 vcc_lo, exec_lo, s0
	s_cbranch_vccnz .LBB384_1054
; %bb.1053:
	global_load_b32 v3, v[0:1], off
	s_waitcnt vmcnt(0)
	v_cvt_i32_f32_e32 v6, v3
.LBB384_1054:
	s_mov_b32 s0, 0
.LBB384_1055:
	s_delay_alu instid0(SALU_CYCLE_1)
	s_and_not1_b32 vcc_lo, exec_lo, s0
	s_cbranch_vccnz .LBB384_1057
; %bb.1056:
	global_load_u16 v3, v[0:1], off
	s_waitcnt vmcnt(0)
	v_cvt_i16_f16_e32 v6, v3
.LBB384_1057:
	s_cbranch_execnz .LBB384_1076
.LBB384_1058:
	v_cmp_lt_i16_e64 s0, s9, 2
	s_delay_alu instid0(VALU_DEP_1)
	s_and_b32 vcc_lo, exec_lo, s0
	s_cbranch_vccnz .LBB384_1062
; %bb.1059:
	v_cmp_lt_i16_e64 s0, s9, 3
	s_delay_alu instid0(VALU_DEP_1)
	s_and_b32 vcc_lo, exec_lo, s0
	s_cbranch_vccnz .LBB384_1063
; %bb.1060:
	v_cmp_gt_i16_e64 s0, s9, 3
	s_delay_alu instid0(VALU_DEP_1)
	s_and_b32 vcc_lo, exec_lo, s0
	s_cbranch_vccz .LBB384_1064
; %bb.1061:
	global_load_b64 v[6:7], v[0:1], off
	s_mov_b32 s0, 0
	s_branch .LBB384_1065
.LBB384_1062:
                                        ; implicit-def: $vgpr6
	s_branch .LBB384_1071
.LBB384_1063:
	s_mov_b32 s0, -1
                                        ; implicit-def: $vgpr6
	s_branch .LBB384_1068
.LBB384_1064:
	s_mov_b32 s0, -1
                                        ; implicit-def: $vgpr6
.LBB384_1065:
	s_delay_alu instid0(SALU_CYCLE_1)
	s_and_not1_b32 vcc_lo, exec_lo, s0
	s_cbranch_vccnz .LBB384_1067
; %bb.1066:
	global_load_b32 v6, v[0:1], off
.LBB384_1067:
	s_mov_b32 s0, 0
.LBB384_1068:
	s_delay_alu instid0(SALU_CYCLE_1)
	s_and_not1_b32 vcc_lo, exec_lo, s0
	s_cbranch_vccnz .LBB384_1070
; %bb.1069:
	global_load_u16 v6, v[0:1], off
.LBB384_1070:
	s_cbranch_execnz .LBB384_1076
.LBB384_1071:
	v_cmp_gt_i16_e64 s0, s9, 0
	s_delay_alu instid0(VALU_DEP_1)
	s_and_b32 vcc_lo, exec_lo, s0
	s_mov_b32 s0, 0
	s_cbranch_vccz .LBB384_1073
; %bb.1072:
	global_load_i8 v6, v[0:1], off
	s_branch .LBB384_1074
.LBB384_1073:
	s_mov_b32 s0, -1
                                        ; implicit-def: $vgpr6
.LBB384_1074:
	s_delay_alu instid0(SALU_CYCLE_1)
	s_and_not1_b32 vcc_lo, exec_lo, s0
	s_cbranch_vccnz .LBB384_1076
; %bb.1075:
	global_load_u8 v6, v[0:1], off
.LBB384_1076:
	s_branch .LBB384_1140
.LBB384_1077:
	s_trap 2
	s_sendmsg_rtn_b32 s0, sendmsg(MSG_RTN_GET_DOORBELL)
	s_mov_b32 ttmp2, m0
	s_waitcnt lgkmcnt(0)
	s_and_b32 s0, s0, 0x3ff
	s_delay_alu instid0(SALU_CYCLE_1) | instskip(NEXT) | instid1(SALU_CYCLE_1)
	s_bitset1_b32 s0, 10
	s_mov_b32 m0, s0
	s_sendmsg sendmsg(MSG_INTERRUPT)
	s_mov_b32 m0, ttmp2
.LBB384_1078:                           ; =>This Inner Loop Header: Depth=1
	s_sethalt 5
	s_branch .LBB384_1078
.LBB384_1079:
	s_mov_b32 s0, -1
	s_mov_b32 s14, 0
.LBB384_1080:
                                        ; implicit-def: $vgpr6
.LBB384_1081:
	s_and_b32 vcc_lo, exec_lo, s10
	s_cbranch_vccz .LBB384_1084
; %bb.1082:
	v_cmp_eq_u16_e64 s0, s9, 44
	s_delay_alu instid0(VALU_DEP_1)
	s_and_b32 vcc_lo, exec_lo, s0
	s_cbranch_vccz .LBB384_1085
; %bb.1083:
	global_load_u8 v3, v[0:1], off
	s_mov_b32 s0, 0
	s_mov_b32 s14, -1
	s_waitcnt vmcnt(0)
	v_lshlrev_b32_e32 v4, 23, v3
	v_cmp_ne_u32_e32 vcc_lo, 0, v3
	s_delay_alu instid0(VALU_DEP_2) | instskip(NEXT) | instid1(VALU_DEP_1)
	v_cvt_i32_f32_e32 v4, v4
	v_cndmask_b32_e32 v6, 0, v4, vcc_lo
.LBB384_1084:
	s_branch .LBB384_1089
.LBB384_1085:
	s_mov_b32 s0, -1
                                        ; implicit-def: $vgpr6
	s_branch .LBB384_1089
.LBB384_1086:
	v_cmp_eq_u16_e64 s0, s9, 29
	s_delay_alu instid0(VALU_DEP_1)
	s_and_b32 vcc_lo, exec_lo, s0
	s_cbranch_vccz .LBB384_1088
; %bb.1087:
	global_load_b64 v[6:7], v[0:1], off
	s_mov_b32 s0, 0
	s_mov_b32 s14, -1
	s_branch .LBB384_1089
.LBB384_1088:
	s_mov_b32 s0, -1
                                        ; implicit-def: $vgpr6
.LBB384_1089:
	s_branch .LBB384_1105
.LBB384_1090:
	v_cmp_lt_i16_e64 s10, s9, 27
	s_delay_alu instid0(VALU_DEP_1)
	s_and_b32 vcc_lo, exec_lo, s10
	s_cbranch_vccnz .LBB384_1093
; %bb.1091:
	v_cmp_gt_i16_e64 s10, s9, 27
	s_delay_alu instid0(VALU_DEP_1)
	s_and_b32 vcc_lo, exec_lo, s10
	s_cbranch_vccz .LBB384_1094
; %bb.1092:
	global_load_b32 v6, v[0:1], off
	s_mov_b32 s10, 0
	s_branch .LBB384_1095
.LBB384_1093:
	s_mov_b32 s10, -1
                                        ; implicit-def: $vgpr6
	s_branch .LBB384_1098
.LBB384_1094:
	s_mov_b32 s10, -1
                                        ; implicit-def: $vgpr6
.LBB384_1095:
	s_delay_alu instid0(SALU_CYCLE_1)
	s_and_not1_b32 vcc_lo, exec_lo, s10
	s_cbranch_vccnz .LBB384_1097
; %bb.1096:
	global_load_u16 v6, v[0:1], off
.LBB384_1097:
	s_mov_b32 s10, 0
.LBB384_1098:
	s_delay_alu instid0(SALU_CYCLE_1)
	s_and_not1_b32 vcc_lo, exec_lo, s10
	s_cbranch_vccnz .LBB384_1104
; %bb.1099:
	global_load_u8 v3, v[0:1], off
	s_mov_b32 s10, 0
	s_mov_b32 s14, exec_lo
                                        ; implicit-def: $sgpr15
	s_waitcnt vmcnt(0)
	v_cmpx_lt_i16_e32 0x7f, v3
	s_xor_b32 s14, exec_lo, s14
	s_cbranch_execz .LBB384_1115
; %bb.1100:
	v_cmp_ne_u16_e32 vcc_lo, 0x80, v3
	s_mov_b32 s15, 0
	s_and_b32 s10, vcc_lo, exec_lo
	s_or_saveexec_b32 s14, s14
	v_mov_b32_e32 v6, s15
	s_xor_b32 exec_lo, exec_lo, s14
	s_cbranch_execnz .LBB384_1116
.LBB384_1101:
	s_or_b32 exec_lo, exec_lo, s14
	s_and_saveexec_b32 s14, s10
	s_cbranch_execz .LBB384_1103
.LBB384_1102:
	v_and_b32_e32 v4, 0xffff, v3
	v_lshlrev_b32_e32 v3, 24, v3
	s_delay_alu instid0(VALU_DEP_2) | instskip(NEXT) | instid1(VALU_DEP_2)
	v_and_b32_e32 v5, 7, v4
	v_and_b32_e32 v3, 0x80000000, v3
	s_delay_alu instid0(VALU_DEP_2) | instskip(NEXT) | instid1(VALU_DEP_1)
	v_clz_i32_u32_e32 v6, v5
	v_min_u32_e32 v6, 32, v6
	s_delay_alu instid0(VALU_DEP_1) | instskip(SKIP_1) | instid1(VALU_DEP_2)
	v_subrev_nc_u32_e32 v7, 28, v6
	v_sub_nc_u32_e32 v6, 29, v6
	v_lshlrev_b32_e32 v7, v7, v4
	v_bfe_u32 v4, v4, 3, 4
	s_delay_alu instid0(VALU_DEP_2) | instskip(NEXT) | instid1(VALU_DEP_2)
	v_and_b32_e32 v7, 7, v7
	v_cmp_eq_u32_e32 vcc_lo, 0, v4
	s_delay_alu instid0(VALU_DEP_2) | instskip(NEXT) | instid1(VALU_DEP_1)
	v_dual_cndmask_b32 v4, v4, v6 :: v_dual_cndmask_b32 v5, v5, v7
	v_lshl_add_u32 v4, v4, 23, 0x3b800000
	s_delay_alu instid0(VALU_DEP_2) | instskip(NEXT) | instid1(VALU_DEP_1)
	v_lshlrev_b32_e32 v5, 20, v5
	v_or3_b32 v3, v3, v4, v5
	s_delay_alu instid0(VALU_DEP_1)
	v_cvt_i32_f32_e32 v6, v3
.LBB384_1103:
	s_or_b32 exec_lo, exec_lo, s14
.LBB384_1104:
	s_mov_b32 s14, -1
.LBB384_1105:
	s_branch .LBB384_1135
.LBB384_1106:
	v_cmp_gt_i16_e64 s10, s9, 22
	s_delay_alu instid0(VALU_DEP_1)
	s_and_b32 vcc_lo, exec_lo, s10
	s_cbranch_vccz .LBB384_1114
; %bb.1107:
	v_cmp_lt_i16_e64 s10, s9, 24
	s_delay_alu instid0(VALU_DEP_1)
	s_and_b32 vcc_lo, exec_lo, s10
	s_cbranch_vccnz .LBB384_1117
; %bb.1108:
	v_cmp_gt_i16_e64 s10, s9, 24
	s_delay_alu instid0(VALU_DEP_1)
	s_and_b32 vcc_lo, exec_lo, s10
	s_cbranch_vccz .LBB384_1118
; %bb.1109:
	global_load_u8 v3, v[0:1], off
	s_mov_b32 s10, 0
	s_mov_b32 s13, exec_lo
                                        ; implicit-def: $sgpr14
	s_waitcnt vmcnt(0)
	v_cmpx_lt_i16_e32 0x7f, v3
	s_xor_b32 s13, exec_lo, s13
	s_cbranch_execz .LBB384_1129
; %bb.1110:
	v_cmp_ne_u16_e32 vcc_lo, 0x80, v3
	s_mov_b32 s14, 0
	s_and_b32 s10, vcc_lo, exec_lo
	s_or_saveexec_b32 s13, s13
	v_mov_b32_e32 v6, s14
	s_xor_b32 exec_lo, exec_lo, s13
	s_cbranch_execnz .LBB384_1130
.LBB384_1111:
	s_or_b32 exec_lo, exec_lo, s13
	s_and_saveexec_b32 s13, s10
	s_cbranch_execz .LBB384_1113
.LBB384_1112:
	v_and_b32_e32 v4, 0xffff, v3
	v_lshlrev_b32_e32 v3, 24, v3
	s_delay_alu instid0(VALU_DEP_2) | instskip(NEXT) | instid1(VALU_DEP_2)
	v_and_b32_e32 v5, 3, v4
	v_and_b32_e32 v3, 0x80000000, v3
	s_delay_alu instid0(VALU_DEP_2) | instskip(NEXT) | instid1(VALU_DEP_1)
	v_clz_i32_u32_e32 v6, v5
	v_min_u32_e32 v6, 32, v6
	s_delay_alu instid0(VALU_DEP_1) | instskip(SKIP_1) | instid1(VALU_DEP_2)
	v_subrev_nc_u32_e32 v7, 29, v6
	v_sub_nc_u32_e32 v6, 30, v6
	v_lshlrev_b32_e32 v7, v7, v4
	v_bfe_u32 v4, v4, 2, 5
	s_delay_alu instid0(VALU_DEP_2) | instskip(NEXT) | instid1(VALU_DEP_2)
	v_and_b32_e32 v7, 3, v7
	v_cmp_eq_u32_e32 vcc_lo, 0, v4
	s_delay_alu instid0(VALU_DEP_2) | instskip(NEXT) | instid1(VALU_DEP_1)
	v_dual_cndmask_b32 v4, v4, v6 :: v_dual_cndmask_b32 v5, v5, v7
	v_lshl_add_u32 v4, v4, 23, 0x37800000
	s_delay_alu instid0(VALU_DEP_2) | instskip(NEXT) | instid1(VALU_DEP_1)
	v_lshlrev_b32_e32 v5, 21, v5
	v_or3_b32 v3, v3, v4, v5
	s_delay_alu instid0(VALU_DEP_1)
	v_cvt_i32_f32_e32 v6, v3
.LBB384_1113:
	s_or_b32 exec_lo, exec_lo, s13
	s_mov_b32 s10, 0
	s_branch .LBB384_1119
.LBB384_1114:
                                        ; implicit-def: $vgpr6
	s_mov_b32 s13, 0
	s_branch .LBB384_1125
.LBB384_1115:
	s_or_saveexec_b32 s14, s14
	v_mov_b32_e32 v6, s15
	s_xor_b32 exec_lo, exec_lo, s14
	s_cbranch_execz .LBB384_1101
.LBB384_1116:
	v_cmp_ne_u16_e32 vcc_lo, 0, v3
	v_mov_b32_e32 v6, 0
	s_and_not1_b32 s10, s10, exec_lo
	s_and_b32 s15, vcc_lo, exec_lo
	s_delay_alu instid0(SALU_CYCLE_1)
	s_or_b32 s10, s10, s15
	s_or_b32 exec_lo, exec_lo, s14
	s_and_saveexec_b32 s14, s10
	s_cbranch_execnz .LBB384_1102
	s_branch .LBB384_1103
.LBB384_1117:
	s_mov_b32 s10, -1
                                        ; implicit-def: $vgpr6
	s_branch .LBB384_1122
.LBB384_1118:
	s_mov_b32 s10, -1
                                        ; implicit-def: $vgpr6
.LBB384_1119:
	s_delay_alu instid0(SALU_CYCLE_1)
	s_and_b32 vcc_lo, exec_lo, s10
	s_cbranch_vccz .LBB384_1121
; %bb.1120:
	global_load_u8 v3, v[0:1], off
	s_waitcnt vmcnt(0)
	v_lshlrev_b32_e32 v3, 24, v3
	s_delay_alu instid0(VALU_DEP_1) | instskip(NEXT) | instid1(VALU_DEP_1)
	v_and_b32_e32 v4, 0x7f000000, v3
	v_clz_i32_u32_e32 v5, v4
	v_add_nc_u32_e32 v7, 0x1000000, v4
	v_cmp_ne_u32_e32 vcc_lo, 0, v4
	s_delay_alu instid0(VALU_DEP_3) | instskip(NEXT) | instid1(VALU_DEP_1)
	v_min_u32_e32 v5, 32, v5
	v_sub_nc_u32_e64 v5, v5, 4 clamp
	s_delay_alu instid0(VALU_DEP_1) | instskip(SKIP_1) | instid1(VALU_DEP_2)
	v_lshlrev_b32_e32 v6, v5, v4
	v_lshlrev_b32_e32 v5, 23, v5
	v_lshrrev_b32_e32 v6, 4, v6
	s_delay_alu instid0(VALU_DEP_1) | instskip(SKIP_1) | instid1(VALU_DEP_2)
	v_sub_nc_u32_e32 v5, v6, v5
	v_ashrrev_i32_e32 v6, 8, v7
	v_add_nc_u32_e32 v5, 0x3c000000, v5
	s_delay_alu instid0(VALU_DEP_1) | instskip(NEXT) | instid1(VALU_DEP_1)
	v_and_or_b32 v5, 0x7f800000, v6, v5
	v_cndmask_b32_e32 v4, 0, v5, vcc_lo
	s_delay_alu instid0(VALU_DEP_1) | instskip(NEXT) | instid1(VALU_DEP_1)
	v_and_or_b32 v3, 0x80000000, v3, v4
	v_cvt_i32_f32_e32 v6, v3
.LBB384_1121:
	s_mov_b32 s10, 0
.LBB384_1122:
	s_delay_alu instid0(SALU_CYCLE_1)
	s_and_not1_b32 vcc_lo, exec_lo, s10
	s_cbranch_vccnz .LBB384_1124
; %bb.1123:
	global_load_u8 v3, v[0:1], off
	s_waitcnt vmcnt(0)
	v_lshlrev_b32_e32 v4, 25, v3
	v_lshlrev_b16 v3, 8, v3
	s_delay_alu instid0(VALU_DEP_2) | instskip(NEXT) | instid1(VALU_DEP_2)
	v_lshrrev_b32_e32 v5, 4, v4
	v_and_or_b32 v6, 0x7f00, v3, 0.5
	v_bfe_i32 v3, v3, 0, 16
	s_delay_alu instid0(VALU_DEP_3) | instskip(NEXT) | instid1(VALU_DEP_1)
	v_or_b32_e32 v5, 0x70000000, v5
	v_dual_add_f32 v6, -0.5, v6 :: v_dual_mul_f32 v5, 0x7800000, v5
	v_cmp_gt_u32_e32 vcc_lo, 0x8000000, v4
	s_delay_alu instid0(VALU_DEP_2) | instskip(NEXT) | instid1(VALU_DEP_1)
	v_cndmask_b32_e32 v4, v5, v6, vcc_lo
	v_and_or_b32 v3, 0x80000000, v3, v4
	s_delay_alu instid0(VALU_DEP_1)
	v_cvt_i32_f32_e32 v6, v3
.LBB384_1124:
	s_mov_b32 s14, -1
	s_mov_b32 s13, 0
	s_cbranch_execnz .LBB384_1135
.LBB384_1125:
	v_cmp_gt_i16_e64 s10, s9, 14
	s_delay_alu instid0(VALU_DEP_1)
	s_and_b32 vcc_lo, exec_lo, s10
	s_cbranch_vccz .LBB384_1128
; %bb.1126:
	v_cmp_eq_u16_e64 s0, s9, 15
	s_delay_alu instid0(VALU_DEP_1)
	s_and_b32 vcc_lo, exec_lo, s0
	s_cbranch_vccz .LBB384_1131
; %bb.1127:
	global_load_u16 v3, v[0:1], off
	s_mov_b32 s0, 0
	s_mov_b32 s14, -1
	s_waitcnt vmcnt(0)
	v_lshlrev_b32_e32 v3, 16, v3
	s_delay_alu instid0(VALU_DEP_1)
	v_cvt_i32_f32_e32 v6, v3
	s_branch .LBB384_1132
.LBB384_1128:
	s_mov_b32 s10, -1
                                        ; implicit-def: $vgpr6
	s_branch .LBB384_1133
.LBB384_1129:
	s_or_saveexec_b32 s13, s13
	v_mov_b32_e32 v6, s14
	s_xor_b32 exec_lo, exec_lo, s13
	s_cbranch_execz .LBB384_1111
.LBB384_1130:
	v_cmp_ne_u16_e32 vcc_lo, 0, v3
	v_mov_b32_e32 v6, 0
	s_and_not1_b32 s10, s10, exec_lo
	s_and_b32 s14, vcc_lo, exec_lo
	s_delay_alu instid0(SALU_CYCLE_1)
	s_or_b32 s10, s10, s14
	s_or_b32 exec_lo, exec_lo, s13
	s_and_saveexec_b32 s13, s10
	s_cbranch_execnz .LBB384_1112
	s_branch .LBB384_1113
.LBB384_1131:
	s_mov_b32 s0, -1
                                        ; implicit-def: $vgpr6
.LBB384_1132:
	s_mov_b32 s10, 0
.LBB384_1133:
	s_delay_alu instid0(SALU_CYCLE_1)
	s_and_b32 vcc_lo, exec_lo, s10
	s_cbranch_vccz .LBB384_1135
; %bb.1134:
	v_cmp_ne_u16_e64 s0, s9, 11
	s_mov_b32 s13, -1
                                        ; implicit-def: $vgpr6
.LBB384_1135:
	s_delay_alu instid0(VALU_DEP_1)
	s_and_b32 vcc_lo, exec_lo, s0
	s_mov_b32 s10, s12
	s_cbranch_vccnz .LBB384_1159
; %bb.1136:
	s_and_not1_b32 vcc_lo, exec_lo, s13
	s_cbranch_vccnz .LBB384_1138
.LBB384_1137:
	global_load_u8 v3, v[0:1], off
	s_mov_b32 s14, -1
	s_waitcnt vmcnt(0)
	v_cmp_ne_u16_e32 vcc_lo, 0, v3
	v_cndmask_b32_e64 v6, 0, 1, vcc_lo
.LBB384_1138:
.LBB384_1139:
	s_and_not1_b32 vcc_lo, exec_lo, s14
	s_cbranch_vccnz .LBB384_1963
.LBB384_1140:
	s_lshl_b32 s0, s3, 7
	v_cmp_lt_i16_e64 s3, s9, 11
	v_add_nc_u32_e32 v2, s0, v2
	s_delay_alu instid0(VALU_DEP_1) | instskip(SKIP_1) | instid1(VALU_DEP_2)
	v_ashrrev_i32_e32 v1, 31, v2
	v_add_co_u32 v0, vcc_lo, s6, v2
	v_add_co_ci_u32_e32 v1, vcc_lo, s7, v1, vcc_lo
	s_and_b32 vcc_lo, exec_lo, s3
	s_cbranch_vccnz .LBB384_1147
; %bb.1141:
	v_cmp_gt_i16_e64 s3, s9, 25
	s_mov_b32 s13, 0
	s_delay_alu instid0(VALU_DEP_1)
	s_and_b32 vcc_lo, exec_lo, s3
	s_cbranch_vccz .LBB384_1153
; %bb.1142:
	v_cmp_gt_i16_e64 s3, s9, 28
	s_delay_alu instid0(VALU_DEP_1)
	s_and_b32 vcc_lo, exec_lo, s3
	s_cbranch_vccz .LBB384_1155
; %bb.1143:
	v_cmp_gt_i16_e64 s3, s9, 43
	;; [unrolled: 5-line block ×3, first 2 shown]
	s_delay_alu instid0(VALU_DEP_1)
	s_and_b32 vcc_lo, exec_lo, s3
	s_cbranch_vccz .LBB384_1163
; %bb.1145:
	v_cmp_eq_u16_e64 s3, s9, 46
	s_mov_b32 s15, 0
	s_delay_alu instid0(VALU_DEP_1)
	s_and_b32 vcc_lo, exec_lo, s3
	s_cbranch_vccz .LBB384_1207
; %bb.1146:
	global_load_b32 v3, v[0:1], off
	s_mov_b32 s3, 0
	s_mov_b32 s14, -1
	s_waitcnt vmcnt(0)
	v_lshlrev_b32_e32 v3, 16, v3
	s_delay_alu instid0(VALU_DEP_1)
	v_cvt_i32_f32_e32 v4, v3
	s_branch .LBB384_1209
.LBB384_1147:
	s_mov_b32 s14, 0
                                        ; implicit-def: $vgpr4
	s_cbranch_execz .LBB384_1270
; %bb.1148:
	v_cmp_lt_i16_e64 s3, s9, 5
	s_delay_alu instid0(VALU_DEP_1)
	s_and_b32 vcc_lo, exec_lo, s3
	s_cbranch_vccnz .LBB384_1154
; %bb.1149:
	v_cmp_lt_i16_e64 s3, s9, 8
	s_delay_alu instid0(VALU_DEP_1)
	s_and_b32 vcc_lo, exec_lo, s3
	s_cbranch_vccnz .LBB384_1156
	;; [unrolled: 5-line block ×3, first 2 shown]
; %bb.1151:
	v_cmp_gt_i16_e64 s3, s9, 9
	s_delay_alu instid0(VALU_DEP_1)
	s_and_b32 vcc_lo, exec_lo, s3
	s_cbranch_vccz .LBB384_1164
; %bb.1152:
	global_load_b64 v[3:4], v[0:1], off
	s_mov_b32 s3, 0
	s_waitcnt vmcnt(0)
	v_cvt_i32_f64_e32 v4, v[3:4]
	s_branch .LBB384_1165
.LBB384_1153:
	s_mov_b32 s14, 0
	s_mov_b32 s3, 0
                                        ; implicit-def: $vgpr4
	s_cbranch_execnz .LBB384_1236
	s_branch .LBB384_1266
.LBB384_1154:
                                        ; implicit-def: $vgpr4
	s_branch .LBB384_1183
.LBB384_1155:
	s_mov_b32 s15, -1
	s_mov_b32 s14, 0
	s_mov_b32 s3, 0
                                        ; implicit-def: $vgpr4
	s_branch .LBB384_1219
.LBB384_1156:
	s_mov_b32 s3, -1
                                        ; implicit-def: $vgpr4
	s_branch .LBB384_1171
.LBB384_1157:
	s_mov_b32 s15, -1
	s_mov_b32 s14, 0
	s_mov_b32 s3, 0
                                        ; implicit-def: $vgpr4
	s_branch .LBB384_1214
.LBB384_1158:
	s_mov_b32 s3, -1
                                        ; implicit-def: $vgpr4
	s_branch .LBB384_1168
.LBB384_1159:
	s_cbranch_execnz .LBB384_1203
; %bb.1160:
	s_or_b32 s10, s12, exec_lo
                                        ; implicit-def: $vgpr6
	s_cbranch_execz .LBB384_1137
	s_branch .LBB384_1138
.LBB384_1161:
	s_or_saveexec_b32 s17, s17
                                        ; implicit-def: $sgpr18
	s_delay_alu instid0(SALU_CYCLE_1)
	s_xor_b32 exec_lo, exec_lo, s17
	s_cbranch_execz .LBB384_928
.LBB384_1162:
	v_add_f32_e64 v5, 0x46000000, |v2|
	s_and_not1_b32 s16, s16, exec_lo
	s_mov_b32 s18, 0
	s_delay_alu instid0(VALU_DEP_1) | instskip(NEXT) | instid1(VALU_DEP_1)
	v_and_b32_e32 v5, 0xff, v5
	v_cmp_ne_u32_e32 vcc_lo, 0, v5
	s_and_b32 s19, vcc_lo, exec_lo
	s_delay_alu instid0(SALU_CYCLE_1)
	s_or_b32 s16, s16, s19
	s_or_b32 exec_lo, exec_lo, s17
	v_mov_b32_e32 v6, s18
	s_and_saveexec_b32 s17, s16
	s_cbranch_execnz .LBB384_929
	s_branch .LBB384_930
.LBB384_1163:
	s_mov_b32 s15, -1
	s_mov_b32 s14, 0
	s_mov_b32 s3, 0
	s_branch .LBB384_1208
.LBB384_1164:
	s_mov_b32 s3, -1
                                        ; implicit-def: $vgpr4
.LBB384_1165:
	s_delay_alu instid0(SALU_CYCLE_1)
	s_and_not1_b32 vcc_lo, exec_lo, s3
	s_cbranch_vccnz .LBB384_1167
; %bb.1166:
	global_load_b32 v3, v[0:1], off
	s_waitcnt vmcnt(0)
	v_cvt_i32_f32_e32 v4, v3
.LBB384_1167:
	s_mov_b32 s3, 0
.LBB384_1168:
	s_delay_alu instid0(SALU_CYCLE_1)
	s_and_not1_b32 vcc_lo, exec_lo, s3
	s_cbranch_vccnz .LBB384_1170
; %bb.1169:
	global_load_b32 v3, v[0:1], off
	s_waitcnt vmcnt(0)
	v_cvt_i16_f16_e32 v4, v3
.LBB384_1170:
	s_mov_b32 s3, 0
.LBB384_1171:
	s_delay_alu instid0(SALU_CYCLE_1)
	s_and_not1_b32 vcc_lo, exec_lo, s3
	s_cbranch_vccnz .LBB384_1182
; %bb.1172:
	v_cmp_lt_i16_e64 s3, s9, 6
	s_delay_alu instid0(VALU_DEP_1)
	s_and_b32 vcc_lo, exec_lo, s3
	s_cbranch_vccnz .LBB384_1175
; %bb.1173:
	v_cmp_gt_i16_e64 s3, s9, 6
	s_delay_alu instid0(VALU_DEP_1)
	s_and_b32 vcc_lo, exec_lo, s3
	s_cbranch_vccz .LBB384_1176
; %bb.1174:
	global_load_b64 v[3:4], v[0:1], off
	s_mov_b32 s3, 0
	s_waitcnt vmcnt(0)
	v_cvt_i32_f64_e32 v4, v[3:4]
	s_branch .LBB384_1177
.LBB384_1175:
	s_mov_b32 s3, -1
                                        ; implicit-def: $vgpr4
	s_branch .LBB384_1180
.LBB384_1176:
	s_mov_b32 s3, -1
                                        ; implicit-def: $vgpr4
.LBB384_1177:
	s_delay_alu instid0(SALU_CYCLE_1)
	s_and_not1_b32 vcc_lo, exec_lo, s3
	s_cbranch_vccnz .LBB384_1179
; %bb.1178:
	global_load_b32 v3, v[0:1], off
	s_waitcnt vmcnt(0)
	v_cvt_i32_f32_e32 v4, v3
.LBB384_1179:
	s_mov_b32 s3, 0
.LBB384_1180:
	s_delay_alu instid0(SALU_CYCLE_1)
	s_and_not1_b32 vcc_lo, exec_lo, s3
	s_cbranch_vccnz .LBB384_1182
; %bb.1181:
	global_load_u16 v3, v[0:1], off
	s_waitcnt vmcnt(0)
	v_cvt_i16_f16_e32 v4, v3
.LBB384_1182:
	s_cbranch_execnz .LBB384_1202
.LBB384_1183:
	v_cmp_lt_i16_e64 s3, s9, 2
	s_delay_alu instid0(VALU_DEP_1)
	s_and_b32 vcc_lo, exec_lo, s3
	s_cbranch_vccnz .LBB384_1187
; %bb.1184:
	v_cmp_lt_i16_e64 s3, s9, 3
	s_delay_alu instid0(VALU_DEP_1)
	s_and_b32 vcc_lo, exec_lo, s3
	s_cbranch_vccnz .LBB384_1188
; %bb.1185:
	v_cmp_gt_i16_e64 s3, s9, 3
	s_delay_alu instid0(VALU_DEP_1)
	s_and_b32 vcc_lo, exec_lo, s3
	s_cbranch_vccz .LBB384_1189
; %bb.1186:
	global_load_b64 v[4:5], v[0:1], off
	s_mov_b32 s3, 0
	s_branch .LBB384_1190
.LBB384_1187:
	s_mov_b32 s3, -1
                                        ; implicit-def: $vgpr4
	s_branch .LBB384_1196
.LBB384_1188:
	s_mov_b32 s3, -1
                                        ; implicit-def: $vgpr4
	s_branch .LBB384_1193
.LBB384_1189:
	s_mov_b32 s3, -1
                                        ; implicit-def: $vgpr4
.LBB384_1190:
	s_delay_alu instid0(SALU_CYCLE_1)
	s_and_not1_b32 vcc_lo, exec_lo, s3
	s_cbranch_vccnz .LBB384_1192
; %bb.1191:
	global_load_b32 v4, v[0:1], off
.LBB384_1192:
	s_mov_b32 s3, 0
.LBB384_1193:
	s_delay_alu instid0(SALU_CYCLE_1)
	s_and_not1_b32 vcc_lo, exec_lo, s3
	s_cbranch_vccnz .LBB384_1195
; %bb.1194:
	global_load_u16 v4, v[0:1], off
.LBB384_1195:
	s_mov_b32 s3, 0
.LBB384_1196:
	s_delay_alu instid0(SALU_CYCLE_1)
	s_and_not1_b32 vcc_lo, exec_lo, s3
	s_cbranch_vccnz .LBB384_1202
; %bb.1197:
	v_cmp_gt_i16_e64 s3, s9, 0
	s_delay_alu instid0(VALU_DEP_1)
	s_and_b32 vcc_lo, exec_lo, s3
	s_mov_b32 s3, 0
	s_cbranch_vccz .LBB384_1199
; %bb.1198:
	global_load_i8 v4, v[0:1], off
	s_branch .LBB384_1200
.LBB384_1199:
	s_mov_b32 s3, -1
                                        ; implicit-def: $vgpr4
.LBB384_1200:
	s_delay_alu instid0(SALU_CYCLE_1)
	s_and_not1_b32 vcc_lo, exec_lo, s3
	s_cbranch_vccnz .LBB384_1202
; %bb.1201:
	global_load_u8 v4, v[0:1], off
.LBB384_1202:
	s_branch .LBB384_1271
.LBB384_1203:
	s_trap 2
	s_sendmsg_rtn_b32 s0, sendmsg(MSG_RTN_GET_DOORBELL)
	s_mov_b32 ttmp2, m0
	s_waitcnt lgkmcnt(0)
	s_and_b32 s0, s0, 0x3ff
	s_delay_alu instid0(SALU_CYCLE_1) | instskip(NEXT) | instid1(SALU_CYCLE_1)
	s_bitset1_b32 s0, 10
	s_mov_b32 m0, s0
	s_sendmsg sendmsg(MSG_INTERRUPT)
	s_mov_b32 m0, ttmp2
.LBB384_1204:                           ; =>This Inner Loop Header: Depth=1
	s_sethalt 5
	s_branch .LBB384_1204
.LBB384_1205:
	s_or_saveexec_b32 s18, s18
                                        ; implicit-def: $sgpr19
	s_delay_alu instid0(SALU_CYCLE_1)
	s_xor_b32 exec_lo, exec_lo, s18
	s_cbranch_execz .LBB384_940
.LBB384_1206:
	v_add_f32_e64 v5, 0x42800000, |v2|
	s_and_not1_b32 s17, s17, exec_lo
	s_mov_b32 s19, 0
	s_delay_alu instid0(VALU_DEP_1) | instskip(NEXT) | instid1(VALU_DEP_1)
	v_and_b32_e32 v5, 0xff, v5
	v_cmp_ne_u32_e32 vcc_lo, 0, v5
	s_and_b32 s20, vcc_lo, exec_lo
	s_delay_alu instid0(SALU_CYCLE_1)
	s_or_b32 s17, s17, s20
	s_or_b32 exec_lo, exec_lo, s18
	v_mov_b32_e32 v6, s19
	s_and_saveexec_b32 s18, s17
	s_cbranch_execnz .LBB384_941
	s_branch .LBB384_942
.LBB384_1207:
	s_mov_b32 s3, -1
	s_mov_b32 s14, 0
.LBB384_1208:
                                        ; implicit-def: $vgpr4
.LBB384_1209:
	s_and_b32 vcc_lo, exec_lo, s15
	s_cbranch_vccz .LBB384_1213
; %bb.1210:
	v_cmp_eq_u16_e64 s3, s9, 44
	s_delay_alu instid0(VALU_DEP_1)
	s_and_b32 vcc_lo, exec_lo, s3
	s_cbranch_vccz .LBB384_1212
; %bb.1211:
	global_load_u8 v3, v[0:1], off
	s_mov_b32 s3, 0
	s_mov_b32 s14, -1
	s_waitcnt vmcnt(0)
	v_lshlrev_b32_e32 v4, 23, v3
	v_cmp_ne_u32_e32 vcc_lo, 0, v3
	s_delay_alu instid0(VALU_DEP_2) | instskip(NEXT) | instid1(VALU_DEP_1)
	v_cvt_i32_f32_e32 v4, v4
	v_cndmask_b32_e32 v4, 0, v4, vcc_lo
	s_branch .LBB384_1213
.LBB384_1212:
	s_mov_b32 s3, -1
                                        ; implicit-def: $vgpr4
.LBB384_1213:
	s_mov_b32 s15, 0
.LBB384_1214:
	s_delay_alu instid0(SALU_CYCLE_1)
	s_and_b32 vcc_lo, exec_lo, s15
	s_cbranch_vccz .LBB384_1218
; %bb.1215:
	v_cmp_eq_u16_e64 s3, s9, 29
	s_delay_alu instid0(VALU_DEP_1)
	s_and_b32 vcc_lo, exec_lo, s3
	s_cbranch_vccz .LBB384_1217
; %bb.1216:
	global_load_b64 v[4:5], v[0:1], off
	s_mov_b32 s3, 0
	s_mov_b32 s14, -1
	s_branch .LBB384_1218
.LBB384_1217:
	s_mov_b32 s3, -1
                                        ; implicit-def: $vgpr4
.LBB384_1218:
	s_mov_b32 s15, 0
.LBB384_1219:
	s_delay_alu instid0(SALU_CYCLE_1)
	s_and_b32 vcc_lo, exec_lo, s15
	s_cbranch_vccz .LBB384_1235
; %bb.1220:
	v_cmp_lt_i16_e64 s14, s9, 27
	s_delay_alu instid0(VALU_DEP_1)
	s_and_b32 vcc_lo, exec_lo, s14
	s_cbranch_vccnz .LBB384_1223
; %bb.1221:
	v_cmp_gt_i16_e64 s14, s9, 27
	s_delay_alu instid0(VALU_DEP_1)
	s_and_b32 vcc_lo, exec_lo, s14
	s_cbranch_vccz .LBB384_1224
; %bb.1222:
	global_load_b32 v4, v[0:1], off
	s_mov_b32 s14, 0
	s_branch .LBB384_1225
.LBB384_1223:
	s_mov_b32 s14, -1
                                        ; implicit-def: $vgpr4
	s_branch .LBB384_1228
.LBB384_1224:
	s_mov_b32 s14, -1
                                        ; implicit-def: $vgpr4
.LBB384_1225:
	s_delay_alu instid0(SALU_CYCLE_1)
	s_and_not1_b32 vcc_lo, exec_lo, s14
	s_cbranch_vccnz .LBB384_1227
; %bb.1226:
	global_load_u16 v4, v[0:1], off
.LBB384_1227:
	s_mov_b32 s14, 0
.LBB384_1228:
	s_delay_alu instid0(SALU_CYCLE_1)
	s_and_not1_b32 vcc_lo, exec_lo, s14
	s_cbranch_vccnz .LBB384_1234
; %bb.1229:
	global_load_u8 v3, v[0:1], off
	s_mov_b32 s14, 0
	s_mov_b32 s15, exec_lo
                                        ; implicit-def: $sgpr16
	s_waitcnt vmcnt(0)
	v_cmpx_lt_i16_e32 0x7f, v3
	s_xor_b32 s15, exec_lo, s15
	s_cbranch_execz .LBB384_1245
; %bb.1230:
	v_cmp_ne_u16_e32 vcc_lo, 0x80, v3
	s_mov_b32 s16, 0
	s_and_b32 s14, vcc_lo, exec_lo
	s_or_saveexec_b32 s15, s15
	v_mov_b32_e32 v4, s16
	s_xor_b32 exec_lo, exec_lo, s15
	s_cbranch_execnz .LBB384_1246
.LBB384_1231:
	s_or_b32 exec_lo, exec_lo, s15
	s_and_saveexec_b32 s15, s14
	s_cbranch_execz .LBB384_1233
.LBB384_1232:
	v_and_b32_e32 v4, 0xffff, v3
	v_lshlrev_b32_e32 v3, 24, v3
	s_delay_alu instid0(VALU_DEP_2) | instskip(NEXT) | instid1(VALU_DEP_2)
	v_and_b32_e32 v5, 7, v4
	v_and_b32_e32 v3, 0x80000000, v3
	s_delay_alu instid0(VALU_DEP_2) | instskip(NEXT) | instid1(VALU_DEP_1)
	v_clz_i32_u32_e32 v7, v5
	v_min_u32_e32 v7, 32, v7
	s_delay_alu instid0(VALU_DEP_1) | instskip(SKIP_1) | instid1(VALU_DEP_2)
	v_subrev_nc_u32_e32 v8, 28, v7
	v_sub_nc_u32_e32 v7, 29, v7
	v_lshlrev_b32_e32 v8, v8, v4
	v_bfe_u32 v4, v4, 3, 4
	s_delay_alu instid0(VALU_DEP_2) | instskip(NEXT) | instid1(VALU_DEP_2)
	v_and_b32_e32 v8, 7, v8
	v_cmp_eq_u32_e32 vcc_lo, 0, v4
	s_delay_alu instid0(VALU_DEP_2) | instskip(NEXT) | instid1(VALU_DEP_1)
	v_dual_cndmask_b32 v4, v4, v7 :: v_dual_cndmask_b32 v5, v5, v8
	v_lshl_add_u32 v4, v4, 23, 0x3b800000
	s_delay_alu instid0(VALU_DEP_2) | instskip(NEXT) | instid1(VALU_DEP_1)
	v_lshlrev_b32_e32 v5, 20, v5
	v_or3_b32 v3, v3, v4, v5
	s_delay_alu instid0(VALU_DEP_1)
	v_cvt_i32_f32_e32 v4, v3
.LBB384_1233:
	s_or_b32 exec_lo, exec_lo, s15
.LBB384_1234:
	s_mov_b32 s14, -1
.LBB384_1235:
	s_branch .LBB384_1266
.LBB384_1236:
	v_cmp_gt_i16_e64 s13, s9, 22
	s_delay_alu instid0(VALU_DEP_1)
	s_and_b32 vcc_lo, exec_lo, s13
	s_cbranch_vccz .LBB384_1244
; %bb.1237:
	v_cmp_lt_i16_e64 s13, s9, 24
	s_delay_alu instid0(VALU_DEP_1)
	s_and_b32 vcc_lo, exec_lo, s13
	s_cbranch_vccnz .LBB384_1247
; %bb.1238:
	v_cmp_gt_i16_e64 s13, s9, 24
	s_delay_alu instid0(VALU_DEP_1)
	s_and_b32 vcc_lo, exec_lo, s13
	s_cbranch_vccz .LBB384_1248
; %bb.1239:
	global_load_u8 v3, v[0:1], off
	s_mov_b32 s13, 0
	s_mov_b32 s14, exec_lo
                                        ; implicit-def: $sgpr15
	s_waitcnt vmcnt(0)
	v_cmpx_lt_i16_e32 0x7f, v3
	s_xor_b32 s14, exec_lo, s14
	s_cbranch_execz .LBB384_1260
; %bb.1240:
	v_cmp_ne_u16_e32 vcc_lo, 0x80, v3
	s_mov_b32 s15, 0
	s_and_b32 s13, vcc_lo, exec_lo
	s_or_saveexec_b32 s14, s14
	v_mov_b32_e32 v4, s15
	s_xor_b32 exec_lo, exec_lo, s14
	s_cbranch_execnz .LBB384_1261
.LBB384_1241:
	s_or_b32 exec_lo, exec_lo, s14
	s_and_saveexec_b32 s14, s13
	s_cbranch_execz .LBB384_1243
.LBB384_1242:
	v_and_b32_e32 v4, 0xffff, v3
	v_lshlrev_b32_e32 v3, 24, v3
	s_delay_alu instid0(VALU_DEP_2) | instskip(NEXT) | instid1(VALU_DEP_2)
	v_and_b32_e32 v5, 3, v4
	v_and_b32_e32 v3, 0x80000000, v3
	s_delay_alu instid0(VALU_DEP_2) | instskip(NEXT) | instid1(VALU_DEP_1)
	v_clz_i32_u32_e32 v7, v5
	v_min_u32_e32 v7, 32, v7
	s_delay_alu instid0(VALU_DEP_1) | instskip(SKIP_1) | instid1(VALU_DEP_2)
	v_subrev_nc_u32_e32 v8, 29, v7
	v_sub_nc_u32_e32 v7, 30, v7
	v_lshlrev_b32_e32 v8, v8, v4
	v_bfe_u32 v4, v4, 2, 5
	s_delay_alu instid0(VALU_DEP_2) | instskip(NEXT) | instid1(VALU_DEP_2)
	v_and_b32_e32 v8, 3, v8
	v_cmp_eq_u32_e32 vcc_lo, 0, v4
	s_delay_alu instid0(VALU_DEP_2) | instskip(NEXT) | instid1(VALU_DEP_1)
	v_dual_cndmask_b32 v4, v4, v7 :: v_dual_cndmask_b32 v5, v5, v8
	v_lshl_add_u32 v4, v4, 23, 0x37800000
	s_delay_alu instid0(VALU_DEP_2) | instskip(NEXT) | instid1(VALU_DEP_1)
	v_lshlrev_b32_e32 v5, 21, v5
	v_or3_b32 v3, v3, v4, v5
	s_delay_alu instid0(VALU_DEP_1)
	v_cvt_i32_f32_e32 v4, v3
.LBB384_1243:
	s_or_b32 exec_lo, exec_lo, s14
	s_mov_b32 s13, 0
	s_branch .LBB384_1249
.LBB384_1244:
	s_mov_b32 s13, -1
                                        ; implicit-def: $vgpr4
	s_branch .LBB384_1255
.LBB384_1245:
	s_or_saveexec_b32 s15, s15
	v_mov_b32_e32 v4, s16
	s_xor_b32 exec_lo, exec_lo, s15
	s_cbranch_execz .LBB384_1231
.LBB384_1246:
	v_cmp_ne_u16_e32 vcc_lo, 0, v3
	v_mov_b32_e32 v4, 0
	s_and_not1_b32 s14, s14, exec_lo
	s_and_b32 s16, vcc_lo, exec_lo
	s_delay_alu instid0(SALU_CYCLE_1)
	s_or_b32 s14, s14, s16
	s_or_b32 exec_lo, exec_lo, s15
	s_and_saveexec_b32 s15, s14
	s_cbranch_execnz .LBB384_1232
	s_branch .LBB384_1233
.LBB384_1247:
	s_mov_b32 s13, -1
                                        ; implicit-def: $vgpr4
	s_branch .LBB384_1252
.LBB384_1248:
	s_mov_b32 s13, -1
                                        ; implicit-def: $vgpr4
.LBB384_1249:
	s_delay_alu instid0(SALU_CYCLE_1)
	s_and_b32 vcc_lo, exec_lo, s13
	s_cbranch_vccz .LBB384_1251
; %bb.1250:
	global_load_u8 v3, v[0:1], off
	s_waitcnt vmcnt(0)
	v_lshlrev_b32_e32 v3, 24, v3
	s_delay_alu instid0(VALU_DEP_1) | instskip(NEXT) | instid1(VALU_DEP_1)
	v_and_b32_e32 v4, 0x7f000000, v3
	v_clz_i32_u32_e32 v5, v4
	v_add_nc_u32_e32 v8, 0x1000000, v4
	v_cmp_ne_u32_e32 vcc_lo, 0, v4
	s_delay_alu instid0(VALU_DEP_3) | instskip(NEXT) | instid1(VALU_DEP_1)
	v_min_u32_e32 v5, 32, v5
	v_sub_nc_u32_e64 v5, v5, 4 clamp
	s_delay_alu instid0(VALU_DEP_1) | instskip(SKIP_1) | instid1(VALU_DEP_2)
	v_lshlrev_b32_e32 v7, v5, v4
	v_lshlrev_b32_e32 v5, 23, v5
	v_lshrrev_b32_e32 v7, 4, v7
	s_delay_alu instid0(VALU_DEP_1) | instskip(SKIP_1) | instid1(VALU_DEP_2)
	v_sub_nc_u32_e32 v5, v7, v5
	v_ashrrev_i32_e32 v7, 8, v8
	v_add_nc_u32_e32 v5, 0x3c000000, v5
	s_delay_alu instid0(VALU_DEP_1) | instskip(NEXT) | instid1(VALU_DEP_1)
	v_and_or_b32 v5, 0x7f800000, v7, v5
	v_cndmask_b32_e32 v4, 0, v5, vcc_lo
	s_delay_alu instid0(VALU_DEP_1) | instskip(NEXT) | instid1(VALU_DEP_1)
	v_and_or_b32 v3, 0x80000000, v3, v4
	v_cvt_i32_f32_e32 v4, v3
.LBB384_1251:
	s_mov_b32 s13, 0
.LBB384_1252:
	s_delay_alu instid0(SALU_CYCLE_1)
	s_and_not1_b32 vcc_lo, exec_lo, s13
	s_cbranch_vccnz .LBB384_1254
; %bb.1253:
	global_load_u8 v3, v[0:1], off
	s_waitcnt vmcnt(0)
	v_lshlrev_b32_e32 v4, 25, v3
	v_lshlrev_b16 v3, 8, v3
	s_delay_alu instid0(VALU_DEP_2) | instskip(NEXT) | instid1(VALU_DEP_2)
	v_lshrrev_b32_e32 v5, 4, v4
	v_and_or_b32 v7, 0x7f00, v3, 0.5
	v_bfe_i32 v3, v3, 0, 16
	s_delay_alu instid0(VALU_DEP_3) | instskip(NEXT) | instid1(VALU_DEP_3)
	v_or_b32_e32 v5, 0x70000000, v5
	v_add_f32_e32 v7, -0.5, v7
	s_delay_alu instid0(VALU_DEP_2) | instskip(SKIP_1) | instid1(VALU_DEP_2)
	v_mul_f32_e32 v5, 0x7800000, v5
	v_cmp_gt_u32_e32 vcc_lo, 0x8000000, v4
	v_cndmask_b32_e32 v4, v5, v7, vcc_lo
	s_delay_alu instid0(VALU_DEP_1) | instskip(NEXT) | instid1(VALU_DEP_1)
	v_and_or_b32 v3, 0x80000000, v3, v4
	v_cvt_i32_f32_e32 v4, v3
.LBB384_1254:
	s_mov_b32 s13, 0
	s_mov_b32 s14, -1
.LBB384_1255:
	s_and_not1_b32 vcc_lo, exec_lo, s13
	s_mov_b32 s13, 0
	s_cbranch_vccnz .LBB384_1266
; %bb.1256:
	v_cmp_gt_i16_e64 s13, s9, 14
	s_delay_alu instid0(VALU_DEP_1)
	s_and_b32 vcc_lo, exec_lo, s13
	s_cbranch_vccz .LBB384_1259
; %bb.1257:
	v_cmp_eq_u16_e64 s3, s9, 15
	s_delay_alu instid0(VALU_DEP_1)
	s_and_b32 vcc_lo, exec_lo, s3
	s_cbranch_vccz .LBB384_1262
; %bb.1258:
	global_load_u16 v3, v[0:1], off
	s_mov_b32 s3, 0
	s_mov_b32 s14, -1
	s_waitcnt vmcnt(0)
	v_lshlrev_b32_e32 v3, 16, v3
	s_delay_alu instid0(VALU_DEP_1)
	v_cvt_i32_f32_e32 v4, v3
	s_branch .LBB384_1263
.LBB384_1259:
	s_mov_b32 s13, -1
                                        ; implicit-def: $vgpr4
	s_branch .LBB384_1264
.LBB384_1260:
	s_or_saveexec_b32 s14, s14
	v_mov_b32_e32 v4, s15
	s_xor_b32 exec_lo, exec_lo, s14
	s_cbranch_execz .LBB384_1241
.LBB384_1261:
	v_cmp_ne_u16_e32 vcc_lo, 0, v3
	v_mov_b32_e32 v4, 0
	s_and_not1_b32 s13, s13, exec_lo
	s_and_b32 s15, vcc_lo, exec_lo
	s_delay_alu instid0(SALU_CYCLE_1)
	s_or_b32 s13, s13, s15
	s_or_b32 exec_lo, exec_lo, s14
	s_and_saveexec_b32 s14, s13
	s_cbranch_execnz .LBB384_1242
	s_branch .LBB384_1243
.LBB384_1262:
	s_mov_b32 s3, -1
                                        ; implicit-def: $vgpr4
.LBB384_1263:
	s_mov_b32 s13, 0
.LBB384_1264:
	s_delay_alu instid0(SALU_CYCLE_1)
	s_and_b32 vcc_lo, exec_lo, s13
	s_mov_b32 s13, 0
	s_cbranch_vccz .LBB384_1266
; %bb.1265:
	v_cmp_ne_u16_e64 s3, s9, 11
	s_mov_b32 s13, -1
                                        ; implicit-def: $vgpr4
.LBB384_1266:
	s_delay_alu instid0(VALU_DEP_1)
	s_and_b32 vcc_lo, exec_lo, s3
	s_cbranch_vccnz .LBB384_1290
; %bb.1267:
	s_and_not1_b32 vcc_lo, exec_lo, s13
	s_cbranch_vccnz .LBB384_1269
.LBB384_1268:
	global_load_u8 v3, v[0:1], off
	s_mov_b32 s14, -1
	s_waitcnt vmcnt(0)
	v_cmp_ne_u16_e32 vcc_lo, 0, v3
	v_cndmask_b32_e64 v4, 0, 1, vcc_lo
.LBB384_1269:
.LBB384_1270:
	s_and_not1_b32 vcc_lo, exec_lo, s14
	s_cbranch_vccnz .LBB384_1963
.LBB384_1271:
	s_waitcnt vmcnt(0)
	v_add_nc_u32_e32 v5, s0, v2
	v_cmp_lt_i16_e64 s3, s9, 11
	s_delay_alu instid0(VALU_DEP_2) | instskip(SKIP_1) | instid1(VALU_DEP_2)
	v_ashrrev_i32_e32 v1, 31, v5
	v_add_co_u32 v0, vcc_lo, s6, v5
	v_add_co_ci_u32_e32 v1, vcc_lo, s7, v1, vcc_lo
	s_delay_alu instid0(VALU_DEP_4)
	s_and_b32 vcc_lo, exec_lo, s3
	s_cbranch_vccnz .LBB384_1278
; %bb.1272:
	v_cmp_gt_i16_e64 s3, s9, 25
	s_mov_b32 s13, 0
	s_delay_alu instid0(VALU_DEP_1)
	s_and_b32 vcc_lo, exec_lo, s3
	s_cbranch_vccz .LBB384_1284
; %bb.1273:
	v_cmp_gt_i16_e64 s3, s9, 28
	s_delay_alu instid0(VALU_DEP_1)
	s_and_b32 vcc_lo, exec_lo, s3
	s_cbranch_vccz .LBB384_1286
; %bb.1274:
	v_cmp_gt_i16_e64 s3, s9, 43
	;; [unrolled: 5-line block ×3, first 2 shown]
	s_delay_alu instid0(VALU_DEP_1)
	s_and_b32 vcc_lo, exec_lo, s3
	s_cbranch_vccz .LBB384_1292
; %bb.1276:
	v_cmp_eq_u16_e64 s3, s9, 46
	s_mov_b32 s15, 0
	s_delay_alu instid0(VALU_DEP_1)
	s_and_b32 vcc_lo, exec_lo, s3
	s_cbranch_vccz .LBB384_1335
; %bb.1277:
	global_load_b32 v2, v[0:1], off
	s_mov_b32 s3, 0
	s_mov_b32 s14, -1
	s_waitcnt vmcnt(0)
	v_lshlrev_b32_e32 v2, 16, v2
	s_delay_alu instid0(VALU_DEP_1)
	v_cvt_i32_f32_e32 v2, v2
	s_branch .LBB384_1337
.LBB384_1278:
	s_mov_b32 s14, 0
                                        ; implicit-def: $vgpr2
	s_cbranch_execz .LBB384_1399
; %bb.1279:
	v_cmp_lt_i16_e64 s3, s9, 5
	s_delay_alu instid0(VALU_DEP_1)
	s_and_b32 vcc_lo, exec_lo, s3
	s_cbranch_vccnz .LBB384_1285
; %bb.1280:
	v_cmp_lt_i16_e64 s3, s9, 8
	s_delay_alu instid0(VALU_DEP_1)
	s_and_b32 vcc_lo, exec_lo, s3
	s_cbranch_vccnz .LBB384_1287
	;; [unrolled: 5-line block ×3, first 2 shown]
; %bb.1282:
	v_cmp_gt_i16_e64 s3, s9, 9
	s_delay_alu instid0(VALU_DEP_1)
	s_and_b32 vcc_lo, exec_lo, s3
	s_cbranch_vccz .LBB384_1293
; %bb.1283:
	global_load_b64 v[2:3], v[0:1], off
	s_mov_b32 s3, 0
	s_waitcnt vmcnt(0)
	v_cvt_i32_f64_e32 v2, v[2:3]
	s_branch .LBB384_1294
.LBB384_1284:
	s_mov_b32 s15, -1
	s_mov_b32 s14, 0
	s_mov_b32 s3, 0
                                        ; implicit-def: $vgpr2
	s_branch .LBB384_1364
.LBB384_1285:
	s_mov_b32 s3, -1
                                        ; implicit-def: $vgpr2
	s_branch .LBB384_1312
.LBB384_1286:
	s_mov_b32 s15, -1
	s_mov_b32 s14, 0
	s_mov_b32 s3, 0
                                        ; implicit-def: $vgpr2
	s_branch .LBB384_1347
.LBB384_1287:
	s_mov_b32 s3, -1
                                        ; implicit-def: $vgpr2
	s_branch .LBB384_1300
.LBB384_1288:
	s_mov_b32 s15, -1
	s_mov_b32 s14, 0
	s_mov_b32 s3, 0
                                        ; implicit-def: $vgpr2
	s_branch .LBB384_1342
.LBB384_1289:
	s_mov_b32 s3, -1
                                        ; implicit-def: $vgpr2
	s_branch .LBB384_1297
.LBB384_1290:
	s_cbranch_execnz .LBB384_1333
; %bb.1291:
	s_or_b32 s10, s10, exec_lo
                                        ; implicit-def: $vgpr4
	s_cbranch_execz .LBB384_1268
	s_branch .LBB384_1269
.LBB384_1292:
	s_mov_b32 s15, -1
	s_mov_b32 s14, 0
	s_mov_b32 s3, 0
	s_branch .LBB384_1336
.LBB384_1293:
	s_mov_b32 s3, -1
                                        ; implicit-def: $vgpr2
.LBB384_1294:
	s_delay_alu instid0(SALU_CYCLE_1)
	s_and_not1_b32 vcc_lo, exec_lo, s3
	s_cbranch_vccnz .LBB384_1296
; %bb.1295:
	global_load_b32 v2, v[0:1], off
	s_waitcnt vmcnt(0)
	v_cvt_i32_f32_e32 v2, v2
.LBB384_1296:
	s_mov_b32 s3, 0
.LBB384_1297:
	s_delay_alu instid0(SALU_CYCLE_1)
	s_and_not1_b32 vcc_lo, exec_lo, s3
	s_cbranch_vccnz .LBB384_1299
; %bb.1298:
	global_load_b32 v2, v[0:1], off
	s_waitcnt vmcnt(0)
	v_cvt_i16_f16_e32 v2, v2
.LBB384_1299:
	s_mov_b32 s3, 0
.LBB384_1300:
	s_delay_alu instid0(SALU_CYCLE_1)
	s_and_not1_b32 vcc_lo, exec_lo, s3
	s_cbranch_vccnz .LBB384_1311
; %bb.1301:
	v_cmp_lt_i16_e64 s3, s9, 6
	s_delay_alu instid0(VALU_DEP_1)
	s_and_b32 vcc_lo, exec_lo, s3
	s_cbranch_vccnz .LBB384_1304
; %bb.1302:
	v_cmp_gt_i16_e64 s3, s9, 6
	s_delay_alu instid0(VALU_DEP_1)
	s_and_b32 vcc_lo, exec_lo, s3
	s_cbranch_vccz .LBB384_1305
; %bb.1303:
	global_load_b64 v[2:3], v[0:1], off
	s_mov_b32 s3, 0
	s_waitcnt vmcnt(0)
	v_cvt_i32_f64_e32 v2, v[2:3]
	s_branch .LBB384_1306
.LBB384_1304:
	s_mov_b32 s3, -1
                                        ; implicit-def: $vgpr2
	s_branch .LBB384_1309
.LBB384_1305:
	s_mov_b32 s3, -1
                                        ; implicit-def: $vgpr2
.LBB384_1306:
	s_delay_alu instid0(SALU_CYCLE_1)
	s_and_not1_b32 vcc_lo, exec_lo, s3
	s_cbranch_vccnz .LBB384_1308
; %bb.1307:
	global_load_b32 v2, v[0:1], off
	s_waitcnt vmcnt(0)
	v_cvt_i32_f32_e32 v2, v2
.LBB384_1308:
	s_mov_b32 s3, 0
.LBB384_1309:
	s_delay_alu instid0(SALU_CYCLE_1)
	s_and_not1_b32 vcc_lo, exec_lo, s3
	s_cbranch_vccnz .LBB384_1311
; %bb.1310:
	global_load_u16 v2, v[0:1], off
	s_waitcnt vmcnt(0)
	v_cvt_i16_f16_e32 v2, v2
.LBB384_1311:
	s_mov_b32 s3, 0
.LBB384_1312:
	s_delay_alu instid0(SALU_CYCLE_1)
	s_and_not1_b32 vcc_lo, exec_lo, s3
	s_cbranch_vccnz .LBB384_1332
; %bb.1313:
	v_cmp_lt_i16_e64 s3, s9, 2
	s_delay_alu instid0(VALU_DEP_1)
	s_and_b32 vcc_lo, exec_lo, s3
	s_cbranch_vccnz .LBB384_1317
; %bb.1314:
	v_cmp_lt_i16_e64 s3, s9, 3
	s_delay_alu instid0(VALU_DEP_1)
	s_and_b32 vcc_lo, exec_lo, s3
	s_cbranch_vccnz .LBB384_1318
; %bb.1315:
	v_cmp_gt_i16_e64 s3, s9, 3
	s_delay_alu instid0(VALU_DEP_1)
	s_and_b32 vcc_lo, exec_lo, s3
	s_cbranch_vccz .LBB384_1319
; %bb.1316:
	global_load_b64 v[2:3], v[0:1], off
	s_mov_b32 s3, 0
	s_branch .LBB384_1320
.LBB384_1317:
	s_mov_b32 s3, -1
                                        ; implicit-def: $vgpr2
	s_branch .LBB384_1326
.LBB384_1318:
	s_mov_b32 s3, -1
                                        ; implicit-def: $vgpr2
	s_branch .LBB384_1323
.LBB384_1319:
	s_mov_b32 s3, -1
                                        ; implicit-def: $vgpr2
.LBB384_1320:
	s_delay_alu instid0(SALU_CYCLE_1)
	s_and_not1_b32 vcc_lo, exec_lo, s3
	s_cbranch_vccnz .LBB384_1322
; %bb.1321:
	global_load_b32 v2, v[0:1], off
.LBB384_1322:
	s_mov_b32 s3, 0
.LBB384_1323:
	s_delay_alu instid0(SALU_CYCLE_1)
	s_and_not1_b32 vcc_lo, exec_lo, s3
	s_cbranch_vccnz .LBB384_1325
; %bb.1324:
	global_load_u16 v2, v[0:1], off
.LBB384_1325:
	s_mov_b32 s3, 0
.LBB384_1326:
	s_delay_alu instid0(SALU_CYCLE_1)
	s_and_not1_b32 vcc_lo, exec_lo, s3
	s_cbranch_vccnz .LBB384_1332
; %bb.1327:
	v_cmp_gt_i16_e64 s3, s9, 0
	s_delay_alu instid0(VALU_DEP_1)
	s_and_b32 vcc_lo, exec_lo, s3
	s_mov_b32 s3, 0
	s_cbranch_vccz .LBB384_1329
; %bb.1328:
	global_load_i8 v2, v[0:1], off
	s_branch .LBB384_1330
.LBB384_1329:
	s_mov_b32 s3, -1
                                        ; implicit-def: $vgpr2
.LBB384_1330:
	s_delay_alu instid0(SALU_CYCLE_1)
	s_and_not1_b32 vcc_lo, exec_lo, s3
	s_cbranch_vccnz .LBB384_1332
; %bb.1331:
	global_load_u8 v2, v[0:1], off
.LBB384_1332:
	s_branch .LBB384_1400
.LBB384_1333:
	s_trap 2
	s_sendmsg_rtn_b32 s0, sendmsg(MSG_RTN_GET_DOORBELL)
	s_mov_b32 ttmp2, m0
	s_waitcnt lgkmcnt(0)
	s_and_b32 s0, s0, 0x3ff
	s_delay_alu instid0(SALU_CYCLE_1) | instskip(NEXT) | instid1(SALU_CYCLE_1)
	s_bitset1_b32 s0, 10
	s_mov_b32 m0, s0
	s_sendmsg sendmsg(MSG_INTERRUPT)
	s_mov_b32 m0, ttmp2
.LBB384_1334:                           ; =>This Inner Loop Header: Depth=1
	s_sethalt 5
	s_branch .LBB384_1334
.LBB384_1335:
	s_mov_b32 s3, -1
	s_mov_b32 s14, 0
.LBB384_1336:
                                        ; implicit-def: $vgpr2
.LBB384_1337:
	s_and_b32 vcc_lo, exec_lo, s15
	s_cbranch_vccz .LBB384_1341
; %bb.1338:
	v_cmp_eq_u16_e64 s3, s9, 44
	s_delay_alu instid0(VALU_DEP_1)
	s_and_b32 vcc_lo, exec_lo, s3
	s_cbranch_vccz .LBB384_1340
; %bb.1339:
	global_load_u8 v2, v[0:1], off
	s_mov_b32 s3, 0
	s_mov_b32 s14, -1
	s_waitcnt vmcnt(0)
	v_lshlrev_b32_e32 v3, 23, v2
	v_cmp_ne_u32_e32 vcc_lo, 0, v2
	s_delay_alu instid0(VALU_DEP_2) | instskip(NEXT) | instid1(VALU_DEP_1)
	v_cvt_i32_f32_e32 v3, v3
	v_cndmask_b32_e32 v2, 0, v3, vcc_lo
	s_branch .LBB384_1341
.LBB384_1340:
	s_mov_b32 s3, -1
                                        ; implicit-def: $vgpr2
.LBB384_1341:
	s_mov_b32 s15, 0
.LBB384_1342:
	s_delay_alu instid0(SALU_CYCLE_1)
	s_and_b32 vcc_lo, exec_lo, s15
	s_cbranch_vccz .LBB384_1346
; %bb.1343:
	v_cmp_eq_u16_e64 s3, s9, 29
	s_delay_alu instid0(VALU_DEP_1)
	s_and_b32 vcc_lo, exec_lo, s3
	s_cbranch_vccz .LBB384_1345
; %bb.1344:
	global_load_b64 v[2:3], v[0:1], off
	s_mov_b32 s3, 0
	s_mov_b32 s14, -1
	s_branch .LBB384_1346
.LBB384_1345:
	s_mov_b32 s3, -1
                                        ; implicit-def: $vgpr2
.LBB384_1346:
	s_mov_b32 s15, 0
.LBB384_1347:
	s_delay_alu instid0(SALU_CYCLE_1)
	s_and_b32 vcc_lo, exec_lo, s15
	s_cbranch_vccz .LBB384_1363
; %bb.1348:
	v_cmp_lt_i16_e64 s14, s9, 27
	s_delay_alu instid0(VALU_DEP_1)
	s_and_b32 vcc_lo, exec_lo, s14
	s_cbranch_vccnz .LBB384_1351
; %bb.1349:
	v_cmp_gt_i16_e64 s14, s9, 27
	s_delay_alu instid0(VALU_DEP_1)
	s_and_b32 vcc_lo, exec_lo, s14
	s_cbranch_vccz .LBB384_1352
; %bb.1350:
	global_load_b32 v2, v[0:1], off
	s_mov_b32 s14, 0
	s_branch .LBB384_1353
.LBB384_1351:
	s_mov_b32 s14, -1
                                        ; implicit-def: $vgpr2
	s_branch .LBB384_1356
.LBB384_1352:
	s_mov_b32 s14, -1
                                        ; implicit-def: $vgpr2
.LBB384_1353:
	s_delay_alu instid0(SALU_CYCLE_1)
	s_and_not1_b32 vcc_lo, exec_lo, s14
	s_cbranch_vccnz .LBB384_1355
; %bb.1354:
	global_load_u16 v2, v[0:1], off
.LBB384_1355:
	s_mov_b32 s14, 0
.LBB384_1356:
	s_delay_alu instid0(SALU_CYCLE_1)
	s_and_not1_b32 vcc_lo, exec_lo, s14
	s_cbranch_vccnz .LBB384_1362
; %bb.1357:
	global_load_u8 v3, v[0:1], off
	s_mov_b32 s14, 0
	s_mov_b32 s15, exec_lo
                                        ; implicit-def: $sgpr16
	s_waitcnt vmcnt(0)
	v_cmpx_lt_i16_e32 0x7f, v3
	s_xor_b32 s15, exec_lo, s15
	s_cbranch_execz .LBB384_1374
; %bb.1358:
	v_cmp_ne_u16_e32 vcc_lo, 0x80, v3
	s_mov_b32 s16, 0
	s_and_b32 s14, vcc_lo, exec_lo
	s_or_saveexec_b32 s15, s15
	v_mov_b32_e32 v2, s16
	s_xor_b32 exec_lo, exec_lo, s15
	s_cbranch_execnz .LBB384_1375
.LBB384_1359:
	s_or_b32 exec_lo, exec_lo, s15
	s_and_saveexec_b32 s15, s14
	s_cbranch_execz .LBB384_1361
.LBB384_1360:
	v_and_b32_e32 v2, 0xffff, v3
	v_lshlrev_b32_e32 v3, 24, v3
	s_delay_alu instid0(VALU_DEP_2) | instskip(NEXT) | instid1(VALU_DEP_2)
	v_and_b32_e32 v7, 7, v2
	v_and_b32_e32 v3, 0x80000000, v3
	s_delay_alu instid0(VALU_DEP_2) | instskip(NEXT) | instid1(VALU_DEP_1)
	v_clz_i32_u32_e32 v8, v7
	v_min_u32_e32 v8, 32, v8
	s_delay_alu instid0(VALU_DEP_1) | instskip(SKIP_1) | instid1(VALU_DEP_2)
	v_subrev_nc_u32_e32 v10, 28, v8
	v_sub_nc_u32_e32 v8, 29, v8
	v_lshlrev_b32_e32 v10, v10, v2
	v_bfe_u32 v2, v2, 3, 4
	s_delay_alu instid0(VALU_DEP_2) | instskip(NEXT) | instid1(VALU_DEP_2)
	v_and_b32_e32 v10, 7, v10
	v_cmp_eq_u32_e32 vcc_lo, 0, v2
	s_delay_alu instid0(VALU_DEP_2) | instskip(NEXT) | instid1(VALU_DEP_1)
	v_dual_cndmask_b32 v2, v2, v8 :: v_dual_cndmask_b32 v7, v7, v10
	v_lshl_add_u32 v2, v2, 23, 0x3b800000
	s_delay_alu instid0(VALU_DEP_2) | instskip(NEXT) | instid1(VALU_DEP_1)
	v_lshlrev_b32_e32 v7, 20, v7
	v_or3_b32 v2, v3, v2, v7
	s_delay_alu instid0(VALU_DEP_1)
	v_cvt_i32_f32_e32 v2, v2
.LBB384_1361:
	s_or_b32 exec_lo, exec_lo, s15
.LBB384_1362:
	s_mov_b32 s14, -1
.LBB384_1363:
	s_mov_b32 s15, 0
.LBB384_1364:
	s_delay_alu instid0(SALU_CYCLE_1)
	s_and_b32 vcc_lo, exec_lo, s15
	s_cbranch_vccz .LBB384_1395
; %bb.1365:
	v_cmp_gt_i16_e64 s13, s9, 22
	s_delay_alu instid0(VALU_DEP_1)
	s_and_b32 vcc_lo, exec_lo, s13
	s_cbranch_vccz .LBB384_1373
; %bb.1366:
	v_cmp_lt_i16_e64 s13, s9, 24
	s_delay_alu instid0(VALU_DEP_1)
	s_and_b32 vcc_lo, exec_lo, s13
	s_cbranch_vccnz .LBB384_1376
; %bb.1367:
	v_cmp_gt_i16_e64 s13, s9, 24
	s_delay_alu instid0(VALU_DEP_1)
	s_and_b32 vcc_lo, exec_lo, s13
	s_cbranch_vccz .LBB384_1377
; %bb.1368:
	global_load_u8 v3, v[0:1], off
	s_mov_b32 s13, 0
	s_mov_b32 s14, exec_lo
                                        ; implicit-def: $sgpr15
	s_waitcnt vmcnt(0)
	v_cmpx_lt_i16_e32 0x7f, v3
	s_xor_b32 s14, exec_lo, s14
	s_cbranch_execz .LBB384_1389
; %bb.1369:
	v_cmp_ne_u16_e32 vcc_lo, 0x80, v3
	s_mov_b32 s15, 0
	s_and_b32 s13, vcc_lo, exec_lo
	s_or_saveexec_b32 s14, s14
	v_mov_b32_e32 v2, s15
	s_xor_b32 exec_lo, exec_lo, s14
	s_cbranch_execnz .LBB384_1390
.LBB384_1370:
	s_or_b32 exec_lo, exec_lo, s14
	s_and_saveexec_b32 s14, s13
	s_cbranch_execz .LBB384_1372
.LBB384_1371:
	v_and_b32_e32 v2, 0xffff, v3
	v_lshlrev_b32_e32 v3, 24, v3
	s_delay_alu instid0(VALU_DEP_2) | instskip(NEXT) | instid1(VALU_DEP_2)
	v_and_b32_e32 v7, 3, v2
	v_and_b32_e32 v3, 0x80000000, v3
	s_delay_alu instid0(VALU_DEP_2) | instskip(NEXT) | instid1(VALU_DEP_1)
	v_clz_i32_u32_e32 v8, v7
	v_min_u32_e32 v8, 32, v8
	s_delay_alu instid0(VALU_DEP_1) | instskip(SKIP_1) | instid1(VALU_DEP_2)
	v_subrev_nc_u32_e32 v10, 29, v8
	v_sub_nc_u32_e32 v8, 30, v8
	v_lshlrev_b32_e32 v10, v10, v2
	v_bfe_u32 v2, v2, 2, 5
	s_delay_alu instid0(VALU_DEP_2) | instskip(NEXT) | instid1(VALU_DEP_2)
	v_and_b32_e32 v10, 3, v10
	v_cmp_eq_u32_e32 vcc_lo, 0, v2
	s_delay_alu instid0(VALU_DEP_2) | instskip(NEXT) | instid1(VALU_DEP_1)
	v_dual_cndmask_b32 v2, v2, v8 :: v_dual_cndmask_b32 v7, v7, v10
	v_lshl_add_u32 v2, v2, 23, 0x37800000
	s_delay_alu instid0(VALU_DEP_2) | instskip(NEXT) | instid1(VALU_DEP_1)
	v_lshlrev_b32_e32 v7, 21, v7
	v_or3_b32 v2, v3, v2, v7
	s_delay_alu instid0(VALU_DEP_1)
	v_cvt_i32_f32_e32 v2, v2
.LBB384_1372:
	s_or_b32 exec_lo, exec_lo, s14
	s_mov_b32 s13, 0
	s_branch .LBB384_1378
.LBB384_1373:
	s_mov_b32 s13, -1
                                        ; implicit-def: $vgpr2
	s_branch .LBB384_1384
.LBB384_1374:
	s_or_saveexec_b32 s15, s15
	v_mov_b32_e32 v2, s16
	s_xor_b32 exec_lo, exec_lo, s15
	s_cbranch_execz .LBB384_1359
.LBB384_1375:
	v_cmp_ne_u16_e32 vcc_lo, 0, v3
	v_mov_b32_e32 v2, 0
	s_and_not1_b32 s14, s14, exec_lo
	s_and_b32 s16, vcc_lo, exec_lo
	s_delay_alu instid0(SALU_CYCLE_1)
	s_or_b32 s14, s14, s16
	s_or_b32 exec_lo, exec_lo, s15
	s_and_saveexec_b32 s15, s14
	s_cbranch_execnz .LBB384_1360
	s_branch .LBB384_1361
.LBB384_1376:
	s_mov_b32 s13, -1
                                        ; implicit-def: $vgpr2
	s_branch .LBB384_1381
.LBB384_1377:
	s_mov_b32 s13, -1
                                        ; implicit-def: $vgpr2
.LBB384_1378:
	s_delay_alu instid0(SALU_CYCLE_1)
	s_and_b32 vcc_lo, exec_lo, s13
	s_cbranch_vccz .LBB384_1380
; %bb.1379:
	global_load_u8 v2, v[0:1], off
	s_waitcnt vmcnt(0)
	v_lshlrev_b32_e32 v2, 24, v2
	s_delay_alu instid0(VALU_DEP_1) | instskip(NEXT) | instid1(VALU_DEP_1)
	v_and_b32_e32 v3, 0x7f000000, v2
	v_clz_i32_u32_e32 v7, v3
	v_add_nc_u32_e32 v10, 0x1000000, v3
	v_cmp_ne_u32_e32 vcc_lo, 0, v3
	s_delay_alu instid0(VALU_DEP_3) | instskip(NEXT) | instid1(VALU_DEP_1)
	v_min_u32_e32 v7, 32, v7
	v_sub_nc_u32_e64 v7, v7, 4 clamp
	s_delay_alu instid0(VALU_DEP_1) | instskip(SKIP_1) | instid1(VALU_DEP_2)
	v_lshlrev_b32_e32 v8, v7, v3
	v_lshlrev_b32_e32 v7, 23, v7
	v_lshrrev_b32_e32 v8, 4, v8
	s_delay_alu instid0(VALU_DEP_1) | instskip(SKIP_1) | instid1(VALU_DEP_2)
	v_sub_nc_u32_e32 v7, v8, v7
	v_ashrrev_i32_e32 v8, 8, v10
	v_add_nc_u32_e32 v7, 0x3c000000, v7
	s_delay_alu instid0(VALU_DEP_1) | instskip(NEXT) | instid1(VALU_DEP_1)
	v_and_or_b32 v7, 0x7f800000, v8, v7
	v_cndmask_b32_e32 v3, 0, v7, vcc_lo
	s_delay_alu instid0(VALU_DEP_1) | instskip(NEXT) | instid1(VALU_DEP_1)
	v_and_or_b32 v2, 0x80000000, v2, v3
	v_cvt_i32_f32_e32 v2, v2
.LBB384_1380:
	s_mov_b32 s13, 0
.LBB384_1381:
	s_delay_alu instid0(SALU_CYCLE_1)
	s_and_not1_b32 vcc_lo, exec_lo, s13
	s_cbranch_vccnz .LBB384_1383
; %bb.1382:
	global_load_u8 v2, v[0:1], off
	s_waitcnt vmcnt(0)
	v_lshlrev_b32_e32 v3, 25, v2
	v_lshlrev_b16 v2, 8, v2
	s_delay_alu instid0(VALU_DEP_1) | instskip(SKIP_1) | instid1(VALU_DEP_2)
	v_and_or_b32 v8, 0x7f00, v2, 0.5
	v_bfe_i32 v2, v2, 0, 16
	v_add_f32_e32 v8, -0.5, v8
	v_lshrrev_b32_e32 v7, 4, v3
	v_cmp_gt_u32_e32 vcc_lo, 0x8000000, v3
	s_delay_alu instid0(VALU_DEP_2) | instskip(NEXT) | instid1(VALU_DEP_1)
	v_or_b32_e32 v7, 0x70000000, v7
	v_mul_f32_e32 v7, 0x7800000, v7
	s_delay_alu instid0(VALU_DEP_1) | instskip(NEXT) | instid1(VALU_DEP_1)
	v_cndmask_b32_e32 v3, v7, v8, vcc_lo
	v_and_or_b32 v2, 0x80000000, v2, v3
	s_delay_alu instid0(VALU_DEP_1)
	v_cvt_i32_f32_e32 v2, v2
.LBB384_1383:
	s_mov_b32 s13, 0
	s_mov_b32 s14, -1
.LBB384_1384:
	s_and_not1_b32 vcc_lo, exec_lo, s13
	s_mov_b32 s13, 0
	s_cbranch_vccnz .LBB384_1395
; %bb.1385:
	v_cmp_gt_i16_e64 s13, s9, 14
	s_delay_alu instid0(VALU_DEP_1)
	s_and_b32 vcc_lo, exec_lo, s13
	s_cbranch_vccz .LBB384_1388
; %bb.1386:
	v_cmp_eq_u16_e64 s3, s9, 15
	s_delay_alu instid0(VALU_DEP_1)
	s_and_b32 vcc_lo, exec_lo, s3
	s_cbranch_vccz .LBB384_1391
; %bb.1387:
	global_load_u16 v2, v[0:1], off
	s_mov_b32 s3, 0
	s_mov_b32 s14, -1
	s_waitcnt vmcnt(0)
	v_lshlrev_b32_e32 v2, 16, v2
	s_delay_alu instid0(VALU_DEP_1)
	v_cvt_i32_f32_e32 v2, v2
	s_branch .LBB384_1392
.LBB384_1388:
	s_mov_b32 s13, -1
                                        ; implicit-def: $vgpr2
	s_branch .LBB384_1393
.LBB384_1389:
	s_or_saveexec_b32 s14, s14
	v_mov_b32_e32 v2, s15
	s_xor_b32 exec_lo, exec_lo, s14
	s_cbranch_execz .LBB384_1370
.LBB384_1390:
	v_cmp_ne_u16_e32 vcc_lo, 0, v3
	v_mov_b32_e32 v2, 0
	s_and_not1_b32 s13, s13, exec_lo
	s_and_b32 s15, vcc_lo, exec_lo
	s_delay_alu instid0(SALU_CYCLE_1)
	s_or_b32 s13, s13, s15
	s_or_b32 exec_lo, exec_lo, s14
	s_and_saveexec_b32 s14, s13
	s_cbranch_execnz .LBB384_1371
	s_branch .LBB384_1372
.LBB384_1391:
	s_mov_b32 s3, -1
                                        ; implicit-def: $vgpr2
.LBB384_1392:
	s_mov_b32 s13, 0
.LBB384_1393:
	s_delay_alu instid0(SALU_CYCLE_1)
	s_and_b32 vcc_lo, exec_lo, s13
	s_mov_b32 s13, 0
	s_cbranch_vccz .LBB384_1395
; %bb.1394:
	v_cmp_ne_u16_e64 s3, s9, 11
	s_mov_b32 s13, -1
                                        ; implicit-def: $vgpr2
.LBB384_1395:
	s_delay_alu instid0(VALU_DEP_1)
	s_and_b32 vcc_lo, exec_lo, s3
	s_cbranch_vccnz .LBB384_1411
; %bb.1396:
	s_and_not1_b32 vcc_lo, exec_lo, s13
	s_cbranch_vccnz .LBB384_1398
.LBB384_1397:
	global_load_u8 v2, v[0:1], off
	s_mov_b32 s14, -1
	s_waitcnt vmcnt(0)
	v_cmp_ne_u16_e32 vcc_lo, 0, v2
	v_cndmask_b32_e64 v2, 0, 1, vcc_lo
.LBB384_1398:
.LBB384_1399:
	s_and_not1_b32 vcc_lo, exec_lo, s14
	s_cbranch_vccnz .LBB384_1963
.LBB384_1400:
	v_add_nc_u32_e32 v0, s0, v5
	v_cmp_lt_i16_e64 s0, s9, 11
	s_delay_alu instid0(VALU_DEP_2) | instskip(SKIP_1) | instid1(VALU_DEP_2)
	v_ashrrev_i32_e32 v1, 31, v0
	v_add_co_u32 v7, vcc_lo, s6, v0
	v_add_co_ci_u32_e32 v8, vcc_lo, s7, v1, vcc_lo
	s_delay_alu instid0(VALU_DEP_4)
	s_and_b32 vcc_lo, exec_lo, s0
	s_cbranch_vccnz .LBB384_1407
; %bb.1401:
	v_cmp_gt_i16_e64 s0, s9, 25
	s_mov_b32 s3, 0
	s_delay_alu instid0(VALU_DEP_1)
	s_and_b32 vcc_lo, exec_lo, s0
	s_cbranch_vccz .LBB384_1408
; %bb.1402:
	v_cmp_gt_i16_e64 s0, s9, 28
	s_delay_alu instid0(VALU_DEP_1)
	s_and_b32 vcc_lo, exec_lo, s0
	s_cbranch_vccz .LBB384_1409
; %bb.1403:
	v_cmp_gt_i16_e64 s0, s9, 43
	;; [unrolled: 5-line block ×3, first 2 shown]
	s_delay_alu instid0(VALU_DEP_1)
	s_and_b32 vcc_lo, exec_lo, s0
	s_cbranch_vccz .LBB384_1413
; %bb.1405:
	v_cmp_eq_u16_e64 s0, s9, 46
	s_mov_b32 s7, 0
	s_delay_alu instid0(VALU_DEP_1)
	s_and_b32 vcc_lo, exec_lo, s0
	s_cbranch_vccz .LBB384_1416
; %bb.1406:
	global_load_b32 v0, v[7:8], off
	s_mov_b32 s0, 0
	s_mov_b32 s6, -1
	s_waitcnt vmcnt(0)
	v_lshlrev_b32_e32 v0, 16, v0
	s_delay_alu instid0(VALU_DEP_1)
	v_cvt_i32_f32_e32 v0, v0
	s_branch .LBB384_1418
.LBB384_1407:
	s_mov_b32 s0, -1
	s_mov_b32 s6, 0
                                        ; implicit-def: $vgpr0
	s_branch .LBB384_1480
.LBB384_1408:
	s_mov_b32 s7, -1
	s_mov_b32 s6, 0
	s_mov_b32 s0, 0
                                        ; implicit-def: $vgpr0
	s_branch .LBB384_1445
.LBB384_1409:
	s_mov_b32 s7, -1
	s_mov_b32 s6, 0
	s_mov_b32 s0, 0
                                        ; implicit-def: $vgpr0
	s_branch .LBB384_1428
.LBB384_1410:
	s_mov_b32 s7, -1
	s_mov_b32 s6, 0
	s_mov_b32 s0, 0
                                        ; implicit-def: $vgpr0
	s_branch .LBB384_1423
.LBB384_1411:
	s_cbranch_execnz .LBB384_1414
; %bb.1412:
	s_or_b32 s10, s10, exec_lo
                                        ; implicit-def: $vgpr2
	s_cbranch_execz .LBB384_1397
	s_branch .LBB384_1398
.LBB384_1413:
	s_mov_b32 s7, -1
	s_mov_b32 s6, 0
	s_mov_b32 s0, 0
	s_branch .LBB384_1417
.LBB384_1414:
	s_trap 2
	s_sendmsg_rtn_b32 s0, sendmsg(MSG_RTN_GET_DOORBELL)
	s_mov_b32 ttmp2, m0
	s_waitcnt lgkmcnt(0)
	s_and_b32 s0, s0, 0x3ff
	s_delay_alu instid0(SALU_CYCLE_1) | instskip(NEXT) | instid1(SALU_CYCLE_1)
	s_bitset1_b32 s0, 10
	s_mov_b32 m0, s0
	s_sendmsg sendmsg(MSG_INTERRUPT)
	s_mov_b32 m0, ttmp2
.LBB384_1415:                           ; =>This Inner Loop Header: Depth=1
	s_sethalt 5
	s_branch .LBB384_1415
.LBB384_1416:
	s_mov_b32 s0, -1
	s_mov_b32 s6, 0
.LBB384_1417:
                                        ; implicit-def: $vgpr0
.LBB384_1418:
	s_and_b32 vcc_lo, exec_lo, s7
	s_cbranch_vccz .LBB384_1422
; %bb.1419:
	v_cmp_eq_u16_e64 s0, s9, 44
	s_delay_alu instid0(VALU_DEP_1)
	s_and_b32 vcc_lo, exec_lo, s0
	s_cbranch_vccz .LBB384_1421
; %bb.1420:
	global_load_u8 v0, v[7:8], off
	s_mov_b32 s0, 0
	s_mov_b32 s6, -1
	s_waitcnt vmcnt(0)
	v_lshlrev_b32_e32 v1, 23, v0
	v_cmp_ne_u32_e32 vcc_lo, 0, v0
	s_delay_alu instid0(VALU_DEP_2) | instskip(NEXT) | instid1(VALU_DEP_1)
	v_cvt_i32_f32_e32 v1, v1
	v_cndmask_b32_e32 v0, 0, v1, vcc_lo
	s_branch .LBB384_1422
.LBB384_1421:
	s_mov_b32 s0, -1
                                        ; implicit-def: $vgpr0
.LBB384_1422:
	s_mov_b32 s7, 0
.LBB384_1423:
	s_delay_alu instid0(SALU_CYCLE_1)
	s_and_b32 vcc_lo, exec_lo, s7
	s_cbranch_vccz .LBB384_1427
; %bb.1424:
	v_cmp_eq_u16_e64 s0, s9, 29
	s_delay_alu instid0(VALU_DEP_1)
	s_and_b32 vcc_lo, exec_lo, s0
	s_cbranch_vccz .LBB384_1426
; %bb.1425:
	global_load_b64 v[0:1], v[7:8], off
	s_mov_b32 s0, 0
	s_mov_b32 s6, -1
	s_branch .LBB384_1427
.LBB384_1426:
	s_mov_b32 s0, -1
                                        ; implicit-def: $vgpr0
.LBB384_1427:
	s_mov_b32 s7, 0
.LBB384_1428:
	s_delay_alu instid0(SALU_CYCLE_1)
	s_and_b32 vcc_lo, exec_lo, s7
	s_cbranch_vccz .LBB384_1444
; %bb.1429:
	v_cmp_lt_i16_e64 s6, s9, 27
	s_delay_alu instid0(VALU_DEP_1)
	s_and_b32 vcc_lo, exec_lo, s6
	s_cbranch_vccnz .LBB384_1432
; %bb.1430:
	v_cmp_gt_i16_e64 s6, s9, 27
	s_delay_alu instid0(VALU_DEP_1)
	s_and_b32 vcc_lo, exec_lo, s6
	s_cbranch_vccz .LBB384_1433
; %bb.1431:
	global_load_b32 v0, v[7:8], off
	s_mov_b32 s6, 0
	s_branch .LBB384_1434
.LBB384_1432:
	s_mov_b32 s6, -1
                                        ; implicit-def: $vgpr0
	s_branch .LBB384_1437
.LBB384_1433:
	s_mov_b32 s6, -1
                                        ; implicit-def: $vgpr0
.LBB384_1434:
	s_delay_alu instid0(SALU_CYCLE_1)
	s_and_not1_b32 vcc_lo, exec_lo, s6
	s_cbranch_vccnz .LBB384_1436
; %bb.1435:
	global_load_u16 v0, v[7:8], off
.LBB384_1436:
	s_mov_b32 s6, 0
.LBB384_1437:
	s_delay_alu instid0(SALU_CYCLE_1)
	s_and_not1_b32 vcc_lo, exec_lo, s6
	s_cbranch_vccnz .LBB384_1443
; %bb.1438:
	global_load_u8 v1, v[7:8], off
	s_mov_b32 s6, 0
	s_mov_b32 s7, exec_lo
                                        ; implicit-def: $sgpr13
	s_waitcnt vmcnt(0)
	v_cmpx_lt_i16_e32 0x7f, v1
	s_xor_b32 s7, exec_lo, s7
	s_cbranch_execz .LBB384_1455
; %bb.1439:
	v_cmp_ne_u16_e32 vcc_lo, 0x80, v1
	s_mov_b32 s13, 0
	s_and_b32 s6, vcc_lo, exec_lo
	s_or_saveexec_b32 s7, s7
	v_mov_b32_e32 v0, s13
	s_xor_b32 exec_lo, exec_lo, s7
	s_cbranch_execnz .LBB384_1456
.LBB384_1440:
	s_or_b32 exec_lo, exec_lo, s7
	s_and_saveexec_b32 s7, s6
	s_cbranch_execz .LBB384_1442
.LBB384_1441:
	v_and_b32_e32 v0, 0xffff, v1
	v_lshlrev_b32_e32 v1, 24, v1
	s_delay_alu instid0(VALU_DEP_2) | instskip(NEXT) | instid1(VALU_DEP_2)
	v_and_b32_e32 v3, 7, v0
	v_and_b32_e32 v1, 0x80000000, v1
	s_delay_alu instid0(VALU_DEP_2) | instskip(NEXT) | instid1(VALU_DEP_1)
	v_clz_i32_u32_e32 v5, v3
	v_min_u32_e32 v5, 32, v5
	s_delay_alu instid0(VALU_DEP_1) | instskip(SKIP_1) | instid1(VALU_DEP_2)
	v_subrev_nc_u32_e32 v10, 28, v5
	v_sub_nc_u32_e32 v5, 29, v5
	v_lshlrev_b32_e32 v10, v10, v0
	v_bfe_u32 v0, v0, 3, 4
	s_delay_alu instid0(VALU_DEP_2) | instskip(NEXT) | instid1(VALU_DEP_2)
	v_and_b32_e32 v10, 7, v10
	v_cmp_eq_u32_e32 vcc_lo, 0, v0
	s_delay_alu instid0(VALU_DEP_2) | instskip(NEXT) | instid1(VALU_DEP_1)
	v_dual_cndmask_b32 v0, v0, v5 :: v_dual_cndmask_b32 v3, v3, v10
	v_lshl_add_u32 v0, v0, 23, 0x3b800000
	s_delay_alu instid0(VALU_DEP_2) | instskip(NEXT) | instid1(VALU_DEP_1)
	v_lshlrev_b32_e32 v3, 20, v3
	v_or3_b32 v0, v1, v0, v3
	s_delay_alu instid0(VALU_DEP_1)
	v_cvt_i32_f32_e32 v0, v0
.LBB384_1442:
	s_or_b32 exec_lo, exec_lo, s7
.LBB384_1443:
	s_mov_b32 s6, -1
.LBB384_1444:
	s_mov_b32 s7, 0
.LBB384_1445:
	s_delay_alu instid0(SALU_CYCLE_1)
	s_and_b32 vcc_lo, exec_lo, s7
	s_cbranch_vccz .LBB384_1476
; %bb.1446:
	v_cmp_gt_i16_e64 s3, s9, 22
	s_delay_alu instid0(VALU_DEP_1)
	s_and_b32 vcc_lo, exec_lo, s3
	s_cbranch_vccz .LBB384_1454
; %bb.1447:
	v_cmp_lt_i16_e64 s3, s9, 24
	s_delay_alu instid0(VALU_DEP_1)
	s_and_b32 vcc_lo, exec_lo, s3
	s_cbranch_vccnz .LBB384_1457
; %bb.1448:
	v_cmp_gt_i16_e64 s3, s9, 24
	s_delay_alu instid0(VALU_DEP_1)
	s_and_b32 vcc_lo, exec_lo, s3
	s_cbranch_vccz .LBB384_1458
; %bb.1449:
	global_load_u8 v1, v[7:8], off
	s_mov_b32 s3, 0
	s_mov_b32 s6, exec_lo
                                        ; implicit-def: $sgpr7
	s_waitcnt vmcnt(0)
	v_cmpx_lt_i16_e32 0x7f, v1
	s_xor_b32 s6, exec_lo, s6
	s_cbranch_execz .LBB384_1470
; %bb.1450:
	v_cmp_ne_u16_e32 vcc_lo, 0x80, v1
	s_mov_b32 s7, 0
	s_and_b32 s3, vcc_lo, exec_lo
	s_or_saveexec_b32 s6, s6
	v_mov_b32_e32 v0, s7
	s_xor_b32 exec_lo, exec_lo, s6
	s_cbranch_execnz .LBB384_1471
.LBB384_1451:
	s_or_b32 exec_lo, exec_lo, s6
	s_and_saveexec_b32 s6, s3
	s_cbranch_execz .LBB384_1453
.LBB384_1452:
	v_and_b32_e32 v0, 0xffff, v1
	v_lshlrev_b32_e32 v1, 24, v1
	s_delay_alu instid0(VALU_DEP_2) | instskip(NEXT) | instid1(VALU_DEP_2)
	v_and_b32_e32 v3, 3, v0
	v_and_b32_e32 v1, 0x80000000, v1
	s_delay_alu instid0(VALU_DEP_2) | instskip(NEXT) | instid1(VALU_DEP_1)
	v_clz_i32_u32_e32 v5, v3
	v_min_u32_e32 v5, 32, v5
	s_delay_alu instid0(VALU_DEP_1) | instskip(SKIP_1) | instid1(VALU_DEP_2)
	v_subrev_nc_u32_e32 v10, 29, v5
	v_sub_nc_u32_e32 v5, 30, v5
	v_lshlrev_b32_e32 v10, v10, v0
	v_bfe_u32 v0, v0, 2, 5
	s_delay_alu instid0(VALU_DEP_2) | instskip(NEXT) | instid1(VALU_DEP_2)
	v_and_b32_e32 v10, 3, v10
	v_cmp_eq_u32_e32 vcc_lo, 0, v0
	s_delay_alu instid0(VALU_DEP_2) | instskip(NEXT) | instid1(VALU_DEP_1)
	v_dual_cndmask_b32 v0, v0, v5 :: v_dual_cndmask_b32 v3, v3, v10
	v_lshl_add_u32 v0, v0, 23, 0x37800000
	s_delay_alu instid0(VALU_DEP_2) | instskip(NEXT) | instid1(VALU_DEP_1)
	v_lshlrev_b32_e32 v3, 21, v3
	v_or3_b32 v0, v1, v0, v3
	s_delay_alu instid0(VALU_DEP_1)
	v_cvt_i32_f32_e32 v0, v0
.LBB384_1453:
	s_or_b32 exec_lo, exec_lo, s6
	s_mov_b32 s3, 0
	s_branch .LBB384_1459
.LBB384_1454:
	s_mov_b32 s3, -1
                                        ; implicit-def: $vgpr0
	s_branch .LBB384_1465
.LBB384_1455:
	s_or_saveexec_b32 s7, s7
	v_mov_b32_e32 v0, s13
	s_xor_b32 exec_lo, exec_lo, s7
	s_cbranch_execz .LBB384_1440
.LBB384_1456:
	v_cmp_ne_u16_e32 vcc_lo, 0, v1
	v_mov_b32_e32 v0, 0
	s_and_not1_b32 s6, s6, exec_lo
	s_and_b32 s13, vcc_lo, exec_lo
	s_delay_alu instid0(SALU_CYCLE_1)
	s_or_b32 s6, s6, s13
	s_or_b32 exec_lo, exec_lo, s7
	s_and_saveexec_b32 s7, s6
	s_cbranch_execnz .LBB384_1441
	s_branch .LBB384_1442
.LBB384_1457:
	s_mov_b32 s3, -1
                                        ; implicit-def: $vgpr0
	s_branch .LBB384_1462
.LBB384_1458:
	s_mov_b32 s3, -1
                                        ; implicit-def: $vgpr0
.LBB384_1459:
	s_delay_alu instid0(SALU_CYCLE_1)
	s_and_b32 vcc_lo, exec_lo, s3
	s_cbranch_vccz .LBB384_1461
; %bb.1460:
	global_load_u8 v0, v[7:8], off
	s_waitcnt vmcnt(0)
	v_lshlrev_b32_e32 v0, 24, v0
	s_delay_alu instid0(VALU_DEP_1) | instskip(NEXT) | instid1(VALU_DEP_1)
	v_and_b32_e32 v1, 0x7f000000, v0
	v_clz_i32_u32_e32 v3, v1
	v_add_nc_u32_e32 v10, 0x1000000, v1
	v_cmp_ne_u32_e32 vcc_lo, 0, v1
	s_delay_alu instid0(VALU_DEP_3) | instskip(NEXT) | instid1(VALU_DEP_1)
	v_min_u32_e32 v3, 32, v3
	v_sub_nc_u32_e64 v3, v3, 4 clamp
	s_delay_alu instid0(VALU_DEP_1) | instskip(SKIP_1) | instid1(VALU_DEP_2)
	v_lshlrev_b32_e32 v5, v3, v1
	v_lshlrev_b32_e32 v3, 23, v3
	v_lshrrev_b32_e32 v5, 4, v5
	s_delay_alu instid0(VALU_DEP_1) | instskip(SKIP_1) | instid1(VALU_DEP_2)
	v_sub_nc_u32_e32 v3, v5, v3
	v_ashrrev_i32_e32 v5, 8, v10
	v_add_nc_u32_e32 v3, 0x3c000000, v3
	s_delay_alu instid0(VALU_DEP_1) | instskip(NEXT) | instid1(VALU_DEP_1)
	v_and_or_b32 v3, 0x7f800000, v5, v3
	v_cndmask_b32_e32 v1, 0, v3, vcc_lo
	s_delay_alu instid0(VALU_DEP_1) | instskip(NEXT) | instid1(VALU_DEP_1)
	v_and_or_b32 v0, 0x80000000, v0, v1
	v_cvt_i32_f32_e32 v0, v0
.LBB384_1461:
	s_mov_b32 s3, 0
.LBB384_1462:
	s_delay_alu instid0(SALU_CYCLE_1)
	s_and_not1_b32 vcc_lo, exec_lo, s3
	s_cbranch_vccnz .LBB384_1464
; %bb.1463:
	global_load_u8 v0, v[7:8], off
	s_waitcnt vmcnt(0)
	v_lshlrev_b32_e32 v1, 25, v0
	v_lshlrev_b16 v0, 8, v0
	s_delay_alu instid0(VALU_DEP_2) | instskip(NEXT) | instid1(VALU_DEP_2)
	v_lshrrev_b32_e32 v3, 4, v1
	v_and_or_b32 v5, 0x7f00, v0, 0.5
	v_cmp_gt_u32_e32 vcc_lo, 0x8000000, v1
	v_bfe_i32 v0, v0, 0, 16
	s_delay_alu instid0(VALU_DEP_4) | instskip(NEXT) | instid1(VALU_DEP_4)
	v_or_b32_e32 v3, 0x70000000, v3
	v_add_f32_e32 v5, -0.5, v5
	s_delay_alu instid0(VALU_DEP_2) | instskip(NEXT) | instid1(VALU_DEP_1)
	v_mul_f32_e32 v3, 0x7800000, v3
	v_cndmask_b32_e32 v1, v3, v5, vcc_lo
	s_delay_alu instid0(VALU_DEP_1) | instskip(NEXT) | instid1(VALU_DEP_1)
	v_and_or_b32 v0, 0x80000000, v0, v1
	v_cvt_i32_f32_e32 v0, v0
.LBB384_1464:
	s_mov_b32 s3, 0
	s_mov_b32 s6, -1
.LBB384_1465:
	s_and_not1_b32 vcc_lo, exec_lo, s3
	s_mov_b32 s3, 0
	s_cbranch_vccnz .LBB384_1476
; %bb.1466:
	v_cmp_gt_i16_e64 s3, s9, 14
	s_delay_alu instid0(VALU_DEP_1)
	s_and_b32 vcc_lo, exec_lo, s3
	s_cbranch_vccz .LBB384_1469
; %bb.1467:
	v_cmp_eq_u16_e64 s0, s9, 15
	s_delay_alu instid0(VALU_DEP_1)
	s_and_b32 vcc_lo, exec_lo, s0
	s_cbranch_vccz .LBB384_1472
; %bb.1468:
	global_load_u16 v0, v[7:8], off
	s_mov_b32 s0, 0
	s_mov_b32 s6, -1
	s_waitcnt vmcnt(0)
	v_lshlrev_b32_e32 v0, 16, v0
	s_delay_alu instid0(VALU_DEP_1)
	v_cvt_i32_f32_e32 v0, v0
	s_branch .LBB384_1473
.LBB384_1469:
	s_mov_b32 s3, -1
                                        ; implicit-def: $vgpr0
	s_branch .LBB384_1474
.LBB384_1470:
	s_or_saveexec_b32 s6, s6
	v_mov_b32_e32 v0, s7
	s_xor_b32 exec_lo, exec_lo, s6
	s_cbranch_execz .LBB384_1451
.LBB384_1471:
	v_cmp_ne_u16_e32 vcc_lo, 0, v1
	v_mov_b32_e32 v0, 0
	s_and_not1_b32 s3, s3, exec_lo
	s_and_b32 s7, vcc_lo, exec_lo
	s_delay_alu instid0(SALU_CYCLE_1)
	s_or_b32 s3, s3, s7
	s_or_b32 exec_lo, exec_lo, s6
	s_and_saveexec_b32 s6, s3
	s_cbranch_execnz .LBB384_1452
	s_branch .LBB384_1453
.LBB384_1472:
	s_mov_b32 s0, -1
                                        ; implicit-def: $vgpr0
.LBB384_1473:
	s_mov_b32 s3, 0
.LBB384_1474:
	s_delay_alu instid0(SALU_CYCLE_1)
	s_and_b32 vcc_lo, exec_lo, s3
	s_mov_b32 s3, 0
	s_cbranch_vccz .LBB384_1476
; %bb.1475:
	v_cmp_ne_u16_e64 s0, s9, 11
	s_mov_b32 s3, -1
                                        ; implicit-def: $vgpr0
.LBB384_1476:
	s_delay_alu instid0(VALU_DEP_1)
	s_and_b32 vcc_lo, exec_lo, s0
	s_cbranch_vccnz .LBB384_2009
; %bb.1477:
	s_and_not1_b32 vcc_lo, exec_lo, s3
	s_cbranch_vccnz .LBB384_1479
.LBB384_1478:
	global_load_u8 v0, v[7:8], off
	s_mov_b32 s6, -1
	s_waitcnt vmcnt(0)
	v_cmp_ne_u16_e32 vcc_lo, 0, v0
	v_cndmask_b32_e64 v0, 0, 1, vcc_lo
.LBB384_1479:
	s_mov_b32 s0, 0
.LBB384_1480:
	s_delay_alu instid0(SALU_CYCLE_1)
	s_and_b32 vcc_lo, exec_lo, s0
	s_cbranch_vccz .LBB384_1529
; %bb.1481:
	v_cmp_lt_i16_e64 s0, s9, 5
	s_delay_alu instid0(VALU_DEP_1)
	s_and_b32 vcc_lo, exec_lo, s0
	s_cbranch_vccnz .LBB384_1486
; %bb.1482:
	v_cmp_lt_i16_e64 s0, s9, 8
	s_delay_alu instid0(VALU_DEP_1)
	s_and_b32 vcc_lo, exec_lo, s0
	s_cbranch_vccnz .LBB384_1487
	;; [unrolled: 5-line block ×3, first 2 shown]
; %bb.1484:
	v_cmp_gt_i16_e64 s0, s9, 9
	s_delay_alu instid0(VALU_DEP_1)
	s_and_b32 vcc_lo, exec_lo, s0
	s_cbranch_vccz .LBB384_1489
; %bb.1485:
	global_load_b64 v[0:1], v[7:8], off
	s_mov_b32 s0, 0
	s_waitcnt vmcnt(0)
	v_cvt_i32_f64_e32 v0, v[0:1]
	s_branch .LBB384_1490
.LBB384_1486:
	s_mov_b32 s0, -1
                                        ; implicit-def: $vgpr0
	s_branch .LBB384_1508
.LBB384_1487:
	s_mov_b32 s0, -1
                                        ; implicit-def: $vgpr0
	s_branch .LBB384_1496
.LBB384_1488:
	s_mov_b32 s0, -1
                                        ; implicit-def: $vgpr0
	s_branch .LBB384_1493
.LBB384_1489:
	s_mov_b32 s0, -1
                                        ; implicit-def: $vgpr0
.LBB384_1490:
	s_delay_alu instid0(SALU_CYCLE_1)
	s_and_not1_b32 vcc_lo, exec_lo, s0
	s_cbranch_vccnz .LBB384_1492
; %bb.1491:
	global_load_b32 v0, v[7:8], off
	s_waitcnt vmcnt(0)
	v_cvt_i32_f32_e32 v0, v0
.LBB384_1492:
	s_mov_b32 s0, 0
.LBB384_1493:
	s_delay_alu instid0(SALU_CYCLE_1)
	s_and_not1_b32 vcc_lo, exec_lo, s0
	s_cbranch_vccnz .LBB384_1495
; %bb.1494:
	global_load_b32 v0, v[7:8], off
	s_waitcnt vmcnt(0)
	v_cvt_i16_f16_e32 v0, v0
.LBB384_1495:
	s_mov_b32 s0, 0
.LBB384_1496:
	s_delay_alu instid0(SALU_CYCLE_1)
	s_and_not1_b32 vcc_lo, exec_lo, s0
	s_cbranch_vccnz .LBB384_1507
; %bb.1497:
	v_cmp_lt_i16_e64 s0, s9, 6
	s_delay_alu instid0(VALU_DEP_1)
	s_and_b32 vcc_lo, exec_lo, s0
	s_cbranch_vccnz .LBB384_1500
; %bb.1498:
	v_cmp_gt_i16_e64 s0, s9, 6
	s_delay_alu instid0(VALU_DEP_1)
	s_and_b32 vcc_lo, exec_lo, s0
	s_cbranch_vccz .LBB384_1501
; %bb.1499:
	global_load_b64 v[0:1], v[7:8], off
	s_mov_b32 s0, 0
	s_waitcnt vmcnt(0)
	v_cvt_i32_f64_e32 v0, v[0:1]
	s_branch .LBB384_1502
.LBB384_1500:
	s_mov_b32 s0, -1
                                        ; implicit-def: $vgpr0
	s_branch .LBB384_1505
.LBB384_1501:
	s_mov_b32 s0, -1
                                        ; implicit-def: $vgpr0
.LBB384_1502:
	s_delay_alu instid0(SALU_CYCLE_1)
	s_and_not1_b32 vcc_lo, exec_lo, s0
	s_cbranch_vccnz .LBB384_1504
; %bb.1503:
	global_load_b32 v0, v[7:8], off
	s_waitcnt vmcnt(0)
	v_cvt_i32_f32_e32 v0, v0
.LBB384_1504:
	s_mov_b32 s0, 0
.LBB384_1505:
	s_delay_alu instid0(SALU_CYCLE_1)
	s_and_not1_b32 vcc_lo, exec_lo, s0
	s_cbranch_vccnz .LBB384_1507
; %bb.1506:
	global_load_u16 v0, v[7:8], off
	s_waitcnt vmcnt(0)
	v_cvt_i16_f16_e32 v0, v0
.LBB384_1507:
	s_mov_b32 s0, 0
.LBB384_1508:
	s_delay_alu instid0(SALU_CYCLE_1)
	s_and_not1_b32 vcc_lo, exec_lo, s0
	s_cbranch_vccnz .LBB384_1528
; %bb.1509:
	v_cmp_lt_i16_e64 s0, s9, 2
	s_delay_alu instid0(VALU_DEP_1)
	s_and_b32 vcc_lo, exec_lo, s0
	s_cbranch_vccnz .LBB384_1513
; %bb.1510:
	v_cmp_lt_i16_e64 s0, s9, 3
	s_delay_alu instid0(VALU_DEP_1)
	s_and_b32 vcc_lo, exec_lo, s0
	s_cbranch_vccnz .LBB384_1514
; %bb.1511:
	v_cmp_gt_i16_e64 s0, s9, 3
	s_delay_alu instid0(VALU_DEP_1)
	s_and_b32 vcc_lo, exec_lo, s0
	s_cbranch_vccz .LBB384_1515
; %bb.1512:
	global_load_b64 v[0:1], v[7:8], off
	s_mov_b32 s0, 0
	s_branch .LBB384_1516
.LBB384_1513:
	s_mov_b32 s0, -1
                                        ; implicit-def: $vgpr0
	s_branch .LBB384_1522
.LBB384_1514:
	s_mov_b32 s0, -1
                                        ; implicit-def: $vgpr0
	s_branch .LBB384_1519
.LBB384_1515:
	s_mov_b32 s0, -1
                                        ; implicit-def: $vgpr0
.LBB384_1516:
	s_delay_alu instid0(SALU_CYCLE_1)
	s_and_not1_b32 vcc_lo, exec_lo, s0
	s_cbranch_vccnz .LBB384_1518
; %bb.1517:
	global_load_b32 v0, v[7:8], off
.LBB384_1518:
	s_mov_b32 s0, 0
.LBB384_1519:
	s_delay_alu instid0(SALU_CYCLE_1)
	s_and_not1_b32 vcc_lo, exec_lo, s0
	s_cbranch_vccnz .LBB384_1521
; %bb.1520:
	global_load_u16 v0, v[7:8], off
.LBB384_1521:
	s_mov_b32 s0, 0
.LBB384_1522:
	s_delay_alu instid0(SALU_CYCLE_1)
	s_and_not1_b32 vcc_lo, exec_lo, s0
	s_cbranch_vccnz .LBB384_1528
; %bb.1523:
	v_cmp_gt_i16_e64 s0, s9, 0
	s_delay_alu instid0(VALU_DEP_1)
	s_and_b32 vcc_lo, exec_lo, s0
	s_mov_b32 s0, 0
	s_cbranch_vccz .LBB384_1525
; %bb.1524:
	global_load_i8 v0, v[7:8], off
	s_branch .LBB384_1526
.LBB384_1525:
	s_mov_b32 s0, -1
                                        ; implicit-def: $vgpr0
.LBB384_1526:
	s_delay_alu instid0(SALU_CYCLE_1)
	s_and_not1_b32 vcc_lo, exec_lo, s0
	s_cbranch_vccnz .LBB384_1528
; %bb.1527:
	global_load_u8 v0, v[7:8], off
.LBB384_1528:
	s_mov_b32 s6, -1
.LBB384_1529:
	s_delay_alu instid0(SALU_CYCLE_1)
	s_and_not1_b32 vcc_lo, exec_lo, s6
	s_cbranch_vccnz .LBB384_1963
; %bb.1530:
	s_waitcnt vmcnt(0)
	v_mul_lo_u32 v1, s2, v9
	v_and_b32_e64 v7, 0xff, s1
	v_max_i16 v3, v6, s8
	s_delay_alu instid0(VALU_DEP_2) | instskip(NEXT) | instid1(VALU_DEP_4)
	v_cmp_gt_i16_e32 vcc_lo, 11, v7
	v_ashrrev_i32_e32 v6, 31, v1
	v_add_co_u32 v5, s0, s4, v1
	s_delay_alu instid0(VALU_DEP_1)
	v_add_co_ci_u32_e64 v6, s0, s5, v6, s0
	s_cbranch_vccnz .LBB384_1608
; %bb.1531:
	v_cmp_lt_i16_e32 vcc_lo, 25, v7
	s_mov_b32 s6, -1
	s_mov_b32 s1, 0
	s_mov_b32 s3, 0
	s_mov_b32 s0, 0
	s_cbranch_vccz .LBB384_1564
; %bb.1532:
	v_cmp_lt_i16_e32 vcc_lo, 28, v7
	s_cbranch_vccz .LBB384_1547
; %bb.1533:
	v_cmp_lt_i16_e32 vcc_lo, 43, v7
	;; [unrolled: 3-line block ×3, first 2 shown]
	s_cbranch_vccz .LBB384_1537
; %bb.1535:
	v_cmp_eq_u16_e32 vcc_lo, 46, v7
	s_mov_b32 s0, -1
	s_mov_b32 s6, 0
	s_cbranch_vccz .LBB384_1537
; %bb.1536:
	v_bfe_i32 v8, v3, 0, 16
	s_mov_b32 s0, 0
	s_mov_b32 s3, -1
	s_delay_alu instid0(VALU_DEP_1) | instskip(NEXT) | instid1(VALU_DEP_1)
	v_cvt_f32_i32_e32 v8, v8
	v_bfe_u32 v9, v8, 16, 1
	s_delay_alu instid0(VALU_DEP_1) | instskip(NEXT) | instid1(VALU_DEP_1)
	v_add3_u32 v8, v8, v9, 0x7fff
	v_lshrrev_b32_e32 v8, 16, v8
	global_store_b32 v[5:6], v8, off
.LBB384_1537:
	s_and_b32 vcc_lo, exec_lo, s6
	s_cbranch_vccz .LBB384_1542
; %bb.1538:
	v_cmp_eq_u16_e32 vcc_lo, 44, v7
	s_mov_b32 s0, -1
	s_cbranch_vccz .LBB384_1542
; %bb.1539:
	v_bfe_i32 v8, v3, 0, 16
	v_mov_b32_e32 v9, 0xff
	s_mov_b32 s3, exec_lo
	s_delay_alu instid0(VALU_DEP_2) | instskip(NEXT) | instid1(VALU_DEP_1)
	v_cvt_f32_i32_e32 v8, v8
	v_bfe_u32 v10, v8, 23, 8
	s_delay_alu instid0(VALU_DEP_1)
	v_cmpx_ne_u32_e32 0xff, v10
; %bb.1540:
	v_and_b32_e32 v9, 0x400000, v8
	v_and_or_b32 v10, 0x3fffff, v8, v10
	v_lshrrev_b32_e32 v8, 23, v8
	s_delay_alu instid0(VALU_DEP_3) | instskip(NEXT) | instid1(VALU_DEP_3)
	v_cmp_ne_u32_e32 vcc_lo, 0, v9
	v_cmp_ne_u32_e64 s0, 0, v10
	s_delay_alu instid0(VALU_DEP_1) | instskip(NEXT) | instid1(SALU_CYCLE_1)
	s_and_b32 s0, vcc_lo, s0
	v_cndmask_b32_e64 v9, 0, 1, s0
	s_delay_alu instid0(VALU_DEP_1)
	v_add_nc_u32_e32 v9, v8, v9
; %bb.1541:
	s_or_b32 exec_lo, exec_lo, s3
	s_mov_b32 s0, 0
	s_mov_b32 s3, -1
	global_store_b8 v[5:6], v9, off
.LBB384_1542:
	s_mov_b32 s6, 0
.LBB384_1543:
	s_delay_alu instid0(SALU_CYCLE_1)
	s_and_b32 vcc_lo, exec_lo, s6
	s_cbranch_vccz .LBB384_1546
; %bb.1544:
	v_cmp_eq_u16_e32 vcc_lo, 29, v7
	s_mov_b32 s0, -1
	s_cbranch_vccz .LBB384_1546
; %bb.1545:
	v_bfe_i32 v8, v3, 0, 16
	s_mov_b32 s0, 0
	s_mov_b32 s3, -1
	s_delay_alu instid0(VALU_DEP_1)
	v_ashrrev_i32_e32 v9, 31, v8
	global_store_b64 v[5:6], v[8:9], off
.LBB384_1546:
	s_mov_b32 s6, 0
.LBB384_1547:
	s_delay_alu instid0(SALU_CYCLE_1)
	s_and_b32 vcc_lo, exec_lo, s6
	s_cbranch_vccz .LBB384_1563
; %bb.1548:
	v_cmp_gt_i16_e32 vcc_lo, 27, v7
	s_mov_b32 s3, -1
	s_cbranch_vccnz .LBB384_1554
; %bb.1549:
	v_cmp_lt_i16_e32 vcc_lo, 27, v7
	s_cbranch_vccz .LBB384_1551
; %bb.1550:
	v_bfe_i32 v8, v3, 0, 16
	s_mov_b32 s3, 0
	global_store_b32 v[5:6], v8, off
.LBB384_1551:
	s_and_not1_b32 vcc_lo, exec_lo, s3
	s_cbranch_vccnz .LBB384_1553
; %bb.1552:
	global_store_b16 v[5:6], v3, off
.LBB384_1553:
	s_mov_b32 s3, 0
.LBB384_1554:
	s_delay_alu instid0(SALU_CYCLE_1)
	s_and_not1_b32 vcc_lo, exec_lo, s3
	s_cbranch_vccnz .LBB384_1562
; %bb.1555:
	v_bfe_i32 v8, v3, 0, 16
	v_mov_b32_e32 v10, 0x80
	s_mov_b32 s3, exec_lo
	s_delay_alu instid0(VALU_DEP_2) | instskip(NEXT) | instid1(VALU_DEP_1)
	v_cvt_f32_i32_e32 v8, v8
	v_and_b32_e32 v9, 0x7fffffff, v8
	s_delay_alu instid0(VALU_DEP_1)
	v_cmpx_gt_u32_e32 0x43800000, v9
	s_cbranch_execz .LBB384_1561
; %bb.1556:
	v_cmp_lt_u32_e32 vcc_lo, 0x3bffffff, v9
	s_mov_b32 s6, 0
                                        ; implicit-def: $vgpr9
	s_and_saveexec_b32 s7, vcc_lo
	s_delay_alu instid0(SALU_CYCLE_1)
	s_xor_b32 s7, exec_lo, s7
	s_cbranch_execz .LBB384_2011
; %bb.1557:
	v_bfe_u32 v9, v8, 20, 1
	s_mov_b32 s6, exec_lo
	s_delay_alu instid0(VALU_DEP_1) | instskip(NEXT) | instid1(VALU_DEP_1)
	v_add3_u32 v9, v8, v9, 0x487ffff
	v_lshrrev_b32_e32 v9, 20, v9
	s_or_saveexec_b32 s7, s7
                                        ; implicit-def: $sgpr9
	s_delay_alu instid0(SALU_CYCLE_1)
	s_xor_b32 exec_lo, exec_lo, s7
	s_cbranch_execnz .LBB384_2012
.LBB384_1558:
	s_or_b32 exec_lo, exec_lo, s7
	v_mov_b32_e32 v10, s9
	s_and_saveexec_b32 s7, s6
.LBB384_1559:
	v_lshrrev_b32_e32 v8, 24, v8
	s_delay_alu instid0(VALU_DEP_1)
	v_and_or_b32 v10, 0x80, v8, v9
.LBB384_1560:
	s_or_b32 exec_lo, exec_lo, s7
.LBB384_1561:
	s_delay_alu instid0(SALU_CYCLE_1)
	s_or_b32 exec_lo, exec_lo, s3
	global_store_b8 v[5:6], v10, off
.LBB384_1562:
	s_mov_b32 s3, -1
.LBB384_1563:
	s_mov_b32 s6, 0
.LBB384_1564:
	s_delay_alu instid0(SALU_CYCLE_1)
	s_and_b32 vcc_lo, exec_lo, s6
	s_cbranch_vccz .LBB384_1604
; %bb.1565:
	v_cmp_lt_i16_e32 vcc_lo, 22, v7
	s_mov_b32 s1, -1
	s_cbranch_vccz .LBB384_1597
; %bb.1566:
	v_cmp_gt_i16_e32 vcc_lo, 24, v7
	s_cbranch_vccnz .LBB384_1586
; %bb.1567:
	v_cmp_lt_i16_e32 vcc_lo, 24, v7
	s_cbranch_vccz .LBB384_1575
; %bb.1568:
	v_bfe_i32 v8, v3, 0, 16
	v_mov_b32_e32 v10, 0x80
	s_mov_b32 s1, exec_lo
	s_delay_alu instid0(VALU_DEP_2) | instskip(NEXT) | instid1(VALU_DEP_1)
	v_cvt_f32_i32_e32 v8, v8
	v_and_b32_e32 v9, 0x7fffffff, v8
	s_delay_alu instid0(VALU_DEP_1)
	v_cmpx_gt_u32_e32 0x47800000, v9
	s_cbranch_execz .LBB384_1574
; %bb.1569:
	v_cmp_lt_u32_e32 vcc_lo, 0x37ffffff, v9
	s_mov_b32 s3, 0
                                        ; implicit-def: $vgpr9
	s_and_saveexec_b32 s6, vcc_lo
	s_delay_alu instid0(SALU_CYCLE_1)
	s_xor_b32 s6, exec_lo, s6
	s_cbranch_execz .LBB384_2017
; %bb.1570:
	v_bfe_u32 v9, v8, 21, 1
	s_mov_b32 s3, exec_lo
	s_delay_alu instid0(VALU_DEP_1) | instskip(NEXT) | instid1(VALU_DEP_1)
	v_add3_u32 v9, v8, v9, 0x88fffff
	v_lshrrev_b32_e32 v9, 21, v9
	s_or_saveexec_b32 s6, s6
                                        ; implicit-def: $sgpr7
	s_delay_alu instid0(SALU_CYCLE_1)
	s_xor_b32 exec_lo, exec_lo, s6
	s_cbranch_execnz .LBB384_2018
.LBB384_1571:
	s_or_b32 exec_lo, exec_lo, s6
	v_mov_b32_e32 v10, s7
	s_and_saveexec_b32 s6, s3
.LBB384_1572:
	v_lshrrev_b32_e32 v8, 24, v8
	s_delay_alu instid0(VALU_DEP_1)
	v_and_or_b32 v10, 0x80, v8, v9
.LBB384_1573:
	s_or_b32 exec_lo, exec_lo, s6
.LBB384_1574:
	s_delay_alu instid0(SALU_CYCLE_1)
	s_or_b32 exec_lo, exec_lo, s1
	s_mov_b32 s1, 0
	global_store_b8 v[5:6], v10, off
.LBB384_1575:
	s_and_b32 vcc_lo, exec_lo, s1
	s_cbranch_vccz .LBB384_1585
; %bb.1576:
	v_bfe_i32 v8, v3, 0, 16
	s_mov_b32 s1, exec_lo
                                        ; implicit-def: $vgpr9
	s_delay_alu instid0(VALU_DEP_1) | instskip(NEXT) | instid1(VALU_DEP_1)
	v_cvt_f32_i32_e32 v8, v8
	v_and_b32_e32 v10, 0x7fffffff, v8
	s_delay_alu instid0(VALU_DEP_1)
	v_cmpx_gt_u32_e32 0x43f00000, v10
	s_xor_b32 s1, exec_lo, s1
	s_cbranch_execz .LBB384_1582
; %bb.1577:
	s_mov_b32 s3, exec_lo
                                        ; implicit-def: $vgpr9
	v_cmpx_lt_u32_e32 0x3c7fffff, v10
	s_xor_b32 s3, exec_lo, s3
; %bb.1578:
	v_bfe_u32 v9, v8, 20, 1
	s_delay_alu instid0(VALU_DEP_1) | instskip(NEXT) | instid1(VALU_DEP_1)
	v_add3_u32 v9, v8, v9, 0x407ffff
	v_and_b32_e32 v10, 0xff00000, v9
	v_lshrrev_b32_e32 v9, 20, v9
	s_delay_alu instid0(VALU_DEP_2) | instskip(NEXT) | instid1(VALU_DEP_2)
	v_cmp_ne_u32_e32 vcc_lo, 0x7f00000, v10
	v_cndmask_b32_e32 v9, 0x7e, v9, vcc_lo
; %bb.1579:
	s_and_not1_saveexec_b32 s3, s3
; %bb.1580:
	v_add_f32_e64 v9, 0x46800000, |v8|
; %bb.1581:
	s_or_b32 exec_lo, exec_lo, s3
                                        ; implicit-def: $vgpr10
.LBB384_1582:
	s_and_not1_saveexec_b32 s1, s1
; %bb.1583:
	v_mov_b32_e32 v9, 0x7f
	v_cmp_lt_u32_e32 vcc_lo, 0x7f800000, v10
	s_delay_alu instid0(VALU_DEP_2)
	v_cndmask_b32_e32 v9, 0x7e, v9, vcc_lo
; %bb.1584:
	s_or_b32 exec_lo, exec_lo, s1
	v_lshrrev_b32_e32 v8, 24, v8
	s_delay_alu instid0(VALU_DEP_1)
	v_and_or_b32 v8, 0x80, v8, v9
	global_store_b8 v[5:6], v8, off
.LBB384_1585:
	s_mov_b32 s1, 0
.LBB384_1586:
	s_delay_alu instid0(SALU_CYCLE_1)
	s_and_not1_b32 vcc_lo, exec_lo, s1
	s_cbranch_vccnz .LBB384_1596
; %bb.1587:
	v_bfe_i32 v8, v3, 0, 16
	s_mov_b32 s1, exec_lo
                                        ; implicit-def: $vgpr9
	s_delay_alu instid0(VALU_DEP_1) | instskip(NEXT) | instid1(VALU_DEP_1)
	v_cvt_f32_i32_e32 v8, v8
	v_and_b32_e32 v10, 0x7fffffff, v8
	s_delay_alu instid0(VALU_DEP_1)
	v_cmpx_gt_u32_e32 0x47800000, v10
	s_xor_b32 s1, exec_lo, s1
	s_cbranch_execz .LBB384_1593
; %bb.1588:
	s_mov_b32 s3, exec_lo
                                        ; implicit-def: $vgpr9
	v_cmpx_lt_u32_e32 0x387fffff, v10
	s_xor_b32 s3, exec_lo, s3
; %bb.1589:
	v_bfe_u32 v9, v8, 21, 1
	s_delay_alu instid0(VALU_DEP_1) | instskip(NEXT) | instid1(VALU_DEP_1)
	v_add3_u32 v9, v8, v9, 0x80fffff
	v_lshrrev_b32_e32 v9, 21, v9
; %bb.1590:
	s_and_not1_saveexec_b32 s3, s3
; %bb.1591:
	v_add_f32_e64 v9, 0x43000000, |v8|
; %bb.1592:
	s_or_b32 exec_lo, exec_lo, s3
                                        ; implicit-def: $vgpr10
.LBB384_1593:
	s_and_not1_saveexec_b32 s1, s1
; %bb.1594:
	v_mov_b32_e32 v9, 0x7f
	v_cmp_lt_u32_e32 vcc_lo, 0x7f800000, v10
	s_delay_alu instid0(VALU_DEP_2)
	v_cndmask_b32_e32 v9, 0x7c, v9, vcc_lo
; %bb.1595:
	s_or_b32 exec_lo, exec_lo, s1
	v_lshrrev_b32_e32 v8, 24, v8
	s_delay_alu instid0(VALU_DEP_1)
	v_and_or_b32 v8, 0x80, v8, v9
	global_store_b8 v[5:6], v8, off
.LBB384_1596:
	s_mov_b32 s1, 0
	s_mov_b32 s3, -1
.LBB384_1597:
	s_and_not1_b32 vcc_lo, exec_lo, s1
	s_mov_b32 s1, 0
	s_cbranch_vccnz .LBB384_1604
; %bb.1598:
	v_cmp_lt_i16_e32 vcc_lo, 14, v7
	s_mov_b32 s1, -1
	s_cbranch_vccz .LBB384_1602
; %bb.1599:
	v_cmp_eq_u16_e32 vcc_lo, 15, v7
	s_mov_b32 s0, -1
	s_cbranch_vccz .LBB384_1601
; %bb.1600:
	v_bfe_i32 v8, v3, 0, 16
	s_mov_b32 s0, 0
	s_mov_b32 s3, -1
	s_delay_alu instid0(VALU_DEP_1) | instskip(NEXT) | instid1(VALU_DEP_1)
	v_cvt_f32_i32_e32 v8, v8
	v_bfe_u32 v9, v8, 16, 1
	s_delay_alu instid0(VALU_DEP_1)
	v_add3_u32 v8, v8, v9, 0x7fff
	global_store_d16_hi_b16 v[5:6], v8, off
.LBB384_1601:
	s_mov_b32 s1, 0
.LBB384_1602:
	s_delay_alu instid0(SALU_CYCLE_1)
	s_and_b32 vcc_lo, exec_lo, s1
	s_mov_b32 s1, 0
	s_cbranch_vccz .LBB384_1604
; %bb.1603:
	v_cmp_ne_u16_e64 s0, 11, v7
	s_mov_b32 s1, -1
.LBB384_1604:
	s_delay_alu instid0(VALU_DEP_1)
	s_and_b32 vcc_lo, exec_lo, s0
	s_cbranch_vccnz .LBB384_2015
; %bb.1605:
	s_and_not1_b32 vcc_lo, exec_lo, s1
	s_cbranch_vccnz .LBB384_1607
.LBB384_1606:
	v_cmp_ne_u16_e32 vcc_lo, 0, v3
	s_mov_b32 s3, -1
	v_cndmask_b32_e64 v8, 0, 1, vcc_lo
	global_store_b8 v[5:6], v8, off
.LBB384_1607:
	s_mov_b32 s0, 0
	s_branch .LBB384_1609
.LBB384_1608:
	s_mov_b32 s0, -1
	s_mov_b32 s3, 0
.LBB384_1609:
	s_and_b32 vcc_lo, exec_lo, s0
	s_cbranch_vccz .LBB384_1648
; %bb.1610:
	v_cmp_gt_i16_e32 vcc_lo, 5, v7
	s_mov_b32 s0, -1
	s_cbranch_vccnz .LBB384_1631
; %bb.1611:
	v_cmp_gt_i16_e32 vcc_lo, 8, v7
	s_cbranch_vccnz .LBB384_1621
; %bb.1612:
	v_cmp_gt_i16_e32 vcc_lo, 9, v7
	s_cbranch_vccnz .LBB384_1618
; %bb.1613:
	v_cmp_lt_i16_e32 vcc_lo, 9, v7
	s_cbranch_vccz .LBB384_1615
; %bb.1614:
	v_bfe_i32 v8, v3, 0, 16
	v_mov_b32_e32 v10, 0
	s_mov_b32 s0, 0
	s_delay_alu instid0(VALU_DEP_2) | instskip(NEXT) | instid1(VALU_DEP_2)
	v_cvt_f64_i32_e32 v[8:9], v8
	v_mov_b32_e32 v11, v10
	global_store_b128 v[5:6], v[8:11], off
.LBB384_1615:
	s_and_not1_b32 vcc_lo, exec_lo, s0
	s_cbranch_vccnz .LBB384_1617
; %bb.1616:
	v_bfe_i32 v8, v3, 0, 16
	v_mov_b32_e32 v9, 0
	s_delay_alu instid0(VALU_DEP_2)
	v_cvt_f32_i32_e32 v8, v8
	global_store_b64 v[5:6], v[8:9], off
.LBB384_1617:
	s_mov_b32 s0, 0
.LBB384_1618:
	s_delay_alu instid0(SALU_CYCLE_1)
	s_and_not1_b32 vcc_lo, exec_lo, s0
	s_cbranch_vccnz .LBB384_1620
; %bb.1619:
	v_cvt_f16_i16_e32 v8, v3
	s_delay_alu instid0(VALU_DEP_1)
	v_and_b32_e32 v8, 0xffff, v8
	global_store_b32 v[5:6], v8, off
.LBB384_1620:
	s_mov_b32 s0, 0
.LBB384_1621:
	s_delay_alu instid0(SALU_CYCLE_1)
	s_and_not1_b32 vcc_lo, exec_lo, s0
	s_cbranch_vccnz .LBB384_1630
; %bb.1622:
	v_cmp_gt_i16_e32 vcc_lo, 6, v7
	s_mov_b32 s0, -1
	s_cbranch_vccnz .LBB384_1628
; %bb.1623:
	v_cmp_lt_i16_e32 vcc_lo, 6, v7
	s_cbranch_vccz .LBB384_1625
; %bb.1624:
	v_bfe_i32 v8, v3, 0, 16
	s_mov_b32 s0, 0
	s_delay_alu instid0(VALU_DEP_1)
	v_cvt_f64_i32_e32 v[8:9], v8
	global_store_b64 v[5:6], v[8:9], off
.LBB384_1625:
	s_and_not1_b32 vcc_lo, exec_lo, s0
	s_cbranch_vccnz .LBB384_1627
; %bb.1626:
	v_bfe_i32 v8, v3, 0, 16
	s_delay_alu instid0(VALU_DEP_1)
	v_cvt_f32_i32_e32 v8, v8
	global_store_b32 v[5:6], v8, off
.LBB384_1627:
	s_mov_b32 s0, 0
.LBB384_1628:
	s_delay_alu instid0(SALU_CYCLE_1)
	s_and_not1_b32 vcc_lo, exec_lo, s0
	s_cbranch_vccnz .LBB384_1630
; %bb.1629:
	v_cvt_f16_i16_e32 v8, v3
	global_store_b16 v[5:6], v8, off
.LBB384_1630:
	s_mov_b32 s0, 0
.LBB384_1631:
	s_delay_alu instid0(SALU_CYCLE_1)
	s_and_not1_b32 vcc_lo, exec_lo, s0
	s_cbranch_vccnz .LBB384_1647
; %bb.1632:
	v_cmp_gt_i16_e32 vcc_lo, 2, v7
	s_mov_b32 s0, -1
	s_cbranch_vccnz .LBB384_1642
; %bb.1633:
	v_cmp_gt_i16_e32 vcc_lo, 3, v7
	s_cbranch_vccnz .LBB384_1639
; %bb.1634:
	v_cmp_lt_i16_e32 vcc_lo, 3, v7
	s_cbranch_vccz .LBB384_1636
; %bb.1635:
	v_bfe_i32 v8, v3, 0, 16
	s_mov_b32 s0, 0
	s_delay_alu instid0(VALU_DEP_1)
	v_ashrrev_i32_e32 v9, 31, v8
	global_store_b64 v[5:6], v[8:9], off
.LBB384_1636:
	s_and_not1_b32 vcc_lo, exec_lo, s0
	s_cbranch_vccnz .LBB384_1638
; %bb.1637:
	v_bfe_i32 v8, v3, 0, 16
	global_store_b32 v[5:6], v8, off
.LBB384_1638:
	s_mov_b32 s0, 0
.LBB384_1639:
	s_delay_alu instid0(SALU_CYCLE_1)
	s_and_not1_b32 vcc_lo, exec_lo, s0
	s_cbranch_vccnz .LBB384_1641
; %bb.1640:
	global_store_b16 v[5:6], v3, off
.LBB384_1641:
	s_mov_b32 s0, 0
.LBB384_1642:
	s_delay_alu instid0(SALU_CYCLE_1)
	s_and_not1_b32 vcc_lo, exec_lo, s0
	s_cbranch_vccnz .LBB384_1647
; %bb.1643:
	v_cmp_lt_i16_e32 vcc_lo, 0, v7
	s_mov_b32 s0, -1
	s_cbranch_vccz .LBB384_1645
; %bb.1644:
	s_mov_b32 s0, 0
	global_store_b8 v[5:6], v3, off
.LBB384_1645:
	s_and_not1_b32 vcc_lo, exec_lo, s0
	s_cbranch_vccnz .LBB384_1647
; %bb.1646:
	global_store_b8 v[5:6], v3, off
.LBB384_1647:
	s_mov_b32 s3, -1
.LBB384_1648:
	s_delay_alu instid0(SALU_CYCLE_1)
	s_and_not1_b32 vcc_lo, exec_lo, s3
	s_cbranch_vccnz .LBB384_1963
; %bb.1649:
	s_lshl_b32 s1, s2, 7
	v_max_i16 v8, v4, s8
	v_add_nc_u32_e32 v1, s1, v1
	v_cmp_gt_i16_e32 vcc_lo, 11, v7
	s_delay_alu instid0(VALU_DEP_2) | instskip(SKIP_1) | instid1(VALU_DEP_1)
	v_ashrrev_i32_e32 v4, 31, v1
	v_add_co_u32 v3, s0, s4, v1
	v_add_co_ci_u32_e64 v4, s0, s5, v4, s0
	s_cbranch_vccnz .LBB384_1727
; %bb.1650:
	v_cmp_lt_i16_e32 vcc_lo, 25, v7
	s_mov_b32 s6, -1
	s_mov_b32 s2, 0
	s_mov_b32 s3, 0
	;; [unrolled: 1-line block ×3, first 2 shown]
	s_cbranch_vccz .LBB384_1683
; %bb.1651:
	v_cmp_lt_i16_e32 vcc_lo, 28, v7
	s_cbranch_vccz .LBB384_1666
; %bb.1652:
	v_cmp_lt_i16_e32 vcc_lo, 43, v7
	;; [unrolled: 3-line block ×3, first 2 shown]
	s_cbranch_vccz .LBB384_1656
; %bb.1654:
	v_cmp_eq_u16_e32 vcc_lo, 46, v7
	s_mov_b32 s0, -1
	s_mov_b32 s6, 0
	s_cbranch_vccz .LBB384_1656
; %bb.1655:
	v_bfe_i32 v5, v8, 0, 16
	s_mov_b32 s0, 0
	s_mov_b32 s3, -1
	s_delay_alu instid0(VALU_DEP_1) | instskip(NEXT) | instid1(VALU_DEP_1)
	v_cvt_f32_i32_e32 v5, v5
	v_bfe_u32 v6, v5, 16, 1
	s_delay_alu instid0(VALU_DEP_1) | instskip(NEXT) | instid1(VALU_DEP_1)
	v_add3_u32 v5, v5, v6, 0x7fff
	v_lshrrev_b32_e32 v5, 16, v5
	global_store_b32 v[3:4], v5, off
.LBB384_1656:
	s_and_b32 vcc_lo, exec_lo, s6
	s_cbranch_vccz .LBB384_1661
; %bb.1657:
	v_cmp_eq_u16_e32 vcc_lo, 44, v7
	s_mov_b32 s0, -1
	s_cbranch_vccz .LBB384_1661
; %bb.1658:
	v_bfe_i32 v5, v8, 0, 16
	v_mov_b32_e32 v6, 0xff
	s_mov_b32 s3, exec_lo
	s_delay_alu instid0(VALU_DEP_2) | instskip(NEXT) | instid1(VALU_DEP_1)
	v_cvt_f32_i32_e32 v5, v5
	v_bfe_u32 v9, v5, 23, 8
	s_delay_alu instid0(VALU_DEP_1)
	v_cmpx_ne_u32_e32 0xff, v9
; %bb.1659:
	v_and_b32_e32 v6, 0x400000, v5
	v_and_or_b32 v9, 0x3fffff, v5, v9
	v_lshrrev_b32_e32 v5, 23, v5
	s_delay_alu instid0(VALU_DEP_3) | instskip(NEXT) | instid1(VALU_DEP_3)
	v_cmp_ne_u32_e32 vcc_lo, 0, v6
	v_cmp_ne_u32_e64 s0, 0, v9
	s_delay_alu instid0(VALU_DEP_1) | instskip(NEXT) | instid1(SALU_CYCLE_1)
	s_and_b32 s0, vcc_lo, s0
	v_cndmask_b32_e64 v6, 0, 1, s0
	s_delay_alu instid0(VALU_DEP_1)
	v_add_nc_u32_e32 v6, v5, v6
; %bb.1660:
	s_or_b32 exec_lo, exec_lo, s3
	s_mov_b32 s0, 0
	s_mov_b32 s3, -1
	global_store_b8 v[3:4], v6, off
.LBB384_1661:
	s_mov_b32 s6, 0
.LBB384_1662:
	s_delay_alu instid0(SALU_CYCLE_1)
	s_and_b32 vcc_lo, exec_lo, s6
	s_cbranch_vccz .LBB384_1665
; %bb.1663:
	v_cmp_eq_u16_e32 vcc_lo, 29, v7
	s_mov_b32 s0, -1
	s_cbranch_vccz .LBB384_1665
; %bb.1664:
	v_bfe_i32 v5, v8, 0, 16
	s_mov_b32 s0, 0
	s_mov_b32 s3, -1
	s_delay_alu instid0(VALU_DEP_1)
	v_ashrrev_i32_e32 v6, 31, v5
	global_store_b64 v[3:4], v[5:6], off
.LBB384_1665:
	s_mov_b32 s6, 0
.LBB384_1666:
	s_delay_alu instid0(SALU_CYCLE_1)
	s_and_b32 vcc_lo, exec_lo, s6
	s_cbranch_vccz .LBB384_1682
; %bb.1667:
	v_cmp_gt_i16_e32 vcc_lo, 27, v7
	s_mov_b32 s3, -1
	s_cbranch_vccnz .LBB384_1673
; %bb.1668:
	v_cmp_lt_i16_e32 vcc_lo, 27, v7
	s_cbranch_vccz .LBB384_1670
; %bb.1669:
	v_bfe_i32 v5, v8, 0, 16
	s_mov_b32 s3, 0
	global_store_b32 v[3:4], v5, off
.LBB384_1670:
	s_and_not1_b32 vcc_lo, exec_lo, s3
	s_cbranch_vccnz .LBB384_1672
; %bb.1671:
	global_store_b16 v[3:4], v8, off
.LBB384_1672:
	s_mov_b32 s3, 0
.LBB384_1673:
	s_delay_alu instid0(SALU_CYCLE_1)
	s_and_not1_b32 vcc_lo, exec_lo, s3
	s_cbranch_vccnz .LBB384_1681
; %bb.1674:
	v_bfe_i32 v5, v8, 0, 16
	v_mov_b32_e32 v9, 0x80
	s_mov_b32 s3, exec_lo
	s_delay_alu instid0(VALU_DEP_2) | instskip(NEXT) | instid1(VALU_DEP_1)
	v_cvt_f32_i32_e32 v5, v5
	v_and_b32_e32 v6, 0x7fffffff, v5
	s_delay_alu instid0(VALU_DEP_1)
	v_cmpx_gt_u32_e32 0x43800000, v6
	s_cbranch_execz .LBB384_1680
; %bb.1675:
	v_cmp_lt_u32_e32 vcc_lo, 0x3bffffff, v6
	s_mov_b32 s6, 0
                                        ; implicit-def: $vgpr6
	s_and_saveexec_b32 s7, vcc_lo
	s_delay_alu instid0(SALU_CYCLE_1)
	s_xor_b32 s7, exec_lo, s7
	s_cbranch_execz .LBB384_2019
; %bb.1676:
	v_bfe_u32 v6, v5, 20, 1
	s_mov_b32 s6, exec_lo
	s_delay_alu instid0(VALU_DEP_1) | instskip(NEXT) | instid1(VALU_DEP_1)
	v_add3_u32 v6, v5, v6, 0x487ffff
	v_lshrrev_b32_e32 v6, 20, v6
	s_or_saveexec_b32 s7, s7
                                        ; implicit-def: $sgpr9
	s_delay_alu instid0(SALU_CYCLE_1)
	s_xor_b32 exec_lo, exec_lo, s7
	s_cbranch_execnz .LBB384_2020
.LBB384_1677:
	s_or_b32 exec_lo, exec_lo, s7
	v_mov_b32_e32 v9, s9
	s_and_saveexec_b32 s7, s6
.LBB384_1678:
	v_lshrrev_b32_e32 v5, 24, v5
	s_delay_alu instid0(VALU_DEP_1)
	v_and_or_b32 v9, 0x80, v5, v6
.LBB384_1679:
	s_or_b32 exec_lo, exec_lo, s7
.LBB384_1680:
	s_delay_alu instid0(SALU_CYCLE_1)
	s_or_b32 exec_lo, exec_lo, s3
	global_store_b8 v[3:4], v9, off
.LBB384_1681:
	s_mov_b32 s3, -1
.LBB384_1682:
	s_mov_b32 s6, 0
.LBB384_1683:
	s_delay_alu instid0(SALU_CYCLE_1)
	s_and_b32 vcc_lo, exec_lo, s6
	s_cbranch_vccz .LBB384_1723
; %bb.1684:
	v_cmp_lt_i16_e32 vcc_lo, 22, v7
	s_mov_b32 s2, -1
	s_cbranch_vccz .LBB384_1716
; %bb.1685:
	v_cmp_gt_i16_e32 vcc_lo, 24, v7
	s_cbranch_vccnz .LBB384_1705
; %bb.1686:
	v_cmp_lt_i16_e32 vcc_lo, 24, v7
	s_cbranch_vccz .LBB384_1694
; %bb.1687:
	v_bfe_i32 v5, v8, 0, 16
	v_mov_b32_e32 v9, 0x80
	s_mov_b32 s2, exec_lo
	s_delay_alu instid0(VALU_DEP_2) | instskip(NEXT) | instid1(VALU_DEP_1)
	v_cvt_f32_i32_e32 v5, v5
	v_and_b32_e32 v6, 0x7fffffff, v5
	s_delay_alu instid0(VALU_DEP_1)
	v_cmpx_gt_u32_e32 0x47800000, v6
	s_cbranch_execz .LBB384_1693
; %bb.1688:
	v_cmp_lt_u32_e32 vcc_lo, 0x37ffffff, v6
	s_mov_b32 s3, 0
                                        ; implicit-def: $vgpr6
	s_and_saveexec_b32 s6, vcc_lo
	s_delay_alu instid0(SALU_CYCLE_1)
	s_xor_b32 s6, exec_lo, s6
	s_cbranch_execz .LBB384_2025
; %bb.1689:
	v_bfe_u32 v6, v5, 21, 1
	s_mov_b32 s3, exec_lo
	s_delay_alu instid0(VALU_DEP_1) | instskip(NEXT) | instid1(VALU_DEP_1)
	v_add3_u32 v6, v5, v6, 0x88fffff
	v_lshrrev_b32_e32 v6, 21, v6
	s_or_saveexec_b32 s6, s6
                                        ; implicit-def: $sgpr7
	s_delay_alu instid0(SALU_CYCLE_1)
	s_xor_b32 exec_lo, exec_lo, s6
	s_cbranch_execnz .LBB384_2026
.LBB384_1690:
	s_or_b32 exec_lo, exec_lo, s6
	v_mov_b32_e32 v9, s7
	s_and_saveexec_b32 s6, s3
.LBB384_1691:
	v_lshrrev_b32_e32 v5, 24, v5
	s_delay_alu instid0(VALU_DEP_1)
	v_and_or_b32 v9, 0x80, v5, v6
.LBB384_1692:
	s_or_b32 exec_lo, exec_lo, s6
.LBB384_1693:
	s_delay_alu instid0(SALU_CYCLE_1)
	s_or_b32 exec_lo, exec_lo, s2
	s_mov_b32 s2, 0
	global_store_b8 v[3:4], v9, off
.LBB384_1694:
	s_and_b32 vcc_lo, exec_lo, s2
	s_cbranch_vccz .LBB384_1704
; %bb.1695:
	v_bfe_i32 v5, v8, 0, 16
	s_mov_b32 s2, exec_lo
                                        ; implicit-def: $vgpr6
	s_delay_alu instid0(VALU_DEP_1) | instskip(NEXT) | instid1(VALU_DEP_1)
	v_cvt_f32_i32_e32 v5, v5
	v_and_b32_e32 v9, 0x7fffffff, v5
	s_delay_alu instid0(VALU_DEP_1)
	v_cmpx_gt_u32_e32 0x43f00000, v9
	s_xor_b32 s2, exec_lo, s2
	s_cbranch_execz .LBB384_1701
; %bb.1696:
	s_mov_b32 s3, exec_lo
                                        ; implicit-def: $vgpr6
	v_cmpx_lt_u32_e32 0x3c7fffff, v9
	s_xor_b32 s3, exec_lo, s3
; %bb.1697:
	v_bfe_u32 v6, v5, 20, 1
	s_delay_alu instid0(VALU_DEP_1) | instskip(NEXT) | instid1(VALU_DEP_1)
	v_add3_u32 v6, v5, v6, 0x407ffff
	v_and_b32_e32 v9, 0xff00000, v6
	v_lshrrev_b32_e32 v6, 20, v6
	s_delay_alu instid0(VALU_DEP_2) | instskip(NEXT) | instid1(VALU_DEP_2)
	v_cmp_ne_u32_e32 vcc_lo, 0x7f00000, v9
	v_cndmask_b32_e32 v6, 0x7e, v6, vcc_lo
; %bb.1698:
	s_and_not1_saveexec_b32 s3, s3
; %bb.1699:
	v_add_f32_e64 v6, 0x46800000, |v5|
; %bb.1700:
	s_or_b32 exec_lo, exec_lo, s3
                                        ; implicit-def: $vgpr9
.LBB384_1701:
	s_and_not1_saveexec_b32 s2, s2
; %bb.1702:
	v_mov_b32_e32 v6, 0x7f
	v_cmp_lt_u32_e32 vcc_lo, 0x7f800000, v9
	s_delay_alu instid0(VALU_DEP_2)
	v_cndmask_b32_e32 v6, 0x7e, v6, vcc_lo
; %bb.1703:
	s_or_b32 exec_lo, exec_lo, s2
	v_lshrrev_b32_e32 v5, 24, v5
	s_delay_alu instid0(VALU_DEP_1)
	v_and_or_b32 v5, 0x80, v5, v6
	global_store_b8 v[3:4], v5, off
.LBB384_1704:
	s_mov_b32 s2, 0
.LBB384_1705:
	s_delay_alu instid0(SALU_CYCLE_1)
	s_and_not1_b32 vcc_lo, exec_lo, s2
	s_cbranch_vccnz .LBB384_1715
; %bb.1706:
	v_bfe_i32 v5, v8, 0, 16
	s_mov_b32 s2, exec_lo
                                        ; implicit-def: $vgpr6
	s_delay_alu instid0(VALU_DEP_1) | instskip(NEXT) | instid1(VALU_DEP_1)
	v_cvt_f32_i32_e32 v5, v5
	v_and_b32_e32 v9, 0x7fffffff, v5
	s_delay_alu instid0(VALU_DEP_1)
	v_cmpx_gt_u32_e32 0x47800000, v9
	s_xor_b32 s2, exec_lo, s2
	s_cbranch_execz .LBB384_1712
; %bb.1707:
	s_mov_b32 s3, exec_lo
                                        ; implicit-def: $vgpr6
	v_cmpx_lt_u32_e32 0x387fffff, v9
	s_xor_b32 s3, exec_lo, s3
; %bb.1708:
	v_bfe_u32 v6, v5, 21, 1
	s_delay_alu instid0(VALU_DEP_1) | instskip(NEXT) | instid1(VALU_DEP_1)
	v_add3_u32 v6, v5, v6, 0x80fffff
	v_lshrrev_b32_e32 v6, 21, v6
; %bb.1709:
	s_and_not1_saveexec_b32 s3, s3
; %bb.1710:
	v_add_f32_e64 v6, 0x43000000, |v5|
; %bb.1711:
	s_or_b32 exec_lo, exec_lo, s3
                                        ; implicit-def: $vgpr9
.LBB384_1712:
	s_and_not1_saveexec_b32 s2, s2
; %bb.1713:
	v_mov_b32_e32 v6, 0x7f
	v_cmp_lt_u32_e32 vcc_lo, 0x7f800000, v9
	s_delay_alu instid0(VALU_DEP_2)
	v_cndmask_b32_e32 v6, 0x7c, v6, vcc_lo
; %bb.1714:
	s_or_b32 exec_lo, exec_lo, s2
	v_lshrrev_b32_e32 v5, 24, v5
	s_delay_alu instid0(VALU_DEP_1)
	v_and_or_b32 v5, 0x80, v5, v6
	global_store_b8 v[3:4], v5, off
.LBB384_1715:
	s_mov_b32 s2, 0
	s_mov_b32 s3, -1
.LBB384_1716:
	s_and_not1_b32 vcc_lo, exec_lo, s2
	s_mov_b32 s2, 0
	s_cbranch_vccnz .LBB384_1723
; %bb.1717:
	v_cmp_lt_i16_e32 vcc_lo, 14, v7
	s_mov_b32 s2, -1
	s_cbranch_vccz .LBB384_1721
; %bb.1718:
	v_cmp_eq_u16_e32 vcc_lo, 15, v7
	s_mov_b32 s0, -1
	s_cbranch_vccz .LBB384_1720
; %bb.1719:
	v_bfe_i32 v5, v8, 0, 16
	s_mov_b32 s0, 0
	s_mov_b32 s3, -1
	s_delay_alu instid0(VALU_DEP_1) | instskip(NEXT) | instid1(VALU_DEP_1)
	v_cvt_f32_i32_e32 v5, v5
	v_bfe_u32 v6, v5, 16, 1
	s_delay_alu instid0(VALU_DEP_1)
	v_add3_u32 v5, v5, v6, 0x7fff
	global_store_d16_hi_b16 v[3:4], v5, off
.LBB384_1720:
	s_mov_b32 s2, 0
.LBB384_1721:
	s_delay_alu instid0(SALU_CYCLE_1)
	s_and_b32 vcc_lo, exec_lo, s2
	s_mov_b32 s2, 0
	s_cbranch_vccz .LBB384_1723
; %bb.1722:
	v_cmp_ne_u16_e64 s0, 11, v7
	s_mov_b32 s2, -1
.LBB384_1723:
	s_delay_alu instid0(VALU_DEP_1)
	s_and_b32 vcc_lo, exec_lo, s0
	s_cbranch_vccnz .LBB384_2023
; %bb.1724:
	s_and_not1_b32 vcc_lo, exec_lo, s2
	s_cbranch_vccnz .LBB384_1726
.LBB384_1725:
	v_cmp_ne_u16_e32 vcc_lo, 0, v8
	s_mov_b32 s3, -1
	v_cndmask_b32_e64 v5, 0, 1, vcc_lo
	global_store_b8 v[3:4], v5, off
.LBB384_1726:
	s_mov_b32 s0, 0
	s_branch .LBB384_1728
.LBB384_1727:
	s_mov_b32 s0, -1
	s_mov_b32 s3, 0
.LBB384_1728:
	s_and_b32 vcc_lo, exec_lo, s0
	s_cbranch_vccz .LBB384_1767
; %bb.1729:
	v_cmp_gt_i16_e32 vcc_lo, 5, v7
	s_mov_b32 s0, -1
	s_cbranch_vccnz .LBB384_1750
; %bb.1730:
	v_cmp_gt_i16_e32 vcc_lo, 8, v7
	s_cbranch_vccnz .LBB384_1740
; %bb.1731:
	v_cmp_gt_i16_e32 vcc_lo, 9, v7
	s_cbranch_vccnz .LBB384_1737
; %bb.1732:
	v_cmp_lt_i16_e32 vcc_lo, 9, v7
	s_cbranch_vccz .LBB384_1734
; %bb.1733:
	v_bfe_i32 v5, v8, 0, 16
	v_mov_b32_e32 v11, 0
	s_mov_b32 s0, 0
	s_delay_alu instid0(VALU_DEP_2) | instskip(NEXT) | instid1(VALU_DEP_2)
	v_cvt_f64_i32_e32 v[9:10], v5
	v_mov_b32_e32 v12, v11
	global_store_b128 v[3:4], v[9:12], off
.LBB384_1734:
	s_and_not1_b32 vcc_lo, exec_lo, s0
	s_cbranch_vccnz .LBB384_1736
; %bb.1735:
	v_bfe_i32 v5, v8, 0, 16
	v_mov_b32_e32 v6, 0
	s_delay_alu instid0(VALU_DEP_2)
	v_cvt_f32_i32_e32 v5, v5
	global_store_b64 v[3:4], v[5:6], off
.LBB384_1736:
	s_mov_b32 s0, 0
.LBB384_1737:
	s_delay_alu instid0(SALU_CYCLE_1)
	s_and_not1_b32 vcc_lo, exec_lo, s0
	s_cbranch_vccnz .LBB384_1739
; %bb.1738:
	v_cvt_f16_i16_e32 v5, v8
	s_delay_alu instid0(VALU_DEP_1)
	v_and_b32_e32 v5, 0xffff, v5
	global_store_b32 v[3:4], v5, off
.LBB384_1739:
	s_mov_b32 s0, 0
.LBB384_1740:
	s_delay_alu instid0(SALU_CYCLE_1)
	s_and_not1_b32 vcc_lo, exec_lo, s0
	s_cbranch_vccnz .LBB384_1749
; %bb.1741:
	v_cmp_gt_i16_e32 vcc_lo, 6, v7
	s_mov_b32 s0, -1
	s_cbranch_vccnz .LBB384_1747
; %bb.1742:
	v_cmp_lt_i16_e32 vcc_lo, 6, v7
	s_cbranch_vccz .LBB384_1744
; %bb.1743:
	v_bfe_i32 v5, v8, 0, 16
	s_mov_b32 s0, 0
	s_delay_alu instid0(VALU_DEP_1)
	v_cvt_f64_i32_e32 v[5:6], v5
	global_store_b64 v[3:4], v[5:6], off
.LBB384_1744:
	s_and_not1_b32 vcc_lo, exec_lo, s0
	s_cbranch_vccnz .LBB384_1746
; %bb.1745:
	v_bfe_i32 v5, v8, 0, 16
	s_delay_alu instid0(VALU_DEP_1)
	v_cvt_f32_i32_e32 v5, v5
	global_store_b32 v[3:4], v5, off
.LBB384_1746:
	s_mov_b32 s0, 0
.LBB384_1747:
	s_delay_alu instid0(SALU_CYCLE_1)
	s_and_not1_b32 vcc_lo, exec_lo, s0
	s_cbranch_vccnz .LBB384_1749
; %bb.1748:
	v_cvt_f16_i16_e32 v5, v8
	global_store_b16 v[3:4], v5, off
.LBB384_1749:
	s_mov_b32 s0, 0
.LBB384_1750:
	s_delay_alu instid0(SALU_CYCLE_1)
	s_and_not1_b32 vcc_lo, exec_lo, s0
	s_cbranch_vccnz .LBB384_1766
; %bb.1751:
	v_cmp_gt_i16_e32 vcc_lo, 2, v7
	s_mov_b32 s0, -1
	s_cbranch_vccnz .LBB384_1761
; %bb.1752:
	v_cmp_gt_i16_e32 vcc_lo, 3, v7
	s_cbranch_vccnz .LBB384_1758
; %bb.1753:
	v_cmp_lt_i16_e32 vcc_lo, 3, v7
	v_bfe_i32 v5, v8, 0, 16
	s_cbranch_vccz .LBB384_1755
; %bb.1754:
	s_delay_alu instid0(VALU_DEP_1)
	v_ashrrev_i32_e32 v6, 31, v5
	s_mov_b32 s0, 0
	global_store_b64 v[3:4], v[5:6], off
.LBB384_1755:
	s_and_not1_b32 vcc_lo, exec_lo, s0
	s_cbranch_vccnz .LBB384_1757
; %bb.1756:
	global_store_b32 v[3:4], v5, off
.LBB384_1757:
	s_mov_b32 s0, 0
.LBB384_1758:
	s_delay_alu instid0(SALU_CYCLE_1)
	s_and_not1_b32 vcc_lo, exec_lo, s0
	s_cbranch_vccnz .LBB384_1760
; %bb.1759:
	global_store_b16 v[3:4], v8, off
.LBB384_1760:
	s_mov_b32 s0, 0
.LBB384_1761:
	s_delay_alu instid0(SALU_CYCLE_1)
	s_and_not1_b32 vcc_lo, exec_lo, s0
	s_cbranch_vccnz .LBB384_1766
; %bb.1762:
	v_cmp_lt_i16_e32 vcc_lo, 0, v7
	s_mov_b32 s0, -1
	s_cbranch_vccz .LBB384_1764
; %bb.1763:
	s_mov_b32 s0, 0
	global_store_b8 v[3:4], v8, off
.LBB384_1764:
	s_and_not1_b32 vcc_lo, exec_lo, s0
	s_cbranch_vccnz .LBB384_1766
; %bb.1765:
	global_store_b8 v[3:4], v8, off
.LBB384_1766:
	s_mov_b32 s3, -1
.LBB384_1767:
	s_delay_alu instid0(SALU_CYCLE_1)
	s_and_not1_b32 vcc_lo, exec_lo, s3
	s_cbranch_vccnz .LBB384_1963
; %bb.1768:
	v_add_nc_u32_e32 v5, s1, v1
	v_max_i16 v6, v2, s8
	v_cmp_gt_i16_e32 vcc_lo, 11, v7
	s_delay_alu instid0(VALU_DEP_3) | instskip(SKIP_1) | instid1(VALU_DEP_1)
	v_ashrrev_i32_e32 v2, 31, v5
	v_add_co_u32 v1, s0, s4, v5
	v_add_co_ci_u32_e64 v2, s0, s5, v2, s0
	s_cbranch_vccnz .LBB384_1846
; %bb.1769:
	v_cmp_lt_i16_e32 vcc_lo, 25, v7
	s_mov_b32 s6, -1
	s_mov_b32 s2, 0
	s_mov_b32 s3, 0
	;; [unrolled: 1-line block ×3, first 2 shown]
	s_cbranch_vccz .LBB384_1802
; %bb.1770:
	v_cmp_lt_i16_e32 vcc_lo, 28, v7
	s_cbranch_vccz .LBB384_1785
; %bb.1771:
	v_cmp_lt_i16_e32 vcc_lo, 43, v7
	;; [unrolled: 3-line block ×3, first 2 shown]
	s_cbranch_vccz .LBB384_1775
; %bb.1773:
	v_cmp_eq_u16_e32 vcc_lo, 46, v7
	s_mov_b32 s0, -1
	s_mov_b32 s6, 0
	s_cbranch_vccz .LBB384_1775
; %bb.1774:
	v_bfe_i32 v3, v6, 0, 16
	s_mov_b32 s0, 0
	s_mov_b32 s3, -1
	s_delay_alu instid0(VALU_DEP_1) | instskip(NEXT) | instid1(VALU_DEP_1)
	v_cvt_f32_i32_e32 v3, v3
	v_bfe_u32 v4, v3, 16, 1
	s_delay_alu instid0(VALU_DEP_1) | instskip(NEXT) | instid1(VALU_DEP_1)
	v_add3_u32 v3, v3, v4, 0x7fff
	v_lshrrev_b32_e32 v3, 16, v3
	global_store_b32 v[1:2], v3, off
.LBB384_1775:
	s_and_b32 vcc_lo, exec_lo, s6
	s_cbranch_vccz .LBB384_1780
; %bb.1776:
	v_cmp_eq_u16_e32 vcc_lo, 44, v7
	s_mov_b32 s0, -1
	s_cbranch_vccz .LBB384_1780
; %bb.1777:
	v_bfe_i32 v3, v6, 0, 16
	v_mov_b32_e32 v4, 0xff
	s_mov_b32 s3, exec_lo
	s_delay_alu instid0(VALU_DEP_2) | instskip(NEXT) | instid1(VALU_DEP_1)
	v_cvt_f32_i32_e32 v3, v3
	v_bfe_u32 v8, v3, 23, 8
	s_delay_alu instid0(VALU_DEP_1)
	v_cmpx_ne_u32_e32 0xff, v8
; %bb.1778:
	v_and_b32_e32 v4, 0x400000, v3
	v_and_or_b32 v8, 0x3fffff, v3, v8
	v_lshrrev_b32_e32 v3, 23, v3
	s_delay_alu instid0(VALU_DEP_3) | instskip(NEXT) | instid1(VALU_DEP_3)
	v_cmp_ne_u32_e32 vcc_lo, 0, v4
	v_cmp_ne_u32_e64 s0, 0, v8
	s_delay_alu instid0(VALU_DEP_1) | instskip(NEXT) | instid1(SALU_CYCLE_1)
	s_and_b32 s0, vcc_lo, s0
	v_cndmask_b32_e64 v4, 0, 1, s0
	s_delay_alu instid0(VALU_DEP_1)
	v_add_nc_u32_e32 v4, v3, v4
; %bb.1779:
	s_or_b32 exec_lo, exec_lo, s3
	s_mov_b32 s0, 0
	s_mov_b32 s3, -1
	global_store_b8 v[1:2], v4, off
.LBB384_1780:
	s_mov_b32 s6, 0
.LBB384_1781:
	s_delay_alu instid0(SALU_CYCLE_1)
	s_and_b32 vcc_lo, exec_lo, s6
	s_cbranch_vccz .LBB384_1784
; %bb.1782:
	v_cmp_eq_u16_e32 vcc_lo, 29, v7
	s_mov_b32 s0, -1
	s_cbranch_vccz .LBB384_1784
; %bb.1783:
	v_bfe_i32 v3, v6, 0, 16
	s_mov_b32 s0, 0
	s_mov_b32 s3, -1
	s_delay_alu instid0(VALU_DEP_1)
	v_ashrrev_i32_e32 v4, 31, v3
	global_store_b64 v[1:2], v[3:4], off
.LBB384_1784:
	s_mov_b32 s6, 0
.LBB384_1785:
	s_delay_alu instid0(SALU_CYCLE_1)
	s_and_b32 vcc_lo, exec_lo, s6
	s_cbranch_vccz .LBB384_1801
; %bb.1786:
	v_cmp_gt_i16_e32 vcc_lo, 27, v7
	s_mov_b32 s3, -1
	s_cbranch_vccnz .LBB384_1792
; %bb.1787:
	v_cmp_lt_i16_e32 vcc_lo, 27, v7
	s_cbranch_vccz .LBB384_1789
; %bb.1788:
	v_bfe_i32 v3, v6, 0, 16
	s_mov_b32 s3, 0
	global_store_b32 v[1:2], v3, off
.LBB384_1789:
	s_and_not1_b32 vcc_lo, exec_lo, s3
	s_cbranch_vccnz .LBB384_1791
; %bb.1790:
	global_store_b16 v[1:2], v6, off
.LBB384_1791:
	s_mov_b32 s3, 0
.LBB384_1792:
	s_delay_alu instid0(SALU_CYCLE_1)
	s_and_not1_b32 vcc_lo, exec_lo, s3
	s_cbranch_vccnz .LBB384_1800
; %bb.1793:
	v_bfe_i32 v3, v6, 0, 16
	v_mov_b32_e32 v8, 0x80
	s_mov_b32 s3, exec_lo
	s_delay_alu instid0(VALU_DEP_2) | instskip(NEXT) | instid1(VALU_DEP_1)
	v_cvt_f32_i32_e32 v3, v3
	v_and_b32_e32 v4, 0x7fffffff, v3
	s_delay_alu instid0(VALU_DEP_1)
	v_cmpx_gt_u32_e32 0x43800000, v4
	s_cbranch_execz .LBB384_1799
; %bb.1794:
	v_cmp_lt_u32_e32 vcc_lo, 0x3bffffff, v4
	s_mov_b32 s6, 0
                                        ; implicit-def: $vgpr4
	s_and_saveexec_b32 s7, vcc_lo
	s_delay_alu instid0(SALU_CYCLE_1)
	s_xor_b32 s7, exec_lo, s7
	s_cbranch_execz .LBB384_2027
; %bb.1795:
	v_bfe_u32 v4, v3, 20, 1
	s_mov_b32 s6, exec_lo
	s_delay_alu instid0(VALU_DEP_1) | instskip(NEXT) | instid1(VALU_DEP_1)
	v_add3_u32 v4, v3, v4, 0x487ffff
	v_lshrrev_b32_e32 v4, 20, v4
	s_or_saveexec_b32 s7, s7
                                        ; implicit-def: $sgpr9
	s_delay_alu instid0(SALU_CYCLE_1)
	s_xor_b32 exec_lo, exec_lo, s7
	s_cbranch_execnz .LBB384_2028
.LBB384_1796:
	s_or_b32 exec_lo, exec_lo, s7
	v_mov_b32_e32 v8, s9
	s_and_saveexec_b32 s7, s6
.LBB384_1797:
	v_lshrrev_b32_e32 v3, 24, v3
	s_delay_alu instid0(VALU_DEP_1)
	v_and_or_b32 v8, 0x80, v3, v4
.LBB384_1798:
	s_or_b32 exec_lo, exec_lo, s7
.LBB384_1799:
	s_delay_alu instid0(SALU_CYCLE_1)
	s_or_b32 exec_lo, exec_lo, s3
	global_store_b8 v[1:2], v8, off
.LBB384_1800:
	s_mov_b32 s3, -1
.LBB384_1801:
	s_mov_b32 s6, 0
.LBB384_1802:
	s_delay_alu instid0(SALU_CYCLE_1)
	s_and_b32 vcc_lo, exec_lo, s6
	s_cbranch_vccz .LBB384_1842
; %bb.1803:
	v_cmp_lt_i16_e32 vcc_lo, 22, v7
	s_mov_b32 s2, -1
	s_cbranch_vccz .LBB384_1835
; %bb.1804:
	v_cmp_gt_i16_e32 vcc_lo, 24, v7
	s_cbranch_vccnz .LBB384_1824
; %bb.1805:
	v_cmp_lt_i16_e32 vcc_lo, 24, v7
	s_cbranch_vccz .LBB384_1813
; %bb.1806:
	v_bfe_i32 v3, v6, 0, 16
	v_mov_b32_e32 v8, 0x80
	s_mov_b32 s2, exec_lo
	s_delay_alu instid0(VALU_DEP_2) | instskip(NEXT) | instid1(VALU_DEP_1)
	v_cvt_f32_i32_e32 v3, v3
	v_and_b32_e32 v4, 0x7fffffff, v3
	s_delay_alu instid0(VALU_DEP_1)
	v_cmpx_gt_u32_e32 0x47800000, v4
	s_cbranch_execz .LBB384_1812
; %bb.1807:
	v_cmp_lt_u32_e32 vcc_lo, 0x37ffffff, v4
	s_mov_b32 s3, 0
                                        ; implicit-def: $vgpr4
	s_and_saveexec_b32 s6, vcc_lo
	s_delay_alu instid0(SALU_CYCLE_1)
	s_xor_b32 s6, exec_lo, s6
	s_cbranch_execz .LBB384_2033
; %bb.1808:
	v_bfe_u32 v4, v3, 21, 1
	s_mov_b32 s3, exec_lo
	s_delay_alu instid0(VALU_DEP_1) | instskip(NEXT) | instid1(VALU_DEP_1)
	v_add3_u32 v4, v3, v4, 0x88fffff
	v_lshrrev_b32_e32 v4, 21, v4
	s_or_saveexec_b32 s6, s6
                                        ; implicit-def: $sgpr7
	s_delay_alu instid0(SALU_CYCLE_1)
	s_xor_b32 exec_lo, exec_lo, s6
	s_cbranch_execnz .LBB384_2034
.LBB384_1809:
	s_or_b32 exec_lo, exec_lo, s6
	v_mov_b32_e32 v8, s7
	s_and_saveexec_b32 s6, s3
.LBB384_1810:
	v_lshrrev_b32_e32 v3, 24, v3
	s_delay_alu instid0(VALU_DEP_1)
	v_and_or_b32 v8, 0x80, v3, v4
.LBB384_1811:
	s_or_b32 exec_lo, exec_lo, s6
.LBB384_1812:
	s_delay_alu instid0(SALU_CYCLE_1)
	s_or_b32 exec_lo, exec_lo, s2
	s_mov_b32 s2, 0
	global_store_b8 v[1:2], v8, off
.LBB384_1813:
	s_and_b32 vcc_lo, exec_lo, s2
	s_cbranch_vccz .LBB384_1823
; %bb.1814:
	v_bfe_i32 v3, v6, 0, 16
	s_mov_b32 s2, exec_lo
                                        ; implicit-def: $vgpr4
	s_delay_alu instid0(VALU_DEP_1) | instskip(NEXT) | instid1(VALU_DEP_1)
	v_cvt_f32_i32_e32 v3, v3
	v_and_b32_e32 v8, 0x7fffffff, v3
	s_delay_alu instid0(VALU_DEP_1)
	v_cmpx_gt_u32_e32 0x43f00000, v8
	s_xor_b32 s2, exec_lo, s2
	s_cbranch_execz .LBB384_1820
; %bb.1815:
	s_mov_b32 s3, exec_lo
                                        ; implicit-def: $vgpr4
	v_cmpx_lt_u32_e32 0x3c7fffff, v8
	s_xor_b32 s3, exec_lo, s3
; %bb.1816:
	v_bfe_u32 v4, v3, 20, 1
	s_delay_alu instid0(VALU_DEP_1) | instskip(NEXT) | instid1(VALU_DEP_1)
	v_add3_u32 v4, v3, v4, 0x407ffff
	v_and_b32_e32 v8, 0xff00000, v4
	v_lshrrev_b32_e32 v4, 20, v4
	s_delay_alu instid0(VALU_DEP_2) | instskip(NEXT) | instid1(VALU_DEP_2)
	v_cmp_ne_u32_e32 vcc_lo, 0x7f00000, v8
	v_cndmask_b32_e32 v4, 0x7e, v4, vcc_lo
; %bb.1817:
	s_and_not1_saveexec_b32 s3, s3
; %bb.1818:
	v_add_f32_e64 v4, 0x46800000, |v3|
; %bb.1819:
	s_or_b32 exec_lo, exec_lo, s3
                                        ; implicit-def: $vgpr8
.LBB384_1820:
	s_and_not1_saveexec_b32 s2, s2
; %bb.1821:
	v_mov_b32_e32 v4, 0x7f
	v_cmp_lt_u32_e32 vcc_lo, 0x7f800000, v8
	s_delay_alu instid0(VALU_DEP_2)
	v_cndmask_b32_e32 v4, 0x7e, v4, vcc_lo
; %bb.1822:
	s_or_b32 exec_lo, exec_lo, s2
	v_lshrrev_b32_e32 v3, 24, v3
	s_delay_alu instid0(VALU_DEP_1)
	v_and_or_b32 v3, 0x80, v3, v4
	global_store_b8 v[1:2], v3, off
.LBB384_1823:
	s_mov_b32 s2, 0
.LBB384_1824:
	s_delay_alu instid0(SALU_CYCLE_1)
	s_and_not1_b32 vcc_lo, exec_lo, s2
	s_cbranch_vccnz .LBB384_1834
; %bb.1825:
	v_bfe_i32 v3, v6, 0, 16
	s_mov_b32 s2, exec_lo
                                        ; implicit-def: $vgpr4
	s_delay_alu instid0(VALU_DEP_1) | instskip(NEXT) | instid1(VALU_DEP_1)
	v_cvt_f32_i32_e32 v3, v3
	v_and_b32_e32 v8, 0x7fffffff, v3
	s_delay_alu instid0(VALU_DEP_1)
	v_cmpx_gt_u32_e32 0x47800000, v8
	s_xor_b32 s2, exec_lo, s2
	s_cbranch_execz .LBB384_1831
; %bb.1826:
	s_mov_b32 s3, exec_lo
                                        ; implicit-def: $vgpr4
	v_cmpx_lt_u32_e32 0x387fffff, v8
	s_xor_b32 s3, exec_lo, s3
; %bb.1827:
	v_bfe_u32 v4, v3, 21, 1
	s_delay_alu instid0(VALU_DEP_1) | instskip(NEXT) | instid1(VALU_DEP_1)
	v_add3_u32 v4, v3, v4, 0x80fffff
	v_lshrrev_b32_e32 v4, 21, v4
; %bb.1828:
	s_and_not1_saveexec_b32 s3, s3
; %bb.1829:
	v_add_f32_e64 v4, 0x43000000, |v3|
; %bb.1830:
	s_or_b32 exec_lo, exec_lo, s3
                                        ; implicit-def: $vgpr8
.LBB384_1831:
	s_and_not1_saveexec_b32 s2, s2
; %bb.1832:
	v_mov_b32_e32 v4, 0x7f
	v_cmp_lt_u32_e32 vcc_lo, 0x7f800000, v8
	s_delay_alu instid0(VALU_DEP_2)
	v_cndmask_b32_e32 v4, 0x7c, v4, vcc_lo
; %bb.1833:
	s_or_b32 exec_lo, exec_lo, s2
	v_lshrrev_b32_e32 v3, 24, v3
	s_delay_alu instid0(VALU_DEP_1)
	v_and_or_b32 v3, 0x80, v3, v4
	global_store_b8 v[1:2], v3, off
.LBB384_1834:
	s_mov_b32 s2, 0
	s_mov_b32 s3, -1
.LBB384_1835:
	s_and_not1_b32 vcc_lo, exec_lo, s2
	s_mov_b32 s2, 0
	s_cbranch_vccnz .LBB384_1842
; %bb.1836:
	v_cmp_lt_i16_e32 vcc_lo, 14, v7
	s_mov_b32 s2, -1
	s_cbranch_vccz .LBB384_1840
; %bb.1837:
	v_cmp_eq_u16_e32 vcc_lo, 15, v7
	s_mov_b32 s0, -1
	s_cbranch_vccz .LBB384_1839
; %bb.1838:
	v_bfe_i32 v3, v6, 0, 16
	s_mov_b32 s0, 0
	s_mov_b32 s3, -1
	s_delay_alu instid0(VALU_DEP_1) | instskip(NEXT) | instid1(VALU_DEP_1)
	v_cvt_f32_i32_e32 v3, v3
	v_bfe_u32 v4, v3, 16, 1
	s_delay_alu instid0(VALU_DEP_1)
	v_add3_u32 v3, v3, v4, 0x7fff
	global_store_d16_hi_b16 v[1:2], v3, off
.LBB384_1839:
	s_mov_b32 s2, 0
.LBB384_1840:
	s_delay_alu instid0(SALU_CYCLE_1)
	s_and_b32 vcc_lo, exec_lo, s2
	s_mov_b32 s2, 0
	s_cbranch_vccz .LBB384_1842
; %bb.1841:
	v_cmp_ne_u16_e64 s0, 11, v7
	s_mov_b32 s2, -1
.LBB384_1842:
	s_delay_alu instid0(VALU_DEP_1)
	s_and_b32 vcc_lo, exec_lo, s0
	s_cbranch_vccnz .LBB384_2031
; %bb.1843:
	s_and_not1_b32 vcc_lo, exec_lo, s2
	s_cbranch_vccnz .LBB384_1845
.LBB384_1844:
	v_cmp_ne_u16_e32 vcc_lo, 0, v6
	s_mov_b32 s3, -1
	v_cndmask_b32_e64 v3, 0, 1, vcc_lo
	global_store_b8 v[1:2], v3, off
.LBB384_1845:
	s_mov_b32 s0, 0
	s_branch .LBB384_1847
.LBB384_1846:
	s_mov_b32 s0, -1
	s_mov_b32 s3, 0
.LBB384_1847:
	s_and_b32 vcc_lo, exec_lo, s0
	s_cbranch_vccz .LBB384_1886
; %bb.1848:
	v_cmp_gt_i16_e32 vcc_lo, 5, v7
	s_mov_b32 s0, -1
	s_cbranch_vccnz .LBB384_1869
; %bb.1849:
	v_cmp_gt_i16_e32 vcc_lo, 8, v7
	s_cbranch_vccnz .LBB384_1859
; %bb.1850:
	v_cmp_gt_i16_e32 vcc_lo, 9, v7
	s_cbranch_vccnz .LBB384_1856
; %bb.1851:
	v_cmp_lt_i16_e32 vcc_lo, 9, v7
	s_cbranch_vccz .LBB384_1853
; %bb.1852:
	v_bfe_i32 v3, v6, 0, 16
	v_mov_b32_e32 v10, 0
	s_mov_b32 s0, 0
	s_delay_alu instid0(VALU_DEP_2) | instskip(NEXT) | instid1(VALU_DEP_2)
	v_cvt_f64_i32_e32 v[8:9], v3
	v_mov_b32_e32 v11, v10
	global_store_b128 v[1:2], v[8:11], off
.LBB384_1853:
	s_and_not1_b32 vcc_lo, exec_lo, s0
	s_cbranch_vccnz .LBB384_1855
; %bb.1854:
	v_bfe_i32 v3, v6, 0, 16
	v_mov_b32_e32 v4, 0
	s_delay_alu instid0(VALU_DEP_2)
	v_cvt_f32_i32_e32 v3, v3
	global_store_b64 v[1:2], v[3:4], off
.LBB384_1855:
	s_mov_b32 s0, 0
.LBB384_1856:
	s_delay_alu instid0(SALU_CYCLE_1)
	s_and_not1_b32 vcc_lo, exec_lo, s0
	s_cbranch_vccnz .LBB384_1858
; %bb.1857:
	v_cvt_f16_i16_e32 v3, v6
	s_delay_alu instid0(VALU_DEP_1)
	v_and_b32_e32 v3, 0xffff, v3
	global_store_b32 v[1:2], v3, off
.LBB384_1858:
	s_mov_b32 s0, 0
.LBB384_1859:
	s_delay_alu instid0(SALU_CYCLE_1)
	s_and_not1_b32 vcc_lo, exec_lo, s0
	s_cbranch_vccnz .LBB384_1868
; %bb.1860:
	v_cmp_gt_i16_e32 vcc_lo, 6, v7
	s_mov_b32 s0, -1
	s_cbranch_vccnz .LBB384_1866
; %bb.1861:
	v_cmp_lt_i16_e32 vcc_lo, 6, v7
	s_cbranch_vccz .LBB384_1863
; %bb.1862:
	v_bfe_i32 v3, v6, 0, 16
	s_mov_b32 s0, 0
	s_delay_alu instid0(VALU_DEP_1)
	v_cvt_f64_i32_e32 v[3:4], v3
	global_store_b64 v[1:2], v[3:4], off
.LBB384_1863:
	s_and_not1_b32 vcc_lo, exec_lo, s0
	s_cbranch_vccnz .LBB384_1865
; %bb.1864:
	v_bfe_i32 v3, v6, 0, 16
	s_delay_alu instid0(VALU_DEP_1)
	v_cvt_f32_i32_e32 v3, v3
	global_store_b32 v[1:2], v3, off
.LBB384_1865:
	s_mov_b32 s0, 0
.LBB384_1866:
	s_delay_alu instid0(SALU_CYCLE_1)
	s_and_not1_b32 vcc_lo, exec_lo, s0
	s_cbranch_vccnz .LBB384_1868
; %bb.1867:
	v_cvt_f16_i16_e32 v3, v6
	global_store_b16 v[1:2], v3, off
.LBB384_1868:
	s_mov_b32 s0, 0
.LBB384_1869:
	s_delay_alu instid0(SALU_CYCLE_1)
	s_and_not1_b32 vcc_lo, exec_lo, s0
	s_cbranch_vccnz .LBB384_1885
; %bb.1870:
	v_cmp_gt_i16_e32 vcc_lo, 2, v7
	s_mov_b32 s0, -1
	s_cbranch_vccnz .LBB384_1880
; %bb.1871:
	v_cmp_gt_i16_e32 vcc_lo, 3, v7
	s_cbranch_vccnz .LBB384_1877
; %bb.1872:
	v_cmp_lt_i16_e32 vcc_lo, 3, v7
	v_bfe_i32 v3, v6, 0, 16
	s_cbranch_vccz .LBB384_1874
; %bb.1873:
	s_delay_alu instid0(VALU_DEP_1)
	v_ashrrev_i32_e32 v4, 31, v3
	s_mov_b32 s0, 0
	global_store_b64 v[1:2], v[3:4], off
.LBB384_1874:
	s_and_not1_b32 vcc_lo, exec_lo, s0
	s_cbranch_vccnz .LBB384_1876
; %bb.1875:
	global_store_b32 v[1:2], v3, off
.LBB384_1876:
	s_mov_b32 s0, 0
.LBB384_1877:
	s_delay_alu instid0(SALU_CYCLE_1)
	s_and_not1_b32 vcc_lo, exec_lo, s0
	s_cbranch_vccnz .LBB384_1879
; %bb.1878:
	global_store_b16 v[1:2], v6, off
.LBB384_1879:
	s_mov_b32 s0, 0
.LBB384_1880:
	s_delay_alu instid0(SALU_CYCLE_1)
	s_and_not1_b32 vcc_lo, exec_lo, s0
	s_cbranch_vccnz .LBB384_1885
; %bb.1881:
	v_cmp_lt_i16_e32 vcc_lo, 0, v7
	s_mov_b32 s0, -1
	s_cbranch_vccz .LBB384_1883
; %bb.1882:
	s_mov_b32 s0, 0
	global_store_b8 v[1:2], v6, off
.LBB384_1883:
	s_and_not1_b32 vcc_lo, exec_lo, s0
	s_cbranch_vccnz .LBB384_1885
; %bb.1884:
	global_store_b8 v[1:2], v6, off
.LBB384_1885:
	s_mov_b32 s3, -1
.LBB384_1886:
	s_delay_alu instid0(SALU_CYCLE_1)
	s_and_not1_b32 vcc_lo, exec_lo, s3
	s_cbranch_vccnz .LBB384_1963
; %bb.1887:
	v_add_nc_u32_e32 v1, s1, v5
	v_max_i16 v2, v0, s8
	v_cmp_gt_i16_e32 vcc_lo, 11, v7
	s_delay_alu instid0(VALU_DEP_3) | instskip(SKIP_1) | instid1(VALU_DEP_1)
	v_ashrrev_i32_e32 v3, 31, v1
	v_add_co_u32 v0, s0, s4, v1
	v_add_co_ci_u32_e64 v1, s0, s5, v3, s0
	s_cbranch_vccnz .LBB384_2008
; %bb.1888:
	v_cmp_lt_i16_e32 vcc_lo, 25, v7
	s_mov_b32 s2, -1
	s_mov_b32 s1, 0
	s_mov_b32 s0, 0
	s_cbranch_vccz .LBB384_1921
; %bb.1889:
	v_cmp_lt_i16_e32 vcc_lo, 28, v7
	s_cbranch_vccz .LBB384_1905
; %bb.1890:
	v_cmp_lt_i16_e32 vcc_lo, 43, v7
	;; [unrolled: 3-line block ×3, first 2 shown]
	s_cbranch_vccz .LBB384_1895
; %bb.1892:
	v_cmp_eq_u16_e32 vcc_lo, 46, v7
	s_mov_b32 s0, -1
	s_cbranch_vccz .LBB384_1894
; %bb.1893:
	v_bfe_i32 v3, v2, 0, 16
	s_mov_b32 s0, 0
	s_delay_alu instid0(VALU_DEP_1) | instskip(NEXT) | instid1(VALU_DEP_1)
	v_cvt_f32_i32_e32 v3, v3
	v_bfe_u32 v4, v3, 16, 1
	s_delay_alu instid0(VALU_DEP_1) | instskip(NEXT) | instid1(VALU_DEP_1)
	v_add3_u32 v3, v3, v4, 0x7fff
	v_lshrrev_b32_e32 v3, 16, v3
	global_store_b32 v[0:1], v3, off
.LBB384_1894:
	s_mov_b32 s2, 0
.LBB384_1895:
	s_delay_alu instid0(SALU_CYCLE_1)
	s_and_b32 vcc_lo, exec_lo, s2
	s_cbranch_vccz .LBB384_1900
; %bb.1896:
	v_cmp_eq_u16_e32 vcc_lo, 44, v7
	s_mov_b32 s0, -1
	s_cbranch_vccz .LBB384_1900
; %bb.1897:
	v_bfe_i32 v3, v2, 0, 16
	v_mov_b32_e32 v4, 0xff
	s_mov_b32 s2, exec_lo
	s_delay_alu instid0(VALU_DEP_2) | instskip(NEXT) | instid1(VALU_DEP_1)
	v_cvt_f32_i32_e32 v3, v3
	v_bfe_u32 v5, v3, 23, 8
	s_delay_alu instid0(VALU_DEP_1)
	v_cmpx_ne_u32_e32 0xff, v5
; %bb.1898:
	v_and_b32_e32 v4, 0x400000, v3
	v_and_or_b32 v5, 0x3fffff, v3, v5
	v_lshrrev_b32_e32 v3, 23, v3
	s_delay_alu instid0(VALU_DEP_3) | instskip(NEXT) | instid1(VALU_DEP_3)
	v_cmp_ne_u32_e32 vcc_lo, 0, v4
	v_cmp_ne_u32_e64 s0, 0, v5
	s_delay_alu instid0(VALU_DEP_1) | instskip(NEXT) | instid1(SALU_CYCLE_1)
	s_and_b32 s0, vcc_lo, s0
	v_cndmask_b32_e64 v4, 0, 1, s0
	s_delay_alu instid0(VALU_DEP_1)
	v_add_nc_u32_e32 v4, v3, v4
; %bb.1899:
	s_or_b32 exec_lo, exec_lo, s2
	s_mov_b32 s0, 0
	global_store_b8 v[0:1], v4, off
.LBB384_1900:
	s_mov_b32 s2, 0
.LBB384_1901:
	s_delay_alu instid0(SALU_CYCLE_1)
	s_and_b32 vcc_lo, exec_lo, s2
	s_cbranch_vccz .LBB384_1904
; %bb.1902:
	v_cmp_eq_u16_e32 vcc_lo, 29, v7
	s_mov_b32 s0, -1
	s_cbranch_vccz .LBB384_1904
; %bb.1903:
	v_bfe_i32 v3, v2, 0, 16
	s_mov_b32 s0, 0
	s_delay_alu instid0(VALU_DEP_1)
	v_ashrrev_i32_e32 v4, 31, v3
	global_store_b64 v[0:1], v[3:4], off
.LBB384_1904:
	s_mov_b32 s2, 0
.LBB384_1905:
	s_delay_alu instid0(SALU_CYCLE_1)
	s_and_b32 vcc_lo, exec_lo, s2
	s_cbranch_vccz .LBB384_1920
; %bb.1906:
	v_cmp_gt_i16_e32 vcc_lo, 27, v7
	s_mov_b32 s2, -1
	s_cbranch_vccnz .LBB384_1912
; %bb.1907:
	v_cmp_lt_i16_e32 vcc_lo, 27, v7
	s_cbranch_vccz .LBB384_1909
; %bb.1908:
	v_bfe_i32 v3, v2, 0, 16
	s_mov_b32 s2, 0
	global_store_b32 v[0:1], v3, off
.LBB384_1909:
	s_and_not1_b32 vcc_lo, exec_lo, s2
	s_cbranch_vccnz .LBB384_1911
; %bb.1910:
	global_store_b16 v[0:1], v2, off
.LBB384_1911:
	s_mov_b32 s2, 0
.LBB384_1912:
	s_delay_alu instid0(SALU_CYCLE_1)
	s_and_not1_b32 vcc_lo, exec_lo, s2
	s_cbranch_vccnz .LBB384_1920
; %bb.1913:
	v_bfe_i32 v3, v2, 0, 16
	v_mov_b32_e32 v5, 0x80
	s_mov_b32 s2, exec_lo
	s_delay_alu instid0(VALU_DEP_2) | instskip(NEXT) | instid1(VALU_DEP_1)
	v_cvt_f32_i32_e32 v3, v3
	v_and_b32_e32 v4, 0x7fffffff, v3
	s_delay_alu instid0(VALU_DEP_1)
	v_cmpx_gt_u32_e32 0x43800000, v4
	s_cbranch_execz .LBB384_1919
; %bb.1914:
	v_cmp_lt_u32_e32 vcc_lo, 0x3bffffff, v4
	s_mov_b32 s3, 0
                                        ; implicit-def: $vgpr4
	s_and_saveexec_b32 s4, vcc_lo
	s_delay_alu instid0(SALU_CYCLE_1)
	s_xor_b32 s4, exec_lo, s4
	s_cbranch_execz .LBB384_2035
; %bb.1915:
	v_bfe_u32 v4, v3, 20, 1
	s_mov_b32 s3, exec_lo
	s_delay_alu instid0(VALU_DEP_1) | instskip(NEXT) | instid1(VALU_DEP_1)
	v_add3_u32 v4, v3, v4, 0x487ffff
	v_lshrrev_b32_e32 v4, 20, v4
	s_or_saveexec_b32 s4, s4
                                        ; implicit-def: $sgpr5
	s_delay_alu instid0(SALU_CYCLE_1)
	s_xor_b32 exec_lo, exec_lo, s4
	s_cbranch_execnz .LBB384_2036
.LBB384_1916:
	s_or_b32 exec_lo, exec_lo, s4
	v_mov_b32_e32 v5, s5
	s_and_saveexec_b32 s4, s3
.LBB384_1917:
	v_lshrrev_b32_e32 v3, 24, v3
	s_delay_alu instid0(VALU_DEP_1)
	v_and_or_b32 v5, 0x80, v3, v4
.LBB384_1918:
	s_or_b32 exec_lo, exec_lo, s4
.LBB384_1919:
	s_delay_alu instid0(SALU_CYCLE_1)
	s_or_b32 exec_lo, exec_lo, s2
	global_store_b8 v[0:1], v5, off
.LBB384_1920:
	s_mov_b32 s2, 0
.LBB384_1921:
	s_delay_alu instid0(SALU_CYCLE_1)
	s_and_b32 vcc_lo, exec_lo, s2
	s_cbranch_vccz .LBB384_1961
; %bb.1922:
	v_cmp_lt_i16_e32 vcc_lo, 22, v7
	s_mov_b32 s1, -1
	s_cbranch_vccz .LBB384_1954
; %bb.1923:
	v_cmp_gt_i16_e32 vcc_lo, 24, v7
	s_cbranch_vccnz .LBB384_1943
; %bb.1924:
	v_cmp_lt_i16_e32 vcc_lo, 24, v7
	s_cbranch_vccz .LBB384_1932
; %bb.1925:
	v_bfe_i32 v3, v2, 0, 16
	v_mov_b32_e32 v5, 0x80
	s_mov_b32 s1, exec_lo
	s_delay_alu instid0(VALU_DEP_2) | instskip(NEXT) | instid1(VALU_DEP_1)
	v_cvt_f32_i32_e32 v3, v3
	v_and_b32_e32 v4, 0x7fffffff, v3
	s_delay_alu instid0(VALU_DEP_1)
	v_cmpx_gt_u32_e32 0x47800000, v4
	s_cbranch_execz .LBB384_1931
; %bb.1926:
	v_cmp_lt_u32_e32 vcc_lo, 0x37ffffff, v4
	s_mov_b32 s2, 0
                                        ; implicit-def: $vgpr4
	s_and_saveexec_b32 s3, vcc_lo
	s_delay_alu instid0(SALU_CYCLE_1)
	s_xor_b32 s3, exec_lo, s3
	s_cbranch_execz .LBB384_2041
; %bb.1927:
	v_bfe_u32 v4, v3, 21, 1
	s_mov_b32 s2, exec_lo
	s_delay_alu instid0(VALU_DEP_1) | instskip(NEXT) | instid1(VALU_DEP_1)
	v_add3_u32 v4, v3, v4, 0x88fffff
	v_lshrrev_b32_e32 v4, 21, v4
	s_or_saveexec_b32 s3, s3
                                        ; implicit-def: $sgpr4
	s_delay_alu instid0(SALU_CYCLE_1)
	s_xor_b32 exec_lo, exec_lo, s3
	s_cbranch_execnz .LBB384_2042
.LBB384_1928:
	s_or_b32 exec_lo, exec_lo, s3
	v_mov_b32_e32 v5, s4
	s_and_saveexec_b32 s3, s2
.LBB384_1929:
	v_lshrrev_b32_e32 v3, 24, v3
	s_delay_alu instid0(VALU_DEP_1)
	v_and_or_b32 v5, 0x80, v3, v4
.LBB384_1930:
	s_or_b32 exec_lo, exec_lo, s3
.LBB384_1931:
	s_delay_alu instid0(SALU_CYCLE_1)
	s_or_b32 exec_lo, exec_lo, s1
	s_mov_b32 s1, 0
	global_store_b8 v[0:1], v5, off
.LBB384_1932:
	s_and_b32 vcc_lo, exec_lo, s1
	s_cbranch_vccz .LBB384_1942
; %bb.1933:
	v_bfe_i32 v3, v2, 0, 16
	s_mov_b32 s1, exec_lo
                                        ; implicit-def: $vgpr4
	s_delay_alu instid0(VALU_DEP_1) | instskip(NEXT) | instid1(VALU_DEP_1)
	v_cvt_f32_i32_e32 v3, v3
	v_and_b32_e32 v5, 0x7fffffff, v3
	s_delay_alu instid0(VALU_DEP_1)
	v_cmpx_gt_u32_e32 0x43f00000, v5
	s_xor_b32 s1, exec_lo, s1
	s_cbranch_execz .LBB384_1939
; %bb.1934:
	s_mov_b32 s2, exec_lo
                                        ; implicit-def: $vgpr4
	v_cmpx_lt_u32_e32 0x3c7fffff, v5
	s_xor_b32 s2, exec_lo, s2
; %bb.1935:
	v_bfe_u32 v4, v3, 20, 1
	s_delay_alu instid0(VALU_DEP_1) | instskip(NEXT) | instid1(VALU_DEP_1)
	v_add3_u32 v4, v3, v4, 0x407ffff
	v_and_b32_e32 v5, 0xff00000, v4
	v_lshrrev_b32_e32 v4, 20, v4
	s_delay_alu instid0(VALU_DEP_2) | instskip(NEXT) | instid1(VALU_DEP_2)
	v_cmp_ne_u32_e32 vcc_lo, 0x7f00000, v5
	v_cndmask_b32_e32 v4, 0x7e, v4, vcc_lo
; %bb.1936:
	s_and_not1_saveexec_b32 s2, s2
; %bb.1937:
	v_add_f32_e64 v4, 0x46800000, |v3|
; %bb.1938:
	s_or_b32 exec_lo, exec_lo, s2
                                        ; implicit-def: $vgpr5
.LBB384_1939:
	s_and_not1_saveexec_b32 s1, s1
; %bb.1940:
	v_mov_b32_e32 v4, 0x7f
	v_cmp_lt_u32_e32 vcc_lo, 0x7f800000, v5
	s_delay_alu instid0(VALU_DEP_2)
	v_cndmask_b32_e32 v4, 0x7e, v4, vcc_lo
; %bb.1941:
	s_or_b32 exec_lo, exec_lo, s1
	v_lshrrev_b32_e32 v3, 24, v3
	s_delay_alu instid0(VALU_DEP_1)
	v_and_or_b32 v3, 0x80, v3, v4
	global_store_b8 v[0:1], v3, off
.LBB384_1942:
	s_mov_b32 s1, 0
.LBB384_1943:
	s_delay_alu instid0(SALU_CYCLE_1)
	s_and_not1_b32 vcc_lo, exec_lo, s1
	s_cbranch_vccnz .LBB384_1953
; %bb.1944:
	v_bfe_i32 v3, v2, 0, 16
	s_mov_b32 s1, exec_lo
                                        ; implicit-def: $vgpr4
	s_delay_alu instid0(VALU_DEP_1) | instskip(NEXT) | instid1(VALU_DEP_1)
	v_cvt_f32_i32_e32 v3, v3
	v_and_b32_e32 v5, 0x7fffffff, v3
	s_delay_alu instid0(VALU_DEP_1)
	v_cmpx_gt_u32_e32 0x47800000, v5
	s_xor_b32 s1, exec_lo, s1
	s_cbranch_execz .LBB384_1950
; %bb.1945:
	s_mov_b32 s2, exec_lo
                                        ; implicit-def: $vgpr4
	v_cmpx_lt_u32_e32 0x387fffff, v5
	s_xor_b32 s2, exec_lo, s2
; %bb.1946:
	v_bfe_u32 v4, v3, 21, 1
	s_delay_alu instid0(VALU_DEP_1) | instskip(NEXT) | instid1(VALU_DEP_1)
	v_add3_u32 v4, v3, v4, 0x80fffff
	v_lshrrev_b32_e32 v4, 21, v4
; %bb.1947:
	s_and_not1_saveexec_b32 s2, s2
; %bb.1948:
	v_add_f32_e64 v4, 0x43000000, |v3|
; %bb.1949:
	s_or_b32 exec_lo, exec_lo, s2
                                        ; implicit-def: $vgpr5
.LBB384_1950:
	s_and_not1_saveexec_b32 s1, s1
; %bb.1951:
	v_mov_b32_e32 v4, 0x7f
	v_cmp_lt_u32_e32 vcc_lo, 0x7f800000, v5
	s_delay_alu instid0(VALU_DEP_2)
	v_cndmask_b32_e32 v4, 0x7c, v4, vcc_lo
; %bb.1952:
	s_or_b32 exec_lo, exec_lo, s1
	v_lshrrev_b32_e32 v3, 24, v3
	s_delay_alu instid0(VALU_DEP_1)
	v_and_or_b32 v3, 0x80, v3, v4
	global_store_b8 v[0:1], v3, off
.LBB384_1953:
	s_mov_b32 s1, 0
.LBB384_1954:
	s_delay_alu instid0(SALU_CYCLE_1)
	s_and_not1_b32 vcc_lo, exec_lo, s1
	s_mov_b32 s1, 0
	s_cbranch_vccnz .LBB384_1961
; %bb.1955:
	v_cmp_lt_i16_e32 vcc_lo, 14, v7
	s_mov_b32 s1, -1
	s_cbranch_vccz .LBB384_1959
; %bb.1956:
	v_cmp_eq_u16_e32 vcc_lo, 15, v7
	s_mov_b32 s0, -1
	s_cbranch_vccz .LBB384_1958
; %bb.1957:
	v_bfe_i32 v3, v2, 0, 16
	s_mov_b32 s0, 0
	s_delay_alu instid0(VALU_DEP_1) | instskip(NEXT) | instid1(VALU_DEP_1)
	v_cvt_f32_i32_e32 v3, v3
	v_bfe_u32 v4, v3, 16, 1
	s_delay_alu instid0(VALU_DEP_1)
	v_add3_u32 v3, v3, v4, 0x7fff
	global_store_d16_hi_b16 v[0:1], v3, off
.LBB384_1958:
	s_mov_b32 s1, 0
.LBB384_1959:
	s_delay_alu instid0(SALU_CYCLE_1)
	s_and_b32 vcc_lo, exec_lo, s1
	s_mov_b32 s1, 0
	s_cbranch_vccz .LBB384_1961
; %bb.1960:
	v_cmp_ne_u16_e64 s0, 11, v7
	s_mov_b32 s1, -1
.LBB384_1961:
	s_delay_alu instid0(VALU_DEP_1)
	s_and_b32 vcc_lo, exec_lo, s0
	s_cbranch_vccnz .LBB384_2039
.LBB384_1962:
	s_mov_b32 s0, 0
	s_branch .LBB384_1964
.LBB384_1963:
	s_mov_b32 s0, 0
	s_mov_b32 s1, 0
                                        ; implicit-def: $vgpr7
                                        ; implicit-def: $vgpr0_vgpr1
                                        ; implicit-def: $vgpr2
.LBB384_1964:
	s_and_not1_b32 s2, s12, exec_lo
	s_and_b32 s3, s10, exec_lo
	s_and_b32 s0, s0, exec_lo
	s_and_b32 s10, s1, exec_lo
	s_or_b32 s12, s2, s3
.LBB384_1965:
	s_or_b32 exec_lo, exec_lo, s11
	s_and_saveexec_b32 s1, s12
	s_cbranch_execz .LBB384_1968
; %bb.1966:
	; divergent unreachable
	s_or_b32 exec_lo, exec_lo, s1
	s_and_saveexec_b32 s1, s10
	s_delay_alu instid0(SALU_CYCLE_1)
	s_xor_b32 s1, exec_lo, s1
	s_cbranch_execnz .LBB384_1969
.LBB384_1967:
	s_or_b32 exec_lo, exec_lo, s1
	s_and_saveexec_b32 s1, s0
	s_cbranch_execnz .LBB384_1970
	s_branch .LBB384_2007
.LBB384_1968:
	s_or_b32 exec_lo, exec_lo, s1
	s_and_saveexec_b32 s1, s10
	s_delay_alu instid0(SALU_CYCLE_1)
	s_xor_b32 s1, exec_lo, s1
	s_cbranch_execz .LBB384_1967
.LBB384_1969:
	s_waitcnt vmcnt(0)
	v_cmp_ne_u16_e32 vcc_lo, 0, v2
	v_cndmask_b32_e64 v3, 0, 1, vcc_lo
	global_store_b8 v[0:1], v3, off
	s_or_b32 exec_lo, exec_lo, s1
	s_and_saveexec_b32 s1, s0
	s_cbranch_execz .LBB384_2007
.LBB384_1970:
	s_waitcnt vmcnt(0)
	v_cmp_gt_i16_e32 vcc_lo, 5, v7
	s_mov_b32 s0, -1
	s_cbranch_vccnz .LBB384_1991
; %bb.1971:
	v_cmp_gt_i16_e32 vcc_lo, 8, v7
	s_cbranch_vccnz .LBB384_1981
; %bb.1972:
	v_cmp_gt_i16_e32 vcc_lo, 9, v7
	s_cbranch_vccnz .LBB384_1978
; %bb.1973:
	v_cmp_lt_i16_e32 vcc_lo, 9, v7
	s_cbranch_vccz .LBB384_1975
; %bb.1974:
	v_bfe_i32 v3, v2, 0, 16
	v_mov_b32_e32 v5, 0
	s_mov_b32 s0, 0
	s_delay_alu instid0(VALU_DEP_2) | instskip(NEXT) | instid1(VALU_DEP_2)
	v_cvt_f64_i32_e32 v[3:4], v3
	v_mov_b32_e32 v6, v5
	global_store_b128 v[0:1], v[3:6], off
.LBB384_1975:
	s_and_not1_b32 vcc_lo, exec_lo, s0
	s_cbranch_vccnz .LBB384_1977
; %bb.1976:
	v_bfe_i32 v3, v2, 0, 16
	v_mov_b32_e32 v4, 0
	s_delay_alu instid0(VALU_DEP_2)
	v_cvt_f32_i32_e32 v3, v3
	global_store_b64 v[0:1], v[3:4], off
.LBB384_1977:
	s_mov_b32 s0, 0
.LBB384_1978:
	s_delay_alu instid0(SALU_CYCLE_1)
	s_and_not1_b32 vcc_lo, exec_lo, s0
	s_cbranch_vccnz .LBB384_1980
; %bb.1979:
	v_cvt_f16_i16_e32 v3, v2
	s_delay_alu instid0(VALU_DEP_1)
	v_and_b32_e32 v3, 0xffff, v3
	global_store_b32 v[0:1], v3, off
.LBB384_1980:
	s_mov_b32 s0, 0
.LBB384_1981:
	s_delay_alu instid0(SALU_CYCLE_1)
	s_and_not1_b32 vcc_lo, exec_lo, s0
	s_cbranch_vccnz .LBB384_1990
; %bb.1982:
	v_cmp_gt_i16_e32 vcc_lo, 6, v7
	s_mov_b32 s0, -1
	s_cbranch_vccnz .LBB384_1988
; %bb.1983:
	v_cmp_lt_i16_e32 vcc_lo, 6, v7
	s_cbranch_vccz .LBB384_1985
; %bb.1984:
	v_bfe_i32 v3, v2, 0, 16
	s_mov_b32 s0, 0
	s_delay_alu instid0(VALU_DEP_1)
	v_cvt_f64_i32_e32 v[3:4], v3
	global_store_b64 v[0:1], v[3:4], off
.LBB384_1985:
	s_and_not1_b32 vcc_lo, exec_lo, s0
	s_cbranch_vccnz .LBB384_1987
; %bb.1986:
	v_bfe_i32 v3, v2, 0, 16
	s_delay_alu instid0(VALU_DEP_1)
	v_cvt_f32_i32_e32 v3, v3
	global_store_b32 v[0:1], v3, off
.LBB384_1987:
	s_mov_b32 s0, 0
.LBB384_1988:
	s_delay_alu instid0(SALU_CYCLE_1)
	s_and_not1_b32 vcc_lo, exec_lo, s0
	s_cbranch_vccnz .LBB384_1990
; %bb.1989:
	v_cvt_f16_i16_e32 v3, v2
	global_store_b16 v[0:1], v3, off
.LBB384_1990:
	s_mov_b32 s0, 0
.LBB384_1991:
	s_delay_alu instid0(SALU_CYCLE_1)
	s_and_not1_b32 vcc_lo, exec_lo, s0
	s_cbranch_vccnz .LBB384_2007
; %bb.1992:
	v_cmp_gt_i16_e32 vcc_lo, 2, v7
	s_mov_b32 s0, -1
	s_cbranch_vccnz .LBB384_2002
; %bb.1993:
	v_cmp_gt_i16_e32 vcc_lo, 3, v7
	s_cbranch_vccnz .LBB384_1999
; %bb.1994:
	v_cmp_lt_i16_e32 vcc_lo, 3, v7
	s_cbranch_vccz .LBB384_1996
; %bb.1995:
	v_bfe_i32 v3, v2, 0, 16
	s_mov_b32 s0, 0
	s_delay_alu instid0(VALU_DEP_1)
	v_ashrrev_i32_e32 v4, 31, v3
	global_store_b64 v[0:1], v[3:4], off
.LBB384_1996:
	s_and_not1_b32 vcc_lo, exec_lo, s0
	s_cbranch_vccnz .LBB384_1998
; %bb.1997:
	v_bfe_i32 v3, v2, 0, 16
	global_store_b32 v[0:1], v3, off
.LBB384_1998:
	s_mov_b32 s0, 0
.LBB384_1999:
	s_delay_alu instid0(SALU_CYCLE_1)
	s_and_not1_b32 vcc_lo, exec_lo, s0
	s_cbranch_vccnz .LBB384_2001
; %bb.2000:
	global_store_b16 v[0:1], v2, off
.LBB384_2001:
	s_mov_b32 s0, 0
.LBB384_2002:
	s_delay_alu instid0(SALU_CYCLE_1)
	s_and_not1_b32 vcc_lo, exec_lo, s0
	s_cbranch_vccnz .LBB384_2007
; %bb.2003:
	v_cmp_lt_i16_e32 vcc_lo, 0, v7
	s_mov_b32 s0, -1
	s_cbranch_vccz .LBB384_2005
; %bb.2004:
	s_mov_b32 s0, 0
	global_store_b8 v[0:1], v2, off
.LBB384_2005:
	s_and_not1_b32 vcc_lo, exec_lo, s0
	s_cbranch_vccnz .LBB384_2007
; %bb.2006:
	global_store_b8 v[0:1], v2, off
	s_nop 0
	s_sendmsg sendmsg(MSG_DEALLOC_VGPRS)
	s_endpgm
.LBB384_2007:
	s_nop 0
	s_sendmsg sendmsg(MSG_DEALLOC_VGPRS)
	s_endpgm
.LBB384_2008:
	s_mov_b32 s1, 0
	s_mov_b32 s0, -1
	s_branch .LBB384_1964
.LBB384_2009:
	s_cbranch_execnz .LBB384_2013
; %bb.2010:
	s_or_b32 s10, s10, exec_lo
                                        ; implicit-def: $vgpr0
	s_cbranch_execz .LBB384_1478
	s_branch .LBB384_1479
.LBB384_2011:
	s_or_saveexec_b32 s7, s7
                                        ; implicit-def: $sgpr9
	s_delay_alu instid0(SALU_CYCLE_1)
	s_xor_b32 exec_lo, exec_lo, s7
	s_cbranch_execz .LBB384_1558
.LBB384_2012:
	v_add_f32_e64 v9, 0x46000000, |v8|
	s_and_not1_b32 s6, s6, exec_lo
	s_mov_b32 s9, 0
	s_delay_alu instid0(VALU_DEP_1) | instskip(NEXT) | instid1(VALU_DEP_1)
	v_and_b32_e32 v9, 0xff, v9
	v_cmp_ne_u32_e32 vcc_lo, 0, v9
	s_and_b32 s13, vcc_lo, exec_lo
	s_delay_alu instid0(SALU_CYCLE_1)
	s_or_b32 s6, s6, s13
	s_or_b32 exec_lo, exec_lo, s7
	v_mov_b32_e32 v10, s9
	s_and_saveexec_b32 s7, s6
	s_cbranch_execnz .LBB384_1559
	s_branch .LBB384_1560
.LBB384_2013:
	s_trap 2
	s_sendmsg_rtn_b32 s0, sendmsg(MSG_RTN_GET_DOORBELL)
	s_mov_b32 ttmp2, m0
	s_waitcnt lgkmcnt(0)
	s_and_b32 s0, s0, 0x3ff
	s_delay_alu instid0(SALU_CYCLE_1) | instskip(NEXT) | instid1(SALU_CYCLE_1)
	s_bitset1_b32 s0, 10
	s_mov_b32 m0, s0
	s_sendmsg sendmsg(MSG_INTERRUPT)
	s_mov_b32 m0, ttmp2
.LBB384_2014:                           ; =>This Inner Loop Header: Depth=1
	s_sethalt 5
	s_branch .LBB384_2014
.LBB384_2015:
	s_cbranch_execnz .LBB384_2021
; %bb.2016:
	s_or_b32 s10, s10, exec_lo
	s_cbranch_execz .LBB384_1606
	s_branch .LBB384_1607
.LBB384_2017:
	s_or_saveexec_b32 s6, s6
                                        ; implicit-def: $sgpr7
	s_delay_alu instid0(SALU_CYCLE_1)
	s_xor_b32 exec_lo, exec_lo, s6
	s_cbranch_execz .LBB384_1571
.LBB384_2018:
	v_add_f32_e64 v9, 0x42800000, |v8|
	s_and_not1_b32 s3, s3, exec_lo
	s_mov_b32 s7, 0
	s_delay_alu instid0(VALU_DEP_1) | instskip(NEXT) | instid1(VALU_DEP_1)
	v_and_b32_e32 v9, 0xff, v9
	v_cmp_ne_u32_e32 vcc_lo, 0, v9
	s_and_b32 s9, vcc_lo, exec_lo
	s_delay_alu instid0(SALU_CYCLE_1)
	s_or_b32 s3, s3, s9
	s_or_b32 exec_lo, exec_lo, s6
	v_mov_b32_e32 v10, s7
	s_and_saveexec_b32 s6, s3
	s_cbranch_execnz .LBB384_1572
	s_branch .LBB384_1573
.LBB384_2019:
	s_or_saveexec_b32 s7, s7
                                        ; implicit-def: $sgpr9
	s_delay_alu instid0(SALU_CYCLE_1)
	s_xor_b32 exec_lo, exec_lo, s7
	s_cbranch_execz .LBB384_1677
.LBB384_2020:
	v_add_f32_e64 v6, 0x46000000, |v5|
	s_and_not1_b32 s6, s6, exec_lo
	s_mov_b32 s9, 0
	s_delay_alu instid0(VALU_DEP_1) | instskip(NEXT) | instid1(VALU_DEP_1)
	v_and_b32_e32 v6, 0xff, v6
	v_cmp_ne_u32_e32 vcc_lo, 0, v6
	s_and_b32 s13, vcc_lo, exec_lo
	s_delay_alu instid0(SALU_CYCLE_1)
	s_or_b32 s6, s6, s13
	s_or_b32 exec_lo, exec_lo, s7
	v_mov_b32_e32 v9, s9
	s_and_saveexec_b32 s7, s6
	s_cbranch_execnz .LBB384_1678
	s_branch .LBB384_1679
.LBB384_2021:
	s_trap 2
	s_sendmsg_rtn_b32 s0, sendmsg(MSG_RTN_GET_DOORBELL)
	s_mov_b32 ttmp2, m0
	s_waitcnt lgkmcnt(0)
	s_and_b32 s0, s0, 0x3ff
	s_delay_alu instid0(SALU_CYCLE_1) | instskip(NEXT) | instid1(SALU_CYCLE_1)
	s_bitset1_b32 s0, 10
	s_mov_b32 m0, s0
	s_sendmsg sendmsg(MSG_INTERRUPT)
	s_mov_b32 m0, ttmp2
.LBB384_2022:                           ; =>This Inner Loop Header: Depth=1
	s_sethalt 5
	s_branch .LBB384_2022
.LBB384_2023:
	s_cbranch_execnz .LBB384_2029
; %bb.2024:
	s_or_b32 s10, s10, exec_lo
	s_cbranch_execz .LBB384_1725
	s_branch .LBB384_1726
.LBB384_2025:
	s_or_saveexec_b32 s6, s6
                                        ; implicit-def: $sgpr7
	s_delay_alu instid0(SALU_CYCLE_1)
	s_xor_b32 exec_lo, exec_lo, s6
	s_cbranch_execz .LBB384_1690
.LBB384_2026:
	v_add_f32_e64 v6, 0x42800000, |v5|
	s_and_not1_b32 s3, s3, exec_lo
	s_mov_b32 s7, 0
	s_delay_alu instid0(VALU_DEP_1) | instskip(NEXT) | instid1(VALU_DEP_1)
	v_and_b32_e32 v6, 0xff, v6
	v_cmp_ne_u32_e32 vcc_lo, 0, v6
	s_and_b32 s9, vcc_lo, exec_lo
	s_delay_alu instid0(SALU_CYCLE_1)
	s_or_b32 s3, s3, s9
	s_or_b32 exec_lo, exec_lo, s6
	v_mov_b32_e32 v9, s7
	s_and_saveexec_b32 s6, s3
	s_cbranch_execnz .LBB384_1691
	s_branch .LBB384_1692
.LBB384_2027:
	s_or_saveexec_b32 s7, s7
                                        ; implicit-def: $sgpr9
	s_delay_alu instid0(SALU_CYCLE_1)
	s_xor_b32 exec_lo, exec_lo, s7
	s_cbranch_execz .LBB384_1796
.LBB384_2028:
	v_add_f32_e64 v4, 0x46000000, |v3|
	s_and_not1_b32 s6, s6, exec_lo
	s_mov_b32 s9, 0
	s_delay_alu instid0(VALU_DEP_1) | instskip(NEXT) | instid1(VALU_DEP_1)
	v_and_b32_e32 v4, 0xff, v4
	v_cmp_ne_u32_e32 vcc_lo, 0, v4
	s_and_b32 s13, vcc_lo, exec_lo
	s_delay_alu instid0(SALU_CYCLE_1)
	s_or_b32 s6, s6, s13
	s_or_b32 exec_lo, exec_lo, s7
	v_mov_b32_e32 v8, s9
	s_and_saveexec_b32 s7, s6
	s_cbranch_execnz .LBB384_1797
	s_branch .LBB384_1798
.LBB384_2029:
	s_trap 2
	s_sendmsg_rtn_b32 s0, sendmsg(MSG_RTN_GET_DOORBELL)
	s_mov_b32 ttmp2, m0
	s_waitcnt lgkmcnt(0)
	s_and_b32 s0, s0, 0x3ff
	s_delay_alu instid0(SALU_CYCLE_1) | instskip(NEXT) | instid1(SALU_CYCLE_1)
	s_bitset1_b32 s0, 10
	s_mov_b32 m0, s0
	s_sendmsg sendmsg(MSG_INTERRUPT)
	s_mov_b32 m0, ttmp2
.LBB384_2030:                           ; =>This Inner Loop Header: Depth=1
	s_sethalt 5
	s_branch .LBB384_2030
.LBB384_2031:
	s_cbranch_execnz .LBB384_2037
; %bb.2032:
	s_or_b32 s10, s10, exec_lo
	s_cbranch_execz .LBB384_1844
	s_branch .LBB384_1845
.LBB384_2033:
	s_or_saveexec_b32 s6, s6
                                        ; implicit-def: $sgpr7
	s_delay_alu instid0(SALU_CYCLE_1)
	s_xor_b32 exec_lo, exec_lo, s6
	s_cbranch_execz .LBB384_1809
.LBB384_2034:
	v_add_f32_e64 v4, 0x42800000, |v3|
	s_and_not1_b32 s3, s3, exec_lo
	s_mov_b32 s7, 0
	s_delay_alu instid0(VALU_DEP_1) | instskip(NEXT) | instid1(VALU_DEP_1)
	v_and_b32_e32 v4, 0xff, v4
	v_cmp_ne_u32_e32 vcc_lo, 0, v4
	s_and_b32 s9, vcc_lo, exec_lo
	s_delay_alu instid0(SALU_CYCLE_1)
	s_or_b32 s3, s3, s9
	s_or_b32 exec_lo, exec_lo, s6
	v_mov_b32_e32 v8, s7
	s_and_saveexec_b32 s6, s3
	s_cbranch_execnz .LBB384_1810
	s_branch .LBB384_1811
.LBB384_2035:
	s_or_saveexec_b32 s4, s4
                                        ; implicit-def: $sgpr5
	s_delay_alu instid0(SALU_CYCLE_1)
	s_xor_b32 exec_lo, exec_lo, s4
	s_cbranch_execz .LBB384_1916
.LBB384_2036:
	v_add_f32_e64 v4, 0x46000000, |v3|
	s_and_not1_b32 s3, s3, exec_lo
	s_mov_b32 s5, 0
	s_delay_alu instid0(VALU_DEP_1) | instskip(NEXT) | instid1(VALU_DEP_1)
	v_and_b32_e32 v4, 0xff, v4
	v_cmp_ne_u32_e32 vcc_lo, 0, v4
	s_and_b32 s6, vcc_lo, exec_lo
	s_delay_alu instid0(SALU_CYCLE_1)
	s_or_b32 s3, s3, s6
	s_or_b32 exec_lo, exec_lo, s4
	v_mov_b32_e32 v5, s5
	s_and_saveexec_b32 s4, s3
	s_cbranch_execnz .LBB384_1917
	s_branch .LBB384_1918
.LBB384_2037:
	s_trap 2
	s_sendmsg_rtn_b32 s0, sendmsg(MSG_RTN_GET_DOORBELL)
	s_mov_b32 ttmp2, m0
	s_waitcnt lgkmcnt(0)
	s_and_b32 s0, s0, 0x3ff
	s_delay_alu instid0(SALU_CYCLE_1) | instskip(NEXT) | instid1(SALU_CYCLE_1)
	s_bitset1_b32 s0, 10
	s_mov_b32 m0, s0
	s_sendmsg sendmsg(MSG_INTERRUPT)
	s_mov_b32 m0, ttmp2
.LBB384_2038:                           ; =>This Inner Loop Header: Depth=1
	s_sethalt 5
	s_branch .LBB384_2038
.LBB384_2039:
	s_cbranch_execnz .LBB384_2043
; %bb.2040:
	s_mov_b32 s1, 0
	s_or_b32 s10, s10, exec_lo
	s_branch .LBB384_1962
.LBB384_2041:
	s_or_saveexec_b32 s3, s3
                                        ; implicit-def: $sgpr4
	s_delay_alu instid0(SALU_CYCLE_1)
	s_xor_b32 exec_lo, exec_lo, s3
	s_cbranch_execz .LBB384_1928
.LBB384_2042:
	v_add_f32_e64 v4, 0x42800000, |v3|
	s_and_not1_b32 s2, s2, exec_lo
	s_mov_b32 s4, 0
	s_delay_alu instid0(VALU_DEP_1) | instskip(NEXT) | instid1(VALU_DEP_1)
	v_and_b32_e32 v4, 0xff, v4
	v_cmp_ne_u32_e32 vcc_lo, 0, v4
	s_and_b32 s5, vcc_lo, exec_lo
	s_delay_alu instid0(SALU_CYCLE_1)
	s_or_b32 s2, s2, s5
	s_or_b32 exec_lo, exec_lo, s3
	v_mov_b32_e32 v5, s4
	s_and_saveexec_b32 s3, s2
	s_cbranch_execnz .LBB384_1929
	s_branch .LBB384_1930
.LBB384_2043:
	s_trap 2
	s_sendmsg_rtn_b32 s0, sendmsg(MSG_RTN_GET_DOORBELL)
	s_mov_b32 ttmp2, m0
	s_waitcnt lgkmcnt(0)
	s_and_b32 s0, s0, 0x3ff
	s_delay_alu instid0(SALU_CYCLE_1) | instskip(NEXT) | instid1(SALU_CYCLE_1)
	s_bitset1_b32 s0, 10
	s_mov_b32 m0, s0
	s_sendmsg sendmsg(MSG_INTERRUPT)
	s_mov_b32 m0, ttmp2
.LBB384_2044:                           ; =>This Inner Loop Header: Depth=1
	s_sethalt 5
	s_branch .LBB384_2044
	.section	.rodata,"a",@progbits
	.p2align	6, 0x0
	.amdhsa_kernel _ZN2at6native32elementwise_kernel_manual_unrollILi128ELi4EZNS0_15gpu_kernel_implIZZZNS0_21clamp_min_kernel_cudaERNS_18TensorIteratorBaseERKN3c106ScalarEENKUlvE_clEvENKUlvE3_clEvEUlsE_EEvS4_RKT_EUlibE_EEviT1_
		.amdhsa_group_segment_fixed_size 0
		.amdhsa_private_segment_fixed_size 0
		.amdhsa_kernarg_size 40
		.amdhsa_user_sgpr_count 15
		.amdhsa_user_sgpr_dispatch_ptr 0
		.amdhsa_user_sgpr_queue_ptr 0
		.amdhsa_user_sgpr_kernarg_segment_ptr 1
		.amdhsa_user_sgpr_dispatch_id 0
		.amdhsa_user_sgpr_private_segment_size 0
		.amdhsa_wavefront_size32 1
		.amdhsa_uses_dynamic_stack 0
		.amdhsa_enable_private_segment 0
		.amdhsa_system_sgpr_workgroup_id_x 1
		.amdhsa_system_sgpr_workgroup_id_y 0
		.amdhsa_system_sgpr_workgroup_id_z 0
		.amdhsa_system_sgpr_workgroup_info 0
		.amdhsa_system_vgpr_workitem_id 0
		.amdhsa_next_free_vgpr 13
		.amdhsa_next_free_sgpr 27
		.amdhsa_reserve_vcc 1
		.amdhsa_float_round_mode_32 0
		.amdhsa_float_round_mode_16_64 0
		.amdhsa_float_denorm_mode_32 3
		.amdhsa_float_denorm_mode_16_64 3
		.amdhsa_dx10_clamp 1
		.amdhsa_ieee_mode 1
		.amdhsa_fp16_overflow 0
		.amdhsa_workgroup_processor_mode 1
		.amdhsa_memory_ordered 1
		.amdhsa_forward_progress 0
		.amdhsa_shared_vgpr_count 0
		.amdhsa_exception_fp_ieee_invalid_op 0
		.amdhsa_exception_fp_denorm_src 0
		.amdhsa_exception_fp_ieee_div_zero 0
		.amdhsa_exception_fp_ieee_overflow 0
		.amdhsa_exception_fp_ieee_underflow 0
		.amdhsa_exception_fp_ieee_inexact 0
		.amdhsa_exception_int_div_zero 0
	.end_amdhsa_kernel
	.section	.text._ZN2at6native32elementwise_kernel_manual_unrollILi128ELi4EZNS0_15gpu_kernel_implIZZZNS0_21clamp_min_kernel_cudaERNS_18TensorIteratorBaseERKN3c106ScalarEENKUlvE_clEvENKUlvE3_clEvEUlsE_EEvS4_RKT_EUlibE_EEviT1_,"axG",@progbits,_ZN2at6native32elementwise_kernel_manual_unrollILi128ELi4EZNS0_15gpu_kernel_implIZZZNS0_21clamp_min_kernel_cudaERNS_18TensorIteratorBaseERKN3c106ScalarEENKUlvE_clEvENKUlvE3_clEvEUlsE_EEvS4_RKT_EUlibE_EEviT1_,comdat
.Lfunc_end384:
	.size	_ZN2at6native32elementwise_kernel_manual_unrollILi128ELi4EZNS0_15gpu_kernel_implIZZZNS0_21clamp_min_kernel_cudaERNS_18TensorIteratorBaseERKN3c106ScalarEENKUlvE_clEvENKUlvE3_clEvEUlsE_EEvS4_RKT_EUlibE_EEviT1_, .Lfunc_end384-_ZN2at6native32elementwise_kernel_manual_unrollILi128ELi4EZNS0_15gpu_kernel_implIZZZNS0_21clamp_min_kernel_cudaERNS_18TensorIteratorBaseERKN3c106ScalarEENKUlvE_clEvENKUlvE3_clEvEUlsE_EEvS4_RKT_EUlibE_EEviT1_
                                        ; -- End function
	.section	.AMDGPU.csdata,"",@progbits
; Kernel info:
; codeLenInByte = 36176
; NumSgprs: 29
; NumVgprs: 13
; ScratchSize: 0
; MemoryBound: 1
; FloatMode: 240
; IeeeMode: 1
; LDSByteSize: 0 bytes/workgroup (compile time only)
; SGPRBlocks: 3
; VGPRBlocks: 1
; NumSGPRsForWavesPerEU: 29
; NumVGPRsForWavesPerEU: 13
; Occupancy: 16
; WaveLimiterHint : 0
; COMPUTE_PGM_RSRC2:SCRATCH_EN: 0
; COMPUTE_PGM_RSRC2:USER_SGPR: 15
; COMPUTE_PGM_RSRC2:TRAP_HANDLER: 0
; COMPUTE_PGM_RSRC2:TGID_X_EN: 1
; COMPUTE_PGM_RSRC2:TGID_Y_EN: 0
; COMPUTE_PGM_RSRC2:TGID_Z_EN: 0
; COMPUTE_PGM_RSRC2:TIDIG_COMP_CNT: 0
	.section	.text._ZN2at6native32elementwise_kernel_manual_unrollILi128ELi4EZNS0_15gpu_kernel_implIZZZNS0_21clamp_min_kernel_cudaERNS_18TensorIteratorBaseERKN3c106ScalarEENKUlvE_clEvENKUlvE3_clEvEUlsE_EEvS4_RKT_EUlibE0_EEviT1_,"axG",@progbits,_ZN2at6native32elementwise_kernel_manual_unrollILi128ELi4EZNS0_15gpu_kernel_implIZZZNS0_21clamp_min_kernel_cudaERNS_18TensorIteratorBaseERKN3c106ScalarEENKUlvE_clEvENKUlvE3_clEvEUlsE_EEvS4_RKT_EUlibE0_EEviT1_,comdat
	.globl	_ZN2at6native32elementwise_kernel_manual_unrollILi128ELi4EZNS0_15gpu_kernel_implIZZZNS0_21clamp_min_kernel_cudaERNS_18TensorIteratorBaseERKN3c106ScalarEENKUlvE_clEvENKUlvE3_clEvEUlsE_EEvS4_RKT_EUlibE0_EEviT1_ ; -- Begin function _ZN2at6native32elementwise_kernel_manual_unrollILi128ELi4EZNS0_15gpu_kernel_implIZZZNS0_21clamp_min_kernel_cudaERNS_18TensorIteratorBaseERKN3c106ScalarEENKUlvE_clEvENKUlvE3_clEvEUlsE_EEvS4_RKT_EUlibE0_EEviT1_
	.p2align	8
	.type	_ZN2at6native32elementwise_kernel_manual_unrollILi128ELi4EZNS0_15gpu_kernel_implIZZZNS0_21clamp_min_kernel_cudaERNS_18TensorIteratorBaseERKN3c106ScalarEENKUlvE_clEvENKUlvE3_clEvEUlsE_EEvS4_RKT_EUlibE0_EEviT1_,@function
_ZN2at6native32elementwise_kernel_manual_unrollILi128ELi4EZNS0_15gpu_kernel_implIZZZNS0_21clamp_min_kernel_cudaERNS_18TensorIteratorBaseERKN3c106ScalarEENKUlvE_clEvENKUlvE3_clEvEUlsE_EEvS4_RKT_EUlibE0_EEviT1_: ; @_ZN2at6native32elementwise_kernel_manual_unrollILi128ELi4EZNS0_15gpu_kernel_implIZZZNS0_21clamp_min_kernel_cudaERNS_18TensorIteratorBaseERKN3c106ScalarEENKUlvE_clEvENKUlvE3_clEvEUlsE_EEvS4_RKT_EUlibE0_EEviT1_
; %bb.0:
	s_clause 0x1
	s_load_b32 s24, s[0:1], 0x8
	s_load_b32 s34, s[0:1], 0x0
	v_lshl_or_b32 v5, s15, 9, v0
	s_or_b32 s16, s0, 8
	s_mov_b32 s3, -1
	s_mov_b32 s26, 0
	s_mov_b32 s17, s1
	v_or_b32_e32 v8, 0x180, v5
	s_mov_b32 s8, 0
	s_mov_b32 s2, exec_lo
	s_waitcnt lgkmcnt(0)
	s_add_i32 s25, s24, -1
	s_delay_alu instid0(SALU_CYCLE_1)
	s_cmp_gt_u32 s25, 1
	s_cselect_b32 s27, -1, 0
	v_cmpx_le_i32_e64 s34, v8
	s_xor_b32 s28, exec_lo, s2
	s_cbranch_execz .LBB385_1060
; %bb.1:
	s_clause 0x5
	s_load_b128 s[8:11], s[16:17], 0x4
	s_load_b32 s2, s[0:1], 0x160
	s_load_b64 s[18:19], s[16:17], 0x14
	s_load_b128 s[12:15], s[16:17], 0xc4
	s_load_b128 s[4:7], s[16:17], 0x148
	s_load_b32 s29, s[16:17], 0x158
	s_cmp_lg_u32 s24, 0
	s_mov_b32 s40, 0
	s_cselect_b32 s36, -1, 0
	s_add_u32 s20, s16, 0xc4
	s_addc_u32 s21, s17, 0
	s_min_u32 s35, s25, 15
	s_cmp_gt_u32 s24, 1
	s_mov_b32 s38, 0
	s_cselect_b32 s33, -1, 0
	s_mov_b32 s37, 0
	s_mov_b32 s39, exec_lo
	s_waitcnt lgkmcnt(0)
	s_lshr_b32 s30, s2, 16
	s_lshr_b32 s31, s2, 24
	v_cmpx_gt_i32_e64 s34, v5
	s_cbranch_execz .LBB385_259
; %bb.2:
	s_and_not1_b32 vcc_lo, exec_lo, s27
	s_cbranch_vccnz .LBB385_7
; %bb.3:
	v_dual_mov_b32 v0, 0 :: v_dual_mov_b32 v1, 0
	s_and_not1_b32 vcc_lo, exec_lo, s36
	s_cbranch_vccnz .LBB385_12
; %bb.4:
	v_mov_b32_e32 v0, 0
	s_add_i32 s41, s35, 1
	s_cmp_eq_u32 s25, 2
	s_cbranch_scc1 .LBB385_8
; %bb.5:
	v_dual_mov_b32 v1, 0 :: v_dual_mov_b32 v0, 0
	v_mov_b32_e32 v2, v5
	s_and_b32 s38, s41, 28
	s_mov_b32 s42, 0
	s_mov_b64 s[2:3], s[20:21]
	s_mov_b64 s[22:23], s[16:17]
.LBB385_6:                              ; =>This Inner Loop Header: Depth=1
	s_clause 0x1
	s_load_b256 s[44:51], s[22:23], 0x4
	s_load_b128 s[60:63], s[22:23], 0x24
	s_load_b256 s[52:59], s[2:3], 0x0
	s_add_u32 s22, s22, 48
	s_addc_u32 s23, s23, 0
	s_add_i32 s42, s42, 4
	s_add_u32 s2, s2, 32
	s_addc_u32 s3, s3, 0
	s_cmp_lg_u32 s38, s42
	s_waitcnt lgkmcnt(0)
	v_mul_hi_u32 v3, s45, v2
	s_delay_alu instid0(VALU_DEP_1) | instskip(NEXT) | instid1(VALU_DEP_1)
	v_add_nc_u32_e32 v3, v2, v3
	v_lshrrev_b32_e32 v3, s46, v3
	s_delay_alu instid0(VALU_DEP_1) | instskip(SKIP_1) | instid1(VALU_DEP_2)
	v_mul_hi_u32 v4, s48, v3
	v_mul_lo_u32 v7, v3, s44
	v_add_nc_u32_e32 v4, v3, v4
	s_delay_alu instid0(VALU_DEP_2) | instskip(NEXT) | instid1(VALU_DEP_2)
	v_sub_nc_u32_e32 v2, v2, v7
	v_lshrrev_b32_e32 v4, s49, v4
	s_delay_alu instid0(VALU_DEP_2) | instskip(SKIP_1) | instid1(VALU_DEP_3)
	v_mul_lo_u32 v7, v2, s52
	v_mul_lo_u32 v9, v2, s53
	v_mul_hi_u32 v6, s51, v4
	s_delay_alu instid0(VALU_DEP_1) | instskip(NEXT) | instid1(VALU_DEP_1)
	v_add_nc_u32_e32 v6, v4, v6
	v_lshrrev_b32_e32 v6, s60, v6
	s_delay_alu instid0(VALU_DEP_1) | instskip(SKIP_1) | instid1(VALU_DEP_2)
	v_mul_hi_u32 v8, s62, v6
	v_mul_lo_u32 v10, v6, s50
	v_add_nc_u32_e32 v2, v6, v8
	v_mul_lo_u32 v8, v4, s47
	s_delay_alu instid0(VALU_DEP_3) | instskip(NEXT) | instid1(VALU_DEP_3)
	v_sub_nc_u32_e32 v4, v4, v10
	v_lshrrev_b32_e32 v2, s63, v2
	s_delay_alu instid0(VALU_DEP_2) | instskip(SKIP_2) | instid1(VALU_DEP_4)
	v_mul_lo_u32 v10, v4, s56
	v_mul_lo_u32 v4, v4, s57
	v_sub_nc_u32_e32 v3, v3, v8
	v_mul_lo_u32 v11, v2, s61
	s_delay_alu instid0(VALU_DEP_2) | instskip(SKIP_1) | instid1(VALU_DEP_3)
	v_mul_lo_u32 v8, v3, s54
	v_mul_lo_u32 v3, v3, s55
	v_sub_nc_u32_e32 v6, v6, v11
	s_delay_alu instid0(VALU_DEP_3) | instskip(NEXT) | instid1(VALU_DEP_2)
	v_add3_u32 v0, v7, v0, v8
	v_mul_lo_u32 v11, v6, s58
	v_mul_lo_u32 v6, v6, s59
	v_add3_u32 v1, v9, v1, v3
	s_delay_alu instid0(VALU_DEP_3) | instskip(NEXT) | instid1(VALU_DEP_2)
	v_add3_u32 v0, v10, v0, v11
	v_add3_u32 v1, v4, v1, v6
	s_cbranch_scc1 .LBB385_6
	s_branch .LBB385_9
.LBB385_7:
	s_mov_b32 s37, -1
                                        ; implicit-def: $vgpr0
                                        ; implicit-def: $vgpr1
	s_branch .LBB385_12
.LBB385_8:
	v_dual_mov_b32 v2, v5 :: v_dual_mov_b32 v1, 0
.LBB385_9:
	s_and_b32 s41, s41, 3
	s_delay_alu instid0(SALU_CYCLE_1)
	s_cmp_eq_u32 s41, 0
	s_cbranch_scc1 .LBB385_12
; %bb.10:
	s_lshl_b32 s2, s38, 3
	s_mul_i32 s22, s38, 12
	s_add_u32 s2, s2, s16
	s_addc_u32 s3, s17, 0
	s_add_u32 s2, s2, 0xc4
	s_addc_u32 s3, s3, 0
	;; [unrolled: 2-line block ×3, first 2 shown]
	.p2align	6
.LBB385_11:                             ; =>This Inner Loop Header: Depth=1
	s_clause 0x1
	s_load_b64 s[42:43], s[22:23], 0x4
	s_load_b32 s38, s[22:23], 0xc
	s_load_b64 s[44:45], s[2:3], 0x0
	s_add_u32 s22, s22, 12
	s_addc_u32 s23, s23, 0
	s_add_u32 s2, s2, 8
	s_addc_u32 s3, s3, 0
	s_add_i32 s41, s41, -1
	s_delay_alu instid0(SALU_CYCLE_1) | instskip(SKIP_2) | instid1(VALU_DEP_1)
	s_cmp_lg_u32 s41, 0
	s_waitcnt lgkmcnt(0)
	v_mul_hi_u32 v3, s43, v2
	v_add_nc_u32_e32 v3, v2, v3
	s_delay_alu instid0(VALU_DEP_1) | instskip(NEXT) | instid1(VALU_DEP_1)
	v_lshrrev_b32_e32 v8, s38, v3
	v_mul_lo_u32 v3, v8, s42
	s_delay_alu instid0(VALU_DEP_1) | instskip(NEXT) | instid1(VALU_DEP_1)
	v_sub_nc_u32_e32 v2, v2, v3
	v_mad_u64_u32 v[3:4], null, v2, s44, v[0:1]
	v_mad_u64_u32 v[6:7], null, v2, s45, v[1:2]
	v_mov_b32_e32 v2, v8
	s_delay_alu instid0(VALU_DEP_2)
	v_dual_mov_b32 v0, v3 :: v_dual_mov_b32 v1, v6
	s_cbranch_scc1 .LBB385_11
.LBB385_12:
	s_and_not1_b32 vcc_lo, exec_lo, s37
	s_cbranch_vccnz .LBB385_15
; %bb.13:
	v_mul_hi_u32 v0, s9, v5
	s_and_not1_b32 vcc_lo, exec_lo, s33
	s_delay_alu instid0(VALU_DEP_1) | instskip(NEXT) | instid1(VALU_DEP_1)
	v_add_nc_u32_e32 v0, v5, v0
	v_lshrrev_b32_e32 v2, s10, v0
	s_delay_alu instid0(VALU_DEP_1) | instskip(NEXT) | instid1(VALU_DEP_1)
	v_mul_lo_u32 v0, v2, s8
	v_sub_nc_u32_e32 v1, v5, v0
	s_delay_alu instid0(VALU_DEP_1)
	v_mul_lo_u32 v0, v1, s12
	v_mul_lo_u32 v1, v1, s13
	s_cbranch_vccnz .LBB385_15
; %bb.14:
	v_mul_hi_u32 v3, s18, v2
	s_delay_alu instid0(VALU_DEP_1) | instskip(NEXT) | instid1(VALU_DEP_1)
	v_add_nc_u32_e32 v3, v2, v3
	v_lshrrev_b32_e32 v3, s19, v3
	s_delay_alu instid0(VALU_DEP_1) | instskip(NEXT) | instid1(VALU_DEP_1)
	v_mul_lo_u32 v3, v3, s11
	v_sub_nc_u32_e32 v6, v2, v3
	s_delay_alu instid0(VALU_DEP_1) | instskip(NEXT) | instid1(VALU_DEP_1)
	v_mad_u64_u32 v[2:3], null, v6, s14, v[0:1]
	v_mad_u64_u32 v[3:4], null, v6, s15, v[1:2]
	s_delay_alu instid0(VALU_DEP_1)
	v_dual_mov_b32 v0, v2 :: v_dual_mov_b32 v1, v3
.LBB385_15:
	v_cmp_lt_i16_e64 s2, s31, 11
	s_delay_alu instid0(VALU_DEP_2) | instskip(NEXT) | instid1(VALU_DEP_1)
	v_add_co_u32 v1, s3, s6, v1
	v_add_co_ci_u32_e64 v2, null, s7, 0, s3
	s_delay_alu instid0(VALU_DEP_3)
	s_and_b32 vcc_lo, exec_lo, s2
	s_mov_b32 s3, 0
	s_cbranch_vccnz .LBB385_22
; %bb.16:
	v_cmp_gt_i16_e64 s2, s31, 25
	s_delay_alu instid0(VALU_DEP_1)
	s_and_b32 vcc_lo, exec_lo, s2
	s_cbranch_vccz .LBB385_141
; %bb.17:
	v_cmp_gt_i16_e64 s2, s31, 28
	s_delay_alu instid0(VALU_DEP_1)
	s_and_b32 vcc_lo, exec_lo, s2
	s_cbranch_vccz .LBB385_142
	;; [unrolled: 5-line block ×4, first 2 shown]
; %bb.20:
	v_cmp_eq_u16_e64 s2, s31, 46
	s_mov_b32 s22, 0
	s_delay_alu instid0(VALU_DEP_1)
	s_and_b32 vcc_lo, exec_lo, s2
	s_cbranch_vccz .LBB385_145
; %bb.21:
	global_load_b32 v3, v[1:2], off
	s_mov_b32 s2, -1
	s_waitcnt vmcnt(0)
	v_lshlrev_b32_e32 v3, 16, v3
	s_delay_alu instid0(VALU_DEP_1)
	v_cvt_i32_f32_e32 v3, v3
	s_branch .LBB385_147
.LBB385_22:
	s_mov_b32 s2, 0
                                        ; implicit-def: $vgpr3
	s_cbranch_execnz .LBB385_209
.LBB385_23:
	s_and_not1_b32 vcc_lo, exec_lo, s2
	s_cbranch_vccnz .LBB385_256
.LBB385_24:
	s_waitcnt vmcnt(0)
	v_and_b32_e64 v4, 0xff, s30
	v_add_co_u32 v0, s22, s4, v0
	s_delay_alu instid0(VALU_DEP_3) | instskip(SKIP_1) | instid1(VALU_DEP_4)
	v_max_i16 v2, v3, s29
	v_add_co_ci_u32_e64 v1, null, s5, 0, s22
	v_cmp_gt_i16_e32 vcc_lo, 11, v4
	s_mov_b32 s2, 0
	s_mov_b32 s23, -1
	s_mov_b32 s22, 0
	s_cbranch_vccnz .LBB385_101
; %bb.25:
	v_cmp_lt_i16_e32 vcc_lo, 25, v4
	s_cbranch_vccz .LBB385_58
; %bb.26:
	v_cmp_lt_i16_e32 vcc_lo, 28, v4
	s_cbranch_vccz .LBB385_41
	;; [unrolled: 3-line block ×4, first 2 shown]
; %bb.29:
	v_cmp_eq_u16_e32 vcc_lo, 46, v4
	s_mov_b32 s23, 0
	s_mov_b32 s2, -1
	s_cbranch_vccz .LBB385_31
; %bb.30:
	v_bfe_i32 v3, v2, 0, 16
	s_mov_b32 s22, -1
	s_mov_b32 s2, 0
	s_delay_alu instid0(VALU_DEP_1) | instskip(NEXT) | instid1(VALU_DEP_1)
	v_cvt_f32_i32_e32 v3, v3
	v_bfe_u32 v6, v3, 16, 1
	s_delay_alu instid0(VALU_DEP_1) | instskip(NEXT) | instid1(VALU_DEP_1)
	v_add3_u32 v3, v3, v6, 0x7fff
	v_lshrrev_b32_e32 v3, 16, v3
	global_store_b32 v[0:1], v3, off
.LBB385_31:
	s_and_b32 vcc_lo, exec_lo, s23
	s_cbranch_vccz .LBB385_36
; %bb.32:
	v_cmp_eq_u16_e32 vcc_lo, 44, v4
	s_mov_b32 s2, -1
	s_cbranch_vccz .LBB385_36
; %bb.33:
	v_bfe_i32 v3, v2, 0, 16
	v_mov_b32_e32 v6, 0xff
	s_mov_b32 s22, exec_lo
	s_delay_alu instid0(VALU_DEP_2) | instskip(NEXT) | instid1(VALU_DEP_1)
	v_cvt_f32_i32_e32 v3, v3
	v_bfe_u32 v7, v3, 23, 8
	s_delay_alu instid0(VALU_DEP_1)
	v_cmpx_ne_u32_e32 0xff, v7
; %bb.34:
	v_and_b32_e32 v6, 0x400000, v3
	v_and_or_b32 v7, 0x3fffff, v3, v7
	v_lshrrev_b32_e32 v3, 23, v3
	s_delay_alu instid0(VALU_DEP_3) | instskip(NEXT) | instid1(VALU_DEP_3)
	v_cmp_ne_u32_e32 vcc_lo, 0, v6
	v_cmp_ne_u32_e64 s2, 0, v7
	s_delay_alu instid0(VALU_DEP_1) | instskip(NEXT) | instid1(SALU_CYCLE_1)
	s_and_b32 s2, vcc_lo, s2
	v_cndmask_b32_e64 v6, 0, 1, s2
	s_delay_alu instid0(VALU_DEP_1)
	v_add_nc_u32_e32 v6, v3, v6
; %bb.35:
	s_or_b32 exec_lo, exec_lo, s22
	s_mov_b32 s22, -1
	s_mov_b32 s2, 0
	global_store_b8 v[0:1], v6, off
.LBB385_36:
	s_mov_b32 s23, 0
.LBB385_37:
	s_delay_alu instid0(SALU_CYCLE_1)
	s_and_b32 vcc_lo, exec_lo, s23
	s_cbranch_vccz .LBB385_40
; %bb.38:
	v_cmp_eq_u16_e32 vcc_lo, 29, v4
	s_mov_b32 s2, -1
	s_cbranch_vccz .LBB385_40
; %bb.39:
	v_bfe_i32 v6, v2, 0, 16
	s_mov_b32 s2, 0
	s_mov_b32 s22, -1
	s_delay_alu instid0(VALU_DEP_1)
	v_ashrrev_i32_e32 v7, 31, v6
	global_store_b64 v[0:1], v[6:7], off
.LBB385_40:
	s_mov_b32 s23, 0
.LBB385_41:
	s_delay_alu instid0(SALU_CYCLE_1)
	s_and_b32 vcc_lo, exec_lo, s23
	s_cbranch_vccz .LBB385_57
; %bb.42:
	v_cmp_gt_i16_e32 vcc_lo, 27, v4
	s_mov_b32 s22, -1
	s_cbranch_vccnz .LBB385_48
; %bb.43:
	v_cmp_lt_i16_e32 vcc_lo, 27, v4
	s_cbranch_vccz .LBB385_45
; %bb.44:
	v_bfe_i32 v3, v2, 0, 16
	s_mov_b32 s22, 0
	global_store_b32 v[0:1], v3, off
.LBB385_45:
	s_and_not1_b32 vcc_lo, exec_lo, s22
	s_cbranch_vccnz .LBB385_47
; %bb.46:
	global_store_b16 v[0:1], v2, off
.LBB385_47:
	s_mov_b32 s22, 0
.LBB385_48:
	s_delay_alu instid0(SALU_CYCLE_1)
	s_and_not1_b32 vcc_lo, exec_lo, s22
	s_cbranch_vccnz .LBB385_56
; %bb.49:
	v_bfe_i32 v3, v2, 0, 16
	v_mov_b32_e32 v7, 0x80
	s_mov_b32 s22, exec_lo
	s_delay_alu instid0(VALU_DEP_2) | instskip(NEXT) | instid1(VALU_DEP_1)
	v_cvt_f32_i32_e32 v3, v3
	v_and_b32_e32 v6, 0x7fffffff, v3
	s_delay_alu instid0(VALU_DEP_1)
	v_cmpx_gt_u32_e32 0x43800000, v6
	s_cbranch_execz .LBB385_55
; %bb.50:
	v_cmp_lt_u32_e32 vcc_lo, 0x3bffffff, v6
	s_mov_b32 s23, 0
                                        ; implicit-def: $vgpr6
	s_and_saveexec_b32 s37, vcc_lo
	s_delay_alu instid0(SALU_CYCLE_1)
	s_xor_b32 s37, exec_lo, s37
	s_cbranch_execz .LBB385_150
; %bb.51:
	v_bfe_u32 v6, v3, 20, 1
	s_mov_b32 s23, exec_lo
	s_delay_alu instid0(VALU_DEP_1) | instskip(NEXT) | instid1(VALU_DEP_1)
	v_add3_u32 v6, v3, v6, 0x487ffff
	v_lshrrev_b32_e32 v6, 20, v6
	s_or_saveexec_b32 s37, s37
                                        ; implicit-def: $sgpr38
	s_delay_alu instid0(SALU_CYCLE_1)
	s_xor_b32 exec_lo, exec_lo, s37
	s_cbranch_execnz .LBB385_151
.LBB385_52:
	s_or_b32 exec_lo, exec_lo, s37
	v_mov_b32_e32 v7, s38
	s_and_saveexec_b32 s37, s23
.LBB385_53:
	v_lshrrev_b32_e32 v3, 24, v3
	s_delay_alu instid0(VALU_DEP_1)
	v_and_or_b32 v7, 0x80, v3, v6
.LBB385_54:
	s_or_b32 exec_lo, exec_lo, s37
.LBB385_55:
	s_delay_alu instid0(SALU_CYCLE_1)
	s_or_b32 exec_lo, exec_lo, s22
	global_store_b8 v[0:1], v7, off
.LBB385_56:
	s_mov_b32 s22, -1
.LBB385_57:
	s_mov_b32 s23, 0
.LBB385_58:
	s_delay_alu instid0(SALU_CYCLE_1)
	s_and_b32 vcc_lo, exec_lo, s23
	s_cbranch_vccz .LBB385_99
; %bb.59:
	v_cmp_lt_i16_e32 vcc_lo, 22, v4
	s_mov_b32 s23, -1
	s_cbranch_vccz .LBB385_91
; %bb.60:
	v_cmp_gt_i16_e32 vcc_lo, 24, v4
	s_mov_b32 s22, -1
	s_cbranch_vccnz .LBB385_80
; %bb.61:
	v_cmp_lt_i16_e32 vcc_lo, 24, v4
	s_cbranch_vccz .LBB385_69
; %bb.62:
	v_bfe_i32 v3, v2, 0, 16
	v_mov_b32_e32 v7, 0x80
	s_mov_b32 s22, exec_lo
	s_delay_alu instid0(VALU_DEP_2) | instskip(NEXT) | instid1(VALU_DEP_1)
	v_cvt_f32_i32_e32 v3, v3
	v_and_b32_e32 v6, 0x7fffffff, v3
	s_delay_alu instid0(VALU_DEP_1)
	v_cmpx_gt_u32_e32 0x47800000, v6
	s_cbranch_execz .LBB385_68
; %bb.63:
	v_cmp_lt_u32_e32 vcc_lo, 0x37ffffff, v6
	s_mov_b32 s23, 0
                                        ; implicit-def: $vgpr6
	s_and_saveexec_b32 s37, vcc_lo
	s_delay_alu instid0(SALU_CYCLE_1)
	s_xor_b32 s37, exec_lo, s37
	s_cbranch_execz .LBB385_337
; %bb.64:
	v_bfe_u32 v6, v3, 21, 1
	s_mov_b32 s23, exec_lo
	s_delay_alu instid0(VALU_DEP_1) | instskip(NEXT) | instid1(VALU_DEP_1)
	v_add3_u32 v6, v3, v6, 0x88fffff
	v_lshrrev_b32_e32 v6, 21, v6
	s_or_saveexec_b32 s37, s37
                                        ; implicit-def: $sgpr38
	s_delay_alu instid0(SALU_CYCLE_1)
	s_xor_b32 exec_lo, exec_lo, s37
	s_cbranch_execnz .LBB385_338
.LBB385_65:
	s_or_b32 exec_lo, exec_lo, s37
	v_mov_b32_e32 v7, s38
	s_and_saveexec_b32 s37, s23
.LBB385_66:
	v_lshrrev_b32_e32 v3, 24, v3
	s_delay_alu instid0(VALU_DEP_1)
	v_and_or_b32 v7, 0x80, v3, v6
.LBB385_67:
	s_or_b32 exec_lo, exec_lo, s37
.LBB385_68:
	s_delay_alu instid0(SALU_CYCLE_1)
	s_or_b32 exec_lo, exec_lo, s22
	s_mov_b32 s22, 0
	global_store_b8 v[0:1], v7, off
.LBB385_69:
	s_and_b32 vcc_lo, exec_lo, s22
	s_cbranch_vccz .LBB385_79
; %bb.70:
	v_bfe_i32 v3, v2, 0, 16
	s_mov_b32 s22, exec_lo
                                        ; implicit-def: $vgpr6
	s_delay_alu instid0(VALU_DEP_1) | instskip(NEXT) | instid1(VALU_DEP_1)
	v_cvt_f32_i32_e32 v3, v3
	v_and_b32_e32 v7, 0x7fffffff, v3
	s_delay_alu instid0(VALU_DEP_1)
	v_cmpx_gt_u32_e32 0x43f00000, v7
	s_xor_b32 s22, exec_lo, s22
	s_cbranch_execz .LBB385_76
; %bb.71:
	s_mov_b32 s23, exec_lo
                                        ; implicit-def: $vgpr6
	v_cmpx_lt_u32_e32 0x3c7fffff, v7
	s_xor_b32 s23, exec_lo, s23
; %bb.72:
	v_bfe_u32 v6, v3, 20, 1
	s_delay_alu instid0(VALU_DEP_1) | instskip(NEXT) | instid1(VALU_DEP_1)
	v_add3_u32 v6, v3, v6, 0x407ffff
	v_and_b32_e32 v7, 0xff00000, v6
	v_lshrrev_b32_e32 v6, 20, v6
	s_delay_alu instid0(VALU_DEP_2) | instskip(NEXT) | instid1(VALU_DEP_2)
	v_cmp_ne_u32_e32 vcc_lo, 0x7f00000, v7
	v_cndmask_b32_e32 v6, 0x7e, v6, vcc_lo
; %bb.73:
	s_and_not1_saveexec_b32 s23, s23
; %bb.74:
	v_add_f32_e64 v6, 0x46800000, |v3|
; %bb.75:
	s_or_b32 exec_lo, exec_lo, s23
                                        ; implicit-def: $vgpr7
.LBB385_76:
	s_and_not1_saveexec_b32 s22, s22
; %bb.77:
	v_mov_b32_e32 v6, 0x7f
	v_cmp_lt_u32_e32 vcc_lo, 0x7f800000, v7
	s_delay_alu instid0(VALU_DEP_2)
	v_cndmask_b32_e32 v6, 0x7e, v6, vcc_lo
; %bb.78:
	s_or_b32 exec_lo, exec_lo, s22
	v_lshrrev_b32_e32 v3, 24, v3
	s_delay_alu instid0(VALU_DEP_1)
	v_and_or_b32 v3, 0x80, v3, v6
	global_store_b8 v[0:1], v3, off
.LBB385_79:
	s_mov_b32 s22, 0
.LBB385_80:
	s_delay_alu instid0(SALU_CYCLE_1)
	s_and_not1_b32 vcc_lo, exec_lo, s22
	s_cbranch_vccnz .LBB385_90
; %bb.81:
	v_bfe_i32 v3, v2, 0, 16
	s_mov_b32 s22, exec_lo
                                        ; implicit-def: $vgpr6
	s_delay_alu instid0(VALU_DEP_1) | instskip(NEXT) | instid1(VALU_DEP_1)
	v_cvt_f32_i32_e32 v3, v3
	v_and_b32_e32 v7, 0x7fffffff, v3
	s_delay_alu instid0(VALU_DEP_1)
	v_cmpx_gt_u32_e32 0x47800000, v7
	s_xor_b32 s22, exec_lo, s22
	s_cbranch_execz .LBB385_87
; %bb.82:
	s_mov_b32 s23, exec_lo
                                        ; implicit-def: $vgpr6
	v_cmpx_lt_u32_e32 0x387fffff, v7
	s_xor_b32 s23, exec_lo, s23
; %bb.83:
	v_bfe_u32 v6, v3, 21, 1
	s_delay_alu instid0(VALU_DEP_1) | instskip(NEXT) | instid1(VALU_DEP_1)
	v_add3_u32 v6, v3, v6, 0x80fffff
	v_lshrrev_b32_e32 v6, 21, v6
; %bb.84:
	s_and_not1_saveexec_b32 s23, s23
; %bb.85:
	v_add_f32_e64 v6, 0x43000000, |v3|
; %bb.86:
	s_or_b32 exec_lo, exec_lo, s23
                                        ; implicit-def: $vgpr7
.LBB385_87:
	s_and_not1_saveexec_b32 s22, s22
; %bb.88:
	v_mov_b32_e32 v6, 0x7f
	v_cmp_lt_u32_e32 vcc_lo, 0x7f800000, v7
	s_delay_alu instid0(VALU_DEP_2)
	v_cndmask_b32_e32 v6, 0x7c, v6, vcc_lo
; %bb.89:
	s_or_b32 exec_lo, exec_lo, s22
	v_lshrrev_b32_e32 v3, 24, v3
	s_delay_alu instid0(VALU_DEP_1)
	v_and_or_b32 v3, 0x80, v3, v6
	global_store_b8 v[0:1], v3, off
.LBB385_90:
	s_mov_b32 s23, 0
	s_mov_b32 s22, -1
.LBB385_91:
	s_and_not1_b32 vcc_lo, exec_lo, s23
	s_cbranch_vccnz .LBB385_99
; %bb.92:
	v_cmp_lt_i16_e32 vcc_lo, 14, v4
	s_mov_b32 s23, -1
	s_cbranch_vccz .LBB385_96
; %bb.93:
	v_cmp_eq_u16_e32 vcc_lo, 15, v4
	s_mov_b32 s2, -1
	s_cbranch_vccz .LBB385_95
; %bb.94:
	v_bfe_i32 v3, v2, 0, 16
	s_mov_b32 s22, -1
	s_mov_b32 s2, 0
	s_delay_alu instid0(VALU_DEP_1) | instskip(NEXT) | instid1(VALU_DEP_1)
	v_cvt_f32_i32_e32 v3, v3
	v_bfe_u32 v6, v3, 16, 1
	s_delay_alu instid0(VALU_DEP_1)
	v_add3_u32 v3, v3, v6, 0x7fff
	global_store_d16_hi_b16 v[0:1], v3, off
.LBB385_95:
	s_mov_b32 s23, 0
.LBB385_96:
	s_delay_alu instid0(SALU_CYCLE_1)
	s_and_b32 vcc_lo, exec_lo, s23
	s_cbranch_vccz .LBB385_99
; %bb.97:
	v_cmp_eq_u16_e32 vcc_lo, 11, v4
	s_mov_b32 s2, -1
	s_cbranch_vccz .LBB385_99
; %bb.98:
	v_cmp_ne_u16_e32 vcc_lo, 0, v2
	s_mov_b32 s2, 0
	s_mov_b32 s22, -1
	v_cndmask_b32_e64 v3, 0, 1, vcc_lo
	global_store_b8 v[0:1], v3, off
.LBB385_99:
.LBB385_100:
	s_and_not1_b32 vcc_lo, exec_lo, s22
	s_cbranch_vccz .LBB385_140
	s_branch .LBB385_257
.LBB385_101:
	s_and_b32 vcc_lo, exec_lo, s23
	s_cbranch_vccz .LBB385_100
; %bb.102:
	v_cmp_gt_i16_e32 vcc_lo, 5, v4
	s_mov_b32 s22, -1
	s_cbranch_vccnz .LBB385_123
; %bb.103:
	v_cmp_gt_i16_e32 vcc_lo, 8, v4
	s_cbranch_vccnz .LBB385_113
; %bb.104:
	v_cmp_gt_i16_e32 vcc_lo, 9, v4
	s_cbranch_vccnz .LBB385_110
; %bb.105:
	v_cmp_lt_i16_e32 vcc_lo, 9, v4
	s_cbranch_vccz .LBB385_107
; %bb.106:
	v_bfe_i32 v3, v2, 0, 16
	v_mov_b32_e32 v8, 0
	s_mov_b32 s22, 0
	s_delay_alu instid0(VALU_DEP_2) | instskip(NEXT) | instid1(VALU_DEP_2)
	v_cvt_f64_i32_e32 v[6:7], v3
	v_mov_b32_e32 v9, v8
	global_store_b128 v[0:1], v[6:9], off
.LBB385_107:
	s_and_not1_b32 vcc_lo, exec_lo, s22
	s_cbranch_vccnz .LBB385_109
; %bb.108:
	v_bfe_i32 v3, v2, 0, 16
	v_mov_b32_e32 v7, 0
	s_delay_alu instid0(VALU_DEP_2)
	v_cvt_f32_i32_e32 v6, v3
	global_store_b64 v[0:1], v[6:7], off
.LBB385_109:
	s_mov_b32 s22, 0
.LBB385_110:
	s_delay_alu instid0(SALU_CYCLE_1)
	s_and_not1_b32 vcc_lo, exec_lo, s22
	s_cbranch_vccnz .LBB385_112
; %bb.111:
	v_cvt_f16_i16_e32 v3, v2
	s_delay_alu instid0(VALU_DEP_1)
	v_and_b32_e32 v3, 0xffff, v3
	global_store_b32 v[0:1], v3, off
.LBB385_112:
	s_mov_b32 s22, 0
.LBB385_113:
	s_delay_alu instid0(SALU_CYCLE_1)
	s_and_not1_b32 vcc_lo, exec_lo, s22
	s_cbranch_vccnz .LBB385_122
; %bb.114:
	v_cmp_gt_i16_e32 vcc_lo, 6, v4
	s_mov_b32 s22, -1
	s_cbranch_vccnz .LBB385_120
; %bb.115:
	v_cmp_lt_i16_e32 vcc_lo, 6, v4
	s_cbranch_vccz .LBB385_117
; %bb.116:
	v_bfe_i32 v3, v2, 0, 16
	s_mov_b32 s22, 0
	s_delay_alu instid0(VALU_DEP_1)
	v_cvt_f64_i32_e32 v[6:7], v3
	global_store_b64 v[0:1], v[6:7], off
.LBB385_117:
	s_and_not1_b32 vcc_lo, exec_lo, s22
	s_cbranch_vccnz .LBB385_119
; %bb.118:
	v_bfe_i32 v3, v2, 0, 16
	s_delay_alu instid0(VALU_DEP_1)
	v_cvt_f32_i32_e32 v3, v3
	global_store_b32 v[0:1], v3, off
.LBB385_119:
	s_mov_b32 s22, 0
.LBB385_120:
	s_delay_alu instid0(SALU_CYCLE_1)
	s_and_not1_b32 vcc_lo, exec_lo, s22
	s_cbranch_vccnz .LBB385_122
; %bb.121:
	v_cvt_f16_i16_e32 v3, v2
	global_store_b16 v[0:1], v3, off
.LBB385_122:
	s_mov_b32 s22, 0
.LBB385_123:
	s_delay_alu instid0(SALU_CYCLE_1)
	s_and_not1_b32 vcc_lo, exec_lo, s22
	s_cbranch_vccnz .LBB385_139
; %bb.124:
	v_cmp_gt_i16_e32 vcc_lo, 2, v4
	s_mov_b32 s22, -1
	s_cbranch_vccnz .LBB385_134
; %bb.125:
	v_cmp_gt_i16_e32 vcc_lo, 3, v4
	s_cbranch_vccnz .LBB385_131
; %bb.126:
	v_cmp_lt_i16_e32 vcc_lo, 3, v4
	s_cbranch_vccz .LBB385_128
; %bb.127:
	v_bfe_i32 v6, v2, 0, 16
	s_mov_b32 s22, 0
	s_delay_alu instid0(VALU_DEP_1)
	v_ashrrev_i32_e32 v7, 31, v6
	global_store_b64 v[0:1], v[6:7], off
.LBB385_128:
	s_and_not1_b32 vcc_lo, exec_lo, s22
	s_cbranch_vccnz .LBB385_130
; %bb.129:
	v_bfe_i32 v3, v2, 0, 16
	global_store_b32 v[0:1], v3, off
.LBB385_130:
	s_mov_b32 s22, 0
.LBB385_131:
	s_delay_alu instid0(SALU_CYCLE_1)
	s_and_not1_b32 vcc_lo, exec_lo, s22
	s_cbranch_vccnz .LBB385_133
; %bb.132:
	global_store_b16 v[0:1], v2, off
.LBB385_133:
	s_mov_b32 s22, 0
.LBB385_134:
	s_delay_alu instid0(SALU_CYCLE_1)
	s_and_not1_b32 vcc_lo, exec_lo, s22
	s_cbranch_vccnz .LBB385_139
; %bb.135:
	v_cmp_lt_i16_e32 vcc_lo, 0, v4
	s_mov_b32 s22, -1
	s_cbranch_vccz .LBB385_137
; %bb.136:
	s_mov_b32 s22, 0
	global_store_b8 v[0:1], v2, off
.LBB385_137:
	s_and_not1_b32 vcc_lo, exec_lo, s22
	s_cbranch_vccnz .LBB385_139
; %bb.138:
	global_store_b8 v[0:1], v2, off
.LBB385_139:
.LBB385_140:
	v_add_nc_u32_e32 v5, 0x80, v5
	s_mov_b32 s22, -1
	s_branch .LBB385_258
.LBB385_141:
	s_mov_b32 s2, 0
                                        ; implicit-def: $vgpr3
	s_cbranch_execnz .LBB385_176
	s_branch .LBB385_208
.LBB385_142:
	s_mov_b32 s22, -1
	s_mov_b32 s2, 0
                                        ; implicit-def: $vgpr3
	s_branch .LBB385_159
.LBB385_143:
	s_mov_b32 s22, -1
	s_mov_b32 s2, 0
                                        ; implicit-def: $vgpr3
	s_branch .LBB385_154
.LBB385_144:
	s_mov_b32 s22, -1
	s_branch .LBB385_146
.LBB385_145:
	s_mov_b32 s3, -1
.LBB385_146:
	s_mov_b32 s2, 0
                                        ; implicit-def: $vgpr3
.LBB385_147:
	s_and_b32 vcc_lo, exec_lo, s22
	s_cbranch_vccz .LBB385_153
; %bb.148:
	v_cmp_eq_u16_e64 s3, s31, 44
	s_delay_alu instid0(VALU_DEP_1)
	s_and_b32 vcc_lo, exec_lo, s3
	s_cbranch_vccz .LBB385_152
; %bb.149:
	global_load_u8 v3, v[1:2], off
	s_mov_b32 s3, 0
	s_mov_b32 s2, -1
	s_waitcnt vmcnt(0)
	v_lshlrev_b32_e32 v4, 23, v3
	v_cmp_ne_u32_e32 vcc_lo, 0, v3
	s_delay_alu instid0(VALU_DEP_2) | instskip(NEXT) | instid1(VALU_DEP_1)
	v_cvt_i32_f32_e32 v4, v4
	v_cndmask_b32_e32 v3, 0, v4, vcc_lo
	s_branch .LBB385_153
.LBB385_150:
	s_or_saveexec_b32 s37, s37
                                        ; implicit-def: $sgpr38
	s_delay_alu instid0(SALU_CYCLE_1)
	s_xor_b32 exec_lo, exec_lo, s37
	s_cbranch_execz .LBB385_52
.LBB385_151:
	v_add_f32_e64 v6, 0x46000000, |v3|
	s_and_not1_b32 s23, s23, exec_lo
	s_mov_b32 s38, 0
	s_delay_alu instid0(VALU_DEP_1) | instskip(NEXT) | instid1(VALU_DEP_1)
	v_and_b32_e32 v6, 0xff, v6
	v_cmp_ne_u32_e32 vcc_lo, 0, v6
	s_and_b32 s41, vcc_lo, exec_lo
	s_delay_alu instid0(SALU_CYCLE_1)
	s_or_b32 s23, s23, s41
	s_or_b32 exec_lo, exec_lo, s37
	v_mov_b32_e32 v7, s38
	s_and_saveexec_b32 s37, s23
	s_cbranch_execnz .LBB385_53
	s_branch .LBB385_54
.LBB385_152:
	s_mov_b32 s3, -1
                                        ; implicit-def: $vgpr3
.LBB385_153:
	s_mov_b32 s22, 0
.LBB385_154:
	s_delay_alu instid0(SALU_CYCLE_1)
	s_and_b32 vcc_lo, exec_lo, s22
	s_cbranch_vccz .LBB385_158
; %bb.155:
	v_cmp_eq_u16_e64 s3, s31, 29
	s_delay_alu instid0(VALU_DEP_1)
	s_and_b32 vcc_lo, exec_lo, s3
	s_cbranch_vccz .LBB385_157
; %bb.156:
	global_load_b64 v[3:4], v[1:2], off
	s_mov_b32 s2, -1
	s_mov_b32 s3, 0
	s_branch .LBB385_158
.LBB385_157:
	s_mov_b32 s3, -1
                                        ; implicit-def: $vgpr3
.LBB385_158:
	s_mov_b32 s22, 0
.LBB385_159:
	s_delay_alu instid0(SALU_CYCLE_1)
	s_and_b32 vcc_lo, exec_lo, s22
	s_cbranch_vccz .LBB385_175
; %bb.160:
	v_cmp_lt_i16_e64 s2, s31, 27
	s_delay_alu instid0(VALU_DEP_1)
	s_and_b32 vcc_lo, exec_lo, s2
	s_cbranch_vccnz .LBB385_163
; %bb.161:
	v_cmp_gt_i16_e64 s2, s31, 27
	s_delay_alu instid0(VALU_DEP_1)
	s_and_b32 vcc_lo, exec_lo, s2
	s_cbranch_vccz .LBB385_164
; %bb.162:
	global_load_b32 v3, v[1:2], off
	s_mov_b32 s2, 0
	s_branch .LBB385_165
.LBB385_163:
	s_mov_b32 s2, -1
                                        ; implicit-def: $vgpr3
	s_branch .LBB385_168
.LBB385_164:
	s_mov_b32 s2, -1
                                        ; implicit-def: $vgpr3
.LBB385_165:
	s_delay_alu instid0(SALU_CYCLE_1)
	s_and_not1_b32 vcc_lo, exec_lo, s2
	s_cbranch_vccnz .LBB385_167
; %bb.166:
	global_load_u16 v3, v[1:2], off
.LBB385_167:
	s_mov_b32 s2, 0
.LBB385_168:
	s_delay_alu instid0(SALU_CYCLE_1)
	s_and_not1_b32 vcc_lo, exec_lo, s2
	s_cbranch_vccnz .LBB385_174
; %bb.169:
	global_load_u8 v4, v[1:2], off
	s_mov_b32 s2, 0
	s_mov_b32 s22, exec_lo
                                        ; implicit-def: $sgpr23
	s_waitcnt vmcnt(0)
	v_cmpx_lt_i16_e32 0x7f, v4
	s_xor_b32 s22, exec_lo, s22
	s_cbranch_execz .LBB385_185
; %bb.170:
	v_cmp_ne_u16_e32 vcc_lo, 0x80, v4
	s_mov_b32 s23, 0
	s_and_b32 s2, vcc_lo, exec_lo
	s_or_saveexec_b32 s22, s22
	v_mov_b32_e32 v3, s23
	s_xor_b32 exec_lo, exec_lo, s22
	s_cbranch_execnz .LBB385_186
.LBB385_171:
	s_or_b32 exec_lo, exec_lo, s22
	s_and_saveexec_b32 s22, s2
	s_cbranch_execz .LBB385_173
.LBB385_172:
	v_and_b32_e32 v3, 0xffff, v4
	v_lshlrev_b32_e32 v4, 24, v4
	s_delay_alu instid0(VALU_DEP_2) | instskip(NEXT) | instid1(VALU_DEP_2)
	v_and_b32_e32 v6, 7, v3
	v_and_b32_e32 v4, 0x80000000, v4
	s_delay_alu instid0(VALU_DEP_2) | instskip(NEXT) | instid1(VALU_DEP_1)
	v_clz_i32_u32_e32 v7, v6
	v_min_u32_e32 v7, 32, v7
	s_delay_alu instid0(VALU_DEP_1) | instskip(SKIP_1) | instid1(VALU_DEP_2)
	v_subrev_nc_u32_e32 v8, 28, v7
	v_sub_nc_u32_e32 v7, 29, v7
	v_lshlrev_b32_e32 v8, v8, v3
	v_bfe_u32 v3, v3, 3, 4
	s_delay_alu instid0(VALU_DEP_1) | instskip(NEXT) | instid1(VALU_DEP_3)
	v_cmp_eq_u32_e32 vcc_lo, 0, v3
	v_dual_cndmask_b32 v3, v3, v7 :: v_dual_and_b32 v8, 7, v8
	s_delay_alu instid0(VALU_DEP_1) | instskip(NEXT) | instid1(VALU_DEP_2)
	v_cndmask_b32_e32 v6, v6, v8, vcc_lo
	v_lshl_add_u32 v3, v3, 23, 0x3b800000
	s_delay_alu instid0(VALU_DEP_2) | instskip(NEXT) | instid1(VALU_DEP_1)
	v_lshlrev_b32_e32 v6, 20, v6
	v_or3_b32 v3, v4, v3, v6
	s_delay_alu instid0(VALU_DEP_1)
	v_cvt_i32_f32_e32 v3, v3
.LBB385_173:
	s_or_b32 exec_lo, exec_lo, s22
.LBB385_174:
	s_mov_b32 s2, -1
.LBB385_175:
	s_branch .LBB385_208
.LBB385_176:
	v_cmp_gt_i16_e64 s22, s31, 22
	s_delay_alu instid0(VALU_DEP_1)
	s_and_b32 vcc_lo, exec_lo, s22
	s_cbranch_vccz .LBB385_184
; %bb.177:
	v_cmp_lt_i16_e64 s2, s31, 24
	s_delay_alu instid0(VALU_DEP_1)
	s_and_b32 vcc_lo, exec_lo, s2
	s_cbranch_vccnz .LBB385_187
; %bb.178:
	v_cmp_gt_i16_e64 s2, s31, 24
	s_delay_alu instid0(VALU_DEP_1)
	s_and_b32 vcc_lo, exec_lo, s2
	s_cbranch_vccz .LBB385_188
; %bb.179:
	global_load_u8 v4, v[1:2], off
	s_mov_b32 s2, 0
	s_mov_b32 s22, exec_lo
                                        ; implicit-def: $sgpr23
	s_waitcnt vmcnt(0)
	v_cmpx_lt_i16_e32 0x7f, v4
	s_xor_b32 s22, exec_lo, s22
	s_cbranch_execz .LBB385_200
; %bb.180:
	v_cmp_ne_u16_e32 vcc_lo, 0x80, v4
	s_mov_b32 s23, 0
	s_and_b32 s2, vcc_lo, exec_lo
	s_or_saveexec_b32 s22, s22
	v_mov_b32_e32 v3, s23
	s_xor_b32 exec_lo, exec_lo, s22
	s_cbranch_execnz .LBB385_201
.LBB385_181:
	s_or_b32 exec_lo, exec_lo, s22
	s_and_saveexec_b32 s22, s2
	s_cbranch_execz .LBB385_183
.LBB385_182:
	v_and_b32_e32 v3, 0xffff, v4
	v_lshlrev_b32_e32 v4, 24, v4
	s_delay_alu instid0(VALU_DEP_2) | instskip(NEXT) | instid1(VALU_DEP_2)
	v_and_b32_e32 v6, 3, v3
	v_and_b32_e32 v4, 0x80000000, v4
	s_delay_alu instid0(VALU_DEP_2) | instskip(NEXT) | instid1(VALU_DEP_1)
	v_clz_i32_u32_e32 v7, v6
	v_min_u32_e32 v7, 32, v7
	s_delay_alu instid0(VALU_DEP_1) | instskip(SKIP_1) | instid1(VALU_DEP_2)
	v_subrev_nc_u32_e32 v8, 29, v7
	v_sub_nc_u32_e32 v7, 30, v7
	v_lshlrev_b32_e32 v8, v8, v3
	v_bfe_u32 v3, v3, 2, 5
	s_delay_alu instid0(VALU_DEP_1) | instskip(NEXT) | instid1(VALU_DEP_3)
	v_cmp_eq_u32_e32 vcc_lo, 0, v3
	v_dual_cndmask_b32 v3, v3, v7 :: v_dual_and_b32 v8, 3, v8
	s_delay_alu instid0(VALU_DEP_1) | instskip(NEXT) | instid1(VALU_DEP_2)
	v_cndmask_b32_e32 v6, v6, v8, vcc_lo
	v_lshl_add_u32 v3, v3, 23, 0x37800000
	s_delay_alu instid0(VALU_DEP_2) | instskip(NEXT) | instid1(VALU_DEP_1)
	v_lshlrev_b32_e32 v6, 21, v6
	v_or3_b32 v3, v4, v3, v6
	s_delay_alu instid0(VALU_DEP_1)
	v_cvt_i32_f32_e32 v3, v3
.LBB385_183:
	s_or_b32 exec_lo, exec_lo, s22
	s_mov_b32 s2, 0
	s_branch .LBB385_189
.LBB385_184:
	s_mov_b32 s22, -1
                                        ; implicit-def: $vgpr3
	s_branch .LBB385_195
.LBB385_185:
	s_or_saveexec_b32 s22, s22
	v_mov_b32_e32 v3, s23
	s_xor_b32 exec_lo, exec_lo, s22
	s_cbranch_execz .LBB385_171
.LBB385_186:
	v_cmp_ne_u16_e32 vcc_lo, 0, v4
	v_mov_b32_e32 v3, 0
	s_and_not1_b32 s2, s2, exec_lo
	s_and_b32 s23, vcc_lo, exec_lo
	s_delay_alu instid0(SALU_CYCLE_1)
	s_or_b32 s2, s2, s23
	s_or_b32 exec_lo, exec_lo, s22
	s_and_saveexec_b32 s22, s2
	s_cbranch_execnz .LBB385_172
	s_branch .LBB385_173
.LBB385_187:
	s_mov_b32 s2, -1
                                        ; implicit-def: $vgpr3
	s_branch .LBB385_192
.LBB385_188:
	s_mov_b32 s2, -1
                                        ; implicit-def: $vgpr3
.LBB385_189:
	s_delay_alu instid0(SALU_CYCLE_1)
	s_and_b32 vcc_lo, exec_lo, s2
	s_cbranch_vccz .LBB385_191
; %bb.190:
	global_load_u8 v3, v[1:2], off
	s_waitcnt vmcnt(0)
	v_lshlrev_b32_e32 v3, 24, v3
	s_delay_alu instid0(VALU_DEP_1) | instskip(NEXT) | instid1(VALU_DEP_1)
	v_and_b32_e32 v4, 0x7f000000, v3
	v_clz_i32_u32_e32 v6, v4
	v_add_nc_u32_e32 v8, 0x1000000, v4
	v_cmp_ne_u32_e32 vcc_lo, 0, v4
	s_delay_alu instid0(VALU_DEP_3) | instskip(NEXT) | instid1(VALU_DEP_1)
	v_min_u32_e32 v6, 32, v6
	v_sub_nc_u32_e64 v6, v6, 4 clamp
	s_delay_alu instid0(VALU_DEP_1) | instskip(SKIP_1) | instid1(VALU_DEP_2)
	v_lshlrev_b32_e32 v7, v6, v4
	v_lshlrev_b32_e32 v6, 23, v6
	v_lshrrev_b32_e32 v7, 4, v7
	s_delay_alu instid0(VALU_DEP_1) | instskip(SKIP_1) | instid1(VALU_DEP_2)
	v_sub_nc_u32_e32 v6, v7, v6
	v_ashrrev_i32_e32 v7, 8, v8
	v_add_nc_u32_e32 v6, 0x3c000000, v6
	s_delay_alu instid0(VALU_DEP_1) | instskip(NEXT) | instid1(VALU_DEP_1)
	v_and_or_b32 v6, 0x7f800000, v7, v6
	v_cndmask_b32_e32 v4, 0, v6, vcc_lo
	s_delay_alu instid0(VALU_DEP_1) | instskip(NEXT) | instid1(VALU_DEP_1)
	v_and_or_b32 v3, 0x80000000, v3, v4
	v_cvt_i32_f32_e32 v3, v3
.LBB385_191:
	s_mov_b32 s2, 0
.LBB385_192:
	s_delay_alu instid0(SALU_CYCLE_1)
	s_and_not1_b32 vcc_lo, exec_lo, s2
	s_cbranch_vccnz .LBB385_194
; %bb.193:
	global_load_u8 v3, v[1:2], off
	s_waitcnt vmcnt(0)
	v_lshlrev_b32_e32 v4, 25, v3
	v_lshlrev_b16 v3, 8, v3
	s_delay_alu instid0(VALU_DEP_2) | instskip(NEXT) | instid1(VALU_DEP_2)
	v_lshrrev_b32_e32 v6, 4, v4
	v_and_or_b32 v7, 0x7f00, v3, 0.5
	v_cmp_gt_u32_e32 vcc_lo, 0x8000000, v4
	v_bfe_i32 v3, v3, 0, 16
	s_delay_alu instid0(VALU_DEP_4) | instskip(NEXT) | instid1(VALU_DEP_1)
	v_or_b32_e32 v6, 0x70000000, v6
	v_dual_add_f32 v7, -0.5, v7 :: v_dual_mul_f32 v6, 0x7800000, v6
	s_delay_alu instid0(VALU_DEP_1) | instskip(NEXT) | instid1(VALU_DEP_1)
	v_cndmask_b32_e32 v4, v6, v7, vcc_lo
	v_and_or_b32 v3, 0x80000000, v3, v4
	s_delay_alu instid0(VALU_DEP_1)
	v_cvt_i32_f32_e32 v3, v3
.LBB385_194:
	s_mov_b32 s22, 0
	s_mov_b32 s2, -1
.LBB385_195:
	s_and_not1_b32 vcc_lo, exec_lo, s22
	s_cbranch_vccnz .LBB385_208
; %bb.196:
	v_cmp_gt_i16_e64 s22, s31, 14
	s_delay_alu instid0(VALU_DEP_1)
	s_and_b32 vcc_lo, exec_lo, s22
	s_cbranch_vccz .LBB385_199
; %bb.197:
	v_cmp_eq_u16_e64 s3, s31, 15
	s_delay_alu instid0(VALU_DEP_1)
	s_and_b32 vcc_lo, exec_lo, s3
	s_cbranch_vccz .LBB385_202
; %bb.198:
	global_load_u16 v3, v[1:2], off
	s_mov_b32 s2, -1
	s_mov_b32 s3, 0
	s_waitcnt vmcnt(0)
	v_lshlrev_b32_e32 v3, 16, v3
	s_delay_alu instid0(VALU_DEP_1)
	v_cvt_i32_f32_e32 v3, v3
	s_branch .LBB385_203
.LBB385_199:
	s_mov_b32 s22, -1
                                        ; implicit-def: $vgpr3
	s_branch .LBB385_204
.LBB385_200:
	s_or_saveexec_b32 s22, s22
	v_mov_b32_e32 v3, s23
	s_xor_b32 exec_lo, exec_lo, s22
	s_cbranch_execz .LBB385_181
.LBB385_201:
	v_cmp_ne_u16_e32 vcc_lo, 0, v4
	v_mov_b32_e32 v3, 0
	s_and_not1_b32 s2, s2, exec_lo
	s_and_b32 s23, vcc_lo, exec_lo
	s_delay_alu instid0(SALU_CYCLE_1)
	s_or_b32 s2, s2, s23
	s_or_b32 exec_lo, exec_lo, s22
	s_and_saveexec_b32 s22, s2
	s_cbranch_execnz .LBB385_182
	s_branch .LBB385_183
.LBB385_202:
	s_mov_b32 s3, -1
                                        ; implicit-def: $vgpr3
.LBB385_203:
	s_mov_b32 s22, 0
.LBB385_204:
	s_delay_alu instid0(SALU_CYCLE_1)
	s_and_b32 vcc_lo, exec_lo, s22
	s_cbranch_vccz .LBB385_208
; %bb.205:
	v_cmp_eq_u16_e64 s3, s31, 11
	s_delay_alu instid0(VALU_DEP_1)
	s_and_b32 vcc_lo, exec_lo, s3
	s_cbranch_vccz .LBB385_207
; %bb.206:
	global_load_u8 v3, v[1:2], off
	s_mov_b32 s3, 0
	s_mov_b32 s2, -1
	s_waitcnt vmcnt(0)
	v_cmp_ne_u16_e32 vcc_lo, 0, v3
	v_cndmask_b32_e64 v3, 0, 1, vcc_lo
	s_branch .LBB385_208
.LBB385_207:
	s_mov_b32 s3, -1
                                        ; implicit-def: $vgpr3
.LBB385_208:
	s_branch .LBB385_23
.LBB385_209:
	v_cmp_lt_i16_e64 s2, s31, 5
	s_delay_alu instid0(VALU_DEP_1)
	s_and_b32 vcc_lo, exec_lo, s2
	s_cbranch_vccnz .LBB385_214
; %bb.210:
	v_cmp_lt_i16_e64 s2, s31, 8
	s_delay_alu instid0(VALU_DEP_1)
	s_and_b32 vcc_lo, exec_lo, s2
	s_cbranch_vccnz .LBB385_215
; %bb.211:
	;; [unrolled: 5-line block ×3, first 2 shown]
	v_cmp_gt_i16_e64 s2, s31, 9
	s_delay_alu instid0(VALU_DEP_1)
	s_and_b32 vcc_lo, exec_lo, s2
	s_cbranch_vccz .LBB385_217
; %bb.213:
	global_load_b64 v[3:4], v[1:2], off
	s_mov_b32 s2, 0
	s_waitcnt vmcnt(0)
	v_cvt_i32_f64_e32 v3, v[3:4]
	s_branch .LBB385_218
.LBB385_214:
                                        ; implicit-def: $vgpr3
	s_branch .LBB385_236
.LBB385_215:
	s_mov_b32 s2, -1
                                        ; implicit-def: $vgpr3
	s_branch .LBB385_224
.LBB385_216:
	s_mov_b32 s2, -1
                                        ; implicit-def: $vgpr3
	s_branch .LBB385_221
.LBB385_217:
	s_mov_b32 s2, -1
                                        ; implicit-def: $vgpr3
.LBB385_218:
	s_delay_alu instid0(SALU_CYCLE_1)
	s_and_not1_b32 vcc_lo, exec_lo, s2
	s_cbranch_vccnz .LBB385_220
; %bb.219:
	global_load_b32 v3, v[1:2], off
	s_waitcnt vmcnt(0)
	v_cvt_i32_f32_e32 v3, v3
.LBB385_220:
	s_mov_b32 s2, 0
.LBB385_221:
	s_delay_alu instid0(SALU_CYCLE_1)
	s_and_not1_b32 vcc_lo, exec_lo, s2
	s_cbranch_vccnz .LBB385_223
; %bb.222:
	global_load_b32 v3, v[1:2], off
	s_waitcnt vmcnt(0)
	v_cvt_i16_f16_e32 v3, v3
.LBB385_223:
	s_mov_b32 s2, 0
.LBB385_224:
	s_delay_alu instid0(SALU_CYCLE_1)
	s_and_not1_b32 vcc_lo, exec_lo, s2
	s_cbranch_vccnz .LBB385_235
; %bb.225:
	v_cmp_lt_i16_e64 s2, s31, 6
	s_delay_alu instid0(VALU_DEP_1)
	s_and_b32 vcc_lo, exec_lo, s2
	s_cbranch_vccnz .LBB385_228
; %bb.226:
	v_cmp_gt_i16_e64 s2, s31, 6
	s_delay_alu instid0(VALU_DEP_1)
	s_and_b32 vcc_lo, exec_lo, s2
	s_cbranch_vccz .LBB385_229
; %bb.227:
	global_load_b64 v[3:4], v[1:2], off
	s_mov_b32 s2, 0
	s_waitcnt vmcnt(0)
	v_cvt_i32_f64_e32 v3, v[3:4]
	s_branch .LBB385_230
.LBB385_228:
	s_mov_b32 s2, -1
                                        ; implicit-def: $vgpr3
	s_branch .LBB385_233
.LBB385_229:
	s_mov_b32 s2, -1
                                        ; implicit-def: $vgpr3
.LBB385_230:
	s_delay_alu instid0(SALU_CYCLE_1)
	s_and_not1_b32 vcc_lo, exec_lo, s2
	s_cbranch_vccnz .LBB385_232
; %bb.231:
	global_load_b32 v3, v[1:2], off
	s_waitcnt vmcnt(0)
	v_cvt_i32_f32_e32 v3, v3
.LBB385_232:
	s_mov_b32 s2, 0
.LBB385_233:
	s_delay_alu instid0(SALU_CYCLE_1)
	s_and_not1_b32 vcc_lo, exec_lo, s2
	s_cbranch_vccnz .LBB385_235
; %bb.234:
	global_load_u16 v3, v[1:2], off
	s_waitcnt vmcnt(0)
	v_cvt_i16_f16_e32 v3, v3
.LBB385_235:
	s_cbranch_execnz .LBB385_255
.LBB385_236:
	v_cmp_lt_i16_e64 s2, s31, 2
	s_delay_alu instid0(VALU_DEP_1)
	s_and_b32 vcc_lo, exec_lo, s2
	s_cbranch_vccnz .LBB385_240
; %bb.237:
	v_cmp_lt_i16_e64 s2, s31, 3
	s_delay_alu instid0(VALU_DEP_1)
	s_and_b32 vcc_lo, exec_lo, s2
	s_cbranch_vccnz .LBB385_241
; %bb.238:
	v_cmp_gt_i16_e64 s2, s31, 3
	s_delay_alu instid0(VALU_DEP_1)
	s_and_b32 vcc_lo, exec_lo, s2
	s_cbranch_vccz .LBB385_242
; %bb.239:
	global_load_b64 v[3:4], v[1:2], off
	s_mov_b32 s2, 0
	s_branch .LBB385_243
.LBB385_240:
	s_mov_b32 s2, -1
                                        ; implicit-def: $vgpr3
	s_branch .LBB385_249
.LBB385_241:
	s_mov_b32 s2, -1
                                        ; implicit-def: $vgpr3
	s_branch .LBB385_246
.LBB385_242:
	s_mov_b32 s2, -1
                                        ; implicit-def: $vgpr3
.LBB385_243:
	s_delay_alu instid0(SALU_CYCLE_1)
	s_and_not1_b32 vcc_lo, exec_lo, s2
	s_cbranch_vccnz .LBB385_245
; %bb.244:
	global_load_b32 v3, v[1:2], off
.LBB385_245:
	s_mov_b32 s2, 0
.LBB385_246:
	s_delay_alu instid0(SALU_CYCLE_1)
	s_and_not1_b32 vcc_lo, exec_lo, s2
	s_cbranch_vccnz .LBB385_248
; %bb.247:
	global_load_u16 v3, v[1:2], off
.LBB385_248:
	s_mov_b32 s2, 0
.LBB385_249:
	s_delay_alu instid0(SALU_CYCLE_1)
	s_and_not1_b32 vcc_lo, exec_lo, s2
	s_cbranch_vccnz .LBB385_255
; %bb.250:
	v_cmp_gt_i16_e64 s2, s31, 0
	s_delay_alu instid0(VALU_DEP_1)
	s_and_b32 vcc_lo, exec_lo, s2
	s_mov_b32 s2, 0
	s_cbranch_vccz .LBB385_252
; %bb.251:
	global_load_i8 v3, v[1:2], off
	s_branch .LBB385_253
.LBB385_252:
	s_mov_b32 s2, -1
                                        ; implicit-def: $vgpr3
.LBB385_253:
	s_delay_alu instid0(SALU_CYCLE_1)
	s_and_not1_b32 vcc_lo, exec_lo, s2
	s_cbranch_vccnz .LBB385_255
; %bb.254:
	global_load_u8 v3, v[1:2], off
.LBB385_255:
	s_branch .LBB385_24
.LBB385_256:
	s_mov_b32 s2, 0
.LBB385_257:
	s_mov_b32 s22, 0
                                        ; implicit-def: $vgpr5
.LBB385_258:
	s_and_b32 s37, s2, exec_lo
	s_and_b32 s38, s3, exec_lo
	s_or_not1_b32 s3, s22, exec_lo
.LBB385_259:
	s_or_b32 exec_lo, exec_lo, s39
	s_mov_b32 s22, 0
	s_mov_b32 s2, 0
                                        ; implicit-def: $vgpr1_vgpr2
                                        ; implicit-def: $vgpr0
                                        ; implicit-def: $vgpr3
	s_and_saveexec_b32 s39, s3
	s_cbranch_execz .LBB385_890
; %bb.260:
	s_mov_b32 s2, -1
	s_mov_b32 s40, s38
	s_mov_b32 s41, s37
	s_mov_b32 s42, exec_lo
	v_cmpx_gt_i32_e64 s34, v5
	s_cbranch_execz .LBB385_525
; %bb.261:
	s_and_not1_b32 vcc_lo, exec_lo, s27
	s_cbranch_vccnz .LBB385_266
; %bb.262:
	v_dual_mov_b32 v0, 0 :: v_dual_mov_b32 v1, 0
	s_and_not1_b32 vcc_lo, exec_lo, s36
	s_mov_b32 s40, 0
	s_cbranch_vccnz .LBB385_271
; %bb.263:
	v_mov_b32_e32 v0, 0
	s_add_i32 s43, s35, 1
	s_cmp_eq_u32 s25, 2
	s_mov_b32 s41, 0
	s_cbranch_scc1 .LBB385_267
; %bb.264:
	v_dual_mov_b32 v1, 0 :: v_dual_mov_b32 v0, 0
	v_mov_b32_e32 v2, v5
	s_and_b32 s41, s43, 28
	s_mov_b32 s44, 0
	s_mov_b64 s[2:3], s[20:21]
	s_mov_b64 s[22:23], s[16:17]
.LBB385_265:                            ; =>This Inner Loop Header: Depth=1
	s_clause 0x1
	s_load_b256 s[48:55], s[22:23], 0x4
	s_load_b128 s[64:67], s[22:23], 0x24
	s_load_b256 s[56:63], s[2:3], 0x0
	s_add_u32 s22, s22, 48
	s_addc_u32 s23, s23, 0
	s_add_i32 s44, s44, 4
	s_add_u32 s2, s2, 32
	s_addc_u32 s3, s3, 0
	s_cmp_eq_u32 s41, s44
	s_waitcnt vmcnt(0) lgkmcnt(0)
	v_mul_hi_u32 v3, s49, v2
	s_delay_alu instid0(VALU_DEP_1) | instskip(NEXT) | instid1(VALU_DEP_1)
	v_add_nc_u32_e32 v3, v2, v3
	v_lshrrev_b32_e32 v3, s50, v3
	s_delay_alu instid0(VALU_DEP_1) | instskip(SKIP_1) | instid1(VALU_DEP_2)
	v_mul_hi_u32 v4, s52, v3
	v_mul_lo_u32 v7, v3, s48
	v_add_nc_u32_e32 v4, v3, v4
	s_delay_alu instid0(VALU_DEP_2) | instskip(NEXT) | instid1(VALU_DEP_2)
	v_sub_nc_u32_e32 v2, v2, v7
	v_lshrrev_b32_e32 v4, s53, v4
	s_delay_alu instid0(VALU_DEP_2) | instskip(SKIP_1) | instid1(VALU_DEP_3)
	v_mul_lo_u32 v7, v2, s56
	v_mul_lo_u32 v9, v2, s57
	v_mul_hi_u32 v6, s55, v4
	s_delay_alu instid0(VALU_DEP_1) | instskip(NEXT) | instid1(VALU_DEP_1)
	v_add_nc_u32_e32 v6, v4, v6
	v_lshrrev_b32_e32 v6, s64, v6
	s_delay_alu instid0(VALU_DEP_1) | instskip(SKIP_1) | instid1(VALU_DEP_2)
	v_mul_hi_u32 v8, s66, v6
	v_mul_lo_u32 v10, v6, s54
	v_add_nc_u32_e32 v2, v6, v8
	v_mul_lo_u32 v8, v4, s51
	s_delay_alu instid0(VALU_DEP_3) | instskip(NEXT) | instid1(VALU_DEP_3)
	v_sub_nc_u32_e32 v4, v4, v10
	v_lshrrev_b32_e32 v2, s67, v2
	s_delay_alu instid0(VALU_DEP_2) | instskip(SKIP_2) | instid1(VALU_DEP_4)
	v_mul_lo_u32 v10, v4, s60
	v_mul_lo_u32 v4, v4, s61
	v_sub_nc_u32_e32 v3, v3, v8
	v_mul_lo_u32 v11, v2, s65
	s_delay_alu instid0(VALU_DEP_2) | instskip(SKIP_1) | instid1(VALU_DEP_3)
	v_mul_lo_u32 v8, v3, s58
	v_mul_lo_u32 v3, v3, s59
	v_sub_nc_u32_e32 v6, v6, v11
	s_delay_alu instid0(VALU_DEP_3) | instskip(NEXT) | instid1(VALU_DEP_2)
	v_add3_u32 v0, v7, v0, v8
	v_mul_lo_u32 v11, v6, s62
	v_mul_lo_u32 v6, v6, s63
	v_add3_u32 v1, v9, v1, v3
	s_delay_alu instid0(VALU_DEP_3) | instskip(NEXT) | instid1(VALU_DEP_2)
	v_add3_u32 v0, v10, v0, v11
	v_add3_u32 v1, v4, v1, v6
	s_cbranch_scc0 .LBB385_265
	s_branch .LBB385_268
.LBB385_266:
	s_mov_b32 s40, -1
                                        ; implicit-def: $vgpr0
                                        ; implicit-def: $vgpr1
	s_branch .LBB385_271
.LBB385_267:
	v_dual_mov_b32 v2, v5 :: v_dual_mov_b32 v1, 0
.LBB385_268:
	s_and_b32 s43, s43, 3
	s_delay_alu instid0(SALU_CYCLE_1)
	s_cmp_eq_u32 s43, 0
	s_cbranch_scc1 .LBB385_271
; %bb.269:
	s_lshl_b32 s2, s41, 3
	s_mul_i32 s22, s41, 12
	s_add_u32 s2, s2, s16
	s_addc_u32 s3, s17, 0
	s_add_u32 s2, s2, 0xc4
	s_addc_u32 s3, s3, 0
	;; [unrolled: 2-line block ×3, first 2 shown]
	.p2align	6
.LBB385_270:                            ; =>This Inner Loop Header: Depth=1
	s_clause 0x1
	s_load_b64 s[44:45], s[22:23], 0x4
	s_load_b32 s41, s[22:23], 0xc
	s_load_b64 s[46:47], s[2:3], 0x0
	s_add_u32 s22, s22, 12
	s_addc_u32 s23, s23, 0
	s_add_u32 s2, s2, 8
	s_addc_u32 s3, s3, 0
	s_add_i32 s43, s43, -1
	s_delay_alu instid0(SALU_CYCLE_1) | instskip(SKIP_2) | instid1(VALU_DEP_1)
	s_cmp_lg_u32 s43, 0
	s_waitcnt vmcnt(0) lgkmcnt(0)
	v_mul_hi_u32 v3, s45, v2
	v_add_nc_u32_e32 v3, v2, v3
	s_delay_alu instid0(VALU_DEP_1) | instskip(NEXT) | instid1(VALU_DEP_1)
	v_lshrrev_b32_e32 v8, s41, v3
	v_mul_lo_u32 v3, v8, s44
	s_delay_alu instid0(VALU_DEP_1) | instskip(NEXT) | instid1(VALU_DEP_1)
	v_sub_nc_u32_e32 v2, v2, v3
	v_mad_u64_u32 v[3:4], null, v2, s46, v[0:1]
	v_mad_u64_u32 v[6:7], null, v2, s47, v[1:2]
	v_mov_b32_e32 v2, v8
	s_delay_alu instid0(VALU_DEP_2)
	v_dual_mov_b32 v0, v3 :: v_dual_mov_b32 v1, v6
	s_cbranch_scc1 .LBB385_270
.LBB385_271:
	s_and_not1_b32 vcc_lo, exec_lo, s40
	s_cbranch_vccnz .LBB385_274
; %bb.272:
	v_mul_hi_u32 v0, s9, v5
	s_and_not1_b32 vcc_lo, exec_lo, s33
	s_delay_alu instid0(VALU_DEP_1) | instskip(NEXT) | instid1(VALU_DEP_1)
	v_add_nc_u32_e32 v0, v5, v0
	v_lshrrev_b32_e32 v2, s10, v0
	s_delay_alu instid0(VALU_DEP_1) | instskip(NEXT) | instid1(VALU_DEP_1)
	v_mul_lo_u32 v0, v2, s8
	v_sub_nc_u32_e32 v1, v5, v0
	s_delay_alu instid0(VALU_DEP_1)
	v_mul_lo_u32 v0, v1, s12
	v_mul_lo_u32 v1, v1, s13
	s_cbranch_vccnz .LBB385_274
; %bb.273:
	s_waitcnt vmcnt(0)
	v_mul_hi_u32 v3, s18, v2
	s_delay_alu instid0(VALU_DEP_1) | instskip(NEXT) | instid1(VALU_DEP_1)
	v_add_nc_u32_e32 v3, v2, v3
	v_lshrrev_b32_e32 v3, s19, v3
	s_delay_alu instid0(VALU_DEP_1) | instskip(NEXT) | instid1(VALU_DEP_1)
	v_mul_lo_u32 v3, v3, s11
	v_sub_nc_u32_e32 v6, v2, v3
	s_delay_alu instid0(VALU_DEP_1) | instskip(NEXT) | instid1(VALU_DEP_1)
	v_mad_u64_u32 v[2:3], null, v6, s14, v[0:1]
	v_mad_u64_u32 v[3:4], null, v6, s15, v[1:2]
	s_delay_alu instid0(VALU_DEP_1)
	v_dual_mov_b32 v0, v2 :: v_dual_mov_b32 v1, v3
.LBB385_274:
	v_cmp_lt_i16_e64 s2, s31, 11
	s_delay_alu instid0(VALU_DEP_2) | instskip(NEXT) | instid1(VALU_DEP_1)
	v_add_co_u32 v1, s3, s6, v1
	v_add_co_ci_u32_e64 v2, null, s7, 0, s3
	s_delay_alu instid0(VALU_DEP_3)
	s_and_b32 vcc_lo, exec_lo, s2
	s_mov_b32 s2, 0
	s_cbranch_vccnz .LBB385_281
; %bb.275:
	v_cmp_gt_i16_e64 s2, s31, 25
	s_delay_alu instid0(VALU_DEP_1)
	s_and_b32 vcc_lo, exec_lo, s2
	s_cbranch_vccz .LBB385_330
; %bb.276:
	v_cmp_gt_i16_e64 s2, s31, 28
	s_delay_alu instid0(VALU_DEP_1)
	s_and_b32 vcc_lo, exec_lo, s2
	s_cbranch_vccz .LBB385_331
	;; [unrolled: 5-line block ×4, first 2 shown]
; %bb.279:
	v_cmp_eq_u16_e64 s2, s31, 46
	s_mov_b32 s22, 0
	s_delay_alu instid0(VALU_DEP_1)
	s_and_b32 vcc_lo, exec_lo, s2
	s_cbranch_vccz .LBB385_339
; %bb.280:
	global_load_b32 v3, v[1:2], off
	s_mov_b32 s2, -1
	s_mov_b32 s3, 0
	s_waitcnt vmcnt(0)
	v_lshlrev_b32_e32 v3, 16, v3
	s_delay_alu instid0(VALU_DEP_1)
	v_cvt_i32_f32_e32 v3, v3
	s_branch .LBB385_341
.LBB385_281:
	s_mov_b32 s3, s38
                                        ; implicit-def: $vgpr3
	s_cbranch_execnz .LBB385_474
.LBB385_282:
	s_and_not1_b32 vcc_lo, exec_lo, s2
	s_cbranch_vccnz .LBB385_522
.LBB385_283:
	s_waitcnt vmcnt(0)
	v_and_b32_e64 v4, 0xff, s30
	v_add_co_u32 v0, s2, s4, v0
	s_delay_alu instid0(VALU_DEP_3) | instskip(SKIP_1) | instid1(VALU_DEP_4)
	v_max_i16 v2, v3, s29
	v_add_co_ci_u32_e64 v1, null, s5, 0, s2
	v_cmp_gt_i16_e32 vcc_lo, 11, v4
	s_mov_b32 s22, 0
	s_mov_b32 s23, -1
	s_mov_b32 s2, s37
	s_cbranch_vccnz .LBB385_290
; %bb.284:
	v_cmp_lt_i16_e32 vcc_lo, 25, v4
	s_cbranch_vccz .LBB385_332
; %bb.285:
	v_cmp_lt_i16_e32 vcc_lo, 28, v4
	s_cbranch_vccz .LBB385_334
	;; [unrolled: 3-line block ×4, first 2 shown]
; %bb.288:
	v_cmp_eq_u16_e32 vcc_lo, 46, v4
	s_mov_b32 s23, 0
	s_mov_b32 s2, -1
	s_cbranch_vccz .LBB385_345
; %bb.289:
	v_bfe_i32 v3, v2, 0, 16
	s_mov_b32 s22, -1
	s_mov_b32 s2, 0
	s_delay_alu instid0(VALU_DEP_1) | instskip(NEXT) | instid1(VALU_DEP_1)
	v_cvt_f32_i32_e32 v3, v3
	v_bfe_u32 v6, v3, 16, 1
	s_delay_alu instid0(VALU_DEP_1) | instskip(NEXT) | instid1(VALU_DEP_1)
	v_add3_u32 v3, v3, v6, 0x7fff
	v_lshrrev_b32_e32 v3, 16, v3
	global_store_b32 v[0:1], v3, off
	s_branch .LBB385_345
.LBB385_290:
	s_and_b32 vcc_lo, exec_lo, s23
	s_cbranch_vccz .LBB385_414
; %bb.291:
	v_cmp_gt_i16_e32 vcc_lo, 5, v4
	s_mov_b32 s22, -1
	s_cbranch_vccnz .LBB385_312
; %bb.292:
	v_cmp_gt_i16_e32 vcc_lo, 8, v4
	s_cbranch_vccnz .LBB385_302
; %bb.293:
	v_cmp_gt_i16_e32 vcc_lo, 9, v4
	s_cbranch_vccnz .LBB385_299
; %bb.294:
	v_cmp_lt_i16_e32 vcc_lo, 9, v4
	s_cbranch_vccz .LBB385_296
; %bb.295:
	v_bfe_i32 v3, v2, 0, 16
	v_mov_b32_e32 v8, 0
	s_mov_b32 s22, 0
	s_delay_alu instid0(VALU_DEP_2) | instskip(NEXT) | instid1(VALU_DEP_2)
	v_cvt_f64_i32_e32 v[6:7], v3
	v_mov_b32_e32 v9, v8
	global_store_b128 v[0:1], v[6:9], off
.LBB385_296:
	s_and_not1_b32 vcc_lo, exec_lo, s22
	s_cbranch_vccnz .LBB385_298
; %bb.297:
	v_bfe_i32 v3, v2, 0, 16
	v_mov_b32_e32 v7, 0
	s_delay_alu instid0(VALU_DEP_2)
	v_cvt_f32_i32_e32 v6, v3
	global_store_b64 v[0:1], v[6:7], off
.LBB385_298:
	s_mov_b32 s22, 0
.LBB385_299:
	s_delay_alu instid0(SALU_CYCLE_1)
	s_and_not1_b32 vcc_lo, exec_lo, s22
	s_cbranch_vccnz .LBB385_301
; %bb.300:
	v_cvt_f16_i16_e32 v3, v2
	s_delay_alu instid0(VALU_DEP_1)
	v_and_b32_e32 v3, 0xffff, v3
	global_store_b32 v[0:1], v3, off
.LBB385_301:
	s_mov_b32 s22, 0
.LBB385_302:
	s_delay_alu instid0(SALU_CYCLE_1)
	s_and_not1_b32 vcc_lo, exec_lo, s22
	s_cbranch_vccnz .LBB385_311
; %bb.303:
	v_cmp_gt_i16_e32 vcc_lo, 6, v4
	s_mov_b32 s22, -1
	s_cbranch_vccnz .LBB385_309
; %bb.304:
	v_cmp_lt_i16_e32 vcc_lo, 6, v4
	s_cbranch_vccz .LBB385_306
; %bb.305:
	v_bfe_i32 v3, v2, 0, 16
	s_mov_b32 s22, 0
	s_delay_alu instid0(VALU_DEP_1)
	v_cvt_f64_i32_e32 v[6:7], v3
	global_store_b64 v[0:1], v[6:7], off
.LBB385_306:
	s_and_not1_b32 vcc_lo, exec_lo, s22
	s_cbranch_vccnz .LBB385_308
; %bb.307:
	v_bfe_i32 v3, v2, 0, 16
	s_delay_alu instid0(VALU_DEP_1)
	v_cvt_f32_i32_e32 v3, v3
	global_store_b32 v[0:1], v3, off
.LBB385_308:
	s_mov_b32 s22, 0
.LBB385_309:
	s_delay_alu instid0(SALU_CYCLE_1)
	s_and_not1_b32 vcc_lo, exec_lo, s22
	s_cbranch_vccnz .LBB385_311
; %bb.310:
	v_cvt_f16_i16_e32 v3, v2
	global_store_b16 v[0:1], v3, off
.LBB385_311:
	s_mov_b32 s22, 0
.LBB385_312:
	s_delay_alu instid0(SALU_CYCLE_1)
	s_and_not1_b32 vcc_lo, exec_lo, s22
	s_cbranch_vccnz .LBB385_328
; %bb.313:
	v_cmp_gt_i16_e32 vcc_lo, 2, v4
	s_mov_b32 s22, -1
	s_cbranch_vccnz .LBB385_323
; %bb.314:
	v_cmp_gt_i16_e32 vcc_lo, 3, v4
	s_cbranch_vccnz .LBB385_320
; %bb.315:
	v_cmp_lt_i16_e32 vcc_lo, 3, v4
	s_cbranch_vccz .LBB385_317
; %bb.316:
	v_bfe_i32 v6, v2, 0, 16
	s_mov_b32 s22, 0
	s_delay_alu instid0(VALU_DEP_1)
	v_ashrrev_i32_e32 v7, 31, v6
	global_store_b64 v[0:1], v[6:7], off
.LBB385_317:
	s_and_not1_b32 vcc_lo, exec_lo, s22
	s_cbranch_vccnz .LBB385_319
; %bb.318:
	v_bfe_i32 v3, v2, 0, 16
	global_store_b32 v[0:1], v3, off
.LBB385_319:
	s_mov_b32 s22, 0
.LBB385_320:
	s_delay_alu instid0(SALU_CYCLE_1)
	s_and_not1_b32 vcc_lo, exec_lo, s22
	s_cbranch_vccnz .LBB385_322
; %bb.321:
	global_store_b16 v[0:1], v2, off
.LBB385_322:
	s_mov_b32 s22, 0
.LBB385_323:
	s_delay_alu instid0(SALU_CYCLE_1)
	s_and_not1_b32 vcc_lo, exec_lo, s22
	s_cbranch_vccnz .LBB385_328
; %bb.324:
	v_cmp_lt_i16_e32 vcc_lo, 0, v4
	s_mov_b32 s22, -1
	s_cbranch_vccz .LBB385_326
; %bb.325:
	s_mov_b32 s22, 0
	global_store_b8 v[0:1], v2, off
.LBB385_326:
	s_and_not1_b32 vcc_lo, exec_lo, s22
	s_cbranch_vccnz .LBB385_328
; %bb.327:
	global_store_b8 v[0:1], v2, off
.LBB385_328:
	s_branch .LBB385_415
.LBB385_329:
	s_mov_b32 s22, 0
	s_branch .LBB385_523
.LBB385_330:
	s_mov_b32 s22, -1
	s_mov_b32 s2, 0
	s_mov_b32 s3, s38
                                        ; implicit-def: $vgpr3
	s_branch .LBB385_440
.LBB385_331:
	s_mov_b32 s22, -1
	s_mov_b32 s2, 0
	s_mov_b32 s3, s38
                                        ; implicit-def: $vgpr3
	s_branch .LBB385_423
.LBB385_332:
	s_mov_b32 s2, s37
	s_branch .LBB385_372
.LBB385_333:
	s_mov_b32 s22, -1
	s_mov_b32 s2, 0
	s_mov_b32 s3, s38
                                        ; implicit-def: $vgpr3
	s_branch .LBB385_418
.LBB385_334:
	s_mov_b32 s2, s37
	s_branch .LBB385_355
.LBB385_335:
	s_mov_b32 s22, -1
	s_mov_b32 s2, 0
	s_mov_b32 s3, s38
	s_branch .LBB385_340
.LBB385_336:
	s_mov_b32 s2, s37
	s_branch .LBB385_351
.LBB385_337:
	s_or_saveexec_b32 s37, s37
                                        ; implicit-def: $sgpr38
	s_delay_alu instid0(SALU_CYCLE_1)
	s_xor_b32 exec_lo, exec_lo, s37
	s_cbranch_execz .LBB385_65
.LBB385_338:
	v_add_f32_e64 v6, 0x42800000, |v3|
	s_and_not1_b32 s23, s23, exec_lo
	s_mov_b32 s38, 0
	s_delay_alu instid0(VALU_DEP_1) | instskip(NEXT) | instid1(VALU_DEP_1)
	v_and_b32_e32 v6, 0xff, v6
	v_cmp_ne_u32_e32 vcc_lo, 0, v6
	s_and_b32 s41, vcc_lo, exec_lo
	s_delay_alu instid0(SALU_CYCLE_1)
	s_or_b32 s23, s23, s41
	s_or_b32 exec_lo, exec_lo, s37
	v_mov_b32_e32 v7, s38
	s_and_saveexec_b32 s37, s23
	s_cbranch_execnz .LBB385_66
	s_branch .LBB385_67
.LBB385_339:
	s_mov_b32 s3, -1
	s_mov_b32 s2, 0
.LBB385_340:
                                        ; implicit-def: $vgpr3
.LBB385_341:
	s_and_b32 vcc_lo, exec_lo, s22
	s_cbranch_vccz .LBB385_417
; %bb.342:
	v_cmp_eq_u16_e64 s3, s31, 44
	s_delay_alu instid0(VALU_DEP_1)
	s_and_b32 vcc_lo, exec_lo, s3
	s_cbranch_vccz .LBB385_416
; %bb.343:
	global_load_u8 v3, v[1:2], off
	s_mov_b32 s3, 0
	s_mov_b32 s2, -1
	s_waitcnt vmcnt(0)
	v_lshlrev_b32_e32 v4, 23, v3
	v_cmp_ne_u32_e32 vcc_lo, 0, v3
	s_delay_alu instid0(VALU_DEP_2) | instskip(NEXT) | instid1(VALU_DEP_1)
	v_cvt_i32_f32_e32 v4, v4
	v_cndmask_b32_e32 v3, 0, v4, vcc_lo
	s_branch .LBB385_417
.LBB385_344:
	s_mov_b32 s2, s37
.LBB385_345:
	s_and_b32 vcc_lo, exec_lo, s23
	s_cbranch_vccz .LBB385_350
; %bb.346:
	v_cmp_eq_u16_e32 vcc_lo, 44, v4
	s_mov_b32 s2, -1
	s_cbranch_vccz .LBB385_350
; %bb.347:
	v_bfe_i32 v3, v2, 0, 16
	v_mov_b32_e32 v6, 0xff
	s_mov_b32 s22, exec_lo
	s_delay_alu instid0(VALU_DEP_2) | instskip(NEXT) | instid1(VALU_DEP_1)
	v_cvt_f32_i32_e32 v3, v3
	v_bfe_u32 v7, v3, 23, 8
	s_delay_alu instid0(VALU_DEP_1)
	v_cmpx_ne_u32_e32 0xff, v7
; %bb.348:
	v_and_b32_e32 v6, 0x400000, v3
	v_and_or_b32 v7, 0x3fffff, v3, v7
	v_lshrrev_b32_e32 v3, 23, v3
	s_delay_alu instid0(VALU_DEP_3) | instskip(NEXT) | instid1(VALU_DEP_3)
	v_cmp_ne_u32_e32 vcc_lo, 0, v6
	v_cmp_ne_u32_e64 s2, 0, v7
	s_delay_alu instid0(VALU_DEP_1) | instskip(NEXT) | instid1(SALU_CYCLE_1)
	s_and_b32 s2, vcc_lo, s2
	v_cndmask_b32_e64 v6, 0, 1, s2
	s_delay_alu instid0(VALU_DEP_1)
	v_add_nc_u32_e32 v6, v3, v6
; %bb.349:
	s_or_b32 exec_lo, exec_lo, s22
	s_mov_b32 s22, -1
	s_mov_b32 s2, 0
	global_store_b8 v[0:1], v6, off
.LBB385_350:
	s_mov_b32 s23, 0
.LBB385_351:
	s_delay_alu instid0(SALU_CYCLE_1)
	s_and_b32 vcc_lo, exec_lo, s23
	s_cbranch_vccz .LBB385_354
; %bb.352:
	v_cmp_eq_u16_e32 vcc_lo, 29, v4
	s_mov_b32 s2, -1
	s_cbranch_vccz .LBB385_354
; %bb.353:
	v_bfe_i32 v6, v2, 0, 16
	s_mov_b32 s2, 0
	s_mov_b32 s22, -1
	s_mov_b32 s23, 0
	s_delay_alu instid0(VALU_DEP_1)
	v_ashrrev_i32_e32 v7, 31, v6
	global_store_b64 v[0:1], v[6:7], off
	s_branch .LBB385_355
.LBB385_354:
	s_mov_b32 s23, 0
.LBB385_355:
	s_delay_alu instid0(SALU_CYCLE_1)
	s_and_b32 vcc_lo, exec_lo, s23
	s_cbranch_vccz .LBB385_371
; %bb.356:
	v_cmp_gt_i16_e32 vcc_lo, 27, v4
	s_mov_b32 s22, -1
	s_cbranch_vccnz .LBB385_362
; %bb.357:
	v_cmp_lt_i16_e32 vcc_lo, 27, v4
	s_cbranch_vccz .LBB385_359
; %bb.358:
	v_bfe_i32 v3, v2, 0, 16
	s_mov_b32 s22, 0
	global_store_b32 v[0:1], v3, off
.LBB385_359:
	s_and_not1_b32 vcc_lo, exec_lo, s22
	s_cbranch_vccnz .LBB385_361
; %bb.360:
	global_store_b16 v[0:1], v2, off
.LBB385_361:
	s_mov_b32 s22, 0
.LBB385_362:
	s_delay_alu instid0(SALU_CYCLE_1)
	s_and_not1_b32 vcc_lo, exec_lo, s22
	s_cbranch_vccnz .LBB385_370
; %bb.363:
	v_bfe_i32 v3, v2, 0, 16
	v_mov_b32_e32 v7, 0x80
	s_mov_b32 s22, exec_lo
	s_delay_alu instid0(VALU_DEP_2) | instskip(NEXT) | instid1(VALU_DEP_1)
	v_cvt_f32_i32_e32 v3, v3
	v_and_b32_e32 v6, 0x7fffffff, v3
	s_delay_alu instid0(VALU_DEP_1)
	v_cmpx_gt_u32_e32 0x43800000, v6
	s_cbranch_execz .LBB385_369
; %bb.364:
	v_cmp_lt_u32_e32 vcc_lo, 0x3bffffff, v6
	s_mov_b32 s23, 0
                                        ; implicit-def: $vgpr6
	s_and_saveexec_b32 s40, vcc_lo
	s_delay_alu instid0(SALU_CYCLE_1)
	s_xor_b32 s40, exec_lo, s40
	s_cbranch_execz .LBB385_551
; %bb.365:
	v_bfe_u32 v6, v3, 20, 1
	s_mov_b32 s23, exec_lo
	s_delay_alu instid0(VALU_DEP_1) | instskip(NEXT) | instid1(VALU_DEP_1)
	v_add3_u32 v6, v3, v6, 0x487ffff
	v_lshrrev_b32_e32 v6, 20, v6
	s_or_saveexec_b32 s40, s40
                                        ; implicit-def: $sgpr41
	s_delay_alu instid0(SALU_CYCLE_1)
	s_xor_b32 exec_lo, exec_lo, s40
	s_cbranch_execnz .LBB385_552
.LBB385_366:
	s_or_b32 exec_lo, exec_lo, s40
	v_mov_b32_e32 v7, s41
	s_and_saveexec_b32 s40, s23
.LBB385_367:
	v_lshrrev_b32_e32 v3, 24, v3
	s_delay_alu instid0(VALU_DEP_1)
	v_and_or_b32 v7, 0x80, v3, v6
.LBB385_368:
	s_or_b32 exec_lo, exec_lo, s40
.LBB385_369:
	s_delay_alu instid0(SALU_CYCLE_1)
	s_or_b32 exec_lo, exec_lo, s22
	global_store_b8 v[0:1], v7, off
.LBB385_370:
	s_mov_b32 s22, -1
.LBB385_371:
	s_mov_b32 s23, 0
.LBB385_372:
	s_delay_alu instid0(SALU_CYCLE_1)
	s_and_b32 vcc_lo, exec_lo, s23
	s_cbranch_vccz .LBB385_413
; %bb.373:
	v_cmp_lt_i16_e32 vcc_lo, 22, v4
	s_mov_b32 s23, -1
	s_cbranch_vccz .LBB385_405
; %bb.374:
	v_cmp_gt_i16_e32 vcc_lo, 24, v4
	s_mov_b32 s22, -1
	s_cbranch_vccnz .LBB385_394
; %bb.375:
	v_cmp_lt_i16_e32 vcc_lo, 24, v4
	s_cbranch_vccz .LBB385_383
; %bb.376:
	v_bfe_i32 v3, v2, 0, 16
	v_mov_b32_e32 v7, 0x80
	s_mov_b32 s22, exec_lo
	s_delay_alu instid0(VALU_DEP_2) | instskip(NEXT) | instid1(VALU_DEP_1)
	v_cvt_f32_i32_e32 v3, v3
	v_and_b32_e32 v6, 0x7fffffff, v3
	s_delay_alu instid0(VALU_DEP_1)
	v_cmpx_gt_u32_e32 0x47800000, v6
	s_cbranch_execz .LBB385_382
; %bb.377:
	v_cmp_lt_u32_e32 vcc_lo, 0x37ffffff, v6
	s_mov_b32 s23, 0
                                        ; implicit-def: $vgpr6
	s_and_saveexec_b32 s40, vcc_lo
	s_delay_alu instid0(SALU_CYCLE_1)
	s_xor_b32 s40, exec_lo, s40
	s_cbranch_execz .LBB385_554
; %bb.378:
	v_bfe_u32 v6, v3, 21, 1
	s_mov_b32 s23, exec_lo
	s_delay_alu instid0(VALU_DEP_1) | instskip(NEXT) | instid1(VALU_DEP_1)
	v_add3_u32 v6, v3, v6, 0x88fffff
	v_lshrrev_b32_e32 v6, 21, v6
	s_or_saveexec_b32 s40, s40
                                        ; implicit-def: $sgpr41
	s_delay_alu instid0(SALU_CYCLE_1)
	s_xor_b32 exec_lo, exec_lo, s40
	s_cbranch_execnz .LBB385_555
.LBB385_379:
	s_or_b32 exec_lo, exec_lo, s40
	v_mov_b32_e32 v7, s41
	s_and_saveexec_b32 s40, s23
.LBB385_380:
	v_lshrrev_b32_e32 v3, 24, v3
	s_delay_alu instid0(VALU_DEP_1)
	v_and_or_b32 v7, 0x80, v3, v6
.LBB385_381:
	s_or_b32 exec_lo, exec_lo, s40
.LBB385_382:
	s_delay_alu instid0(SALU_CYCLE_1)
	s_or_b32 exec_lo, exec_lo, s22
	s_mov_b32 s22, 0
	global_store_b8 v[0:1], v7, off
.LBB385_383:
	s_and_b32 vcc_lo, exec_lo, s22
	s_cbranch_vccz .LBB385_393
; %bb.384:
	v_bfe_i32 v3, v2, 0, 16
	s_mov_b32 s22, exec_lo
                                        ; implicit-def: $vgpr6
	s_delay_alu instid0(VALU_DEP_1) | instskip(NEXT) | instid1(VALU_DEP_1)
	v_cvt_f32_i32_e32 v3, v3
	v_and_b32_e32 v7, 0x7fffffff, v3
	s_delay_alu instid0(VALU_DEP_1)
	v_cmpx_gt_u32_e32 0x43f00000, v7
	s_xor_b32 s22, exec_lo, s22
	s_cbranch_execz .LBB385_390
; %bb.385:
	s_mov_b32 s23, exec_lo
                                        ; implicit-def: $vgpr6
	v_cmpx_lt_u32_e32 0x3c7fffff, v7
	s_xor_b32 s23, exec_lo, s23
; %bb.386:
	v_bfe_u32 v6, v3, 20, 1
	s_delay_alu instid0(VALU_DEP_1) | instskip(NEXT) | instid1(VALU_DEP_1)
	v_add3_u32 v6, v3, v6, 0x407ffff
	v_and_b32_e32 v7, 0xff00000, v6
	v_lshrrev_b32_e32 v6, 20, v6
	s_delay_alu instid0(VALU_DEP_2) | instskip(NEXT) | instid1(VALU_DEP_2)
	v_cmp_ne_u32_e32 vcc_lo, 0x7f00000, v7
	v_cndmask_b32_e32 v6, 0x7e, v6, vcc_lo
; %bb.387:
	s_and_not1_saveexec_b32 s23, s23
; %bb.388:
	v_add_f32_e64 v6, 0x46800000, |v3|
; %bb.389:
	s_or_b32 exec_lo, exec_lo, s23
                                        ; implicit-def: $vgpr7
.LBB385_390:
	s_and_not1_saveexec_b32 s22, s22
; %bb.391:
	v_mov_b32_e32 v6, 0x7f
	v_cmp_lt_u32_e32 vcc_lo, 0x7f800000, v7
	s_delay_alu instid0(VALU_DEP_2)
	v_cndmask_b32_e32 v6, 0x7e, v6, vcc_lo
; %bb.392:
	s_or_b32 exec_lo, exec_lo, s22
	v_lshrrev_b32_e32 v3, 24, v3
	s_delay_alu instid0(VALU_DEP_1)
	v_and_or_b32 v3, 0x80, v3, v6
	global_store_b8 v[0:1], v3, off
.LBB385_393:
	s_mov_b32 s22, 0
.LBB385_394:
	s_delay_alu instid0(SALU_CYCLE_1)
	s_and_not1_b32 vcc_lo, exec_lo, s22
	s_cbranch_vccnz .LBB385_404
; %bb.395:
	v_bfe_i32 v3, v2, 0, 16
	s_mov_b32 s22, exec_lo
                                        ; implicit-def: $vgpr6
	s_delay_alu instid0(VALU_DEP_1) | instskip(NEXT) | instid1(VALU_DEP_1)
	v_cvt_f32_i32_e32 v3, v3
	v_and_b32_e32 v7, 0x7fffffff, v3
	s_delay_alu instid0(VALU_DEP_1)
	v_cmpx_gt_u32_e32 0x47800000, v7
	s_xor_b32 s22, exec_lo, s22
	s_cbranch_execz .LBB385_401
; %bb.396:
	s_mov_b32 s23, exec_lo
                                        ; implicit-def: $vgpr6
	v_cmpx_lt_u32_e32 0x387fffff, v7
	s_xor_b32 s23, exec_lo, s23
; %bb.397:
	v_bfe_u32 v6, v3, 21, 1
	s_delay_alu instid0(VALU_DEP_1) | instskip(NEXT) | instid1(VALU_DEP_1)
	v_add3_u32 v6, v3, v6, 0x80fffff
	v_lshrrev_b32_e32 v6, 21, v6
; %bb.398:
	s_and_not1_saveexec_b32 s23, s23
; %bb.399:
	v_add_f32_e64 v6, 0x43000000, |v3|
; %bb.400:
	s_or_b32 exec_lo, exec_lo, s23
                                        ; implicit-def: $vgpr7
.LBB385_401:
	s_and_not1_saveexec_b32 s22, s22
; %bb.402:
	v_mov_b32_e32 v6, 0x7f
	v_cmp_lt_u32_e32 vcc_lo, 0x7f800000, v7
	s_delay_alu instid0(VALU_DEP_2)
	v_cndmask_b32_e32 v6, 0x7c, v6, vcc_lo
; %bb.403:
	s_or_b32 exec_lo, exec_lo, s22
	v_lshrrev_b32_e32 v3, 24, v3
	s_delay_alu instid0(VALU_DEP_1)
	v_and_or_b32 v3, 0x80, v3, v6
	global_store_b8 v[0:1], v3, off
.LBB385_404:
	s_mov_b32 s23, 0
	s_mov_b32 s22, -1
.LBB385_405:
	s_and_not1_b32 vcc_lo, exec_lo, s23
	s_cbranch_vccnz .LBB385_413
; %bb.406:
	v_cmp_lt_i16_e32 vcc_lo, 14, v4
	s_mov_b32 s23, -1
	s_cbranch_vccz .LBB385_410
; %bb.407:
	v_cmp_eq_u16_e32 vcc_lo, 15, v4
	s_mov_b32 s2, -1
	s_cbranch_vccz .LBB385_409
; %bb.408:
	v_bfe_i32 v3, v2, 0, 16
	s_mov_b32 s22, -1
	s_mov_b32 s2, 0
	s_delay_alu instid0(VALU_DEP_1) | instskip(NEXT) | instid1(VALU_DEP_1)
	v_cvt_f32_i32_e32 v3, v3
	v_bfe_u32 v6, v3, 16, 1
	s_delay_alu instid0(VALU_DEP_1)
	v_add3_u32 v3, v3, v6, 0x7fff
	global_store_d16_hi_b16 v[0:1], v3, off
.LBB385_409:
	s_mov_b32 s23, 0
.LBB385_410:
	s_delay_alu instid0(SALU_CYCLE_1)
	s_and_b32 vcc_lo, exec_lo, s23
	s_cbranch_vccz .LBB385_413
; %bb.411:
	v_cmp_eq_u16_e32 vcc_lo, 11, v4
	s_mov_b32 s2, -1
	s_cbranch_vccz .LBB385_413
; %bb.412:
	v_cmp_ne_u16_e32 vcc_lo, 0, v2
	s_mov_b32 s2, 0
	s_mov_b32 s22, -1
	v_cndmask_b32_e64 v3, 0, 1, vcc_lo
	global_store_b8 v[0:1], v3, off
.LBB385_413:
.LBB385_414:
	s_and_not1_b32 vcc_lo, exec_lo, s22
	s_cbranch_vccnz .LBB385_329
.LBB385_415:
	v_add_nc_u32_e32 v5, 0x80, v5
	s_mov_b32 s22, -1
	s_branch .LBB385_524
.LBB385_416:
	s_mov_b32 s3, -1
                                        ; implicit-def: $vgpr3
.LBB385_417:
	s_mov_b32 s22, 0
.LBB385_418:
	s_delay_alu instid0(SALU_CYCLE_1)
	s_and_b32 vcc_lo, exec_lo, s22
	s_cbranch_vccz .LBB385_422
; %bb.419:
	v_cmp_eq_u16_e64 s3, s31, 29
	s_delay_alu instid0(VALU_DEP_1)
	s_and_b32 vcc_lo, exec_lo, s3
	s_cbranch_vccz .LBB385_421
; %bb.420:
	global_load_b64 v[3:4], v[1:2], off
	s_mov_b32 s2, -1
	s_mov_b32 s3, 0
	s_branch .LBB385_422
.LBB385_421:
	s_mov_b32 s3, -1
                                        ; implicit-def: $vgpr3
.LBB385_422:
	s_mov_b32 s22, 0
.LBB385_423:
	s_delay_alu instid0(SALU_CYCLE_1)
	s_and_b32 vcc_lo, exec_lo, s22
	s_cbranch_vccz .LBB385_439
; %bb.424:
	v_cmp_lt_i16_e64 s2, s31, 27
	s_delay_alu instid0(VALU_DEP_1)
	s_and_b32 vcc_lo, exec_lo, s2
	s_cbranch_vccnz .LBB385_427
; %bb.425:
	v_cmp_gt_i16_e64 s2, s31, 27
	s_delay_alu instid0(VALU_DEP_1)
	s_and_b32 vcc_lo, exec_lo, s2
	s_cbranch_vccz .LBB385_428
; %bb.426:
	global_load_b32 v3, v[1:2], off
	s_mov_b32 s2, 0
	s_branch .LBB385_429
.LBB385_427:
	s_mov_b32 s2, -1
                                        ; implicit-def: $vgpr3
	s_branch .LBB385_432
.LBB385_428:
	s_mov_b32 s2, -1
                                        ; implicit-def: $vgpr3
.LBB385_429:
	s_delay_alu instid0(SALU_CYCLE_1)
	s_and_not1_b32 vcc_lo, exec_lo, s2
	s_cbranch_vccnz .LBB385_431
; %bb.430:
	global_load_u16 v3, v[1:2], off
.LBB385_431:
	s_mov_b32 s2, 0
.LBB385_432:
	s_delay_alu instid0(SALU_CYCLE_1)
	s_and_not1_b32 vcc_lo, exec_lo, s2
	s_cbranch_vccnz .LBB385_438
; %bb.433:
	global_load_u8 v4, v[1:2], off
	s_mov_b32 s2, 0
	s_mov_b32 s22, exec_lo
                                        ; implicit-def: $sgpr23
	s_waitcnt vmcnt(0)
	v_cmpx_lt_i16_e32 0x7f, v4
	s_xor_b32 s22, exec_lo, s22
	s_cbranch_execz .LBB385_450
; %bb.434:
	v_cmp_ne_u16_e32 vcc_lo, 0x80, v4
	s_mov_b32 s23, 0
	s_and_b32 s2, vcc_lo, exec_lo
	s_or_saveexec_b32 s22, s22
	v_mov_b32_e32 v3, s23
	s_xor_b32 exec_lo, exec_lo, s22
	s_cbranch_execnz .LBB385_451
.LBB385_435:
	s_or_b32 exec_lo, exec_lo, s22
	s_and_saveexec_b32 s22, s2
	s_cbranch_execz .LBB385_437
.LBB385_436:
	v_and_b32_e32 v3, 0xffff, v4
	v_lshlrev_b32_e32 v4, 24, v4
	s_delay_alu instid0(VALU_DEP_2) | instskip(NEXT) | instid1(VALU_DEP_2)
	v_and_b32_e32 v6, 7, v3
	v_and_b32_e32 v4, 0x80000000, v4
	s_delay_alu instid0(VALU_DEP_2) | instskip(NEXT) | instid1(VALU_DEP_1)
	v_clz_i32_u32_e32 v7, v6
	v_min_u32_e32 v7, 32, v7
	s_delay_alu instid0(VALU_DEP_1) | instskip(SKIP_1) | instid1(VALU_DEP_2)
	v_subrev_nc_u32_e32 v8, 28, v7
	v_sub_nc_u32_e32 v7, 29, v7
	v_lshlrev_b32_e32 v8, v8, v3
	v_bfe_u32 v3, v3, 3, 4
	s_delay_alu instid0(VALU_DEP_1) | instskip(NEXT) | instid1(VALU_DEP_3)
	v_cmp_eq_u32_e32 vcc_lo, 0, v3
	v_dual_cndmask_b32 v3, v3, v7 :: v_dual_and_b32 v8, 7, v8
	s_delay_alu instid0(VALU_DEP_1) | instskip(NEXT) | instid1(VALU_DEP_2)
	v_cndmask_b32_e32 v6, v6, v8, vcc_lo
	v_lshl_add_u32 v3, v3, 23, 0x3b800000
	s_delay_alu instid0(VALU_DEP_2) | instskip(NEXT) | instid1(VALU_DEP_1)
	v_lshlrev_b32_e32 v6, 20, v6
	v_or3_b32 v3, v4, v3, v6
	s_delay_alu instid0(VALU_DEP_1)
	v_cvt_i32_f32_e32 v3, v3
.LBB385_437:
	s_or_b32 exec_lo, exec_lo, s22
.LBB385_438:
	s_mov_b32 s2, -1
.LBB385_439:
	s_mov_b32 s22, 0
.LBB385_440:
	s_delay_alu instid0(SALU_CYCLE_1)
	s_and_b32 vcc_lo, exec_lo, s22
	s_cbranch_vccz .LBB385_473
; %bb.441:
	v_cmp_gt_i16_e64 s22, s31, 22
	s_delay_alu instid0(VALU_DEP_1)
	s_and_b32 vcc_lo, exec_lo, s22
	s_cbranch_vccz .LBB385_449
; %bb.442:
	v_cmp_lt_i16_e64 s2, s31, 24
	s_delay_alu instid0(VALU_DEP_1)
	s_and_b32 vcc_lo, exec_lo, s2
	s_cbranch_vccnz .LBB385_452
; %bb.443:
	v_cmp_gt_i16_e64 s2, s31, 24
	s_delay_alu instid0(VALU_DEP_1)
	s_and_b32 vcc_lo, exec_lo, s2
	s_cbranch_vccz .LBB385_453
; %bb.444:
	global_load_u8 v4, v[1:2], off
	s_mov_b32 s2, 0
	s_mov_b32 s22, exec_lo
                                        ; implicit-def: $sgpr23
	s_waitcnt vmcnt(0)
	v_cmpx_lt_i16_e32 0x7f, v4
	s_xor_b32 s22, exec_lo, s22
	s_cbranch_execz .LBB385_465
; %bb.445:
	v_cmp_ne_u16_e32 vcc_lo, 0x80, v4
	s_mov_b32 s23, 0
	s_and_b32 s2, vcc_lo, exec_lo
	s_or_saveexec_b32 s22, s22
	v_mov_b32_e32 v3, s23
	s_xor_b32 exec_lo, exec_lo, s22
	s_cbranch_execnz .LBB385_466
.LBB385_446:
	s_or_b32 exec_lo, exec_lo, s22
	s_and_saveexec_b32 s22, s2
	s_cbranch_execz .LBB385_448
.LBB385_447:
	v_and_b32_e32 v3, 0xffff, v4
	v_lshlrev_b32_e32 v4, 24, v4
	s_delay_alu instid0(VALU_DEP_2) | instskip(NEXT) | instid1(VALU_DEP_2)
	v_and_b32_e32 v6, 3, v3
	v_and_b32_e32 v4, 0x80000000, v4
	s_delay_alu instid0(VALU_DEP_2) | instskip(NEXT) | instid1(VALU_DEP_1)
	v_clz_i32_u32_e32 v7, v6
	v_min_u32_e32 v7, 32, v7
	s_delay_alu instid0(VALU_DEP_1) | instskip(SKIP_1) | instid1(VALU_DEP_2)
	v_subrev_nc_u32_e32 v8, 29, v7
	v_sub_nc_u32_e32 v7, 30, v7
	v_lshlrev_b32_e32 v8, v8, v3
	v_bfe_u32 v3, v3, 2, 5
	s_delay_alu instid0(VALU_DEP_1) | instskip(NEXT) | instid1(VALU_DEP_3)
	v_cmp_eq_u32_e32 vcc_lo, 0, v3
	v_dual_cndmask_b32 v3, v3, v7 :: v_dual_and_b32 v8, 3, v8
	s_delay_alu instid0(VALU_DEP_1) | instskip(NEXT) | instid1(VALU_DEP_2)
	v_cndmask_b32_e32 v6, v6, v8, vcc_lo
	v_lshl_add_u32 v3, v3, 23, 0x37800000
	s_delay_alu instid0(VALU_DEP_2) | instskip(NEXT) | instid1(VALU_DEP_1)
	v_lshlrev_b32_e32 v6, 21, v6
	v_or3_b32 v3, v4, v3, v6
	s_delay_alu instid0(VALU_DEP_1)
	v_cvt_i32_f32_e32 v3, v3
.LBB385_448:
	s_or_b32 exec_lo, exec_lo, s22
	s_mov_b32 s2, 0
	s_branch .LBB385_454
.LBB385_449:
	s_mov_b32 s22, -1
                                        ; implicit-def: $vgpr3
	s_branch .LBB385_460
.LBB385_450:
	s_or_saveexec_b32 s22, s22
	v_mov_b32_e32 v3, s23
	s_xor_b32 exec_lo, exec_lo, s22
	s_cbranch_execz .LBB385_435
.LBB385_451:
	v_cmp_ne_u16_e32 vcc_lo, 0, v4
	v_mov_b32_e32 v3, 0
	s_and_not1_b32 s2, s2, exec_lo
	s_and_b32 s23, vcc_lo, exec_lo
	s_delay_alu instid0(SALU_CYCLE_1)
	s_or_b32 s2, s2, s23
	s_or_b32 exec_lo, exec_lo, s22
	s_and_saveexec_b32 s22, s2
	s_cbranch_execnz .LBB385_436
	s_branch .LBB385_437
.LBB385_452:
	s_mov_b32 s2, -1
                                        ; implicit-def: $vgpr3
	s_branch .LBB385_457
.LBB385_453:
	s_mov_b32 s2, -1
                                        ; implicit-def: $vgpr3
.LBB385_454:
	s_delay_alu instid0(SALU_CYCLE_1)
	s_and_b32 vcc_lo, exec_lo, s2
	s_cbranch_vccz .LBB385_456
; %bb.455:
	global_load_u8 v3, v[1:2], off
	s_waitcnt vmcnt(0)
	v_lshlrev_b32_e32 v3, 24, v3
	s_delay_alu instid0(VALU_DEP_1) | instskip(NEXT) | instid1(VALU_DEP_1)
	v_and_b32_e32 v4, 0x7f000000, v3
	v_clz_i32_u32_e32 v6, v4
	v_add_nc_u32_e32 v8, 0x1000000, v4
	v_cmp_ne_u32_e32 vcc_lo, 0, v4
	s_delay_alu instid0(VALU_DEP_3) | instskip(NEXT) | instid1(VALU_DEP_1)
	v_min_u32_e32 v6, 32, v6
	v_sub_nc_u32_e64 v6, v6, 4 clamp
	s_delay_alu instid0(VALU_DEP_1) | instskip(SKIP_1) | instid1(VALU_DEP_2)
	v_lshlrev_b32_e32 v7, v6, v4
	v_lshlrev_b32_e32 v6, 23, v6
	v_lshrrev_b32_e32 v7, 4, v7
	s_delay_alu instid0(VALU_DEP_1) | instskip(SKIP_1) | instid1(VALU_DEP_2)
	v_sub_nc_u32_e32 v6, v7, v6
	v_ashrrev_i32_e32 v7, 8, v8
	v_add_nc_u32_e32 v6, 0x3c000000, v6
	s_delay_alu instid0(VALU_DEP_1) | instskip(NEXT) | instid1(VALU_DEP_1)
	v_and_or_b32 v6, 0x7f800000, v7, v6
	v_cndmask_b32_e32 v4, 0, v6, vcc_lo
	s_delay_alu instid0(VALU_DEP_1) | instskip(NEXT) | instid1(VALU_DEP_1)
	v_and_or_b32 v3, 0x80000000, v3, v4
	v_cvt_i32_f32_e32 v3, v3
.LBB385_456:
	s_mov_b32 s2, 0
.LBB385_457:
	s_delay_alu instid0(SALU_CYCLE_1)
	s_and_not1_b32 vcc_lo, exec_lo, s2
	s_cbranch_vccnz .LBB385_459
; %bb.458:
	global_load_u8 v3, v[1:2], off
	s_waitcnt vmcnt(0)
	v_lshlrev_b32_e32 v4, 25, v3
	v_lshlrev_b16 v3, 8, v3
	s_delay_alu instid0(VALU_DEP_2) | instskip(NEXT) | instid1(VALU_DEP_2)
	v_lshrrev_b32_e32 v6, 4, v4
	v_and_or_b32 v7, 0x7f00, v3, 0.5
	v_cmp_gt_u32_e32 vcc_lo, 0x8000000, v4
	v_bfe_i32 v3, v3, 0, 16
	s_delay_alu instid0(VALU_DEP_4) | instskip(NEXT) | instid1(VALU_DEP_1)
	v_or_b32_e32 v6, 0x70000000, v6
	v_dual_add_f32 v7, -0.5, v7 :: v_dual_mul_f32 v6, 0x7800000, v6
	s_delay_alu instid0(VALU_DEP_1) | instskip(NEXT) | instid1(VALU_DEP_1)
	v_cndmask_b32_e32 v4, v6, v7, vcc_lo
	v_and_or_b32 v3, 0x80000000, v3, v4
	s_delay_alu instid0(VALU_DEP_1)
	v_cvt_i32_f32_e32 v3, v3
.LBB385_459:
	s_mov_b32 s22, 0
	s_mov_b32 s2, -1
.LBB385_460:
	s_and_not1_b32 vcc_lo, exec_lo, s22
	s_cbranch_vccnz .LBB385_473
; %bb.461:
	v_cmp_gt_i16_e64 s22, s31, 14
	s_delay_alu instid0(VALU_DEP_1)
	s_and_b32 vcc_lo, exec_lo, s22
	s_cbranch_vccz .LBB385_464
; %bb.462:
	v_cmp_eq_u16_e64 s3, s31, 15
	s_delay_alu instid0(VALU_DEP_1)
	s_and_b32 vcc_lo, exec_lo, s3
	s_cbranch_vccz .LBB385_467
; %bb.463:
	global_load_u16 v3, v[1:2], off
	s_mov_b32 s2, -1
	s_mov_b32 s3, 0
	s_waitcnt vmcnt(0)
	v_lshlrev_b32_e32 v3, 16, v3
	s_delay_alu instid0(VALU_DEP_1)
	v_cvt_i32_f32_e32 v3, v3
	s_branch .LBB385_468
.LBB385_464:
	s_mov_b32 s22, -1
                                        ; implicit-def: $vgpr3
	s_branch .LBB385_469
.LBB385_465:
	s_or_saveexec_b32 s22, s22
	v_mov_b32_e32 v3, s23
	s_xor_b32 exec_lo, exec_lo, s22
	s_cbranch_execz .LBB385_446
.LBB385_466:
	v_cmp_ne_u16_e32 vcc_lo, 0, v4
	v_mov_b32_e32 v3, 0
	s_and_not1_b32 s2, s2, exec_lo
	s_and_b32 s23, vcc_lo, exec_lo
	s_delay_alu instid0(SALU_CYCLE_1)
	s_or_b32 s2, s2, s23
	s_or_b32 exec_lo, exec_lo, s22
	s_and_saveexec_b32 s22, s2
	s_cbranch_execnz .LBB385_447
	s_branch .LBB385_448
.LBB385_467:
	s_mov_b32 s3, -1
                                        ; implicit-def: $vgpr3
.LBB385_468:
	s_mov_b32 s22, 0
.LBB385_469:
	s_delay_alu instid0(SALU_CYCLE_1)
	s_and_b32 vcc_lo, exec_lo, s22
	s_cbranch_vccz .LBB385_473
; %bb.470:
	v_cmp_eq_u16_e64 s3, s31, 11
	s_delay_alu instid0(VALU_DEP_1)
	s_and_b32 vcc_lo, exec_lo, s3
	s_cbranch_vccz .LBB385_472
; %bb.471:
	global_load_u8 v3, v[1:2], off
	s_mov_b32 s3, 0
	s_mov_b32 s2, -1
	s_waitcnt vmcnt(0)
	v_cmp_ne_u16_e32 vcc_lo, 0, v3
	v_cndmask_b32_e64 v3, 0, 1, vcc_lo
	s_branch .LBB385_473
.LBB385_472:
	s_mov_b32 s3, -1
                                        ; implicit-def: $vgpr3
.LBB385_473:
	s_branch .LBB385_282
.LBB385_474:
	v_cmp_lt_i16_e64 s2, s31, 5
	s_delay_alu instid0(VALU_DEP_1)
	s_and_b32 vcc_lo, exec_lo, s2
	s_cbranch_vccnz .LBB385_479
; %bb.475:
	v_cmp_lt_i16_e64 s2, s31, 8
	s_delay_alu instid0(VALU_DEP_1)
	s_and_b32 vcc_lo, exec_lo, s2
	s_cbranch_vccnz .LBB385_480
; %bb.476:
	;; [unrolled: 5-line block ×3, first 2 shown]
	v_cmp_gt_i16_e64 s2, s31, 9
	s_delay_alu instid0(VALU_DEP_1)
	s_and_b32 vcc_lo, exec_lo, s2
	s_cbranch_vccz .LBB385_482
; %bb.478:
	global_load_b64 v[3:4], v[1:2], off
	s_mov_b32 s2, 0
	s_waitcnt vmcnt(0)
	v_cvt_i32_f64_e32 v3, v[3:4]
	s_branch .LBB385_483
.LBB385_479:
	s_mov_b32 s2, -1
                                        ; implicit-def: $vgpr3
	s_branch .LBB385_501
.LBB385_480:
	s_mov_b32 s2, -1
                                        ; implicit-def: $vgpr3
	s_branch .LBB385_489
.LBB385_481:
	s_mov_b32 s2, -1
                                        ; implicit-def: $vgpr3
	s_branch .LBB385_486
.LBB385_482:
	s_mov_b32 s2, -1
                                        ; implicit-def: $vgpr3
.LBB385_483:
	s_delay_alu instid0(SALU_CYCLE_1)
	s_and_not1_b32 vcc_lo, exec_lo, s2
	s_cbranch_vccnz .LBB385_485
; %bb.484:
	global_load_b32 v3, v[1:2], off
	s_waitcnt vmcnt(0)
	v_cvt_i32_f32_e32 v3, v3
.LBB385_485:
	s_mov_b32 s2, 0
.LBB385_486:
	s_delay_alu instid0(SALU_CYCLE_1)
	s_and_not1_b32 vcc_lo, exec_lo, s2
	s_cbranch_vccnz .LBB385_488
; %bb.487:
	global_load_b32 v3, v[1:2], off
	s_waitcnt vmcnt(0)
	v_cvt_i16_f16_e32 v3, v3
.LBB385_488:
	s_mov_b32 s2, 0
.LBB385_489:
	s_delay_alu instid0(SALU_CYCLE_1)
	s_and_not1_b32 vcc_lo, exec_lo, s2
	s_cbranch_vccnz .LBB385_500
; %bb.490:
	v_cmp_lt_i16_e64 s2, s31, 6
	s_delay_alu instid0(VALU_DEP_1)
	s_and_b32 vcc_lo, exec_lo, s2
	s_cbranch_vccnz .LBB385_493
; %bb.491:
	v_cmp_gt_i16_e64 s2, s31, 6
	s_delay_alu instid0(VALU_DEP_1)
	s_and_b32 vcc_lo, exec_lo, s2
	s_cbranch_vccz .LBB385_494
; %bb.492:
	global_load_b64 v[3:4], v[1:2], off
	s_mov_b32 s2, 0
	s_waitcnt vmcnt(0)
	v_cvt_i32_f64_e32 v3, v[3:4]
	s_branch .LBB385_495
.LBB385_493:
	s_mov_b32 s2, -1
                                        ; implicit-def: $vgpr3
	s_branch .LBB385_498
.LBB385_494:
	s_mov_b32 s2, -1
                                        ; implicit-def: $vgpr3
.LBB385_495:
	s_delay_alu instid0(SALU_CYCLE_1)
	s_and_not1_b32 vcc_lo, exec_lo, s2
	s_cbranch_vccnz .LBB385_497
; %bb.496:
	global_load_b32 v3, v[1:2], off
	s_waitcnt vmcnt(0)
	v_cvt_i32_f32_e32 v3, v3
.LBB385_497:
	s_mov_b32 s2, 0
.LBB385_498:
	s_delay_alu instid0(SALU_CYCLE_1)
	s_and_not1_b32 vcc_lo, exec_lo, s2
	s_cbranch_vccnz .LBB385_500
; %bb.499:
	global_load_u16 v3, v[1:2], off
	s_waitcnt vmcnt(0)
	v_cvt_i16_f16_e32 v3, v3
.LBB385_500:
	s_mov_b32 s2, 0
.LBB385_501:
	s_delay_alu instid0(SALU_CYCLE_1)
	s_and_not1_b32 vcc_lo, exec_lo, s2
	s_cbranch_vccnz .LBB385_521
; %bb.502:
	v_cmp_lt_i16_e64 s2, s31, 2
	s_delay_alu instid0(VALU_DEP_1)
	s_and_b32 vcc_lo, exec_lo, s2
	s_cbranch_vccnz .LBB385_506
; %bb.503:
	v_cmp_lt_i16_e64 s2, s31, 3
	s_delay_alu instid0(VALU_DEP_1)
	s_and_b32 vcc_lo, exec_lo, s2
	s_cbranch_vccnz .LBB385_507
; %bb.504:
	v_cmp_gt_i16_e64 s2, s31, 3
	s_delay_alu instid0(VALU_DEP_1)
	s_and_b32 vcc_lo, exec_lo, s2
	s_cbranch_vccz .LBB385_508
; %bb.505:
	global_load_b64 v[3:4], v[1:2], off
	s_mov_b32 s2, 0
	s_branch .LBB385_509
.LBB385_506:
	s_mov_b32 s2, -1
                                        ; implicit-def: $vgpr3
	s_branch .LBB385_515
.LBB385_507:
	s_mov_b32 s2, -1
                                        ; implicit-def: $vgpr3
	s_branch .LBB385_512
.LBB385_508:
	s_mov_b32 s2, -1
                                        ; implicit-def: $vgpr3
.LBB385_509:
	s_delay_alu instid0(SALU_CYCLE_1)
	s_and_not1_b32 vcc_lo, exec_lo, s2
	s_cbranch_vccnz .LBB385_511
; %bb.510:
	global_load_b32 v3, v[1:2], off
.LBB385_511:
	s_mov_b32 s2, 0
.LBB385_512:
	s_delay_alu instid0(SALU_CYCLE_1)
	s_and_not1_b32 vcc_lo, exec_lo, s2
	s_cbranch_vccnz .LBB385_514
; %bb.513:
	global_load_u16 v3, v[1:2], off
.LBB385_514:
	s_mov_b32 s2, 0
.LBB385_515:
	s_delay_alu instid0(SALU_CYCLE_1)
	s_and_not1_b32 vcc_lo, exec_lo, s2
	s_cbranch_vccnz .LBB385_521
; %bb.516:
	v_cmp_gt_i16_e64 s2, s31, 0
	s_delay_alu instid0(VALU_DEP_1)
	s_and_b32 vcc_lo, exec_lo, s2
	s_mov_b32 s2, 0
	s_cbranch_vccz .LBB385_518
; %bb.517:
	global_load_i8 v3, v[1:2], off
	s_branch .LBB385_519
.LBB385_518:
	s_mov_b32 s2, -1
                                        ; implicit-def: $vgpr3
.LBB385_519:
	s_delay_alu instid0(SALU_CYCLE_1)
	s_and_not1_b32 vcc_lo, exec_lo, s2
	s_cbranch_vccnz .LBB385_521
; %bb.520:
	global_load_u8 v3, v[1:2], off
.LBB385_521:
	s_branch .LBB385_283
.LBB385_522:
	s_mov_b32 s22, 0
	s_mov_b32 s2, s37
.LBB385_523:
                                        ; implicit-def: $vgpr5
.LBB385_524:
	s_and_not1_b32 s23, s37, exec_lo
	s_and_b32 s2, s2, exec_lo
	s_and_not1_b32 s40, s38, exec_lo
	s_and_b32 s3, s3, exec_lo
	s_or_b32 s41, s23, s2
	s_or_b32 s40, s40, s3
	s_or_not1_b32 s2, s22, exec_lo
.LBB385_525:
	s_or_b32 exec_lo, exec_lo, s42
	s_mov_b32 s3, 0
	s_mov_b32 s23, 0
	;; [unrolled: 1-line block ×3, first 2 shown]
                                        ; implicit-def: $vgpr1_vgpr2
                                        ; implicit-def: $vgpr0
                                        ; implicit-def: $vgpr3
	s_and_saveexec_b32 s42, s2
	s_cbranch_execz .LBB385_889
; %bb.526:
	s_mov_b32 s45, -1
	s_mov_b32 s22, s40
	s_mov_b32 s23, s41
	s_mov_b32 s43, exec_lo
	v_cmpx_gt_i32_e64 s34, v5
	s_cbranch_execz .LBB385_794
; %bb.527:
	s_and_not1_b32 vcc_lo, exec_lo, s27
	s_cbranch_vccnz .LBB385_532
; %bb.528:
	v_dual_mov_b32 v0, 0 :: v_dual_mov_b32 v1, 0
	s_and_not1_b32 vcc_lo, exec_lo, s36
	s_mov_b32 s44, 0
	s_cbranch_vccnz .LBB385_537
; %bb.529:
	v_mov_b32_e32 v0, 0
	s_add_i32 s46, s35, 1
	s_cmp_eq_u32 s25, 2
	s_mov_b32 s45, 0
	s_cbranch_scc1 .LBB385_533
; %bb.530:
	v_dual_mov_b32 v1, 0 :: v_dual_mov_b32 v0, 0
	v_mov_b32_e32 v2, v5
	s_and_b32 s45, s46, 28
	s_mov_b32 s47, 0
	s_mov_b64 s[2:3], s[20:21]
	s_mov_b64 s[22:23], s[16:17]
.LBB385_531:                            ; =>This Inner Loop Header: Depth=1
	s_clause 0x1
	s_load_b256 s[48:55], s[22:23], 0x4
	s_load_b128 s[64:67], s[22:23], 0x24
	s_load_b256 s[56:63], s[2:3], 0x0
	s_add_u32 s22, s22, 48
	s_addc_u32 s23, s23, 0
	s_add_i32 s47, s47, 4
	s_add_u32 s2, s2, 32
	s_addc_u32 s3, s3, 0
	s_cmp_eq_u32 s45, s47
	s_waitcnt vmcnt(0) lgkmcnt(0)
	v_mul_hi_u32 v3, s49, v2
	s_delay_alu instid0(VALU_DEP_1) | instskip(NEXT) | instid1(VALU_DEP_1)
	v_add_nc_u32_e32 v3, v2, v3
	v_lshrrev_b32_e32 v3, s50, v3
	s_delay_alu instid0(VALU_DEP_1) | instskip(SKIP_1) | instid1(VALU_DEP_2)
	v_mul_hi_u32 v4, s52, v3
	v_mul_lo_u32 v7, v3, s48
	v_add_nc_u32_e32 v4, v3, v4
	s_delay_alu instid0(VALU_DEP_2) | instskip(NEXT) | instid1(VALU_DEP_2)
	v_sub_nc_u32_e32 v2, v2, v7
	v_lshrrev_b32_e32 v4, s53, v4
	s_delay_alu instid0(VALU_DEP_2) | instskip(SKIP_1) | instid1(VALU_DEP_3)
	v_mul_lo_u32 v7, v2, s56
	v_mul_lo_u32 v9, v2, s57
	v_mul_hi_u32 v6, s55, v4
	s_delay_alu instid0(VALU_DEP_1) | instskip(NEXT) | instid1(VALU_DEP_1)
	v_add_nc_u32_e32 v6, v4, v6
	v_lshrrev_b32_e32 v6, s64, v6
	s_delay_alu instid0(VALU_DEP_1) | instskip(SKIP_1) | instid1(VALU_DEP_2)
	v_mul_hi_u32 v8, s66, v6
	v_mul_lo_u32 v10, v6, s54
	v_add_nc_u32_e32 v2, v6, v8
	v_mul_lo_u32 v8, v4, s51
	s_delay_alu instid0(VALU_DEP_3) | instskip(NEXT) | instid1(VALU_DEP_3)
	v_sub_nc_u32_e32 v4, v4, v10
	v_lshrrev_b32_e32 v2, s67, v2
	s_delay_alu instid0(VALU_DEP_2) | instskip(SKIP_2) | instid1(VALU_DEP_4)
	v_mul_lo_u32 v10, v4, s60
	v_mul_lo_u32 v4, v4, s61
	v_sub_nc_u32_e32 v3, v3, v8
	v_mul_lo_u32 v11, v2, s65
	s_delay_alu instid0(VALU_DEP_2) | instskip(SKIP_1) | instid1(VALU_DEP_3)
	v_mul_lo_u32 v8, v3, s58
	v_mul_lo_u32 v3, v3, s59
	v_sub_nc_u32_e32 v6, v6, v11
	s_delay_alu instid0(VALU_DEP_3) | instskip(NEXT) | instid1(VALU_DEP_2)
	v_add3_u32 v0, v7, v0, v8
	v_mul_lo_u32 v11, v6, s62
	v_mul_lo_u32 v6, v6, s63
	v_add3_u32 v1, v9, v1, v3
	s_delay_alu instid0(VALU_DEP_3) | instskip(NEXT) | instid1(VALU_DEP_2)
	v_add3_u32 v0, v10, v0, v11
	v_add3_u32 v1, v4, v1, v6
	s_cbranch_scc0 .LBB385_531
	s_branch .LBB385_534
.LBB385_532:
	s_mov_b32 s44, -1
                                        ; implicit-def: $vgpr0
                                        ; implicit-def: $vgpr1
	s_branch .LBB385_537
.LBB385_533:
	v_dual_mov_b32 v2, v5 :: v_dual_mov_b32 v1, 0
.LBB385_534:
	s_and_b32 s46, s46, 3
	s_delay_alu instid0(SALU_CYCLE_1)
	s_cmp_eq_u32 s46, 0
	s_cbranch_scc1 .LBB385_537
; %bb.535:
	s_lshl_b32 s2, s45, 3
	s_mul_i32 s22, s45, 12
	s_add_u32 s2, s2, s16
	s_addc_u32 s3, s17, 0
	s_add_u32 s2, s2, 0xc4
	s_addc_u32 s3, s3, 0
	;; [unrolled: 2-line block ×3, first 2 shown]
	.p2align	6
.LBB385_536:                            ; =>This Inner Loop Header: Depth=1
	s_clause 0x1
	s_load_b64 s[48:49], s[22:23], 0x4
	s_load_b32 s45, s[22:23], 0xc
	s_load_b64 s[50:51], s[2:3], 0x0
	s_add_u32 s22, s22, 12
	s_addc_u32 s23, s23, 0
	s_add_u32 s2, s2, 8
	s_addc_u32 s3, s3, 0
	s_add_i32 s46, s46, -1
	s_delay_alu instid0(SALU_CYCLE_1) | instskip(SKIP_2) | instid1(VALU_DEP_1)
	s_cmp_lg_u32 s46, 0
	s_waitcnt vmcnt(0) lgkmcnt(0)
	v_mul_hi_u32 v3, s49, v2
	v_add_nc_u32_e32 v3, v2, v3
	s_delay_alu instid0(VALU_DEP_1) | instskip(NEXT) | instid1(VALU_DEP_1)
	v_lshrrev_b32_e32 v8, s45, v3
	v_mul_lo_u32 v3, v8, s48
	s_delay_alu instid0(VALU_DEP_1) | instskip(NEXT) | instid1(VALU_DEP_1)
	v_sub_nc_u32_e32 v2, v2, v3
	v_mad_u64_u32 v[3:4], null, v2, s50, v[0:1]
	v_mad_u64_u32 v[6:7], null, v2, s51, v[1:2]
	v_mov_b32_e32 v2, v8
	s_delay_alu instid0(VALU_DEP_2)
	v_dual_mov_b32 v0, v3 :: v_dual_mov_b32 v1, v6
	s_cbranch_scc1 .LBB385_536
.LBB385_537:
	s_and_not1_b32 vcc_lo, exec_lo, s44
	s_cbranch_vccnz .LBB385_540
; %bb.538:
	v_mul_hi_u32 v0, s9, v5
	s_and_not1_b32 vcc_lo, exec_lo, s33
	s_delay_alu instid0(VALU_DEP_1) | instskip(NEXT) | instid1(VALU_DEP_1)
	v_add_nc_u32_e32 v0, v5, v0
	v_lshrrev_b32_e32 v2, s10, v0
	s_delay_alu instid0(VALU_DEP_1) | instskip(NEXT) | instid1(VALU_DEP_1)
	v_mul_lo_u32 v0, v2, s8
	v_sub_nc_u32_e32 v1, v5, v0
	s_delay_alu instid0(VALU_DEP_1)
	v_mul_lo_u32 v0, v1, s12
	v_mul_lo_u32 v1, v1, s13
	s_cbranch_vccnz .LBB385_540
; %bb.539:
	s_waitcnt vmcnt(0)
	v_mul_hi_u32 v3, s18, v2
	s_delay_alu instid0(VALU_DEP_1) | instskip(NEXT) | instid1(VALU_DEP_1)
	v_add_nc_u32_e32 v3, v2, v3
	v_lshrrev_b32_e32 v3, s19, v3
	s_delay_alu instid0(VALU_DEP_1) | instskip(NEXT) | instid1(VALU_DEP_1)
	v_mul_lo_u32 v3, v3, s11
	v_sub_nc_u32_e32 v6, v2, v3
	s_delay_alu instid0(VALU_DEP_1) | instskip(NEXT) | instid1(VALU_DEP_1)
	v_mad_u64_u32 v[2:3], null, v6, s14, v[0:1]
	v_mad_u64_u32 v[3:4], null, v6, s15, v[1:2]
	s_delay_alu instid0(VALU_DEP_1)
	v_dual_mov_b32 v0, v2 :: v_dual_mov_b32 v1, v3
.LBB385_540:
	v_cmp_lt_i16_e64 s2, s31, 11
	s_delay_alu instid0(VALU_DEP_2) | instskip(NEXT) | instid1(VALU_DEP_1)
	v_add_co_u32 v1, s3, s6, v1
	v_add_co_ci_u32_e64 v2, null, s7, 0, s3
	s_delay_alu instid0(VALU_DEP_3)
	s_and_b32 vcc_lo, exec_lo, s2
	s_mov_b32 s2, 0
	s_cbranch_vccnz .LBB385_547
; %bb.541:
	v_cmp_gt_i16_e64 s2, s31, 25
	s_delay_alu instid0(VALU_DEP_1)
	s_and_b32 vcc_lo, exec_lo, s2
	s_cbranch_vccz .LBB385_548
; %bb.542:
	v_cmp_gt_i16_e64 s2, s31, 28
	s_delay_alu instid0(VALU_DEP_1)
	s_and_b32 vcc_lo, exec_lo, s2
	s_cbranch_vccz .LBB385_549
	;; [unrolled: 5-line block ×4, first 2 shown]
; %bb.545:
	v_cmp_eq_u16_e64 s2, s31, 46
	s_mov_b32 s22, 0
	s_delay_alu instid0(VALU_DEP_1)
	s_and_b32 vcc_lo, exec_lo, s2
	s_cbranch_vccz .LBB385_556
; %bb.546:
	global_load_b32 v3, v[1:2], off
	s_mov_b32 s2, -1
	s_mov_b32 s3, 0
	s_waitcnt vmcnt(0)
	v_lshlrev_b32_e32 v3, 16, v3
	s_delay_alu instid0(VALU_DEP_1)
	v_cvt_i32_f32_e32 v3, v3
	s_branch .LBB385_558
.LBB385_547:
	s_mov_b32 s22, -1
	s_mov_b32 s3, s40
                                        ; implicit-def: $vgpr3
	s_branch .LBB385_619
.LBB385_548:
	s_mov_b32 s22, -1
	s_mov_b32 s2, 0
	s_mov_b32 s3, s40
                                        ; implicit-def: $vgpr3
	s_branch .LBB385_585
.LBB385_549:
	s_mov_b32 s22, -1
	s_mov_b32 s2, 0
	s_mov_b32 s3, s40
                                        ; implicit-def: $vgpr3
	s_branch .LBB385_568
.LBB385_550:
	s_mov_b32 s22, -1
	s_mov_b32 s2, 0
	s_mov_b32 s3, s40
                                        ; implicit-def: $vgpr3
	s_branch .LBB385_563
.LBB385_551:
	s_or_saveexec_b32 s40, s40
                                        ; implicit-def: $sgpr41
	s_delay_alu instid0(SALU_CYCLE_1)
	s_xor_b32 exec_lo, exec_lo, s40
	s_cbranch_execz .LBB385_366
.LBB385_552:
	v_add_f32_e64 v6, 0x46000000, |v3|
	s_and_not1_b32 s23, s23, exec_lo
	s_mov_b32 s41, 0
	s_delay_alu instid0(VALU_DEP_1) | instskip(NEXT) | instid1(VALU_DEP_1)
	v_and_b32_e32 v6, 0xff, v6
	v_cmp_ne_u32_e32 vcc_lo, 0, v6
	s_and_b32 s43, vcc_lo, exec_lo
	s_delay_alu instid0(SALU_CYCLE_1)
	s_or_b32 s23, s23, s43
	s_or_b32 exec_lo, exec_lo, s40
	v_mov_b32_e32 v7, s41
	s_and_saveexec_b32 s40, s23
	s_cbranch_execnz .LBB385_367
	s_branch .LBB385_368
.LBB385_553:
	s_mov_b32 s22, -1
	s_mov_b32 s2, 0
	s_mov_b32 s3, s40
	s_branch .LBB385_557
.LBB385_554:
	s_or_saveexec_b32 s40, s40
                                        ; implicit-def: $sgpr41
	s_delay_alu instid0(SALU_CYCLE_1)
	s_xor_b32 exec_lo, exec_lo, s40
	s_cbranch_execz .LBB385_379
.LBB385_555:
	v_add_f32_e64 v6, 0x42800000, |v3|
	s_and_not1_b32 s23, s23, exec_lo
	s_mov_b32 s41, 0
	s_delay_alu instid0(VALU_DEP_1) | instskip(NEXT) | instid1(VALU_DEP_1)
	v_and_b32_e32 v6, 0xff, v6
	v_cmp_ne_u32_e32 vcc_lo, 0, v6
	s_and_b32 s43, vcc_lo, exec_lo
	s_delay_alu instid0(SALU_CYCLE_1)
	s_or_b32 s23, s23, s43
	s_or_b32 exec_lo, exec_lo, s40
	v_mov_b32_e32 v7, s41
	s_and_saveexec_b32 s40, s23
	s_cbranch_execnz .LBB385_380
	s_branch .LBB385_381
.LBB385_556:
	s_mov_b32 s3, -1
	s_mov_b32 s2, 0
.LBB385_557:
                                        ; implicit-def: $vgpr3
.LBB385_558:
	s_and_b32 vcc_lo, exec_lo, s22
	s_cbranch_vccz .LBB385_562
; %bb.559:
	v_cmp_eq_u16_e64 s3, s31, 44
	s_delay_alu instid0(VALU_DEP_1)
	s_and_b32 vcc_lo, exec_lo, s3
	s_cbranch_vccz .LBB385_561
; %bb.560:
	global_load_u8 v3, v[1:2], off
	s_mov_b32 s3, 0
	s_mov_b32 s2, -1
	s_waitcnt vmcnt(0)
	v_lshlrev_b32_e32 v4, 23, v3
	v_cmp_ne_u32_e32 vcc_lo, 0, v3
	s_delay_alu instid0(VALU_DEP_2) | instskip(NEXT) | instid1(VALU_DEP_1)
	v_cvt_i32_f32_e32 v4, v4
	v_cndmask_b32_e32 v3, 0, v4, vcc_lo
	s_branch .LBB385_562
.LBB385_561:
	s_mov_b32 s3, -1
                                        ; implicit-def: $vgpr3
.LBB385_562:
	s_mov_b32 s22, 0
.LBB385_563:
	s_delay_alu instid0(SALU_CYCLE_1)
	s_and_b32 vcc_lo, exec_lo, s22
	s_cbranch_vccz .LBB385_567
; %bb.564:
	v_cmp_eq_u16_e64 s3, s31, 29
	s_delay_alu instid0(VALU_DEP_1)
	s_and_b32 vcc_lo, exec_lo, s3
	s_cbranch_vccz .LBB385_566
; %bb.565:
	global_load_b64 v[3:4], v[1:2], off
	s_mov_b32 s2, -1
	s_mov_b32 s3, 0
	s_branch .LBB385_567
.LBB385_566:
	s_mov_b32 s3, -1
                                        ; implicit-def: $vgpr3
.LBB385_567:
	s_mov_b32 s22, 0
.LBB385_568:
	s_delay_alu instid0(SALU_CYCLE_1)
	s_and_b32 vcc_lo, exec_lo, s22
	s_cbranch_vccz .LBB385_584
; %bb.569:
	v_cmp_lt_i16_e64 s2, s31, 27
	s_delay_alu instid0(VALU_DEP_1)
	s_and_b32 vcc_lo, exec_lo, s2
	s_cbranch_vccnz .LBB385_572
; %bb.570:
	v_cmp_gt_i16_e64 s2, s31, 27
	s_delay_alu instid0(VALU_DEP_1)
	s_and_b32 vcc_lo, exec_lo, s2
	s_cbranch_vccz .LBB385_573
; %bb.571:
	global_load_b32 v3, v[1:2], off
	s_mov_b32 s2, 0
	s_branch .LBB385_574
.LBB385_572:
	s_mov_b32 s2, -1
                                        ; implicit-def: $vgpr3
	s_branch .LBB385_577
.LBB385_573:
	s_mov_b32 s2, -1
                                        ; implicit-def: $vgpr3
.LBB385_574:
	s_delay_alu instid0(SALU_CYCLE_1)
	s_and_not1_b32 vcc_lo, exec_lo, s2
	s_cbranch_vccnz .LBB385_576
; %bb.575:
	global_load_u16 v3, v[1:2], off
.LBB385_576:
	s_mov_b32 s2, 0
.LBB385_577:
	s_delay_alu instid0(SALU_CYCLE_1)
	s_and_not1_b32 vcc_lo, exec_lo, s2
	s_cbranch_vccnz .LBB385_583
; %bb.578:
	global_load_u8 v4, v[1:2], off
	s_mov_b32 s2, 0
	s_mov_b32 s22, exec_lo
                                        ; implicit-def: $sgpr23
	s_waitcnt vmcnt(0)
	v_cmpx_lt_i16_e32 0x7f, v4
	s_xor_b32 s22, exec_lo, s22
	s_cbranch_execz .LBB385_595
; %bb.579:
	v_cmp_ne_u16_e32 vcc_lo, 0x80, v4
	s_mov_b32 s23, 0
	s_and_b32 s2, vcc_lo, exec_lo
	s_or_saveexec_b32 s22, s22
	v_mov_b32_e32 v3, s23
	s_xor_b32 exec_lo, exec_lo, s22
	s_cbranch_execnz .LBB385_596
.LBB385_580:
	s_or_b32 exec_lo, exec_lo, s22
	s_and_saveexec_b32 s22, s2
	s_cbranch_execz .LBB385_582
.LBB385_581:
	v_and_b32_e32 v3, 0xffff, v4
	v_lshlrev_b32_e32 v4, 24, v4
	s_delay_alu instid0(VALU_DEP_2) | instskip(NEXT) | instid1(VALU_DEP_2)
	v_and_b32_e32 v6, 7, v3
	v_and_b32_e32 v4, 0x80000000, v4
	s_delay_alu instid0(VALU_DEP_2) | instskip(NEXT) | instid1(VALU_DEP_1)
	v_clz_i32_u32_e32 v7, v6
	v_min_u32_e32 v7, 32, v7
	s_delay_alu instid0(VALU_DEP_1) | instskip(SKIP_1) | instid1(VALU_DEP_2)
	v_subrev_nc_u32_e32 v8, 28, v7
	v_sub_nc_u32_e32 v7, 29, v7
	v_lshlrev_b32_e32 v8, v8, v3
	v_bfe_u32 v3, v3, 3, 4
	s_delay_alu instid0(VALU_DEP_1) | instskip(NEXT) | instid1(VALU_DEP_3)
	v_cmp_eq_u32_e32 vcc_lo, 0, v3
	v_dual_cndmask_b32 v3, v3, v7 :: v_dual_and_b32 v8, 7, v8
	s_delay_alu instid0(VALU_DEP_1) | instskip(NEXT) | instid1(VALU_DEP_2)
	v_cndmask_b32_e32 v6, v6, v8, vcc_lo
	v_lshl_add_u32 v3, v3, 23, 0x3b800000
	s_delay_alu instid0(VALU_DEP_2) | instskip(NEXT) | instid1(VALU_DEP_1)
	v_lshlrev_b32_e32 v6, 20, v6
	v_or3_b32 v3, v4, v3, v6
	s_delay_alu instid0(VALU_DEP_1)
	v_cvt_i32_f32_e32 v3, v3
.LBB385_582:
	s_or_b32 exec_lo, exec_lo, s22
.LBB385_583:
	s_mov_b32 s2, -1
.LBB385_584:
	s_mov_b32 s22, 0
.LBB385_585:
	s_delay_alu instid0(SALU_CYCLE_1)
	s_and_b32 vcc_lo, exec_lo, s22
	s_cbranch_vccz .LBB385_618
; %bb.586:
	v_cmp_gt_i16_e64 s22, s31, 22
	s_delay_alu instid0(VALU_DEP_1)
	s_and_b32 vcc_lo, exec_lo, s22
	s_cbranch_vccz .LBB385_594
; %bb.587:
	v_cmp_lt_i16_e64 s2, s31, 24
	s_delay_alu instid0(VALU_DEP_1)
	s_and_b32 vcc_lo, exec_lo, s2
	s_cbranch_vccnz .LBB385_597
; %bb.588:
	v_cmp_gt_i16_e64 s2, s31, 24
	s_delay_alu instid0(VALU_DEP_1)
	s_and_b32 vcc_lo, exec_lo, s2
	s_cbranch_vccz .LBB385_598
; %bb.589:
	global_load_u8 v4, v[1:2], off
	s_mov_b32 s2, 0
	s_mov_b32 s22, exec_lo
                                        ; implicit-def: $sgpr23
	s_waitcnt vmcnt(0)
	v_cmpx_lt_i16_e32 0x7f, v4
	s_xor_b32 s22, exec_lo, s22
	s_cbranch_execz .LBB385_610
; %bb.590:
	v_cmp_ne_u16_e32 vcc_lo, 0x80, v4
	s_mov_b32 s23, 0
	s_and_b32 s2, vcc_lo, exec_lo
	s_or_saveexec_b32 s22, s22
	v_mov_b32_e32 v3, s23
	s_xor_b32 exec_lo, exec_lo, s22
	s_cbranch_execnz .LBB385_611
.LBB385_591:
	s_or_b32 exec_lo, exec_lo, s22
	s_and_saveexec_b32 s22, s2
	s_cbranch_execz .LBB385_593
.LBB385_592:
	v_and_b32_e32 v3, 0xffff, v4
	v_lshlrev_b32_e32 v4, 24, v4
	s_delay_alu instid0(VALU_DEP_2) | instskip(NEXT) | instid1(VALU_DEP_2)
	v_and_b32_e32 v6, 3, v3
	v_and_b32_e32 v4, 0x80000000, v4
	s_delay_alu instid0(VALU_DEP_2) | instskip(NEXT) | instid1(VALU_DEP_1)
	v_clz_i32_u32_e32 v7, v6
	v_min_u32_e32 v7, 32, v7
	s_delay_alu instid0(VALU_DEP_1) | instskip(SKIP_1) | instid1(VALU_DEP_2)
	v_subrev_nc_u32_e32 v8, 29, v7
	v_sub_nc_u32_e32 v7, 30, v7
	v_lshlrev_b32_e32 v8, v8, v3
	v_bfe_u32 v3, v3, 2, 5
	s_delay_alu instid0(VALU_DEP_1) | instskip(NEXT) | instid1(VALU_DEP_3)
	v_cmp_eq_u32_e32 vcc_lo, 0, v3
	v_dual_cndmask_b32 v3, v3, v7 :: v_dual_and_b32 v8, 3, v8
	s_delay_alu instid0(VALU_DEP_1) | instskip(NEXT) | instid1(VALU_DEP_2)
	v_cndmask_b32_e32 v6, v6, v8, vcc_lo
	v_lshl_add_u32 v3, v3, 23, 0x37800000
	s_delay_alu instid0(VALU_DEP_2) | instskip(NEXT) | instid1(VALU_DEP_1)
	v_lshlrev_b32_e32 v6, 21, v6
	v_or3_b32 v3, v4, v3, v6
	s_delay_alu instid0(VALU_DEP_1)
	v_cvt_i32_f32_e32 v3, v3
.LBB385_593:
	s_or_b32 exec_lo, exec_lo, s22
	s_mov_b32 s2, 0
	s_branch .LBB385_599
.LBB385_594:
	s_mov_b32 s22, -1
                                        ; implicit-def: $vgpr3
	s_branch .LBB385_605
.LBB385_595:
	s_or_saveexec_b32 s22, s22
	v_mov_b32_e32 v3, s23
	s_xor_b32 exec_lo, exec_lo, s22
	s_cbranch_execz .LBB385_580
.LBB385_596:
	v_cmp_ne_u16_e32 vcc_lo, 0, v4
	v_mov_b32_e32 v3, 0
	s_and_not1_b32 s2, s2, exec_lo
	s_and_b32 s23, vcc_lo, exec_lo
	s_delay_alu instid0(SALU_CYCLE_1)
	s_or_b32 s2, s2, s23
	s_or_b32 exec_lo, exec_lo, s22
	s_and_saveexec_b32 s22, s2
	s_cbranch_execnz .LBB385_581
	s_branch .LBB385_582
.LBB385_597:
	s_mov_b32 s2, -1
                                        ; implicit-def: $vgpr3
	s_branch .LBB385_602
.LBB385_598:
	s_mov_b32 s2, -1
                                        ; implicit-def: $vgpr3
.LBB385_599:
	s_delay_alu instid0(SALU_CYCLE_1)
	s_and_b32 vcc_lo, exec_lo, s2
	s_cbranch_vccz .LBB385_601
; %bb.600:
	global_load_u8 v3, v[1:2], off
	s_waitcnt vmcnt(0)
	v_lshlrev_b32_e32 v3, 24, v3
	s_delay_alu instid0(VALU_DEP_1) | instskip(NEXT) | instid1(VALU_DEP_1)
	v_and_b32_e32 v4, 0x7f000000, v3
	v_clz_i32_u32_e32 v6, v4
	v_add_nc_u32_e32 v8, 0x1000000, v4
	v_cmp_ne_u32_e32 vcc_lo, 0, v4
	s_delay_alu instid0(VALU_DEP_3) | instskip(NEXT) | instid1(VALU_DEP_1)
	v_min_u32_e32 v6, 32, v6
	v_sub_nc_u32_e64 v6, v6, 4 clamp
	s_delay_alu instid0(VALU_DEP_1) | instskip(SKIP_1) | instid1(VALU_DEP_2)
	v_lshlrev_b32_e32 v7, v6, v4
	v_lshlrev_b32_e32 v6, 23, v6
	v_lshrrev_b32_e32 v7, 4, v7
	s_delay_alu instid0(VALU_DEP_1) | instskip(SKIP_1) | instid1(VALU_DEP_2)
	v_sub_nc_u32_e32 v6, v7, v6
	v_ashrrev_i32_e32 v7, 8, v8
	v_add_nc_u32_e32 v6, 0x3c000000, v6
	s_delay_alu instid0(VALU_DEP_1) | instskip(NEXT) | instid1(VALU_DEP_1)
	v_and_or_b32 v6, 0x7f800000, v7, v6
	v_cndmask_b32_e32 v4, 0, v6, vcc_lo
	s_delay_alu instid0(VALU_DEP_1) | instskip(NEXT) | instid1(VALU_DEP_1)
	v_and_or_b32 v3, 0x80000000, v3, v4
	v_cvt_i32_f32_e32 v3, v3
.LBB385_601:
	s_mov_b32 s2, 0
.LBB385_602:
	s_delay_alu instid0(SALU_CYCLE_1)
	s_and_not1_b32 vcc_lo, exec_lo, s2
	s_cbranch_vccnz .LBB385_604
; %bb.603:
	global_load_u8 v3, v[1:2], off
	s_waitcnt vmcnt(0)
	v_lshlrev_b32_e32 v4, 25, v3
	v_lshlrev_b16 v3, 8, v3
	s_delay_alu instid0(VALU_DEP_2) | instskip(NEXT) | instid1(VALU_DEP_2)
	v_lshrrev_b32_e32 v6, 4, v4
	v_and_or_b32 v7, 0x7f00, v3, 0.5
	v_cmp_gt_u32_e32 vcc_lo, 0x8000000, v4
	v_bfe_i32 v3, v3, 0, 16
	s_delay_alu instid0(VALU_DEP_4) | instskip(NEXT) | instid1(VALU_DEP_1)
	v_or_b32_e32 v6, 0x70000000, v6
	v_dual_add_f32 v7, -0.5, v7 :: v_dual_mul_f32 v6, 0x7800000, v6
	s_delay_alu instid0(VALU_DEP_1) | instskip(NEXT) | instid1(VALU_DEP_1)
	v_cndmask_b32_e32 v4, v6, v7, vcc_lo
	v_and_or_b32 v3, 0x80000000, v3, v4
	s_delay_alu instid0(VALU_DEP_1)
	v_cvt_i32_f32_e32 v3, v3
.LBB385_604:
	s_mov_b32 s22, 0
	s_mov_b32 s2, -1
.LBB385_605:
	s_and_not1_b32 vcc_lo, exec_lo, s22
	s_cbranch_vccnz .LBB385_618
; %bb.606:
	v_cmp_gt_i16_e64 s22, s31, 14
	s_delay_alu instid0(VALU_DEP_1)
	s_and_b32 vcc_lo, exec_lo, s22
	s_cbranch_vccz .LBB385_609
; %bb.607:
	v_cmp_eq_u16_e64 s3, s31, 15
	s_delay_alu instid0(VALU_DEP_1)
	s_and_b32 vcc_lo, exec_lo, s3
	s_cbranch_vccz .LBB385_612
; %bb.608:
	global_load_u16 v3, v[1:2], off
	s_mov_b32 s2, -1
	s_mov_b32 s3, 0
	s_waitcnt vmcnt(0)
	v_lshlrev_b32_e32 v3, 16, v3
	s_delay_alu instid0(VALU_DEP_1)
	v_cvt_i32_f32_e32 v3, v3
	s_branch .LBB385_613
.LBB385_609:
	s_mov_b32 s22, -1
                                        ; implicit-def: $vgpr3
	s_branch .LBB385_614
.LBB385_610:
	s_or_saveexec_b32 s22, s22
	v_mov_b32_e32 v3, s23
	s_xor_b32 exec_lo, exec_lo, s22
	s_cbranch_execz .LBB385_591
.LBB385_611:
	v_cmp_ne_u16_e32 vcc_lo, 0, v4
	v_mov_b32_e32 v3, 0
	s_and_not1_b32 s2, s2, exec_lo
	s_and_b32 s23, vcc_lo, exec_lo
	s_delay_alu instid0(SALU_CYCLE_1)
	s_or_b32 s2, s2, s23
	s_or_b32 exec_lo, exec_lo, s22
	s_and_saveexec_b32 s22, s2
	s_cbranch_execnz .LBB385_592
	s_branch .LBB385_593
.LBB385_612:
	s_mov_b32 s3, -1
                                        ; implicit-def: $vgpr3
.LBB385_613:
	s_mov_b32 s22, 0
.LBB385_614:
	s_delay_alu instid0(SALU_CYCLE_1)
	s_and_b32 vcc_lo, exec_lo, s22
	s_cbranch_vccz .LBB385_618
; %bb.615:
	v_cmp_eq_u16_e64 s3, s31, 11
	s_delay_alu instid0(VALU_DEP_1)
	s_and_b32 vcc_lo, exec_lo, s3
	s_cbranch_vccz .LBB385_617
; %bb.616:
	global_load_u8 v3, v[1:2], off
	s_mov_b32 s3, 0
	s_mov_b32 s2, -1
	s_waitcnt vmcnt(0)
	v_cmp_ne_u16_e32 vcc_lo, 0, v3
	v_cndmask_b32_e64 v3, 0, 1, vcc_lo
	s_branch .LBB385_618
.LBB385_617:
	s_mov_b32 s3, -1
                                        ; implicit-def: $vgpr3
.LBB385_618:
	s_mov_b32 s22, 0
.LBB385_619:
	s_delay_alu instid0(SALU_CYCLE_1)
	s_and_b32 vcc_lo, exec_lo, s22
	s_cbranch_vccz .LBB385_668
; %bb.620:
	v_cmp_lt_i16_e64 s2, s31, 5
	s_delay_alu instid0(VALU_DEP_1)
	s_and_b32 vcc_lo, exec_lo, s2
	s_cbranch_vccnz .LBB385_625
; %bb.621:
	v_cmp_lt_i16_e64 s2, s31, 8
	s_delay_alu instid0(VALU_DEP_1)
	s_and_b32 vcc_lo, exec_lo, s2
	s_cbranch_vccnz .LBB385_626
	;; [unrolled: 5-line block ×3, first 2 shown]
; %bb.623:
	v_cmp_gt_i16_e64 s2, s31, 9
	s_delay_alu instid0(VALU_DEP_1)
	s_and_b32 vcc_lo, exec_lo, s2
	s_cbranch_vccz .LBB385_628
; %bb.624:
	global_load_b64 v[3:4], v[1:2], off
	s_mov_b32 s2, 0
	s_waitcnt vmcnt(0)
	v_cvt_i32_f64_e32 v3, v[3:4]
	s_branch .LBB385_629
.LBB385_625:
	s_mov_b32 s2, -1
                                        ; implicit-def: $vgpr3
	s_branch .LBB385_647
.LBB385_626:
	s_mov_b32 s2, -1
                                        ; implicit-def: $vgpr3
	s_branch .LBB385_635
.LBB385_627:
	s_mov_b32 s2, -1
                                        ; implicit-def: $vgpr3
	s_branch .LBB385_632
.LBB385_628:
	s_mov_b32 s2, -1
                                        ; implicit-def: $vgpr3
.LBB385_629:
	s_delay_alu instid0(SALU_CYCLE_1)
	s_and_not1_b32 vcc_lo, exec_lo, s2
	s_cbranch_vccnz .LBB385_631
; %bb.630:
	global_load_b32 v3, v[1:2], off
	s_waitcnt vmcnt(0)
	v_cvt_i32_f32_e32 v3, v3
.LBB385_631:
	s_mov_b32 s2, 0
.LBB385_632:
	s_delay_alu instid0(SALU_CYCLE_1)
	s_and_not1_b32 vcc_lo, exec_lo, s2
	s_cbranch_vccnz .LBB385_634
; %bb.633:
	global_load_b32 v3, v[1:2], off
	s_waitcnt vmcnt(0)
	v_cvt_i16_f16_e32 v3, v3
.LBB385_634:
	s_mov_b32 s2, 0
.LBB385_635:
	s_delay_alu instid0(SALU_CYCLE_1)
	s_and_not1_b32 vcc_lo, exec_lo, s2
	s_cbranch_vccnz .LBB385_646
; %bb.636:
	v_cmp_lt_i16_e64 s2, s31, 6
	s_delay_alu instid0(VALU_DEP_1)
	s_and_b32 vcc_lo, exec_lo, s2
	s_cbranch_vccnz .LBB385_639
; %bb.637:
	v_cmp_gt_i16_e64 s2, s31, 6
	s_delay_alu instid0(VALU_DEP_1)
	s_and_b32 vcc_lo, exec_lo, s2
	s_cbranch_vccz .LBB385_640
; %bb.638:
	global_load_b64 v[3:4], v[1:2], off
	s_mov_b32 s2, 0
	s_waitcnt vmcnt(0)
	v_cvt_i32_f64_e32 v3, v[3:4]
	s_branch .LBB385_641
.LBB385_639:
	s_mov_b32 s2, -1
                                        ; implicit-def: $vgpr3
	s_branch .LBB385_644
.LBB385_640:
	s_mov_b32 s2, -1
                                        ; implicit-def: $vgpr3
.LBB385_641:
	s_delay_alu instid0(SALU_CYCLE_1)
	s_and_not1_b32 vcc_lo, exec_lo, s2
	s_cbranch_vccnz .LBB385_643
; %bb.642:
	global_load_b32 v3, v[1:2], off
	s_waitcnt vmcnt(0)
	v_cvt_i32_f32_e32 v3, v3
.LBB385_643:
	s_mov_b32 s2, 0
.LBB385_644:
	s_delay_alu instid0(SALU_CYCLE_1)
	s_and_not1_b32 vcc_lo, exec_lo, s2
	s_cbranch_vccnz .LBB385_646
; %bb.645:
	global_load_u16 v3, v[1:2], off
	s_waitcnt vmcnt(0)
	v_cvt_i16_f16_e32 v3, v3
.LBB385_646:
	s_mov_b32 s2, 0
.LBB385_647:
	s_delay_alu instid0(SALU_CYCLE_1)
	s_and_not1_b32 vcc_lo, exec_lo, s2
	s_cbranch_vccnz .LBB385_667
; %bb.648:
	v_cmp_lt_i16_e64 s2, s31, 2
	s_delay_alu instid0(VALU_DEP_1)
	s_and_b32 vcc_lo, exec_lo, s2
	s_cbranch_vccnz .LBB385_652
; %bb.649:
	v_cmp_lt_i16_e64 s2, s31, 3
	s_delay_alu instid0(VALU_DEP_1)
	s_and_b32 vcc_lo, exec_lo, s2
	s_cbranch_vccnz .LBB385_653
; %bb.650:
	v_cmp_gt_i16_e64 s2, s31, 3
	s_delay_alu instid0(VALU_DEP_1)
	s_and_b32 vcc_lo, exec_lo, s2
	s_cbranch_vccz .LBB385_654
; %bb.651:
	global_load_b64 v[3:4], v[1:2], off
	s_mov_b32 s2, 0
	s_branch .LBB385_655
.LBB385_652:
	s_mov_b32 s2, -1
                                        ; implicit-def: $vgpr3
	s_branch .LBB385_661
.LBB385_653:
	s_mov_b32 s2, -1
                                        ; implicit-def: $vgpr3
	s_branch .LBB385_658
.LBB385_654:
	s_mov_b32 s2, -1
                                        ; implicit-def: $vgpr3
.LBB385_655:
	s_delay_alu instid0(SALU_CYCLE_1)
	s_and_not1_b32 vcc_lo, exec_lo, s2
	s_cbranch_vccnz .LBB385_657
; %bb.656:
	global_load_b32 v3, v[1:2], off
.LBB385_657:
	s_mov_b32 s2, 0
.LBB385_658:
	s_delay_alu instid0(SALU_CYCLE_1)
	s_and_not1_b32 vcc_lo, exec_lo, s2
	s_cbranch_vccnz .LBB385_660
; %bb.659:
	global_load_u16 v3, v[1:2], off
.LBB385_660:
	s_mov_b32 s2, 0
.LBB385_661:
	s_delay_alu instid0(SALU_CYCLE_1)
	s_and_not1_b32 vcc_lo, exec_lo, s2
	s_cbranch_vccnz .LBB385_667
; %bb.662:
	v_cmp_gt_i16_e64 s2, s31, 0
	s_delay_alu instid0(VALU_DEP_1)
	s_and_b32 vcc_lo, exec_lo, s2
	s_mov_b32 s2, 0
	s_cbranch_vccz .LBB385_664
; %bb.663:
	global_load_i8 v3, v[1:2], off
	s_branch .LBB385_665
.LBB385_664:
	s_mov_b32 s2, -1
                                        ; implicit-def: $vgpr3
.LBB385_665:
	s_delay_alu instid0(SALU_CYCLE_1)
	s_and_not1_b32 vcc_lo, exec_lo, s2
	s_cbranch_vccnz .LBB385_667
; %bb.666:
	global_load_u8 v3, v[1:2], off
.LBB385_667:
	s_mov_b32 s2, -1
.LBB385_668:
	s_delay_alu instid0(SALU_CYCLE_1)
	s_and_not1_b32 vcc_lo, exec_lo, s2
	s_cbranch_vccnz .LBB385_676
; %bb.669:
	s_waitcnt vmcnt(0)
	v_and_b32_e64 v4, 0xff, s30
	v_add_co_u32 v0, s2, s4, v0
	s_delay_alu instid0(VALU_DEP_3) | instskip(SKIP_1) | instid1(VALU_DEP_4)
	v_max_i16 v2, v3, s29
	v_add_co_ci_u32_e64 v1, null, s5, 0, s2
	v_cmp_gt_i16_e32 vcc_lo, 11, v4
	s_mov_b32 s22, 0
	s_mov_b32 s23, -1
	s_mov_b32 s2, s41
	s_cbranch_vccnz .LBB385_677
; %bb.670:
	v_cmp_lt_i16_e32 vcc_lo, 25, v4
	s_cbranch_vccz .LBB385_718
; %bb.671:
	v_cmp_lt_i16_e32 vcc_lo, 28, v4
	s_cbranch_vccz .LBB385_719
	;; [unrolled: 3-line block ×4, first 2 shown]
; %bb.674:
	v_cmp_eq_u16_e32 vcc_lo, 46, v4
	s_mov_b32 s23, 0
	s_mov_b32 s2, -1
	s_cbranch_vccz .LBB385_722
; %bb.675:
	v_bfe_i32 v3, v2, 0, 16
	s_mov_b32 s22, -1
	s_mov_b32 s2, 0
	s_delay_alu instid0(VALU_DEP_1) | instskip(NEXT) | instid1(VALU_DEP_1)
	v_cvt_f32_i32_e32 v3, v3
	v_bfe_u32 v6, v3, 16, 1
	s_delay_alu instid0(VALU_DEP_1) | instskip(NEXT) | instid1(VALU_DEP_1)
	v_add3_u32 v3, v3, v6, 0x7fff
	v_lshrrev_b32_e32 v3, 16, v3
	global_store_b32 v[0:1], v3, off
	s_branch .LBB385_722
.LBB385_676:
	s_mov_b32 s44, 0
	s_mov_b32 s2, s41
	s_branch .LBB385_717
.LBB385_677:
	s_and_b32 vcc_lo, exec_lo, s23
	s_cbranch_vccz .LBB385_791
; %bb.678:
	v_cmp_gt_i16_e32 vcc_lo, 5, v4
	s_mov_b32 s22, -1
	s_cbranch_vccnz .LBB385_699
; %bb.679:
	v_cmp_gt_i16_e32 vcc_lo, 8, v4
	s_cbranch_vccnz .LBB385_689
; %bb.680:
	v_cmp_gt_i16_e32 vcc_lo, 9, v4
	s_cbranch_vccnz .LBB385_686
; %bb.681:
	v_cmp_lt_i16_e32 vcc_lo, 9, v4
	s_cbranch_vccz .LBB385_683
; %bb.682:
	v_bfe_i32 v3, v2, 0, 16
	v_mov_b32_e32 v8, 0
	s_mov_b32 s22, 0
	s_delay_alu instid0(VALU_DEP_2) | instskip(NEXT) | instid1(VALU_DEP_2)
	v_cvt_f64_i32_e32 v[6:7], v3
	v_mov_b32_e32 v9, v8
	global_store_b128 v[0:1], v[6:9], off
.LBB385_683:
	s_and_not1_b32 vcc_lo, exec_lo, s22
	s_cbranch_vccnz .LBB385_685
; %bb.684:
	v_bfe_i32 v3, v2, 0, 16
	v_mov_b32_e32 v7, 0
	s_delay_alu instid0(VALU_DEP_2)
	v_cvt_f32_i32_e32 v6, v3
	global_store_b64 v[0:1], v[6:7], off
.LBB385_685:
	s_mov_b32 s22, 0
.LBB385_686:
	s_delay_alu instid0(SALU_CYCLE_1)
	s_and_not1_b32 vcc_lo, exec_lo, s22
	s_cbranch_vccnz .LBB385_688
; %bb.687:
	v_cvt_f16_i16_e32 v3, v2
	s_delay_alu instid0(VALU_DEP_1)
	v_and_b32_e32 v3, 0xffff, v3
	global_store_b32 v[0:1], v3, off
.LBB385_688:
	s_mov_b32 s22, 0
.LBB385_689:
	s_delay_alu instid0(SALU_CYCLE_1)
	s_and_not1_b32 vcc_lo, exec_lo, s22
	s_cbranch_vccnz .LBB385_698
; %bb.690:
	v_cmp_gt_i16_e32 vcc_lo, 6, v4
	s_mov_b32 s22, -1
	s_cbranch_vccnz .LBB385_696
; %bb.691:
	v_cmp_lt_i16_e32 vcc_lo, 6, v4
	s_cbranch_vccz .LBB385_693
; %bb.692:
	v_bfe_i32 v3, v2, 0, 16
	s_mov_b32 s22, 0
	s_delay_alu instid0(VALU_DEP_1)
	v_cvt_f64_i32_e32 v[6:7], v3
	global_store_b64 v[0:1], v[6:7], off
.LBB385_693:
	s_and_not1_b32 vcc_lo, exec_lo, s22
	s_cbranch_vccnz .LBB385_695
; %bb.694:
	v_bfe_i32 v3, v2, 0, 16
	s_delay_alu instid0(VALU_DEP_1)
	v_cvt_f32_i32_e32 v3, v3
	global_store_b32 v[0:1], v3, off
.LBB385_695:
	s_mov_b32 s22, 0
.LBB385_696:
	s_delay_alu instid0(SALU_CYCLE_1)
	s_and_not1_b32 vcc_lo, exec_lo, s22
	s_cbranch_vccnz .LBB385_698
; %bb.697:
	v_cvt_f16_i16_e32 v3, v2
	global_store_b16 v[0:1], v3, off
.LBB385_698:
	s_mov_b32 s22, 0
.LBB385_699:
	s_delay_alu instid0(SALU_CYCLE_1)
	s_and_not1_b32 vcc_lo, exec_lo, s22
	s_cbranch_vccnz .LBB385_715
; %bb.700:
	v_cmp_gt_i16_e32 vcc_lo, 2, v4
	s_mov_b32 s22, -1
	s_cbranch_vccnz .LBB385_710
; %bb.701:
	v_cmp_gt_i16_e32 vcc_lo, 3, v4
	s_cbranch_vccnz .LBB385_707
; %bb.702:
	v_cmp_lt_i16_e32 vcc_lo, 3, v4
	s_cbranch_vccz .LBB385_704
; %bb.703:
	v_bfe_i32 v6, v2, 0, 16
	s_mov_b32 s22, 0
	s_delay_alu instid0(VALU_DEP_1)
	v_ashrrev_i32_e32 v7, 31, v6
	global_store_b64 v[0:1], v[6:7], off
.LBB385_704:
	s_and_not1_b32 vcc_lo, exec_lo, s22
	s_cbranch_vccnz .LBB385_706
; %bb.705:
	v_bfe_i32 v3, v2, 0, 16
	global_store_b32 v[0:1], v3, off
.LBB385_706:
	s_mov_b32 s22, 0
.LBB385_707:
	s_delay_alu instid0(SALU_CYCLE_1)
	s_and_not1_b32 vcc_lo, exec_lo, s22
	s_cbranch_vccnz .LBB385_709
; %bb.708:
	global_store_b16 v[0:1], v2, off
.LBB385_709:
	s_mov_b32 s22, 0
.LBB385_710:
	s_delay_alu instid0(SALU_CYCLE_1)
	s_and_not1_b32 vcc_lo, exec_lo, s22
	s_cbranch_vccnz .LBB385_715
; %bb.711:
	v_cmp_lt_i16_e32 vcc_lo, 0, v4
	s_mov_b32 s22, -1
	s_cbranch_vccz .LBB385_713
; %bb.712:
	s_mov_b32 s22, 0
	global_store_b8 v[0:1], v2, off
.LBB385_713:
	s_and_not1_b32 vcc_lo, exec_lo, s22
	s_cbranch_vccnz .LBB385_715
; %bb.714:
	global_store_b8 v[0:1], v2, off
.LBB385_715:
	s_branch .LBB385_792
.LBB385_716:
	s_mov_b32 s44, 0
.LBB385_717:
                                        ; implicit-def: $vgpr5
	s_branch .LBB385_793
.LBB385_718:
	s_mov_b32 s2, s41
	s_branch .LBB385_749
.LBB385_719:
	s_mov_b32 s2, s41
	s_branch .LBB385_732
.LBB385_720:
	s_mov_b32 s2, s41
	s_branch .LBB385_728
.LBB385_721:
	s_mov_b32 s2, s41
.LBB385_722:
	s_and_b32 vcc_lo, exec_lo, s23
	s_cbranch_vccz .LBB385_727
; %bb.723:
	v_cmp_eq_u16_e32 vcc_lo, 44, v4
	s_mov_b32 s2, -1
	s_cbranch_vccz .LBB385_727
; %bb.724:
	v_bfe_i32 v3, v2, 0, 16
	v_mov_b32_e32 v6, 0xff
	s_mov_b32 s22, exec_lo
	s_delay_alu instid0(VALU_DEP_2) | instskip(NEXT) | instid1(VALU_DEP_1)
	v_cvt_f32_i32_e32 v3, v3
	v_bfe_u32 v7, v3, 23, 8
	s_delay_alu instid0(VALU_DEP_1)
	v_cmpx_ne_u32_e32 0xff, v7
; %bb.725:
	v_and_b32_e32 v6, 0x400000, v3
	v_and_or_b32 v7, 0x3fffff, v3, v7
	v_lshrrev_b32_e32 v3, 23, v3
	s_delay_alu instid0(VALU_DEP_3) | instskip(NEXT) | instid1(VALU_DEP_3)
	v_cmp_ne_u32_e32 vcc_lo, 0, v6
	v_cmp_ne_u32_e64 s2, 0, v7
	s_delay_alu instid0(VALU_DEP_1) | instskip(NEXT) | instid1(SALU_CYCLE_1)
	s_and_b32 s2, vcc_lo, s2
	v_cndmask_b32_e64 v6, 0, 1, s2
	s_delay_alu instid0(VALU_DEP_1)
	v_add_nc_u32_e32 v6, v3, v6
; %bb.726:
	s_or_b32 exec_lo, exec_lo, s22
	s_mov_b32 s22, -1
	s_mov_b32 s2, 0
	global_store_b8 v[0:1], v6, off
.LBB385_727:
	s_mov_b32 s23, 0
.LBB385_728:
	s_delay_alu instid0(SALU_CYCLE_1)
	s_and_b32 vcc_lo, exec_lo, s23
	s_cbranch_vccz .LBB385_731
; %bb.729:
	v_cmp_eq_u16_e32 vcc_lo, 29, v4
	s_mov_b32 s2, -1
	s_cbranch_vccz .LBB385_731
; %bb.730:
	v_bfe_i32 v6, v2, 0, 16
	s_mov_b32 s2, 0
	s_mov_b32 s22, -1
	s_mov_b32 s23, 0
	s_delay_alu instid0(VALU_DEP_1)
	v_ashrrev_i32_e32 v7, 31, v6
	global_store_b64 v[0:1], v[6:7], off
	s_branch .LBB385_732
.LBB385_731:
	s_mov_b32 s23, 0
.LBB385_732:
	s_delay_alu instid0(SALU_CYCLE_1)
	s_and_b32 vcc_lo, exec_lo, s23
	s_cbranch_vccz .LBB385_748
; %bb.733:
	v_cmp_gt_i16_e32 vcc_lo, 27, v4
	s_mov_b32 s22, -1
	s_cbranch_vccnz .LBB385_739
; %bb.734:
	v_cmp_lt_i16_e32 vcc_lo, 27, v4
	s_cbranch_vccz .LBB385_736
; %bb.735:
	v_bfe_i32 v3, v2, 0, 16
	s_mov_b32 s22, 0
	global_store_b32 v[0:1], v3, off
.LBB385_736:
	s_and_not1_b32 vcc_lo, exec_lo, s22
	s_cbranch_vccnz .LBB385_738
; %bb.737:
	global_store_b16 v[0:1], v2, off
.LBB385_738:
	s_mov_b32 s22, 0
.LBB385_739:
	s_delay_alu instid0(SALU_CYCLE_1)
	s_and_not1_b32 vcc_lo, exec_lo, s22
	s_cbranch_vccnz .LBB385_747
; %bb.740:
	v_bfe_i32 v3, v2, 0, 16
	v_mov_b32_e32 v7, 0x80
	s_mov_b32 s22, exec_lo
	s_delay_alu instid0(VALU_DEP_2) | instskip(NEXT) | instid1(VALU_DEP_1)
	v_cvt_f32_i32_e32 v3, v3
	v_and_b32_e32 v6, 0x7fffffff, v3
	s_delay_alu instid0(VALU_DEP_1)
	v_cmpx_gt_u32_e32 0x43800000, v6
	s_cbranch_execz .LBB385_746
; %bb.741:
	v_cmp_lt_u32_e32 vcc_lo, 0x3bffffff, v6
	s_mov_b32 s23, 0
                                        ; implicit-def: $vgpr6
	s_and_saveexec_b32 s44, vcc_lo
	s_delay_alu instid0(SALU_CYCLE_1)
	s_xor_b32 s44, exec_lo, s44
	s_cbranch_execz .LBB385_820
; %bb.742:
	v_bfe_u32 v6, v3, 20, 1
	s_mov_b32 s23, exec_lo
	s_delay_alu instid0(VALU_DEP_1) | instskip(NEXT) | instid1(VALU_DEP_1)
	v_add3_u32 v6, v3, v6, 0x487ffff
	v_lshrrev_b32_e32 v6, 20, v6
	s_or_saveexec_b32 s44, s44
                                        ; implicit-def: $sgpr45
	s_delay_alu instid0(SALU_CYCLE_1)
	s_xor_b32 exec_lo, exec_lo, s44
	s_cbranch_execnz .LBB385_821
.LBB385_743:
	s_or_b32 exec_lo, exec_lo, s44
	v_mov_b32_e32 v7, s45
	s_and_saveexec_b32 s44, s23
.LBB385_744:
	v_lshrrev_b32_e32 v3, 24, v3
	s_delay_alu instid0(VALU_DEP_1)
	v_and_or_b32 v7, 0x80, v3, v6
.LBB385_745:
	s_or_b32 exec_lo, exec_lo, s44
.LBB385_746:
	s_delay_alu instid0(SALU_CYCLE_1)
	s_or_b32 exec_lo, exec_lo, s22
	global_store_b8 v[0:1], v7, off
.LBB385_747:
	s_mov_b32 s22, -1
.LBB385_748:
	s_mov_b32 s23, 0
.LBB385_749:
	s_delay_alu instid0(SALU_CYCLE_1)
	s_and_b32 vcc_lo, exec_lo, s23
	s_cbranch_vccz .LBB385_790
; %bb.750:
	v_cmp_lt_i16_e32 vcc_lo, 22, v4
	s_mov_b32 s23, -1
	s_cbranch_vccz .LBB385_782
; %bb.751:
	v_cmp_gt_i16_e32 vcc_lo, 24, v4
	s_mov_b32 s22, -1
	s_cbranch_vccnz .LBB385_771
; %bb.752:
	v_cmp_lt_i16_e32 vcc_lo, 24, v4
	s_cbranch_vccz .LBB385_760
; %bb.753:
	v_bfe_i32 v3, v2, 0, 16
	v_mov_b32_e32 v7, 0x80
	s_mov_b32 s22, exec_lo
	s_delay_alu instid0(VALU_DEP_2) | instskip(NEXT) | instid1(VALU_DEP_1)
	v_cvt_f32_i32_e32 v3, v3
	v_and_b32_e32 v6, 0x7fffffff, v3
	s_delay_alu instid0(VALU_DEP_1)
	v_cmpx_gt_u32_e32 0x47800000, v6
	s_cbranch_execz .LBB385_759
; %bb.754:
	v_cmp_lt_u32_e32 vcc_lo, 0x37ffffff, v6
	s_mov_b32 s23, 0
                                        ; implicit-def: $vgpr6
	s_and_saveexec_b32 s44, vcc_lo
	s_delay_alu instid0(SALU_CYCLE_1)
	s_xor_b32 s44, exec_lo, s44
	s_cbranch_execz .LBB385_823
; %bb.755:
	v_bfe_u32 v6, v3, 21, 1
	s_mov_b32 s23, exec_lo
	s_delay_alu instid0(VALU_DEP_1) | instskip(NEXT) | instid1(VALU_DEP_1)
	v_add3_u32 v6, v3, v6, 0x88fffff
	v_lshrrev_b32_e32 v6, 21, v6
	s_or_saveexec_b32 s44, s44
                                        ; implicit-def: $sgpr45
	s_delay_alu instid0(SALU_CYCLE_1)
	s_xor_b32 exec_lo, exec_lo, s44
	s_cbranch_execnz .LBB385_824
.LBB385_756:
	s_or_b32 exec_lo, exec_lo, s44
	v_mov_b32_e32 v7, s45
	s_and_saveexec_b32 s44, s23
.LBB385_757:
	v_lshrrev_b32_e32 v3, 24, v3
	s_delay_alu instid0(VALU_DEP_1)
	v_and_or_b32 v7, 0x80, v3, v6
.LBB385_758:
	s_or_b32 exec_lo, exec_lo, s44
.LBB385_759:
	s_delay_alu instid0(SALU_CYCLE_1)
	s_or_b32 exec_lo, exec_lo, s22
	s_mov_b32 s22, 0
	global_store_b8 v[0:1], v7, off
.LBB385_760:
	s_and_b32 vcc_lo, exec_lo, s22
	s_cbranch_vccz .LBB385_770
; %bb.761:
	v_bfe_i32 v3, v2, 0, 16
	s_mov_b32 s22, exec_lo
                                        ; implicit-def: $vgpr6
	s_delay_alu instid0(VALU_DEP_1) | instskip(NEXT) | instid1(VALU_DEP_1)
	v_cvt_f32_i32_e32 v3, v3
	v_and_b32_e32 v7, 0x7fffffff, v3
	s_delay_alu instid0(VALU_DEP_1)
	v_cmpx_gt_u32_e32 0x43f00000, v7
	s_xor_b32 s22, exec_lo, s22
	s_cbranch_execz .LBB385_767
; %bb.762:
	s_mov_b32 s23, exec_lo
                                        ; implicit-def: $vgpr6
	v_cmpx_lt_u32_e32 0x3c7fffff, v7
	s_xor_b32 s23, exec_lo, s23
; %bb.763:
	v_bfe_u32 v6, v3, 20, 1
	s_delay_alu instid0(VALU_DEP_1) | instskip(NEXT) | instid1(VALU_DEP_1)
	v_add3_u32 v6, v3, v6, 0x407ffff
	v_and_b32_e32 v7, 0xff00000, v6
	v_lshrrev_b32_e32 v6, 20, v6
	s_delay_alu instid0(VALU_DEP_2) | instskip(NEXT) | instid1(VALU_DEP_2)
	v_cmp_ne_u32_e32 vcc_lo, 0x7f00000, v7
	v_cndmask_b32_e32 v6, 0x7e, v6, vcc_lo
; %bb.764:
	s_and_not1_saveexec_b32 s23, s23
; %bb.765:
	v_add_f32_e64 v6, 0x46800000, |v3|
; %bb.766:
	s_or_b32 exec_lo, exec_lo, s23
                                        ; implicit-def: $vgpr7
.LBB385_767:
	s_and_not1_saveexec_b32 s22, s22
; %bb.768:
	v_mov_b32_e32 v6, 0x7f
	v_cmp_lt_u32_e32 vcc_lo, 0x7f800000, v7
	s_delay_alu instid0(VALU_DEP_2)
	v_cndmask_b32_e32 v6, 0x7e, v6, vcc_lo
; %bb.769:
	s_or_b32 exec_lo, exec_lo, s22
	v_lshrrev_b32_e32 v3, 24, v3
	s_delay_alu instid0(VALU_DEP_1)
	v_and_or_b32 v3, 0x80, v3, v6
	global_store_b8 v[0:1], v3, off
.LBB385_770:
	s_mov_b32 s22, 0
.LBB385_771:
	s_delay_alu instid0(SALU_CYCLE_1)
	s_and_not1_b32 vcc_lo, exec_lo, s22
	s_cbranch_vccnz .LBB385_781
; %bb.772:
	v_bfe_i32 v3, v2, 0, 16
	s_mov_b32 s22, exec_lo
                                        ; implicit-def: $vgpr6
	s_delay_alu instid0(VALU_DEP_1) | instskip(NEXT) | instid1(VALU_DEP_1)
	v_cvt_f32_i32_e32 v3, v3
	v_and_b32_e32 v7, 0x7fffffff, v3
	s_delay_alu instid0(VALU_DEP_1)
	v_cmpx_gt_u32_e32 0x47800000, v7
	s_xor_b32 s22, exec_lo, s22
	s_cbranch_execz .LBB385_778
; %bb.773:
	s_mov_b32 s23, exec_lo
                                        ; implicit-def: $vgpr6
	v_cmpx_lt_u32_e32 0x387fffff, v7
	s_xor_b32 s23, exec_lo, s23
; %bb.774:
	v_bfe_u32 v6, v3, 21, 1
	s_delay_alu instid0(VALU_DEP_1) | instskip(NEXT) | instid1(VALU_DEP_1)
	v_add3_u32 v6, v3, v6, 0x80fffff
	v_lshrrev_b32_e32 v6, 21, v6
; %bb.775:
	s_and_not1_saveexec_b32 s23, s23
; %bb.776:
	v_add_f32_e64 v6, 0x43000000, |v3|
; %bb.777:
	s_or_b32 exec_lo, exec_lo, s23
                                        ; implicit-def: $vgpr7
.LBB385_778:
	s_and_not1_saveexec_b32 s22, s22
; %bb.779:
	v_mov_b32_e32 v6, 0x7f
	v_cmp_lt_u32_e32 vcc_lo, 0x7f800000, v7
	s_delay_alu instid0(VALU_DEP_2)
	v_cndmask_b32_e32 v6, 0x7c, v6, vcc_lo
; %bb.780:
	s_or_b32 exec_lo, exec_lo, s22
	v_lshrrev_b32_e32 v3, 24, v3
	s_delay_alu instid0(VALU_DEP_1)
	v_and_or_b32 v3, 0x80, v3, v6
	global_store_b8 v[0:1], v3, off
.LBB385_781:
	s_mov_b32 s23, 0
	s_mov_b32 s22, -1
.LBB385_782:
	s_and_not1_b32 vcc_lo, exec_lo, s23
	s_cbranch_vccnz .LBB385_790
; %bb.783:
	v_cmp_lt_i16_e32 vcc_lo, 14, v4
	s_mov_b32 s23, -1
	s_cbranch_vccz .LBB385_787
; %bb.784:
	v_cmp_eq_u16_e32 vcc_lo, 15, v4
	s_mov_b32 s2, -1
	s_cbranch_vccz .LBB385_786
; %bb.785:
	v_bfe_i32 v3, v2, 0, 16
	s_mov_b32 s22, -1
	s_mov_b32 s2, 0
	s_delay_alu instid0(VALU_DEP_1) | instskip(NEXT) | instid1(VALU_DEP_1)
	v_cvt_f32_i32_e32 v3, v3
	v_bfe_u32 v6, v3, 16, 1
	s_delay_alu instid0(VALU_DEP_1)
	v_add3_u32 v3, v3, v6, 0x7fff
	global_store_d16_hi_b16 v[0:1], v3, off
.LBB385_786:
	s_mov_b32 s23, 0
.LBB385_787:
	s_delay_alu instid0(SALU_CYCLE_1)
	s_and_b32 vcc_lo, exec_lo, s23
	s_cbranch_vccz .LBB385_790
; %bb.788:
	v_cmp_eq_u16_e32 vcc_lo, 11, v4
	s_mov_b32 s2, -1
	s_cbranch_vccz .LBB385_790
; %bb.789:
	v_cmp_ne_u16_e32 vcc_lo, 0, v2
	s_mov_b32 s2, 0
	s_mov_b32 s22, -1
	v_cndmask_b32_e64 v3, 0, 1, vcc_lo
	global_store_b8 v[0:1], v3, off
.LBB385_790:
.LBB385_791:
	s_and_not1_b32 vcc_lo, exec_lo, s22
	s_cbranch_vccnz .LBB385_716
.LBB385_792:
	v_add_nc_u32_e32 v5, 0x80, v5
	s_mov_b32 s44, -1
.LBB385_793:
	s_and_not1_b32 s22, s41, exec_lo
	s_and_b32 s2, s2, exec_lo
	s_and_not1_b32 s45, s40, exec_lo
	s_and_b32 s3, s3, exec_lo
	s_or_b32 s23, s22, s2
	s_or_b32 s22, s45, s3
	s_or_not1_b32 s45, s44, exec_lo
.LBB385_794:
	s_or_b32 exec_lo, exec_lo, s43
	s_mov_b32 s2, 0
	s_mov_b32 s3, 0
	s_mov_b32 s44, 0
                                        ; implicit-def: $vgpr1_vgpr2
                                        ; implicit-def: $vgpr0
                                        ; implicit-def: $vgpr3
	s_and_saveexec_b32 s43, s45
	s_cbranch_execz .LBB385_888
; %bb.795:
	v_cmp_gt_i32_e32 vcc_lo, s34, v5
	s_mov_b32 s46, s22
	s_mov_b32 s45, 0
                                        ; implicit-def: $vgpr1_vgpr2
                                        ; implicit-def: $vgpr0
                                        ; implicit-def: $vgpr3
	s_and_saveexec_b32 s34, vcc_lo
	s_cbranch_execz .LBB385_887
; %bb.796:
	s_and_not1_b32 vcc_lo, exec_lo, s27
	s_cbranch_vccnz .LBB385_801
; %bb.797:
	v_dual_mov_b32 v0, 0 :: v_dual_mov_b32 v1, 0
	s_and_not1_b32 vcc_lo, exec_lo, s36
	s_mov_b32 s36, 0
	s_cbranch_vccnz .LBB385_806
; %bb.798:
	v_mov_b32_e32 v0, 0
	s_add_i32 s44, s35, 1
	s_cmp_eq_u32 s25, 2
	s_mov_b32 s35, 0
	s_cbranch_scc1 .LBB385_802
; %bb.799:
	v_dual_mov_b32 v1, 0 :: v_dual_mov_b32 v0, 0
	v_mov_b32_e32 v2, v5
	s_and_b32 s35, s44, 28
	s_mov_b64 s[2:3], s[16:17]
.LBB385_800:                            ; =>This Inner Loop Header: Depth=1
	s_clause 0x1
	s_load_b256 s[48:55], s[2:3], 0x4
	s_load_b128 s[64:67], s[2:3], 0x24
	s_load_b256 s[56:63], s[20:21], 0x0
	s_add_u32 s2, s2, 48
	s_addc_u32 s3, s3, 0
	s_add_i32 s45, s45, 4
	s_add_u32 s20, s20, 32
	s_addc_u32 s21, s21, 0
	s_cmp_eq_u32 s35, s45
	s_waitcnt vmcnt(0) lgkmcnt(0)
	v_mul_hi_u32 v3, s49, v2
	s_delay_alu instid0(VALU_DEP_1) | instskip(NEXT) | instid1(VALU_DEP_1)
	v_add_nc_u32_e32 v3, v2, v3
	v_lshrrev_b32_e32 v3, s50, v3
	s_delay_alu instid0(VALU_DEP_1) | instskip(SKIP_1) | instid1(VALU_DEP_2)
	v_mul_hi_u32 v4, s52, v3
	v_mul_lo_u32 v7, v3, s48
	v_add_nc_u32_e32 v4, v3, v4
	s_delay_alu instid0(VALU_DEP_2) | instskip(NEXT) | instid1(VALU_DEP_2)
	v_sub_nc_u32_e32 v2, v2, v7
	v_lshrrev_b32_e32 v4, s53, v4
	s_delay_alu instid0(VALU_DEP_2) | instskip(SKIP_1) | instid1(VALU_DEP_3)
	v_mul_lo_u32 v7, v2, s56
	v_mul_lo_u32 v9, v2, s57
	v_mul_hi_u32 v6, s55, v4
	s_delay_alu instid0(VALU_DEP_1) | instskip(NEXT) | instid1(VALU_DEP_1)
	v_add_nc_u32_e32 v6, v4, v6
	v_lshrrev_b32_e32 v6, s64, v6
	s_delay_alu instid0(VALU_DEP_1) | instskip(SKIP_1) | instid1(VALU_DEP_2)
	v_mul_hi_u32 v8, s66, v6
	v_mul_lo_u32 v10, v6, s54
	v_add_nc_u32_e32 v2, v6, v8
	v_mul_lo_u32 v8, v4, s51
	s_delay_alu instid0(VALU_DEP_3) | instskip(NEXT) | instid1(VALU_DEP_3)
	v_sub_nc_u32_e32 v4, v4, v10
	v_lshrrev_b32_e32 v2, s67, v2
	s_delay_alu instid0(VALU_DEP_2) | instskip(SKIP_2) | instid1(VALU_DEP_4)
	v_mul_lo_u32 v10, v4, s60
	v_mul_lo_u32 v4, v4, s61
	v_sub_nc_u32_e32 v3, v3, v8
	v_mul_lo_u32 v11, v2, s65
	s_delay_alu instid0(VALU_DEP_2) | instskip(SKIP_1) | instid1(VALU_DEP_3)
	v_mul_lo_u32 v8, v3, s58
	v_mul_lo_u32 v3, v3, s59
	v_sub_nc_u32_e32 v6, v6, v11
	s_delay_alu instid0(VALU_DEP_3) | instskip(NEXT) | instid1(VALU_DEP_2)
	v_add3_u32 v0, v7, v0, v8
	v_mul_lo_u32 v11, v6, s62
	v_mul_lo_u32 v6, v6, s63
	v_add3_u32 v1, v9, v1, v3
	s_delay_alu instid0(VALU_DEP_3) | instskip(NEXT) | instid1(VALU_DEP_2)
	v_add3_u32 v0, v10, v0, v11
	v_add3_u32 v1, v4, v1, v6
	s_cbranch_scc0 .LBB385_800
	s_branch .LBB385_803
.LBB385_801:
	s_mov_b32 s36, -1
                                        ; implicit-def: $vgpr0
                                        ; implicit-def: $vgpr1
	s_branch .LBB385_806
.LBB385_802:
	v_dual_mov_b32 v2, v5 :: v_dual_mov_b32 v1, 0
.LBB385_803:
	s_and_b32 s44, s44, 3
	s_delay_alu instid0(SALU_CYCLE_1)
	s_cmp_eq_u32 s44, 0
	s_cbranch_scc1 .LBB385_806
; %bb.804:
	s_lshl_b32 s2, s35, 3
	s_mul_i32 s20, s35, 12
	s_add_u32 s2, s2, s16
	s_addc_u32 s3, s17, 0
	s_add_u32 s2, s2, 0xc4
	s_addc_u32 s3, s3, 0
	;; [unrolled: 2-line block ×3, first 2 shown]
.LBB385_805:                            ; =>This Inner Loop Header: Depth=1
	s_clause 0x1
	s_load_b64 s[46:47], s[20:21], 0x4
	s_load_b32 s35, s[20:21], 0xc
	s_load_b64 s[48:49], s[2:3], 0x0
	s_add_u32 s20, s20, 12
	s_addc_u32 s21, s21, 0
	s_add_u32 s2, s2, 8
	s_addc_u32 s3, s3, 0
	s_add_i32 s44, s44, -1
	s_delay_alu instid0(SALU_CYCLE_1) | instskip(SKIP_2) | instid1(VALU_DEP_1)
	s_cmp_lg_u32 s44, 0
	s_waitcnt vmcnt(0) lgkmcnt(0)
	v_mul_hi_u32 v3, s47, v2
	v_add_nc_u32_e32 v3, v2, v3
	s_delay_alu instid0(VALU_DEP_1) | instskip(NEXT) | instid1(VALU_DEP_1)
	v_lshrrev_b32_e32 v8, s35, v3
	v_mul_lo_u32 v3, v8, s46
	s_delay_alu instid0(VALU_DEP_1) | instskip(NEXT) | instid1(VALU_DEP_1)
	v_sub_nc_u32_e32 v2, v2, v3
	v_mad_u64_u32 v[3:4], null, v2, s48, v[0:1]
	v_mad_u64_u32 v[6:7], null, v2, s49, v[1:2]
	v_mov_b32_e32 v2, v8
	s_delay_alu instid0(VALU_DEP_2)
	v_dual_mov_b32 v0, v3 :: v_dual_mov_b32 v1, v6
	s_cbranch_scc1 .LBB385_805
.LBB385_806:
	s_and_not1_b32 vcc_lo, exec_lo, s36
	s_cbranch_vccnz .LBB385_809
; %bb.807:
	v_mul_hi_u32 v0, s9, v5
	s_and_not1_b32 vcc_lo, exec_lo, s33
	s_delay_alu instid0(VALU_DEP_1) | instskip(NEXT) | instid1(VALU_DEP_1)
	v_add_nc_u32_e32 v0, v5, v0
	v_lshrrev_b32_e32 v2, s10, v0
	s_delay_alu instid0(VALU_DEP_1) | instskip(NEXT) | instid1(VALU_DEP_1)
	v_mul_lo_u32 v0, v2, s8
	v_sub_nc_u32_e32 v1, v5, v0
	s_delay_alu instid0(VALU_DEP_1)
	v_mul_lo_u32 v0, v1, s12
	v_mul_lo_u32 v1, v1, s13
	s_cbranch_vccnz .LBB385_809
; %bb.808:
	s_waitcnt vmcnt(0)
	v_mul_hi_u32 v3, s18, v2
	s_delay_alu instid0(VALU_DEP_1) | instskip(NEXT) | instid1(VALU_DEP_1)
	v_add_nc_u32_e32 v3, v2, v3
	v_lshrrev_b32_e32 v3, s19, v3
	s_delay_alu instid0(VALU_DEP_1) | instskip(NEXT) | instid1(VALU_DEP_1)
	v_mul_lo_u32 v3, v3, s11
	v_sub_nc_u32_e32 v5, v2, v3
	s_delay_alu instid0(VALU_DEP_1) | instskip(NEXT) | instid1(VALU_DEP_1)
	v_mad_u64_u32 v[2:3], null, v5, s14, v[0:1]
	v_mad_u64_u32 v[3:4], null, v5, s15, v[1:2]
	s_delay_alu instid0(VALU_DEP_1)
	v_dual_mov_b32 v0, v2 :: v_dual_mov_b32 v1, v3
.LBB385_809:
	v_cmp_lt_i16_e64 s2, s31, 11
	s_delay_alu instid0(VALU_DEP_2) | instskip(NEXT) | instid1(VALU_DEP_1)
	v_add_co_u32 v1, s3, s6, v1
	v_add_co_ci_u32_e64 v2, null, s7, 0, s3
	s_delay_alu instid0(VALU_DEP_3)
	s_and_b32 vcc_lo, exec_lo, s2
	s_mov_b32 s6, 0
	s_cbranch_vccnz .LBB385_816
; %bb.810:
	v_cmp_gt_i16_e64 s2, s31, 25
	s_mov_b32 s3, 0
	s_delay_alu instid0(VALU_DEP_1)
	s_and_b32 vcc_lo, exec_lo, s2
	s_cbranch_vccz .LBB385_817
; %bb.811:
	v_cmp_gt_i16_e64 s2, s31, 28
	s_delay_alu instid0(VALU_DEP_1)
	s_and_b32 vcc_lo, exec_lo, s2
	s_cbranch_vccz .LBB385_818
; %bb.812:
	v_cmp_gt_i16_e64 s2, s31, 43
	;; [unrolled: 5-line block ×3, first 2 shown]
	s_delay_alu instid0(VALU_DEP_1)
	s_and_b32 vcc_lo, exec_lo, s2
	s_cbranch_vccz .LBB385_822
; %bb.814:
	v_cmp_eq_u16_e64 s2, s31, 46
	s_mov_b32 s7, 0
	s_delay_alu instid0(VALU_DEP_1)
	s_and_b32 vcc_lo, exec_lo, s2
	s_cbranch_vccz .LBB385_825
; %bb.815:
	global_load_b32 v3, v[1:2], off
	s_mov_b32 s2, 0
	s_mov_b32 s6, -1
	s_waitcnt vmcnt(0)
	v_lshlrev_b32_e32 v3, 16, v3
	s_delay_alu instid0(VALU_DEP_1)
	v_cvt_i32_f32_e32 v3, v3
	s_branch .LBB385_827
.LBB385_816:
	s_mov_b32 s7, -1
	s_mov_b32 s3, 0
	s_mov_b32 s2, s22
                                        ; implicit-def: $vgpr3
	s_branch .LBB385_886
.LBB385_817:
	s_mov_b32 s7, -1
	s_mov_b32 s2, s22
                                        ; implicit-def: $vgpr3
	s_branch .LBB385_854
.LBB385_818:
	s_mov_b32 s7, -1
	s_mov_b32 s2, s22
                                        ; implicit-def: $vgpr3
	s_branch .LBB385_837
.LBB385_819:
	s_mov_b32 s7, -1
	s_mov_b32 s2, s22
                                        ; implicit-def: $vgpr3
	s_branch .LBB385_832
.LBB385_820:
	s_or_saveexec_b32 s44, s44
                                        ; implicit-def: $sgpr45
	s_delay_alu instid0(SALU_CYCLE_1)
	s_xor_b32 exec_lo, exec_lo, s44
	s_cbranch_execz .LBB385_743
.LBB385_821:
	v_add_f32_e64 v6, 0x46000000, |v3|
	s_and_not1_b32 s23, s23, exec_lo
	s_mov_b32 s45, 0
	s_delay_alu instid0(VALU_DEP_1) | instskip(NEXT) | instid1(VALU_DEP_1)
	v_and_b32_e32 v6, 0xff, v6
	v_cmp_ne_u32_e32 vcc_lo, 0, v6
	s_and_b32 s46, vcc_lo, exec_lo
	s_delay_alu instid0(SALU_CYCLE_1)
	s_or_b32 s23, s23, s46
	s_or_b32 exec_lo, exec_lo, s44
	v_mov_b32_e32 v7, s45
	s_and_saveexec_b32 s44, s23
	s_cbranch_execnz .LBB385_744
	s_branch .LBB385_745
.LBB385_822:
	s_mov_b32 s7, -1
	s_mov_b32 s2, s22
	s_branch .LBB385_826
.LBB385_823:
	s_or_saveexec_b32 s44, s44
                                        ; implicit-def: $sgpr45
	s_delay_alu instid0(SALU_CYCLE_1)
	s_xor_b32 exec_lo, exec_lo, s44
	s_cbranch_execz .LBB385_756
.LBB385_824:
	v_add_f32_e64 v6, 0x42800000, |v3|
	s_and_not1_b32 s23, s23, exec_lo
	s_mov_b32 s45, 0
	s_delay_alu instid0(VALU_DEP_1) | instskip(NEXT) | instid1(VALU_DEP_1)
	v_and_b32_e32 v6, 0xff, v6
	v_cmp_ne_u32_e32 vcc_lo, 0, v6
	s_and_b32 s46, vcc_lo, exec_lo
	s_delay_alu instid0(SALU_CYCLE_1)
	s_or_b32 s23, s23, s46
	s_or_b32 exec_lo, exec_lo, s44
	v_mov_b32_e32 v7, s45
	s_and_saveexec_b32 s44, s23
	s_cbranch_execnz .LBB385_757
	s_branch .LBB385_758
.LBB385_825:
	s_mov_b32 s2, -1
.LBB385_826:
                                        ; implicit-def: $vgpr3
.LBB385_827:
	s_and_b32 vcc_lo, exec_lo, s7
	s_cbranch_vccz .LBB385_831
; %bb.828:
	v_cmp_eq_u16_e64 s2, s31, 44
	s_delay_alu instid0(VALU_DEP_1)
	s_and_b32 vcc_lo, exec_lo, s2
	s_cbranch_vccz .LBB385_830
; %bb.829:
	global_load_u8 v3, v[1:2], off
	s_mov_b32 s2, 0
	s_mov_b32 s6, -1
	s_waitcnt vmcnt(0)
	v_lshlrev_b32_e32 v4, 23, v3
	v_cmp_ne_u32_e32 vcc_lo, 0, v3
	s_delay_alu instid0(VALU_DEP_2) | instskip(NEXT) | instid1(VALU_DEP_1)
	v_cvt_i32_f32_e32 v4, v4
	v_cndmask_b32_e32 v3, 0, v4, vcc_lo
	s_branch .LBB385_831
.LBB385_830:
	s_mov_b32 s2, -1
                                        ; implicit-def: $vgpr3
.LBB385_831:
	s_mov_b32 s7, 0
.LBB385_832:
	s_delay_alu instid0(SALU_CYCLE_1)
	s_and_b32 vcc_lo, exec_lo, s7
	s_cbranch_vccz .LBB385_836
; %bb.833:
	v_cmp_eq_u16_e64 s2, s31, 29
	s_delay_alu instid0(VALU_DEP_1)
	s_and_b32 vcc_lo, exec_lo, s2
	s_cbranch_vccz .LBB385_835
; %bb.834:
	global_load_b64 v[3:4], v[1:2], off
	s_mov_b32 s2, 0
	s_mov_b32 s6, -1
	s_branch .LBB385_836
.LBB385_835:
	s_mov_b32 s2, -1
                                        ; implicit-def: $vgpr3
.LBB385_836:
	s_mov_b32 s7, 0
.LBB385_837:
	s_delay_alu instid0(SALU_CYCLE_1)
	s_and_b32 vcc_lo, exec_lo, s7
	s_cbranch_vccz .LBB385_853
; %bb.838:
	v_cmp_lt_i16_e64 s6, s31, 27
	s_delay_alu instid0(VALU_DEP_1)
	s_and_b32 vcc_lo, exec_lo, s6
	s_cbranch_vccnz .LBB385_841
; %bb.839:
	v_cmp_gt_i16_e64 s6, s31, 27
	s_delay_alu instid0(VALU_DEP_1)
	s_and_b32 vcc_lo, exec_lo, s6
	s_cbranch_vccz .LBB385_842
; %bb.840:
	global_load_b32 v3, v[1:2], off
	s_mov_b32 s6, 0
	s_branch .LBB385_843
.LBB385_841:
	s_mov_b32 s6, -1
                                        ; implicit-def: $vgpr3
	s_branch .LBB385_846
.LBB385_842:
	s_mov_b32 s6, -1
                                        ; implicit-def: $vgpr3
.LBB385_843:
	s_delay_alu instid0(SALU_CYCLE_1)
	s_and_not1_b32 vcc_lo, exec_lo, s6
	s_cbranch_vccnz .LBB385_845
; %bb.844:
	global_load_u16 v3, v[1:2], off
.LBB385_845:
	s_mov_b32 s6, 0
.LBB385_846:
	s_delay_alu instid0(SALU_CYCLE_1)
	s_and_not1_b32 vcc_lo, exec_lo, s6
	s_cbranch_vccnz .LBB385_852
; %bb.847:
	global_load_u8 v4, v[1:2], off
	s_mov_b32 s6, 0
	s_mov_b32 s7, exec_lo
                                        ; implicit-def: $sgpr8
	s_waitcnt vmcnt(0)
	v_cmpx_lt_i16_e32 0x7f, v4
	s_xor_b32 s7, exec_lo, s7
	s_cbranch_execz .LBB385_864
; %bb.848:
	v_cmp_ne_u16_e32 vcc_lo, 0x80, v4
	s_mov_b32 s8, 0
	s_and_b32 s6, vcc_lo, exec_lo
	s_or_saveexec_b32 s7, s7
	v_mov_b32_e32 v3, s8
	s_xor_b32 exec_lo, exec_lo, s7
	s_cbranch_execnz .LBB385_865
.LBB385_849:
	s_or_b32 exec_lo, exec_lo, s7
	s_and_saveexec_b32 s7, s6
	s_cbranch_execz .LBB385_851
.LBB385_850:
	v_and_b32_e32 v3, 0xffff, v4
	s_delay_alu instid0(VALU_DEP_1) | instskip(NEXT) | instid1(VALU_DEP_1)
	v_and_b32_e32 v5, 7, v3
	v_clz_i32_u32_e32 v6, v5
	s_delay_alu instid0(VALU_DEP_1) | instskip(NEXT) | instid1(VALU_DEP_1)
	v_min_u32_e32 v6, 32, v6
	v_subrev_nc_u32_e32 v7, 28, v6
	v_sub_nc_u32_e32 v6, 29, v6
	s_delay_alu instid0(VALU_DEP_2) | instskip(SKIP_1) | instid1(VALU_DEP_2)
	v_lshlrev_b32_e32 v7, v7, v3
	v_bfe_u32 v3, v3, 3, 4
	v_and_b32_e32 v7, 7, v7
	s_delay_alu instid0(VALU_DEP_2) | instskip(SKIP_1) | instid1(VALU_DEP_1)
	v_cmp_eq_u32_e32 vcc_lo, 0, v3
	v_dual_cndmask_b32 v3, v3, v6 :: v_dual_lshlrev_b32 v4, 24, v4
	v_dual_cndmask_b32 v5, v5, v7 :: v_dual_and_b32 v4, 0x80000000, v4
	s_delay_alu instid0(VALU_DEP_2) | instskip(NEXT) | instid1(VALU_DEP_2)
	v_lshl_add_u32 v3, v3, 23, 0x3b800000
	v_lshlrev_b32_e32 v5, 20, v5
	s_delay_alu instid0(VALU_DEP_1) | instskip(NEXT) | instid1(VALU_DEP_1)
	v_or3_b32 v3, v4, v3, v5
	v_cvt_i32_f32_e32 v3, v3
.LBB385_851:
	s_or_b32 exec_lo, exec_lo, s7
.LBB385_852:
	s_mov_b32 s6, -1
.LBB385_853:
	s_mov_b32 s7, 0
.LBB385_854:
	s_delay_alu instid0(SALU_CYCLE_1)
	s_and_b32 vcc_lo, exec_lo, s7
	s_cbranch_vccz .LBB385_885
; %bb.855:
	v_cmp_gt_i16_e64 s3, s31, 22
	s_delay_alu instid0(VALU_DEP_1)
	s_and_b32 vcc_lo, exec_lo, s3
	s_cbranch_vccz .LBB385_863
; %bb.856:
	v_cmp_lt_i16_e64 s3, s31, 24
	s_delay_alu instid0(VALU_DEP_1)
	s_and_b32 vcc_lo, exec_lo, s3
	s_cbranch_vccnz .LBB385_866
; %bb.857:
	v_cmp_gt_i16_e64 s3, s31, 24
	s_delay_alu instid0(VALU_DEP_1)
	s_and_b32 vcc_lo, exec_lo, s3
	s_cbranch_vccz .LBB385_867
; %bb.858:
	global_load_u8 v4, v[1:2], off
	s_mov_b32 s3, 0
	s_mov_b32 s6, exec_lo
                                        ; implicit-def: $sgpr7
	s_waitcnt vmcnt(0)
	v_cmpx_lt_i16_e32 0x7f, v4
	s_xor_b32 s6, exec_lo, s6
	s_cbranch_execz .LBB385_879
; %bb.859:
	v_cmp_ne_u16_e32 vcc_lo, 0x80, v4
	s_mov_b32 s7, 0
	s_and_b32 s3, vcc_lo, exec_lo
	s_or_saveexec_b32 s6, s6
	v_mov_b32_e32 v3, s7
	s_xor_b32 exec_lo, exec_lo, s6
	s_cbranch_execnz .LBB385_880
.LBB385_860:
	s_or_b32 exec_lo, exec_lo, s6
	s_and_saveexec_b32 s6, s3
	s_cbranch_execz .LBB385_862
.LBB385_861:
	v_and_b32_e32 v3, 0xffff, v4
	s_delay_alu instid0(VALU_DEP_1) | instskip(NEXT) | instid1(VALU_DEP_1)
	v_and_b32_e32 v5, 3, v3
	v_clz_i32_u32_e32 v6, v5
	s_delay_alu instid0(VALU_DEP_1) | instskip(NEXT) | instid1(VALU_DEP_1)
	v_min_u32_e32 v6, 32, v6
	v_subrev_nc_u32_e32 v7, 29, v6
	v_sub_nc_u32_e32 v6, 30, v6
	s_delay_alu instid0(VALU_DEP_2) | instskip(SKIP_1) | instid1(VALU_DEP_2)
	v_lshlrev_b32_e32 v7, v7, v3
	v_bfe_u32 v3, v3, 2, 5
	v_and_b32_e32 v7, 3, v7
	s_delay_alu instid0(VALU_DEP_2) | instskip(SKIP_1) | instid1(VALU_DEP_1)
	v_cmp_eq_u32_e32 vcc_lo, 0, v3
	v_dual_cndmask_b32 v3, v3, v6 :: v_dual_lshlrev_b32 v4, 24, v4
	v_dual_cndmask_b32 v5, v5, v7 :: v_dual_and_b32 v4, 0x80000000, v4
	s_delay_alu instid0(VALU_DEP_2) | instskip(NEXT) | instid1(VALU_DEP_2)
	v_lshl_add_u32 v3, v3, 23, 0x37800000
	v_lshlrev_b32_e32 v5, 21, v5
	s_delay_alu instid0(VALU_DEP_1) | instskip(NEXT) | instid1(VALU_DEP_1)
	v_or3_b32 v3, v4, v3, v5
	v_cvt_i32_f32_e32 v3, v3
.LBB385_862:
	s_or_b32 exec_lo, exec_lo, s6
	s_mov_b32 s3, 0
	s_branch .LBB385_868
.LBB385_863:
	s_mov_b32 s3, -1
                                        ; implicit-def: $vgpr3
	s_branch .LBB385_874
.LBB385_864:
	s_or_saveexec_b32 s7, s7
	v_mov_b32_e32 v3, s8
	s_xor_b32 exec_lo, exec_lo, s7
	s_cbranch_execz .LBB385_849
.LBB385_865:
	v_cmp_ne_u16_e32 vcc_lo, 0, v4
	v_mov_b32_e32 v3, 0
	s_and_not1_b32 s6, s6, exec_lo
	s_and_b32 s8, vcc_lo, exec_lo
	s_delay_alu instid0(SALU_CYCLE_1)
	s_or_b32 s6, s6, s8
	s_or_b32 exec_lo, exec_lo, s7
	s_and_saveexec_b32 s7, s6
	s_cbranch_execnz .LBB385_850
	s_branch .LBB385_851
.LBB385_866:
	s_mov_b32 s3, -1
                                        ; implicit-def: $vgpr3
	s_branch .LBB385_871
.LBB385_867:
	s_mov_b32 s3, -1
                                        ; implicit-def: $vgpr3
.LBB385_868:
	s_delay_alu instid0(SALU_CYCLE_1)
	s_and_b32 vcc_lo, exec_lo, s3
	s_cbranch_vccz .LBB385_870
; %bb.869:
	global_load_u8 v3, v[1:2], off
	s_waitcnt vmcnt(0)
	v_lshlrev_b32_e32 v3, 24, v3
	s_delay_alu instid0(VALU_DEP_1) | instskip(NEXT) | instid1(VALU_DEP_1)
	v_and_b32_e32 v4, 0x7f000000, v3
	v_clz_i32_u32_e32 v5, v4
	v_add_nc_u32_e32 v7, 0x1000000, v4
	v_cmp_ne_u32_e32 vcc_lo, 0, v4
	s_delay_alu instid0(VALU_DEP_3) | instskip(NEXT) | instid1(VALU_DEP_1)
	v_min_u32_e32 v5, 32, v5
	v_sub_nc_u32_e64 v5, v5, 4 clamp
	s_delay_alu instid0(VALU_DEP_1) | instskip(SKIP_1) | instid1(VALU_DEP_2)
	v_lshlrev_b32_e32 v6, v5, v4
	v_lshlrev_b32_e32 v5, 23, v5
	v_lshrrev_b32_e32 v6, 4, v6
	s_delay_alu instid0(VALU_DEP_1) | instskip(SKIP_1) | instid1(VALU_DEP_2)
	v_sub_nc_u32_e32 v5, v6, v5
	v_ashrrev_i32_e32 v6, 8, v7
	v_add_nc_u32_e32 v5, 0x3c000000, v5
	s_delay_alu instid0(VALU_DEP_1) | instskip(NEXT) | instid1(VALU_DEP_1)
	v_and_or_b32 v5, 0x7f800000, v6, v5
	v_cndmask_b32_e32 v4, 0, v5, vcc_lo
	s_delay_alu instid0(VALU_DEP_1) | instskip(NEXT) | instid1(VALU_DEP_1)
	v_and_or_b32 v3, 0x80000000, v3, v4
	v_cvt_i32_f32_e32 v3, v3
.LBB385_870:
	s_mov_b32 s3, 0
.LBB385_871:
	s_delay_alu instid0(SALU_CYCLE_1)
	s_and_not1_b32 vcc_lo, exec_lo, s3
	s_cbranch_vccnz .LBB385_873
; %bb.872:
	global_load_u8 v3, v[1:2], off
	s_waitcnt vmcnt(0)
	v_lshlrev_b32_e32 v4, 25, v3
	v_lshlrev_b16 v3, 8, v3
	s_delay_alu instid0(VALU_DEP_2) | instskip(NEXT) | instid1(VALU_DEP_2)
	v_lshrrev_b32_e32 v5, 4, v4
	v_and_or_b32 v6, 0x7f00, v3, 0.5
	v_bfe_i32 v3, v3, 0, 16
	s_delay_alu instid0(VALU_DEP_3) | instskip(NEXT) | instid1(VALU_DEP_1)
	v_or_b32_e32 v5, 0x70000000, v5
	v_dual_add_f32 v6, -0.5, v6 :: v_dual_mul_f32 v5, 0x7800000, v5
	v_cmp_gt_u32_e32 vcc_lo, 0x8000000, v4
	s_delay_alu instid0(VALU_DEP_2) | instskip(NEXT) | instid1(VALU_DEP_1)
	v_cndmask_b32_e32 v4, v5, v6, vcc_lo
	v_and_or_b32 v3, 0x80000000, v3, v4
	s_delay_alu instid0(VALU_DEP_1)
	v_cvt_i32_f32_e32 v3, v3
.LBB385_873:
	s_mov_b32 s3, 0
	s_mov_b32 s6, -1
.LBB385_874:
	s_and_not1_b32 vcc_lo, exec_lo, s3
	s_mov_b32 s3, 0
	s_cbranch_vccnz .LBB385_885
; %bb.875:
	v_cmp_gt_i16_e64 s3, s31, 14
	s_delay_alu instid0(VALU_DEP_1)
	s_and_b32 vcc_lo, exec_lo, s3
	s_cbranch_vccz .LBB385_878
; %bb.876:
	v_cmp_eq_u16_e64 s2, s31, 15
	s_delay_alu instid0(VALU_DEP_1)
	s_and_b32 vcc_lo, exec_lo, s2
	s_cbranch_vccz .LBB385_881
; %bb.877:
	global_load_u16 v3, v[1:2], off
	s_mov_b32 s2, 0
	s_mov_b32 s6, -1
	s_waitcnt vmcnt(0)
	v_lshlrev_b32_e32 v3, 16, v3
	s_delay_alu instid0(VALU_DEP_1)
	v_cvt_i32_f32_e32 v3, v3
	s_branch .LBB385_882
.LBB385_878:
	s_mov_b32 s3, -1
                                        ; implicit-def: $vgpr3
	s_branch .LBB385_883
.LBB385_879:
	s_or_saveexec_b32 s6, s6
	v_mov_b32_e32 v3, s7
	s_xor_b32 exec_lo, exec_lo, s6
	s_cbranch_execz .LBB385_860
.LBB385_880:
	v_cmp_ne_u16_e32 vcc_lo, 0, v4
	v_mov_b32_e32 v3, 0
	s_and_not1_b32 s3, s3, exec_lo
	s_and_b32 s7, vcc_lo, exec_lo
	s_delay_alu instid0(SALU_CYCLE_1)
	s_or_b32 s3, s3, s7
	s_or_b32 exec_lo, exec_lo, s6
	s_and_saveexec_b32 s6, s3
	s_cbranch_execnz .LBB385_861
	s_branch .LBB385_862
.LBB385_881:
	s_mov_b32 s2, -1
                                        ; implicit-def: $vgpr3
.LBB385_882:
	s_mov_b32 s3, 0
.LBB385_883:
	s_delay_alu instid0(SALU_CYCLE_1)
	s_and_b32 vcc_lo, exec_lo, s3
	s_mov_b32 s3, 0
	s_cbranch_vccz .LBB385_885
; %bb.884:
	v_cmp_ne_u16_e64 s3, s31, 11
	s_and_not1_b32 s2, s2, exec_lo
                                        ; implicit-def: $vgpr3
	s_delay_alu instid0(VALU_DEP_1)
	s_and_b32 s7, s3, exec_lo
	s_mov_b32 s3, -1
	s_or_b32 s2, s2, s7
.LBB385_885:
	s_mov_b32 s7, 0
.LBB385_886:
	s_and_b32 s44, s6, exec_lo
	s_and_b32 s45, s7, exec_lo
	s_and_not1_b32 s6, s22, exec_lo
	s_and_b32 s7, s2, exec_lo
	s_and_b32 s2, s3, exec_lo
	s_or_b32 s46, s6, s7
.LBB385_887:
	s_or_b32 exec_lo, exec_lo, s34
	s_delay_alu instid0(SALU_CYCLE_1)
	s_and_not1_b32 s6, s22, exec_lo
	s_and_b32 s7, s46, exec_lo
	s_and_b32 s44, s44, exec_lo
	;; [unrolled: 1-line block ×4, first 2 shown]
	s_or_b32 s22, s6, s7
.LBB385_888:
	s_or_b32 exec_lo, exec_lo, s43
	s_delay_alu instid0(SALU_CYCLE_1)
	s_and_not1_b32 s6, s41, exec_lo
	s_and_b32 s7, s23, exec_lo
	s_and_b32 s43, s44, exec_lo
	s_or_b32 s41, s6, s7
	s_and_not1_b32 s6, s40, exec_lo
	s_and_b32 s7, s22, exec_lo
	s_and_b32 s23, s3, exec_lo
	;; [unrolled: 1-line block ×3, first 2 shown]
	s_or_b32 s40, s6, s7
.LBB385_889:
	s_or_b32 exec_lo, exec_lo, s42
	s_delay_alu instid0(SALU_CYCLE_1)
	s_and_not1_b32 s2, s37, exec_lo
	s_and_b32 s6, s41, exec_lo
	s_and_b32 s7, s40, exec_lo
	s_or_b32 s37, s2, s6
	s_and_not1_b32 s6, s38, exec_lo
	s_and_b32 s2, s43, exec_lo
	s_and_b32 s22, s23, exec_lo
	s_and_b32 s40, s3, exec_lo
	s_or_b32 s38, s6, s7
.LBB385_890:
	s_or_b32 exec_lo, exec_lo, s39
	s_mov_b32 s3, 0
	s_and_saveexec_b32 s6, s38
	s_cbranch_execnz .LBB385_902
; %bb.891:
	s_or_b32 exec_lo, exec_lo, s6
	s_and_saveexec_b32 s6, s40
	s_delay_alu instid0(SALU_CYCLE_1)
	s_xor_b32 s6, exec_lo, s6
	s_cbranch_execz .LBB385_893
.LBB385_892:
	global_load_u8 v3, v[1:2], off
	s_or_b32 s2, s2, exec_lo
	s_waitcnt vmcnt(0)
	v_cmp_ne_u16_e32 vcc_lo, 0, v3
	v_cndmask_b32_e64 v3, 0, 1, vcc_lo
.LBB385_893:
	s_or_b32 exec_lo, exec_lo, s6
	s_and_saveexec_b32 s6, s22
	s_cbranch_execz .LBB385_941
; %bb.894:
	v_cmp_lt_i16_e64 s7, s31, 5
	s_delay_alu instid0(VALU_DEP_1)
	s_and_b32 vcc_lo, exec_lo, s7
	s_cbranch_vccnz .LBB385_899
; %bb.895:
	v_cmp_lt_i16_e64 s7, s31, 8
	s_delay_alu instid0(VALU_DEP_1)
	s_and_b32 vcc_lo, exec_lo, s7
	s_cbranch_vccnz .LBB385_900
	;; [unrolled: 5-line block ×3, first 2 shown]
; %bb.897:
	v_cmp_gt_i16_e64 s7, s31, 9
	s_delay_alu instid0(VALU_DEP_1)
	s_and_b32 vcc_lo, exec_lo, s7
	s_cbranch_vccz .LBB385_904
; %bb.898:
	global_load_b64 v[3:4], v[1:2], off
	s_mov_b32 s7, 0
	s_waitcnt vmcnt(0)
	v_cvt_i32_f64_e32 v3, v[3:4]
	s_branch .LBB385_905
.LBB385_899:
                                        ; implicit-def: $vgpr3
	s_branch .LBB385_922
.LBB385_900:
                                        ; implicit-def: $vgpr3
	s_branch .LBB385_911
.LBB385_901:
	s_mov_b32 s7, -1
                                        ; implicit-def: $vgpr3
	s_branch .LBB385_908
.LBB385_902:
	s_cbranch_execnz .LBB385_1172
; %bb.903:
	s_mov_b32 s3, exec_lo
	s_and_not1_b32 s40, s40, exec_lo
                                        ; implicit-def: $vgpr3
	s_or_b32 exec_lo, exec_lo, s6
	s_and_saveexec_b32 s6, s40
	s_delay_alu instid0(SALU_CYCLE_1)
	s_xor_b32 s6, exec_lo, s6
	s_cbranch_execnz .LBB385_892
	s_branch .LBB385_893
.LBB385_904:
	s_mov_b32 s7, -1
                                        ; implicit-def: $vgpr3
.LBB385_905:
	s_delay_alu instid0(SALU_CYCLE_1)
	s_and_not1_b32 vcc_lo, exec_lo, s7
	s_cbranch_vccnz .LBB385_907
; %bb.906:
	global_load_b32 v3, v[1:2], off
	s_waitcnt vmcnt(0)
	v_cvt_i32_f32_e32 v3, v3
.LBB385_907:
	s_mov_b32 s7, 0
.LBB385_908:
	s_delay_alu instid0(SALU_CYCLE_1)
	s_and_not1_b32 vcc_lo, exec_lo, s7
	s_cbranch_vccnz .LBB385_910
; %bb.909:
	global_load_b32 v3, v[1:2], off
	s_waitcnt vmcnt(0)
	v_cvt_i16_f16_e32 v3, v3
.LBB385_910:
	s_cbranch_execnz .LBB385_921
.LBB385_911:
	v_cmp_lt_i16_e64 s7, s31, 6
	s_delay_alu instid0(VALU_DEP_1)
	s_and_b32 vcc_lo, exec_lo, s7
	s_cbranch_vccnz .LBB385_914
; %bb.912:
	v_cmp_gt_i16_e64 s7, s31, 6
	s_delay_alu instid0(VALU_DEP_1)
	s_and_b32 vcc_lo, exec_lo, s7
	s_cbranch_vccz .LBB385_915
; %bb.913:
	global_load_b64 v[3:4], v[1:2], off
	s_mov_b32 s7, 0
	s_waitcnt vmcnt(0)
	v_cvt_i32_f64_e32 v3, v[3:4]
	s_branch .LBB385_916
.LBB385_914:
	s_mov_b32 s7, -1
                                        ; implicit-def: $vgpr3
	s_branch .LBB385_919
.LBB385_915:
	s_mov_b32 s7, -1
                                        ; implicit-def: $vgpr3
.LBB385_916:
	s_delay_alu instid0(SALU_CYCLE_1)
	s_and_not1_b32 vcc_lo, exec_lo, s7
	s_cbranch_vccnz .LBB385_918
; %bb.917:
	global_load_b32 v3, v[1:2], off
	s_waitcnt vmcnt(0)
	v_cvt_i32_f32_e32 v3, v3
.LBB385_918:
	s_mov_b32 s7, 0
.LBB385_919:
	s_delay_alu instid0(SALU_CYCLE_1)
	s_and_not1_b32 vcc_lo, exec_lo, s7
	s_cbranch_vccnz .LBB385_921
; %bb.920:
	global_load_u16 v3, v[1:2], off
	s_waitcnt vmcnt(0)
	v_cvt_i16_f16_e32 v3, v3
.LBB385_921:
	s_cbranch_execnz .LBB385_940
.LBB385_922:
	v_cmp_lt_i16_e64 s7, s31, 2
	s_delay_alu instid0(VALU_DEP_1)
	s_and_b32 vcc_lo, exec_lo, s7
	s_cbranch_vccnz .LBB385_926
; %bb.923:
	v_cmp_lt_i16_e64 s7, s31, 3
	s_delay_alu instid0(VALU_DEP_1)
	s_and_b32 vcc_lo, exec_lo, s7
	s_cbranch_vccnz .LBB385_927
; %bb.924:
	v_cmp_gt_i16_e64 s7, s31, 3
	s_delay_alu instid0(VALU_DEP_1)
	s_and_b32 vcc_lo, exec_lo, s7
	s_cbranch_vccz .LBB385_928
; %bb.925:
	global_load_b64 v[3:4], v[1:2], off
	s_mov_b32 s7, 0
	s_branch .LBB385_929
.LBB385_926:
                                        ; implicit-def: $vgpr3
	s_branch .LBB385_935
.LBB385_927:
	s_mov_b32 s7, -1
                                        ; implicit-def: $vgpr3
	s_branch .LBB385_932
.LBB385_928:
	s_mov_b32 s7, -1
                                        ; implicit-def: $vgpr3
.LBB385_929:
	s_delay_alu instid0(SALU_CYCLE_1)
	s_and_not1_b32 vcc_lo, exec_lo, s7
	s_cbranch_vccnz .LBB385_931
; %bb.930:
	global_load_b32 v3, v[1:2], off
.LBB385_931:
	s_mov_b32 s7, 0
.LBB385_932:
	s_delay_alu instid0(SALU_CYCLE_1)
	s_and_not1_b32 vcc_lo, exec_lo, s7
	s_cbranch_vccnz .LBB385_934
; %bb.933:
	global_load_u16 v3, v[1:2], off
.LBB385_934:
	s_cbranch_execnz .LBB385_940
.LBB385_935:
	v_cmp_gt_i16_e64 s7, s31, 0
	s_delay_alu instid0(VALU_DEP_1)
	s_and_b32 vcc_lo, exec_lo, s7
	s_mov_b32 s7, 0
	s_cbranch_vccz .LBB385_937
; %bb.936:
	global_load_i8 v3, v[1:2], off
	s_branch .LBB385_938
.LBB385_937:
	s_mov_b32 s7, -1
                                        ; implicit-def: $vgpr3
.LBB385_938:
	s_delay_alu instid0(SALU_CYCLE_1)
	s_and_not1_b32 vcc_lo, exec_lo, s7
	s_cbranch_vccnz .LBB385_940
; %bb.939:
	global_load_u8 v3, v[1:2], off
.LBB385_940:
	s_or_b32 s2, s2, exec_lo
.LBB385_941:
	s_or_b32 exec_lo, exec_lo, s6
	s_mov_b32 s8, 0
	s_mov_b32 s7, 0
                                        ; implicit-def: $vgpr5
                                        ; implicit-def: $vgpr1_vgpr2
                                        ; implicit-def: $vgpr4
	s_and_saveexec_b32 s6, s2
	s_cbranch_execz .LBB385_1018
; %bb.942:
	v_and_b32_e64 v5, 0xff, s30
	v_add_co_u32 v1, s2, s4, v0
	s_waitcnt vmcnt(0)
	s_delay_alu instid0(VALU_DEP_3)
	v_max_i16 v4, v3, s29
	v_add_co_ci_u32_e64 v2, null, s5, 0, s2
	v_cmp_gt_i16_e32 vcc_lo, 11, v5
	s_mov_b32 s4, -1
	s_mov_b32 s2, s37
	s_cbranch_vccnz .LBB385_1017
; %bb.943:
	v_cmp_lt_i16_e32 vcc_lo, 25, v5
	s_mov_b32 s2, s37
	s_cbranch_vccz .LBB385_976
; %bb.944:
	v_cmp_lt_i16_e32 vcc_lo, 28, v5
	s_mov_b32 s2, s37
	s_cbranch_vccz .LBB385_960
	;; [unrolled: 4-line block ×4, first 2 shown]
; %bb.947:
	v_cmp_eq_u16_e32 vcc_lo, 46, v5
	s_mov_b32 s2, -1
	s_cbranch_vccz .LBB385_949
; %bb.948:
	v_bfe_i32 v0, v4, 0, 16
	s_mov_b32 s2, 0
	s_delay_alu instid0(VALU_DEP_1) | instskip(NEXT) | instid1(VALU_DEP_1)
	v_cvt_f32_i32_e32 v0, v0
	v_bfe_u32 v3, v0, 16, 1
	s_delay_alu instid0(VALU_DEP_1) | instskip(NEXT) | instid1(VALU_DEP_1)
	v_add3_u32 v0, v0, v3, 0x7fff
	v_lshrrev_b32_e32 v0, 16, v0
	global_store_b32 v[1:2], v0, off
.LBB385_949:
	s_mov_b32 s4, 0
.LBB385_950:
	s_delay_alu instid0(SALU_CYCLE_1)
	s_and_b32 vcc_lo, exec_lo, s4
	s_cbranch_vccz .LBB385_955
; %bb.951:
	v_cmp_eq_u16_e32 vcc_lo, 44, v5
	s_mov_b32 s2, -1
	s_cbranch_vccz .LBB385_955
; %bb.952:
	v_bfe_i32 v0, v4, 0, 16
	v_mov_b32_e32 v3, 0xff
	s_mov_b32 s4, exec_lo
	s_delay_alu instid0(VALU_DEP_2) | instskip(NEXT) | instid1(VALU_DEP_1)
	v_cvt_f32_i32_e32 v0, v0
	v_bfe_u32 v6, v0, 23, 8
	s_delay_alu instid0(VALU_DEP_1)
	v_cmpx_ne_u32_e32 0xff, v6
; %bb.953:
	v_and_b32_e32 v3, 0x400000, v0
	v_and_or_b32 v6, 0x3fffff, v0, v6
	v_lshrrev_b32_e32 v0, 23, v0
	s_delay_alu instid0(VALU_DEP_3) | instskip(NEXT) | instid1(VALU_DEP_3)
	v_cmp_ne_u32_e32 vcc_lo, 0, v3
	v_cmp_ne_u32_e64 s2, 0, v6
	s_delay_alu instid0(VALU_DEP_1) | instskip(NEXT) | instid1(SALU_CYCLE_1)
	s_and_b32 s2, vcc_lo, s2
	v_cndmask_b32_e64 v3, 0, 1, s2
	s_delay_alu instid0(VALU_DEP_1)
	v_add_nc_u32_e32 v3, v0, v3
; %bb.954:
	s_or_b32 exec_lo, exec_lo, s4
	s_mov_b32 s2, 0
	global_store_b8 v[1:2], v3, off
.LBB385_955:
	s_mov_b32 s4, 0
.LBB385_956:
	s_delay_alu instid0(SALU_CYCLE_1)
	s_and_b32 vcc_lo, exec_lo, s4
	s_cbranch_vccz .LBB385_959
; %bb.957:
	v_cmp_eq_u16_e32 vcc_lo, 29, v5
	s_mov_b32 s2, -1
	s_cbranch_vccz .LBB385_959
; %bb.958:
	v_bfe_i32 v6, v4, 0, 16
	s_mov_b32 s2, 0
	s_delay_alu instid0(VALU_DEP_1)
	v_ashrrev_i32_e32 v7, 31, v6
	global_store_b64 v[1:2], v[6:7], off
.LBB385_959:
	s_mov_b32 s4, 0
.LBB385_960:
	s_delay_alu instid0(SALU_CYCLE_1)
	s_and_b32 vcc_lo, exec_lo, s4
	s_cbranch_vccz .LBB385_975
; %bb.961:
	v_cmp_gt_i16_e32 vcc_lo, 27, v5
	s_mov_b32 s4, -1
	s_cbranch_vccnz .LBB385_967
; %bb.962:
	v_cmp_lt_i16_e32 vcc_lo, 27, v5
	s_cbranch_vccz .LBB385_964
; %bb.963:
	v_bfe_i32 v0, v4, 0, 16
	s_mov_b32 s4, 0
	global_store_b32 v[1:2], v0, off
.LBB385_964:
	s_and_not1_b32 vcc_lo, exec_lo, s4
	s_cbranch_vccnz .LBB385_966
; %bb.965:
	global_store_b16 v[1:2], v4, off
.LBB385_966:
	s_mov_b32 s4, 0
.LBB385_967:
	s_delay_alu instid0(SALU_CYCLE_1)
	s_and_not1_b32 vcc_lo, exec_lo, s4
	s_cbranch_vccnz .LBB385_975
; %bb.968:
	v_bfe_i32 v0, v4, 0, 16
	v_mov_b32_e32 v6, 0x80
	s_mov_b32 s4, exec_lo
	s_delay_alu instid0(VALU_DEP_2) | instskip(NEXT) | instid1(VALU_DEP_1)
	v_cvt_f32_i32_e32 v0, v0
	v_and_b32_e32 v3, 0x7fffffff, v0
	s_delay_alu instid0(VALU_DEP_1)
	v_cmpx_gt_u32_e32 0x43800000, v3
	s_cbranch_execz .LBB385_974
; %bb.969:
	v_cmp_lt_u32_e32 vcc_lo, 0x3bffffff, v3
	s_mov_b32 s5, 0
                                        ; implicit-def: $vgpr3
	s_and_saveexec_b32 s7, vcc_lo
	s_delay_alu instid0(SALU_CYCLE_1)
	s_xor_b32 s7, exec_lo, s7
	s_cbranch_execz .LBB385_1258
; %bb.970:
	v_bfe_u32 v3, v0, 20, 1
	s_mov_b32 s5, exec_lo
	s_delay_alu instid0(VALU_DEP_1) | instskip(NEXT) | instid1(VALU_DEP_1)
	v_add3_u32 v3, v0, v3, 0x487ffff
	v_lshrrev_b32_e32 v3, 20, v3
	s_or_saveexec_b32 s7, s7
                                        ; implicit-def: $sgpr8
	s_delay_alu instid0(SALU_CYCLE_1)
	s_xor_b32 exec_lo, exec_lo, s7
	s_cbranch_execnz .LBB385_1259
.LBB385_971:
	s_or_b32 exec_lo, exec_lo, s7
	v_mov_b32_e32 v6, s8
	s_and_saveexec_b32 s7, s5
.LBB385_972:
	v_lshrrev_b32_e32 v0, 24, v0
	s_delay_alu instid0(VALU_DEP_1)
	v_and_or_b32 v6, 0x80, v0, v3
.LBB385_973:
	s_or_b32 exec_lo, exec_lo, s7
.LBB385_974:
	s_delay_alu instid0(SALU_CYCLE_1)
	s_or_b32 exec_lo, exec_lo, s4
	global_store_b8 v[1:2], v6, off
.LBB385_975:
	s_mov_b32 s4, 0
.LBB385_976:
	s_delay_alu instid0(SALU_CYCLE_1)
	s_and_b32 vcc_lo, exec_lo, s4
	s_mov_b32 s4, 0
	s_cbranch_vccz .LBB385_1016
; %bb.977:
	v_cmp_lt_i16_e32 vcc_lo, 22, v5
	s_mov_b32 s5, -1
	s_cbranch_vccz .LBB385_1009
; %bb.978:
	v_cmp_gt_i16_e32 vcc_lo, 24, v5
	s_cbranch_vccnz .LBB385_998
; %bb.979:
	v_cmp_lt_i16_e32 vcc_lo, 24, v5
	s_cbranch_vccz .LBB385_987
; %bb.980:
	v_bfe_i32 v0, v4, 0, 16
	v_mov_b32_e32 v6, 0x80
	s_mov_b32 s5, exec_lo
	s_delay_alu instid0(VALU_DEP_2) | instskip(NEXT) | instid1(VALU_DEP_1)
	v_cvt_f32_i32_e32 v0, v0
	v_and_b32_e32 v3, 0x7fffffff, v0
	s_delay_alu instid0(VALU_DEP_1)
	v_cmpx_gt_u32_e32 0x47800000, v3
	s_cbranch_execz .LBB385_986
; %bb.981:
	v_cmp_lt_u32_e32 vcc_lo, 0x37ffffff, v3
	s_mov_b32 s7, 0
                                        ; implicit-def: $vgpr3
	s_and_saveexec_b32 s8, vcc_lo
	s_delay_alu instid0(SALU_CYCLE_1)
	s_xor_b32 s8, exec_lo, s8
	s_cbranch_execz .LBB385_1302
; %bb.982:
	v_bfe_u32 v3, v0, 21, 1
	s_mov_b32 s7, exec_lo
	s_delay_alu instid0(VALU_DEP_1) | instskip(NEXT) | instid1(VALU_DEP_1)
	v_add3_u32 v3, v0, v3, 0x88fffff
	v_lshrrev_b32_e32 v3, 21, v3
	s_or_saveexec_b32 s8, s8
                                        ; implicit-def: $sgpr9
	s_delay_alu instid0(SALU_CYCLE_1)
	s_xor_b32 exec_lo, exec_lo, s8
	s_cbranch_execnz .LBB385_1303
.LBB385_983:
	s_or_b32 exec_lo, exec_lo, s8
	v_mov_b32_e32 v6, s9
	s_and_saveexec_b32 s8, s7
.LBB385_984:
	v_lshrrev_b32_e32 v0, 24, v0
	s_delay_alu instid0(VALU_DEP_1)
	v_and_or_b32 v6, 0x80, v0, v3
.LBB385_985:
	s_or_b32 exec_lo, exec_lo, s8
.LBB385_986:
	s_delay_alu instid0(SALU_CYCLE_1)
	s_or_b32 exec_lo, exec_lo, s5
	s_mov_b32 s5, 0
	global_store_b8 v[1:2], v6, off
.LBB385_987:
	s_and_b32 vcc_lo, exec_lo, s5
	s_cbranch_vccz .LBB385_997
; %bb.988:
	v_bfe_i32 v0, v4, 0, 16
	s_mov_b32 s5, exec_lo
                                        ; implicit-def: $vgpr3
	s_delay_alu instid0(VALU_DEP_1) | instskip(NEXT) | instid1(VALU_DEP_1)
	v_cvt_f32_i32_e32 v0, v0
	v_and_b32_e32 v6, 0x7fffffff, v0
	s_delay_alu instid0(VALU_DEP_1)
	v_cmpx_gt_u32_e32 0x43f00000, v6
	s_xor_b32 s5, exec_lo, s5
	s_cbranch_execz .LBB385_994
; %bb.989:
	s_mov_b32 s7, exec_lo
                                        ; implicit-def: $vgpr3
	v_cmpx_lt_u32_e32 0x3c7fffff, v6
	s_xor_b32 s7, exec_lo, s7
; %bb.990:
	v_bfe_u32 v3, v0, 20, 1
	s_delay_alu instid0(VALU_DEP_1) | instskip(NEXT) | instid1(VALU_DEP_1)
	v_add3_u32 v3, v0, v3, 0x407ffff
	v_and_b32_e32 v6, 0xff00000, v3
	v_lshrrev_b32_e32 v3, 20, v3
	s_delay_alu instid0(VALU_DEP_2) | instskip(NEXT) | instid1(VALU_DEP_2)
	v_cmp_ne_u32_e32 vcc_lo, 0x7f00000, v6
	v_cndmask_b32_e32 v3, 0x7e, v3, vcc_lo
; %bb.991:
	s_and_not1_saveexec_b32 s7, s7
; %bb.992:
	v_add_f32_e64 v3, 0x46800000, |v0|
; %bb.993:
	s_or_b32 exec_lo, exec_lo, s7
                                        ; implicit-def: $vgpr6
.LBB385_994:
	s_and_not1_saveexec_b32 s5, s5
; %bb.995:
	v_mov_b32_e32 v3, 0x7f
	v_cmp_lt_u32_e32 vcc_lo, 0x7f800000, v6
	s_delay_alu instid0(VALU_DEP_2)
	v_cndmask_b32_e32 v3, 0x7e, v3, vcc_lo
; %bb.996:
	s_or_b32 exec_lo, exec_lo, s5
	v_lshrrev_b32_e32 v0, 24, v0
	s_delay_alu instid0(VALU_DEP_1)
	v_and_or_b32 v0, 0x80, v0, v3
	global_store_b8 v[1:2], v0, off
.LBB385_997:
	s_mov_b32 s5, 0
.LBB385_998:
	s_delay_alu instid0(SALU_CYCLE_1)
	s_and_not1_b32 vcc_lo, exec_lo, s5
	s_cbranch_vccnz .LBB385_1008
; %bb.999:
	v_bfe_i32 v0, v4, 0, 16
	s_mov_b32 s5, exec_lo
                                        ; implicit-def: $vgpr3
	s_delay_alu instid0(VALU_DEP_1) | instskip(NEXT) | instid1(VALU_DEP_1)
	v_cvt_f32_i32_e32 v0, v0
	v_and_b32_e32 v6, 0x7fffffff, v0
	s_delay_alu instid0(VALU_DEP_1)
	v_cmpx_gt_u32_e32 0x47800000, v6
	s_xor_b32 s5, exec_lo, s5
	s_cbranch_execz .LBB385_1005
; %bb.1000:
	s_mov_b32 s7, exec_lo
                                        ; implicit-def: $vgpr3
	v_cmpx_lt_u32_e32 0x387fffff, v6
	s_xor_b32 s7, exec_lo, s7
; %bb.1001:
	v_bfe_u32 v3, v0, 21, 1
	s_delay_alu instid0(VALU_DEP_1) | instskip(NEXT) | instid1(VALU_DEP_1)
	v_add3_u32 v3, v0, v3, 0x80fffff
	v_lshrrev_b32_e32 v3, 21, v3
; %bb.1002:
	s_and_not1_saveexec_b32 s7, s7
; %bb.1003:
	v_add_f32_e64 v3, 0x43000000, |v0|
; %bb.1004:
	s_or_b32 exec_lo, exec_lo, s7
                                        ; implicit-def: $vgpr6
.LBB385_1005:
	s_and_not1_saveexec_b32 s5, s5
; %bb.1006:
	v_mov_b32_e32 v3, 0x7f
	v_cmp_lt_u32_e32 vcc_lo, 0x7f800000, v6
	s_delay_alu instid0(VALU_DEP_2)
	v_cndmask_b32_e32 v3, 0x7c, v3, vcc_lo
; %bb.1007:
	s_or_b32 exec_lo, exec_lo, s5
	v_lshrrev_b32_e32 v0, 24, v0
	s_delay_alu instid0(VALU_DEP_1)
	v_and_or_b32 v0, 0x80, v0, v3
	global_store_b8 v[1:2], v0, off
.LBB385_1008:
	s_mov_b32 s5, 0
.LBB385_1009:
	s_delay_alu instid0(SALU_CYCLE_1)
	s_and_not1_b32 vcc_lo, exec_lo, s5
	s_mov_b32 s8, 0
	s_cbranch_vccnz .LBB385_1017
; %bb.1010:
	v_cmp_lt_i16_e32 vcc_lo, 14, v5
	s_mov_b32 s5, -1
	s_cbranch_vccz .LBB385_1014
; %bb.1011:
	v_cmp_eq_u16_e32 vcc_lo, 15, v5
	s_mov_b32 s2, -1
	s_cbranch_vccz .LBB385_1013
; %bb.1012:
	v_bfe_i32 v0, v4, 0, 16
	s_mov_b32 s2, 0
	s_delay_alu instid0(VALU_DEP_1) | instskip(NEXT) | instid1(VALU_DEP_1)
	v_cvt_f32_i32_e32 v0, v0
	v_bfe_u32 v3, v0, 16, 1
	s_delay_alu instid0(VALU_DEP_1)
	v_add3_u32 v0, v0, v3, 0x7fff
	global_store_d16_hi_b16 v[1:2], v0, off
.LBB385_1013:
	s_mov_b32 s5, 0
.LBB385_1014:
	s_delay_alu instid0(SALU_CYCLE_1)
	s_and_b32 vcc_lo, exec_lo, s5
	s_cbranch_vccz .LBB385_1017
; %bb.1015:
	v_cmp_ne_u16_e32 vcc_lo, 11, v5
	s_and_not1_b32 s2, s2, exec_lo
	s_mov_b32 s8, -1
	s_and_b32 s5, vcc_lo, exec_lo
	s_delay_alu instid0(SALU_CYCLE_1)
	s_or_b32 s2, s2, s5
	s_branch .LBB385_1017
.LBB385_1016:
	s_mov_b32 s8, 0
.LBB385_1017:
	s_and_b32 s7, s4, exec_lo
	s_and_not1_b32 s4, s37, exec_lo
	s_and_b32 s2, s2, exec_lo
	s_and_b32 s8, s8, exec_lo
	s_or_b32 s37, s4, s2
.LBB385_1018:
	s_or_b32 exec_lo, exec_lo, s6
	s_and_saveexec_b32 s2, s37
	s_cbranch_execnz .LBB385_1132
; %bb.1019:
	s_or_b32 exec_lo, exec_lo, s2
	s_and_saveexec_b32 s2, s8
	s_delay_alu instid0(SALU_CYCLE_1)
	s_xor_b32 s2, exec_lo, s2
	s_cbranch_execz .LBB385_1021
.LBB385_1020:
	s_waitcnt vmcnt(0)
	v_cmp_ne_u16_e32 vcc_lo, 0, v4
	v_cndmask_b32_e64 v0, 0, 1, vcc_lo
	global_store_b8 v[1:2], v0, off
.LBB385_1021:
	s_or_b32 exec_lo, exec_lo, s2
	s_and_saveexec_b32 s2, s7
	s_delay_alu instid0(SALU_CYCLE_1)
	s_xor_b32 s2, exec_lo, s2
	s_cbranch_execz .LBB385_1059
; %bb.1022:
	v_cmp_gt_i16_e32 vcc_lo, 5, v5
	s_mov_b32 s4, -1
	s_cbranch_vccnz .LBB385_1043
; %bb.1023:
	v_cmp_gt_i16_e32 vcc_lo, 8, v5
	s_cbranch_vccnz .LBB385_1033
; %bb.1024:
	v_cmp_gt_i16_e32 vcc_lo, 9, v5
	s_cbranch_vccnz .LBB385_1030
; %bb.1025:
	v_cmp_lt_i16_e32 vcc_lo, 9, v5
	s_cbranch_vccz .LBB385_1027
; %bb.1026:
	s_waitcnt vmcnt(0)
	v_bfe_i32 v0, v4, 0, 16
	v_mov_b32_e32 v8, 0
	s_mov_b32 s4, 0
	s_delay_alu instid0(VALU_DEP_2) | instskip(NEXT) | instid1(VALU_DEP_2)
	v_cvt_f64_i32_e32 v[6:7], v0
	v_mov_b32_e32 v9, v8
	global_store_b128 v[1:2], v[6:9], off
.LBB385_1027:
	s_and_not1_b32 vcc_lo, exec_lo, s4
	s_cbranch_vccnz .LBB385_1029
; %bb.1028:
	s_waitcnt vmcnt(0)
	v_bfe_i32 v0, v4, 0, 16
	v_mov_b32_e32 v7, 0
	s_delay_alu instid0(VALU_DEP_2)
	v_cvt_f32_i32_e32 v6, v0
	global_store_b64 v[1:2], v[6:7], off
.LBB385_1029:
	s_mov_b32 s4, 0
.LBB385_1030:
	s_delay_alu instid0(SALU_CYCLE_1)
	s_and_not1_b32 vcc_lo, exec_lo, s4
	s_cbranch_vccnz .LBB385_1032
; %bb.1031:
	s_waitcnt vmcnt(0)
	v_cvt_f16_i16_e32 v0, v4
	s_delay_alu instid0(VALU_DEP_1)
	v_and_b32_e32 v0, 0xffff, v0
	global_store_b32 v[1:2], v0, off
.LBB385_1032:
	s_mov_b32 s4, 0
.LBB385_1033:
	s_delay_alu instid0(SALU_CYCLE_1)
	s_and_not1_b32 vcc_lo, exec_lo, s4
	s_cbranch_vccnz .LBB385_1042
; %bb.1034:
	v_cmp_gt_i16_e32 vcc_lo, 6, v5
	s_mov_b32 s4, -1
	s_cbranch_vccnz .LBB385_1040
; %bb.1035:
	v_cmp_lt_i16_e32 vcc_lo, 6, v5
	s_cbranch_vccz .LBB385_1037
; %bb.1036:
	s_waitcnt vmcnt(0)
	v_bfe_i32 v0, v4, 0, 16
	s_mov_b32 s4, 0
	s_delay_alu instid0(VALU_DEP_1)
	v_cvt_f64_i32_e32 v[6:7], v0
	global_store_b64 v[1:2], v[6:7], off
.LBB385_1037:
	s_and_not1_b32 vcc_lo, exec_lo, s4
	s_cbranch_vccnz .LBB385_1039
; %bb.1038:
	s_waitcnt vmcnt(0)
	v_bfe_i32 v0, v4, 0, 16
	s_delay_alu instid0(VALU_DEP_1)
	v_cvt_f32_i32_e32 v0, v0
	global_store_b32 v[1:2], v0, off
.LBB385_1039:
	s_mov_b32 s4, 0
.LBB385_1040:
	s_delay_alu instid0(SALU_CYCLE_1)
	s_and_not1_b32 vcc_lo, exec_lo, s4
	s_cbranch_vccnz .LBB385_1042
; %bb.1041:
	s_waitcnt vmcnt(0)
	v_cvt_f16_i16_e32 v0, v4
	global_store_b16 v[1:2], v0, off
.LBB385_1042:
	s_mov_b32 s4, 0
.LBB385_1043:
	s_delay_alu instid0(SALU_CYCLE_1)
	s_and_not1_b32 vcc_lo, exec_lo, s4
	s_cbranch_vccnz .LBB385_1059
; %bb.1044:
	v_cmp_gt_i16_e32 vcc_lo, 2, v5
	s_mov_b32 s4, -1
	s_cbranch_vccnz .LBB385_1054
; %bb.1045:
	v_cmp_gt_i16_e32 vcc_lo, 3, v5
	s_cbranch_vccnz .LBB385_1051
; %bb.1046:
	v_cmp_lt_i16_e32 vcc_lo, 3, v5
	s_cbranch_vccz .LBB385_1048
; %bb.1047:
	s_waitcnt vmcnt(0)
	v_bfe_i32 v6, v4, 0, 16
	s_mov_b32 s4, 0
	s_delay_alu instid0(VALU_DEP_1)
	v_ashrrev_i32_e32 v7, 31, v6
	global_store_b64 v[1:2], v[6:7], off
.LBB385_1048:
	s_and_not1_b32 vcc_lo, exec_lo, s4
	s_cbranch_vccnz .LBB385_1050
; %bb.1049:
	s_waitcnt vmcnt(0)
	v_bfe_i32 v0, v4, 0, 16
	global_store_b32 v[1:2], v0, off
.LBB385_1050:
	s_mov_b32 s4, 0
.LBB385_1051:
	s_delay_alu instid0(SALU_CYCLE_1)
	s_and_not1_b32 vcc_lo, exec_lo, s4
	s_cbranch_vccnz .LBB385_1053
; %bb.1052:
	s_waitcnt vmcnt(0)
	global_store_b16 v[1:2], v4, off
.LBB385_1053:
	s_mov_b32 s4, 0
.LBB385_1054:
	s_delay_alu instid0(SALU_CYCLE_1)
	s_and_not1_b32 vcc_lo, exec_lo, s4
	s_cbranch_vccnz .LBB385_1059
; %bb.1055:
	v_cmp_lt_i16_e32 vcc_lo, 0, v5
	s_mov_b32 s4, -1
	s_cbranch_vccz .LBB385_1057
; %bb.1056:
	s_mov_b32 s4, 0
	s_waitcnt vmcnt(0)
	global_store_b8 v[1:2], v4, off
.LBB385_1057:
	s_and_not1_b32 vcc_lo, exec_lo, s4
	s_cbranch_vccnz .LBB385_1059
; %bb.1058:
	s_waitcnt vmcnt(0)
	global_store_b8 v[1:2], v4, off
.LBB385_1059:
	s_or_b32 exec_lo, exec_lo, s2
	s_delay_alu instid0(SALU_CYCLE_1)
	s_and_b32 s8, s3, exec_lo
                                        ; implicit-def: $vgpr8
                                        ; implicit-def: $vgpr5
.LBB385_1060:
	s_or_saveexec_b32 s9, s28
	s_mov_b32 s3, 0
                                        ; implicit-def: $vgpr0_vgpr1
                                        ; implicit-def: $vgpr9
                                        ; implicit-def: $vgpr2
	s_xor_b32 exec_lo, exec_lo, s9
	s_cbranch_execz .LBB385_2059
; %bb.1061:
	v_cndmask_b32_e64 v0, 0, 1, s27
	s_and_not1_b32 vcc_lo, exec_lo, s27
	s_cbranch_vccnz .LBB385_1067
; %bb.1062:
	s_waitcnt vmcnt(0)
	v_mov_b32_e32 v3, 0
	v_mov_b32_e32 v7, 0
	s_cmp_lg_u32 s24, 0
	s_mov_b32 s6, 0
	s_cbranch_scc0 .LBB385_1071
; %bb.1063:
	s_min_u32 s7, s25, 15
	v_mov_b32_e32 v3, 0
	s_add_i32 s7, s7, 1
	s_cmp_eq_u32 s25, 2
	s_mov_b32 s10, 0
	s_cbranch_scc1 .LBB385_1068
; %bb.1064:
	v_mov_b32_e32 v7, 0
	v_mov_b32_e32 v3, 0
	;; [unrolled: 1-line block ×3, first 2 shown]
	s_add_u32 s2, s16, 0xc4
	s_addc_u32 s3, s17, 0
	s_and_b32 s10, s7, 28
	s_mov_b32 s11, 0
	s_mov_b64 s[4:5], s[16:17]
.LBB385_1065:                           ; =>This Inner Loop Header: Depth=1
	s_clause 0x1
	s_load_b256 s[36:43], s[4:5], 0x4
	s_load_b128 s[12:15], s[4:5], 0x24
	s_load_b256 s[44:51], s[2:3], 0x0
	s_add_u32 s4, s4, 48
	s_addc_u32 s5, s5, 0
	s_add_i32 s11, s11, 4
	s_add_u32 s2, s2, 32
	s_addc_u32 s3, s3, 0
	s_cmp_lg_u32 s10, s11
	s_waitcnt lgkmcnt(0)
	v_mul_hi_u32 v2, s37, v1
	s_delay_alu instid0(VALU_DEP_1) | instskip(NEXT) | instid1(VALU_DEP_1)
	v_add_nc_u32_e32 v2, v1, v2
	v_lshrrev_b32_e32 v2, s38, v2
	s_delay_alu instid0(VALU_DEP_1) | instskip(SKIP_1) | instid1(VALU_DEP_2)
	v_mul_hi_u32 v4, s40, v2
	v_mul_lo_u32 v9, v2, s36
	v_add_nc_u32_e32 v4, v2, v4
	s_delay_alu instid0(VALU_DEP_2) | instskip(NEXT) | instid1(VALU_DEP_2)
	v_sub_nc_u32_e32 v1, v1, v9
	v_lshrrev_b32_e32 v4, s41, v4
	s_delay_alu instid0(VALU_DEP_2) | instskip(SKIP_1) | instid1(VALU_DEP_3)
	v_mul_lo_u32 v9, v1, s44
	v_mul_lo_u32 v11, v1, s45
	v_mul_hi_u32 v6, s43, v4
	s_delay_alu instid0(VALU_DEP_1) | instskip(NEXT) | instid1(VALU_DEP_1)
	v_add_nc_u32_e32 v6, v4, v6
	v_lshrrev_b32_e32 v6, s12, v6
	s_delay_alu instid0(VALU_DEP_1) | instskip(SKIP_1) | instid1(VALU_DEP_2)
	v_mul_hi_u32 v10, s14, v6
	v_mul_lo_u32 v12, v6, s42
	v_add_nc_u32_e32 v1, v6, v10
	v_mul_lo_u32 v10, v4, s39
	s_delay_alu instid0(VALU_DEP_3) | instskip(NEXT) | instid1(VALU_DEP_3)
	v_sub_nc_u32_e32 v4, v4, v12
	v_lshrrev_b32_e32 v1, s15, v1
	s_delay_alu instid0(VALU_DEP_2) | instskip(SKIP_2) | instid1(VALU_DEP_4)
	v_mul_lo_u32 v12, v4, s48
	v_mul_lo_u32 v4, v4, s49
	v_sub_nc_u32_e32 v2, v2, v10
	v_mul_lo_u32 v13, v1, s13
	s_delay_alu instid0(VALU_DEP_2) | instskip(SKIP_1) | instid1(VALU_DEP_3)
	v_mul_lo_u32 v10, v2, s46
	v_mul_lo_u32 v2, v2, s47
	v_sub_nc_u32_e32 v6, v6, v13
	s_delay_alu instid0(VALU_DEP_3) | instskip(NEXT) | instid1(VALU_DEP_2)
	v_add3_u32 v3, v9, v3, v10
	v_mul_lo_u32 v13, v6, s50
	v_mul_lo_u32 v6, v6, s51
	v_add3_u32 v2, v11, v7, v2
	s_delay_alu instid0(VALU_DEP_3) | instskip(NEXT) | instid1(VALU_DEP_2)
	v_add3_u32 v3, v12, v3, v13
	v_add3_u32 v7, v4, v2, v6
	s_cbranch_scc1 .LBB385_1065
; %bb.1066:
	s_and_b32 s7, s7, 3
	s_delay_alu instid0(SALU_CYCLE_1)
	s_cmp_eq_u32 s7, 0
	s_cbranch_scc0 .LBB385_1069
	s_branch .LBB385_1071
.LBB385_1067:
	s_mov_b32 s6, -1
                                        ; implicit-def: $vgpr3
                                        ; implicit-def: $vgpr7
	s_branch .LBB385_1071
.LBB385_1068:
	v_mov_b32_e32 v1, v5
	v_mov_b32_e32 v7, 0
	s_and_b32 s7, s7, 3
	s_delay_alu instid0(SALU_CYCLE_1)
	s_cmp_eq_u32 s7, 0
	s_cbranch_scc1 .LBB385_1071
.LBB385_1069:
	s_lshl_b32 s2, s10, 3
	s_mul_i32 s4, s10, 12
	s_add_u32 s2, s2, s16
	s_addc_u32 s3, 0, s17
	s_add_u32 s2, s2, 0xc4
	s_addc_u32 s3, s3, 0
	;; [unrolled: 2-line block ×3, first 2 shown]
	.p2align	6
.LBB385_1070:                           ; =>This Inner Loop Header: Depth=1
	s_clause 0x1
	s_load_b64 s[10:11], s[4:5], 0x4
	s_load_b32 s14, s[4:5], 0xc
	s_load_b64 s[12:13], s[2:3], 0x0
	s_add_u32 s4, s4, 12
	s_addc_u32 s5, s5, 0
	s_add_u32 s2, s2, 8
	s_addc_u32 s3, s3, 0
	s_add_i32 s7, s7, -1
	s_delay_alu instid0(SALU_CYCLE_1) | instskip(SKIP_2) | instid1(VALU_DEP_1)
	s_cmp_lg_u32 s7, 0
	s_waitcnt lgkmcnt(0)
	v_mul_hi_u32 v2, s11, v1
	v_add_nc_u32_e32 v2, v1, v2
	s_delay_alu instid0(VALU_DEP_1) | instskip(NEXT) | instid1(VALU_DEP_1)
	v_lshrrev_b32_e32 v4, s14, v2
	v_mul_lo_u32 v2, v4, s10
	s_delay_alu instid0(VALU_DEP_1) | instskip(NEXT) | instid1(VALU_DEP_1)
	v_sub_nc_u32_e32 v1, v1, v2
	v_mad_u64_u32 v[9:10], null, v1, s12, v[3:4]
	v_mad_u64_u32 v[2:3], null, v1, s13, v[7:8]
	v_mov_b32_e32 v1, v4
	s_delay_alu instid0(VALU_DEP_3) | instskip(NEXT) | instid1(VALU_DEP_3)
	v_mov_b32_e32 v3, v9
	v_mov_b32_e32 v7, v2
	s_cbranch_scc1 .LBB385_1070
.LBB385_1071:
	s_and_not1_b32 vcc_lo, exec_lo, s6
	s_cbranch_vccnz .LBB385_1074
; %bb.1072:
	s_clause 0x1
	s_load_b128 s[4:7], s[16:17], 0x4
	s_load_b64 s[2:3], s[16:17], 0xc4
	s_cmp_lt_u32 s24, 2
	s_waitcnt lgkmcnt(0)
	v_mul_hi_u32 v1, s5, v5
	s_delay_alu instid0(VALU_DEP_1) | instskip(NEXT) | instid1(VALU_DEP_1)
	v_add_nc_u32_e32 v1, v5, v1
	v_lshrrev_b32_e32 v1, s6, v1
	s_delay_alu instid0(VALU_DEP_1) | instskip(NEXT) | instid1(VALU_DEP_1)
	v_mul_lo_u32 v2, v1, s4
	v_sub_nc_u32_e32 v2, v5, v2
	s_waitcnt vmcnt(0)
	s_delay_alu instid0(VALU_DEP_1)
	v_mul_lo_u32 v3, v2, s2
	v_mul_lo_u32 v7, v2, s3
	s_cbranch_scc1 .LBB385_1074
; %bb.1073:
	s_clause 0x1
	s_load_b128 s[4:7], s[16:17], 0x10
	s_load_b64 s[2:3], s[16:17], 0xcc
	s_waitcnt lgkmcnt(0)
	v_mul_hi_u32 v2, s5, v1
	s_delay_alu instid0(VALU_DEP_1) | instskip(NEXT) | instid1(VALU_DEP_1)
	v_add_nc_u32_e32 v2, v1, v2
	v_lshrrev_b32_e32 v2, s6, v2
	s_delay_alu instid0(VALU_DEP_1) | instskip(NEXT) | instid1(VALU_DEP_1)
	v_mul_lo_u32 v2, v2, s4
	v_sub_nc_u32_e32 v4, v1, v2
	s_delay_alu instid0(VALU_DEP_1) | instskip(SKIP_1) | instid1(VALU_DEP_2)
	v_mad_u64_u32 v[1:2], null, v4, s2, v[3:4]
	v_mad_u64_u32 v[2:3], null, v4, s3, v[7:8]
	v_mov_b32_e32 v3, v1
	s_delay_alu instid0(VALU_DEP_2)
	v_mov_b32_e32 v7, v2
.LBB385_1074:
	v_cmp_ne_u32_e32 vcc_lo, 1, v0
	v_add_nc_u32_e32 v1, 0x80, v5
	s_cbranch_vccnz .LBB385_1080
; %bb.1075:
	v_mov_b32_e32 v2, 0
	v_mov_b32_e32 v6, 0
	s_cmp_lg_u32 s24, 0
	s_mov_b32 s6, 0
	s_cbranch_scc0 .LBB385_1084
; %bb.1076:
	s_min_u32 s7, s25, 15
	v_mov_b32_e32 v2, 0
	s_add_i32 s7, s7, 1
	s_cmp_eq_u32 s25, 2
	s_mov_b32 s10, 0
	s_cbranch_scc1 .LBB385_1081
; %bb.1077:
	v_mov_b32_e32 v6, 0
	v_mov_b32_e32 v2, 0
	s_waitcnt vmcnt(0)
	v_mov_b32_e32 v4, v1
	s_add_u32 s2, s16, 0xc4
	s_addc_u32 s3, s17, 0
	s_and_b32 s10, s7, 28
	s_mov_b32 s11, 0
	s_mov_b64 s[4:5], s[16:17]
.LBB385_1078:                           ; =>This Inner Loop Header: Depth=1
	s_clause 0x1
	s_load_b256 s[36:43], s[4:5], 0x4
	s_load_b128 s[12:15], s[4:5], 0x24
	s_load_b256 s[44:51], s[2:3], 0x0
	s_add_u32 s4, s4, 48
	s_addc_u32 s5, s5, 0
	s_add_i32 s11, s11, 4
	s_add_u32 s2, s2, 32
	s_addc_u32 s3, s3, 0
	s_cmp_lg_u32 s10, s11
	s_waitcnt lgkmcnt(0)
	v_mul_hi_u32 v9, s37, v4
	s_delay_alu instid0(VALU_DEP_1) | instskip(NEXT) | instid1(VALU_DEP_1)
	v_add_nc_u32_e32 v9, v4, v9
	v_lshrrev_b32_e32 v9, s38, v9
	s_delay_alu instid0(VALU_DEP_1) | instskip(SKIP_1) | instid1(VALU_DEP_2)
	v_mul_hi_u32 v10, s40, v9
	v_mul_lo_u32 v12, v9, s36
	v_add_nc_u32_e32 v10, v9, v10
	s_delay_alu instid0(VALU_DEP_2) | instskip(NEXT) | instid1(VALU_DEP_2)
	v_sub_nc_u32_e32 v4, v4, v12
	v_lshrrev_b32_e32 v10, s41, v10
	s_delay_alu instid0(VALU_DEP_2) | instskip(SKIP_1) | instid1(VALU_DEP_3)
	v_mul_lo_u32 v12, v4, s44
	v_mul_lo_u32 v14, v4, s45
	v_mul_hi_u32 v11, s43, v10
	s_delay_alu instid0(VALU_DEP_1) | instskip(NEXT) | instid1(VALU_DEP_1)
	v_add_nc_u32_e32 v11, v10, v11
	v_lshrrev_b32_e32 v11, s12, v11
	s_delay_alu instid0(VALU_DEP_1) | instskip(SKIP_1) | instid1(VALU_DEP_2)
	v_mul_hi_u32 v13, s14, v11
	v_mul_lo_u32 v15, v11, s42
	v_add_nc_u32_e32 v4, v11, v13
	v_mul_lo_u32 v13, v10, s39
	s_delay_alu instid0(VALU_DEP_3) | instskip(NEXT) | instid1(VALU_DEP_3)
	v_sub_nc_u32_e32 v10, v10, v15
	v_lshrrev_b32_e32 v4, s15, v4
	s_delay_alu instid0(VALU_DEP_2) | instskip(SKIP_2) | instid1(VALU_DEP_4)
	v_mul_lo_u32 v15, v10, s48
	v_mul_lo_u32 v10, v10, s49
	v_sub_nc_u32_e32 v9, v9, v13
	v_mul_lo_u32 v16, v4, s13
	s_delay_alu instid0(VALU_DEP_2) | instskip(SKIP_1) | instid1(VALU_DEP_3)
	v_mul_lo_u32 v13, v9, s46
	v_mul_lo_u32 v9, v9, s47
	v_sub_nc_u32_e32 v11, v11, v16
	s_delay_alu instid0(VALU_DEP_3) | instskip(NEXT) | instid1(VALU_DEP_2)
	v_add3_u32 v2, v12, v2, v13
	v_mul_lo_u32 v16, v11, s50
	v_mul_lo_u32 v11, v11, s51
	v_add3_u32 v6, v14, v6, v9
	s_delay_alu instid0(VALU_DEP_3) | instskip(NEXT) | instid1(VALU_DEP_2)
	v_add3_u32 v2, v15, v2, v16
	v_add3_u32 v6, v10, v6, v11
	s_cbranch_scc1 .LBB385_1078
; %bb.1079:
	s_and_b32 s7, s7, 3
	s_delay_alu instid0(SALU_CYCLE_1)
	s_cmp_eq_u32 s7, 0
	s_cbranch_scc0 .LBB385_1082
	s_branch .LBB385_1084
.LBB385_1080:
	s_mov_b32 s6, -1
                                        ; implicit-def: $vgpr2
                                        ; implicit-def: $vgpr6
	s_branch .LBB385_1084
.LBB385_1081:
	s_waitcnt vmcnt(0)
	v_mov_b32_e32 v4, v1
	v_mov_b32_e32 v6, 0
	s_and_b32 s7, s7, 3
	s_delay_alu instid0(SALU_CYCLE_1)
	s_cmp_eq_u32 s7, 0
	s_cbranch_scc1 .LBB385_1084
.LBB385_1082:
	s_lshl_b32 s2, s10, 3
	s_mul_i32 s4, s10, 12
	s_add_u32 s2, s2, s16
	s_addc_u32 s3, 0, s17
	s_add_u32 s2, s2, 0xc4
	s_addc_u32 s3, s3, 0
	;; [unrolled: 2-line block ×3, first 2 shown]
	.p2align	6
.LBB385_1083:                           ; =>This Inner Loop Header: Depth=1
	s_clause 0x1
	s_load_b64 s[10:11], s[4:5], 0x4
	s_load_b32 s14, s[4:5], 0xc
	s_load_b64 s[12:13], s[2:3], 0x0
	s_add_u32 s4, s4, 12
	s_addc_u32 s5, s5, 0
	s_add_u32 s2, s2, 8
	s_addc_u32 s3, s3, 0
	s_add_i32 s7, s7, -1
	s_delay_alu instid0(SALU_CYCLE_1) | instskip(SKIP_2) | instid1(VALU_DEP_1)
	s_cmp_lg_u32 s7, 0
	s_waitcnt lgkmcnt(0)
	v_mul_hi_u32 v9, s11, v4
	v_add_nc_u32_e32 v9, v4, v9
	s_delay_alu instid0(VALU_DEP_1) | instskip(NEXT) | instid1(VALU_DEP_1)
	v_lshrrev_b32_e32 v12, s14, v9
	v_mul_lo_u32 v9, v12, s10
	s_delay_alu instid0(VALU_DEP_1) | instskip(NEXT) | instid1(VALU_DEP_1)
	v_sub_nc_u32_e32 v4, v4, v9
	v_mad_u64_u32 v[9:10], null, v4, s12, v[2:3]
	v_mad_u64_u32 v[10:11], null, v4, s13, v[6:7]
	v_mov_b32_e32 v4, v12
	s_delay_alu instid0(VALU_DEP_3) | instskip(NEXT) | instid1(VALU_DEP_3)
	v_mov_b32_e32 v2, v9
	v_mov_b32_e32 v6, v10
	s_cbranch_scc1 .LBB385_1083
.LBB385_1084:
	s_and_not1_b32 vcc_lo, exec_lo, s6
	s_cbranch_vccnz .LBB385_1087
; %bb.1085:
	s_clause 0x1
	s_load_b128 s[4:7], s[16:17], 0x4
	s_load_b64 s[2:3], s[16:17], 0xc4
	s_cmp_lt_u32 s24, 2
	s_waitcnt lgkmcnt(0)
	v_mul_hi_u32 v2, s5, v1
	s_delay_alu instid0(VALU_DEP_1) | instskip(SKIP_1) | instid1(VALU_DEP_1)
	v_add_nc_u32_e32 v2, v1, v2
	s_waitcnt vmcnt(0)
	v_lshrrev_b32_e32 v4, s6, v2
	s_delay_alu instid0(VALU_DEP_1) | instskip(NEXT) | instid1(VALU_DEP_1)
	v_mul_lo_u32 v2, v4, s4
	v_sub_nc_u32_e32 v1, v1, v2
	s_delay_alu instid0(VALU_DEP_1)
	v_mul_lo_u32 v2, v1, s2
	v_mul_lo_u32 v6, v1, s3
	s_cbranch_scc1 .LBB385_1087
; %bb.1086:
	s_clause 0x1
	s_load_b128 s[4:7], s[16:17], 0x10
	s_load_b64 s[2:3], s[16:17], 0xcc
	s_waitcnt lgkmcnt(0)
	v_mul_hi_u32 v1, s5, v4
	s_delay_alu instid0(VALU_DEP_1) | instskip(NEXT) | instid1(VALU_DEP_1)
	v_add_nc_u32_e32 v1, v4, v1
	v_lshrrev_b32_e32 v1, s6, v1
	s_delay_alu instid0(VALU_DEP_1) | instskip(NEXT) | instid1(VALU_DEP_1)
	v_mul_lo_u32 v1, v1, s4
	v_sub_nc_u32_e32 v4, v4, v1
	s_delay_alu instid0(VALU_DEP_1) | instskip(SKIP_1) | instid1(VALU_DEP_2)
	v_mad_u64_u32 v[9:10], null, v4, s2, v[2:3]
	v_mad_u64_u32 v[1:2], null, v4, s3, v[6:7]
	v_mov_b32_e32 v2, v9
	s_delay_alu instid0(VALU_DEP_2)
	v_mov_b32_e32 v6, v1
.LBB385_1087:
	v_cmp_ne_u32_e32 vcc_lo, 1, v0
	s_waitcnt vmcnt(0)
	v_add_nc_u32_e32 v4, 0x100, v5
	s_cbranch_vccnz .LBB385_1093
; %bb.1088:
	v_mov_b32_e32 v1, 0
	v_mov_b32_e32 v5, 0
	s_cmp_lg_u32 s24, 0
	s_mov_b32 s6, 0
	s_cbranch_scc0 .LBB385_1097
; %bb.1089:
	s_min_u32 s7, s25, 15
	v_mov_b32_e32 v1, 0
	s_add_i32 s7, s7, 1
	s_cmp_eq_u32 s25, 2
	s_mov_b32 s10, 0
	s_cbranch_scc1 .LBB385_1094
; %bb.1090:
	v_mov_b32_e32 v5, 0
	v_mov_b32_e32 v1, 0
	;; [unrolled: 1-line block ×3, first 2 shown]
	s_add_u32 s2, s16, 0xc4
	s_addc_u32 s3, s17, 0
	s_and_b32 s10, s7, 28
	s_mov_b32 s11, 0
	s_mov_b64 s[4:5], s[16:17]
.LBB385_1091:                           ; =>This Inner Loop Header: Depth=1
	s_clause 0x1
	s_load_b256 s[36:43], s[4:5], 0x4
	s_load_b128 s[12:15], s[4:5], 0x24
	s_load_b256 s[44:51], s[2:3], 0x0
	s_add_u32 s4, s4, 48
	s_addc_u32 s5, s5, 0
	s_add_i32 s11, s11, 4
	s_add_u32 s2, s2, 32
	s_addc_u32 s3, s3, 0
	s_cmp_lg_u32 s10, s11
	s_waitcnt lgkmcnt(0)
	v_mul_hi_u32 v10, s37, v9
	s_delay_alu instid0(VALU_DEP_1) | instskip(NEXT) | instid1(VALU_DEP_1)
	v_add_nc_u32_e32 v10, v9, v10
	v_lshrrev_b32_e32 v10, s38, v10
	s_delay_alu instid0(VALU_DEP_1) | instskip(SKIP_1) | instid1(VALU_DEP_2)
	v_mul_hi_u32 v11, s40, v10
	v_mul_lo_u32 v13, v10, s36
	v_add_nc_u32_e32 v11, v10, v11
	s_delay_alu instid0(VALU_DEP_2) | instskip(NEXT) | instid1(VALU_DEP_2)
	v_sub_nc_u32_e32 v9, v9, v13
	v_lshrrev_b32_e32 v11, s41, v11
	s_delay_alu instid0(VALU_DEP_2) | instskip(SKIP_1) | instid1(VALU_DEP_3)
	v_mul_lo_u32 v13, v9, s44
	v_mul_lo_u32 v15, v9, s45
	v_mul_hi_u32 v12, s43, v11
	s_delay_alu instid0(VALU_DEP_1) | instskip(NEXT) | instid1(VALU_DEP_1)
	v_add_nc_u32_e32 v12, v11, v12
	v_lshrrev_b32_e32 v12, s12, v12
	s_delay_alu instid0(VALU_DEP_1) | instskip(SKIP_1) | instid1(VALU_DEP_2)
	v_mul_hi_u32 v14, s14, v12
	v_mul_lo_u32 v16, v12, s42
	v_add_nc_u32_e32 v9, v12, v14
	v_mul_lo_u32 v14, v11, s39
	s_delay_alu instid0(VALU_DEP_3) | instskip(NEXT) | instid1(VALU_DEP_3)
	v_sub_nc_u32_e32 v11, v11, v16
	v_lshrrev_b32_e32 v9, s15, v9
	s_delay_alu instid0(VALU_DEP_2) | instskip(SKIP_2) | instid1(VALU_DEP_4)
	v_mul_lo_u32 v16, v11, s48
	v_mul_lo_u32 v11, v11, s49
	v_sub_nc_u32_e32 v10, v10, v14
	v_mul_lo_u32 v17, v9, s13
	s_delay_alu instid0(VALU_DEP_2) | instskip(SKIP_1) | instid1(VALU_DEP_3)
	v_mul_lo_u32 v14, v10, s46
	v_mul_lo_u32 v10, v10, s47
	v_sub_nc_u32_e32 v12, v12, v17
	s_delay_alu instid0(VALU_DEP_3) | instskip(NEXT) | instid1(VALU_DEP_2)
	v_add3_u32 v1, v13, v1, v14
	v_mul_lo_u32 v17, v12, s50
	v_mul_lo_u32 v12, v12, s51
	v_add3_u32 v5, v15, v5, v10
	s_delay_alu instid0(VALU_DEP_3) | instskip(NEXT) | instid1(VALU_DEP_2)
	v_add3_u32 v1, v16, v1, v17
	v_add3_u32 v5, v11, v5, v12
	s_cbranch_scc1 .LBB385_1091
; %bb.1092:
	s_and_b32 s7, s7, 3
	s_delay_alu instid0(SALU_CYCLE_1)
	s_cmp_eq_u32 s7, 0
	s_cbranch_scc0 .LBB385_1095
	s_branch .LBB385_1097
.LBB385_1093:
	s_mov_b32 s6, -1
                                        ; implicit-def: $vgpr1
                                        ; implicit-def: $vgpr5
	s_branch .LBB385_1097
.LBB385_1094:
	v_mov_b32_e32 v9, v4
	v_mov_b32_e32 v5, 0
	s_and_b32 s7, s7, 3
	s_delay_alu instid0(SALU_CYCLE_1)
	s_cmp_eq_u32 s7, 0
	s_cbranch_scc1 .LBB385_1097
.LBB385_1095:
	s_lshl_b32 s2, s10, 3
	s_mul_i32 s4, s10, 12
	s_add_u32 s2, s2, s16
	s_addc_u32 s3, 0, s17
	s_add_u32 s2, s2, 0xc4
	s_addc_u32 s3, s3, 0
	;; [unrolled: 2-line block ×3, first 2 shown]
	.p2align	6
.LBB385_1096:                           ; =>This Inner Loop Header: Depth=1
	s_clause 0x1
	s_load_b64 s[10:11], s[4:5], 0x4
	s_load_b32 s14, s[4:5], 0xc
	s_load_b64 s[12:13], s[2:3], 0x0
	s_add_u32 s4, s4, 12
	s_addc_u32 s5, s5, 0
	s_add_u32 s2, s2, 8
	s_addc_u32 s3, s3, 0
	s_add_i32 s7, s7, -1
	s_delay_alu instid0(SALU_CYCLE_1) | instskip(SKIP_2) | instid1(VALU_DEP_1)
	s_cmp_lg_u32 s7, 0
	s_waitcnt lgkmcnt(0)
	v_mul_hi_u32 v10, s11, v9
	v_add_nc_u32_e32 v10, v9, v10
	s_delay_alu instid0(VALU_DEP_1) | instskip(NEXT) | instid1(VALU_DEP_1)
	v_lshrrev_b32_e32 v13, s14, v10
	v_mul_lo_u32 v10, v13, s10
	s_delay_alu instid0(VALU_DEP_1) | instskip(NEXT) | instid1(VALU_DEP_1)
	v_sub_nc_u32_e32 v9, v9, v10
	v_mad_u64_u32 v[10:11], null, v9, s12, v[1:2]
	v_mad_u64_u32 v[11:12], null, v9, s13, v[5:6]
	v_mov_b32_e32 v9, v13
	s_delay_alu instid0(VALU_DEP_3) | instskip(NEXT) | instid1(VALU_DEP_3)
	v_mov_b32_e32 v1, v10
	v_mov_b32_e32 v5, v11
	s_cbranch_scc1 .LBB385_1096
.LBB385_1097:
	s_and_not1_b32 vcc_lo, exec_lo, s6
	s_cbranch_vccnz .LBB385_1100
; %bb.1098:
	s_clause 0x1
	s_load_b128 s[4:7], s[16:17], 0x4
	s_load_b64 s[2:3], s[16:17], 0xc4
	s_cmp_lt_u32 s24, 2
	s_waitcnt lgkmcnt(0)
	v_mul_hi_u32 v1, s5, v4
	s_delay_alu instid0(VALU_DEP_1) | instskip(NEXT) | instid1(VALU_DEP_1)
	v_add_nc_u32_e32 v1, v4, v1
	v_lshrrev_b32_e32 v9, s6, v1
	s_delay_alu instid0(VALU_DEP_1) | instskip(NEXT) | instid1(VALU_DEP_1)
	v_mul_lo_u32 v1, v9, s4
	v_sub_nc_u32_e32 v4, v4, v1
	s_delay_alu instid0(VALU_DEP_1)
	v_mul_lo_u32 v1, v4, s2
	v_mul_lo_u32 v5, v4, s3
	s_cbranch_scc1 .LBB385_1100
; %bb.1099:
	s_clause 0x1
	s_load_b128 s[4:7], s[16:17], 0x10
	s_load_b64 s[2:3], s[16:17], 0xcc
	s_waitcnt lgkmcnt(0)
	v_mul_hi_u32 v4, s5, v9
	s_delay_alu instid0(VALU_DEP_1) | instskip(NEXT) | instid1(VALU_DEP_1)
	v_add_nc_u32_e32 v4, v9, v4
	v_lshrrev_b32_e32 v4, s6, v4
	s_delay_alu instid0(VALU_DEP_1) | instskip(NEXT) | instid1(VALU_DEP_1)
	v_mul_lo_u32 v4, v4, s4
	v_sub_nc_u32_e32 v4, v9, v4
	s_delay_alu instid0(VALU_DEP_1) | instskip(SKIP_1) | instid1(VALU_DEP_2)
	v_mad_u64_u32 v[9:10], null, v4, s2, v[1:2]
	v_mad_u64_u32 v[10:11], null, v4, s3, v[5:6]
	v_mov_b32_e32 v1, v9
	s_delay_alu instid0(VALU_DEP_2)
	v_mov_b32_e32 v5, v10
.LBB385_1100:
	v_cmp_ne_u32_e32 vcc_lo, 1, v0
	s_cbranch_vccnz .LBB385_1106
; %bb.1101:
	v_mov_b32_e32 v0, 0
	v_mov_b32_e32 v4, 0
	s_cmp_lg_u32 s24, 0
	s_mov_b32 s6, 0
	s_cbranch_scc0 .LBB385_1110
; %bb.1102:
	s_min_u32 s7, s25, 15
	v_mov_b32_e32 v0, 0
	s_add_i32 s7, s7, 1
	s_cmp_eq_u32 s25, 2
	s_mov_b32 s10, 0
	s_cbranch_scc1 .LBB385_1107
; %bb.1103:
	v_dual_mov_b32 v4, 0 :: v_dual_mov_b32 v9, v8
	v_mov_b32_e32 v0, 0
	s_add_u32 s2, s16, 0xc4
	s_addc_u32 s3, s17, 0
	s_and_b32 s10, s7, 28
	s_mov_b32 s11, 0
	s_mov_b64 s[4:5], s[16:17]
.LBB385_1104:                           ; =>This Inner Loop Header: Depth=1
	s_clause 0x1
	s_load_b256 s[36:43], s[4:5], 0x4
	s_load_b128 s[12:15], s[4:5], 0x24
	s_load_b256 s[44:51], s[2:3], 0x0
	s_add_u32 s4, s4, 48
	s_addc_u32 s5, s5, 0
	s_add_i32 s11, s11, 4
	s_add_u32 s2, s2, 32
	s_addc_u32 s3, s3, 0
	s_cmp_lg_u32 s10, s11
	s_waitcnt lgkmcnt(0)
	v_mul_hi_u32 v10, s37, v9
	s_delay_alu instid0(VALU_DEP_1) | instskip(NEXT) | instid1(VALU_DEP_1)
	v_add_nc_u32_e32 v10, v9, v10
	v_lshrrev_b32_e32 v10, s38, v10
	s_delay_alu instid0(VALU_DEP_1) | instskip(SKIP_1) | instid1(VALU_DEP_2)
	v_mul_hi_u32 v11, s40, v10
	v_mul_lo_u32 v13, v10, s36
	v_add_nc_u32_e32 v11, v10, v11
	s_delay_alu instid0(VALU_DEP_2) | instskip(NEXT) | instid1(VALU_DEP_2)
	v_sub_nc_u32_e32 v9, v9, v13
	v_lshrrev_b32_e32 v11, s41, v11
	s_delay_alu instid0(VALU_DEP_2) | instskip(SKIP_1) | instid1(VALU_DEP_3)
	v_mul_lo_u32 v13, v9, s44
	v_mul_lo_u32 v15, v9, s45
	v_mul_hi_u32 v12, s43, v11
	s_delay_alu instid0(VALU_DEP_1) | instskip(NEXT) | instid1(VALU_DEP_1)
	v_add_nc_u32_e32 v12, v11, v12
	v_lshrrev_b32_e32 v12, s12, v12
	s_delay_alu instid0(VALU_DEP_1) | instskip(SKIP_1) | instid1(VALU_DEP_2)
	v_mul_hi_u32 v14, s14, v12
	v_mul_lo_u32 v16, v12, s42
	v_add_nc_u32_e32 v9, v12, v14
	v_mul_lo_u32 v14, v11, s39
	s_delay_alu instid0(VALU_DEP_3) | instskip(NEXT) | instid1(VALU_DEP_3)
	v_sub_nc_u32_e32 v11, v11, v16
	v_lshrrev_b32_e32 v9, s15, v9
	s_delay_alu instid0(VALU_DEP_2) | instskip(SKIP_2) | instid1(VALU_DEP_4)
	v_mul_lo_u32 v16, v11, s48
	v_mul_lo_u32 v11, v11, s49
	v_sub_nc_u32_e32 v10, v10, v14
	v_mul_lo_u32 v17, v9, s13
	s_delay_alu instid0(VALU_DEP_2) | instskip(SKIP_1) | instid1(VALU_DEP_3)
	v_mul_lo_u32 v14, v10, s46
	v_mul_lo_u32 v10, v10, s47
	v_sub_nc_u32_e32 v12, v12, v17
	s_delay_alu instid0(VALU_DEP_3) | instskip(NEXT) | instid1(VALU_DEP_2)
	v_add3_u32 v0, v13, v0, v14
	v_mul_lo_u32 v17, v12, s50
	v_mul_lo_u32 v12, v12, s51
	v_add3_u32 v4, v15, v4, v10
	s_delay_alu instid0(VALU_DEP_3) | instskip(NEXT) | instid1(VALU_DEP_2)
	v_add3_u32 v0, v16, v0, v17
	v_add3_u32 v4, v11, v4, v12
	s_cbranch_scc1 .LBB385_1104
; %bb.1105:
	s_and_b32 s7, s7, 3
	s_delay_alu instid0(SALU_CYCLE_1)
	s_cmp_eq_u32 s7, 0
	s_cbranch_scc0 .LBB385_1108
	s_branch .LBB385_1110
.LBB385_1106:
	s_mov_b32 s6, -1
                                        ; implicit-def: $vgpr0
                                        ; implicit-def: $vgpr4
	s_branch .LBB385_1110
.LBB385_1107:
	v_dual_mov_b32 v9, v8 :: v_dual_mov_b32 v4, 0
	s_and_b32 s7, s7, 3
	s_delay_alu instid0(SALU_CYCLE_1)
	s_cmp_eq_u32 s7, 0
	s_cbranch_scc1 .LBB385_1110
.LBB385_1108:
	s_lshl_b32 s2, s10, 3
	s_mul_i32 s4, s10, 12
	s_add_u32 s2, s2, s16
	s_addc_u32 s3, 0, s17
	s_add_u32 s2, s2, 0xc4
	s_addc_u32 s3, s3, 0
	s_add_u32 s4, s16, s4
	s_addc_u32 s5, 0, s17
	.p2align	6
.LBB385_1109:                           ; =>This Inner Loop Header: Depth=1
	s_clause 0x1
	s_load_b64 s[10:11], s[4:5], 0x4
	s_load_b32 s14, s[4:5], 0xc
	s_load_b64 s[12:13], s[2:3], 0x0
	s_add_u32 s4, s4, 12
	s_addc_u32 s5, s5, 0
	s_add_u32 s2, s2, 8
	s_addc_u32 s3, s3, 0
	s_add_i32 s7, s7, -1
	s_delay_alu instid0(SALU_CYCLE_1) | instskip(SKIP_2) | instid1(VALU_DEP_1)
	s_cmp_lg_u32 s7, 0
	s_waitcnt lgkmcnt(0)
	v_mul_hi_u32 v10, s11, v9
	v_add_nc_u32_e32 v10, v9, v10
	s_delay_alu instid0(VALU_DEP_1) | instskip(NEXT) | instid1(VALU_DEP_1)
	v_lshrrev_b32_e32 v13, s14, v10
	v_mul_lo_u32 v10, v13, s10
	s_delay_alu instid0(VALU_DEP_1) | instskip(NEXT) | instid1(VALU_DEP_1)
	v_sub_nc_u32_e32 v9, v9, v10
	v_mad_u64_u32 v[10:11], null, v9, s12, v[0:1]
	v_mad_u64_u32 v[11:12], null, v9, s13, v[4:5]
	s_delay_alu instid0(VALU_DEP_2) | instskip(NEXT) | instid1(VALU_DEP_2)
	v_dual_mov_b32 v9, v13 :: v_dual_mov_b32 v0, v10
	v_mov_b32_e32 v4, v11
	s_cbranch_scc1 .LBB385_1109
.LBB385_1110:
	s_and_not1_b32 vcc_lo, exec_lo, s6
	s_cbranch_vccnz .LBB385_1113
; %bb.1111:
	s_clause 0x1
	s_load_b128 s[4:7], s[16:17], 0x4
	s_load_b64 s[2:3], s[16:17], 0xc4
	s_cmp_lt_u32 s24, 2
	s_waitcnt lgkmcnt(0)
	v_mul_hi_u32 v0, s5, v8
	s_delay_alu instid0(VALU_DEP_1) | instskip(NEXT) | instid1(VALU_DEP_1)
	v_add_nc_u32_e32 v0, v8, v0
	v_lshrrev_b32_e32 v9, s6, v0
	s_delay_alu instid0(VALU_DEP_1) | instskip(NEXT) | instid1(VALU_DEP_1)
	v_mul_lo_u32 v0, v9, s4
	v_sub_nc_u32_e32 v4, v8, v0
	s_delay_alu instid0(VALU_DEP_1)
	v_mul_lo_u32 v0, v4, s2
	v_mul_lo_u32 v4, v4, s3
	s_cbranch_scc1 .LBB385_1113
; %bb.1112:
	s_clause 0x1
	s_load_b128 s[4:7], s[16:17], 0x10
	s_load_b64 s[2:3], s[16:17], 0xcc
	s_waitcnt lgkmcnt(0)
	v_mul_hi_u32 v8, s5, v9
	s_delay_alu instid0(VALU_DEP_1) | instskip(NEXT) | instid1(VALU_DEP_1)
	v_add_nc_u32_e32 v8, v9, v8
	v_lshrrev_b32_e32 v8, s6, v8
	s_delay_alu instid0(VALU_DEP_1) | instskip(NEXT) | instid1(VALU_DEP_1)
	v_mul_lo_u32 v8, v8, s4
	v_sub_nc_u32_e32 v11, v9, v8
	s_delay_alu instid0(VALU_DEP_1) | instskip(SKIP_1) | instid1(VALU_DEP_2)
	v_mad_u64_u32 v[8:9], null, v11, s2, v[0:1]
	v_mad_u64_u32 v[9:10], null, v11, s3, v[4:5]
	v_mov_b32_e32 v0, v8
	s_delay_alu instid0(VALU_DEP_2)
	v_mov_b32_e32 v4, v9
.LBB385_1113:
	s_clause 0x1
	s_load_b32 s0, s[0:1], 0x160
	s_load_b128 s[4:7], s[16:17], 0x148
	s_mov_b32 s10, 0
	s_waitcnt lgkmcnt(0)
	s_lshr_b32 s2, s0, 24
	v_add_co_u32 v7, s3, s6, v7
	v_cmp_lt_i16_e64 s1, s2, 11
	v_add_co_ci_u32_e64 v8, null, s7, 0, s3
	s_delay_alu instid0(VALU_DEP_2)
	s_and_b32 vcc_lo, exec_lo, s1
	s_cbranch_vccnz .LBB385_1120
; %bb.1114:
	v_cmp_gt_i16_e64 s1, s2, 25
	s_mov_b32 s3, 0
	s_delay_alu instid0(VALU_DEP_1)
	s_and_b32 vcc_lo, exec_lo, s1
	s_cbranch_vccz .LBB385_1126
; %bb.1115:
	v_cmp_gt_i16_e64 s1, s2, 28
	s_delay_alu instid0(VALU_DEP_1)
	s_and_b32 vcc_lo, exec_lo, s1
	s_cbranch_vccz .LBB385_1128
; %bb.1116:
	v_cmp_gt_i16_e64 s1, s2, 43
	;; [unrolled: 5-line block ×3, first 2 shown]
	s_delay_alu instid0(VALU_DEP_1)
	s_and_b32 vcc_lo, exec_lo, s1
	s_cbranch_vccz .LBB385_1134
; %bb.1118:
	v_cmp_eq_u16_e64 s1, s2, 46
	s_mov_b32 s11, 0
	s_delay_alu instid0(VALU_DEP_1)
	s_and_b32 vcc_lo, exec_lo, s1
	s_cbranch_vccz .LBB385_1176
; %bb.1119:
	global_load_b32 v9, v[7:8], off
	s_mov_b32 s1, 0
	s_mov_b32 s10, -1
	s_waitcnt vmcnt(0)
	v_lshlrev_b32_e32 v9, 16, v9
	s_delay_alu instid0(VALU_DEP_1)
	v_cvt_i32_f32_e32 v10, v9
	s_branch .LBB385_1178
.LBB385_1120:
	s_mov_b32 s1, s8
                                        ; implicit-def: $vgpr10
	s_cbranch_execz .LBB385_1236
; %bb.1121:
	v_cmp_lt_i16_e64 s3, s2, 5
	s_delay_alu instid0(VALU_DEP_1)
	s_and_b32 vcc_lo, exec_lo, s3
	s_cbranch_vccnz .LBB385_1127
; %bb.1122:
	v_cmp_lt_i16_e64 s3, s2, 8
	s_delay_alu instid0(VALU_DEP_1)
	s_and_b32 vcc_lo, exec_lo, s3
	s_cbranch_vccnz .LBB385_1129
	;; [unrolled: 5-line block ×3, first 2 shown]
; %bb.1124:
	v_cmp_gt_i16_e64 s3, s2, 9
	s_delay_alu instid0(VALU_DEP_1)
	s_and_b32 vcc_lo, exec_lo, s3
	s_cbranch_vccz .LBB385_1135
; %bb.1125:
	global_load_b64 v[9:10], v[7:8], off
	s_mov_b32 s3, 0
	s_waitcnt vmcnt(0)
	v_cvt_i32_f64_e32 v10, v[9:10]
	s_branch .LBB385_1136
.LBB385_1126:
	s_mov_b32 s1, 0
                                        ; implicit-def: $vgpr10
	s_cbranch_execnz .LBB385_1203
	s_branch .LBB385_1232
.LBB385_1127:
                                        ; implicit-def: $vgpr10
	s_branch .LBB385_1153
.LBB385_1128:
	s_mov_b32 s1, 0
                                        ; implicit-def: $vgpr10
	s_cbranch_execz .LBB385_1202
	s_branch .LBB385_1187
.LBB385_1129:
                                        ; implicit-def: $vgpr10
	s_branch .LBB385_1142
.LBB385_1130:
	s_mov_b32 s1, 0
                                        ; implicit-def: $vgpr10
	s_cbranch_execnz .LBB385_1183
	s_branch .LBB385_1186
.LBB385_1131:
	s_mov_b32 s3, -1
                                        ; implicit-def: $vgpr10
	s_branch .LBB385_1139
.LBB385_1132:
	s_cbranch_execnz .LBB385_1174
; %bb.1133:
	s_or_b32 s3, s3, exec_lo
	s_and_not1_b32 s8, s8, exec_lo
	s_or_b32 exec_lo, exec_lo, s2
	s_and_saveexec_b32 s2, s8
	s_delay_alu instid0(SALU_CYCLE_1)
	s_xor_b32 s2, exec_lo, s2
	s_cbranch_execnz .LBB385_1020
	s_branch .LBB385_1021
.LBB385_1134:
	s_mov_b32 s11, -1
	s_mov_b32 s1, 0
	s_branch .LBB385_1177
.LBB385_1135:
	s_mov_b32 s3, -1
                                        ; implicit-def: $vgpr10
.LBB385_1136:
	s_delay_alu instid0(SALU_CYCLE_1)
	s_and_not1_b32 vcc_lo, exec_lo, s3
	s_cbranch_vccnz .LBB385_1138
; %bb.1137:
	global_load_b32 v9, v[7:8], off
	s_waitcnt vmcnt(0)
	v_cvt_i32_f32_e32 v10, v9
.LBB385_1138:
	s_mov_b32 s3, 0
.LBB385_1139:
	s_delay_alu instid0(SALU_CYCLE_1)
	s_and_not1_b32 vcc_lo, exec_lo, s3
	s_cbranch_vccnz .LBB385_1141
; %bb.1140:
	global_load_b32 v9, v[7:8], off
	s_waitcnt vmcnt(0)
	v_cvt_i16_f16_e32 v10, v9
.LBB385_1141:
	s_cbranch_execnz .LBB385_1152
.LBB385_1142:
	v_cmp_lt_i16_e64 s3, s2, 6
	s_delay_alu instid0(VALU_DEP_1)
	s_and_b32 vcc_lo, exec_lo, s3
	s_cbranch_vccnz .LBB385_1145
; %bb.1143:
	v_cmp_gt_i16_e64 s3, s2, 6
	s_delay_alu instid0(VALU_DEP_1)
	s_and_b32 vcc_lo, exec_lo, s3
	s_cbranch_vccz .LBB385_1146
; %bb.1144:
	global_load_b64 v[9:10], v[7:8], off
	s_mov_b32 s3, 0
	s_waitcnt vmcnt(0)
	v_cvt_i32_f64_e32 v10, v[9:10]
	s_branch .LBB385_1147
.LBB385_1145:
	s_mov_b32 s3, -1
                                        ; implicit-def: $vgpr10
	s_branch .LBB385_1150
.LBB385_1146:
	s_mov_b32 s3, -1
                                        ; implicit-def: $vgpr10
.LBB385_1147:
	s_delay_alu instid0(SALU_CYCLE_1)
	s_and_not1_b32 vcc_lo, exec_lo, s3
	s_cbranch_vccnz .LBB385_1149
; %bb.1148:
	global_load_b32 v9, v[7:8], off
	s_waitcnt vmcnt(0)
	v_cvt_i32_f32_e32 v10, v9
.LBB385_1149:
	s_mov_b32 s3, 0
.LBB385_1150:
	s_delay_alu instid0(SALU_CYCLE_1)
	s_and_not1_b32 vcc_lo, exec_lo, s3
	s_cbranch_vccnz .LBB385_1152
; %bb.1151:
	global_load_u16 v9, v[7:8], off
	s_waitcnt vmcnt(0)
	v_cvt_i16_f16_e32 v10, v9
.LBB385_1152:
	s_cbranch_execnz .LBB385_1171
.LBB385_1153:
	v_cmp_lt_i16_e64 s3, s2, 2
	s_delay_alu instid0(VALU_DEP_1)
	s_and_b32 vcc_lo, exec_lo, s3
	s_cbranch_vccnz .LBB385_1157
; %bb.1154:
	v_cmp_lt_i16_e64 s3, s2, 3
	s_delay_alu instid0(VALU_DEP_1)
	s_and_b32 vcc_lo, exec_lo, s3
	s_cbranch_vccnz .LBB385_1158
; %bb.1155:
	v_cmp_gt_i16_e64 s3, s2, 3
	s_delay_alu instid0(VALU_DEP_1)
	s_and_b32 vcc_lo, exec_lo, s3
	s_cbranch_vccz .LBB385_1159
; %bb.1156:
	global_load_b64 v[10:11], v[7:8], off
	s_mov_b32 s3, 0
	s_branch .LBB385_1160
.LBB385_1157:
                                        ; implicit-def: $vgpr10
	s_branch .LBB385_1166
.LBB385_1158:
	s_mov_b32 s3, -1
                                        ; implicit-def: $vgpr10
	s_branch .LBB385_1163
.LBB385_1159:
	s_mov_b32 s3, -1
                                        ; implicit-def: $vgpr10
.LBB385_1160:
	s_delay_alu instid0(SALU_CYCLE_1)
	s_and_not1_b32 vcc_lo, exec_lo, s3
	s_cbranch_vccnz .LBB385_1162
; %bb.1161:
	global_load_b32 v10, v[7:8], off
.LBB385_1162:
	s_mov_b32 s3, 0
.LBB385_1163:
	s_delay_alu instid0(SALU_CYCLE_1)
	s_and_not1_b32 vcc_lo, exec_lo, s3
	s_cbranch_vccnz .LBB385_1165
; %bb.1164:
	global_load_u16 v10, v[7:8], off
.LBB385_1165:
	s_cbranch_execnz .LBB385_1171
.LBB385_1166:
	v_cmp_gt_i16_e64 s3, s2, 0
	s_delay_alu instid0(VALU_DEP_1)
	s_and_b32 vcc_lo, exec_lo, s3
	s_mov_b32 s3, 0
	s_cbranch_vccz .LBB385_1168
; %bb.1167:
	global_load_i8 v10, v[7:8], off
	s_branch .LBB385_1169
.LBB385_1168:
	s_mov_b32 s3, -1
                                        ; implicit-def: $vgpr10
.LBB385_1169:
	s_delay_alu instid0(SALU_CYCLE_1)
	s_and_not1_b32 vcc_lo, exec_lo, s3
	s_cbranch_vccnz .LBB385_1171
; %bb.1170:
	global_load_u8 v10, v[7:8], off
.LBB385_1171:
	s_branch .LBB385_1237
.LBB385_1172:
	s_trap 2
	s_sendmsg_rtn_b32 s0, sendmsg(MSG_RTN_GET_DOORBELL)
	s_mov_b32 ttmp2, m0
	s_waitcnt lgkmcnt(0)
	s_and_b32 s0, s0, 0x3ff
	s_delay_alu instid0(SALU_CYCLE_1) | instskip(NEXT) | instid1(SALU_CYCLE_1)
	s_bitset1_b32 s0, 10
	s_mov_b32 m0, s0
	s_sendmsg sendmsg(MSG_INTERRUPT)
	s_mov_b32 m0, ttmp2
.LBB385_1173:                           ; =>This Inner Loop Header: Depth=1
	s_sethalt 5
	s_branch .LBB385_1173
.LBB385_1174:
	s_trap 2
	s_sendmsg_rtn_b32 s0, sendmsg(MSG_RTN_GET_DOORBELL)
	s_mov_b32 ttmp2, m0
	s_waitcnt lgkmcnt(0)
	s_and_b32 s0, s0, 0x3ff
	s_delay_alu instid0(SALU_CYCLE_1) | instskip(NEXT) | instid1(SALU_CYCLE_1)
	s_bitset1_b32 s0, 10
	s_mov_b32 m0, s0
	s_sendmsg sendmsg(MSG_INTERRUPT)
	s_mov_b32 m0, ttmp2
.LBB385_1175:                           ; =>This Inner Loop Header: Depth=1
	s_sethalt 5
	s_branch .LBB385_1175
.LBB385_1176:
	s_mov_b32 s1, -1
.LBB385_1177:
                                        ; implicit-def: $vgpr10
.LBB385_1178:
	s_and_b32 vcc_lo, exec_lo, s11
	s_cbranch_vccz .LBB385_1181
; %bb.1179:
	v_cmp_eq_u16_e64 s1, s2, 44
	s_delay_alu instid0(VALU_DEP_1)
	s_and_b32 vcc_lo, exec_lo, s1
	s_cbranch_vccz .LBB385_1182
; %bb.1180:
	global_load_u8 v9, v[7:8], off
	s_mov_b32 s1, 0
	s_mov_b32 s10, -1
	s_waitcnt vmcnt(0)
	v_lshlrev_b32_e32 v10, 23, v9
	v_cmp_ne_u32_e32 vcc_lo, 0, v9
	s_delay_alu instid0(VALU_DEP_2) | instskip(NEXT) | instid1(VALU_DEP_1)
	v_cvt_i32_f32_e32 v10, v10
	v_cndmask_b32_e32 v10, 0, v10, vcc_lo
.LBB385_1181:
	s_branch .LBB385_1186
.LBB385_1182:
	s_mov_b32 s1, -1
                                        ; implicit-def: $vgpr10
	s_branch .LBB385_1186
.LBB385_1183:
	v_cmp_eq_u16_e64 s1, s2, 29
	s_delay_alu instid0(VALU_DEP_1)
	s_and_b32 vcc_lo, exec_lo, s1
	s_cbranch_vccz .LBB385_1185
; %bb.1184:
	global_load_b64 v[10:11], v[7:8], off
	s_mov_b32 s1, 0
	s_mov_b32 s10, -1
	s_branch .LBB385_1186
.LBB385_1185:
	s_mov_b32 s1, -1
                                        ; implicit-def: $vgpr10
.LBB385_1186:
	s_branch .LBB385_1202
.LBB385_1187:
	v_cmp_lt_i16_e64 s10, s2, 27
	s_delay_alu instid0(VALU_DEP_1)
	s_and_b32 vcc_lo, exec_lo, s10
	s_cbranch_vccnz .LBB385_1190
; %bb.1188:
	v_cmp_gt_i16_e64 s10, s2, 27
	s_delay_alu instid0(VALU_DEP_1)
	s_and_b32 vcc_lo, exec_lo, s10
	s_cbranch_vccz .LBB385_1191
; %bb.1189:
	global_load_b32 v10, v[7:8], off
	s_mov_b32 s10, 0
	s_branch .LBB385_1192
.LBB385_1190:
	s_mov_b32 s10, -1
                                        ; implicit-def: $vgpr10
	s_branch .LBB385_1195
.LBB385_1191:
	s_mov_b32 s10, -1
                                        ; implicit-def: $vgpr10
.LBB385_1192:
	s_delay_alu instid0(SALU_CYCLE_1)
	s_and_not1_b32 vcc_lo, exec_lo, s10
	s_cbranch_vccnz .LBB385_1194
; %bb.1193:
	global_load_u16 v10, v[7:8], off
.LBB385_1194:
	s_mov_b32 s10, 0
.LBB385_1195:
	s_delay_alu instid0(SALU_CYCLE_1)
	s_and_not1_b32 vcc_lo, exec_lo, s10
	s_cbranch_vccnz .LBB385_1201
; %bb.1196:
	global_load_u8 v9, v[7:8], off
	s_mov_b32 s10, 0
	s_mov_b32 s11, exec_lo
                                        ; implicit-def: $sgpr12
	s_waitcnt vmcnt(0)
	v_cmpx_lt_i16_e32 0x7f, v9
	s_xor_b32 s11, exec_lo, s11
	s_cbranch_execz .LBB385_1212
; %bb.1197:
	v_cmp_ne_u16_e32 vcc_lo, 0x80, v9
	s_mov_b32 s12, 0
	s_and_b32 s10, vcc_lo, exec_lo
	s_or_saveexec_b32 s11, s11
	v_mov_b32_e32 v10, s12
	s_xor_b32 exec_lo, exec_lo, s11
	s_cbranch_execnz .LBB385_1213
.LBB385_1198:
	s_or_b32 exec_lo, exec_lo, s11
	s_and_saveexec_b32 s11, s10
	s_cbranch_execz .LBB385_1200
.LBB385_1199:
	v_and_b32_e32 v10, 0xffff, v9
	v_lshlrev_b32_e32 v9, 24, v9
	s_delay_alu instid0(VALU_DEP_2) | instskip(NEXT) | instid1(VALU_DEP_2)
	v_and_b32_e32 v11, 7, v10
	v_and_b32_e32 v9, 0x80000000, v9
	s_delay_alu instid0(VALU_DEP_2) | instskip(NEXT) | instid1(VALU_DEP_1)
	v_clz_i32_u32_e32 v12, v11
	v_min_u32_e32 v12, 32, v12
	s_delay_alu instid0(VALU_DEP_1) | instskip(SKIP_1) | instid1(VALU_DEP_2)
	v_subrev_nc_u32_e32 v13, 28, v12
	v_sub_nc_u32_e32 v12, 29, v12
	v_lshlrev_b32_e32 v13, v13, v10
	v_bfe_u32 v10, v10, 3, 4
	s_delay_alu instid0(VALU_DEP_2) | instskip(NEXT) | instid1(VALU_DEP_2)
	v_and_b32_e32 v13, 7, v13
	v_cmp_eq_u32_e32 vcc_lo, 0, v10
	s_delay_alu instid0(VALU_DEP_2) | instskip(NEXT) | instid1(VALU_DEP_1)
	v_dual_cndmask_b32 v10, v10, v12 :: v_dual_cndmask_b32 v11, v11, v13
	v_lshl_add_u32 v10, v10, 23, 0x3b800000
	s_delay_alu instid0(VALU_DEP_2) | instskip(NEXT) | instid1(VALU_DEP_1)
	v_lshlrev_b32_e32 v11, 20, v11
	v_or3_b32 v9, v9, v10, v11
	s_delay_alu instid0(VALU_DEP_1)
	v_cvt_i32_f32_e32 v10, v9
.LBB385_1200:
	s_or_b32 exec_lo, exec_lo, s11
.LBB385_1201:
	s_mov_b32 s10, -1
.LBB385_1202:
	s_branch .LBB385_1232
.LBB385_1203:
	v_cmp_gt_i16_e64 s3, s2, 22
	s_delay_alu instid0(VALU_DEP_1)
	s_and_b32 vcc_lo, exec_lo, s3
	s_cbranch_vccz .LBB385_1211
; %bb.1204:
	v_cmp_lt_i16_e64 s3, s2, 24
	s_delay_alu instid0(VALU_DEP_1)
	s_and_b32 vcc_lo, exec_lo, s3
	s_cbranch_vccnz .LBB385_1214
; %bb.1205:
	v_cmp_gt_i16_e64 s3, s2, 24
	s_delay_alu instid0(VALU_DEP_1)
	s_and_b32 vcc_lo, exec_lo, s3
	s_cbranch_vccz .LBB385_1215
; %bb.1206:
	global_load_u8 v9, v[7:8], off
	s_mov_b32 s3, 0
	s_mov_b32 s10, exec_lo
                                        ; implicit-def: $sgpr11
	s_waitcnt vmcnt(0)
	v_cmpx_lt_i16_e32 0x7f, v9
	s_xor_b32 s10, exec_lo, s10
	s_cbranch_execz .LBB385_1226
; %bb.1207:
	v_cmp_ne_u16_e32 vcc_lo, 0x80, v9
	s_mov_b32 s11, 0
	s_and_b32 s3, vcc_lo, exec_lo
	s_or_saveexec_b32 s10, s10
	v_mov_b32_e32 v10, s11
	s_xor_b32 exec_lo, exec_lo, s10
	s_cbranch_execnz .LBB385_1227
.LBB385_1208:
	s_or_b32 exec_lo, exec_lo, s10
	s_and_saveexec_b32 s10, s3
	s_cbranch_execz .LBB385_1210
.LBB385_1209:
	v_and_b32_e32 v10, 0xffff, v9
	v_lshlrev_b32_e32 v9, 24, v9
	s_delay_alu instid0(VALU_DEP_2) | instskip(NEXT) | instid1(VALU_DEP_2)
	v_and_b32_e32 v11, 3, v10
	v_and_b32_e32 v9, 0x80000000, v9
	s_delay_alu instid0(VALU_DEP_2) | instskip(NEXT) | instid1(VALU_DEP_1)
	v_clz_i32_u32_e32 v12, v11
	v_min_u32_e32 v12, 32, v12
	s_delay_alu instid0(VALU_DEP_1) | instskip(SKIP_1) | instid1(VALU_DEP_2)
	v_subrev_nc_u32_e32 v13, 29, v12
	v_sub_nc_u32_e32 v12, 30, v12
	v_lshlrev_b32_e32 v13, v13, v10
	v_bfe_u32 v10, v10, 2, 5
	s_delay_alu instid0(VALU_DEP_2) | instskip(NEXT) | instid1(VALU_DEP_2)
	v_and_b32_e32 v13, 3, v13
	v_cmp_eq_u32_e32 vcc_lo, 0, v10
	s_delay_alu instid0(VALU_DEP_2) | instskip(NEXT) | instid1(VALU_DEP_1)
	v_dual_cndmask_b32 v10, v10, v12 :: v_dual_cndmask_b32 v11, v11, v13
	v_lshl_add_u32 v10, v10, 23, 0x37800000
	s_delay_alu instid0(VALU_DEP_2) | instskip(NEXT) | instid1(VALU_DEP_1)
	v_lshlrev_b32_e32 v11, 21, v11
	v_or3_b32 v9, v9, v10, v11
	s_delay_alu instid0(VALU_DEP_1)
	v_cvt_i32_f32_e32 v10, v9
.LBB385_1210:
	s_or_b32 exec_lo, exec_lo, s10
	s_mov_b32 s3, 0
	s_branch .LBB385_1216
.LBB385_1211:
                                        ; implicit-def: $vgpr10
	s_mov_b32 s3, 0
	s_branch .LBB385_1222
.LBB385_1212:
	s_or_saveexec_b32 s11, s11
	v_mov_b32_e32 v10, s12
	s_xor_b32 exec_lo, exec_lo, s11
	s_cbranch_execz .LBB385_1198
.LBB385_1213:
	v_cmp_ne_u16_e32 vcc_lo, 0, v9
	v_mov_b32_e32 v10, 0
	s_and_not1_b32 s10, s10, exec_lo
	s_and_b32 s12, vcc_lo, exec_lo
	s_delay_alu instid0(SALU_CYCLE_1)
	s_or_b32 s10, s10, s12
	s_or_b32 exec_lo, exec_lo, s11
	s_and_saveexec_b32 s11, s10
	s_cbranch_execnz .LBB385_1199
	s_branch .LBB385_1200
.LBB385_1214:
	s_mov_b32 s3, -1
                                        ; implicit-def: $vgpr10
	s_branch .LBB385_1219
.LBB385_1215:
	s_mov_b32 s3, -1
                                        ; implicit-def: $vgpr10
.LBB385_1216:
	s_delay_alu instid0(SALU_CYCLE_1)
	s_and_b32 vcc_lo, exec_lo, s3
	s_cbranch_vccz .LBB385_1218
; %bb.1217:
	global_load_u8 v9, v[7:8], off
	s_waitcnt vmcnt(0)
	v_lshlrev_b32_e32 v9, 24, v9
	s_delay_alu instid0(VALU_DEP_1) | instskip(NEXT) | instid1(VALU_DEP_1)
	v_and_b32_e32 v10, 0x7f000000, v9
	v_clz_i32_u32_e32 v11, v10
	v_add_nc_u32_e32 v13, 0x1000000, v10
	v_cmp_ne_u32_e32 vcc_lo, 0, v10
	s_delay_alu instid0(VALU_DEP_3) | instskip(NEXT) | instid1(VALU_DEP_1)
	v_min_u32_e32 v11, 32, v11
	v_sub_nc_u32_e64 v11, v11, 4 clamp
	s_delay_alu instid0(VALU_DEP_1) | instskip(SKIP_1) | instid1(VALU_DEP_2)
	v_lshlrev_b32_e32 v12, v11, v10
	v_lshlrev_b32_e32 v11, 23, v11
	v_lshrrev_b32_e32 v12, 4, v12
	s_delay_alu instid0(VALU_DEP_1) | instskip(SKIP_1) | instid1(VALU_DEP_2)
	v_sub_nc_u32_e32 v11, v12, v11
	v_ashrrev_i32_e32 v12, 8, v13
	v_add_nc_u32_e32 v11, 0x3c000000, v11
	s_delay_alu instid0(VALU_DEP_1) | instskip(NEXT) | instid1(VALU_DEP_1)
	v_and_or_b32 v11, 0x7f800000, v12, v11
	v_cndmask_b32_e32 v10, 0, v11, vcc_lo
	s_delay_alu instid0(VALU_DEP_1) | instskip(NEXT) | instid1(VALU_DEP_1)
	v_and_or_b32 v9, 0x80000000, v9, v10
	v_cvt_i32_f32_e32 v10, v9
.LBB385_1218:
	s_mov_b32 s3, 0
.LBB385_1219:
	s_delay_alu instid0(SALU_CYCLE_1)
	s_and_not1_b32 vcc_lo, exec_lo, s3
	s_cbranch_vccnz .LBB385_1221
; %bb.1220:
	global_load_u8 v9, v[7:8], off
	s_waitcnt vmcnt(0)
	v_lshlrev_b32_e32 v10, 25, v9
	v_lshlrev_b16 v9, 8, v9
	s_delay_alu instid0(VALU_DEP_2) | instskip(NEXT) | instid1(VALU_DEP_2)
	v_lshrrev_b32_e32 v11, 4, v10
	v_and_or_b32 v12, 0x7f00, v9, 0.5
	v_bfe_i32 v9, v9, 0, 16
	s_delay_alu instid0(VALU_DEP_3) | instskip(NEXT) | instid1(VALU_DEP_1)
	v_or_b32_e32 v11, 0x70000000, v11
	v_dual_add_f32 v12, -0.5, v12 :: v_dual_mul_f32 v11, 0x7800000, v11
	v_cmp_gt_u32_e32 vcc_lo, 0x8000000, v10
	s_delay_alu instid0(VALU_DEP_2) | instskip(NEXT) | instid1(VALU_DEP_1)
	v_cndmask_b32_e32 v10, v11, v12, vcc_lo
	v_and_or_b32 v9, 0x80000000, v9, v10
	s_delay_alu instid0(VALU_DEP_1)
	v_cvt_i32_f32_e32 v10, v9
.LBB385_1221:
	s_mov_b32 s10, -1
	s_mov_b32 s3, 0
	s_cbranch_execnz .LBB385_1232
.LBB385_1222:
	v_cmp_gt_i16_e64 s3, s2, 14
	s_delay_alu instid0(VALU_DEP_1)
	s_and_b32 vcc_lo, exec_lo, s3
	s_cbranch_vccz .LBB385_1225
; %bb.1223:
	v_cmp_eq_u16_e64 s1, s2, 15
	s_delay_alu instid0(VALU_DEP_1)
	s_and_b32 vcc_lo, exec_lo, s1
	s_cbranch_vccz .LBB385_1228
; %bb.1224:
	global_load_u16 v9, v[7:8], off
	s_mov_b32 s1, 0
	s_mov_b32 s10, -1
	s_waitcnt vmcnt(0)
	v_lshlrev_b32_e32 v9, 16, v9
	s_delay_alu instid0(VALU_DEP_1)
	v_cvt_i32_f32_e32 v10, v9
	s_branch .LBB385_1229
.LBB385_1225:
	s_mov_b32 s3, -1
                                        ; implicit-def: $vgpr10
	s_branch .LBB385_1230
.LBB385_1226:
	s_or_saveexec_b32 s10, s10
	v_mov_b32_e32 v10, s11
	s_xor_b32 exec_lo, exec_lo, s10
	s_cbranch_execz .LBB385_1208
.LBB385_1227:
	v_cmp_ne_u16_e32 vcc_lo, 0, v9
	v_mov_b32_e32 v10, 0
	s_and_not1_b32 s3, s3, exec_lo
	s_and_b32 s11, vcc_lo, exec_lo
	s_delay_alu instid0(SALU_CYCLE_1)
	s_or_b32 s3, s3, s11
	s_or_b32 exec_lo, exec_lo, s10
	s_and_saveexec_b32 s10, s3
	s_cbranch_execnz .LBB385_1209
	s_branch .LBB385_1210
.LBB385_1228:
	s_mov_b32 s1, -1
                                        ; implicit-def: $vgpr10
.LBB385_1229:
	s_mov_b32 s3, 0
.LBB385_1230:
	s_delay_alu instid0(SALU_CYCLE_1)
	s_and_b32 vcc_lo, exec_lo, s3
	s_mov_b32 s3, 0
	s_cbranch_vccz .LBB385_1232
; %bb.1231:
	v_cmp_ne_u16_e64 s1, s2, 11
	s_mov_b32 s3, -1
                                        ; implicit-def: $vgpr10
.LBB385_1232:
	s_delay_alu instid0(VALU_DEP_1)
	s_and_b32 vcc_lo, exec_lo, s1
	s_mov_b32 s1, s8
	s_cbranch_vccnz .LBB385_1256
; %bb.1233:
	s_and_not1_b32 vcc_lo, exec_lo, s3
	s_cbranch_vccnz .LBB385_1235
.LBB385_1234:
	global_load_u8 v9, v[7:8], off
	s_mov_b32 s10, -1
	s_waitcnt vmcnt(0)
	v_cmp_ne_u16_e32 vcc_lo, 0, v9
	v_cndmask_b32_e64 v10, 0, 1, vcc_lo
.LBB385_1235:
.LBB385_1236:
	s_and_not1_b32 vcc_lo, exec_lo, s10
	s_cbranch_vccnz .LBB385_2057
.LBB385_1237:
	v_cmp_lt_i16_e64 s3, s2, 11
	v_add_co_u32 v6, s10, s6, v6
	s_delay_alu instid0(VALU_DEP_1) | instskip(NEXT) | instid1(VALU_DEP_3)
	v_add_co_ci_u32_e64 v7, null, s7, 0, s10
	s_and_b32 vcc_lo, exec_lo, s3
	s_mov_b32 s11, 0
	s_cbranch_vccnz .LBB385_1244
; %bb.1238:
	v_cmp_gt_i16_e64 s3, s2, 25
	s_mov_b32 s10, 0
	s_delay_alu instid0(VALU_DEP_1)
	s_and_b32 vcc_lo, exec_lo, s3
	s_cbranch_vccz .LBB385_1250
; %bb.1239:
	v_cmp_gt_i16_e64 s3, s2, 28
	s_delay_alu instid0(VALU_DEP_1)
	s_and_b32 vcc_lo, exec_lo, s3
	s_cbranch_vccz .LBB385_1252
; %bb.1240:
	v_cmp_gt_i16_e64 s3, s2, 43
	;; [unrolled: 5-line block ×3, first 2 shown]
	s_delay_alu instid0(VALU_DEP_1)
	s_and_b32 vcc_lo, exec_lo, s3
	s_cbranch_vccz .LBB385_1260
; %bb.1242:
	v_cmp_eq_u16_e64 s3, s2, 46
	s_mov_b32 s12, 0
	s_delay_alu instid0(VALU_DEP_1)
	s_and_b32 vcc_lo, exec_lo, s3
	s_cbranch_vccz .LBB385_1304
; %bb.1243:
	global_load_b32 v8, v[6:7], off
	s_mov_b32 s3, 0
	s_mov_b32 s11, -1
	s_waitcnt vmcnt(0)
	v_lshlrev_b32_e32 v8, 16, v8
	s_delay_alu instid0(VALU_DEP_1)
	v_cvt_i32_f32_e32 v8, v8
	s_branch .LBB385_1306
.LBB385_1244:
                                        ; implicit-def: $vgpr8
	s_cbranch_execz .LBB385_1367
; %bb.1245:
	v_cmp_lt_i16_e64 s3, s2, 5
	s_delay_alu instid0(VALU_DEP_1)
	s_and_b32 vcc_lo, exec_lo, s3
	s_cbranch_vccnz .LBB385_1251
; %bb.1246:
	v_cmp_lt_i16_e64 s3, s2, 8
	s_delay_alu instid0(VALU_DEP_1)
	s_and_b32 vcc_lo, exec_lo, s3
	s_cbranch_vccnz .LBB385_1253
	;; [unrolled: 5-line block ×3, first 2 shown]
; %bb.1248:
	v_cmp_gt_i16_e64 s3, s2, 9
	s_delay_alu instid0(VALU_DEP_1)
	s_and_b32 vcc_lo, exec_lo, s3
	s_cbranch_vccz .LBB385_1261
; %bb.1249:
	global_load_b64 v[8:9], v[6:7], off
	s_mov_b32 s3, 0
	s_waitcnt vmcnt(0)
	v_cvt_i32_f64_e32 v8, v[8:9]
	s_branch .LBB385_1262
.LBB385_1250:
	s_mov_b32 s3, 0
                                        ; implicit-def: $vgpr8
	s_cbranch_execnz .LBB385_1333
	s_branch .LBB385_1363
.LBB385_1251:
                                        ; implicit-def: $vgpr8
	s_branch .LBB385_1280
.LBB385_1252:
	s_mov_b32 s12, -1
	s_mov_b32 s3, 0
                                        ; implicit-def: $vgpr8
	s_branch .LBB385_1316
.LBB385_1253:
	s_mov_b32 s3, -1
                                        ; implicit-def: $vgpr8
	s_branch .LBB385_1268
.LBB385_1254:
	s_mov_b32 s12, -1
	s_mov_b32 s3, 0
                                        ; implicit-def: $vgpr8
	s_branch .LBB385_1311
.LBB385_1255:
	s_mov_b32 s3, -1
                                        ; implicit-def: $vgpr8
	s_branch .LBB385_1265
.LBB385_1256:
	s_cbranch_execnz .LBB385_1300
; %bb.1257:
	s_or_b32 s1, s8, exec_lo
                                        ; implicit-def: $vgpr10
	s_cbranch_execz .LBB385_1234
	s_branch .LBB385_1235
.LBB385_1258:
	s_or_saveexec_b32 s7, s7
                                        ; implicit-def: $sgpr8
	s_delay_alu instid0(SALU_CYCLE_1)
	s_xor_b32 exec_lo, exec_lo, s7
	s_cbranch_execz .LBB385_971
.LBB385_1259:
	v_add_f32_e64 v3, 0x46000000, |v0|
	s_and_not1_b32 s5, s5, exec_lo
	s_mov_b32 s8, 0
	s_delay_alu instid0(VALU_DEP_1) | instskip(NEXT) | instid1(VALU_DEP_1)
	v_and_b32_e32 v3, 0xff, v3
	v_cmp_ne_u32_e32 vcc_lo, 0, v3
	s_and_b32 s9, vcc_lo, exec_lo
	s_delay_alu instid0(SALU_CYCLE_1)
	s_or_b32 s5, s5, s9
	s_or_b32 exec_lo, exec_lo, s7
	v_mov_b32_e32 v6, s8
	s_and_saveexec_b32 s7, s5
	s_cbranch_execnz .LBB385_972
	s_branch .LBB385_973
.LBB385_1260:
	s_mov_b32 s12, -1
	s_mov_b32 s3, 0
	s_branch .LBB385_1305
.LBB385_1261:
	s_mov_b32 s3, -1
                                        ; implicit-def: $vgpr8
.LBB385_1262:
	s_delay_alu instid0(SALU_CYCLE_1)
	s_and_not1_b32 vcc_lo, exec_lo, s3
	s_cbranch_vccnz .LBB385_1264
; %bb.1263:
	global_load_b32 v8, v[6:7], off
	s_waitcnt vmcnt(0)
	v_cvt_i32_f32_e32 v8, v8
.LBB385_1264:
	s_mov_b32 s3, 0
.LBB385_1265:
	s_delay_alu instid0(SALU_CYCLE_1)
	s_and_not1_b32 vcc_lo, exec_lo, s3
	s_cbranch_vccnz .LBB385_1267
; %bb.1266:
	global_load_b32 v8, v[6:7], off
	s_waitcnt vmcnt(0)
	v_cvt_i16_f16_e32 v8, v8
.LBB385_1267:
	s_mov_b32 s3, 0
.LBB385_1268:
	s_delay_alu instid0(SALU_CYCLE_1)
	s_and_not1_b32 vcc_lo, exec_lo, s3
	s_cbranch_vccnz .LBB385_1279
; %bb.1269:
	v_cmp_lt_i16_e64 s3, s2, 6
	s_delay_alu instid0(VALU_DEP_1)
	s_and_b32 vcc_lo, exec_lo, s3
	s_cbranch_vccnz .LBB385_1272
; %bb.1270:
	v_cmp_gt_i16_e64 s3, s2, 6
	s_delay_alu instid0(VALU_DEP_1)
	s_and_b32 vcc_lo, exec_lo, s3
	s_cbranch_vccz .LBB385_1273
; %bb.1271:
	global_load_b64 v[8:9], v[6:7], off
	s_mov_b32 s3, 0
	s_waitcnt vmcnt(0)
	v_cvt_i32_f64_e32 v8, v[8:9]
	s_branch .LBB385_1274
.LBB385_1272:
	s_mov_b32 s3, -1
                                        ; implicit-def: $vgpr8
	s_branch .LBB385_1277
.LBB385_1273:
	s_mov_b32 s3, -1
                                        ; implicit-def: $vgpr8
.LBB385_1274:
	s_delay_alu instid0(SALU_CYCLE_1)
	s_and_not1_b32 vcc_lo, exec_lo, s3
	s_cbranch_vccnz .LBB385_1276
; %bb.1275:
	global_load_b32 v8, v[6:7], off
	s_waitcnt vmcnt(0)
	v_cvt_i32_f32_e32 v8, v8
.LBB385_1276:
	s_mov_b32 s3, 0
.LBB385_1277:
	s_delay_alu instid0(SALU_CYCLE_1)
	s_and_not1_b32 vcc_lo, exec_lo, s3
	s_cbranch_vccnz .LBB385_1279
; %bb.1278:
	global_load_u16 v8, v[6:7], off
	s_waitcnt vmcnt(0)
	v_cvt_i16_f16_e32 v8, v8
.LBB385_1279:
	s_cbranch_execnz .LBB385_1299
.LBB385_1280:
	v_cmp_lt_i16_e64 s3, s2, 2
	s_delay_alu instid0(VALU_DEP_1)
	s_and_b32 vcc_lo, exec_lo, s3
	s_cbranch_vccnz .LBB385_1284
; %bb.1281:
	v_cmp_lt_i16_e64 s3, s2, 3
	s_delay_alu instid0(VALU_DEP_1)
	s_and_b32 vcc_lo, exec_lo, s3
	s_cbranch_vccnz .LBB385_1285
; %bb.1282:
	v_cmp_gt_i16_e64 s3, s2, 3
	s_delay_alu instid0(VALU_DEP_1)
	s_and_b32 vcc_lo, exec_lo, s3
	s_cbranch_vccz .LBB385_1286
; %bb.1283:
	global_load_b64 v[8:9], v[6:7], off
	s_mov_b32 s3, 0
	s_branch .LBB385_1287
.LBB385_1284:
	s_mov_b32 s3, -1
                                        ; implicit-def: $vgpr8
	s_branch .LBB385_1293
.LBB385_1285:
	s_mov_b32 s3, -1
                                        ; implicit-def: $vgpr8
	s_branch .LBB385_1290
.LBB385_1286:
	s_mov_b32 s3, -1
                                        ; implicit-def: $vgpr8
.LBB385_1287:
	s_delay_alu instid0(SALU_CYCLE_1)
	s_and_not1_b32 vcc_lo, exec_lo, s3
	s_cbranch_vccnz .LBB385_1289
; %bb.1288:
	global_load_b32 v8, v[6:7], off
.LBB385_1289:
	s_mov_b32 s3, 0
.LBB385_1290:
	s_delay_alu instid0(SALU_CYCLE_1)
	s_and_not1_b32 vcc_lo, exec_lo, s3
	s_cbranch_vccnz .LBB385_1292
; %bb.1291:
	global_load_u16 v8, v[6:7], off
.LBB385_1292:
	s_mov_b32 s3, 0
.LBB385_1293:
	s_delay_alu instid0(SALU_CYCLE_1)
	s_and_not1_b32 vcc_lo, exec_lo, s3
	s_cbranch_vccnz .LBB385_1299
; %bb.1294:
	v_cmp_gt_i16_e64 s3, s2, 0
	s_delay_alu instid0(VALU_DEP_1)
	s_and_b32 vcc_lo, exec_lo, s3
	s_mov_b32 s3, 0
	s_cbranch_vccz .LBB385_1296
; %bb.1295:
	global_load_i8 v8, v[6:7], off
	s_branch .LBB385_1297
.LBB385_1296:
	s_mov_b32 s3, -1
                                        ; implicit-def: $vgpr8
.LBB385_1297:
	s_delay_alu instid0(SALU_CYCLE_1)
	s_and_not1_b32 vcc_lo, exec_lo, s3
	s_cbranch_vccnz .LBB385_1299
; %bb.1298:
	global_load_u8 v8, v[6:7], off
.LBB385_1299:
	s_branch .LBB385_1368
.LBB385_1300:
	s_trap 2
	s_sendmsg_rtn_b32 s0, sendmsg(MSG_RTN_GET_DOORBELL)
	s_mov_b32 ttmp2, m0
	s_waitcnt lgkmcnt(0)
	s_and_b32 s0, s0, 0x3ff
	s_delay_alu instid0(SALU_CYCLE_1) | instskip(NEXT) | instid1(SALU_CYCLE_1)
	s_bitset1_b32 s0, 10
	s_mov_b32 m0, s0
	s_sendmsg sendmsg(MSG_INTERRUPT)
	s_mov_b32 m0, ttmp2
.LBB385_1301:                           ; =>This Inner Loop Header: Depth=1
	s_sethalt 5
	s_branch .LBB385_1301
.LBB385_1302:
	s_or_saveexec_b32 s8, s8
                                        ; implicit-def: $sgpr9
	s_delay_alu instid0(SALU_CYCLE_1)
	s_xor_b32 exec_lo, exec_lo, s8
	s_cbranch_execz .LBB385_983
.LBB385_1303:
	v_add_f32_e64 v3, 0x42800000, |v0|
	s_and_not1_b32 s7, s7, exec_lo
	s_mov_b32 s9, 0
	s_delay_alu instid0(VALU_DEP_1) | instskip(NEXT) | instid1(VALU_DEP_1)
	v_and_b32_e32 v3, 0xff, v3
	v_cmp_ne_u32_e32 vcc_lo, 0, v3
	s_and_b32 s10, vcc_lo, exec_lo
	s_delay_alu instid0(SALU_CYCLE_1)
	s_or_b32 s7, s7, s10
	s_or_b32 exec_lo, exec_lo, s8
	v_mov_b32_e32 v6, s9
	s_and_saveexec_b32 s8, s7
	s_cbranch_execnz .LBB385_984
	s_branch .LBB385_985
.LBB385_1304:
	s_mov_b32 s3, -1
.LBB385_1305:
                                        ; implicit-def: $vgpr8
.LBB385_1306:
	s_and_b32 vcc_lo, exec_lo, s12
	s_cbranch_vccz .LBB385_1310
; %bb.1307:
	v_cmp_eq_u16_e64 s3, s2, 44
	s_delay_alu instid0(VALU_DEP_1)
	s_and_b32 vcc_lo, exec_lo, s3
	s_cbranch_vccz .LBB385_1309
; %bb.1308:
	global_load_u8 v8, v[6:7], off
	s_mov_b32 s3, 0
	s_mov_b32 s11, -1
	s_waitcnt vmcnt(0)
	v_lshlrev_b32_e32 v9, 23, v8
	v_cmp_ne_u32_e32 vcc_lo, 0, v8
	s_delay_alu instid0(VALU_DEP_2) | instskip(NEXT) | instid1(VALU_DEP_1)
	v_cvt_i32_f32_e32 v9, v9
	v_cndmask_b32_e32 v8, 0, v9, vcc_lo
	s_branch .LBB385_1310
.LBB385_1309:
	s_mov_b32 s3, -1
                                        ; implicit-def: $vgpr8
.LBB385_1310:
	s_mov_b32 s12, 0
.LBB385_1311:
	s_delay_alu instid0(SALU_CYCLE_1)
	s_and_b32 vcc_lo, exec_lo, s12
	s_cbranch_vccz .LBB385_1315
; %bb.1312:
	v_cmp_eq_u16_e64 s3, s2, 29
	s_delay_alu instid0(VALU_DEP_1)
	s_and_b32 vcc_lo, exec_lo, s3
	s_cbranch_vccz .LBB385_1314
; %bb.1313:
	global_load_b64 v[8:9], v[6:7], off
	s_mov_b32 s3, 0
	s_mov_b32 s11, -1
	s_branch .LBB385_1315
.LBB385_1314:
	s_mov_b32 s3, -1
                                        ; implicit-def: $vgpr8
.LBB385_1315:
	s_mov_b32 s12, 0
.LBB385_1316:
	s_delay_alu instid0(SALU_CYCLE_1)
	s_and_b32 vcc_lo, exec_lo, s12
	s_cbranch_vccz .LBB385_1332
; %bb.1317:
	v_cmp_lt_i16_e64 s11, s2, 27
	s_delay_alu instid0(VALU_DEP_1)
	s_and_b32 vcc_lo, exec_lo, s11
	s_cbranch_vccnz .LBB385_1320
; %bb.1318:
	v_cmp_gt_i16_e64 s11, s2, 27
	s_delay_alu instid0(VALU_DEP_1)
	s_and_b32 vcc_lo, exec_lo, s11
	s_cbranch_vccz .LBB385_1321
; %bb.1319:
	global_load_b32 v8, v[6:7], off
	s_mov_b32 s11, 0
	s_branch .LBB385_1322
.LBB385_1320:
	s_mov_b32 s11, -1
                                        ; implicit-def: $vgpr8
	s_branch .LBB385_1325
.LBB385_1321:
	s_mov_b32 s11, -1
                                        ; implicit-def: $vgpr8
.LBB385_1322:
	s_delay_alu instid0(SALU_CYCLE_1)
	s_and_not1_b32 vcc_lo, exec_lo, s11
	s_cbranch_vccnz .LBB385_1324
; %bb.1323:
	global_load_u16 v8, v[6:7], off
.LBB385_1324:
	s_mov_b32 s11, 0
.LBB385_1325:
	s_delay_alu instid0(SALU_CYCLE_1)
	s_and_not1_b32 vcc_lo, exec_lo, s11
	s_cbranch_vccnz .LBB385_1331
; %bb.1326:
	global_load_u8 v9, v[6:7], off
	s_mov_b32 s11, 0
	s_mov_b32 s12, exec_lo
                                        ; implicit-def: $sgpr13
	s_waitcnt vmcnt(0)
	v_cmpx_lt_i16_e32 0x7f, v9
	s_xor_b32 s12, exec_lo, s12
	s_cbranch_execz .LBB385_1342
; %bb.1327:
	v_cmp_ne_u16_e32 vcc_lo, 0x80, v9
	s_mov_b32 s13, 0
	s_and_b32 s11, vcc_lo, exec_lo
	s_or_saveexec_b32 s12, s12
	v_mov_b32_e32 v8, s13
	s_xor_b32 exec_lo, exec_lo, s12
	s_cbranch_execnz .LBB385_1343
.LBB385_1328:
	s_or_b32 exec_lo, exec_lo, s12
	s_and_saveexec_b32 s12, s11
	s_cbranch_execz .LBB385_1330
.LBB385_1329:
	v_and_b32_e32 v8, 0xffff, v9
	v_lshlrev_b32_e32 v9, 24, v9
	s_delay_alu instid0(VALU_DEP_2) | instskip(NEXT) | instid1(VALU_DEP_2)
	v_and_b32_e32 v11, 7, v8
	v_and_b32_e32 v9, 0x80000000, v9
	s_delay_alu instid0(VALU_DEP_2) | instskip(NEXT) | instid1(VALU_DEP_1)
	v_clz_i32_u32_e32 v12, v11
	v_min_u32_e32 v12, 32, v12
	s_delay_alu instid0(VALU_DEP_1) | instskip(SKIP_1) | instid1(VALU_DEP_2)
	v_subrev_nc_u32_e32 v13, 28, v12
	v_sub_nc_u32_e32 v12, 29, v12
	v_lshlrev_b32_e32 v13, v13, v8
	v_bfe_u32 v8, v8, 3, 4
	s_delay_alu instid0(VALU_DEP_1) | instskip(NEXT) | instid1(VALU_DEP_3)
	v_cmp_eq_u32_e32 vcc_lo, 0, v8
	v_dual_cndmask_b32 v8, v8, v12 :: v_dual_and_b32 v13, 7, v13
	s_delay_alu instid0(VALU_DEP_1) | instskip(NEXT) | instid1(VALU_DEP_2)
	v_cndmask_b32_e32 v11, v11, v13, vcc_lo
	v_lshl_add_u32 v8, v8, 23, 0x3b800000
	s_delay_alu instid0(VALU_DEP_2) | instskip(NEXT) | instid1(VALU_DEP_1)
	v_lshlrev_b32_e32 v11, 20, v11
	v_or3_b32 v8, v9, v8, v11
	s_delay_alu instid0(VALU_DEP_1)
	v_cvt_i32_f32_e32 v8, v8
.LBB385_1330:
	s_or_b32 exec_lo, exec_lo, s12
.LBB385_1331:
	s_mov_b32 s11, -1
.LBB385_1332:
	s_branch .LBB385_1363
.LBB385_1333:
	v_cmp_gt_i16_e64 s10, s2, 22
	s_delay_alu instid0(VALU_DEP_1)
	s_and_b32 vcc_lo, exec_lo, s10
	s_cbranch_vccz .LBB385_1341
; %bb.1334:
	v_cmp_lt_i16_e64 s10, s2, 24
	s_delay_alu instid0(VALU_DEP_1)
	s_and_b32 vcc_lo, exec_lo, s10
	s_cbranch_vccnz .LBB385_1344
; %bb.1335:
	v_cmp_gt_i16_e64 s10, s2, 24
	s_delay_alu instid0(VALU_DEP_1)
	s_and_b32 vcc_lo, exec_lo, s10
	s_cbranch_vccz .LBB385_1345
; %bb.1336:
	global_load_u8 v9, v[6:7], off
	s_mov_b32 s10, 0
	s_mov_b32 s11, exec_lo
                                        ; implicit-def: $sgpr12
	s_waitcnt vmcnt(0)
	v_cmpx_lt_i16_e32 0x7f, v9
	s_xor_b32 s11, exec_lo, s11
	s_cbranch_execz .LBB385_1357
; %bb.1337:
	v_cmp_ne_u16_e32 vcc_lo, 0x80, v9
	s_mov_b32 s12, 0
	s_and_b32 s10, vcc_lo, exec_lo
	s_or_saveexec_b32 s11, s11
	v_mov_b32_e32 v8, s12
	s_xor_b32 exec_lo, exec_lo, s11
	s_cbranch_execnz .LBB385_1358
.LBB385_1338:
	s_or_b32 exec_lo, exec_lo, s11
	s_and_saveexec_b32 s11, s10
	s_cbranch_execz .LBB385_1340
.LBB385_1339:
	v_and_b32_e32 v8, 0xffff, v9
	v_lshlrev_b32_e32 v9, 24, v9
	s_delay_alu instid0(VALU_DEP_2) | instskip(NEXT) | instid1(VALU_DEP_2)
	v_and_b32_e32 v11, 3, v8
	v_and_b32_e32 v9, 0x80000000, v9
	s_delay_alu instid0(VALU_DEP_2) | instskip(NEXT) | instid1(VALU_DEP_1)
	v_clz_i32_u32_e32 v12, v11
	v_min_u32_e32 v12, 32, v12
	s_delay_alu instid0(VALU_DEP_1) | instskip(SKIP_1) | instid1(VALU_DEP_2)
	v_subrev_nc_u32_e32 v13, 29, v12
	v_sub_nc_u32_e32 v12, 30, v12
	v_lshlrev_b32_e32 v13, v13, v8
	v_bfe_u32 v8, v8, 2, 5
	s_delay_alu instid0(VALU_DEP_1) | instskip(NEXT) | instid1(VALU_DEP_3)
	v_cmp_eq_u32_e32 vcc_lo, 0, v8
	v_dual_cndmask_b32 v8, v8, v12 :: v_dual_and_b32 v13, 3, v13
	s_delay_alu instid0(VALU_DEP_1) | instskip(NEXT) | instid1(VALU_DEP_2)
	v_cndmask_b32_e32 v11, v11, v13, vcc_lo
	v_lshl_add_u32 v8, v8, 23, 0x37800000
	s_delay_alu instid0(VALU_DEP_2) | instskip(NEXT) | instid1(VALU_DEP_1)
	v_lshlrev_b32_e32 v11, 21, v11
	v_or3_b32 v8, v9, v8, v11
	s_delay_alu instid0(VALU_DEP_1)
	v_cvt_i32_f32_e32 v8, v8
.LBB385_1340:
	s_or_b32 exec_lo, exec_lo, s11
	s_mov_b32 s10, 0
	s_branch .LBB385_1346
.LBB385_1341:
	s_mov_b32 s10, -1
                                        ; implicit-def: $vgpr8
	s_branch .LBB385_1352
.LBB385_1342:
	s_or_saveexec_b32 s12, s12
	v_mov_b32_e32 v8, s13
	s_xor_b32 exec_lo, exec_lo, s12
	s_cbranch_execz .LBB385_1328
.LBB385_1343:
	v_cmp_ne_u16_e32 vcc_lo, 0, v9
	v_mov_b32_e32 v8, 0
	s_and_not1_b32 s11, s11, exec_lo
	s_and_b32 s13, vcc_lo, exec_lo
	s_delay_alu instid0(SALU_CYCLE_1)
	s_or_b32 s11, s11, s13
	s_or_b32 exec_lo, exec_lo, s12
	s_and_saveexec_b32 s12, s11
	s_cbranch_execnz .LBB385_1329
	s_branch .LBB385_1330
.LBB385_1344:
	s_mov_b32 s10, -1
                                        ; implicit-def: $vgpr8
	s_branch .LBB385_1349
.LBB385_1345:
	s_mov_b32 s10, -1
                                        ; implicit-def: $vgpr8
.LBB385_1346:
	s_delay_alu instid0(SALU_CYCLE_1)
	s_and_b32 vcc_lo, exec_lo, s10
	s_cbranch_vccz .LBB385_1348
; %bb.1347:
	global_load_u8 v8, v[6:7], off
	s_waitcnt vmcnt(0)
	v_lshlrev_b32_e32 v8, 24, v8
	s_delay_alu instid0(VALU_DEP_1) | instskip(NEXT) | instid1(VALU_DEP_1)
	v_and_b32_e32 v9, 0x7f000000, v8
	v_clz_i32_u32_e32 v11, v9
	v_add_nc_u32_e32 v13, 0x1000000, v9
	v_cmp_ne_u32_e32 vcc_lo, 0, v9
	s_delay_alu instid0(VALU_DEP_3) | instskip(NEXT) | instid1(VALU_DEP_1)
	v_min_u32_e32 v11, 32, v11
	v_sub_nc_u32_e64 v11, v11, 4 clamp
	s_delay_alu instid0(VALU_DEP_1) | instskip(SKIP_1) | instid1(VALU_DEP_2)
	v_lshlrev_b32_e32 v12, v11, v9
	v_lshlrev_b32_e32 v11, 23, v11
	v_lshrrev_b32_e32 v12, 4, v12
	s_delay_alu instid0(VALU_DEP_1) | instskip(SKIP_1) | instid1(VALU_DEP_2)
	v_sub_nc_u32_e32 v11, v12, v11
	v_ashrrev_i32_e32 v12, 8, v13
	v_add_nc_u32_e32 v11, 0x3c000000, v11
	s_delay_alu instid0(VALU_DEP_1) | instskip(NEXT) | instid1(VALU_DEP_1)
	v_and_or_b32 v11, 0x7f800000, v12, v11
	v_cndmask_b32_e32 v9, 0, v11, vcc_lo
	s_delay_alu instid0(VALU_DEP_1) | instskip(NEXT) | instid1(VALU_DEP_1)
	v_and_or_b32 v8, 0x80000000, v8, v9
	v_cvt_i32_f32_e32 v8, v8
.LBB385_1348:
	s_mov_b32 s10, 0
.LBB385_1349:
	s_delay_alu instid0(SALU_CYCLE_1)
	s_and_not1_b32 vcc_lo, exec_lo, s10
	s_cbranch_vccnz .LBB385_1351
; %bb.1350:
	global_load_u8 v8, v[6:7], off
	s_waitcnt vmcnt(0)
	v_lshlrev_b32_e32 v9, 25, v8
	v_lshlrev_b16 v8, 8, v8
	s_delay_alu instid0(VALU_DEP_2) | instskip(NEXT) | instid1(VALU_DEP_2)
	v_lshrrev_b32_e32 v11, 4, v9
	v_and_or_b32 v12, 0x7f00, v8, 0.5
	v_cmp_gt_u32_e32 vcc_lo, 0x8000000, v9
	v_bfe_i32 v8, v8, 0, 16
	s_delay_alu instid0(VALU_DEP_4) | instskip(NEXT) | instid1(VALU_DEP_1)
	v_or_b32_e32 v11, 0x70000000, v11
	v_dual_add_f32 v12, -0.5, v12 :: v_dual_mul_f32 v11, 0x7800000, v11
	s_delay_alu instid0(VALU_DEP_1) | instskip(NEXT) | instid1(VALU_DEP_1)
	v_cndmask_b32_e32 v9, v11, v12, vcc_lo
	v_and_or_b32 v8, 0x80000000, v8, v9
	s_delay_alu instid0(VALU_DEP_1)
	v_cvt_i32_f32_e32 v8, v8
.LBB385_1351:
	s_mov_b32 s10, 0
	s_mov_b32 s11, -1
.LBB385_1352:
	s_and_not1_b32 vcc_lo, exec_lo, s10
	s_mov_b32 s10, 0
	s_cbranch_vccnz .LBB385_1363
; %bb.1353:
	v_cmp_gt_i16_e64 s10, s2, 14
	s_delay_alu instid0(VALU_DEP_1)
	s_and_b32 vcc_lo, exec_lo, s10
	s_cbranch_vccz .LBB385_1356
; %bb.1354:
	v_cmp_eq_u16_e64 s3, s2, 15
	s_delay_alu instid0(VALU_DEP_1)
	s_and_b32 vcc_lo, exec_lo, s3
	s_cbranch_vccz .LBB385_1359
; %bb.1355:
	global_load_u16 v8, v[6:7], off
	s_mov_b32 s3, 0
	s_mov_b32 s11, -1
	s_waitcnt vmcnt(0)
	v_lshlrev_b32_e32 v8, 16, v8
	s_delay_alu instid0(VALU_DEP_1)
	v_cvt_i32_f32_e32 v8, v8
	s_branch .LBB385_1360
.LBB385_1356:
	s_mov_b32 s10, -1
                                        ; implicit-def: $vgpr8
	s_branch .LBB385_1361
.LBB385_1357:
	s_or_saveexec_b32 s11, s11
	v_mov_b32_e32 v8, s12
	s_xor_b32 exec_lo, exec_lo, s11
	s_cbranch_execz .LBB385_1338
.LBB385_1358:
	v_cmp_ne_u16_e32 vcc_lo, 0, v9
	v_mov_b32_e32 v8, 0
	s_and_not1_b32 s10, s10, exec_lo
	s_and_b32 s12, vcc_lo, exec_lo
	s_delay_alu instid0(SALU_CYCLE_1)
	s_or_b32 s10, s10, s12
	s_or_b32 exec_lo, exec_lo, s11
	s_and_saveexec_b32 s11, s10
	s_cbranch_execnz .LBB385_1339
	s_branch .LBB385_1340
.LBB385_1359:
	s_mov_b32 s3, -1
                                        ; implicit-def: $vgpr8
.LBB385_1360:
	s_mov_b32 s10, 0
.LBB385_1361:
	s_delay_alu instid0(SALU_CYCLE_1)
	s_and_b32 vcc_lo, exec_lo, s10
	s_mov_b32 s10, 0
	s_cbranch_vccz .LBB385_1363
; %bb.1362:
	v_cmp_ne_u16_e64 s3, s2, 11
	s_mov_b32 s10, -1
                                        ; implicit-def: $vgpr8
.LBB385_1363:
	s_delay_alu instid0(VALU_DEP_1)
	s_and_b32 vcc_lo, exec_lo, s3
	s_cbranch_vccnz .LBB385_1387
; %bb.1364:
	s_and_not1_b32 vcc_lo, exec_lo, s10
	s_cbranch_vccnz .LBB385_1366
.LBB385_1365:
	global_load_u8 v8, v[6:7], off
	s_mov_b32 s11, -1
	s_waitcnt vmcnt(0)
	v_cmp_ne_u16_e32 vcc_lo, 0, v8
	v_cndmask_b32_e64 v8, 0, 1, vcc_lo
.LBB385_1366:
.LBB385_1367:
	s_and_not1_b32 vcc_lo, exec_lo, s11
	s_cbranch_vccnz .LBB385_2057
.LBB385_1368:
	v_cmp_lt_i16_e64 s3, s2, 11
	s_waitcnt vmcnt(0)
	v_add_co_u32 v11, s10, s6, v5
	s_delay_alu instid0(VALU_DEP_1) | instskip(NEXT) | instid1(VALU_DEP_3)
	v_add_co_ci_u32_e64 v12, null, s7, 0, s10
	s_and_b32 vcc_lo, exec_lo, s3
	s_mov_b32 s11, 0
	s_cbranch_vccnz .LBB385_1375
; %bb.1369:
	v_cmp_gt_i16_e64 s3, s2, 25
	s_mov_b32 s10, 0
	s_delay_alu instid0(VALU_DEP_1)
	s_and_b32 vcc_lo, exec_lo, s3
	s_cbranch_vccz .LBB385_1381
; %bb.1370:
	v_cmp_gt_i16_e64 s3, s2, 28
	s_delay_alu instid0(VALU_DEP_1)
	s_and_b32 vcc_lo, exec_lo, s3
	s_cbranch_vccz .LBB385_1383
; %bb.1371:
	v_cmp_gt_i16_e64 s3, s2, 43
	;; [unrolled: 5-line block ×3, first 2 shown]
	s_delay_alu instid0(VALU_DEP_1)
	s_and_b32 vcc_lo, exec_lo, s3
	s_cbranch_vccz .LBB385_1389
; %bb.1373:
	v_cmp_eq_u16_e64 s3, s2, 46
	s_mov_b32 s12, 0
	s_delay_alu instid0(VALU_DEP_1)
	s_and_b32 vcc_lo, exec_lo, s3
	s_cbranch_vccz .LBB385_1432
; %bb.1374:
	global_load_b32 v5, v[11:12], off
	s_mov_b32 s3, 0
	s_mov_b32 s11, -1
	s_waitcnt vmcnt(0)
	v_lshlrev_b32_e32 v5, 16, v5
	s_delay_alu instid0(VALU_DEP_1)
	v_cvt_i32_f32_e32 v6, v5
	s_branch .LBB385_1434
.LBB385_1375:
                                        ; implicit-def: $vgpr6
	s_cbranch_execz .LBB385_1496
; %bb.1376:
	v_cmp_lt_i16_e64 s3, s2, 5
	s_delay_alu instid0(VALU_DEP_1)
	s_and_b32 vcc_lo, exec_lo, s3
	s_cbranch_vccnz .LBB385_1382
; %bb.1377:
	v_cmp_lt_i16_e64 s3, s2, 8
	s_delay_alu instid0(VALU_DEP_1)
	s_and_b32 vcc_lo, exec_lo, s3
	s_cbranch_vccnz .LBB385_1384
	;; [unrolled: 5-line block ×3, first 2 shown]
; %bb.1379:
	v_cmp_gt_i16_e64 s3, s2, 9
	s_delay_alu instid0(VALU_DEP_1)
	s_and_b32 vcc_lo, exec_lo, s3
	s_cbranch_vccz .LBB385_1390
; %bb.1380:
	global_load_b64 v[5:6], v[11:12], off
	s_mov_b32 s3, 0
	s_waitcnt vmcnt(0)
	v_cvt_i32_f64_e32 v6, v[5:6]
	s_branch .LBB385_1391
.LBB385_1381:
	s_mov_b32 s12, -1
	s_mov_b32 s3, 0
                                        ; implicit-def: $vgpr6
	s_branch .LBB385_1461
.LBB385_1382:
	s_mov_b32 s3, -1
                                        ; implicit-def: $vgpr6
	s_branch .LBB385_1409
.LBB385_1383:
	s_mov_b32 s12, -1
	s_mov_b32 s3, 0
                                        ; implicit-def: $vgpr6
	s_branch .LBB385_1444
.LBB385_1384:
	s_mov_b32 s3, -1
                                        ; implicit-def: $vgpr6
	s_branch .LBB385_1397
.LBB385_1385:
	s_mov_b32 s12, -1
	s_mov_b32 s3, 0
                                        ; implicit-def: $vgpr6
	s_branch .LBB385_1439
.LBB385_1386:
	s_mov_b32 s3, -1
                                        ; implicit-def: $vgpr6
	s_branch .LBB385_1394
.LBB385_1387:
	s_cbranch_execnz .LBB385_1430
; %bb.1388:
	s_or_b32 s1, s1, exec_lo
                                        ; implicit-def: $vgpr8
	s_cbranch_execz .LBB385_1365
	s_branch .LBB385_1366
.LBB385_1389:
	s_mov_b32 s12, -1
	s_mov_b32 s3, 0
	s_branch .LBB385_1433
.LBB385_1390:
	s_mov_b32 s3, -1
                                        ; implicit-def: $vgpr6
.LBB385_1391:
	s_delay_alu instid0(SALU_CYCLE_1)
	s_and_not1_b32 vcc_lo, exec_lo, s3
	s_cbranch_vccnz .LBB385_1393
; %bb.1392:
	global_load_b32 v5, v[11:12], off
	s_waitcnt vmcnt(0)
	v_cvt_i32_f32_e32 v6, v5
.LBB385_1393:
	s_mov_b32 s3, 0
.LBB385_1394:
	s_delay_alu instid0(SALU_CYCLE_1)
	s_and_not1_b32 vcc_lo, exec_lo, s3
	s_cbranch_vccnz .LBB385_1396
; %bb.1395:
	global_load_b32 v5, v[11:12], off
	s_waitcnt vmcnt(0)
	v_cvt_i16_f16_e32 v6, v5
.LBB385_1396:
	s_mov_b32 s3, 0
.LBB385_1397:
	s_delay_alu instid0(SALU_CYCLE_1)
	s_and_not1_b32 vcc_lo, exec_lo, s3
	s_cbranch_vccnz .LBB385_1408
; %bb.1398:
	v_cmp_lt_i16_e64 s3, s2, 6
	s_delay_alu instid0(VALU_DEP_1)
	s_and_b32 vcc_lo, exec_lo, s3
	s_cbranch_vccnz .LBB385_1401
; %bb.1399:
	v_cmp_gt_i16_e64 s3, s2, 6
	s_delay_alu instid0(VALU_DEP_1)
	s_and_b32 vcc_lo, exec_lo, s3
	s_cbranch_vccz .LBB385_1402
; %bb.1400:
	global_load_b64 v[5:6], v[11:12], off
	s_mov_b32 s3, 0
	s_waitcnt vmcnt(0)
	v_cvt_i32_f64_e32 v6, v[5:6]
	s_branch .LBB385_1403
.LBB385_1401:
	s_mov_b32 s3, -1
                                        ; implicit-def: $vgpr6
	s_branch .LBB385_1406
.LBB385_1402:
	s_mov_b32 s3, -1
                                        ; implicit-def: $vgpr6
.LBB385_1403:
	s_delay_alu instid0(SALU_CYCLE_1)
	s_and_not1_b32 vcc_lo, exec_lo, s3
	s_cbranch_vccnz .LBB385_1405
; %bb.1404:
	global_load_b32 v5, v[11:12], off
	s_waitcnt vmcnt(0)
	v_cvt_i32_f32_e32 v6, v5
.LBB385_1405:
	s_mov_b32 s3, 0
.LBB385_1406:
	s_delay_alu instid0(SALU_CYCLE_1)
	s_and_not1_b32 vcc_lo, exec_lo, s3
	s_cbranch_vccnz .LBB385_1408
; %bb.1407:
	global_load_u16 v5, v[11:12], off
	s_waitcnt vmcnt(0)
	v_cvt_i16_f16_e32 v6, v5
.LBB385_1408:
	s_mov_b32 s3, 0
.LBB385_1409:
	s_delay_alu instid0(SALU_CYCLE_1)
	s_and_not1_b32 vcc_lo, exec_lo, s3
	s_cbranch_vccnz .LBB385_1429
; %bb.1410:
	v_cmp_lt_i16_e64 s3, s2, 2
	s_delay_alu instid0(VALU_DEP_1)
	s_and_b32 vcc_lo, exec_lo, s3
	s_cbranch_vccnz .LBB385_1414
; %bb.1411:
	v_cmp_lt_i16_e64 s3, s2, 3
	s_delay_alu instid0(VALU_DEP_1)
	s_and_b32 vcc_lo, exec_lo, s3
	s_cbranch_vccnz .LBB385_1415
; %bb.1412:
	v_cmp_gt_i16_e64 s3, s2, 3
	s_delay_alu instid0(VALU_DEP_1)
	s_and_b32 vcc_lo, exec_lo, s3
	s_cbranch_vccz .LBB385_1416
; %bb.1413:
	global_load_b64 v[6:7], v[11:12], off
	s_mov_b32 s3, 0
	s_branch .LBB385_1417
.LBB385_1414:
	s_mov_b32 s3, -1
                                        ; implicit-def: $vgpr6
	s_branch .LBB385_1423
.LBB385_1415:
	s_mov_b32 s3, -1
                                        ; implicit-def: $vgpr6
	s_branch .LBB385_1420
.LBB385_1416:
	s_mov_b32 s3, -1
                                        ; implicit-def: $vgpr6
.LBB385_1417:
	s_delay_alu instid0(SALU_CYCLE_1)
	s_and_not1_b32 vcc_lo, exec_lo, s3
	s_cbranch_vccnz .LBB385_1419
; %bb.1418:
	global_load_b32 v6, v[11:12], off
.LBB385_1419:
	s_mov_b32 s3, 0
.LBB385_1420:
	s_delay_alu instid0(SALU_CYCLE_1)
	s_and_not1_b32 vcc_lo, exec_lo, s3
	s_cbranch_vccnz .LBB385_1422
; %bb.1421:
	global_load_u16 v6, v[11:12], off
.LBB385_1422:
	s_mov_b32 s3, 0
.LBB385_1423:
	s_delay_alu instid0(SALU_CYCLE_1)
	s_and_not1_b32 vcc_lo, exec_lo, s3
	s_cbranch_vccnz .LBB385_1429
; %bb.1424:
	v_cmp_gt_i16_e64 s3, s2, 0
	s_delay_alu instid0(VALU_DEP_1)
	s_and_b32 vcc_lo, exec_lo, s3
	s_mov_b32 s3, 0
	s_cbranch_vccz .LBB385_1426
; %bb.1425:
	global_load_i8 v6, v[11:12], off
	s_branch .LBB385_1427
.LBB385_1426:
	s_mov_b32 s3, -1
                                        ; implicit-def: $vgpr6
.LBB385_1427:
	s_delay_alu instid0(SALU_CYCLE_1)
	s_and_not1_b32 vcc_lo, exec_lo, s3
	s_cbranch_vccnz .LBB385_1429
; %bb.1428:
	global_load_u8 v6, v[11:12], off
.LBB385_1429:
	s_branch .LBB385_1497
.LBB385_1430:
	s_trap 2
	s_sendmsg_rtn_b32 s0, sendmsg(MSG_RTN_GET_DOORBELL)
	s_mov_b32 ttmp2, m0
	s_waitcnt lgkmcnt(0)
	s_and_b32 s0, s0, 0x3ff
	s_delay_alu instid0(SALU_CYCLE_1) | instskip(NEXT) | instid1(SALU_CYCLE_1)
	s_bitset1_b32 s0, 10
	s_mov_b32 m0, s0
	s_sendmsg sendmsg(MSG_INTERRUPT)
	s_mov_b32 m0, ttmp2
.LBB385_1431:                           ; =>This Inner Loop Header: Depth=1
	s_sethalt 5
	s_branch .LBB385_1431
.LBB385_1432:
	s_mov_b32 s3, -1
.LBB385_1433:
                                        ; implicit-def: $vgpr6
.LBB385_1434:
	s_and_b32 vcc_lo, exec_lo, s12
	s_cbranch_vccz .LBB385_1438
; %bb.1435:
	v_cmp_eq_u16_e64 s3, s2, 44
	s_delay_alu instid0(VALU_DEP_1)
	s_and_b32 vcc_lo, exec_lo, s3
	s_cbranch_vccz .LBB385_1437
; %bb.1436:
	global_load_u8 v5, v[11:12], off
	s_mov_b32 s3, 0
	s_mov_b32 s11, -1
	s_waitcnt vmcnt(0)
	v_lshlrev_b32_e32 v6, 23, v5
	v_cmp_ne_u32_e32 vcc_lo, 0, v5
	s_delay_alu instid0(VALU_DEP_2) | instskip(NEXT) | instid1(VALU_DEP_1)
	v_cvt_i32_f32_e32 v6, v6
	v_cndmask_b32_e32 v6, 0, v6, vcc_lo
	s_branch .LBB385_1438
.LBB385_1437:
	s_mov_b32 s3, -1
                                        ; implicit-def: $vgpr6
.LBB385_1438:
	s_mov_b32 s12, 0
.LBB385_1439:
	s_delay_alu instid0(SALU_CYCLE_1)
	s_and_b32 vcc_lo, exec_lo, s12
	s_cbranch_vccz .LBB385_1443
; %bb.1440:
	v_cmp_eq_u16_e64 s3, s2, 29
	s_delay_alu instid0(VALU_DEP_1)
	s_and_b32 vcc_lo, exec_lo, s3
	s_cbranch_vccz .LBB385_1442
; %bb.1441:
	global_load_b64 v[6:7], v[11:12], off
	s_mov_b32 s3, 0
	s_mov_b32 s11, -1
	s_branch .LBB385_1443
.LBB385_1442:
	s_mov_b32 s3, -1
                                        ; implicit-def: $vgpr6
.LBB385_1443:
	s_mov_b32 s12, 0
.LBB385_1444:
	s_delay_alu instid0(SALU_CYCLE_1)
	s_and_b32 vcc_lo, exec_lo, s12
	s_cbranch_vccz .LBB385_1460
; %bb.1445:
	v_cmp_lt_i16_e64 s11, s2, 27
	s_delay_alu instid0(VALU_DEP_1)
	s_and_b32 vcc_lo, exec_lo, s11
	s_cbranch_vccnz .LBB385_1448
; %bb.1446:
	v_cmp_gt_i16_e64 s11, s2, 27
	s_delay_alu instid0(VALU_DEP_1)
	s_and_b32 vcc_lo, exec_lo, s11
	s_cbranch_vccz .LBB385_1449
; %bb.1447:
	global_load_b32 v6, v[11:12], off
	s_mov_b32 s11, 0
	s_branch .LBB385_1450
.LBB385_1448:
	s_mov_b32 s11, -1
                                        ; implicit-def: $vgpr6
	s_branch .LBB385_1453
.LBB385_1449:
	s_mov_b32 s11, -1
                                        ; implicit-def: $vgpr6
.LBB385_1450:
	s_delay_alu instid0(SALU_CYCLE_1)
	s_and_not1_b32 vcc_lo, exec_lo, s11
	s_cbranch_vccnz .LBB385_1452
; %bb.1451:
	global_load_u16 v6, v[11:12], off
.LBB385_1452:
	s_mov_b32 s11, 0
.LBB385_1453:
	s_delay_alu instid0(SALU_CYCLE_1)
	s_and_not1_b32 vcc_lo, exec_lo, s11
	s_cbranch_vccnz .LBB385_1459
; %bb.1454:
	global_load_u8 v5, v[11:12], off
	s_mov_b32 s11, 0
	s_mov_b32 s12, exec_lo
                                        ; implicit-def: $sgpr13
	s_waitcnt vmcnt(0)
	v_cmpx_lt_i16_e32 0x7f, v5
	s_xor_b32 s12, exec_lo, s12
	s_cbranch_execz .LBB385_1471
; %bb.1455:
	v_cmp_ne_u16_e32 vcc_lo, 0x80, v5
	s_mov_b32 s13, 0
	s_and_b32 s11, vcc_lo, exec_lo
	s_or_saveexec_b32 s12, s12
	v_mov_b32_e32 v6, s13
	s_xor_b32 exec_lo, exec_lo, s12
	s_cbranch_execnz .LBB385_1472
.LBB385_1456:
	s_or_b32 exec_lo, exec_lo, s12
	s_and_saveexec_b32 s12, s11
	s_cbranch_execz .LBB385_1458
.LBB385_1457:
	v_and_b32_e32 v6, 0xffff, v5
	v_lshlrev_b32_e32 v5, 24, v5
	s_delay_alu instid0(VALU_DEP_2) | instskip(NEXT) | instid1(VALU_DEP_2)
	v_and_b32_e32 v7, 7, v6
	v_and_b32_e32 v5, 0x80000000, v5
	s_delay_alu instid0(VALU_DEP_2) | instskip(NEXT) | instid1(VALU_DEP_1)
	v_clz_i32_u32_e32 v9, v7
	v_min_u32_e32 v9, 32, v9
	s_delay_alu instid0(VALU_DEP_1) | instskip(SKIP_1) | instid1(VALU_DEP_2)
	v_subrev_nc_u32_e32 v13, 28, v9
	v_sub_nc_u32_e32 v9, 29, v9
	v_lshlrev_b32_e32 v13, v13, v6
	v_bfe_u32 v6, v6, 3, 4
	s_delay_alu instid0(VALU_DEP_2) | instskip(NEXT) | instid1(VALU_DEP_2)
	v_and_b32_e32 v13, 7, v13
	v_cmp_eq_u32_e32 vcc_lo, 0, v6
	v_cndmask_b32_e32 v6, v6, v9, vcc_lo
	s_delay_alu instid0(VALU_DEP_3) | instskip(NEXT) | instid1(VALU_DEP_2)
	v_cndmask_b32_e32 v7, v7, v13, vcc_lo
	v_lshl_add_u32 v6, v6, 23, 0x3b800000
	s_delay_alu instid0(VALU_DEP_2) | instskip(NEXT) | instid1(VALU_DEP_1)
	v_lshlrev_b32_e32 v7, 20, v7
	v_or3_b32 v5, v5, v6, v7
	s_delay_alu instid0(VALU_DEP_1)
	v_cvt_i32_f32_e32 v6, v5
.LBB385_1458:
	s_or_b32 exec_lo, exec_lo, s12
.LBB385_1459:
	s_mov_b32 s11, -1
.LBB385_1460:
	s_mov_b32 s12, 0
.LBB385_1461:
	s_delay_alu instid0(SALU_CYCLE_1)
	s_and_b32 vcc_lo, exec_lo, s12
	s_cbranch_vccz .LBB385_1492
; %bb.1462:
	v_cmp_gt_i16_e64 s10, s2, 22
	s_delay_alu instid0(VALU_DEP_1)
	s_and_b32 vcc_lo, exec_lo, s10
	s_cbranch_vccz .LBB385_1470
; %bb.1463:
	v_cmp_lt_i16_e64 s10, s2, 24
	s_delay_alu instid0(VALU_DEP_1)
	s_and_b32 vcc_lo, exec_lo, s10
	s_cbranch_vccnz .LBB385_1473
; %bb.1464:
	v_cmp_gt_i16_e64 s10, s2, 24
	s_delay_alu instid0(VALU_DEP_1)
	s_and_b32 vcc_lo, exec_lo, s10
	s_cbranch_vccz .LBB385_1474
; %bb.1465:
	global_load_u8 v5, v[11:12], off
	s_mov_b32 s10, 0
	s_mov_b32 s11, exec_lo
                                        ; implicit-def: $sgpr12
	s_waitcnt vmcnt(0)
	v_cmpx_lt_i16_e32 0x7f, v5
	s_xor_b32 s11, exec_lo, s11
	s_cbranch_execz .LBB385_1486
; %bb.1466:
	v_cmp_ne_u16_e32 vcc_lo, 0x80, v5
	s_mov_b32 s12, 0
	s_and_b32 s10, vcc_lo, exec_lo
	s_or_saveexec_b32 s11, s11
	v_mov_b32_e32 v6, s12
	s_xor_b32 exec_lo, exec_lo, s11
	s_cbranch_execnz .LBB385_1487
.LBB385_1467:
	s_or_b32 exec_lo, exec_lo, s11
	s_and_saveexec_b32 s11, s10
	s_cbranch_execz .LBB385_1469
.LBB385_1468:
	v_and_b32_e32 v6, 0xffff, v5
	v_lshlrev_b32_e32 v5, 24, v5
	s_delay_alu instid0(VALU_DEP_2) | instskip(NEXT) | instid1(VALU_DEP_2)
	v_and_b32_e32 v7, 3, v6
	v_and_b32_e32 v5, 0x80000000, v5
	s_delay_alu instid0(VALU_DEP_2) | instskip(NEXT) | instid1(VALU_DEP_1)
	v_clz_i32_u32_e32 v9, v7
	v_min_u32_e32 v9, 32, v9
	s_delay_alu instid0(VALU_DEP_1) | instskip(SKIP_1) | instid1(VALU_DEP_2)
	v_subrev_nc_u32_e32 v13, 29, v9
	v_sub_nc_u32_e32 v9, 30, v9
	v_lshlrev_b32_e32 v13, v13, v6
	v_bfe_u32 v6, v6, 2, 5
	s_delay_alu instid0(VALU_DEP_2) | instskip(NEXT) | instid1(VALU_DEP_2)
	v_and_b32_e32 v13, 3, v13
	v_cmp_eq_u32_e32 vcc_lo, 0, v6
	v_cndmask_b32_e32 v6, v6, v9, vcc_lo
	s_delay_alu instid0(VALU_DEP_3) | instskip(NEXT) | instid1(VALU_DEP_2)
	v_cndmask_b32_e32 v7, v7, v13, vcc_lo
	v_lshl_add_u32 v6, v6, 23, 0x37800000
	s_delay_alu instid0(VALU_DEP_2) | instskip(NEXT) | instid1(VALU_DEP_1)
	v_lshlrev_b32_e32 v7, 21, v7
	v_or3_b32 v5, v5, v6, v7
	s_delay_alu instid0(VALU_DEP_1)
	v_cvt_i32_f32_e32 v6, v5
.LBB385_1469:
	s_or_b32 exec_lo, exec_lo, s11
	s_mov_b32 s10, 0
	s_branch .LBB385_1475
.LBB385_1470:
	s_mov_b32 s10, -1
                                        ; implicit-def: $vgpr6
	s_branch .LBB385_1481
.LBB385_1471:
	s_or_saveexec_b32 s12, s12
	v_mov_b32_e32 v6, s13
	s_xor_b32 exec_lo, exec_lo, s12
	s_cbranch_execz .LBB385_1456
.LBB385_1472:
	v_cmp_ne_u16_e32 vcc_lo, 0, v5
	v_mov_b32_e32 v6, 0
	s_and_not1_b32 s11, s11, exec_lo
	s_and_b32 s13, vcc_lo, exec_lo
	s_delay_alu instid0(SALU_CYCLE_1)
	s_or_b32 s11, s11, s13
	s_or_b32 exec_lo, exec_lo, s12
	s_and_saveexec_b32 s12, s11
	s_cbranch_execnz .LBB385_1457
	s_branch .LBB385_1458
.LBB385_1473:
	s_mov_b32 s10, -1
                                        ; implicit-def: $vgpr6
	s_branch .LBB385_1478
.LBB385_1474:
	s_mov_b32 s10, -1
                                        ; implicit-def: $vgpr6
.LBB385_1475:
	s_delay_alu instid0(SALU_CYCLE_1)
	s_and_b32 vcc_lo, exec_lo, s10
	s_cbranch_vccz .LBB385_1477
; %bb.1476:
	global_load_u8 v5, v[11:12], off
	s_waitcnt vmcnt(0)
	v_lshlrev_b32_e32 v5, 24, v5
	s_delay_alu instid0(VALU_DEP_1) | instskip(NEXT) | instid1(VALU_DEP_1)
	v_and_b32_e32 v6, 0x7f000000, v5
	v_clz_i32_u32_e32 v7, v6
	v_add_nc_u32_e32 v13, 0x1000000, v6
	v_cmp_ne_u32_e32 vcc_lo, 0, v6
	s_delay_alu instid0(VALU_DEP_3) | instskip(NEXT) | instid1(VALU_DEP_1)
	v_min_u32_e32 v7, 32, v7
	v_sub_nc_u32_e64 v7, v7, 4 clamp
	s_delay_alu instid0(VALU_DEP_1) | instskip(SKIP_1) | instid1(VALU_DEP_2)
	v_lshlrev_b32_e32 v9, v7, v6
	v_lshlrev_b32_e32 v7, 23, v7
	v_lshrrev_b32_e32 v9, 4, v9
	s_delay_alu instid0(VALU_DEP_1) | instskip(SKIP_1) | instid1(VALU_DEP_2)
	v_sub_nc_u32_e32 v7, v9, v7
	v_ashrrev_i32_e32 v9, 8, v13
	v_add_nc_u32_e32 v7, 0x3c000000, v7
	s_delay_alu instid0(VALU_DEP_1) | instskip(NEXT) | instid1(VALU_DEP_1)
	v_and_or_b32 v7, 0x7f800000, v9, v7
	v_cndmask_b32_e32 v6, 0, v7, vcc_lo
	s_delay_alu instid0(VALU_DEP_1) | instskip(NEXT) | instid1(VALU_DEP_1)
	v_and_or_b32 v5, 0x80000000, v5, v6
	v_cvt_i32_f32_e32 v6, v5
.LBB385_1477:
	s_mov_b32 s10, 0
.LBB385_1478:
	s_delay_alu instid0(SALU_CYCLE_1)
	s_and_not1_b32 vcc_lo, exec_lo, s10
	s_cbranch_vccnz .LBB385_1480
; %bb.1479:
	global_load_u8 v5, v[11:12], off
	s_waitcnt vmcnt(0)
	v_lshlrev_b32_e32 v6, 25, v5
	v_lshlrev_b16 v5, 8, v5
	s_delay_alu instid0(VALU_DEP_2) | instskip(NEXT) | instid1(VALU_DEP_2)
	v_lshrrev_b32_e32 v7, 4, v6
	v_and_or_b32 v9, 0x7f00, v5, 0.5
	v_bfe_i32 v5, v5, 0, 16
	s_delay_alu instid0(VALU_DEP_3) | instskip(NEXT) | instid1(VALU_DEP_3)
	v_or_b32_e32 v7, 0x70000000, v7
	v_add_f32_e32 v9, -0.5, v9
	s_delay_alu instid0(VALU_DEP_2) | instskip(SKIP_1) | instid1(VALU_DEP_2)
	v_mul_f32_e32 v7, 0x7800000, v7
	v_cmp_gt_u32_e32 vcc_lo, 0x8000000, v6
	v_cndmask_b32_e32 v6, v7, v9, vcc_lo
	s_delay_alu instid0(VALU_DEP_1) | instskip(NEXT) | instid1(VALU_DEP_1)
	v_and_or_b32 v5, 0x80000000, v5, v6
	v_cvt_i32_f32_e32 v6, v5
.LBB385_1480:
	s_mov_b32 s10, 0
	s_mov_b32 s11, -1
.LBB385_1481:
	s_and_not1_b32 vcc_lo, exec_lo, s10
	s_mov_b32 s10, 0
	s_cbranch_vccnz .LBB385_1492
; %bb.1482:
	v_cmp_gt_i16_e64 s10, s2, 14
	s_delay_alu instid0(VALU_DEP_1)
	s_and_b32 vcc_lo, exec_lo, s10
	s_cbranch_vccz .LBB385_1485
; %bb.1483:
	v_cmp_eq_u16_e64 s3, s2, 15
	s_delay_alu instid0(VALU_DEP_1)
	s_and_b32 vcc_lo, exec_lo, s3
	s_cbranch_vccz .LBB385_1488
; %bb.1484:
	global_load_u16 v5, v[11:12], off
	s_mov_b32 s3, 0
	s_mov_b32 s11, -1
	s_waitcnt vmcnt(0)
	v_lshlrev_b32_e32 v5, 16, v5
	s_delay_alu instid0(VALU_DEP_1)
	v_cvt_i32_f32_e32 v6, v5
	s_branch .LBB385_1489
.LBB385_1485:
	s_mov_b32 s10, -1
                                        ; implicit-def: $vgpr6
	s_branch .LBB385_1490
.LBB385_1486:
	s_or_saveexec_b32 s11, s11
	v_mov_b32_e32 v6, s12
	s_xor_b32 exec_lo, exec_lo, s11
	s_cbranch_execz .LBB385_1467
.LBB385_1487:
	v_cmp_ne_u16_e32 vcc_lo, 0, v5
	v_mov_b32_e32 v6, 0
	s_and_not1_b32 s10, s10, exec_lo
	s_and_b32 s12, vcc_lo, exec_lo
	s_delay_alu instid0(SALU_CYCLE_1)
	s_or_b32 s10, s10, s12
	s_or_b32 exec_lo, exec_lo, s11
	s_and_saveexec_b32 s11, s10
	s_cbranch_execnz .LBB385_1468
	s_branch .LBB385_1469
.LBB385_1488:
	s_mov_b32 s3, -1
                                        ; implicit-def: $vgpr6
.LBB385_1489:
	s_mov_b32 s10, 0
.LBB385_1490:
	s_delay_alu instid0(SALU_CYCLE_1)
	s_and_b32 vcc_lo, exec_lo, s10
	s_mov_b32 s10, 0
	s_cbranch_vccz .LBB385_1492
; %bb.1491:
	v_cmp_ne_u16_e64 s3, s2, 11
	s_mov_b32 s10, -1
                                        ; implicit-def: $vgpr6
.LBB385_1492:
	s_delay_alu instid0(VALU_DEP_1)
	s_and_b32 vcc_lo, exec_lo, s3
	s_cbranch_vccnz .LBB385_1508
; %bb.1493:
	s_and_not1_b32 vcc_lo, exec_lo, s10
	s_cbranch_vccnz .LBB385_1495
.LBB385_1494:
	global_load_u8 v5, v[11:12], off
	s_mov_b32 s11, -1
	s_waitcnt vmcnt(0)
	v_cmp_ne_u16_e32 vcc_lo, 0, v5
	v_cndmask_b32_e64 v6, 0, 1, vcc_lo
.LBB385_1495:
.LBB385_1496:
	s_and_not1_b32 vcc_lo, exec_lo, s11
	s_cbranch_vccnz .LBB385_2057
.LBB385_1497:
	v_cmp_lt_i16_e64 s3, s2, 11
	v_add_co_u32 v11, s6, s6, v4
	s_delay_alu instid0(VALU_DEP_1) | instskip(NEXT) | instid1(VALU_DEP_3)
	v_add_co_ci_u32_e64 v12, null, s7, 0, s6
	s_and_b32 vcc_lo, exec_lo, s3
	s_mov_b32 s7, 0
	s_cbranch_vccnz .LBB385_1504
; %bb.1498:
	v_cmp_gt_i16_e64 s3, s2, 25
	s_mov_b32 s6, 0
	s_delay_alu instid0(VALU_DEP_1)
	s_and_b32 vcc_lo, exec_lo, s3
	s_cbranch_vccz .LBB385_1505
; %bb.1499:
	v_cmp_gt_i16_e64 s3, s2, 28
	s_delay_alu instid0(VALU_DEP_1)
	s_and_b32 vcc_lo, exec_lo, s3
	s_cbranch_vccz .LBB385_1506
; %bb.1500:
	v_cmp_gt_i16_e64 s3, s2, 43
	;; [unrolled: 5-line block ×3, first 2 shown]
	s_delay_alu instid0(VALU_DEP_1)
	s_and_b32 vcc_lo, exec_lo, s3
	s_cbranch_vccz .LBB385_1510
; %bb.1502:
	v_cmp_eq_u16_e64 s3, s2, 46
	s_mov_b32 s10, 0
	s_delay_alu instid0(VALU_DEP_1)
	s_and_b32 vcc_lo, exec_lo, s3
	s_cbranch_vccz .LBB385_1513
; %bb.1503:
	global_load_b32 v4, v[11:12], off
	s_mov_b32 s3, 0
	s_mov_b32 s7, -1
	s_waitcnt vmcnt(0)
	v_lshlrev_b32_e32 v4, 16, v4
	s_delay_alu instid0(VALU_DEP_1)
	v_cvt_i32_f32_e32 v4, v4
	s_branch .LBB385_1515
.LBB385_1504:
	s_mov_b32 s3, -1
                                        ; implicit-def: $vgpr4
	s_branch .LBB385_1577
.LBB385_1505:
	s_mov_b32 s10, -1
	s_mov_b32 s3, 0
                                        ; implicit-def: $vgpr4
	s_branch .LBB385_1542
.LBB385_1506:
	s_mov_b32 s10, -1
	s_mov_b32 s3, 0
                                        ; implicit-def: $vgpr4
	s_branch .LBB385_1525
.LBB385_1507:
	s_mov_b32 s10, -1
	s_mov_b32 s3, 0
                                        ; implicit-def: $vgpr4
	s_branch .LBB385_1520
.LBB385_1508:
	s_cbranch_execnz .LBB385_1511
; %bb.1509:
	s_or_b32 s1, s1, exec_lo
                                        ; implicit-def: $vgpr6
	s_cbranch_execz .LBB385_1494
	s_branch .LBB385_1495
.LBB385_1510:
	s_mov_b32 s10, -1
	s_mov_b32 s3, 0
	s_branch .LBB385_1514
.LBB385_1511:
	s_trap 2
	s_sendmsg_rtn_b32 s0, sendmsg(MSG_RTN_GET_DOORBELL)
	s_mov_b32 ttmp2, m0
	s_waitcnt lgkmcnt(0)
	s_and_b32 s0, s0, 0x3ff
	s_delay_alu instid0(SALU_CYCLE_1) | instskip(NEXT) | instid1(SALU_CYCLE_1)
	s_bitset1_b32 s0, 10
	s_mov_b32 m0, s0
	s_sendmsg sendmsg(MSG_INTERRUPT)
	s_mov_b32 m0, ttmp2
.LBB385_1512:                           ; =>This Inner Loop Header: Depth=1
	s_sethalt 5
	s_branch .LBB385_1512
.LBB385_1513:
	s_mov_b32 s3, -1
.LBB385_1514:
                                        ; implicit-def: $vgpr4
.LBB385_1515:
	s_and_b32 vcc_lo, exec_lo, s10
	s_cbranch_vccz .LBB385_1519
; %bb.1516:
	v_cmp_eq_u16_e64 s3, s2, 44
	s_delay_alu instid0(VALU_DEP_1)
	s_and_b32 vcc_lo, exec_lo, s3
	s_cbranch_vccz .LBB385_1518
; %bb.1517:
	global_load_u8 v4, v[11:12], off
	s_mov_b32 s3, 0
	s_mov_b32 s7, -1
	s_waitcnt vmcnt(0)
	v_lshlrev_b32_e32 v5, 23, v4
	v_cmp_ne_u32_e32 vcc_lo, 0, v4
	s_delay_alu instid0(VALU_DEP_2) | instskip(NEXT) | instid1(VALU_DEP_1)
	v_cvt_i32_f32_e32 v5, v5
	v_cndmask_b32_e32 v4, 0, v5, vcc_lo
	s_branch .LBB385_1519
.LBB385_1518:
	s_mov_b32 s3, -1
                                        ; implicit-def: $vgpr4
.LBB385_1519:
	s_mov_b32 s10, 0
.LBB385_1520:
	s_delay_alu instid0(SALU_CYCLE_1)
	s_and_b32 vcc_lo, exec_lo, s10
	s_cbranch_vccz .LBB385_1524
; %bb.1521:
	v_cmp_eq_u16_e64 s3, s2, 29
	s_delay_alu instid0(VALU_DEP_1)
	s_and_b32 vcc_lo, exec_lo, s3
	s_cbranch_vccz .LBB385_1523
; %bb.1522:
	global_load_b64 v[4:5], v[11:12], off
	s_mov_b32 s3, 0
	s_mov_b32 s7, -1
	s_branch .LBB385_1524
.LBB385_1523:
	s_mov_b32 s3, -1
                                        ; implicit-def: $vgpr4
.LBB385_1524:
	s_mov_b32 s10, 0
.LBB385_1525:
	s_delay_alu instid0(SALU_CYCLE_1)
	s_and_b32 vcc_lo, exec_lo, s10
	s_cbranch_vccz .LBB385_1541
; %bb.1526:
	v_cmp_lt_i16_e64 s7, s2, 27
	s_delay_alu instid0(VALU_DEP_1)
	s_and_b32 vcc_lo, exec_lo, s7
	s_cbranch_vccnz .LBB385_1529
; %bb.1527:
	v_cmp_gt_i16_e64 s7, s2, 27
	s_delay_alu instid0(VALU_DEP_1)
	s_and_b32 vcc_lo, exec_lo, s7
	s_cbranch_vccz .LBB385_1530
; %bb.1528:
	global_load_b32 v4, v[11:12], off
	s_mov_b32 s7, 0
	s_branch .LBB385_1531
.LBB385_1529:
	s_mov_b32 s7, -1
                                        ; implicit-def: $vgpr4
	s_branch .LBB385_1534
.LBB385_1530:
	s_mov_b32 s7, -1
                                        ; implicit-def: $vgpr4
.LBB385_1531:
	s_delay_alu instid0(SALU_CYCLE_1)
	s_and_not1_b32 vcc_lo, exec_lo, s7
	s_cbranch_vccnz .LBB385_1533
; %bb.1532:
	global_load_u16 v4, v[11:12], off
.LBB385_1533:
	s_mov_b32 s7, 0
.LBB385_1534:
	s_delay_alu instid0(SALU_CYCLE_1)
	s_and_not1_b32 vcc_lo, exec_lo, s7
	s_cbranch_vccnz .LBB385_1540
; %bb.1535:
	global_load_u8 v5, v[11:12], off
	s_mov_b32 s7, 0
	s_mov_b32 s10, exec_lo
                                        ; implicit-def: $sgpr11
	s_waitcnt vmcnt(0)
	v_cmpx_lt_i16_e32 0x7f, v5
	s_xor_b32 s10, exec_lo, s10
	s_cbranch_execz .LBB385_1552
; %bb.1536:
	v_cmp_ne_u16_e32 vcc_lo, 0x80, v5
	s_mov_b32 s11, 0
	s_and_b32 s7, vcc_lo, exec_lo
	s_or_saveexec_b32 s10, s10
	v_mov_b32_e32 v4, s11
	s_xor_b32 exec_lo, exec_lo, s10
	s_cbranch_execnz .LBB385_1553
.LBB385_1537:
	s_or_b32 exec_lo, exec_lo, s10
	s_and_saveexec_b32 s10, s7
	s_cbranch_execz .LBB385_1539
.LBB385_1538:
	v_and_b32_e32 v4, 0xffff, v5
	v_lshlrev_b32_e32 v5, 24, v5
	s_delay_alu instid0(VALU_DEP_2) | instskip(NEXT) | instid1(VALU_DEP_2)
	v_and_b32_e32 v7, 7, v4
	v_and_b32_e32 v5, 0x80000000, v5
	s_delay_alu instid0(VALU_DEP_2) | instskip(NEXT) | instid1(VALU_DEP_1)
	v_clz_i32_u32_e32 v9, v7
	v_min_u32_e32 v9, 32, v9
	s_delay_alu instid0(VALU_DEP_1) | instskip(SKIP_1) | instid1(VALU_DEP_2)
	v_subrev_nc_u32_e32 v13, 28, v9
	v_sub_nc_u32_e32 v9, 29, v9
	v_lshlrev_b32_e32 v13, v13, v4
	v_bfe_u32 v4, v4, 3, 4
	s_delay_alu instid0(VALU_DEP_2) | instskip(NEXT) | instid1(VALU_DEP_2)
	v_and_b32_e32 v13, 7, v13
	v_cmp_eq_u32_e32 vcc_lo, 0, v4
	v_cndmask_b32_e32 v4, v4, v9, vcc_lo
	s_delay_alu instid0(VALU_DEP_3) | instskip(NEXT) | instid1(VALU_DEP_2)
	v_cndmask_b32_e32 v7, v7, v13, vcc_lo
	v_lshl_add_u32 v4, v4, 23, 0x3b800000
	s_delay_alu instid0(VALU_DEP_2) | instskip(NEXT) | instid1(VALU_DEP_1)
	v_lshlrev_b32_e32 v7, 20, v7
	v_or3_b32 v4, v5, v4, v7
	s_delay_alu instid0(VALU_DEP_1)
	v_cvt_i32_f32_e32 v4, v4
.LBB385_1539:
	s_or_b32 exec_lo, exec_lo, s10
.LBB385_1540:
	s_mov_b32 s7, -1
.LBB385_1541:
	s_mov_b32 s10, 0
.LBB385_1542:
	s_delay_alu instid0(SALU_CYCLE_1)
	s_and_b32 vcc_lo, exec_lo, s10
	s_cbranch_vccz .LBB385_1573
; %bb.1543:
	v_cmp_gt_i16_e64 s6, s2, 22
	s_delay_alu instid0(VALU_DEP_1)
	s_and_b32 vcc_lo, exec_lo, s6
	s_cbranch_vccz .LBB385_1551
; %bb.1544:
	v_cmp_lt_i16_e64 s6, s2, 24
	s_delay_alu instid0(VALU_DEP_1)
	s_and_b32 vcc_lo, exec_lo, s6
	s_cbranch_vccnz .LBB385_1554
; %bb.1545:
	v_cmp_gt_i16_e64 s6, s2, 24
	s_delay_alu instid0(VALU_DEP_1)
	s_and_b32 vcc_lo, exec_lo, s6
	s_cbranch_vccz .LBB385_1555
; %bb.1546:
	global_load_u8 v5, v[11:12], off
	s_mov_b32 s6, 0
	s_mov_b32 s7, exec_lo
                                        ; implicit-def: $sgpr10
	s_waitcnt vmcnt(0)
	v_cmpx_lt_i16_e32 0x7f, v5
	s_xor_b32 s7, exec_lo, s7
	s_cbranch_execz .LBB385_1567
; %bb.1547:
	v_cmp_ne_u16_e32 vcc_lo, 0x80, v5
	s_mov_b32 s10, 0
	s_and_b32 s6, vcc_lo, exec_lo
	s_or_saveexec_b32 s7, s7
	v_mov_b32_e32 v4, s10
	s_xor_b32 exec_lo, exec_lo, s7
	s_cbranch_execnz .LBB385_1568
.LBB385_1548:
	s_or_b32 exec_lo, exec_lo, s7
	s_and_saveexec_b32 s7, s6
	s_cbranch_execz .LBB385_1550
.LBB385_1549:
	v_and_b32_e32 v4, 0xffff, v5
	v_lshlrev_b32_e32 v5, 24, v5
	s_delay_alu instid0(VALU_DEP_2) | instskip(NEXT) | instid1(VALU_DEP_2)
	v_and_b32_e32 v7, 3, v4
	v_and_b32_e32 v5, 0x80000000, v5
	s_delay_alu instid0(VALU_DEP_2) | instskip(NEXT) | instid1(VALU_DEP_1)
	v_clz_i32_u32_e32 v9, v7
	v_min_u32_e32 v9, 32, v9
	s_delay_alu instid0(VALU_DEP_1) | instskip(SKIP_1) | instid1(VALU_DEP_2)
	v_subrev_nc_u32_e32 v13, 29, v9
	v_sub_nc_u32_e32 v9, 30, v9
	v_lshlrev_b32_e32 v13, v13, v4
	v_bfe_u32 v4, v4, 2, 5
	s_delay_alu instid0(VALU_DEP_2) | instskip(NEXT) | instid1(VALU_DEP_2)
	v_and_b32_e32 v13, 3, v13
	v_cmp_eq_u32_e32 vcc_lo, 0, v4
	v_cndmask_b32_e32 v4, v4, v9, vcc_lo
	s_delay_alu instid0(VALU_DEP_3) | instskip(NEXT) | instid1(VALU_DEP_2)
	v_cndmask_b32_e32 v7, v7, v13, vcc_lo
	v_lshl_add_u32 v4, v4, 23, 0x37800000
	s_delay_alu instid0(VALU_DEP_2) | instskip(NEXT) | instid1(VALU_DEP_1)
	v_lshlrev_b32_e32 v7, 21, v7
	v_or3_b32 v4, v5, v4, v7
	s_delay_alu instid0(VALU_DEP_1)
	v_cvt_i32_f32_e32 v4, v4
.LBB385_1550:
	s_or_b32 exec_lo, exec_lo, s7
	s_mov_b32 s6, 0
	s_branch .LBB385_1556
.LBB385_1551:
	s_mov_b32 s6, -1
                                        ; implicit-def: $vgpr4
	s_branch .LBB385_1562
.LBB385_1552:
	s_or_saveexec_b32 s10, s10
	v_mov_b32_e32 v4, s11
	s_xor_b32 exec_lo, exec_lo, s10
	s_cbranch_execz .LBB385_1537
.LBB385_1553:
	v_cmp_ne_u16_e32 vcc_lo, 0, v5
	v_mov_b32_e32 v4, 0
	s_and_not1_b32 s7, s7, exec_lo
	s_and_b32 s11, vcc_lo, exec_lo
	s_delay_alu instid0(SALU_CYCLE_1)
	s_or_b32 s7, s7, s11
	s_or_b32 exec_lo, exec_lo, s10
	s_and_saveexec_b32 s10, s7
	s_cbranch_execnz .LBB385_1538
	s_branch .LBB385_1539
.LBB385_1554:
	s_mov_b32 s6, -1
                                        ; implicit-def: $vgpr4
	s_branch .LBB385_1559
.LBB385_1555:
	s_mov_b32 s6, -1
                                        ; implicit-def: $vgpr4
.LBB385_1556:
	s_delay_alu instid0(SALU_CYCLE_1)
	s_and_b32 vcc_lo, exec_lo, s6
	s_cbranch_vccz .LBB385_1558
; %bb.1557:
	global_load_u8 v4, v[11:12], off
	s_waitcnt vmcnt(0)
	v_lshlrev_b32_e32 v4, 24, v4
	s_delay_alu instid0(VALU_DEP_1) | instskip(NEXT) | instid1(VALU_DEP_1)
	v_and_b32_e32 v5, 0x7f000000, v4
	v_clz_i32_u32_e32 v7, v5
	v_add_nc_u32_e32 v13, 0x1000000, v5
	v_cmp_ne_u32_e32 vcc_lo, 0, v5
	s_delay_alu instid0(VALU_DEP_3) | instskip(NEXT) | instid1(VALU_DEP_1)
	v_min_u32_e32 v7, 32, v7
	v_sub_nc_u32_e64 v7, v7, 4 clamp
	s_delay_alu instid0(VALU_DEP_1) | instskip(SKIP_1) | instid1(VALU_DEP_2)
	v_lshlrev_b32_e32 v9, v7, v5
	v_lshlrev_b32_e32 v7, 23, v7
	v_lshrrev_b32_e32 v9, 4, v9
	s_delay_alu instid0(VALU_DEP_1) | instskip(SKIP_1) | instid1(VALU_DEP_2)
	v_sub_nc_u32_e32 v7, v9, v7
	v_ashrrev_i32_e32 v9, 8, v13
	v_add_nc_u32_e32 v7, 0x3c000000, v7
	s_delay_alu instid0(VALU_DEP_1) | instskip(NEXT) | instid1(VALU_DEP_1)
	v_and_or_b32 v7, 0x7f800000, v9, v7
	v_cndmask_b32_e32 v5, 0, v7, vcc_lo
	s_delay_alu instid0(VALU_DEP_1) | instskip(NEXT) | instid1(VALU_DEP_1)
	v_and_or_b32 v4, 0x80000000, v4, v5
	v_cvt_i32_f32_e32 v4, v4
.LBB385_1558:
	s_mov_b32 s6, 0
.LBB385_1559:
	s_delay_alu instid0(SALU_CYCLE_1)
	s_and_not1_b32 vcc_lo, exec_lo, s6
	s_cbranch_vccnz .LBB385_1561
; %bb.1560:
	global_load_u8 v4, v[11:12], off
	s_waitcnt vmcnt(0)
	v_lshlrev_b32_e32 v5, 25, v4
	v_lshlrev_b16 v4, 8, v4
	s_delay_alu instid0(VALU_DEP_2) | instskip(NEXT) | instid1(VALU_DEP_2)
	v_lshrrev_b32_e32 v7, 4, v5
	v_and_or_b32 v9, 0x7f00, v4, 0.5
	v_cmp_gt_u32_e32 vcc_lo, 0x8000000, v5
	v_bfe_i32 v4, v4, 0, 16
	s_delay_alu instid0(VALU_DEP_4) | instskip(NEXT) | instid1(VALU_DEP_4)
	v_or_b32_e32 v7, 0x70000000, v7
	v_add_f32_e32 v9, -0.5, v9
	s_delay_alu instid0(VALU_DEP_2) | instskip(NEXT) | instid1(VALU_DEP_1)
	v_mul_f32_e32 v7, 0x7800000, v7
	v_cndmask_b32_e32 v5, v7, v9, vcc_lo
	s_delay_alu instid0(VALU_DEP_1) | instskip(NEXT) | instid1(VALU_DEP_1)
	v_and_or_b32 v4, 0x80000000, v4, v5
	v_cvt_i32_f32_e32 v4, v4
.LBB385_1561:
	s_mov_b32 s6, 0
	s_mov_b32 s7, -1
.LBB385_1562:
	s_and_not1_b32 vcc_lo, exec_lo, s6
	s_mov_b32 s6, 0
	s_cbranch_vccnz .LBB385_1573
; %bb.1563:
	v_cmp_gt_i16_e64 s6, s2, 14
	s_delay_alu instid0(VALU_DEP_1)
	s_and_b32 vcc_lo, exec_lo, s6
	s_cbranch_vccz .LBB385_1566
; %bb.1564:
	v_cmp_eq_u16_e64 s3, s2, 15
	s_delay_alu instid0(VALU_DEP_1)
	s_and_b32 vcc_lo, exec_lo, s3
	s_cbranch_vccz .LBB385_1569
; %bb.1565:
	global_load_u16 v4, v[11:12], off
	s_mov_b32 s3, 0
	s_mov_b32 s7, -1
	s_waitcnt vmcnt(0)
	v_lshlrev_b32_e32 v4, 16, v4
	s_delay_alu instid0(VALU_DEP_1)
	v_cvt_i32_f32_e32 v4, v4
	s_branch .LBB385_1570
.LBB385_1566:
	s_mov_b32 s6, -1
                                        ; implicit-def: $vgpr4
	s_branch .LBB385_1571
.LBB385_1567:
	s_or_saveexec_b32 s7, s7
	v_mov_b32_e32 v4, s10
	s_xor_b32 exec_lo, exec_lo, s7
	s_cbranch_execz .LBB385_1548
.LBB385_1568:
	v_cmp_ne_u16_e32 vcc_lo, 0, v5
	v_mov_b32_e32 v4, 0
	s_and_not1_b32 s6, s6, exec_lo
	s_and_b32 s10, vcc_lo, exec_lo
	s_delay_alu instid0(SALU_CYCLE_1)
	s_or_b32 s6, s6, s10
	s_or_b32 exec_lo, exec_lo, s7
	s_and_saveexec_b32 s7, s6
	s_cbranch_execnz .LBB385_1549
	s_branch .LBB385_1550
.LBB385_1569:
	s_mov_b32 s3, -1
                                        ; implicit-def: $vgpr4
.LBB385_1570:
	s_mov_b32 s6, 0
.LBB385_1571:
	s_delay_alu instid0(SALU_CYCLE_1)
	s_and_b32 vcc_lo, exec_lo, s6
	s_mov_b32 s6, 0
	s_cbranch_vccz .LBB385_1573
; %bb.1572:
	v_cmp_ne_u16_e64 s3, s2, 11
	s_mov_b32 s6, -1
                                        ; implicit-def: $vgpr4
.LBB385_1573:
	s_delay_alu instid0(VALU_DEP_1)
	s_and_b32 vcc_lo, exec_lo, s3
	s_cbranch_vccnz .LBB385_2102
; %bb.1574:
	s_and_not1_b32 vcc_lo, exec_lo, s6
	s_cbranch_vccnz .LBB385_1576
.LBB385_1575:
	global_load_u8 v4, v[11:12], off
	s_mov_b32 s7, -1
	s_waitcnt vmcnt(0)
	v_cmp_ne_u16_e32 vcc_lo, 0, v4
	v_cndmask_b32_e64 v4, 0, 1, vcc_lo
.LBB385_1576:
	s_mov_b32 s3, 0
.LBB385_1577:
	s_delay_alu instid0(SALU_CYCLE_1)
	s_and_b32 vcc_lo, exec_lo, s3
	s_cbranch_vccz .LBB385_1626
; %bb.1578:
	v_cmp_lt_i16_e64 s3, s2, 5
	s_delay_alu instid0(VALU_DEP_1)
	s_and_b32 vcc_lo, exec_lo, s3
	s_cbranch_vccnz .LBB385_1583
; %bb.1579:
	v_cmp_lt_i16_e64 s3, s2, 8
	s_delay_alu instid0(VALU_DEP_1)
	s_and_b32 vcc_lo, exec_lo, s3
	s_cbranch_vccnz .LBB385_1584
	;; [unrolled: 5-line block ×3, first 2 shown]
; %bb.1581:
	v_cmp_gt_i16_e64 s3, s2, 9
	s_delay_alu instid0(VALU_DEP_1)
	s_and_b32 vcc_lo, exec_lo, s3
	s_cbranch_vccz .LBB385_1586
; %bb.1582:
	global_load_b64 v[4:5], v[11:12], off
	s_mov_b32 s3, 0
	s_waitcnt vmcnt(0)
	v_cvt_i32_f64_e32 v4, v[4:5]
	s_branch .LBB385_1587
.LBB385_1583:
	s_mov_b32 s3, -1
                                        ; implicit-def: $vgpr4
	s_branch .LBB385_1605
.LBB385_1584:
	s_mov_b32 s3, -1
                                        ; implicit-def: $vgpr4
	s_branch .LBB385_1593
.LBB385_1585:
	s_mov_b32 s3, -1
                                        ; implicit-def: $vgpr4
	s_branch .LBB385_1590
.LBB385_1586:
	s_mov_b32 s3, -1
                                        ; implicit-def: $vgpr4
.LBB385_1587:
	s_delay_alu instid0(SALU_CYCLE_1)
	s_and_not1_b32 vcc_lo, exec_lo, s3
	s_cbranch_vccnz .LBB385_1589
; %bb.1588:
	global_load_b32 v4, v[11:12], off
	s_waitcnt vmcnt(0)
	v_cvt_i32_f32_e32 v4, v4
.LBB385_1589:
	s_mov_b32 s3, 0
.LBB385_1590:
	s_delay_alu instid0(SALU_CYCLE_1)
	s_and_not1_b32 vcc_lo, exec_lo, s3
	s_cbranch_vccnz .LBB385_1592
; %bb.1591:
	global_load_b32 v4, v[11:12], off
	s_waitcnt vmcnt(0)
	v_cvt_i16_f16_e32 v4, v4
.LBB385_1592:
	s_mov_b32 s3, 0
.LBB385_1593:
	s_delay_alu instid0(SALU_CYCLE_1)
	s_and_not1_b32 vcc_lo, exec_lo, s3
	s_cbranch_vccnz .LBB385_1604
; %bb.1594:
	v_cmp_lt_i16_e64 s3, s2, 6
	s_delay_alu instid0(VALU_DEP_1)
	s_and_b32 vcc_lo, exec_lo, s3
	s_cbranch_vccnz .LBB385_1597
; %bb.1595:
	v_cmp_gt_i16_e64 s3, s2, 6
	s_delay_alu instid0(VALU_DEP_1)
	s_and_b32 vcc_lo, exec_lo, s3
	s_cbranch_vccz .LBB385_1598
; %bb.1596:
	global_load_b64 v[4:5], v[11:12], off
	s_mov_b32 s3, 0
	s_waitcnt vmcnt(0)
	v_cvt_i32_f64_e32 v4, v[4:5]
	s_branch .LBB385_1599
.LBB385_1597:
	s_mov_b32 s3, -1
                                        ; implicit-def: $vgpr4
	s_branch .LBB385_1602
.LBB385_1598:
	s_mov_b32 s3, -1
                                        ; implicit-def: $vgpr4
.LBB385_1599:
	s_delay_alu instid0(SALU_CYCLE_1)
	s_and_not1_b32 vcc_lo, exec_lo, s3
	s_cbranch_vccnz .LBB385_1601
; %bb.1600:
	global_load_b32 v4, v[11:12], off
	s_waitcnt vmcnt(0)
	v_cvt_i32_f32_e32 v4, v4
.LBB385_1601:
	s_mov_b32 s3, 0
.LBB385_1602:
	s_delay_alu instid0(SALU_CYCLE_1)
	s_and_not1_b32 vcc_lo, exec_lo, s3
	s_cbranch_vccnz .LBB385_1604
; %bb.1603:
	global_load_u16 v4, v[11:12], off
	s_waitcnt vmcnt(0)
	v_cvt_i16_f16_e32 v4, v4
.LBB385_1604:
	s_mov_b32 s3, 0
.LBB385_1605:
	s_delay_alu instid0(SALU_CYCLE_1)
	s_and_not1_b32 vcc_lo, exec_lo, s3
	s_cbranch_vccnz .LBB385_1625
; %bb.1606:
	v_cmp_lt_i16_e64 s3, s2, 2
	s_delay_alu instid0(VALU_DEP_1)
	s_and_b32 vcc_lo, exec_lo, s3
	s_cbranch_vccnz .LBB385_1610
; %bb.1607:
	v_cmp_lt_i16_e64 s3, s2, 3
	s_delay_alu instid0(VALU_DEP_1)
	s_and_b32 vcc_lo, exec_lo, s3
	s_cbranch_vccnz .LBB385_1611
; %bb.1608:
	v_cmp_gt_i16_e64 s3, s2, 3
	s_delay_alu instid0(VALU_DEP_1)
	s_and_b32 vcc_lo, exec_lo, s3
	s_cbranch_vccz .LBB385_1612
; %bb.1609:
	global_load_b64 v[4:5], v[11:12], off
	s_mov_b32 s3, 0
	s_branch .LBB385_1613
.LBB385_1610:
	s_mov_b32 s3, -1
                                        ; implicit-def: $vgpr4
	s_branch .LBB385_1619
.LBB385_1611:
	s_mov_b32 s3, -1
                                        ; implicit-def: $vgpr4
	s_branch .LBB385_1616
.LBB385_1612:
	s_mov_b32 s3, -1
                                        ; implicit-def: $vgpr4
.LBB385_1613:
	s_delay_alu instid0(SALU_CYCLE_1)
	s_and_not1_b32 vcc_lo, exec_lo, s3
	s_cbranch_vccnz .LBB385_1615
; %bb.1614:
	global_load_b32 v4, v[11:12], off
.LBB385_1615:
	s_mov_b32 s3, 0
.LBB385_1616:
	s_delay_alu instid0(SALU_CYCLE_1)
	s_and_not1_b32 vcc_lo, exec_lo, s3
	s_cbranch_vccnz .LBB385_1618
; %bb.1617:
	global_load_u16 v4, v[11:12], off
.LBB385_1618:
	s_mov_b32 s3, 0
.LBB385_1619:
	s_delay_alu instid0(SALU_CYCLE_1)
	s_and_not1_b32 vcc_lo, exec_lo, s3
	s_cbranch_vccnz .LBB385_1625
; %bb.1620:
	v_cmp_gt_i16_e64 s2, s2, 0
	s_delay_alu instid0(VALU_DEP_1)
	s_and_b32 vcc_lo, exec_lo, s2
	s_mov_b32 s2, 0
	s_cbranch_vccz .LBB385_1622
; %bb.1621:
	global_load_i8 v4, v[11:12], off
	s_branch .LBB385_1623
.LBB385_1622:
	s_mov_b32 s2, -1
                                        ; implicit-def: $vgpr4
.LBB385_1623:
	s_delay_alu instid0(SALU_CYCLE_1)
	s_and_not1_b32 vcc_lo, exec_lo, s2
	s_cbranch_vccnz .LBB385_1625
; %bb.1624:
	global_load_u8 v4, v[11:12], off
.LBB385_1625:
	s_mov_b32 s7, -1
.LBB385_1626:
	s_delay_alu instid0(SALU_CYCLE_1)
	s_and_not1_b32 vcc_lo, exec_lo, s7
	s_cbranch_vccnz .LBB385_2057
; %bb.1627:
	s_load_b32 s2, s[16:17], 0x158
	s_lshr_b32 s0, s0, 16
	s_mov_b32 s6, 0
	v_and_b32_e64 v9, 0xff, s0
	v_add_co_u32 v11, s0, s4, v3
	s_delay_alu instid0(VALU_DEP_1) | instskip(NEXT) | instid1(VALU_DEP_3)
	v_add_co_ci_u32_e64 v12, null, s5, 0, s0
	v_cmp_gt_i16_e32 vcc_lo, 11, v9
	s_mov_b32 s0, -1
	s_waitcnt lgkmcnt(0)
	v_max_i16 v3, v10, s2
	s_cbranch_vccnz .LBB385_1705
; %bb.1628:
	v_cmp_lt_i16_e32 vcc_lo, 25, v9
	s_mov_b32 s7, -1
	s_mov_b32 s3, 0
	s_mov_b32 s0, 0
	s_cbranch_vccz .LBB385_1661
; %bb.1629:
	v_cmp_lt_i16_e32 vcc_lo, 28, v9
	s_cbranch_vccz .LBB385_1644
; %bb.1630:
	v_cmp_lt_i16_e32 vcc_lo, 43, v9
	;; [unrolled: 3-line block ×3, first 2 shown]
	s_cbranch_vccz .LBB385_1634
; %bb.1632:
	v_cmp_eq_u16_e32 vcc_lo, 46, v9
	s_mov_b32 s0, -1
	s_mov_b32 s7, 0
	s_cbranch_vccz .LBB385_1634
; %bb.1633:
	s_waitcnt vmcnt(0)
	v_bfe_i32 v5, v3, 0, 16
	s_mov_b32 s0, 0
	s_mov_b32 s6, -1
	s_delay_alu instid0(VALU_DEP_1) | instskip(NEXT) | instid1(VALU_DEP_1)
	v_cvt_f32_i32_e32 v5, v5
	v_bfe_u32 v7, v5, 16, 1
	s_delay_alu instid0(VALU_DEP_1) | instskip(NEXT) | instid1(VALU_DEP_1)
	v_add3_u32 v5, v5, v7, 0x7fff
	v_lshrrev_b32_e32 v5, 16, v5
	global_store_b32 v[11:12], v5, off
.LBB385_1634:
	s_and_b32 vcc_lo, exec_lo, s7
	s_cbranch_vccz .LBB385_1639
; %bb.1635:
	v_cmp_eq_u16_e32 vcc_lo, 44, v9
	s_mov_b32 s0, -1
	s_cbranch_vccz .LBB385_1639
; %bb.1636:
	s_waitcnt vmcnt(0)
	v_bfe_i32 v5, v3, 0, 16
	v_mov_b32_e32 v7, 0xff
	s_mov_b32 s6, exec_lo
	s_delay_alu instid0(VALU_DEP_2) | instskip(NEXT) | instid1(VALU_DEP_1)
	v_cvt_f32_i32_e32 v5, v5
	v_bfe_u32 v10, v5, 23, 8
	s_delay_alu instid0(VALU_DEP_1)
	v_cmpx_ne_u32_e32 0xff, v10
; %bb.1637:
	v_and_b32_e32 v7, 0x400000, v5
	v_and_or_b32 v10, 0x3fffff, v5, v10
	v_lshrrev_b32_e32 v5, 23, v5
	s_delay_alu instid0(VALU_DEP_3) | instskip(NEXT) | instid1(VALU_DEP_3)
	v_cmp_ne_u32_e32 vcc_lo, 0, v7
	v_cmp_ne_u32_e64 s0, 0, v10
	s_delay_alu instid0(VALU_DEP_1) | instskip(NEXT) | instid1(SALU_CYCLE_1)
	s_and_b32 s0, vcc_lo, s0
	v_cndmask_b32_e64 v7, 0, 1, s0
	s_delay_alu instid0(VALU_DEP_1)
	v_add_nc_u32_e32 v7, v5, v7
; %bb.1638:
	s_or_b32 exec_lo, exec_lo, s6
	s_mov_b32 s0, 0
	s_mov_b32 s6, -1
	global_store_b8 v[11:12], v7, off
.LBB385_1639:
	s_mov_b32 s7, 0
.LBB385_1640:
	s_delay_alu instid0(SALU_CYCLE_1)
	s_and_b32 vcc_lo, exec_lo, s7
	s_cbranch_vccz .LBB385_1643
; %bb.1641:
	v_cmp_eq_u16_e32 vcc_lo, 29, v9
	s_mov_b32 s0, -1
	s_cbranch_vccz .LBB385_1643
; %bb.1642:
	v_bfe_i32 v13, v3, 0, 16
	s_mov_b32 s0, 0
	s_mov_b32 s6, -1
	s_delay_alu instid0(VALU_DEP_1)
	v_ashrrev_i32_e32 v14, 31, v13
	global_store_b64 v[11:12], v[13:14], off
.LBB385_1643:
	s_mov_b32 s7, 0
.LBB385_1644:
	s_delay_alu instid0(SALU_CYCLE_1)
	s_and_b32 vcc_lo, exec_lo, s7
	s_cbranch_vccz .LBB385_1660
; %bb.1645:
	v_cmp_gt_i16_e32 vcc_lo, 27, v9
	s_mov_b32 s6, -1
	s_cbranch_vccnz .LBB385_1651
; %bb.1646:
	v_cmp_lt_i16_e32 vcc_lo, 27, v9
	s_cbranch_vccz .LBB385_1648
; %bb.1647:
	s_waitcnt vmcnt(0)
	v_bfe_i32 v5, v3, 0, 16
	s_mov_b32 s6, 0
	global_store_b32 v[11:12], v5, off
.LBB385_1648:
	s_and_not1_b32 vcc_lo, exec_lo, s6
	s_cbranch_vccnz .LBB385_1650
; %bb.1649:
	global_store_b16 v[11:12], v3, off
.LBB385_1650:
	s_mov_b32 s6, 0
.LBB385_1651:
	s_delay_alu instid0(SALU_CYCLE_1)
	s_and_not1_b32 vcc_lo, exec_lo, s6
	s_cbranch_vccnz .LBB385_1659
; %bb.1652:
	s_waitcnt vmcnt(0)
	v_bfe_i32 v5, v3, 0, 16
	v_mov_b32_e32 v10, 0x80
	s_mov_b32 s6, exec_lo
	s_delay_alu instid0(VALU_DEP_2) | instskip(NEXT) | instid1(VALU_DEP_1)
	v_cvt_f32_i32_e32 v5, v5
	v_and_b32_e32 v7, 0x7fffffff, v5
	s_delay_alu instid0(VALU_DEP_1)
	v_cmpx_gt_u32_e32 0x43800000, v7
	s_cbranch_execz .LBB385_1658
; %bb.1653:
	v_cmp_lt_u32_e32 vcc_lo, 0x3bffffff, v7
	s_mov_b32 s7, 0
                                        ; implicit-def: $vgpr7
	s_and_saveexec_b32 s10, vcc_lo
	s_delay_alu instid0(SALU_CYCLE_1)
	s_xor_b32 s10, exec_lo, s10
	s_cbranch_execz .LBB385_2104
; %bb.1654:
	v_bfe_u32 v7, v5, 20, 1
	s_mov_b32 s7, exec_lo
	s_delay_alu instid0(VALU_DEP_1) | instskip(NEXT) | instid1(VALU_DEP_1)
	v_add3_u32 v7, v5, v7, 0x487ffff
	v_lshrrev_b32_e32 v7, 20, v7
	s_or_saveexec_b32 s10, s10
                                        ; implicit-def: $sgpr11
	s_delay_alu instid0(SALU_CYCLE_1)
	s_xor_b32 exec_lo, exec_lo, s10
	s_cbranch_execnz .LBB385_2105
.LBB385_1655:
	s_or_b32 exec_lo, exec_lo, s10
	v_mov_b32_e32 v10, s11
	s_and_saveexec_b32 s10, s7
.LBB385_1656:
	v_lshrrev_b32_e32 v5, 24, v5
	s_delay_alu instid0(VALU_DEP_1)
	v_and_or_b32 v10, 0x80, v5, v7
.LBB385_1657:
	s_or_b32 exec_lo, exec_lo, s10
.LBB385_1658:
	s_delay_alu instid0(SALU_CYCLE_1)
	s_or_b32 exec_lo, exec_lo, s6
	global_store_b8 v[11:12], v10, off
.LBB385_1659:
	s_mov_b32 s6, -1
.LBB385_1660:
	s_mov_b32 s7, 0
.LBB385_1661:
	s_delay_alu instid0(SALU_CYCLE_1)
	s_and_b32 vcc_lo, exec_lo, s7
	s_cbranch_vccz .LBB385_1701
; %bb.1662:
	v_cmp_lt_i16_e32 vcc_lo, 22, v9
	s_mov_b32 s3, -1
	s_cbranch_vccz .LBB385_1694
; %bb.1663:
	v_cmp_gt_i16_e32 vcc_lo, 24, v9
	s_cbranch_vccnz .LBB385_1683
; %bb.1664:
	v_cmp_lt_i16_e32 vcc_lo, 24, v9
	s_cbranch_vccz .LBB385_1672
; %bb.1665:
	s_waitcnt vmcnt(0)
	v_bfe_i32 v5, v3, 0, 16
	v_mov_b32_e32 v10, 0x80
	s_mov_b32 s3, exec_lo
	s_delay_alu instid0(VALU_DEP_2) | instskip(NEXT) | instid1(VALU_DEP_1)
	v_cvt_f32_i32_e32 v5, v5
	v_and_b32_e32 v7, 0x7fffffff, v5
	s_delay_alu instid0(VALU_DEP_1)
	v_cmpx_gt_u32_e32 0x47800000, v7
	s_cbranch_execz .LBB385_1671
; %bb.1666:
	v_cmp_lt_u32_e32 vcc_lo, 0x37ffffff, v7
	s_mov_b32 s6, 0
                                        ; implicit-def: $vgpr7
	s_and_saveexec_b32 s7, vcc_lo
	s_delay_alu instid0(SALU_CYCLE_1)
	s_xor_b32 s7, exec_lo, s7
	s_cbranch_execz .LBB385_2110
; %bb.1667:
	v_bfe_u32 v7, v5, 21, 1
	s_mov_b32 s6, exec_lo
	s_delay_alu instid0(VALU_DEP_1) | instskip(NEXT) | instid1(VALU_DEP_1)
	v_add3_u32 v7, v5, v7, 0x88fffff
	v_lshrrev_b32_e32 v7, 21, v7
	s_or_saveexec_b32 s7, s7
                                        ; implicit-def: $sgpr10
	s_delay_alu instid0(SALU_CYCLE_1)
	s_xor_b32 exec_lo, exec_lo, s7
	s_cbranch_execnz .LBB385_2111
.LBB385_1668:
	s_or_b32 exec_lo, exec_lo, s7
	v_mov_b32_e32 v10, s10
	s_and_saveexec_b32 s7, s6
.LBB385_1669:
	v_lshrrev_b32_e32 v5, 24, v5
	s_delay_alu instid0(VALU_DEP_1)
	v_and_or_b32 v10, 0x80, v5, v7
.LBB385_1670:
	s_or_b32 exec_lo, exec_lo, s7
.LBB385_1671:
	s_delay_alu instid0(SALU_CYCLE_1)
	s_or_b32 exec_lo, exec_lo, s3
	s_mov_b32 s3, 0
	global_store_b8 v[11:12], v10, off
.LBB385_1672:
	s_and_b32 vcc_lo, exec_lo, s3
	s_cbranch_vccz .LBB385_1682
; %bb.1673:
	s_waitcnt vmcnt(0)
	v_bfe_i32 v5, v3, 0, 16
	s_mov_b32 s3, exec_lo
                                        ; implicit-def: $vgpr7
	s_delay_alu instid0(VALU_DEP_1) | instskip(NEXT) | instid1(VALU_DEP_1)
	v_cvt_f32_i32_e32 v5, v5
	v_and_b32_e32 v10, 0x7fffffff, v5
	s_delay_alu instid0(VALU_DEP_1)
	v_cmpx_gt_u32_e32 0x43f00000, v10
	s_xor_b32 s3, exec_lo, s3
	s_cbranch_execz .LBB385_1679
; %bb.1674:
	s_mov_b32 s6, exec_lo
                                        ; implicit-def: $vgpr7
	v_cmpx_lt_u32_e32 0x3c7fffff, v10
	s_xor_b32 s6, exec_lo, s6
; %bb.1675:
	v_bfe_u32 v7, v5, 20, 1
	s_delay_alu instid0(VALU_DEP_1) | instskip(NEXT) | instid1(VALU_DEP_1)
	v_add3_u32 v7, v5, v7, 0x407ffff
	v_and_b32_e32 v10, 0xff00000, v7
	v_lshrrev_b32_e32 v7, 20, v7
	s_delay_alu instid0(VALU_DEP_2) | instskip(NEXT) | instid1(VALU_DEP_2)
	v_cmp_ne_u32_e32 vcc_lo, 0x7f00000, v10
	v_cndmask_b32_e32 v7, 0x7e, v7, vcc_lo
; %bb.1676:
	s_and_not1_saveexec_b32 s6, s6
; %bb.1677:
	v_add_f32_e64 v7, 0x46800000, |v5|
; %bb.1678:
	s_or_b32 exec_lo, exec_lo, s6
                                        ; implicit-def: $vgpr10
.LBB385_1679:
	s_and_not1_saveexec_b32 s3, s3
; %bb.1680:
	v_mov_b32_e32 v7, 0x7f
	v_cmp_lt_u32_e32 vcc_lo, 0x7f800000, v10
	s_delay_alu instid0(VALU_DEP_2)
	v_cndmask_b32_e32 v7, 0x7e, v7, vcc_lo
; %bb.1681:
	s_or_b32 exec_lo, exec_lo, s3
	v_lshrrev_b32_e32 v5, 24, v5
	s_delay_alu instid0(VALU_DEP_1)
	v_and_or_b32 v5, 0x80, v5, v7
	global_store_b8 v[11:12], v5, off
.LBB385_1682:
	s_mov_b32 s3, 0
.LBB385_1683:
	s_delay_alu instid0(SALU_CYCLE_1)
	s_and_not1_b32 vcc_lo, exec_lo, s3
	s_cbranch_vccnz .LBB385_1693
; %bb.1684:
	s_waitcnt vmcnt(0)
	v_bfe_i32 v5, v3, 0, 16
	s_mov_b32 s3, exec_lo
                                        ; implicit-def: $vgpr7
	s_delay_alu instid0(VALU_DEP_1) | instskip(NEXT) | instid1(VALU_DEP_1)
	v_cvt_f32_i32_e32 v5, v5
	v_and_b32_e32 v10, 0x7fffffff, v5
	s_delay_alu instid0(VALU_DEP_1)
	v_cmpx_gt_u32_e32 0x47800000, v10
	s_xor_b32 s3, exec_lo, s3
	s_cbranch_execz .LBB385_1690
; %bb.1685:
	s_mov_b32 s6, exec_lo
                                        ; implicit-def: $vgpr7
	v_cmpx_lt_u32_e32 0x387fffff, v10
	s_xor_b32 s6, exec_lo, s6
; %bb.1686:
	v_bfe_u32 v7, v5, 21, 1
	s_delay_alu instid0(VALU_DEP_1) | instskip(NEXT) | instid1(VALU_DEP_1)
	v_add3_u32 v7, v5, v7, 0x80fffff
	v_lshrrev_b32_e32 v7, 21, v7
; %bb.1687:
	s_and_not1_saveexec_b32 s6, s6
; %bb.1688:
	v_add_f32_e64 v7, 0x43000000, |v5|
; %bb.1689:
	s_or_b32 exec_lo, exec_lo, s6
                                        ; implicit-def: $vgpr10
.LBB385_1690:
	s_and_not1_saveexec_b32 s3, s3
; %bb.1691:
	v_mov_b32_e32 v7, 0x7f
	v_cmp_lt_u32_e32 vcc_lo, 0x7f800000, v10
	s_delay_alu instid0(VALU_DEP_2)
	v_cndmask_b32_e32 v7, 0x7c, v7, vcc_lo
; %bb.1692:
	s_or_b32 exec_lo, exec_lo, s3
	v_lshrrev_b32_e32 v5, 24, v5
	s_delay_alu instid0(VALU_DEP_1)
	v_and_or_b32 v5, 0x80, v5, v7
	global_store_b8 v[11:12], v5, off
.LBB385_1693:
	s_mov_b32 s3, 0
	s_mov_b32 s6, -1
.LBB385_1694:
	s_and_not1_b32 vcc_lo, exec_lo, s3
	s_mov_b32 s3, 0
	s_cbranch_vccnz .LBB385_1701
; %bb.1695:
	v_cmp_lt_i16_e32 vcc_lo, 14, v9
	s_mov_b32 s3, -1
	s_cbranch_vccz .LBB385_1699
; %bb.1696:
	v_cmp_eq_u16_e32 vcc_lo, 15, v9
	s_mov_b32 s0, -1
	s_cbranch_vccz .LBB385_1698
; %bb.1697:
	s_waitcnt vmcnt(0)
	v_bfe_i32 v5, v3, 0, 16
	s_mov_b32 s0, 0
	s_mov_b32 s6, -1
	s_delay_alu instid0(VALU_DEP_1) | instskip(NEXT) | instid1(VALU_DEP_1)
	v_cvt_f32_i32_e32 v5, v5
	v_bfe_u32 v7, v5, 16, 1
	s_delay_alu instid0(VALU_DEP_1)
	v_add3_u32 v5, v5, v7, 0x7fff
	global_store_d16_hi_b16 v[11:12], v5, off
.LBB385_1698:
	s_mov_b32 s3, 0
.LBB385_1699:
	s_delay_alu instid0(SALU_CYCLE_1)
	s_and_b32 vcc_lo, exec_lo, s3
	s_mov_b32 s3, 0
	s_cbranch_vccz .LBB385_1701
; %bb.1700:
	v_cmp_ne_u16_e64 s0, 11, v9
	s_mov_b32 s3, -1
.LBB385_1701:
	s_delay_alu instid0(VALU_DEP_1)
	s_and_b32 vcc_lo, exec_lo, s0
	s_cbranch_vccnz .LBB385_2108
; %bb.1702:
	s_and_not1_b32 vcc_lo, exec_lo, s3
	s_cbranch_vccnz .LBB385_1704
.LBB385_1703:
	v_cmp_ne_u16_e32 vcc_lo, 0, v3
	s_mov_b32 s6, -1
	s_waitcnt vmcnt(0)
	v_cndmask_b32_e64 v5, 0, 1, vcc_lo
	global_store_b8 v[11:12], v5, off
.LBB385_1704:
	s_mov_b32 s0, 0
.LBB385_1705:
	s_delay_alu instid0(SALU_CYCLE_1)
	s_and_b32 vcc_lo, exec_lo, s0
	s_cbranch_vccz .LBB385_1744
; %bb.1706:
	v_cmp_gt_i16_e32 vcc_lo, 5, v9
	s_mov_b32 s0, -1
	s_cbranch_vccnz .LBB385_1727
; %bb.1707:
	v_cmp_gt_i16_e32 vcc_lo, 8, v9
	s_cbranch_vccnz .LBB385_1717
; %bb.1708:
	v_cmp_gt_i16_e32 vcc_lo, 9, v9
	s_cbranch_vccnz .LBB385_1714
; %bb.1709:
	v_cmp_lt_i16_e32 vcc_lo, 9, v9
	s_cbranch_vccz .LBB385_1711
; %bb.1710:
	s_waitcnt vmcnt(0)
	v_bfe_i32 v5, v3, 0, 16
	v_mov_b32_e32 v15, 0
	s_mov_b32 s0, 0
	s_delay_alu instid0(VALU_DEP_2) | instskip(NEXT) | instid1(VALU_DEP_2)
	v_cvt_f64_i32_e32 v[13:14], v5
	v_mov_b32_e32 v16, v15
	global_store_b128 v[11:12], v[13:16], off
.LBB385_1711:
	s_and_not1_b32 vcc_lo, exec_lo, s0
	s_cbranch_vccnz .LBB385_1713
; %bb.1712:
	s_waitcnt vmcnt(0)
	v_bfe_i32 v5, v3, 0, 16
	v_mov_b32_e32 v14, 0
	s_delay_alu instid0(VALU_DEP_2)
	v_cvt_f32_i32_e32 v13, v5
	global_store_b64 v[11:12], v[13:14], off
.LBB385_1713:
	s_mov_b32 s0, 0
.LBB385_1714:
	s_delay_alu instid0(SALU_CYCLE_1)
	s_and_not1_b32 vcc_lo, exec_lo, s0
	s_cbranch_vccnz .LBB385_1716
; %bb.1715:
	s_waitcnt vmcnt(0)
	v_cvt_f16_i16_e32 v5, v3
	s_delay_alu instid0(VALU_DEP_1)
	v_and_b32_e32 v5, 0xffff, v5
	global_store_b32 v[11:12], v5, off
.LBB385_1716:
	s_mov_b32 s0, 0
.LBB385_1717:
	s_delay_alu instid0(SALU_CYCLE_1)
	s_and_not1_b32 vcc_lo, exec_lo, s0
	s_cbranch_vccnz .LBB385_1726
; %bb.1718:
	v_cmp_gt_i16_e32 vcc_lo, 6, v9
	s_mov_b32 s0, -1
	s_cbranch_vccnz .LBB385_1724
; %bb.1719:
	v_cmp_lt_i16_e32 vcc_lo, 6, v9
	s_cbranch_vccz .LBB385_1721
; %bb.1720:
	s_waitcnt vmcnt(0)
	v_bfe_i32 v5, v3, 0, 16
	s_mov_b32 s0, 0
	s_delay_alu instid0(VALU_DEP_1)
	v_cvt_f64_i32_e32 v[13:14], v5
	global_store_b64 v[11:12], v[13:14], off
.LBB385_1721:
	s_and_not1_b32 vcc_lo, exec_lo, s0
	s_cbranch_vccnz .LBB385_1723
; %bb.1722:
	s_waitcnt vmcnt(0)
	v_bfe_i32 v5, v3, 0, 16
	s_delay_alu instid0(VALU_DEP_1)
	v_cvt_f32_i32_e32 v5, v5
	global_store_b32 v[11:12], v5, off
.LBB385_1723:
	s_mov_b32 s0, 0
.LBB385_1724:
	s_delay_alu instid0(SALU_CYCLE_1)
	s_and_not1_b32 vcc_lo, exec_lo, s0
	s_cbranch_vccnz .LBB385_1726
; %bb.1725:
	s_waitcnt vmcnt(0)
	v_cvt_f16_i16_e32 v5, v3
	global_store_b16 v[11:12], v5, off
.LBB385_1726:
	s_mov_b32 s0, 0
.LBB385_1727:
	s_delay_alu instid0(SALU_CYCLE_1)
	s_and_not1_b32 vcc_lo, exec_lo, s0
	s_cbranch_vccnz .LBB385_1743
; %bb.1728:
	v_cmp_gt_i16_e32 vcc_lo, 2, v9
	s_mov_b32 s0, -1
	s_cbranch_vccnz .LBB385_1738
; %bb.1729:
	v_cmp_gt_i16_e32 vcc_lo, 3, v9
	s_cbranch_vccnz .LBB385_1735
; %bb.1730:
	v_cmp_lt_i16_e32 vcc_lo, 3, v9
	s_cbranch_vccz .LBB385_1732
; %bb.1731:
	v_bfe_i32 v13, v3, 0, 16
	s_mov_b32 s0, 0
	s_delay_alu instid0(VALU_DEP_1)
	v_ashrrev_i32_e32 v14, 31, v13
	global_store_b64 v[11:12], v[13:14], off
.LBB385_1732:
	s_and_not1_b32 vcc_lo, exec_lo, s0
	s_cbranch_vccnz .LBB385_1734
; %bb.1733:
	s_waitcnt vmcnt(0)
	v_bfe_i32 v5, v3, 0, 16
	global_store_b32 v[11:12], v5, off
.LBB385_1734:
	s_mov_b32 s0, 0
.LBB385_1735:
	s_delay_alu instid0(SALU_CYCLE_1)
	s_and_not1_b32 vcc_lo, exec_lo, s0
	s_cbranch_vccnz .LBB385_1737
; %bb.1736:
	global_store_b16 v[11:12], v3, off
.LBB385_1737:
	s_mov_b32 s0, 0
.LBB385_1738:
	s_delay_alu instid0(SALU_CYCLE_1)
	s_and_not1_b32 vcc_lo, exec_lo, s0
	s_cbranch_vccnz .LBB385_1743
; %bb.1739:
	v_cmp_lt_i16_e32 vcc_lo, 0, v9
	s_mov_b32 s0, -1
	s_cbranch_vccz .LBB385_1741
; %bb.1740:
	s_mov_b32 s0, 0
	global_store_b8 v[11:12], v3, off
.LBB385_1741:
	s_and_not1_b32 vcc_lo, exec_lo, s0
	s_cbranch_vccnz .LBB385_1743
; %bb.1742:
	global_store_b8 v[11:12], v3, off
.LBB385_1743:
	s_mov_b32 s6, -1
.LBB385_1744:
	s_delay_alu instid0(SALU_CYCLE_1)
	s_and_not1_b32 vcc_lo, exec_lo, s6
	s_cbranch_vccnz .LBB385_2057
; %bb.1745:
	v_cmp_gt_i16_e32 vcc_lo, 11, v9
	v_add_co_u32 v2, s0, s4, v2
	s_waitcnt vmcnt(0)
	v_max_i16 v5, v8, s2
	v_add_co_ci_u32_e64 v3, null, s5, 0, s0
	s_mov_b32 s6, 0
	s_mov_b32 s0, -1
	s_cbranch_vccnz .LBB385_1823
; %bb.1746:
	v_cmp_lt_i16_e32 vcc_lo, 25, v9
	s_mov_b32 s7, -1
	s_mov_b32 s3, 0
	s_mov_b32 s0, 0
	s_cbranch_vccz .LBB385_1779
; %bb.1747:
	v_cmp_lt_i16_e32 vcc_lo, 28, v9
	s_cbranch_vccz .LBB385_1762
; %bb.1748:
	v_cmp_lt_i16_e32 vcc_lo, 43, v9
	;; [unrolled: 3-line block ×3, first 2 shown]
	s_cbranch_vccz .LBB385_1752
; %bb.1750:
	v_cmp_eq_u16_e32 vcc_lo, 46, v9
	s_mov_b32 s0, -1
	s_mov_b32 s7, 0
	s_cbranch_vccz .LBB385_1752
; %bb.1751:
	v_bfe_i32 v7, v5, 0, 16
	s_mov_b32 s0, 0
	s_mov_b32 s6, -1
	s_delay_alu instid0(VALU_DEP_1) | instskip(NEXT) | instid1(VALU_DEP_1)
	v_cvt_f32_i32_e32 v7, v7
	v_bfe_u32 v8, v7, 16, 1
	s_delay_alu instid0(VALU_DEP_1) | instskip(NEXT) | instid1(VALU_DEP_1)
	v_add3_u32 v7, v7, v8, 0x7fff
	v_lshrrev_b32_e32 v7, 16, v7
	global_store_b32 v[2:3], v7, off
.LBB385_1752:
	s_and_b32 vcc_lo, exec_lo, s7
	s_cbranch_vccz .LBB385_1757
; %bb.1753:
	v_cmp_eq_u16_e32 vcc_lo, 44, v9
	s_mov_b32 s0, -1
	s_cbranch_vccz .LBB385_1757
; %bb.1754:
	v_bfe_i32 v7, v5, 0, 16
	v_mov_b32_e32 v8, 0xff
	s_mov_b32 s6, exec_lo
	s_delay_alu instid0(VALU_DEP_2) | instskip(NEXT) | instid1(VALU_DEP_1)
	v_cvt_f32_i32_e32 v7, v7
	v_bfe_u32 v10, v7, 23, 8
	s_delay_alu instid0(VALU_DEP_1)
	v_cmpx_ne_u32_e32 0xff, v10
; %bb.1755:
	v_and_b32_e32 v8, 0x400000, v7
	v_and_or_b32 v10, 0x3fffff, v7, v10
	v_lshrrev_b32_e32 v7, 23, v7
	s_delay_alu instid0(VALU_DEP_3) | instskip(NEXT) | instid1(VALU_DEP_3)
	v_cmp_ne_u32_e32 vcc_lo, 0, v8
	v_cmp_ne_u32_e64 s0, 0, v10
	s_delay_alu instid0(VALU_DEP_1) | instskip(NEXT) | instid1(SALU_CYCLE_1)
	s_and_b32 s0, vcc_lo, s0
	v_cndmask_b32_e64 v8, 0, 1, s0
	s_delay_alu instid0(VALU_DEP_1)
	v_add_nc_u32_e32 v8, v7, v8
; %bb.1756:
	s_or_b32 exec_lo, exec_lo, s6
	s_mov_b32 s0, 0
	s_mov_b32 s6, -1
	global_store_b8 v[2:3], v8, off
.LBB385_1757:
	s_mov_b32 s7, 0
.LBB385_1758:
	s_delay_alu instid0(SALU_CYCLE_1)
	s_and_b32 vcc_lo, exec_lo, s7
	s_cbranch_vccz .LBB385_1761
; %bb.1759:
	v_cmp_eq_u16_e32 vcc_lo, 29, v9
	s_mov_b32 s0, -1
	s_cbranch_vccz .LBB385_1761
; %bb.1760:
	v_bfe_i32 v7, v5, 0, 16
	s_mov_b32 s0, 0
	s_mov_b32 s6, -1
	s_delay_alu instid0(VALU_DEP_1)
	v_ashrrev_i32_e32 v8, 31, v7
	global_store_b64 v[2:3], v[7:8], off
.LBB385_1761:
	s_mov_b32 s7, 0
.LBB385_1762:
	s_delay_alu instid0(SALU_CYCLE_1)
	s_and_b32 vcc_lo, exec_lo, s7
	s_cbranch_vccz .LBB385_1778
; %bb.1763:
	v_cmp_gt_i16_e32 vcc_lo, 27, v9
	s_mov_b32 s6, -1
	s_cbranch_vccnz .LBB385_1769
; %bb.1764:
	v_cmp_lt_i16_e32 vcc_lo, 27, v9
	s_cbranch_vccz .LBB385_1766
; %bb.1765:
	v_bfe_i32 v7, v5, 0, 16
	s_mov_b32 s6, 0
	global_store_b32 v[2:3], v7, off
.LBB385_1766:
	s_and_not1_b32 vcc_lo, exec_lo, s6
	s_cbranch_vccnz .LBB385_1768
; %bb.1767:
	global_store_b16 v[2:3], v5, off
.LBB385_1768:
	s_mov_b32 s6, 0
.LBB385_1769:
	s_delay_alu instid0(SALU_CYCLE_1)
	s_and_not1_b32 vcc_lo, exec_lo, s6
	s_cbranch_vccnz .LBB385_1777
; %bb.1770:
	v_bfe_i32 v7, v5, 0, 16
	v_mov_b32_e32 v10, 0x80
	s_mov_b32 s6, exec_lo
	s_delay_alu instid0(VALU_DEP_2) | instskip(NEXT) | instid1(VALU_DEP_1)
	v_cvt_f32_i32_e32 v7, v7
	v_and_b32_e32 v8, 0x7fffffff, v7
	s_delay_alu instid0(VALU_DEP_1)
	v_cmpx_gt_u32_e32 0x43800000, v8
	s_cbranch_execz .LBB385_1776
; %bb.1771:
	v_cmp_lt_u32_e32 vcc_lo, 0x3bffffff, v8
	s_mov_b32 s7, 0
                                        ; implicit-def: $vgpr8
	s_and_saveexec_b32 s10, vcc_lo
	s_delay_alu instid0(SALU_CYCLE_1)
	s_xor_b32 s10, exec_lo, s10
	s_cbranch_execz .LBB385_2112
; %bb.1772:
	v_bfe_u32 v8, v7, 20, 1
	s_mov_b32 s7, exec_lo
	s_delay_alu instid0(VALU_DEP_1) | instskip(NEXT) | instid1(VALU_DEP_1)
	v_add3_u32 v8, v7, v8, 0x487ffff
	v_lshrrev_b32_e32 v8, 20, v8
	s_or_saveexec_b32 s10, s10
                                        ; implicit-def: $sgpr11
	s_delay_alu instid0(SALU_CYCLE_1)
	s_xor_b32 exec_lo, exec_lo, s10
	s_cbranch_execnz .LBB385_2113
.LBB385_1773:
	s_or_b32 exec_lo, exec_lo, s10
	v_mov_b32_e32 v10, s11
	s_and_saveexec_b32 s10, s7
.LBB385_1774:
	v_lshrrev_b32_e32 v7, 24, v7
	s_delay_alu instid0(VALU_DEP_1)
	v_and_or_b32 v10, 0x80, v7, v8
.LBB385_1775:
	s_or_b32 exec_lo, exec_lo, s10
.LBB385_1776:
	s_delay_alu instid0(SALU_CYCLE_1)
	s_or_b32 exec_lo, exec_lo, s6
	global_store_b8 v[2:3], v10, off
.LBB385_1777:
	s_mov_b32 s6, -1
.LBB385_1778:
	s_mov_b32 s7, 0
.LBB385_1779:
	s_delay_alu instid0(SALU_CYCLE_1)
	s_and_b32 vcc_lo, exec_lo, s7
	s_cbranch_vccz .LBB385_1819
; %bb.1780:
	v_cmp_lt_i16_e32 vcc_lo, 22, v9
	s_mov_b32 s3, -1
	s_cbranch_vccz .LBB385_1812
; %bb.1781:
	v_cmp_gt_i16_e32 vcc_lo, 24, v9
	s_cbranch_vccnz .LBB385_1801
; %bb.1782:
	v_cmp_lt_i16_e32 vcc_lo, 24, v9
	s_cbranch_vccz .LBB385_1790
; %bb.1783:
	v_bfe_i32 v7, v5, 0, 16
	v_mov_b32_e32 v10, 0x80
	s_mov_b32 s3, exec_lo
	s_delay_alu instid0(VALU_DEP_2) | instskip(NEXT) | instid1(VALU_DEP_1)
	v_cvt_f32_i32_e32 v7, v7
	v_and_b32_e32 v8, 0x7fffffff, v7
	s_delay_alu instid0(VALU_DEP_1)
	v_cmpx_gt_u32_e32 0x47800000, v8
	s_cbranch_execz .LBB385_1789
; %bb.1784:
	v_cmp_lt_u32_e32 vcc_lo, 0x37ffffff, v8
	s_mov_b32 s6, 0
                                        ; implicit-def: $vgpr8
	s_and_saveexec_b32 s7, vcc_lo
	s_delay_alu instid0(SALU_CYCLE_1)
	s_xor_b32 s7, exec_lo, s7
	s_cbranch_execz .LBB385_2118
; %bb.1785:
	v_bfe_u32 v8, v7, 21, 1
	s_mov_b32 s6, exec_lo
	s_delay_alu instid0(VALU_DEP_1) | instskip(NEXT) | instid1(VALU_DEP_1)
	v_add3_u32 v8, v7, v8, 0x88fffff
	v_lshrrev_b32_e32 v8, 21, v8
	s_or_saveexec_b32 s7, s7
                                        ; implicit-def: $sgpr10
	s_delay_alu instid0(SALU_CYCLE_1)
	s_xor_b32 exec_lo, exec_lo, s7
	s_cbranch_execnz .LBB385_2119
.LBB385_1786:
	s_or_b32 exec_lo, exec_lo, s7
	v_mov_b32_e32 v10, s10
	s_and_saveexec_b32 s7, s6
.LBB385_1787:
	v_lshrrev_b32_e32 v7, 24, v7
	s_delay_alu instid0(VALU_DEP_1)
	v_and_or_b32 v10, 0x80, v7, v8
.LBB385_1788:
	s_or_b32 exec_lo, exec_lo, s7
.LBB385_1789:
	s_delay_alu instid0(SALU_CYCLE_1)
	s_or_b32 exec_lo, exec_lo, s3
	s_mov_b32 s3, 0
	global_store_b8 v[2:3], v10, off
.LBB385_1790:
	s_and_b32 vcc_lo, exec_lo, s3
	s_cbranch_vccz .LBB385_1800
; %bb.1791:
	v_bfe_i32 v7, v5, 0, 16
	s_mov_b32 s3, exec_lo
                                        ; implicit-def: $vgpr8
	s_delay_alu instid0(VALU_DEP_1) | instskip(NEXT) | instid1(VALU_DEP_1)
	v_cvt_f32_i32_e32 v7, v7
	v_and_b32_e32 v10, 0x7fffffff, v7
	s_delay_alu instid0(VALU_DEP_1)
	v_cmpx_gt_u32_e32 0x43f00000, v10
	s_xor_b32 s3, exec_lo, s3
	s_cbranch_execz .LBB385_1797
; %bb.1792:
	s_mov_b32 s6, exec_lo
                                        ; implicit-def: $vgpr8
	v_cmpx_lt_u32_e32 0x3c7fffff, v10
	s_xor_b32 s6, exec_lo, s6
; %bb.1793:
	v_bfe_u32 v8, v7, 20, 1
	s_delay_alu instid0(VALU_DEP_1) | instskip(NEXT) | instid1(VALU_DEP_1)
	v_add3_u32 v8, v7, v8, 0x407ffff
	v_and_b32_e32 v10, 0xff00000, v8
	v_lshrrev_b32_e32 v8, 20, v8
	s_delay_alu instid0(VALU_DEP_2) | instskip(NEXT) | instid1(VALU_DEP_2)
	v_cmp_ne_u32_e32 vcc_lo, 0x7f00000, v10
	v_cndmask_b32_e32 v8, 0x7e, v8, vcc_lo
; %bb.1794:
	s_and_not1_saveexec_b32 s6, s6
; %bb.1795:
	v_add_f32_e64 v8, 0x46800000, |v7|
; %bb.1796:
	s_or_b32 exec_lo, exec_lo, s6
                                        ; implicit-def: $vgpr10
.LBB385_1797:
	s_and_not1_saveexec_b32 s3, s3
; %bb.1798:
	v_mov_b32_e32 v8, 0x7f
	v_cmp_lt_u32_e32 vcc_lo, 0x7f800000, v10
	s_delay_alu instid0(VALU_DEP_2)
	v_cndmask_b32_e32 v8, 0x7e, v8, vcc_lo
; %bb.1799:
	s_or_b32 exec_lo, exec_lo, s3
	v_lshrrev_b32_e32 v7, 24, v7
	s_delay_alu instid0(VALU_DEP_1)
	v_and_or_b32 v7, 0x80, v7, v8
	global_store_b8 v[2:3], v7, off
.LBB385_1800:
	s_mov_b32 s3, 0
.LBB385_1801:
	s_delay_alu instid0(SALU_CYCLE_1)
	s_and_not1_b32 vcc_lo, exec_lo, s3
	s_cbranch_vccnz .LBB385_1811
; %bb.1802:
	v_bfe_i32 v7, v5, 0, 16
	s_mov_b32 s3, exec_lo
                                        ; implicit-def: $vgpr8
	s_delay_alu instid0(VALU_DEP_1) | instskip(NEXT) | instid1(VALU_DEP_1)
	v_cvt_f32_i32_e32 v7, v7
	v_and_b32_e32 v10, 0x7fffffff, v7
	s_delay_alu instid0(VALU_DEP_1)
	v_cmpx_gt_u32_e32 0x47800000, v10
	s_xor_b32 s3, exec_lo, s3
	s_cbranch_execz .LBB385_1808
; %bb.1803:
	s_mov_b32 s6, exec_lo
                                        ; implicit-def: $vgpr8
	v_cmpx_lt_u32_e32 0x387fffff, v10
	s_xor_b32 s6, exec_lo, s6
; %bb.1804:
	v_bfe_u32 v8, v7, 21, 1
	s_delay_alu instid0(VALU_DEP_1) | instskip(NEXT) | instid1(VALU_DEP_1)
	v_add3_u32 v8, v7, v8, 0x80fffff
	v_lshrrev_b32_e32 v8, 21, v8
; %bb.1805:
	s_and_not1_saveexec_b32 s6, s6
; %bb.1806:
	v_add_f32_e64 v8, 0x43000000, |v7|
; %bb.1807:
	s_or_b32 exec_lo, exec_lo, s6
                                        ; implicit-def: $vgpr10
.LBB385_1808:
	s_and_not1_saveexec_b32 s3, s3
; %bb.1809:
	v_mov_b32_e32 v8, 0x7f
	v_cmp_lt_u32_e32 vcc_lo, 0x7f800000, v10
	s_delay_alu instid0(VALU_DEP_2)
	v_cndmask_b32_e32 v8, 0x7c, v8, vcc_lo
; %bb.1810:
	s_or_b32 exec_lo, exec_lo, s3
	v_lshrrev_b32_e32 v7, 24, v7
	s_delay_alu instid0(VALU_DEP_1)
	v_and_or_b32 v7, 0x80, v7, v8
	global_store_b8 v[2:3], v7, off
.LBB385_1811:
	s_mov_b32 s3, 0
	s_mov_b32 s6, -1
.LBB385_1812:
	s_and_not1_b32 vcc_lo, exec_lo, s3
	s_mov_b32 s3, 0
	s_cbranch_vccnz .LBB385_1819
; %bb.1813:
	v_cmp_lt_i16_e32 vcc_lo, 14, v9
	s_mov_b32 s3, -1
	s_cbranch_vccz .LBB385_1817
; %bb.1814:
	v_cmp_eq_u16_e32 vcc_lo, 15, v9
	s_mov_b32 s0, -1
	s_cbranch_vccz .LBB385_1816
; %bb.1815:
	v_bfe_i32 v7, v5, 0, 16
	s_mov_b32 s0, 0
	s_mov_b32 s6, -1
	s_delay_alu instid0(VALU_DEP_1) | instskip(NEXT) | instid1(VALU_DEP_1)
	v_cvt_f32_i32_e32 v7, v7
	v_bfe_u32 v8, v7, 16, 1
	s_delay_alu instid0(VALU_DEP_1)
	v_add3_u32 v7, v7, v8, 0x7fff
	global_store_d16_hi_b16 v[2:3], v7, off
.LBB385_1816:
	s_mov_b32 s3, 0
.LBB385_1817:
	s_delay_alu instid0(SALU_CYCLE_1)
	s_and_b32 vcc_lo, exec_lo, s3
	s_mov_b32 s3, 0
	s_cbranch_vccz .LBB385_1819
; %bb.1818:
	v_cmp_ne_u16_e64 s0, 11, v9
	s_mov_b32 s3, -1
.LBB385_1819:
	s_delay_alu instid0(VALU_DEP_1)
	s_and_b32 vcc_lo, exec_lo, s0
	s_cbranch_vccnz .LBB385_2116
; %bb.1820:
	s_and_not1_b32 vcc_lo, exec_lo, s3
	s_cbranch_vccnz .LBB385_1822
.LBB385_1821:
	v_cmp_ne_u16_e32 vcc_lo, 0, v5
	s_mov_b32 s6, -1
	v_cndmask_b32_e64 v7, 0, 1, vcc_lo
	global_store_b8 v[2:3], v7, off
.LBB385_1822:
	s_mov_b32 s0, 0
.LBB385_1823:
	s_delay_alu instid0(SALU_CYCLE_1)
	s_and_b32 vcc_lo, exec_lo, s0
	s_cbranch_vccz .LBB385_1862
; %bb.1824:
	v_cmp_gt_i16_e32 vcc_lo, 5, v9
	s_mov_b32 s0, -1
	s_cbranch_vccnz .LBB385_1845
; %bb.1825:
	v_cmp_gt_i16_e32 vcc_lo, 8, v9
	s_cbranch_vccnz .LBB385_1835
; %bb.1826:
	v_cmp_gt_i16_e32 vcc_lo, 9, v9
	s_cbranch_vccnz .LBB385_1832
; %bb.1827:
	v_cmp_lt_i16_e32 vcc_lo, 9, v9
	s_cbranch_vccz .LBB385_1829
; %bb.1828:
	v_bfe_i32 v7, v5, 0, 16
	v_mov_b32_e32 v12, 0
	s_mov_b32 s0, 0
	s_delay_alu instid0(VALU_DEP_2) | instskip(NEXT) | instid1(VALU_DEP_2)
	v_cvt_f64_i32_e32 v[10:11], v7
	v_mov_b32_e32 v13, v12
	global_store_b128 v[2:3], v[10:13], off
.LBB385_1829:
	s_and_not1_b32 vcc_lo, exec_lo, s0
	s_cbranch_vccnz .LBB385_1831
; %bb.1830:
	v_bfe_i32 v7, v5, 0, 16
	v_mov_b32_e32 v8, 0
	s_delay_alu instid0(VALU_DEP_2)
	v_cvt_f32_i32_e32 v7, v7
	global_store_b64 v[2:3], v[7:8], off
.LBB385_1831:
	s_mov_b32 s0, 0
.LBB385_1832:
	s_delay_alu instid0(SALU_CYCLE_1)
	s_and_not1_b32 vcc_lo, exec_lo, s0
	s_cbranch_vccnz .LBB385_1834
; %bb.1833:
	v_cvt_f16_i16_e32 v7, v5
	s_delay_alu instid0(VALU_DEP_1)
	v_and_b32_e32 v7, 0xffff, v7
	global_store_b32 v[2:3], v7, off
.LBB385_1834:
	s_mov_b32 s0, 0
.LBB385_1835:
	s_delay_alu instid0(SALU_CYCLE_1)
	s_and_not1_b32 vcc_lo, exec_lo, s0
	s_cbranch_vccnz .LBB385_1844
; %bb.1836:
	v_cmp_gt_i16_e32 vcc_lo, 6, v9
	s_mov_b32 s0, -1
	s_cbranch_vccnz .LBB385_1842
; %bb.1837:
	v_cmp_lt_i16_e32 vcc_lo, 6, v9
	s_cbranch_vccz .LBB385_1839
; %bb.1838:
	v_bfe_i32 v7, v5, 0, 16
	s_mov_b32 s0, 0
	s_delay_alu instid0(VALU_DEP_1)
	v_cvt_f64_i32_e32 v[7:8], v7
	global_store_b64 v[2:3], v[7:8], off
.LBB385_1839:
	s_and_not1_b32 vcc_lo, exec_lo, s0
	s_cbranch_vccnz .LBB385_1841
; %bb.1840:
	v_bfe_i32 v7, v5, 0, 16
	s_delay_alu instid0(VALU_DEP_1)
	v_cvt_f32_i32_e32 v7, v7
	global_store_b32 v[2:3], v7, off
.LBB385_1841:
	s_mov_b32 s0, 0
.LBB385_1842:
	s_delay_alu instid0(SALU_CYCLE_1)
	s_and_not1_b32 vcc_lo, exec_lo, s0
	s_cbranch_vccnz .LBB385_1844
; %bb.1843:
	v_cvt_f16_i16_e32 v7, v5
	global_store_b16 v[2:3], v7, off
.LBB385_1844:
	s_mov_b32 s0, 0
.LBB385_1845:
	s_delay_alu instid0(SALU_CYCLE_1)
	s_and_not1_b32 vcc_lo, exec_lo, s0
	s_cbranch_vccnz .LBB385_1861
; %bb.1846:
	v_cmp_gt_i16_e32 vcc_lo, 2, v9
	s_mov_b32 s0, -1
	s_cbranch_vccnz .LBB385_1856
; %bb.1847:
	v_cmp_gt_i16_e32 vcc_lo, 3, v9
	s_cbranch_vccnz .LBB385_1853
; %bb.1848:
	v_cmp_lt_i16_e32 vcc_lo, 3, v9
	v_bfe_i32 v7, v5, 0, 16
	s_cbranch_vccz .LBB385_1850
; %bb.1849:
	s_delay_alu instid0(VALU_DEP_1)
	v_ashrrev_i32_e32 v8, 31, v7
	s_mov_b32 s0, 0
	global_store_b64 v[2:3], v[7:8], off
.LBB385_1850:
	s_and_not1_b32 vcc_lo, exec_lo, s0
	s_cbranch_vccnz .LBB385_1852
; %bb.1851:
	global_store_b32 v[2:3], v7, off
.LBB385_1852:
	s_mov_b32 s0, 0
.LBB385_1853:
	s_delay_alu instid0(SALU_CYCLE_1)
	s_and_not1_b32 vcc_lo, exec_lo, s0
	s_cbranch_vccnz .LBB385_1855
; %bb.1854:
	global_store_b16 v[2:3], v5, off
.LBB385_1855:
	s_mov_b32 s0, 0
.LBB385_1856:
	s_delay_alu instid0(SALU_CYCLE_1)
	s_and_not1_b32 vcc_lo, exec_lo, s0
	s_cbranch_vccnz .LBB385_1861
; %bb.1857:
	v_cmp_lt_i16_e32 vcc_lo, 0, v9
	s_mov_b32 s0, -1
	s_cbranch_vccz .LBB385_1859
; %bb.1858:
	s_mov_b32 s0, 0
	global_store_b8 v[2:3], v5, off
.LBB385_1859:
	s_and_not1_b32 vcc_lo, exec_lo, s0
	s_cbranch_vccnz .LBB385_1861
; %bb.1860:
	global_store_b8 v[2:3], v5, off
.LBB385_1861:
	s_mov_b32 s6, -1
.LBB385_1862:
	s_delay_alu instid0(SALU_CYCLE_1)
	s_and_not1_b32 vcc_lo, exec_lo, s6
	s_cbranch_vccnz .LBB385_2057
; %bb.1863:
	v_cmp_gt_i16_e32 vcc_lo, 11, v9
	v_add_co_u32 v1, s0, s4, v1
	v_max_i16 v3, v6, s2
	v_add_co_ci_u32_e64 v2, null, s5, 0, s0
	s_mov_b32 s6, 0
	s_mov_b32 s0, -1
	s_cbranch_vccnz .LBB385_1941
; %bb.1864:
	v_cmp_lt_i16_e32 vcc_lo, 25, v9
	s_mov_b32 s7, -1
	s_mov_b32 s3, 0
	s_mov_b32 s0, 0
	s_cbranch_vccz .LBB385_1897
; %bb.1865:
	v_cmp_lt_i16_e32 vcc_lo, 28, v9
	s_cbranch_vccz .LBB385_1880
; %bb.1866:
	v_cmp_lt_i16_e32 vcc_lo, 43, v9
	;; [unrolled: 3-line block ×3, first 2 shown]
	s_cbranch_vccz .LBB385_1870
; %bb.1868:
	v_cmp_eq_u16_e32 vcc_lo, 46, v9
	s_mov_b32 s0, -1
	s_mov_b32 s7, 0
	s_cbranch_vccz .LBB385_1870
; %bb.1869:
	v_bfe_i32 v5, v3, 0, 16
	s_mov_b32 s0, 0
	s_mov_b32 s6, -1
	s_delay_alu instid0(VALU_DEP_1) | instskip(NEXT) | instid1(VALU_DEP_1)
	v_cvt_f32_i32_e32 v5, v5
	v_bfe_u32 v6, v5, 16, 1
	s_delay_alu instid0(VALU_DEP_1) | instskip(NEXT) | instid1(VALU_DEP_1)
	v_add3_u32 v5, v5, v6, 0x7fff
	v_lshrrev_b32_e32 v5, 16, v5
	global_store_b32 v[1:2], v5, off
.LBB385_1870:
	s_and_b32 vcc_lo, exec_lo, s7
	s_cbranch_vccz .LBB385_1875
; %bb.1871:
	v_cmp_eq_u16_e32 vcc_lo, 44, v9
	s_mov_b32 s0, -1
	s_cbranch_vccz .LBB385_1875
; %bb.1872:
	v_bfe_i32 v5, v3, 0, 16
	v_mov_b32_e32 v6, 0xff
	s_mov_b32 s6, exec_lo
	s_delay_alu instid0(VALU_DEP_2) | instskip(NEXT) | instid1(VALU_DEP_1)
	v_cvt_f32_i32_e32 v5, v5
	v_bfe_u32 v7, v5, 23, 8
	s_delay_alu instid0(VALU_DEP_1)
	v_cmpx_ne_u32_e32 0xff, v7
; %bb.1873:
	v_and_b32_e32 v6, 0x400000, v5
	v_and_or_b32 v7, 0x3fffff, v5, v7
	v_lshrrev_b32_e32 v5, 23, v5
	s_delay_alu instid0(VALU_DEP_3) | instskip(NEXT) | instid1(VALU_DEP_3)
	v_cmp_ne_u32_e32 vcc_lo, 0, v6
	v_cmp_ne_u32_e64 s0, 0, v7
	s_delay_alu instid0(VALU_DEP_1) | instskip(NEXT) | instid1(SALU_CYCLE_1)
	s_and_b32 s0, vcc_lo, s0
	v_cndmask_b32_e64 v6, 0, 1, s0
	s_delay_alu instid0(VALU_DEP_1)
	v_add_nc_u32_e32 v6, v5, v6
; %bb.1874:
	s_or_b32 exec_lo, exec_lo, s6
	s_mov_b32 s0, 0
	s_mov_b32 s6, -1
	global_store_b8 v[1:2], v6, off
.LBB385_1875:
	s_mov_b32 s7, 0
.LBB385_1876:
	s_delay_alu instid0(SALU_CYCLE_1)
	s_and_b32 vcc_lo, exec_lo, s7
	s_cbranch_vccz .LBB385_1879
; %bb.1877:
	v_cmp_eq_u16_e32 vcc_lo, 29, v9
	s_mov_b32 s0, -1
	s_cbranch_vccz .LBB385_1879
; %bb.1878:
	v_bfe_i32 v5, v3, 0, 16
	s_mov_b32 s0, 0
	s_mov_b32 s6, -1
	s_delay_alu instid0(VALU_DEP_1)
	v_ashrrev_i32_e32 v6, 31, v5
	global_store_b64 v[1:2], v[5:6], off
.LBB385_1879:
	s_mov_b32 s7, 0
.LBB385_1880:
	s_delay_alu instid0(SALU_CYCLE_1)
	s_and_b32 vcc_lo, exec_lo, s7
	s_cbranch_vccz .LBB385_1896
; %bb.1881:
	v_cmp_gt_i16_e32 vcc_lo, 27, v9
	s_mov_b32 s6, -1
	s_cbranch_vccnz .LBB385_1887
; %bb.1882:
	v_cmp_lt_i16_e32 vcc_lo, 27, v9
	s_cbranch_vccz .LBB385_1884
; %bb.1883:
	v_bfe_i32 v5, v3, 0, 16
	s_mov_b32 s6, 0
	global_store_b32 v[1:2], v5, off
.LBB385_1884:
	s_and_not1_b32 vcc_lo, exec_lo, s6
	s_cbranch_vccnz .LBB385_1886
; %bb.1885:
	global_store_b16 v[1:2], v3, off
.LBB385_1886:
	s_mov_b32 s6, 0
.LBB385_1887:
	s_delay_alu instid0(SALU_CYCLE_1)
	s_and_not1_b32 vcc_lo, exec_lo, s6
	s_cbranch_vccnz .LBB385_1895
; %bb.1888:
	v_bfe_i32 v5, v3, 0, 16
	v_mov_b32_e32 v7, 0x80
	s_mov_b32 s6, exec_lo
	s_delay_alu instid0(VALU_DEP_2) | instskip(NEXT) | instid1(VALU_DEP_1)
	v_cvt_f32_i32_e32 v5, v5
	v_and_b32_e32 v6, 0x7fffffff, v5
	s_delay_alu instid0(VALU_DEP_1)
	v_cmpx_gt_u32_e32 0x43800000, v6
	s_cbranch_execz .LBB385_1894
; %bb.1889:
	v_cmp_lt_u32_e32 vcc_lo, 0x3bffffff, v6
	s_mov_b32 s7, 0
                                        ; implicit-def: $vgpr6
	s_and_saveexec_b32 s10, vcc_lo
	s_delay_alu instid0(SALU_CYCLE_1)
	s_xor_b32 s10, exec_lo, s10
	s_cbranch_execz .LBB385_2120
; %bb.1890:
	v_bfe_u32 v6, v5, 20, 1
	s_mov_b32 s7, exec_lo
	s_delay_alu instid0(VALU_DEP_1) | instskip(NEXT) | instid1(VALU_DEP_1)
	v_add3_u32 v6, v5, v6, 0x487ffff
	v_lshrrev_b32_e32 v6, 20, v6
	s_or_saveexec_b32 s10, s10
                                        ; implicit-def: $sgpr11
	s_delay_alu instid0(SALU_CYCLE_1)
	s_xor_b32 exec_lo, exec_lo, s10
	s_cbranch_execnz .LBB385_2121
.LBB385_1891:
	s_or_b32 exec_lo, exec_lo, s10
	v_mov_b32_e32 v7, s11
	s_and_saveexec_b32 s10, s7
.LBB385_1892:
	v_lshrrev_b32_e32 v5, 24, v5
	s_delay_alu instid0(VALU_DEP_1)
	v_and_or_b32 v7, 0x80, v5, v6
.LBB385_1893:
	s_or_b32 exec_lo, exec_lo, s10
.LBB385_1894:
	s_delay_alu instid0(SALU_CYCLE_1)
	s_or_b32 exec_lo, exec_lo, s6
	global_store_b8 v[1:2], v7, off
.LBB385_1895:
	s_mov_b32 s6, -1
.LBB385_1896:
	s_mov_b32 s7, 0
.LBB385_1897:
	s_delay_alu instid0(SALU_CYCLE_1)
	s_and_b32 vcc_lo, exec_lo, s7
	s_cbranch_vccz .LBB385_1937
; %bb.1898:
	v_cmp_lt_i16_e32 vcc_lo, 22, v9
	s_mov_b32 s3, -1
	s_cbranch_vccz .LBB385_1930
; %bb.1899:
	v_cmp_gt_i16_e32 vcc_lo, 24, v9
	s_cbranch_vccnz .LBB385_1919
; %bb.1900:
	v_cmp_lt_i16_e32 vcc_lo, 24, v9
	s_cbranch_vccz .LBB385_1908
; %bb.1901:
	v_bfe_i32 v5, v3, 0, 16
	v_mov_b32_e32 v7, 0x80
	s_mov_b32 s3, exec_lo
	s_delay_alu instid0(VALU_DEP_2) | instskip(NEXT) | instid1(VALU_DEP_1)
	v_cvt_f32_i32_e32 v5, v5
	v_and_b32_e32 v6, 0x7fffffff, v5
	s_delay_alu instid0(VALU_DEP_1)
	v_cmpx_gt_u32_e32 0x47800000, v6
	s_cbranch_execz .LBB385_1907
; %bb.1902:
	v_cmp_lt_u32_e32 vcc_lo, 0x37ffffff, v6
	s_mov_b32 s6, 0
                                        ; implicit-def: $vgpr6
	s_and_saveexec_b32 s7, vcc_lo
	s_delay_alu instid0(SALU_CYCLE_1)
	s_xor_b32 s7, exec_lo, s7
	s_cbranch_execz .LBB385_2126
; %bb.1903:
	v_bfe_u32 v6, v5, 21, 1
	s_mov_b32 s6, exec_lo
	s_delay_alu instid0(VALU_DEP_1) | instskip(NEXT) | instid1(VALU_DEP_1)
	v_add3_u32 v6, v5, v6, 0x88fffff
	v_lshrrev_b32_e32 v6, 21, v6
	s_or_saveexec_b32 s7, s7
                                        ; implicit-def: $sgpr10
	s_delay_alu instid0(SALU_CYCLE_1)
	s_xor_b32 exec_lo, exec_lo, s7
	s_cbranch_execnz .LBB385_2127
.LBB385_1904:
	s_or_b32 exec_lo, exec_lo, s7
	v_mov_b32_e32 v7, s10
	s_and_saveexec_b32 s7, s6
.LBB385_1905:
	v_lshrrev_b32_e32 v5, 24, v5
	s_delay_alu instid0(VALU_DEP_1)
	v_and_or_b32 v7, 0x80, v5, v6
.LBB385_1906:
	s_or_b32 exec_lo, exec_lo, s7
.LBB385_1907:
	s_delay_alu instid0(SALU_CYCLE_1)
	s_or_b32 exec_lo, exec_lo, s3
	s_mov_b32 s3, 0
	global_store_b8 v[1:2], v7, off
.LBB385_1908:
	s_and_b32 vcc_lo, exec_lo, s3
	s_cbranch_vccz .LBB385_1918
; %bb.1909:
	v_bfe_i32 v5, v3, 0, 16
	s_mov_b32 s3, exec_lo
                                        ; implicit-def: $vgpr6
	s_delay_alu instid0(VALU_DEP_1) | instskip(NEXT) | instid1(VALU_DEP_1)
	v_cvt_f32_i32_e32 v5, v5
	v_and_b32_e32 v7, 0x7fffffff, v5
	s_delay_alu instid0(VALU_DEP_1)
	v_cmpx_gt_u32_e32 0x43f00000, v7
	s_xor_b32 s3, exec_lo, s3
	s_cbranch_execz .LBB385_1915
; %bb.1910:
	s_mov_b32 s6, exec_lo
                                        ; implicit-def: $vgpr6
	v_cmpx_lt_u32_e32 0x3c7fffff, v7
	s_xor_b32 s6, exec_lo, s6
; %bb.1911:
	v_bfe_u32 v6, v5, 20, 1
	s_delay_alu instid0(VALU_DEP_1) | instskip(NEXT) | instid1(VALU_DEP_1)
	v_add3_u32 v6, v5, v6, 0x407ffff
	v_and_b32_e32 v7, 0xff00000, v6
	v_lshrrev_b32_e32 v6, 20, v6
	s_delay_alu instid0(VALU_DEP_2) | instskip(NEXT) | instid1(VALU_DEP_2)
	v_cmp_ne_u32_e32 vcc_lo, 0x7f00000, v7
	v_cndmask_b32_e32 v6, 0x7e, v6, vcc_lo
; %bb.1912:
	s_and_not1_saveexec_b32 s6, s6
; %bb.1913:
	v_add_f32_e64 v6, 0x46800000, |v5|
; %bb.1914:
	s_or_b32 exec_lo, exec_lo, s6
                                        ; implicit-def: $vgpr7
.LBB385_1915:
	s_and_not1_saveexec_b32 s3, s3
; %bb.1916:
	v_mov_b32_e32 v6, 0x7f
	v_cmp_lt_u32_e32 vcc_lo, 0x7f800000, v7
	s_delay_alu instid0(VALU_DEP_2)
	v_cndmask_b32_e32 v6, 0x7e, v6, vcc_lo
; %bb.1917:
	s_or_b32 exec_lo, exec_lo, s3
	v_lshrrev_b32_e32 v5, 24, v5
	s_delay_alu instid0(VALU_DEP_1)
	v_and_or_b32 v5, 0x80, v5, v6
	global_store_b8 v[1:2], v5, off
.LBB385_1918:
	s_mov_b32 s3, 0
.LBB385_1919:
	s_delay_alu instid0(SALU_CYCLE_1)
	s_and_not1_b32 vcc_lo, exec_lo, s3
	s_cbranch_vccnz .LBB385_1929
; %bb.1920:
	v_bfe_i32 v5, v3, 0, 16
	s_mov_b32 s3, exec_lo
                                        ; implicit-def: $vgpr6
	s_delay_alu instid0(VALU_DEP_1) | instskip(NEXT) | instid1(VALU_DEP_1)
	v_cvt_f32_i32_e32 v5, v5
	v_and_b32_e32 v7, 0x7fffffff, v5
	s_delay_alu instid0(VALU_DEP_1)
	v_cmpx_gt_u32_e32 0x47800000, v7
	s_xor_b32 s3, exec_lo, s3
	s_cbranch_execz .LBB385_1926
; %bb.1921:
	s_mov_b32 s6, exec_lo
                                        ; implicit-def: $vgpr6
	v_cmpx_lt_u32_e32 0x387fffff, v7
	s_xor_b32 s6, exec_lo, s6
; %bb.1922:
	v_bfe_u32 v6, v5, 21, 1
	s_delay_alu instid0(VALU_DEP_1) | instskip(NEXT) | instid1(VALU_DEP_1)
	v_add3_u32 v6, v5, v6, 0x80fffff
	v_lshrrev_b32_e32 v6, 21, v6
; %bb.1923:
	s_and_not1_saveexec_b32 s6, s6
; %bb.1924:
	v_add_f32_e64 v6, 0x43000000, |v5|
; %bb.1925:
	s_or_b32 exec_lo, exec_lo, s6
                                        ; implicit-def: $vgpr7
.LBB385_1926:
	s_and_not1_saveexec_b32 s3, s3
; %bb.1927:
	v_mov_b32_e32 v6, 0x7f
	v_cmp_lt_u32_e32 vcc_lo, 0x7f800000, v7
	s_delay_alu instid0(VALU_DEP_2)
	v_cndmask_b32_e32 v6, 0x7c, v6, vcc_lo
; %bb.1928:
	s_or_b32 exec_lo, exec_lo, s3
	v_lshrrev_b32_e32 v5, 24, v5
	s_delay_alu instid0(VALU_DEP_1)
	v_and_or_b32 v5, 0x80, v5, v6
	global_store_b8 v[1:2], v5, off
.LBB385_1929:
	s_mov_b32 s3, 0
	s_mov_b32 s6, -1
.LBB385_1930:
	s_and_not1_b32 vcc_lo, exec_lo, s3
	s_mov_b32 s3, 0
	s_cbranch_vccnz .LBB385_1937
; %bb.1931:
	v_cmp_lt_i16_e32 vcc_lo, 14, v9
	s_mov_b32 s3, -1
	s_cbranch_vccz .LBB385_1935
; %bb.1932:
	v_cmp_eq_u16_e32 vcc_lo, 15, v9
	s_mov_b32 s0, -1
	s_cbranch_vccz .LBB385_1934
; %bb.1933:
	v_bfe_i32 v5, v3, 0, 16
	s_mov_b32 s0, 0
	s_mov_b32 s6, -1
	s_delay_alu instid0(VALU_DEP_1) | instskip(NEXT) | instid1(VALU_DEP_1)
	v_cvt_f32_i32_e32 v5, v5
	v_bfe_u32 v6, v5, 16, 1
	s_delay_alu instid0(VALU_DEP_1)
	v_add3_u32 v5, v5, v6, 0x7fff
	global_store_d16_hi_b16 v[1:2], v5, off
.LBB385_1934:
	s_mov_b32 s3, 0
.LBB385_1935:
	s_delay_alu instid0(SALU_CYCLE_1)
	s_and_b32 vcc_lo, exec_lo, s3
	s_mov_b32 s3, 0
	s_cbranch_vccz .LBB385_1937
; %bb.1936:
	v_cmp_ne_u16_e64 s0, 11, v9
	s_mov_b32 s3, -1
.LBB385_1937:
	s_delay_alu instid0(VALU_DEP_1)
	s_and_b32 vcc_lo, exec_lo, s0
	s_cbranch_vccnz .LBB385_2124
; %bb.1938:
	s_and_not1_b32 vcc_lo, exec_lo, s3
	s_cbranch_vccnz .LBB385_1940
.LBB385_1939:
	v_cmp_ne_u16_e32 vcc_lo, 0, v3
	s_mov_b32 s6, -1
	v_cndmask_b32_e64 v5, 0, 1, vcc_lo
	global_store_b8 v[1:2], v5, off
.LBB385_1940:
	s_mov_b32 s0, 0
.LBB385_1941:
	s_delay_alu instid0(SALU_CYCLE_1)
	s_and_b32 vcc_lo, exec_lo, s0
	s_cbranch_vccz .LBB385_1980
; %bb.1942:
	v_cmp_gt_i16_e32 vcc_lo, 5, v9
	s_mov_b32 s0, -1
	s_cbranch_vccnz .LBB385_1963
; %bb.1943:
	v_cmp_gt_i16_e32 vcc_lo, 8, v9
	s_cbranch_vccnz .LBB385_1953
; %bb.1944:
	v_cmp_gt_i16_e32 vcc_lo, 9, v9
	s_cbranch_vccnz .LBB385_1950
; %bb.1945:
	v_cmp_lt_i16_e32 vcc_lo, 9, v9
	s_cbranch_vccz .LBB385_1947
; %bb.1946:
	v_bfe_i32 v5, v3, 0, 16
	v_mov_b32_e32 v7, 0
	s_mov_b32 s0, 0
	s_delay_alu instid0(VALU_DEP_2) | instskip(NEXT) | instid1(VALU_DEP_2)
	v_cvt_f64_i32_e32 v[5:6], v5
	v_mov_b32_e32 v8, v7
	global_store_b128 v[1:2], v[5:8], off
.LBB385_1947:
	s_and_not1_b32 vcc_lo, exec_lo, s0
	s_cbranch_vccnz .LBB385_1949
; %bb.1948:
	v_bfe_i32 v5, v3, 0, 16
	v_mov_b32_e32 v6, 0
	s_delay_alu instid0(VALU_DEP_2)
	v_cvt_f32_i32_e32 v5, v5
	global_store_b64 v[1:2], v[5:6], off
.LBB385_1949:
	s_mov_b32 s0, 0
.LBB385_1950:
	s_delay_alu instid0(SALU_CYCLE_1)
	s_and_not1_b32 vcc_lo, exec_lo, s0
	s_cbranch_vccnz .LBB385_1952
; %bb.1951:
	v_cvt_f16_i16_e32 v5, v3
	s_delay_alu instid0(VALU_DEP_1)
	v_and_b32_e32 v5, 0xffff, v5
	global_store_b32 v[1:2], v5, off
.LBB385_1952:
	s_mov_b32 s0, 0
.LBB385_1953:
	s_delay_alu instid0(SALU_CYCLE_1)
	s_and_not1_b32 vcc_lo, exec_lo, s0
	s_cbranch_vccnz .LBB385_1962
; %bb.1954:
	v_cmp_gt_i16_e32 vcc_lo, 6, v9
	s_mov_b32 s0, -1
	s_cbranch_vccnz .LBB385_1960
; %bb.1955:
	v_cmp_lt_i16_e32 vcc_lo, 6, v9
	s_cbranch_vccz .LBB385_1957
; %bb.1956:
	v_bfe_i32 v5, v3, 0, 16
	s_mov_b32 s0, 0
	s_delay_alu instid0(VALU_DEP_1)
	v_cvt_f64_i32_e32 v[5:6], v5
	global_store_b64 v[1:2], v[5:6], off
.LBB385_1957:
	s_and_not1_b32 vcc_lo, exec_lo, s0
	s_cbranch_vccnz .LBB385_1959
; %bb.1958:
	v_bfe_i32 v5, v3, 0, 16
	s_delay_alu instid0(VALU_DEP_1)
	v_cvt_f32_i32_e32 v5, v5
	global_store_b32 v[1:2], v5, off
.LBB385_1959:
	s_mov_b32 s0, 0
.LBB385_1960:
	s_delay_alu instid0(SALU_CYCLE_1)
	s_and_not1_b32 vcc_lo, exec_lo, s0
	s_cbranch_vccnz .LBB385_1962
; %bb.1961:
	v_cvt_f16_i16_e32 v5, v3
	global_store_b16 v[1:2], v5, off
.LBB385_1962:
	s_mov_b32 s0, 0
.LBB385_1963:
	s_delay_alu instid0(SALU_CYCLE_1)
	s_and_not1_b32 vcc_lo, exec_lo, s0
	s_cbranch_vccnz .LBB385_1979
; %bb.1964:
	v_cmp_gt_i16_e32 vcc_lo, 2, v9
	s_mov_b32 s0, -1
	s_cbranch_vccnz .LBB385_1974
; %bb.1965:
	v_cmp_gt_i16_e32 vcc_lo, 3, v9
	s_cbranch_vccnz .LBB385_1971
; %bb.1966:
	v_cmp_lt_i16_e32 vcc_lo, 3, v9
	v_bfe_i32 v5, v3, 0, 16
	s_cbranch_vccz .LBB385_1968
; %bb.1967:
	s_delay_alu instid0(VALU_DEP_1)
	v_ashrrev_i32_e32 v6, 31, v5
	s_mov_b32 s0, 0
	global_store_b64 v[1:2], v[5:6], off
.LBB385_1968:
	s_and_not1_b32 vcc_lo, exec_lo, s0
	s_cbranch_vccnz .LBB385_1970
; %bb.1969:
	global_store_b32 v[1:2], v5, off
.LBB385_1970:
	s_mov_b32 s0, 0
.LBB385_1971:
	s_delay_alu instid0(SALU_CYCLE_1)
	s_and_not1_b32 vcc_lo, exec_lo, s0
	s_cbranch_vccnz .LBB385_1973
; %bb.1972:
	global_store_b16 v[1:2], v3, off
.LBB385_1973:
	s_mov_b32 s0, 0
.LBB385_1974:
	s_delay_alu instid0(SALU_CYCLE_1)
	s_and_not1_b32 vcc_lo, exec_lo, s0
	s_cbranch_vccnz .LBB385_1979
; %bb.1975:
	v_cmp_lt_i16_e32 vcc_lo, 0, v9
	s_mov_b32 s0, -1
	s_cbranch_vccz .LBB385_1977
; %bb.1976:
	s_mov_b32 s0, 0
	global_store_b8 v[1:2], v3, off
.LBB385_1977:
	s_and_not1_b32 vcc_lo, exec_lo, s0
	s_cbranch_vccnz .LBB385_1979
; %bb.1978:
	global_store_b8 v[1:2], v3, off
.LBB385_1979:
	s_mov_b32 s6, -1
.LBB385_1980:
	s_delay_alu instid0(SALU_CYCLE_1)
	s_and_not1_b32 vcc_lo, exec_lo, s6
	s_cbranch_vccnz .LBB385_2057
; %bb.1981:
	v_cmp_gt_i16_e32 vcc_lo, 11, v9
	v_add_co_u32 v0, s0, s4, v0
	v_max_i16 v2, v4, s2
	v_add_co_ci_u32_e64 v1, null, s5, 0, s0
	s_mov_b32 s2, 0
	s_mov_b32 s0, -1
	s_cbranch_vccnz .LBB385_2058
; %bb.1982:
	v_cmp_lt_i16_e32 vcc_lo, 25, v9
	s_mov_b32 s3, -1
	s_mov_b32 s0, 0
	s_cbranch_vccz .LBB385_2015
; %bb.1983:
	v_cmp_lt_i16_e32 vcc_lo, 28, v9
	s_cbranch_vccz .LBB385_1999
; %bb.1984:
	v_cmp_lt_i16_e32 vcc_lo, 43, v9
	;; [unrolled: 3-line block ×3, first 2 shown]
	s_cbranch_vccz .LBB385_1989
; %bb.1986:
	v_cmp_eq_u16_e32 vcc_lo, 46, v9
	s_mov_b32 s0, -1
	s_cbranch_vccz .LBB385_1988
; %bb.1987:
	v_bfe_i32 v3, v2, 0, 16
	s_mov_b32 s0, 0
	s_delay_alu instid0(VALU_DEP_1) | instskip(NEXT) | instid1(VALU_DEP_1)
	v_cvt_f32_i32_e32 v3, v3
	v_bfe_u32 v4, v3, 16, 1
	s_delay_alu instid0(VALU_DEP_1) | instskip(NEXT) | instid1(VALU_DEP_1)
	v_add3_u32 v3, v3, v4, 0x7fff
	v_lshrrev_b32_e32 v3, 16, v3
	global_store_b32 v[0:1], v3, off
.LBB385_1988:
	s_mov_b32 s3, 0
.LBB385_1989:
	s_delay_alu instid0(SALU_CYCLE_1)
	s_and_b32 vcc_lo, exec_lo, s3
	s_cbranch_vccz .LBB385_1994
; %bb.1990:
	v_cmp_eq_u16_e32 vcc_lo, 44, v9
	s_mov_b32 s0, -1
	s_cbranch_vccz .LBB385_1994
; %bb.1991:
	v_bfe_i32 v3, v2, 0, 16
	v_mov_b32_e32 v4, 0xff
	s_mov_b32 s3, exec_lo
	s_delay_alu instid0(VALU_DEP_2) | instskip(NEXT) | instid1(VALU_DEP_1)
	v_cvt_f32_i32_e32 v3, v3
	v_bfe_u32 v5, v3, 23, 8
	s_delay_alu instid0(VALU_DEP_1)
	v_cmpx_ne_u32_e32 0xff, v5
; %bb.1992:
	v_and_b32_e32 v4, 0x400000, v3
	v_and_or_b32 v5, 0x3fffff, v3, v5
	v_lshrrev_b32_e32 v3, 23, v3
	s_delay_alu instid0(VALU_DEP_3) | instskip(NEXT) | instid1(VALU_DEP_3)
	v_cmp_ne_u32_e32 vcc_lo, 0, v4
	v_cmp_ne_u32_e64 s0, 0, v5
	s_delay_alu instid0(VALU_DEP_1) | instskip(NEXT) | instid1(SALU_CYCLE_1)
	s_and_b32 s0, vcc_lo, s0
	v_cndmask_b32_e64 v4, 0, 1, s0
	s_delay_alu instid0(VALU_DEP_1)
	v_add_nc_u32_e32 v4, v3, v4
; %bb.1993:
	s_or_b32 exec_lo, exec_lo, s3
	s_mov_b32 s0, 0
	global_store_b8 v[0:1], v4, off
.LBB385_1994:
	s_mov_b32 s3, 0
.LBB385_1995:
	s_delay_alu instid0(SALU_CYCLE_1)
	s_and_b32 vcc_lo, exec_lo, s3
	s_cbranch_vccz .LBB385_1998
; %bb.1996:
	v_cmp_eq_u16_e32 vcc_lo, 29, v9
	s_mov_b32 s0, -1
	s_cbranch_vccz .LBB385_1998
; %bb.1997:
	v_bfe_i32 v3, v2, 0, 16
	s_mov_b32 s0, 0
	s_delay_alu instid0(VALU_DEP_1)
	v_ashrrev_i32_e32 v4, 31, v3
	global_store_b64 v[0:1], v[3:4], off
.LBB385_1998:
	s_mov_b32 s3, 0
.LBB385_1999:
	s_delay_alu instid0(SALU_CYCLE_1)
	s_and_b32 vcc_lo, exec_lo, s3
	s_cbranch_vccz .LBB385_2014
; %bb.2000:
	v_cmp_gt_i16_e32 vcc_lo, 27, v9
	s_mov_b32 s3, -1
	s_cbranch_vccnz .LBB385_2006
; %bb.2001:
	v_cmp_lt_i16_e32 vcc_lo, 27, v9
	s_cbranch_vccz .LBB385_2003
; %bb.2002:
	v_bfe_i32 v3, v2, 0, 16
	s_mov_b32 s3, 0
	global_store_b32 v[0:1], v3, off
.LBB385_2003:
	s_and_not1_b32 vcc_lo, exec_lo, s3
	s_cbranch_vccnz .LBB385_2005
; %bb.2004:
	global_store_b16 v[0:1], v2, off
.LBB385_2005:
	s_mov_b32 s3, 0
.LBB385_2006:
	s_delay_alu instid0(SALU_CYCLE_1)
	s_and_not1_b32 vcc_lo, exec_lo, s3
	s_cbranch_vccnz .LBB385_2014
; %bb.2007:
	v_bfe_i32 v3, v2, 0, 16
	v_mov_b32_e32 v5, 0x80
	s_mov_b32 s3, exec_lo
	s_delay_alu instid0(VALU_DEP_2) | instskip(NEXT) | instid1(VALU_DEP_1)
	v_cvt_f32_i32_e32 v3, v3
	v_and_b32_e32 v4, 0x7fffffff, v3
	s_delay_alu instid0(VALU_DEP_1)
	v_cmpx_gt_u32_e32 0x43800000, v4
	s_cbranch_execz .LBB385_2013
; %bb.2008:
	v_cmp_lt_u32_e32 vcc_lo, 0x3bffffff, v4
	s_mov_b32 s4, 0
                                        ; implicit-def: $vgpr4
	s_and_saveexec_b32 s5, vcc_lo
	s_delay_alu instid0(SALU_CYCLE_1)
	s_xor_b32 s5, exec_lo, s5
	s_cbranch_execz .LBB385_2128
; %bb.2009:
	v_bfe_u32 v4, v3, 20, 1
	s_mov_b32 s4, exec_lo
	s_delay_alu instid0(VALU_DEP_1) | instskip(NEXT) | instid1(VALU_DEP_1)
	v_add3_u32 v4, v3, v4, 0x487ffff
	v_lshrrev_b32_e32 v4, 20, v4
	s_or_saveexec_b32 s5, s5
                                        ; implicit-def: $sgpr6
	s_delay_alu instid0(SALU_CYCLE_1)
	s_xor_b32 exec_lo, exec_lo, s5
	s_cbranch_execnz .LBB385_2129
.LBB385_2010:
	s_or_b32 exec_lo, exec_lo, s5
	v_mov_b32_e32 v5, s6
	s_and_saveexec_b32 s5, s4
.LBB385_2011:
	v_lshrrev_b32_e32 v3, 24, v3
	s_delay_alu instid0(VALU_DEP_1)
	v_and_or_b32 v5, 0x80, v3, v4
.LBB385_2012:
	s_or_b32 exec_lo, exec_lo, s5
.LBB385_2013:
	s_delay_alu instid0(SALU_CYCLE_1)
	s_or_b32 exec_lo, exec_lo, s3
	global_store_b8 v[0:1], v5, off
.LBB385_2014:
	s_mov_b32 s3, 0
.LBB385_2015:
	s_delay_alu instid0(SALU_CYCLE_1)
	s_and_b32 vcc_lo, exec_lo, s3
	s_cbranch_vccz .LBB385_2055
; %bb.2016:
	v_cmp_lt_i16_e32 vcc_lo, 22, v9
	s_mov_b32 s2, -1
	s_cbranch_vccz .LBB385_2048
; %bb.2017:
	v_cmp_gt_i16_e32 vcc_lo, 24, v9
	s_cbranch_vccnz .LBB385_2037
; %bb.2018:
	v_cmp_lt_i16_e32 vcc_lo, 24, v9
	s_cbranch_vccz .LBB385_2026
; %bb.2019:
	v_bfe_i32 v3, v2, 0, 16
	v_mov_b32_e32 v5, 0x80
	s_mov_b32 s2, exec_lo
	s_delay_alu instid0(VALU_DEP_2) | instskip(NEXT) | instid1(VALU_DEP_1)
	v_cvt_f32_i32_e32 v3, v3
	v_and_b32_e32 v4, 0x7fffffff, v3
	s_delay_alu instid0(VALU_DEP_1)
	v_cmpx_gt_u32_e32 0x47800000, v4
	s_cbranch_execz .LBB385_2025
; %bb.2020:
	v_cmp_lt_u32_e32 vcc_lo, 0x37ffffff, v4
	s_mov_b32 s3, 0
                                        ; implicit-def: $vgpr4
	s_and_saveexec_b32 s4, vcc_lo
	s_delay_alu instid0(SALU_CYCLE_1)
	s_xor_b32 s4, exec_lo, s4
	s_cbranch_execz .LBB385_2134
; %bb.2021:
	v_bfe_u32 v4, v3, 21, 1
	s_mov_b32 s3, exec_lo
	s_delay_alu instid0(VALU_DEP_1) | instskip(NEXT) | instid1(VALU_DEP_1)
	v_add3_u32 v4, v3, v4, 0x88fffff
	v_lshrrev_b32_e32 v4, 21, v4
	s_or_saveexec_b32 s4, s4
                                        ; implicit-def: $sgpr5
	s_delay_alu instid0(SALU_CYCLE_1)
	s_xor_b32 exec_lo, exec_lo, s4
	s_cbranch_execnz .LBB385_2135
.LBB385_2022:
	s_or_b32 exec_lo, exec_lo, s4
	v_mov_b32_e32 v5, s5
	s_and_saveexec_b32 s4, s3
.LBB385_2023:
	v_lshrrev_b32_e32 v3, 24, v3
	s_delay_alu instid0(VALU_DEP_1)
	v_and_or_b32 v5, 0x80, v3, v4
.LBB385_2024:
	s_or_b32 exec_lo, exec_lo, s4
.LBB385_2025:
	s_delay_alu instid0(SALU_CYCLE_1)
	s_or_b32 exec_lo, exec_lo, s2
	s_mov_b32 s2, 0
	global_store_b8 v[0:1], v5, off
.LBB385_2026:
	s_and_b32 vcc_lo, exec_lo, s2
	s_cbranch_vccz .LBB385_2036
; %bb.2027:
	v_bfe_i32 v3, v2, 0, 16
	s_mov_b32 s2, exec_lo
                                        ; implicit-def: $vgpr4
	s_delay_alu instid0(VALU_DEP_1) | instskip(NEXT) | instid1(VALU_DEP_1)
	v_cvt_f32_i32_e32 v3, v3
	v_and_b32_e32 v5, 0x7fffffff, v3
	s_delay_alu instid0(VALU_DEP_1)
	v_cmpx_gt_u32_e32 0x43f00000, v5
	s_xor_b32 s2, exec_lo, s2
	s_cbranch_execz .LBB385_2033
; %bb.2028:
	s_mov_b32 s3, exec_lo
                                        ; implicit-def: $vgpr4
	v_cmpx_lt_u32_e32 0x3c7fffff, v5
	s_xor_b32 s3, exec_lo, s3
; %bb.2029:
	v_bfe_u32 v4, v3, 20, 1
	s_delay_alu instid0(VALU_DEP_1) | instskip(NEXT) | instid1(VALU_DEP_1)
	v_add3_u32 v4, v3, v4, 0x407ffff
	v_and_b32_e32 v5, 0xff00000, v4
	v_lshrrev_b32_e32 v4, 20, v4
	s_delay_alu instid0(VALU_DEP_2) | instskip(NEXT) | instid1(VALU_DEP_2)
	v_cmp_ne_u32_e32 vcc_lo, 0x7f00000, v5
	v_cndmask_b32_e32 v4, 0x7e, v4, vcc_lo
; %bb.2030:
	s_and_not1_saveexec_b32 s3, s3
; %bb.2031:
	v_add_f32_e64 v4, 0x46800000, |v3|
; %bb.2032:
	s_or_b32 exec_lo, exec_lo, s3
                                        ; implicit-def: $vgpr5
.LBB385_2033:
	s_and_not1_saveexec_b32 s2, s2
; %bb.2034:
	v_mov_b32_e32 v4, 0x7f
	v_cmp_lt_u32_e32 vcc_lo, 0x7f800000, v5
	s_delay_alu instid0(VALU_DEP_2)
	v_cndmask_b32_e32 v4, 0x7e, v4, vcc_lo
; %bb.2035:
	s_or_b32 exec_lo, exec_lo, s2
	v_lshrrev_b32_e32 v3, 24, v3
	s_delay_alu instid0(VALU_DEP_1)
	v_and_or_b32 v3, 0x80, v3, v4
	global_store_b8 v[0:1], v3, off
.LBB385_2036:
	s_mov_b32 s2, 0
.LBB385_2037:
	s_delay_alu instid0(SALU_CYCLE_1)
	s_and_not1_b32 vcc_lo, exec_lo, s2
	s_cbranch_vccnz .LBB385_2047
; %bb.2038:
	v_bfe_i32 v3, v2, 0, 16
	s_mov_b32 s2, exec_lo
                                        ; implicit-def: $vgpr4
	s_delay_alu instid0(VALU_DEP_1) | instskip(NEXT) | instid1(VALU_DEP_1)
	v_cvt_f32_i32_e32 v3, v3
	v_and_b32_e32 v5, 0x7fffffff, v3
	s_delay_alu instid0(VALU_DEP_1)
	v_cmpx_gt_u32_e32 0x47800000, v5
	s_xor_b32 s2, exec_lo, s2
	s_cbranch_execz .LBB385_2044
; %bb.2039:
	s_mov_b32 s3, exec_lo
                                        ; implicit-def: $vgpr4
	v_cmpx_lt_u32_e32 0x387fffff, v5
	s_xor_b32 s3, exec_lo, s3
; %bb.2040:
	v_bfe_u32 v4, v3, 21, 1
	s_delay_alu instid0(VALU_DEP_1) | instskip(NEXT) | instid1(VALU_DEP_1)
	v_add3_u32 v4, v3, v4, 0x80fffff
	v_lshrrev_b32_e32 v4, 21, v4
; %bb.2041:
	s_and_not1_saveexec_b32 s3, s3
; %bb.2042:
	v_add_f32_e64 v4, 0x43000000, |v3|
; %bb.2043:
	s_or_b32 exec_lo, exec_lo, s3
                                        ; implicit-def: $vgpr5
.LBB385_2044:
	s_and_not1_saveexec_b32 s2, s2
; %bb.2045:
	v_mov_b32_e32 v4, 0x7f
	v_cmp_lt_u32_e32 vcc_lo, 0x7f800000, v5
	s_delay_alu instid0(VALU_DEP_2)
	v_cndmask_b32_e32 v4, 0x7c, v4, vcc_lo
; %bb.2046:
	s_or_b32 exec_lo, exec_lo, s2
	v_lshrrev_b32_e32 v3, 24, v3
	s_delay_alu instid0(VALU_DEP_1)
	v_and_or_b32 v3, 0x80, v3, v4
	global_store_b8 v[0:1], v3, off
.LBB385_2047:
	s_mov_b32 s2, 0
.LBB385_2048:
	s_delay_alu instid0(SALU_CYCLE_1)
	s_and_not1_b32 vcc_lo, exec_lo, s2
	s_mov_b32 s2, 0
	s_cbranch_vccnz .LBB385_2055
; %bb.2049:
	v_cmp_lt_i16_e32 vcc_lo, 14, v9
	s_mov_b32 s2, -1
	s_cbranch_vccz .LBB385_2053
; %bb.2050:
	v_cmp_eq_u16_e32 vcc_lo, 15, v9
	s_mov_b32 s0, -1
	s_cbranch_vccz .LBB385_2052
; %bb.2051:
	v_bfe_i32 v3, v2, 0, 16
	s_mov_b32 s0, 0
	s_delay_alu instid0(VALU_DEP_1) | instskip(NEXT) | instid1(VALU_DEP_1)
	v_cvt_f32_i32_e32 v3, v3
	v_bfe_u32 v4, v3, 16, 1
	s_delay_alu instid0(VALU_DEP_1)
	v_add3_u32 v3, v3, v4, 0x7fff
	global_store_d16_hi_b16 v[0:1], v3, off
.LBB385_2052:
	s_mov_b32 s2, 0
.LBB385_2053:
	s_delay_alu instid0(SALU_CYCLE_1)
	s_and_b32 vcc_lo, exec_lo, s2
	s_mov_b32 s2, 0
	s_cbranch_vccz .LBB385_2055
; %bb.2054:
	v_cmp_ne_u16_e64 s0, 11, v9
	s_mov_b32 s2, -1
.LBB385_2055:
	s_delay_alu instid0(VALU_DEP_1)
	s_and_b32 vcc_lo, exec_lo, s0
	s_cbranch_vccnz .LBB385_2132
.LBB385_2056:
	s_mov_b32 s0, 0
	s_branch .LBB385_2058
.LBB385_2057:
	s_mov_b32 s0, 0
	s_mov_b32 s2, 0
                                        ; implicit-def: $vgpr0_vgpr1
                                        ; implicit-def: $vgpr9
                                        ; implicit-def: $vgpr2
.LBB385_2058:
	s_and_b32 s3, s0, exec_lo
	s_and_not1_b32 s0, s8, exec_lo
	s_and_b32 s1, s1, exec_lo
	s_and_b32 s26, s2, exec_lo
	s_or_b32 s8, s0, s1
.LBB385_2059:
	s_or_b32 exec_lo, exec_lo, s9
	s_and_saveexec_b32 s0, s8
	s_cbranch_execz .LBB385_2062
; %bb.2060:
	; divergent unreachable
	s_or_b32 exec_lo, exec_lo, s0
	s_and_saveexec_b32 s0, s26
	s_delay_alu instid0(SALU_CYCLE_1)
	s_xor_b32 s0, exec_lo, s0
	s_cbranch_execnz .LBB385_2063
.LBB385_2061:
	s_or_b32 exec_lo, exec_lo, s0
	s_and_saveexec_b32 s0, s3
	s_cbranch_execnz .LBB385_2064
	s_branch .LBB385_2101
.LBB385_2062:
	s_or_b32 exec_lo, exec_lo, s0
	s_and_saveexec_b32 s0, s26
	s_delay_alu instid0(SALU_CYCLE_1)
	s_xor_b32 s0, exec_lo, s0
	s_cbranch_execz .LBB385_2061
.LBB385_2063:
	v_cmp_ne_u16_e32 vcc_lo, 0, v2
	s_waitcnt vmcnt(0)
	v_cndmask_b32_e64 v3, 0, 1, vcc_lo
	global_store_b8 v[0:1], v3, off
	s_or_b32 exec_lo, exec_lo, s0
	s_and_saveexec_b32 s0, s3
	s_cbranch_execz .LBB385_2101
.LBB385_2064:
	s_waitcnt vmcnt(0)
	v_cmp_gt_i16_e32 vcc_lo, 5, v9
	s_mov_b32 s0, -1
	s_cbranch_vccnz .LBB385_2085
; %bb.2065:
	v_cmp_gt_i16_e32 vcc_lo, 8, v9
	s_cbranch_vccnz .LBB385_2075
; %bb.2066:
	v_cmp_gt_i16_e32 vcc_lo, 9, v9
	s_cbranch_vccnz .LBB385_2072
; %bb.2067:
	v_cmp_lt_i16_e32 vcc_lo, 9, v9
	s_cbranch_vccz .LBB385_2069
; %bb.2068:
	v_bfe_i32 v3, v2, 0, 16
	v_mov_b32_e32 v5, 0
	s_mov_b32 s0, 0
	s_delay_alu instid0(VALU_DEP_2) | instskip(NEXT) | instid1(VALU_DEP_2)
	v_cvt_f64_i32_e32 v[3:4], v3
	v_mov_b32_e32 v6, v5
	global_store_b128 v[0:1], v[3:6], off
.LBB385_2069:
	s_and_not1_b32 vcc_lo, exec_lo, s0
	s_cbranch_vccnz .LBB385_2071
; %bb.2070:
	v_bfe_i32 v3, v2, 0, 16
	v_mov_b32_e32 v4, 0
	s_delay_alu instid0(VALU_DEP_2)
	v_cvt_f32_i32_e32 v3, v3
	global_store_b64 v[0:1], v[3:4], off
.LBB385_2071:
	s_mov_b32 s0, 0
.LBB385_2072:
	s_delay_alu instid0(SALU_CYCLE_1)
	s_and_not1_b32 vcc_lo, exec_lo, s0
	s_cbranch_vccnz .LBB385_2074
; %bb.2073:
	v_cvt_f16_i16_e32 v3, v2
	s_delay_alu instid0(VALU_DEP_1)
	v_and_b32_e32 v3, 0xffff, v3
	global_store_b32 v[0:1], v3, off
.LBB385_2074:
	s_mov_b32 s0, 0
.LBB385_2075:
	s_delay_alu instid0(SALU_CYCLE_1)
	s_and_not1_b32 vcc_lo, exec_lo, s0
	s_cbranch_vccnz .LBB385_2084
; %bb.2076:
	v_cmp_gt_i16_e32 vcc_lo, 6, v9
	s_mov_b32 s0, -1
	s_cbranch_vccnz .LBB385_2082
; %bb.2077:
	v_cmp_lt_i16_e32 vcc_lo, 6, v9
	s_cbranch_vccz .LBB385_2079
; %bb.2078:
	v_bfe_i32 v3, v2, 0, 16
	s_mov_b32 s0, 0
	s_delay_alu instid0(VALU_DEP_1)
	v_cvt_f64_i32_e32 v[3:4], v3
	global_store_b64 v[0:1], v[3:4], off
.LBB385_2079:
	s_and_not1_b32 vcc_lo, exec_lo, s0
	s_cbranch_vccnz .LBB385_2081
; %bb.2080:
	v_bfe_i32 v3, v2, 0, 16
	s_delay_alu instid0(VALU_DEP_1)
	v_cvt_f32_i32_e32 v3, v3
	global_store_b32 v[0:1], v3, off
.LBB385_2081:
	s_mov_b32 s0, 0
.LBB385_2082:
	s_delay_alu instid0(SALU_CYCLE_1)
	s_and_not1_b32 vcc_lo, exec_lo, s0
	s_cbranch_vccnz .LBB385_2084
; %bb.2083:
	v_cvt_f16_i16_e32 v3, v2
	global_store_b16 v[0:1], v3, off
.LBB385_2084:
	s_mov_b32 s0, 0
.LBB385_2085:
	s_delay_alu instid0(SALU_CYCLE_1)
	s_and_not1_b32 vcc_lo, exec_lo, s0
	s_cbranch_vccnz .LBB385_2101
; %bb.2086:
	v_cmp_gt_i16_e32 vcc_lo, 2, v9
	s_mov_b32 s0, -1
	s_cbranch_vccnz .LBB385_2096
; %bb.2087:
	v_cmp_gt_i16_e32 vcc_lo, 3, v9
	s_cbranch_vccnz .LBB385_2093
; %bb.2088:
	v_cmp_lt_i16_e32 vcc_lo, 3, v9
	s_cbranch_vccz .LBB385_2090
; %bb.2089:
	v_bfe_i32 v3, v2, 0, 16
	s_mov_b32 s0, 0
	s_delay_alu instid0(VALU_DEP_1)
	v_ashrrev_i32_e32 v4, 31, v3
	global_store_b64 v[0:1], v[3:4], off
.LBB385_2090:
	s_and_not1_b32 vcc_lo, exec_lo, s0
	s_cbranch_vccnz .LBB385_2092
; %bb.2091:
	v_bfe_i32 v3, v2, 0, 16
	global_store_b32 v[0:1], v3, off
.LBB385_2092:
	s_mov_b32 s0, 0
.LBB385_2093:
	s_delay_alu instid0(SALU_CYCLE_1)
	s_and_not1_b32 vcc_lo, exec_lo, s0
	s_cbranch_vccnz .LBB385_2095
; %bb.2094:
	global_store_b16 v[0:1], v2, off
.LBB385_2095:
	s_mov_b32 s0, 0
.LBB385_2096:
	s_delay_alu instid0(SALU_CYCLE_1)
	s_and_not1_b32 vcc_lo, exec_lo, s0
	s_cbranch_vccnz .LBB385_2101
; %bb.2097:
	v_cmp_lt_i16_e32 vcc_lo, 0, v9
	s_mov_b32 s0, -1
	s_cbranch_vccz .LBB385_2099
; %bb.2098:
	s_mov_b32 s0, 0
	global_store_b8 v[0:1], v2, off
.LBB385_2099:
	s_and_not1_b32 vcc_lo, exec_lo, s0
	s_cbranch_vccnz .LBB385_2101
; %bb.2100:
	global_store_b8 v[0:1], v2, off
	s_nop 0
	s_sendmsg sendmsg(MSG_DEALLOC_VGPRS)
	s_endpgm
.LBB385_2101:
	s_nop 0
	s_sendmsg sendmsg(MSG_DEALLOC_VGPRS)
	s_endpgm
.LBB385_2102:
	s_cbranch_execnz .LBB385_2106
; %bb.2103:
	s_or_b32 s1, s1, exec_lo
                                        ; implicit-def: $vgpr4
	s_cbranch_execz .LBB385_1575
	s_branch .LBB385_1576
.LBB385_2104:
	s_or_saveexec_b32 s10, s10
                                        ; implicit-def: $sgpr11
	s_delay_alu instid0(SALU_CYCLE_1)
	s_xor_b32 exec_lo, exec_lo, s10
	s_cbranch_execz .LBB385_1655
.LBB385_2105:
	v_add_f32_e64 v7, 0x46000000, |v5|
	s_and_not1_b32 s7, s7, exec_lo
	s_mov_b32 s11, 0
	s_delay_alu instid0(VALU_DEP_1) | instskip(NEXT) | instid1(VALU_DEP_1)
	v_and_b32_e32 v7, 0xff, v7
	v_cmp_ne_u32_e32 vcc_lo, 0, v7
	s_and_b32 s12, vcc_lo, exec_lo
	s_delay_alu instid0(SALU_CYCLE_1)
	s_or_b32 s7, s7, s12
	s_or_b32 exec_lo, exec_lo, s10
	v_mov_b32_e32 v10, s11
	s_and_saveexec_b32 s10, s7
	s_cbranch_execnz .LBB385_1656
	s_branch .LBB385_1657
.LBB385_2106:
	s_trap 2
	s_sendmsg_rtn_b32 s0, sendmsg(MSG_RTN_GET_DOORBELL)
	s_mov_b32 ttmp2, m0
	s_waitcnt lgkmcnt(0)
	s_and_b32 s0, s0, 0x3ff
	s_delay_alu instid0(SALU_CYCLE_1) | instskip(NEXT) | instid1(SALU_CYCLE_1)
	s_bitset1_b32 s0, 10
	s_mov_b32 m0, s0
	s_sendmsg sendmsg(MSG_INTERRUPT)
	s_mov_b32 m0, ttmp2
.LBB385_2107:                           ; =>This Inner Loop Header: Depth=1
	s_sethalt 5
	s_branch .LBB385_2107
.LBB385_2108:
	s_cbranch_execnz .LBB385_2114
; %bb.2109:
	s_or_b32 s1, s1, exec_lo
	s_cbranch_execz .LBB385_1703
	s_branch .LBB385_1704
.LBB385_2110:
	s_or_saveexec_b32 s7, s7
                                        ; implicit-def: $sgpr10
	s_delay_alu instid0(SALU_CYCLE_1)
	s_xor_b32 exec_lo, exec_lo, s7
	s_cbranch_execz .LBB385_1668
.LBB385_2111:
	v_add_f32_e64 v7, 0x42800000, |v5|
	s_and_not1_b32 s6, s6, exec_lo
	s_mov_b32 s10, 0
	s_delay_alu instid0(VALU_DEP_1) | instskip(NEXT) | instid1(VALU_DEP_1)
	v_and_b32_e32 v7, 0xff, v7
	v_cmp_ne_u32_e32 vcc_lo, 0, v7
	s_and_b32 s11, vcc_lo, exec_lo
	s_delay_alu instid0(SALU_CYCLE_1)
	s_or_b32 s6, s6, s11
	s_or_b32 exec_lo, exec_lo, s7
	v_mov_b32_e32 v10, s10
	s_and_saveexec_b32 s7, s6
	s_cbranch_execnz .LBB385_1669
	s_branch .LBB385_1670
.LBB385_2112:
	s_or_saveexec_b32 s10, s10
                                        ; implicit-def: $sgpr11
	s_delay_alu instid0(SALU_CYCLE_1)
	s_xor_b32 exec_lo, exec_lo, s10
	s_cbranch_execz .LBB385_1773
.LBB385_2113:
	v_add_f32_e64 v8, 0x46000000, |v7|
	s_and_not1_b32 s7, s7, exec_lo
	s_mov_b32 s11, 0
	s_delay_alu instid0(VALU_DEP_1) | instskip(NEXT) | instid1(VALU_DEP_1)
	v_and_b32_e32 v8, 0xff, v8
	v_cmp_ne_u32_e32 vcc_lo, 0, v8
	s_and_b32 s12, vcc_lo, exec_lo
	s_delay_alu instid0(SALU_CYCLE_1)
	s_or_b32 s7, s7, s12
	s_or_b32 exec_lo, exec_lo, s10
	v_mov_b32_e32 v10, s11
	s_and_saveexec_b32 s10, s7
	s_cbranch_execnz .LBB385_1774
	s_branch .LBB385_1775
.LBB385_2114:
	s_trap 2
	s_sendmsg_rtn_b32 s0, sendmsg(MSG_RTN_GET_DOORBELL)
	s_mov_b32 ttmp2, m0
	s_waitcnt lgkmcnt(0)
	s_and_b32 s0, s0, 0x3ff
	s_delay_alu instid0(SALU_CYCLE_1) | instskip(NEXT) | instid1(SALU_CYCLE_1)
	s_bitset1_b32 s0, 10
	s_mov_b32 m0, s0
	s_sendmsg sendmsg(MSG_INTERRUPT)
	s_mov_b32 m0, ttmp2
.LBB385_2115:                           ; =>This Inner Loop Header: Depth=1
	s_sethalt 5
	s_branch .LBB385_2115
.LBB385_2116:
	s_cbranch_execnz .LBB385_2122
; %bb.2117:
	s_or_b32 s1, s1, exec_lo
	s_cbranch_execz .LBB385_1821
	s_branch .LBB385_1822
.LBB385_2118:
	s_or_saveexec_b32 s7, s7
                                        ; implicit-def: $sgpr10
	s_delay_alu instid0(SALU_CYCLE_1)
	s_xor_b32 exec_lo, exec_lo, s7
	s_cbranch_execz .LBB385_1786
.LBB385_2119:
	v_add_f32_e64 v8, 0x42800000, |v7|
	s_and_not1_b32 s6, s6, exec_lo
	s_mov_b32 s10, 0
	s_delay_alu instid0(VALU_DEP_1) | instskip(NEXT) | instid1(VALU_DEP_1)
	v_and_b32_e32 v8, 0xff, v8
	v_cmp_ne_u32_e32 vcc_lo, 0, v8
	s_and_b32 s11, vcc_lo, exec_lo
	s_delay_alu instid0(SALU_CYCLE_1)
	s_or_b32 s6, s6, s11
	s_or_b32 exec_lo, exec_lo, s7
	v_mov_b32_e32 v10, s10
	s_and_saveexec_b32 s7, s6
	s_cbranch_execnz .LBB385_1787
	s_branch .LBB385_1788
.LBB385_2120:
	s_or_saveexec_b32 s10, s10
                                        ; implicit-def: $sgpr11
	s_delay_alu instid0(SALU_CYCLE_1)
	s_xor_b32 exec_lo, exec_lo, s10
	s_cbranch_execz .LBB385_1891
.LBB385_2121:
	v_add_f32_e64 v6, 0x46000000, |v5|
	s_and_not1_b32 s7, s7, exec_lo
	s_mov_b32 s11, 0
	s_delay_alu instid0(VALU_DEP_1) | instskip(NEXT) | instid1(VALU_DEP_1)
	v_and_b32_e32 v6, 0xff, v6
	v_cmp_ne_u32_e32 vcc_lo, 0, v6
	s_and_b32 s12, vcc_lo, exec_lo
	s_delay_alu instid0(SALU_CYCLE_1)
	s_or_b32 s7, s7, s12
	s_or_b32 exec_lo, exec_lo, s10
	v_mov_b32_e32 v7, s11
	s_and_saveexec_b32 s10, s7
	s_cbranch_execnz .LBB385_1892
	s_branch .LBB385_1893
.LBB385_2122:
	s_trap 2
	s_sendmsg_rtn_b32 s0, sendmsg(MSG_RTN_GET_DOORBELL)
	s_mov_b32 ttmp2, m0
	s_waitcnt lgkmcnt(0)
	s_and_b32 s0, s0, 0x3ff
	s_delay_alu instid0(SALU_CYCLE_1) | instskip(NEXT) | instid1(SALU_CYCLE_1)
	s_bitset1_b32 s0, 10
	s_mov_b32 m0, s0
	s_sendmsg sendmsg(MSG_INTERRUPT)
	s_mov_b32 m0, ttmp2
.LBB385_2123:                           ; =>This Inner Loop Header: Depth=1
	s_sethalt 5
	s_branch .LBB385_2123
.LBB385_2124:
	s_cbranch_execnz .LBB385_2130
; %bb.2125:
	s_or_b32 s1, s1, exec_lo
	s_cbranch_execz .LBB385_1939
	s_branch .LBB385_1940
.LBB385_2126:
	s_or_saveexec_b32 s7, s7
                                        ; implicit-def: $sgpr10
	s_delay_alu instid0(SALU_CYCLE_1)
	s_xor_b32 exec_lo, exec_lo, s7
	s_cbranch_execz .LBB385_1904
.LBB385_2127:
	v_add_f32_e64 v6, 0x42800000, |v5|
	s_and_not1_b32 s6, s6, exec_lo
	s_mov_b32 s10, 0
	s_delay_alu instid0(VALU_DEP_1) | instskip(NEXT) | instid1(VALU_DEP_1)
	v_and_b32_e32 v6, 0xff, v6
	v_cmp_ne_u32_e32 vcc_lo, 0, v6
	s_and_b32 s11, vcc_lo, exec_lo
	s_delay_alu instid0(SALU_CYCLE_1)
	s_or_b32 s6, s6, s11
	s_or_b32 exec_lo, exec_lo, s7
	v_mov_b32_e32 v7, s10
	s_and_saveexec_b32 s7, s6
	s_cbranch_execnz .LBB385_1905
	s_branch .LBB385_1906
.LBB385_2128:
	s_or_saveexec_b32 s5, s5
                                        ; implicit-def: $sgpr6
	s_delay_alu instid0(SALU_CYCLE_1)
	s_xor_b32 exec_lo, exec_lo, s5
	s_cbranch_execz .LBB385_2010
.LBB385_2129:
	v_add_f32_e64 v4, 0x46000000, |v3|
	s_and_not1_b32 s4, s4, exec_lo
	s_mov_b32 s6, 0
	s_delay_alu instid0(VALU_DEP_1) | instskip(NEXT) | instid1(VALU_DEP_1)
	v_and_b32_e32 v4, 0xff, v4
	v_cmp_ne_u32_e32 vcc_lo, 0, v4
	s_and_b32 s7, vcc_lo, exec_lo
	s_delay_alu instid0(SALU_CYCLE_1)
	s_or_b32 s4, s4, s7
	s_or_b32 exec_lo, exec_lo, s5
	v_mov_b32_e32 v5, s6
	s_and_saveexec_b32 s5, s4
	s_cbranch_execnz .LBB385_2011
	s_branch .LBB385_2012
.LBB385_2130:
	s_trap 2
	s_sendmsg_rtn_b32 s0, sendmsg(MSG_RTN_GET_DOORBELL)
	s_mov_b32 ttmp2, m0
	s_waitcnt lgkmcnt(0)
	s_and_b32 s0, s0, 0x3ff
	s_delay_alu instid0(SALU_CYCLE_1) | instskip(NEXT) | instid1(SALU_CYCLE_1)
	s_bitset1_b32 s0, 10
	s_mov_b32 m0, s0
	s_sendmsg sendmsg(MSG_INTERRUPT)
	s_mov_b32 m0, ttmp2
.LBB385_2131:                           ; =>This Inner Loop Header: Depth=1
	s_sethalt 5
	s_branch .LBB385_2131
.LBB385_2132:
	s_cbranch_execnz .LBB385_2136
; %bb.2133:
	s_mov_b32 s2, 0
	s_or_b32 s1, s1, exec_lo
	s_branch .LBB385_2056
.LBB385_2134:
	s_or_saveexec_b32 s4, s4
                                        ; implicit-def: $sgpr5
	s_delay_alu instid0(SALU_CYCLE_1)
	s_xor_b32 exec_lo, exec_lo, s4
	s_cbranch_execz .LBB385_2022
.LBB385_2135:
	v_add_f32_e64 v4, 0x42800000, |v3|
	s_and_not1_b32 s3, s3, exec_lo
	s_mov_b32 s5, 0
	s_delay_alu instid0(VALU_DEP_1) | instskip(NEXT) | instid1(VALU_DEP_1)
	v_and_b32_e32 v4, 0xff, v4
	v_cmp_ne_u32_e32 vcc_lo, 0, v4
	s_and_b32 s6, vcc_lo, exec_lo
	s_delay_alu instid0(SALU_CYCLE_1)
	s_or_b32 s3, s3, s6
	s_or_b32 exec_lo, exec_lo, s4
	v_mov_b32_e32 v5, s5
	s_and_saveexec_b32 s4, s3
	s_cbranch_execnz .LBB385_2023
	s_branch .LBB385_2024
.LBB385_2136:
	s_trap 2
	s_sendmsg_rtn_b32 s0, sendmsg(MSG_RTN_GET_DOORBELL)
	s_mov_b32 ttmp2, m0
	s_waitcnt lgkmcnt(0)
	s_and_b32 s0, s0, 0x3ff
	s_delay_alu instid0(SALU_CYCLE_1) | instskip(NEXT) | instid1(SALU_CYCLE_1)
	s_bitset1_b32 s0, 10
	s_mov_b32 m0, s0
	s_sendmsg sendmsg(MSG_INTERRUPT)
	s_mov_b32 m0, ttmp2
.LBB385_2137:                           ; =>This Inner Loop Header: Depth=1
	s_sethalt 5
	s_branch .LBB385_2137
	.section	.rodata,"a",@progbits
	.p2align	6, 0x0
	.amdhsa_kernel _ZN2at6native32elementwise_kernel_manual_unrollILi128ELi4EZNS0_15gpu_kernel_implIZZZNS0_21clamp_min_kernel_cudaERNS_18TensorIteratorBaseERKN3c106ScalarEENKUlvE_clEvENKUlvE3_clEvEUlsE_EEvS4_RKT_EUlibE0_EEviT1_
		.amdhsa_group_segment_fixed_size 0
		.amdhsa_private_segment_fixed_size 0
		.amdhsa_kernarg_size 360
		.amdhsa_user_sgpr_count 15
		.amdhsa_user_sgpr_dispatch_ptr 0
		.amdhsa_user_sgpr_queue_ptr 0
		.amdhsa_user_sgpr_kernarg_segment_ptr 1
		.amdhsa_user_sgpr_dispatch_id 0
		.amdhsa_user_sgpr_private_segment_size 0
		.amdhsa_wavefront_size32 1
		.amdhsa_uses_dynamic_stack 0
		.amdhsa_enable_private_segment 0
		.amdhsa_system_sgpr_workgroup_id_x 1
		.amdhsa_system_sgpr_workgroup_id_y 0
		.amdhsa_system_sgpr_workgroup_id_z 0
		.amdhsa_system_sgpr_workgroup_info 0
		.amdhsa_system_vgpr_workitem_id 0
		.amdhsa_next_free_vgpr 18
		.amdhsa_next_free_sgpr 68
		.amdhsa_reserve_vcc 1
		.amdhsa_float_round_mode_32 0
		.amdhsa_float_round_mode_16_64 0
		.amdhsa_float_denorm_mode_32 3
		.amdhsa_float_denorm_mode_16_64 3
		.amdhsa_dx10_clamp 1
		.amdhsa_ieee_mode 1
		.amdhsa_fp16_overflow 0
		.amdhsa_workgroup_processor_mode 1
		.amdhsa_memory_ordered 1
		.amdhsa_forward_progress 0
		.amdhsa_shared_vgpr_count 0
		.amdhsa_exception_fp_ieee_invalid_op 0
		.amdhsa_exception_fp_denorm_src 0
		.amdhsa_exception_fp_ieee_div_zero 0
		.amdhsa_exception_fp_ieee_overflow 0
		.amdhsa_exception_fp_ieee_underflow 0
		.amdhsa_exception_fp_ieee_inexact 0
		.amdhsa_exception_int_div_zero 0
	.end_amdhsa_kernel
	.section	.text._ZN2at6native32elementwise_kernel_manual_unrollILi128ELi4EZNS0_15gpu_kernel_implIZZZNS0_21clamp_min_kernel_cudaERNS_18TensorIteratorBaseERKN3c106ScalarEENKUlvE_clEvENKUlvE3_clEvEUlsE_EEvS4_RKT_EUlibE0_EEviT1_,"axG",@progbits,_ZN2at6native32elementwise_kernel_manual_unrollILi128ELi4EZNS0_15gpu_kernel_implIZZZNS0_21clamp_min_kernel_cudaERNS_18TensorIteratorBaseERKN3c106ScalarEENKUlvE_clEvENKUlvE3_clEvEUlsE_EEvS4_RKT_EUlibE0_EEviT1_,comdat
.Lfunc_end385:
	.size	_ZN2at6native32elementwise_kernel_manual_unrollILi128ELi4EZNS0_15gpu_kernel_implIZZZNS0_21clamp_min_kernel_cudaERNS_18TensorIteratorBaseERKN3c106ScalarEENKUlvE_clEvENKUlvE3_clEvEUlsE_EEvS4_RKT_EUlibE0_EEviT1_, .Lfunc_end385-_ZN2at6native32elementwise_kernel_manual_unrollILi128ELi4EZNS0_15gpu_kernel_implIZZZNS0_21clamp_min_kernel_cudaERNS_18TensorIteratorBaseERKN3c106ScalarEENKUlvE_clEvENKUlvE3_clEvEUlsE_EEvS4_RKT_EUlibE0_EEviT1_
                                        ; -- End function
	.section	.AMDGPU.csdata,"",@progbits
; Kernel info:
; codeLenInByte = 42160
; NumSgprs: 70
; NumVgprs: 18
; ScratchSize: 0
; MemoryBound: 1
; FloatMode: 240
; IeeeMode: 1
; LDSByteSize: 0 bytes/workgroup (compile time only)
; SGPRBlocks: 8
; VGPRBlocks: 2
; NumSGPRsForWavesPerEU: 70
; NumVGPRsForWavesPerEU: 18
; Occupancy: 16
; WaveLimiterHint : 1
; COMPUTE_PGM_RSRC2:SCRATCH_EN: 0
; COMPUTE_PGM_RSRC2:USER_SGPR: 15
; COMPUTE_PGM_RSRC2:TRAP_HANDLER: 0
; COMPUTE_PGM_RSRC2:TGID_X_EN: 1
; COMPUTE_PGM_RSRC2:TGID_Y_EN: 0
; COMPUTE_PGM_RSRC2:TGID_Z_EN: 0
; COMPUTE_PGM_RSRC2:TIDIG_COMP_CNT: 0
	.section	.text._ZN2at6native29vectorized_elementwise_kernelILi16EZZZNS0_21clamp_min_kernel_cudaERNS_18TensorIteratorBaseERKN3c106ScalarEENKUlvE_clEvENKUlvE4_clEvEUldE_St5arrayIPcLm2EEEEviT0_T1_,"axG",@progbits,_ZN2at6native29vectorized_elementwise_kernelILi16EZZZNS0_21clamp_min_kernel_cudaERNS_18TensorIteratorBaseERKN3c106ScalarEENKUlvE_clEvENKUlvE4_clEvEUldE_St5arrayIPcLm2EEEEviT0_T1_,comdat
	.globl	_ZN2at6native29vectorized_elementwise_kernelILi16EZZZNS0_21clamp_min_kernel_cudaERNS_18TensorIteratorBaseERKN3c106ScalarEENKUlvE_clEvENKUlvE4_clEvEUldE_St5arrayIPcLm2EEEEviT0_T1_ ; -- Begin function _ZN2at6native29vectorized_elementwise_kernelILi16EZZZNS0_21clamp_min_kernel_cudaERNS_18TensorIteratorBaseERKN3c106ScalarEENKUlvE_clEvENKUlvE4_clEvEUldE_St5arrayIPcLm2EEEEviT0_T1_
	.p2align	8
	.type	_ZN2at6native29vectorized_elementwise_kernelILi16EZZZNS0_21clamp_min_kernel_cudaERNS_18TensorIteratorBaseERKN3c106ScalarEENKUlvE_clEvENKUlvE4_clEvEUldE_St5arrayIPcLm2EEEEviT0_T1_,@function
_ZN2at6native29vectorized_elementwise_kernelILi16EZZZNS0_21clamp_min_kernel_cudaERNS_18TensorIteratorBaseERKN3c106ScalarEENKUlvE_clEvENKUlvE4_clEvEUldE_St5arrayIPcLm2EEEEviT0_T1_: ; @_ZN2at6native29vectorized_elementwise_kernelILi16EZZZNS0_21clamp_min_kernel_cudaERNS_18TensorIteratorBaseERKN3c106ScalarEENKUlvE_clEvENKUlvE4_clEvEUldE_St5arrayIPcLm2EEEEviT0_T1_
; %bb.0:
	s_clause 0x2
	s_load_b128 s[4:7], s[0:1], 0x8
	s_load_b32 s2, s[0:1], 0x0
	s_load_b64 s[8:9], s[0:1], 0x18
	s_mov_b32 s0, -1
	s_waitcnt lgkmcnt(0)
	v_max_f64 v[1:2], s[4:5], s[4:5]
	s_lshl_b32 s4, s15, 10
	s_delay_alu instid0(SALU_CYCLE_1) | instskip(NEXT) | instid1(SALU_CYCLE_1)
	s_sub_i32 s10, s2, s4
	s_cmpk_gt_i32 s10, 0x3ff
	s_cbranch_scc0 .LBB386_2
; %bb.1:
	s_ashr_i32 s5, s4, 31
	v_lshlrev_b32_e32 v19, 5, v0
	s_lshl_b64 s[12:13], s[4:5], 3
	s_delay_alu instid0(SALU_CYCLE_1)
	s_add_u32 s0, s8, s12
	s_addc_u32 s1, s9, s13
	s_clause 0x1
	global_load_b128 v[3:6], v19, s[0:1]
	global_load_b128 v[7:10], v19, s[0:1] offset:16
	s_waitcnt vmcnt(1)
	v_max_f64 v[11:12], v[3:4], v[3:4]
	v_max_f64 v[13:14], v[5:6], v[5:6]
	s_waitcnt vmcnt(0)
	v_max_f64 v[15:16], v[7:8], v[7:8]
	v_max_f64 v[17:18], v[9:10], v[9:10]
	v_cmp_u_f64_e32 vcc_lo, v[3:4], v[3:4]
	v_cmp_u_f64_e64 s0, v[5:6], v[5:6]
	v_cmp_u_f64_e64 s1, v[7:8], v[7:8]
	;; [unrolled: 1-line block ×3, first 2 shown]
	v_max_f64 v[11:12], v[11:12], v[1:2]
	v_max_f64 v[13:14], v[13:14], v[1:2]
	;; [unrolled: 1-line block ×4, first 2 shown]
	s_delay_alu instid0(VALU_DEP_4) | instskip(NEXT) | instid1(VALU_DEP_4)
	v_dual_cndmask_b32 v4, v12, v4 :: v_dual_cndmask_b32 v3, v11, v3
	v_cndmask_b32_e64 v6, v14, v6, s0
	v_cndmask_b32_e64 v5, v13, v5, s0
	;; [unrolled: 1-line block ×6, first 2 shown]
	s_add_u32 s2, s6, s12
	s_addc_u32 s3, s7, s13
	s_mov_b32 s0, 0
	s_clause 0x1
	global_store_b128 v19, v[3:6], s[2:3]
	global_store_b128 v19, v[7:10], s[2:3] offset:16
.LBB386_2:
	s_and_not1_b32 vcc_lo, exec_lo, s0
	s_cbranch_vccnz .LBB386_16
; %bb.3:
	v_dual_mov_b32 v5, 0 :: v_dual_mov_b32 v4, v0
	v_mov_b32_e32 v6, 0
	v_cmp_gt_i32_e32 vcc_lo, s10, v0
	v_or_b32_e32 v3, s4, v0
	v_or_b32_e32 v15, 0x100, v0
	s_delay_alu instid0(VALU_DEP_4)
	v_dual_mov_b32 v8, v6 :: v_dual_mov_b32 v7, v5
	s_and_saveexec_b32 s1, vcc_lo
	s_cbranch_execz .LBB386_5
; %bb.4:
	v_mov_b32_e32 v4, 0
	s_delay_alu instid0(VALU_DEP_1) | instskip(SKIP_1) | instid1(VALU_DEP_2)
	v_lshlrev_b64 v[7:8], 3, v[3:4]
	v_or_b32_e32 v4, 0x100, v0
	v_add_co_u32 v7, s0, s8, v7
	s_delay_alu instid0(VALU_DEP_1)
	v_add_co_ci_u32_e64 v8, s0, s9, v8, s0
	global_load_b64 v[7:8], v[7:8], off
.LBB386_5:
	s_or_b32 exec_lo, exec_lo, s1
	s_delay_alu instid0(SALU_CYCLE_1)
	s_mov_b32 s1, exec_lo
	v_cmpx_gt_i32_e64 s10, v4
	s_cbranch_execz .LBB386_7
; %bb.6:
	v_dual_mov_b32 v6, 0 :: v_dual_add_nc_u32 v5, s4, v4
	v_add_nc_u32_e32 v4, 0x100, v4
	s_delay_alu instid0(VALU_DEP_2) | instskip(NEXT) | instid1(VALU_DEP_1)
	v_lshlrev_b64 v[5:6], 3, v[5:6]
	v_add_co_u32 v5, s0, s8, v5
	s_delay_alu instid0(VALU_DEP_1)
	v_add_co_ci_u32_e64 v6, s0, s9, v6, s0
	global_load_b64 v[5:6], v[5:6], off
.LBB386_7:
	s_or_b32 exec_lo, exec_lo, s1
	v_mov_b32_e32 v9, 0
	v_mov_b32_e32 v10, 0
	s_mov_b32 s1, exec_lo
	s_delay_alu instid0(VALU_DEP_1)
	v_dual_mov_b32 v12, v10 :: v_dual_mov_b32 v11, v9
	v_cmpx_gt_i32_e64 s10, v4
	s_cbranch_execz .LBB386_9
; %bb.8:
	v_dual_mov_b32 v12, 0 :: v_dual_add_nc_u32 v11, s4, v4
	v_add_nc_u32_e32 v4, 0x100, v4
	s_delay_alu instid0(VALU_DEP_2) | instskip(NEXT) | instid1(VALU_DEP_1)
	v_lshlrev_b64 v[11:12], 3, v[11:12]
	v_add_co_u32 v11, s0, s8, v11
	s_delay_alu instid0(VALU_DEP_1)
	v_add_co_ci_u32_e64 v12, s0, s9, v12, s0
	global_load_b64 v[11:12], v[11:12], off
.LBB386_9:
	s_or_b32 exec_lo, exec_lo, s1
	s_delay_alu instid0(SALU_CYCLE_1)
	s_mov_b32 s1, exec_lo
	v_cmpx_gt_i32_e64 s10, v4
	s_cbranch_execz .LBB386_11
; %bb.10:
	v_dual_mov_b32 v10, 0 :: v_dual_add_nc_u32 v9, s4, v4
	s_delay_alu instid0(VALU_DEP_1) | instskip(NEXT) | instid1(VALU_DEP_1)
	v_lshlrev_b64 v[9:10], 3, v[9:10]
	v_add_co_u32 v9, s0, s8, v9
	s_delay_alu instid0(VALU_DEP_1)
	v_add_co_ci_u32_e64 v10, s0, s9, v10, s0
	global_load_b64 v[9:10], v[9:10], off
.LBB386_11:
	s_or_b32 exec_lo, exec_lo, s1
	s_waitcnt vmcnt(0)
	v_max_f64 v[13:14], v[7:8], v[7:8]
	v_max_f64 v[16:17], v[5:6], v[5:6]
	;; [unrolled: 1-line block ×4, first 2 shown]
	v_cmp_u_f64_e64 s0, v[7:8], v[7:8]
	v_cmp_u_f64_e64 s1, v[5:6], v[5:6]
	;; [unrolled: 1-line block ×4, first 2 shown]
	v_max_f64 v[13:14], v[13:14], v[1:2]
	v_max_f64 v[16:17], v[16:17], v[1:2]
	v_max_f64 v[18:19], v[18:19], v[1:2]
	v_max_f64 v[1:2], v[20:21], v[1:2]
	s_delay_alu instid0(VALU_DEP_4)
	v_cndmask_b32_e64 v14, v14, v8, s0
	v_cndmask_b32_e64 v13, v13, v7, s0
	;; [unrolled: 1-line block ×8, first 2 shown]
	s_and_saveexec_b32 s0, vcc_lo
	s_cbranch_execnz .LBB386_17
; %bb.12:
	s_or_b32 exec_lo, exec_lo, s0
	s_delay_alu instid0(SALU_CYCLE_1)
	s_mov_b32 s0, exec_lo
	v_cmpx_gt_i32_e64 s10, v0
	s_cbranch_execnz .LBB386_18
.LBB386_13:
	s_or_b32 exec_lo, exec_lo, s0
	s_delay_alu instid0(SALU_CYCLE_1)
	s_mov_b32 s0, exec_lo
	v_cmpx_gt_i32_e64 s10, v0
	s_cbranch_execnz .LBB386_19
.LBB386_14:
	s_or_b32 exec_lo, exec_lo, s0
	s_delay_alu instid0(SALU_CYCLE_1)
	s_mov_b32 s0, exec_lo
	v_cmpx_gt_i32_e64 s10, v0
	s_cbranch_execz .LBB386_16
.LBB386_15:
	v_dual_mov_b32 v4, 0 :: v_dual_add_nc_u32 v3, s4, v0
	s_delay_alu instid0(VALU_DEP_1) | instskip(NEXT) | instid1(VALU_DEP_1)
	v_lshlrev_b64 v[3:4], 3, v[3:4]
	v_add_co_u32 v3, vcc_lo, s6, v3
	s_delay_alu instid0(VALU_DEP_2)
	v_add_co_ci_u32_e32 v4, vcc_lo, s7, v4, vcc_lo
	global_store_b64 v[3:4], v[1:2], off
.LBB386_16:
	s_nop 0
	s_sendmsg sendmsg(MSG_DEALLOC_VGPRS)
	s_endpgm
.LBB386_17:
	v_mov_b32_e32 v4, 0
	v_mov_b32_e32 v0, v15
	s_delay_alu instid0(VALU_DEP_2) | instskip(NEXT) | instid1(VALU_DEP_1)
	v_lshlrev_b64 v[3:4], 3, v[3:4]
	v_add_co_u32 v3, vcc_lo, s6, v3
	s_delay_alu instid0(VALU_DEP_2) | instskip(SKIP_2) | instid1(SALU_CYCLE_1)
	v_add_co_ci_u32_e32 v4, vcc_lo, s7, v4, vcc_lo
	global_store_b64 v[3:4], v[13:14], off
	s_or_b32 exec_lo, exec_lo, s0
	s_mov_b32 s0, exec_lo
	v_cmpx_gt_i32_e64 s10, v0
	s_cbranch_execz .LBB386_13
.LBB386_18:
	v_dual_mov_b32 v4, 0 :: v_dual_add_nc_u32 v3, s4, v0
	v_add_nc_u32_e32 v0, 0x100, v0
	s_delay_alu instid0(VALU_DEP_2) | instskip(NEXT) | instid1(VALU_DEP_1)
	v_lshlrev_b64 v[3:4], 3, v[3:4]
	v_add_co_u32 v3, vcc_lo, s6, v3
	s_delay_alu instid0(VALU_DEP_2) | instskip(SKIP_2) | instid1(SALU_CYCLE_1)
	v_add_co_ci_u32_e32 v4, vcc_lo, s7, v4, vcc_lo
	global_store_b64 v[3:4], v[7:8], off
	s_or_b32 exec_lo, exec_lo, s0
	s_mov_b32 s0, exec_lo
	v_cmpx_gt_i32_e64 s10, v0
	s_cbranch_execz .LBB386_14
.LBB386_19:
	v_dual_mov_b32 v4, 0 :: v_dual_add_nc_u32 v3, s4, v0
	v_add_nc_u32_e32 v0, 0x100, v0
	s_delay_alu instid0(VALU_DEP_2) | instskip(NEXT) | instid1(VALU_DEP_1)
	v_lshlrev_b64 v[3:4], 3, v[3:4]
	v_add_co_u32 v3, vcc_lo, s6, v3
	s_delay_alu instid0(VALU_DEP_2) | instskip(SKIP_2) | instid1(SALU_CYCLE_1)
	v_add_co_ci_u32_e32 v4, vcc_lo, s7, v4, vcc_lo
	global_store_b64 v[3:4], v[5:6], off
	s_or_b32 exec_lo, exec_lo, s0
	s_mov_b32 s0, exec_lo
	v_cmpx_gt_i32_e64 s10, v0
	s_cbranch_execnz .LBB386_15
	s_branch .LBB386_16
	.section	.rodata,"a",@progbits
	.p2align	6, 0x0
	.amdhsa_kernel _ZN2at6native29vectorized_elementwise_kernelILi16EZZZNS0_21clamp_min_kernel_cudaERNS_18TensorIteratorBaseERKN3c106ScalarEENKUlvE_clEvENKUlvE4_clEvEUldE_St5arrayIPcLm2EEEEviT0_T1_
		.amdhsa_group_segment_fixed_size 0
		.amdhsa_private_segment_fixed_size 0
		.amdhsa_kernarg_size 32
		.amdhsa_user_sgpr_count 15
		.amdhsa_user_sgpr_dispatch_ptr 0
		.amdhsa_user_sgpr_queue_ptr 0
		.amdhsa_user_sgpr_kernarg_segment_ptr 1
		.amdhsa_user_sgpr_dispatch_id 0
		.amdhsa_user_sgpr_private_segment_size 0
		.amdhsa_wavefront_size32 1
		.amdhsa_uses_dynamic_stack 0
		.amdhsa_enable_private_segment 0
		.amdhsa_system_sgpr_workgroup_id_x 1
		.amdhsa_system_sgpr_workgroup_id_y 0
		.amdhsa_system_sgpr_workgroup_id_z 0
		.amdhsa_system_sgpr_workgroup_info 0
		.amdhsa_system_vgpr_workitem_id 0
		.amdhsa_next_free_vgpr 22
		.amdhsa_next_free_sgpr 16
		.amdhsa_reserve_vcc 1
		.amdhsa_float_round_mode_32 0
		.amdhsa_float_round_mode_16_64 0
		.amdhsa_float_denorm_mode_32 3
		.amdhsa_float_denorm_mode_16_64 3
		.amdhsa_dx10_clamp 1
		.amdhsa_ieee_mode 1
		.amdhsa_fp16_overflow 0
		.amdhsa_workgroup_processor_mode 1
		.amdhsa_memory_ordered 1
		.amdhsa_forward_progress 0
		.amdhsa_shared_vgpr_count 0
		.amdhsa_exception_fp_ieee_invalid_op 0
		.amdhsa_exception_fp_denorm_src 0
		.amdhsa_exception_fp_ieee_div_zero 0
		.amdhsa_exception_fp_ieee_overflow 0
		.amdhsa_exception_fp_ieee_underflow 0
		.amdhsa_exception_fp_ieee_inexact 0
		.amdhsa_exception_int_div_zero 0
	.end_amdhsa_kernel
	.section	.text._ZN2at6native29vectorized_elementwise_kernelILi16EZZZNS0_21clamp_min_kernel_cudaERNS_18TensorIteratorBaseERKN3c106ScalarEENKUlvE_clEvENKUlvE4_clEvEUldE_St5arrayIPcLm2EEEEviT0_T1_,"axG",@progbits,_ZN2at6native29vectorized_elementwise_kernelILi16EZZZNS0_21clamp_min_kernel_cudaERNS_18TensorIteratorBaseERKN3c106ScalarEENKUlvE_clEvENKUlvE4_clEvEUldE_St5arrayIPcLm2EEEEviT0_T1_,comdat
.Lfunc_end386:
	.size	_ZN2at6native29vectorized_elementwise_kernelILi16EZZZNS0_21clamp_min_kernel_cudaERNS_18TensorIteratorBaseERKN3c106ScalarEENKUlvE_clEvENKUlvE4_clEvEUldE_St5arrayIPcLm2EEEEviT0_T1_, .Lfunc_end386-_ZN2at6native29vectorized_elementwise_kernelILi16EZZZNS0_21clamp_min_kernel_cudaERNS_18TensorIteratorBaseERKN3c106ScalarEENKUlvE_clEvENKUlvE4_clEvEUldE_St5arrayIPcLm2EEEEviT0_T1_
                                        ; -- End function
	.section	.AMDGPU.csdata,"",@progbits
; Kernel info:
; codeLenInByte = 1176
; NumSgprs: 18
; NumVgprs: 22
; ScratchSize: 0
; MemoryBound: 0
; FloatMode: 240
; IeeeMode: 1
; LDSByteSize: 0 bytes/workgroup (compile time only)
; SGPRBlocks: 2
; VGPRBlocks: 2
; NumSGPRsForWavesPerEU: 18
; NumVGPRsForWavesPerEU: 22
; Occupancy: 16
; WaveLimiterHint : 0
; COMPUTE_PGM_RSRC2:SCRATCH_EN: 0
; COMPUTE_PGM_RSRC2:USER_SGPR: 15
; COMPUTE_PGM_RSRC2:TRAP_HANDLER: 0
; COMPUTE_PGM_RSRC2:TGID_X_EN: 1
; COMPUTE_PGM_RSRC2:TGID_Y_EN: 0
; COMPUTE_PGM_RSRC2:TGID_Z_EN: 0
; COMPUTE_PGM_RSRC2:TIDIG_COMP_CNT: 0
	.section	.text._ZN2at6native29vectorized_elementwise_kernelILi8EZZZNS0_21clamp_min_kernel_cudaERNS_18TensorIteratorBaseERKN3c106ScalarEENKUlvE_clEvENKUlvE4_clEvEUldE_St5arrayIPcLm2EEEEviT0_T1_,"axG",@progbits,_ZN2at6native29vectorized_elementwise_kernelILi8EZZZNS0_21clamp_min_kernel_cudaERNS_18TensorIteratorBaseERKN3c106ScalarEENKUlvE_clEvENKUlvE4_clEvEUldE_St5arrayIPcLm2EEEEviT0_T1_,comdat
	.globl	_ZN2at6native29vectorized_elementwise_kernelILi8EZZZNS0_21clamp_min_kernel_cudaERNS_18TensorIteratorBaseERKN3c106ScalarEENKUlvE_clEvENKUlvE4_clEvEUldE_St5arrayIPcLm2EEEEviT0_T1_ ; -- Begin function _ZN2at6native29vectorized_elementwise_kernelILi8EZZZNS0_21clamp_min_kernel_cudaERNS_18TensorIteratorBaseERKN3c106ScalarEENKUlvE_clEvENKUlvE4_clEvEUldE_St5arrayIPcLm2EEEEviT0_T1_
	.p2align	8
	.type	_ZN2at6native29vectorized_elementwise_kernelILi8EZZZNS0_21clamp_min_kernel_cudaERNS_18TensorIteratorBaseERKN3c106ScalarEENKUlvE_clEvENKUlvE4_clEvEUldE_St5arrayIPcLm2EEEEviT0_T1_,@function
_ZN2at6native29vectorized_elementwise_kernelILi8EZZZNS0_21clamp_min_kernel_cudaERNS_18TensorIteratorBaseERKN3c106ScalarEENKUlvE_clEvENKUlvE4_clEvEUldE_St5arrayIPcLm2EEEEviT0_T1_: ; @_ZN2at6native29vectorized_elementwise_kernelILi8EZZZNS0_21clamp_min_kernel_cudaERNS_18TensorIteratorBaseERKN3c106ScalarEENKUlvE_clEvENKUlvE4_clEvEUldE_St5arrayIPcLm2EEEEviT0_T1_
; %bb.0:
	s_clause 0x2
	s_load_b128 s[4:7], s[0:1], 0x8
	s_load_b32 s2, s[0:1], 0x0
	s_load_b64 s[8:9], s[0:1], 0x18
	s_mov_b32 s0, -1
	s_waitcnt lgkmcnt(0)
	v_max_f64 v[1:2], s[4:5], s[4:5]
	s_lshl_b32 s4, s15, 10
	s_delay_alu instid0(SALU_CYCLE_1) | instskip(NEXT) | instid1(SALU_CYCLE_1)
	s_sub_i32 s10, s2, s4
	s_cmpk_gt_i32 s10, 0x3ff
	s_cbranch_scc0 .LBB387_2
; %bb.1:
	s_ashr_i32 s5, s4, 31
	v_lshlrev_b32_e32 v19, 5, v0
	s_lshl_b64 s[12:13], s[4:5], 3
	s_delay_alu instid0(SALU_CYCLE_1)
	s_add_u32 s0, s8, s12
	s_addc_u32 s1, s9, s13
	s_clause 0x1
	global_load_b128 v[3:6], v19, s[0:1]
	global_load_b128 v[7:10], v19, s[0:1] offset:16
	s_waitcnt vmcnt(1)
	v_max_f64 v[11:12], v[3:4], v[3:4]
	v_max_f64 v[13:14], v[5:6], v[5:6]
	s_waitcnt vmcnt(0)
	v_max_f64 v[15:16], v[7:8], v[7:8]
	v_max_f64 v[17:18], v[9:10], v[9:10]
	v_cmp_u_f64_e32 vcc_lo, v[3:4], v[3:4]
	v_cmp_u_f64_e64 s0, v[5:6], v[5:6]
	v_cmp_u_f64_e64 s1, v[7:8], v[7:8]
	;; [unrolled: 1-line block ×3, first 2 shown]
	v_max_f64 v[11:12], v[11:12], v[1:2]
	v_max_f64 v[13:14], v[13:14], v[1:2]
	;; [unrolled: 1-line block ×4, first 2 shown]
	s_delay_alu instid0(VALU_DEP_4) | instskip(NEXT) | instid1(VALU_DEP_4)
	v_dual_cndmask_b32 v4, v12, v4 :: v_dual_cndmask_b32 v3, v11, v3
	v_cndmask_b32_e64 v6, v14, v6, s0
	v_cndmask_b32_e64 v5, v13, v5, s0
	;; [unrolled: 1-line block ×6, first 2 shown]
	s_add_u32 s2, s6, s12
	s_addc_u32 s3, s7, s13
	s_mov_b32 s0, 0
	s_clause 0x1
	global_store_b128 v19, v[3:6], s[2:3]
	global_store_b128 v19, v[7:10], s[2:3] offset:16
.LBB387_2:
	s_and_not1_b32 vcc_lo, exec_lo, s0
	s_cbranch_vccnz .LBB387_16
; %bb.3:
	v_dual_mov_b32 v5, 0 :: v_dual_mov_b32 v4, v0
	v_mov_b32_e32 v6, 0
	v_cmp_gt_i32_e32 vcc_lo, s10, v0
	v_or_b32_e32 v3, s4, v0
	v_or_b32_e32 v15, 0x100, v0
	s_delay_alu instid0(VALU_DEP_4)
	v_dual_mov_b32 v8, v6 :: v_dual_mov_b32 v7, v5
	s_and_saveexec_b32 s1, vcc_lo
	s_cbranch_execz .LBB387_5
; %bb.4:
	v_mov_b32_e32 v4, 0
	s_delay_alu instid0(VALU_DEP_1) | instskip(SKIP_1) | instid1(VALU_DEP_2)
	v_lshlrev_b64 v[7:8], 3, v[3:4]
	v_or_b32_e32 v4, 0x100, v0
	v_add_co_u32 v7, s0, s8, v7
	s_delay_alu instid0(VALU_DEP_1)
	v_add_co_ci_u32_e64 v8, s0, s9, v8, s0
	global_load_b64 v[7:8], v[7:8], off
.LBB387_5:
	s_or_b32 exec_lo, exec_lo, s1
	s_delay_alu instid0(SALU_CYCLE_1)
	s_mov_b32 s1, exec_lo
	v_cmpx_gt_i32_e64 s10, v4
	s_cbranch_execz .LBB387_7
; %bb.6:
	v_dual_mov_b32 v6, 0 :: v_dual_add_nc_u32 v5, s4, v4
	v_add_nc_u32_e32 v4, 0x100, v4
	s_delay_alu instid0(VALU_DEP_2) | instskip(NEXT) | instid1(VALU_DEP_1)
	v_lshlrev_b64 v[5:6], 3, v[5:6]
	v_add_co_u32 v5, s0, s8, v5
	s_delay_alu instid0(VALU_DEP_1)
	v_add_co_ci_u32_e64 v6, s0, s9, v6, s0
	global_load_b64 v[5:6], v[5:6], off
.LBB387_7:
	s_or_b32 exec_lo, exec_lo, s1
	v_mov_b32_e32 v9, 0
	v_mov_b32_e32 v10, 0
	s_mov_b32 s1, exec_lo
	s_delay_alu instid0(VALU_DEP_1)
	v_dual_mov_b32 v12, v10 :: v_dual_mov_b32 v11, v9
	v_cmpx_gt_i32_e64 s10, v4
	s_cbranch_execz .LBB387_9
; %bb.8:
	v_dual_mov_b32 v12, 0 :: v_dual_add_nc_u32 v11, s4, v4
	v_add_nc_u32_e32 v4, 0x100, v4
	s_delay_alu instid0(VALU_DEP_2) | instskip(NEXT) | instid1(VALU_DEP_1)
	v_lshlrev_b64 v[11:12], 3, v[11:12]
	v_add_co_u32 v11, s0, s8, v11
	s_delay_alu instid0(VALU_DEP_1)
	v_add_co_ci_u32_e64 v12, s0, s9, v12, s0
	global_load_b64 v[11:12], v[11:12], off
.LBB387_9:
	s_or_b32 exec_lo, exec_lo, s1
	s_delay_alu instid0(SALU_CYCLE_1)
	s_mov_b32 s1, exec_lo
	v_cmpx_gt_i32_e64 s10, v4
	s_cbranch_execz .LBB387_11
; %bb.10:
	v_dual_mov_b32 v10, 0 :: v_dual_add_nc_u32 v9, s4, v4
	s_delay_alu instid0(VALU_DEP_1) | instskip(NEXT) | instid1(VALU_DEP_1)
	v_lshlrev_b64 v[9:10], 3, v[9:10]
	v_add_co_u32 v9, s0, s8, v9
	s_delay_alu instid0(VALU_DEP_1)
	v_add_co_ci_u32_e64 v10, s0, s9, v10, s0
	global_load_b64 v[9:10], v[9:10], off
.LBB387_11:
	s_or_b32 exec_lo, exec_lo, s1
	s_waitcnt vmcnt(0)
	v_max_f64 v[13:14], v[7:8], v[7:8]
	v_max_f64 v[16:17], v[5:6], v[5:6]
	;; [unrolled: 1-line block ×4, first 2 shown]
	v_cmp_u_f64_e64 s0, v[7:8], v[7:8]
	v_cmp_u_f64_e64 s1, v[5:6], v[5:6]
	;; [unrolled: 1-line block ×4, first 2 shown]
	v_max_f64 v[13:14], v[13:14], v[1:2]
	v_max_f64 v[16:17], v[16:17], v[1:2]
	;; [unrolled: 1-line block ×4, first 2 shown]
	s_delay_alu instid0(VALU_DEP_4)
	v_cndmask_b32_e64 v14, v14, v8, s0
	v_cndmask_b32_e64 v13, v13, v7, s0
	;; [unrolled: 1-line block ×8, first 2 shown]
	s_and_saveexec_b32 s0, vcc_lo
	s_cbranch_execnz .LBB387_17
; %bb.12:
	s_or_b32 exec_lo, exec_lo, s0
	s_delay_alu instid0(SALU_CYCLE_1)
	s_mov_b32 s0, exec_lo
	v_cmpx_gt_i32_e64 s10, v0
	s_cbranch_execnz .LBB387_18
.LBB387_13:
	s_or_b32 exec_lo, exec_lo, s0
	s_delay_alu instid0(SALU_CYCLE_1)
	s_mov_b32 s0, exec_lo
	v_cmpx_gt_i32_e64 s10, v0
	s_cbranch_execnz .LBB387_19
.LBB387_14:
	s_or_b32 exec_lo, exec_lo, s0
	s_delay_alu instid0(SALU_CYCLE_1)
	s_mov_b32 s0, exec_lo
	v_cmpx_gt_i32_e64 s10, v0
	s_cbranch_execz .LBB387_16
.LBB387_15:
	v_dual_mov_b32 v4, 0 :: v_dual_add_nc_u32 v3, s4, v0
	s_delay_alu instid0(VALU_DEP_1) | instskip(NEXT) | instid1(VALU_DEP_1)
	v_lshlrev_b64 v[3:4], 3, v[3:4]
	v_add_co_u32 v3, vcc_lo, s6, v3
	s_delay_alu instid0(VALU_DEP_2)
	v_add_co_ci_u32_e32 v4, vcc_lo, s7, v4, vcc_lo
	global_store_b64 v[3:4], v[1:2], off
.LBB387_16:
	s_nop 0
	s_sendmsg sendmsg(MSG_DEALLOC_VGPRS)
	s_endpgm
.LBB387_17:
	v_mov_b32_e32 v4, 0
	v_mov_b32_e32 v0, v15
	s_delay_alu instid0(VALU_DEP_2) | instskip(NEXT) | instid1(VALU_DEP_1)
	v_lshlrev_b64 v[3:4], 3, v[3:4]
	v_add_co_u32 v3, vcc_lo, s6, v3
	s_delay_alu instid0(VALU_DEP_2) | instskip(SKIP_2) | instid1(SALU_CYCLE_1)
	v_add_co_ci_u32_e32 v4, vcc_lo, s7, v4, vcc_lo
	global_store_b64 v[3:4], v[13:14], off
	s_or_b32 exec_lo, exec_lo, s0
	s_mov_b32 s0, exec_lo
	v_cmpx_gt_i32_e64 s10, v0
	s_cbranch_execz .LBB387_13
.LBB387_18:
	v_dual_mov_b32 v4, 0 :: v_dual_add_nc_u32 v3, s4, v0
	v_add_nc_u32_e32 v0, 0x100, v0
	s_delay_alu instid0(VALU_DEP_2) | instskip(NEXT) | instid1(VALU_DEP_1)
	v_lshlrev_b64 v[3:4], 3, v[3:4]
	v_add_co_u32 v3, vcc_lo, s6, v3
	s_delay_alu instid0(VALU_DEP_2) | instskip(SKIP_2) | instid1(SALU_CYCLE_1)
	v_add_co_ci_u32_e32 v4, vcc_lo, s7, v4, vcc_lo
	global_store_b64 v[3:4], v[7:8], off
	s_or_b32 exec_lo, exec_lo, s0
	s_mov_b32 s0, exec_lo
	v_cmpx_gt_i32_e64 s10, v0
	s_cbranch_execz .LBB387_14
.LBB387_19:
	v_dual_mov_b32 v4, 0 :: v_dual_add_nc_u32 v3, s4, v0
	v_add_nc_u32_e32 v0, 0x100, v0
	s_delay_alu instid0(VALU_DEP_2) | instskip(NEXT) | instid1(VALU_DEP_1)
	v_lshlrev_b64 v[3:4], 3, v[3:4]
	v_add_co_u32 v3, vcc_lo, s6, v3
	s_delay_alu instid0(VALU_DEP_2) | instskip(SKIP_2) | instid1(SALU_CYCLE_1)
	v_add_co_ci_u32_e32 v4, vcc_lo, s7, v4, vcc_lo
	global_store_b64 v[3:4], v[5:6], off
	s_or_b32 exec_lo, exec_lo, s0
	s_mov_b32 s0, exec_lo
	v_cmpx_gt_i32_e64 s10, v0
	s_cbranch_execnz .LBB387_15
	s_branch .LBB387_16
	.section	.rodata,"a",@progbits
	.p2align	6, 0x0
	.amdhsa_kernel _ZN2at6native29vectorized_elementwise_kernelILi8EZZZNS0_21clamp_min_kernel_cudaERNS_18TensorIteratorBaseERKN3c106ScalarEENKUlvE_clEvENKUlvE4_clEvEUldE_St5arrayIPcLm2EEEEviT0_T1_
		.amdhsa_group_segment_fixed_size 0
		.amdhsa_private_segment_fixed_size 0
		.amdhsa_kernarg_size 32
		.amdhsa_user_sgpr_count 15
		.amdhsa_user_sgpr_dispatch_ptr 0
		.amdhsa_user_sgpr_queue_ptr 0
		.amdhsa_user_sgpr_kernarg_segment_ptr 1
		.amdhsa_user_sgpr_dispatch_id 0
		.amdhsa_user_sgpr_private_segment_size 0
		.amdhsa_wavefront_size32 1
		.amdhsa_uses_dynamic_stack 0
		.amdhsa_enable_private_segment 0
		.amdhsa_system_sgpr_workgroup_id_x 1
		.amdhsa_system_sgpr_workgroup_id_y 0
		.amdhsa_system_sgpr_workgroup_id_z 0
		.amdhsa_system_sgpr_workgroup_info 0
		.amdhsa_system_vgpr_workitem_id 0
		.amdhsa_next_free_vgpr 22
		.amdhsa_next_free_sgpr 16
		.amdhsa_reserve_vcc 1
		.amdhsa_float_round_mode_32 0
		.amdhsa_float_round_mode_16_64 0
		.amdhsa_float_denorm_mode_32 3
		.amdhsa_float_denorm_mode_16_64 3
		.amdhsa_dx10_clamp 1
		.amdhsa_ieee_mode 1
		.amdhsa_fp16_overflow 0
		.amdhsa_workgroup_processor_mode 1
		.amdhsa_memory_ordered 1
		.amdhsa_forward_progress 0
		.amdhsa_shared_vgpr_count 0
		.amdhsa_exception_fp_ieee_invalid_op 0
		.amdhsa_exception_fp_denorm_src 0
		.amdhsa_exception_fp_ieee_div_zero 0
		.amdhsa_exception_fp_ieee_overflow 0
		.amdhsa_exception_fp_ieee_underflow 0
		.amdhsa_exception_fp_ieee_inexact 0
		.amdhsa_exception_int_div_zero 0
	.end_amdhsa_kernel
	.section	.text._ZN2at6native29vectorized_elementwise_kernelILi8EZZZNS0_21clamp_min_kernel_cudaERNS_18TensorIteratorBaseERKN3c106ScalarEENKUlvE_clEvENKUlvE4_clEvEUldE_St5arrayIPcLm2EEEEviT0_T1_,"axG",@progbits,_ZN2at6native29vectorized_elementwise_kernelILi8EZZZNS0_21clamp_min_kernel_cudaERNS_18TensorIteratorBaseERKN3c106ScalarEENKUlvE_clEvENKUlvE4_clEvEUldE_St5arrayIPcLm2EEEEviT0_T1_,comdat
.Lfunc_end387:
	.size	_ZN2at6native29vectorized_elementwise_kernelILi8EZZZNS0_21clamp_min_kernel_cudaERNS_18TensorIteratorBaseERKN3c106ScalarEENKUlvE_clEvENKUlvE4_clEvEUldE_St5arrayIPcLm2EEEEviT0_T1_, .Lfunc_end387-_ZN2at6native29vectorized_elementwise_kernelILi8EZZZNS0_21clamp_min_kernel_cudaERNS_18TensorIteratorBaseERKN3c106ScalarEENKUlvE_clEvENKUlvE4_clEvEUldE_St5arrayIPcLm2EEEEviT0_T1_
                                        ; -- End function
	.section	.AMDGPU.csdata,"",@progbits
; Kernel info:
; codeLenInByte = 1176
; NumSgprs: 18
; NumVgprs: 22
; ScratchSize: 0
; MemoryBound: 0
; FloatMode: 240
; IeeeMode: 1
; LDSByteSize: 0 bytes/workgroup (compile time only)
; SGPRBlocks: 2
; VGPRBlocks: 2
; NumSGPRsForWavesPerEU: 18
; NumVGPRsForWavesPerEU: 22
; Occupancy: 16
; WaveLimiterHint : 0
; COMPUTE_PGM_RSRC2:SCRATCH_EN: 0
; COMPUTE_PGM_RSRC2:USER_SGPR: 15
; COMPUTE_PGM_RSRC2:TRAP_HANDLER: 0
; COMPUTE_PGM_RSRC2:TGID_X_EN: 1
; COMPUTE_PGM_RSRC2:TGID_Y_EN: 0
; COMPUTE_PGM_RSRC2:TGID_Z_EN: 0
; COMPUTE_PGM_RSRC2:TIDIG_COMP_CNT: 0
	.section	.text._ZN2at6native29vectorized_elementwise_kernelILi4EZZZNS0_21clamp_min_kernel_cudaERNS_18TensorIteratorBaseERKN3c106ScalarEENKUlvE_clEvENKUlvE4_clEvEUldE_St5arrayIPcLm2EEEEviT0_T1_,"axG",@progbits,_ZN2at6native29vectorized_elementwise_kernelILi4EZZZNS0_21clamp_min_kernel_cudaERNS_18TensorIteratorBaseERKN3c106ScalarEENKUlvE_clEvENKUlvE4_clEvEUldE_St5arrayIPcLm2EEEEviT0_T1_,comdat
	.globl	_ZN2at6native29vectorized_elementwise_kernelILi4EZZZNS0_21clamp_min_kernel_cudaERNS_18TensorIteratorBaseERKN3c106ScalarEENKUlvE_clEvENKUlvE4_clEvEUldE_St5arrayIPcLm2EEEEviT0_T1_ ; -- Begin function _ZN2at6native29vectorized_elementwise_kernelILi4EZZZNS0_21clamp_min_kernel_cudaERNS_18TensorIteratorBaseERKN3c106ScalarEENKUlvE_clEvENKUlvE4_clEvEUldE_St5arrayIPcLm2EEEEviT0_T1_
	.p2align	8
	.type	_ZN2at6native29vectorized_elementwise_kernelILi4EZZZNS0_21clamp_min_kernel_cudaERNS_18TensorIteratorBaseERKN3c106ScalarEENKUlvE_clEvENKUlvE4_clEvEUldE_St5arrayIPcLm2EEEEviT0_T1_,@function
_ZN2at6native29vectorized_elementwise_kernelILi4EZZZNS0_21clamp_min_kernel_cudaERNS_18TensorIteratorBaseERKN3c106ScalarEENKUlvE_clEvENKUlvE4_clEvEUldE_St5arrayIPcLm2EEEEviT0_T1_: ; @_ZN2at6native29vectorized_elementwise_kernelILi4EZZZNS0_21clamp_min_kernel_cudaERNS_18TensorIteratorBaseERKN3c106ScalarEENKUlvE_clEvENKUlvE4_clEvEUldE_St5arrayIPcLm2EEEEviT0_T1_
; %bb.0:
	s_clause 0x2
	s_load_b128 s[4:7], s[0:1], 0x8
	s_load_b32 s2, s[0:1], 0x0
	s_load_b64 s[8:9], s[0:1], 0x18
	s_mov_b32 s0, -1
	s_waitcnt lgkmcnt(0)
	v_max_f64 v[1:2], s[4:5], s[4:5]
	s_lshl_b32 s4, s15, 10
	s_delay_alu instid0(SALU_CYCLE_1) | instskip(NEXT) | instid1(SALU_CYCLE_1)
	s_sub_i32 s10, s2, s4
	s_cmpk_gt_i32 s10, 0x3ff
	s_cbranch_scc0 .LBB388_2
; %bb.1:
	s_ashr_i32 s5, s4, 31
	v_lshlrev_b32_e32 v19, 5, v0
	s_lshl_b64 s[12:13], s[4:5], 3
	s_delay_alu instid0(SALU_CYCLE_1)
	s_add_u32 s0, s8, s12
	s_addc_u32 s1, s9, s13
	s_clause 0x1
	global_load_b128 v[3:6], v19, s[0:1]
	global_load_b128 v[7:10], v19, s[0:1] offset:16
	s_waitcnt vmcnt(1)
	v_max_f64 v[11:12], v[3:4], v[3:4]
	v_max_f64 v[13:14], v[5:6], v[5:6]
	s_waitcnt vmcnt(0)
	v_max_f64 v[15:16], v[7:8], v[7:8]
	v_max_f64 v[17:18], v[9:10], v[9:10]
	v_cmp_u_f64_e32 vcc_lo, v[3:4], v[3:4]
	v_cmp_u_f64_e64 s0, v[5:6], v[5:6]
	v_cmp_u_f64_e64 s1, v[7:8], v[7:8]
	;; [unrolled: 1-line block ×3, first 2 shown]
	v_max_f64 v[11:12], v[11:12], v[1:2]
	v_max_f64 v[13:14], v[13:14], v[1:2]
	;; [unrolled: 1-line block ×4, first 2 shown]
	s_delay_alu instid0(VALU_DEP_4) | instskip(NEXT) | instid1(VALU_DEP_4)
	v_dual_cndmask_b32 v4, v12, v4 :: v_dual_cndmask_b32 v3, v11, v3
	v_cndmask_b32_e64 v6, v14, v6, s0
	v_cndmask_b32_e64 v5, v13, v5, s0
	;; [unrolled: 1-line block ×6, first 2 shown]
	s_add_u32 s2, s6, s12
	s_addc_u32 s3, s7, s13
	s_mov_b32 s0, 0
	s_clause 0x1
	global_store_b128 v19, v[3:6], s[2:3]
	global_store_b128 v19, v[7:10], s[2:3] offset:16
.LBB388_2:
	s_and_not1_b32 vcc_lo, exec_lo, s0
	s_cbranch_vccnz .LBB388_16
; %bb.3:
	v_dual_mov_b32 v5, 0 :: v_dual_mov_b32 v4, v0
	v_mov_b32_e32 v6, 0
	v_cmp_gt_i32_e32 vcc_lo, s10, v0
	v_or_b32_e32 v3, s4, v0
	v_or_b32_e32 v15, 0x100, v0
	s_delay_alu instid0(VALU_DEP_4)
	v_dual_mov_b32 v8, v6 :: v_dual_mov_b32 v7, v5
	s_and_saveexec_b32 s1, vcc_lo
	s_cbranch_execz .LBB388_5
; %bb.4:
	v_mov_b32_e32 v4, 0
	s_delay_alu instid0(VALU_DEP_1) | instskip(SKIP_1) | instid1(VALU_DEP_2)
	v_lshlrev_b64 v[7:8], 3, v[3:4]
	v_or_b32_e32 v4, 0x100, v0
	v_add_co_u32 v7, s0, s8, v7
	s_delay_alu instid0(VALU_DEP_1)
	v_add_co_ci_u32_e64 v8, s0, s9, v8, s0
	global_load_b64 v[7:8], v[7:8], off
.LBB388_5:
	s_or_b32 exec_lo, exec_lo, s1
	s_delay_alu instid0(SALU_CYCLE_1)
	s_mov_b32 s1, exec_lo
	v_cmpx_gt_i32_e64 s10, v4
	s_cbranch_execz .LBB388_7
; %bb.6:
	v_dual_mov_b32 v6, 0 :: v_dual_add_nc_u32 v5, s4, v4
	v_add_nc_u32_e32 v4, 0x100, v4
	s_delay_alu instid0(VALU_DEP_2) | instskip(NEXT) | instid1(VALU_DEP_1)
	v_lshlrev_b64 v[5:6], 3, v[5:6]
	v_add_co_u32 v5, s0, s8, v5
	s_delay_alu instid0(VALU_DEP_1)
	v_add_co_ci_u32_e64 v6, s0, s9, v6, s0
	global_load_b64 v[5:6], v[5:6], off
.LBB388_7:
	s_or_b32 exec_lo, exec_lo, s1
	v_mov_b32_e32 v9, 0
	v_mov_b32_e32 v10, 0
	s_mov_b32 s1, exec_lo
	s_delay_alu instid0(VALU_DEP_1)
	v_dual_mov_b32 v12, v10 :: v_dual_mov_b32 v11, v9
	v_cmpx_gt_i32_e64 s10, v4
	s_cbranch_execz .LBB388_9
; %bb.8:
	v_dual_mov_b32 v12, 0 :: v_dual_add_nc_u32 v11, s4, v4
	v_add_nc_u32_e32 v4, 0x100, v4
	s_delay_alu instid0(VALU_DEP_2) | instskip(NEXT) | instid1(VALU_DEP_1)
	v_lshlrev_b64 v[11:12], 3, v[11:12]
	v_add_co_u32 v11, s0, s8, v11
	s_delay_alu instid0(VALU_DEP_1)
	v_add_co_ci_u32_e64 v12, s0, s9, v12, s0
	global_load_b64 v[11:12], v[11:12], off
.LBB388_9:
	s_or_b32 exec_lo, exec_lo, s1
	s_delay_alu instid0(SALU_CYCLE_1)
	s_mov_b32 s1, exec_lo
	v_cmpx_gt_i32_e64 s10, v4
	s_cbranch_execz .LBB388_11
; %bb.10:
	v_dual_mov_b32 v10, 0 :: v_dual_add_nc_u32 v9, s4, v4
	s_delay_alu instid0(VALU_DEP_1) | instskip(NEXT) | instid1(VALU_DEP_1)
	v_lshlrev_b64 v[9:10], 3, v[9:10]
	v_add_co_u32 v9, s0, s8, v9
	s_delay_alu instid0(VALU_DEP_1)
	v_add_co_ci_u32_e64 v10, s0, s9, v10, s0
	global_load_b64 v[9:10], v[9:10], off
.LBB388_11:
	s_or_b32 exec_lo, exec_lo, s1
	s_waitcnt vmcnt(0)
	v_max_f64 v[13:14], v[7:8], v[7:8]
	v_max_f64 v[16:17], v[5:6], v[5:6]
	;; [unrolled: 1-line block ×4, first 2 shown]
	v_cmp_u_f64_e64 s0, v[7:8], v[7:8]
	v_cmp_u_f64_e64 s1, v[5:6], v[5:6]
	;; [unrolled: 1-line block ×4, first 2 shown]
	v_max_f64 v[13:14], v[13:14], v[1:2]
	v_max_f64 v[16:17], v[16:17], v[1:2]
	;; [unrolled: 1-line block ×4, first 2 shown]
	s_delay_alu instid0(VALU_DEP_4)
	v_cndmask_b32_e64 v14, v14, v8, s0
	v_cndmask_b32_e64 v13, v13, v7, s0
	;; [unrolled: 1-line block ×8, first 2 shown]
	s_and_saveexec_b32 s0, vcc_lo
	s_cbranch_execnz .LBB388_17
; %bb.12:
	s_or_b32 exec_lo, exec_lo, s0
	s_delay_alu instid0(SALU_CYCLE_1)
	s_mov_b32 s0, exec_lo
	v_cmpx_gt_i32_e64 s10, v0
	s_cbranch_execnz .LBB388_18
.LBB388_13:
	s_or_b32 exec_lo, exec_lo, s0
	s_delay_alu instid0(SALU_CYCLE_1)
	s_mov_b32 s0, exec_lo
	v_cmpx_gt_i32_e64 s10, v0
	s_cbranch_execnz .LBB388_19
.LBB388_14:
	s_or_b32 exec_lo, exec_lo, s0
	s_delay_alu instid0(SALU_CYCLE_1)
	s_mov_b32 s0, exec_lo
	v_cmpx_gt_i32_e64 s10, v0
	s_cbranch_execz .LBB388_16
.LBB388_15:
	v_dual_mov_b32 v4, 0 :: v_dual_add_nc_u32 v3, s4, v0
	s_delay_alu instid0(VALU_DEP_1) | instskip(NEXT) | instid1(VALU_DEP_1)
	v_lshlrev_b64 v[3:4], 3, v[3:4]
	v_add_co_u32 v3, vcc_lo, s6, v3
	s_delay_alu instid0(VALU_DEP_2)
	v_add_co_ci_u32_e32 v4, vcc_lo, s7, v4, vcc_lo
	global_store_b64 v[3:4], v[1:2], off
.LBB388_16:
	s_nop 0
	s_sendmsg sendmsg(MSG_DEALLOC_VGPRS)
	s_endpgm
.LBB388_17:
	v_mov_b32_e32 v4, 0
	v_mov_b32_e32 v0, v15
	s_delay_alu instid0(VALU_DEP_2) | instskip(NEXT) | instid1(VALU_DEP_1)
	v_lshlrev_b64 v[3:4], 3, v[3:4]
	v_add_co_u32 v3, vcc_lo, s6, v3
	s_delay_alu instid0(VALU_DEP_2) | instskip(SKIP_2) | instid1(SALU_CYCLE_1)
	v_add_co_ci_u32_e32 v4, vcc_lo, s7, v4, vcc_lo
	global_store_b64 v[3:4], v[13:14], off
	s_or_b32 exec_lo, exec_lo, s0
	s_mov_b32 s0, exec_lo
	v_cmpx_gt_i32_e64 s10, v0
	s_cbranch_execz .LBB388_13
.LBB388_18:
	v_dual_mov_b32 v4, 0 :: v_dual_add_nc_u32 v3, s4, v0
	v_add_nc_u32_e32 v0, 0x100, v0
	s_delay_alu instid0(VALU_DEP_2) | instskip(NEXT) | instid1(VALU_DEP_1)
	v_lshlrev_b64 v[3:4], 3, v[3:4]
	v_add_co_u32 v3, vcc_lo, s6, v3
	s_delay_alu instid0(VALU_DEP_2) | instskip(SKIP_2) | instid1(SALU_CYCLE_1)
	v_add_co_ci_u32_e32 v4, vcc_lo, s7, v4, vcc_lo
	global_store_b64 v[3:4], v[7:8], off
	s_or_b32 exec_lo, exec_lo, s0
	s_mov_b32 s0, exec_lo
	v_cmpx_gt_i32_e64 s10, v0
	s_cbranch_execz .LBB388_14
.LBB388_19:
	v_dual_mov_b32 v4, 0 :: v_dual_add_nc_u32 v3, s4, v0
	v_add_nc_u32_e32 v0, 0x100, v0
	s_delay_alu instid0(VALU_DEP_2) | instskip(NEXT) | instid1(VALU_DEP_1)
	v_lshlrev_b64 v[3:4], 3, v[3:4]
	v_add_co_u32 v3, vcc_lo, s6, v3
	s_delay_alu instid0(VALU_DEP_2) | instskip(SKIP_2) | instid1(SALU_CYCLE_1)
	v_add_co_ci_u32_e32 v4, vcc_lo, s7, v4, vcc_lo
	global_store_b64 v[3:4], v[5:6], off
	s_or_b32 exec_lo, exec_lo, s0
	s_mov_b32 s0, exec_lo
	v_cmpx_gt_i32_e64 s10, v0
	s_cbranch_execnz .LBB388_15
	s_branch .LBB388_16
	.section	.rodata,"a",@progbits
	.p2align	6, 0x0
	.amdhsa_kernel _ZN2at6native29vectorized_elementwise_kernelILi4EZZZNS0_21clamp_min_kernel_cudaERNS_18TensorIteratorBaseERKN3c106ScalarEENKUlvE_clEvENKUlvE4_clEvEUldE_St5arrayIPcLm2EEEEviT0_T1_
		.amdhsa_group_segment_fixed_size 0
		.amdhsa_private_segment_fixed_size 0
		.amdhsa_kernarg_size 32
		.amdhsa_user_sgpr_count 15
		.amdhsa_user_sgpr_dispatch_ptr 0
		.amdhsa_user_sgpr_queue_ptr 0
		.amdhsa_user_sgpr_kernarg_segment_ptr 1
		.amdhsa_user_sgpr_dispatch_id 0
		.amdhsa_user_sgpr_private_segment_size 0
		.amdhsa_wavefront_size32 1
		.amdhsa_uses_dynamic_stack 0
		.amdhsa_enable_private_segment 0
		.amdhsa_system_sgpr_workgroup_id_x 1
		.amdhsa_system_sgpr_workgroup_id_y 0
		.amdhsa_system_sgpr_workgroup_id_z 0
		.amdhsa_system_sgpr_workgroup_info 0
		.amdhsa_system_vgpr_workitem_id 0
		.amdhsa_next_free_vgpr 22
		.amdhsa_next_free_sgpr 16
		.amdhsa_reserve_vcc 1
		.amdhsa_float_round_mode_32 0
		.amdhsa_float_round_mode_16_64 0
		.amdhsa_float_denorm_mode_32 3
		.amdhsa_float_denorm_mode_16_64 3
		.amdhsa_dx10_clamp 1
		.amdhsa_ieee_mode 1
		.amdhsa_fp16_overflow 0
		.amdhsa_workgroup_processor_mode 1
		.amdhsa_memory_ordered 1
		.amdhsa_forward_progress 0
		.amdhsa_shared_vgpr_count 0
		.amdhsa_exception_fp_ieee_invalid_op 0
		.amdhsa_exception_fp_denorm_src 0
		.amdhsa_exception_fp_ieee_div_zero 0
		.amdhsa_exception_fp_ieee_overflow 0
		.amdhsa_exception_fp_ieee_underflow 0
		.amdhsa_exception_fp_ieee_inexact 0
		.amdhsa_exception_int_div_zero 0
	.end_amdhsa_kernel
	.section	.text._ZN2at6native29vectorized_elementwise_kernelILi4EZZZNS0_21clamp_min_kernel_cudaERNS_18TensorIteratorBaseERKN3c106ScalarEENKUlvE_clEvENKUlvE4_clEvEUldE_St5arrayIPcLm2EEEEviT0_T1_,"axG",@progbits,_ZN2at6native29vectorized_elementwise_kernelILi4EZZZNS0_21clamp_min_kernel_cudaERNS_18TensorIteratorBaseERKN3c106ScalarEENKUlvE_clEvENKUlvE4_clEvEUldE_St5arrayIPcLm2EEEEviT0_T1_,comdat
.Lfunc_end388:
	.size	_ZN2at6native29vectorized_elementwise_kernelILi4EZZZNS0_21clamp_min_kernel_cudaERNS_18TensorIteratorBaseERKN3c106ScalarEENKUlvE_clEvENKUlvE4_clEvEUldE_St5arrayIPcLm2EEEEviT0_T1_, .Lfunc_end388-_ZN2at6native29vectorized_elementwise_kernelILi4EZZZNS0_21clamp_min_kernel_cudaERNS_18TensorIteratorBaseERKN3c106ScalarEENKUlvE_clEvENKUlvE4_clEvEUldE_St5arrayIPcLm2EEEEviT0_T1_
                                        ; -- End function
	.section	.AMDGPU.csdata,"",@progbits
; Kernel info:
; codeLenInByte = 1176
; NumSgprs: 18
; NumVgprs: 22
; ScratchSize: 0
; MemoryBound: 0
; FloatMode: 240
; IeeeMode: 1
; LDSByteSize: 0 bytes/workgroup (compile time only)
; SGPRBlocks: 2
; VGPRBlocks: 2
; NumSGPRsForWavesPerEU: 18
; NumVGPRsForWavesPerEU: 22
; Occupancy: 16
; WaveLimiterHint : 0
; COMPUTE_PGM_RSRC2:SCRATCH_EN: 0
; COMPUTE_PGM_RSRC2:USER_SGPR: 15
; COMPUTE_PGM_RSRC2:TRAP_HANDLER: 0
; COMPUTE_PGM_RSRC2:TGID_X_EN: 1
; COMPUTE_PGM_RSRC2:TGID_Y_EN: 0
; COMPUTE_PGM_RSRC2:TGID_Z_EN: 0
; COMPUTE_PGM_RSRC2:TIDIG_COMP_CNT: 0
	.section	.text._ZN2at6native29vectorized_elementwise_kernelILi2EZZZNS0_21clamp_min_kernel_cudaERNS_18TensorIteratorBaseERKN3c106ScalarEENKUlvE_clEvENKUlvE4_clEvEUldE_St5arrayIPcLm2EEEEviT0_T1_,"axG",@progbits,_ZN2at6native29vectorized_elementwise_kernelILi2EZZZNS0_21clamp_min_kernel_cudaERNS_18TensorIteratorBaseERKN3c106ScalarEENKUlvE_clEvENKUlvE4_clEvEUldE_St5arrayIPcLm2EEEEviT0_T1_,comdat
	.globl	_ZN2at6native29vectorized_elementwise_kernelILi2EZZZNS0_21clamp_min_kernel_cudaERNS_18TensorIteratorBaseERKN3c106ScalarEENKUlvE_clEvENKUlvE4_clEvEUldE_St5arrayIPcLm2EEEEviT0_T1_ ; -- Begin function _ZN2at6native29vectorized_elementwise_kernelILi2EZZZNS0_21clamp_min_kernel_cudaERNS_18TensorIteratorBaseERKN3c106ScalarEENKUlvE_clEvENKUlvE4_clEvEUldE_St5arrayIPcLm2EEEEviT0_T1_
	.p2align	8
	.type	_ZN2at6native29vectorized_elementwise_kernelILi2EZZZNS0_21clamp_min_kernel_cudaERNS_18TensorIteratorBaseERKN3c106ScalarEENKUlvE_clEvENKUlvE4_clEvEUldE_St5arrayIPcLm2EEEEviT0_T1_,@function
_ZN2at6native29vectorized_elementwise_kernelILi2EZZZNS0_21clamp_min_kernel_cudaERNS_18TensorIteratorBaseERKN3c106ScalarEENKUlvE_clEvENKUlvE4_clEvEUldE_St5arrayIPcLm2EEEEviT0_T1_: ; @_ZN2at6native29vectorized_elementwise_kernelILi2EZZZNS0_21clamp_min_kernel_cudaERNS_18TensorIteratorBaseERKN3c106ScalarEENKUlvE_clEvENKUlvE4_clEvEUldE_St5arrayIPcLm2EEEEviT0_T1_
; %bb.0:
	s_clause 0x2
	s_load_b128 s[4:7], s[0:1], 0x8
	s_load_b32 s2, s[0:1], 0x0
	s_load_b64 s[8:9], s[0:1], 0x18
	s_mov_b32 s0, -1
	s_waitcnt lgkmcnt(0)
	v_max_f64 v[1:2], s[4:5], s[4:5]
	s_lshl_b32 s4, s15, 10
	s_delay_alu instid0(SALU_CYCLE_1) | instskip(NEXT) | instid1(SALU_CYCLE_1)
	s_sub_i32 s10, s2, s4
	s_cmpk_gt_i32 s10, 0x3ff
	s_cbranch_scc0 .LBB389_2
; %bb.1:
	s_ashr_i32 s5, s4, 31
	v_lshlrev_b32_e32 v19, 4, v0
	s_lshl_b64 s[12:13], s[4:5], 3
	s_delay_alu instid0(SALU_CYCLE_1) | instskip(SKIP_1) | instid1(VALU_DEP_1)
	s_add_u32 s0, s8, s12
	s_addc_u32 s1, s9, s13
	v_add_co_u32 v3, s2, s0, v19
	s_delay_alu instid0(VALU_DEP_1) | instskip(SKIP_1) | instid1(VALU_DEP_2)
	v_add_co_ci_u32_e64 v4, null, s1, 0, s2
	s_add_u32 s12, s6, s12
	v_add_co_u32 v7, vcc_lo, 0x1000, v3
	s_delay_alu instid0(VALU_DEP_2)
	v_add_co_ci_u32_e32 v8, vcc_lo, 0, v4, vcc_lo
	s_addc_u32 s13, s7, s13
	v_add_co_u32 v20, s3, s12, v19
	s_clause 0x1
	global_load_b128 v[3:6], v19, s[0:1]
	global_load_b128 v[7:10], v[7:8], off
	v_add_co_ci_u32_e64 v21, null, s13, 0, s3
	s_waitcnt vmcnt(1)
	v_max_f64 v[11:12], v[3:4], v[3:4]
	v_max_f64 v[13:14], v[5:6], v[5:6]
	s_waitcnt vmcnt(0)
	v_max_f64 v[15:16], v[7:8], v[7:8]
	v_max_f64 v[17:18], v[9:10], v[9:10]
	v_cmp_u_f64_e32 vcc_lo, v[3:4], v[3:4]
	v_cmp_u_f64_e64 s0, v[5:6], v[5:6]
	v_cmp_u_f64_e64 s1, v[7:8], v[7:8]
	;; [unrolled: 1-line block ×3, first 2 shown]
	v_max_f64 v[11:12], v[11:12], v[1:2]
	v_max_f64 v[13:14], v[13:14], v[1:2]
	v_max_f64 v[15:16], v[15:16], v[1:2]
	v_max_f64 v[17:18], v[17:18], v[1:2]
	s_delay_alu instid0(VALU_DEP_4)
	v_dual_cndmask_b32 v4, v12, v4 :: v_dual_cndmask_b32 v3, v11, v3
	v_add_co_u32 v11, vcc_lo, 0x1000, v20
	v_cndmask_b32_e64 v6, v14, v6, s0
	v_cndmask_b32_e64 v5, v13, v5, s0
	;; [unrolled: 1-line block ×6, first 2 shown]
	v_add_co_ci_u32_e32 v12, vcc_lo, 0, v21, vcc_lo
	s_mov_b32 s0, 0
	s_clause 0x1
	global_store_b128 v19, v[3:6], s[12:13]
	global_store_b128 v[11:12], v[7:10], off
.LBB389_2:
	s_and_not1_b32 vcc_lo, exec_lo, s0
	s_cbranch_vccnz .LBB389_16
; %bb.3:
	v_dual_mov_b32 v5, 0 :: v_dual_mov_b32 v4, v0
	v_mov_b32_e32 v6, 0
	v_cmp_gt_i32_e32 vcc_lo, s10, v0
	v_or_b32_e32 v3, s4, v0
	v_or_b32_e32 v15, 0x100, v0
	s_delay_alu instid0(VALU_DEP_4)
	v_dual_mov_b32 v8, v6 :: v_dual_mov_b32 v7, v5
	s_and_saveexec_b32 s1, vcc_lo
	s_cbranch_execz .LBB389_5
; %bb.4:
	v_mov_b32_e32 v4, 0
	s_delay_alu instid0(VALU_DEP_1) | instskip(SKIP_1) | instid1(VALU_DEP_2)
	v_lshlrev_b64 v[7:8], 3, v[3:4]
	v_or_b32_e32 v4, 0x100, v0
	v_add_co_u32 v7, s0, s8, v7
	s_delay_alu instid0(VALU_DEP_1)
	v_add_co_ci_u32_e64 v8, s0, s9, v8, s0
	global_load_b64 v[7:8], v[7:8], off
.LBB389_5:
	s_or_b32 exec_lo, exec_lo, s1
	s_delay_alu instid0(SALU_CYCLE_1)
	s_mov_b32 s1, exec_lo
	v_cmpx_gt_i32_e64 s10, v4
	s_cbranch_execz .LBB389_7
; %bb.6:
	v_dual_mov_b32 v6, 0 :: v_dual_add_nc_u32 v5, s4, v4
	v_add_nc_u32_e32 v4, 0x100, v4
	s_delay_alu instid0(VALU_DEP_2) | instskip(NEXT) | instid1(VALU_DEP_1)
	v_lshlrev_b64 v[5:6], 3, v[5:6]
	v_add_co_u32 v5, s0, s8, v5
	s_delay_alu instid0(VALU_DEP_1)
	v_add_co_ci_u32_e64 v6, s0, s9, v6, s0
	global_load_b64 v[5:6], v[5:6], off
.LBB389_7:
	s_or_b32 exec_lo, exec_lo, s1
	v_mov_b32_e32 v9, 0
	v_mov_b32_e32 v10, 0
	s_mov_b32 s1, exec_lo
	s_delay_alu instid0(VALU_DEP_1)
	v_dual_mov_b32 v12, v10 :: v_dual_mov_b32 v11, v9
	v_cmpx_gt_i32_e64 s10, v4
	s_cbranch_execz .LBB389_9
; %bb.8:
	v_dual_mov_b32 v12, 0 :: v_dual_add_nc_u32 v11, s4, v4
	v_add_nc_u32_e32 v4, 0x100, v4
	s_delay_alu instid0(VALU_DEP_2) | instskip(NEXT) | instid1(VALU_DEP_1)
	v_lshlrev_b64 v[11:12], 3, v[11:12]
	v_add_co_u32 v11, s0, s8, v11
	s_delay_alu instid0(VALU_DEP_1)
	v_add_co_ci_u32_e64 v12, s0, s9, v12, s0
	global_load_b64 v[11:12], v[11:12], off
.LBB389_9:
	s_or_b32 exec_lo, exec_lo, s1
	s_delay_alu instid0(SALU_CYCLE_1)
	s_mov_b32 s1, exec_lo
	v_cmpx_gt_i32_e64 s10, v4
	s_cbranch_execz .LBB389_11
; %bb.10:
	v_dual_mov_b32 v10, 0 :: v_dual_add_nc_u32 v9, s4, v4
	s_delay_alu instid0(VALU_DEP_1) | instskip(NEXT) | instid1(VALU_DEP_1)
	v_lshlrev_b64 v[9:10], 3, v[9:10]
	v_add_co_u32 v9, s0, s8, v9
	s_delay_alu instid0(VALU_DEP_1)
	v_add_co_ci_u32_e64 v10, s0, s9, v10, s0
	global_load_b64 v[9:10], v[9:10], off
.LBB389_11:
	s_or_b32 exec_lo, exec_lo, s1
	s_waitcnt vmcnt(0)
	v_max_f64 v[13:14], v[7:8], v[7:8]
	v_max_f64 v[16:17], v[5:6], v[5:6]
	v_max_f64 v[18:19], v[11:12], v[11:12]
	v_max_f64 v[20:21], v[9:10], v[9:10]
	v_cmp_u_f64_e64 s0, v[7:8], v[7:8]
	v_cmp_u_f64_e64 s1, v[5:6], v[5:6]
	;; [unrolled: 1-line block ×4, first 2 shown]
	v_max_f64 v[13:14], v[13:14], v[1:2]
	v_max_f64 v[16:17], v[16:17], v[1:2]
	;; [unrolled: 1-line block ×4, first 2 shown]
	s_delay_alu instid0(VALU_DEP_4)
	v_cndmask_b32_e64 v14, v14, v8, s0
	v_cndmask_b32_e64 v13, v13, v7, s0
	;; [unrolled: 1-line block ×8, first 2 shown]
	s_and_saveexec_b32 s0, vcc_lo
	s_cbranch_execnz .LBB389_17
; %bb.12:
	s_or_b32 exec_lo, exec_lo, s0
	s_delay_alu instid0(SALU_CYCLE_1)
	s_mov_b32 s0, exec_lo
	v_cmpx_gt_i32_e64 s10, v0
	s_cbranch_execnz .LBB389_18
.LBB389_13:
	s_or_b32 exec_lo, exec_lo, s0
	s_delay_alu instid0(SALU_CYCLE_1)
	s_mov_b32 s0, exec_lo
	v_cmpx_gt_i32_e64 s10, v0
	s_cbranch_execnz .LBB389_19
.LBB389_14:
	s_or_b32 exec_lo, exec_lo, s0
	s_delay_alu instid0(SALU_CYCLE_1)
	s_mov_b32 s0, exec_lo
	v_cmpx_gt_i32_e64 s10, v0
	s_cbranch_execz .LBB389_16
.LBB389_15:
	v_dual_mov_b32 v4, 0 :: v_dual_add_nc_u32 v3, s4, v0
	s_delay_alu instid0(VALU_DEP_1) | instskip(NEXT) | instid1(VALU_DEP_1)
	v_lshlrev_b64 v[3:4], 3, v[3:4]
	v_add_co_u32 v3, vcc_lo, s6, v3
	s_delay_alu instid0(VALU_DEP_2)
	v_add_co_ci_u32_e32 v4, vcc_lo, s7, v4, vcc_lo
	global_store_b64 v[3:4], v[1:2], off
.LBB389_16:
	s_nop 0
	s_sendmsg sendmsg(MSG_DEALLOC_VGPRS)
	s_endpgm
.LBB389_17:
	v_mov_b32_e32 v4, 0
	v_mov_b32_e32 v0, v15
	s_delay_alu instid0(VALU_DEP_2) | instskip(NEXT) | instid1(VALU_DEP_1)
	v_lshlrev_b64 v[3:4], 3, v[3:4]
	v_add_co_u32 v3, vcc_lo, s6, v3
	s_delay_alu instid0(VALU_DEP_2) | instskip(SKIP_2) | instid1(SALU_CYCLE_1)
	v_add_co_ci_u32_e32 v4, vcc_lo, s7, v4, vcc_lo
	global_store_b64 v[3:4], v[13:14], off
	s_or_b32 exec_lo, exec_lo, s0
	s_mov_b32 s0, exec_lo
	v_cmpx_gt_i32_e64 s10, v0
	s_cbranch_execz .LBB389_13
.LBB389_18:
	v_dual_mov_b32 v4, 0 :: v_dual_add_nc_u32 v3, s4, v0
	v_add_nc_u32_e32 v0, 0x100, v0
	s_delay_alu instid0(VALU_DEP_2) | instskip(NEXT) | instid1(VALU_DEP_1)
	v_lshlrev_b64 v[3:4], 3, v[3:4]
	v_add_co_u32 v3, vcc_lo, s6, v3
	s_delay_alu instid0(VALU_DEP_2) | instskip(SKIP_2) | instid1(SALU_CYCLE_1)
	v_add_co_ci_u32_e32 v4, vcc_lo, s7, v4, vcc_lo
	global_store_b64 v[3:4], v[7:8], off
	s_or_b32 exec_lo, exec_lo, s0
	s_mov_b32 s0, exec_lo
	v_cmpx_gt_i32_e64 s10, v0
	s_cbranch_execz .LBB389_14
.LBB389_19:
	v_dual_mov_b32 v4, 0 :: v_dual_add_nc_u32 v3, s4, v0
	v_add_nc_u32_e32 v0, 0x100, v0
	s_delay_alu instid0(VALU_DEP_2) | instskip(NEXT) | instid1(VALU_DEP_1)
	v_lshlrev_b64 v[3:4], 3, v[3:4]
	v_add_co_u32 v3, vcc_lo, s6, v3
	s_delay_alu instid0(VALU_DEP_2) | instskip(SKIP_2) | instid1(SALU_CYCLE_1)
	v_add_co_ci_u32_e32 v4, vcc_lo, s7, v4, vcc_lo
	global_store_b64 v[3:4], v[5:6], off
	s_or_b32 exec_lo, exec_lo, s0
	s_mov_b32 s0, exec_lo
	v_cmpx_gt_i32_e64 s10, v0
	s_cbranch_execnz .LBB389_15
	s_branch .LBB389_16
	.section	.rodata,"a",@progbits
	.p2align	6, 0x0
	.amdhsa_kernel _ZN2at6native29vectorized_elementwise_kernelILi2EZZZNS0_21clamp_min_kernel_cudaERNS_18TensorIteratorBaseERKN3c106ScalarEENKUlvE_clEvENKUlvE4_clEvEUldE_St5arrayIPcLm2EEEEviT0_T1_
		.amdhsa_group_segment_fixed_size 0
		.amdhsa_private_segment_fixed_size 0
		.amdhsa_kernarg_size 32
		.amdhsa_user_sgpr_count 15
		.amdhsa_user_sgpr_dispatch_ptr 0
		.amdhsa_user_sgpr_queue_ptr 0
		.amdhsa_user_sgpr_kernarg_segment_ptr 1
		.amdhsa_user_sgpr_dispatch_id 0
		.amdhsa_user_sgpr_private_segment_size 0
		.amdhsa_wavefront_size32 1
		.amdhsa_uses_dynamic_stack 0
		.amdhsa_enable_private_segment 0
		.amdhsa_system_sgpr_workgroup_id_x 1
		.amdhsa_system_sgpr_workgroup_id_y 0
		.amdhsa_system_sgpr_workgroup_id_z 0
		.amdhsa_system_sgpr_workgroup_info 0
		.amdhsa_system_vgpr_workitem_id 0
		.amdhsa_next_free_vgpr 22
		.amdhsa_next_free_sgpr 16
		.amdhsa_reserve_vcc 1
		.amdhsa_float_round_mode_32 0
		.amdhsa_float_round_mode_16_64 0
		.amdhsa_float_denorm_mode_32 3
		.amdhsa_float_denorm_mode_16_64 3
		.amdhsa_dx10_clamp 1
		.amdhsa_ieee_mode 1
		.amdhsa_fp16_overflow 0
		.amdhsa_workgroup_processor_mode 1
		.amdhsa_memory_ordered 1
		.amdhsa_forward_progress 0
		.amdhsa_shared_vgpr_count 0
		.amdhsa_exception_fp_ieee_invalid_op 0
		.amdhsa_exception_fp_denorm_src 0
		.amdhsa_exception_fp_ieee_div_zero 0
		.amdhsa_exception_fp_ieee_overflow 0
		.amdhsa_exception_fp_ieee_underflow 0
		.amdhsa_exception_fp_ieee_inexact 0
		.amdhsa_exception_int_div_zero 0
	.end_amdhsa_kernel
	.section	.text._ZN2at6native29vectorized_elementwise_kernelILi2EZZZNS0_21clamp_min_kernel_cudaERNS_18TensorIteratorBaseERKN3c106ScalarEENKUlvE_clEvENKUlvE4_clEvEUldE_St5arrayIPcLm2EEEEviT0_T1_,"axG",@progbits,_ZN2at6native29vectorized_elementwise_kernelILi2EZZZNS0_21clamp_min_kernel_cudaERNS_18TensorIteratorBaseERKN3c106ScalarEENKUlvE_clEvENKUlvE4_clEvEUldE_St5arrayIPcLm2EEEEviT0_T1_,comdat
.Lfunc_end389:
	.size	_ZN2at6native29vectorized_elementwise_kernelILi2EZZZNS0_21clamp_min_kernel_cudaERNS_18TensorIteratorBaseERKN3c106ScalarEENKUlvE_clEvENKUlvE4_clEvEUldE_St5arrayIPcLm2EEEEviT0_T1_, .Lfunc_end389-_ZN2at6native29vectorized_elementwise_kernelILi2EZZZNS0_21clamp_min_kernel_cudaERNS_18TensorIteratorBaseERKN3c106ScalarEENKUlvE_clEvENKUlvE4_clEvEUldE_St5arrayIPcLm2EEEEviT0_T1_
                                        ; -- End function
	.section	.AMDGPU.csdata,"",@progbits
; Kernel info:
; codeLenInByte = 1248
; NumSgprs: 18
; NumVgprs: 22
; ScratchSize: 0
; MemoryBound: 0
; FloatMode: 240
; IeeeMode: 1
; LDSByteSize: 0 bytes/workgroup (compile time only)
; SGPRBlocks: 2
; VGPRBlocks: 2
; NumSGPRsForWavesPerEU: 18
; NumVGPRsForWavesPerEU: 22
; Occupancy: 16
; WaveLimiterHint : 1
; COMPUTE_PGM_RSRC2:SCRATCH_EN: 0
; COMPUTE_PGM_RSRC2:USER_SGPR: 15
; COMPUTE_PGM_RSRC2:TRAP_HANDLER: 0
; COMPUTE_PGM_RSRC2:TGID_X_EN: 1
; COMPUTE_PGM_RSRC2:TGID_Y_EN: 0
; COMPUTE_PGM_RSRC2:TGID_Z_EN: 0
; COMPUTE_PGM_RSRC2:TIDIG_COMP_CNT: 0
	.section	.text._ZN2at6native27unrolled_elementwise_kernelIZZZNS0_21clamp_min_kernel_cudaERNS_18TensorIteratorBaseERKN3c106ScalarEENKUlvE_clEvENKUlvE4_clEvEUldE_St5arrayIPcLm2EELi4E23TrivialOffsetCalculatorILi1EjESF_NS0_6memory15LoadWithoutCastENSG_16StoreWithoutCastEEEviT_T0_T2_T3_T4_T5_,"axG",@progbits,_ZN2at6native27unrolled_elementwise_kernelIZZZNS0_21clamp_min_kernel_cudaERNS_18TensorIteratorBaseERKN3c106ScalarEENKUlvE_clEvENKUlvE4_clEvEUldE_St5arrayIPcLm2EELi4E23TrivialOffsetCalculatorILi1EjESF_NS0_6memory15LoadWithoutCastENSG_16StoreWithoutCastEEEviT_T0_T2_T3_T4_T5_,comdat
	.globl	_ZN2at6native27unrolled_elementwise_kernelIZZZNS0_21clamp_min_kernel_cudaERNS_18TensorIteratorBaseERKN3c106ScalarEENKUlvE_clEvENKUlvE4_clEvEUldE_St5arrayIPcLm2EELi4E23TrivialOffsetCalculatorILi1EjESF_NS0_6memory15LoadWithoutCastENSG_16StoreWithoutCastEEEviT_T0_T2_T3_T4_T5_ ; -- Begin function _ZN2at6native27unrolled_elementwise_kernelIZZZNS0_21clamp_min_kernel_cudaERNS_18TensorIteratorBaseERKN3c106ScalarEENKUlvE_clEvENKUlvE4_clEvEUldE_St5arrayIPcLm2EELi4E23TrivialOffsetCalculatorILi1EjESF_NS0_6memory15LoadWithoutCastENSG_16StoreWithoutCastEEEviT_T0_T2_T3_T4_T5_
	.p2align	8
	.type	_ZN2at6native27unrolled_elementwise_kernelIZZZNS0_21clamp_min_kernel_cudaERNS_18TensorIteratorBaseERKN3c106ScalarEENKUlvE_clEvENKUlvE4_clEvEUldE_St5arrayIPcLm2EELi4E23TrivialOffsetCalculatorILi1EjESF_NS0_6memory15LoadWithoutCastENSG_16StoreWithoutCastEEEviT_T0_T2_T3_T4_T5_,@function
_ZN2at6native27unrolled_elementwise_kernelIZZZNS0_21clamp_min_kernel_cudaERNS_18TensorIteratorBaseERKN3c106ScalarEENKUlvE_clEvENKUlvE4_clEvEUldE_St5arrayIPcLm2EELi4E23TrivialOffsetCalculatorILi1EjESF_NS0_6memory15LoadWithoutCastENSG_16StoreWithoutCastEEEviT_T0_T2_T3_T4_T5_: ; @_ZN2at6native27unrolled_elementwise_kernelIZZZNS0_21clamp_min_kernel_cudaERNS_18TensorIteratorBaseERKN3c106ScalarEENKUlvE_clEvENKUlvE4_clEvEUldE_St5arrayIPcLm2EELi4E23TrivialOffsetCalculatorILi1EjESF_NS0_6memory15LoadWithoutCastENSG_16StoreWithoutCastEEEviT_T0_T2_T3_T4_T5_
; %bb.0:
	s_clause 0x1
	s_load_b32 s2, s[0:1], 0x0
	s_load_b64 s[8:9], s[0:1], 0x18
	v_dual_mov_b32 v3, 0 :: v_dual_mov_b32 v2, v0
	v_mov_b32_e32 v4, 0
	s_lshl_b32 s10, s15, 10
	v_or_b32_e32 v15, 0x100, v0
	v_or_b32_e32 v1, s10, v0
	s_delay_alu instid0(VALU_DEP_3) | instskip(SKIP_2) | instid1(SALU_CYCLE_1)
	v_dual_mov_b32 v6, v4 :: v_dual_mov_b32 v5, v3
	s_waitcnt lgkmcnt(0)
	s_sub_i32 s11, s2, s10
	v_cmp_gt_i32_e32 vcc_lo, s11, v0
	s_and_saveexec_b32 s3, vcc_lo
	s_cbranch_execz .LBB390_2
; %bb.1:
	v_mov_b32_e32 v2, 0
	s_delay_alu instid0(VALU_DEP_1) | instskip(SKIP_1) | instid1(VALU_DEP_2)
	v_lshlrev_b64 v[5:6], 3, v[1:2]
	v_or_b32_e32 v2, 0x100, v0
	v_add_co_u32 v5, s2, s8, v5
	s_delay_alu instid0(VALU_DEP_1)
	v_add_co_ci_u32_e64 v6, s2, s9, v6, s2
	global_load_b64 v[5:6], v[5:6], off
.LBB390_2:
	s_or_b32 exec_lo, exec_lo, s3
	s_load_b128 s[4:7], s[0:1], 0x8
	s_mov_b32 s1, exec_lo
	v_cmpx_gt_i32_e64 s11, v2
	s_cbranch_execz .LBB390_4
; %bb.3:
	v_dual_mov_b32 v4, 0 :: v_dual_add_nc_u32 v3, s10, v2
	v_add_nc_u32_e32 v2, 0x100, v2
	s_delay_alu instid0(VALU_DEP_2) | instskip(NEXT) | instid1(VALU_DEP_1)
	v_lshlrev_b64 v[3:4], 3, v[3:4]
	v_add_co_u32 v3, s0, s8, v3
	s_delay_alu instid0(VALU_DEP_1)
	v_add_co_ci_u32_e64 v4, s0, s9, v4, s0
	global_load_b64 v[3:4], v[3:4], off
.LBB390_4:
	s_or_b32 exec_lo, exec_lo, s1
	v_mov_b32_e32 v7, 0
	v_mov_b32_e32 v8, 0
	s_mov_b32 s1, exec_lo
	s_delay_alu instid0(VALU_DEP_1)
	v_dual_mov_b32 v10, v8 :: v_dual_mov_b32 v9, v7
	v_cmpx_gt_i32_e64 s11, v2
	s_cbranch_execz .LBB390_6
; %bb.5:
	v_dual_mov_b32 v10, 0 :: v_dual_add_nc_u32 v9, s10, v2
	v_add_nc_u32_e32 v2, 0x100, v2
	s_delay_alu instid0(VALU_DEP_2) | instskip(NEXT) | instid1(VALU_DEP_1)
	v_lshlrev_b64 v[9:10], 3, v[9:10]
	v_add_co_u32 v9, s0, s8, v9
	s_delay_alu instid0(VALU_DEP_1)
	v_add_co_ci_u32_e64 v10, s0, s9, v10, s0
	global_load_b64 v[9:10], v[9:10], off
.LBB390_6:
	s_or_b32 exec_lo, exec_lo, s1
	s_delay_alu instid0(SALU_CYCLE_1)
	s_mov_b32 s1, exec_lo
	v_cmpx_gt_i32_e64 s11, v2
	s_cbranch_execz .LBB390_8
; %bb.7:
	v_dual_mov_b32 v8, 0 :: v_dual_add_nc_u32 v7, s10, v2
	s_delay_alu instid0(VALU_DEP_1) | instskip(NEXT) | instid1(VALU_DEP_1)
	v_lshlrev_b64 v[7:8], 3, v[7:8]
	v_add_co_u32 v7, s0, s8, v7
	s_delay_alu instid0(VALU_DEP_1)
	v_add_co_ci_u32_e64 v8, s0, s9, v8, s0
	global_load_b64 v[7:8], v[7:8], off
.LBB390_8:
	s_or_b32 exec_lo, exec_lo, s1
	s_waitcnt lgkmcnt(0)
	v_max_f64 v[11:12], s[4:5], s[4:5]
	s_waitcnt vmcnt(0)
	v_max_f64 v[13:14], v[5:6], v[5:6]
	v_max_f64 v[16:17], v[3:4], v[3:4]
	;; [unrolled: 1-line block ×4, first 2 shown]
	v_cmp_u_f64_e64 s0, v[5:6], v[5:6]
	v_cmp_u_f64_e64 s1, v[3:4], v[3:4]
	;; [unrolled: 1-line block ×4, first 2 shown]
	v_max_f64 v[13:14], v[13:14], v[11:12]
	v_max_f64 v[16:17], v[16:17], v[11:12]
	;; [unrolled: 1-line block ×4, first 2 shown]
	s_delay_alu instid0(VALU_DEP_4)
	v_cndmask_b32_e64 v14, v14, v6, s0
	v_cndmask_b32_e64 v13, v13, v5, s0
	;; [unrolled: 1-line block ×8, first 2 shown]
	s_and_saveexec_b32 s0, vcc_lo
	s_cbranch_execnz .LBB390_13
; %bb.9:
	s_or_b32 exec_lo, exec_lo, s0
	s_delay_alu instid0(SALU_CYCLE_1)
	s_mov_b32 s0, exec_lo
	v_cmpx_gt_i32_e64 s11, v0
	s_cbranch_execnz .LBB390_14
.LBB390_10:
	s_or_b32 exec_lo, exec_lo, s0
	s_delay_alu instid0(SALU_CYCLE_1)
	s_mov_b32 s0, exec_lo
	v_cmpx_gt_i32_e64 s11, v0
	s_cbranch_execnz .LBB390_15
.LBB390_11:
	s_or_b32 exec_lo, exec_lo, s0
	s_delay_alu instid0(SALU_CYCLE_1)
	s_mov_b32 s0, exec_lo
	v_cmpx_gt_i32_e64 s11, v0
	s_cbranch_execnz .LBB390_16
.LBB390_12:
	s_nop 0
	s_sendmsg sendmsg(MSG_DEALLOC_VGPRS)
	s_endpgm
.LBB390_13:
	v_mov_b32_e32 v2, 0
	s_delay_alu instid0(VALU_DEP_1) | instskip(NEXT) | instid1(VALU_DEP_1)
	v_lshlrev_b64 v[0:1], 3, v[1:2]
	v_add_co_u32 v7, vcc_lo, s6, v0
	s_delay_alu instid0(VALU_DEP_2) | instskip(SKIP_3) | instid1(SALU_CYCLE_1)
	v_add_co_ci_u32_e32 v8, vcc_lo, s7, v1, vcc_lo
	v_mov_b32_e32 v0, v15
	global_store_b64 v[7:8], v[13:14], off
	s_or_b32 exec_lo, exec_lo, s0
	s_mov_b32 s0, exec_lo
	v_cmpx_gt_i32_e64 s11, v0
	s_cbranch_execz .LBB390_10
.LBB390_14:
	v_dual_mov_b32 v2, 0 :: v_dual_add_nc_u32 v1, s10, v0
	v_add_nc_u32_e32 v0, 0x100, v0
	s_delay_alu instid0(VALU_DEP_2) | instskip(NEXT) | instid1(VALU_DEP_1)
	v_lshlrev_b64 v[1:2], 3, v[1:2]
	v_add_co_u32 v1, vcc_lo, s6, v1
	s_delay_alu instid0(VALU_DEP_2) | instskip(SKIP_2) | instid1(SALU_CYCLE_1)
	v_add_co_ci_u32_e32 v2, vcc_lo, s7, v2, vcc_lo
	global_store_b64 v[1:2], v[11:12], off
	s_or_b32 exec_lo, exec_lo, s0
	s_mov_b32 s0, exec_lo
	v_cmpx_gt_i32_e64 s11, v0
	s_cbranch_execz .LBB390_11
.LBB390_15:
	v_dual_mov_b32 v2, 0 :: v_dual_add_nc_u32 v1, s10, v0
	v_add_nc_u32_e32 v0, 0x100, v0
	s_delay_alu instid0(VALU_DEP_2) | instskip(NEXT) | instid1(VALU_DEP_1)
	v_lshlrev_b64 v[1:2], 3, v[1:2]
	v_add_co_u32 v1, vcc_lo, s6, v1
	s_delay_alu instid0(VALU_DEP_2) | instskip(SKIP_2) | instid1(SALU_CYCLE_1)
	v_add_co_ci_u32_e32 v2, vcc_lo, s7, v2, vcc_lo
	global_store_b64 v[1:2], v[5:6], off
	s_or_b32 exec_lo, exec_lo, s0
	s_mov_b32 s0, exec_lo
	v_cmpx_gt_i32_e64 s11, v0
	s_cbranch_execz .LBB390_12
.LBB390_16:
	v_dual_mov_b32 v1, 0 :: v_dual_add_nc_u32 v0, s10, v0
	s_delay_alu instid0(VALU_DEP_1) | instskip(NEXT) | instid1(VALU_DEP_1)
	v_lshlrev_b64 v[0:1], 3, v[0:1]
	v_add_co_u32 v0, vcc_lo, s6, v0
	s_delay_alu instid0(VALU_DEP_2)
	v_add_co_ci_u32_e32 v1, vcc_lo, s7, v1, vcc_lo
	global_store_b64 v[0:1], v[3:4], off
	s_nop 0
	s_sendmsg sendmsg(MSG_DEALLOC_VGPRS)
	s_endpgm
	.section	.rodata,"a",@progbits
	.p2align	6, 0x0
	.amdhsa_kernel _ZN2at6native27unrolled_elementwise_kernelIZZZNS0_21clamp_min_kernel_cudaERNS_18TensorIteratorBaseERKN3c106ScalarEENKUlvE_clEvENKUlvE4_clEvEUldE_St5arrayIPcLm2EELi4E23TrivialOffsetCalculatorILi1EjESF_NS0_6memory15LoadWithoutCastENSG_16StoreWithoutCastEEEviT_T0_T2_T3_T4_T5_
		.amdhsa_group_segment_fixed_size 0
		.amdhsa_private_segment_fixed_size 0
		.amdhsa_kernarg_size 36
		.amdhsa_user_sgpr_count 15
		.amdhsa_user_sgpr_dispatch_ptr 0
		.amdhsa_user_sgpr_queue_ptr 0
		.amdhsa_user_sgpr_kernarg_segment_ptr 1
		.amdhsa_user_sgpr_dispatch_id 0
		.amdhsa_user_sgpr_private_segment_size 0
		.amdhsa_wavefront_size32 1
		.amdhsa_uses_dynamic_stack 0
		.amdhsa_enable_private_segment 0
		.amdhsa_system_sgpr_workgroup_id_x 1
		.amdhsa_system_sgpr_workgroup_id_y 0
		.amdhsa_system_sgpr_workgroup_id_z 0
		.amdhsa_system_sgpr_workgroup_info 0
		.amdhsa_system_vgpr_workitem_id 0
		.amdhsa_next_free_vgpr 22
		.amdhsa_next_free_sgpr 16
		.amdhsa_reserve_vcc 1
		.amdhsa_float_round_mode_32 0
		.amdhsa_float_round_mode_16_64 0
		.amdhsa_float_denorm_mode_32 3
		.amdhsa_float_denorm_mode_16_64 3
		.amdhsa_dx10_clamp 1
		.amdhsa_ieee_mode 1
		.amdhsa_fp16_overflow 0
		.amdhsa_workgroup_processor_mode 1
		.amdhsa_memory_ordered 1
		.amdhsa_forward_progress 0
		.amdhsa_shared_vgpr_count 0
		.amdhsa_exception_fp_ieee_invalid_op 0
		.amdhsa_exception_fp_denorm_src 0
		.amdhsa_exception_fp_ieee_div_zero 0
		.amdhsa_exception_fp_ieee_overflow 0
		.amdhsa_exception_fp_ieee_underflow 0
		.amdhsa_exception_fp_ieee_inexact 0
		.amdhsa_exception_int_div_zero 0
	.end_amdhsa_kernel
	.section	.text._ZN2at6native27unrolled_elementwise_kernelIZZZNS0_21clamp_min_kernel_cudaERNS_18TensorIteratorBaseERKN3c106ScalarEENKUlvE_clEvENKUlvE4_clEvEUldE_St5arrayIPcLm2EELi4E23TrivialOffsetCalculatorILi1EjESF_NS0_6memory15LoadWithoutCastENSG_16StoreWithoutCastEEEviT_T0_T2_T3_T4_T5_,"axG",@progbits,_ZN2at6native27unrolled_elementwise_kernelIZZZNS0_21clamp_min_kernel_cudaERNS_18TensorIteratorBaseERKN3c106ScalarEENKUlvE_clEvENKUlvE4_clEvEUldE_St5arrayIPcLm2EELi4E23TrivialOffsetCalculatorILi1EjESF_NS0_6memory15LoadWithoutCastENSG_16StoreWithoutCastEEEviT_T0_T2_T3_T4_T5_,comdat
.Lfunc_end390:
	.size	_ZN2at6native27unrolled_elementwise_kernelIZZZNS0_21clamp_min_kernel_cudaERNS_18TensorIteratorBaseERKN3c106ScalarEENKUlvE_clEvENKUlvE4_clEvEUldE_St5arrayIPcLm2EELi4E23TrivialOffsetCalculatorILi1EjESF_NS0_6memory15LoadWithoutCastENSG_16StoreWithoutCastEEEviT_T0_T2_T3_T4_T5_, .Lfunc_end390-_ZN2at6native27unrolled_elementwise_kernelIZZZNS0_21clamp_min_kernel_cudaERNS_18TensorIteratorBaseERKN3c106ScalarEENKUlvE_clEvENKUlvE4_clEvEUldE_St5arrayIPcLm2EELi4E23TrivialOffsetCalculatorILi1EjESF_NS0_6memory15LoadWithoutCastENSG_16StoreWithoutCastEEEviT_T0_T2_T3_T4_T5_
                                        ; -- End function
	.section	.AMDGPU.csdata,"",@progbits
; Kernel info:
; codeLenInByte = 924
; NumSgprs: 18
; NumVgprs: 22
; ScratchSize: 0
; MemoryBound: 0
; FloatMode: 240
; IeeeMode: 1
; LDSByteSize: 0 bytes/workgroup (compile time only)
; SGPRBlocks: 2
; VGPRBlocks: 2
; NumSGPRsForWavesPerEU: 18
; NumVGPRsForWavesPerEU: 22
; Occupancy: 16
; WaveLimiterHint : 0
; COMPUTE_PGM_RSRC2:SCRATCH_EN: 0
; COMPUTE_PGM_RSRC2:USER_SGPR: 15
; COMPUTE_PGM_RSRC2:TRAP_HANDLER: 0
; COMPUTE_PGM_RSRC2:TGID_X_EN: 1
; COMPUTE_PGM_RSRC2:TGID_Y_EN: 0
; COMPUTE_PGM_RSRC2:TGID_Z_EN: 0
; COMPUTE_PGM_RSRC2:TIDIG_COMP_CNT: 0
	.section	.text._ZN2at6native32elementwise_kernel_manual_unrollILi128ELi4EZNS0_22gpu_kernel_impl_nocastIZZZNS0_21clamp_min_kernel_cudaERNS_18TensorIteratorBaseERKN3c106ScalarEENKUlvE_clEvENKUlvE4_clEvEUldE_EEvS4_RKT_EUlibE_EEviT1_,"axG",@progbits,_ZN2at6native32elementwise_kernel_manual_unrollILi128ELi4EZNS0_22gpu_kernel_impl_nocastIZZZNS0_21clamp_min_kernel_cudaERNS_18TensorIteratorBaseERKN3c106ScalarEENKUlvE_clEvENKUlvE4_clEvEUldE_EEvS4_RKT_EUlibE_EEviT1_,comdat
	.globl	_ZN2at6native32elementwise_kernel_manual_unrollILi128ELi4EZNS0_22gpu_kernel_impl_nocastIZZZNS0_21clamp_min_kernel_cudaERNS_18TensorIteratorBaseERKN3c106ScalarEENKUlvE_clEvENKUlvE4_clEvEUldE_EEvS4_RKT_EUlibE_EEviT1_ ; -- Begin function _ZN2at6native32elementwise_kernel_manual_unrollILi128ELi4EZNS0_22gpu_kernel_impl_nocastIZZZNS0_21clamp_min_kernel_cudaERNS_18TensorIteratorBaseERKN3c106ScalarEENKUlvE_clEvENKUlvE4_clEvEUldE_EEvS4_RKT_EUlibE_EEviT1_
	.p2align	8
	.type	_ZN2at6native32elementwise_kernel_manual_unrollILi128ELi4EZNS0_22gpu_kernel_impl_nocastIZZZNS0_21clamp_min_kernel_cudaERNS_18TensorIteratorBaseERKN3c106ScalarEENKUlvE_clEvENKUlvE4_clEvEUldE_EEvS4_RKT_EUlibE_EEviT1_,@function
_ZN2at6native32elementwise_kernel_manual_unrollILi128ELi4EZNS0_22gpu_kernel_impl_nocastIZZZNS0_21clamp_min_kernel_cudaERNS_18TensorIteratorBaseERKN3c106ScalarEENKUlvE_clEvENKUlvE4_clEvEUldE_EEvS4_RKT_EUlibE_EEviT1_: ; @_ZN2at6native32elementwise_kernel_manual_unrollILi128ELi4EZNS0_22gpu_kernel_impl_nocastIZZZNS0_21clamp_min_kernel_cudaERNS_18TensorIteratorBaseERKN3c106ScalarEENKUlvE_clEvENKUlvE4_clEvEUldE_EEvS4_RKT_EUlibE_EEviT1_
; %bb.0:
	s_clause 0x1
	s_load_b32 s24, s[0:1], 0x8
	s_load_b32 s29, s[0:1], 0x0
	v_lshl_or_b32 v4, s15, 9, v0
	s_or_b32 s0, s0, 8
	s_mov_b32 s2, exec_lo
	s_delay_alu instid0(VALU_DEP_1) | instskip(SKIP_2) | instid1(SALU_CYCLE_1)
	v_or_b32_e32 v8, 0x180, v4
	s_waitcnt lgkmcnt(0)
	s_add_i32 s25, s24, -1
	s_cmp_gt_u32 s25, 1
	s_cselect_b32 s26, -1, 0
	v_cmpx_le_i32_e64 s29, v8
	s_xor_b32 s27, exec_lo, s2
	s_cbranch_execz .LBB391_7
; %bb.1:
	s_clause 0x4
	s_load_b128 s[8:11], s[0:1], 0x4
	s_load_b64 s[16:17], s[0:1], 0x14
	s_load_b64 s[2:3], s[0:1], 0x158
	s_load_b128 s[12:15], s[0:1], 0xc4
	s_load_b128 s[4:7], s[0:1], 0x148
	s_cmp_lg_u32 s24, 0
	s_mov_b32 s33, exec_lo
	s_cselect_b32 s31, -1, 0
	s_add_u32 s18, s0, 0xc4
	s_addc_u32 s19, s1, 0
	s_min_u32 s30, s25, 15
	s_cmp_gt_u32 s24, 1
	s_cselect_b32 s28, -1, 0
	v_cmpx_gt_i32_e64 s29, v4
	s_cbranch_execz .LBB391_14
; %bb.2:
	s_and_not1_b32 vcc_lo, exec_lo, s26
	s_cbranch_vccnz .LBB391_21
; %bb.3:
	v_dual_mov_b32 v0, 0 :: v_dual_mov_b32 v1, 0
	s_and_not1_b32 vcc_lo, exec_lo, s31
	s_mov_b32 s34, 0
	s_cbranch_vccnz .LBB391_73
; %bb.4:
	v_mov_b32_e32 v0, 0
	s_add_i32 s36, s30, 1
	s_cmp_eq_u32 s25, 2
	s_mov_b32 s35, 0
	s_cbranch_scc1 .LBB391_69
; %bb.5:
	v_dual_mov_b32 v1, 0 :: v_dual_mov_b32 v0, 0
	v_mov_b32_e32 v2, v4
	s_and_b32 s35, s36, 28
	s_mov_b32 s37, 0
	s_mov_b64 s[20:21], s[18:19]
	s_mov_b64 s[22:23], s[0:1]
.LBB391_6:                              ; =>This Inner Loop Header: Depth=1
	s_clause 0x1
	s_load_b256 s[40:47], s[22:23], 0x4
	s_load_b128 s[56:59], s[22:23], 0x24
	s_load_b256 s[48:55], s[20:21], 0x0
	s_add_u32 s22, s22, 48
	s_addc_u32 s23, s23, 0
	s_add_i32 s37, s37, 4
	s_add_u32 s20, s20, 32
	s_addc_u32 s21, s21, 0
	s_cmp_lg_u32 s35, s37
	s_waitcnt lgkmcnt(0)
	v_mul_hi_u32 v3, s41, v2
	s_delay_alu instid0(VALU_DEP_1) | instskip(NEXT) | instid1(VALU_DEP_1)
	v_add_nc_u32_e32 v3, v2, v3
	v_lshrrev_b32_e32 v3, s42, v3
	s_delay_alu instid0(VALU_DEP_1) | instskip(SKIP_1) | instid1(VALU_DEP_2)
	v_mul_hi_u32 v5, s44, v3
	v_mul_lo_u32 v7, v3, s40
	v_add_nc_u32_e32 v5, v3, v5
	s_delay_alu instid0(VALU_DEP_2) | instskip(NEXT) | instid1(VALU_DEP_2)
	v_sub_nc_u32_e32 v2, v2, v7
	v_lshrrev_b32_e32 v5, s45, v5
	s_delay_alu instid0(VALU_DEP_2) | instskip(SKIP_1) | instid1(VALU_DEP_3)
	v_mul_lo_u32 v7, v2, s48
	v_mul_lo_u32 v9, v2, s49
	v_mul_hi_u32 v6, s47, v5
	s_delay_alu instid0(VALU_DEP_1) | instskip(NEXT) | instid1(VALU_DEP_1)
	v_add_nc_u32_e32 v6, v5, v6
	v_lshrrev_b32_e32 v6, s56, v6
	s_delay_alu instid0(VALU_DEP_1) | instskip(SKIP_1) | instid1(VALU_DEP_2)
	v_mul_hi_u32 v8, s58, v6
	v_mul_lo_u32 v10, v6, s46
	v_add_nc_u32_e32 v2, v6, v8
	v_mul_lo_u32 v8, v5, s43
	s_delay_alu instid0(VALU_DEP_3) | instskip(NEXT) | instid1(VALU_DEP_3)
	v_sub_nc_u32_e32 v5, v5, v10
	v_lshrrev_b32_e32 v2, s59, v2
	s_delay_alu instid0(VALU_DEP_2) | instskip(SKIP_2) | instid1(VALU_DEP_4)
	v_mul_lo_u32 v10, v5, s52
	v_mul_lo_u32 v5, v5, s53
	v_sub_nc_u32_e32 v3, v3, v8
	v_mul_lo_u32 v11, v2, s57
	s_delay_alu instid0(VALU_DEP_2) | instskip(SKIP_1) | instid1(VALU_DEP_3)
	v_mul_lo_u32 v8, v3, s50
	v_mul_lo_u32 v3, v3, s51
	v_sub_nc_u32_e32 v6, v6, v11
	s_delay_alu instid0(VALU_DEP_3) | instskip(NEXT) | instid1(VALU_DEP_2)
	v_add3_u32 v0, v7, v0, v8
	v_mul_lo_u32 v11, v6, s54
	v_mul_lo_u32 v6, v6, s55
	v_add3_u32 v1, v9, v1, v3
	s_delay_alu instid0(VALU_DEP_3) | instskip(NEXT) | instid1(VALU_DEP_2)
	v_add3_u32 v0, v10, v0, v11
	v_add3_u32 v1, v5, v1, v6
	s_cbranch_scc1 .LBB391_6
	s_branch .LBB391_70
.LBB391_7:
	s_and_not1_saveexec_b32 s2, s27
	s_cbranch_execz .LBB391_94
.LBB391_8:
	v_cndmask_b32_e64 v6, 0, 1, s26
	s_and_not1_b32 vcc_lo, exec_lo, s26
	s_cbranch_vccnz .LBB391_20
; %bb.9:
	v_dual_mov_b32 v0, 0 :: v_dual_mov_b32 v1, 0
	s_cmp_lg_u32 s24, 0
	s_mov_b32 s6, 0
	s_cbranch_scc0 .LBB391_26
; %bb.10:
	s_min_u32 s7, s25, 15
	v_mov_b32_e32 v0, 0
	s_add_i32 s7, s7, 1
	s_cmp_eq_u32 s25, 2
	s_mov_b32 s8, 0
	s_cbranch_scc1 .LBB391_23
; %bb.11:
	v_dual_mov_b32 v1, 0 :: v_dual_mov_b32 v0, 0
	v_mov_b32_e32 v2, v4
	s_add_u32 s2, s0, 0xc4
	s_addc_u32 s3, s1, 0
	s_and_b32 s8, s7, 28
	s_mov_b32 s9, 0
	s_mov_b64 s[4:5], s[0:1]
.LBB391_12:                             ; =>This Inner Loop Header: Depth=1
	s_clause 0x1
	s_load_b256 s[12:19], s[4:5], 0x4
	s_load_b128 s[20:23], s[4:5], 0x24
	s_load_b256 s[36:43], s[2:3], 0x0
	s_add_u32 s4, s4, 48
	s_addc_u32 s5, s5, 0
	s_add_i32 s9, s9, 4
	s_add_u32 s2, s2, 32
	s_addc_u32 s3, s3, 0
	s_cmp_lg_u32 s8, s9
	s_waitcnt lgkmcnt(0)
	v_mul_hi_u32 v3, s13, v2
	s_delay_alu instid0(VALU_DEP_1) | instskip(NEXT) | instid1(VALU_DEP_1)
	v_add_nc_u32_e32 v3, v2, v3
	v_lshrrev_b32_e32 v3, s14, v3
	s_delay_alu instid0(VALU_DEP_1) | instskip(SKIP_1) | instid1(VALU_DEP_2)
	v_mul_hi_u32 v5, s16, v3
	v_mul_lo_u32 v9, v3, s12
	v_add_nc_u32_e32 v5, v3, v5
	s_delay_alu instid0(VALU_DEP_2) | instskip(NEXT) | instid1(VALU_DEP_2)
	v_sub_nc_u32_e32 v2, v2, v9
	v_lshrrev_b32_e32 v5, s17, v5
	s_delay_alu instid0(VALU_DEP_2) | instskip(SKIP_1) | instid1(VALU_DEP_3)
	v_mul_lo_u32 v9, v2, s36
	v_mul_lo_u32 v11, v2, s37
	v_mul_hi_u32 v7, s19, v5
	s_delay_alu instid0(VALU_DEP_1) | instskip(NEXT) | instid1(VALU_DEP_1)
	v_add_nc_u32_e32 v7, v5, v7
	v_lshrrev_b32_e32 v7, s20, v7
	s_delay_alu instid0(VALU_DEP_1) | instskip(SKIP_1) | instid1(VALU_DEP_2)
	v_mul_hi_u32 v10, s22, v7
	v_mul_lo_u32 v12, v7, s18
	v_add_nc_u32_e32 v2, v7, v10
	v_mul_lo_u32 v10, v5, s15
	s_delay_alu instid0(VALU_DEP_3) | instskip(NEXT) | instid1(VALU_DEP_3)
	v_sub_nc_u32_e32 v5, v5, v12
	v_lshrrev_b32_e32 v2, s23, v2
	s_delay_alu instid0(VALU_DEP_2) | instskip(SKIP_2) | instid1(VALU_DEP_4)
	v_mul_lo_u32 v12, v5, s40
	v_mul_lo_u32 v5, v5, s41
	v_sub_nc_u32_e32 v3, v3, v10
	v_mul_lo_u32 v13, v2, s21
	s_delay_alu instid0(VALU_DEP_2) | instskip(SKIP_1) | instid1(VALU_DEP_3)
	v_mul_lo_u32 v10, v3, s38
	v_mul_lo_u32 v3, v3, s39
	v_sub_nc_u32_e32 v7, v7, v13
	s_delay_alu instid0(VALU_DEP_3) | instskip(NEXT) | instid1(VALU_DEP_2)
	v_add3_u32 v0, v9, v0, v10
	v_mul_lo_u32 v13, v7, s42
	v_mul_lo_u32 v7, v7, s43
	v_add3_u32 v1, v11, v1, v3
	s_delay_alu instid0(VALU_DEP_3) | instskip(NEXT) | instid1(VALU_DEP_2)
	v_add3_u32 v0, v12, v0, v13
	v_add3_u32 v1, v5, v1, v7
	s_cbranch_scc1 .LBB391_12
; %bb.13:
	s_and_b32 s7, s7, 3
	s_delay_alu instid0(SALU_CYCLE_1)
	s_cmp_eq_u32 s7, 0
	s_cbranch_scc0 .LBB391_24
	s_branch .LBB391_26
.LBB391_14:
	s_or_b32 exec_lo, exec_lo, s33
	s_delay_alu instid0(SALU_CYCLE_1)
	s_mov_b32 s33, exec_lo
	v_cmpx_gt_i32_e64 s29, v4
	s_cbranch_execz .LBB391_77
.LBB391_15:
	s_and_not1_b32 vcc_lo, exec_lo, s26
	s_cbranch_vccnz .LBB391_22
; %bb.16:
	v_dual_mov_b32 v0, 0 :: v_dual_mov_b32 v1, 0
	s_and_not1_b32 vcc_lo, exec_lo, s31
	s_mov_b32 s34, 0
	s_cbranch_vccnz .LBB391_88
; %bb.17:
	v_mov_b32_e32 v0, 0
	s_add_i32 s36, s30, 1
	s_cmp_eq_u32 s25, 2
	s_mov_b32 s35, 0
	s_cbranch_scc1 .LBB391_84
; %bb.18:
	v_dual_mov_b32 v1, 0 :: v_dual_mov_b32 v0, 0
	v_mov_b32_e32 v2, v4
	s_and_b32 s35, s36, 28
	s_mov_b32 s37, 0
	s_mov_b64 s[20:21], s[18:19]
	s_mov_b64 s[22:23], s[0:1]
.LBB391_19:                             ; =>This Inner Loop Header: Depth=1
	s_clause 0x1
	s_load_b256 s[40:47], s[22:23], 0x4
	s_load_b128 s[56:59], s[22:23], 0x24
	s_load_b256 s[48:55], s[20:21], 0x0
	s_add_u32 s22, s22, 48
	s_addc_u32 s23, s23, 0
	s_add_i32 s37, s37, 4
	s_add_u32 s20, s20, 32
	s_addc_u32 s21, s21, 0
	s_cmp_eq_u32 s35, s37
	s_waitcnt lgkmcnt(0)
	v_mul_hi_u32 v3, s41, v2
	s_delay_alu instid0(VALU_DEP_1) | instskip(NEXT) | instid1(VALU_DEP_1)
	v_add_nc_u32_e32 v3, v2, v3
	v_lshrrev_b32_e32 v3, s42, v3
	s_delay_alu instid0(VALU_DEP_1) | instskip(SKIP_1) | instid1(VALU_DEP_2)
	v_mul_hi_u32 v5, s44, v3
	v_mul_lo_u32 v7, v3, s40
	v_add_nc_u32_e32 v5, v3, v5
	s_delay_alu instid0(VALU_DEP_2) | instskip(NEXT) | instid1(VALU_DEP_2)
	v_sub_nc_u32_e32 v2, v2, v7
	v_lshrrev_b32_e32 v5, s45, v5
	s_delay_alu instid0(VALU_DEP_2) | instskip(SKIP_1) | instid1(VALU_DEP_3)
	v_mul_lo_u32 v7, v2, s48
	v_mul_lo_u32 v9, v2, s49
	v_mul_hi_u32 v6, s47, v5
	s_delay_alu instid0(VALU_DEP_1) | instskip(NEXT) | instid1(VALU_DEP_1)
	v_add_nc_u32_e32 v6, v5, v6
	v_lshrrev_b32_e32 v6, s56, v6
	s_delay_alu instid0(VALU_DEP_1) | instskip(SKIP_1) | instid1(VALU_DEP_2)
	v_mul_hi_u32 v8, s58, v6
	v_mul_lo_u32 v10, v6, s46
	v_add_nc_u32_e32 v2, v6, v8
	v_mul_lo_u32 v8, v5, s43
	s_delay_alu instid0(VALU_DEP_3) | instskip(NEXT) | instid1(VALU_DEP_3)
	v_sub_nc_u32_e32 v5, v5, v10
	v_lshrrev_b32_e32 v2, s59, v2
	s_delay_alu instid0(VALU_DEP_2) | instskip(SKIP_2) | instid1(VALU_DEP_4)
	v_mul_lo_u32 v10, v5, s52
	v_mul_lo_u32 v5, v5, s53
	v_sub_nc_u32_e32 v3, v3, v8
	v_mul_lo_u32 v11, v2, s57
	s_delay_alu instid0(VALU_DEP_2) | instskip(SKIP_1) | instid1(VALU_DEP_3)
	v_mul_lo_u32 v8, v3, s50
	v_mul_lo_u32 v3, v3, s51
	v_sub_nc_u32_e32 v6, v6, v11
	s_delay_alu instid0(VALU_DEP_3) | instskip(NEXT) | instid1(VALU_DEP_2)
	v_add3_u32 v0, v7, v0, v8
	v_mul_lo_u32 v11, v6, s54
	v_mul_lo_u32 v6, v6, s55
	v_add3_u32 v1, v9, v1, v3
	s_delay_alu instid0(VALU_DEP_3) | instskip(NEXT) | instid1(VALU_DEP_2)
	v_add3_u32 v0, v10, v0, v11
	v_add3_u32 v1, v5, v1, v6
	s_cbranch_scc0 .LBB391_19
	s_branch .LBB391_85
.LBB391_20:
	s_mov_b32 s6, -1
                                        ; implicit-def: $vgpr0
                                        ; implicit-def: $vgpr1
	s_branch .LBB391_26
.LBB391_21:
	s_mov_b32 s34, -1
                                        ; implicit-def: $vgpr0
                                        ; implicit-def: $vgpr1
	s_branch .LBB391_73
.LBB391_22:
	s_mov_b32 s34, -1
                                        ; implicit-def: $vgpr0
                                        ; implicit-def: $vgpr1
	s_branch .LBB391_88
.LBB391_23:
	v_dual_mov_b32 v2, v4 :: v_dual_mov_b32 v1, 0
	s_and_b32 s7, s7, 3
	s_delay_alu instid0(SALU_CYCLE_1)
	s_cmp_eq_u32 s7, 0
	s_cbranch_scc1 .LBB391_26
.LBB391_24:
	s_lshl_b32 s2, s8, 3
	s_mul_i32 s4, s8, 12
	s_add_u32 s2, s2, s0
	s_addc_u32 s3, 0, s1
	s_add_u32 s2, s2, 0xc4
	s_addc_u32 s3, s3, 0
	;; [unrolled: 2-line block ×3, first 2 shown]
	.p2align	6
.LBB391_25:                             ; =>This Inner Loop Header: Depth=1
	s_clause 0x1
	s_load_b64 s[8:9], s[4:5], 0x4
	s_load_b32 s12, s[4:5], 0xc
	s_load_b64 s[10:11], s[2:3], 0x0
	s_add_u32 s4, s4, 12
	s_addc_u32 s5, s5, 0
	s_add_u32 s2, s2, 8
	s_addc_u32 s3, s3, 0
	s_add_i32 s7, s7, -1
	s_delay_alu instid0(SALU_CYCLE_1) | instskip(SKIP_2) | instid1(VALU_DEP_1)
	s_cmp_lg_u32 s7, 0
	s_waitcnt lgkmcnt(0)
	v_mul_hi_u32 v3, s9, v2
	v_add_nc_u32_e32 v3, v2, v3
	s_delay_alu instid0(VALU_DEP_1) | instskip(NEXT) | instid1(VALU_DEP_1)
	v_lshrrev_b32_e32 v3, s12, v3
	v_mul_lo_u32 v5, v3, s8
	s_delay_alu instid0(VALU_DEP_1) | instskip(NEXT) | instid1(VALU_DEP_1)
	v_sub_nc_u32_e32 v2, v2, v5
	v_mad_u64_u32 v[9:10], null, v2, s10, v[0:1]
	v_mad_u64_u32 v[10:11], null, v2, s11, v[1:2]
	v_mov_b32_e32 v2, v3
	s_delay_alu instid0(VALU_DEP_2)
	v_dual_mov_b32 v0, v9 :: v_dual_mov_b32 v1, v10
	s_cbranch_scc1 .LBB391_25
.LBB391_26:
	s_and_not1_b32 vcc_lo, exec_lo, s6
	s_cbranch_vccnz .LBB391_29
; %bb.27:
	s_clause 0x1
	s_load_b128 s[4:7], s[0:1], 0x4
	s_load_b64 s[2:3], s[0:1], 0xc4
	s_cmp_lt_u32 s24, 2
	s_waitcnt lgkmcnt(0)
	v_mul_hi_u32 v0, s5, v4
	s_delay_alu instid0(VALU_DEP_1) | instskip(NEXT) | instid1(VALU_DEP_1)
	v_add_nc_u32_e32 v0, v4, v0
	v_lshrrev_b32_e32 v2, s6, v0
	s_delay_alu instid0(VALU_DEP_1) | instskip(NEXT) | instid1(VALU_DEP_1)
	v_mul_lo_u32 v0, v2, s4
	v_sub_nc_u32_e32 v1, v4, v0
	s_delay_alu instid0(VALU_DEP_1)
	v_mul_lo_u32 v0, v1, s2
	v_mul_lo_u32 v1, v1, s3
	s_cbranch_scc1 .LBB391_29
; %bb.28:
	s_clause 0x1
	s_load_b128 s[4:7], s[0:1], 0x10
	s_load_b64 s[2:3], s[0:1], 0xcc
	s_waitcnt lgkmcnt(0)
	v_mul_hi_u32 v3, s5, v2
	s_delay_alu instid0(VALU_DEP_1) | instskip(NEXT) | instid1(VALU_DEP_1)
	v_add_nc_u32_e32 v3, v2, v3
	v_lshrrev_b32_e32 v3, s6, v3
	s_delay_alu instid0(VALU_DEP_1) | instskip(NEXT) | instid1(VALU_DEP_1)
	v_mul_lo_u32 v3, v3, s4
	v_sub_nc_u32_e32 v5, v2, v3
	s_delay_alu instid0(VALU_DEP_1) | instskip(NEXT) | instid1(VALU_DEP_1)
	v_mad_u64_u32 v[2:3], null, v5, s2, v[0:1]
	v_mad_u64_u32 v[9:10], null, v5, s3, v[1:2]
	s_delay_alu instid0(VALU_DEP_1)
	v_dual_mov_b32 v0, v2 :: v_dual_mov_b32 v1, v9
.LBB391_29:
	v_cmp_ne_u32_e32 vcc_lo, 1, v6
	v_add_nc_u32_e32 v5, 0x80, v4
	s_cbranch_vccnz .LBB391_35
; %bb.30:
	v_dual_mov_b32 v2, 0 :: v_dual_mov_b32 v3, 0
	s_cmp_lg_u32 s24, 0
	s_mov_b32 s6, 0
	s_cbranch_scc0 .LBB391_39
; %bb.31:
	s_min_u32 s7, s25, 15
	v_mov_b32_e32 v2, 0
	s_add_i32 s7, s7, 1
	s_cmp_eq_u32 s25, 2
	s_mov_b32 s8, 0
	s_cbranch_scc1 .LBB391_36
; %bb.32:
	v_dual_mov_b32 v3, 0 :: v_dual_mov_b32 v2, 0
	v_mov_b32_e32 v7, v5
	s_add_u32 s2, s0, 0xc4
	s_addc_u32 s3, s1, 0
	s_and_b32 s8, s7, 28
	s_mov_b32 s9, 0
	s_mov_b64 s[4:5], s[0:1]
.LBB391_33:                             ; =>This Inner Loop Header: Depth=1
	s_clause 0x1
	s_load_b256 s[12:19], s[4:5], 0x4
	s_load_b128 s[20:23], s[4:5], 0x24
	s_load_b256 s[36:43], s[2:3], 0x0
	s_add_u32 s4, s4, 48
	s_addc_u32 s5, s5, 0
	s_add_i32 s9, s9, 4
	s_add_u32 s2, s2, 32
	s_addc_u32 s3, s3, 0
	s_cmp_lg_u32 s8, s9
	s_waitcnt lgkmcnt(0)
	v_mul_hi_u32 v9, s13, v7
	s_delay_alu instid0(VALU_DEP_1) | instskip(NEXT) | instid1(VALU_DEP_1)
	v_add_nc_u32_e32 v9, v7, v9
	v_lshrrev_b32_e32 v9, s14, v9
	s_delay_alu instid0(VALU_DEP_1) | instskip(SKIP_1) | instid1(VALU_DEP_2)
	v_mul_hi_u32 v10, s16, v9
	v_mul_lo_u32 v12, v9, s12
	v_add_nc_u32_e32 v10, v9, v10
	s_delay_alu instid0(VALU_DEP_2) | instskip(NEXT) | instid1(VALU_DEP_2)
	v_sub_nc_u32_e32 v7, v7, v12
	v_lshrrev_b32_e32 v10, s17, v10
	s_delay_alu instid0(VALU_DEP_2) | instskip(SKIP_1) | instid1(VALU_DEP_3)
	v_mul_lo_u32 v12, v7, s36
	v_mul_lo_u32 v14, v7, s37
	v_mul_hi_u32 v11, s19, v10
	s_delay_alu instid0(VALU_DEP_1) | instskip(NEXT) | instid1(VALU_DEP_1)
	v_add_nc_u32_e32 v11, v10, v11
	v_lshrrev_b32_e32 v11, s20, v11
	s_delay_alu instid0(VALU_DEP_1) | instskip(SKIP_1) | instid1(VALU_DEP_2)
	v_mul_hi_u32 v13, s22, v11
	v_mul_lo_u32 v15, v11, s18
	v_add_nc_u32_e32 v7, v11, v13
	v_mul_lo_u32 v13, v10, s15
	s_delay_alu instid0(VALU_DEP_3) | instskip(NEXT) | instid1(VALU_DEP_3)
	v_sub_nc_u32_e32 v10, v10, v15
	v_lshrrev_b32_e32 v7, s23, v7
	s_delay_alu instid0(VALU_DEP_2) | instskip(SKIP_2) | instid1(VALU_DEP_4)
	v_mul_lo_u32 v15, v10, s40
	v_mul_lo_u32 v10, v10, s41
	v_sub_nc_u32_e32 v9, v9, v13
	v_mul_lo_u32 v16, v7, s21
	s_delay_alu instid0(VALU_DEP_2) | instskip(SKIP_1) | instid1(VALU_DEP_3)
	v_mul_lo_u32 v13, v9, s38
	v_mul_lo_u32 v9, v9, s39
	v_sub_nc_u32_e32 v11, v11, v16
	s_delay_alu instid0(VALU_DEP_3) | instskip(NEXT) | instid1(VALU_DEP_2)
	v_add3_u32 v2, v12, v2, v13
	v_mul_lo_u32 v16, v11, s42
	v_mul_lo_u32 v11, v11, s43
	v_add3_u32 v3, v14, v3, v9
	s_delay_alu instid0(VALU_DEP_3) | instskip(NEXT) | instid1(VALU_DEP_2)
	v_add3_u32 v2, v15, v2, v16
	v_add3_u32 v3, v10, v3, v11
	s_cbranch_scc1 .LBB391_33
; %bb.34:
	s_and_b32 s7, s7, 3
	s_delay_alu instid0(SALU_CYCLE_1)
	s_cmp_eq_u32 s7, 0
	s_cbranch_scc0 .LBB391_37
	s_branch .LBB391_39
.LBB391_35:
	s_mov_b32 s6, -1
                                        ; implicit-def: $vgpr2
                                        ; implicit-def: $vgpr3
	s_branch .LBB391_39
.LBB391_36:
	v_mov_b32_e32 v7, v5
	v_mov_b32_e32 v3, 0
	s_and_b32 s7, s7, 3
	s_delay_alu instid0(SALU_CYCLE_1)
	s_cmp_eq_u32 s7, 0
	s_cbranch_scc1 .LBB391_39
.LBB391_37:
	s_lshl_b32 s2, s8, 3
	s_mul_i32 s4, s8, 12
	s_add_u32 s2, s2, s0
	s_addc_u32 s3, 0, s1
	s_add_u32 s2, s2, 0xc4
	s_addc_u32 s3, s3, 0
	s_add_u32 s4, s0, s4
	s_addc_u32 s5, 0, s1
	.p2align	6
.LBB391_38:                             ; =>This Inner Loop Header: Depth=1
	s_clause 0x1
	s_load_b64 s[8:9], s[4:5], 0x4
	s_load_b32 s12, s[4:5], 0xc
	s_load_b64 s[10:11], s[2:3], 0x0
	s_add_u32 s4, s4, 12
	s_addc_u32 s5, s5, 0
	s_add_u32 s2, s2, 8
	s_addc_u32 s3, s3, 0
	s_add_i32 s7, s7, -1
	s_delay_alu instid0(SALU_CYCLE_1) | instskip(SKIP_2) | instid1(VALU_DEP_1)
	s_cmp_lg_u32 s7, 0
	s_waitcnt lgkmcnt(0)
	v_mul_hi_u32 v9, s9, v7
	v_add_nc_u32_e32 v9, v7, v9
	s_delay_alu instid0(VALU_DEP_1) | instskip(NEXT) | instid1(VALU_DEP_1)
	v_lshrrev_b32_e32 v12, s12, v9
	v_mul_lo_u32 v9, v12, s8
	s_delay_alu instid0(VALU_DEP_1) | instskip(NEXT) | instid1(VALU_DEP_1)
	v_sub_nc_u32_e32 v7, v7, v9
	v_mad_u64_u32 v[9:10], null, v7, s10, v[2:3]
	v_mad_u64_u32 v[10:11], null, v7, s11, v[3:4]
	s_delay_alu instid0(VALU_DEP_2) | instskip(NEXT) | instid1(VALU_DEP_2)
	v_dual_mov_b32 v7, v12 :: v_dual_mov_b32 v2, v9
	v_mov_b32_e32 v3, v10
	s_cbranch_scc1 .LBB391_38
.LBB391_39:
	s_and_not1_b32 vcc_lo, exec_lo, s6
	s_cbranch_vccnz .LBB391_42
; %bb.40:
	s_clause 0x1
	s_load_b128 s[4:7], s[0:1], 0x4
	s_load_b64 s[2:3], s[0:1], 0xc4
	s_cmp_lt_u32 s24, 2
	s_waitcnt lgkmcnt(0)
	v_mul_hi_u32 v2, s5, v5
	s_delay_alu instid0(VALU_DEP_1) | instskip(NEXT) | instid1(VALU_DEP_1)
	v_add_nc_u32_e32 v2, v5, v2
	v_lshrrev_b32_e32 v7, s6, v2
	s_delay_alu instid0(VALU_DEP_1) | instskip(NEXT) | instid1(VALU_DEP_1)
	v_mul_lo_u32 v2, v7, s4
	v_sub_nc_u32_e32 v3, v5, v2
	s_delay_alu instid0(VALU_DEP_1)
	v_mul_lo_u32 v2, v3, s2
	v_mul_lo_u32 v3, v3, s3
	s_cbranch_scc1 .LBB391_42
; %bb.41:
	s_clause 0x1
	s_load_b128 s[4:7], s[0:1], 0x10
	s_load_b64 s[2:3], s[0:1], 0xcc
	s_waitcnt lgkmcnt(0)
	v_mul_hi_u32 v5, s5, v7
	s_delay_alu instid0(VALU_DEP_1) | instskip(NEXT) | instid1(VALU_DEP_1)
	v_add_nc_u32_e32 v5, v7, v5
	v_lshrrev_b32_e32 v5, s6, v5
	s_delay_alu instid0(VALU_DEP_1) | instskip(NEXT) | instid1(VALU_DEP_1)
	v_mul_lo_u32 v5, v5, s4
	v_sub_nc_u32_e32 v5, v7, v5
	s_delay_alu instid0(VALU_DEP_1) | instskip(SKIP_1) | instid1(VALU_DEP_1)
	v_mad_u64_u32 v[9:10], null, v5, s2, v[2:3]
	v_mad_u64_u32 v[10:11], null, v5, s3, v[3:4]
	v_dual_mov_b32 v2, v9 :: v_dual_mov_b32 v3, v10
.LBB391_42:
	v_cmp_ne_u32_e32 vcc_lo, 1, v6
	v_add_nc_u32_e32 v7, 0x100, v4
	s_cbranch_vccnz .LBB391_48
; %bb.43:
	v_dual_mov_b32 v4, 0 :: v_dual_mov_b32 v5, 0
	s_cmp_lg_u32 s24, 0
	s_mov_b32 s6, 0
	s_cbranch_scc0 .LBB391_52
; %bb.44:
	s_min_u32 s7, s25, 15
	v_mov_b32_e32 v4, 0
	s_add_i32 s7, s7, 1
	s_cmp_eq_u32 s25, 2
	s_mov_b32 s8, 0
	s_cbranch_scc1 .LBB391_49
; %bb.45:
	v_dual_mov_b32 v5, 0 :: v_dual_mov_b32 v4, 0
	v_mov_b32_e32 v9, v7
	s_add_u32 s2, s0, 0xc4
	s_addc_u32 s3, s1, 0
	s_and_b32 s8, s7, 28
	s_mov_b32 s9, 0
	s_mov_b64 s[4:5], s[0:1]
.LBB391_46:                             ; =>This Inner Loop Header: Depth=1
	s_clause 0x1
	s_load_b256 s[12:19], s[4:5], 0x4
	s_load_b128 s[20:23], s[4:5], 0x24
	s_load_b256 s[36:43], s[2:3], 0x0
	s_add_u32 s4, s4, 48
	s_addc_u32 s5, s5, 0
	s_add_i32 s9, s9, 4
	s_add_u32 s2, s2, 32
	s_addc_u32 s3, s3, 0
	s_cmp_lg_u32 s8, s9
	s_waitcnt lgkmcnt(0)
	v_mul_hi_u32 v10, s13, v9
	s_delay_alu instid0(VALU_DEP_1) | instskip(NEXT) | instid1(VALU_DEP_1)
	v_add_nc_u32_e32 v10, v9, v10
	v_lshrrev_b32_e32 v10, s14, v10
	s_delay_alu instid0(VALU_DEP_1) | instskip(SKIP_1) | instid1(VALU_DEP_2)
	v_mul_hi_u32 v11, s16, v10
	v_mul_lo_u32 v13, v10, s12
	v_add_nc_u32_e32 v11, v10, v11
	s_delay_alu instid0(VALU_DEP_2) | instskip(NEXT) | instid1(VALU_DEP_2)
	v_sub_nc_u32_e32 v9, v9, v13
	v_lshrrev_b32_e32 v11, s17, v11
	s_delay_alu instid0(VALU_DEP_2) | instskip(SKIP_1) | instid1(VALU_DEP_3)
	v_mul_lo_u32 v13, v9, s36
	v_mul_lo_u32 v15, v9, s37
	v_mul_hi_u32 v12, s19, v11
	s_delay_alu instid0(VALU_DEP_1) | instskip(NEXT) | instid1(VALU_DEP_1)
	v_add_nc_u32_e32 v12, v11, v12
	v_lshrrev_b32_e32 v12, s20, v12
	s_delay_alu instid0(VALU_DEP_1) | instskip(SKIP_1) | instid1(VALU_DEP_2)
	v_mul_hi_u32 v14, s22, v12
	v_mul_lo_u32 v16, v12, s18
	v_add_nc_u32_e32 v9, v12, v14
	v_mul_lo_u32 v14, v11, s15
	s_delay_alu instid0(VALU_DEP_3) | instskip(NEXT) | instid1(VALU_DEP_3)
	v_sub_nc_u32_e32 v11, v11, v16
	v_lshrrev_b32_e32 v9, s23, v9
	s_delay_alu instid0(VALU_DEP_2) | instskip(SKIP_2) | instid1(VALU_DEP_4)
	v_mul_lo_u32 v16, v11, s40
	v_mul_lo_u32 v11, v11, s41
	v_sub_nc_u32_e32 v10, v10, v14
	v_mul_lo_u32 v17, v9, s21
	s_delay_alu instid0(VALU_DEP_2) | instskip(SKIP_1) | instid1(VALU_DEP_3)
	v_mul_lo_u32 v14, v10, s38
	v_mul_lo_u32 v10, v10, s39
	v_sub_nc_u32_e32 v12, v12, v17
	s_delay_alu instid0(VALU_DEP_3) | instskip(NEXT) | instid1(VALU_DEP_2)
	v_add3_u32 v4, v13, v4, v14
	v_mul_lo_u32 v17, v12, s42
	v_mul_lo_u32 v12, v12, s43
	v_add3_u32 v5, v15, v5, v10
	s_delay_alu instid0(VALU_DEP_3) | instskip(NEXT) | instid1(VALU_DEP_2)
	v_add3_u32 v4, v16, v4, v17
	v_add3_u32 v5, v11, v5, v12
	s_cbranch_scc1 .LBB391_46
; %bb.47:
	s_and_b32 s7, s7, 3
	s_delay_alu instid0(SALU_CYCLE_1)
	s_cmp_eq_u32 s7, 0
	s_cbranch_scc0 .LBB391_50
	s_branch .LBB391_52
.LBB391_48:
	s_mov_b32 s6, -1
                                        ; implicit-def: $vgpr4
                                        ; implicit-def: $vgpr5
	s_branch .LBB391_52
.LBB391_49:
	v_mov_b32_e32 v9, v7
	v_mov_b32_e32 v5, 0
	s_and_b32 s7, s7, 3
	s_delay_alu instid0(SALU_CYCLE_1)
	s_cmp_eq_u32 s7, 0
	s_cbranch_scc1 .LBB391_52
.LBB391_50:
	s_lshl_b32 s2, s8, 3
	s_mul_i32 s4, s8, 12
	s_add_u32 s2, s2, s0
	s_addc_u32 s3, 0, s1
	s_add_u32 s2, s2, 0xc4
	s_addc_u32 s3, s3, 0
	;; [unrolled: 2-line block ×3, first 2 shown]
	.p2align	6
.LBB391_51:                             ; =>This Inner Loop Header: Depth=1
	s_clause 0x1
	s_load_b64 s[8:9], s[4:5], 0x4
	s_load_b32 s12, s[4:5], 0xc
	s_load_b64 s[10:11], s[2:3], 0x0
	s_add_u32 s4, s4, 12
	s_addc_u32 s5, s5, 0
	s_add_u32 s2, s2, 8
	s_addc_u32 s3, s3, 0
	s_add_i32 s7, s7, -1
	s_delay_alu instid0(SALU_CYCLE_1) | instskip(SKIP_2) | instid1(VALU_DEP_1)
	s_cmp_lg_u32 s7, 0
	s_waitcnt lgkmcnt(0)
	v_mul_hi_u32 v10, s9, v9
	v_add_nc_u32_e32 v10, v9, v10
	s_delay_alu instid0(VALU_DEP_1) | instskip(NEXT) | instid1(VALU_DEP_1)
	v_lshrrev_b32_e32 v13, s12, v10
	v_mul_lo_u32 v10, v13, s8
	s_delay_alu instid0(VALU_DEP_1) | instskip(NEXT) | instid1(VALU_DEP_1)
	v_sub_nc_u32_e32 v9, v9, v10
	v_mad_u64_u32 v[10:11], null, v9, s10, v[4:5]
	v_mad_u64_u32 v[11:12], null, v9, s11, v[5:6]
	s_delay_alu instid0(VALU_DEP_2) | instskip(NEXT) | instid1(VALU_DEP_2)
	v_dual_mov_b32 v9, v13 :: v_dual_mov_b32 v4, v10
	v_mov_b32_e32 v5, v11
	s_cbranch_scc1 .LBB391_51
.LBB391_52:
	s_and_not1_b32 vcc_lo, exec_lo, s6
	s_cbranch_vccnz .LBB391_55
; %bb.53:
	s_clause 0x1
	s_load_b128 s[4:7], s[0:1], 0x4
	s_load_b64 s[2:3], s[0:1], 0xc4
	s_cmp_lt_u32 s24, 2
	s_waitcnt lgkmcnt(0)
	v_mul_hi_u32 v4, s5, v7
	s_delay_alu instid0(VALU_DEP_1) | instskip(NEXT) | instid1(VALU_DEP_1)
	v_add_nc_u32_e32 v4, v7, v4
	v_lshrrev_b32_e32 v9, s6, v4
	s_delay_alu instid0(VALU_DEP_1) | instskip(NEXT) | instid1(VALU_DEP_1)
	v_mul_lo_u32 v4, v9, s4
	v_sub_nc_u32_e32 v5, v7, v4
	s_delay_alu instid0(VALU_DEP_1)
	v_mul_lo_u32 v4, v5, s2
	v_mul_lo_u32 v5, v5, s3
	s_cbranch_scc1 .LBB391_55
; %bb.54:
	s_clause 0x1
	s_load_b128 s[4:7], s[0:1], 0x10
	s_load_b64 s[2:3], s[0:1], 0xcc
	s_waitcnt lgkmcnt(0)
	v_mul_hi_u32 v7, s5, v9
	s_delay_alu instid0(VALU_DEP_1) | instskip(NEXT) | instid1(VALU_DEP_1)
	v_add_nc_u32_e32 v7, v9, v7
	v_lshrrev_b32_e32 v7, s6, v7
	s_delay_alu instid0(VALU_DEP_1) | instskip(NEXT) | instid1(VALU_DEP_1)
	v_mul_lo_u32 v7, v7, s4
	v_sub_nc_u32_e32 v7, v9, v7
	s_delay_alu instid0(VALU_DEP_1) | instskip(SKIP_1) | instid1(VALU_DEP_1)
	v_mad_u64_u32 v[9:10], null, v7, s2, v[4:5]
	v_mad_u64_u32 v[10:11], null, v7, s3, v[5:6]
	v_dual_mov_b32 v4, v9 :: v_dual_mov_b32 v5, v10
.LBB391_55:
	v_cmp_ne_u32_e32 vcc_lo, 1, v6
	s_cbranch_vccnz .LBB391_61
; %bb.56:
	v_dual_mov_b32 v6, 0 :: v_dual_mov_b32 v7, 0
	s_cmp_lg_u32 s24, 0
	s_mov_b32 s6, 0
	s_cbranch_scc0 .LBB391_65
; %bb.57:
	s_min_u32 s7, s25, 15
	v_mov_b32_e32 v6, 0
	s_add_i32 s7, s7, 1
	s_cmp_eq_u32 s25, 2
	s_mov_b32 s8, 0
	s_cbranch_scc1 .LBB391_62
; %bb.58:
	v_dual_mov_b32 v7, 0 :: v_dual_mov_b32 v6, 0
	v_mov_b32_e32 v9, v8
	s_add_u32 s2, s0, 0xc4
	s_addc_u32 s3, s1, 0
	s_and_b32 s8, s7, 28
	s_mov_b32 s9, 0
	s_mov_b64 s[4:5], s[0:1]
.LBB391_59:                             ; =>This Inner Loop Header: Depth=1
	s_clause 0x1
	s_load_b256 s[12:19], s[4:5], 0x4
	s_load_b128 s[20:23], s[4:5], 0x24
	s_load_b256 s[36:43], s[2:3], 0x0
	s_add_u32 s4, s4, 48
	s_addc_u32 s5, s5, 0
	s_add_i32 s9, s9, 4
	s_add_u32 s2, s2, 32
	s_addc_u32 s3, s3, 0
	s_cmp_lg_u32 s8, s9
	s_waitcnt lgkmcnt(0)
	v_mul_hi_u32 v10, s13, v9
	s_delay_alu instid0(VALU_DEP_1) | instskip(NEXT) | instid1(VALU_DEP_1)
	v_add_nc_u32_e32 v10, v9, v10
	v_lshrrev_b32_e32 v10, s14, v10
	s_delay_alu instid0(VALU_DEP_1) | instskip(SKIP_1) | instid1(VALU_DEP_2)
	v_mul_hi_u32 v11, s16, v10
	v_mul_lo_u32 v13, v10, s12
	v_add_nc_u32_e32 v11, v10, v11
	s_delay_alu instid0(VALU_DEP_2) | instskip(NEXT) | instid1(VALU_DEP_2)
	v_sub_nc_u32_e32 v9, v9, v13
	v_lshrrev_b32_e32 v11, s17, v11
	s_delay_alu instid0(VALU_DEP_2) | instskip(SKIP_1) | instid1(VALU_DEP_3)
	v_mul_lo_u32 v13, v9, s36
	v_mul_lo_u32 v15, v9, s37
	v_mul_hi_u32 v12, s19, v11
	s_delay_alu instid0(VALU_DEP_1) | instskip(NEXT) | instid1(VALU_DEP_1)
	v_add_nc_u32_e32 v12, v11, v12
	v_lshrrev_b32_e32 v12, s20, v12
	s_delay_alu instid0(VALU_DEP_1) | instskip(SKIP_1) | instid1(VALU_DEP_2)
	v_mul_hi_u32 v14, s22, v12
	v_mul_lo_u32 v16, v12, s18
	v_add_nc_u32_e32 v9, v12, v14
	v_mul_lo_u32 v14, v11, s15
	s_delay_alu instid0(VALU_DEP_3) | instskip(NEXT) | instid1(VALU_DEP_3)
	v_sub_nc_u32_e32 v11, v11, v16
	v_lshrrev_b32_e32 v9, s23, v9
	s_delay_alu instid0(VALU_DEP_2) | instskip(SKIP_2) | instid1(VALU_DEP_4)
	v_mul_lo_u32 v16, v11, s40
	v_mul_lo_u32 v11, v11, s41
	v_sub_nc_u32_e32 v10, v10, v14
	v_mul_lo_u32 v17, v9, s21
	s_delay_alu instid0(VALU_DEP_2) | instskip(SKIP_1) | instid1(VALU_DEP_3)
	v_mul_lo_u32 v14, v10, s38
	v_mul_lo_u32 v10, v10, s39
	v_sub_nc_u32_e32 v12, v12, v17
	s_delay_alu instid0(VALU_DEP_3) | instskip(NEXT) | instid1(VALU_DEP_2)
	v_add3_u32 v6, v13, v6, v14
	v_mul_lo_u32 v17, v12, s42
	v_mul_lo_u32 v12, v12, s43
	v_add3_u32 v7, v15, v7, v10
	s_delay_alu instid0(VALU_DEP_3) | instskip(NEXT) | instid1(VALU_DEP_2)
	v_add3_u32 v6, v16, v6, v17
	v_add3_u32 v7, v11, v7, v12
	s_cbranch_scc1 .LBB391_59
; %bb.60:
	s_and_b32 s7, s7, 3
	s_delay_alu instid0(SALU_CYCLE_1)
	s_cmp_eq_u32 s7, 0
	s_cbranch_scc0 .LBB391_63
	s_branch .LBB391_65
.LBB391_61:
	s_mov_b32 s6, -1
                                        ; implicit-def: $vgpr6
                                        ; implicit-def: $vgpr7
	s_branch .LBB391_65
.LBB391_62:
	v_mov_b32_e32 v9, v8
	v_mov_b32_e32 v7, 0
	s_and_b32 s7, s7, 3
	s_delay_alu instid0(SALU_CYCLE_1)
	s_cmp_eq_u32 s7, 0
	s_cbranch_scc1 .LBB391_65
.LBB391_63:
	s_lshl_b32 s2, s8, 3
	s_mul_i32 s4, s8, 12
	s_add_u32 s2, s2, s0
	s_addc_u32 s3, 0, s1
	s_add_u32 s2, s2, 0xc4
	s_addc_u32 s3, s3, 0
	s_add_u32 s4, s0, s4
	s_addc_u32 s5, 0, s1
	.p2align	6
.LBB391_64:                             ; =>This Inner Loop Header: Depth=1
	s_clause 0x1
	s_load_b64 s[8:9], s[4:5], 0x4
	s_load_b32 s12, s[4:5], 0xc
	s_load_b64 s[10:11], s[2:3], 0x0
	s_add_u32 s4, s4, 12
	s_addc_u32 s5, s5, 0
	s_add_u32 s2, s2, 8
	s_addc_u32 s3, s3, 0
	s_add_i32 s7, s7, -1
	s_delay_alu instid0(SALU_CYCLE_1) | instskip(SKIP_2) | instid1(VALU_DEP_1)
	s_cmp_lg_u32 s7, 0
	s_waitcnt lgkmcnt(0)
	v_mul_hi_u32 v10, s9, v9
	v_add_nc_u32_e32 v10, v9, v10
	s_delay_alu instid0(VALU_DEP_1) | instskip(NEXT) | instid1(VALU_DEP_1)
	v_lshrrev_b32_e32 v13, s12, v10
	v_mul_lo_u32 v10, v13, s8
	s_delay_alu instid0(VALU_DEP_1) | instskip(NEXT) | instid1(VALU_DEP_1)
	v_sub_nc_u32_e32 v9, v9, v10
	v_mad_u64_u32 v[10:11], null, v9, s10, v[6:7]
	v_mad_u64_u32 v[11:12], null, v9, s11, v[7:8]
	s_delay_alu instid0(VALU_DEP_2) | instskip(NEXT) | instid1(VALU_DEP_2)
	v_dual_mov_b32 v9, v13 :: v_dual_mov_b32 v6, v10
	v_mov_b32_e32 v7, v11
	s_cbranch_scc1 .LBB391_64
.LBB391_65:
	s_and_not1_b32 vcc_lo, exec_lo, s6
	s_cbranch_vccnz .LBB391_68
; %bb.66:
	s_clause 0x1
	s_load_b128 s[4:7], s[0:1], 0x4
	s_load_b64 s[2:3], s[0:1], 0xc4
	s_cmp_lt_u32 s24, 2
	s_waitcnt lgkmcnt(0)
	v_mul_hi_u32 v6, s5, v8
	s_delay_alu instid0(VALU_DEP_1) | instskip(NEXT) | instid1(VALU_DEP_1)
	v_add_nc_u32_e32 v6, v8, v6
	v_lshrrev_b32_e32 v9, s6, v6
	s_delay_alu instid0(VALU_DEP_1) | instskip(NEXT) | instid1(VALU_DEP_1)
	v_mul_lo_u32 v6, v9, s4
	v_sub_nc_u32_e32 v7, v8, v6
	s_delay_alu instid0(VALU_DEP_1)
	v_mul_lo_u32 v6, v7, s2
	v_mul_lo_u32 v7, v7, s3
	s_cbranch_scc1 .LBB391_68
; %bb.67:
	s_clause 0x1
	s_load_b128 s[4:7], s[0:1], 0x10
	s_load_b64 s[2:3], s[0:1], 0xcc
	s_waitcnt lgkmcnt(0)
	v_mul_hi_u32 v8, s5, v9
	s_delay_alu instid0(VALU_DEP_1) | instskip(NEXT) | instid1(VALU_DEP_1)
	v_add_nc_u32_e32 v8, v9, v8
	v_lshrrev_b32_e32 v8, s6, v8
	s_delay_alu instid0(VALU_DEP_1) | instskip(NEXT) | instid1(VALU_DEP_1)
	v_mul_lo_u32 v8, v8, s4
	v_sub_nc_u32_e32 v11, v9, v8
	s_delay_alu instid0(VALU_DEP_1) | instskip(NEXT) | instid1(VALU_DEP_1)
	v_mad_u64_u32 v[8:9], null, v11, s2, v[6:7]
	v_mad_u64_u32 v[9:10], null, v11, s3, v[7:8]
	s_delay_alu instid0(VALU_DEP_1)
	v_dual_mov_b32 v6, v8 :: v_dual_mov_b32 v7, v9
.LBB391_68:
	s_clause 0x1
	s_load_b128 s[4:7], s[0:1], 0x148
	s_load_b64 s[0:1], s[0:1], 0x158
	s_waitcnt lgkmcnt(0)
	s_clause 0x3
	global_load_b64 v[8:9], v1, s[6:7]
	global_load_b64 v[10:11], v3, s[6:7]
	;; [unrolled: 1-line block ×4, first 2 shown]
	v_max_f64 v[16:17], s[0:1], s[0:1]
	s_waitcnt vmcnt(3)
	v_max_f64 v[18:19], v[8:9], v[8:9]
	s_waitcnt vmcnt(2)
	;; [unrolled: 2-line block ×4, first 2 shown]
	v_max_f64 v[24:25], v[14:15], v[14:15]
	v_cmp_u_f64_e32 vcc_lo, v[8:9], v[8:9]
	v_cmp_u_f64_e64 s0, v[10:11], v[10:11]
	v_cmp_u_f64_e64 s1, v[12:13], v[12:13]
	;; [unrolled: 1-line block ×3, first 2 shown]
	v_max_f64 v[18:19], v[18:19], v[16:17]
	v_max_f64 v[20:21], v[20:21], v[16:17]
	;; [unrolled: 1-line block ×4, first 2 shown]
	s_delay_alu instid0(VALU_DEP_4) | instskip(NEXT) | instid1(VALU_DEP_4)
	v_dual_cndmask_b32 v9, v19, v9 :: v_dual_cndmask_b32 v8, v18, v8
	v_cndmask_b32_e64 v11, v21, v11, s0
	v_cndmask_b32_e64 v10, v20, v10, s0
	;; [unrolled: 1-line block ×6, first 2 shown]
	s_clause 0x3
	global_store_b64 v0, v[8:9], s[4:5]
	global_store_b64 v2, v[10:11], s[4:5]
	;; [unrolled: 1-line block ×4, first 2 shown]
	s_nop 0
	s_sendmsg sendmsg(MSG_DEALLOC_VGPRS)
	s_endpgm
.LBB391_69:
	v_dual_mov_b32 v2, v4 :: v_dual_mov_b32 v1, 0
.LBB391_70:
	s_and_b32 s36, s36, 3
	s_delay_alu instid0(SALU_CYCLE_1)
	s_cmp_eq_u32 s36, 0
	s_cbranch_scc1 .LBB391_73
; %bb.71:
	s_lshl_b32 s20, s35, 3
	s_mul_i32 s22, s35, 12
	s_add_u32 s20, s20, s0
	s_addc_u32 s21, s1, 0
	s_add_u32 s20, s20, 0xc4
	s_addc_u32 s21, s21, 0
	;; [unrolled: 2-line block ×3, first 2 shown]
	.p2align	6
.LBB391_72:                             ; =>This Inner Loop Header: Depth=1
	s_clause 0x1
	s_load_b64 s[38:39], s[22:23], 0x4
	s_load_b32 s35, s[22:23], 0xc
	s_load_b64 s[40:41], s[20:21], 0x0
	s_add_u32 s22, s22, 12
	s_addc_u32 s23, s23, 0
	s_add_u32 s20, s20, 8
	s_addc_u32 s21, s21, 0
	s_add_i32 s36, s36, -1
	s_delay_alu instid0(SALU_CYCLE_1) | instskip(SKIP_2) | instid1(VALU_DEP_1)
	s_cmp_lg_u32 s36, 0
	s_waitcnt lgkmcnt(0)
	v_mul_hi_u32 v3, s39, v2
	v_add_nc_u32_e32 v3, v2, v3
	s_delay_alu instid0(VALU_DEP_1) | instskip(NEXT) | instid1(VALU_DEP_1)
	v_lshrrev_b32_e32 v3, s35, v3
	v_mul_lo_u32 v5, v3, s38
	s_delay_alu instid0(VALU_DEP_1) | instskip(NEXT) | instid1(VALU_DEP_1)
	v_sub_nc_u32_e32 v2, v2, v5
	v_mad_u64_u32 v[5:6], null, v2, s40, v[0:1]
	v_mad_u64_u32 v[6:7], null, v2, s41, v[1:2]
	v_mov_b32_e32 v2, v3
	s_delay_alu instid0(VALU_DEP_2)
	v_dual_mov_b32 v0, v5 :: v_dual_mov_b32 v1, v6
	s_cbranch_scc1 .LBB391_72
.LBB391_73:
	s_and_not1_b32 vcc_lo, exec_lo, s34
	s_cbranch_vccnz .LBB391_76
; %bb.74:
	s_waitcnt lgkmcnt(0)
	v_mul_hi_u32 v0, s9, v4
	s_and_not1_b32 vcc_lo, exec_lo, s28
	s_delay_alu instid0(VALU_DEP_1) | instskip(NEXT) | instid1(VALU_DEP_1)
	v_add_nc_u32_e32 v0, v4, v0
	v_lshrrev_b32_e32 v2, s10, v0
	s_delay_alu instid0(VALU_DEP_1) | instskip(NEXT) | instid1(VALU_DEP_1)
	v_mul_lo_u32 v0, v2, s8
	v_sub_nc_u32_e32 v1, v4, v0
	s_delay_alu instid0(VALU_DEP_1)
	v_mul_lo_u32 v0, v1, s12
	v_mul_lo_u32 v1, v1, s13
	s_cbranch_vccnz .LBB391_76
; %bb.75:
	v_mul_hi_u32 v3, s16, v2
	s_delay_alu instid0(VALU_DEP_1) | instskip(NEXT) | instid1(VALU_DEP_1)
	v_add_nc_u32_e32 v3, v2, v3
	v_lshrrev_b32_e32 v3, s17, v3
	s_delay_alu instid0(VALU_DEP_1) | instskip(NEXT) | instid1(VALU_DEP_1)
	v_mul_lo_u32 v3, v3, s11
	v_sub_nc_u32_e32 v7, v2, v3
	s_delay_alu instid0(VALU_DEP_1) | instskip(NEXT) | instid1(VALU_DEP_1)
	v_mad_u64_u32 v[2:3], null, v7, s14, v[0:1]
	v_mad_u64_u32 v[5:6], null, v7, s15, v[1:2]
	s_delay_alu instid0(VALU_DEP_1)
	v_dual_mov_b32 v0, v2 :: v_dual_mov_b32 v1, v5
.LBB391_76:
	s_waitcnt lgkmcnt(0)
	global_load_b64 v[1:2], v1, s[6:7]
	v_max_f64 v[5:6], s[2:3], s[2:3]
	v_add_nc_u32_e32 v4, 0x80, v4
	s_waitcnt vmcnt(0)
	v_max_f64 v[7:8], v[1:2], v[1:2]
	v_cmp_u_f64_e32 vcc_lo, v[1:2], v[1:2]
	s_delay_alu instid0(VALU_DEP_2) | instskip(NEXT) | instid1(VALU_DEP_1)
	v_max_f64 v[5:6], v[7:8], v[5:6]
	v_dual_cndmask_b32 v2, v6, v2 :: v_dual_cndmask_b32 v1, v5, v1
	global_store_b64 v0, v[1:2], s[4:5]
	s_or_b32 exec_lo, exec_lo, s33
	s_delay_alu instid0(SALU_CYCLE_1)
	s_mov_b32 s33, exec_lo
	v_cmpx_gt_i32_e64 s29, v4
	s_cbranch_execnz .LBB391_15
.LBB391_77:
	s_or_b32 exec_lo, exec_lo, s33
	s_delay_alu instid0(SALU_CYCLE_1)
	s_mov_b32 s33, exec_lo
	v_cmpx_gt_i32_e64 s29, v4
	s_cbranch_execz .LBB391_92
.LBB391_78:
	s_and_not1_b32 vcc_lo, exec_lo, s26
	s_cbranch_vccnz .LBB391_83
; %bb.79:
	v_dual_mov_b32 v0, 0 :: v_dual_mov_b32 v1, 0
	s_and_not1_b32 vcc_lo, exec_lo, s31
	s_mov_b32 s34, 0
	s_cbranch_vccnz .LBB391_99
; %bb.80:
	v_mov_b32_e32 v0, 0
	s_add_i32 s36, s30, 1
	s_cmp_eq_u32 s25, 2
	s_mov_b32 s35, 0
	s_cbranch_scc1 .LBB391_95
; %bb.81:
	v_dual_mov_b32 v1, 0 :: v_dual_mov_b32 v0, 0
	v_mov_b32_e32 v2, v4
	s_and_b32 s35, s36, 28
	s_mov_b32 s37, 0
	s_mov_b64 s[20:21], s[18:19]
	s_mov_b64 s[22:23], s[0:1]
.LBB391_82:                             ; =>This Inner Loop Header: Depth=1
	s_clause 0x1
	s_load_b256 s[40:47], s[22:23], 0x4
	s_load_b128 s[56:59], s[22:23], 0x24
	s_load_b256 s[48:55], s[20:21], 0x0
	s_add_u32 s22, s22, 48
	s_addc_u32 s23, s23, 0
	s_add_i32 s37, s37, 4
	s_add_u32 s20, s20, 32
	s_addc_u32 s21, s21, 0
	s_cmp_eq_u32 s35, s37
	s_waitcnt lgkmcnt(0)
	v_mul_hi_u32 v3, s41, v2
	s_delay_alu instid0(VALU_DEP_1) | instskip(NEXT) | instid1(VALU_DEP_1)
	v_add_nc_u32_e32 v3, v2, v3
	v_lshrrev_b32_e32 v3, s42, v3
	s_delay_alu instid0(VALU_DEP_1) | instskip(SKIP_1) | instid1(VALU_DEP_2)
	v_mul_hi_u32 v5, s44, v3
	v_mul_lo_u32 v7, v3, s40
	v_add_nc_u32_e32 v5, v3, v5
	s_delay_alu instid0(VALU_DEP_2) | instskip(NEXT) | instid1(VALU_DEP_2)
	v_sub_nc_u32_e32 v2, v2, v7
	v_lshrrev_b32_e32 v5, s45, v5
	s_delay_alu instid0(VALU_DEP_2) | instskip(SKIP_1) | instid1(VALU_DEP_3)
	v_mul_lo_u32 v7, v2, s48
	v_mul_lo_u32 v9, v2, s49
	v_mul_hi_u32 v6, s47, v5
	s_delay_alu instid0(VALU_DEP_1) | instskip(NEXT) | instid1(VALU_DEP_1)
	v_add_nc_u32_e32 v6, v5, v6
	v_lshrrev_b32_e32 v6, s56, v6
	s_delay_alu instid0(VALU_DEP_1) | instskip(SKIP_1) | instid1(VALU_DEP_2)
	v_mul_hi_u32 v8, s58, v6
	v_mul_lo_u32 v10, v6, s46
	v_add_nc_u32_e32 v2, v6, v8
	v_mul_lo_u32 v8, v5, s43
	s_delay_alu instid0(VALU_DEP_3) | instskip(NEXT) | instid1(VALU_DEP_3)
	v_sub_nc_u32_e32 v5, v5, v10
	v_lshrrev_b32_e32 v2, s59, v2
	s_delay_alu instid0(VALU_DEP_2) | instskip(SKIP_2) | instid1(VALU_DEP_4)
	v_mul_lo_u32 v10, v5, s52
	v_mul_lo_u32 v5, v5, s53
	v_sub_nc_u32_e32 v3, v3, v8
	v_mul_lo_u32 v11, v2, s57
	s_delay_alu instid0(VALU_DEP_2) | instskip(SKIP_1) | instid1(VALU_DEP_3)
	v_mul_lo_u32 v8, v3, s50
	v_mul_lo_u32 v3, v3, s51
	v_sub_nc_u32_e32 v6, v6, v11
	s_delay_alu instid0(VALU_DEP_3) | instskip(NEXT) | instid1(VALU_DEP_2)
	v_add3_u32 v0, v7, v0, v8
	v_mul_lo_u32 v11, v6, s54
	v_mul_lo_u32 v6, v6, s55
	v_add3_u32 v1, v9, v1, v3
	s_delay_alu instid0(VALU_DEP_3) | instskip(NEXT) | instid1(VALU_DEP_2)
	v_add3_u32 v0, v10, v0, v11
	v_add3_u32 v1, v5, v1, v6
	s_cbranch_scc0 .LBB391_82
	s_branch .LBB391_96
.LBB391_83:
	s_mov_b32 s34, -1
                                        ; implicit-def: $vgpr0
                                        ; implicit-def: $vgpr1
	s_branch .LBB391_99
.LBB391_84:
	v_dual_mov_b32 v2, v4 :: v_dual_mov_b32 v1, 0
.LBB391_85:
	s_and_b32 s36, s36, 3
	s_delay_alu instid0(SALU_CYCLE_1)
	s_cmp_eq_u32 s36, 0
	s_cbranch_scc1 .LBB391_88
; %bb.86:
	s_lshl_b32 s20, s35, 3
	s_mul_i32 s22, s35, 12
	s_add_u32 s20, s20, s0
	s_addc_u32 s21, s1, 0
	s_add_u32 s20, s20, 0xc4
	s_addc_u32 s21, s21, 0
	;; [unrolled: 2-line block ×3, first 2 shown]
	.p2align	6
.LBB391_87:                             ; =>This Inner Loop Header: Depth=1
	s_clause 0x1
	s_load_b64 s[38:39], s[22:23], 0x4
	s_load_b32 s35, s[22:23], 0xc
	s_load_b64 s[40:41], s[20:21], 0x0
	s_add_u32 s22, s22, 12
	s_addc_u32 s23, s23, 0
	s_add_u32 s20, s20, 8
	s_addc_u32 s21, s21, 0
	s_add_i32 s36, s36, -1
	s_delay_alu instid0(SALU_CYCLE_1) | instskip(SKIP_2) | instid1(VALU_DEP_1)
	s_cmp_lg_u32 s36, 0
	s_waitcnt lgkmcnt(0)
	v_mul_hi_u32 v3, s39, v2
	v_add_nc_u32_e32 v3, v2, v3
	s_delay_alu instid0(VALU_DEP_1) | instskip(NEXT) | instid1(VALU_DEP_1)
	v_lshrrev_b32_e32 v3, s35, v3
	v_mul_lo_u32 v5, v3, s38
	s_delay_alu instid0(VALU_DEP_1) | instskip(NEXT) | instid1(VALU_DEP_1)
	v_sub_nc_u32_e32 v2, v2, v5
	v_mad_u64_u32 v[5:6], null, v2, s40, v[0:1]
	v_mad_u64_u32 v[6:7], null, v2, s41, v[1:2]
	v_mov_b32_e32 v2, v3
	s_delay_alu instid0(VALU_DEP_2)
	v_dual_mov_b32 v0, v5 :: v_dual_mov_b32 v1, v6
	s_cbranch_scc1 .LBB391_87
.LBB391_88:
	s_and_not1_b32 vcc_lo, exec_lo, s34
	s_cbranch_vccnz .LBB391_91
; %bb.89:
	s_waitcnt lgkmcnt(0)
	v_mul_hi_u32 v0, s9, v4
	s_and_not1_b32 vcc_lo, exec_lo, s28
	s_delay_alu instid0(VALU_DEP_1) | instskip(NEXT) | instid1(VALU_DEP_1)
	v_add_nc_u32_e32 v0, v4, v0
	v_lshrrev_b32_e32 v2, s10, v0
	s_delay_alu instid0(VALU_DEP_1) | instskip(NEXT) | instid1(VALU_DEP_1)
	v_mul_lo_u32 v0, v2, s8
	v_sub_nc_u32_e32 v1, v4, v0
	s_delay_alu instid0(VALU_DEP_1)
	v_mul_lo_u32 v0, v1, s12
	v_mul_lo_u32 v1, v1, s13
	s_cbranch_vccnz .LBB391_91
; %bb.90:
	v_mul_hi_u32 v3, s16, v2
	s_delay_alu instid0(VALU_DEP_1) | instskip(NEXT) | instid1(VALU_DEP_1)
	v_add_nc_u32_e32 v3, v2, v3
	v_lshrrev_b32_e32 v3, s17, v3
	s_delay_alu instid0(VALU_DEP_1) | instskip(NEXT) | instid1(VALU_DEP_1)
	v_mul_lo_u32 v3, v3, s11
	v_sub_nc_u32_e32 v7, v2, v3
	s_delay_alu instid0(VALU_DEP_1) | instskip(NEXT) | instid1(VALU_DEP_1)
	v_mad_u64_u32 v[2:3], null, v7, s14, v[0:1]
	v_mad_u64_u32 v[5:6], null, v7, s15, v[1:2]
	s_delay_alu instid0(VALU_DEP_1)
	v_dual_mov_b32 v0, v2 :: v_dual_mov_b32 v1, v5
.LBB391_91:
	s_waitcnt lgkmcnt(0)
	global_load_b64 v[1:2], v1, s[6:7]
	v_max_f64 v[5:6], s[2:3], s[2:3]
	v_add_nc_u32_e32 v4, 0x80, v4
	s_waitcnt vmcnt(0)
	v_max_f64 v[7:8], v[1:2], v[1:2]
	v_cmp_u_f64_e32 vcc_lo, v[1:2], v[1:2]
	s_delay_alu instid0(VALU_DEP_2) | instskip(NEXT) | instid1(VALU_DEP_1)
	v_max_f64 v[5:6], v[7:8], v[5:6]
	v_dual_cndmask_b32 v2, v6, v2 :: v_dual_cndmask_b32 v1, v5, v1
	global_store_b64 v0, v[1:2], s[4:5]
	s_or_b32 exec_lo, exec_lo, s33
	s_delay_alu instid0(SALU_CYCLE_1)
	s_mov_b32 s33, exec_lo
	v_cmpx_gt_i32_e64 s29, v4
	s_cbranch_execnz .LBB391_78
.LBB391_92:
	s_or_b32 exec_lo, exec_lo, s33
	s_delay_alu instid0(SALU_CYCLE_1)
	s_mov_b32 s22, exec_lo
	v_cmpx_gt_i32_e64 s29, v4
	s_cbranch_execnz .LBB391_103
.LBB391_93:
	s_or_b32 exec_lo, exec_lo, s22
                                        ; implicit-def: $vgpr8
                                        ; implicit-def: $vgpr4
	s_waitcnt lgkmcnt(0)
	s_and_not1_saveexec_b32 s2, s27
	s_cbranch_execnz .LBB391_8
.LBB391_94:
	s_nop 0
	s_sendmsg sendmsg(MSG_DEALLOC_VGPRS)
	s_endpgm
.LBB391_95:
	v_dual_mov_b32 v2, v4 :: v_dual_mov_b32 v1, 0
.LBB391_96:
	s_and_b32 s36, s36, 3
	s_delay_alu instid0(SALU_CYCLE_1)
	s_cmp_eq_u32 s36, 0
	s_cbranch_scc1 .LBB391_99
; %bb.97:
	s_lshl_b32 s20, s35, 3
	s_mul_i32 s22, s35, 12
	s_add_u32 s20, s20, s0
	s_addc_u32 s21, s1, 0
	s_add_u32 s20, s20, 0xc4
	s_addc_u32 s21, s21, 0
	;; [unrolled: 2-line block ×3, first 2 shown]
	.p2align	6
.LBB391_98:                             ; =>This Inner Loop Header: Depth=1
	s_clause 0x1
	s_load_b64 s[38:39], s[22:23], 0x4
	s_load_b32 s35, s[22:23], 0xc
	s_load_b64 s[40:41], s[20:21], 0x0
	s_add_u32 s22, s22, 12
	s_addc_u32 s23, s23, 0
	s_add_u32 s20, s20, 8
	s_addc_u32 s21, s21, 0
	s_add_i32 s36, s36, -1
	s_delay_alu instid0(SALU_CYCLE_1) | instskip(SKIP_2) | instid1(VALU_DEP_1)
	s_cmp_lg_u32 s36, 0
	s_waitcnt lgkmcnt(0)
	v_mul_hi_u32 v3, s39, v2
	v_add_nc_u32_e32 v3, v2, v3
	s_delay_alu instid0(VALU_DEP_1) | instskip(NEXT) | instid1(VALU_DEP_1)
	v_lshrrev_b32_e32 v3, s35, v3
	v_mul_lo_u32 v5, v3, s38
	s_delay_alu instid0(VALU_DEP_1) | instskip(NEXT) | instid1(VALU_DEP_1)
	v_sub_nc_u32_e32 v2, v2, v5
	v_mad_u64_u32 v[5:6], null, v2, s40, v[0:1]
	v_mad_u64_u32 v[6:7], null, v2, s41, v[1:2]
	v_mov_b32_e32 v2, v3
	s_delay_alu instid0(VALU_DEP_2)
	v_dual_mov_b32 v0, v5 :: v_dual_mov_b32 v1, v6
	s_cbranch_scc1 .LBB391_98
.LBB391_99:
	s_and_not1_b32 vcc_lo, exec_lo, s34
	s_cbranch_vccnz .LBB391_102
; %bb.100:
	s_waitcnt lgkmcnt(0)
	v_mul_hi_u32 v0, s9, v4
	s_and_not1_b32 vcc_lo, exec_lo, s28
	s_delay_alu instid0(VALU_DEP_1) | instskip(NEXT) | instid1(VALU_DEP_1)
	v_add_nc_u32_e32 v0, v4, v0
	v_lshrrev_b32_e32 v2, s10, v0
	s_delay_alu instid0(VALU_DEP_1) | instskip(NEXT) | instid1(VALU_DEP_1)
	v_mul_lo_u32 v0, v2, s8
	v_sub_nc_u32_e32 v1, v4, v0
	s_delay_alu instid0(VALU_DEP_1)
	v_mul_lo_u32 v0, v1, s12
	v_mul_lo_u32 v1, v1, s13
	s_cbranch_vccnz .LBB391_102
; %bb.101:
	v_mul_hi_u32 v3, s16, v2
	s_delay_alu instid0(VALU_DEP_1) | instskip(NEXT) | instid1(VALU_DEP_1)
	v_add_nc_u32_e32 v3, v2, v3
	v_lshrrev_b32_e32 v3, s17, v3
	s_delay_alu instid0(VALU_DEP_1) | instskip(NEXT) | instid1(VALU_DEP_1)
	v_mul_lo_u32 v3, v3, s11
	v_sub_nc_u32_e32 v7, v2, v3
	s_delay_alu instid0(VALU_DEP_1) | instskip(NEXT) | instid1(VALU_DEP_1)
	v_mad_u64_u32 v[2:3], null, v7, s14, v[0:1]
	v_mad_u64_u32 v[5:6], null, v7, s15, v[1:2]
	s_delay_alu instid0(VALU_DEP_1)
	v_dual_mov_b32 v0, v2 :: v_dual_mov_b32 v1, v5
.LBB391_102:
	s_waitcnt lgkmcnt(0)
	global_load_b64 v[1:2], v1, s[6:7]
	v_max_f64 v[5:6], s[2:3], s[2:3]
	v_add_nc_u32_e32 v4, 0x80, v4
	s_waitcnt vmcnt(0)
	v_max_f64 v[7:8], v[1:2], v[1:2]
	v_cmp_u_f64_e32 vcc_lo, v[1:2], v[1:2]
	s_delay_alu instid0(VALU_DEP_2) | instskip(NEXT) | instid1(VALU_DEP_1)
	v_max_f64 v[5:6], v[7:8], v[5:6]
	v_dual_cndmask_b32 v2, v6, v2 :: v_dual_cndmask_b32 v1, v5, v1
	global_store_b64 v0, v[1:2], s[4:5]
	s_or_b32 exec_lo, exec_lo, s33
	s_delay_alu instid0(SALU_CYCLE_1)
	s_mov_b32 s22, exec_lo
	v_cmpx_gt_i32_e64 s29, v4
	s_cbranch_execz .LBB391_93
.LBB391_103:
	s_and_not1_b32 vcc_lo, exec_lo, s26
	s_cbranch_vccnz .LBB391_108
; %bb.104:
	v_dual_mov_b32 v0, 0 :: v_dual_mov_b32 v1, 0
	s_and_not1_b32 vcc_lo, exec_lo, s31
	s_mov_b32 s23, 0
	s_cbranch_vccnz .LBB391_113
; %bb.105:
	v_mov_b32_e32 v0, 0
	s_add_i32 s30, s30, 1
	s_cmp_eq_u32 s25, 2
	s_mov_b32 s29, 0
	s_cbranch_scc1 .LBB391_109
; %bb.106:
	v_dual_mov_b32 v1, 0 :: v_dual_mov_b32 v0, 0
	v_mov_b32_e32 v2, v4
	s_and_b32 s29, s30, 28
	s_mov_b32 s31, 0
	s_mov_b64 s[20:21], s[0:1]
.LBB391_107:                            ; =>This Inner Loop Header: Depth=1
	s_clause 0x1
	s_load_b256 s[36:43], s[20:21], 0x4
	s_load_b128 s[52:55], s[20:21], 0x24
	s_load_b256 s[44:51], s[18:19], 0x0
	s_add_u32 s20, s20, 48
	s_addc_u32 s21, s21, 0
	s_add_i32 s31, s31, 4
	s_add_u32 s18, s18, 32
	s_addc_u32 s19, s19, 0
	s_cmp_eq_u32 s29, s31
	s_waitcnt lgkmcnt(0)
	v_mul_hi_u32 v3, s37, v2
	s_delay_alu instid0(VALU_DEP_1) | instskip(NEXT) | instid1(VALU_DEP_1)
	v_add_nc_u32_e32 v3, v2, v3
	v_lshrrev_b32_e32 v3, s38, v3
	s_delay_alu instid0(VALU_DEP_1) | instskip(SKIP_1) | instid1(VALU_DEP_2)
	v_mul_hi_u32 v5, s40, v3
	v_mul_lo_u32 v7, v3, s36
	v_add_nc_u32_e32 v5, v3, v5
	s_delay_alu instid0(VALU_DEP_2) | instskip(NEXT) | instid1(VALU_DEP_2)
	v_sub_nc_u32_e32 v2, v2, v7
	v_lshrrev_b32_e32 v5, s41, v5
	s_delay_alu instid0(VALU_DEP_2) | instskip(SKIP_1) | instid1(VALU_DEP_3)
	v_mul_lo_u32 v7, v2, s44
	v_mul_lo_u32 v9, v2, s45
	v_mul_hi_u32 v6, s43, v5
	s_delay_alu instid0(VALU_DEP_1) | instskip(NEXT) | instid1(VALU_DEP_1)
	v_add_nc_u32_e32 v6, v5, v6
	v_lshrrev_b32_e32 v6, s52, v6
	s_delay_alu instid0(VALU_DEP_1) | instskip(SKIP_1) | instid1(VALU_DEP_2)
	v_mul_hi_u32 v8, s54, v6
	v_mul_lo_u32 v10, v6, s42
	v_add_nc_u32_e32 v2, v6, v8
	v_mul_lo_u32 v8, v5, s39
	s_delay_alu instid0(VALU_DEP_3) | instskip(NEXT) | instid1(VALU_DEP_3)
	v_sub_nc_u32_e32 v5, v5, v10
	v_lshrrev_b32_e32 v2, s55, v2
	s_delay_alu instid0(VALU_DEP_2) | instskip(SKIP_2) | instid1(VALU_DEP_4)
	v_mul_lo_u32 v10, v5, s48
	v_mul_lo_u32 v5, v5, s49
	v_sub_nc_u32_e32 v3, v3, v8
	v_mul_lo_u32 v11, v2, s53
	s_delay_alu instid0(VALU_DEP_2) | instskip(SKIP_1) | instid1(VALU_DEP_3)
	v_mul_lo_u32 v8, v3, s46
	v_mul_lo_u32 v3, v3, s47
	v_sub_nc_u32_e32 v6, v6, v11
	s_delay_alu instid0(VALU_DEP_3) | instskip(NEXT) | instid1(VALU_DEP_2)
	v_add3_u32 v0, v7, v0, v8
	v_mul_lo_u32 v11, v6, s50
	v_mul_lo_u32 v6, v6, s51
	v_add3_u32 v1, v9, v1, v3
	s_delay_alu instid0(VALU_DEP_3) | instskip(NEXT) | instid1(VALU_DEP_2)
	v_add3_u32 v0, v10, v0, v11
	v_add3_u32 v1, v5, v1, v6
	s_cbranch_scc0 .LBB391_107
	s_branch .LBB391_110
.LBB391_108:
	s_mov_b32 s23, -1
                                        ; implicit-def: $vgpr0
                                        ; implicit-def: $vgpr1
	s_branch .LBB391_113
.LBB391_109:
	v_dual_mov_b32 v2, v4 :: v_dual_mov_b32 v1, 0
.LBB391_110:
	s_and_b32 s30, s30, 3
	s_delay_alu instid0(SALU_CYCLE_1)
	s_cmp_eq_u32 s30, 0
	s_cbranch_scc1 .LBB391_113
; %bb.111:
	s_lshl_b32 s18, s29, 3
	s_mul_i32 s20, s29, 12
	s_add_u32 s18, s18, s0
	s_addc_u32 s19, s1, 0
	s_add_u32 s18, s18, 0xc4
	s_addc_u32 s19, s19, 0
	;; [unrolled: 2-line block ×3, first 2 shown]
	.p2align	6
.LBB391_112:                            ; =>This Inner Loop Header: Depth=1
	s_clause 0x1
	s_load_b64 s[34:35], s[20:21], 0x4
	s_load_b32 s29, s[20:21], 0xc
	s_load_b64 s[36:37], s[18:19], 0x0
	s_add_u32 s20, s20, 12
	s_addc_u32 s21, s21, 0
	s_add_u32 s18, s18, 8
	s_addc_u32 s19, s19, 0
	s_add_i32 s30, s30, -1
	s_delay_alu instid0(SALU_CYCLE_1) | instskip(SKIP_2) | instid1(VALU_DEP_1)
	s_cmp_lg_u32 s30, 0
	s_waitcnt lgkmcnt(0)
	v_mul_hi_u32 v3, s35, v2
	v_add_nc_u32_e32 v3, v2, v3
	s_delay_alu instid0(VALU_DEP_1) | instskip(NEXT) | instid1(VALU_DEP_1)
	v_lshrrev_b32_e32 v3, s29, v3
	v_mul_lo_u32 v5, v3, s34
	s_delay_alu instid0(VALU_DEP_1) | instskip(NEXT) | instid1(VALU_DEP_1)
	v_sub_nc_u32_e32 v2, v2, v5
	v_mad_u64_u32 v[5:6], null, v2, s36, v[0:1]
	v_mad_u64_u32 v[6:7], null, v2, s37, v[1:2]
	v_mov_b32_e32 v2, v3
	s_delay_alu instid0(VALU_DEP_2)
	v_dual_mov_b32 v0, v5 :: v_dual_mov_b32 v1, v6
	s_cbranch_scc1 .LBB391_112
.LBB391_113:
	s_and_not1_b32 vcc_lo, exec_lo, s23
	s_cbranch_vccnz .LBB391_116
; %bb.114:
	s_waitcnt lgkmcnt(0)
	v_mul_hi_u32 v0, s9, v4
	s_and_not1_b32 vcc_lo, exec_lo, s28
	s_delay_alu instid0(VALU_DEP_1) | instskip(NEXT) | instid1(VALU_DEP_1)
	v_add_nc_u32_e32 v0, v4, v0
	v_lshrrev_b32_e32 v2, s10, v0
	s_delay_alu instid0(VALU_DEP_1) | instskip(NEXT) | instid1(VALU_DEP_1)
	v_mul_lo_u32 v0, v2, s8
	v_sub_nc_u32_e32 v1, v4, v0
	s_delay_alu instid0(VALU_DEP_1)
	v_mul_lo_u32 v0, v1, s12
	v_mul_lo_u32 v1, v1, s13
	s_cbranch_vccnz .LBB391_116
; %bb.115:
	v_mul_hi_u32 v3, s16, v2
	s_delay_alu instid0(VALU_DEP_1) | instskip(NEXT) | instid1(VALU_DEP_1)
	v_add_nc_u32_e32 v3, v2, v3
	v_lshrrev_b32_e32 v3, s17, v3
	s_delay_alu instid0(VALU_DEP_1) | instskip(NEXT) | instid1(VALU_DEP_1)
	v_mul_lo_u32 v3, v3, s11
	v_sub_nc_u32_e32 v5, v2, v3
	s_delay_alu instid0(VALU_DEP_1) | instskip(NEXT) | instid1(VALU_DEP_1)
	v_mad_u64_u32 v[2:3], null, v5, s14, v[0:1]
	v_mad_u64_u32 v[3:4], null, v5, s15, v[1:2]
	s_delay_alu instid0(VALU_DEP_1)
	v_dual_mov_b32 v0, v2 :: v_dual_mov_b32 v1, v3
.LBB391_116:
	s_waitcnt lgkmcnt(0)
	global_load_b64 v[1:2], v1, s[6:7]
	v_max_f64 v[3:4], s[2:3], s[2:3]
	s_waitcnt vmcnt(0)
	v_max_f64 v[5:6], v[1:2], v[1:2]
	v_cmp_u_f64_e32 vcc_lo, v[1:2], v[1:2]
	s_delay_alu instid0(VALU_DEP_2) | instskip(NEXT) | instid1(VALU_DEP_1)
	v_max_f64 v[3:4], v[5:6], v[3:4]
	v_dual_cndmask_b32 v2, v4, v2 :: v_dual_cndmask_b32 v1, v3, v1
	global_store_b64 v0, v[1:2], s[4:5]
	s_or_b32 exec_lo, exec_lo, s22
                                        ; implicit-def: $vgpr8
                                        ; implicit-def: $vgpr4
	s_and_not1_saveexec_b32 s2, s27
	s_cbranch_execz .LBB391_94
	s_branch .LBB391_8
	.section	.rodata,"a",@progbits
	.p2align	6, 0x0
	.amdhsa_kernel _ZN2at6native32elementwise_kernel_manual_unrollILi128ELi4EZNS0_22gpu_kernel_impl_nocastIZZZNS0_21clamp_min_kernel_cudaERNS_18TensorIteratorBaseERKN3c106ScalarEENKUlvE_clEvENKUlvE4_clEvEUldE_EEvS4_RKT_EUlibE_EEviT1_
		.amdhsa_group_segment_fixed_size 0
		.amdhsa_private_segment_fixed_size 0
		.amdhsa_kernarg_size 360
		.amdhsa_user_sgpr_count 15
		.amdhsa_user_sgpr_dispatch_ptr 0
		.amdhsa_user_sgpr_queue_ptr 0
		.amdhsa_user_sgpr_kernarg_segment_ptr 1
		.amdhsa_user_sgpr_dispatch_id 0
		.amdhsa_user_sgpr_private_segment_size 0
		.amdhsa_wavefront_size32 1
		.amdhsa_uses_dynamic_stack 0
		.amdhsa_enable_private_segment 0
		.amdhsa_system_sgpr_workgroup_id_x 1
		.amdhsa_system_sgpr_workgroup_id_y 0
		.amdhsa_system_sgpr_workgroup_id_z 0
		.amdhsa_system_sgpr_workgroup_info 0
		.amdhsa_system_vgpr_workitem_id 0
		.amdhsa_next_free_vgpr 26
		.amdhsa_next_free_sgpr 60
		.amdhsa_reserve_vcc 1
		.amdhsa_float_round_mode_32 0
		.amdhsa_float_round_mode_16_64 0
		.amdhsa_float_denorm_mode_32 3
		.amdhsa_float_denorm_mode_16_64 3
		.amdhsa_dx10_clamp 1
		.amdhsa_ieee_mode 1
		.amdhsa_fp16_overflow 0
		.amdhsa_workgroup_processor_mode 1
		.amdhsa_memory_ordered 1
		.amdhsa_forward_progress 0
		.amdhsa_shared_vgpr_count 0
		.amdhsa_exception_fp_ieee_invalid_op 0
		.amdhsa_exception_fp_denorm_src 0
		.amdhsa_exception_fp_ieee_div_zero 0
		.amdhsa_exception_fp_ieee_overflow 0
		.amdhsa_exception_fp_ieee_underflow 0
		.amdhsa_exception_fp_ieee_inexact 0
		.amdhsa_exception_int_div_zero 0
	.end_amdhsa_kernel
	.section	.text._ZN2at6native32elementwise_kernel_manual_unrollILi128ELi4EZNS0_22gpu_kernel_impl_nocastIZZZNS0_21clamp_min_kernel_cudaERNS_18TensorIteratorBaseERKN3c106ScalarEENKUlvE_clEvENKUlvE4_clEvEUldE_EEvS4_RKT_EUlibE_EEviT1_,"axG",@progbits,_ZN2at6native32elementwise_kernel_manual_unrollILi128ELi4EZNS0_22gpu_kernel_impl_nocastIZZZNS0_21clamp_min_kernel_cudaERNS_18TensorIteratorBaseERKN3c106ScalarEENKUlvE_clEvENKUlvE4_clEvEUldE_EEvS4_RKT_EUlibE_EEviT1_,comdat
.Lfunc_end391:
	.size	_ZN2at6native32elementwise_kernel_manual_unrollILi128ELi4EZNS0_22gpu_kernel_impl_nocastIZZZNS0_21clamp_min_kernel_cudaERNS_18TensorIteratorBaseERKN3c106ScalarEENKUlvE_clEvENKUlvE4_clEvEUldE_EEvS4_RKT_EUlibE_EEviT1_, .Lfunc_end391-_ZN2at6native32elementwise_kernel_manual_unrollILi128ELi4EZNS0_22gpu_kernel_impl_nocastIZZZNS0_21clamp_min_kernel_cudaERNS_18TensorIteratorBaseERKN3c106ScalarEENKUlvE_clEvENKUlvE4_clEvEUldE_EEvS4_RKT_EUlibE_EEviT1_
                                        ; -- End function
	.section	.AMDGPU.csdata,"",@progbits
; Kernel info:
; codeLenInByte = 7120
; NumSgprs: 62
; NumVgprs: 26
; ScratchSize: 0
; MemoryBound: 0
; FloatMode: 240
; IeeeMode: 1
; LDSByteSize: 0 bytes/workgroup (compile time only)
; SGPRBlocks: 7
; VGPRBlocks: 3
; NumSGPRsForWavesPerEU: 62
; NumVGPRsForWavesPerEU: 26
; Occupancy: 16
; WaveLimiterHint : 1
; COMPUTE_PGM_RSRC2:SCRATCH_EN: 0
; COMPUTE_PGM_RSRC2:USER_SGPR: 15
; COMPUTE_PGM_RSRC2:TRAP_HANDLER: 0
; COMPUTE_PGM_RSRC2:TGID_X_EN: 1
; COMPUTE_PGM_RSRC2:TGID_Y_EN: 0
; COMPUTE_PGM_RSRC2:TGID_Z_EN: 0
; COMPUTE_PGM_RSRC2:TIDIG_COMP_CNT: 0
	.section	.text._ZN2at6native32elementwise_kernel_manual_unrollILi128ELi4EZNS0_15gpu_kernel_implIZZZNS0_21clamp_min_kernel_cudaERNS_18TensorIteratorBaseERKN3c106ScalarEENKUlvE_clEvENKUlvE4_clEvEUldE_EEvS4_RKT_EUlibE_EEviT1_,"axG",@progbits,_ZN2at6native32elementwise_kernel_manual_unrollILi128ELi4EZNS0_15gpu_kernel_implIZZZNS0_21clamp_min_kernel_cudaERNS_18TensorIteratorBaseERKN3c106ScalarEENKUlvE_clEvENKUlvE4_clEvEUldE_EEvS4_RKT_EUlibE_EEviT1_,comdat
	.globl	_ZN2at6native32elementwise_kernel_manual_unrollILi128ELi4EZNS0_15gpu_kernel_implIZZZNS0_21clamp_min_kernel_cudaERNS_18TensorIteratorBaseERKN3c106ScalarEENKUlvE_clEvENKUlvE4_clEvEUldE_EEvS4_RKT_EUlibE_EEviT1_ ; -- Begin function _ZN2at6native32elementwise_kernel_manual_unrollILi128ELi4EZNS0_15gpu_kernel_implIZZZNS0_21clamp_min_kernel_cudaERNS_18TensorIteratorBaseERKN3c106ScalarEENKUlvE_clEvENKUlvE4_clEvEUldE_EEvS4_RKT_EUlibE_EEviT1_
	.p2align	8
	.type	_ZN2at6native32elementwise_kernel_manual_unrollILi128ELi4EZNS0_15gpu_kernel_implIZZZNS0_21clamp_min_kernel_cudaERNS_18TensorIteratorBaseERKN3c106ScalarEENKUlvE_clEvENKUlvE4_clEvEUldE_EEvS4_RKT_EUlibE_EEviT1_,@function
_ZN2at6native32elementwise_kernel_manual_unrollILi128ELi4EZNS0_15gpu_kernel_implIZZZNS0_21clamp_min_kernel_cudaERNS_18TensorIteratorBaseERKN3c106ScalarEENKUlvE_clEvENKUlvE4_clEvEUldE_EEvS4_RKT_EUlibE_EEviT1_: ; @_ZN2at6native32elementwise_kernel_manual_unrollILi128ELi4EZNS0_15gpu_kernel_implIZZZNS0_21clamp_min_kernel_cudaERNS_18TensorIteratorBaseERKN3c106ScalarEENKUlvE_clEvENKUlvE4_clEvEUldE_EEvS4_RKT_EUlibE_EEviT1_
; %bb.0:
	s_clause 0x2
	s_load_b32 s2, s[0:1], 0x28
	s_load_b32 s14, s[0:1], 0x0
	s_load_b256 s[4:11], s[0:1], 0x8
	v_lshl_or_b32 v12, s15, 9, v0
	s_mov_b32 s3, 0
	s_mov_b32 s13, 0
	s_mov_b32 s0, exec_lo
	s_delay_alu instid0(VALU_DEP_1) | instskip(SKIP_2) | instid1(VALU_DEP_2)
	v_or_b32_e32 v0, 0x180, v12
	s_waitcnt lgkmcnt(0)
	v_lshrrev_b16 v10, 8, s2
	v_cmpx_le_i32_e64 s14, v0
	s_xor_b32 s12, exec_lo, s0
	s_cbranch_execz .LBB392_1032
; %bb.1:
	s_mov_b32 s1, -1
	s_mov_b32 s17, 0
	s_mov_b32 s15, 0
	s_mov_b32 s16, exec_lo
	v_cmpx_gt_i32_e64 s14, v12
	s_cbranch_execz .LBB392_251
; %bb.2:
	v_mul_lo_u32 v0, v12, s9
	v_cmp_gt_i16_e32 vcc_lo, 11, v10
	s_delay_alu instid0(VALU_DEP_2) | instskip(SKIP_1) | instid1(VALU_DEP_1)
	v_ashrrev_i32_e32 v1, 31, v0
	v_add_co_u32 v0, s0, s6, v0
	v_add_co_ci_u32_e64 v1, s0, s7, v1, s0
	s_cbranch_vccnz .LBB392_9
; %bb.3:
	v_cmp_lt_i16_e32 vcc_lo, 25, v10
	s_cbranch_vccz .LBB392_18
; %bb.4:
	v_cmp_lt_i16_e32 vcc_lo, 28, v10
	s_cbranch_vccz .LBB392_21
	;; [unrolled: 3-line block ×4, first 2 shown]
; %bb.7:
	v_cmp_eq_u16_e32 vcc_lo, 46, v10
	s_mov_b32 s1, 0
	s_cbranch_vccz .LBB392_26
; %bb.8:
	global_load_b32 v2, v[0:1], off
	s_mov_b32 s0, -1
	s_waitcnt vmcnt(0)
	v_lshlrev_b32_e32 v2, 16, v2
	s_delay_alu instid0(VALU_DEP_1)
	v_cvt_f64_f32_e32 v[2:3], v2
	s_branch .LBB392_28
.LBB392_9:
	s_mov_b32 s0, 0
                                        ; implicit-def: $vgpr2_vgpr3
	s_and_b32 vcc_lo, exec_lo, s1
	s_cbranch_vccnz .LBB392_201
.LBB392_10:
	s_and_not1_b32 vcc_lo, exec_lo, s0
	s_cbranch_vccnz .LBB392_248
.LBB392_11:
	v_max_f64 v[0:1], s[10:11], s[10:11]
	s_waitcnt vmcnt(0)
	s_delay_alu instid0(VALU_DEP_2) | instskip(SKIP_2) | instid1(VALU_DEP_1)
	v_max_f64 v[4:5], v[2:3], v[2:3]
	v_cmp_u_f64_e32 vcc_lo, v[2:3], v[2:3]
	v_and_b32_e64 v6, 0xff, s2
	v_cmp_gt_i16_e64 s0, 11, v6
	s_delay_alu instid0(VALU_DEP_4) | instskip(SKIP_1) | instid1(VALU_DEP_1)
	v_max_f64 v[0:1], v[4:5], v[0:1]
	v_mul_lo_u32 v4, v12, s8
	v_ashrrev_i32_e32 v5, 31, v4
	v_add_co_u32 v4, s1, s4, v4
	s_delay_alu instid0(VALU_DEP_1)
	v_add_co_ci_u32_e64 v5, s1, s5, v5, s1
	v_dual_cndmask_b32 v1, v1, v3 :: v_dual_cndmask_b32 v0, v0, v2
	s_and_b32 vcc_lo, exec_lo, s0
	s_cbranch_vccnz .LBB392_19
; %bb.12:
	v_cmp_lt_i16_e32 vcc_lo, 25, v6
	s_cbranch_vccz .LBB392_22
; %bb.13:
	v_cmp_lt_i16_e32 vcc_lo, 28, v6
	s_cbranch_vccz .LBB392_24
; %bb.14:
	v_cmp_lt_i16_e32 vcc_lo, 43, v6
	s_cbranch_vccz .LBB392_25
; %bb.15:
	v_cmp_lt_i16_e32 vcc_lo, 45, v6
	s_cbranch_vccz .LBB392_31
; %bb.16:
	v_cmp_eq_u16_e32 vcc_lo, 46, v6
	s_mov_b32 s13, 0
	s_mov_b32 s0, -1
	s_mov_b32 s1, 0
	s_cbranch_vccz .LBB392_32
; %bb.17:
	v_cvt_f32_f64_e32 v2, v[0:1]
	s_mov_b32 s1, -1
	s_mov_b32 s0, 0
	s_delay_alu instid0(VALU_DEP_1) | instskip(SKIP_1) | instid1(VALU_DEP_2)
	v_bfe_u32 v3, v2, 16, 1
	v_cmp_o_f32_e32 vcc_lo, v2, v2
	v_add3_u32 v3, v2, v3, 0x7fff
	s_delay_alu instid0(VALU_DEP_1) | instskip(NEXT) | instid1(VALU_DEP_1)
	v_lshrrev_b32_e32 v3, 16, v3
	v_cndmask_b32_e32 v2, 0x7fc0, v3, vcc_lo
	global_store_b32 v[4:5], v2, off
	s_branch .LBB392_32
.LBB392_18:
	s_mov_b32 s0, 0
                                        ; implicit-def: $vgpr2_vgpr3
	s_and_b32 vcc_lo, exec_lo, s1
	s_cbranch_vccnz .LBB392_168
	s_branch .LBB392_200
.LBB392_19:
	s_mov_b32 s0, 0
	s_mov_b32 s1, 0
	s_cbranch_execnz .LBB392_101
.LBB392_20:
	s_and_not1_b32 vcc_lo, exec_lo, s1
	s_cbranch_vccnz .LBB392_249
	s_branch .LBB392_139
.LBB392_21:
	s_mov_b32 s0, 0
                                        ; implicit-def: $vgpr2_vgpr3
	s_branch .LBB392_147
.LBB392_22:
	s_mov_b32 s13, -1
	s_mov_b32 s0, 0
	s_mov_b32 s1, 0
	s_branch .LBB392_59
.LBB392_23:
	s_mov_b32 s0, 0
                                        ; implicit-def: $vgpr2_vgpr3
	s_branch .LBB392_142
.LBB392_24:
	s_mov_b32 s13, -1
	s_mov_b32 s0, 0
	s_mov_b32 s1, 0
	s_branch .LBB392_42
.LBB392_25:
	s_mov_b32 s13, -1
	s_mov_b32 s0, 0
	s_mov_b32 s1, 0
	s_branch .LBB392_38
.LBB392_26:
	s_mov_b32 s15, -1
.LBB392_27:
	s_mov_b32 s0, 0
                                        ; implicit-def: $vgpr2_vgpr3
.LBB392_28:
	s_and_b32 vcc_lo, exec_lo, s1
	s_cbranch_vccz .LBB392_141
; %bb.29:
	v_cmp_eq_u16_e32 vcc_lo, 44, v10
	s_cbranch_vccz .LBB392_140
; %bb.30:
	global_load_u8 v4, v[0:1], off
	s_mov_b32 s15, 0
	s_mov_b32 s0, -1
	s_waitcnt vmcnt(0)
	v_cmp_ne_u32_e32 vcc_lo, 0xff, v4
	v_lshlrev_b32_e32 v2, 23, v4
	s_delay_alu instid0(VALU_DEP_1) | instskip(NEXT) | instid1(VALU_DEP_1)
	v_cvt_f64_f32_e32 v[2:3], v2
	v_cndmask_b32_e32 v3, 0x7ff80000, v3, vcc_lo
	s_delay_alu instid0(VALU_DEP_2) | instskip(SKIP_1) | instid1(VALU_DEP_3)
	v_cndmask_b32_e32 v2, 0x20000000, v2, vcc_lo
	v_cmp_ne_u32_e32 vcc_lo, 0, v4
	v_cndmask_b32_e32 v3, 0x38000000, v3, vcc_lo
	s_delay_alu instid0(VALU_DEP_3)
	v_cndmask_b32_e32 v2, 0, v2, vcc_lo
	s_branch .LBB392_141
.LBB392_31:
	s_mov_b32 s13, -1
	s_mov_b32 s0, 0
	s_mov_b32 s1, 0
.LBB392_32:
	s_and_b32 vcc_lo, exec_lo, s13
	s_cbranch_vccz .LBB392_37
; %bb.33:
	v_cmp_eq_u16_e32 vcc_lo, 44, v6
	s_mov_b32 s0, -1
	s_cbranch_vccz .LBB392_37
; %bb.34:
	v_cvt_f32_f64_e32 v2, v[0:1]
	v_mov_b32_e32 v3, 0xff
	s_mov_b32 s1, exec_lo
	s_delay_alu instid0(VALU_DEP_2) | instskip(NEXT) | instid1(VALU_DEP_1)
	v_bfe_u32 v7, v2, 23, 8
	v_cmpx_ne_u32_e32 0xff, v7
; %bb.35:
	v_and_b32_e32 v3, 0x400000, v2
	v_and_or_b32 v7, 0x3fffff, v2, v7
	v_lshrrev_b32_e32 v2, 23, v2
	s_delay_alu instid0(VALU_DEP_3) | instskip(NEXT) | instid1(VALU_DEP_3)
	v_cmp_ne_u32_e32 vcc_lo, 0, v3
	v_cmp_ne_u32_e64 s0, 0, v7
	s_delay_alu instid0(VALU_DEP_1) | instskip(NEXT) | instid1(SALU_CYCLE_1)
	s_and_b32 s0, vcc_lo, s0
	v_cndmask_b32_e64 v3, 0, 1, s0
	s_delay_alu instid0(VALU_DEP_1)
	v_add_nc_u32_e32 v3, v2, v3
; %bb.36:
	s_or_b32 exec_lo, exec_lo, s1
	s_mov_b32 s1, -1
	s_mov_b32 s0, 0
	global_store_b8 v[4:5], v3, off
.LBB392_37:
	s_mov_b32 s13, 0
.LBB392_38:
	s_delay_alu instid0(SALU_CYCLE_1)
	s_and_b32 vcc_lo, exec_lo, s13
	s_cbranch_vccz .LBB392_41
; %bb.39:
	v_cmp_eq_u16_e32 vcc_lo, 29, v6
	s_mov_b32 s0, -1
	s_cbranch_vccz .LBB392_41
; %bb.40:
	v_trunc_f64_e32 v[2:3], v[0:1]
	s_mov_b32 s1, -1
	s_mov_b32 s0, 0
	s_mov_b32 s13, 0
	s_delay_alu instid0(VALU_DEP_1) | instskip(NEXT) | instid1(VALU_DEP_1)
	v_ldexp_f64 v[7:8], v[2:3], 0xffffffe0
	v_floor_f64_e32 v[7:8], v[7:8]
	s_delay_alu instid0(VALU_DEP_1) | instskip(SKIP_1) | instid1(VALU_DEP_2)
	v_fma_f64 v[2:3], 0xc1f00000, v[7:8], v[2:3]
	v_cvt_u32_f64_e32 v8, v[7:8]
	v_cvt_u32_f64_e32 v7, v[2:3]
	global_store_b64 v[4:5], v[7:8], off
	s_branch .LBB392_42
.LBB392_41:
	s_mov_b32 s13, 0
.LBB392_42:
	s_delay_alu instid0(SALU_CYCLE_1)
	s_and_b32 vcc_lo, exec_lo, s13
	s_cbranch_vccz .LBB392_58
; %bb.43:
	v_cmp_gt_i16_e32 vcc_lo, 27, v6
	s_mov_b32 s1, -1
	s_cbranch_vccnz .LBB392_49
; %bb.44:
	v_cmp_lt_i16_e32 vcc_lo, 27, v6
	s_cbranch_vccz .LBB392_46
; %bb.45:
	v_cvt_u32_f64_e32 v2, v[0:1]
	s_mov_b32 s1, 0
	global_store_b32 v[4:5], v2, off
.LBB392_46:
	s_and_not1_b32 vcc_lo, exec_lo, s1
	s_cbranch_vccnz .LBB392_48
; %bb.47:
	v_cvt_u32_f64_e32 v2, v[0:1]
	global_store_b16 v[4:5], v2, off
.LBB392_48:
	s_mov_b32 s1, 0
.LBB392_49:
	s_delay_alu instid0(SALU_CYCLE_1)
	s_and_not1_b32 vcc_lo, exec_lo, s1
	s_cbranch_vccnz .LBB392_57
; %bb.50:
	v_cvt_f32_f64_e32 v2, v[0:1]
	v_mov_b32_e32 v7, 0x80
	s_mov_b32 s1, exec_lo
	s_delay_alu instid0(VALU_DEP_2) | instskip(NEXT) | instid1(VALU_DEP_1)
	v_and_b32_e32 v3, 0x7fffffff, v2
	v_cmpx_gt_u32_e32 0x43800000, v3
	s_cbranch_execz .LBB392_56
; %bb.51:
	v_cmp_lt_u32_e32 vcc_lo, 0x3bffffff, v3
	s_mov_b32 s13, 0
                                        ; implicit-def: $vgpr3
	s_and_saveexec_b32 s18, vcc_lo
	s_delay_alu instid0(SALU_CYCLE_1)
	s_xor_b32 s18, exec_lo, s18
	s_cbranch_execz .LBB392_275
; %bb.52:
	v_bfe_u32 v3, v2, 20, 1
	s_mov_b32 s13, exec_lo
	s_delay_alu instid0(VALU_DEP_1) | instskip(NEXT) | instid1(VALU_DEP_1)
	v_add3_u32 v3, v2, v3, 0x487ffff
	v_lshrrev_b32_e32 v3, 20, v3
	s_or_saveexec_b32 s18, s18
                                        ; implicit-def: $sgpr19
	s_delay_alu instid0(SALU_CYCLE_1)
	s_xor_b32 exec_lo, exec_lo, s18
	s_cbranch_execnz .LBB392_276
.LBB392_53:
	s_or_b32 exec_lo, exec_lo, s18
	v_mov_b32_e32 v7, s19
	s_and_saveexec_b32 s18, s13
.LBB392_54:
	v_lshrrev_b32_e32 v2, 24, v2
	s_delay_alu instid0(VALU_DEP_1)
	v_and_or_b32 v7, 0x80, v2, v3
.LBB392_55:
	s_or_b32 exec_lo, exec_lo, s18
.LBB392_56:
	s_delay_alu instid0(SALU_CYCLE_1)
	s_or_b32 exec_lo, exec_lo, s1
	global_store_b8 v[4:5], v7, off
.LBB392_57:
	s_mov_b32 s1, -1
.LBB392_58:
	s_mov_b32 s13, 0
.LBB392_59:
	s_delay_alu instid0(SALU_CYCLE_1)
	s_and_b32 vcc_lo, exec_lo, s13
	s_cbranch_vccz .LBB392_100
; %bb.60:
	v_cmp_lt_i16_e32 vcc_lo, 22, v6
	s_mov_b32 s13, -1
	s_cbranch_vccz .LBB392_92
; %bb.61:
	v_cmp_gt_i16_e32 vcc_lo, 24, v6
	s_mov_b32 s1, -1
	s_cbranch_vccnz .LBB392_81
; %bb.62:
	v_cmp_lt_i16_e32 vcc_lo, 24, v6
	s_cbranch_vccz .LBB392_70
; %bb.63:
	v_cvt_f32_f64_e32 v2, v[0:1]
	v_mov_b32_e32 v7, 0x80
	s_mov_b32 s1, exec_lo
	s_delay_alu instid0(VALU_DEP_2) | instskip(NEXT) | instid1(VALU_DEP_1)
	v_and_b32_e32 v3, 0x7fffffff, v2
	v_cmpx_gt_u32_e32 0x47800000, v3
	s_cbranch_execz .LBB392_69
; %bb.64:
	v_cmp_lt_u32_e32 vcc_lo, 0x37ffffff, v3
	s_mov_b32 s13, 0
                                        ; implicit-def: $vgpr3
	s_and_saveexec_b32 s18, vcc_lo
	s_delay_alu instid0(SALU_CYCLE_1)
	s_xor_b32 s18, exec_lo, s18
	s_cbranch_execz .LBB392_279
; %bb.65:
	v_bfe_u32 v3, v2, 21, 1
	s_mov_b32 s13, exec_lo
	s_delay_alu instid0(VALU_DEP_1) | instskip(NEXT) | instid1(VALU_DEP_1)
	v_add3_u32 v3, v2, v3, 0x88fffff
	v_lshrrev_b32_e32 v3, 21, v3
	s_or_saveexec_b32 s18, s18
                                        ; implicit-def: $sgpr19
	s_delay_alu instid0(SALU_CYCLE_1)
	s_xor_b32 exec_lo, exec_lo, s18
	s_cbranch_execnz .LBB392_280
.LBB392_66:
	s_or_b32 exec_lo, exec_lo, s18
	v_mov_b32_e32 v7, s19
	s_and_saveexec_b32 s18, s13
.LBB392_67:
	v_lshrrev_b32_e32 v2, 24, v2
	s_delay_alu instid0(VALU_DEP_1)
	v_and_or_b32 v7, 0x80, v2, v3
.LBB392_68:
	s_or_b32 exec_lo, exec_lo, s18
.LBB392_69:
	s_delay_alu instid0(SALU_CYCLE_1)
	s_or_b32 exec_lo, exec_lo, s1
	s_mov_b32 s1, 0
	global_store_b8 v[4:5], v7, off
.LBB392_70:
	s_and_b32 vcc_lo, exec_lo, s1
	s_cbranch_vccz .LBB392_80
; %bb.71:
	v_cvt_f32_f64_e32 v2, v[0:1]
	s_mov_b32 s1, exec_lo
                                        ; implicit-def: $vgpr3
	s_delay_alu instid0(VALU_DEP_1) | instskip(NEXT) | instid1(VALU_DEP_1)
	v_and_b32_e32 v7, 0x7fffffff, v2
	v_cmpx_gt_u32_e32 0x43f00000, v7
	s_xor_b32 s1, exec_lo, s1
	s_cbranch_execz .LBB392_77
; %bb.72:
	s_mov_b32 s13, exec_lo
                                        ; implicit-def: $vgpr3
	v_cmpx_lt_u32_e32 0x3c7fffff, v7
	s_xor_b32 s13, exec_lo, s13
; %bb.73:
	v_bfe_u32 v3, v2, 20, 1
	s_delay_alu instid0(VALU_DEP_1) | instskip(NEXT) | instid1(VALU_DEP_1)
	v_add3_u32 v3, v2, v3, 0x407ffff
	v_and_b32_e32 v7, 0xff00000, v3
	v_lshrrev_b32_e32 v3, 20, v3
	s_delay_alu instid0(VALU_DEP_2) | instskip(NEXT) | instid1(VALU_DEP_2)
	v_cmp_ne_u32_e32 vcc_lo, 0x7f00000, v7
	v_cndmask_b32_e32 v3, 0x7e, v3, vcc_lo
; %bb.74:
	s_and_not1_saveexec_b32 s13, s13
; %bb.75:
	v_add_f32_e64 v3, 0x46800000, |v2|
; %bb.76:
	s_or_b32 exec_lo, exec_lo, s13
                                        ; implicit-def: $vgpr7
.LBB392_77:
	s_and_not1_saveexec_b32 s1, s1
; %bb.78:
	v_mov_b32_e32 v3, 0x7f
	v_cmp_lt_u32_e32 vcc_lo, 0x7f800000, v7
	s_delay_alu instid0(VALU_DEP_2)
	v_cndmask_b32_e32 v3, 0x7e, v3, vcc_lo
; %bb.79:
	s_or_b32 exec_lo, exec_lo, s1
	v_lshrrev_b32_e32 v2, 24, v2
	s_delay_alu instid0(VALU_DEP_1)
	v_and_or_b32 v2, 0x80, v2, v3
	global_store_b8 v[4:5], v2, off
.LBB392_80:
	s_mov_b32 s1, 0
.LBB392_81:
	s_delay_alu instid0(SALU_CYCLE_1)
	s_and_not1_b32 vcc_lo, exec_lo, s1
	s_cbranch_vccnz .LBB392_91
; %bb.82:
	v_cvt_f32_f64_e32 v2, v[0:1]
	s_mov_b32 s1, exec_lo
                                        ; implicit-def: $vgpr3
	s_delay_alu instid0(VALU_DEP_1) | instskip(NEXT) | instid1(VALU_DEP_1)
	v_and_b32_e32 v7, 0x7fffffff, v2
	v_cmpx_gt_u32_e32 0x47800000, v7
	s_xor_b32 s1, exec_lo, s1
	s_cbranch_execz .LBB392_88
; %bb.83:
	s_mov_b32 s13, exec_lo
                                        ; implicit-def: $vgpr3
	v_cmpx_lt_u32_e32 0x387fffff, v7
	s_xor_b32 s13, exec_lo, s13
; %bb.84:
	v_bfe_u32 v3, v2, 21, 1
	s_delay_alu instid0(VALU_DEP_1) | instskip(NEXT) | instid1(VALU_DEP_1)
	v_add3_u32 v3, v2, v3, 0x80fffff
	v_lshrrev_b32_e32 v3, 21, v3
; %bb.85:
	s_and_not1_saveexec_b32 s13, s13
; %bb.86:
	v_add_f32_e64 v3, 0x43000000, |v2|
; %bb.87:
	s_or_b32 exec_lo, exec_lo, s13
                                        ; implicit-def: $vgpr7
.LBB392_88:
	s_and_not1_saveexec_b32 s1, s1
; %bb.89:
	v_mov_b32_e32 v3, 0x7f
	v_cmp_lt_u32_e32 vcc_lo, 0x7f800000, v7
	s_delay_alu instid0(VALU_DEP_2)
	v_cndmask_b32_e32 v3, 0x7c, v3, vcc_lo
; %bb.90:
	s_or_b32 exec_lo, exec_lo, s1
	v_lshrrev_b32_e32 v2, 24, v2
	s_delay_alu instid0(VALU_DEP_1)
	v_and_or_b32 v2, 0x80, v2, v3
	global_store_b8 v[4:5], v2, off
.LBB392_91:
	s_mov_b32 s13, 0
	s_mov_b32 s1, -1
.LBB392_92:
	s_and_not1_b32 vcc_lo, exec_lo, s13
	s_cbranch_vccnz .LBB392_100
; %bb.93:
	v_cmp_lt_i16_e32 vcc_lo, 14, v6
	s_mov_b32 s13, -1
	s_cbranch_vccz .LBB392_97
; %bb.94:
	v_cmp_eq_u16_e32 vcc_lo, 15, v6
	s_mov_b32 s0, -1
	s_cbranch_vccz .LBB392_96
; %bb.95:
	v_cvt_f32_f64_e32 v2, v[0:1]
	s_mov_b32 s1, -1
	s_mov_b32 s0, 0
	s_delay_alu instid0(VALU_DEP_1) | instskip(SKIP_1) | instid1(VALU_DEP_2)
	v_bfe_u32 v3, v2, 16, 1
	v_cmp_o_f32_e32 vcc_lo, v2, v2
	v_add3_u32 v3, v2, v3, 0x7fff
	s_delay_alu instid0(VALU_DEP_1) | instskip(NEXT) | instid1(VALU_DEP_1)
	v_lshrrev_b32_e32 v3, 16, v3
	v_cndmask_b32_e32 v2, 0x7fc0, v3, vcc_lo
	global_store_b16 v[4:5], v2, off
.LBB392_96:
	s_mov_b32 s13, 0
.LBB392_97:
	s_delay_alu instid0(SALU_CYCLE_1)
	s_and_b32 vcc_lo, exec_lo, s13
	s_cbranch_vccz .LBB392_100
; %bb.98:
	v_cmp_eq_u16_e32 vcc_lo, 11, v6
	s_mov_b32 s0, -1
	s_cbranch_vccz .LBB392_100
; %bb.99:
	v_cmp_neq_f64_e32 vcc_lo, 0, v[0:1]
	s_mov_b32 s1, -1
	s_mov_b32 s0, 0
	v_cndmask_b32_e64 v2, 0, 1, vcc_lo
	global_store_b8 v[4:5], v2, off
.LBB392_100:
	s_branch .LBB392_20
.LBB392_101:
	v_cmp_gt_i16_e32 vcc_lo, 5, v6
	s_mov_b32 s1, -1
	s_cbranch_vccnz .LBB392_122
; %bb.102:
	v_cmp_gt_i16_e32 vcc_lo, 8, v6
	s_cbranch_vccnz .LBB392_112
; %bb.103:
	v_cmp_gt_i16_e32 vcc_lo, 9, v6
	s_cbranch_vccnz .LBB392_109
; %bb.104:
	v_cmp_lt_i16_e32 vcc_lo, 9, v6
	s_cbranch_vccz .LBB392_106
; %bb.105:
	v_mov_b32_e32 v2, 0
	s_mov_b32 s1, 0
	s_delay_alu instid0(VALU_DEP_1)
	v_mov_b32_e32 v3, v2
	global_store_b128 v[4:5], v[0:3], off
.LBB392_106:
	s_and_not1_b32 vcc_lo, exec_lo, s1
	s_cbranch_vccnz .LBB392_108
; %bb.107:
	v_cvt_f32_f64_e32 v2, v[0:1]
	v_mov_b32_e32 v3, 0
	global_store_b64 v[4:5], v[2:3], off
.LBB392_108:
	s_mov_b32 s1, 0
.LBB392_109:
	s_delay_alu instid0(SALU_CYCLE_1)
	s_and_not1_b32 vcc_lo, exec_lo, s1
	s_cbranch_vccnz .LBB392_111
; %bb.110:
	v_cvt_f32_f64_e32 v2, v[0:1]
	s_delay_alu instid0(VALU_DEP_1) | instskip(NEXT) | instid1(VALU_DEP_1)
	v_cvt_f16_f32_e32 v2, v2
	v_and_b32_e32 v2, 0xffff, v2
	global_store_b32 v[4:5], v2, off
.LBB392_111:
	s_mov_b32 s1, 0
.LBB392_112:
	s_delay_alu instid0(SALU_CYCLE_1)
	s_and_not1_b32 vcc_lo, exec_lo, s1
	s_cbranch_vccnz .LBB392_121
; %bb.113:
	v_cmp_gt_i16_e32 vcc_lo, 6, v6
	s_mov_b32 s1, -1
	s_cbranch_vccnz .LBB392_119
; %bb.114:
	v_cmp_lt_i16_e32 vcc_lo, 6, v6
	s_cbranch_vccz .LBB392_116
; %bb.115:
	s_mov_b32 s1, 0
	global_store_b64 v[4:5], v[0:1], off
.LBB392_116:
	s_and_not1_b32 vcc_lo, exec_lo, s1
	s_cbranch_vccnz .LBB392_118
; %bb.117:
	v_cvt_f32_f64_e32 v2, v[0:1]
	global_store_b32 v[4:5], v2, off
.LBB392_118:
	s_mov_b32 s1, 0
.LBB392_119:
	s_delay_alu instid0(SALU_CYCLE_1)
	s_and_not1_b32 vcc_lo, exec_lo, s1
	s_cbranch_vccnz .LBB392_121
; %bb.120:
	v_cvt_f32_f64_e32 v2, v[0:1]
	s_delay_alu instid0(VALU_DEP_1)
	v_cvt_f16_f32_e32 v2, v2
	global_store_b16 v[4:5], v2, off
.LBB392_121:
	s_mov_b32 s1, 0
.LBB392_122:
	s_delay_alu instid0(SALU_CYCLE_1)
	s_and_not1_b32 vcc_lo, exec_lo, s1
	s_cbranch_vccnz .LBB392_138
; %bb.123:
	v_cmp_gt_i16_e32 vcc_lo, 2, v6
	s_mov_b32 s1, -1
	s_cbranch_vccnz .LBB392_133
; %bb.124:
	v_cmp_gt_i16_e32 vcc_lo, 3, v6
	s_cbranch_vccnz .LBB392_130
; %bb.125:
	v_cmp_lt_i16_e32 vcc_lo, 3, v6
	s_cbranch_vccz .LBB392_127
; %bb.126:
	v_trunc_f64_e32 v[2:3], v[0:1]
	s_mov_b32 s1, 0
	s_delay_alu instid0(VALU_DEP_1) | instskip(NEXT) | instid1(VALU_DEP_1)
	v_ldexp_f64 v[7:8], v[2:3], 0xffffffe0
	v_floor_f64_e32 v[7:8], v[7:8]
	s_delay_alu instid0(VALU_DEP_1) | instskip(SKIP_1) | instid1(VALU_DEP_2)
	v_fma_f64 v[2:3], 0xc1f00000, v[7:8], v[2:3]
	v_cvt_i32_f64_e32 v8, v[7:8]
	v_cvt_u32_f64_e32 v7, v[2:3]
	global_store_b64 v[4:5], v[7:8], off
.LBB392_127:
	s_and_not1_b32 vcc_lo, exec_lo, s1
	s_cbranch_vccnz .LBB392_129
; %bb.128:
	v_cvt_i32_f64_e32 v2, v[0:1]
	global_store_b32 v[4:5], v2, off
.LBB392_129:
	s_mov_b32 s1, 0
.LBB392_130:
	s_delay_alu instid0(SALU_CYCLE_1)
	s_and_not1_b32 vcc_lo, exec_lo, s1
	s_cbranch_vccnz .LBB392_132
; %bb.131:
	v_cvt_i32_f64_e32 v2, v[0:1]
	global_store_b16 v[4:5], v2, off
.LBB392_132:
	s_mov_b32 s1, 0
.LBB392_133:
	s_delay_alu instid0(SALU_CYCLE_1)
	s_and_not1_b32 vcc_lo, exec_lo, s1
	s_cbranch_vccnz .LBB392_138
; %bb.134:
	v_cmp_lt_i16_e32 vcc_lo, 0, v6
	s_mov_b32 s1, -1
	s_cbranch_vccz .LBB392_136
; %bb.135:
	v_cvt_i32_f64_e32 v2, v[0:1]
	s_mov_b32 s1, 0
	global_store_b8 v[4:5], v2, off
.LBB392_136:
	s_and_not1_b32 vcc_lo, exec_lo, s1
	s_cbranch_vccnz .LBB392_138
; %bb.137:
	v_trunc_f64_e32 v[0:1], v[0:1]
	s_delay_alu instid0(VALU_DEP_1) | instskip(NEXT) | instid1(VALU_DEP_1)
	v_ldexp_f64 v[2:3], v[0:1], 0xffffffe0
	v_floor_f64_e32 v[2:3], v[2:3]
	s_delay_alu instid0(VALU_DEP_1) | instskip(NEXT) | instid1(VALU_DEP_1)
	v_fma_f64 v[0:1], 0xc1f00000, v[2:3], v[0:1]
	v_cvt_u32_f64_e32 v0, v[0:1]
	global_store_b8 v[4:5], v0, off
.LBB392_138:
.LBB392_139:
	v_add_nc_u32_e32 v12, 0x80, v12
	s_mov_b32 s1, -1
	s_branch .LBB392_250
.LBB392_140:
	s_mov_b32 s15, -1
                                        ; implicit-def: $vgpr2_vgpr3
.LBB392_141:
	s_mov_b32 s1, 0
.LBB392_142:
	s_delay_alu instid0(SALU_CYCLE_1)
	s_and_b32 vcc_lo, exec_lo, s1
	s_cbranch_vccz .LBB392_146
; %bb.143:
	v_cmp_eq_u16_e32 vcc_lo, 29, v10
	s_cbranch_vccz .LBB392_145
; %bb.144:
	global_load_b64 v[2:3], v[0:1], off
	s_mov_b32 s0, -1
	s_mov_b32 s15, 0
	s_mov_b32 s1, 0
	s_waitcnt vmcnt(0)
	v_cvt_f64_u32_e32 v[3:4], v3
	v_cvt_f64_u32_e32 v[5:6], v2
	s_delay_alu instid0(VALU_DEP_2) | instskip(NEXT) | instid1(VALU_DEP_1)
	v_ldexp_f64 v[3:4], v[3:4], 32
	v_add_f64 v[2:3], v[3:4], v[5:6]
	s_branch .LBB392_147
.LBB392_145:
	s_mov_b32 s15, -1
                                        ; implicit-def: $vgpr2_vgpr3
.LBB392_146:
	s_mov_b32 s1, 0
.LBB392_147:
	s_delay_alu instid0(SALU_CYCLE_1)
	s_and_b32 vcc_lo, exec_lo, s1
	s_cbranch_vccz .LBB392_167
; %bb.148:
	v_cmp_gt_i16_e32 vcc_lo, 27, v10
	s_cbranch_vccnz .LBB392_151
; %bb.149:
	v_cmp_lt_i16_e32 vcc_lo, 27, v10
	s_cbranch_vccz .LBB392_152
; %bb.150:
	global_load_b32 v2, v[0:1], off
	s_mov_b32 s0, 0
	s_waitcnt vmcnt(0)
	v_cvt_f64_u32_e32 v[2:3], v2
	s_branch .LBB392_153
.LBB392_151:
	s_mov_b32 s0, -1
                                        ; implicit-def: $vgpr2_vgpr3
	s_branch .LBB392_156
.LBB392_152:
	s_mov_b32 s0, -1
                                        ; implicit-def: $vgpr2_vgpr3
.LBB392_153:
	s_delay_alu instid0(SALU_CYCLE_1)
	s_and_not1_b32 vcc_lo, exec_lo, s0
	s_cbranch_vccnz .LBB392_155
; %bb.154:
	global_load_u16 v2, v[0:1], off
	s_waitcnt vmcnt(0)
	v_cvt_f64_u32_e32 v[2:3], v2
.LBB392_155:
	s_mov_b32 s0, 0
.LBB392_156:
	s_delay_alu instid0(SALU_CYCLE_1)
	s_and_not1_b32 vcc_lo, exec_lo, s0
	s_cbranch_vccnz .LBB392_166
; %bb.157:
	global_load_u8 v4, v[0:1], off
	s_mov_b32 s18, exec_lo
                                        ; implicit-def: $sgpr0_sgpr1
	s_waitcnt vmcnt(0)
	v_cmpx_lt_i16_e32 0x7f, v4
	s_xor_b32 s18, exec_lo, s18
	s_cbranch_execz .LBB392_161
; %bb.158:
	s_mov_b32 s19, -1
	s_mov_b32 s13, exec_lo
                                        ; implicit-def: $sgpr0_sgpr1
	v_cmpx_eq_u16_e32 0x80, v4
; %bb.159:
	s_mov_b32 s1, 0x7ff80000
	s_brev_b32 s0, 4
	s_xor_b32 s19, exec_lo, -1
; %bb.160:
	s_or_b32 exec_lo, exec_lo, s13
	s_delay_alu instid0(SALU_CYCLE_1)
	s_and_b32 s13, s19, exec_lo
.LBB392_161:
	s_or_saveexec_b32 s18, s18
	v_dual_mov_b32 v3, s1 :: v_dual_mov_b32 v2, s0
	s_xor_b32 exec_lo, exec_lo, s18
; %bb.162:
	v_cmp_ne_u16_e32 vcc_lo, 0, v4
	v_mov_b32_e32 v2, 0
	v_mov_b32_e32 v3, 0
	s_and_not1_b32 s0, s13, exec_lo
	s_and_b32 s1, vcc_lo, exec_lo
	s_delay_alu instid0(SALU_CYCLE_1)
	s_or_b32 s13, s0, s1
; %bb.163:
	s_or_b32 exec_lo, exec_lo, s18
	s_and_saveexec_b32 s0, s13
	s_cbranch_execz .LBB392_165
; %bb.164:
	v_and_b32_e32 v2, 0xffff, v4
	v_lshlrev_b32_e32 v4, 24, v4
	s_delay_alu instid0(VALU_DEP_2) | instskip(NEXT) | instid1(VALU_DEP_2)
	v_and_b32_e32 v3, 7, v2
	v_and_b32_e32 v4, 0x80000000, v4
	s_delay_alu instid0(VALU_DEP_2) | instskip(NEXT) | instid1(VALU_DEP_1)
	v_clz_i32_u32_e32 v5, v3
	v_min_u32_e32 v5, 32, v5
	s_delay_alu instid0(VALU_DEP_1) | instskip(SKIP_1) | instid1(VALU_DEP_2)
	v_subrev_nc_u32_e32 v6, 28, v5
	v_sub_nc_u32_e32 v5, 29, v5
	v_lshlrev_b32_e32 v6, v6, v2
	v_bfe_u32 v2, v2, 3, 4
	s_delay_alu instid0(VALU_DEP_2) | instskip(NEXT) | instid1(VALU_DEP_2)
	v_and_b32_e32 v6, 7, v6
	v_cmp_eq_u32_e32 vcc_lo, 0, v2
	s_delay_alu instid0(VALU_DEP_2) | instskip(NEXT) | instid1(VALU_DEP_1)
	v_dual_cndmask_b32 v2, v2, v5 :: v_dual_cndmask_b32 v3, v3, v6
	v_lshl_add_u32 v2, v2, 23, 0x3b800000
	s_delay_alu instid0(VALU_DEP_2) | instskip(NEXT) | instid1(VALU_DEP_1)
	v_lshlrev_b32_e32 v3, 20, v3
	v_or3_b32 v2, v4, v2, v3
	s_delay_alu instid0(VALU_DEP_1)
	v_cvt_f64_f32_e32 v[2:3], v2
.LBB392_165:
	s_or_b32 exec_lo, exec_lo, s0
.LBB392_166:
	s_mov_b32 s0, -1
.LBB392_167:
	s_branch .LBB392_200
.LBB392_168:
	v_cmp_lt_i16_e32 vcc_lo, 22, v10
	s_cbranch_vccz .LBB392_180
; %bb.169:
	v_cmp_gt_i16_e32 vcc_lo, 24, v10
	s_cbranch_vccnz .LBB392_181
; %bb.170:
	v_cmp_lt_i16_e32 vcc_lo, 24, v10
	s_cbranch_vccz .LBB392_182
; %bb.171:
	global_load_u8 v4, v[0:1], off
	s_mov_b32 s13, 0
	s_mov_b32 s18, exec_lo
                                        ; implicit-def: $sgpr0_sgpr1
	s_waitcnt vmcnt(0)
	v_cmpx_lt_i16_e32 0x7f, v4
	s_xor_b32 s18, exec_lo, s18
	s_cbranch_execz .LBB392_175
; %bb.172:
	s_mov_b32 s19, -1
	s_mov_b32 s13, exec_lo
                                        ; implicit-def: $sgpr0_sgpr1
	v_cmpx_eq_u16_e32 0x80, v4
; %bb.173:
	s_mov_b32 s1, 0x7ff80000
	s_brev_b32 s0, 4
	s_xor_b32 s19, exec_lo, -1
; %bb.174:
	s_or_b32 exec_lo, exec_lo, s13
	s_delay_alu instid0(SALU_CYCLE_1)
	s_and_b32 s13, s19, exec_lo
.LBB392_175:
	s_or_saveexec_b32 s18, s18
	v_dual_mov_b32 v3, s1 :: v_dual_mov_b32 v2, s0
	s_xor_b32 exec_lo, exec_lo, s18
; %bb.176:
	v_cmp_ne_u16_e32 vcc_lo, 0, v4
	v_mov_b32_e32 v2, 0
	v_mov_b32_e32 v3, 0
	s_and_not1_b32 s0, s13, exec_lo
	s_and_b32 s1, vcc_lo, exec_lo
	s_delay_alu instid0(SALU_CYCLE_1)
	s_or_b32 s13, s0, s1
; %bb.177:
	s_or_b32 exec_lo, exec_lo, s18
	s_and_saveexec_b32 s0, s13
	s_cbranch_execz .LBB392_179
; %bb.178:
	v_and_b32_e32 v2, 0xffff, v4
	v_lshlrev_b32_e32 v4, 24, v4
	s_delay_alu instid0(VALU_DEP_2) | instskip(NEXT) | instid1(VALU_DEP_2)
	v_and_b32_e32 v3, 3, v2
	v_and_b32_e32 v4, 0x80000000, v4
	s_delay_alu instid0(VALU_DEP_2) | instskip(NEXT) | instid1(VALU_DEP_1)
	v_clz_i32_u32_e32 v5, v3
	v_min_u32_e32 v5, 32, v5
	s_delay_alu instid0(VALU_DEP_1) | instskip(SKIP_1) | instid1(VALU_DEP_2)
	v_subrev_nc_u32_e32 v6, 29, v5
	v_sub_nc_u32_e32 v5, 30, v5
	v_lshlrev_b32_e32 v6, v6, v2
	v_bfe_u32 v2, v2, 2, 5
	s_delay_alu instid0(VALU_DEP_2) | instskip(NEXT) | instid1(VALU_DEP_2)
	v_and_b32_e32 v6, 3, v6
	v_cmp_eq_u32_e32 vcc_lo, 0, v2
	s_delay_alu instid0(VALU_DEP_2) | instskip(NEXT) | instid1(VALU_DEP_1)
	v_dual_cndmask_b32 v2, v2, v5 :: v_dual_cndmask_b32 v3, v3, v6
	v_lshl_add_u32 v2, v2, 23, 0x37800000
	s_delay_alu instid0(VALU_DEP_2) | instskip(NEXT) | instid1(VALU_DEP_1)
	v_lshlrev_b32_e32 v3, 21, v3
	v_or3_b32 v2, v4, v2, v3
	s_delay_alu instid0(VALU_DEP_1)
	v_cvt_f64_f32_e32 v[2:3], v2
.LBB392_179:
	s_or_b32 exec_lo, exec_lo, s0
	s_mov_b32 s0, 0
	s_branch .LBB392_183
.LBB392_180:
	s_mov_b32 s1, -1
                                        ; implicit-def: $vgpr2_vgpr3
	s_branch .LBB392_189
.LBB392_181:
	s_mov_b32 s0, -1
                                        ; implicit-def: $vgpr2_vgpr3
	s_branch .LBB392_186
.LBB392_182:
	s_mov_b32 s0, -1
                                        ; implicit-def: $vgpr2_vgpr3
.LBB392_183:
	s_delay_alu instid0(SALU_CYCLE_1)
	s_and_b32 vcc_lo, exec_lo, s0
	s_cbranch_vccz .LBB392_185
; %bb.184:
	global_load_u8 v2, v[0:1], off
	s_waitcnt vmcnt(0)
	v_lshlrev_b32_e32 v2, 24, v2
	s_delay_alu instid0(VALU_DEP_1) | instskip(NEXT) | instid1(VALU_DEP_1)
	v_and_b32_e32 v3, 0x7f000000, v2
	v_clz_i32_u32_e32 v4, v3
	v_add_nc_u32_e32 v6, 0x1000000, v3
	v_cmp_ne_u32_e32 vcc_lo, 0, v3
	s_delay_alu instid0(VALU_DEP_3) | instskip(NEXT) | instid1(VALU_DEP_1)
	v_min_u32_e32 v4, 32, v4
	v_sub_nc_u32_e64 v4, v4, 4 clamp
	s_delay_alu instid0(VALU_DEP_1) | instskip(SKIP_1) | instid1(VALU_DEP_2)
	v_lshlrev_b32_e32 v5, v4, v3
	v_lshlrev_b32_e32 v4, 23, v4
	v_lshrrev_b32_e32 v5, 4, v5
	s_delay_alu instid0(VALU_DEP_1) | instskip(SKIP_1) | instid1(VALU_DEP_2)
	v_sub_nc_u32_e32 v4, v5, v4
	v_ashrrev_i32_e32 v5, 8, v6
	v_add_nc_u32_e32 v4, 0x3c000000, v4
	s_delay_alu instid0(VALU_DEP_1) | instskip(NEXT) | instid1(VALU_DEP_1)
	v_and_or_b32 v4, 0x7f800000, v5, v4
	v_cndmask_b32_e32 v3, 0, v4, vcc_lo
	s_delay_alu instid0(VALU_DEP_1) | instskip(NEXT) | instid1(VALU_DEP_1)
	v_and_or_b32 v2, 0x80000000, v2, v3
	v_cvt_f64_f32_e32 v[2:3], v2
.LBB392_185:
	s_mov_b32 s0, 0
.LBB392_186:
	s_delay_alu instid0(SALU_CYCLE_1)
	s_and_not1_b32 vcc_lo, exec_lo, s0
	s_cbranch_vccnz .LBB392_188
; %bb.187:
	global_load_u8 v2, v[0:1], off
	s_waitcnt vmcnt(0)
	v_lshlrev_b32_e32 v3, 25, v2
	v_lshlrev_b16 v2, 8, v2
	s_delay_alu instid0(VALU_DEP_2) | instskip(NEXT) | instid1(VALU_DEP_2)
	v_lshrrev_b32_e32 v4, 4, v3
	v_and_or_b32 v5, 0x7f00, v2, 0.5
	v_bfe_i32 v2, v2, 0, 16
	s_delay_alu instid0(VALU_DEP_3) | instskip(NEXT) | instid1(VALU_DEP_1)
	v_or_b32_e32 v4, 0x70000000, v4
	v_dual_add_f32 v5, -0.5, v5 :: v_dual_mul_f32 v4, 0x7800000, v4
	v_cmp_gt_u32_e32 vcc_lo, 0x8000000, v3
	s_delay_alu instid0(VALU_DEP_2) | instskip(NEXT) | instid1(VALU_DEP_1)
	v_cndmask_b32_e32 v3, v4, v5, vcc_lo
	v_and_or_b32 v2, 0x80000000, v2, v3
	s_delay_alu instid0(VALU_DEP_1)
	v_cvt_f64_f32_e32 v[2:3], v2
.LBB392_188:
	s_mov_b32 s1, 0
	s_mov_b32 s0, -1
.LBB392_189:
	s_and_not1_b32 vcc_lo, exec_lo, s1
	s_cbranch_vccnz .LBB392_200
; %bb.190:
	v_cmp_lt_i16_e32 vcc_lo, 14, v10
	s_cbranch_vccz .LBB392_193
; %bb.191:
	v_cmp_eq_u16_e32 vcc_lo, 15, v10
	s_cbranch_vccz .LBB392_194
; %bb.192:
	global_load_u16 v2, v[0:1], off
	s_mov_b32 s0, -1
	s_mov_b32 s15, 0
	s_waitcnt vmcnt(0)
	v_lshlrev_b32_e32 v2, 16, v2
	s_delay_alu instid0(VALU_DEP_1)
	v_cvt_f64_f32_e32 v[2:3], v2
	s_branch .LBB392_195
.LBB392_193:
	s_mov_b32 s1, -1
                                        ; implicit-def: $vgpr2_vgpr3
	s_branch .LBB392_196
.LBB392_194:
	s_mov_b32 s15, -1
                                        ; implicit-def: $vgpr2_vgpr3
.LBB392_195:
	s_mov_b32 s1, 0
.LBB392_196:
	s_delay_alu instid0(SALU_CYCLE_1)
	s_and_b32 vcc_lo, exec_lo, s1
	s_cbranch_vccz .LBB392_200
; %bb.197:
	v_cmp_eq_u16_e32 vcc_lo, 11, v10
	s_cbranch_vccz .LBB392_199
; %bb.198:
	global_load_u8 v2, v[0:1], off
	s_mov_b32 s15, 0
	s_mov_b32 s0, -1
	s_waitcnt vmcnt(0)
	v_cmp_ne_u16_e32 vcc_lo, 0, v2
	v_mov_b32_e32 v2, 0
	v_cndmask_b32_e64 v3, 0, 0x3ff00000, vcc_lo
	s_branch .LBB392_200
.LBB392_199:
	s_mov_b32 s15, -1
                                        ; implicit-def: $vgpr2_vgpr3
.LBB392_200:
	s_branch .LBB392_10
.LBB392_201:
	v_cmp_gt_i16_e32 vcc_lo, 5, v10
	s_cbranch_vccnz .LBB392_206
; %bb.202:
	v_cmp_gt_i16_e32 vcc_lo, 8, v10
	s_cbranch_vccnz .LBB392_207
; %bb.203:
	;; [unrolled: 3-line block ×3, first 2 shown]
	v_cmp_lt_i16_e32 vcc_lo, 9, v10
	s_cbranch_vccz .LBB392_209
; %bb.205:
	global_load_b64 v[2:3], v[0:1], off
	s_mov_b32 s0, 0
	s_branch .LBB392_210
.LBB392_206:
                                        ; implicit-def: $vgpr2_vgpr3
	s_branch .LBB392_228
.LBB392_207:
	s_mov_b32 s0, -1
                                        ; implicit-def: $vgpr2_vgpr3
	s_branch .LBB392_216
.LBB392_208:
	s_mov_b32 s0, -1
                                        ; implicit-def: $vgpr2_vgpr3
	s_branch .LBB392_213
.LBB392_209:
	s_mov_b32 s0, -1
                                        ; implicit-def: $vgpr2_vgpr3
.LBB392_210:
	s_delay_alu instid0(SALU_CYCLE_1)
	s_and_not1_b32 vcc_lo, exec_lo, s0
	s_cbranch_vccnz .LBB392_212
; %bb.211:
	global_load_b32 v2, v[0:1], off
	s_waitcnt vmcnt(0)
	v_cvt_f64_f32_e32 v[2:3], v2
.LBB392_212:
	s_mov_b32 s0, 0
.LBB392_213:
	s_delay_alu instid0(SALU_CYCLE_1)
	s_and_not1_b32 vcc_lo, exec_lo, s0
	s_cbranch_vccnz .LBB392_215
; %bb.214:
	global_load_b32 v2, v[0:1], off
	s_waitcnt vmcnt(0)
	v_cvt_f32_f16_e32 v2, v2
	s_delay_alu instid0(VALU_DEP_1)
	v_cvt_f64_f32_e32 v[2:3], v2
.LBB392_215:
	s_mov_b32 s0, 0
.LBB392_216:
	s_delay_alu instid0(SALU_CYCLE_1)
	s_and_not1_b32 vcc_lo, exec_lo, s0
	s_cbranch_vccnz .LBB392_227
; %bb.217:
	v_cmp_gt_i16_e32 vcc_lo, 6, v10
	s_cbranch_vccnz .LBB392_220
; %bb.218:
	v_cmp_lt_i16_e32 vcc_lo, 6, v10
	s_cbranch_vccz .LBB392_221
; %bb.219:
	global_load_b64 v[2:3], v[0:1], off
	s_mov_b32 s0, 0
	s_branch .LBB392_222
.LBB392_220:
	s_mov_b32 s0, -1
                                        ; implicit-def: $vgpr2_vgpr3
	s_branch .LBB392_225
.LBB392_221:
	s_mov_b32 s0, -1
                                        ; implicit-def: $vgpr2_vgpr3
.LBB392_222:
	s_delay_alu instid0(SALU_CYCLE_1)
	s_and_not1_b32 vcc_lo, exec_lo, s0
	s_cbranch_vccnz .LBB392_224
; %bb.223:
	global_load_b32 v2, v[0:1], off
	s_waitcnt vmcnt(0)
	v_cvt_f64_f32_e32 v[2:3], v2
.LBB392_224:
	s_mov_b32 s0, 0
.LBB392_225:
	s_delay_alu instid0(SALU_CYCLE_1)
	s_and_not1_b32 vcc_lo, exec_lo, s0
	s_cbranch_vccnz .LBB392_227
; %bb.226:
	global_load_u16 v2, v[0:1], off
	s_waitcnt vmcnt(0)
	v_cvt_f32_f16_e32 v2, v2
	s_delay_alu instid0(VALU_DEP_1)
	v_cvt_f64_f32_e32 v[2:3], v2
.LBB392_227:
	s_cbranch_execnz .LBB392_247
.LBB392_228:
	v_cmp_gt_i16_e32 vcc_lo, 2, v10
	s_cbranch_vccnz .LBB392_232
; %bb.229:
	v_cmp_gt_i16_e32 vcc_lo, 3, v10
	s_cbranch_vccnz .LBB392_233
; %bb.230:
	v_cmp_lt_i16_e32 vcc_lo, 3, v10
	s_cbranch_vccz .LBB392_234
; %bb.231:
	global_load_b64 v[2:3], v[0:1], off
	s_mov_b32 s0, 0
	s_waitcnt vmcnt(0)
	v_cvt_f64_i32_e32 v[3:4], v3
	v_cvt_f64_u32_e32 v[5:6], v2
	s_delay_alu instid0(VALU_DEP_2) | instskip(NEXT) | instid1(VALU_DEP_1)
	v_ldexp_f64 v[3:4], v[3:4], 32
	v_add_f64 v[2:3], v[3:4], v[5:6]
	s_branch .LBB392_235
.LBB392_232:
	s_mov_b32 s0, -1
                                        ; implicit-def: $vgpr2_vgpr3
	s_branch .LBB392_241
.LBB392_233:
	s_mov_b32 s0, -1
                                        ; implicit-def: $vgpr2_vgpr3
	s_branch .LBB392_238
.LBB392_234:
	s_mov_b32 s0, -1
                                        ; implicit-def: $vgpr2_vgpr3
.LBB392_235:
	s_delay_alu instid0(SALU_CYCLE_1)
	s_and_not1_b32 vcc_lo, exec_lo, s0
	s_cbranch_vccnz .LBB392_237
; %bb.236:
	global_load_b32 v2, v[0:1], off
	s_waitcnt vmcnt(0)
	v_cvt_f64_i32_e32 v[2:3], v2
.LBB392_237:
	s_mov_b32 s0, 0
.LBB392_238:
	s_delay_alu instid0(SALU_CYCLE_1)
	s_and_not1_b32 vcc_lo, exec_lo, s0
	s_cbranch_vccnz .LBB392_240
; %bb.239:
	global_load_i16 v2, v[0:1], off
	s_waitcnt vmcnt(0)
	v_cvt_f64_i32_e32 v[2:3], v2
.LBB392_240:
	s_mov_b32 s0, 0
.LBB392_241:
	s_delay_alu instid0(SALU_CYCLE_1)
	s_and_not1_b32 vcc_lo, exec_lo, s0
	s_cbranch_vccnz .LBB392_247
; %bb.242:
	v_cmp_lt_i16_e32 vcc_lo, 0, v10
	s_mov_b32 s0, 0
	s_cbranch_vccz .LBB392_244
; %bb.243:
	global_load_i8 v2, v[0:1], off
	s_waitcnt vmcnt(0)
	v_cvt_f64_i32_e32 v[2:3], v2
	s_branch .LBB392_245
.LBB392_244:
	s_mov_b32 s0, -1
                                        ; implicit-def: $vgpr2_vgpr3
.LBB392_245:
	s_delay_alu instid0(SALU_CYCLE_1)
	s_and_not1_b32 vcc_lo, exec_lo, s0
	s_cbranch_vccnz .LBB392_247
; %bb.246:
	global_load_u8 v0, v[0:1], off
	s_waitcnt vmcnt(0)
	v_cvt_f64_u32_e32 v[2:3], v0
.LBB392_247:
	s_branch .LBB392_11
.LBB392_248:
	s_mov_b32 s0, 0
.LBB392_249:
	s_mov_b32 s1, 0
                                        ; implicit-def: $vgpr12
.LBB392_250:
	s_and_b32 s13, s0, exec_lo
	s_and_b32 s15, s15, exec_lo
	s_or_not1_b32 s1, s1, exec_lo
.LBB392_251:
	s_or_b32 exec_lo, exec_lo, s16
	s_mov_b32 s18, 0
	s_mov_b32 s0, 0
                                        ; implicit-def: $vgpr0_vgpr1
                                        ; implicit-def: $vgpr2_vgpr3
	s_and_saveexec_b32 s16, s1
	s_cbranch_execz .LBB392_859
; %bb.252:
	s_mov_b32 s21, -1
	s_mov_b32 s17, s15
	s_mov_b32 s18, s13
	s_mov_b32 s19, exec_lo
	v_cmpx_gt_i32_e64 s14, v12
	s_cbranch_execz .LBB392_511
; %bb.253:
	v_mul_lo_u32 v0, v12, s9
	v_cmp_gt_i16_e32 vcc_lo, 11, v10
	s_delay_alu instid0(VALU_DEP_2) | instskip(SKIP_1) | instid1(VALU_DEP_1)
	v_ashrrev_i32_e32 v1, 31, v0
	v_add_co_u32 v0, s0, s6, v0
	v_add_co_ci_u32_e64 v1, s0, s7, v1, s0
	s_cbranch_vccnz .LBB392_260
; %bb.254:
	v_cmp_lt_i16_e32 vcc_lo, 25, v10
	s_cbranch_vccz .LBB392_269
; %bb.255:
	v_cmp_lt_i16_e32 vcc_lo, 28, v10
	s_cbranch_vccz .LBB392_271
	;; [unrolled: 3-line block ×4, first 2 shown]
; %bb.258:
	v_cmp_eq_u16_e32 vcc_lo, 46, v10
	s_mov_b32 s1, 0
	s_cbranch_vccz .LBB392_281
; %bb.259:
	global_load_b32 v2, v[0:1], off
	s_mov_b32 s0, -1
	s_mov_b32 s17, 0
	s_waitcnt vmcnt(0)
	v_lshlrev_b32_e32 v2, 16, v2
	s_delay_alu instid0(VALU_DEP_1)
	v_cvt_f64_f32_e32 v[2:3], v2
	s_branch .LBB392_283
.LBB392_260:
	s_mov_b32 s0, 0
	s_mov_b32 s17, s15
                                        ; implicit-def: $vgpr2_vgpr3
	s_cbranch_execnz .LBB392_460
.LBB392_261:
	s_and_not1_b32 vcc_lo, exec_lo, s0
	s_cbranch_vccnz .LBB392_508
.LBB392_262:
	v_max_f64 v[0:1], s[10:11], s[10:11]
	s_waitcnt vmcnt(0)
	s_delay_alu instid0(VALU_DEP_2) | instskip(SKIP_2) | instid1(VALU_DEP_1)
	v_max_f64 v[4:5], v[2:3], v[2:3]
	v_cmp_u_f64_e32 vcc_lo, v[2:3], v[2:3]
	v_and_b32_e64 v6, 0xff, s2
	v_cmp_gt_i16_e64 s0, 11, v6
	s_delay_alu instid0(VALU_DEP_4) | instskip(SKIP_1) | instid1(VALU_DEP_1)
	v_max_f64 v[0:1], v[4:5], v[0:1]
	v_mul_lo_u32 v4, v12, s8
	v_ashrrev_i32_e32 v5, 31, v4
	v_add_co_u32 v4, s1, s4, v4
	s_delay_alu instid0(VALU_DEP_1)
	v_add_co_ci_u32_e64 v5, s1, s5, v5, s1
	v_dual_cndmask_b32 v1, v1, v3 :: v_dual_cndmask_b32 v0, v0, v2
	s_and_b32 vcc_lo, exec_lo, s0
	s_cbranch_vccnz .LBB392_270
; %bb.263:
	v_cmp_lt_i16_e32 vcc_lo, 25, v6
	s_cbranch_vccz .LBB392_272
; %bb.264:
	v_cmp_lt_i16_e32 vcc_lo, 28, v6
	s_cbranch_vccz .LBB392_274
	;; [unrolled: 3-line block ×4, first 2 shown]
; %bb.267:
	v_cmp_eq_u16_e32 vcc_lo, 46, v6
	s_mov_b32 s18, 0
	s_mov_b32 s0, -1
	s_mov_b32 s1, 0
	s_cbranch_vccz .LBB392_287
; %bb.268:
	v_cvt_f32_f64_e32 v2, v[0:1]
	s_mov_b32 s1, -1
	s_mov_b32 s0, 0
	s_delay_alu instid0(VALU_DEP_1) | instskip(SKIP_1) | instid1(VALU_DEP_2)
	v_bfe_u32 v3, v2, 16, 1
	v_cmp_o_f32_e32 vcc_lo, v2, v2
	v_add3_u32 v3, v2, v3, 0x7fff
	s_delay_alu instid0(VALU_DEP_1) | instskip(NEXT) | instid1(VALU_DEP_1)
	v_lshrrev_b32_e32 v3, 16, v3
	v_cndmask_b32_e32 v2, 0x7fc0, v3, vcc_lo
	global_store_b32 v[4:5], v2, off
	s_branch .LBB392_287
.LBB392_269:
	s_mov_b32 s1, -1
	s_mov_b32 s0, 0
	s_mov_b32 s17, s15
                                        ; implicit-def: $vgpr2_vgpr3
	s_branch .LBB392_426
.LBB392_270:
	s_mov_b32 s18, -1
	s_mov_b32 s1, 0
	s_mov_b32 s0, s13
	s_branch .LBB392_356
.LBB392_271:
	s_mov_b32 s1, -1
	s_mov_b32 s0, 0
	s_mov_b32 s17, s15
                                        ; implicit-def: $vgpr2_vgpr3
	s_branch .LBB392_405
.LBB392_272:
	s_mov_b32 s18, -1
	s_mov_b32 s1, 0
	s_mov_b32 s0, s13
	s_branch .LBB392_314
.LBB392_273:
	s_mov_b32 s1, -1
	s_mov_b32 s0, 0
	s_mov_b32 s17, s15
                                        ; implicit-def: $vgpr2_vgpr3
	s_branch .LBB392_400
.LBB392_274:
	s_mov_b32 s18, -1
	s_mov_b32 s1, 0
	s_mov_b32 s0, s13
	s_branch .LBB392_297
.LBB392_275:
	s_or_saveexec_b32 s18, s18
                                        ; implicit-def: $sgpr19
	s_delay_alu instid0(SALU_CYCLE_1)
	s_xor_b32 exec_lo, exec_lo, s18
	s_cbranch_execz .LBB392_53
.LBB392_276:
	v_add_f32_e64 v3, 0x46000000, |v2|
	s_and_not1_b32 s13, s13, exec_lo
	s_mov_b32 s19, 0
	s_delay_alu instid0(VALU_DEP_1) | instskip(NEXT) | instid1(VALU_DEP_1)
	v_and_b32_e32 v3, 0xff, v3
	v_cmp_ne_u32_e32 vcc_lo, 0, v3
	s_and_b32 s20, vcc_lo, exec_lo
	s_delay_alu instid0(SALU_CYCLE_1)
	s_or_b32 s13, s13, s20
	s_or_b32 exec_lo, exec_lo, s18
	v_mov_b32_e32 v7, s19
	s_and_saveexec_b32 s18, s13
	s_cbranch_execnz .LBB392_54
	s_branch .LBB392_55
.LBB392_277:
	s_mov_b32 s1, -1
	s_mov_b32 s0, 0
	s_mov_b32 s17, s15
	s_branch .LBB392_282
.LBB392_278:
	s_mov_b32 s18, -1
	s_mov_b32 s1, 0
	s_mov_b32 s0, s13
	s_branch .LBB392_293
.LBB392_279:
	s_or_saveexec_b32 s18, s18
                                        ; implicit-def: $sgpr19
	s_delay_alu instid0(SALU_CYCLE_1)
	s_xor_b32 exec_lo, exec_lo, s18
	s_cbranch_execz .LBB392_66
.LBB392_280:
	v_add_f32_e64 v3, 0x42800000, |v2|
	s_and_not1_b32 s13, s13, exec_lo
	s_mov_b32 s19, 0
	s_delay_alu instid0(VALU_DEP_1) | instskip(NEXT) | instid1(VALU_DEP_1)
	v_and_b32_e32 v3, 0xff, v3
	v_cmp_ne_u32_e32 vcc_lo, 0, v3
	s_and_b32 s20, vcc_lo, exec_lo
	s_delay_alu instid0(SALU_CYCLE_1)
	s_or_b32 s13, s13, s20
	s_or_b32 exec_lo, exec_lo, s18
	v_mov_b32_e32 v7, s19
	s_and_saveexec_b32 s18, s13
	s_cbranch_execnz .LBB392_67
	s_branch .LBB392_68
.LBB392_281:
	s_mov_b32 s17, -1
	s_mov_b32 s0, 0
.LBB392_282:
                                        ; implicit-def: $vgpr2_vgpr3
.LBB392_283:
	s_and_b32 vcc_lo, exec_lo, s1
	s_cbranch_vccz .LBB392_399
; %bb.284:
	v_cmp_eq_u16_e32 vcc_lo, 44, v10
	s_cbranch_vccz .LBB392_398
; %bb.285:
	global_load_u8 v4, v[0:1], off
	s_mov_b32 s17, 0
	s_mov_b32 s0, -1
	s_waitcnt vmcnt(0)
	v_cmp_ne_u32_e32 vcc_lo, 0xff, v4
	v_lshlrev_b32_e32 v2, 23, v4
	s_delay_alu instid0(VALU_DEP_1) | instskip(NEXT) | instid1(VALU_DEP_1)
	v_cvt_f64_f32_e32 v[2:3], v2
	v_cndmask_b32_e32 v3, 0x7ff80000, v3, vcc_lo
	s_delay_alu instid0(VALU_DEP_2) | instskip(SKIP_1) | instid1(VALU_DEP_3)
	v_cndmask_b32_e32 v2, 0x20000000, v2, vcc_lo
	v_cmp_ne_u32_e32 vcc_lo, 0, v4
	v_cndmask_b32_e32 v3, 0x38000000, v3, vcc_lo
	s_delay_alu instid0(VALU_DEP_3)
	v_cndmask_b32_e32 v2, 0, v2, vcc_lo
	s_branch .LBB392_399
.LBB392_286:
	s_mov_b32 s18, -1
	s_mov_b32 s1, 0
	s_mov_b32 s0, s13
.LBB392_287:
	s_and_b32 vcc_lo, exec_lo, s18
	s_cbranch_vccz .LBB392_292
; %bb.288:
	v_cmp_eq_u16_e32 vcc_lo, 44, v6
	s_mov_b32 s0, -1
	s_cbranch_vccz .LBB392_292
; %bb.289:
	v_cvt_f32_f64_e32 v2, v[0:1]
	v_mov_b32_e32 v3, 0xff
	s_mov_b32 s1, exec_lo
	s_delay_alu instid0(VALU_DEP_2) | instskip(NEXT) | instid1(VALU_DEP_1)
	v_bfe_u32 v7, v2, 23, 8
	v_cmpx_ne_u32_e32 0xff, v7
; %bb.290:
	v_and_b32_e32 v3, 0x400000, v2
	v_and_or_b32 v7, 0x3fffff, v2, v7
	v_lshrrev_b32_e32 v2, 23, v2
	s_delay_alu instid0(VALU_DEP_3) | instskip(NEXT) | instid1(VALU_DEP_3)
	v_cmp_ne_u32_e32 vcc_lo, 0, v3
	v_cmp_ne_u32_e64 s0, 0, v7
	s_delay_alu instid0(VALU_DEP_1) | instskip(NEXT) | instid1(SALU_CYCLE_1)
	s_and_b32 s0, vcc_lo, s0
	v_cndmask_b32_e64 v3, 0, 1, s0
	s_delay_alu instid0(VALU_DEP_1)
	v_add_nc_u32_e32 v3, v2, v3
; %bb.291:
	s_or_b32 exec_lo, exec_lo, s1
	s_mov_b32 s1, -1
	s_mov_b32 s0, 0
	global_store_b8 v[4:5], v3, off
.LBB392_292:
	s_mov_b32 s18, 0
.LBB392_293:
	s_delay_alu instid0(SALU_CYCLE_1)
	s_and_b32 vcc_lo, exec_lo, s18
	s_cbranch_vccz .LBB392_296
; %bb.294:
	v_cmp_eq_u16_e32 vcc_lo, 29, v6
	s_mov_b32 s0, -1
	s_cbranch_vccz .LBB392_296
; %bb.295:
	v_trunc_f64_e32 v[2:3], v[0:1]
	s_mov_b32 s1, -1
	s_mov_b32 s0, 0
	s_mov_b32 s18, 0
	s_delay_alu instid0(VALU_DEP_1) | instskip(NEXT) | instid1(VALU_DEP_1)
	v_ldexp_f64 v[7:8], v[2:3], 0xffffffe0
	v_floor_f64_e32 v[7:8], v[7:8]
	s_delay_alu instid0(VALU_DEP_1) | instskip(SKIP_1) | instid1(VALU_DEP_2)
	v_fma_f64 v[2:3], 0xc1f00000, v[7:8], v[2:3]
	v_cvt_u32_f64_e32 v8, v[7:8]
	v_cvt_u32_f64_e32 v7, v[2:3]
	global_store_b64 v[4:5], v[7:8], off
	s_branch .LBB392_297
.LBB392_296:
	s_mov_b32 s18, 0
.LBB392_297:
	s_delay_alu instid0(SALU_CYCLE_1)
	s_and_b32 vcc_lo, exec_lo, s18
	s_cbranch_vccz .LBB392_313
; %bb.298:
	v_cmp_gt_i16_e32 vcc_lo, 27, v6
	s_mov_b32 s1, -1
	s_cbranch_vccnz .LBB392_304
; %bb.299:
	v_cmp_lt_i16_e32 vcc_lo, 27, v6
	s_cbranch_vccz .LBB392_301
; %bb.300:
	v_cvt_u32_f64_e32 v2, v[0:1]
	s_mov_b32 s1, 0
	global_store_b32 v[4:5], v2, off
.LBB392_301:
	s_and_not1_b32 vcc_lo, exec_lo, s1
	s_cbranch_vccnz .LBB392_303
; %bb.302:
	v_cvt_u32_f64_e32 v2, v[0:1]
	global_store_b16 v[4:5], v2, off
.LBB392_303:
	s_mov_b32 s1, 0
.LBB392_304:
	s_delay_alu instid0(SALU_CYCLE_1)
	s_and_not1_b32 vcc_lo, exec_lo, s1
	s_cbranch_vccnz .LBB392_312
; %bb.305:
	v_cvt_f32_f64_e32 v2, v[0:1]
	v_mov_b32_e32 v7, 0x80
	s_mov_b32 s1, exec_lo
	s_delay_alu instid0(VALU_DEP_2) | instskip(NEXT) | instid1(VALU_DEP_1)
	v_and_b32_e32 v3, 0x7fffffff, v2
	v_cmpx_gt_u32_e32 0x43800000, v3
	s_cbranch_execz .LBB392_311
; %bb.306:
	v_cmp_lt_u32_e32 vcc_lo, 0x3bffffff, v3
	s_mov_b32 s18, 0
                                        ; implicit-def: $vgpr3
	s_and_saveexec_b32 s20, vcc_lo
	s_delay_alu instid0(SALU_CYCLE_1)
	s_xor_b32 s20, exec_lo, s20
	s_cbranch_execz .LBB392_524
; %bb.307:
	v_bfe_u32 v3, v2, 20, 1
	s_mov_b32 s18, exec_lo
	s_delay_alu instid0(VALU_DEP_1) | instskip(NEXT) | instid1(VALU_DEP_1)
	v_add3_u32 v3, v2, v3, 0x487ffff
	v_lshrrev_b32_e32 v3, 20, v3
	s_or_saveexec_b32 s20, s20
                                        ; implicit-def: $sgpr21
	s_delay_alu instid0(SALU_CYCLE_1)
	s_xor_b32 exec_lo, exec_lo, s20
	s_cbranch_execnz .LBB392_525
.LBB392_308:
	s_or_b32 exec_lo, exec_lo, s20
	v_mov_b32_e32 v7, s21
	s_and_saveexec_b32 s20, s18
.LBB392_309:
	v_lshrrev_b32_e32 v2, 24, v2
	s_delay_alu instid0(VALU_DEP_1)
	v_and_or_b32 v7, 0x80, v2, v3
.LBB392_310:
	s_or_b32 exec_lo, exec_lo, s20
.LBB392_311:
	s_delay_alu instid0(SALU_CYCLE_1)
	s_or_b32 exec_lo, exec_lo, s1
	global_store_b8 v[4:5], v7, off
.LBB392_312:
	s_mov_b32 s1, -1
.LBB392_313:
	s_mov_b32 s18, 0
.LBB392_314:
	s_delay_alu instid0(SALU_CYCLE_1)
	s_and_b32 vcc_lo, exec_lo, s18
	s_cbranch_vccz .LBB392_355
; %bb.315:
	v_cmp_lt_i16_e32 vcc_lo, 22, v6
	s_mov_b32 s18, -1
	s_cbranch_vccz .LBB392_347
; %bb.316:
	v_cmp_gt_i16_e32 vcc_lo, 24, v6
	s_mov_b32 s1, -1
	s_cbranch_vccnz .LBB392_336
; %bb.317:
	v_cmp_lt_i16_e32 vcc_lo, 24, v6
	s_cbranch_vccz .LBB392_325
; %bb.318:
	v_cvt_f32_f64_e32 v2, v[0:1]
	v_mov_b32_e32 v7, 0x80
	s_mov_b32 s1, exec_lo
	s_delay_alu instid0(VALU_DEP_2) | instskip(NEXT) | instid1(VALU_DEP_1)
	v_and_b32_e32 v3, 0x7fffffff, v2
	v_cmpx_gt_u32_e32 0x47800000, v3
	s_cbranch_execz .LBB392_324
; %bb.319:
	v_cmp_lt_u32_e32 vcc_lo, 0x37ffffff, v3
	s_mov_b32 s18, 0
                                        ; implicit-def: $vgpr3
	s_and_saveexec_b32 s20, vcc_lo
	s_delay_alu instid0(SALU_CYCLE_1)
	s_xor_b32 s20, exec_lo, s20
	s_cbranch_execz .LBB392_527
; %bb.320:
	v_bfe_u32 v3, v2, 21, 1
	s_mov_b32 s18, exec_lo
	s_delay_alu instid0(VALU_DEP_1) | instskip(NEXT) | instid1(VALU_DEP_1)
	v_add3_u32 v3, v2, v3, 0x88fffff
	v_lshrrev_b32_e32 v3, 21, v3
	s_or_saveexec_b32 s20, s20
                                        ; implicit-def: $sgpr21
	s_delay_alu instid0(SALU_CYCLE_1)
	s_xor_b32 exec_lo, exec_lo, s20
	s_cbranch_execnz .LBB392_528
.LBB392_321:
	s_or_b32 exec_lo, exec_lo, s20
	v_mov_b32_e32 v7, s21
	s_and_saveexec_b32 s20, s18
.LBB392_322:
	v_lshrrev_b32_e32 v2, 24, v2
	s_delay_alu instid0(VALU_DEP_1)
	v_and_or_b32 v7, 0x80, v2, v3
.LBB392_323:
	s_or_b32 exec_lo, exec_lo, s20
.LBB392_324:
	s_delay_alu instid0(SALU_CYCLE_1)
	s_or_b32 exec_lo, exec_lo, s1
	s_mov_b32 s1, 0
	global_store_b8 v[4:5], v7, off
.LBB392_325:
	s_and_b32 vcc_lo, exec_lo, s1
	s_cbranch_vccz .LBB392_335
; %bb.326:
	v_cvt_f32_f64_e32 v2, v[0:1]
	s_mov_b32 s1, exec_lo
                                        ; implicit-def: $vgpr3
	s_delay_alu instid0(VALU_DEP_1) | instskip(NEXT) | instid1(VALU_DEP_1)
	v_and_b32_e32 v7, 0x7fffffff, v2
	v_cmpx_gt_u32_e32 0x43f00000, v7
	s_xor_b32 s1, exec_lo, s1
	s_cbranch_execz .LBB392_332
; %bb.327:
	s_mov_b32 s18, exec_lo
                                        ; implicit-def: $vgpr3
	v_cmpx_lt_u32_e32 0x3c7fffff, v7
	s_xor_b32 s18, exec_lo, s18
; %bb.328:
	v_bfe_u32 v3, v2, 20, 1
	s_delay_alu instid0(VALU_DEP_1) | instskip(NEXT) | instid1(VALU_DEP_1)
	v_add3_u32 v3, v2, v3, 0x407ffff
	v_and_b32_e32 v7, 0xff00000, v3
	v_lshrrev_b32_e32 v3, 20, v3
	s_delay_alu instid0(VALU_DEP_2) | instskip(NEXT) | instid1(VALU_DEP_2)
	v_cmp_ne_u32_e32 vcc_lo, 0x7f00000, v7
	v_cndmask_b32_e32 v3, 0x7e, v3, vcc_lo
; %bb.329:
	s_and_not1_saveexec_b32 s18, s18
; %bb.330:
	v_add_f32_e64 v3, 0x46800000, |v2|
; %bb.331:
	s_or_b32 exec_lo, exec_lo, s18
                                        ; implicit-def: $vgpr7
.LBB392_332:
	s_and_not1_saveexec_b32 s1, s1
; %bb.333:
	v_mov_b32_e32 v3, 0x7f
	v_cmp_lt_u32_e32 vcc_lo, 0x7f800000, v7
	s_delay_alu instid0(VALU_DEP_2)
	v_cndmask_b32_e32 v3, 0x7e, v3, vcc_lo
; %bb.334:
	s_or_b32 exec_lo, exec_lo, s1
	v_lshrrev_b32_e32 v2, 24, v2
	s_delay_alu instid0(VALU_DEP_1)
	v_and_or_b32 v2, 0x80, v2, v3
	global_store_b8 v[4:5], v2, off
.LBB392_335:
	s_mov_b32 s1, 0
.LBB392_336:
	s_delay_alu instid0(SALU_CYCLE_1)
	s_and_not1_b32 vcc_lo, exec_lo, s1
	s_cbranch_vccnz .LBB392_346
; %bb.337:
	v_cvt_f32_f64_e32 v2, v[0:1]
	s_mov_b32 s1, exec_lo
                                        ; implicit-def: $vgpr3
	s_delay_alu instid0(VALU_DEP_1) | instskip(NEXT) | instid1(VALU_DEP_1)
	v_and_b32_e32 v7, 0x7fffffff, v2
	v_cmpx_gt_u32_e32 0x47800000, v7
	s_xor_b32 s1, exec_lo, s1
	s_cbranch_execz .LBB392_343
; %bb.338:
	s_mov_b32 s18, exec_lo
                                        ; implicit-def: $vgpr3
	v_cmpx_lt_u32_e32 0x387fffff, v7
	s_xor_b32 s18, exec_lo, s18
; %bb.339:
	v_bfe_u32 v3, v2, 21, 1
	s_delay_alu instid0(VALU_DEP_1) | instskip(NEXT) | instid1(VALU_DEP_1)
	v_add3_u32 v3, v2, v3, 0x80fffff
	v_lshrrev_b32_e32 v3, 21, v3
; %bb.340:
	s_and_not1_saveexec_b32 s18, s18
; %bb.341:
	v_add_f32_e64 v3, 0x43000000, |v2|
; %bb.342:
	s_or_b32 exec_lo, exec_lo, s18
                                        ; implicit-def: $vgpr7
.LBB392_343:
	s_and_not1_saveexec_b32 s1, s1
; %bb.344:
	v_mov_b32_e32 v3, 0x7f
	v_cmp_lt_u32_e32 vcc_lo, 0x7f800000, v7
	s_delay_alu instid0(VALU_DEP_2)
	v_cndmask_b32_e32 v3, 0x7c, v3, vcc_lo
; %bb.345:
	s_or_b32 exec_lo, exec_lo, s1
	v_lshrrev_b32_e32 v2, 24, v2
	s_delay_alu instid0(VALU_DEP_1)
	v_and_or_b32 v2, 0x80, v2, v3
	global_store_b8 v[4:5], v2, off
.LBB392_346:
	s_mov_b32 s18, 0
	s_mov_b32 s1, -1
.LBB392_347:
	s_and_not1_b32 vcc_lo, exec_lo, s18
	s_cbranch_vccnz .LBB392_355
; %bb.348:
	v_cmp_lt_i16_e32 vcc_lo, 14, v6
	s_mov_b32 s18, -1
	s_cbranch_vccz .LBB392_352
; %bb.349:
	v_cmp_eq_u16_e32 vcc_lo, 15, v6
	s_mov_b32 s0, -1
	s_cbranch_vccz .LBB392_351
; %bb.350:
	v_cvt_f32_f64_e32 v2, v[0:1]
	s_mov_b32 s1, -1
	s_mov_b32 s0, 0
	s_delay_alu instid0(VALU_DEP_1) | instskip(SKIP_1) | instid1(VALU_DEP_2)
	v_bfe_u32 v3, v2, 16, 1
	v_cmp_o_f32_e32 vcc_lo, v2, v2
	v_add3_u32 v3, v2, v3, 0x7fff
	s_delay_alu instid0(VALU_DEP_1) | instskip(NEXT) | instid1(VALU_DEP_1)
	v_lshrrev_b32_e32 v3, 16, v3
	v_cndmask_b32_e32 v2, 0x7fc0, v3, vcc_lo
	global_store_b16 v[4:5], v2, off
.LBB392_351:
	s_mov_b32 s18, 0
.LBB392_352:
	s_delay_alu instid0(SALU_CYCLE_1)
	s_and_b32 vcc_lo, exec_lo, s18
	s_cbranch_vccz .LBB392_355
; %bb.353:
	v_cmp_eq_u16_e32 vcc_lo, 11, v6
	s_mov_b32 s0, -1
	s_cbranch_vccz .LBB392_355
; %bb.354:
	v_cmp_neq_f64_e32 vcc_lo, 0, v[0:1]
	s_mov_b32 s1, -1
	s_mov_b32 s0, 0
	v_cndmask_b32_e64 v2, 0, 1, vcc_lo
	global_store_b8 v[4:5], v2, off
.LBB392_355:
	s_mov_b32 s18, 0
.LBB392_356:
	s_delay_alu instid0(SALU_CYCLE_1)
	s_and_b32 vcc_lo, exec_lo, s18
	s_cbranch_vccz .LBB392_395
; %bb.357:
	v_cmp_gt_i16_e32 vcc_lo, 5, v6
	s_mov_b32 s1, -1
	s_cbranch_vccnz .LBB392_378
; %bb.358:
	v_cmp_gt_i16_e32 vcc_lo, 8, v6
	s_cbranch_vccnz .LBB392_368
; %bb.359:
	v_cmp_gt_i16_e32 vcc_lo, 9, v6
	s_cbranch_vccnz .LBB392_365
; %bb.360:
	v_cmp_lt_i16_e32 vcc_lo, 9, v6
	s_cbranch_vccz .LBB392_362
; %bb.361:
	v_mov_b32_e32 v2, 0
	s_mov_b32 s1, 0
	s_delay_alu instid0(VALU_DEP_1)
	v_mov_b32_e32 v3, v2
	global_store_b128 v[4:5], v[0:3], off
.LBB392_362:
	s_and_not1_b32 vcc_lo, exec_lo, s1
	s_cbranch_vccnz .LBB392_364
; %bb.363:
	v_cvt_f32_f64_e32 v2, v[0:1]
	v_mov_b32_e32 v3, 0
	global_store_b64 v[4:5], v[2:3], off
.LBB392_364:
	s_mov_b32 s1, 0
.LBB392_365:
	s_delay_alu instid0(SALU_CYCLE_1)
	s_and_not1_b32 vcc_lo, exec_lo, s1
	s_cbranch_vccnz .LBB392_367
; %bb.366:
	v_cvt_f32_f64_e32 v2, v[0:1]
	s_delay_alu instid0(VALU_DEP_1) | instskip(NEXT) | instid1(VALU_DEP_1)
	v_cvt_f16_f32_e32 v2, v2
	v_and_b32_e32 v2, 0xffff, v2
	global_store_b32 v[4:5], v2, off
.LBB392_367:
	s_mov_b32 s1, 0
.LBB392_368:
	s_delay_alu instid0(SALU_CYCLE_1)
	s_and_not1_b32 vcc_lo, exec_lo, s1
	s_cbranch_vccnz .LBB392_377
; %bb.369:
	v_cmp_gt_i16_e32 vcc_lo, 6, v6
	s_mov_b32 s1, -1
	s_cbranch_vccnz .LBB392_375
; %bb.370:
	v_cmp_lt_i16_e32 vcc_lo, 6, v6
	s_cbranch_vccz .LBB392_372
; %bb.371:
	s_mov_b32 s1, 0
	global_store_b64 v[4:5], v[0:1], off
.LBB392_372:
	s_and_not1_b32 vcc_lo, exec_lo, s1
	s_cbranch_vccnz .LBB392_374
; %bb.373:
	v_cvt_f32_f64_e32 v2, v[0:1]
	global_store_b32 v[4:5], v2, off
.LBB392_374:
	s_mov_b32 s1, 0
.LBB392_375:
	s_delay_alu instid0(SALU_CYCLE_1)
	s_and_not1_b32 vcc_lo, exec_lo, s1
	s_cbranch_vccnz .LBB392_377
; %bb.376:
	v_cvt_f32_f64_e32 v2, v[0:1]
	s_delay_alu instid0(VALU_DEP_1)
	v_cvt_f16_f32_e32 v2, v2
	global_store_b16 v[4:5], v2, off
.LBB392_377:
	s_mov_b32 s1, 0
.LBB392_378:
	s_delay_alu instid0(SALU_CYCLE_1)
	s_and_not1_b32 vcc_lo, exec_lo, s1
	s_cbranch_vccnz .LBB392_394
; %bb.379:
	v_cmp_gt_i16_e32 vcc_lo, 2, v6
	s_mov_b32 s1, -1
	s_cbranch_vccnz .LBB392_389
; %bb.380:
	v_cmp_gt_i16_e32 vcc_lo, 3, v6
	s_cbranch_vccnz .LBB392_386
; %bb.381:
	v_cmp_lt_i16_e32 vcc_lo, 3, v6
	s_cbranch_vccz .LBB392_383
; %bb.382:
	v_trunc_f64_e32 v[2:3], v[0:1]
	s_mov_b32 s1, 0
	s_delay_alu instid0(VALU_DEP_1) | instskip(NEXT) | instid1(VALU_DEP_1)
	v_ldexp_f64 v[7:8], v[2:3], 0xffffffe0
	v_floor_f64_e32 v[7:8], v[7:8]
	s_delay_alu instid0(VALU_DEP_1) | instskip(SKIP_1) | instid1(VALU_DEP_2)
	v_fma_f64 v[2:3], 0xc1f00000, v[7:8], v[2:3]
	v_cvt_i32_f64_e32 v8, v[7:8]
	v_cvt_u32_f64_e32 v7, v[2:3]
	global_store_b64 v[4:5], v[7:8], off
.LBB392_383:
	s_and_not1_b32 vcc_lo, exec_lo, s1
	s_cbranch_vccnz .LBB392_385
; %bb.384:
	v_cvt_i32_f64_e32 v2, v[0:1]
	global_store_b32 v[4:5], v2, off
.LBB392_385:
	s_mov_b32 s1, 0
.LBB392_386:
	s_delay_alu instid0(SALU_CYCLE_1)
	s_and_not1_b32 vcc_lo, exec_lo, s1
	s_cbranch_vccnz .LBB392_388
; %bb.387:
	v_cvt_i32_f64_e32 v2, v[0:1]
	global_store_b16 v[4:5], v2, off
.LBB392_388:
	s_mov_b32 s1, 0
.LBB392_389:
	s_delay_alu instid0(SALU_CYCLE_1)
	s_and_not1_b32 vcc_lo, exec_lo, s1
	s_cbranch_vccnz .LBB392_394
; %bb.390:
	v_cmp_lt_i16_e32 vcc_lo, 0, v6
	s_mov_b32 s1, -1
	s_cbranch_vccz .LBB392_392
; %bb.391:
	v_cvt_i32_f64_e32 v2, v[0:1]
	s_mov_b32 s1, 0
	global_store_b8 v[4:5], v2, off
.LBB392_392:
	s_and_not1_b32 vcc_lo, exec_lo, s1
	s_cbranch_vccnz .LBB392_394
; %bb.393:
	v_trunc_f64_e32 v[0:1], v[0:1]
	s_delay_alu instid0(VALU_DEP_1) | instskip(NEXT) | instid1(VALU_DEP_1)
	v_ldexp_f64 v[2:3], v[0:1], 0xffffffe0
	v_floor_f64_e32 v[2:3], v[2:3]
	s_delay_alu instid0(VALU_DEP_1) | instskip(NEXT) | instid1(VALU_DEP_1)
	v_fma_f64 v[0:1], 0xc1f00000, v[2:3], v[0:1]
	v_cvt_u32_f64_e32 v0, v[0:1]
	global_store_b8 v[4:5], v0, off
.LBB392_394:
	s_mov_b32 s1, -1
.LBB392_395:
	s_delay_alu instid0(SALU_CYCLE_1)
	s_and_not1_b32 vcc_lo, exec_lo, s1
	s_cbranch_vccnz .LBB392_397
; %bb.396:
	v_add_nc_u32_e32 v12, 0x80, v12
	s_mov_b32 s1, -1
	s_branch .LBB392_510
.LBB392_397:
	s_mov_b32 s1, 0
	s_branch .LBB392_509
.LBB392_398:
	s_mov_b32 s17, -1
                                        ; implicit-def: $vgpr2_vgpr3
.LBB392_399:
	s_mov_b32 s1, 0
.LBB392_400:
	s_delay_alu instid0(SALU_CYCLE_1)
	s_and_b32 vcc_lo, exec_lo, s1
	s_cbranch_vccz .LBB392_404
; %bb.401:
	v_cmp_eq_u16_e32 vcc_lo, 29, v10
	s_cbranch_vccz .LBB392_403
; %bb.402:
	global_load_b64 v[2:3], v[0:1], off
	s_mov_b32 s0, -1
	s_mov_b32 s17, 0
	s_mov_b32 s1, 0
	s_waitcnt vmcnt(0)
	v_cvt_f64_u32_e32 v[3:4], v3
	v_cvt_f64_u32_e32 v[5:6], v2
	s_delay_alu instid0(VALU_DEP_2) | instskip(NEXT) | instid1(VALU_DEP_1)
	v_ldexp_f64 v[3:4], v[3:4], 32
	v_add_f64 v[2:3], v[3:4], v[5:6]
	s_branch .LBB392_405
.LBB392_403:
	s_mov_b32 s17, -1
                                        ; implicit-def: $vgpr2_vgpr3
.LBB392_404:
	s_mov_b32 s1, 0
.LBB392_405:
	s_delay_alu instid0(SALU_CYCLE_1)
	s_and_b32 vcc_lo, exec_lo, s1
	s_cbranch_vccz .LBB392_425
; %bb.406:
	v_cmp_gt_i16_e32 vcc_lo, 27, v10
	s_cbranch_vccnz .LBB392_409
; %bb.407:
	v_cmp_lt_i16_e32 vcc_lo, 27, v10
	s_cbranch_vccz .LBB392_410
; %bb.408:
	global_load_b32 v2, v[0:1], off
	s_mov_b32 s0, 0
	s_waitcnt vmcnt(0)
	v_cvt_f64_u32_e32 v[2:3], v2
	s_branch .LBB392_411
.LBB392_409:
	s_mov_b32 s0, -1
                                        ; implicit-def: $vgpr2_vgpr3
	s_branch .LBB392_414
.LBB392_410:
	s_mov_b32 s0, -1
                                        ; implicit-def: $vgpr2_vgpr3
.LBB392_411:
	s_delay_alu instid0(SALU_CYCLE_1)
	s_and_not1_b32 vcc_lo, exec_lo, s0
	s_cbranch_vccnz .LBB392_413
; %bb.412:
	global_load_u16 v2, v[0:1], off
	s_waitcnt vmcnt(0)
	v_cvt_f64_u32_e32 v[2:3], v2
.LBB392_413:
	s_mov_b32 s0, 0
.LBB392_414:
	s_delay_alu instid0(SALU_CYCLE_1)
	s_and_not1_b32 vcc_lo, exec_lo, s0
	s_cbranch_vccnz .LBB392_424
; %bb.415:
	global_load_u8 v4, v[0:1], off
	s_mov_b32 s18, 0
	s_mov_b32 s20, exec_lo
                                        ; implicit-def: $sgpr0_sgpr1
	s_waitcnt vmcnt(0)
	v_cmpx_lt_i16_e32 0x7f, v4
	s_xor_b32 s20, exec_lo, s20
	s_cbranch_execz .LBB392_419
; %bb.416:
	s_mov_b32 s18, exec_lo
                                        ; implicit-def: $sgpr0_sgpr1
	v_cmpx_eq_u16_e32 0x80, v4
; %bb.417:
	s_mov_b32 s1, 0x7ff80000
	s_brev_b32 s0, 4
	s_xor_b32 s21, exec_lo, -1
; %bb.418:
	s_or_b32 exec_lo, exec_lo, s18
	s_delay_alu instid0(SALU_CYCLE_1)
	s_and_b32 s18, s21, exec_lo
.LBB392_419:
	s_or_saveexec_b32 s20, s20
	v_dual_mov_b32 v3, s1 :: v_dual_mov_b32 v2, s0
	s_xor_b32 exec_lo, exec_lo, s20
; %bb.420:
	v_cmp_ne_u16_e32 vcc_lo, 0, v4
	v_mov_b32_e32 v2, 0
	v_mov_b32_e32 v3, 0
	s_and_not1_b32 s0, s18, exec_lo
	s_and_b32 s1, vcc_lo, exec_lo
	s_delay_alu instid0(SALU_CYCLE_1)
	s_or_b32 s18, s0, s1
; %bb.421:
	s_or_b32 exec_lo, exec_lo, s20
	s_and_saveexec_b32 s0, s18
	s_cbranch_execz .LBB392_423
; %bb.422:
	v_and_b32_e32 v2, 0xffff, v4
	v_lshlrev_b32_e32 v4, 24, v4
	s_delay_alu instid0(VALU_DEP_2) | instskip(NEXT) | instid1(VALU_DEP_2)
	v_and_b32_e32 v3, 7, v2
	v_and_b32_e32 v4, 0x80000000, v4
	s_delay_alu instid0(VALU_DEP_2) | instskip(NEXT) | instid1(VALU_DEP_1)
	v_clz_i32_u32_e32 v5, v3
	v_min_u32_e32 v5, 32, v5
	s_delay_alu instid0(VALU_DEP_1) | instskip(SKIP_1) | instid1(VALU_DEP_2)
	v_subrev_nc_u32_e32 v6, 28, v5
	v_sub_nc_u32_e32 v5, 29, v5
	v_lshlrev_b32_e32 v6, v6, v2
	v_bfe_u32 v2, v2, 3, 4
	s_delay_alu instid0(VALU_DEP_2) | instskip(NEXT) | instid1(VALU_DEP_2)
	v_and_b32_e32 v6, 7, v6
	v_cmp_eq_u32_e32 vcc_lo, 0, v2
	s_delay_alu instid0(VALU_DEP_2) | instskip(NEXT) | instid1(VALU_DEP_1)
	v_dual_cndmask_b32 v2, v2, v5 :: v_dual_cndmask_b32 v3, v3, v6
	v_lshl_add_u32 v2, v2, 23, 0x3b800000
	s_delay_alu instid0(VALU_DEP_2) | instskip(NEXT) | instid1(VALU_DEP_1)
	v_lshlrev_b32_e32 v3, 20, v3
	v_or3_b32 v2, v4, v2, v3
	s_delay_alu instid0(VALU_DEP_1)
	v_cvt_f64_f32_e32 v[2:3], v2
.LBB392_423:
	s_or_b32 exec_lo, exec_lo, s0
.LBB392_424:
	s_mov_b32 s0, -1
.LBB392_425:
	s_mov_b32 s1, 0
.LBB392_426:
	s_delay_alu instid0(SALU_CYCLE_1)
	s_and_b32 vcc_lo, exec_lo, s1
	s_cbranch_vccz .LBB392_459
; %bb.427:
	v_cmp_lt_i16_e32 vcc_lo, 22, v10
	s_cbranch_vccz .LBB392_439
; %bb.428:
	v_cmp_gt_i16_e32 vcc_lo, 24, v10
	s_cbranch_vccnz .LBB392_440
; %bb.429:
	v_cmp_lt_i16_e32 vcc_lo, 24, v10
	s_cbranch_vccz .LBB392_441
; %bb.430:
	global_load_u8 v4, v[0:1], off
	s_mov_b32 s18, 0
	s_mov_b32 s20, exec_lo
                                        ; implicit-def: $sgpr0_sgpr1
	s_waitcnt vmcnt(0)
	v_cmpx_lt_i16_e32 0x7f, v4
	s_xor_b32 s20, exec_lo, s20
	s_cbranch_execz .LBB392_434
; %bb.431:
	s_mov_b32 s21, -1
	s_mov_b32 s18, exec_lo
                                        ; implicit-def: $sgpr0_sgpr1
	v_cmpx_eq_u16_e32 0x80, v4
; %bb.432:
	s_mov_b32 s1, 0x7ff80000
	s_brev_b32 s0, 4
	s_xor_b32 s21, exec_lo, -1
; %bb.433:
	s_or_b32 exec_lo, exec_lo, s18
	s_delay_alu instid0(SALU_CYCLE_1)
	s_and_b32 s18, s21, exec_lo
.LBB392_434:
	s_or_saveexec_b32 s20, s20
	v_dual_mov_b32 v3, s1 :: v_dual_mov_b32 v2, s0
	s_xor_b32 exec_lo, exec_lo, s20
; %bb.435:
	v_cmp_ne_u16_e32 vcc_lo, 0, v4
	v_mov_b32_e32 v2, 0
	v_mov_b32_e32 v3, 0
	s_and_not1_b32 s0, s18, exec_lo
	s_and_b32 s1, vcc_lo, exec_lo
	s_delay_alu instid0(SALU_CYCLE_1)
	s_or_b32 s18, s0, s1
; %bb.436:
	s_or_b32 exec_lo, exec_lo, s20
	s_and_saveexec_b32 s0, s18
	s_cbranch_execz .LBB392_438
; %bb.437:
	v_and_b32_e32 v2, 0xffff, v4
	v_lshlrev_b32_e32 v4, 24, v4
	s_delay_alu instid0(VALU_DEP_2) | instskip(NEXT) | instid1(VALU_DEP_2)
	v_and_b32_e32 v3, 3, v2
	v_and_b32_e32 v4, 0x80000000, v4
	s_delay_alu instid0(VALU_DEP_2) | instskip(NEXT) | instid1(VALU_DEP_1)
	v_clz_i32_u32_e32 v5, v3
	v_min_u32_e32 v5, 32, v5
	s_delay_alu instid0(VALU_DEP_1) | instskip(SKIP_1) | instid1(VALU_DEP_2)
	v_subrev_nc_u32_e32 v6, 29, v5
	v_sub_nc_u32_e32 v5, 30, v5
	v_lshlrev_b32_e32 v6, v6, v2
	v_bfe_u32 v2, v2, 2, 5
	s_delay_alu instid0(VALU_DEP_2) | instskip(NEXT) | instid1(VALU_DEP_2)
	v_and_b32_e32 v6, 3, v6
	v_cmp_eq_u32_e32 vcc_lo, 0, v2
	s_delay_alu instid0(VALU_DEP_2) | instskip(NEXT) | instid1(VALU_DEP_1)
	v_dual_cndmask_b32 v2, v2, v5 :: v_dual_cndmask_b32 v3, v3, v6
	v_lshl_add_u32 v2, v2, 23, 0x37800000
	s_delay_alu instid0(VALU_DEP_2) | instskip(NEXT) | instid1(VALU_DEP_1)
	v_lshlrev_b32_e32 v3, 21, v3
	v_or3_b32 v2, v4, v2, v3
	s_delay_alu instid0(VALU_DEP_1)
	v_cvt_f64_f32_e32 v[2:3], v2
.LBB392_438:
	s_or_b32 exec_lo, exec_lo, s0
	s_mov_b32 s0, 0
	s_branch .LBB392_442
.LBB392_439:
	s_mov_b32 s1, -1
                                        ; implicit-def: $vgpr2_vgpr3
	s_branch .LBB392_448
.LBB392_440:
	s_mov_b32 s0, -1
                                        ; implicit-def: $vgpr2_vgpr3
	s_branch .LBB392_445
.LBB392_441:
	s_mov_b32 s0, -1
                                        ; implicit-def: $vgpr2_vgpr3
.LBB392_442:
	s_delay_alu instid0(SALU_CYCLE_1)
	s_and_b32 vcc_lo, exec_lo, s0
	s_cbranch_vccz .LBB392_444
; %bb.443:
	global_load_u8 v2, v[0:1], off
	s_waitcnt vmcnt(0)
	v_lshlrev_b32_e32 v2, 24, v2
	s_delay_alu instid0(VALU_DEP_1) | instskip(NEXT) | instid1(VALU_DEP_1)
	v_and_b32_e32 v3, 0x7f000000, v2
	v_clz_i32_u32_e32 v4, v3
	v_add_nc_u32_e32 v6, 0x1000000, v3
	v_cmp_ne_u32_e32 vcc_lo, 0, v3
	s_delay_alu instid0(VALU_DEP_3) | instskip(NEXT) | instid1(VALU_DEP_1)
	v_min_u32_e32 v4, 32, v4
	v_sub_nc_u32_e64 v4, v4, 4 clamp
	s_delay_alu instid0(VALU_DEP_1) | instskip(SKIP_1) | instid1(VALU_DEP_2)
	v_lshlrev_b32_e32 v5, v4, v3
	v_lshlrev_b32_e32 v4, 23, v4
	v_lshrrev_b32_e32 v5, 4, v5
	s_delay_alu instid0(VALU_DEP_1) | instskip(SKIP_1) | instid1(VALU_DEP_2)
	v_sub_nc_u32_e32 v4, v5, v4
	v_ashrrev_i32_e32 v5, 8, v6
	v_add_nc_u32_e32 v4, 0x3c000000, v4
	s_delay_alu instid0(VALU_DEP_1) | instskip(NEXT) | instid1(VALU_DEP_1)
	v_and_or_b32 v4, 0x7f800000, v5, v4
	v_cndmask_b32_e32 v3, 0, v4, vcc_lo
	s_delay_alu instid0(VALU_DEP_1) | instskip(NEXT) | instid1(VALU_DEP_1)
	v_and_or_b32 v2, 0x80000000, v2, v3
	v_cvt_f64_f32_e32 v[2:3], v2
.LBB392_444:
	s_mov_b32 s0, 0
.LBB392_445:
	s_delay_alu instid0(SALU_CYCLE_1)
	s_and_not1_b32 vcc_lo, exec_lo, s0
	s_cbranch_vccnz .LBB392_447
; %bb.446:
	global_load_u8 v2, v[0:1], off
	s_waitcnt vmcnt(0)
	v_lshlrev_b32_e32 v3, 25, v2
	v_lshlrev_b16 v2, 8, v2
	s_delay_alu instid0(VALU_DEP_2) | instskip(NEXT) | instid1(VALU_DEP_2)
	v_lshrrev_b32_e32 v4, 4, v3
	v_and_or_b32 v5, 0x7f00, v2, 0.5
	v_bfe_i32 v2, v2, 0, 16
	s_delay_alu instid0(VALU_DEP_3) | instskip(NEXT) | instid1(VALU_DEP_1)
	v_or_b32_e32 v4, 0x70000000, v4
	v_dual_add_f32 v5, -0.5, v5 :: v_dual_mul_f32 v4, 0x7800000, v4
	v_cmp_gt_u32_e32 vcc_lo, 0x8000000, v3
	s_delay_alu instid0(VALU_DEP_2) | instskip(NEXT) | instid1(VALU_DEP_1)
	v_cndmask_b32_e32 v3, v4, v5, vcc_lo
	v_and_or_b32 v2, 0x80000000, v2, v3
	s_delay_alu instid0(VALU_DEP_1)
	v_cvt_f64_f32_e32 v[2:3], v2
.LBB392_447:
	s_mov_b32 s1, 0
	s_mov_b32 s0, -1
.LBB392_448:
	s_and_not1_b32 vcc_lo, exec_lo, s1
	s_cbranch_vccnz .LBB392_459
; %bb.449:
	v_cmp_lt_i16_e32 vcc_lo, 14, v10
	s_cbranch_vccz .LBB392_452
; %bb.450:
	v_cmp_eq_u16_e32 vcc_lo, 15, v10
	s_cbranch_vccz .LBB392_453
; %bb.451:
	global_load_u16 v2, v[0:1], off
	s_mov_b32 s0, -1
	s_mov_b32 s17, 0
	s_waitcnt vmcnt(0)
	v_lshlrev_b32_e32 v2, 16, v2
	s_delay_alu instid0(VALU_DEP_1)
	v_cvt_f64_f32_e32 v[2:3], v2
	s_branch .LBB392_454
.LBB392_452:
	s_mov_b32 s1, -1
                                        ; implicit-def: $vgpr2_vgpr3
	s_branch .LBB392_455
.LBB392_453:
	s_mov_b32 s17, -1
                                        ; implicit-def: $vgpr2_vgpr3
.LBB392_454:
	s_mov_b32 s1, 0
.LBB392_455:
	s_delay_alu instid0(SALU_CYCLE_1)
	s_and_b32 vcc_lo, exec_lo, s1
	s_cbranch_vccz .LBB392_459
; %bb.456:
	v_cmp_eq_u16_e32 vcc_lo, 11, v10
	s_cbranch_vccz .LBB392_458
; %bb.457:
	global_load_u8 v2, v[0:1], off
	s_mov_b32 s17, 0
	s_mov_b32 s0, -1
	s_waitcnt vmcnt(0)
	v_cmp_ne_u16_e32 vcc_lo, 0, v2
	v_mov_b32_e32 v2, 0
	v_cndmask_b32_e64 v3, 0, 0x3ff00000, vcc_lo
	s_branch .LBB392_459
.LBB392_458:
	s_mov_b32 s17, -1
                                        ; implicit-def: $vgpr2_vgpr3
.LBB392_459:
	s_branch .LBB392_261
.LBB392_460:
	v_cmp_gt_i16_e32 vcc_lo, 5, v10
	s_cbranch_vccnz .LBB392_465
; %bb.461:
	v_cmp_gt_i16_e32 vcc_lo, 8, v10
	s_cbranch_vccnz .LBB392_466
; %bb.462:
	;; [unrolled: 3-line block ×3, first 2 shown]
	v_cmp_lt_i16_e32 vcc_lo, 9, v10
	s_cbranch_vccz .LBB392_468
; %bb.464:
	global_load_b64 v[2:3], v[0:1], off
	s_mov_b32 s0, 0
	s_branch .LBB392_469
.LBB392_465:
	s_mov_b32 s0, -1
                                        ; implicit-def: $vgpr2_vgpr3
	s_branch .LBB392_487
.LBB392_466:
	s_mov_b32 s0, -1
                                        ; implicit-def: $vgpr2_vgpr3
	s_branch .LBB392_475
.LBB392_467:
	s_mov_b32 s0, -1
                                        ; implicit-def: $vgpr2_vgpr3
	s_branch .LBB392_472
.LBB392_468:
	s_mov_b32 s0, -1
                                        ; implicit-def: $vgpr2_vgpr3
.LBB392_469:
	s_delay_alu instid0(SALU_CYCLE_1)
	s_and_not1_b32 vcc_lo, exec_lo, s0
	s_cbranch_vccnz .LBB392_471
; %bb.470:
	global_load_b32 v2, v[0:1], off
	s_waitcnt vmcnt(0)
	v_cvt_f64_f32_e32 v[2:3], v2
.LBB392_471:
	s_mov_b32 s0, 0
.LBB392_472:
	s_delay_alu instid0(SALU_CYCLE_1)
	s_and_not1_b32 vcc_lo, exec_lo, s0
	s_cbranch_vccnz .LBB392_474
; %bb.473:
	global_load_b32 v2, v[0:1], off
	s_waitcnt vmcnt(0)
	v_cvt_f32_f16_e32 v2, v2
	s_delay_alu instid0(VALU_DEP_1)
	v_cvt_f64_f32_e32 v[2:3], v2
.LBB392_474:
	s_mov_b32 s0, 0
.LBB392_475:
	s_delay_alu instid0(SALU_CYCLE_1)
	s_and_not1_b32 vcc_lo, exec_lo, s0
	s_cbranch_vccnz .LBB392_486
; %bb.476:
	v_cmp_gt_i16_e32 vcc_lo, 6, v10
	s_cbranch_vccnz .LBB392_479
; %bb.477:
	v_cmp_lt_i16_e32 vcc_lo, 6, v10
	s_cbranch_vccz .LBB392_480
; %bb.478:
	global_load_b64 v[2:3], v[0:1], off
	s_mov_b32 s0, 0
	s_branch .LBB392_481
.LBB392_479:
	s_mov_b32 s0, -1
                                        ; implicit-def: $vgpr2_vgpr3
	s_branch .LBB392_484
.LBB392_480:
	s_mov_b32 s0, -1
                                        ; implicit-def: $vgpr2_vgpr3
.LBB392_481:
	s_delay_alu instid0(SALU_CYCLE_1)
	s_and_not1_b32 vcc_lo, exec_lo, s0
	s_cbranch_vccnz .LBB392_483
; %bb.482:
	global_load_b32 v2, v[0:1], off
	s_waitcnt vmcnt(0)
	v_cvt_f64_f32_e32 v[2:3], v2
.LBB392_483:
	s_mov_b32 s0, 0
.LBB392_484:
	s_delay_alu instid0(SALU_CYCLE_1)
	s_and_not1_b32 vcc_lo, exec_lo, s0
	s_cbranch_vccnz .LBB392_486
; %bb.485:
	global_load_u16 v2, v[0:1], off
	s_waitcnt vmcnt(0)
	v_cvt_f32_f16_e32 v2, v2
	s_delay_alu instid0(VALU_DEP_1)
	v_cvt_f64_f32_e32 v[2:3], v2
.LBB392_486:
	s_mov_b32 s0, 0
.LBB392_487:
	s_delay_alu instid0(SALU_CYCLE_1)
	s_and_not1_b32 vcc_lo, exec_lo, s0
	s_cbranch_vccnz .LBB392_507
; %bb.488:
	v_cmp_gt_i16_e32 vcc_lo, 2, v10
	s_cbranch_vccnz .LBB392_492
; %bb.489:
	v_cmp_gt_i16_e32 vcc_lo, 3, v10
	s_cbranch_vccnz .LBB392_493
; %bb.490:
	v_cmp_lt_i16_e32 vcc_lo, 3, v10
	s_cbranch_vccz .LBB392_494
; %bb.491:
	global_load_b64 v[2:3], v[0:1], off
	s_mov_b32 s0, 0
	s_waitcnt vmcnt(0)
	v_cvt_f64_i32_e32 v[3:4], v3
	v_cvt_f64_u32_e32 v[5:6], v2
	s_delay_alu instid0(VALU_DEP_2) | instskip(NEXT) | instid1(VALU_DEP_1)
	v_ldexp_f64 v[3:4], v[3:4], 32
	v_add_f64 v[2:3], v[3:4], v[5:6]
	s_branch .LBB392_495
.LBB392_492:
	s_mov_b32 s0, -1
                                        ; implicit-def: $vgpr2_vgpr3
	s_branch .LBB392_501
.LBB392_493:
	s_mov_b32 s0, -1
                                        ; implicit-def: $vgpr2_vgpr3
	s_branch .LBB392_498
.LBB392_494:
	s_mov_b32 s0, -1
                                        ; implicit-def: $vgpr2_vgpr3
.LBB392_495:
	s_delay_alu instid0(SALU_CYCLE_1)
	s_and_not1_b32 vcc_lo, exec_lo, s0
	s_cbranch_vccnz .LBB392_497
; %bb.496:
	global_load_b32 v2, v[0:1], off
	s_waitcnt vmcnt(0)
	v_cvt_f64_i32_e32 v[2:3], v2
.LBB392_497:
	s_mov_b32 s0, 0
.LBB392_498:
	s_delay_alu instid0(SALU_CYCLE_1)
	s_and_not1_b32 vcc_lo, exec_lo, s0
	s_cbranch_vccnz .LBB392_500
; %bb.499:
	global_load_i16 v2, v[0:1], off
	s_waitcnt vmcnt(0)
	v_cvt_f64_i32_e32 v[2:3], v2
.LBB392_500:
	s_mov_b32 s0, 0
.LBB392_501:
	s_delay_alu instid0(SALU_CYCLE_1)
	s_and_not1_b32 vcc_lo, exec_lo, s0
	s_cbranch_vccnz .LBB392_507
; %bb.502:
	v_cmp_lt_i16_e32 vcc_lo, 0, v10
	s_mov_b32 s0, 0
	s_cbranch_vccz .LBB392_504
; %bb.503:
	global_load_i8 v2, v[0:1], off
	s_waitcnt vmcnt(0)
	v_cvt_f64_i32_e32 v[2:3], v2
	s_branch .LBB392_505
.LBB392_504:
	s_mov_b32 s0, -1
                                        ; implicit-def: $vgpr2_vgpr3
.LBB392_505:
	s_delay_alu instid0(SALU_CYCLE_1)
	s_and_not1_b32 vcc_lo, exec_lo, s0
	s_cbranch_vccnz .LBB392_507
; %bb.506:
	global_load_u8 v0, v[0:1], off
	s_waitcnt vmcnt(0)
	v_cvt_f64_u32_e32 v[2:3], v0
.LBB392_507:
	s_branch .LBB392_262
.LBB392_508:
	s_mov_b32 s1, 0
	s_mov_b32 s0, s13
.LBB392_509:
                                        ; implicit-def: $vgpr12
.LBB392_510:
	s_and_not1_b32 s18, s13, exec_lo
	s_and_b32 s0, s0, exec_lo
	s_and_not1_b32 s20, s15, exec_lo
	s_and_b32 s17, s17, exec_lo
	s_or_b32 s18, s18, s0
	s_or_b32 s17, s20, s17
	s_or_not1_b32 s21, s1, exec_lo
.LBB392_511:
	s_or_b32 exec_lo, exec_lo, s19
	s_mov_b32 s1, 0
	s_mov_b32 s20, 0
	;; [unrolled: 1-line block ×3, first 2 shown]
                                        ; implicit-def: $vgpr0_vgpr1
                                        ; implicit-def: $vgpr2_vgpr3
	s_and_saveexec_b32 s19, s21
	s_cbranch_execz .LBB392_858
; %bb.512:
	s_mov_b32 s0, -1
	s_mov_b32 s21, s17
	s_mov_b32 s22, s18
	s_mov_b32 s20, exec_lo
	v_cmpx_gt_i32_e64 s14, v12
	s_cbranch_execz .LBB392_772
; %bb.513:
	v_mul_lo_u32 v0, v12, s9
	v_cmp_gt_i16_e32 vcc_lo, 11, v10
	s_delay_alu instid0(VALU_DEP_2) | instskip(SKIP_1) | instid1(VALU_DEP_1)
	v_ashrrev_i32_e32 v1, 31, v0
	v_add_co_u32 v0, s0, s6, v0
	v_add_co_ci_u32_e64 v1, s0, s7, v1, s0
	s_cbranch_vccnz .LBB392_520
; %bb.514:
	v_cmp_lt_i16_e32 vcc_lo, 25, v10
	s_cbranch_vccz .LBB392_521
; %bb.515:
	v_cmp_lt_i16_e32 vcc_lo, 28, v10
	s_cbranch_vccz .LBB392_522
	;; [unrolled: 3-line block ×4, first 2 shown]
; %bb.518:
	v_cmp_eq_u16_e32 vcc_lo, 46, v10
	s_cbranch_vccz .LBB392_529
; %bb.519:
	global_load_b32 v2, v[0:1], off
	s_mov_b32 s0, -1
	s_mov_b32 s21, 0
	s_waitcnt vmcnt(0)
	v_lshlrev_b32_e32 v2, 16, v2
	s_delay_alu instid0(VALU_DEP_1)
	v_cvt_f64_f32_e32 v[2:3], v2
	s_branch .LBB392_531
.LBB392_520:
	s_mov_b32 s1, -1
	s_mov_b32 s0, 0
	s_mov_b32 s21, s17
                                        ; implicit-def: $vgpr2_vgpr3
	s_branch .LBB392_596
.LBB392_521:
	s_mov_b32 s1, -1
	s_mov_b32 s0, 0
	s_mov_b32 s21, s17
                                        ; implicit-def: $vgpr2_vgpr3
	s_branch .LBB392_562
.LBB392_522:
	s_mov_b32 s1, -1
	s_mov_b32 s0, 0
	s_mov_b32 s21, s17
                                        ; implicit-def: $vgpr2_vgpr3
	s_branch .LBB392_541
.LBB392_523:
	s_mov_b32 s1, -1
	s_mov_b32 s0, 0
	s_mov_b32 s21, s17
                                        ; implicit-def: $vgpr2_vgpr3
	s_branch .LBB392_536
.LBB392_524:
	s_or_saveexec_b32 s20, s20
                                        ; implicit-def: $sgpr21
	s_delay_alu instid0(SALU_CYCLE_1)
	s_xor_b32 exec_lo, exec_lo, s20
	s_cbranch_execz .LBB392_308
.LBB392_525:
	v_add_f32_e64 v3, 0x46000000, |v2|
	s_and_not1_b32 s18, s18, exec_lo
	s_mov_b32 s21, 0
	s_delay_alu instid0(VALU_DEP_1) | instskip(NEXT) | instid1(VALU_DEP_1)
	v_and_b32_e32 v3, 0xff, v3
	v_cmp_ne_u32_e32 vcc_lo, 0, v3
	s_and_b32 s22, vcc_lo, exec_lo
	s_delay_alu instid0(SALU_CYCLE_1)
	s_or_b32 s18, s18, s22
	s_or_b32 exec_lo, exec_lo, s20
	v_mov_b32_e32 v7, s21
	s_and_saveexec_b32 s20, s18
	s_cbranch_execnz .LBB392_309
	s_branch .LBB392_310
.LBB392_526:
	s_mov_b32 s1, -1
	s_mov_b32 s0, 0
	s_mov_b32 s21, s17
	s_branch .LBB392_530
.LBB392_527:
	s_or_saveexec_b32 s20, s20
                                        ; implicit-def: $sgpr21
	s_delay_alu instid0(SALU_CYCLE_1)
	s_xor_b32 exec_lo, exec_lo, s20
	s_cbranch_execz .LBB392_321
.LBB392_528:
	v_add_f32_e64 v3, 0x42800000, |v2|
	s_and_not1_b32 s18, s18, exec_lo
	s_mov_b32 s21, 0
	s_delay_alu instid0(VALU_DEP_1) | instskip(NEXT) | instid1(VALU_DEP_1)
	v_and_b32_e32 v3, 0xff, v3
	v_cmp_ne_u32_e32 vcc_lo, 0, v3
	s_and_b32 s22, vcc_lo, exec_lo
	s_delay_alu instid0(SALU_CYCLE_1)
	s_or_b32 s18, s18, s22
	s_or_b32 exec_lo, exec_lo, s20
	v_mov_b32_e32 v7, s21
	s_and_saveexec_b32 s20, s18
	s_cbranch_execnz .LBB392_322
	s_branch .LBB392_323
.LBB392_529:
	s_mov_b32 s21, -1
	s_mov_b32 s0, 0
.LBB392_530:
                                        ; implicit-def: $vgpr2_vgpr3
.LBB392_531:
	s_and_b32 vcc_lo, exec_lo, s1
	s_cbranch_vccz .LBB392_535
; %bb.532:
	v_cmp_eq_u16_e32 vcc_lo, 44, v10
	s_cbranch_vccz .LBB392_534
; %bb.533:
	global_load_u8 v4, v[0:1], off
	s_mov_b32 s21, 0
	s_mov_b32 s0, -1
	s_waitcnt vmcnt(0)
	v_cmp_ne_u32_e32 vcc_lo, 0xff, v4
	v_lshlrev_b32_e32 v2, 23, v4
	s_delay_alu instid0(VALU_DEP_1) | instskip(NEXT) | instid1(VALU_DEP_1)
	v_cvt_f64_f32_e32 v[2:3], v2
	v_cndmask_b32_e32 v3, 0x7ff80000, v3, vcc_lo
	s_delay_alu instid0(VALU_DEP_2) | instskip(SKIP_1) | instid1(VALU_DEP_3)
	v_cndmask_b32_e32 v2, 0x20000000, v2, vcc_lo
	v_cmp_ne_u32_e32 vcc_lo, 0, v4
	v_cndmask_b32_e32 v3, 0x38000000, v3, vcc_lo
	s_delay_alu instid0(VALU_DEP_3)
	v_cndmask_b32_e32 v2, 0, v2, vcc_lo
	s_branch .LBB392_535
.LBB392_534:
	s_mov_b32 s21, -1
                                        ; implicit-def: $vgpr2_vgpr3
.LBB392_535:
	s_mov_b32 s1, 0
.LBB392_536:
	s_delay_alu instid0(SALU_CYCLE_1)
	s_and_b32 vcc_lo, exec_lo, s1
	s_cbranch_vccz .LBB392_540
; %bb.537:
	v_cmp_eq_u16_e32 vcc_lo, 29, v10
	s_cbranch_vccz .LBB392_539
; %bb.538:
	global_load_b64 v[2:3], v[0:1], off
	s_mov_b32 s0, -1
	s_mov_b32 s21, 0
	s_mov_b32 s1, 0
	s_waitcnt vmcnt(0)
	v_cvt_f64_u32_e32 v[3:4], v3
	v_cvt_f64_u32_e32 v[5:6], v2
	s_delay_alu instid0(VALU_DEP_2) | instskip(NEXT) | instid1(VALU_DEP_1)
	v_ldexp_f64 v[3:4], v[3:4], 32
	v_add_f64 v[2:3], v[3:4], v[5:6]
	s_branch .LBB392_541
.LBB392_539:
	s_mov_b32 s21, -1
                                        ; implicit-def: $vgpr2_vgpr3
.LBB392_540:
	s_mov_b32 s1, 0
.LBB392_541:
	s_delay_alu instid0(SALU_CYCLE_1)
	s_and_b32 vcc_lo, exec_lo, s1
	s_cbranch_vccz .LBB392_561
; %bb.542:
	v_cmp_gt_i16_e32 vcc_lo, 27, v10
	s_cbranch_vccnz .LBB392_545
; %bb.543:
	v_cmp_lt_i16_e32 vcc_lo, 27, v10
	s_cbranch_vccz .LBB392_546
; %bb.544:
	global_load_b32 v2, v[0:1], off
	s_mov_b32 s0, 0
	s_waitcnt vmcnt(0)
	v_cvt_f64_u32_e32 v[2:3], v2
	s_branch .LBB392_547
.LBB392_545:
	s_mov_b32 s0, -1
                                        ; implicit-def: $vgpr2_vgpr3
	s_branch .LBB392_550
.LBB392_546:
	s_mov_b32 s0, -1
                                        ; implicit-def: $vgpr2_vgpr3
.LBB392_547:
	s_delay_alu instid0(SALU_CYCLE_1)
	s_and_not1_b32 vcc_lo, exec_lo, s0
	s_cbranch_vccnz .LBB392_549
; %bb.548:
	global_load_u16 v2, v[0:1], off
	s_waitcnt vmcnt(0)
	v_cvt_f64_u32_e32 v[2:3], v2
.LBB392_549:
	s_mov_b32 s0, 0
.LBB392_550:
	s_delay_alu instid0(SALU_CYCLE_1)
	s_and_not1_b32 vcc_lo, exec_lo, s0
	s_cbranch_vccnz .LBB392_560
; %bb.551:
	global_load_u8 v4, v[0:1], off
	s_mov_b32 s22, 0
	s_mov_b32 s23, exec_lo
                                        ; implicit-def: $sgpr0_sgpr1
	s_waitcnt vmcnt(0)
	v_cmpx_lt_i16_e32 0x7f, v4
	s_xor_b32 s23, exec_lo, s23
	s_cbranch_execz .LBB392_555
; %bb.552:
	s_mov_b32 s24, -1
	s_mov_b32 s22, exec_lo
                                        ; implicit-def: $sgpr0_sgpr1
	v_cmpx_eq_u16_e32 0x80, v4
; %bb.553:
	s_mov_b32 s1, 0x7ff80000
	s_brev_b32 s0, 4
	s_xor_b32 s24, exec_lo, -1
; %bb.554:
	s_or_b32 exec_lo, exec_lo, s22
	s_delay_alu instid0(SALU_CYCLE_1)
	s_and_b32 s22, s24, exec_lo
.LBB392_555:
	s_or_saveexec_b32 s23, s23
	v_dual_mov_b32 v3, s1 :: v_dual_mov_b32 v2, s0
	s_xor_b32 exec_lo, exec_lo, s23
; %bb.556:
	v_cmp_ne_u16_e32 vcc_lo, 0, v4
	v_mov_b32_e32 v2, 0
	v_mov_b32_e32 v3, 0
	s_and_not1_b32 s0, s22, exec_lo
	s_and_b32 s1, vcc_lo, exec_lo
	s_delay_alu instid0(SALU_CYCLE_1)
	s_or_b32 s22, s0, s1
; %bb.557:
	s_or_b32 exec_lo, exec_lo, s23
	s_and_saveexec_b32 s0, s22
	s_cbranch_execz .LBB392_559
; %bb.558:
	v_and_b32_e32 v2, 0xffff, v4
	v_lshlrev_b32_e32 v4, 24, v4
	s_delay_alu instid0(VALU_DEP_2) | instskip(NEXT) | instid1(VALU_DEP_2)
	v_and_b32_e32 v3, 7, v2
	v_and_b32_e32 v4, 0x80000000, v4
	s_delay_alu instid0(VALU_DEP_2) | instskip(NEXT) | instid1(VALU_DEP_1)
	v_clz_i32_u32_e32 v5, v3
	v_min_u32_e32 v5, 32, v5
	s_delay_alu instid0(VALU_DEP_1) | instskip(SKIP_1) | instid1(VALU_DEP_2)
	v_subrev_nc_u32_e32 v6, 28, v5
	v_sub_nc_u32_e32 v5, 29, v5
	v_lshlrev_b32_e32 v6, v6, v2
	v_bfe_u32 v2, v2, 3, 4
	s_delay_alu instid0(VALU_DEP_2) | instskip(NEXT) | instid1(VALU_DEP_2)
	v_and_b32_e32 v6, 7, v6
	v_cmp_eq_u32_e32 vcc_lo, 0, v2
	s_delay_alu instid0(VALU_DEP_2) | instskip(NEXT) | instid1(VALU_DEP_1)
	v_dual_cndmask_b32 v2, v2, v5 :: v_dual_cndmask_b32 v3, v3, v6
	v_lshl_add_u32 v2, v2, 23, 0x3b800000
	s_delay_alu instid0(VALU_DEP_2) | instskip(NEXT) | instid1(VALU_DEP_1)
	v_lshlrev_b32_e32 v3, 20, v3
	v_or3_b32 v2, v4, v2, v3
	s_delay_alu instid0(VALU_DEP_1)
	v_cvt_f64_f32_e32 v[2:3], v2
.LBB392_559:
	s_or_b32 exec_lo, exec_lo, s0
.LBB392_560:
	s_mov_b32 s0, -1
.LBB392_561:
	s_mov_b32 s1, 0
.LBB392_562:
	s_delay_alu instid0(SALU_CYCLE_1)
	s_and_b32 vcc_lo, exec_lo, s1
	s_cbranch_vccz .LBB392_595
; %bb.563:
	v_cmp_lt_i16_e32 vcc_lo, 22, v10
	s_cbranch_vccz .LBB392_575
; %bb.564:
	v_cmp_gt_i16_e32 vcc_lo, 24, v10
	s_cbranch_vccnz .LBB392_576
; %bb.565:
	v_cmp_lt_i16_e32 vcc_lo, 24, v10
	s_cbranch_vccz .LBB392_577
; %bb.566:
	global_load_u8 v4, v[0:1], off
	s_mov_b32 s22, 0
	s_mov_b32 s23, exec_lo
                                        ; implicit-def: $sgpr0_sgpr1
	s_waitcnt vmcnt(0)
	v_cmpx_lt_i16_e32 0x7f, v4
	s_xor_b32 s23, exec_lo, s23
	s_cbranch_execz .LBB392_570
; %bb.567:
	s_mov_b32 s24, -1
	s_mov_b32 s22, exec_lo
                                        ; implicit-def: $sgpr0_sgpr1
	v_cmpx_eq_u16_e32 0x80, v4
; %bb.568:
	s_mov_b32 s1, 0x7ff80000
	s_brev_b32 s0, 4
	s_xor_b32 s24, exec_lo, -1
; %bb.569:
	s_or_b32 exec_lo, exec_lo, s22
	s_delay_alu instid0(SALU_CYCLE_1)
	s_and_b32 s22, s24, exec_lo
.LBB392_570:
	s_or_saveexec_b32 s23, s23
	v_dual_mov_b32 v3, s1 :: v_dual_mov_b32 v2, s0
	s_xor_b32 exec_lo, exec_lo, s23
; %bb.571:
	v_cmp_ne_u16_e32 vcc_lo, 0, v4
	v_mov_b32_e32 v2, 0
	v_mov_b32_e32 v3, 0
	s_and_not1_b32 s0, s22, exec_lo
	s_and_b32 s1, vcc_lo, exec_lo
	s_delay_alu instid0(SALU_CYCLE_1)
	s_or_b32 s22, s0, s1
; %bb.572:
	s_or_b32 exec_lo, exec_lo, s23
	s_and_saveexec_b32 s0, s22
	s_cbranch_execz .LBB392_574
; %bb.573:
	v_and_b32_e32 v2, 0xffff, v4
	v_lshlrev_b32_e32 v4, 24, v4
	s_delay_alu instid0(VALU_DEP_2) | instskip(NEXT) | instid1(VALU_DEP_2)
	v_and_b32_e32 v3, 3, v2
	v_and_b32_e32 v4, 0x80000000, v4
	s_delay_alu instid0(VALU_DEP_2) | instskip(NEXT) | instid1(VALU_DEP_1)
	v_clz_i32_u32_e32 v5, v3
	v_min_u32_e32 v5, 32, v5
	s_delay_alu instid0(VALU_DEP_1) | instskip(SKIP_1) | instid1(VALU_DEP_2)
	v_subrev_nc_u32_e32 v6, 29, v5
	v_sub_nc_u32_e32 v5, 30, v5
	v_lshlrev_b32_e32 v6, v6, v2
	v_bfe_u32 v2, v2, 2, 5
	s_delay_alu instid0(VALU_DEP_2) | instskip(NEXT) | instid1(VALU_DEP_2)
	v_and_b32_e32 v6, 3, v6
	v_cmp_eq_u32_e32 vcc_lo, 0, v2
	s_delay_alu instid0(VALU_DEP_2) | instskip(NEXT) | instid1(VALU_DEP_1)
	v_dual_cndmask_b32 v2, v2, v5 :: v_dual_cndmask_b32 v3, v3, v6
	v_lshl_add_u32 v2, v2, 23, 0x37800000
	s_delay_alu instid0(VALU_DEP_2) | instskip(NEXT) | instid1(VALU_DEP_1)
	v_lshlrev_b32_e32 v3, 21, v3
	v_or3_b32 v2, v4, v2, v3
	s_delay_alu instid0(VALU_DEP_1)
	v_cvt_f64_f32_e32 v[2:3], v2
.LBB392_574:
	s_or_b32 exec_lo, exec_lo, s0
	s_mov_b32 s0, 0
	s_branch .LBB392_578
.LBB392_575:
	s_mov_b32 s1, -1
                                        ; implicit-def: $vgpr2_vgpr3
	s_branch .LBB392_584
.LBB392_576:
	s_mov_b32 s0, -1
                                        ; implicit-def: $vgpr2_vgpr3
	s_branch .LBB392_581
.LBB392_577:
	s_mov_b32 s0, -1
                                        ; implicit-def: $vgpr2_vgpr3
.LBB392_578:
	s_delay_alu instid0(SALU_CYCLE_1)
	s_and_b32 vcc_lo, exec_lo, s0
	s_cbranch_vccz .LBB392_580
; %bb.579:
	global_load_u8 v2, v[0:1], off
	s_waitcnt vmcnt(0)
	v_lshlrev_b32_e32 v2, 24, v2
	s_delay_alu instid0(VALU_DEP_1) | instskip(NEXT) | instid1(VALU_DEP_1)
	v_and_b32_e32 v3, 0x7f000000, v2
	v_clz_i32_u32_e32 v4, v3
	v_add_nc_u32_e32 v6, 0x1000000, v3
	v_cmp_ne_u32_e32 vcc_lo, 0, v3
	s_delay_alu instid0(VALU_DEP_3) | instskip(NEXT) | instid1(VALU_DEP_1)
	v_min_u32_e32 v4, 32, v4
	v_sub_nc_u32_e64 v4, v4, 4 clamp
	s_delay_alu instid0(VALU_DEP_1) | instskip(SKIP_1) | instid1(VALU_DEP_2)
	v_lshlrev_b32_e32 v5, v4, v3
	v_lshlrev_b32_e32 v4, 23, v4
	v_lshrrev_b32_e32 v5, 4, v5
	s_delay_alu instid0(VALU_DEP_1) | instskip(SKIP_1) | instid1(VALU_DEP_2)
	v_sub_nc_u32_e32 v4, v5, v4
	v_ashrrev_i32_e32 v5, 8, v6
	v_add_nc_u32_e32 v4, 0x3c000000, v4
	s_delay_alu instid0(VALU_DEP_1) | instskip(NEXT) | instid1(VALU_DEP_1)
	v_and_or_b32 v4, 0x7f800000, v5, v4
	v_cndmask_b32_e32 v3, 0, v4, vcc_lo
	s_delay_alu instid0(VALU_DEP_1) | instskip(NEXT) | instid1(VALU_DEP_1)
	v_and_or_b32 v2, 0x80000000, v2, v3
	v_cvt_f64_f32_e32 v[2:3], v2
.LBB392_580:
	s_mov_b32 s0, 0
.LBB392_581:
	s_delay_alu instid0(SALU_CYCLE_1)
	s_and_not1_b32 vcc_lo, exec_lo, s0
	s_cbranch_vccnz .LBB392_583
; %bb.582:
	global_load_u8 v2, v[0:1], off
	s_waitcnt vmcnt(0)
	v_lshlrev_b32_e32 v3, 25, v2
	v_lshlrev_b16 v2, 8, v2
	s_delay_alu instid0(VALU_DEP_2) | instskip(NEXT) | instid1(VALU_DEP_2)
	v_lshrrev_b32_e32 v4, 4, v3
	v_and_or_b32 v5, 0x7f00, v2, 0.5
	v_bfe_i32 v2, v2, 0, 16
	s_delay_alu instid0(VALU_DEP_3) | instskip(NEXT) | instid1(VALU_DEP_1)
	v_or_b32_e32 v4, 0x70000000, v4
	v_dual_add_f32 v5, -0.5, v5 :: v_dual_mul_f32 v4, 0x7800000, v4
	v_cmp_gt_u32_e32 vcc_lo, 0x8000000, v3
	s_delay_alu instid0(VALU_DEP_2) | instskip(NEXT) | instid1(VALU_DEP_1)
	v_cndmask_b32_e32 v3, v4, v5, vcc_lo
	v_and_or_b32 v2, 0x80000000, v2, v3
	s_delay_alu instid0(VALU_DEP_1)
	v_cvt_f64_f32_e32 v[2:3], v2
.LBB392_583:
	s_mov_b32 s1, 0
	s_mov_b32 s0, -1
.LBB392_584:
	s_and_not1_b32 vcc_lo, exec_lo, s1
	s_cbranch_vccnz .LBB392_595
; %bb.585:
	v_cmp_lt_i16_e32 vcc_lo, 14, v10
	s_cbranch_vccz .LBB392_588
; %bb.586:
	v_cmp_eq_u16_e32 vcc_lo, 15, v10
	s_cbranch_vccz .LBB392_589
; %bb.587:
	global_load_u16 v2, v[0:1], off
	s_mov_b32 s0, -1
	s_mov_b32 s21, 0
	s_waitcnt vmcnt(0)
	v_lshlrev_b32_e32 v2, 16, v2
	s_delay_alu instid0(VALU_DEP_1)
	v_cvt_f64_f32_e32 v[2:3], v2
	s_branch .LBB392_590
.LBB392_588:
	s_mov_b32 s1, -1
                                        ; implicit-def: $vgpr2_vgpr3
	s_branch .LBB392_591
.LBB392_589:
	s_mov_b32 s21, -1
                                        ; implicit-def: $vgpr2_vgpr3
.LBB392_590:
	s_mov_b32 s1, 0
.LBB392_591:
	s_delay_alu instid0(SALU_CYCLE_1)
	s_and_b32 vcc_lo, exec_lo, s1
	s_cbranch_vccz .LBB392_595
; %bb.592:
	v_cmp_eq_u16_e32 vcc_lo, 11, v10
	s_cbranch_vccz .LBB392_594
; %bb.593:
	global_load_u8 v2, v[0:1], off
	s_mov_b32 s21, 0
	s_mov_b32 s0, -1
	s_waitcnt vmcnt(0)
	v_cmp_ne_u16_e32 vcc_lo, 0, v2
	v_mov_b32_e32 v2, 0
	v_cndmask_b32_e64 v3, 0, 0x3ff00000, vcc_lo
	s_branch .LBB392_595
.LBB392_594:
	s_mov_b32 s21, -1
                                        ; implicit-def: $vgpr2_vgpr3
.LBB392_595:
	s_mov_b32 s1, 0
.LBB392_596:
	s_delay_alu instid0(SALU_CYCLE_1)
	s_and_b32 vcc_lo, exec_lo, s1
	s_cbranch_vccz .LBB392_645
; %bb.597:
	v_cmp_gt_i16_e32 vcc_lo, 5, v10
	s_cbranch_vccnz .LBB392_602
; %bb.598:
	v_cmp_gt_i16_e32 vcc_lo, 8, v10
	s_cbranch_vccnz .LBB392_603
	;; [unrolled: 3-line block ×3, first 2 shown]
; %bb.600:
	v_cmp_lt_i16_e32 vcc_lo, 9, v10
	s_cbranch_vccz .LBB392_605
; %bb.601:
	global_load_b64 v[2:3], v[0:1], off
	s_mov_b32 s0, 0
	s_branch .LBB392_606
.LBB392_602:
	s_mov_b32 s0, -1
                                        ; implicit-def: $vgpr2_vgpr3
	s_branch .LBB392_624
.LBB392_603:
	s_mov_b32 s0, -1
                                        ; implicit-def: $vgpr2_vgpr3
	s_branch .LBB392_612
.LBB392_604:
	s_mov_b32 s0, -1
                                        ; implicit-def: $vgpr2_vgpr3
	s_branch .LBB392_609
.LBB392_605:
	s_mov_b32 s0, -1
                                        ; implicit-def: $vgpr2_vgpr3
.LBB392_606:
	s_delay_alu instid0(SALU_CYCLE_1)
	s_and_not1_b32 vcc_lo, exec_lo, s0
	s_cbranch_vccnz .LBB392_608
; %bb.607:
	global_load_b32 v2, v[0:1], off
	s_waitcnt vmcnt(0)
	v_cvt_f64_f32_e32 v[2:3], v2
.LBB392_608:
	s_mov_b32 s0, 0
.LBB392_609:
	s_delay_alu instid0(SALU_CYCLE_1)
	s_and_not1_b32 vcc_lo, exec_lo, s0
	s_cbranch_vccnz .LBB392_611
; %bb.610:
	global_load_b32 v2, v[0:1], off
	s_waitcnt vmcnt(0)
	v_cvt_f32_f16_e32 v2, v2
	s_delay_alu instid0(VALU_DEP_1)
	v_cvt_f64_f32_e32 v[2:3], v2
.LBB392_611:
	s_mov_b32 s0, 0
.LBB392_612:
	s_delay_alu instid0(SALU_CYCLE_1)
	s_and_not1_b32 vcc_lo, exec_lo, s0
	s_cbranch_vccnz .LBB392_623
; %bb.613:
	v_cmp_gt_i16_e32 vcc_lo, 6, v10
	s_cbranch_vccnz .LBB392_616
; %bb.614:
	v_cmp_lt_i16_e32 vcc_lo, 6, v10
	s_cbranch_vccz .LBB392_617
; %bb.615:
	global_load_b64 v[2:3], v[0:1], off
	s_mov_b32 s0, 0
	s_branch .LBB392_618
.LBB392_616:
	s_mov_b32 s0, -1
                                        ; implicit-def: $vgpr2_vgpr3
	s_branch .LBB392_621
.LBB392_617:
	s_mov_b32 s0, -1
                                        ; implicit-def: $vgpr2_vgpr3
.LBB392_618:
	s_delay_alu instid0(SALU_CYCLE_1)
	s_and_not1_b32 vcc_lo, exec_lo, s0
	s_cbranch_vccnz .LBB392_620
; %bb.619:
	global_load_b32 v2, v[0:1], off
	s_waitcnt vmcnt(0)
	v_cvt_f64_f32_e32 v[2:3], v2
.LBB392_620:
	s_mov_b32 s0, 0
.LBB392_621:
	s_delay_alu instid0(SALU_CYCLE_1)
	s_and_not1_b32 vcc_lo, exec_lo, s0
	s_cbranch_vccnz .LBB392_623
; %bb.622:
	global_load_u16 v2, v[0:1], off
	s_waitcnt vmcnt(0)
	v_cvt_f32_f16_e32 v2, v2
	s_delay_alu instid0(VALU_DEP_1)
	v_cvt_f64_f32_e32 v[2:3], v2
.LBB392_623:
	s_mov_b32 s0, 0
.LBB392_624:
	s_delay_alu instid0(SALU_CYCLE_1)
	s_and_not1_b32 vcc_lo, exec_lo, s0
	s_cbranch_vccnz .LBB392_644
; %bb.625:
	v_cmp_gt_i16_e32 vcc_lo, 2, v10
	s_cbranch_vccnz .LBB392_629
; %bb.626:
	v_cmp_gt_i16_e32 vcc_lo, 3, v10
	s_cbranch_vccnz .LBB392_630
; %bb.627:
	v_cmp_lt_i16_e32 vcc_lo, 3, v10
	s_cbranch_vccz .LBB392_631
; %bb.628:
	global_load_b64 v[2:3], v[0:1], off
	s_mov_b32 s0, 0
	s_waitcnt vmcnt(0)
	v_cvt_f64_i32_e32 v[3:4], v3
	v_cvt_f64_u32_e32 v[5:6], v2
	s_delay_alu instid0(VALU_DEP_2) | instskip(NEXT) | instid1(VALU_DEP_1)
	v_ldexp_f64 v[3:4], v[3:4], 32
	v_add_f64 v[2:3], v[3:4], v[5:6]
	s_branch .LBB392_632
.LBB392_629:
	s_mov_b32 s0, -1
                                        ; implicit-def: $vgpr2_vgpr3
	s_branch .LBB392_638
.LBB392_630:
	s_mov_b32 s0, -1
                                        ; implicit-def: $vgpr2_vgpr3
	s_branch .LBB392_635
.LBB392_631:
	s_mov_b32 s0, -1
                                        ; implicit-def: $vgpr2_vgpr3
.LBB392_632:
	s_delay_alu instid0(SALU_CYCLE_1)
	s_and_not1_b32 vcc_lo, exec_lo, s0
	s_cbranch_vccnz .LBB392_634
; %bb.633:
	global_load_b32 v2, v[0:1], off
	s_waitcnt vmcnt(0)
	v_cvt_f64_i32_e32 v[2:3], v2
.LBB392_634:
	s_mov_b32 s0, 0
.LBB392_635:
	s_delay_alu instid0(SALU_CYCLE_1)
	s_and_not1_b32 vcc_lo, exec_lo, s0
	s_cbranch_vccnz .LBB392_637
; %bb.636:
	global_load_i16 v2, v[0:1], off
	s_waitcnt vmcnt(0)
	v_cvt_f64_i32_e32 v[2:3], v2
.LBB392_637:
	s_mov_b32 s0, 0
.LBB392_638:
	s_delay_alu instid0(SALU_CYCLE_1)
	s_and_not1_b32 vcc_lo, exec_lo, s0
	s_cbranch_vccnz .LBB392_644
; %bb.639:
	v_cmp_lt_i16_e32 vcc_lo, 0, v10
	s_mov_b32 s0, 0
	s_cbranch_vccz .LBB392_641
; %bb.640:
	global_load_i8 v2, v[0:1], off
	s_waitcnt vmcnt(0)
	v_cvt_f64_i32_e32 v[2:3], v2
	s_branch .LBB392_642
.LBB392_641:
	s_mov_b32 s0, -1
                                        ; implicit-def: $vgpr2_vgpr3
.LBB392_642:
	s_delay_alu instid0(SALU_CYCLE_1)
	s_and_not1_b32 vcc_lo, exec_lo, s0
	s_cbranch_vccnz .LBB392_644
; %bb.643:
	global_load_u8 v0, v[0:1], off
	s_waitcnt vmcnt(0)
	v_cvt_f64_u32_e32 v[2:3], v0
.LBB392_644:
	s_mov_b32 s0, -1
.LBB392_645:
	s_delay_alu instid0(SALU_CYCLE_1)
	s_and_not1_b32 vcc_lo, exec_lo, s0
	s_cbranch_vccnz .LBB392_653
; %bb.646:
	v_max_f64 v[0:1], s[10:11], s[10:11]
	s_waitcnt vmcnt(0)
	s_delay_alu instid0(VALU_DEP_2) | instskip(SKIP_2) | instid1(VALU_DEP_1)
	v_max_f64 v[4:5], v[2:3], v[2:3]
	v_cmp_u_f64_e32 vcc_lo, v[2:3], v[2:3]
	v_and_b32_e64 v6, 0xff, s2
	v_cmp_gt_i16_e64 s0, 11, v6
	s_delay_alu instid0(VALU_DEP_4) | instskip(SKIP_1) | instid1(VALU_DEP_1)
	v_max_f64 v[0:1], v[4:5], v[0:1]
	v_mul_lo_u32 v4, v12, s8
	v_ashrrev_i32_e32 v5, 31, v4
	v_add_co_u32 v4, s1, s4, v4
	s_delay_alu instid0(VALU_DEP_1)
	v_add_co_ci_u32_e64 v5, s1, s5, v5, s1
	v_dual_cndmask_b32 v1, v1, v3 :: v_dual_cndmask_b32 v0, v0, v2
	s_and_b32 vcc_lo, exec_lo, s0
	s_cbranch_vccnz .LBB392_654
; %bb.647:
	v_cmp_lt_i16_e32 vcc_lo, 25, v6
	s_cbranch_vccz .LBB392_655
; %bb.648:
	v_cmp_lt_i16_e32 vcc_lo, 28, v6
	s_cbranch_vccz .LBB392_656
; %bb.649:
	v_cmp_lt_i16_e32 vcc_lo, 43, v6
	s_cbranch_vccz .LBB392_657
; %bb.650:
	v_cmp_lt_i16_e32 vcc_lo, 45, v6
	s_cbranch_vccz .LBB392_658
; %bb.651:
	v_cmp_eq_u16_e32 vcc_lo, 46, v6
	s_mov_b32 s22, 0
	s_mov_b32 s0, -1
	s_mov_b32 s1, 0
	s_cbranch_vccz .LBB392_659
; %bb.652:
	v_cvt_f32_f64_e32 v2, v[0:1]
	s_mov_b32 s1, -1
	s_mov_b32 s0, 0
	s_delay_alu instid0(VALU_DEP_1) | instskip(SKIP_1) | instid1(VALU_DEP_2)
	v_bfe_u32 v3, v2, 16, 1
	v_cmp_o_f32_e32 vcc_lo, v2, v2
	v_add3_u32 v3, v2, v3, 0x7fff
	s_delay_alu instid0(VALU_DEP_1) | instskip(NEXT) | instid1(VALU_DEP_1)
	v_lshrrev_b32_e32 v3, 16, v3
	v_cndmask_b32_e32 v2, 0x7fc0, v3, vcc_lo
	global_store_b32 v[4:5], v2, off
	s_branch .LBB392_659
.LBB392_653:
	s_mov_b32 s1, 0
	s_mov_b32 s0, s18
	s_branch .LBB392_770
.LBB392_654:
	s_mov_b32 s22, -1
	s_mov_b32 s1, 0
	s_mov_b32 s0, s18
	s_branch .LBB392_728
.LBB392_655:
	s_mov_b32 s22, -1
	s_mov_b32 s1, 0
	s_mov_b32 s0, s18
	s_branch .LBB392_686
.LBB392_656:
	s_mov_b32 s22, -1
	s_mov_b32 s1, 0
	s_mov_b32 s0, s18
	s_branch .LBB392_669
.LBB392_657:
	s_mov_b32 s22, -1
	s_mov_b32 s1, 0
	s_mov_b32 s0, s18
	s_branch .LBB392_665
.LBB392_658:
	s_mov_b32 s22, -1
	s_mov_b32 s1, 0
	s_mov_b32 s0, s18
.LBB392_659:
	s_and_b32 vcc_lo, exec_lo, s22
	s_cbranch_vccz .LBB392_664
; %bb.660:
	v_cmp_eq_u16_e32 vcc_lo, 44, v6
	s_mov_b32 s0, -1
	s_cbranch_vccz .LBB392_664
; %bb.661:
	v_cvt_f32_f64_e32 v2, v[0:1]
	v_mov_b32_e32 v3, 0xff
	s_mov_b32 s1, exec_lo
	s_delay_alu instid0(VALU_DEP_2) | instskip(NEXT) | instid1(VALU_DEP_1)
	v_bfe_u32 v7, v2, 23, 8
	v_cmpx_ne_u32_e32 0xff, v7
; %bb.662:
	v_and_b32_e32 v3, 0x400000, v2
	v_and_or_b32 v7, 0x3fffff, v2, v7
	v_lshrrev_b32_e32 v2, 23, v2
	s_delay_alu instid0(VALU_DEP_3) | instskip(NEXT) | instid1(VALU_DEP_3)
	v_cmp_ne_u32_e32 vcc_lo, 0, v3
	v_cmp_ne_u32_e64 s0, 0, v7
	s_delay_alu instid0(VALU_DEP_1) | instskip(NEXT) | instid1(SALU_CYCLE_1)
	s_and_b32 s0, vcc_lo, s0
	v_cndmask_b32_e64 v3, 0, 1, s0
	s_delay_alu instid0(VALU_DEP_1)
	v_add_nc_u32_e32 v3, v2, v3
; %bb.663:
	s_or_b32 exec_lo, exec_lo, s1
	s_mov_b32 s1, -1
	s_mov_b32 s0, 0
	global_store_b8 v[4:5], v3, off
.LBB392_664:
	s_mov_b32 s22, 0
.LBB392_665:
	s_delay_alu instid0(SALU_CYCLE_1)
	s_and_b32 vcc_lo, exec_lo, s22
	s_cbranch_vccz .LBB392_668
; %bb.666:
	v_cmp_eq_u16_e32 vcc_lo, 29, v6
	s_mov_b32 s0, -1
	s_cbranch_vccz .LBB392_668
; %bb.667:
	v_trunc_f64_e32 v[2:3], v[0:1]
	s_mov_b32 s1, -1
	s_mov_b32 s0, 0
	s_mov_b32 s22, 0
	s_delay_alu instid0(VALU_DEP_1) | instskip(NEXT) | instid1(VALU_DEP_1)
	v_ldexp_f64 v[7:8], v[2:3], 0xffffffe0
	v_floor_f64_e32 v[7:8], v[7:8]
	s_delay_alu instid0(VALU_DEP_1) | instskip(SKIP_1) | instid1(VALU_DEP_2)
	v_fma_f64 v[2:3], 0xc1f00000, v[7:8], v[2:3]
	v_cvt_u32_f64_e32 v8, v[7:8]
	v_cvt_u32_f64_e32 v7, v[2:3]
	global_store_b64 v[4:5], v[7:8], off
	s_branch .LBB392_669
.LBB392_668:
	s_mov_b32 s22, 0
.LBB392_669:
	s_delay_alu instid0(SALU_CYCLE_1)
	s_and_b32 vcc_lo, exec_lo, s22
	s_cbranch_vccz .LBB392_685
; %bb.670:
	v_cmp_gt_i16_e32 vcc_lo, 27, v6
	s_mov_b32 s1, -1
	s_cbranch_vccnz .LBB392_676
; %bb.671:
	v_cmp_lt_i16_e32 vcc_lo, 27, v6
	s_cbranch_vccz .LBB392_673
; %bb.672:
	v_cvt_u32_f64_e32 v2, v[0:1]
	s_mov_b32 s1, 0
	global_store_b32 v[4:5], v2, off
.LBB392_673:
	s_and_not1_b32 vcc_lo, exec_lo, s1
	s_cbranch_vccnz .LBB392_675
; %bb.674:
	v_cvt_u32_f64_e32 v2, v[0:1]
	global_store_b16 v[4:5], v2, off
.LBB392_675:
	s_mov_b32 s1, 0
.LBB392_676:
	s_delay_alu instid0(SALU_CYCLE_1)
	s_and_not1_b32 vcc_lo, exec_lo, s1
	s_cbranch_vccnz .LBB392_684
; %bb.677:
	v_cvt_f32_f64_e32 v2, v[0:1]
	v_mov_b32_e32 v7, 0x80
	s_mov_b32 s1, exec_lo
	s_delay_alu instid0(VALU_DEP_2) | instskip(NEXT) | instid1(VALU_DEP_1)
	v_and_b32_e32 v3, 0x7fffffff, v2
	v_cmpx_gt_u32_e32 0x43800000, v3
	s_cbranch_execz .LBB392_683
; %bb.678:
	v_cmp_lt_u32_e32 vcc_lo, 0x3bffffff, v3
	s_mov_b32 s22, 0
                                        ; implicit-def: $vgpr3
	s_and_saveexec_b32 s23, vcc_lo
	s_delay_alu instid0(SALU_CYCLE_1)
	s_xor_b32 s23, exec_lo, s23
	s_cbranch_execz .LBB392_785
; %bb.679:
	v_bfe_u32 v3, v2, 20, 1
	s_mov_b32 s22, exec_lo
	s_delay_alu instid0(VALU_DEP_1) | instskip(NEXT) | instid1(VALU_DEP_1)
	v_add3_u32 v3, v2, v3, 0x487ffff
	v_lshrrev_b32_e32 v3, 20, v3
	s_or_saveexec_b32 s23, s23
                                        ; implicit-def: $sgpr24
	s_delay_alu instid0(SALU_CYCLE_1)
	s_xor_b32 exec_lo, exec_lo, s23
	s_cbranch_execnz .LBB392_786
.LBB392_680:
	s_or_b32 exec_lo, exec_lo, s23
	v_mov_b32_e32 v7, s24
	s_and_saveexec_b32 s23, s22
.LBB392_681:
	v_lshrrev_b32_e32 v2, 24, v2
	s_delay_alu instid0(VALU_DEP_1)
	v_and_or_b32 v7, 0x80, v2, v3
.LBB392_682:
	s_or_b32 exec_lo, exec_lo, s23
.LBB392_683:
	s_delay_alu instid0(SALU_CYCLE_1)
	s_or_b32 exec_lo, exec_lo, s1
	global_store_b8 v[4:5], v7, off
.LBB392_684:
	s_mov_b32 s1, -1
.LBB392_685:
	s_mov_b32 s22, 0
.LBB392_686:
	s_delay_alu instid0(SALU_CYCLE_1)
	s_and_b32 vcc_lo, exec_lo, s22
	s_cbranch_vccz .LBB392_727
; %bb.687:
	v_cmp_lt_i16_e32 vcc_lo, 22, v6
	s_mov_b32 s22, -1
	s_cbranch_vccz .LBB392_719
; %bb.688:
	v_cmp_gt_i16_e32 vcc_lo, 24, v6
	s_mov_b32 s1, -1
	s_cbranch_vccnz .LBB392_708
; %bb.689:
	v_cmp_lt_i16_e32 vcc_lo, 24, v6
	s_cbranch_vccz .LBB392_697
; %bb.690:
	v_cvt_f32_f64_e32 v2, v[0:1]
	v_mov_b32_e32 v7, 0x80
	s_mov_b32 s1, exec_lo
	s_delay_alu instid0(VALU_DEP_2) | instskip(NEXT) | instid1(VALU_DEP_1)
	v_and_b32_e32 v3, 0x7fffffff, v2
	v_cmpx_gt_u32_e32 0x47800000, v3
	s_cbranch_execz .LBB392_696
; %bb.691:
	v_cmp_lt_u32_e32 vcc_lo, 0x37ffffff, v3
	s_mov_b32 s22, 0
                                        ; implicit-def: $vgpr3
	s_and_saveexec_b32 s23, vcc_lo
	s_delay_alu instid0(SALU_CYCLE_1)
	s_xor_b32 s23, exec_lo, s23
	s_cbranch_execz .LBB392_788
; %bb.692:
	v_bfe_u32 v3, v2, 21, 1
	s_mov_b32 s22, exec_lo
	s_delay_alu instid0(VALU_DEP_1) | instskip(NEXT) | instid1(VALU_DEP_1)
	v_add3_u32 v3, v2, v3, 0x88fffff
	v_lshrrev_b32_e32 v3, 21, v3
	s_or_saveexec_b32 s23, s23
                                        ; implicit-def: $sgpr24
	s_delay_alu instid0(SALU_CYCLE_1)
	s_xor_b32 exec_lo, exec_lo, s23
	s_cbranch_execnz .LBB392_789
.LBB392_693:
	s_or_b32 exec_lo, exec_lo, s23
	v_mov_b32_e32 v7, s24
	s_and_saveexec_b32 s23, s22
.LBB392_694:
	v_lshrrev_b32_e32 v2, 24, v2
	s_delay_alu instid0(VALU_DEP_1)
	v_and_or_b32 v7, 0x80, v2, v3
.LBB392_695:
	s_or_b32 exec_lo, exec_lo, s23
.LBB392_696:
	s_delay_alu instid0(SALU_CYCLE_1)
	s_or_b32 exec_lo, exec_lo, s1
	s_mov_b32 s1, 0
	global_store_b8 v[4:5], v7, off
.LBB392_697:
	s_and_b32 vcc_lo, exec_lo, s1
	s_cbranch_vccz .LBB392_707
; %bb.698:
	v_cvt_f32_f64_e32 v2, v[0:1]
	s_mov_b32 s1, exec_lo
                                        ; implicit-def: $vgpr3
	s_delay_alu instid0(VALU_DEP_1) | instskip(NEXT) | instid1(VALU_DEP_1)
	v_and_b32_e32 v7, 0x7fffffff, v2
	v_cmpx_gt_u32_e32 0x43f00000, v7
	s_xor_b32 s1, exec_lo, s1
	s_cbranch_execz .LBB392_704
; %bb.699:
	s_mov_b32 s22, exec_lo
                                        ; implicit-def: $vgpr3
	v_cmpx_lt_u32_e32 0x3c7fffff, v7
	s_xor_b32 s22, exec_lo, s22
; %bb.700:
	v_bfe_u32 v3, v2, 20, 1
	s_delay_alu instid0(VALU_DEP_1) | instskip(NEXT) | instid1(VALU_DEP_1)
	v_add3_u32 v3, v2, v3, 0x407ffff
	v_and_b32_e32 v7, 0xff00000, v3
	v_lshrrev_b32_e32 v3, 20, v3
	s_delay_alu instid0(VALU_DEP_2) | instskip(NEXT) | instid1(VALU_DEP_2)
	v_cmp_ne_u32_e32 vcc_lo, 0x7f00000, v7
	v_cndmask_b32_e32 v3, 0x7e, v3, vcc_lo
; %bb.701:
	s_and_not1_saveexec_b32 s22, s22
; %bb.702:
	v_add_f32_e64 v3, 0x46800000, |v2|
; %bb.703:
	s_or_b32 exec_lo, exec_lo, s22
                                        ; implicit-def: $vgpr7
.LBB392_704:
	s_and_not1_saveexec_b32 s1, s1
; %bb.705:
	v_mov_b32_e32 v3, 0x7f
	v_cmp_lt_u32_e32 vcc_lo, 0x7f800000, v7
	s_delay_alu instid0(VALU_DEP_2)
	v_cndmask_b32_e32 v3, 0x7e, v3, vcc_lo
; %bb.706:
	s_or_b32 exec_lo, exec_lo, s1
	v_lshrrev_b32_e32 v2, 24, v2
	s_delay_alu instid0(VALU_DEP_1)
	v_and_or_b32 v2, 0x80, v2, v3
	global_store_b8 v[4:5], v2, off
.LBB392_707:
	s_mov_b32 s1, 0
.LBB392_708:
	s_delay_alu instid0(SALU_CYCLE_1)
	s_and_not1_b32 vcc_lo, exec_lo, s1
	s_cbranch_vccnz .LBB392_718
; %bb.709:
	v_cvt_f32_f64_e32 v2, v[0:1]
	s_mov_b32 s1, exec_lo
                                        ; implicit-def: $vgpr3
	s_delay_alu instid0(VALU_DEP_1) | instskip(NEXT) | instid1(VALU_DEP_1)
	v_and_b32_e32 v7, 0x7fffffff, v2
	v_cmpx_gt_u32_e32 0x47800000, v7
	s_xor_b32 s1, exec_lo, s1
	s_cbranch_execz .LBB392_715
; %bb.710:
	s_mov_b32 s22, exec_lo
                                        ; implicit-def: $vgpr3
	v_cmpx_lt_u32_e32 0x387fffff, v7
	s_xor_b32 s22, exec_lo, s22
; %bb.711:
	v_bfe_u32 v3, v2, 21, 1
	s_delay_alu instid0(VALU_DEP_1) | instskip(NEXT) | instid1(VALU_DEP_1)
	v_add3_u32 v3, v2, v3, 0x80fffff
	v_lshrrev_b32_e32 v3, 21, v3
; %bb.712:
	s_and_not1_saveexec_b32 s22, s22
; %bb.713:
	v_add_f32_e64 v3, 0x43000000, |v2|
; %bb.714:
	s_or_b32 exec_lo, exec_lo, s22
                                        ; implicit-def: $vgpr7
.LBB392_715:
	s_and_not1_saveexec_b32 s1, s1
; %bb.716:
	v_mov_b32_e32 v3, 0x7f
	v_cmp_lt_u32_e32 vcc_lo, 0x7f800000, v7
	s_delay_alu instid0(VALU_DEP_2)
	v_cndmask_b32_e32 v3, 0x7c, v3, vcc_lo
; %bb.717:
	s_or_b32 exec_lo, exec_lo, s1
	v_lshrrev_b32_e32 v2, 24, v2
	s_delay_alu instid0(VALU_DEP_1)
	v_and_or_b32 v2, 0x80, v2, v3
	global_store_b8 v[4:5], v2, off
.LBB392_718:
	s_mov_b32 s22, 0
	s_mov_b32 s1, -1
.LBB392_719:
	s_and_not1_b32 vcc_lo, exec_lo, s22
	s_cbranch_vccnz .LBB392_727
; %bb.720:
	v_cmp_lt_i16_e32 vcc_lo, 14, v6
	s_mov_b32 s22, -1
	s_cbranch_vccz .LBB392_724
; %bb.721:
	v_cmp_eq_u16_e32 vcc_lo, 15, v6
	s_mov_b32 s0, -1
	s_cbranch_vccz .LBB392_723
; %bb.722:
	v_cvt_f32_f64_e32 v2, v[0:1]
	s_mov_b32 s1, -1
	s_mov_b32 s0, 0
	s_delay_alu instid0(VALU_DEP_1) | instskip(SKIP_1) | instid1(VALU_DEP_2)
	v_bfe_u32 v3, v2, 16, 1
	v_cmp_o_f32_e32 vcc_lo, v2, v2
	v_add3_u32 v3, v2, v3, 0x7fff
	s_delay_alu instid0(VALU_DEP_1) | instskip(NEXT) | instid1(VALU_DEP_1)
	v_lshrrev_b32_e32 v3, 16, v3
	v_cndmask_b32_e32 v2, 0x7fc0, v3, vcc_lo
	global_store_b16 v[4:5], v2, off
.LBB392_723:
	s_mov_b32 s22, 0
.LBB392_724:
	s_delay_alu instid0(SALU_CYCLE_1)
	s_and_b32 vcc_lo, exec_lo, s22
	s_cbranch_vccz .LBB392_727
; %bb.725:
	v_cmp_eq_u16_e32 vcc_lo, 11, v6
	s_mov_b32 s0, -1
	s_cbranch_vccz .LBB392_727
; %bb.726:
	v_cmp_neq_f64_e32 vcc_lo, 0, v[0:1]
	s_mov_b32 s1, -1
	s_mov_b32 s0, 0
	v_cndmask_b32_e64 v2, 0, 1, vcc_lo
	global_store_b8 v[4:5], v2, off
.LBB392_727:
	s_mov_b32 s22, 0
.LBB392_728:
	s_delay_alu instid0(SALU_CYCLE_1)
	s_and_b32 vcc_lo, exec_lo, s22
	s_cbranch_vccz .LBB392_767
; %bb.729:
	v_cmp_gt_i16_e32 vcc_lo, 5, v6
	s_mov_b32 s1, -1
	s_cbranch_vccnz .LBB392_750
; %bb.730:
	v_cmp_gt_i16_e32 vcc_lo, 8, v6
	s_cbranch_vccnz .LBB392_740
; %bb.731:
	v_cmp_gt_i16_e32 vcc_lo, 9, v6
	s_cbranch_vccnz .LBB392_737
; %bb.732:
	v_cmp_lt_i16_e32 vcc_lo, 9, v6
	s_cbranch_vccz .LBB392_734
; %bb.733:
	v_mov_b32_e32 v2, 0
	s_mov_b32 s1, 0
	s_delay_alu instid0(VALU_DEP_1)
	v_mov_b32_e32 v3, v2
	global_store_b128 v[4:5], v[0:3], off
.LBB392_734:
	s_and_not1_b32 vcc_lo, exec_lo, s1
	s_cbranch_vccnz .LBB392_736
; %bb.735:
	v_cvt_f32_f64_e32 v2, v[0:1]
	v_mov_b32_e32 v3, 0
	global_store_b64 v[4:5], v[2:3], off
.LBB392_736:
	s_mov_b32 s1, 0
.LBB392_737:
	s_delay_alu instid0(SALU_CYCLE_1)
	s_and_not1_b32 vcc_lo, exec_lo, s1
	s_cbranch_vccnz .LBB392_739
; %bb.738:
	v_cvt_f32_f64_e32 v2, v[0:1]
	s_delay_alu instid0(VALU_DEP_1) | instskip(NEXT) | instid1(VALU_DEP_1)
	v_cvt_f16_f32_e32 v2, v2
	v_and_b32_e32 v2, 0xffff, v2
	global_store_b32 v[4:5], v2, off
.LBB392_739:
	s_mov_b32 s1, 0
.LBB392_740:
	s_delay_alu instid0(SALU_CYCLE_1)
	s_and_not1_b32 vcc_lo, exec_lo, s1
	s_cbranch_vccnz .LBB392_749
; %bb.741:
	v_cmp_gt_i16_e32 vcc_lo, 6, v6
	s_mov_b32 s1, -1
	s_cbranch_vccnz .LBB392_747
; %bb.742:
	v_cmp_lt_i16_e32 vcc_lo, 6, v6
	s_cbranch_vccz .LBB392_744
; %bb.743:
	s_mov_b32 s1, 0
	global_store_b64 v[4:5], v[0:1], off
.LBB392_744:
	s_and_not1_b32 vcc_lo, exec_lo, s1
	s_cbranch_vccnz .LBB392_746
; %bb.745:
	v_cvt_f32_f64_e32 v2, v[0:1]
	global_store_b32 v[4:5], v2, off
.LBB392_746:
	s_mov_b32 s1, 0
.LBB392_747:
	s_delay_alu instid0(SALU_CYCLE_1)
	s_and_not1_b32 vcc_lo, exec_lo, s1
	s_cbranch_vccnz .LBB392_749
; %bb.748:
	v_cvt_f32_f64_e32 v2, v[0:1]
	s_delay_alu instid0(VALU_DEP_1)
	v_cvt_f16_f32_e32 v2, v2
	global_store_b16 v[4:5], v2, off
.LBB392_749:
	s_mov_b32 s1, 0
.LBB392_750:
	s_delay_alu instid0(SALU_CYCLE_1)
	s_and_not1_b32 vcc_lo, exec_lo, s1
	s_cbranch_vccnz .LBB392_766
; %bb.751:
	v_cmp_gt_i16_e32 vcc_lo, 2, v6
	s_mov_b32 s1, -1
	s_cbranch_vccnz .LBB392_761
; %bb.752:
	v_cmp_gt_i16_e32 vcc_lo, 3, v6
	s_cbranch_vccnz .LBB392_758
; %bb.753:
	v_cmp_lt_i16_e32 vcc_lo, 3, v6
	s_cbranch_vccz .LBB392_755
; %bb.754:
	v_trunc_f64_e32 v[2:3], v[0:1]
	s_mov_b32 s1, 0
	s_delay_alu instid0(VALU_DEP_1) | instskip(NEXT) | instid1(VALU_DEP_1)
	v_ldexp_f64 v[7:8], v[2:3], 0xffffffe0
	v_floor_f64_e32 v[7:8], v[7:8]
	s_delay_alu instid0(VALU_DEP_1) | instskip(SKIP_1) | instid1(VALU_DEP_2)
	v_fma_f64 v[2:3], 0xc1f00000, v[7:8], v[2:3]
	v_cvt_i32_f64_e32 v8, v[7:8]
	v_cvt_u32_f64_e32 v7, v[2:3]
	global_store_b64 v[4:5], v[7:8], off
.LBB392_755:
	s_and_not1_b32 vcc_lo, exec_lo, s1
	s_cbranch_vccnz .LBB392_757
; %bb.756:
	v_cvt_i32_f64_e32 v2, v[0:1]
	global_store_b32 v[4:5], v2, off
.LBB392_757:
	s_mov_b32 s1, 0
.LBB392_758:
	s_delay_alu instid0(SALU_CYCLE_1)
	s_and_not1_b32 vcc_lo, exec_lo, s1
	s_cbranch_vccnz .LBB392_760
; %bb.759:
	v_cvt_i32_f64_e32 v2, v[0:1]
	global_store_b16 v[4:5], v2, off
.LBB392_760:
	s_mov_b32 s1, 0
.LBB392_761:
	s_delay_alu instid0(SALU_CYCLE_1)
	s_and_not1_b32 vcc_lo, exec_lo, s1
	s_cbranch_vccnz .LBB392_766
; %bb.762:
	v_cmp_lt_i16_e32 vcc_lo, 0, v6
	s_mov_b32 s1, -1
	s_cbranch_vccz .LBB392_764
; %bb.763:
	v_cvt_i32_f64_e32 v2, v[0:1]
	s_mov_b32 s1, 0
	global_store_b8 v[4:5], v2, off
.LBB392_764:
	s_and_not1_b32 vcc_lo, exec_lo, s1
	s_cbranch_vccnz .LBB392_766
; %bb.765:
	v_trunc_f64_e32 v[0:1], v[0:1]
	s_delay_alu instid0(VALU_DEP_1) | instskip(NEXT) | instid1(VALU_DEP_1)
	v_ldexp_f64 v[2:3], v[0:1], 0xffffffe0
	v_floor_f64_e32 v[2:3], v[2:3]
	s_delay_alu instid0(VALU_DEP_1) | instskip(NEXT) | instid1(VALU_DEP_1)
	v_fma_f64 v[0:1], 0xc1f00000, v[2:3], v[0:1]
	v_cvt_u32_f64_e32 v0, v[0:1]
	global_store_b8 v[4:5], v0, off
.LBB392_766:
	s_mov_b32 s1, -1
.LBB392_767:
	s_delay_alu instid0(SALU_CYCLE_1)
	s_and_not1_b32 vcc_lo, exec_lo, s1
	s_cbranch_vccnz .LBB392_769
; %bb.768:
	v_add_nc_u32_e32 v12, 0x80, v12
	s_mov_b32 s1, -1
	s_branch .LBB392_771
.LBB392_769:
	s_mov_b32 s1, 0
.LBB392_770:
                                        ; implicit-def: $vgpr12
.LBB392_771:
	s_and_not1_b32 s22, s18, exec_lo
	s_and_b32 s0, s0, exec_lo
	s_and_not1_b32 s23, s17, exec_lo
	s_and_b32 s21, s21, exec_lo
	s_or_b32 s22, s22, s0
	s_or_b32 s21, s23, s21
	s_or_not1_b32 s0, s1, exec_lo
.LBB392_772:
	s_or_b32 exec_lo, exec_lo, s20
	s_mov_b32 s1, 0
	s_mov_b32 s23, 0
	;; [unrolled: 1-line block ×3, first 2 shown]
                                        ; implicit-def: $vgpr0_vgpr1
                                        ; implicit-def: $vgpr2_vgpr3
	s_and_saveexec_b32 s20, s0
	s_cbranch_execz .LBB392_857
; %bb.773:
	v_cmp_gt_i32_e32 vcc_lo, s14, v12
	s_mov_b32 s0, 0
	s_mov_b32 s25, s21
	;; [unrolled: 1-line block ×3, first 2 shown]
                                        ; implicit-def: $vgpr0_vgpr1
                                        ; implicit-def: $vgpr2_vgpr3
	s_and_saveexec_b32 s14, vcc_lo
	s_cbranch_execz .LBB392_856
; %bb.774:
	v_mul_lo_u32 v0, v12, s9
	v_cmp_gt_i16_e32 vcc_lo, 11, v10
	s_delay_alu instid0(VALU_DEP_2) | instskip(SKIP_1) | instid1(VALU_DEP_1)
	v_ashrrev_i32_e32 v1, 31, v0
	v_add_co_u32 v0, s0, s6, v0
	v_add_co_ci_u32_e64 v1, s0, s7, v1, s0
	s_cbranch_vccnz .LBB392_781
; %bb.775:
	v_cmp_lt_i16_e32 vcc_lo, 25, v10
	s_cbranch_vccz .LBB392_782
; %bb.776:
	v_cmp_lt_i16_e32 vcc_lo, 28, v10
	s_cbranch_vccz .LBB392_783
	;; [unrolled: 3-line block ×4, first 2 shown]
; %bb.779:
	v_cmp_eq_u16_e32 vcc_lo, 46, v10
	s_cbranch_vccz .LBB392_790
; %bb.780:
	global_load_b32 v2, v[0:1], off
	s_mov_b32 s0, -1
	s_waitcnt vmcnt(0)
	v_lshlrev_b32_e32 v2, 16, v2
	s_delay_alu instid0(VALU_DEP_1)
	v_cvt_f64_f32_e32 v[2:3], v2
	s_branch .LBB392_792
.LBB392_781:
	s_mov_b32 s1, -1
	s_mov_b32 s0, 0
	s_mov_b32 s23, s21
                                        ; implicit-def: $vgpr2_vgpr3
	s_branch .LBB392_855
.LBB392_782:
	s_mov_b32 s1, -1
	s_mov_b32 s0, 0
	s_mov_b32 s23, s21
                                        ; implicit-def: $vgpr2_vgpr3
	s_branch .LBB392_823
.LBB392_783:
	s_mov_b32 s1, -1
	s_mov_b32 s0, 0
	s_mov_b32 s23, s21
                                        ; implicit-def: $vgpr2_vgpr3
	s_branch .LBB392_802
.LBB392_784:
	s_mov_b32 s1, -1
	s_mov_b32 s0, 0
	s_mov_b32 s23, s21
                                        ; implicit-def: $vgpr2_vgpr3
	s_branch .LBB392_797
.LBB392_785:
	s_or_saveexec_b32 s23, s23
                                        ; implicit-def: $sgpr24
	s_delay_alu instid0(SALU_CYCLE_1)
	s_xor_b32 exec_lo, exec_lo, s23
	s_cbranch_execz .LBB392_680
.LBB392_786:
	v_add_f32_e64 v3, 0x46000000, |v2|
	s_and_not1_b32 s22, s22, exec_lo
	s_mov_b32 s24, 0
	s_delay_alu instid0(VALU_DEP_1) | instskip(NEXT) | instid1(VALU_DEP_1)
	v_and_b32_e32 v3, 0xff, v3
	v_cmp_ne_u32_e32 vcc_lo, 0, v3
	s_and_b32 s25, vcc_lo, exec_lo
	s_delay_alu instid0(SALU_CYCLE_1)
	s_or_b32 s22, s22, s25
	s_or_b32 exec_lo, exec_lo, s23
	v_mov_b32_e32 v7, s24
	s_and_saveexec_b32 s23, s22
	s_cbranch_execnz .LBB392_681
	s_branch .LBB392_682
.LBB392_787:
	s_mov_b32 s1, -1
	s_mov_b32 s0, 0
	s_mov_b32 s23, s21
	s_branch .LBB392_791
.LBB392_788:
	s_or_saveexec_b32 s23, s23
                                        ; implicit-def: $sgpr24
	s_delay_alu instid0(SALU_CYCLE_1)
	s_xor_b32 exec_lo, exec_lo, s23
	s_cbranch_execz .LBB392_693
.LBB392_789:
	v_add_f32_e64 v3, 0x42800000, |v2|
	s_and_not1_b32 s22, s22, exec_lo
	s_mov_b32 s24, 0
	s_delay_alu instid0(VALU_DEP_1) | instskip(NEXT) | instid1(VALU_DEP_1)
	v_and_b32_e32 v3, 0xff, v3
	v_cmp_ne_u32_e32 vcc_lo, 0, v3
	s_and_b32 s25, vcc_lo, exec_lo
	s_delay_alu instid0(SALU_CYCLE_1)
	s_or_b32 s22, s22, s25
	s_or_b32 exec_lo, exec_lo, s23
	v_mov_b32_e32 v7, s24
	s_and_saveexec_b32 s23, s22
	s_cbranch_execnz .LBB392_694
	s_branch .LBB392_695
.LBB392_790:
	s_mov_b32 s23, -1
	s_mov_b32 s0, 0
.LBB392_791:
                                        ; implicit-def: $vgpr2_vgpr3
.LBB392_792:
	s_and_b32 vcc_lo, exec_lo, s1
	s_cbranch_vccz .LBB392_796
; %bb.793:
	v_cmp_eq_u16_e32 vcc_lo, 44, v10
	s_cbranch_vccz .LBB392_795
; %bb.794:
	global_load_u8 v4, v[0:1], off
	s_mov_b32 s23, 0
	s_mov_b32 s0, -1
	s_waitcnt vmcnt(0)
	v_cmp_ne_u32_e32 vcc_lo, 0xff, v4
	v_lshlrev_b32_e32 v2, 23, v4
	s_delay_alu instid0(VALU_DEP_1) | instskip(NEXT) | instid1(VALU_DEP_1)
	v_cvt_f64_f32_e32 v[2:3], v2
	v_cndmask_b32_e32 v3, 0x7ff80000, v3, vcc_lo
	s_delay_alu instid0(VALU_DEP_2) | instskip(SKIP_1) | instid1(VALU_DEP_3)
	v_cndmask_b32_e32 v2, 0x20000000, v2, vcc_lo
	v_cmp_ne_u32_e32 vcc_lo, 0, v4
	v_cndmask_b32_e32 v3, 0x38000000, v3, vcc_lo
	s_delay_alu instid0(VALU_DEP_3)
	v_cndmask_b32_e32 v2, 0, v2, vcc_lo
	s_branch .LBB392_796
.LBB392_795:
	s_mov_b32 s23, -1
                                        ; implicit-def: $vgpr2_vgpr3
.LBB392_796:
	s_mov_b32 s1, 0
.LBB392_797:
	s_delay_alu instid0(SALU_CYCLE_1)
	s_and_b32 vcc_lo, exec_lo, s1
	s_cbranch_vccz .LBB392_801
; %bb.798:
	v_cmp_eq_u16_e32 vcc_lo, 29, v10
	s_cbranch_vccz .LBB392_800
; %bb.799:
	global_load_b64 v[2:3], v[0:1], off
	s_mov_b32 s23, 0
	s_mov_b32 s0, -1
	s_mov_b32 s1, 0
	s_waitcnt vmcnt(0)
	v_cvt_f64_u32_e32 v[3:4], v3
	v_cvt_f64_u32_e32 v[5:6], v2
	s_delay_alu instid0(VALU_DEP_2) | instskip(NEXT) | instid1(VALU_DEP_1)
	v_ldexp_f64 v[3:4], v[3:4], 32
	v_add_f64 v[2:3], v[3:4], v[5:6]
	s_branch .LBB392_802
.LBB392_800:
	s_mov_b32 s23, -1
                                        ; implicit-def: $vgpr2_vgpr3
.LBB392_801:
	s_mov_b32 s1, 0
.LBB392_802:
	s_delay_alu instid0(SALU_CYCLE_1)
	s_and_b32 vcc_lo, exec_lo, s1
	s_cbranch_vccz .LBB392_822
; %bb.803:
	v_cmp_gt_i16_e32 vcc_lo, 27, v10
	s_cbranch_vccnz .LBB392_806
; %bb.804:
	v_cmp_lt_i16_e32 vcc_lo, 27, v10
	s_cbranch_vccz .LBB392_807
; %bb.805:
	global_load_b32 v2, v[0:1], off
	s_mov_b32 s0, 0
	s_waitcnt vmcnt(0)
	v_cvt_f64_u32_e32 v[2:3], v2
	s_branch .LBB392_808
.LBB392_806:
	s_mov_b32 s0, -1
                                        ; implicit-def: $vgpr2_vgpr3
	s_branch .LBB392_811
.LBB392_807:
	s_mov_b32 s0, -1
                                        ; implicit-def: $vgpr2_vgpr3
.LBB392_808:
	s_delay_alu instid0(SALU_CYCLE_1)
	s_and_not1_b32 vcc_lo, exec_lo, s0
	s_cbranch_vccnz .LBB392_810
; %bb.809:
	global_load_u16 v2, v[0:1], off
	s_waitcnt vmcnt(0)
	v_cvt_f64_u32_e32 v[2:3], v2
.LBB392_810:
	s_mov_b32 s0, 0
.LBB392_811:
	s_delay_alu instid0(SALU_CYCLE_1)
	s_and_not1_b32 vcc_lo, exec_lo, s0
	s_cbranch_vccnz .LBB392_821
; %bb.812:
	global_load_u8 v4, v[0:1], off
	s_mov_b32 s25, 0
	s_mov_b32 s26, exec_lo
                                        ; implicit-def: $sgpr0_sgpr1
	s_waitcnt vmcnt(0)
	v_cmpx_lt_i16_e32 0x7f, v4
	s_xor_b32 s26, exec_lo, s26
	s_cbranch_execz .LBB392_816
; %bb.813:
	s_mov_b32 s27, -1
	s_mov_b32 s25, exec_lo
                                        ; implicit-def: $sgpr0_sgpr1
	v_cmpx_eq_u16_e32 0x80, v4
; %bb.814:
	s_mov_b32 s1, 0x7ff80000
	s_brev_b32 s0, 4
	s_xor_b32 s27, exec_lo, -1
; %bb.815:
	s_or_b32 exec_lo, exec_lo, s25
	s_delay_alu instid0(SALU_CYCLE_1)
	s_and_b32 s25, s27, exec_lo
.LBB392_816:
	s_or_saveexec_b32 s26, s26
	v_dual_mov_b32 v3, s1 :: v_dual_mov_b32 v2, s0
	s_xor_b32 exec_lo, exec_lo, s26
; %bb.817:
	v_cmp_ne_u16_e32 vcc_lo, 0, v4
	v_mov_b32_e32 v2, 0
	v_mov_b32_e32 v3, 0
	s_and_not1_b32 s0, s25, exec_lo
	s_and_b32 s1, vcc_lo, exec_lo
	s_delay_alu instid0(SALU_CYCLE_1)
	s_or_b32 s25, s0, s1
; %bb.818:
	s_or_b32 exec_lo, exec_lo, s26
	s_and_saveexec_b32 s0, s25
	s_cbranch_execz .LBB392_820
; %bb.819:
	v_and_b32_e32 v2, 0xffff, v4
	v_lshlrev_b32_e32 v4, 24, v4
	s_delay_alu instid0(VALU_DEP_2) | instskip(NEXT) | instid1(VALU_DEP_2)
	v_and_b32_e32 v3, 7, v2
	v_and_b32_e32 v4, 0x80000000, v4
	s_delay_alu instid0(VALU_DEP_2) | instskip(NEXT) | instid1(VALU_DEP_1)
	v_clz_i32_u32_e32 v5, v3
	v_min_u32_e32 v5, 32, v5
	s_delay_alu instid0(VALU_DEP_1) | instskip(SKIP_1) | instid1(VALU_DEP_2)
	v_subrev_nc_u32_e32 v6, 28, v5
	v_sub_nc_u32_e32 v5, 29, v5
	v_lshlrev_b32_e32 v6, v6, v2
	v_bfe_u32 v2, v2, 3, 4
	s_delay_alu instid0(VALU_DEP_2) | instskip(NEXT) | instid1(VALU_DEP_2)
	v_and_b32_e32 v6, 7, v6
	v_cmp_eq_u32_e32 vcc_lo, 0, v2
	s_delay_alu instid0(VALU_DEP_2) | instskip(NEXT) | instid1(VALU_DEP_1)
	v_dual_cndmask_b32 v2, v2, v5 :: v_dual_cndmask_b32 v3, v3, v6
	v_lshl_add_u32 v2, v2, 23, 0x3b800000
	s_delay_alu instid0(VALU_DEP_2) | instskip(NEXT) | instid1(VALU_DEP_1)
	v_lshlrev_b32_e32 v3, 20, v3
	v_or3_b32 v2, v4, v2, v3
	s_delay_alu instid0(VALU_DEP_1)
	v_cvt_f64_f32_e32 v[2:3], v2
.LBB392_820:
	s_or_b32 exec_lo, exec_lo, s0
.LBB392_821:
	s_mov_b32 s0, -1
.LBB392_822:
	s_mov_b32 s1, 0
.LBB392_823:
	s_delay_alu instid0(SALU_CYCLE_1)
	s_and_b32 vcc_lo, exec_lo, s1
	s_cbranch_vccz .LBB392_854
; %bb.824:
	v_cmp_lt_i16_e32 vcc_lo, 22, v10
	s_cbranch_vccz .LBB392_836
; %bb.825:
	v_cmp_gt_i16_e32 vcc_lo, 24, v10
	s_cbranch_vccnz .LBB392_837
; %bb.826:
	v_cmp_lt_i16_e32 vcc_lo, 24, v10
	s_cbranch_vccz .LBB392_838
; %bb.827:
	global_load_u8 v4, v[0:1], off
	s_mov_b32 s25, exec_lo
                                        ; implicit-def: $sgpr0_sgpr1
	s_waitcnt vmcnt(0)
	v_cmpx_lt_i16_e32 0x7f, v4
	s_xor_b32 s25, exec_lo, s25
	s_cbranch_execz .LBB392_831
; %bb.828:
	s_mov_b32 s26, -1
	s_mov_b32 s24, exec_lo
                                        ; implicit-def: $sgpr0_sgpr1
	v_cmpx_eq_u16_e32 0x80, v4
; %bb.829:
	s_mov_b32 s1, 0x7ff80000
	s_brev_b32 s0, 4
	s_xor_b32 s26, exec_lo, -1
; %bb.830:
	s_or_b32 exec_lo, exec_lo, s24
	s_delay_alu instid0(SALU_CYCLE_1)
	s_and_b32 s24, s26, exec_lo
.LBB392_831:
	s_or_saveexec_b32 s25, s25
	v_dual_mov_b32 v3, s1 :: v_dual_mov_b32 v2, s0
	s_xor_b32 exec_lo, exec_lo, s25
; %bb.832:
	v_cmp_ne_u16_e32 vcc_lo, 0, v4
	v_mov_b32_e32 v2, 0
	v_mov_b32_e32 v3, 0
	s_and_not1_b32 s0, s24, exec_lo
	s_and_b32 s1, vcc_lo, exec_lo
	s_delay_alu instid0(SALU_CYCLE_1)
	s_or_b32 s24, s0, s1
; %bb.833:
	s_or_b32 exec_lo, exec_lo, s25
	s_and_saveexec_b32 s0, s24
	s_cbranch_execz .LBB392_835
; %bb.834:
	v_and_b32_e32 v2, 0xffff, v4
	v_lshlrev_b32_e32 v4, 24, v4
	s_delay_alu instid0(VALU_DEP_2) | instskip(NEXT) | instid1(VALU_DEP_2)
	v_and_b32_e32 v3, 3, v2
	v_and_b32_e32 v4, 0x80000000, v4
	s_delay_alu instid0(VALU_DEP_2) | instskip(NEXT) | instid1(VALU_DEP_1)
	v_clz_i32_u32_e32 v5, v3
	v_min_u32_e32 v5, 32, v5
	s_delay_alu instid0(VALU_DEP_1) | instskip(SKIP_1) | instid1(VALU_DEP_2)
	v_subrev_nc_u32_e32 v6, 29, v5
	v_sub_nc_u32_e32 v5, 30, v5
	v_lshlrev_b32_e32 v6, v6, v2
	v_bfe_u32 v2, v2, 2, 5
	s_delay_alu instid0(VALU_DEP_2) | instskip(NEXT) | instid1(VALU_DEP_2)
	v_and_b32_e32 v6, 3, v6
	v_cmp_eq_u32_e32 vcc_lo, 0, v2
	s_delay_alu instid0(VALU_DEP_2) | instskip(NEXT) | instid1(VALU_DEP_1)
	v_dual_cndmask_b32 v2, v2, v5 :: v_dual_cndmask_b32 v3, v3, v6
	v_lshl_add_u32 v2, v2, 23, 0x37800000
	s_delay_alu instid0(VALU_DEP_2) | instskip(NEXT) | instid1(VALU_DEP_1)
	v_lshlrev_b32_e32 v3, 21, v3
	v_or3_b32 v2, v4, v2, v3
	s_delay_alu instid0(VALU_DEP_1)
	v_cvt_f64_f32_e32 v[2:3], v2
.LBB392_835:
	s_or_b32 exec_lo, exec_lo, s0
	s_mov_b32 s0, 0
	s_branch .LBB392_839
.LBB392_836:
	s_mov_b32 s1, -1
                                        ; implicit-def: $vgpr2_vgpr3
	s_branch .LBB392_845
.LBB392_837:
	s_mov_b32 s0, -1
                                        ; implicit-def: $vgpr2_vgpr3
	s_branch .LBB392_842
.LBB392_838:
	s_mov_b32 s0, -1
                                        ; implicit-def: $vgpr2_vgpr3
.LBB392_839:
	s_delay_alu instid0(SALU_CYCLE_1)
	s_and_b32 vcc_lo, exec_lo, s0
	s_cbranch_vccz .LBB392_841
; %bb.840:
	global_load_u8 v2, v[0:1], off
	s_waitcnt vmcnt(0)
	v_lshlrev_b32_e32 v2, 24, v2
	s_delay_alu instid0(VALU_DEP_1) | instskip(NEXT) | instid1(VALU_DEP_1)
	v_and_b32_e32 v3, 0x7f000000, v2
	v_clz_i32_u32_e32 v4, v3
	v_add_nc_u32_e32 v6, 0x1000000, v3
	v_cmp_ne_u32_e32 vcc_lo, 0, v3
	s_delay_alu instid0(VALU_DEP_3) | instskip(NEXT) | instid1(VALU_DEP_1)
	v_min_u32_e32 v4, 32, v4
	v_sub_nc_u32_e64 v4, v4, 4 clamp
	s_delay_alu instid0(VALU_DEP_1) | instskip(SKIP_1) | instid1(VALU_DEP_2)
	v_lshlrev_b32_e32 v5, v4, v3
	v_lshlrev_b32_e32 v4, 23, v4
	v_lshrrev_b32_e32 v5, 4, v5
	s_delay_alu instid0(VALU_DEP_1) | instskip(SKIP_1) | instid1(VALU_DEP_2)
	v_sub_nc_u32_e32 v4, v5, v4
	v_ashrrev_i32_e32 v5, 8, v6
	v_add_nc_u32_e32 v4, 0x3c000000, v4
	s_delay_alu instid0(VALU_DEP_1) | instskip(NEXT) | instid1(VALU_DEP_1)
	v_and_or_b32 v4, 0x7f800000, v5, v4
	v_cndmask_b32_e32 v3, 0, v4, vcc_lo
	s_delay_alu instid0(VALU_DEP_1) | instskip(NEXT) | instid1(VALU_DEP_1)
	v_and_or_b32 v2, 0x80000000, v2, v3
	v_cvt_f64_f32_e32 v[2:3], v2
.LBB392_841:
	s_mov_b32 s0, 0
.LBB392_842:
	s_delay_alu instid0(SALU_CYCLE_1)
	s_and_not1_b32 vcc_lo, exec_lo, s0
	s_cbranch_vccnz .LBB392_844
; %bb.843:
	global_load_u8 v2, v[0:1], off
	s_waitcnt vmcnt(0)
	v_lshlrev_b32_e32 v3, 25, v2
	v_lshlrev_b16 v2, 8, v2
	s_delay_alu instid0(VALU_DEP_2) | instskip(NEXT) | instid1(VALU_DEP_2)
	v_lshrrev_b32_e32 v4, 4, v3
	v_and_or_b32 v5, 0x7f00, v2, 0.5
	v_bfe_i32 v2, v2, 0, 16
	s_delay_alu instid0(VALU_DEP_3) | instskip(NEXT) | instid1(VALU_DEP_1)
	v_or_b32_e32 v4, 0x70000000, v4
	v_dual_add_f32 v5, -0.5, v5 :: v_dual_mul_f32 v4, 0x7800000, v4
	v_cmp_gt_u32_e32 vcc_lo, 0x8000000, v3
	s_delay_alu instid0(VALU_DEP_2) | instskip(NEXT) | instid1(VALU_DEP_1)
	v_cndmask_b32_e32 v3, v4, v5, vcc_lo
	v_and_or_b32 v2, 0x80000000, v2, v3
	s_delay_alu instid0(VALU_DEP_1)
	v_cvt_f64_f32_e32 v[2:3], v2
.LBB392_844:
	s_mov_b32 s1, 0
	s_mov_b32 s0, -1
.LBB392_845:
	s_and_not1_b32 vcc_lo, exec_lo, s1
	s_mov_b32 s24, 0
	s_cbranch_vccnz .LBB392_854
; %bb.846:
	v_cmp_lt_i16_e32 vcc_lo, 14, v10
	s_cbranch_vccz .LBB392_849
; %bb.847:
	v_cmp_eq_u16_e32 vcc_lo, 15, v10
	s_cbranch_vccz .LBB392_850
; %bb.848:
	global_load_u16 v2, v[0:1], off
	s_mov_b32 s23, 0
	s_mov_b32 s0, -1
	s_waitcnt vmcnt(0)
	v_lshlrev_b32_e32 v2, 16, v2
	s_delay_alu instid0(VALU_DEP_1)
	v_cvt_f64_f32_e32 v[2:3], v2
	s_branch .LBB392_851
.LBB392_849:
	s_mov_b32 s1, -1
                                        ; implicit-def: $vgpr2_vgpr3
	s_branch .LBB392_852
.LBB392_850:
	s_mov_b32 s23, -1
                                        ; implicit-def: $vgpr2_vgpr3
.LBB392_851:
	s_mov_b32 s1, 0
.LBB392_852:
	s_delay_alu instid0(SALU_CYCLE_1)
	s_and_b32 vcc_lo, exec_lo, s1
	s_cbranch_vccz .LBB392_854
; %bb.853:
	v_cmp_ne_u16_e32 vcc_lo, 11, v10
	s_and_not1_b32 s1, s23, exec_lo
	s_mov_b32 s24, -1
                                        ; implicit-def: $vgpr2_vgpr3
	s_and_b32 s23, vcc_lo, exec_lo
	s_delay_alu instid0(SALU_CYCLE_1)
	s_or_b32 s23, s1, s23
.LBB392_854:
	s_mov_b32 s1, 0
.LBB392_855:
	s_and_not1_b32 s25, s21, exec_lo
	s_and_b32 s23, s23, exec_lo
	s_and_b32 s26, s0, exec_lo
	;; [unrolled: 1-line block ×4, first 2 shown]
	s_or_b32 s25, s25, s23
.LBB392_856:
	s_or_b32 exec_lo, exec_lo, s14
	s_delay_alu instid0(SALU_CYCLE_1)
	s_and_not1_b32 s14, s21, exec_lo
	s_and_b32 s21, s25, exec_lo
	s_and_b32 s24, s26, exec_lo
	;; [unrolled: 1-line block ×4, first 2 shown]
	s_or_b32 s21, s14, s21
.LBB392_857:
	s_or_b32 exec_lo, exec_lo, s20
	s_delay_alu instid0(SALU_CYCLE_1)
	s_and_not1_b32 s0, s18, exec_lo
	s_and_b32 s14, s22, exec_lo
	s_and_b32 s20, s23, exec_lo
	s_or_b32 s18, s0, s14
	s_and_not1_b32 s14, s17, exec_lo
	s_and_b32 s17, s21, exec_lo
	s_and_b32 s0, s24, exec_lo
	s_and_b32 s1, s1, exec_lo
	s_or_b32 s17, s14, s17
.LBB392_858:
	s_or_b32 exec_lo, exec_lo, s19
	s_delay_alu instid0(SALU_CYCLE_1)
	s_and_not1_b32 s13, s13, exec_lo
	s_and_b32 s14, s18, exec_lo
	s_and_b32 s0, s0, exec_lo
	s_or_b32 s13, s13, s14
	s_and_not1_b32 s14, s15, exec_lo
	s_and_b32 s15, s17, exec_lo
	s_and_b32 s18, s20, exec_lo
	;; [unrolled: 1-line block ×3, first 2 shown]
	s_or_b32 s15, s14, s15
.LBB392_859:
	s_or_b32 exec_lo, exec_lo, s16
	s_mov_b32 s14, 0
	s_and_saveexec_b32 s1, s15
	s_cbranch_execnz .LBB392_871
; %bb.860:
	s_or_b32 exec_lo, exec_lo, s1
	s_and_saveexec_b32 s1, s17
	s_delay_alu instid0(SALU_CYCLE_1)
	s_xor_b32 s1, exec_lo, s1
	s_cbranch_execz .LBB392_862
.LBB392_861:
	global_load_u8 v2, v[0:1], off
	s_or_b32 s0, s0, exec_lo
	s_waitcnt vmcnt(0)
	v_cmp_ne_u16_e32 vcc_lo, 0, v2
	v_mov_b32_e32 v2, 0
	v_cndmask_b32_e64 v3, 0, 0x3ff00000, vcc_lo
.LBB392_862:
	s_or_b32 exec_lo, exec_lo, s1
	s_and_saveexec_b32 s1, s18
	s_cbranch_execz .LBB392_910
; %bb.863:
	v_cmp_gt_i16_e32 vcc_lo, 5, v10
	s_cbranch_vccnz .LBB392_868
; %bb.864:
	v_cmp_gt_i16_e32 vcc_lo, 8, v10
	s_cbranch_vccnz .LBB392_869
	;; [unrolled: 3-line block ×3, first 2 shown]
; %bb.866:
	v_cmp_lt_i16_e32 vcc_lo, 9, v10
	s_cbranch_vccz .LBB392_873
; %bb.867:
	global_load_b64 v[2:3], v[0:1], off
	s_mov_b32 s15, 0
	s_branch .LBB392_874
.LBB392_868:
                                        ; implicit-def: $vgpr2_vgpr3
	s_branch .LBB392_891
.LBB392_869:
                                        ; implicit-def: $vgpr2_vgpr3
	s_branch .LBB392_880
.LBB392_870:
	s_mov_b32 s15, -1
                                        ; implicit-def: $vgpr2_vgpr3
	s_branch .LBB392_877
.LBB392_871:
	s_cbranch_execnz .LBB392_919
; %bb.872:
	s_mov_b32 s14, exec_lo
	s_and_not1_b32 s17, s17, exec_lo
                                        ; implicit-def: $vgpr2_vgpr3
	s_or_b32 exec_lo, exec_lo, s1
	s_and_saveexec_b32 s1, s17
	s_delay_alu instid0(SALU_CYCLE_1)
	s_xor_b32 s1, exec_lo, s1
	s_cbranch_execnz .LBB392_861
	s_branch .LBB392_862
.LBB392_873:
	s_mov_b32 s15, -1
                                        ; implicit-def: $vgpr2_vgpr3
.LBB392_874:
	s_delay_alu instid0(SALU_CYCLE_1)
	s_and_not1_b32 vcc_lo, exec_lo, s15
	s_cbranch_vccnz .LBB392_876
; %bb.875:
	global_load_b32 v2, v[0:1], off
	s_waitcnt vmcnt(0)
	v_cvt_f64_f32_e32 v[2:3], v2
.LBB392_876:
	s_mov_b32 s15, 0
.LBB392_877:
	s_delay_alu instid0(SALU_CYCLE_1)
	s_and_not1_b32 vcc_lo, exec_lo, s15
	s_cbranch_vccnz .LBB392_879
; %bb.878:
	global_load_b32 v2, v[0:1], off
	s_waitcnt vmcnt(0)
	v_cvt_f32_f16_e32 v2, v2
	s_delay_alu instid0(VALU_DEP_1)
	v_cvt_f64_f32_e32 v[2:3], v2
.LBB392_879:
	s_cbranch_execnz .LBB392_890
.LBB392_880:
	v_cmp_gt_i16_e32 vcc_lo, 6, v10
	s_cbranch_vccnz .LBB392_883
; %bb.881:
	v_cmp_lt_i16_e32 vcc_lo, 6, v10
	s_cbranch_vccz .LBB392_884
; %bb.882:
	global_load_b64 v[2:3], v[0:1], off
	s_mov_b32 s15, 0
	s_branch .LBB392_885
.LBB392_883:
	s_mov_b32 s15, -1
                                        ; implicit-def: $vgpr2_vgpr3
	s_branch .LBB392_888
.LBB392_884:
	s_mov_b32 s15, -1
                                        ; implicit-def: $vgpr2_vgpr3
.LBB392_885:
	s_delay_alu instid0(SALU_CYCLE_1)
	s_and_not1_b32 vcc_lo, exec_lo, s15
	s_cbranch_vccnz .LBB392_887
; %bb.886:
	global_load_b32 v2, v[0:1], off
	s_waitcnt vmcnt(0)
	v_cvt_f64_f32_e32 v[2:3], v2
.LBB392_887:
	s_mov_b32 s15, 0
.LBB392_888:
	s_delay_alu instid0(SALU_CYCLE_1)
	s_and_not1_b32 vcc_lo, exec_lo, s15
	s_cbranch_vccnz .LBB392_890
; %bb.889:
	global_load_u16 v2, v[0:1], off
	s_waitcnt vmcnt(0)
	v_cvt_f32_f16_e32 v2, v2
	s_delay_alu instid0(VALU_DEP_1)
	v_cvt_f64_f32_e32 v[2:3], v2
.LBB392_890:
	s_cbranch_execnz .LBB392_909
.LBB392_891:
	v_cmp_gt_i16_e32 vcc_lo, 2, v10
	s_cbranch_vccnz .LBB392_895
; %bb.892:
	v_cmp_gt_i16_e32 vcc_lo, 3, v10
	s_cbranch_vccnz .LBB392_896
; %bb.893:
	v_cmp_lt_i16_e32 vcc_lo, 3, v10
	s_cbranch_vccz .LBB392_897
; %bb.894:
	global_load_b64 v[2:3], v[0:1], off
	s_mov_b32 s15, 0
	s_waitcnt vmcnt(0)
	v_cvt_f64_i32_e32 v[3:4], v3
	v_cvt_f64_u32_e32 v[5:6], v2
	s_delay_alu instid0(VALU_DEP_2) | instskip(NEXT) | instid1(VALU_DEP_1)
	v_ldexp_f64 v[3:4], v[3:4], 32
	v_add_f64 v[2:3], v[3:4], v[5:6]
	s_branch .LBB392_898
.LBB392_895:
                                        ; implicit-def: $vgpr2_vgpr3
	s_branch .LBB392_904
.LBB392_896:
	s_mov_b32 s15, -1
                                        ; implicit-def: $vgpr2_vgpr3
	s_branch .LBB392_901
.LBB392_897:
	s_mov_b32 s15, -1
                                        ; implicit-def: $vgpr2_vgpr3
.LBB392_898:
	s_delay_alu instid0(SALU_CYCLE_1)
	s_and_not1_b32 vcc_lo, exec_lo, s15
	s_cbranch_vccnz .LBB392_900
; %bb.899:
	global_load_b32 v2, v[0:1], off
	s_waitcnt vmcnt(0)
	v_cvt_f64_i32_e32 v[2:3], v2
.LBB392_900:
	s_mov_b32 s15, 0
.LBB392_901:
	s_delay_alu instid0(SALU_CYCLE_1)
	s_and_not1_b32 vcc_lo, exec_lo, s15
	s_cbranch_vccnz .LBB392_903
; %bb.902:
	global_load_i16 v2, v[0:1], off
	s_waitcnt vmcnt(0)
	v_cvt_f64_i32_e32 v[2:3], v2
.LBB392_903:
	s_cbranch_execnz .LBB392_909
.LBB392_904:
	v_cmp_lt_i16_e32 vcc_lo, 0, v10
	s_mov_b32 s15, 0
	s_cbranch_vccz .LBB392_906
; %bb.905:
	global_load_i8 v2, v[0:1], off
	s_waitcnt vmcnt(0)
	v_cvt_f64_i32_e32 v[2:3], v2
	s_branch .LBB392_907
.LBB392_906:
	s_mov_b32 s15, -1
                                        ; implicit-def: $vgpr2_vgpr3
.LBB392_907:
	s_delay_alu instid0(SALU_CYCLE_1)
	s_and_not1_b32 vcc_lo, exec_lo, s15
	s_cbranch_vccnz .LBB392_909
; %bb.908:
	global_load_u8 v0, v[0:1], off
	s_waitcnt vmcnt(0)
	v_cvt_f64_u32_e32 v[2:3], v0
.LBB392_909:
	s_or_b32 s0, s0, exec_lo
.LBB392_910:
	s_or_b32 exec_lo, exec_lo, s1
	s_mov_b32 s16, 0
	s_mov_b32 s1, 0
                                        ; implicit-def: $vgpr6
                                        ; implicit-def: $vgpr4_vgpr5
                                        ; implicit-def: $vgpr0_vgpr1
	s_and_saveexec_b32 s15, s0
	s_cbranch_execz .LBB392_990
; %bb.911:
	v_max_f64 v[0:1], s[10:11], s[10:11]
	s_waitcnt vmcnt(0)
	s_delay_alu instid0(VALU_DEP_2) | instskip(SKIP_2) | instid1(VALU_DEP_1)
	v_max_f64 v[4:5], v[2:3], v[2:3]
	v_cmp_u_f64_e32 vcc_lo, v[2:3], v[2:3]
	v_and_b32_e64 v6, 0xff, s2
	v_cmp_gt_i16_e64 s0, 11, v6
	s_delay_alu instid0(VALU_DEP_4) | instskip(SKIP_1) | instid1(VALU_DEP_1)
	v_max_f64 v[0:1], v[4:5], v[0:1]
	v_mul_lo_u32 v4, v12, s8
	v_ashrrev_i32_e32 v5, 31, v4
	v_add_co_u32 v4, s1, s4, v4
	s_delay_alu instid0(VALU_DEP_1)
	v_add_co_ci_u32_e64 v5, s1, s5, v5, s1
	v_dual_cndmask_b32 v1, v1, v3 :: v_dual_cndmask_b32 v0, v0, v2
	s_and_b32 vcc_lo, exec_lo, s0
	s_cbranch_vccnz .LBB392_918
; %bb.912:
	v_cmp_lt_i16_e32 vcc_lo, 25, v6
	s_mov_b32 s1, -1
	s_mov_b32 s0, s13
	s_cbranch_vccz .LBB392_948
; %bb.913:
	v_cmp_lt_i16_e32 vcc_lo, 28, v6
	s_mov_b32 s0, s13
	s_cbranch_vccz .LBB392_932
; %bb.914:
	v_cmp_lt_i16_e32 vcc_lo, 43, v6
	;; [unrolled: 4-line block ×3, first 2 shown]
	s_mov_b32 s0, s13
	s_cbranch_vccz .LBB392_922
; %bb.916:
	v_cmp_eq_u16_e32 vcc_lo, 46, v6
	s_mov_b32 s0, -1
	s_cbranch_vccz .LBB392_921
; %bb.917:
	v_cvt_f32_f64_e32 v2, v[0:1]
	s_mov_b32 s0, 0
	s_mov_b32 s1, 0
	s_delay_alu instid0(VALU_DEP_1) | instskip(SKIP_1) | instid1(VALU_DEP_2)
	v_bfe_u32 v3, v2, 16, 1
	v_cmp_o_f32_e32 vcc_lo, v2, v2
	v_add3_u32 v3, v2, v3, 0x7fff
	s_delay_alu instid0(VALU_DEP_1) | instskip(NEXT) | instid1(VALU_DEP_1)
	v_lshrrev_b32_e32 v3, 16, v3
	v_cndmask_b32_e32 v2, 0x7fc0, v3, vcc_lo
	global_store_b32 v[4:5], v2, off
	s_branch .LBB392_922
.LBB392_918:
	s_mov_b32 s1, -1
	s_mov_b32 s0, s13
	s_branch .LBB392_989
.LBB392_919:
	s_trap 2
	s_sendmsg_rtn_b32 s0, sendmsg(MSG_RTN_GET_DOORBELL)
	s_mov_b32 ttmp2, m0
	s_waitcnt lgkmcnt(0)
	s_and_b32 s0, s0, 0x3ff
	s_delay_alu instid0(SALU_CYCLE_1) | instskip(NEXT) | instid1(SALU_CYCLE_1)
	s_bitset1_b32 s0, 10
	s_mov_b32 m0, s0
	s_sendmsg sendmsg(MSG_INTERRUPT)
	s_mov_b32 m0, ttmp2
.LBB392_920:                            ; =>This Inner Loop Header: Depth=1
	s_sethalt 5
	s_branch .LBB392_920
.LBB392_921:
	s_mov_b32 s1, 0
.LBB392_922:
	s_delay_alu instid0(SALU_CYCLE_1)
	s_and_b32 vcc_lo, exec_lo, s1
	s_cbranch_vccz .LBB392_927
; %bb.923:
	v_cmp_eq_u16_e32 vcc_lo, 44, v6
	s_mov_b32 s0, -1
	s_cbranch_vccz .LBB392_927
; %bb.924:
	v_cvt_f32_f64_e32 v2, v[0:1]
	v_mov_b32_e32 v3, 0xff
	s_mov_b32 s1, exec_lo
	s_delay_alu instid0(VALU_DEP_2) | instskip(NEXT) | instid1(VALU_DEP_1)
	v_bfe_u32 v7, v2, 23, 8
	v_cmpx_ne_u32_e32 0xff, v7
; %bb.925:
	v_and_b32_e32 v3, 0x400000, v2
	v_and_or_b32 v7, 0x3fffff, v2, v7
	v_lshrrev_b32_e32 v2, 23, v2
	s_delay_alu instid0(VALU_DEP_3) | instskip(NEXT) | instid1(VALU_DEP_3)
	v_cmp_ne_u32_e32 vcc_lo, 0, v3
	v_cmp_ne_u32_e64 s0, 0, v7
	s_delay_alu instid0(VALU_DEP_1) | instskip(NEXT) | instid1(SALU_CYCLE_1)
	s_and_b32 s0, vcc_lo, s0
	v_cndmask_b32_e64 v3, 0, 1, s0
	s_delay_alu instid0(VALU_DEP_1)
	v_add_nc_u32_e32 v3, v2, v3
; %bb.926:
	s_or_b32 exec_lo, exec_lo, s1
	s_mov_b32 s0, 0
	global_store_b8 v[4:5], v3, off
.LBB392_927:
	s_mov_b32 s1, 0
.LBB392_928:
	s_delay_alu instid0(SALU_CYCLE_1)
	s_and_b32 vcc_lo, exec_lo, s1
	s_cbranch_vccz .LBB392_931
; %bb.929:
	v_cmp_eq_u16_e32 vcc_lo, 29, v6
	s_mov_b32 s0, -1
	s_cbranch_vccz .LBB392_931
; %bb.930:
	v_trunc_f64_e32 v[2:3], v[0:1]
	s_mov_b32 s0, 0
	s_mov_b32 s1, 0
	s_delay_alu instid0(VALU_DEP_1) | instskip(NEXT) | instid1(VALU_DEP_1)
	v_ldexp_f64 v[7:8], v[2:3], 0xffffffe0
	v_floor_f64_e32 v[7:8], v[7:8]
	s_delay_alu instid0(VALU_DEP_1) | instskip(SKIP_1) | instid1(VALU_DEP_2)
	v_fma_f64 v[2:3], 0xc1f00000, v[7:8], v[2:3]
	v_cvt_u32_f64_e32 v8, v[7:8]
	v_cvt_u32_f64_e32 v7, v[2:3]
	global_store_b64 v[4:5], v[7:8], off
	s_branch .LBB392_932
.LBB392_931:
	s_mov_b32 s1, 0
.LBB392_932:
	s_delay_alu instid0(SALU_CYCLE_1)
	s_and_b32 vcc_lo, exec_lo, s1
	s_cbranch_vccz .LBB392_947
; %bb.933:
	v_cmp_gt_i16_e32 vcc_lo, 27, v6
	s_mov_b32 s1, -1
	s_cbranch_vccnz .LBB392_939
; %bb.934:
	v_cvt_u32_f64_e32 v2, v[0:1]
	v_cmp_lt_i16_e32 vcc_lo, 27, v6
	s_cbranch_vccz .LBB392_936
; %bb.935:
	s_mov_b32 s1, 0
	global_store_b32 v[4:5], v2, off
.LBB392_936:
	s_and_not1_b32 vcc_lo, exec_lo, s1
	s_cbranch_vccnz .LBB392_938
; %bb.937:
	global_store_b16 v[4:5], v2, off
.LBB392_938:
	s_mov_b32 s1, 0
.LBB392_939:
	s_delay_alu instid0(SALU_CYCLE_1)
	s_and_not1_b32 vcc_lo, exec_lo, s1
	s_cbranch_vccnz .LBB392_947
; %bb.940:
	v_cvt_f32_f64_e32 v2, v[0:1]
	v_mov_b32_e32 v7, 0x80
	s_mov_b32 s1, exec_lo
	s_delay_alu instid0(VALU_DEP_2) | instskip(NEXT) | instid1(VALU_DEP_1)
	v_and_b32_e32 v3, 0x7fffffff, v2
	v_cmpx_gt_u32_e32 0x43800000, v3
	s_cbranch_execz .LBB392_946
; %bb.941:
	v_cmp_lt_u32_e32 vcc_lo, 0x3bffffff, v3
                                        ; implicit-def: $vgpr3
	s_and_saveexec_b32 s17, vcc_lo
	s_delay_alu instid0(SALU_CYCLE_1)
	s_xor_b32 s17, exec_lo, s17
	s_cbranch_execz .LBB392_1181
; %bb.942:
	v_bfe_u32 v3, v2, 20, 1
	s_mov_b32 s16, exec_lo
	s_delay_alu instid0(VALU_DEP_1) | instskip(NEXT) | instid1(VALU_DEP_1)
	v_add3_u32 v3, v2, v3, 0x487ffff
	v_lshrrev_b32_e32 v3, 20, v3
	s_or_saveexec_b32 s17, s17
                                        ; implicit-def: $sgpr18
	s_delay_alu instid0(SALU_CYCLE_1)
	s_xor_b32 exec_lo, exec_lo, s17
	s_cbranch_execnz .LBB392_1182
.LBB392_943:
	s_or_b32 exec_lo, exec_lo, s17
	v_mov_b32_e32 v7, s18
	s_and_saveexec_b32 s17, s16
.LBB392_944:
	v_lshrrev_b32_e32 v2, 24, v2
	s_delay_alu instid0(VALU_DEP_1)
	v_and_or_b32 v7, 0x80, v2, v3
.LBB392_945:
	s_or_b32 exec_lo, exec_lo, s17
.LBB392_946:
	s_delay_alu instid0(SALU_CYCLE_1)
	s_or_b32 exec_lo, exec_lo, s1
	global_store_b8 v[4:5], v7, off
.LBB392_947:
	s_mov_b32 s1, 0
.LBB392_948:
	s_delay_alu instid0(SALU_CYCLE_1)
	s_and_b32 vcc_lo, exec_lo, s1
	s_mov_b32 s1, 0
	s_cbranch_vccz .LBB392_988
; %bb.949:
	v_cmp_lt_i16_e32 vcc_lo, 22, v6
	s_mov_b32 s16, -1
	s_cbranch_vccz .LBB392_981
; %bb.950:
	v_cmp_gt_i16_e32 vcc_lo, 24, v6
	s_cbranch_vccnz .LBB392_970
; %bb.951:
	v_cmp_lt_i16_e32 vcc_lo, 24, v6
	s_cbranch_vccz .LBB392_959
; %bb.952:
	v_cvt_f32_f64_e32 v2, v[0:1]
	v_mov_b32_e32 v7, 0x80
	s_mov_b32 s16, exec_lo
	s_delay_alu instid0(VALU_DEP_2) | instskip(NEXT) | instid1(VALU_DEP_1)
	v_and_b32_e32 v3, 0x7fffffff, v2
	v_cmpx_gt_u32_e32 0x47800000, v3
	s_cbranch_execz .LBB392_958
; %bb.953:
	v_cmp_lt_u32_e32 vcc_lo, 0x37ffffff, v3
	s_mov_b32 s17, 0
                                        ; implicit-def: $vgpr3
	s_and_saveexec_b32 s18, vcc_lo
	s_delay_alu instid0(SALU_CYCLE_1)
	s_xor_b32 s18, exec_lo, s18
	s_cbranch_execz .LBB392_1225
; %bb.954:
	v_bfe_u32 v3, v2, 21, 1
	s_mov_b32 s17, exec_lo
	s_delay_alu instid0(VALU_DEP_1) | instskip(NEXT) | instid1(VALU_DEP_1)
	v_add3_u32 v3, v2, v3, 0x88fffff
	v_lshrrev_b32_e32 v3, 21, v3
	s_or_saveexec_b32 s18, s18
                                        ; implicit-def: $sgpr19
	s_delay_alu instid0(SALU_CYCLE_1)
	s_xor_b32 exec_lo, exec_lo, s18
	s_cbranch_execnz .LBB392_1226
.LBB392_955:
	s_or_b32 exec_lo, exec_lo, s18
	v_mov_b32_e32 v7, s19
	s_and_saveexec_b32 s18, s17
.LBB392_956:
	v_lshrrev_b32_e32 v2, 24, v2
	s_delay_alu instid0(VALU_DEP_1)
	v_and_or_b32 v7, 0x80, v2, v3
.LBB392_957:
	s_or_b32 exec_lo, exec_lo, s18
.LBB392_958:
	s_delay_alu instid0(SALU_CYCLE_1)
	s_or_b32 exec_lo, exec_lo, s16
	s_mov_b32 s16, 0
	global_store_b8 v[4:5], v7, off
.LBB392_959:
	s_and_b32 vcc_lo, exec_lo, s16
	s_cbranch_vccz .LBB392_969
; %bb.960:
	v_cvt_f32_f64_e32 v2, v[0:1]
	s_mov_b32 s16, exec_lo
                                        ; implicit-def: $vgpr3
	s_delay_alu instid0(VALU_DEP_1) | instskip(NEXT) | instid1(VALU_DEP_1)
	v_and_b32_e32 v7, 0x7fffffff, v2
	v_cmpx_gt_u32_e32 0x43f00000, v7
	s_xor_b32 s16, exec_lo, s16
	s_cbranch_execz .LBB392_966
; %bb.961:
	s_mov_b32 s17, exec_lo
                                        ; implicit-def: $vgpr3
	v_cmpx_lt_u32_e32 0x3c7fffff, v7
	s_xor_b32 s17, exec_lo, s17
; %bb.962:
	v_bfe_u32 v3, v2, 20, 1
	s_delay_alu instid0(VALU_DEP_1) | instskip(NEXT) | instid1(VALU_DEP_1)
	v_add3_u32 v3, v2, v3, 0x407ffff
	v_and_b32_e32 v7, 0xff00000, v3
	v_lshrrev_b32_e32 v3, 20, v3
	s_delay_alu instid0(VALU_DEP_2) | instskip(NEXT) | instid1(VALU_DEP_2)
	v_cmp_ne_u32_e32 vcc_lo, 0x7f00000, v7
	v_cndmask_b32_e32 v3, 0x7e, v3, vcc_lo
; %bb.963:
	s_and_not1_saveexec_b32 s17, s17
; %bb.964:
	v_add_f32_e64 v3, 0x46800000, |v2|
; %bb.965:
	s_or_b32 exec_lo, exec_lo, s17
                                        ; implicit-def: $vgpr7
.LBB392_966:
	s_and_not1_saveexec_b32 s16, s16
; %bb.967:
	v_mov_b32_e32 v3, 0x7f
	v_cmp_lt_u32_e32 vcc_lo, 0x7f800000, v7
	s_delay_alu instid0(VALU_DEP_2)
	v_cndmask_b32_e32 v3, 0x7e, v3, vcc_lo
; %bb.968:
	s_or_b32 exec_lo, exec_lo, s16
	v_lshrrev_b32_e32 v2, 24, v2
	s_delay_alu instid0(VALU_DEP_1)
	v_and_or_b32 v2, 0x80, v2, v3
	global_store_b8 v[4:5], v2, off
.LBB392_969:
	s_mov_b32 s16, 0
.LBB392_970:
	s_delay_alu instid0(SALU_CYCLE_1)
	s_and_not1_b32 vcc_lo, exec_lo, s16
	s_cbranch_vccnz .LBB392_980
; %bb.971:
	v_cvt_f32_f64_e32 v2, v[0:1]
	s_mov_b32 s16, exec_lo
                                        ; implicit-def: $vgpr3
	s_delay_alu instid0(VALU_DEP_1) | instskip(NEXT) | instid1(VALU_DEP_1)
	v_and_b32_e32 v7, 0x7fffffff, v2
	v_cmpx_gt_u32_e32 0x47800000, v7
	s_xor_b32 s16, exec_lo, s16
	s_cbranch_execz .LBB392_977
; %bb.972:
	s_mov_b32 s17, exec_lo
                                        ; implicit-def: $vgpr3
	v_cmpx_lt_u32_e32 0x387fffff, v7
	s_xor_b32 s17, exec_lo, s17
; %bb.973:
	v_bfe_u32 v3, v2, 21, 1
	s_delay_alu instid0(VALU_DEP_1) | instskip(NEXT) | instid1(VALU_DEP_1)
	v_add3_u32 v3, v2, v3, 0x80fffff
	v_lshrrev_b32_e32 v3, 21, v3
; %bb.974:
	s_and_not1_saveexec_b32 s17, s17
; %bb.975:
	v_add_f32_e64 v3, 0x43000000, |v2|
; %bb.976:
	s_or_b32 exec_lo, exec_lo, s17
                                        ; implicit-def: $vgpr7
.LBB392_977:
	s_and_not1_saveexec_b32 s16, s16
; %bb.978:
	v_mov_b32_e32 v3, 0x7f
	v_cmp_lt_u32_e32 vcc_lo, 0x7f800000, v7
	s_delay_alu instid0(VALU_DEP_2)
	v_cndmask_b32_e32 v3, 0x7c, v3, vcc_lo
; %bb.979:
	s_or_b32 exec_lo, exec_lo, s16
	v_lshrrev_b32_e32 v2, 24, v2
	s_delay_alu instid0(VALU_DEP_1)
	v_and_or_b32 v2, 0x80, v2, v3
	global_store_b8 v[4:5], v2, off
.LBB392_980:
	s_mov_b32 s16, 0
.LBB392_981:
	s_delay_alu instid0(SALU_CYCLE_1)
	s_and_not1_b32 vcc_lo, exec_lo, s16
	s_mov_b32 s16, 0
	s_cbranch_vccnz .LBB392_989
; %bb.982:
	v_cmp_lt_i16_e32 vcc_lo, 14, v6
	s_mov_b32 s16, -1
	s_cbranch_vccz .LBB392_986
; %bb.983:
	v_cmp_eq_u16_e32 vcc_lo, 15, v6
	s_mov_b32 s0, -1
	s_cbranch_vccz .LBB392_985
; %bb.984:
	v_cvt_f32_f64_e32 v2, v[0:1]
	s_mov_b32 s0, 0
	s_delay_alu instid0(VALU_DEP_1) | instskip(SKIP_1) | instid1(VALU_DEP_2)
	v_bfe_u32 v3, v2, 16, 1
	v_cmp_o_f32_e32 vcc_lo, v2, v2
	v_add3_u32 v3, v2, v3, 0x7fff
	s_delay_alu instid0(VALU_DEP_1) | instskip(NEXT) | instid1(VALU_DEP_1)
	v_lshrrev_b32_e32 v3, 16, v3
	v_cndmask_b32_e32 v2, 0x7fc0, v3, vcc_lo
	global_store_b16 v[4:5], v2, off
.LBB392_985:
	s_mov_b32 s16, 0
.LBB392_986:
	s_delay_alu instid0(SALU_CYCLE_1)
	s_and_b32 vcc_lo, exec_lo, s16
	s_mov_b32 s16, 0
	s_cbranch_vccz .LBB392_989
; %bb.987:
	v_cmp_ne_u16_e32 vcc_lo, 11, v6
	s_and_not1_b32 s0, s0, exec_lo
	s_mov_b32 s16, -1
	s_and_b32 s17, vcc_lo, exec_lo
	s_delay_alu instid0(SALU_CYCLE_1)
	s_or_b32 s0, s0, s17
	s_branch .LBB392_989
.LBB392_988:
	s_mov_b32 s16, 0
.LBB392_989:
	s_and_not1_b32 s13, s13, exec_lo
	s_and_b32 s0, s0, exec_lo
	s_and_b32 s1, s1, exec_lo
	;; [unrolled: 1-line block ×3, first 2 shown]
	s_or_b32 s13, s13, s0
.LBB392_990:
	s_or_b32 exec_lo, exec_lo, s15
	s_and_saveexec_b32 s0, s13
	s_cbranch_execnz .LBB392_1052
; %bb.991:
	s_or_b32 exec_lo, exec_lo, s0
	s_and_saveexec_b32 s0, s16
	s_delay_alu instid0(SALU_CYCLE_1)
	s_xor_b32 s0, exec_lo, s0
	s_cbranch_execz .LBB392_993
.LBB392_992:
	v_cmp_neq_f64_e32 vcc_lo, 0, v[0:1]
	s_waitcnt vmcnt(0)
	v_cndmask_b32_e64 v2, 0, 1, vcc_lo
	global_store_b8 v[4:5], v2, off
.LBB392_993:
	s_or_b32 exec_lo, exec_lo, s0
	s_and_saveexec_b32 s0, s1
	s_delay_alu instid0(SALU_CYCLE_1)
	s_xor_b32 s0, exec_lo, s0
	s_cbranch_execz .LBB392_1031
; %bb.994:
	v_cmp_gt_i16_e32 vcc_lo, 5, v6
	s_mov_b32 s1, -1
	s_cbranch_vccnz .LBB392_1015
; %bb.995:
	v_cmp_gt_i16_e32 vcc_lo, 8, v6
	s_cbranch_vccnz .LBB392_1005
; %bb.996:
	v_cmp_gt_i16_e32 vcc_lo, 9, v6
	s_cbranch_vccnz .LBB392_1002
; %bb.997:
	v_cmp_lt_i16_e32 vcc_lo, 9, v6
	s_cbranch_vccz .LBB392_999
; %bb.998:
	s_waitcnt vmcnt(0)
	v_mov_b32_e32 v2, 0
	s_mov_b32 s1, 0
	s_delay_alu instid0(VALU_DEP_1)
	v_mov_b32_e32 v3, v2
	global_store_b128 v[4:5], v[0:3], off
.LBB392_999:
	s_and_not1_b32 vcc_lo, exec_lo, s1
	s_cbranch_vccnz .LBB392_1001
; %bb.1000:
	s_waitcnt vmcnt(0)
	v_cvt_f32_f64_e32 v2, v[0:1]
	v_mov_b32_e32 v3, 0
	global_store_b64 v[4:5], v[2:3], off
.LBB392_1001:
	s_mov_b32 s1, 0
.LBB392_1002:
	s_delay_alu instid0(SALU_CYCLE_1)
	s_and_not1_b32 vcc_lo, exec_lo, s1
	s_cbranch_vccnz .LBB392_1004
; %bb.1003:
	s_waitcnt vmcnt(0)
	v_cvt_f32_f64_e32 v2, v[0:1]
	s_delay_alu instid0(VALU_DEP_1) | instskip(NEXT) | instid1(VALU_DEP_1)
	v_cvt_f16_f32_e32 v2, v2
	v_and_b32_e32 v2, 0xffff, v2
	global_store_b32 v[4:5], v2, off
.LBB392_1004:
	s_mov_b32 s1, 0
.LBB392_1005:
	s_delay_alu instid0(SALU_CYCLE_1)
	s_and_not1_b32 vcc_lo, exec_lo, s1
	s_cbranch_vccnz .LBB392_1014
; %bb.1006:
	v_cmp_gt_i16_e32 vcc_lo, 6, v6
	s_mov_b32 s1, -1
	s_cbranch_vccnz .LBB392_1012
; %bb.1007:
	v_cmp_lt_i16_e32 vcc_lo, 6, v6
	s_cbranch_vccz .LBB392_1009
; %bb.1008:
	s_mov_b32 s1, 0
	global_store_b64 v[4:5], v[0:1], off
.LBB392_1009:
	s_and_not1_b32 vcc_lo, exec_lo, s1
	s_cbranch_vccnz .LBB392_1011
; %bb.1010:
	s_waitcnt vmcnt(0)
	v_cvt_f32_f64_e32 v2, v[0:1]
	global_store_b32 v[4:5], v2, off
.LBB392_1011:
	s_mov_b32 s1, 0
.LBB392_1012:
	s_delay_alu instid0(SALU_CYCLE_1)
	s_and_not1_b32 vcc_lo, exec_lo, s1
	s_cbranch_vccnz .LBB392_1014
; %bb.1013:
	s_waitcnt vmcnt(0)
	v_cvt_f32_f64_e32 v2, v[0:1]
	s_delay_alu instid0(VALU_DEP_1)
	v_cvt_f16_f32_e32 v2, v2
	global_store_b16 v[4:5], v2, off
.LBB392_1014:
	s_mov_b32 s1, 0
.LBB392_1015:
	s_delay_alu instid0(SALU_CYCLE_1)
	s_and_not1_b32 vcc_lo, exec_lo, s1
	s_cbranch_vccnz .LBB392_1031
; %bb.1016:
	v_cmp_gt_i16_e32 vcc_lo, 2, v6
	s_mov_b32 s1, -1
	s_cbranch_vccnz .LBB392_1026
; %bb.1017:
	v_cmp_gt_i16_e32 vcc_lo, 3, v6
	s_cbranch_vccnz .LBB392_1023
; %bb.1018:
	v_cmp_lt_i16_e32 vcc_lo, 3, v6
	s_cbranch_vccz .LBB392_1020
; %bb.1019:
	s_waitcnt vmcnt(0)
	v_trunc_f64_e32 v[2:3], v[0:1]
	s_mov_b32 s1, 0
	s_delay_alu instid0(VALU_DEP_1) | instskip(NEXT) | instid1(VALU_DEP_1)
	v_ldexp_f64 v[7:8], v[2:3], 0xffffffe0
	v_floor_f64_e32 v[7:8], v[7:8]
	s_delay_alu instid0(VALU_DEP_1) | instskip(SKIP_1) | instid1(VALU_DEP_2)
	v_fma_f64 v[2:3], 0xc1f00000, v[7:8], v[2:3]
	v_cvt_i32_f64_e32 v8, v[7:8]
	v_cvt_u32_f64_e32 v7, v[2:3]
	global_store_b64 v[4:5], v[7:8], off
.LBB392_1020:
	s_and_not1_b32 vcc_lo, exec_lo, s1
	s_cbranch_vccnz .LBB392_1022
; %bb.1021:
	s_waitcnt vmcnt(0)
	v_cvt_i32_f64_e32 v2, v[0:1]
	global_store_b32 v[4:5], v2, off
.LBB392_1022:
	s_mov_b32 s1, 0
.LBB392_1023:
	s_delay_alu instid0(SALU_CYCLE_1)
	s_and_not1_b32 vcc_lo, exec_lo, s1
	s_cbranch_vccnz .LBB392_1025
; %bb.1024:
	s_waitcnt vmcnt(0)
	v_cvt_i32_f64_e32 v2, v[0:1]
	global_store_b16 v[4:5], v2, off
.LBB392_1025:
	s_mov_b32 s1, 0
.LBB392_1026:
	s_delay_alu instid0(SALU_CYCLE_1)
	s_and_not1_b32 vcc_lo, exec_lo, s1
	s_cbranch_vccnz .LBB392_1031
; %bb.1027:
	v_cmp_lt_i16_e32 vcc_lo, 0, v6
	s_mov_b32 s1, -1
	s_cbranch_vccz .LBB392_1029
; %bb.1028:
	s_waitcnt vmcnt(0)
	v_cvt_i32_f64_e32 v2, v[0:1]
	s_mov_b32 s1, 0
	global_store_b8 v[4:5], v2, off
.LBB392_1029:
	s_and_not1_b32 vcc_lo, exec_lo, s1
	s_cbranch_vccnz .LBB392_1031
; %bb.1030:
	v_trunc_f64_e32 v[0:1], v[0:1]
	s_waitcnt vmcnt(0)
	s_delay_alu instid0(VALU_DEP_1) | instskip(NEXT) | instid1(VALU_DEP_1)
	v_ldexp_f64 v[2:3], v[0:1], 0xffffffe0
	v_floor_f64_e32 v[2:3], v[2:3]
	s_delay_alu instid0(VALU_DEP_1) | instskip(NEXT) | instid1(VALU_DEP_1)
	v_fma_f64 v[0:1], 0xc1f00000, v[2:3], v[0:1]
	v_cvt_u32_f64_e32 v0, v[0:1]
	global_store_b8 v[4:5], v0, off
.LBB392_1031:
	s_or_b32 exec_lo, exec_lo, s0
	s_delay_alu instid0(SALU_CYCLE_1)
	s_and_b32 s13, s14, exec_lo
                                        ; implicit-def: $vgpr12
                                        ; implicit-def: $vgpr10
.LBB392_1032:
	s_or_saveexec_b32 s12, s12
	s_mov_b32 s0, 0
                                        ; implicit-def: $vgpr14
                                        ; implicit-def: $vgpr4_vgpr5
                                        ; implicit-def: $vgpr0_vgpr1
	s_xor_b32 exec_lo, exec_lo, s12
	s_cbranch_execz .LBB392_1997
; %bb.1033:
	v_mul_lo_u32 v4, s9, v12
	v_cmp_gt_i16_e32 vcc_lo, 11, v10
	s_and_b32 vcc_lo, exec_lo, vcc_lo
	s_delay_alu instid0(VALU_DEP_2) | instskip(SKIP_2) | instid1(VALU_DEP_1)
	v_ashrrev_i32_e32 v0, 31, v4
	s_waitcnt vmcnt(0)
	v_add_co_u32 v2, s0, s6, v4
	v_add_co_ci_u32_e64 v3, s0, s7, v0, s0
	s_cbranch_vccnz .LBB392_1040
; %bb.1034:
	v_cmp_lt_i16_e32 vcc_lo, 25, v10
	s_mov_b32 s14, 0
	s_cbranch_vccz .LBB392_1046
; %bb.1035:
	v_cmp_lt_i16_e32 vcc_lo, 28, v10
	s_cbranch_vccz .LBB392_1048
; %bb.1036:
	v_cmp_lt_i16_e32 vcc_lo, 43, v10
	;; [unrolled: 3-line block ×3, first 2 shown]
	s_cbranch_vccz .LBB392_1054
; %bb.1038:
	v_cmp_eq_u16_e32 vcc_lo, 46, v10
	s_mov_b32 s1, 0
	s_cbranch_vccz .LBB392_1094
; %bb.1039:
	global_load_b32 v0, v[2:3], off
	s_mov_b32 s0, -1
	s_waitcnt vmcnt(0)
	v_lshlrev_b32_e32 v0, 16, v0
	s_delay_alu instid0(VALU_DEP_1)
	v_cvt_f64_f32_e32 v[0:1], v0
	s_branch .LBB392_1096
.LBB392_1040:
	s_mov_b32 s0, 0
	s_mov_b32 s3, s13
                                        ; implicit-def: $vgpr0_vgpr1
	s_cbranch_execz .LBB392_1159
; %bb.1041:
	v_cmp_gt_i16_e32 vcc_lo, 5, v10
	s_cbranch_vccnz .LBB392_1047
; %bb.1042:
	v_cmp_gt_i16_e32 vcc_lo, 8, v10
	s_cbranch_vccnz .LBB392_1049
	;; [unrolled: 3-line block ×3, first 2 shown]
; %bb.1044:
	v_cmp_lt_i16_e32 vcc_lo, 9, v10
	s_cbranch_vccz .LBB392_1055
; %bb.1045:
	global_load_b64 v[0:1], v[2:3], off
	s_mov_b32 s0, 0
	s_branch .LBB392_1056
.LBB392_1046:
	s_mov_b32 s0, 0
                                        ; implicit-def: $vgpr0_vgpr1
	s_cbranch_execnz .LBB392_1126
	s_branch .LBB392_1155
.LBB392_1047:
                                        ; implicit-def: $vgpr0_vgpr1
	s_branch .LBB392_1073
.LBB392_1048:
	s_mov_b32 s1, -1
	s_mov_b32 s0, 0
                                        ; implicit-def: $vgpr0_vgpr1
	s_branch .LBB392_1105
.LBB392_1049:
                                        ; implicit-def: $vgpr0_vgpr1
	s_branch .LBB392_1062
.LBB392_1050:
	s_mov_b32 s0, 0
                                        ; implicit-def: $vgpr0_vgpr1
	s_cbranch_execnz .LBB392_1101
	s_branch .LBB392_1104
.LBB392_1051:
	s_mov_b32 s0, -1
                                        ; implicit-def: $vgpr0_vgpr1
	s_branch .LBB392_1059
.LBB392_1052:
	s_cbranch_execnz .LBB392_1092
; %bb.1053:
	s_or_b32 s14, s14, exec_lo
	s_and_not1_b32 s16, s16, exec_lo
	s_or_b32 exec_lo, exec_lo, s0
	s_and_saveexec_b32 s0, s16
	s_delay_alu instid0(SALU_CYCLE_1)
	s_xor_b32 s0, exec_lo, s0
	s_cbranch_execnz .LBB392_992
	s_branch .LBB392_993
.LBB392_1054:
	s_mov_b32 s1, -1
	s_branch .LBB392_1095
.LBB392_1055:
	s_mov_b32 s0, -1
                                        ; implicit-def: $vgpr0_vgpr1
.LBB392_1056:
	s_delay_alu instid0(SALU_CYCLE_1)
	s_and_not1_b32 vcc_lo, exec_lo, s0
	s_cbranch_vccnz .LBB392_1058
; %bb.1057:
	global_load_b32 v0, v[2:3], off
	s_waitcnt vmcnt(0)
	v_cvt_f64_f32_e32 v[0:1], v0
.LBB392_1058:
	s_mov_b32 s0, 0
.LBB392_1059:
	s_delay_alu instid0(SALU_CYCLE_1)
	s_and_not1_b32 vcc_lo, exec_lo, s0
	s_cbranch_vccnz .LBB392_1061
; %bb.1060:
	global_load_b32 v0, v[2:3], off
	s_waitcnt vmcnt(0)
	v_cvt_f32_f16_e32 v0, v0
	s_delay_alu instid0(VALU_DEP_1)
	v_cvt_f64_f32_e32 v[0:1], v0
.LBB392_1061:
	s_cbranch_execnz .LBB392_1072
.LBB392_1062:
	v_cmp_gt_i16_e32 vcc_lo, 6, v10
	s_cbranch_vccnz .LBB392_1065
; %bb.1063:
	v_cmp_lt_i16_e32 vcc_lo, 6, v10
	s_cbranch_vccz .LBB392_1066
; %bb.1064:
	global_load_b64 v[0:1], v[2:3], off
	s_mov_b32 s0, 0
	s_branch .LBB392_1067
.LBB392_1065:
	s_mov_b32 s0, -1
                                        ; implicit-def: $vgpr0_vgpr1
	s_branch .LBB392_1070
.LBB392_1066:
	s_mov_b32 s0, -1
                                        ; implicit-def: $vgpr0_vgpr1
.LBB392_1067:
	s_delay_alu instid0(SALU_CYCLE_1)
	s_and_not1_b32 vcc_lo, exec_lo, s0
	s_cbranch_vccnz .LBB392_1069
; %bb.1068:
	global_load_b32 v0, v[2:3], off
	s_waitcnt vmcnt(0)
	v_cvt_f64_f32_e32 v[0:1], v0
.LBB392_1069:
	s_mov_b32 s0, 0
.LBB392_1070:
	s_delay_alu instid0(SALU_CYCLE_1)
	s_and_not1_b32 vcc_lo, exec_lo, s0
	s_cbranch_vccnz .LBB392_1072
; %bb.1071:
	global_load_u16 v0, v[2:3], off
	s_waitcnt vmcnt(0)
	v_cvt_f32_f16_e32 v0, v0
	s_delay_alu instid0(VALU_DEP_1)
	v_cvt_f64_f32_e32 v[0:1], v0
.LBB392_1072:
	s_cbranch_execnz .LBB392_1091
.LBB392_1073:
	v_cmp_gt_i16_e32 vcc_lo, 2, v10
	s_cbranch_vccnz .LBB392_1077
; %bb.1074:
	v_cmp_gt_i16_e32 vcc_lo, 3, v10
	s_cbranch_vccnz .LBB392_1078
; %bb.1075:
	v_cmp_lt_i16_e32 vcc_lo, 3, v10
	s_cbranch_vccz .LBB392_1079
; %bb.1076:
	global_load_b64 v[0:1], v[2:3], off
	s_mov_b32 s0, 0
	s_waitcnt vmcnt(0)
	v_cvt_f64_i32_e32 v[5:6], v1
	v_cvt_f64_u32_e32 v[0:1], v0
	s_delay_alu instid0(VALU_DEP_2) | instskip(NEXT) | instid1(VALU_DEP_1)
	v_ldexp_f64 v[5:6], v[5:6], 32
	v_add_f64 v[0:1], v[5:6], v[0:1]
	s_branch .LBB392_1080
.LBB392_1077:
                                        ; implicit-def: $vgpr0_vgpr1
	s_branch .LBB392_1086
.LBB392_1078:
	s_mov_b32 s0, -1
                                        ; implicit-def: $vgpr0_vgpr1
	s_branch .LBB392_1083
.LBB392_1079:
	s_mov_b32 s0, -1
                                        ; implicit-def: $vgpr0_vgpr1
.LBB392_1080:
	s_delay_alu instid0(SALU_CYCLE_1)
	s_and_not1_b32 vcc_lo, exec_lo, s0
	s_cbranch_vccnz .LBB392_1082
; %bb.1081:
	global_load_b32 v0, v[2:3], off
	s_waitcnt vmcnt(0)
	v_cvt_f64_i32_e32 v[0:1], v0
.LBB392_1082:
	s_mov_b32 s0, 0
.LBB392_1083:
	s_delay_alu instid0(SALU_CYCLE_1)
	s_and_not1_b32 vcc_lo, exec_lo, s0
	s_cbranch_vccnz .LBB392_1085
; %bb.1084:
	global_load_i16 v0, v[2:3], off
	s_waitcnt vmcnt(0)
	v_cvt_f64_i32_e32 v[0:1], v0
.LBB392_1085:
	s_cbranch_execnz .LBB392_1091
.LBB392_1086:
	v_cmp_lt_i16_e32 vcc_lo, 0, v10
	s_mov_b32 s0, 0
	s_cbranch_vccz .LBB392_1088
; %bb.1087:
	global_load_i8 v0, v[2:3], off
	s_waitcnt vmcnt(0)
	v_cvt_f64_i32_e32 v[0:1], v0
	s_branch .LBB392_1089
.LBB392_1088:
	s_mov_b32 s0, -1
                                        ; implicit-def: $vgpr0_vgpr1
.LBB392_1089:
	s_delay_alu instid0(SALU_CYCLE_1)
	s_and_not1_b32 vcc_lo, exec_lo, s0
	s_cbranch_vccnz .LBB392_1091
; %bb.1090:
	global_load_u8 v0, v[2:3], off
	s_waitcnt vmcnt(0)
	v_cvt_f64_u32_e32 v[0:1], v0
.LBB392_1091:
                                        ; implicit-def: $vgpr2_vgpr3
	s_branch .LBB392_1160
.LBB392_1092:
	s_trap 2
	s_sendmsg_rtn_b32 s0, sendmsg(MSG_RTN_GET_DOORBELL)
	s_mov_b32 ttmp2, m0
	s_waitcnt lgkmcnt(0)
	s_and_b32 s0, s0, 0x3ff
	s_delay_alu instid0(SALU_CYCLE_1) | instskip(NEXT) | instid1(SALU_CYCLE_1)
	s_bitset1_b32 s0, 10
	s_mov_b32 m0, s0
	s_sendmsg sendmsg(MSG_INTERRUPT)
	s_mov_b32 m0, ttmp2
.LBB392_1093:                           ; =>This Inner Loop Header: Depth=1
	s_sethalt 5
	s_branch .LBB392_1093
.LBB392_1094:
	s_mov_b32 s3, -1
.LBB392_1095:
	s_mov_b32 s0, 0
                                        ; implicit-def: $vgpr0_vgpr1
.LBB392_1096:
	s_and_b32 vcc_lo, exec_lo, s1
	s_cbranch_vccz .LBB392_1099
; %bb.1097:
	v_cmp_eq_u16_e32 vcc_lo, 44, v10
	s_cbranch_vccz .LBB392_1100
; %bb.1098:
	global_load_u8 v5, v[2:3], off
	s_mov_b32 s3, 0
	s_mov_b32 s0, -1
	s_waitcnt vmcnt(0)
	v_lshlrev_b32_e32 v0, 23, v5
	v_cmp_ne_u32_e32 vcc_lo, 0xff, v5
	s_delay_alu instid0(VALU_DEP_2) | instskip(NEXT) | instid1(VALU_DEP_1)
	v_cvt_f64_f32_e32 v[0:1], v0
	v_cndmask_b32_e32 v0, 0x20000000, v0, vcc_lo
	s_delay_alu instid0(VALU_DEP_2) | instskip(SKIP_1) | instid1(VALU_DEP_2)
	v_cndmask_b32_e32 v1, 0x7ff80000, v1, vcc_lo
	v_cmp_ne_u32_e32 vcc_lo, 0, v5
	v_cndmask_b32_e32 v1, 0x38000000, v1, vcc_lo
	s_delay_alu instid0(VALU_DEP_4)
	v_cndmask_b32_e32 v0, 0, v0, vcc_lo
.LBB392_1099:
	s_branch .LBB392_1104
.LBB392_1100:
	s_mov_b32 s3, -1
                                        ; implicit-def: $vgpr0_vgpr1
	s_branch .LBB392_1104
.LBB392_1101:
	v_cmp_eq_u16_e32 vcc_lo, 29, v10
	s_cbranch_vccz .LBB392_1103
; %bb.1102:
	global_load_b64 v[0:1], v[2:3], off
	s_mov_b32 s3, 0
	s_mov_b32 s0, -1
	s_mov_b32 s1, 0
	s_waitcnt vmcnt(0)
	v_cvt_f64_u32_e32 v[5:6], v1
	v_cvt_f64_u32_e32 v[0:1], v0
	s_delay_alu instid0(VALU_DEP_2) | instskip(NEXT) | instid1(VALU_DEP_1)
	v_ldexp_f64 v[5:6], v[5:6], 32
	v_add_f64 v[0:1], v[5:6], v[0:1]
	s_branch .LBB392_1105
.LBB392_1103:
	s_mov_b32 s3, -1
                                        ; implicit-def: $vgpr0_vgpr1
.LBB392_1104:
	s_mov_b32 s1, 0
.LBB392_1105:
	s_delay_alu instid0(SALU_CYCLE_1)
	s_and_b32 vcc_lo, exec_lo, s1
	s_cbranch_vccz .LBB392_1125
; %bb.1106:
	v_cmp_gt_i16_e32 vcc_lo, 27, v10
	s_cbranch_vccnz .LBB392_1109
; %bb.1107:
	v_cmp_lt_i16_e32 vcc_lo, 27, v10
	s_cbranch_vccz .LBB392_1110
; %bb.1108:
	global_load_b32 v0, v[2:3], off
	s_mov_b32 s0, 0
	s_waitcnt vmcnt(0)
	v_cvt_f64_u32_e32 v[0:1], v0
	s_branch .LBB392_1111
.LBB392_1109:
	s_mov_b32 s0, -1
                                        ; implicit-def: $vgpr0_vgpr1
	s_branch .LBB392_1114
.LBB392_1110:
	s_mov_b32 s0, -1
                                        ; implicit-def: $vgpr0_vgpr1
.LBB392_1111:
	s_delay_alu instid0(SALU_CYCLE_1)
	s_and_not1_b32 vcc_lo, exec_lo, s0
	s_cbranch_vccnz .LBB392_1113
; %bb.1112:
	global_load_u16 v0, v[2:3], off
	s_waitcnt vmcnt(0)
	v_cvt_f64_u32_e32 v[0:1], v0
.LBB392_1113:
	s_mov_b32 s0, 0
.LBB392_1114:
	s_delay_alu instid0(SALU_CYCLE_1)
	s_and_not1_b32 vcc_lo, exec_lo, s0
	s_cbranch_vccnz .LBB392_1124
; %bb.1115:
	global_load_u8 v5, v[2:3], off
	s_mov_b32 s15, 0
	s_mov_b32 s16, exec_lo
                                        ; implicit-def: $sgpr0_sgpr1
	s_waitcnt vmcnt(0)
	v_cmpx_lt_i16_e32 0x7f, v5
	s_xor_b32 s16, exec_lo, s16
	s_cbranch_execz .LBB392_1119
; %bb.1116:
	s_mov_b32 s17, -1
	s_mov_b32 s15, exec_lo
                                        ; implicit-def: $sgpr0_sgpr1
	v_cmpx_eq_u16_e32 0x80, v5
; %bb.1117:
	s_mov_b32 s1, 0x7ff80000
	s_brev_b32 s0, 4
	s_xor_b32 s17, exec_lo, -1
; %bb.1118:
	s_or_b32 exec_lo, exec_lo, s15
	s_delay_alu instid0(SALU_CYCLE_1)
	s_and_b32 s15, s17, exec_lo
.LBB392_1119:
	s_or_saveexec_b32 s16, s16
	v_dual_mov_b32 v0, s0 :: v_dual_mov_b32 v1, s1
	s_xor_b32 exec_lo, exec_lo, s16
; %bb.1120:
	v_cmp_ne_u16_e32 vcc_lo, 0, v5
	v_mov_b32_e32 v0, 0
	v_mov_b32_e32 v1, 0
	s_and_not1_b32 s0, s15, exec_lo
	s_and_b32 s1, vcc_lo, exec_lo
	s_delay_alu instid0(SALU_CYCLE_1)
	s_or_b32 s15, s0, s1
; %bb.1121:
	s_or_b32 exec_lo, exec_lo, s16
	s_and_saveexec_b32 s0, s15
	s_cbranch_execz .LBB392_1123
; %bb.1122:
	v_and_b32_e32 v0, 0xffff, v5
	v_lshlrev_b32_e32 v5, 24, v5
	s_delay_alu instid0(VALU_DEP_2) | instskip(NEXT) | instid1(VALU_DEP_2)
	v_and_b32_e32 v1, 7, v0
	v_and_b32_e32 v5, 0x80000000, v5
	s_delay_alu instid0(VALU_DEP_2) | instskip(NEXT) | instid1(VALU_DEP_1)
	v_clz_i32_u32_e32 v6, v1
	v_min_u32_e32 v6, 32, v6
	s_delay_alu instid0(VALU_DEP_1) | instskip(SKIP_1) | instid1(VALU_DEP_2)
	v_subrev_nc_u32_e32 v7, 28, v6
	v_sub_nc_u32_e32 v6, 29, v6
	v_lshlrev_b32_e32 v7, v7, v0
	v_bfe_u32 v0, v0, 3, 4
	s_delay_alu instid0(VALU_DEP_2) | instskip(NEXT) | instid1(VALU_DEP_2)
	v_and_b32_e32 v7, 7, v7
	v_cmp_eq_u32_e32 vcc_lo, 0, v0
	s_delay_alu instid0(VALU_DEP_2) | instskip(NEXT) | instid1(VALU_DEP_1)
	v_dual_cndmask_b32 v0, v0, v6 :: v_dual_cndmask_b32 v1, v1, v7
	v_lshl_add_u32 v0, v0, 23, 0x3b800000
	s_delay_alu instid0(VALU_DEP_2) | instskip(NEXT) | instid1(VALU_DEP_1)
	v_lshlrev_b32_e32 v1, 20, v1
	v_or3_b32 v0, v5, v0, v1
	s_delay_alu instid0(VALU_DEP_1)
	v_cvt_f64_f32_e32 v[0:1], v0
.LBB392_1123:
	s_or_b32 exec_lo, exec_lo, s0
.LBB392_1124:
	s_mov_b32 s0, -1
.LBB392_1125:
	s_branch .LBB392_1155
.LBB392_1126:
	v_cmp_lt_i16_e32 vcc_lo, 22, v10
	s_cbranch_vccz .LBB392_1138
; %bb.1127:
	v_cmp_gt_i16_e32 vcc_lo, 24, v10
	s_cbranch_vccnz .LBB392_1139
; %bb.1128:
	v_cmp_lt_i16_e32 vcc_lo, 24, v10
	s_cbranch_vccz .LBB392_1140
; %bb.1129:
	global_load_u8 v5, v[2:3], off
	s_mov_b32 s15, exec_lo
                                        ; implicit-def: $sgpr0_sgpr1
	s_waitcnt vmcnt(0)
	v_cmpx_lt_i16_e32 0x7f, v5
	s_xor_b32 s15, exec_lo, s15
	s_cbranch_execz .LBB392_1133
; %bb.1130:
	s_mov_b32 s16, -1
	s_mov_b32 s14, exec_lo
                                        ; implicit-def: $sgpr0_sgpr1
	v_cmpx_eq_u16_e32 0x80, v5
; %bb.1131:
	s_mov_b32 s1, 0x7ff80000
	s_brev_b32 s0, 4
	s_xor_b32 s16, exec_lo, -1
; %bb.1132:
	s_or_b32 exec_lo, exec_lo, s14
	s_delay_alu instid0(SALU_CYCLE_1)
	s_and_b32 s14, s16, exec_lo
.LBB392_1133:
	s_or_saveexec_b32 s15, s15
	v_dual_mov_b32 v0, s0 :: v_dual_mov_b32 v1, s1
	s_xor_b32 exec_lo, exec_lo, s15
; %bb.1134:
	v_cmp_ne_u16_e32 vcc_lo, 0, v5
	v_mov_b32_e32 v0, 0
	v_mov_b32_e32 v1, 0
	s_and_not1_b32 s0, s14, exec_lo
	s_and_b32 s1, vcc_lo, exec_lo
	s_delay_alu instid0(SALU_CYCLE_1)
	s_or_b32 s14, s0, s1
; %bb.1135:
	s_or_b32 exec_lo, exec_lo, s15
	s_and_saveexec_b32 s0, s14
	s_cbranch_execz .LBB392_1137
; %bb.1136:
	v_and_b32_e32 v0, 0xffff, v5
	v_lshlrev_b32_e32 v5, 24, v5
	s_delay_alu instid0(VALU_DEP_2) | instskip(NEXT) | instid1(VALU_DEP_2)
	v_and_b32_e32 v1, 3, v0
	v_and_b32_e32 v5, 0x80000000, v5
	s_delay_alu instid0(VALU_DEP_2) | instskip(NEXT) | instid1(VALU_DEP_1)
	v_clz_i32_u32_e32 v6, v1
	v_min_u32_e32 v6, 32, v6
	s_delay_alu instid0(VALU_DEP_1) | instskip(SKIP_1) | instid1(VALU_DEP_2)
	v_subrev_nc_u32_e32 v7, 29, v6
	v_sub_nc_u32_e32 v6, 30, v6
	v_lshlrev_b32_e32 v7, v7, v0
	v_bfe_u32 v0, v0, 2, 5
	s_delay_alu instid0(VALU_DEP_2) | instskip(NEXT) | instid1(VALU_DEP_2)
	v_and_b32_e32 v7, 3, v7
	v_cmp_eq_u32_e32 vcc_lo, 0, v0
	s_delay_alu instid0(VALU_DEP_2) | instskip(NEXT) | instid1(VALU_DEP_1)
	v_dual_cndmask_b32 v0, v0, v6 :: v_dual_cndmask_b32 v1, v1, v7
	v_lshl_add_u32 v0, v0, 23, 0x37800000
	s_delay_alu instid0(VALU_DEP_2) | instskip(NEXT) | instid1(VALU_DEP_1)
	v_lshlrev_b32_e32 v1, 21, v1
	v_or3_b32 v0, v5, v0, v1
	s_delay_alu instid0(VALU_DEP_1)
	v_cvt_f64_f32_e32 v[0:1], v0
.LBB392_1137:
	s_or_b32 exec_lo, exec_lo, s0
	s_mov_b32 s0, 0
	s_branch .LBB392_1141
.LBB392_1138:
                                        ; implicit-def: $vgpr0_vgpr1
	s_mov_b32 s14, 0
	s_branch .LBB392_1147
.LBB392_1139:
	s_mov_b32 s0, -1
                                        ; implicit-def: $vgpr0_vgpr1
	s_branch .LBB392_1144
.LBB392_1140:
	s_mov_b32 s0, -1
                                        ; implicit-def: $vgpr0_vgpr1
.LBB392_1141:
	s_delay_alu instid0(SALU_CYCLE_1)
	s_and_b32 vcc_lo, exec_lo, s0
	s_cbranch_vccz .LBB392_1143
; %bb.1142:
	global_load_u8 v0, v[2:3], off
	s_waitcnt vmcnt(0)
	v_lshlrev_b32_e32 v0, 24, v0
	s_delay_alu instid0(VALU_DEP_1) | instskip(NEXT) | instid1(VALU_DEP_1)
	v_and_b32_e32 v1, 0x7f000000, v0
	v_clz_i32_u32_e32 v5, v1
	v_add_nc_u32_e32 v7, 0x1000000, v1
	v_cmp_ne_u32_e32 vcc_lo, 0, v1
	s_delay_alu instid0(VALU_DEP_3) | instskip(NEXT) | instid1(VALU_DEP_1)
	v_min_u32_e32 v5, 32, v5
	v_sub_nc_u32_e64 v5, v5, 4 clamp
	s_delay_alu instid0(VALU_DEP_1) | instskip(SKIP_1) | instid1(VALU_DEP_2)
	v_lshlrev_b32_e32 v6, v5, v1
	v_lshlrev_b32_e32 v5, 23, v5
	v_lshrrev_b32_e32 v6, 4, v6
	s_delay_alu instid0(VALU_DEP_1) | instskip(SKIP_1) | instid1(VALU_DEP_2)
	v_sub_nc_u32_e32 v5, v6, v5
	v_ashrrev_i32_e32 v6, 8, v7
	v_add_nc_u32_e32 v5, 0x3c000000, v5
	s_delay_alu instid0(VALU_DEP_1) | instskip(NEXT) | instid1(VALU_DEP_1)
	v_and_or_b32 v5, 0x7f800000, v6, v5
	v_cndmask_b32_e32 v1, 0, v5, vcc_lo
	s_delay_alu instid0(VALU_DEP_1) | instskip(NEXT) | instid1(VALU_DEP_1)
	v_and_or_b32 v0, 0x80000000, v0, v1
	v_cvt_f64_f32_e32 v[0:1], v0
.LBB392_1143:
	s_mov_b32 s0, 0
.LBB392_1144:
	s_delay_alu instid0(SALU_CYCLE_1)
	s_and_not1_b32 vcc_lo, exec_lo, s0
	s_cbranch_vccnz .LBB392_1146
; %bb.1145:
	global_load_u8 v0, v[2:3], off
	s_waitcnt vmcnt(0)
	v_lshlrev_b32_e32 v1, 25, v0
	v_lshlrev_b16 v0, 8, v0
	s_delay_alu instid0(VALU_DEP_1) | instskip(SKIP_1) | instid1(VALU_DEP_2)
	v_and_or_b32 v6, 0x7f00, v0, 0.5
	v_bfe_i32 v0, v0, 0, 16
	v_add_f32_e32 v6, -0.5, v6
	v_lshrrev_b32_e32 v5, 4, v1
	v_cmp_gt_u32_e32 vcc_lo, 0x8000000, v1
	s_delay_alu instid0(VALU_DEP_2) | instskip(NEXT) | instid1(VALU_DEP_1)
	v_or_b32_e32 v5, 0x70000000, v5
	v_mul_f32_e32 v5, 0x7800000, v5
	s_delay_alu instid0(VALU_DEP_1) | instskip(NEXT) | instid1(VALU_DEP_1)
	v_cndmask_b32_e32 v1, v5, v6, vcc_lo
	v_and_or_b32 v0, 0x80000000, v0, v1
	s_delay_alu instid0(VALU_DEP_1)
	v_cvt_f64_f32_e32 v[0:1], v0
.LBB392_1146:
	s_mov_b32 s0, -1
	s_mov_b32 s14, 0
	s_cbranch_execnz .LBB392_1155
.LBB392_1147:
	v_cmp_lt_i16_e32 vcc_lo, 14, v10
	s_cbranch_vccz .LBB392_1150
; %bb.1148:
	v_cmp_eq_u16_e32 vcc_lo, 15, v10
	s_cbranch_vccz .LBB392_1151
; %bb.1149:
	global_load_u16 v0, v[2:3], off
	s_mov_b32 s3, 0
	s_mov_b32 s0, -1
	s_waitcnt vmcnt(0)
	v_lshlrev_b32_e32 v0, 16, v0
	s_delay_alu instid0(VALU_DEP_1)
	v_cvt_f64_f32_e32 v[0:1], v0
	s_branch .LBB392_1152
.LBB392_1150:
	s_mov_b32 s1, -1
                                        ; implicit-def: $vgpr0_vgpr1
	s_branch .LBB392_1153
.LBB392_1151:
	s_mov_b32 s3, -1
                                        ; implicit-def: $vgpr0_vgpr1
.LBB392_1152:
	s_mov_b32 s1, 0
.LBB392_1153:
	s_delay_alu instid0(SALU_CYCLE_1)
	s_and_b32 vcc_lo, exec_lo, s1
	s_cbranch_vccz .LBB392_1155
; %bb.1154:
	v_cmp_ne_u16_e64 s3, 11, v10
	s_mov_b32 s14, -1
                                        ; implicit-def: $vgpr0_vgpr1
.LBB392_1155:
	s_delay_alu instid0(VALU_DEP_1)
	s_and_b32 vcc_lo, exec_lo, s3
	s_mov_b32 s3, s13
	s_cbranch_vccnz .LBB392_1179
; %bb.1156:
	s_and_not1_b32 vcc_lo, exec_lo, s14
	s_cbranch_vccnz .LBB392_1158
.LBB392_1157:
	global_load_u8 v0, v[2:3], off
	s_mov_b32 s0, -1
	s_waitcnt vmcnt(0)
	v_cmp_ne_u16_e32 vcc_lo, 0, v0
	v_mov_b32_e32 v0, 0
	v_cndmask_b32_e64 v1, 0, 0x3ff00000, vcc_lo
.LBB392_1158:
.LBB392_1159:
	s_and_not1_b32 vcc_lo, exec_lo, s0
                                        ; implicit-def: $vgpr2_vgpr3
	s_cbranch_vccnz .LBB392_1995
.LBB392_1160:
	s_lshl_b32 s9, s9, 7
	v_cmp_gt_i16_e32 vcc_lo, 11, v10
	v_add_nc_u32_e32 v6, s9, v4
	s_delay_alu instid0(VALU_DEP_1) | instskip(SKIP_1) | instid1(VALU_DEP_1)
	v_ashrrev_i32_e32 v3, 31, v6
	v_add_co_u32 v2, s0, s6, v6
	v_add_co_ci_u32_e64 v3, s0, s7, v3, s0
	s_cbranch_vccnz .LBB392_1167
; %bb.1161:
	v_cmp_lt_i16_e32 vcc_lo, 25, v10
	s_mov_b32 s15, 0
	s_cbranch_vccz .LBB392_1173
; %bb.1162:
	v_cmp_lt_i16_e32 vcc_lo, 28, v10
	s_cbranch_vccz .LBB392_1175
; %bb.1163:
	v_cmp_lt_i16_e32 vcc_lo, 43, v10
	;; [unrolled: 3-line block ×3, first 2 shown]
	s_cbranch_vccz .LBB392_1183
; %bb.1165:
	v_cmp_eq_u16_e32 vcc_lo, 46, v10
	s_mov_b32 s1, 0
	s_cbranch_vccz .LBB392_1227
; %bb.1166:
	global_load_b32 v4, v[2:3], off
	s_mov_b32 s14, 0
	s_mov_b32 s0, -1
	s_waitcnt vmcnt(0)
	v_lshlrev_b32_e32 v4, 16, v4
	s_delay_alu instid0(VALU_DEP_1)
	v_cvt_f64_f32_e32 v[4:5], v4
	s_branch .LBB392_1229
.LBB392_1167:
	s_mov_b32 s0, 0
                                        ; implicit-def: $vgpr4_vgpr5
	s_cbranch_execz .LBB392_1294
; %bb.1168:
	v_cmp_gt_i16_e32 vcc_lo, 5, v10
	s_cbranch_vccnz .LBB392_1174
; %bb.1169:
	v_cmp_gt_i16_e32 vcc_lo, 8, v10
	s_cbranch_vccnz .LBB392_1176
; %bb.1170:
	v_cmp_gt_i16_e32 vcc_lo, 9, v10
	s_cbranch_vccnz .LBB392_1178
; %bb.1171:
	v_cmp_lt_i16_e32 vcc_lo, 9, v10
	s_cbranch_vccz .LBB392_1184
; %bb.1172:
	global_load_b64 v[4:5], v[2:3], off
	s_mov_b32 s0, 0
	s_branch .LBB392_1185
.LBB392_1173:
	s_mov_b32 s0, 0
	s_mov_b32 s14, 0
                                        ; implicit-def: $vgpr4_vgpr5
	s_cbranch_execnz .LBB392_1260
	s_branch .LBB392_1290
.LBB392_1174:
                                        ; implicit-def: $vgpr4_vgpr5
	s_branch .LBB392_1203
.LBB392_1175:
	s_mov_b32 s1, -1
	s_mov_b32 s0, 0
	s_mov_b32 s14, 0
                                        ; implicit-def: $vgpr4_vgpr5
	s_branch .LBB392_1239
.LBB392_1176:
	s_mov_b32 s0, -1
                                        ; implicit-def: $vgpr4_vgpr5
	s_branch .LBB392_1191
.LBB392_1177:
	s_mov_b32 s1, -1
	s_mov_b32 s0, 0
	s_mov_b32 s14, 0
                                        ; implicit-def: $vgpr4_vgpr5
	s_branch .LBB392_1234
.LBB392_1178:
	s_mov_b32 s0, -1
                                        ; implicit-def: $vgpr4_vgpr5
	s_branch .LBB392_1188
.LBB392_1179:
	s_cbranch_execnz .LBB392_1223
; %bb.1180:
	s_or_b32 s3, s13, exec_lo
                                        ; implicit-def: $vgpr0_vgpr1
	s_cbranch_execz .LBB392_1157
	s_branch .LBB392_1158
.LBB392_1181:
	s_or_saveexec_b32 s17, s17
                                        ; implicit-def: $sgpr18
	s_delay_alu instid0(SALU_CYCLE_1)
	s_xor_b32 exec_lo, exec_lo, s17
	s_cbranch_execz .LBB392_943
.LBB392_1182:
	v_add_f32_e64 v3, 0x46000000, |v2|
	s_and_not1_b32 s16, s16, exec_lo
	s_mov_b32 s18, 0
	s_delay_alu instid0(VALU_DEP_1) | instskip(NEXT) | instid1(VALU_DEP_1)
	v_and_b32_e32 v3, 0xff, v3
	v_cmp_ne_u32_e32 vcc_lo, 0, v3
	s_and_b32 s19, vcc_lo, exec_lo
	s_delay_alu instid0(SALU_CYCLE_1)
	s_or_b32 s16, s16, s19
	s_or_b32 exec_lo, exec_lo, s17
	v_mov_b32_e32 v7, s18
	s_and_saveexec_b32 s17, s16
	s_cbranch_execnz .LBB392_944
	s_branch .LBB392_945
.LBB392_1183:
	s_mov_b32 s1, -1
	s_mov_b32 s0, 0
	s_mov_b32 s14, 0
	s_branch .LBB392_1228
.LBB392_1184:
	s_mov_b32 s0, -1
                                        ; implicit-def: $vgpr4_vgpr5
.LBB392_1185:
	s_delay_alu instid0(SALU_CYCLE_1)
	s_and_not1_b32 vcc_lo, exec_lo, s0
	s_cbranch_vccnz .LBB392_1187
; %bb.1186:
	global_load_b32 v4, v[2:3], off
	s_waitcnt vmcnt(0)
	v_cvt_f64_f32_e32 v[4:5], v4
.LBB392_1187:
	s_mov_b32 s0, 0
.LBB392_1188:
	s_delay_alu instid0(SALU_CYCLE_1)
	s_and_not1_b32 vcc_lo, exec_lo, s0
	s_cbranch_vccnz .LBB392_1190
; %bb.1189:
	global_load_b32 v4, v[2:3], off
	s_waitcnt vmcnt(0)
	v_cvt_f32_f16_e32 v4, v4
	s_delay_alu instid0(VALU_DEP_1)
	v_cvt_f64_f32_e32 v[4:5], v4
.LBB392_1190:
	s_mov_b32 s0, 0
.LBB392_1191:
	s_delay_alu instid0(SALU_CYCLE_1)
	s_and_not1_b32 vcc_lo, exec_lo, s0
	s_cbranch_vccnz .LBB392_1202
; %bb.1192:
	v_cmp_gt_i16_e32 vcc_lo, 6, v10
	s_cbranch_vccnz .LBB392_1195
; %bb.1193:
	v_cmp_lt_i16_e32 vcc_lo, 6, v10
	s_cbranch_vccz .LBB392_1196
; %bb.1194:
	global_load_b64 v[4:5], v[2:3], off
	s_mov_b32 s0, 0
	s_branch .LBB392_1197
.LBB392_1195:
	s_mov_b32 s0, -1
                                        ; implicit-def: $vgpr4_vgpr5
	s_branch .LBB392_1200
.LBB392_1196:
	s_mov_b32 s0, -1
                                        ; implicit-def: $vgpr4_vgpr5
.LBB392_1197:
	s_delay_alu instid0(SALU_CYCLE_1)
	s_and_not1_b32 vcc_lo, exec_lo, s0
	s_cbranch_vccnz .LBB392_1199
; %bb.1198:
	global_load_b32 v4, v[2:3], off
	s_waitcnt vmcnt(0)
	v_cvt_f64_f32_e32 v[4:5], v4
.LBB392_1199:
	s_mov_b32 s0, 0
.LBB392_1200:
	s_delay_alu instid0(SALU_CYCLE_1)
	s_and_not1_b32 vcc_lo, exec_lo, s0
	s_cbranch_vccnz .LBB392_1202
; %bb.1201:
	global_load_u16 v4, v[2:3], off
	s_waitcnt vmcnt(0)
	v_cvt_f32_f16_e32 v4, v4
	s_delay_alu instid0(VALU_DEP_1)
	v_cvt_f64_f32_e32 v[4:5], v4
.LBB392_1202:
	s_cbranch_execnz .LBB392_1222
.LBB392_1203:
	v_cmp_gt_i16_e32 vcc_lo, 2, v10
	s_cbranch_vccnz .LBB392_1207
; %bb.1204:
	v_cmp_gt_i16_e32 vcc_lo, 3, v10
	s_cbranch_vccnz .LBB392_1208
; %bb.1205:
	v_cmp_lt_i16_e32 vcc_lo, 3, v10
	s_cbranch_vccz .LBB392_1209
; %bb.1206:
	global_load_b64 v[4:5], v[2:3], off
	s_mov_b32 s0, 0
	s_waitcnt vmcnt(0)
	v_cvt_f64_i32_e32 v[7:8], v5
	v_cvt_f64_u32_e32 v[4:5], v4
	s_delay_alu instid0(VALU_DEP_2) | instskip(NEXT) | instid1(VALU_DEP_1)
	v_ldexp_f64 v[7:8], v[7:8], 32
	v_add_f64 v[4:5], v[7:8], v[4:5]
	s_branch .LBB392_1210
.LBB392_1207:
	s_mov_b32 s0, -1
                                        ; implicit-def: $vgpr4_vgpr5
	s_branch .LBB392_1216
.LBB392_1208:
	s_mov_b32 s0, -1
                                        ; implicit-def: $vgpr4_vgpr5
	s_branch .LBB392_1213
.LBB392_1209:
	s_mov_b32 s0, -1
                                        ; implicit-def: $vgpr4_vgpr5
.LBB392_1210:
	s_delay_alu instid0(SALU_CYCLE_1)
	s_and_not1_b32 vcc_lo, exec_lo, s0
	s_cbranch_vccnz .LBB392_1212
; %bb.1211:
	global_load_b32 v4, v[2:3], off
	s_waitcnt vmcnt(0)
	v_cvt_f64_i32_e32 v[4:5], v4
.LBB392_1212:
	s_mov_b32 s0, 0
.LBB392_1213:
	s_delay_alu instid0(SALU_CYCLE_1)
	s_and_not1_b32 vcc_lo, exec_lo, s0
	s_cbranch_vccnz .LBB392_1215
; %bb.1214:
	global_load_i16 v4, v[2:3], off
	s_waitcnt vmcnt(0)
	v_cvt_f64_i32_e32 v[4:5], v4
.LBB392_1215:
	s_mov_b32 s0, 0
.LBB392_1216:
	s_delay_alu instid0(SALU_CYCLE_1)
	s_and_not1_b32 vcc_lo, exec_lo, s0
	s_cbranch_vccnz .LBB392_1222
; %bb.1217:
	v_cmp_lt_i16_e32 vcc_lo, 0, v10
	s_mov_b32 s0, 0
	s_cbranch_vccz .LBB392_1219
; %bb.1218:
	global_load_i8 v4, v[2:3], off
	s_waitcnt vmcnt(0)
	v_cvt_f64_i32_e32 v[4:5], v4
	s_branch .LBB392_1220
.LBB392_1219:
	s_mov_b32 s0, -1
                                        ; implicit-def: $vgpr4_vgpr5
.LBB392_1220:
	s_delay_alu instid0(SALU_CYCLE_1)
	s_and_not1_b32 vcc_lo, exec_lo, s0
	s_cbranch_vccnz .LBB392_1222
; %bb.1221:
	global_load_u8 v2, v[2:3], off
	s_waitcnt vmcnt(0)
	v_cvt_f64_u32_e32 v[4:5], v2
.LBB392_1222:
	s_branch .LBB392_1295
.LBB392_1223:
	s_trap 2
	s_sendmsg_rtn_b32 s0, sendmsg(MSG_RTN_GET_DOORBELL)
	s_mov_b32 ttmp2, m0
	s_waitcnt lgkmcnt(0)
	s_and_b32 s0, s0, 0x3ff
	s_delay_alu instid0(SALU_CYCLE_1) | instskip(NEXT) | instid1(SALU_CYCLE_1)
	s_bitset1_b32 s0, 10
	s_mov_b32 m0, s0
	s_sendmsg sendmsg(MSG_INTERRUPT)
	s_mov_b32 m0, ttmp2
.LBB392_1224:                           ; =>This Inner Loop Header: Depth=1
	s_sethalt 5
	s_branch .LBB392_1224
.LBB392_1225:
	s_or_saveexec_b32 s18, s18
                                        ; implicit-def: $sgpr19
	s_delay_alu instid0(SALU_CYCLE_1)
	s_xor_b32 exec_lo, exec_lo, s18
	s_cbranch_execz .LBB392_955
.LBB392_1226:
	v_add_f32_e64 v3, 0x42800000, |v2|
	s_and_not1_b32 s17, s17, exec_lo
	s_mov_b32 s19, 0
	s_delay_alu instid0(VALU_DEP_1) | instskip(NEXT) | instid1(VALU_DEP_1)
	v_and_b32_e32 v3, 0xff, v3
	v_cmp_ne_u32_e32 vcc_lo, 0, v3
	s_and_b32 s20, vcc_lo, exec_lo
	s_delay_alu instid0(SALU_CYCLE_1)
	s_or_b32 s17, s17, s20
	s_or_b32 exec_lo, exec_lo, s18
	v_mov_b32_e32 v7, s19
	s_and_saveexec_b32 s18, s17
	s_cbranch_execnz .LBB392_956
	s_branch .LBB392_957
.LBB392_1227:
	s_mov_b32 s14, -1
	s_mov_b32 s0, 0
.LBB392_1228:
                                        ; implicit-def: $vgpr4_vgpr5
.LBB392_1229:
	s_and_b32 vcc_lo, exec_lo, s1
	s_cbranch_vccz .LBB392_1233
; %bb.1230:
	v_cmp_eq_u16_e32 vcc_lo, 44, v10
	s_cbranch_vccz .LBB392_1232
; %bb.1231:
	global_load_u8 v7, v[2:3], off
	s_mov_b32 s14, 0
	s_mov_b32 s0, -1
	s_waitcnt vmcnt(0)
	v_cmp_ne_u32_e32 vcc_lo, 0xff, v7
	v_lshlrev_b32_e32 v4, 23, v7
	s_delay_alu instid0(VALU_DEP_1) | instskip(NEXT) | instid1(VALU_DEP_1)
	v_cvt_f64_f32_e32 v[4:5], v4
	v_cndmask_b32_e32 v5, 0x7ff80000, v5, vcc_lo
	s_delay_alu instid0(VALU_DEP_2) | instskip(SKIP_1) | instid1(VALU_DEP_3)
	v_cndmask_b32_e32 v4, 0x20000000, v4, vcc_lo
	v_cmp_ne_u32_e32 vcc_lo, 0, v7
	v_cndmask_b32_e32 v5, 0x38000000, v5, vcc_lo
	s_delay_alu instid0(VALU_DEP_3)
	v_cndmask_b32_e32 v4, 0, v4, vcc_lo
	s_branch .LBB392_1233
.LBB392_1232:
	s_mov_b32 s14, -1
                                        ; implicit-def: $vgpr4_vgpr5
.LBB392_1233:
	s_mov_b32 s1, 0
.LBB392_1234:
	s_delay_alu instid0(SALU_CYCLE_1)
	s_and_b32 vcc_lo, exec_lo, s1
	s_cbranch_vccz .LBB392_1238
; %bb.1235:
	v_cmp_eq_u16_e32 vcc_lo, 29, v10
	s_cbranch_vccz .LBB392_1237
; %bb.1236:
	global_load_b64 v[4:5], v[2:3], off
	s_mov_b32 s14, 0
	s_mov_b32 s0, -1
	s_mov_b32 s1, 0
	s_waitcnt vmcnt(0)
	v_cvt_f64_u32_e32 v[7:8], v5
	v_cvt_f64_u32_e32 v[4:5], v4
	s_delay_alu instid0(VALU_DEP_2) | instskip(NEXT) | instid1(VALU_DEP_1)
	v_ldexp_f64 v[7:8], v[7:8], 32
	v_add_f64 v[4:5], v[7:8], v[4:5]
	s_branch .LBB392_1239
.LBB392_1237:
	s_mov_b32 s14, -1
                                        ; implicit-def: $vgpr4_vgpr5
.LBB392_1238:
	s_mov_b32 s1, 0
.LBB392_1239:
	s_delay_alu instid0(SALU_CYCLE_1)
	s_and_b32 vcc_lo, exec_lo, s1
	s_cbranch_vccz .LBB392_1259
; %bb.1240:
	v_cmp_gt_i16_e32 vcc_lo, 27, v10
	s_cbranch_vccnz .LBB392_1243
; %bb.1241:
	v_cmp_lt_i16_e32 vcc_lo, 27, v10
	s_cbranch_vccz .LBB392_1244
; %bb.1242:
	global_load_b32 v4, v[2:3], off
	s_mov_b32 s0, 0
	s_waitcnt vmcnt(0)
	v_cvt_f64_u32_e32 v[4:5], v4
	s_branch .LBB392_1245
.LBB392_1243:
	s_mov_b32 s0, -1
                                        ; implicit-def: $vgpr4_vgpr5
	s_branch .LBB392_1248
.LBB392_1244:
	s_mov_b32 s0, -1
                                        ; implicit-def: $vgpr4_vgpr5
.LBB392_1245:
	s_delay_alu instid0(SALU_CYCLE_1)
	s_and_not1_b32 vcc_lo, exec_lo, s0
	s_cbranch_vccnz .LBB392_1247
; %bb.1246:
	global_load_u16 v4, v[2:3], off
	s_waitcnt vmcnt(0)
	v_cvt_f64_u32_e32 v[4:5], v4
.LBB392_1247:
	s_mov_b32 s0, 0
.LBB392_1248:
	s_delay_alu instid0(SALU_CYCLE_1)
	s_and_not1_b32 vcc_lo, exec_lo, s0
	s_cbranch_vccnz .LBB392_1258
; %bb.1249:
	global_load_u8 v7, v[2:3], off
	s_mov_b32 s16, 0
	s_mov_b32 s17, exec_lo
                                        ; implicit-def: $sgpr0_sgpr1
	s_waitcnt vmcnt(0)
	v_cmpx_lt_i16_e32 0x7f, v7
	s_xor_b32 s17, exec_lo, s17
	s_cbranch_execz .LBB392_1253
; %bb.1250:
	s_mov_b32 s18, -1
	s_mov_b32 s16, exec_lo
                                        ; implicit-def: $sgpr0_sgpr1
	v_cmpx_eq_u16_e32 0x80, v7
; %bb.1251:
	s_mov_b32 s1, 0x7ff80000
	s_brev_b32 s0, 4
	s_xor_b32 s18, exec_lo, -1
; %bb.1252:
	s_or_b32 exec_lo, exec_lo, s16
	s_delay_alu instid0(SALU_CYCLE_1)
	s_and_b32 s16, s18, exec_lo
.LBB392_1253:
	s_or_saveexec_b32 s17, s17
	v_dual_mov_b32 v5, s1 :: v_dual_mov_b32 v4, s0
	s_xor_b32 exec_lo, exec_lo, s17
; %bb.1254:
	v_cmp_ne_u16_e32 vcc_lo, 0, v7
	v_mov_b32_e32 v4, 0
	v_mov_b32_e32 v5, 0
	s_and_not1_b32 s0, s16, exec_lo
	s_and_b32 s1, vcc_lo, exec_lo
	s_delay_alu instid0(SALU_CYCLE_1)
	s_or_b32 s16, s0, s1
; %bb.1255:
	s_or_b32 exec_lo, exec_lo, s17
	s_and_saveexec_b32 s0, s16
	s_cbranch_execz .LBB392_1257
; %bb.1256:
	v_and_b32_e32 v4, 0xffff, v7
	v_lshlrev_b32_e32 v7, 24, v7
	s_delay_alu instid0(VALU_DEP_2) | instskip(NEXT) | instid1(VALU_DEP_2)
	v_and_b32_e32 v5, 7, v4
	v_and_b32_e32 v7, 0x80000000, v7
	s_delay_alu instid0(VALU_DEP_2) | instskip(NEXT) | instid1(VALU_DEP_1)
	v_clz_i32_u32_e32 v8, v5
	v_min_u32_e32 v8, 32, v8
	s_delay_alu instid0(VALU_DEP_1) | instskip(SKIP_1) | instid1(VALU_DEP_2)
	v_subrev_nc_u32_e32 v9, 28, v8
	v_sub_nc_u32_e32 v8, 29, v8
	v_lshlrev_b32_e32 v9, v9, v4
	v_bfe_u32 v4, v4, 3, 4
	s_delay_alu instid0(VALU_DEP_1) | instskip(NEXT) | instid1(VALU_DEP_3)
	v_cmp_eq_u32_e32 vcc_lo, 0, v4
	v_dual_cndmask_b32 v4, v4, v8 :: v_dual_and_b32 v9, 7, v9
	s_delay_alu instid0(VALU_DEP_1) | instskip(NEXT) | instid1(VALU_DEP_2)
	v_cndmask_b32_e32 v5, v5, v9, vcc_lo
	v_lshl_add_u32 v4, v4, 23, 0x3b800000
	s_delay_alu instid0(VALU_DEP_2) | instskip(NEXT) | instid1(VALU_DEP_1)
	v_lshlrev_b32_e32 v5, 20, v5
	v_or3_b32 v4, v7, v4, v5
	s_delay_alu instid0(VALU_DEP_1)
	v_cvt_f64_f32_e32 v[4:5], v4
.LBB392_1257:
	s_or_b32 exec_lo, exec_lo, s0
.LBB392_1258:
	s_mov_b32 s0, -1
.LBB392_1259:
	s_branch .LBB392_1290
.LBB392_1260:
	v_cmp_lt_i16_e32 vcc_lo, 22, v10
	s_cbranch_vccz .LBB392_1272
; %bb.1261:
	v_cmp_gt_i16_e32 vcc_lo, 24, v10
	s_cbranch_vccnz .LBB392_1273
; %bb.1262:
	v_cmp_lt_i16_e32 vcc_lo, 24, v10
	s_cbranch_vccz .LBB392_1274
; %bb.1263:
	global_load_u8 v7, v[2:3], off
	s_mov_b32 s16, exec_lo
                                        ; implicit-def: $sgpr0_sgpr1
	s_waitcnt vmcnt(0)
	v_cmpx_lt_i16_e32 0x7f, v7
	s_xor_b32 s16, exec_lo, s16
	s_cbranch_execz .LBB392_1267
; %bb.1264:
	s_mov_b32 s17, -1
	s_mov_b32 s15, exec_lo
                                        ; implicit-def: $sgpr0_sgpr1
	v_cmpx_eq_u16_e32 0x80, v7
; %bb.1265:
	s_mov_b32 s1, 0x7ff80000
	s_brev_b32 s0, 4
	s_xor_b32 s17, exec_lo, -1
; %bb.1266:
	s_or_b32 exec_lo, exec_lo, s15
	s_delay_alu instid0(SALU_CYCLE_1)
	s_and_b32 s15, s17, exec_lo
.LBB392_1267:
	s_or_saveexec_b32 s16, s16
	v_dual_mov_b32 v5, s1 :: v_dual_mov_b32 v4, s0
	s_xor_b32 exec_lo, exec_lo, s16
; %bb.1268:
	v_cmp_ne_u16_e32 vcc_lo, 0, v7
	v_mov_b32_e32 v4, 0
	v_mov_b32_e32 v5, 0
	s_and_not1_b32 s0, s15, exec_lo
	s_and_b32 s1, vcc_lo, exec_lo
	s_delay_alu instid0(SALU_CYCLE_1)
	s_or_b32 s15, s0, s1
; %bb.1269:
	s_or_b32 exec_lo, exec_lo, s16
	s_and_saveexec_b32 s0, s15
	s_cbranch_execz .LBB392_1271
; %bb.1270:
	v_and_b32_e32 v4, 0xffff, v7
	v_lshlrev_b32_e32 v7, 24, v7
	s_delay_alu instid0(VALU_DEP_2) | instskip(NEXT) | instid1(VALU_DEP_2)
	v_and_b32_e32 v5, 3, v4
	v_and_b32_e32 v7, 0x80000000, v7
	s_delay_alu instid0(VALU_DEP_2) | instskip(NEXT) | instid1(VALU_DEP_1)
	v_clz_i32_u32_e32 v8, v5
	v_min_u32_e32 v8, 32, v8
	s_delay_alu instid0(VALU_DEP_1) | instskip(SKIP_1) | instid1(VALU_DEP_2)
	v_subrev_nc_u32_e32 v9, 29, v8
	v_sub_nc_u32_e32 v8, 30, v8
	v_lshlrev_b32_e32 v9, v9, v4
	v_bfe_u32 v4, v4, 2, 5
	s_delay_alu instid0(VALU_DEP_1) | instskip(NEXT) | instid1(VALU_DEP_3)
	v_cmp_eq_u32_e32 vcc_lo, 0, v4
	v_dual_cndmask_b32 v4, v4, v8 :: v_dual_and_b32 v9, 3, v9
	s_delay_alu instid0(VALU_DEP_1) | instskip(NEXT) | instid1(VALU_DEP_2)
	v_cndmask_b32_e32 v5, v5, v9, vcc_lo
	v_lshl_add_u32 v4, v4, 23, 0x37800000
	s_delay_alu instid0(VALU_DEP_2) | instskip(NEXT) | instid1(VALU_DEP_1)
	v_lshlrev_b32_e32 v5, 21, v5
	v_or3_b32 v4, v7, v4, v5
	s_delay_alu instid0(VALU_DEP_1)
	v_cvt_f64_f32_e32 v[4:5], v4
.LBB392_1271:
	s_or_b32 exec_lo, exec_lo, s0
	s_mov_b32 s0, 0
	s_branch .LBB392_1275
.LBB392_1272:
	s_mov_b32 s1, -1
                                        ; implicit-def: $vgpr4_vgpr5
	s_branch .LBB392_1281
.LBB392_1273:
	s_mov_b32 s0, -1
                                        ; implicit-def: $vgpr4_vgpr5
	s_branch .LBB392_1278
.LBB392_1274:
	s_mov_b32 s0, -1
                                        ; implicit-def: $vgpr4_vgpr5
.LBB392_1275:
	s_delay_alu instid0(SALU_CYCLE_1)
	s_and_b32 vcc_lo, exec_lo, s0
	s_cbranch_vccz .LBB392_1277
; %bb.1276:
	global_load_u8 v4, v[2:3], off
	s_waitcnt vmcnt(0)
	v_lshlrev_b32_e32 v4, 24, v4
	s_delay_alu instid0(VALU_DEP_1) | instskip(NEXT) | instid1(VALU_DEP_1)
	v_and_b32_e32 v5, 0x7f000000, v4
	v_clz_i32_u32_e32 v7, v5
	v_add_nc_u32_e32 v9, 0x1000000, v5
	v_cmp_ne_u32_e32 vcc_lo, 0, v5
	s_delay_alu instid0(VALU_DEP_3) | instskip(NEXT) | instid1(VALU_DEP_1)
	v_min_u32_e32 v7, 32, v7
	v_sub_nc_u32_e64 v7, v7, 4 clamp
	s_delay_alu instid0(VALU_DEP_1) | instskip(SKIP_1) | instid1(VALU_DEP_2)
	v_lshlrev_b32_e32 v8, v7, v5
	v_lshlrev_b32_e32 v7, 23, v7
	v_lshrrev_b32_e32 v8, 4, v8
	s_delay_alu instid0(VALU_DEP_1) | instskip(SKIP_1) | instid1(VALU_DEP_2)
	v_sub_nc_u32_e32 v7, v8, v7
	v_ashrrev_i32_e32 v8, 8, v9
	v_add_nc_u32_e32 v7, 0x3c000000, v7
	s_delay_alu instid0(VALU_DEP_1) | instskip(NEXT) | instid1(VALU_DEP_1)
	v_and_or_b32 v7, 0x7f800000, v8, v7
	v_cndmask_b32_e32 v5, 0, v7, vcc_lo
	s_delay_alu instid0(VALU_DEP_1) | instskip(NEXT) | instid1(VALU_DEP_1)
	v_and_or_b32 v4, 0x80000000, v4, v5
	v_cvt_f64_f32_e32 v[4:5], v4
.LBB392_1277:
	s_mov_b32 s0, 0
.LBB392_1278:
	s_delay_alu instid0(SALU_CYCLE_1)
	s_and_not1_b32 vcc_lo, exec_lo, s0
	s_cbranch_vccnz .LBB392_1280
; %bb.1279:
	global_load_u8 v4, v[2:3], off
	s_waitcnt vmcnt(0)
	v_lshlrev_b32_e32 v5, 25, v4
	v_lshlrev_b16 v4, 8, v4
	s_delay_alu instid0(VALU_DEP_2) | instskip(NEXT) | instid1(VALU_DEP_2)
	v_lshrrev_b32_e32 v7, 4, v5
	v_and_or_b32 v8, 0x7f00, v4, 0.5
	v_cmp_gt_u32_e32 vcc_lo, 0x8000000, v5
	v_bfe_i32 v4, v4, 0, 16
	s_delay_alu instid0(VALU_DEP_4) | instskip(NEXT) | instid1(VALU_DEP_1)
	v_or_b32_e32 v7, 0x70000000, v7
	v_dual_add_f32 v8, -0.5, v8 :: v_dual_mul_f32 v7, 0x7800000, v7
	s_delay_alu instid0(VALU_DEP_1) | instskip(NEXT) | instid1(VALU_DEP_1)
	v_cndmask_b32_e32 v5, v7, v8, vcc_lo
	v_and_or_b32 v4, 0x80000000, v4, v5
	s_delay_alu instid0(VALU_DEP_1)
	v_cvt_f64_f32_e32 v[4:5], v4
.LBB392_1280:
	s_mov_b32 s1, 0
	s_mov_b32 s0, -1
.LBB392_1281:
	s_and_not1_b32 vcc_lo, exec_lo, s1
	s_mov_b32 s15, 0
	s_cbranch_vccnz .LBB392_1290
; %bb.1282:
	v_cmp_lt_i16_e32 vcc_lo, 14, v10
	s_cbranch_vccz .LBB392_1285
; %bb.1283:
	v_cmp_eq_u16_e32 vcc_lo, 15, v10
	s_cbranch_vccz .LBB392_1286
; %bb.1284:
	global_load_u16 v4, v[2:3], off
	s_mov_b32 s14, 0
	s_mov_b32 s0, -1
	s_waitcnt vmcnt(0)
	v_lshlrev_b32_e32 v4, 16, v4
	s_delay_alu instid0(VALU_DEP_1)
	v_cvt_f64_f32_e32 v[4:5], v4
	s_branch .LBB392_1287
.LBB392_1285:
	s_mov_b32 s1, -1
                                        ; implicit-def: $vgpr4_vgpr5
	s_branch .LBB392_1288
.LBB392_1286:
	s_mov_b32 s14, -1
                                        ; implicit-def: $vgpr4_vgpr5
.LBB392_1287:
	s_mov_b32 s1, 0
.LBB392_1288:
	s_delay_alu instid0(SALU_CYCLE_1)
	s_and_b32 vcc_lo, exec_lo, s1
	s_cbranch_vccz .LBB392_1290
; %bb.1289:
	v_cmp_ne_u16_e64 s14, 11, v10
	s_mov_b32 s15, -1
                                        ; implicit-def: $vgpr4_vgpr5
.LBB392_1290:
	s_delay_alu instid0(VALU_DEP_1)
	s_and_b32 vcc_lo, exec_lo, s14
	s_cbranch_vccnz .LBB392_1314
; %bb.1291:
	s_and_not1_b32 vcc_lo, exec_lo, s15
	s_cbranch_vccnz .LBB392_1293
.LBB392_1292:
	global_load_u8 v4, v[2:3], off
	s_mov_b32 s0, -1
	s_waitcnt vmcnt(0)
	v_cmp_ne_u16_e32 vcc_lo, 0, v4
	v_mov_b32_e32 v4, 0
	v_cndmask_b32_e64 v5, 0, 0x3ff00000, vcc_lo
.LBB392_1293:
.LBB392_1294:
	s_and_not1_b32 vcc_lo, exec_lo, s0
	s_cbranch_vccnz .LBB392_1995
.LBB392_1295:
	v_add_nc_u32_e32 v8, s9, v6
	v_cmp_gt_i16_e32 vcc_lo, 11, v10
	s_delay_alu instid0(VALU_DEP_2) | instskip(SKIP_1) | instid1(VALU_DEP_1)
	v_ashrrev_i32_e32 v3, 31, v8
	v_add_co_u32 v2, s0, s6, v8
	v_add_co_ci_u32_e64 v3, s0, s7, v3, s0
	s_cbranch_vccnz .LBB392_1302
; %bb.1296:
	v_cmp_lt_i16_e32 vcc_lo, 25, v10
	s_mov_b32 s15, 0
	s_cbranch_vccz .LBB392_1308
; %bb.1297:
	v_cmp_lt_i16_e32 vcc_lo, 28, v10
	s_cbranch_vccz .LBB392_1310
; %bb.1298:
	v_cmp_lt_i16_e32 vcc_lo, 43, v10
	;; [unrolled: 3-line block ×3, first 2 shown]
	s_cbranch_vccz .LBB392_1316
; %bb.1300:
	v_cmp_eq_u16_e32 vcc_lo, 46, v10
	s_mov_b32 s1, 0
	s_cbranch_vccz .LBB392_1359
; %bb.1301:
	global_load_b32 v6, v[2:3], off
	s_mov_b32 s14, 0
	s_mov_b32 s0, -1
	s_waitcnt vmcnt(0)
	v_lshlrev_b32_e32 v6, 16, v6
	s_delay_alu instid0(VALU_DEP_1)
	v_cvt_f64_f32_e32 v[6:7], v6
	s_branch .LBB392_1361
.LBB392_1302:
	s_mov_b32 s0, 0
                                        ; implicit-def: $vgpr6_vgpr7
	s_cbranch_execz .LBB392_1427
; %bb.1303:
	v_cmp_gt_i16_e32 vcc_lo, 5, v10
	s_cbranch_vccnz .LBB392_1309
; %bb.1304:
	v_cmp_gt_i16_e32 vcc_lo, 8, v10
	s_cbranch_vccnz .LBB392_1311
	;; [unrolled: 3-line block ×3, first 2 shown]
; %bb.1306:
	v_cmp_lt_i16_e32 vcc_lo, 9, v10
	s_cbranch_vccz .LBB392_1317
; %bb.1307:
	global_load_b64 v[6:7], v[2:3], off
	s_mov_b32 s0, 0
	s_branch .LBB392_1318
.LBB392_1308:
	s_mov_b32 s1, -1
	s_mov_b32 s0, 0
	s_mov_b32 s14, 0
                                        ; implicit-def: $vgpr6_vgpr7
	s_branch .LBB392_1392
.LBB392_1309:
	s_mov_b32 s0, -1
                                        ; implicit-def: $vgpr6_vgpr7
	s_branch .LBB392_1336
.LBB392_1310:
	s_mov_b32 s1, -1
	s_mov_b32 s0, 0
	s_mov_b32 s14, 0
                                        ; implicit-def: $vgpr6_vgpr7
	s_branch .LBB392_1371
.LBB392_1311:
	s_mov_b32 s0, -1
                                        ; implicit-def: $vgpr6_vgpr7
	s_branch .LBB392_1324
.LBB392_1312:
	s_mov_b32 s1, -1
	s_mov_b32 s0, 0
	s_mov_b32 s14, 0
                                        ; implicit-def: $vgpr6_vgpr7
	s_branch .LBB392_1366
.LBB392_1313:
	s_mov_b32 s0, -1
                                        ; implicit-def: $vgpr6_vgpr7
	s_branch .LBB392_1321
.LBB392_1314:
	s_cbranch_execnz .LBB392_1357
; %bb.1315:
	s_or_b32 s3, s3, exec_lo
                                        ; implicit-def: $vgpr4_vgpr5
	s_cbranch_execz .LBB392_1292
	s_branch .LBB392_1293
.LBB392_1316:
	s_mov_b32 s1, -1
	s_mov_b32 s0, 0
	s_mov_b32 s14, 0
	s_branch .LBB392_1360
.LBB392_1317:
	s_mov_b32 s0, -1
                                        ; implicit-def: $vgpr6_vgpr7
.LBB392_1318:
	s_delay_alu instid0(SALU_CYCLE_1)
	s_and_not1_b32 vcc_lo, exec_lo, s0
	s_cbranch_vccnz .LBB392_1320
; %bb.1319:
	global_load_b32 v6, v[2:3], off
	s_waitcnt vmcnt(0)
	v_cvt_f64_f32_e32 v[6:7], v6
.LBB392_1320:
	s_mov_b32 s0, 0
.LBB392_1321:
	s_delay_alu instid0(SALU_CYCLE_1)
	s_and_not1_b32 vcc_lo, exec_lo, s0
	s_cbranch_vccnz .LBB392_1323
; %bb.1322:
	global_load_b32 v6, v[2:3], off
	s_waitcnt vmcnt(0)
	v_cvt_f32_f16_e32 v6, v6
	s_delay_alu instid0(VALU_DEP_1)
	v_cvt_f64_f32_e32 v[6:7], v6
.LBB392_1323:
	s_mov_b32 s0, 0
.LBB392_1324:
	s_delay_alu instid0(SALU_CYCLE_1)
	s_and_not1_b32 vcc_lo, exec_lo, s0
	s_cbranch_vccnz .LBB392_1335
; %bb.1325:
	v_cmp_gt_i16_e32 vcc_lo, 6, v10
	s_cbranch_vccnz .LBB392_1328
; %bb.1326:
	v_cmp_lt_i16_e32 vcc_lo, 6, v10
	s_cbranch_vccz .LBB392_1329
; %bb.1327:
	global_load_b64 v[6:7], v[2:3], off
	s_mov_b32 s0, 0
	s_branch .LBB392_1330
.LBB392_1328:
	s_mov_b32 s0, -1
                                        ; implicit-def: $vgpr6_vgpr7
	s_branch .LBB392_1333
.LBB392_1329:
	s_mov_b32 s0, -1
                                        ; implicit-def: $vgpr6_vgpr7
.LBB392_1330:
	s_delay_alu instid0(SALU_CYCLE_1)
	s_and_not1_b32 vcc_lo, exec_lo, s0
	s_cbranch_vccnz .LBB392_1332
; %bb.1331:
	global_load_b32 v6, v[2:3], off
	s_waitcnt vmcnt(0)
	v_cvt_f64_f32_e32 v[6:7], v6
.LBB392_1332:
	s_mov_b32 s0, 0
.LBB392_1333:
	s_delay_alu instid0(SALU_CYCLE_1)
	s_and_not1_b32 vcc_lo, exec_lo, s0
	s_cbranch_vccnz .LBB392_1335
; %bb.1334:
	global_load_u16 v6, v[2:3], off
	s_waitcnt vmcnt(0)
	v_cvt_f32_f16_e32 v6, v6
	s_delay_alu instid0(VALU_DEP_1)
	v_cvt_f64_f32_e32 v[6:7], v6
.LBB392_1335:
	s_mov_b32 s0, 0
.LBB392_1336:
	s_delay_alu instid0(SALU_CYCLE_1)
	s_and_not1_b32 vcc_lo, exec_lo, s0
	s_cbranch_vccnz .LBB392_1356
; %bb.1337:
	v_cmp_gt_i16_e32 vcc_lo, 2, v10
	s_cbranch_vccnz .LBB392_1341
; %bb.1338:
	v_cmp_gt_i16_e32 vcc_lo, 3, v10
	s_cbranch_vccnz .LBB392_1342
; %bb.1339:
	v_cmp_lt_i16_e32 vcc_lo, 3, v10
	s_cbranch_vccz .LBB392_1343
; %bb.1340:
	global_load_b64 v[6:7], v[2:3], off
	s_mov_b32 s0, 0
	s_waitcnt vmcnt(0)
	v_cvt_f64_i32_e32 v[13:14], v7
	v_cvt_f64_u32_e32 v[6:7], v6
	s_delay_alu instid0(VALU_DEP_2) | instskip(NEXT) | instid1(VALU_DEP_1)
	v_ldexp_f64 v[13:14], v[13:14], 32
	v_add_f64 v[6:7], v[13:14], v[6:7]
	s_branch .LBB392_1344
.LBB392_1341:
	s_mov_b32 s0, -1
                                        ; implicit-def: $vgpr6_vgpr7
	s_branch .LBB392_1350
.LBB392_1342:
	s_mov_b32 s0, -1
                                        ; implicit-def: $vgpr6_vgpr7
	s_branch .LBB392_1347
.LBB392_1343:
	s_mov_b32 s0, -1
                                        ; implicit-def: $vgpr6_vgpr7
.LBB392_1344:
	s_delay_alu instid0(SALU_CYCLE_1)
	s_and_not1_b32 vcc_lo, exec_lo, s0
	s_cbranch_vccnz .LBB392_1346
; %bb.1345:
	global_load_b32 v6, v[2:3], off
	s_waitcnt vmcnt(0)
	v_cvt_f64_i32_e32 v[6:7], v6
.LBB392_1346:
	s_mov_b32 s0, 0
.LBB392_1347:
	s_delay_alu instid0(SALU_CYCLE_1)
	s_and_not1_b32 vcc_lo, exec_lo, s0
	s_cbranch_vccnz .LBB392_1349
; %bb.1348:
	global_load_i16 v6, v[2:3], off
	s_waitcnt vmcnt(0)
	v_cvt_f64_i32_e32 v[6:7], v6
.LBB392_1349:
	s_mov_b32 s0, 0
.LBB392_1350:
	s_delay_alu instid0(SALU_CYCLE_1)
	s_and_not1_b32 vcc_lo, exec_lo, s0
	s_cbranch_vccnz .LBB392_1356
; %bb.1351:
	v_cmp_lt_i16_e32 vcc_lo, 0, v10
	s_mov_b32 s0, 0
	s_cbranch_vccz .LBB392_1353
; %bb.1352:
	global_load_i8 v6, v[2:3], off
	s_waitcnt vmcnt(0)
	v_cvt_f64_i32_e32 v[6:7], v6
	s_branch .LBB392_1354
.LBB392_1353:
	s_mov_b32 s0, -1
                                        ; implicit-def: $vgpr6_vgpr7
.LBB392_1354:
	s_delay_alu instid0(SALU_CYCLE_1)
	s_and_not1_b32 vcc_lo, exec_lo, s0
	s_cbranch_vccnz .LBB392_1356
; %bb.1355:
	global_load_u8 v2, v[2:3], off
	s_waitcnt vmcnt(0)
	v_cvt_f64_u32_e32 v[6:7], v2
.LBB392_1356:
	s_branch .LBB392_1428
.LBB392_1357:
	s_trap 2
	s_sendmsg_rtn_b32 s0, sendmsg(MSG_RTN_GET_DOORBELL)
	s_mov_b32 ttmp2, m0
	s_waitcnt lgkmcnt(0)
	s_and_b32 s0, s0, 0x3ff
	s_delay_alu instid0(SALU_CYCLE_1) | instskip(NEXT) | instid1(SALU_CYCLE_1)
	s_bitset1_b32 s0, 10
	s_mov_b32 m0, s0
	s_sendmsg sendmsg(MSG_INTERRUPT)
	s_mov_b32 m0, ttmp2
.LBB392_1358:                           ; =>This Inner Loop Header: Depth=1
	s_sethalt 5
	s_branch .LBB392_1358
.LBB392_1359:
	s_mov_b32 s14, -1
	s_mov_b32 s0, 0
.LBB392_1360:
                                        ; implicit-def: $vgpr6_vgpr7
.LBB392_1361:
	s_and_b32 vcc_lo, exec_lo, s1
	s_cbranch_vccz .LBB392_1365
; %bb.1362:
	v_cmp_eq_u16_e32 vcc_lo, 44, v10
	s_cbranch_vccz .LBB392_1364
; %bb.1363:
	global_load_u8 v9, v[2:3], off
	s_mov_b32 s14, 0
	s_mov_b32 s0, -1
	s_waitcnt vmcnt(0)
	v_cmp_ne_u32_e32 vcc_lo, 0xff, v9
	v_lshlrev_b32_e32 v6, 23, v9
	s_delay_alu instid0(VALU_DEP_1) | instskip(NEXT) | instid1(VALU_DEP_1)
	v_cvt_f64_f32_e32 v[6:7], v6
	v_cndmask_b32_e32 v7, 0x7ff80000, v7, vcc_lo
	s_delay_alu instid0(VALU_DEP_2) | instskip(SKIP_1) | instid1(VALU_DEP_3)
	v_cndmask_b32_e32 v6, 0x20000000, v6, vcc_lo
	v_cmp_ne_u32_e32 vcc_lo, 0, v9
	v_cndmask_b32_e32 v7, 0x38000000, v7, vcc_lo
	s_delay_alu instid0(VALU_DEP_3)
	v_cndmask_b32_e32 v6, 0, v6, vcc_lo
	s_branch .LBB392_1365
.LBB392_1364:
	s_mov_b32 s14, -1
                                        ; implicit-def: $vgpr6_vgpr7
.LBB392_1365:
	s_mov_b32 s1, 0
.LBB392_1366:
	s_delay_alu instid0(SALU_CYCLE_1)
	s_and_b32 vcc_lo, exec_lo, s1
	s_cbranch_vccz .LBB392_1370
; %bb.1367:
	v_cmp_eq_u16_e32 vcc_lo, 29, v10
	s_cbranch_vccz .LBB392_1369
; %bb.1368:
	global_load_b64 v[6:7], v[2:3], off
	s_mov_b32 s14, 0
	s_mov_b32 s0, -1
	s_mov_b32 s1, 0
	s_waitcnt vmcnt(0)
	v_cvt_f64_u32_e32 v[13:14], v7
	v_cvt_f64_u32_e32 v[6:7], v6
	s_delay_alu instid0(VALU_DEP_2) | instskip(NEXT) | instid1(VALU_DEP_1)
	v_ldexp_f64 v[13:14], v[13:14], 32
	v_add_f64 v[6:7], v[13:14], v[6:7]
	s_branch .LBB392_1371
.LBB392_1369:
	s_mov_b32 s14, -1
                                        ; implicit-def: $vgpr6_vgpr7
.LBB392_1370:
	s_mov_b32 s1, 0
.LBB392_1371:
	s_delay_alu instid0(SALU_CYCLE_1)
	s_and_b32 vcc_lo, exec_lo, s1
	s_cbranch_vccz .LBB392_1391
; %bb.1372:
	v_cmp_gt_i16_e32 vcc_lo, 27, v10
	s_cbranch_vccnz .LBB392_1375
; %bb.1373:
	v_cmp_lt_i16_e32 vcc_lo, 27, v10
	s_cbranch_vccz .LBB392_1376
; %bb.1374:
	global_load_b32 v6, v[2:3], off
	s_mov_b32 s0, 0
	s_waitcnt vmcnt(0)
	v_cvt_f64_u32_e32 v[6:7], v6
	s_branch .LBB392_1377
.LBB392_1375:
	s_mov_b32 s0, -1
                                        ; implicit-def: $vgpr6_vgpr7
	s_branch .LBB392_1380
.LBB392_1376:
	s_mov_b32 s0, -1
                                        ; implicit-def: $vgpr6_vgpr7
.LBB392_1377:
	s_delay_alu instid0(SALU_CYCLE_1)
	s_and_not1_b32 vcc_lo, exec_lo, s0
	s_cbranch_vccnz .LBB392_1379
; %bb.1378:
	global_load_u16 v6, v[2:3], off
	s_waitcnt vmcnt(0)
	v_cvt_f64_u32_e32 v[6:7], v6
.LBB392_1379:
	s_mov_b32 s0, 0
.LBB392_1380:
	s_delay_alu instid0(SALU_CYCLE_1)
	s_and_not1_b32 vcc_lo, exec_lo, s0
	s_cbranch_vccnz .LBB392_1390
; %bb.1381:
	global_load_u8 v9, v[2:3], off
	s_mov_b32 s16, 0
	s_mov_b32 s17, exec_lo
                                        ; implicit-def: $sgpr0_sgpr1
	s_waitcnt vmcnt(0)
	v_cmpx_lt_i16_e32 0x7f, v9
	s_xor_b32 s17, exec_lo, s17
	s_cbranch_execz .LBB392_1385
; %bb.1382:
	s_mov_b32 s18, -1
	s_mov_b32 s16, exec_lo
                                        ; implicit-def: $sgpr0_sgpr1
	v_cmpx_eq_u16_e32 0x80, v9
; %bb.1383:
	s_mov_b32 s1, 0x7ff80000
	s_brev_b32 s0, 4
	s_xor_b32 s18, exec_lo, -1
; %bb.1384:
	s_or_b32 exec_lo, exec_lo, s16
	s_delay_alu instid0(SALU_CYCLE_1)
	s_and_b32 s16, s18, exec_lo
.LBB392_1385:
	s_or_saveexec_b32 s17, s17
	v_dual_mov_b32 v7, s1 :: v_dual_mov_b32 v6, s0
	s_xor_b32 exec_lo, exec_lo, s17
; %bb.1386:
	v_cmp_ne_u16_e32 vcc_lo, 0, v9
	v_mov_b32_e32 v6, 0
	v_mov_b32_e32 v7, 0
	s_and_not1_b32 s0, s16, exec_lo
	s_and_b32 s1, vcc_lo, exec_lo
	s_delay_alu instid0(SALU_CYCLE_1)
	s_or_b32 s16, s0, s1
; %bb.1387:
	s_or_b32 exec_lo, exec_lo, s17
	s_and_saveexec_b32 s0, s16
	s_cbranch_execz .LBB392_1389
; %bb.1388:
	v_and_b32_e32 v6, 0xffff, v9
	v_lshlrev_b32_e32 v9, 24, v9
	s_delay_alu instid0(VALU_DEP_2) | instskip(NEXT) | instid1(VALU_DEP_2)
	v_and_b32_e32 v7, 7, v6
	v_and_b32_e32 v9, 0x80000000, v9
	s_delay_alu instid0(VALU_DEP_2) | instskip(NEXT) | instid1(VALU_DEP_1)
	v_clz_i32_u32_e32 v11, v7
	v_min_u32_e32 v11, 32, v11
	s_delay_alu instid0(VALU_DEP_1) | instskip(SKIP_1) | instid1(VALU_DEP_2)
	v_subrev_nc_u32_e32 v13, 28, v11
	v_sub_nc_u32_e32 v11, 29, v11
	v_lshlrev_b32_e32 v13, v13, v6
	v_bfe_u32 v6, v6, 3, 4
	s_delay_alu instid0(VALU_DEP_2) | instskip(NEXT) | instid1(VALU_DEP_2)
	v_and_b32_e32 v13, 7, v13
	v_cmp_eq_u32_e32 vcc_lo, 0, v6
	s_delay_alu instid0(VALU_DEP_2) | instskip(NEXT) | instid1(VALU_DEP_1)
	v_dual_cndmask_b32 v6, v6, v11 :: v_dual_cndmask_b32 v7, v7, v13
	v_lshl_add_u32 v6, v6, 23, 0x3b800000
	s_delay_alu instid0(VALU_DEP_2) | instskip(NEXT) | instid1(VALU_DEP_1)
	v_lshlrev_b32_e32 v7, 20, v7
	v_or3_b32 v6, v9, v6, v7
	s_delay_alu instid0(VALU_DEP_1)
	v_cvt_f64_f32_e32 v[6:7], v6
.LBB392_1389:
	s_or_b32 exec_lo, exec_lo, s0
.LBB392_1390:
	s_mov_b32 s0, -1
.LBB392_1391:
	s_mov_b32 s1, 0
.LBB392_1392:
	s_delay_alu instid0(SALU_CYCLE_1)
	s_and_b32 vcc_lo, exec_lo, s1
	s_cbranch_vccz .LBB392_1423
; %bb.1393:
	v_cmp_lt_i16_e32 vcc_lo, 22, v10
	s_cbranch_vccz .LBB392_1405
; %bb.1394:
	v_cmp_gt_i16_e32 vcc_lo, 24, v10
	s_cbranch_vccnz .LBB392_1406
; %bb.1395:
	v_cmp_lt_i16_e32 vcc_lo, 24, v10
	s_cbranch_vccz .LBB392_1407
; %bb.1396:
	global_load_u8 v9, v[2:3], off
	s_mov_b32 s16, exec_lo
                                        ; implicit-def: $sgpr0_sgpr1
	s_waitcnt vmcnt(0)
	v_cmpx_lt_i16_e32 0x7f, v9
	s_xor_b32 s16, exec_lo, s16
	s_cbranch_execz .LBB392_1400
; %bb.1397:
	s_mov_b32 s17, -1
	s_mov_b32 s15, exec_lo
                                        ; implicit-def: $sgpr0_sgpr1
	v_cmpx_eq_u16_e32 0x80, v9
; %bb.1398:
	s_mov_b32 s1, 0x7ff80000
	s_brev_b32 s0, 4
	s_xor_b32 s17, exec_lo, -1
; %bb.1399:
	s_or_b32 exec_lo, exec_lo, s15
	s_delay_alu instid0(SALU_CYCLE_1)
	s_and_b32 s15, s17, exec_lo
.LBB392_1400:
	s_or_saveexec_b32 s16, s16
	v_dual_mov_b32 v7, s1 :: v_dual_mov_b32 v6, s0
	s_xor_b32 exec_lo, exec_lo, s16
; %bb.1401:
	v_cmp_ne_u16_e32 vcc_lo, 0, v9
	v_mov_b32_e32 v6, 0
	v_mov_b32_e32 v7, 0
	s_and_not1_b32 s0, s15, exec_lo
	s_and_b32 s1, vcc_lo, exec_lo
	s_delay_alu instid0(SALU_CYCLE_1)
	s_or_b32 s15, s0, s1
; %bb.1402:
	s_or_b32 exec_lo, exec_lo, s16
	s_and_saveexec_b32 s0, s15
	s_cbranch_execz .LBB392_1404
; %bb.1403:
	v_and_b32_e32 v6, 0xffff, v9
	v_lshlrev_b32_e32 v9, 24, v9
	s_delay_alu instid0(VALU_DEP_2) | instskip(NEXT) | instid1(VALU_DEP_2)
	v_and_b32_e32 v7, 3, v6
	v_and_b32_e32 v9, 0x80000000, v9
	s_delay_alu instid0(VALU_DEP_2) | instskip(NEXT) | instid1(VALU_DEP_1)
	v_clz_i32_u32_e32 v11, v7
	v_min_u32_e32 v11, 32, v11
	s_delay_alu instid0(VALU_DEP_1) | instskip(SKIP_1) | instid1(VALU_DEP_2)
	v_subrev_nc_u32_e32 v13, 29, v11
	v_sub_nc_u32_e32 v11, 30, v11
	v_lshlrev_b32_e32 v13, v13, v6
	v_bfe_u32 v6, v6, 2, 5
	s_delay_alu instid0(VALU_DEP_2) | instskip(NEXT) | instid1(VALU_DEP_2)
	v_and_b32_e32 v13, 3, v13
	v_cmp_eq_u32_e32 vcc_lo, 0, v6
	s_delay_alu instid0(VALU_DEP_2) | instskip(NEXT) | instid1(VALU_DEP_1)
	v_dual_cndmask_b32 v6, v6, v11 :: v_dual_cndmask_b32 v7, v7, v13
	v_lshl_add_u32 v6, v6, 23, 0x37800000
	s_delay_alu instid0(VALU_DEP_2) | instskip(NEXT) | instid1(VALU_DEP_1)
	v_lshlrev_b32_e32 v7, 21, v7
	v_or3_b32 v6, v9, v6, v7
	s_delay_alu instid0(VALU_DEP_1)
	v_cvt_f64_f32_e32 v[6:7], v6
.LBB392_1404:
	s_or_b32 exec_lo, exec_lo, s0
	s_mov_b32 s0, 0
	s_branch .LBB392_1408
.LBB392_1405:
	s_mov_b32 s1, -1
                                        ; implicit-def: $vgpr6_vgpr7
	s_branch .LBB392_1414
.LBB392_1406:
	s_mov_b32 s0, -1
                                        ; implicit-def: $vgpr6_vgpr7
	s_branch .LBB392_1411
.LBB392_1407:
	s_mov_b32 s0, -1
                                        ; implicit-def: $vgpr6_vgpr7
.LBB392_1408:
	s_delay_alu instid0(SALU_CYCLE_1)
	s_and_b32 vcc_lo, exec_lo, s0
	s_cbranch_vccz .LBB392_1410
; %bb.1409:
	global_load_u8 v6, v[2:3], off
	s_waitcnt vmcnt(0)
	v_lshlrev_b32_e32 v6, 24, v6
	s_delay_alu instid0(VALU_DEP_1) | instskip(NEXT) | instid1(VALU_DEP_1)
	v_and_b32_e32 v7, 0x7f000000, v6
	v_clz_i32_u32_e32 v9, v7
	v_add_nc_u32_e32 v13, 0x1000000, v7
	v_cmp_ne_u32_e32 vcc_lo, 0, v7
	s_delay_alu instid0(VALU_DEP_3) | instskip(NEXT) | instid1(VALU_DEP_1)
	v_min_u32_e32 v9, 32, v9
	v_sub_nc_u32_e64 v9, v9, 4 clamp
	s_delay_alu instid0(VALU_DEP_1) | instskip(SKIP_1) | instid1(VALU_DEP_2)
	v_lshlrev_b32_e32 v11, v9, v7
	v_lshlrev_b32_e32 v9, 23, v9
	v_lshrrev_b32_e32 v11, 4, v11
	s_delay_alu instid0(VALU_DEP_1) | instskip(SKIP_1) | instid1(VALU_DEP_2)
	v_sub_nc_u32_e32 v9, v11, v9
	v_ashrrev_i32_e32 v11, 8, v13
	v_add_nc_u32_e32 v9, 0x3c000000, v9
	s_delay_alu instid0(VALU_DEP_1) | instskip(NEXT) | instid1(VALU_DEP_1)
	v_and_or_b32 v9, 0x7f800000, v11, v9
	v_cndmask_b32_e32 v7, 0, v9, vcc_lo
	s_delay_alu instid0(VALU_DEP_1) | instskip(NEXT) | instid1(VALU_DEP_1)
	v_and_or_b32 v6, 0x80000000, v6, v7
	v_cvt_f64_f32_e32 v[6:7], v6
.LBB392_1410:
	s_mov_b32 s0, 0
.LBB392_1411:
	s_delay_alu instid0(SALU_CYCLE_1)
	s_and_not1_b32 vcc_lo, exec_lo, s0
	s_cbranch_vccnz .LBB392_1413
; %bb.1412:
	global_load_u8 v6, v[2:3], off
	s_waitcnt vmcnt(0)
	v_lshlrev_b32_e32 v7, 25, v6
	v_lshlrev_b16 v6, 8, v6
	s_delay_alu instid0(VALU_DEP_2) | instskip(NEXT) | instid1(VALU_DEP_2)
	v_lshrrev_b32_e32 v9, 4, v7
	v_and_or_b32 v11, 0x7f00, v6, 0.5
	v_cmp_gt_u32_e32 vcc_lo, 0x8000000, v7
	v_bfe_i32 v6, v6, 0, 16
	s_delay_alu instid0(VALU_DEP_4) | instskip(NEXT) | instid1(VALU_DEP_4)
	v_or_b32_e32 v9, 0x70000000, v9
	v_add_f32_e32 v11, -0.5, v11
	s_delay_alu instid0(VALU_DEP_2) | instskip(NEXT) | instid1(VALU_DEP_1)
	v_mul_f32_e32 v9, 0x7800000, v9
	v_cndmask_b32_e32 v7, v9, v11, vcc_lo
	s_delay_alu instid0(VALU_DEP_1) | instskip(NEXT) | instid1(VALU_DEP_1)
	v_and_or_b32 v6, 0x80000000, v6, v7
	v_cvt_f64_f32_e32 v[6:7], v6
.LBB392_1413:
	s_mov_b32 s1, 0
	s_mov_b32 s0, -1
.LBB392_1414:
	s_and_not1_b32 vcc_lo, exec_lo, s1
	s_mov_b32 s15, 0
	s_cbranch_vccnz .LBB392_1423
; %bb.1415:
	v_cmp_lt_i16_e32 vcc_lo, 14, v10
	s_cbranch_vccz .LBB392_1418
; %bb.1416:
	v_cmp_eq_u16_e32 vcc_lo, 15, v10
	s_cbranch_vccz .LBB392_1419
; %bb.1417:
	global_load_u16 v6, v[2:3], off
	s_mov_b32 s14, 0
	s_mov_b32 s0, -1
	s_waitcnt vmcnt(0)
	v_lshlrev_b32_e32 v6, 16, v6
	s_delay_alu instid0(VALU_DEP_1)
	v_cvt_f64_f32_e32 v[6:7], v6
	s_branch .LBB392_1420
.LBB392_1418:
	s_mov_b32 s1, -1
                                        ; implicit-def: $vgpr6_vgpr7
	s_branch .LBB392_1421
.LBB392_1419:
	s_mov_b32 s14, -1
                                        ; implicit-def: $vgpr6_vgpr7
.LBB392_1420:
	s_mov_b32 s1, 0
.LBB392_1421:
	s_delay_alu instid0(SALU_CYCLE_1)
	s_and_b32 vcc_lo, exec_lo, s1
	s_cbranch_vccz .LBB392_1423
; %bb.1422:
	v_cmp_ne_u16_e64 s14, 11, v10
	s_mov_b32 s15, -1
                                        ; implicit-def: $vgpr6_vgpr7
.LBB392_1423:
	s_delay_alu instid0(VALU_DEP_1)
	s_and_b32 vcc_lo, exec_lo, s14
	s_cbranch_vccnz .LBB392_1439
; %bb.1424:
	s_and_not1_b32 vcc_lo, exec_lo, s15
	s_cbranch_vccnz .LBB392_1426
.LBB392_1425:
	global_load_u8 v6, v[2:3], off
	s_mov_b32 s0, -1
	s_waitcnt vmcnt(0)
	v_cmp_ne_u16_e32 vcc_lo, 0, v6
	v_mov_b32_e32 v6, 0
	v_cndmask_b32_e64 v7, 0, 0x3ff00000, vcc_lo
.LBB392_1426:
.LBB392_1427:
	s_and_not1_b32 vcc_lo, exec_lo, s0
	s_cbranch_vccnz .LBB392_1995
.LBB392_1428:
	v_add_nc_u32_e32 v2, s9, v8
	v_cmp_gt_i16_e32 vcc_lo, 11, v10
	s_delay_alu instid0(VALU_DEP_2) | instskip(SKIP_1) | instid1(VALU_DEP_1)
	v_ashrrev_i32_e32 v3, 31, v2
	v_add_co_u32 v2, s0, s6, v2
	v_add_co_ci_u32_e64 v3, s0, s7, v3, s0
	s_cbranch_vccnz .LBB392_1435
; %bb.1429:
	v_cmp_lt_i16_e32 vcc_lo, 25, v10
	s_mov_b32 s7, 0
	s_cbranch_vccz .LBB392_1436
; %bb.1430:
	v_cmp_lt_i16_e32 vcc_lo, 28, v10
	s_cbranch_vccz .LBB392_1437
; %bb.1431:
	v_cmp_lt_i16_e32 vcc_lo, 43, v10
	;; [unrolled: 3-line block ×3, first 2 shown]
	s_cbranch_vccz .LBB392_1441
; %bb.1433:
	v_cmp_eq_u16_e32 vcc_lo, 46, v10
	s_mov_b32 s1, 0
	s_cbranch_vccz .LBB392_1444
; %bb.1434:
	global_load_b32 v8, v[2:3], off
	s_mov_b32 s6, 0
	s_mov_b32 s0, -1
	s_waitcnt vmcnt(0)
	v_lshlrev_b32_e32 v8, 16, v8
	s_delay_alu instid0(VALU_DEP_1)
	v_cvt_f64_f32_e32 v[8:9], v8
	s_branch .LBB392_1446
.LBB392_1435:
	s_mov_b32 s1, -1
	s_mov_b32 s0, 0
                                        ; implicit-def: $vgpr8_vgpr9
	s_branch .LBB392_1512
.LBB392_1436:
	s_mov_b32 s1, -1
	s_mov_b32 s0, 0
	s_mov_b32 s6, 0
                                        ; implicit-def: $vgpr8_vgpr9
	s_branch .LBB392_1477
.LBB392_1437:
	s_mov_b32 s1, -1
	s_mov_b32 s0, 0
	s_mov_b32 s6, 0
                                        ; implicit-def: $vgpr8_vgpr9
	s_branch .LBB392_1456
.LBB392_1438:
	s_mov_b32 s1, -1
	s_mov_b32 s0, 0
	s_mov_b32 s6, 0
                                        ; implicit-def: $vgpr8_vgpr9
	s_branch .LBB392_1451
.LBB392_1439:
	s_cbranch_execnz .LBB392_1442
; %bb.1440:
	s_or_b32 s3, s3, exec_lo
                                        ; implicit-def: $vgpr6_vgpr7
	s_cbranch_execz .LBB392_1425
	s_branch .LBB392_1426
.LBB392_1441:
	s_mov_b32 s1, -1
	s_mov_b32 s0, 0
	s_mov_b32 s6, 0
	s_branch .LBB392_1445
.LBB392_1442:
	s_trap 2
	s_sendmsg_rtn_b32 s0, sendmsg(MSG_RTN_GET_DOORBELL)
	s_mov_b32 ttmp2, m0
	s_waitcnt lgkmcnt(0)
	s_and_b32 s0, s0, 0x3ff
	s_delay_alu instid0(SALU_CYCLE_1) | instskip(NEXT) | instid1(SALU_CYCLE_1)
	s_bitset1_b32 s0, 10
	s_mov_b32 m0, s0
	s_sendmsg sendmsg(MSG_INTERRUPT)
	s_mov_b32 m0, ttmp2
.LBB392_1443:                           ; =>This Inner Loop Header: Depth=1
	s_sethalt 5
	s_branch .LBB392_1443
.LBB392_1444:
	s_mov_b32 s6, -1
	s_mov_b32 s0, 0
.LBB392_1445:
                                        ; implicit-def: $vgpr8_vgpr9
.LBB392_1446:
	s_and_b32 vcc_lo, exec_lo, s1
	s_cbranch_vccz .LBB392_1450
; %bb.1447:
	v_cmp_eq_u16_e32 vcc_lo, 44, v10
	s_cbranch_vccz .LBB392_1449
; %bb.1448:
	global_load_u8 v11, v[2:3], off
	s_mov_b32 s6, 0
	s_mov_b32 s0, -1
	s_waitcnt vmcnt(0)
	v_cmp_ne_u32_e32 vcc_lo, 0xff, v11
	v_lshlrev_b32_e32 v8, 23, v11
	s_delay_alu instid0(VALU_DEP_1) | instskip(NEXT) | instid1(VALU_DEP_1)
	v_cvt_f64_f32_e32 v[8:9], v8
	v_cndmask_b32_e32 v9, 0x7ff80000, v9, vcc_lo
	s_delay_alu instid0(VALU_DEP_2) | instskip(SKIP_1) | instid1(VALU_DEP_3)
	v_cndmask_b32_e32 v8, 0x20000000, v8, vcc_lo
	v_cmp_ne_u32_e32 vcc_lo, 0, v11
	v_cndmask_b32_e32 v9, 0x38000000, v9, vcc_lo
	s_delay_alu instid0(VALU_DEP_3)
	v_cndmask_b32_e32 v8, 0, v8, vcc_lo
	s_branch .LBB392_1450
.LBB392_1449:
	s_mov_b32 s6, -1
                                        ; implicit-def: $vgpr8_vgpr9
.LBB392_1450:
	s_mov_b32 s1, 0
.LBB392_1451:
	s_delay_alu instid0(SALU_CYCLE_1)
	s_and_b32 vcc_lo, exec_lo, s1
	s_cbranch_vccz .LBB392_1455
; %bb.1452:
	v_cmp_eq_u16_e32 vcc_lo, 29, v10
	s_cbranch_vccz .LBB392_1454
; %bb.1453:
	global_load_b64 v[8:9], v[2:3], off
	s_mov_b32 s6, 0
	s_mov_b32 s0, -1
	s_mov_b32 s1, 0
	s_waitcnt vmcnt(0)
	v_cvt_f64_u32_e32 v[13:14], v9
	v_cvt_f64_u32_e32 v[8:9], v8
	s_delay_alu instid0(VALU_DEP_2) | instskip(NEXT) | instid1(VALU_DEP_1)
	v_ldexp_f64 v[13:14], v[13:14], 32
	v_add_f64 v[8:9], v[13:14], v[8:9]
	s_branch .LBB392_1456
.LBB392_1454:
	s_mov_b32 s6, -1
                                        ; implicit-def: $vgpr8_vgpr9
.LBB392_1455:
	s_mov_b32 s1, 0
.LBB392_1456:
	s_delay_alu instid0(SALU_CYCLE_1)
	s_and_b32 vcc_lo, exec_lo, s1
	s_cbranch_vccz .LBB392_1476
; %bb.1457:
	v_cmp_gt_i16_e32 vcc_lo, 27, v10
	s_cbranch_vccnz .LBB392_1460
; %bb.1458:
	v_cmp_lt_i16_e32 vcc_lo, 27, v10
	s_cbranch_vccz .LBB392_1461
; %bb.1459:
	global_load_b32 v8, v[2:3], off
	s_mov_b32 s0, 0
	s_waitcnt vmcnt(0)
	v_cvt_f64_u32_e32 v[8:9], v8
	s_branch .LBB392_1462
.LBB392_1460:
	s_mov_b32 s0, -1
                                        ; implicit-def: $vgpr8_vgpr9
	s_branch .LBB392_1465
.LBB392_1461:
	s_mov_b32 s0, -1
                                        ; implicit-def: $vgpr8_vgpr9
.LBB392_1462:
	s_delay_alu instid0(SALU_CYCLE_1)
	s_and_not1_b32 vcc_lo, exec_lo, s0
	s_cbranch_vccnz .LBB392_1464
; %bb.1463:
	global_load_u16 v8, v[2:3], off
	s_waitcnt vmcnt(0)
	v_cvt_f64_u32_e32 v[8:9], v8
.LBB392_1464:
	s_mov_b32 s0, 0
.LBB392_1465:
	s_delay_alu instid0(SALU_CYCLE_1)
	s_and_not1_b32 vcc_lo, exec_lo, s0
	s_cbranch_vccnz .LBB392_1475
; %bb.1466:
	global_load_u8 v11, v[2:3], off
	s_mov_b32 s9, 0
	s_mov_b32 s14, exec_lo
                                        ; implicit-def: $sgpr0_sgpr1
	s_waitcnt vmcnt(0)
	v_cmpx_lt_i16_e32 0x7f, v11
	s_xor_b32 s14, exec_lo, s14
	s_cbranch_execz .LBB392_1470
; %bb.1467:
	s_mov_b32 s15, -1
	s_mov_b32 s9, exec_lo
                                        ; implicit-def: $sgpr0_sgpr1
	v_cmpx_eq_u16_e32 0x80, v11
; %bb.1468:
	s_mov_b32 s1, 0x7ff80000
	s_brev_b32 s0, 4
	s_xor_b32 s15, exec_lo, -1
; %bb.1469:
	s_or_b32 exec_lo, exec_lo, s9
	s_delay_alu instid0(SALU_CYCLE_1)
	s_and_b32 s9, s15, exec_lo
.LBB392_1470:
	s_or_saveexec_b32 s14, s14
	v_dual_mov_b32 v9, s1 :: v_dual_mov_b32 v8, s0
	s_xor_b32 exec_lo, exec_lo, s14
; %bb.1471:
	v_cmp_ne_u16_e32 vcc_lo, 0, v11
	v_mov_b32_e32 v8, 0
	v_mov_b32_e32 v9, 0
	s_and_not1_b32 s0, s9, exec_lo
	s_and_b32 s1, vcc_lo, exec_lo
	s_delay_alu instid0(SALU_CYCLE_1)
	s_or_b32 s9, s0, s1
; %bb.1472:
	s_or_b32 exec_lo, exec_lo, s14
	s_and_saveexec_b32 s0, s9
	s_cbranch_execz .LBB392_1474
; %bb.1473:
	v_and_b32_e32 v8, 0xffff, v11
	v_lshlrev_b32_e32 v11, 24, v11
	s_delay_alu instid0(VALU_DEP_2) | instskip(NEXT) | instid1(VALU_DEP_2)
	v_and_b32_e32 v9, 7, v8
	v_and_b32_e32 v11, 0x80000000, v11
	s_delay_alu instid0(VALU_DEP_2) | instskip(NEXT) | instid1(VALU_DEP_1)
	v_clz_i32_u32_e32 v13, v9
	v_min_u32_e32 v13, 32, v13
	s_delay_alu instid0(VALU_DEP_1) | instskip(SKIP_1) | instid1(VALU_DEP_2)
	v_subrev_nc_u32_e32 v14, 28, v13
	v_sub_nc_u32_e32 v13, 29, v13
	v_lshlrev_b32_e32 v14, v14, v8
	v_bfe_u32 v8, v8, 3, 4
	s_delay_alu instid0(VALU_DEP_2) | instskip(NEXT) | instid1(VALU_DEP_2)
	v_and_b32_e32 v14, 7, v14
	v_cmp_eq_u32_e32 vcc_lo, 0, v8
	s_delay_alu instid0(VALU_DEP_2) | instskip(NEXT) | instid1(VALU_DEP_1)
	v_dual_cndmask_b32 v8, v8, v13 :: v_dual_cndmask_b32 v9, v9, v14
	v_lshl_add_u32 v8, v8, 23, 0x3b800000
	s_delay_alu instid0(VALU_DEP_2) | instskip(NEXT) | instid1(VALU_DEP_1)
	v_lshlrev_b32_e32 v9, 20, v9
	v_or3_b32 v8, v11, v8, v9
	s_delay_alu instid0(VALU_DEP_1)
	v_cvt_f64_f32_e32 v[8:9], v8
.LBB392_1474:
	s_or_b32 exec_lo, exec_lo, s0
.LBB392_1475:
	s_mov_b32 s0, -1
.LBB392_1476:
	s_mov_b32 s1, 0
.LBB392_1477:
	s_delay_alu instid0(SALU_CYCLE_1)
	s_and_b32 vcc_lo, exec_lo, s1
	s_cbranch_vccz .LBB392_1508
; %bb.1478:
	v_cmp_lt_i16_e32 vcc_lo, 22, v10
	s_cbranch_vccz .LBB392_1490
; %bb.1479:
	v_cmp_gt_i16_e32 vcc_lo, 24, v10
	s_cbranch_vccnz .LBB392_1491
; %bb.1480:
	v_cmp_lt_i16_e32 vcc_lo, 24, v10
	s_cbranch_vccz .LBB392_1492
; %bb.1481:
	global_load_u8 v11, v[2:3], off
	s_mov_b32 s9, exec_lo
                                        ; implicit-def: $sgpr0_sgpr1
	s_waitcnt vmcnt(0)
	v_cmpx_lt_i16_e32 0x7f, v11
	s_xor_b32 s9, exec_lo, s9
	s_cbranch_execz .LBB392_1485
; %bb.1482:
	s_mov_b32 s14, -1
	s_mov_b32 s7, exec_lo
                                        ; implicit-def: $sgpr0_sgpr1
	v_cmpx_eq_u16_e32 0x80, v11
; %bb.1483:
	s_mov_b32 s1, 0x7ff80000
	s_brev_b32 s0, 4
	s_xor_b32 s14, exec_lo, -1
; %bb.1484:
	s_or_b32 exec_lo, exec_lo, s7
	s_delay_alu instid0(SALU_CYCLE_1)
	s_and_b32 s7, s14, exec_lo
.LBB392_1485:
	s_or_saveexec_b32 s9, s9
	v_dual_mov_b32 v9, s1 :: v_dual_mov_b32 v8, s0
	s_xor_b32 exec_lo, exec_lo, s9
; %bb.1486:
	v_cmp_ne_u16_e32 vcc_lo, 0, v11
	v_mov_b32_e32 v8, 0
	v_mov_b32_e32 v9, 0
	s_and_not1_b32 s0, s7, exec_lo
	s_and_b32 s1, vcc_lo, exec_lo
	s_delay_alu instid0(SALU_CYCLE_1)
	s_or_b32 s7, s0, s1
; %bb.1487:
	s_or_b32 exec_lo, exec_lo, s9
	s_and_saveexec_b32 s0, s7
	s_cbranch_execz .LBB392_1489
; %bb.1488:
	v_and_b32_e32 v8, 0xffff, v11
	v_lshlrev_b32_e32 v11, 24, v11
	s_delay_alu instid0(VALU_DEP_2) | instskip(NEXT) | instid1(VALU_DEP_2)
	v_and_b32_e32 v9, 3, v8
	v_and_b32_e32 v11, 0x80000000, v11
	s_delay_alu instid0(VALU_DEP_2) | instskip(NEXT) | instid1(VALU_DEP_1)
	v_clz_i32_u32_e32 v13, v9
	v_min_u32_e32 v13, 32, v13
	s_delay_alu instid0(VALU_DEP_1) | instskip(SKIP_1) | instid1(VALU_DEP_2)
	v_subrev_nc_u32_e32 v14, 29, v13
	v_sub_nc_u32_e32 v13, 30, v13
	v_lshlrev_b32_e32 v14, v14, v8
	v_bfe_u32 v8, v8, 2, 5
	s_delay_alu instid0(VALU_DEP_2) | instskip(NEXT) | instid1(VALU_DEP_2)
	v_and_b32_e32 v14, 3, v14
	v_cmp_eq_u32_e32 vcc_lo, 0, v8
	s_delay_alu instid0(VALU_DEP_2) | instskip(NEXT) | instid1(VALU_DEP_1)
	v_dual_cndmask_b32 v8, v8, v13 :: v_dual_cndmask_b32 v9, v9, v14
	v_lshl_add_u32 v8, v8, 23, 0x37800000
	s_delay_alu instid0(VALU_DEP_2) | instskip(NEXT) | instid1(VALU_DEP_1)
	v_lshlrev_b32_e32 v9, 21, v9
	v_or3_b32 v8, v11, v8, v9
	s_delay_alu instid0(VALU_DEP_1)
	v_cvt_f64_f32_e32 v[8:9], v8
.LBB392_1489:
	s_or_b32 exec_lo, exec_lo, s0
	s_mov_b32 s0, 0
	s_branch .LBB392_1493
.LBB392_1490:
	s_mov_b32 s1, -1
                                        ; implicit-def: $vgpr8_vgpr9
	s_branch .LBB392_1499
.LBB392_1491:
	s_mov_b32 s0, -1
                                        ; implicit-def: $vgpr8_vgpr9
	s_branch .LBB392_1496
.LBB392_1492:
	s_mov_b32 s0, -1
                                        ; implicit-def: $vgpr8_vgpr9
.LBB392_1493:
	s_delay_alu instid0(SALU_CYCLE_1)
	s_and_b32 vcc_lo, exec_lo, s0
	s_cbranch_vccz .LBB392_1495
; %bb.1494:
	global_load_u8 v8, v[2:3], off
	s_waitcnt vmcnt(0)
	v_lshlrev_b32_e32 v8, 24, v8
	s_delay_alu instid0(VALU_DEP_1) | instskip(NEXT) | instid1(VALU_DEP_1)
	v_and_b32_e32 v9, 0x7f000000, v8
	v_clz_i32_u32_e32 v11, v9
	v_add_nc_u32_e32 v14, 0x1000000, v9
	v_cmp_ne_u32_e32 vcc_lo, 0, v9
	s_delay_alu instid0(VALU_DEP_3) | instskip(NEXT) | instid1(VALU_DEP_1)
	v_min_u32_e32 v11, 32, v11
	v_sub_nc_u32_e64 v11, v11, 4 clamp
	s_delay_alu instid0(VALU_DEP_1) | instskip(SKIP_1) | instid1(VALU_DEP_2)
	v_lshlrev_b32_e32 v13, v11, v9
	v_lshlrev_b32_e32 v11, 23, v11
	v_lshrrev_b32_e32 v13, 4, v13
	s_delay_alu instid0(VALU_DEP_1) | instskip(SKIP_1) | instid1(VALU_DEP_2)
	v_sub_nc_u32_e32 v11, v13, v11
	v_ashrrev_i32_e32 v13, 8, v14
	v_add_nc_u32_e32 v11, 0x3c000000, v11
	s_delay_alu instid0(VALU_DEP_1) | instskip(NEXT) | instid1(VALU_DEP_1)
	v_and_or_b32 v11, 0x7f800000, v13, v11
	v_cndmask_b32_e32 v9, 0, v11, vcc_lo
	s_delay_alu instid0(VALU_DEP_1) | instskip(NEXT) | instid1(VALU_DEP_1)
	v_and_or_b32 v8, 0x80000000, v8, v9
	v_cvt_f64_f32_e32 v[8:9], v8
.LBB392_1495:
	s_mov_b32 s0, 0
.LBB392_1496:
	s_delay_alu instid0(SALU_CYCLE_1)
	s_and_not1_b32 vcc_lo, exec_lo, s0
	s_cbranch_vccnz .LBB392_1498
; %bb.1497:
	global_load_u8 v8, v[2:3], off
	s_waitcnt vmcnt(0)
	v_lshlrev_b32_e32 v9, 25, v8
	v_lshlrev_b16 v8, 8, v8
	s_delay_alu instid0(VALU_DEP_2) | instskip(NEXT) | instid1(VALU_DEP_2)
	v_lshrrev_b32_e32 v11, 4, v9
	v_and_or_b32 v13, 0x7f00, v8, 0.5
	v_cmp_gt_u32_e32 vcc_lo, 0x8000000, v9
	v_bfe_i32 v8, v8, 0, 16
	s_delay_alu instid0(VALU_DEP_4) | instskip(NEXT) | instid1(VALU_DEP_4)
	v_or_b32_e32 v11, 0x70000000, v11
	v_add_f32_e32 v13, -0.5, v13
	s_delay_alu instid0(VALU_DEP_2) | instskip(NEXT) | instid1(VALU_DEP_1)
	v_mul_f32_e32 v11, 0x7800000, v11
	v_cndmask_b32_e32 v9, v11, v13, vcc_lo
	s_delay_alu instid0(VALU_DEP_1) | instskip(NEXT) | instid1(VALU_DEP_1)
	v_and_or_b32 v8, 0x80000000, v8, v9
	v_cvt_f64_f32_e32 v[8:9], v8
.LBB392_1498:
	s_mov_b32 s1, 0
	s_mov_b32 s0, -1
.LBB392_1499:
	s_and_not1_b32 vcc_lo, exec_lo, s1
	s_mov_b32 s7, 0
	s_cbranch_vccnz .LBB392_1508
; %bb.1500:
	v_cmp_lt_i16_e32 vcc_lo, 14, v10
	s_cbranch_vccz .LBB392_1503
; %bb.1501:
	v_cmp_eq_u16_e32 vcc_lo, 15, v10
	s_cbranch_vccz .LBB392_1504
; %bb.1502:
	global_load_u16 v8, v[2:3], off
	s_mov_b32 s6, 0
	s_mov_b32 s0, -1
	s_waitcnt vmcnt(0)
	v_lshlrev_b32_e32 v8, 16, v8
	s_delay_alu instid0(VALU_DEP_1)
	v_cvt_f64_f32_e32 v[8:9], v8
	s_branch .LBB392_1505
.LBB392_1503:
	s_mov_b32 s1, -1
                                        ; implicit-def: $vgpr8_vgpr9
	s_branch .LBB392_1506
.LBB392_1504:
	s_mov_b32 s6, -1
                                        ; implicit-def: $vgpr8_vgpr9
.LBB392_1505:
	s_mov_b32 s1, 0
.LBB392_1506:
	s_delay_alu instid0(SALU_CYCLE_1)
	s_and_b32 vcc_lo, exec_lo, s1
	s_cbranch_vccz .LBB392_1508
; %bb.1507:
	v_cmp_ne_u16_e64 s6, 11, v10
	s_mov_b32 s7, -1
                                        ; implicit-def: $vgpr8_vgpr9
.LBB392_1508:
	s_delay_alu instid0(VALU_DEP_1)
	s_and_b32 vcc_lo, exec_lo, s6
	s_cbranch_vccnz .LBB392_2041
; %bb.1509:
	s_and_not1_b32 vcc_lo, exec_lo, s7
	s_cbranch_vccnz .LBB392_1511
.LBB392_1510:
	global_load_u8 v8, v[2:3], off
	s_mov_b32 s0, -1
	s_waitcnt vmcnt(0)
	v_cmp_ne_u16_e32 vcc_lo, 0, v8
	v_mov_b32_e32 v8, 0
	v_cndmask_b32_e64 v9, 0, 0x3ff00000, vcc_lo
.LBB392_1511:
	s_mov_b32 s1, 0
.LBB392_1512:
	s_delay_alu instid0(SALU_CYCLE_1)
	s_and_b32 vcc_lo, exec_lo, s1
	s_cbranch_vccz .LBB392_1561
; %bb.1513:
	v_cmp_gt_i16_e32 vcc_lo, 5, v10
	s_cbranch_vccnz .LBB392_1518
; %bb.1514:
	v_cmp_gt_i16_e32 vcc_lo, 8, v10
	s_cbranch_vccnz .LBB392_1519
	;; [unrolled: 3-line block ×3, first 2 shown]
; %bb.1516:
	v_cmp_lt_i16_e32 vcc_lo, 9, v10
	s_cbranch_vccz .LBB392_1521
; %bb.1517:
	global_load_b64 v[8:9], v[2:3], off
	s_mov_b32 s0, 0
	s_branch .LBB392_1522
.LBB392_1518:
	s_mov_b32 s0, -1
                                        ; implicit-def: $vgpr8_vgpr9
	s_branch .LBB392_1540
.LBB392_1519:
	s_mov_b32 s0, -1
                                        ; implicit-def: $vgpr8_vgpr9
	s_branch .LBB392_1528
.LBB392_1520:
	s_mov_b32 s0, -1
                                        ; implicit-def: $vgpr8_vgpr9
	s_branch .LBB392_1525
.LBB392_1521:
	s_mov_b32 s0, -1
                                        ; implicit-def: $vgpr8_vgpr9
.LBB392_1522:
	s_delay_alu instid0(SALU_CYCLE_1)
	s_and_not1_b32 vcc_lo, exec_lo, s0
	s_cbranch_vccnz .LBB392_1524
; %bb.1523:
	global_load_b32 v8, v[2:3], off
	s_waitcnt vmcnt(0)
	v_cvt_f64_f32_e32 v[8:9], v8
.LBB392_1524:
	s_mov_b32 s0, 0
.LBB392_1525:
	s_delay_alu instid0(SALU_CYCLE_1)
	s_and_not1_b32 vcc_lo, exec_lo, s0
	s_cbranch_vccnz .LBB392_1527
; %bb.1526:
	global_load_b32 v8, v[2:3], off
	s_waitcnt vmcnt(0)
	v_cvt_f32_f16_e32 v8, v8
	s_delay_alu instid0(VALU_DEP_1)
	v_cvt_f64_f32_e32 v[8:9], v8
.LBB392_1527:
	s_mov_b32 s0, 0
.LBB392_1528:
	s_delay_alu instid0(SALU_CYCLE_1)
	s_and_not1_b32 vcc_lo, exec_lo, s0
	s_cbranch_vccnz .LBB392_1539
; %bb.1529:
	v_cmp_gt_i16_e32 vcc_lo, 6, v10
	s_cbranch_vccnz .LBB392_1532
; %bb.1530:
	v_cmp_lt_i16_e32 vcc_lo, 6, v10
	s_cbranch_vccz .LBB392_1533
; %bb.1531:
	global_load_b64 v[8:9], v[2:3], off
	s_mov_b32 s0, 0
	s_branch .LBB392_1534
.LBB392_1532:
	s_mov_b32 s0, -1
                                        ; implicit-def: $vgpr8_vgpr9
	s_branch .LBB392_1537
.LBB392_1533:
	s_mov_b32 s0, -1
                                        ; implicit-def: $vgpr8_vgpr9
.LBB392_1534:
	s_delay_alu instid0(SALU_CYCLE_1)
	s_and_not1_b32 vcc_lo, exec_lo, s0
	s_cbranch_vccnz .LBB392_1536
; %bb.1535:
	global_load_b32 v8, v[2:3], off
	s_waitcnt vmcnt(0)
	v_cvt_f64_f32_e32 v[8:9], v8
.LBB392_1536:
	s_mov_b32 s0, 0
.LBB392_1537:
	s_delay_alu instid0(SALU_CYCLE_1)
	s_and_not1_b32 vcc_lo, exec_lo, s0
	s_cbranch_vccnz .LBB392_1539
; %bb.1538:
	global_load_u16 v8, v[2:3], off
	s_waitcnt vmcnt(0)
	v_cvt_f32_f16_e32 v8, v8
	s_delay_alu instid0(VALU_DEP_1)
	v_cvt_f64_f32_e32 v[8:9], v8
.LBB392_1539:
	s_mov_b32 s0, 0
.LBB392_1540:
	s_delay_alu instid0(SALU_CYCLE_1)
	s_and_not1_b32 vcc_lo, exec_lo, s0
	s_cbranch_vccnz .LBB392_1560
; %bb.1541:
	v_cmp_gt_i16_e32 vcc_lo, 2, v10
	s_cbranch_vccnz .LBB392_1545
; %bb.1542:
	v_cmp_gt_i16_e32 vcc_lo, 3, v10
	s_cbranch_vccnz .LBB392_1546
; %bb.1543:
	v_cmp_lt_i16_e32 vcc_lo, 3, v10
	s_cbranch_vccz .LBB392_1547
; %bb.1544:
	global_load_b64 v[8:9], v[2:3], off
	s_mov_b32 s0, 0
	s_waitcnt vmcnt(0)
	v_cvt_f64_i32_e32 v[13:14], v9
	v_cvt_f64_u32_e32 v[8:9], v8
	s_delay_alu instid0(VALU_DEP_2) | instskip(NEXT) | instid1(VALU_DEP_1)
	v_ldexp_f64 v[13:14], v[13:14], 32
	v_add_f64 v[8:9], v[13:14], v[8:9]
	s_branch .LBB392_1548
.LBB392_1545:
	s_mov_b32 s0, -1
                                        ; implicit-def: $vgpr8_vgpr9
	s_branch .LBB392_1554
.LBB392_1546:
	s_mov_b32 s0, -1
                                        ; implicit-def: $vgpr8_vgpr9
	s_branch .LBB392_1551
.LBB392_1547:
	s_mov_b32 s0, -1
                                        ; implicit-def: $vgpr8_vgpr9
.LBB392_1548:
	s_delay_alu instid0(SALU_CYCLE_1)
	s_and_not1_b32 vcc_lo, exec_lo, s0
	s_cbranch_vccnz .LBB392_1550
; %bb.1549:
	global_load_b32 v8, v[2:3], off
	s_waitcnt vmcnt(0)
	v_cvt_f64_i32_e32 v[8:9], v8
.LBB392_1550:
	s_mov_b32 s0, 0
.LBB392_1551:
	s_delay_alu instid0(SALU_CYCLE_1)
	s_and_not1_b32 vcc_lo, exec_lo, s0
	s_cbranch_vccnz .LBB392_1553
; %bb.1552:
	global_load_i16 v8, v[2:3], off
	s_waitcnt vmcnt(0)
	v_cvt_f64_i32_e32 v[8:9], v8
.LBB392_1553:
	s_mov_b32 s0, 0
.LBB392_1554:
	s_delay_alu instid0(SALU_CYCLE_1)
	s_and_not1_b32 vcc_lo, exec_lo, s0
	s_cbranch_vccnz .LBB392_1560
; %bb.1555:
	v_cmp_lt_i16_e32 vcc_lo, 0, v10
	s_mov_b32 s0, 0
	s_cbranch_vccz .LBB392_1557
; %bb.1556:
	global_load_i8 v8, v[2:3], off
	s_waitcnt vmcnt(0)
	v_cvt_f64_i32_e32 v[8:9], v8
	s_branch .LBB392_1558
.LBB392_1557:
	s_mov_b32 s0, -1
                                        ; implicit-def: $vgpr8_vgpr9
.LBB392_1558:
	s_delay_alu instid0(SALU_CYCLE_1)
	s_and_not1_b32 vcc_lo, exec_lo, s0
	s_cbranch_vccnz .LBB392_1560
; %bb.1559:
	global_load_u8 v2, v[2:3], off
	s_waitcnt vmcnt(0)
	v_cvt_f64_u32_e32 v[8:9], v2
.LBB392_1560:
	s_mov_b32 s0, -1
.LBB392_1561:
	s_delay_alu instid0(SALU_CYCLE_1)
	s_and_not1_b32 vcc_lo, exec_lo, s0
	s_cbranch_vccnz .LBB392_1995
; %bb.1562:
	v_max_f64 v[10:11], s[10:11], s[10:11]
	s_waitcnt vmcnt(0)
	v_max_f64 v[2:3], v[0:1], v[0:1]
	v_cmp_u_f64_e32 vcc_lo, v[0:1], v[0:1]
	v_mul_lo_u32 v15, s8, v12
	v_and_b32_e64 v14, 0xff, s2
	s_delay_alu instid0(VALU_DEP_1) | instskip(NEXT) | instid1(VALU_DEP_3)
	v_cmp_gt_i16_e64 s0, 11, v14
	v_ashrrev_i32_e32 v13, 31, v15
	v_add_co_u32 v12, s1, s4, v15
	s_delay_alu instid0(VALU_DEP_1) | instskip(SKIP_1) | instid1(VALU_DEP_1)
	v_add_co_ci_u32_e64 v13, s1, s5, v13, s1
	v_max_f64 v[2:3], v[2:3], v[10:11]
	v_dual_cndmask_b32 v1, v3, v1 :: v_dual_cndmask_b32 v0, v2, v0
	s_and_b32 vcc_lo, exec_lo, s0
	s_cbranch_vccnz .LBB392_1640
; %bb.1563:
	v_cmp_lt_i16_e32 vcc_lo, 25, v14
	s_mov_b32 s6, -1
	s_mov_b32 s1, 0
	s_mov_b32 s2, 0
	;; [unrolled: 1-line block ×3, first 2 shown]
	s_cbranch_vccz .LBB392_1596
; %bb.1564:
	v_cmp_lt_i16_e32 vcc_lo, 28, v14
	s_cbranch_vccz .LBB392_1579
; %bb.1565:
	v_cmp_lt_i16_e32 vcc_lo, 43, v14
	;; [unrolled: 3-line block ×3, first 2 shown]
	s_cbranch_vccz .LBB392_1569
; %bb.1567:
	v_cmp_eq_u16_e32 vcc_lo, 46, v14
	s_mov_b32 s0, -1
	s_mov_b32 s6, 0
	s_cbranch_vccz .LBB392_1569
; %bb.1568:
	v_cvt_f32_f64_e32 v2, v[0:1]
	s_mov_b32 s0, 0
	s_mov_b32 s2, -1
	s_delay_alu instid0(VALU_DEP_1) | instskip(SKIP_1) | instid1(VALU_DEP_2)
	v_bfe_u32 v3, v2, 16, 1
	v_cmp_o_f32_e32 vcc_lo, v2, v2
	v_add3_u32 v3, v2, v3, 0x7fff
	s_delay_alu instid0(VALU_DEP_1) | instskip(NEXT) | instid1(VALU_DEP_1)
	v_lshrrev_b32_e32 v3, 16, v3
	v_cndmask_b32_e32 v2, 0x7fc0, v3, vcc_lo
	global_store_b32 v[12:13], v2, off
.LBB392_1569:
	s_and_b32 vcc_lo, exec_lo, s6
	s_cbranch_vccz .LBB392_1574
; %bb.1570:
	v_cmp_eq_u16_e32 vcc_lo, 44, v14
	s_mov_b32 s0, -1
	s_cbranch_vccz .LBB392_1574
; %bb.1571:
	v_cvt_f32_f64_e32 v2, v[0:1]
	v_mov_b32_e32 v3, 0xff
	s_mov_b32 s2, exec_lo
	s_delay_alu instid0(VALU_DEP_2) | instskip(NEXT) | instid1(VALU_DEP_1)
	v_bfe_u32 v16, v2, 23, 8
	v_cmpx_ne_u32_e32 0xff, v16
; %bb.1572:
	v_and_b32_e32 v3, 0x400000, v2
	v_and_or_b32 v16, 0x3fffff, v2, v16
	v_lshrrev_b32_e32 v2, 23, v2
	s_delay_alu instid0(VALU_DEP_3) | instskip(NEXT) | instid1(VALU_DEP_3)
	v_cmp_ne_u32_e32 vcc_lo, 0, v3
	v_cmp_ne_u32_e64 s0, 0, v16
	s_delay_alu instid0(VALU_DEP_1) | instskip(NEXT) | instid1(SALU_CYCLE_1)
	s_and_b32 s0, vcc_lo, s0
	v_cndmask_b32_e64 v3, 0, 1, s0
	s_delay_alu instid0(VALU_DEP_1)
	v_add_nc_u32_e32 v3, v2, v3
; %bb.1573:
	s_or_b32 exec_lo, exec_lo, s2
	s_mov_b32 s0, 0
	s_mov_b32 s2, -1
	global_store_b8 v[12:13], v3, off
.LBB392_1574:
	s_mov_b32 s6, 0
.LBB392_1575:
	s_delay_alu instid0(SALU_CYCLE_1)
	s_and_b32 vcc_lo, exec_lo, s6
	s_cbranch_vccz .LBB392_1578
; %bb.1576:
	v_cmp_eq_u16_e32 vcc_lo, 29, v14
	s_mov_b32 s0, -1
	s_cbranch_vccz .LBB392_1578
; %bb.1577:
	v_trunc_f64_e32 v[2:3], v[0:1]
	s_mov_b32 s0, 0
	s_mov_b32 s2, -1
	s_delay_alu instid0(VALU_DEP_1) | instskip(NEXT) | instid1(VALU_DEP_1)
	v_ldexp_f64 v[16:17], v[2:3], 0xffffffe0
	v_floor_f64_e32 v[16:17], v[16:17]
	s_delay_alu instid0(VALU_DEP_1) | instskip(SKIP_1) | instid1(VALU_DEP_2)
	v_fma_f64 v[2:3], 0xc1f00000, v[16:17], v[2:3]
	v_cvt_u32_f64_e32 v17, v[16:17]
	v_cvt_u32_f64_e32 v16, v[2:3]
	global_store_b64 v[12:13], v[16:17], off
.LBB392_1578:
	s_mov_b32 s6, 0
.LBB392_1579:
	s_delay_alu instid0(SALU_CYCLE_1)
	s_and_b32 vcc_lo, exec_lo, s6
	s_cbranch_vccz .LBB392_1595
; %bb.1580:
	v_cmp_gt_i16_e32 vcc_lo, 27, v14
	s_mov_b32 s2, -1
	s_cbranch_vccnz .LBB392_1586
; %bb.1581:
	v_cvt_u32_f64_e32 v2, v[0:1]
	v_cmp_lt_i16_e32 vcc_lo, 27, v14
	s_cbranch_vccz .LBB392_1583
; %bb.1582:
	s_mov_b32 s2, 0
	global_store_b32 v[12:13], v2, off
.LBB392_1583:
	s_and_not1_b32 vcc_lo, exec_lo, s2
	s_cbranch_vccnz .LBB392_1585
; %bb.1584:
	global_store_b16 v[12:13], v2, off
.LBB392_1585:
	s_mov_b32 s2, 0
.LBB392_1586:
	s_delay_alu instid0(SALU_CYCLE_1)
	s_and_not1_b32 vcc_lo, exec_lo, s2
	s_cbranch_vccnz .LBB392_1594
; %bb.1587:
	v_cvt_f32_f64_e32 v2, v[0:1]
	v_mov_b32_e32 v16, 0x80
	s_mov_b32 s2, exec_lo
	s_delay_alu instid0(VALU_DEP_2) | instskip(NEXT) | instid1(VALU_DEP_1)
	v_and_b32_e32 v3, 0x7fffffff, v2
	v_cmpx_gt_u32_e32 0x43800000, v3
	s_cbranch_execz .LBB392_1593
; %bb.1588:
	v_cmp_lt_u32_e32 vcc_lo, 0x3bffffff, v3
	s_mov_b32 s6, 0
                                        ; implicit-def: $vgpr3
	s_and_saveexec_b32 s7, vcc_lo
	s_delay_alu instid0(SALU_CYCLE_1)
	s_xor_b32 s7, exec_lo, s7
	s_cbranch_execz .LBB392_2043
; %bb.1589:
	v_bfe_u32 v3, v2, 20, 1
	s_mov_b32 s6, exec_lo
	s_delay_alu instid0(VALU_DEP_1) | instskip(NEXT) | instid1(VALU_DEP_1)
	v_add3_u32 v3, v2, v3, 0x487ffff
	v_lshrrev_b32_e32 v3, 20, v3
	s_or_saveexec_b32 s7, s7
                                        ; implicit-def: $sgpr9
	s_delay_alu instid0(SALU_CYCLE_1)
	s_xor_b32 exec_lo, exec_lo, s7
	s_cbranch_execnz .LBB392_2044
.LBB392_1590:
	s_or_b32 exec_lo, exec_lo, s7
	v_mov_b32_e32 v16, s9
	s_and_saveexec_b32 s7, s6
.LBB392_1591:
	v_lshrrev_b32_e32 v2, 24, v2
	s_delay_alu instid0(VALU_DEP_1)
	v_and_or_b32 v16, 0x80, v2, v3
.LBB392_1592:
	s_or_b32 exec_lo, exec_lo, s7
.LBB392_1593:
	s_delay_alu instid0(SALU_CYCLE_1)
	s_or_b32 exec_lo, exec_lo, s2
	global_store_b8 v[12:13], v16, off
.LBB392_1594:
	s_mov_b32 s2, -1
.LBB392_1595:
	s_mov_b32 s6, 0
.LBB392_1596:
	s_delay_alu instid0(SALU_CYCLE_1)
	s_and_b32 vcc_lo, exec_lo, s6
	s_cbranch_vccz .LBB392_1636
; %bb.1597:
	v_cmp_lt_i16_e32 vcc_lo, 22, v14
	s_mov_b32 s1, -1
	s_cbranch_vccz .LBB392_1629
; %bb.1598:
	v_cmp_gt_i16_e32 vcc_lo, 24, v14
	s_cbranch_vccnz .LBB392_1618
; %bb.1599:
	v_cmp_lt_i16_e32 vcc_lo, 24, v14
	s_cbranch_vccz .LBB392_1607
; %bb.1600:
	v_cvt_f32_f64_e32 v2, v[0:1]
	v_mov_b32_e32 v16, 0x80
	s_mov_b32 s1, exec_lo
	s_delay_alu instid0(VALU_DEP_2) | instskip(NEXT) | instid1(VALU_DEP_1)
	v_and_b32_e32 v3, 0x7fffffff, v2
	v_cmpx_gt_u32_e32 0x47800000, v3
	s_cbranch_execz .LBB392_1606
; %bb.1601:
	v_cmp_lt_u32_e32 vcc_lo, 0x37ffffff, v3
	s_mov_b32 s2, 0
                                        ; implicit-def: $vgpr3
	s_and_saveexec_b32 s6, vcc_lo
	s_delay_alu instid0(SALU_CYCLE_1)
	s_xor_b32 s6, exec_lo, s6
	s_cbranch_execz .LBB392_2049
; %bb.1602:
	v_bfe_u32 v3, v2, 21, 1
	s_mov_b32 s2, exec_lo
	s_delay_alu instid0(VALU_DEP_1) | instskip(NEXT) | instid1(VALU_DEP_1)
	v_add3_u32 v3, v2, v3, 0x88fffff
	v_lshrrev_b32_e32 v3, 21, v3
	s_or_saveexec_b32 s6, s6
                                        ; implicit-def: $sgpr7
	s_delay_alu instid0(SALU_CYCLE_1)
	s_xor_b32 exec_lo, exec_lo, s6
	s_cbranch_execnz .LBB392_2050
.LBB392_1603:
	s_or_b32 exec_lo, exec_lo, s6
	v_mov_b32_e32 v16, s7
	s_and_saveexec_b32 s6, s2
.LBB392_1604:
	v_lshrrev_b32_e32 v2, 24, v2
	s_delay_alu instid0(VALU_DEP_1)
	v_and_or_b32 v16, 0x80, v2, v3
.LBB392_1605:
	s_or_b32 exec_lo, exec_lo, s6
.LBB392_1606:
	s_delay_alu instid0(SALU_CYCLE_1)
	s_or_b32 exec_lo, exec_lo, s1
	s_mov_b32 s1, 0
	global_store_b8 v[12:13], v16, off
.LBB392_1607:
	s_and_b32 vcc_lo, exec_lo, s1
	s_cbranch_vccz .LBB392_1617
; %bb.1608:
	v_cvt_f32_f64_e32 v2, v[0:1]
	s_mov_b32 s1, exec_lo
                                        ; implicit-def: $vgpr3
	s_delay_alu instid0(VALU_DEP_1) | instskip(NEXT) | instid1(VALU_DEP_1)
	v_and_b32_e32 v16, 0x7fffffff, v2
	v_cmpx_gt_u32_e32 0x43f00000, v16
	s_xor_b32 s1, exec_lo, s1
	s_cbranch_execz .LBB392_1614
; %bb.1609:
	s_mov_b32 s2, exec_lo
                                        ; implicit-def: $vgpr3
	v_cmpx_lt_u32_e32 0x3c7fffff, v16
	s_xor_b32 s2, exec_lo, s2
; %bb.1610:
	v_bfe_u32 v3, v2, 20, 1
	s_delay_alu instid0(VALU_DEP_1) | instskip(NEXT) | instid1(VALU_DEP_1)
	v_add3_u32 v3, v2, v3, 0x407ffff
	v_and_b32_e32 v16, 0xff00000, v3
	v_lshrrev_b32_e32 v3, 20, v3
	s_delay_alu instid0(VALU_DEP_2) | instskip(NEXT) | instid1(VALU_DEP_2)
	v_cmp_ne_u32_e32 vcc_lo, 0x7f00000, v16
	v_cndmask_b32_e32 v3, 0x7e, v3, vcc_lo
; %bb.1611:
	s_and_not1_saveexec_b32 s2, s2
; %bb.1612:
	v_add_f32_e64 v3, 0x46800000, |v2|
; %bb.1613:
	s_or_b32 exec_lo, exec_lo, s2
                                        ; implicit-def: $vgpr16
.LBB392_1614:
	s_and_not1_saveexec_b32 s1, s1
; %bb.1615:
	v_mov_b32_e32 v3, 0x7f
	v_cmp_lt_u32_e32 vcc_lo, 0x7f800000, v16
	s_delay_alu instid0(VALU_DEP_2)
	v_cndmask_b32_e32 v3, 0x7e, v3, vcc_lo
; %bb.1616:
	s_or_b32 exec_lo, exec_lo, s1
	v_lshrrev_b32_e32 v2, 24, v2
	s_delay_alu instid0(VALU_DEP_1)
	v_and_or_b32 v2, 0x80, v2, v3
	global_store_b8 v[12:13], v2, off
.LBB392_1617:
	s_mov_b32 s1, 0
.LBB392_1618:
	s_delay_alu instid0(SALU_CYCLE_1)
	s_and_not1_b32 vcc_lo, exec_lo, s1
	s_cbranch_vccnz .LBB392_1628
; %bb.1619:
	v_cvt_f32_f64_e32 v2, v[0:1]
	s_mov_b32 s1, exec_lo
                                        ; implicit-def: $vgpr3
	s_delay_alu instid0(VALU_DEP_1) | instskip(NEXT) | instid1(VALU_DEP_1)
	v_and_b32_e32 v16, 0x7fffffff, v2
	v_cmpx_gt_u32_e32 0x47800000, v16
	s_xor_b32 s1, exec_lo, s1
	s_cbranch_execz .LBB392_1625
; %bb.1620:
	s_mov_b32 s2, exec_lo
                                        ; implicit-def: $vgpr3
	v_cmpx_lt_u32_e32 0x387fffff, v16
	s_xor_b32 s2, exec_lo, s2
; %bb.1621:
	v_bfe_u32 v3, v2, 21, 1
	s_delay_alu instid0(VALU_DEP_1) | instskip(NEXT) | instid1(VALU_DEP_1)
	v_add3_u32 v3, v2, v3, 0x80fffff
	v_lshrrev_b32_e32 v3, 21, v3
; %bb.1622:
	s_and_not1_saveexec_b32 s2, s2
; %bb.1623:
	v_add_f32_e64 v3, 0x43000000, |v2|
; %bb.1624:
	s_or_b32 exec_lo, exec_lo, s2
                                        ; implicit-def: $vgpr16
.LBB392_1625:
	s_and_not1_saveexec_b32 s1, s1
; %bb.1626:
	v_mov_b32_e32 v3, 0x7f
	v_cmp_lt_u32_e32 vcc_lo, 0x7f800000, v16
	s_delay_alu instid0(VALU_DEP_2)
	v_cndmask_b32_e32 v3, 0x7c, v3, vcc_lo
; %bb.1627:
	s_or_b32 exec_lo, exec_lo, s1
	v_lshrrev_b32_e32 v2, 24, v2
	s_delay_alu instid0(VALU_DEP_1)
	v_and_or_b32 v2, 0x80, v2, v3
	global_store_b8 v[12:13], v2, off
.LBB392_1628:
	s_mov_b32 s1, 0
	s_mov_b32 s2, -1
.LBB392_1629:
	s_and_not1_b32 vcc_lo, exec_lo, s1
	s_mov_b32 s1, 0
	s_cbranch_vccnz .LBB392_1636
; %bb.1630:
	v_cmp_lt_i16_e32 vcc_lo, 14, v14
	s_mov_b32 s1, -1
	s_cbranch_vccz .LBB392_1634
; %bb.1631:
	v_cmp_eq_u16_e32 vcc_lo, 15, v14
	s_mov_b32 s0, -1
	s_cbranch_vccz .LBB392_1633
; %bb.1632:
	v_cvt_f32_f64_e32 v2, v[0:1]
	s_mov_b32 s0, 0
	s_mov_b32 s2, -1
	s_delay_alu instid0(VALU_DEP_1) | instskip(SKIP_1) | instid1(VALU_DEP_2)
	v_bfe_u32 v3, v2, 16, 1
	v_cmp_o_f32_e32 vcc_lo, v2, v2
	v_add3_u32 v3, v2, v3, 0x7fff
	s_delay_alu instid0(VALU_DEP_1) | instskip(NEXT) | instid1(VALU_DEP_1)
	v_lshrrev_b32_e32 v3, 16, v3
	v_cndmask_b32_e32 v2, 0x7fc0, v3, vcc_lo
	global_store_b16 v[12:13], v2, off
.LBB392_1633:
	s_mov_b32 s1, 0
.LBB392_1634:
	s_delay_alu instid0(SALU_CYCLE_1)
	s_and_b32 vcc_lo, exec_lo, s1
	s_mov_b32 s1, 0
	s_cbranch_vccz .LBB392_1636
; %bb.1635:
	v_cmp_ne_u16_e64 s0, 11, v14
	s_mov_b32 s1, -1
.LBB392_1636:
	s_delay_alu instid0(VALU_DEP_1)
	s_and_b32 vcc_lo, exec_lo, s0
	s_cbranch_vccnz .LBB392_2047
; %bb.1637:
	s_and_not1_b32 vcc_lo, exec_lo, s1
	s_cbranch_vccnz .LBB392_1639
.LBB392_1638:
	v_cmp_neq_f64_e32 vcc_lo, 0, v[0:1]
	s_mov_b32 s2, -1
	v_cndmask_b32_e64 v2, 0, 1, vcc_lo
	global_store_b8 v[12:13], v2, off
.LBB392_1639:
	s_mov_b32 s0, 0
	s_branch .LBB392_1641
.LBB392_1640:
	s_mov_b32 s0, -1
	s_mov_b32 s2, 0
.LBB392_1641:
	s_and_b32 vcc_lo, exec_lo, s0
	s_cbranch_vccz .LBB392_1680
; %bb.1642:
	v_cmp_gt_i16_e32 vcc_lo, 5, v14
	s_mov_b32 s0, -1
	s_cbranch_vccnz .LBB392_1663
; %bb.1643:
	v_cmp_gt_i16_e32 vcc_lo, 8, v14
	s_cbranch_vccnz .LBB392_1653
; %bb.1644:
	v_cmp_gt_i16_e32 vcc_lo, 9, v14
	s_cbranch_vccnz .LBB392_1650
; %bb.1645:
	v_cmp_lt_i16_e32 vcc_lo, 9, v14
	s_cbranch_vccz .LBB392_1647
; %bb.1646:
	v_mov_b32_e32 v2, 0
	s_mov_b32 s0, 0
	s_delay_alu instid0(VALU_DEP_1)
	v_mov_b32_e32 v3, v2
	global_store_b128 v[12:13], v[0:3], off
.LBB392_1647:
	s_and_not1_b32 vcc_lo, exec_lo, s0
	s_cbranch_vccnz .LBB392_1649
; %bb.1648:
	v_cvt_f32_f64_e32 v2, v[0:1]
	v_mov_b32_e32 v3, 0
	global_store_b64 v[12:13], v[2:3], off
.LBB392_1649:
	s_mov_b32 s0, 0
.LBB392_1650:
	s_delay_alu instid0(SALU_CYCLE_1)
	s_and_not1_b32 vcc_lo, exec_lo, s0
	s_cbranch_vccnz .LBB392_1652
; %bb.1651:
	v_cvt_f32_f64_e32 v2, v[0:1]
	s_delay_alu instid0(VALU_DEP_1) | instskip(NEXT) | instid1(VALU_DEP_1)
	v_cvt_f16_f32_e32 v2, v2
	v_and_b32_e32 v2, 0xffff, v2
	global_store_b32 v[12:13], v2, off
.LBB392_1652:
	s_mov_b32 s0, 0
.LBB392_1653:
	s_delay_alu instid0(SALU_CYCLE_1)
	s_and_not1_b32 vcc_lo, exec_lo, s0
	s_cbranch_vccnz .LBB392_1662
; %bb.1654:
	v_cmp_gt_i16_e32 vcc_lo, 6, v14
	s_mov_b32 s0, -1
	s_cbranch_vccnz .LBB392_1660
; %bb.1655:
	v_cmp_lt_i16_e32 vcc_lo, 6, v14
	s_cbranch_vccz .LBB392_1657
; %bb.1656:
	s_mov_b32 s0, 0
	global_store_b64 v[12:13], v[0:1], off
.LBB392_1657:
	s_and_not1_b32 vcc_lo, exec_lo, s0
	s_cbranch_vccnz .LBB392_1659
; %bb.1658:
	v_cvt_f32_f64_e32 v2, v[0:1]
	global_store_b32 v[12:13], v2, off
.LBB392_1659:
	s_mov_b32 s0, 0
.LBB392_1660:
	s_delay_alu instid0(SALU_CYCLE_1)
	s_and_not1_b32 vcc_lo, exec_lo, s0
	s_cbranch_vccnz .LBB392_1662
; %bb.1661:
	v_cvt_f32_f64_e32 v2, v[0:1]
	s_delay_alu instid0(VALU_DEP_1)
	v_cvt_f16_f32_e32 v2, v2
	global_store_b16 v[12:13], v2, off
.LBB392_1662:
	s_mov_b32 s0, 0
.LBB392_1663:
	s_delay_alu instid0(SALU_CYCLE_1)
	s_and_not1_b32 vcc_lo, exec_lo, s0
	s_cbranch_vccnz .LBB392_1679
; %bb.1664:
	v_cmp_gt_i16_e32 vcc_lo, 2, v14
	s_mov_b32 s0, -1
	s_cbranch_vccnz .LBB392_1674
; %bb.1665:
	v_cmp_gt_i16_e32 vcc_lo, 3, v14
	s_cbranch_vccnz .LBB392_1671
; %bb.1666:
	v_cmp_lt_i16_e32 vcc_lo, 3, v14
	s_cbranch_vccz .LBB392_1668
; %bb.1667:
	v_trunc_f64_e32 v[2:3], v[0:1]
	s_mov_b32 s0, 0
	s_delay_alu instid0(VALU_DEP_1) | instskip(NEXT) | instid1(VALU_DEP_1)
	v_ldexp_f64 v[16:17], v[2:3], 0xffffffe0
	v_floor_f64_e32 v[16:17], v[16:17]
	s_delay_alu instid0(VALU_DEP_1) | instskip(SKIP_1) | instid1(VALU_DEP_2)
	v_fma_f64 v[2:3], 0xc1f00000, v[16:17], v[2:3]
	v_cvt_i32_f64_e32 v17, v[16:17]
	v_cvt_u32_f64_e32 v16, v[2:3]
	global_store_b64 v[12:13], v[16:17], off
.LBB392_1668:
	s_and_not1_b32 vcc_lo, exec_lo, s0
	s_cbranch_vccnz .LBB392_1670
; %bb.1669:
	v_cvt_i32_f64_e32 v2, v[0:1]
	global_store_b32 v[12:13], v2, off
.LBB392_1670:
	s_mov_b32 s0, 0
.LBB392_1671:
	s_delay_alu instid0(SALU_CYCLE_1)
	s_and_not1_b32 vcc_lo, exec_lo, s0
	s_cbranch_vccnz .LBB392_1673
; %bb.1672:
	v_cvt_i32_f64_e32 v2, v[0:1]
	global_store_b16 v[12:13], v2, off
.LBB392_1673:
	s_mov_b32 s0, 0
.LBB392_1674:
	s_delay_alu instid0(SALU_CYCLE_1)
	s_and_not1_b32 vcc_lo, exec_lo, s0
	s_cbranch_vccnz .LBB392_1679
; %bb.1675:
	v_cmp_lt_i16_e32 vcc_lo, 0, v14
	s_mov_b32 s0, -1
	s_cbranch_vccz .LBB392_1677
; %bb.1676:
	v_cvt_i32_f64_e32 v2, v[0:1]
	s_mov_b32 s0, 0
	global_store_b8 v[12:13], v2, off
.LBB392_1677:
	s_and_not1_b32 vcc_lo, exec_lo, s0
	s_cbranch_vccnz .LBB392_1679
; %bb.1678:
	v_trunc_f64_e32 v[0:1], v[0:1]
	s_delay_alu instid0(VALU_DEP_1) | instskip(NEXT) | instid1(VALU_DEP_1)
	v_ldexp_f64 v[2:3], v[0:1], 0xffffffe0
	v_floor_f64_e32 v[2:3], v[2:3]
	s_delay_alu instid0(VALU_DEP_1) | instskip(NEXT) | instid1(VALU_DEP_1)
	v_fma_f64 v[0:1], 0xc1f00000, v[2:3], v[0:1]
	v_cvt_u32_f64_e32 v0, v[0:1]
	global_store_b8 v[12:13], v0, off
.LBB392_1679:
	s_mov_b32 s2, -1
.LBB392_1680:
	s_delay_alu instid0(SALU_CYCLE_1)
	s_and_not1_b32 vcc_lo, exec_lo, s2
	s_cbranch_vccnz .LBB392_1995
; %bb.1681:
	v_max_f64 v[0:1], v[4:5], v[4:5]
	v_cmp_u_f64_e32 vcc_lo, v[4:5], v[4:5]
	s_lshl_b32 s2, s8, 7
	v_cmp_gt_i16_e64 s0, 11, v14
	s_delay_alu instid0(VALU_DEP_3) | instskip(NEXT) | instid1(VALU_DEP_1)
	v_max_f64 v[0:1], v[0:1], v[10:11]
	v_dual_cndmask_b32 v0, v0, v4 :: v_dual_add_nc_u32 v15, s2, v15
	s_delay_alu instid0(VALU_DEP_1) | instskip(SKIP_1) | instid1(VALU_DEP_4)
	v_ashrrev_i32_e32 v2, 31, v15
	v_add_co_u32 v12, s1, s4, v15
	v_cndmask_b32_e32 v1, v1, v5, vcc_lo
	s_and_b32 vcc_lo, exec_lo, s0
	s_delay_alu instid0(VALU_DEP_3)
	v_add_co_ci_u32_e64 v13, s1, s5, v2, s1
	s_cbranch_vccnz .LBB392_1759
; %bb.1682:
	v_cmp_lt_i16_e32 vcc_lo, 25, v14
	s_mov_b32 s7, -1
	s_mov_b32 s1, 0
	s_mov_b32 s6, 0
	;; [unrolled: 1-line block ×3, first 2 shown]
	s_cbranch_vccz .LBB392_1715
; %bb.1683:
	v_cmp_lt_i16_e32 vcc_lo, 28, v14
	s_cbranch_vccz .LBB392_1698
; %bb.1684:
	v_cmp_lt_i16_e32 vcc_lo, 43, v14
	;; [unrolled: 3-line block ×3, first 2 shown]
	s_cbranch_vccz .LBB392_1688
; %bb.1686:
	v_cmp_eq_u16_e32 vcc_lo, 46, v14
	s_mov_b32 s0, -1
	s_mov_b32 s7, 0
	s_cbranch_vccz .LBB392_1688
; %bb.1687:
	v_cvt_f32_f64_e32 v2, v[0:1]
	s_mov_b32 s0, 0
	s_mov_b32 s6, -1
	s_delay_alu instid0(VALU_DEP_1) | instskip(SKIP_1) | instid1(VALU_DEP_2)
	v_bfe_u32 v3, v2, 16, 1
	v_cmp_o_f32_e32 vcc_lo, v2, v2
	v_add3_u32 v3, v2, v3, 0x7fff
	s_delay_alu instid0(VALU_DEP_1) | instskip(NEXT) | instid1(VALU_DEP_1)
	v_lshrrev_b32_e32 v3, 16, v3
	v_cndmask_b32_e32 v2, 0x7fc0, v3, vcc_lo
	global_store_b32 v[12:13], v2, off
.LBB392_1688:
	s_and_b32 vcc_lo, exec_lo, s7
	s_cbranch_vccz .LBB392_1693
; %bb.1689:
	v_cmp_eq_u16_e32 vcc_lo, 44, v14
	s_mov_b32 s0, -1
	s_cbranch_vccz .LBB392_1693
; %bb.1690:
	v_cvt_f32_f64_e32 v2, v[0:1]
	v_mov_b32_e32 v3, 0xff
	s_mov_b32 s6, exec_lo
	s_delay_alu instid0(VALU_DEP_2) | instskip(NEXT) | instid1(VALU_DEP_1)
	v_bfe_u32 v4, v2, 23, 8
	v_cmpx_ne_u32_e32 0xff, v4
; %bb.1691:
	v_and_b32_e32 v3, 0x400000, v2
	v_and_or_b32 v4, 0x3fffff, v2, v4
	v_lshrrev_b32_e32 v2, 23, v2
	s_delay_alu instid0(VALU_DEP_3) | instskip(NEXT) | instid1(VALU_DEP_3)
	v_cmp_ne_u32_e32 vcc_lo, 0, v3
	v_cmp_ne_u32_e64 s0, 0, v4
	s_delay_alu instid0(VALU_DEP_1) | instskip(NEXT) | instid1(SALU_CYCLE_1)
	s_and_b32 s0, vcc_lo, s0
	v_cndmask_b32_e64 v3, 0, 1, s0
	s_delay_alu instid0(VALU_DEP_1)
	v_add_nc_u32_e32 v3, v2, v3
; %bb.1692:
	s_or_b32 exec_lo, exec_lo, s6
	s_mov_b32 s0, 0
	s_mov_b32 s6, -1
	global_store_b8 v[12:13], v3, off
.LBB392_1693:
	s_mov_b32 s7, 0
.LBB392_1694:
	s_delay_alu instid0(SALU_CYCLE_1)
	s_and_b32 vcc_lo, exec_lo, s7
	s_cbranch_vccz .LBB392_1697
; %bb.1695:
	v_cmp_eq_u16_e32 vcc_lo, 29, v14
	s_mov_b32 s0, -1
	s_cbranch_vccz .LBB392_1697
; %bb.1696:
	v_trunc_f64_e32 v[2:3], v[0:1]
	s_mov_b32 s0, 0
	s_mov_b32 s6, -1
	s_delay_alu instid0(VALU_DEP_1) | instskip(NEXT) | instid1(VALU_DEP_1)
	v_ldexp_f64 v[4:5], v[2:3], 0xffffffe0
	v_floor_f64_e32 v[4:5], v[4:5]
	s_delay_alu instid0(VALU_DEP_1) | instskip(SKIP_1) | instid1(VALU_DEP_2)
	v_fma_f64 v[2:3], 0xc1f00000, v[4:5], v[2:3]
	v_cvt_u32_f64_e32 v4, v[4:5]
	v_cvt_u32_f64_e32 v3, v[2:3]
	global_store_b64 v[12:13], v[3:4], off
.LBB392_1697:
	s_mov_b32 s7, 0
.LBB392_1698:
	s_delay_alu instid0(SALU_CYCLE_1)
	s_and_b32 vcc_lo, exec_lo, s7
	s_cbranch_vccz .LBB392_1714
; %bb.1699:
	v_cmp_gt_i16_e32 vcc_lo, 27, v14
	s_mov_b32 s6, -1
	s_cbranch_vccnz .LBB392_1705
; %bb.1700:
	v_cvt_u32_f64_e32 v2, v[0:1]
	v_cmp_lt_i16_e32 vcc_lo, 27, v14
	s_cbranch_vccz .LBB392_1702
; %bb.1701:
	s_mov_b32 s6, 0
	global_store_b32 v[12:13], v2, off
.LBB392_1702:
	s_and_not1_b32 vcc_lo, exec_lo, s6
	s_cbranch_vccnz .LBB392_1704
; %bb.1703:
	global_store_b16 v[12:13], v2, off
.LBB392_1704:
	s_mov_b32 s6, 0
.LBB392_1705:
	s_delay_alu instid0(SALU_CYCLE_1)
	s_and_not1_b32 vcc_lo, exec_lo, s6
	s_cbranch_vccnz .LBB392_1713
; %bb.1706:
	v_cvt_f32_f64_e32 v2, v[0:1]
	v_mov_b32_e32 v4, 0x80
	s_mov_b32 s6, exec_lo
	s_delay_alu instid0(VALU_DEP_2) | instskip(NEXT) | instid1(VALU_DEP_1)
	v_and_b32_e32 v3, 0x7fffffff, v2
	v_cmpx_gt_u32_e32 0x43800000, v3
	s_cbranch_execz .LBB392_1712
; %bb.1707:
	v_cmp_lt_u32_e32 vcc_lo, 0x3bffffff, v3
	s_mov_b32 s7, 0
                                        ; implicit-def: $vgpr3
	s_and_saveexec_b32 s8, vcc_lo
	s_delay_alu instid0(SALU_CYCLE_1)
	s_xor_b32 s8, exec_lo, s8
	s_cbranch_execz .LBB392_2051
; %bb.1708:
	v_bfe_u32 v3, v2, 20, 1
	s_mov_b32 s7, exec_lo
	s_delay_alu instid0(VALU_DEP_1) | instskip(NEXT) | instid1(VALU_DEP_1)
	v_add3_u32 v3, v2, v3, 0x487ffff
	v_lshrrev_b32_e32 v3, 20, v3
	s_or_saveexec_b32 s8, s8
                                        ; implicit-def: $sgpr9
	s_delay_alu instid0(SALU_CYCLE_1)
	s_xor_b32 exec_lo, exec_lo, s8
	s_cbranch_execnz .LBB392_2052
.LBB392_1709:
	s_or_b32 exec_lo, exec_lo, s8
	v_mov_b32_e32 v4, s9
	s_and_saveexec_b32 s8, s7
.LBB392_1710:
	v_lshrrev_b32_e32 v2, 24, v2
	s_delay_alu instid0(VALU_DEP_1)
	v_and_or_b32 v4, 0x80, v2, v3
.LBB392_1711:
	s_or_b32 exec_lo, exec_lo, s8
.LBB392_1712:
	s_delay_alu instid0(SALU_CYCLE_1)
	s_or_b32 exec_lo, exec_lo, s6
	global_store_b8 v[12:13], v4, off
.LBB392_1713:
	s_mov_b32 s6, -1
.LBB392_1714:
	s_mov_b32 s7, 0
.LBB392_1715:
	s_delay_alu instid0(SALU_CYCLE_1)
	s_and_b32 vcc_lo, exec_lo, s7
	s_cbranch_vccz .LBB392_1755
; %bb.1716:
	v_cmp_lt_i16_e32 vcc_lo, 22, v14
	s_mov_b32 s1, -1
	s_cbranch_vccz .LBB392_1748
; %bb.1717:
	v_cmp_gt_i16_e32 vcc_lo, 24, v14
	s_cbranch_vccnz .LBB392_1737
; %bb.1718:
	v_cmp_lt_i16_e32 vcc_lo, 24, v14
	s_cbranch_vccz .LBB392_1726
; %bb.1719:
	v_cvt_f32_f64_e32 v2, v[0:1]
	v_mov_b32_e32 v4, 0x80
	s_mov_b32 s1, exec_lo
	s_delay_alu instid0(VALU_DEP_2) | instskip(NEXT) | instid1(VALU_DEP_1)
	v_and_b32_e32 v3, 0x7fffffff, v2
	v_cmpx_gt_u32_e32 0x47800000, v3
	s_cbranch_execz .LBB392_1725
; %bb.1720:
	v_cmp_lt_u32_e32 vcc_lo, 0x37ffffff, v3
	s_mov_b32 s6, 0
                                        ; implicit-def: $vgpr3
	s_and_saveexec_b32 s7, vcc_lo
	s_delay_alu instid0(SALU_CYCLE_1)
	s_xor_b32 s7, exec_lo, s7
	s_cbranch_execz .LBB392_2057
; %bb.1721:
	v_bfe_u32 v3, v2, 21, 1
	s_mov_b32 s6, exec_lo
	s_delay_alu instid0(VALU_DEP_1) | instskip(NEXT) | instid1(VALU_DEP_1)
	v_add3_u32 v3, v2, v3, 0x88fffff
	v_lshrrev_b32_e32 v3, 21, v3
	s_or_saveexec_b32 s7, s7
                                        ; implicit-def: $sgpr8
	s_delay_alu instid0(SALU_CYCLE_1)
	s_xor_b32 exec_lo, exec_lo, s7
	s_cbranch_execnz .LBB392_2058
.LBB392_1722:
	s_or_b32 exec_lo, exec_lo, s7
	v_mov_b32_e32 v4, s8
	s_and_saveexec_b32 s7, s6
.LBB392_1723:
	v_lshrrev_b32_e32 v2, 24, v2
	s_delay_alu instid0(VALU_DEP_1)
	v_and_or_b32 v4, 0x80, v2, v3
.LBB392_1724:
	s_or_b32 exec_lo, exec_lo, s7
.LBB392_1725:
	s_delay_alu instid0(SALU_CYCLE_1)
	s_or_b32 exec_lo, exec_lo, s1
	s_mov_b32 s1, 0
	global_store_b8 v[12:13], v4, off
.LBB392_1726:
	s_and_b32 vcc_lo, exec_lo, s1
	s_cbranch_vccz .LBB392_1736
; %bb.1727:
	v_cvt_f32_f64_e32 v2, v[0:1]
	s_mov_b32 s1, exec_lo
                                        ; implicit-def: $vgpr3
	s_delay_alu instid0(VALU_DEP_1) | instskip(NEXT) | instid1(VALU_DEP_1)
	v_and_b32_e32 v4, 0x7fffffff, v2
	v_cmpx_gt_u32_e32 0x43f00000, v4
	s_xor_b32 s1, exec_lo, s1
	s_cbranch_execz .LBB392_1733
; %bb.1728:
	s_mov_b32 s6, exec_lo
                                        ; implicit-def: $vgpr3
	v_cmpx_lt_u32_e32 0x3c7fffff, v4
	s_xor_b32 s6, exec_lo, s6
; %bb.1729:
	v_bfe_u32 v3, v2, 20, 1
	s_delay_alu instid0(VALU_DEP_1) | instskip(NEXT) | instid1(VALU_DEP_1)
	v_add3_u32 v3, v2, v3, 0x407ffff
	v_and_b32_e32 v4, 0xff00000, v3
	v_lshrrev_b32_e32 v3, 20, v3
	s_delay_alu instid0(VALU_DEP_2) | instskip(NEXT) | instid1(VALU_DEP_2)
	v_cmp_ne_u32_e32 vcc_lo, 0x7f00000, v4
	v_cndmask_b32_e32 v3, 0x7e, v3, vcc_lo
; %bb.1730:
	s_and_not1_saveexec_b32 s6, s6
; %bb.1731:
	v_add_f32_e64 v3, 0x46800000, |v2|
; %bb.1732:
	s_or_b32 exec_lo, exec_lo, s6
                                        ; implicit-def: $vgpr4
.LBB392_1733:
	s_and_not1_saveexec_b32 s1, s1
; %bb.1734:
	v_mov_b32_e32 v3, 0x7f
	v_cmp_lt_u32_e32 vcc_lo, 0x7f800000, v4
	s_delay_alu instid0(VALU_DEP_2)
	v_cndmask_b32_e32 v3, 0x7e, v3, vcc_lo
; %bb.1735:
	s_or_b32 exec_lo, exec_lo, s1
	v_lshrrev_b32_e32 v2, 24, v2
	s_delay_alu instid0(VALU_DEP_1)
	v_and_or_b32 v2, 0x80, v2, v3
	global_store_b8 v[12:13], v2, off
.LBB392_1736:
	s_mov_b32 s1, 0
.LBB392_1737:
	s_delay_alu instid0(SALU_CYCLE_1)
	s_and_not1_b32 vcc_lo, exec_lo, s1
	s_cbranch_vccnz .LBB392_1747
; %bb.1738:
	v_cvt_f32_f64_e32 v2, v[0:1]
	s_mov_b32 s1, exec_lo
                                        ; implicit-def: $vgpr3
	s_delay_alu instid0(VALU_DEP_1) | instskip(NEXT) | instid1(VALU_DEP_1)
	v_and_b32_e32 v4, 0x7fffffff, v2
	v_cmpx_gt_u32_e32 0x47800000, v4
	s_xor_b32 s1, exec_lo, s1
	s_cbranch_execz .LBB392_1744
; %bb.1739:
	s_mov_b32 s6, exec_lo
                                        ; implicit-def: $vgpr3
	v_cmpx_lt_u32_e32 0x387fffff, v4
	s_xor_b32 s6, exec_lo, s6
; %bb.1740:
	v_bfe_u32 v3, v2, 21, 1
	s_delay_alu instid0(VALU_DEP_1) | instskip(NEXT) | instid1(VALU_DEP_1)
	v_add3_u32 v3, v2, v3, 0x80fffff
	v_lshrrev_b32_e32 v3, 21, v3
; %bb.1741:
	s_and_not1_saveexec_b32 s6, s6
; %bb.1742:
	v_add_f32_e64 v3, 0x43000000, |v2|
; %bb.1743:
	s_or_b32 exec_lo, exec_lo, s6
                                        ; implicit-def: $vgpr4
.LBB392_1744:
	s_and_not1_saveexec_b32 s1, s1
; %bb.1745:
	v_mov_b32_e32 v3, 0x7f
	v_cmp_lt_u32_e32 vcc_lo, 0x7f800000, v4
	s_delay_alu instid0(VALU_DEP_2)
	v_cndmask_b32_e32 v3, 0x7c, v3, vcc_lo
; %bb.1746:
	s_or_b32 exec_lo, exec_lo, s1
	v_lshrrev_b32_e32 v2, 24, v2
	s_delay_alu instid0(VALU_DEP_1)
	v_and_or_b32 v2, 0x80, v2, v3
	global_store_b8 v[12:13], v2, off
.LBB392_1747:
	s_mov_b32 s1, 0
	s_mov_b32 s6, -1
.LBB392_1748:
	s_and_not1_b32 vcc_lo, exec_lo, s1
	s_mov_b32 s1, 0
	s_cbranch_vccnz .LBB392_1755
; %bb.1749:
	v_cmp_lt_i16_e32 vcc_lo, 14, v14
	s_mov_b32 s1, -1
	s_cbranch_vccz .LBB392_1753
; %bb.1750:
	v_cmp_eq_u16_e32 vcc_lo, 15, v14
	s_mov_b32 s0, -1
	s_cbranch_vccz .LBB392_1752
; %bb.1751:
	v_cvt_f32_f64_e32 v2, v[0:1]
	s_mov_b32 s0, 0
	s_mov_b32 s6, -1
	s_delay_alu instid0(VALU_DEP_1) | instskip(SKIP_1) | instid1(VALU_DEP_2)
	v_bfe_u32 v3, v2, 16, 1
	v_cmp_o_f32_e32 vcc_lo, v2, v2
	v_add3_u32 v3, v2, v3, 0x7fff
	s_delay_alu instid0(VALU_DEP_1) | instskip(NEXT) | instid1(VALU_DEP_1)
	v_lshrrev_b32_e32 v3, 16, v3
	v_cndmask_b32_e32 v2, 0x7fc0, v3, vcc_lo
	global_store_b16 v[12:13], v2, off
.LBB392_1752:
	s_mov_b32 s1, 0
.LBB392_1753:
	s_delay_alu instid0(SALU_CYCLE_1)
	s_and_b32 vcc_lo, exec_lo, s1
	s_mov_b32 s1, 0
	s_cbranch_vccz .LBB392_1755
; %bb.1754:
	v_cmp_ne_u16_e64 s0, 11, v14
	s_mov_b32 s1, -1
.LBB392_1755:
	s_delay_alu instid0(VALU_DEP_1)
	s_and_b32 vcc_lo, exec_lo, s0
	s_cbranch_vccnz .LBB392_2055
; %bb.1756:
	s_and_not1_b32 vcc_lo, exec_lo, s1
	s_cbranch_vccnz .LBB392_1758
.LBB392_1757:
	v_cmp_neq_f64_e32 vcc_lo, 0, v[0:1]
	s_mov_b32 s6, -1
	v_cndmask_b32_e64 v2, 0, 1, vcc_lo
	global_store_b8 v[12:13], v2, off
.LBB392_1758:
	s_mov_b32 s0, 0
	s_branch .LBB392_1760
.LBB392_1759:
	s_mov_b32 s0, -1
	s_mov_b32 s6, 0
.LBB392_1760:
	s_and_b32 vcc_lo, exec_lo, s0
	s_cbranch_vccz .LBB392_1799
; %bb.1761:
	v_cmp_gt_i16_e32 vcc_lo, 5, v14
	s_mov_b32 s0, -1
	s_cbranch_vccnz .LBB392_1782
; %bb.1762:
	v_cmp_gt_i16_e32 vcc_lo, 8, v14
	s_cbranch_vccnz .LBB392_1772
; %bb.1763:
	v_cmp_gt_i16_e32 vcc_lo, 9, v14
	s_cbranch_vccnz .LBB392_1769
; %bb.1764:
	v_cmp_lt_i16_e32 vcc_lo, 9, v14
	s_cbranch_vccz .LBB392_1766
; %bb.1765:
	v_mov_b32_e32 v2, 0
	s_mov_b32 s0, 0
	s_delay_alu instid0(VALU_DEP_1)
	v_mov_b32_e32 v3, v2
	global_store_b128 v[12:13], v[0:3], off
.LBB392_1766:
	s_and_not1_b32 vcc_lo, exec_lo, s0
	s_cbranch_vccnz .LBB392_1768
; %bb.1767:
	v_cvt_f32_f64_e32 v2, v[0:1]
	v_mov_b32_e32 v3, 0
	global_store_b64 v[12:13], v[2:3], off
.LBB392_1768:
	s_mov_b32 s0, 0
.LBB392_1769:
	s_delay_alu instid0(SALU_CYCLE_1)
	s_and_not1_b32 vcc_lo, exec_lo, s0
	s_cbranch_vccnz .LBB392_1771
; %bb.1770:
	v_cvt_f32_f64_e32 v2, v[0:1]
	s_delay_alu instid0(VALU_DEP_1) | instskip(NEXT) | instid1(VALU_DEP_1)
	v_cvt_f16_f32_e32 v2, v2
	v_and_b32_e32 v2, 0xffff, v2
	global_store_b32 v[12:13], v2, off
.LBB392_1771:
	s_mov_b32 s0, 0
.LBB392_1772:
	s_delay_alu instid0(SALU_CYCLE_1)
	s_and_not1_b32 vcc_lo, exec_lo, s0
	s_cbranch_vccnz .LBB392_1781
; %bb.1773:
	v_cmp_gt_i16_e32 vcc_lo, 6, v14
	s_mov_b32 s0, -1
	s_cbranch_vccnz .LBB392_1779
; %bb.1774:
	v_cmp_lt_i16_e32 vcc_lo, 6, v14
	s_cbranch_vccz .LBB392_1776
; %bb.1775:
	s_mov_b32 s0, 0
	global_store_b64 v[12:13], v[0:1], off
.LBB392_1776:
	s_and_not1_b32 vcc_lo, exec_lo, s0
	s_cbranch_vccnz .LBB392_1778
; %bb.1777:
	v_cvt_f32_f64_e32 v2, v[0:1]
	global_store_b32 v[12:13], v2, off
.LBB392_1778:
	s_mov_b32 s0, 0
.LBB392_1779:
	s_delay_alu instid0(SALU_CYCLE_1)
	s_and_not1_b32 vcc_lo, exec_lo, s0
	s_cbranch_vccnz .LBB392_1781
; %bb.1780:
	v_cvt_f32_f64_e32 v2, v[0:1]
	s_delay_alu instid0(VALU_DEP_1)
	v_cvt_f16_f32_e32 v2, v2
	global_store_b16 v[12:13], v2, off
.LBB392_1781:
	s_mov_b32 s0, 0
.LBB392_1782:
	s_delay_alu instid0(SALU_CYCLE_1)
	s_and_not1_b32 vcc_lo, exec_lo, s0
	s_cbranch_vccnz .LBB392_1798
; %bb.1783:
	v_cmp_gt_i16_e32 vcc_lo, 2, v14
	s_mov_b32 s0, -1
	s_cbranch_vccnz .LBB392_1793
; %bb.1784:
	v_cmp_gt_i16_e32 vcc_lo, 3, v14
	s_cbranch_vccnz .LBB392_1790
; %bb.1785:
	v_cmp_lt_i16_e32 vcc_lo, 3, v14
	s_cbranch_vccz .LBB392_1787
; %bb.1786:
	v_trunc_f64_e32 v[2:3], v[0:1]
	s_mov_b32 s0, 0
	s_delay_alu instid0(VALU_DEP_1) | instskip(NEXT) | instid1(VALU_DEP_1)
	v_ldexp_f64 v[4:5], v[2:3], 0xffffffe0
	v_floor_f64_e32 v[4:5], v[4:5]
	s_delay_alu instid0(VALU_DEP_1) | instskip(SKIP_1) | instid1(VALU_DEP_2)
	v_fma_f64 v[2:3], 0xc1f00000, v[4:5], v[2:3]
	v_cvt_i32_f64_e32 v4, v[4:5]
	v_cvt_u32_f64_e32 v3, v[2:3]
	global_store_b64 v[12:13], v[3:4], off
.LBB392_1787:
	s_and_not1_b32 vcc_lo, exec_lo, s0
	s_cbranch_vccnz .LBB392_1789
; %bb.1788:
	v_cvt_i32_f64_e32 v2, v[0:1]
	global_store_b32 v[12:13], v2, off
.LBB392_1789:
	s_mov_b32 s0, 0
.LBB392_1790:
	s_delay_alu instid0(SALU_CYCLE_1)
	s_and_not1_b32 vcc_lo, exec_lo, s0
	s_cbranch_vccnz .LBB392_1792
; %bb.1791:
	v_cvt_i32_f64_e32 v2, v[0:1]
	global_store_b16 v[12:13], v2, off
.LBB392_1792:
	s_mov_b32 s0, 0
.LBB392_1793:
	s_delay_alu instid0(SALU_CYCLE_1)
	s_and_not1_b32 vcc_lo, exec_lo, s0
	s_cbranch_vccnz .LBB392_1798
; %bb.1794:
	v_cmp_lt_i16_e32 vcc_lo, 0, v14
	s_mov_b32 s0, -1
	s_cbranch_vccz .LBB392_1796
; %bb.1795:
	v_cvt_i32_f64_e32 v2, v[0:1]
	s_mov_b32 s0, 0
	global_store_b8 v[12:13], v2, off
.LBB392_1796:
	s_and_not1_b32 vcc_lo, exec_lo, s0
	s_cbranch_vccnz .LBB392_1798
; %bb.1797:
	v_trunc_f64_e32 v[0:1], v[0:1]
	s_delay_alu instid0(VALU_DEP_1) | instskip(NEXT) | instid1(VALU_DEP_1)
	v_ldexp_f64 v[2:3], v[0:1], 0xffffffe0
	v_floor_f64_e32 v[2:3], v[2:3]
	s_delay_alu instid0(VALU_DEP_1) | instskip(NEXT) | instid1(VALU_DEP_1)
	v_fma_f64 v[0:1], 0xc1f00000, v[2:3], v[0:1]
	v_cvt_u32_f64_e32 v0, v[0:1]
	global_store_b8 v[12:13], v0, off
.LBB392_1798:
	s_mov_b32 s6, -1
.LBB392_1799:
	s_delay_alu instid0(SALU_CYCLE_1)
	s_and_not1_b32 vcc_lo, exec_lo, s6
	s_cbranch_vccnz .LBB392_1995
; %bb.1800:
	v_max_f64 v[0:1], v[6:7], v[6:7]
	v_cmp_u_f64_e32 vcc_lo, v[6:7], v[6:7]
	v_add_nc_u32_e32 v12, s2, v15
	v_cmp_gt_i16_e64 s0, 11, v14
	s_delay_alu instid0(VALU_DEP_2) | instskip(SKIP_1) | instid1(VALU_DEP_1)
	v_ashrrev_i32_e32 v2, 31, v12
	v_add_co_u32 v4, s1, s4, v12
	v_add_co_ci_u32_e64 v5, s1, s5, v2, s1
	v_max_f64 v[0:1], v[0:1], v[10:11]
	s_delay_alu instid0(VALU_DEP_1)
	v_dual_cndmask_b32 v1, v1, v7 :: v_dual_cndmask_b32 v0, v0, v6
	s_and_b32 vcc_lo, exec_lo, s0
	s_cbranch_vccnz .LBB392_1878
; %bb.1801:
	v_cmp_lt_i16_e32 vcc_lo, 25, v14
	s_mov_b32 s7, -1
	s_mov_b32 s1, 0
	s_mov_b32 s6, 0
	;; [unrolled: 1-line block ×3, first 2 shown]
	s_cbranch_vccz .LBB392_1834
; %bb.1802:
	v_cmp_lt_i16_e32 vcc_lo, 28, v14
	s_cbranch_vccz .LBB392_1817
; %bb.1803:
	v_cmp_lt_i16_e32 vcc_lo, 43, v14
	;; [unrolled: 3-line block ×3, first 2 shown]
	s_cbranch_vccz .LBB392_1807
; %bb.1805:
	v_cmp_eq_u16_e32 vcc_lo, 46, v14
	s_mov_b32 s0, -1
	s_mov_b32 s7, 0
	s_cbranch_vccz .LBB392_1807
; %bb.1806:
	v_cvt_f32_f64_e32 v2, v[0:1]
	s_mov_b32 s0, 0
	s_mov_b32 s6, -1
	s_delay_alu instid0(VALU_DEP_1) | instskip(SKIP_1) | instid1(VALU_DEP_2)
	v_bfe_u32 v3, v2, 16, 1
	v_cmp_o_f32_e32 vcc_lo, v2, v2
	v_add3_u32 v3, v2, v3, 0x7fff
	s_delay_alu instid0(VALU_DEP_1) | instskip(NEXT) | instid1(VALU_DEP_1)
	v_lshrrev_b32_e32 v3, 16, v3
	v_cndmask_b32_e32 v2, 0x7fc0, v3, vcc_lo
	global_store_b32 v[4:5], v2, off
.LBB392_1807:
	s_and_b32 vcc_lo, exec_lo, s7
	s_cbranch_vccz .LBB392_1812
; %bb.1808:
	v_cmp_eq_u16_e32 vcc_lo, 44, v14
	s_mov_b32 s0, -1
	s_cbranch_vccz .LBB392_1812
; %bb.1809:
	v_cvt_f32_f64_e32 v2, v[0:1]
	v_mov_b32_e32 v3, 0xff
	s_mov_b32 s6, exec_lo
	s_delay_alu instid0(VALU_DEP_2) | instskip(NEXT) | instid1(VALU_DEP_1)
	v_bfe_u32 v6, v2, 23, 8
	v_cmpx_ne_u32_e32 0xff, v6
; %bb.1810:
	v_and_b32_e32 v3, 0x400000, v2
	v_and_or_b32 v6, 0x3fffff, v2, v6
	v_lshrrev_b32_e32 v2, 23, v2
	s_delay_alu instid0(VALU_DEP_3) | instskip(NEXT) | instid1(VALU_DEP_3)
	v_cmp_ne_u32_e32 vcc_lo, 0, v3
	v_cmp_ne_u32_e64 s0, 0, v6
	s_delay_alu instid0(VALU_DEP_1) | instskip(NEXT) | instid1(SALU_CYCLE_1)
	s_and_b32 s0, vcc_lo, s0
	v_cndmask_b32_e64 v3, 0, 1, s0
	s_delay_alu instid0(VALU_DEP_1)
	v_add_nc_u32_e32 v3, v2, v3
; %bb.1811:
	s_or_b32 exec_lo, exec_lo, s6
	s_mov_b32 s0, 0
	s_mov_b32 s6, -1
	global_store_b8 v[4:5], v3, off
.LBB392_1812:
	s_mov_b32 s7, 0
.LBB392_1813:
	s_delay_alu instid0(SALU_CYCLE_1)
	s_and_b32 vcc_lo, exec_lo, s7
	s_cbranch_vccz .LBB392_1816
; %bb.1814:
	v_cmp_eq_u16_e32 vcc_lo, 29, v14
	s_mov_b32 s0, -1
	s_cbranch_vccz .LBB392_1816
; %bb.1815:
	v_trunc_f64_e32 v[2:3], v[0:1]
	s_mov_b32 s0, 0
	s_mov_b32 s6, -1
	s_delay_alu instid0(VALU_DEP_1) | instskip(NEXT) | instid1(VALU_DEP_1)
	v_ldexp_f64 v[6:7], v[2:3], 0xffffffe0
	v_floor_f64_e32 v[6:7], v[6:7]
	s_delay_alu instid0(VALU_DEP_1) | instskip(SKIP_1) | instid1(VALU_DEP_2)
	v_fma_f64 v[2:3], 0xc1f00000, v[6:7], v[2:3]
	v_cvt_u32_f64_e32 v7, v[6:7]
	v_cvt_u32_f64_e32 v6, v[2:3]
	global_store_b64 v[4:5], v[6:7], off
.LBB392_1816:
	s_mov_b32 s7, 0
.LBB392_1817:
	s_delay_alu instid0(SALU_CYCLE_1)
	s_and_b32 vcc_lo, exec_lo, s7
	s_cbranch_vccz .LBB392_1833
; %bb.1818:
	v_cmp_gt_i16_e32 vcc_lo, 27, v14
	s_mov_b32 s6, -1
	s_cbranch_vccnz .LBB392_1824
; %bb.1819:
	v_cvt_u32_f64_e32 v2, v[0:1]
	v_cmp_lt_i16_e32 vcc_lo, 27, v14
	s_cbranch_vccz .LBB392_1821
; %bb.1820:
	s_mov_b32 s6, 0
	global_store_b32 v[4:5], v2, off
.LBB392_1821:
	s_and_not1_b32 vcc_lo, exec_lo, s6
	s_cbranch_vccnz .LBB392_1823
; %bb.1822:
	global_store_b16 v[4:5], v2, off
.LBB392_1823:
	s_mov_b32 s6, 0
.LBB392_1824:
	s_delay_alu instid0(SALU_CYCLE_1)
	s_and_not1_b32 vcc_lo, exec_lo, s6
	s_cbranch_vccnz .LBB392_1832
; %bb.1825:
	v_cvt_f32_f64_e32 v2, v[0:1]
	v_mov_b32_e32 v6, 0x80
	s_mov_b32 s6, exec_lo
	s_delay_alu instid0(VALU_DEP_2) | instskip(NEXT) | instid1(VALU_DEP_1)
	v_and_b32_e32 v3, 0x7fffffff, v2
	v_cmpx_gt_u32_e32 0x43800000, v3
	s_cbranch_execz .LBB392_1831
; %bb.1826:
	v_cmp_lt_u32_e32 vcc_lo, 0x3bffffff, v3
	s_mov_b32 s7, 0
                                        ; implicit-def: $vgpr3
	s_and_saveexec_b32 s8, vcc_lo
	s_delay_alu instid0(SALU_CYCLE_1)
	s_xor_b32 s8, exec_lo, s8
	s_cbranch_execz .LBB392_2059
; %bb.1827:
	v_bfe_u32 v3, v2, 20, 1
	s_mov_b32 s7, exec_lo
	s_delay_alu instid0(VALU_DEP_1) | instskip(NEXT) | instid1(VALU_DEP_1)
	v_add3_u32 v3, v2, v3, 0x487ffff
	v_lshrrev_b32_e32 v3, 20, v3
	s_or_saveexec_b32 s8, s8
                                        ; implicit-def: $sgpr9
	s_delay_alu instid0(SALU_CYCLE_1)
	s_xor_b32 exec_lo, exec_lo, s8
	s_cbranch_execnz .LBB392_2060
.LBB392_1828:
	s_or_b32 exec_lo, exec_lo, s8
	v_mov_b32_e32 v6, s9
	s_and_saveexec_b32 s8, s7
.LBB392_1829:
	v_lshrrev_b32_e32 v2, 24, v2
	s_delay_alu instid0(VALU_DEP_1)
	v_and_or_b32 v6, 0x80, v2, v3
.LBB392_1830:
	s_or_b32 exec_lo, exec_lo, s8
.LBB392_1831:
	s_delay_alu instid0(SALU_CYCLE_1)
	s_or_b32 exec_lo, exec_lo, s6
	global_store_b8 v[4:5], v6, off
.LBB392_1832:
	s_mov_b32 s6, -1
.LBB392_1833:
	s_mov_b32 s7, 0
.LBB392_1834:
	s_delay_alu instid0(SALU_CYCLE_1)
	s_and_b32 vcc_lo, exec_lo, s7
	s_cbranch_vccz .LBB392_1874
; %bb.1835:
	v_cmp_lt_i16_e32 vcc_lo, 22, v14
	s_mov_b32 s1, -1
	s_cbranch_vccz .LBB392_1867
; %bb.1836:
	v_cmp_gt_i16_e32 vcc_lo, 24, v14
	s_cbranch_vccnz .LBB392_1856
; %bb.1837:
	v_cmp_lt_i16_e32 vcc_lo, 24, v14
	s_cbranch_vccz .LBB392_1845
; %bb.1838:
	v_cvt_f32_f64_e32 v2, v[0:1]
	v_mov_b32_e32 v6, 0x80
	s_mov_b32 s1, exec_lo
	s_delay_alu instid0(VALU_DEP_2) | instskip(NEXT) | instid1(VALU_DEP_1)
	v_and_b32_e32 v3, 0x7fffffff, v2
	v_cmpx_gt_u32_e32 0x47800000, v3
	s_cbranch_execz .LBB392_1844
; %bb.1839:
	v_cmp_lt_u32_e32 vcc_lo, 0x37ffffff, v3
	s_mov_b32 s6, 0
                                        ; implicit-def: $vgpr3
	s_and_saveexec_b32 s7, vcc_lo
	s_delay_alu instid0(SALU_CYCLE_1)
	s_xor_b32 s7, exec_lo, s7
	s_cbranch_execz .LBB392_2065
; %bb.1840:
	v_bfe_u32 v3, v2, 21, 1
	s_mov_b32 s6, exec_lo
	s_delay_alu instid0(VALU_DEP_1) | instskip(NEXT) | instid1(VALU_DEP_1)
	v_add3_u32 v3, v2, v3, 0x88fffff
	v_lshrrev_b32_e32 v3, 21, v3
	s_or_saveexec_b32 s7, s7
                                        ; implicit-def: $sgpr8
	s_delay_alu instid0(SALU_CYCLE_1)
	s_xor_b32 exec_lo, exec_lo, s7
	s_cbranch_execnz .LBB392_2066
.LBB392_1841:
	s_or_b32 exec_lo, exec_lo, s7
	v_mov_b32_e32 v6, s8
	s_and_saveexec_b32 s7, s6
.LBB392_1842:
	v_lshrrev_b32_e32 v2, 24, v2
	s_delay_alu instid0(VALU_DEP_1)
	v_and_or_b32 v6, 0x80, v2, v3
.LBB392_1843:
	s_or_b32 exec_lo, exec_lo, s7
.LBB392_1844:
	s_delay_alu instid0(SALU_CYCLE_1)
	s_or_b32 exec_lo, exec_lo, s1
	s_mov_b32 s1, 0
	global_store_b8 v[4:5], v6, off
.LBB392_1845:
	s_and_b32 vcc_lo, exec_lo, s1
	s_cbranch_vccz .LBB392_1855
; %bb.1846:
	v_cvt_f32_f64_e32 v2, v[0:1]
	s_mov_b32 s1, exec_lo
                                        ; implicit-def: $vgpr3
	s_delay_alu instid0(VALU_DEP_1) | instskip(NEXT) | instid1(VALU_DEP_1)
	v_and_b32_e32 v6, 0x7fffffff, v2
	v_cmpx_gt_u32_e32 0x43f00000, v6
	s_xor_b32 s1, exec_lo, s1
	s_cbranch_execz .LBB392_1852
; %bb.1847:
	s_mov_b32 s6, exec_lo
                                        ; implicit-def: $vgpr3
	v_cmpx_lt_u32_e32 0x3c7fffff, v6
	s_xor_b32 s6, exec_lo, s6
; %bb.1848:
	v_bfe_u32 v3, v2, 20, 1
	s_delay_alu instid0(VALU_DEP_1) | instskip(NEXT) | instid1(VALU_DEP_1)
	v_add3_u32 v3, v2, v3, 0x407ffff
	v_and_b32_e32 v6, 0xff00000, v3
	v_lshrrev_b32_e32 v3, 20, v3
	s_delay_alu instid0(VALU_DEP_2) | instskip(NEXT) | instid1(VALU_DEP_2)
	v_cmp_ne_u32_e32 vcc_lo, 0x7f00000, v6
	v_cndmask_b32_e32 v3, 0x7e, v3, vcc_lo
; %bb.1849:
	s_and_not1_saveexec_b32 s6, s6
; %bb.1850:
	v_add_f32_e64 v3, 0x46800000, |v2|
; %bb.1851:
	s_or_b32 exec_lo, exec_lo, s6
                                        ; implicit-def: $vgpr6
.LBB392_1852:
	s_and_not1_saveexec_b32 s1, s1
; %bb.1853:
	v_mov_b32_e32 v3, 0x7f
	v_cmp_lt_u32_e32 vcc_lo, 0x7f800000, v6
	s_delay_alu instid0(VALU_DEP_2)
	v_cndmask_b32_e32 v3, 0x7e, v3, vcc_lo
; %bb.1854:
	s_or_b32 exec_lo, exec_lo, s1
	v_lshrrev_b32_e32 v2, 24, v2
	s_delay_alu instid0(VALU_DEP_1)
	v_and_or_b32 v2, 0x80, v2, v3
	global_store_b8 v[4:5], v2, off
.LBB392_1855:
	s_mov_b32 s1, 0
.LBB392_1856:
	s_delay_alu instid0(SALU_CYCLE_1)
	s_and_not1_b32 vcc_lo, exec_lo, s1
	s_cbranch_vccnz .LBB392_1866
; %bb.1857:
	v_cvt_f32_f64_e32 v2, v[0:1]
	s_mov_b32 s1, exec_lo
                                        ; implicit-def: $vgpr3
	s_delay_alu instid0(VALU_DEP_1) | instskip(NEXT) | instid1(VALU_DEP_1)
	v_and_b32_e32 v6, 0x7fffffff, v2
	v_cmpx_gt_u32_e32 0x47800000, v6
	s_xor_b32 s1, exec_lo, s1
	s_cbranch_execz .LBB392_1863
; %bb.1858:
	s_mov_b32 s6, exec_lo
                                        ; implicit-def: $vgpr3
	v_cmpx_lt_u32_e32 0x387fffff, v6
	s_xor_b32 s6, exec_lo, s6
; %bb.1859:
	v_bfe_u32 v3, v2, 21, 1
	s_delay_alu instid0(VALU_DEP_1) | instskip(NEXT) | instid1(VALU_DEP_1)
	v_add3_u32 v3, v2, v3, 0x80fffff
	v_lshrrev_b32_e32 v3, 21, v3
; %bb.1860:
	s_and_not1_saveexec_b32 s6, s6
; %bb.1861:
	v_add_f32_e64 v3, 0x43000000, |v2|
; %bb.1862:
	s_or_b32 exec_lo, exec_lo, s6
                                        ; implicit-def: $vgpr6
.LBB392_1863:
	s_and_not1_saveexec_b32 s1, s1
; %bb.1864:
	v_mov_b32_e32 v3, 0x7f
	v_cmp_lt_u32_e32 vcc_lo, 0x7f800000, v6
	s_delay_alu instid0(VALU_DEP_2)
	v_cndmask_b32_e32 v3, 0x7c, v3, vcc_lo
; %bb.1865:
	s_or_b32 exec_lo, exec_lo, s1
	v_lshrrev_b32_e32 v2, 24, v2
	s_delay_alu instid0(VALU_DEP_1)
	v_and_or_b32 v2, 0x80, v2, v3
	global_store_b8 v[4:5], v2, off
.LBB392_1866:
	s_mov_b32 s1, 0
	s_mov_b32 s6, -1
.LBB392_1867:
	s_and_not1_b32 vcc_lo, exec_lo, s1
	s_mov_b32 s1, 0
	s_cbranch_vccnz .LBB392_1874
; %bb.1868:
	v_cmp_lt_i16_e32 vcc_lo, 14, v14
	s_mov_b32 s1, -1
	s_cbranch_vccz .LBB392_1872
; %bb.1869:
	v_cmp_eq_u16_e32 vcc_lo, 15, v14
	s_mov_b32 s0, -1
	s_cbranch_vccz .LBB392_1871
; %bb.1870:
	v_cvt_f32_f64_e32 v2, v[0:1]
	s_mov_b32 s0, 0
	s_mov_b32 s6, -1
	s_delay_alu instid0(VALU_DEP_1) | instskip(SKIP_1) | instid1(VALU_DEP_2)
	v_bfe_u32 v3, v2, 16, 1
	v_cmp_o_f32_e32 vcc_lo, v2, v2
	v_add3_u32 v3, v2, v3, 0x7fff
	s_delay_alu instid0(VALU_DEP_1) | instskip(NEXT) | instid1(VALU_DEP_1)
	v_lshrrev_b32_e32 v3, 16, v3
	v_cndmask_b32_e32 v2, 0x7fc0, v3, vcc_lo
	global_store_b16 v[4:5], v2, off
.LBB392_1871:
	s_mov_b32 s1, 0
.LBB392_1872:
	s_delay_alu instid0(SALU_CYCLE_1)
	s_and_b32 vcc_lo, exec_lo, s1
	s_mov_b32 s1, 0
	s_cbranch_vccz .LBB392_1874
; %bb.1873:
	v_cmp_ne_u16_e64 s0, 11, v14
	s_mov_b32 s1, -1
.LBB392_1874:
	s_delay_alu instid0(VALU_DEP_1)
	s_and_b32 vcc_lo, exec_lo, s0
	s_cbranch_vccnz .LBB392_2063
; %bb.1875:
	s_and_not1_b32 vcc_lo, exec_lo, s1
	s_cbranch_vccnz .LBB392_1877
.LBB392_1876:
	v_cmp_neq_f64_e32 vcc_lo, 0, v[0:1]
	s_mov_b32 s6, -1
	v_cndmask_b32_e64 v2, 0, 1, vcc_lo
	global_store_b8 v[4:5], v2, off
.LBB392_1877:
	s_mov_b32 s0, 0
	s_branch .LBB392_1879
.LBB392_1878:
	s_mov_b32 s0, -1
	s_mov_b32 s6, 0
.LBB392_1879:
	s_and_b32 vcc_lo, exec_lo, s0
	s_cbranch_vccz .LBB392_1918
; %bb.1880:
	v_cmp_gt_i16_e32 vcc_lo, 5, v14
	s_mov_b32 s0, -1
	s_cbranch_vccnz .LBB392_1901
; %bb.1881:
	v_cmp_gt_i16_e32 vcc_lo, 8, v14
	s_cbranch_vccnz .LBB392_1891
; %bb.1882:
	v_cmp_gt_i16_e32 vcc_lo, 9, v14
	s_cbranch_vccnz .LBB392_1888
; %bb.1883:
	v_cmp_lt_i16_e32 vcc_lo, 9, v14
	s_cbranch_vccz .LBB392_1885
; %bb.1884:
	v_mov_b32_e32 v2, 0
	s_mov_b32 s0, 0
	s_delay_alu instid0(VALU_DEP_1)
	v_mov_b32_e32 v3, v2
	global_store_b128 v[4:5], v[0:3], off
.LBB392_1885:
	s_and_not1_b32 vcc_lo, exec_lo, s0
	s_cbranch_vccnz .LBB392_1887
; %bb.1886:
	v_cvt_f32_f64_e32 v2, v[0:1]
	v_mov_b32_e32 v3, 0
	global_store_b64 v[4:5], v[2:3], off
.LBB392_1887:
	s_mov_b32 s0, 0
.LBB392_1888:
	s_delay_alu instid0(SALU_CYCLE_1)
	s_and_not1_b32 vcc_lo, exec_lo, s0
	s_cbranch_vccnz .LBB392_1890
; %bb.1889:
	v_cvt_f32_f64_e32 v2, v[0:1]
	s_delay_alu instid0(VALU_DEP_1) | instskip(NEXT) | instid1(VALU_DEP_1)
	v_cvt_f16_f32_e32 v2, v2
	v_and_b32_e32 v2, 0xffff, v2
	global_store_b32 v[4:5], v2, off
.LBB392_1890:
	s_mov_b32 s0, 0
.LBB392_1891:
	s_delay_alu instid0(SALU_CYCLE_1)
	s_and_not1_b32 vcc_lo, exec_lo, s0
	s_cbranch_vccnz .LBB392_1900
; %bb.1892:
	v_cmp_gt_i16_e32 vcc_lo, 6, v14
	s_mov_b32 s0, -1
	s_cbranch_vccnz .LBB392_1898
; %bb.1893:
	v_cmp_lt_i16_e32 vcc_lo, 6, v14
	s_cbranch_vccz .LBB392_1895
; %bb.1894:
	s_mov_b32 s0, 0
	global_store_b64 v[4:5], v[0:1], off
.LBB392_1895:
	s_and_not1_b32 vcc_lo, exec_lo, s0
	s_cbranch_vccnz .LBB392_1897
; %bb.1896:
	v_cvt_f32_f64_e32 v2, v[0:1]
	global_store_b32 v[4:5], v2, off
.LBB392_1897:
	s_mov_b32 s0, 0
.LBB392_1898:
	s_delay_alu instid0(SALU_CYCLE_1)
	s_and_not1_b32 vcc_lo, exec_lo, s0
	s_cbranch_vccnz .LBB392_1900
; %bb.1899:
	v_cvt_f32_f64_e32 v2, v[0:1]
	s_delay_alu instid0(VALU_DEP_1)
	v_cvt_f16_f32_e32 v2, v2
	global_store_b16 v[4:5], v2, off
.LBB392_1900:
	s_mov_b32 s0, 0
.LBB392_1901:
	s_delay_alu instid0(SALU_CYCLE_1)
	s_and_not1_b32 vcc_lo, exec_lo, s0
	s_cbranch_vccnz .LBB392_1917
; %bb.1902:
	v_cmp_gt_i16_e32 vcc_lo, 2, v14
	s_mov_b32 s0, -1
	s_cbranch_vccnz .LBB392_1912
; %bb.1903:
	v_cmp_gt_i16_e32 vcc_lo, 3, v14
	s_cbranch_vccnz .LBB392_1909
; %bb.1904:
	v_cmp_lt_i16_e32 vcc_lo, 3, v14
	s_cbranch_vccz .LBB392_1906
; %bb.1905:
	v_trunc_f64_e32 v[2:3], v[0:1]
	s_mov_b32 s0, 0
	s_delay_alu instid0(VALU_DEP_1) | instskip(NEXT) | instid1(VALU_DEP_1)
	v_ldexp_f64 v[6:7], v[2:3], 0xffffffe0
	v_floor_f64_e32 v[6:7], v[6:7]
	s_delay_alu instid0(VALU_DEP_1) | instskip(SKIP_1) | instid1(VALU_DEP_2)
	v_fma_f64 v[2:3], 0xc1f00000, v[6:7], v[2:3]
	v_cvt_i32_f64_e32 v7, v[6:7]
	v_cvt_u32_f64_e32 v6, v[2:3]
	global_store_b64 v[4:5], v[6:7], off
.LBB392_1906:
	s_and_not1_b32 vcc_lo, exec_lo, s0
	s_cbranch_vccnz .LBB392_1908
; %bb.1907:
	v_cvt_i32_f64_e32 v2, v[0:1]
	global_store_b32 v[4:5], v2, off
.LBB392_1908:
	s_mov_b32 s0, 0
.LBB392_1909:
	s_delay_alu instid0(SALU_CYCLE_1)
	s_and_not1_b32 vcc_lo, exec_lo, s0
	s_cbranch_vccnz .LBB392_1911
; %bb.1910:
	v_cvt_i32_f64_e32 v2, v[0:1]
	global_store_b16 v[4:5], v2, off
.LBB392_1911:
	s_mov_b32 s0, 0
.LBB392_1912:
	s_delay_alu instid0(SALU_CYCLE_1)
	s_and_not1_b32 vcc_lo, exec_lo, s0
	s_cbranch_vccnz .LBB392_1917
; %bb.1913:
	v_cmp_lt_i16_e32 vcc_lo, 0, v14
	s_mov_b32 s0, -1
	s_cbranch_vccz .LBB392_1915
; %bb.1914:
	v_cvt_i32_f64_e32 v2, v[0:1]
	s_mov_b32 s0, 0
	global_store_b8 v[4:5], v2, off
.LBB392_1915:
	s_and_not1_b32 vcc_lo, exec_lo, s0
	s_cbranch_vccnz .LBB392_1917
; %bb.1916:
	v_trunc_f64_e32 v[0:1], v[0:1]
	s_delay_alu instid0(VALU_DEP_1) | instskip(NEXT) | instid1(VALU_DEP_1)
	v_ldexp_f64 v[2:3], v[0:1], 0xffffffe0
	v_floor_f64_e32 v[2:3], v[2:3]
	s_delay_alu instid0(VALU_DEP_1) | instskip(NEXT) | instid1(VALU_DEP_1)
	v_fma_f64 v[0:1], 0xc1f00000, v[2:3], v[0:1]
	v_cvt_u32_f64_e32 v0, v[0:1]
	global_store_b8 v[4:5], v0, off
.LBB392_1917:
	s_mov_b32 s6, -1
.LBB392_1918:
	s_delay_alu instid0(SALU_CYCLE_1)
	s_and_not1_b32 vcc_lo, exec_lo, s6
	s_cbranch_vccnz .LBB392_1995
; %bb.1919:
	v_max_f64 v[0:1], v[8:9], v[8:9]
	v_cmp_u_f64_e32 vcc_lo, v[8:9], v[8:9]
	v_cmp_gt_i16_e64 s0, 11, v14
	s_delay_alu instid0(VALU_DEP_3) | instskip(NEXT) | instid1(VALU_DEP_1)
	v_max_f64 v[0:1], v[0:1], v[10:11]
	v_dual_cndmask_b32 v1, v1, v9 :: v_dual_add_nc_u32 v2, s2, v12
	s_delay_alu instid0(VALU_DEP_1) | instskip(SKIP_1) | instid1(VALU_DEP_4)
	v_ashrrev_i32_e32 v3, 31, v2
	v_add_co_u32 v4, s1, s4, v2
	v_cndmask_b32_e32 v0, v0, v8, vcc_lo
	s_and_b32 vcc_lo, exec_lo, s0
	s_delay_alu instid0(VALU_DEP_3)
	v_add_co_ci_u32_e64 v5, s1, s5, v3, s1
	s_cbranch_vccnz .LBB392_2040
; %bb.1920:
	v_cmp_lt_i16_e32 vcc_lo, 25, v14
	s_mov_b32 s2, -1
	s_mov_b32 s1, 0
	s_mov_b32 s0, 0
	s_cbranch_vccz .LBB392_1953
; %bb.1921:
	v_cmp_lt_i16_e32 vcc_lo, 28, v14
	s_cbranch_vccz .LBB392_1937
; %bb.1922:
	v_cmp_lt_i16_e32 vcc_lo, 43, v14
	;; [unrolled: 3-line block ×3, first 2 shown]
	s_cbranch_vccz .LBB392_1927
; %bb.1924:
	v_cmp_eq_u16_e32 vcc_lo, 46, v14
	s_mov_b32 s0, -1
	s_cbranch_vccz .LBB392_1926
; %bb.1925:
	v_cvt_f32_f64_e32 v2, v[0:1]
	s_mov_b32 s0, 0
	s_delay_alu instid0(VALU_DEP_1) | instskip(SKIP_1) | instid1(VALU_DEP_2)
	v_bfe_u32 v3, v2, 16, 1
	v_cmp_o_f32_e32 vcc_lo, v2, v2
	v_add3_u32 v3, v2, v3, 0x7fff
	s_delay_alu instid0(VALU_DEP_1) | instskip(NEXT) | instid1(VALU_DEP_1)
	v_lshrrev_b32_e32 v3, 16, v3
	v_cndmask_b32_e32 v2, 0x7fc0, v3, vcc_lo
	global_store_b32 v[4:5], v2, off
.LBB392_1926:
	s_mov_b32 s2, 0
.LBB392_1927:
	s_delay_alu instid0(SALU_CYCLE_1)
	s_and_b32 vcc_lo, exec_lo, s2
	s_cbranch_vccz .LBB392_1932
; %bb.1928:
	v_cmp_eq_u16_e32 vcc_lo, 44, v14
	s_mov_b32 s0, -1
	s_cbranch_vccz .LBB392_1932
; %bb.1929:
	v_cvt_f32_f64_e32 v2, v[0:1]
	v_mov_b32_e32 v3, 0xff
	s_mov_b32 s2, exec_lo
	s_delay_alu instid0(VALU_DEP_2) | instskip(NEXT) | instid1(VALU_DEP_1)
	v_bfe_u32 v6, v2, 23, 8
	v_cmpx_ne_u32_e32 0xff, v6
; %bb.1930:
	v_and_b32_e32 v3, 0x400000, v2
	v_and_or_b32 v6, 0x3fffff, v2, v6
	v_lshrrev_b32_e32 v2, 23, v2
	s_delay_alu instid0(VALU_DEP_3) | instskip(NEXT) | instid1(VALU_DEP_3)
	v_cmp_ne_u32_e32 vcc_lo, 0, v3
	v_cmp_ne_u32_e64 s0, 0, v6
	s_delay_alu instid0(VALU_DEP_1) | instskip(NEXT) | instid1(SALU_CYCLE_1)
	s_and_b32 s0, vcc_lo, s0
	v_cndmask_b32_e64 v3, 0, 1, s0
	s_delay_alu instid0(VALU_DEP_1)
	v_add_nc_u32_e32 v3, v2, v3
; %bb.1931:
	s_or_b32 exec_lo, exec_lo, s2
	s_mov_b32 s0, 0
	global_store_b8 v[4:5], v3, off
.LBB392_1932:
	s_mov_b32 s2, 0
.LBB392_1933:
	s_delay_alu instid0(SALU_CYCLE_1)
	s_and_b32 vcc_lo, exec_lo, s2
	s_cbranch_vccz .LBB392_1936
; %bb.1934:
	v_cmp_eq_u16_e32 vcc_lo, 29, v14
	s_mov_b32 s0, -1
	s_cbranch_vccz .LBB392_1936
; %bb.1935:
	v_trunc_f64_e32 v[2:3], v[0:1]
	s_mov_b32 s0, 0
	s_delay_alu instid0(VALU_DEP_1) | instskip(NEXT) | instid1(VALU_DEP_1)
	v_ldexp_f64 v[6:7], v[2:3], 0xffffffe0
	v_floor_f64_e32 v[6:7], v[6:7]
	s_delay_alu instid0(VALU_DEP_1) | instskip(SKIP_1) | instid1(VALU_DEP_2)
	v_fma_f64 v[2:3], 0xc1f00000, v[6:7], v[2:3]
	v_cvt_u32_f64_e32 v7, v[6:7]
	v_cvt_u32_f64_e32 v6, v[2:3]
	global_store_b64 v[4:5], v[6:7], off
.LBB392_1936:
	s_mov_b32 s2, 0
.LBB392_1937:
	s_delay_alu instid0(SALU_CYCLE_1)
	s_and_b32 vcc_lo, exec_lo, s2
	s_cbranch_vccz .LBB392_1952
; %bb.1938:
	v_cmp_gt_i16_e32 vcc_lo, 27, v14
	s_mov_b32 s2, -1
	s_cbranch_vccnz .LBB392_1944
; %bb.1939:
	v_cvt_u32_f64_e32 v2, v[0:1]
	v_cmp_lt_i16_e32 vcc_lo, 27, v14
	s_cbranch_vccz .LBB392_1941
; %bb.1940:
	s_mov_b32 s2, 0
	global_store_b32 v[4:5], v2, off
.LBB392_1941:
	s_and_not1_b32 vcc_lo, exec_lo, s2
	s_cbranch_vccnz .LBB392_1943
; %bb.1942:
	global_store_b16 v[4:5], v2, off
.LBB392_1943:
	s_mov_b32 s2, 0
.LBB392_1944:
	s_delay_alu instid0(SALU_CYCLE_1)
	s_and_not1_b32 vcc_lo, exec_lo, s2
	s_cbranch_vccnz .LBB392_1952
; %bb.1945:
	v_cvt_f32_f64_e32 v2, v[0:1]
	v_mov_b32_e32 v6, 0x80
	s_mov_b32 s2, exec_lo
	s_delay_alu instid0(VALU_DEP_2) | instskip(NEXT) | instid1(VALU_DEP_1)
	v_and_b32_e32 v3, 0x7fffffff, v2
	v_cmpx_gt_u32_e32 0x43800000, v3
	s_cbranch_execz .LBB392_1951
; %bb.1946:
	v_cmp_lt_u32_e32 vcc_lo, 0x3bffffff, v3
	s_mov_b32 s4, 0
                                        ; implicit-def: $vgpr3
	s_and_saveexec_b32 s5, vcc_lo
	s_delay_alu instid0(SALU_CYCLE_1)
	s_xor_b32 s5, exec_lo, s5
	s_cbranch_execz .LBB392_2067
; %bb.1947:
	v_bfe_u32 v3, v2, 20, 1
	s_mov_b32 s4, exec_lo
	s_delay_alu instid0(VALU_DEP_1) | instskip(NEXT) | instid1(VALU_DEP_1)
	v_add3_u32 v3, v2, v3, 0x487ffff
	v_lshrrev_b32_e32 v3, 20, v3
	s_or_saveexec_b32 s5, s5
                                        ; implicit-def: $sgpr6
	s_delay_alu instid0(SALU_CYCLE_1)
	s_xor_b32 exec_lo, exec_lo, s5
	s_cbranch_execnz .LBB392_2068
.LBB392_1948:
	s_or_b32 exec_lo, exec_lo, s5
	v_mov_b32_e32 v6, s6
	s_and_saveexec_b32 s5, s4
.LBB392_1949:
	v_lshrrev_b32_e32 v2, 24, v2
	s_delay_alu instid0(VALU_DEP_1)
	v_and_or_b32 v6, 0x80, v2, v3
.LBB392_1950:
	s_or_b32 exec_lo, exec_lo, s5
.LBB392_1951:
	s_delay_alu instid0(SALU_CYCLE_1)
	s_or_b32 exec_lo, exec_lo, s2
	global_store_b8 v[4:5], v6, off
.LBB392_1952:
	s_mov_b32 s2, 0
.LBB392_1953:
	s_delay_alu instid0(SALU_CYCLE_1)
	s_and_b32 vcc_lo, exec_lo, s2
	s_cbranch_vccz .LBB392_1993
; %bb.1954:
	v_cmp_lt_i16_e32 vcc_lo, 22, v14
	s_mov_b32 s1, -1
	s_cbranch_vccz .LBB392_1986
; %bb.1955:
	v_cmp_gt_i16_e32 vcc_lo, 24, v14
	s_cbranch_vccnz .LBB392_1975
; %bb.1956:
	v_cmp_lt_i16_e32 vcc_lo, 24, v14
	s_cbranch_vccz .LBB392_1964
; %bb.1957:
	v_cvt_f32_f64_e32 v2, v[0:1]
	v_mov_b32_e32 v6, 0x80
	s_mov_b32 s1, exec_lo
	s_delay_alu instid0(VALU_DEP_2) | instskip(NEXT) | instid1(VALU_DEP_1)
	v_and_b32_e32 v3, 0x7fffffff, v2
	v_cmpx_gt_u32_e32 0x47800000, v3
	s_cbranch_execz .LBB392_1963
; %bb.1958:
	v_cmp_lt_u32_e32 vcc_lo, 0x37ffffff, v3
	s_mov_b32 s2, 0
                                        ; implicit-def: $vgpr3
	s_and_saveexec_b32 s4, vcc_lo
	s_delay_alu instid0(SALU_CYCLE_1)
	s_xor_b32 s4, exec_lo, s4
	s_cbranch_execz .LBB392_2073
; %bb.1959:
	v_bfe_u32 v3, v2, 21, 1
	s_mov_b32 s2, exec_lo
	s_delay_alu instid0(VALU_DEP_1) | instskip(NEXT) | instid1(VALU_DEP_1)
	v_add3_u32 v3, v2, v3, 0x88fffff
	v_lshrrev_b32_e32 v3, 21, v3
	s_or_saveexec_b32 s4, s4
                                        ; implicit-def: $sgpr5
	s_delay_alu instid0(SALU_CYCLE_1)
	s_xor_b32 exec_lo, exec_lo, s4
	s_cbranch_execnz .LBB392_2074
.LBB392_1960:
	s_or_b32 exec_lo, exec_lo, s4
	v_mov_b32_e32 v6, s5
	s_and_saveexec_b32 s4, s2
.LBB392_1961:
	v_lshrrev_b32_e32 v2, 24, v2
	s_delay_alu instid0(VALU_DEP_1)
	v_and_or_b32 v6, 0x80, v2, v3
.LBB392_1962:
	s_or_b32 exec_lo, exec_lo, s4
.LBB392_1963:
	s_delay_alu instid0(SALU_CYCLE_1)
	s_or_b32 exec_lo, exec_lo, s1
	s_mov_b32 s1, 0
	global_store_b8 v[4:5], v6, off
.LBB392_1964:
	s_and_b32 vcc_lo, exec_lo, s1
	s_cbranch_vccz .LBB392_1974
; %bb.1965:
	v_cvt_f32_f64_e32 v2, v[0:1]
	s_mov_b32 s1, exec_lo
                                        ; implicit-def: $vgpr3
	s_delay_alu instid0(VALU_DEP_1) | instskip(NEXT) | instid1(VALU_DEP_1)
	v_and_b32_e32 v6, 0x7fffffff, v2
	v_cmpx_gt_u32_e32 0x43f00000, v6
	s_xor_b32 s1, exec_lo, s1
	s_cbranch_execz .LBB392_1971
; %bb.1966:
	s_mov_b32 s2, exec_lo
                                        ; implicit-def: $vgpr3
	v_cmpx_lt_u32_e32 0x3c7fffff, v6
	s_xor_b32 s2, exec_lo, s2
; %bb.1967:
	v_bfe_u32 v3, v2, 20, 1
	s_delay_alu instid0(VALU_DEP_1) | instskip(NEXT) | instid1(VALU_DEP_1)
	v_add3_u32 v3, v2, v3, 0x407ffff
	v_and_b32_e32 v6, 0xff00000, v3
	v_lshrrev_b32_e32 v3, 20, v3
	s_delay_alu instid0(VALU_DEP_2) | instskip(NEXT) | instid1(VALU_DEP_2)
	v_cmp_ne_u32_e32 vcc_lo, 0x7f00000, v6
	v_cndmask_b32_e32 v3, 0x7e, v3, vcc_lo
; %bb.1968:
	s_and_not1_saveexec_b32 s2, s2
; %bb.1969:
	v_add_f32_e64 v3, 0x46800000, |v2|
; %bb.1970:
	s_or_b32 exec_lo, exec_lo, s2
                                        ; implicit-def: $vgpr6
.LBB392_1971:
	s_and_not1_saveexec_b32 s1, s1
; %bb.1972:
	v_mov_b32_e32 v3, 0x7f
	v_cmp_lt_u32_e32 vcc_lo, 0x7f800000, v6
	s_delay_alu instid0(VALU_DEP_2)
	v_cndmask_b32_e32 v3, 0x7e, v3, vcc_lo
; %bb.1973:
	s_or_b32 exec_lo, exec_lo, s1
	v_lshrrev_b32_e32 v2, 24, v2
	s_delay_alu instid0(VALU_DEP_1)
	v_and_or_b32 v2, 0x80, v2, v3
	global_store_b8 v[4:5], v2, off
.LBB392_1974:
	s_mov_b32 s1, 0
.LBB392_1975:
	s_delay_alu instid0(SALU_CYCLE_1)
	s_and_not1_b32 vcc_lo, exec_lo, s1
	s_cbranch_vccnz .LBB392_1985
; %bb.1976:
	v_cvt_f32_f64_e32 v2, v[0:1]
	s_mov_b32 s1, exec_lo
                                        ; implicit-def: $vgpr3
	s_delay_alu instid0(VALU_DEP_1) | instskip(NEXT) | instid1(VALU_DEP_1)
	v_and_b32_e32 v6, 0x7fffffff, v2
	v_cmpx_gt_u32_e32 0x47800000, v6
	s_xor_b32 s1, exec_lo, s1
	s_cbranch_execz .LBB392_1982
; %bb.1977:
	s_mov_b32 s2, exec_lo
                                        ; implicit-def: $vgpr3
	v_cmpx_lt_u32_e32 0x387fffff, v6
	s_xor_b32 s2, exec_lo, s2
; %bb.1978:
	v_bfe_u32 v3, v2, 21, 1
	s_delay_alu instid0(VALU_DEP_1) | instskip(NEXT) | instid1(VALU_DEP_1)
	v_add3_u32 v3, v2, v3, 0x80fffff
	v_lshrrev_b32_e32 v3, 21, v3
; %bb.1979:
	s_and_not1_saveexec_b32 s2, s2
; %bb.1980:
	v_add_f32_e64 v3, 0x43000000, |v2|
; %bb.1981:
	s_or_b32 exec_lo, exec_lo, s2
                                        ; implicit-def: $vgpr6
.LBB392_1982:
	s_and_not1_saveexec_b32 s1, s1
; %bb.1983:
	v_mov_b32_e32 v3, 0x7f
	v_cmp_lt_u32_e32 vcc_lo, 0x7f800000, v6
	s_delay_alu instid0(VALU_DEP_2)
	v_cndmask_b32_e32 v3, 0x7c, v3, vcc_lo
; %bb.1984:
	s_or_b32 exec_lo, exec_lo, s1
	v_lshrrev_b32_e32 v2, 24, v2
	s_delay_alu instid0(VALU_DEP_1)
	v_and_or_b32 v2, 0x80, v2, v3
	global_store_b8 v[4:5], v2, off
.LBB392_1985:
	s_mov_b32 s1, 0
.LBB392_1986:
	s_delay_alu instid0(SALU_CYCLE_1)
	s_and_not1_b32 vcc_lo, exec_lo, s1
	s_mov_b32 s1, 0
	s_cbranch_vccnz .LBB392_1993
; %bb.1987:
	v_cmp_lt_i16_e32 vcc_lo, 14, v14
	s_mov_b32 s1, -1
	s_cbranch_vccz .LBB392_1991
; %bb.1988:
	v_cmp_eq_u16_e32 vcc_lo, 15, v14
	s_mov_b32 s0, -1
	s_cbranch_vccz .LBB392_1990
; %bb.1989:
	v_cvt_f32_f64_e32 v2, v[0:1]
	s_mov_b32 s0, 0
	s_delay_alu instid0(VALU_DEP_1) | instskip(SKIP_1) | instid1(VALU_DEP_2)
	v_bfe_u32 v3, v2, 16, 1
	v_cmp_o_f32_e32 vcc_lo, v2, v2
	v_add3_u32 v3, v2, v3, 0x7fff
	s_delay_alu instid0(VALU_DEP_1) | instskip(NEXT) | instid1(VALU_DEP_1)
	v_lshrrev_b32_e32 v3, 16, v3
	v_cndmask_b32_e32 v2, 0x7fc0, v3, vcc_lo
	global_store_b16 v[4:5], v2, off
.LBB392_1990:
	s_mov_b32 s1, 0
.LBB392_1991:
	s_delay_alu instid0(SALU_CYCLE_1)
	s_and_b32 vcc_lo, exec_lo, s1
	s_mov_b32 s1, 0
	s_cbranch_vccz .LBB392_1993
; %bb.1992:
	v_cmp_ne_u16_e64 s0, 11, v14
	s_mov_b32 s1, -1
.LBB392_1993:
	s_delay_alu instid0(VALU_DEP_1)
	s_and_b32 vcc_lo, exec_lo, s0
	s_cbranch_vccnz .LBB392_2071
.LBB392_1994:
	s_mov_b32 s0, 0
	s_branch .LBB392_1996
.LBB392_1995:
	s_mov_b32 s0, 0
	s_mov_b32 s1, 0
                                        ; implicit-def: $vgpr14
                                        ; implicit-def: $vgpr4_vgpr5
                                        ; implicit-def: $vgpr0_vgpr1
.LBB392_1996:
	s_and_not1_b32 s2, s13, exec_lo
	s_and_b32 s4, s3, exec_lo
	s_and_b32 s0, s0, exec_lo
	;; [unrolled: 1-line block ×3, first 2 shown]
	s_or_b32 s13, s2, s4
.LBB392_1997:
	s_or_b32 exec_lo, exec_lo, s12
	s_and_saveexec_b32 s1, s13
	s_cbranch_execz .LBB392_2000
; %bb.1998:
	; divergent unreachable
	s_or_b32 exec_lo, exec_lo, s1
	s_and_saveexec_b32 s1, s3
	s_delay_alu instid0(SALU_CYCLE_1)
	s_xor_b32 s1, exec_lo, s1
	s_cbranch_execnz .LBB392_2001
.LBB392_1999:
	s_or_b32 exec_lo, exec_lo, s1
	s_and_saveexec_b32 s1, s0
	s_cbranch_execnz .LBB392_2002
	s_branch .LBB392_2039
.LBB392_2000:
	s_or_b32 exec_lo, exec_lo, s1
	s_and_saveexec_b32 s1, s3
	s_delay_alu instid0(SALU_CYCLE_1)
	s_xor_b32 s1, exec_lo, s1
	s_cbranch_execz .LBB392_1999
.LBB392_2001:
	s_waitcnt vmcnt(0)
	s_delay_alu instid0(VALU_DEP_1)
	v_cmp_neq_f64_e32 vcc_lo, 0, v[0:1]
	v_cndmask_b32_e64 v2, 0, 1, vcc_lo
	global_store_b8 v[4:5], v2, off
	s_or_b32 exec_lo, exec_lo, s1
	s_and_saveexec_b32 s1, s0
	s_cbranch_execz .LBB392_2039
.LBB392_2002:
	v_cmp_gt_i16_e32 vcc_lo, 5, v14
	s_mov_b32 s0, -1
	s_cbranch_vccnz .LBB392_2023
; %bb.2003:
	v_cmp_gt_i16_e32 vcc_lo, 8, v14
	s_cbranch_vccnz .LBB392_2013
; %bb.2004:
	v_cmp_gt_i16_e32 vcc_lo, 9, v14
	s_cbranch_vccnz .LBB392_2010
; %bb.2005:
	v_cmp_lt_i16_e32 vcc_lo, 9, v14
	s_cbranch_vccz .LBB392_2007
; %bb.2006:
	s_waitcnt vmcnt(0)
	v_mov_b32_e32 v2, 0
	s_mov_b32 s0, 0
	s_delay_alu instid0(VALU_DEP_1)
	v_mov_b32_e32 v3, v2
	global_store_b128 v[4:5], v[0:3], off
.LBB392_2007:
	s_and_not1_b32 vcc_lo, exec_lo, s0
	s_cbranch_vccnz .LBB392_2009
; %bb.2008:
	s_waitcnt vmcnt(0)
	v_cvt_f32_f64_e32 v2, v[0:1]
	v_mov_b32_e32 v3, 0
	global_store_b64 v[4:5], v[2:3], off
.LBB392_2009:
	s_mov_b32 s0, 0
.LBB392_2010:
	s_delay_alu instid0(SALU_CYCLE_1)
	s_and_not1_b32 vcc_lo, exec_lo, s0
	s_cbranch_vccnz .LBB392_2012
; %bb.2011:
	s_waitcnt vmcnt(0)
	v_cvt_f32_f64_e32 v2, v[0:1]
	s_delay_alu instid0(VALU_DEP_1) | instskip(NEXT) | instid1(VALU_DEP_1)
	v_cvt_f16_f32_e32 v2, v2
	v_and_b32_e32 v2, 0xffff, v2
	global_store_b32 v[4:5], v2, off
.LBB392_2012:
	s_mov_b32 s0, 0
.LBB392_2013:
	s_delay_alu instid0(SALU_CYCLE_1)
	s_and_not1_b32 vcc_lo, exec_lo, s0
	s_cbranch_vccnz .LBB392_2022
; %bb.2014:
	v_cmp_gt_i16_e32 vcc_lo, 6, v14
	s_mov_b32 s0, -1
	s_cbranch_vccnz .LBB392_2020
; %bb.2015:
	v_cmp_lt_i16_e32 vcc_lo, 6, v14
	s_cbranch_vccz .LBB392_2017
; %bb.2016:
	s_mov_b32 s0, 0
	s_waitcnt vmcnt(0)
	global_store_b64 v[4:5], v[0:1], off
.LBB392_2017:
	s_and_not1_b32 vcc_lo, exec_lo, s0
	s_cbranch_vccnz .LBB392_2019
; %bb.2018:
	s_waitcnt vmcnt(0)
	v_cvt_f32_f64_e32 v2, v[0:1]
	global_store_b32 v[4:5], v2, off
.LBB392_2019:
	s_mov_b32 s0, 0
.LBB392_2020:
	s_delay_alu instid0(SALU_CYCLE_1)
	s_and_not1_b32 vcc_lo, exec_lo, s0
	s_cbranch_vccnz .LBB392_2022
; %bb.2021:
	s_waitcnt vmcnt(0)
	v_cvt_f32_f64_e32 v2, v[0:1]
	s_delay_alu instid0(VALU_DEP_1)
	v_cvt_f16_f32_e32 v2, v2
	global_store_b16 v[4:5], v2, off
.LBB392_2022:
	s_mov_b32 s0, 0
.LBB392_2023:
	s_delay_alu instid0(SALU_CYCLE_1)
	s_and_not1_b32 vcc_lo, exec_lo, s0
	s_cbranch_vccnz .LBB392_2039
; %bb.2024:
	v_cmp_gt_i16_e32 vcc_lo, 2, v14
	s_mov_b32 s0, -1
	s_cbranch_vccnz .LBB392_2034
; %bb.2025:
	v_cmp_gt_i16_e32 vcc_lo, 3, v14
	s_cbranch_vccnz .LBB392_2031
; %bb.2026:
	v_cmp_lt_i16_e32 vcc_lo, 3, v14
	s_cbranch_vccz .LBB392_2028
; %bb.2027:
	s_waitcnt vmcnt(0)
	v_trunc_f64_e32 v[2:3], v[0:1]
	s_mov_b32 s0, 0
	s_delay_alu instid0(VALU_DEP_1) | instskip(NEXT) | instid1(VALU_DEP_1)
	v_ldexp_f64 v[6:7], v[2:3], 0xffffffe0
	v_floor_f64_e32 v[6:7], v[6:7]
	s_delay_alu instid0(VALU_DEP_1) | instskip(SKIP_1) | instid1(VALU_DEP_2)
	v_fma_f64 v[2:3], 0xc1f00000, v[6:7], v[2:3]
	v_cvt_i32_f64_e32 v7, v[6:7]
	v_cvt_u32_f64_e32 v6, v[2:3]
	global_store_b64 v[4:5], v[6:7], off
.LBB392_2028:
	s_and_not1_b32 vcc_lo, exec_lo, s0
	s_cbranch_vccnz .LBB392_2030
; %bb.2029:
	s_waitcnt vmcnt(0)
	v_cvt_i32_f64_e32 v2, v[0:1]
	global_store_b32 v[4:5], v2, off
.LBB392_2030:
	s_mov_b32 s0, 0
.LBB392_2031:
	s_delay_alu instid0(SALU_CYCLE_1)
	s_and_not1_b32 vcc_lo, exec_lo, s0
	s_cbranch_vccnz .LBB392_2033
; %bb.2032:
	s_waitcnt vmcnt(0)
	v_cvt_i32_f64_e32 v2, v[0:1]
	global_store_b16 v[4:5], v2, off
.LBB392_2033:
	s_mov_b32 s0, 0
.LBB392_2034:
	s_delay_alu instid0(SALU_CYCLE_1)
	s_and_not1_b32 vcc_lo, exec_lo, s0
	s_cbranch_vccnz .LBB392_2039
; %bb.2035:
	v_cmp_lt_i16_e32 vcc_lo, 0, v14
	s_mov_b32 s0, -1
	s_cbranch_vccz .LBB392_2037
; %bb.2036:
	s_waitcnt vmcnt(0)
	v_cvt_i32_f64_e32 v2, v[0:1]
	s_mov_b32 s0, 0
	global_store_b8 v[4:5], v2, off
.LBB392_2037:
	s_and_not1_b32 vcc_lo, exec_lo, s0
	s_cbranch_vccnz .LBB392_2039
; %bb.2038:
	s_waitcnt vmcnt(0)
	v_trunc_f64_e32 v[0:1], v[0:1]
	s_delay_alu instid0(VALU_DEP_1) | instskip(NEXT) | instid1(VALU_DEP_1)
	v_ldexp_f64 v[2:3], v[0:1], 0xffffffe0
	v_floor_f64_e32 v[2:3], v[2:3]
	s_delay_alu instid0(VALU_DEP_1) | instskip(NEXT) | instid1(VALU_DEP_1)
	v_fma_f64 v[0:1], 0xc1f00000, v[2:3], v[0:1]
	v_cvt_u32_f64_e32 v0, v[0:1]
	global_store_b8 v[4:5], v0, off
	s_nop 0
	s_sendmsg sendmsg(MSG_DEALLOC_VGPRS)
	s_endpgm
.LBB392_2039:
	s_nop 0
	s_sendmsg sendmsg(MSG_DEALLOC_VGPRS)
	s_endpgm
.LBB392_2040:
	s_mov_b32 s1, 0
	s_mov_b32 s0, -1
	s_branch .LBB392_1996
.LBB392_2041:
	s_cbranch_execnz .LBB392_2045
; %bb.2042:
	s_or_b32 s3, s3, exec_lo
                                        ; implicit-def: $vgpr8_vgpr9
	s_cbranch_execz .LBB392_1510
	s_branch .LBB392_1511
.LBB392_2043:
	s_or_saveexec_b32 s7, s7
                                        ; implicit-def: $sgpr9
	s_delay_alu instid0(SALU_CYCLE_1)
	s_xor_b32 exec_lo, exec_lo, s7
	s_cbranch_execz .LBB392_1590
.LBB392_2044:
	v_add_f32_e64 v3, 0x46000000, |v2|
	s_and_not1_b32 s6, s6, exec_lo
	s_mov_b32 s9, 0
	s_delay_alu instid0(VALU_DEP_1) | instskip(NEXT) | instid1(VALU_DEP_1)
	v_and_b32_e32 v3, 0xff, v3
	v_cmp_ne_u32_e32 vcc_lo, 0, v3
	s_and_b32 s10, vcc_lo, exec_lo
	s_delay_alu instid0(SALU_CYCLE_1)
	s_or_b32 s6, s6, s10
	s_or_b32 exec_lo, exec_lo, s7
	v_mov_b32_e32 v16, s9
	s_and_saveexec_b32 s7, s6
	s_cbranch_execnz .LBB392_1591
	s_branch .LBB392_1592
.LBB392_2045:
	s_trap 2
	s_sendmsg_rtn_b32 s0, sendmsg(MSG_RTN_GET_DOORBELL)
	s_mov_b32 ttmp2, m0
	s_waitcnt lgkmcnt(0)
	s_and_b32 s0, s0, 0x3ff
	s_delay_alu instid0(SALU_CYCLE_1) | instskip(NEXT) | instid1(SALU_CYCLE_1)
	s_bitset1_b32 s0, 10
	s_mov_b32 m0, s0
	s_sendmsg sendmsg(MSG_INTERRUPT)
	s_mov_b32 m0, ttmp2
.LBB392_2046:                           ; =>This Inner Loop Header: Depth=1
	s_sethalt 5
	s_branch .LBB392_2046
.LBB392_2047:
	s_cbranch_execnz .LBB392_2053
; %bb.2048:
	s_or_b32 s3, s3, exec_lo
	s_cbranch_execz .LBB392_1638
	s_branch .LBB392_1639
.LBB392_2049:
	s_or_saveexec_b32 s6, s6
                                        ; implicit-def: $sgpr7
	s_delay_alu instid0(SALU_CYCLE_1)
	s_xor_b32 exec_lo, exec_lo, s6
	s_cbranch_execz .LBB392_1603
.LBB392_2050:
	v_add_f32_e64 v3, 0x42800000, |v2|
	s_and_not1_b32 s2, s2, exec_lo
	s_mov_b32 s7, 0
	s_delay_alu instid0(VALU_DEP_1) | instskip(NEXT) | instid1(VALU_DEP_1)
	v_and_b32_e32 v3, 0xff, v3
	v_cmp_ne_u32_e32 vcc_lo, 0, v3
	s_and_b32 s9, vcc_lo, exec_lo
	s_delay_alu instid0(SALU_CYCLE_1)
	s_or_b32 s2, s2, s9
	s_or_b32 exec_lo, exec_lo, s6
	v_mov_b32_e32 v16, s7
	s_and_saveexec_b32 s6, s2
	s_cbranch_execnz .LBB392_1604
	s_branch .LBB392_1605
.LBB392_2051:
	s_or_saveexec_b32 s8, s8
                                        ; implicit-def: $sgpr9
	s_delay_alu instid0(SALU_CYCLE_1)
	s_xor_b32 exec_lo, exec_lo, s8
	s_cbranch_execz .LBB392_1709
.LBB392_2052:
	v_add_f32_e64 v3, 0x46000000, |v2|
	s_and_not1_b32 s7, s7, exec_lo
	s_mov_b32 s9, 0
	s_delay_alu instid0(VALU_DEP_1) | instskip(NEXT) | instid1(VALU_DEP_1)
	v_and_b32_e32 v3, 0xff, v3
	v_cmp_ne_u32_e32 vcc_lo, 0, v3
	s_and_b32 s10, vcc_lo, exec_lo
	s_delay_alu instid0(SALU_CYCLE_1)
	s_or_b32 s7, s7, s10
	s_or_b32 exec_lo, exec_lo, s8
	v_mov_b32_e32 v4, s9
	s_and_saveexec_b32 s8, s7
	s_cbranch_execnz .LBB392_1710
	s_branch .LBB392_1711
.LBB392_2053:
	s_trap 2
	s_sendmsg_rtn_b32 s0, sendmsg(MSG_RTN_GET_DOORBELL)
	s_mov_b32 ttmp2, m0
	s_waitcnt lgkmcnt(0)
	s_and_b32 s0, s0, 0x3ff
	s_delay_alu instid0(SALU_CYCLE_1) | instskip(NEXT) | instid1(SALU_CYCLE_1)
	s_bitset1_b32 s0, 10
	s_mov_b32 m0, s0
	s_sendmsg sendmsg(MSG_INTERRUPT)
	s_mov_b32 m0, ttmp2
.LBB392_2054:                           ; =>This Inner Loop Header: Depth=1
	s_sethalt 5
	s_branch .LBB392_2054
.LBB392_2055:
	s_cbranch_execnz .LBB392_2061
; %bb.2056:
	s_or_b32 s3, s3, exec_lo
	s_cbranch_execz .LBB392_1757
	s_branch .LBB392_1758
.LBB392_2057:
	s_or_saveexec_b32 s7, s7
                                        ; implicit-def: $sgpr8
	s_delay_alu instid0(SALU_CYCLE_1)
	s_xor_b32 exec_lo, exec_lo, s7
	s_cbranch_execz .LBB392_1722
.LBB392_2058:
	v_add_f32_e64 v3, 0x42800000, |v2|
	s_and_not1_b32 s6, s6, exec_lo
	s_mov_b32 s8, 0
	s_delay_alu instid0(VALU_DEP_1) | instskip(NEXT) | instid1(VALU_DEP_1)
	v_and_b32_e32 v3, 0xff, v3
	v_cmp_ne_u32_e32 vcc_lo, 0, v3
	s_and_b32 s9, vcc_lo, exec_lo
	s_delay_alu instid0(SALU_CYCLE_1)
	s_or_b32 s6, s6, s9
	s_or_b32 exec_lo, exec_lo, s7
	v_mov_b32_e32 v4, s8
	s_and_saveexec_b32 s7, s6
	s_cbranch_execnz .LBB392_1723
	s_branch .LBB392_1724
.LBB392_2059:
	s_or_saveexec_b32 s8, s8
                                        ; implicit-def: $sgpr9
	s_delay_alu instid0(SALU_CYCLE_1)
	s_xor_b32 exec_lo, exec_lo, s8
	s_cbranch_execz .LBB392_1828
.LBB392_2060:
	v_add_f32_e64 v3, 0x46000000, |v2|
	s_and_not1_b32 s7, s7, exec_lo
	s_mov_b32 s9, 0
	s_delay_alu instid0(VALU_DEP_1) | instskip(NEXT) | instid1(VALU_DEP_1)
	v_and_b32_e32 v3, 0xff, v3
	v_cmp_ne_u32_e32 vcc_lo, 0, v3
	s_and_b32 s10, vcc_lo, exec_lo
	s_delay_alu instid0(SALU_CYCLE_1)
	s_or_b32 s7, s7, s10
	s_or_b32 exec_lo, exec_lo, s8
	v_mov_b32_e32 v6, s9
	s_and_saveexec_b32 s8, s7
	s_cbranch_execnz .LBB392_1829
	s_branch .LBB392_1830
.LBB392_2061:
	s_trap 2
	s_sendmsg_rtn_b32 s0, sendmsg(MSG_RTN_GET_DOORBELL)
	s_mov_b32 ttmp2, m0
	s_waitcnt lgkmcnt(0)
	s_and_b32 s0, s0, 0x3ff
	s_delay_alu instid0(SALU_CYCLE_1) | instskip(NEXT) | instid1(SALU_CYCLE_1)
	s_bitset1_b32 s0, 10
	s_mov_b32 m0, s0
	s_sendmsg sendmsg(MSG_INTERRUPT)
	s_mov_b32 m0, ttmp2
.LBB392_2062:                           ; =>This Inner Loop Header: Depth=1
	s_sethalt 5
	s_branch .LBB392_2062
.LBB392_2063:
	s_cbranch_execnz .LBB392_2069
; %bb.2064:
	s_or_b32 s3, s3, exec_lo
	s_cbranch_execz .LBB392_1876
	s_branch .LBB392_1877
.LBB392_2065:
	s_or_saveexec_b32 s7, s7
                                        ; implicit-def: $sgpr8
	s_delay_alu instid0(SALU_CYCLE_1)
	s_xor_b32 exec_lo, exec_lo, s7
	s_cbranch_execz .LBB392_1841
.LBB392_2066:
	v_add_f32_e64 v3, 0x42800000, |v2|
	s_and_not1_b32 s6, s6, exec_lo
	s_mov_b32 s8, 0
	s_delay_alu instid0(VALU_DEP_1) | instskip(NEXT) | instid1(VALU_DEP_1)
	v_and_b32_e32 v3, 0xff, v3
	v_cmp_ne_u32_e32 vcc_lo, 0, v3
	s_and_b32 s9, vcc_lo, exec_lo
	s_delay_alu instid0(SALU_CYCLE_1)
	s_or_b32 s6, s6, s9
	s_or_b32 exec_lo, exec_lo, s7
	v_mov_b32_e32 v6, s8
	s_and_saveexec_b32 s7, s6
	s_cbranch_execnz .LBB392_1842
	s_branch .LBB392_1843
.LBB392_2067:
	s_or_saveexec_b32 s5, s5
                                        ; implicit-def: $sgpr6
	s_delay_alu instid0(SALU_CYCLE_1)
	s_xor_b32 exec_lo, exec_lo, s5
	s_cbranch_execz .LBB392_1948
.LBB392_2068:
	v_add_f32_e64 v3, 0x46000000, |v2|
	s_and_not1_b32 s4, s4, exec_lo
	s_mov_b32 s6, 0
	s_delay_alu instid0(VALU_DEP_1) | instskip(NEXT) | instid1(VALU_DEP_1)
	v_and_b32_e32 v3, 0xff, v3
	v_cmp_ne_u32_e32 vcc_lo, 0, v3
	s_and_b32 s7, vcc_lo, exec_lo
	s_delay_alu instid0(SALU_CYCLE_1)
	s_or_b32 s4, s4, s7
	s_or_b32 exec_lo, exec_lo, s5
	v_mov_b32_e32 v6, s6
	s_and_saveexec_b32 s5, s4
	s_cbranch_execnz .LBB392_1949
	s_branch .LBB392_1950
.LBB392_2069:
	s_trap 2
	s_sendmsg_rtn_b32 s0, sendmsg(MSG_RTN_GET_DOORBELL)
	s_mov_b32 ttmp2, m0
	s_waitcnt lgkmcnt(0)
	s_and_b32 s0, s0, 0x3ff
	s_delay_alu instid0(SALU_CYCLE_1) | instskip(NEXT) | instid1(SALU_CYCLE_1)
	s_bitset1_b32 s0, 10
	s_mov_b32 m0, s0
	s_sendmsg sendmsg(MSG_INTERRUPT)
	s_mov_b32 m0, ttmp2
.LBB392_2070:                           ; =>This Inner Loop Header: Depth=1
	s_sethalt 5
	s_branch .LBB392_2070
.LBB392_2071:
	s_cbranch_execnz .LBB392_2075
; %bb.2072:
	s_mov_b32 s1, 0
	s_or_b32 s3, s3, exec_lo
	s_branch .LBB392_1994
.LBB392_2073:
	s_or_saveexec_b32 s4, s4
                                        ; implicit-def: $sgpr5
	s_delay_alu instid0(SALU_CYCLE_1)
	s_xor_b32 exec_lo, exec_lo, s4
	s_cbranch_execz .LBB392_1960
.LBB392_2074:
	v_add_f32_e64 v3, 0x42800000, |v2|
	s_and_not1_b32 s2, s2, exec_lo
	s_mov_b32 s5, 0
	s_delay_alu instid0(VALU_DEP_1) | instskip(NEXT) | instid1(VALU_DEP_1)
	v_and_b32_e32 v3, 0xff, v3
	v_cmp_ne_u32_e32 vcc_lo, 0, v3
	s_and_b32 s6, vcc_lo, exec_lo
	s_delay_alu instid0(SALU_CYCLE_1)
	s_or_b32 s2, s2, s6
	s_or_b32 exec_lo, exec_lo, s4
	v_mov_b32_e32 v6, s5
	s_and_saveexec_b32 s4, s2
	s_cbranch_execnz .LBB392_1961
	s_branch .LBB392_1962
.LBB392_2075:
	s_trap 2
	s_sendmsg_rtn_b32 s0, sendmsg(MSG_RTN_GET_DOORBELL)
	s_mov_b32 ttmp2, m0
	s_waitcnt lgkmcnt(0)
	s_and_b32 s0, s0, 0x3ff
	s_delay_alu instid0(SALU_CYCLE_1) | instskip(NEXT) | instid1(SALU_CYCLE_1)
	s_bitset1_b32 s0, 10
	s_mov_b32 m0, s0
	s_sendmsg sendmsg(MSG_INTERRUPT)
	s_mov_b32 m0, ttmp2
.LBB392_2076:                           ; =>This Inner Loop Header: Depth=1
	s_sethalt 5
	s_branch .LBB392_2076
	.section	.rodata,"a",@progbits
	.p2align	6, 0x0
	.amdhsa_kernel _ZN2at6native32elementwise_kernel_manual_unrollILi128ELi4EZNS0_15gpu_kernel_implIZZZNS0_21clamp_min_kernel_cudaERNS_18TensorIteratorBaseERKN3c106ScalarEENKUlvE_clEvENKUlvE4_clEvEUldE_EEvS4_RKT_EUlibE_EEviT1_
		.amdhsa_group_segment_fixed_size 0
		.amdhsa_private_segment_fixed_size 0
		.amdhsa_kernarg_size 48
		.amdhsa_user_sgpr_count 15
		.amdhsa_user_sgpr_dispatch_ptr 0
		.amdhsa_user_sgpr_queue_ptr 0
		.amdhsa_user_sgpr_kernarg_segment_ptr 1
		.amdhsa_user_sgpr_dispatch_id 0
		.amdhsa_user_sgpr_private_segment_size 0
		.amdhsa_wavefront_size32 1
		.amdhsa_uses_dynamic_stack 0
		.amdhsa_enable_private_segment 0
		.amdhsa_system_sgpr_workgroup_id_x 1
		.amdhsa_system_sgpr_workgroup_id_y 0
		.amdhsa_system_sgpr_workgroup_id_z 0
		.amdhsa_system_sgpr_workgroup_info 0
		.amdhsa_system_vgpr_workitem_id 0
		.amdhsa_next_free_vgpr 18
		.amdhsa_next_free_sgpr 28
		.amdhsa_reserve_vcc 1
		.amdhsa_float_round_mode_32 0
		.amdhsa_float_round_mode_16_64 0
		.amdhsa_float_denorm_mode_32 3
		.amdhsa_float_denorm_mode_16_64 3
		.amdhsa_dx10_clamp 1
		.amdhsa_ieee_mode 1
		.amdhsa_fp16_overflow 0
		.amdhsa_workgroup_processor_mode 1
		.amdhsa_memory_ordered 1
		.amdhsa_forward_progress 0
		.amdhsa_shared_vgpr_count 0
		.amdhsa_exception_fp_ieee_invalid_op 0
		.amdhsa_exception_fp_denorm_src 0
		.amdhsa_exception_fp_ieee_div_zero 0
		.amdhsa_exception_fp_ieee_overflow 0
		.amdhsa_exception_fp_ieee_underflow 0
		.amdhsa_exception_fp_ieee_inexact 0
		.amdhsa_exception_int_div_zero 0
	.end_amdhsa_kernel
	.section	.text._ZN2at6native32elementwise_kernel_manual_unrollILi128ELi4EZNS0_15gpu_kernel_implIZZZNS0_21clamp_min_kernel_cudaERNS_18TensorIteratorBaseERKN3c106ScalarEENKUlvE_clEvENKUlvE4_clEvEUldE_EEvS4_RKT_EUlibE_EEviT1_,"axG",@progbits,_ZN2at6native32elementwise_kernel_manual_unrollILi128ELi4EZNS0_15gpu_kernel_implIZZZNS0_21clamp_min_kernel_cudaERNS_18TensorIteratorBaseERKN3c106ScalarEENKUlvE_clEvENKUlvE4_clEvEUldE_EEvS4_RKT_EUlibE_EEviT1_,comdat
.Lfunc_end392:
	.size	_ZN2at6native32elementwise_kernel_manual_unrollILi128ELi4EZNS0_15gpu_kernel_implIZZZNS0_21clamp_min_kernel_cudaERNS_18TensorIteratorBaseERKN3c106ScalarEENKUlvE_clEvENKUlvE4_clEvEUldE_EEvS4_RKT_EUlibE_EEviT1_, .Lfunc_end392-_ZN2at6native32elementwise_kernel_manual_unrollILi128ELi4EZNS0_15gpu_kernel_implIZZZNS0_21clamp_min_kernel_cudaERNS_18TensorIteratorBaseERKN3c106ScalarEENKUlvE_clEvENKUlvE4_clEvEUldE_EEvS4_RKT_EUlibE_EEviT1_
                                        ; -- End function
	.section	.AMDGPU.csdata,"",@progbits
; Kernel info:
; codeLenInByte = 35612
; NumSgprs: 30
; NumVgprs: 18
; ScratchSize: 0
; MemoryBound: 1
; FloatMode: 240
; IeeeMode: 1
; LDSByteSize: 0 bytes/workgroup (compile time only)
; SGPRBlocks: 3
; VGPRBlocks: 2
; NumSGPRsForWavesPerEU: 30
; NumVGPRsForWavesPerEU: 18
; Occupancy: 16
; WaveLimiterHint : 0
; COMPUTE_PGM_RSRC2:SCRATCH_EN: 0
; COMPUTE_PGM_RSRC2:USER_SGPR: 15
; COMPUTE_PGM_RSRC2:TRAP_HANDLER: 0
; COMPUTE_PGM_RSRC2:TGID_X_EN: 1
; COMPUTE_PGM_RSRC2:TGID_Y_EN: 0
; COMPUTE_PGM_RSRC2:TGID_Z_EN: 0
; COMPUTE_PGM_RSRC2:TIDIG_COMP_CNT: 0
	.section	.text._ZN2at6native32elementwise_kernel_manual_unrollILi128ELi4EZNS0_15gpu_kernel_implIZZZNS0_21clamp_min_kernel_cudaERNS_18TensorIteratorBaseERKN3c106ScalarEENKUlvE_clEvENKUlvE4_clEvEUldE_EEvS4_RKT_EUlibE0_EEviT1_,"axG",@progbits,_ZN2at6native32elementwise_kernel_manual_unrollILi128ELi4EZNS0_15gpu_kernel_implIZZZNS0_21clamp_min_kernel_cudaERNS_18TensorIteratorBaseERKN3c106ScalarEENKUlvE_clEvENKUlvE4_clEvEUldE_EEvS4_RKT_EUlibE0_EEviT1_,comdat
	.globl	_ZN2at6native32elementwise_kernel_manual_unrollILi128ELi4EZNS0_15gpu_kernel_implIZZZNS0_21clamp_min_kernel_cudaERNS_18TensorIteratorBaseERKN3c106ScalarEENKUlvE_clEvENKUlvE4_clEvEUldE_EEvS4_RKT_EUlibE0_EEviT1_ ; -- Begin function _ZN2at6native32elementwise_kernel_manual_unrollILi128ELi4EZNS0_15gpu_kernel_implIZZZNS0_21clamp_min_kernel_cudaERNS_18TensorIteratorBaseERKN3c106ScalarEENKUlvE_clEvENKUlvE4_clEvEUldE_EEvS4_RKT_EUlibE0_EEviT1_
	.p2align	8
	.type	_ZN2at6native32elementwise_kernel_manual_unrollILi128ELi4EZNS0_15gpu_kernel_implIZZZNS0_21clamp_min_kernel_cudaERNS_18TensorIteratorBaseERKN3c106ScalarEENKUlvE_clEvENKUlvE4_clEvEUldE_EEvS4_RKT_EUlibE0_EEviT1_,@function
_ZN2at6native32elementwise_kernel_manual_unrollILi128ELi4EZNS0_15gpu_kernel_implIZZZNS0_21clamp_min_kernel_cudaERNS_18TensorIteratorBaseERKN3c106ScalarEENKUlvE_clEvENKUlvE4_clEvEUldE_EEvS4_RKT_EUlibE0_EEviT1_: ; @_ZN2at6native32elementwise_kernel_manual_unrollILi128ELi4EZNS0_15gpu_kernel_implIZZZNS0_21clamp_min_kernel_cudaERNS_18TensorIteratorBaseERKN3c106ScalarEENKUlvE_clEvENKUlvE4_clEvEUldE_EEvS4_RKT_EUlibE0_EEviT1_
; %bb.0:
	s_clause 0x1
	s_load_b32 s26, s[0:1], 0x8
	s_load_b32 s34, s[0:1], 0x0
	v_lshl_or_b32 v9, s15, 9, v0
	s_or_b32 s16, s0, 8
	s_mov_b32 s3, -1
	s_mov_b32 s28, 0
	s_mov_b32 s17, s1
	v_or_b32_e32 v3, 0x180, v9
	s_mov_b32 s8, 0
	s_mov_b32 s2, exec_lo
	s_waitcnt lgkmcnt(0)
	s_add_i32 s27, s26, -1
	s_delay_alu instid0(SALU_CYCLE_1)
	s_cmp_gt_u32 s27, 1
	s_cselect_b32 s29, -1, 0
	v_cmpx_le_i32_e64 s34, v3
	s_xor_b32 s30, exec_lo, s2
	s_cbranch_execz .LBB393_1076
; %bb.1:
	s_clause 0x5
	s_load_b32 s31, s[16:17], 0x160
	s_load_b64 s[18:19], s[16:17], 0x158
	s_load_b128 s[12:15], s[16:17], 0x4
	s_load_b64 s[20:21], s[16:17], 0x14
	s_load_b128 s[8:11], s[16:17], 0xc4
	s_load_b128 s[4:7], s[16:17], 0x148
	s_cmp_lg_u32 s26, 0
	s_mov_b32 s40, 0
	s_cselect_b32 s36, -1, 0
	s_add_u32 s22, s16, 0xc4
	s_addc_u32 s23, s17, 0
	s_min_u32 s35, s27, 15
	s_cmp_gt_u32 s26, 1
	s_mov_b32 s38, 0
	s_cselect_b32 s33, -1, 0
	s_mov_b32 s37, 0
	s_mov_b32 s39, exec_lo
	s_waitcnt lgkmcnt(0)
	v_lshrrev_b16 v8, 8, s31
	v_cmpx_gt_i32_e64 s34, v9
	s_cbranch_execz .LBB393_263
; %bb.2:
	s_and_not1_b32 vcc_lo, exec_lo, s29
	s_cbranch_vccnz .LBB393_7
; %bb.3:
	v_dual_mov_b32 v0, 0 :: v_dual_mov_b32 v1, 0
	s_and_not1_b32 vcc_lo, exec_lo, s36
	s_cbranch_vccnz .LBB393_12
; %bb.4:
	v_mov_b32_e32 v0, 0
	s_add_i32 s41, s35, 1
	s_cmp_eq_u32 s27, 2
	s_cbranch_scc1 .LBB393_8
; %bb.5:
	v_dual_mov_b32 v1, 0 :: v_dual_mov_b32 v0, 0
	v_mov_b32_e32 v2, v9
	s_and_b32 s38, s41, 28
	s_mov_b32 s42, 0
	s_mov_b64 s[2:3], s[22:23]
	s_mov_b64 s[24:25], s[16:17]
.LBB393_6:                              ; =>This Inner Loop Header: Depth=1
	s_clause 0x1
	s_load_b256 s[44:51], s[24:25], 0x4
	s_load_b128 s[60:63], s[24:25], 0x24
	s_load_b256 s[52:59], s[2:3], 0x0
	s_add_u32 s24, s24, 48
	s_addc_u32 s25, s25, 0
	s_add_i32 s42, s42, 4
	s_add_u32 s2, s2, 32
	s_addc_u32 s3, s3, 0
	s_cmp_lg_u32 s38, s42
	s_waitcnt lgkmcnt(0)
	v_mul_hi_u32 v3, s45, v2
	s_delay_alu instid0(VALU_DEP_1) | instskip(NEXT) | instid1(VALU_DEP_1)
	v_add_nc_u32_e32 v3, v2, v3
	v_lshrrev_b32_e32 v3, s46, v3
	s_delay_alu instid0(VALU_DEP_1) | instskip(SKIP_1) | instid1(VALU_DEP_2)
	v_mul_hi_u32 v4, s48, v3
	v_mul_lo_u32 v6, v3, s44
	v_add_nc_u32_e32 v4, v3, v4
	s_delay_alu instid0(VALU_DEP_2) | instskip(NEXT) | instid1(VALU_DEP_2)
	v_sub_nc_u32_e32 v2, v2, v6
	v_lshrrev_b32_e32 v4, s49, v4
	s_delay_alu instid0(VALU_DEP_2) | instskip(SKIP_1) | instid1(VALU_DEP_3)
	v_mul_lo_u32 v6, v2, s52
	v_mul_lo_u32 v10, v2, s53
	v_mul_hi_u32 v5, s51, v4
	s_delay_alu instid0(VALU_DEP_1) | instskip(NEXT) | instid1(VALU_DEP_1)
	v_add_nc_u32_e32 v5, v4, v5
	v_lshrrev_b32_e32 v5, s60, v5
	s_delay_alu instid0(VALU_DEP_1) | instskip(SKIP_1) | instid1(VALU_DEP_2)
	v_mul_hi_u32 v7, s62, v5
	v_mul_lo_u32 v11, v5, s50
	v_add_nc_u32_e32 v2, v5, v7
	v_mul_lo_u32 v7, v4, s47
	s_delay_alu instid0(VALU_DEP_3) | instskip(NEXT) | instid1(VALU_DEP_3)
	v_sub_nc_u32_e32 v4, v4, v11
	v_lshrrev_b32_e32 v2, s63, v2
	s_delay_alu instid0(VALU_DEP_2) | instskip(SKIP_2) | instid1(VALU_DEP_4)
	v_mul_lo_u32 v11, v4, s56
	v_mul_lo_u32 v4, v4, s57
	v_sub_nc_u32_e32 v3, v3, v7
	v_mul_lo_u32 v12, v2, s61
	s_delay_alu instid0(VALU_DEP_2) | instskip(SKIP_1) | instid1(VALU_DEP_3)
	v_mul_lo_u32 v7, v3, s54
	v_mul_lo_u32 v3, v3, s55
	v_sub_nc_u32_e32 v5, v5, v12
	s_delay_alu instid0(VALU_DEP_3) | instskip(NEXT) | instid1(VALU_DEP_2)
	v_add3_u32 v0, v6, v0, v7
	v_mul_lo_u32 v12, v5, s58
	v_mul_lo_u32 v5, v5, s59
	v_add3_u32 v1, v10, v1, v3
	s_delay_alu instid0(VALU_DEP_3) | instskip(NEXT) | instid1(VALU_DEP_2)
	v_add3_u32 v0, v11, v0, v12
	v_add3_u32 v1, v4, v1, v5
	s_cbranch_scc1 .LBB393_6
	s_branch .LBB393_9
.LBB393_7:
	s_mov_b32 s37, -1
                                        ; implicit-def: $vgpr0
                                        ; implicit-def: $vgpr1
	s_branch .LBB393_12
.LBB393_8:
	v_dual_mov_b32 v2, v9 :: v_dual_mov_b32 v1, 0
.LBB393_9:
	s_and_b32 s41, s41, 3
	s_delay_alu instid0(SALU_CYCLE_1)
	s_cmp_eq_u32 s41, 0
	s_cbranch_scc1 .LBB393_12
; %bb.10:
	s_lshl_b32 s2, s38, 3
	s_mul_i32 s24, s38, 12
	s_add_u32 s2, s2, s16
	s_addc_u32 s3, s17, 0
	s_add_u32 s2, s2, 0xc4
	s_addc_u32 s3, s3, 0
	;; [unrolled: 2-line block ×3, first 2 shown]
	.p2align	6
.LBB393_11:                             ; =>This Inner Loop Header: Depth=1
	s_clause 0x1
	s_load_b64 s[42:43], s[24:25], 0x4
	s_load_b32 s38, s[24:25], 0xc
	s_load_b64 s[44:45], s[2:3], 0x0
	s_add_u32 s24, s24, 12
	s_addc_u32 s25, s25, 0
	s_add_u32 s2, s2, 8
	s_addc_u32 s3, s3, 0
	s_add_i32 s41, s41, -1
	s_delay_alu instid0(SALU_CYCLE_1) | instskip(SKIP_2) | instid1(VALU_DEP_1)
	s_cmp_lg_u32 s41, 0
	s_waitcnt lgkmcnt(0)
	v_mul_hi_u32 v3, s43, v2
	v_add_nc_u32_e32 v3, v2, v3
	s_delay_alu instid0(VALU_DEP_1) | instskip(NEXT) | instid1(VALU_DEP_1)
	v_lshrrev_b32_e32 v6, s38, v3
	v_mul_lo_u32 v3, v6, s42
	s_delay_alu instid0(VALU_DEP_1) | instskip(NEXT) | instid1(VALU_DEP_1)
	v_sub_nc_u32_e32 v2, v2, v3
	v_mad_u64_u32 v[3:4], null, v2, s44, v[0:1]
	v_mad_u64_u32 v[4:5], null, v2, s45, v[1:2]
	v_mov_b32_e32 v2, v6
	s_delay_alu instid0(VALU_DEP_2)
	v_dual_mov_b32 v0, v3 :: v_dual_mov_b32 v1, v4
	s_cbranch_scc1 .LBB393_11
.LBB393_12:
	s_and_not1_b32 vcc_lo, exec_lo, s37
	s_cbranch_vccnz .LBB393_15
; %bb.13:
	v_mul_hi_u32 v0, s13, v9
	s_and_not1_b32 vcc_lo, exec_lo, s33
	s_delay_alu instid0(VALU_DEP_1) | instskip(NEXT) | instid1(VALU_DEP_1)
	v_add_nc_u32_e32 v0, v9, v0
	v_lshrrev_b32_e32 v2, s14, v0
	s_delay_alu instid0(VALU_DEP_1) | instskip(NEXT) | instid1(VALU_DEP_1)
	v_mul_lo_u32 v0, v2, s12
	v_sub_nc_u32_e32 v1, v9, v0
	s_delay_alu instid0(VALU_DEP_1)
	v_mul_lo_u32 v0, v1, s8
	v_mul_lo_u32 v1, v1, s9
	s_cbranch_vccnz .LBB393_15
; %bb.14:
	v_mul_hi_u32 v3, s20, v2
	s_delay_alu instid0(VALU_DEP_1) | instskip(NEXT) | instid1(VALU_DEP_1)
	v_add_nc_u32_e32 v3, v2, v3
	v_lshrrev_b32_e32 v3, s21, v3
	s_delay_alu instid0(VALU_DEP_1) | instskip(NEXT) | instid1(VALU_DEP_1)
	v_mul_lo_u32 v3, v3, s15
	v_sub_nc_u32_e32 v5, v2, v3
	s_delay_alu instid0(VALU_DEP_1) | instskip(NEXT) | instid1(VALU_DEP_1)
	v_mad_u64_u32 v[2:3], null, v5, s10, v[0:1]
	v_mad_u64_u32 v[3:4], null, v5, s11, v[1:2]
	s_delay_alu instid0(VALU_DEP_1)
	v_dual_mov_b32 v0, v2 :: v_dual_mov_b32 v1, v3
.LBB393_15:
	v_cmp_gt_i16_e32 vcc_lo, 11, v8
	s_delay_alu instid0(VALU_DEP_2) | instskip(NEXT) | instid1(VALU_DEP_1)
	v_add_co_u32 v1, s2, s6, v1
	v_add_co_ci_u32_e64 v2, null, s7, 0, s2
	s_mov_b32 s24, 0
	s_cbranch_vccnz .LBB393_22
; %bb.16:
	v_cmp_lt_i16_e32 vcc_lo, 25, v8
	s_cbranch_vccz .LBB393_141
; %bb.17:
	v_cmp_lt_i16_e32 vcc_lo, 28, v8
	s_cbranch_vccz .LBB393_142
	;; [unrolled: 3-line block ×4, first 2 shown]
; %bb.20:
	v_cmp_eq_u16_e32 vcc_lo, 46, v8
	s_mov_b32 s3, 0
	s_cbranch_vccz .LBB393_145
; %bb.21:
	global_load_b32 v3, v[1:2], off
	s_mov_b32 s2, -1
	s_waitcnt vmcnt(0)
	v_lshlrev_b32_e32 v3, 16, v3
	s_delay_alu instid0(VALU_DEP_1)
	v_cvt_f64_f32_e32 v[6:7], v3
	s_branch .LBB393_147
.LBB393_22:
	s_mov_b32 s2, 0
                                        ; implicit-def: $vgpr6_vgpr7
	s_cbranch_execnz .LBB393_213
.LBB393_23:
	s_and_not1_b32 vcc_lo, exec_lo, s2
	s_cbranch_vccnz .LBB393_260
.LBB393_24:
	v_max_f64 v[1:2], s[18:19], s[18:19]
	s_waitcnt vmcnt(0)
	s_delay_alu instid0(VALU_DEP_2) | instskip(SKIP_3) | instid1(VALU_DEP_1)
	v_max_f64 v[3:4], v[6:7], v[6:7]
	v_cmp_u_f64_e32 vcc_lo, v[6:7], v[6:7]
	v_and_b32_e64 v10, 0xff, s31
	s_mov_b32 s3, 0
	v_cmp_gt_i16_e64 s2, 11, v10
	s_delay_alu instid0(VALU_DEP_4) | instskip(SKIP_1) | instid1(VALU_DEP_1)
	v_max_f64 v[2:3], v[3:4], v[1:2]
	v_add_co_u32 v4, s25, s4, v0
	v_add_co_ci_u32_e64 v5, null, s5, 0, s25
	s_mov_b32 s25, -1
	s_delay_alu instid0(VALU_DEP_3)
	v_dual_cndmask_b32 v1, v3, v7 :: v_dual_cndmask_b32 v0, v2, v6
	s_and_b32 vcc_lo, exec_lo, s2
	s_mov_b32 s2, 0
	s_cbranch_vccnz .LBB393_101
; %bb.25:
	v_cmp_lt_i16_e32 vcc_lo, 25, v10
	s_cbranch_vccz .LBB393_58
; %bb.26:
	v_cmp_lt_i16_e32 vcc_lo, 28, v10
	s_cbranch_vccz .LBB393_41
	;; [unrolled: 3-line block ×4, first 2 shown]
; %bb.29:
	v_cmp_eq_u16_e32 vcc_lo, 46, v10
	s_mov_b32 s25, 0
	s_mov_b32 s3, -1
	s_cbranch_vccz .LBB393_31
; %bb.30:
	v_cvt_f32_f64_e32 v2, v[0:1]
	s_mov_b32 s2, -1
	s_mov_b32 s3, 0
	s_delay_alu instid0(VALU_DEP_1) | instskip(SKIP_1) | instid1(VALU_DEP_2)
	v_bfe_u32 v3, v2, 16, 1
	v_cmp_o_f32_e32 vcc_lo, v2, v2
	v_add3_u32 v3, v2, v3, 0x7fff
	s_delay_alu instid0(VALU_DEP_1) | instskip(NEXT) | instid1(VALU_DEP_1)
	v_lshrrev_b32_e32 v3, 16, v3
	v_cndmask_b32_e32 v2, 0x7fc0, v3, vcc_lo
	global_store_b32 v[4:5], v2, off
.LBB393_31:
	s_and_b32 vcc_lo, exec_lo, s25
	s_cbranch_vccz .LBB393_36
; %bb.32:
	v_cmp_eq_u16_e32 vcc_lo, 44, v10
	s_mov_b32 s3, -1
	s_cbranch_vccz .LBB393_36
; %bb.33:
	v_cvt_f32_f64_e32 v2, v[0:1]
	v_mov_b32_e32 v3, 0xff
	s_mov_b32 s3, exec_lo
	s_delay_alu instid0(VALU_DEP_2) | instskip(NEXT) | instid1(VALU_DEP_1)
	v_bfe_u32 v6, v2, 23, 8
	v_cmpx_ne_u32_e32 0xff, v6
; %bb.34:
	v_and_b32_e32 v3, 0x400000, v2
	v_and_or_b32 v6, 0x3fffff, v2, v6
	v_lshrrev_b32_e32 v2, 23, v2
	s_delay_alu instid0(VALU_DEP_3) | instskip(NEXT) | instid1(VALU_DEP_3)
	v_cmp_ne_u32_e32 vcc_lo, 0, v3
	v_cmp_ne_u32_e64 s2, 0, v6
	s_delay_alu instid0(VALU_DEP_1) | instskip(NEXT) | instid1(SALU_CYCLE_1)
	s_and_b32 s2, vcc_lo, s2
	v_cndmask_b32_e64 v3, 0, 1, s2
	s_delay_alu instid0(VALU_DEP_1)
	v_add_nc_u32_e32 v3, v2, v3
; %bb.35:
	s_or_b32 exec_lo, exec_lo, s3
	s_mov_b32 s2, -1
	s_mov_b32 s3, 0
	global_store_b8 v[4:5], v3, off
.LBB393_36:
	s_mov_b32 s25, 0
.LBB393_37:
	s_delay_alu instid0(SALU_CYCLE_1)
	s_and_b32 vcc_lo, exec_lo, s25
	s_cbranch_vccz .LBB393_40
; %bb.38:
	v_cmp_eq_u16_e32 vcc_lo, 29, v10
	s_mov_b32 s3, -1
	s_cbranch_vccz .LBB393_40
; %bb.39:
	v_trunc_f64_e32 v[2:3], v[0:1]
	s_mov_b32 s2, -1
	s_mov_b32 s3, 0
	s_delay_alu instid0(VALU_DEP_1) | instskip(NEXT) | instid1(VALU_DEP_1)
	v_ldexp_f64 v[6:7], v[2:3], 0xffffffe0
	v_floor_f64_e32 v[6:7], v[6:7]
	s_delay_alu instid0(VALU_DEP_1) | instskip(SKIP_1) | instid1(VALU_DEP_2)
	v_fma_f64 v[2:3], 0xc1f00000, v[6:7], v[2:3]
	v_cvt_u32_f64_e32 v7, v[6:7]
	v_cvt_u32_f64_e32 v6, v[2:3]
	global_store_b64 v[4:5], v[6:7], off
.LBB393_40:
	s_mov_b32 s25, 0
.LBB393_41:
	s_delay_alu instid0(SALU_CYCLE_1)
	s_and_b32 vcc_lo, exec_lo, s25
	s_cbranch_vccz .LBB393_57
; %bb.42:
	v_cmp_gt_i16_e32 vcc_lo, 27, v10
	s_mov_b32 s2, -1
	s_cbranch_vccnz .LBB393_48
; %bb.43:
	v_cmp_lt_i16_e32 vcc_lo, 27, v10
	s_cbranch_vccz .LBB393_45
; %bb.44:
	v_cvt_u32_f64_e32 v2, v[0:1]
	s_mov_b32 s2, 0
	global_store_b32 v[4:5], v2, off
.LBB393_45:
	s_and_not1_b32 vcc_lo, exec_lo, s2
	s_cbranch_vccnz .LBB393_47
; %bb.46:
	v_cvt_u32_f64_e32 v2, v[0:1]
	global_store_b16 v[4:5], v2, off
.LBB393_47:
	s_mov_b32 s2, 0
.LBB393_48:
	s_delay_alu instid0(SALU_CYCLE_1)
	s_and_not1_b32 vcc_lo, exec_lo, s2
	s_cbranch_vccnz .LBB393_56
; %bb.49:
	v_cvt_f32_f64_e32 v2, v[0:1]
	v_mov_b32_e32 v6, 0x80
	s_mov_b32 s2, exec_lo
	s_delay_alu instid0(VALU_DEP_2) | instskip(NEXT) | instid1(VALU_DEP_1)
	v_and_b32_e32 v3, 0x7fffffff, v2
	v_cmpx_gt_u32_e32 0x43800000, v3
	s_cbranch_execz .LBB393_55
; %bb.50:
	v_cmp_lt_u32_e32 vcc_lo, 0x3bffffff, v3
	s_mov_b32 s25, 0
                                        ; implicit-def: $vgpr3
	s_and_saveexec_b32 s37, vcc_lo
	s_delay_alu instid0(SALU_CYCLE_1)
	s_xor_b32 s37, exec_lo, s37
	s_cbranch_execz .LBB393_150
; %bb.51:
	v_bfe_u32 v3, v2, 20, 1
	s_mov_b32 s25, exec_lo
	s_delay_alu instid0(VALU_DEP_1) | instskip(NEXT) | instid1(VALU_DEP_1)
	v_add3_u32 v3, v2, v3, 0x487ffff
	v_lshrrev_b32_e32 v3, 20, v3
	s_or_saveexec_b32 s37, s37
                                        ; implicit-def: $sgpr38
	s_delay_alu instid0(SALU_CYCLE_1)
	s_xor_b32 exec_lo, exec_lo, s37
	s_cbranch_execnz .LBB393_151
.LBB393_52:
	s_or_b32 exec_lo, exec_lo, s37
	v_mov_b32_e32 v6, s38
	s_and_saveexec_b32 s37, s25
.LBB393_53:
	v_lshrrev_b32_e32 v2, 24, v2
	s_delay_alu instid0(VALU_DEP_1)
	v_and_or_b32 v6, 0x80, v2, v3
.LBB393_54:
	s_or_b32 exec_lo, exec_lo, s37
.LBB393_55:
	s_delay_alu instid0(SALU_CYCLE_1)
	s_or_b32 exec_lo, exec_lo, s2
	global_store_b8 v[4:5], v6, off
.LBB393_56:
	s_mov_b32 s2, -1
.LBB393_57:
	s_mov_b32 s25, 0
.LBB393_58:
	s_delay_alu instid0(SALU_CYCLE_1)
	s_and_b32 vcc_lo, exec_lo, s25
	s_cbranch_vccz .LBB393_99
; %bb.59:
	v_cmp_lt_i16_e32 vcc_lo, 22, v10
	s_mov_b32 s25, -1
	s_cbranch_vccz .LBB393_91
; %bb.60:
	v_cmp_gt_i16_e32 vcc_lo, 24, v10
	s_mov_b32 s2, -1
	s_cbranch_vccnz .LBB393_80
; %bb.61:
	v_cmp_lt_i16_e32 vcc_lo, 24, v10
	s_cbranch_vccz .LBB393_69
; %bb.62:
	v_cvt_f32_f64_e32 v2, v[0:1]
	v_mov_b32_e32 v6, 0x80
	s_mov_b32 s2, exec_lo
	s_delay_alu instid0(VALU_DEP_2) | instskip(NEXT) | instid1(VALU_DEP_1)
	v_and_b32_e32 v3, 0x7fffffff, v2
	v_cmpx_gt_u32_e32 0x47800000, v3
	s_cbranch_execz .LBB393_68
; %bb.63:
	v_cmp_lt_u32_e32 vcc_lo, 0x37ffffff, v3
	s_mov_b32 s25, 0
                                        ; implicit-def: $vgpr3
	s_and_saveexec_b32 s37, vcc_lo
	s_delay_alu instid0(SALU_CYCLE_1)
	s_xor_b32 s37, exec_lo, s37
	s_cbranch_execz .LBB393_341
; %bb.64:
	v_bfe_u32 v3, v2, 21, 1
	s_mov_b32 s25, exec_lo
	s_delay_alu instid0(VALU_DEP_1) | instskip(NEXT) | instid1(VALU_DEP_1)
	v_add3_u32 v3, v2, v3, 0x88fffff
	v_lshrrev_b32_e32 v3, 21, v3
	s_or_saveexec_b32 s37, s37
                                        ; implicit-def: $sgpr38
	s_delay_alu instid0(SALU_CYCLE_1)
	s_xor_b32 exec_lo, exec_lo, s37
	s_cbranch_execnz .LBB393_342
.LBB393_65:
	s_or_b32 exec_lo, exec_lo, s37
	v_mov_b32_e32 v6, s38
	s_and_saveexec_b32 s37, s25
.LBB393_66:
	v_lshrrev_b32_e32 v2, 24, v2
	s_delay_alu instid0(VALU_DEP_1)
	v_and_or_b32 v6, 0x80, v2, v3
.LBB393_67:
	s_or_b32 exec_lo, exec_lo, s37
.LBB393_68:
	s_delay_alu instid0(SALU_CYCLE_1)
	s_or_b32 exec_lo, exec_lo, s2
	s_mov_b32 s2, 0
	global_store_b8 v[4:5], v6, off
.LBB393_69:
	s_and_b32 vcc_lo, exec_lo, s2
	s_cbranch_vccz .LBB393_79
; %bb.70:
	v_cvt_f32_f64_e32 v2, v[0:1]
	s_mov_b32 s2, exec_lo
                                        ; implicit-def: $vgpr3
	s_delay_alu instid0(VALU_DEP_1) | instskip(NEXT) | instid1(VALU_DEP_1)
	v_and_b32_e32 v6, 0x7fffffff, v2
	v_cmpx_gt_u32_e32 0x43f00000, v6
	s_xor_b32 s2, exec_lo, s2
	s_cbranch_execz .LBB393_76
; %bb.71:
	s_mov_b32 s25, exec_lo
                                        ; implicit-def: $vgpr3
	v_cmpx_lt_u32_e32 0x3c7fffff, v6
	s_xor_b32 s25, exec_lo, s25
; %bb.72:
	v_bfe_u32 v3, v2, 20, 1
	s_delay_alu instid0(VALU_DEP_1) | instskip(NEXT) | instid1(VALU_DEP_1)
	v_add3_u32 v3, v2, v3, 0x407ffff
	v_and_b32_e32 v6, 0xff00000, v3
	v_lshrrev_b32_e32 v3, 20, v3
	s_delay_alu instid0(VALU_DEP_2) | instskip(NEXT) | instid1(VALU_DEP_2)
	v_cmp_ne_u32_e32 vcc_lo, 0x7f00000, v6
	v_cndmask_b32_e32 v3, 0x7e, v3, vcc_lo
; %bb.73:
	s_and_not1_saveexec_b32 s25, s25
; %bb.74:
	v_add_f32_e64 v3, 0x46800000, |v2|
; %bb.75:
	s_or_b32 exec_lo, exec_lo, s25
                                        ; implicit-def: $vgpr6
.LBB393_76:
	s_and_not1_saveexec_b32 s2, s2
; %bb.77:
	v_mov_b32_e32 v3, 0x7f
	v_cmp_lt_u32_e32 vcc_lo, 0x7f800000, v6
	s_delay_alu instid0(VALU_DEP_2)
	v_cndmask_b32_e32 v3, 0x7e, v3, vcc_lo
; %bb.78:
	s_or_b32 exec_lo, exec_lo, s2
	v_lshrrev_b32_e32 v2, 24, v2
	s_delay_alu instid0(VALU_DEP_1)
	v_and_or_b32 v2, 0x80, v2, v3
	global_store_b8 v[4:5], v2, off
.LBB393_79:
	s_mov_b32 s2, 0
.LBB393_80:
	s_delay_alu instid0(SALU_CYCLE_1)
	s_and_not1_b32 vcc_lo, exec_lo, s2
	s_cbranch_vccnz .LBB393_90
; %bb.81:
	v_cvt_f32_f64_e32 v2, v[0:1]
	s_mov_b32 s2, exec_lo
                                        ; implicit-def: $vgpr3
	s_delay_alu instid0(VALU_DEP_1) | instskip(NEXT) | instid1(VALU_DEP_1)
	v_and_b32_e32 v6, 0x7fffffff, v2
	v_cmpx_gt_u32_e32 0x47800000, v6
	s_xor_b32 s2, exec_lo, s2
	s_cbranch_execz .LBB393_87
; %bb.82:
	s_mov_b32 s25, exec_lo
                                        ; implicit-def: $vgpr3
	v_cmpx_lt_u32_e32 0x387fffff, v6
	s_xor_b32 s25, exec_lo, s25
; %bb.83:
	v_bfe_u32 v3, v2, 21, 1
	s_delay_alu instid0(VALU_DEP_1) | instskip(NEXT) | instid1(VALU_DEP_1)
	v_add3_u32 v3, v2, v3, 0x80fffff
	v_lshrrev_b32_e32 v3, 21, v3
; %bb.84:
	s_and_not1_saveexec_b32 s25, s25
; %bb.85:
	v_add_f32_e64 v3, 0x43000000, |v2|
; %bb.86:
	s_or_b32 exec_lo, exec_lo, s25
                                        ; implicit-def: $vgpr6
.LBB393_87:
	s_and_not1_saveexec_b32 s2, s2
; %bb.88:
	v_mov_b32_e32 v3, 0x7f
	v_cmp_lt_u32_e32 vcc_lo, 0x7f800000, v6
	s_delay_alu instid0(VALU_DEP_2)
	v_cndmask_b32_e32 v3, 0x7c, v3, vcc_lo
; %bb.89:
	s_or_b32 exec_lo, exec_lo, s2
	v_lshrrev_b32_e32 v2, 24, v2
	s_delay_alu instid0(VALU_DEP_1)
	v_and_or_b32 v2, 0x80, v2, v3
	global_store_b8 v[4:5], v2, off
.LBB393_90:
	s_mov_b32 s25, 0
	s_mov_b32 s2, -1
.LBB393_91:
	s_and_not1_b32 vcc_lo, exec_lo, s25
	s_cbranch_vccnz .LBB393_99
; %bb.92:
	v_cmp_lt_i16_e32 vcc_lo, 14, v10
	s_mov_b32 s25, -1
	s_cbranch_vccz .LBB393_96
; %bb.93:
	v_cmp_eq_u16_e32 vcc_lo, 15, v10
	s_mov_b32 s3, -1
	s_cbranch_vccz .LBB393_95
; %bb.94:
	v_cvt_f32_f64_e32 v2, v[0:1]
	s_mov_b32 s2, -1
	s_mov_b32 s3, 0
	s_delay_alu instid0(VALU_DEP_1) | instskip(SKIP_1) | instid1(VALU_DEP_2)
	v_bfe_u32 v3, v2, 16, 1
	v_cmp_o_f32_e32 vcc_lo, v2, v2
	v_add3_u32 v3, v2, v3, 0x7fff
	s_delay_alu instid0(VALU_DEP_1) | instskip(NEXT) | instid1(VALU_DEP_1)
	v_lshrrev_b32_e32 v3, 16, v3
	v_cndmask_b32_e32 v2, 0x7fc0, v3, vcc_lo
	global_store_b16 v[4:5], v2, off
.LBB393_95:
	s_mov_b32 s25, 0
.LBB393_96:
	s_delay_alu instid0(SALU_CYCLE_1)
	s_and_b32 vcc_lo, exec_lo, s25
	s_cbranch_vccz .LBB393_99
; %bb.97:
	v_cmp_eq_u16_e32 vcc_lo, 11, v10
	s_mov_b32 s3, -1
	s_cbranch_vccz .LBB393_99
; %bb.98:
	v_cmp_neq_f64_e32 vcc_lo, 0, v[0:1]
	s_mov_b32 s2, -1
	s_mov_b32 s3, 0
	v_cndmask_b32_e64 v2, 0, 1, vcc_lo
	global_store_b8 v[4:5], v2, off
.LBB393_99:
.LBB393_100:
	s_and_not1_b32 vcc_lo, exec_lo, s2
	s_cbranch_vccz .LBB393_140
	s_branch .LBB393_261
.LBB393_101:
	s_and_b32 vcc_lo, exec_lo, s25
	s_cbranch_vccz .LBB393_100
; %bb.102:
	v_cmp_gt_i16_e32 vcc_lo, 5, v10
	s_mov_b32 s2, -1
	s_cbranch_vccnz .LBB393_123
; %bb.103:
	v_cmp_gt_i16_e32 vcc_lo, 8, v10
	s_cbranch_vccnz .LBB393_113
; %bb.104:
	v_cmp_gt_i16_e32 vcc_lo, 9, v10
	s_cbranch_vccnz .LBB393_110
; %bb.105:
	v_cmp_lt_i16_e32 vcc_lo, 9, v10
	s_cbranch_vccz .LBB393_107
; %bb.106:
	v_mov_b32_e32 v2, 0
	s_mov_b32 s2, 0
	s_delay_alu instid0(VALU_DEP_1)
	v_mov_b32_e32 v3, v2
	global_store_b128 v[4:5], v[0:3], off
.LBB393_107:
	s_and_not1_b32 vcc_lo, exec_lo, s2
	s_cbranch_vccnz .LBB393_109
; %bb.108:
	v_cvt_f32_f64_e32 v2, v[0:1]
	v_mov_b32_e32 v3, 0
	global_store_b64 v[4:5], v[2:3], off
.LBB393_109:
	s_mov_b32 s2, 0
.LBB393_110:
	s_delay_alu instid0(SALU_CYCLE_1)
	s_and_not1_b32 vcc_lo, exec_lo, s2
	s_cbranch_vccnz .LBB393_112
; %bb.111:
	v_cvt_f32_f64_e32 v2, v[0:1]
	s_delay_alu instid0(VALU_DEP_1) | instskip(NEXT) | instid1(VALU_DEP_1)
	v_cvt_f16_f32_e32 v2, v2
	v_and_b32_e32 v2, 0xffff, v2
	global_store_b32 v[4:5], v2, off
.LBB393_112:
	s_mov_b32 s2, 0
.LBB393_113:
	s_delay_alu instid0(SALU_CYCLE_1)
	s_and_not1_b32 vcc_lo, exec_lo, s2
	s_cbranch_vccnz .LBB393_122
; %bb.114:
	v_cmp_gt_i16_e32 vcc_lo, 6, v10
	s_mov_b32 s2, -1
	s_cbranch_vccnz .LBB393_120
; %bb.115:
	v_cmp_lt_i16_e32 vcc_lo, 6, v10
	s_cbranch_vccz .LBB393_117
; %bb.116:
	s_mov_b32 s2, 0
	global_store_b64 v[4:5], v[0:1], off
.LBB393_117:
	s_and_not1_b32 vcc_lo, exec_lo, s2
	s_cbranch_vccnz .LBB393_119
; %bb.118:
	v_cvt_f32_f64_e32 v2, v[0:1]
	global_store_b32 v[4:5], v2, off
.LBB393_119:
	s_mov_b32 s2, 0
.LBB393_120:
	s_delay_alu instid0(SALU_CYCLE_1)
	s_and_not1_b32 vcc_lo, exec_lo, s2
	s_cbranch_vccnz .LBB393_122
; %bb.121:
	v_cvt_f32_f64_e32 v2, v[0:1]
	s_delay_alu instid0(VALU_DEP_1)
	v_cvt_f16_f32_e32 v2, v2
	global_store_b16 v[4:5], v2, off
.LBB393_122:
	s_mov_b32 s2, 0
.LBB393_123:
	s_delay_alu instid0(SALU_CYCLE_1)
	s_and_not1_b32 vcc_lo, exec_lo, s2
	s_cbranch_vccnz .LBB393_139
; %bb.124:
	v_cmp_gt_i16_e32 vcc_lo, 2, v10
	s_mov_b32 s2, -1
	s_cbranch_vccnz .LBB393_134
; %bb.125:
	v_cmp_gt_i16_e32 vcc_lo, 3, v10
	s_cbranch_vccnz .LBB393_131
; %bb.126:
	v_cmp_lt_i16_e32 vcc_lo, 3, v10
	s_cbranch_vccz .LBB393_128
; %bb.127:
	v_trunc_f64_e32 v[2:3], v[0:1]
	s_mov_b32 s2, 0
	s_delay_alu instid0(VALU_DEP_1) | instskip(NEXT) | instid1(VALU_DEP_1)
	v_ldexp_f64 v[6:7], v[2:3], 0xffffffe0
	v_floor_f64_e32 v[6:7], v[6:7]
	s_delay_alu instid0(VALU_DEP_1) | instskip(SKIP_1) | instid1(VALU_DEP_2)
	v_fma_f64 v[2:3], 0xc1f00000, v[6:7], v[2:3]
	v_cvt_i32_f64_e32 v7, v[6:7]
	v_cvt_u32_f64_e32 v6, v[2:3]
	global_store_b64 v[4:5], v[6:7], off
.LBB393_128:
	s_and_not1_b32 vcc_lo, exec_lo, s2
	s_cbranch_vccnz .LBB393_130
; %bb.129:
	v_cvt_i32_f64_e32 v2, v[0:1]
	global_store_b32 v[4:5], v2, off
.LBB393_130:
	s_mov_b32 s2, 0
.LBB393_131:
	s_delay_alu instid0(SALU_CYCLE_1)
	s_and_not1_b32 vcc_lo, exec_lo, s2
	s_cbranch_vccnz .LBB393_133
; %bb.132:
	v_cvt_i32_f64_e32 v2, v[0:1]
	global_store_b16 v[4:5], v2, off
.LBB393_133:
	s_mov_b32 s2, 0
.LBB393_134:
	s_delay_alu instid0(SALU_CYCLE_1)
	s_and_not1_b32 vcc_lo, exec_lo, s2
	s_cbranch_vccnz .LBB393_139
; %bb.135:
	v_cmp_lt_i16_e32 vcc_lo, 0, v10
	s_mov_b32 s2, -1
	s_cbranch_vccz .LBB393_137
; %bb.136:
	v_cvt_i32_f64_e32 v2, v[0:1]
	s_mov_b32 s2, 0
	global_store_b8 v[4:5], v2, off
.LBB393_137:
	s_and_not1_b32 vcc_lo, exec_lo, s2
	s_cbranch_vccnz .LBB393_139
; %bb.138:
	v_trunc_f64_e32 v[0:1], v[0:1]
	s_delay_alu instid0(VALU_DEP_1) | instskip(NEXT) | instid1(VALU_DEP_1)
	v_ldexp_f64 v[2:3], v[0:1], 0xffffffe0
	v_floor_f64_e32 v[2:3], v[2:3]
	s_delay_alu instid0(VALU_DEP_1) | instskip(NEXT) | instid1(VALU_DEP_1)
	v_fma_f64 v[0:1], 0xc1f00000, v[2:3], v[0:1]
	v_cvt_u32_f64_e32 v0, v[0:1]
	global_store_b8 v[4:5], v0, off
.LBB393_139:
.LBB393_140:
	v_add_nc_u32_e32 v9, 0x80, v9
	s_mov_b32 s2, -1
	s_branch .LBB393_262
.LBB393_141:
	s_mov_b32 s2, 0
                                        ; implicit-def: $vgpr6_vgpr7
	s_cbranch_execnz .LBB393_180
	s_branch .LBB393_212
.LBB393_142:
	s_mov_b32 s3, -1
	s_mov_b32 s2, 0
                                        ; implicit-def: $vgpr6_vgpr7
	s_branch .LBB393_159
.LBB393_143:
	s_mov_b32 s3, -1
	s_mov_b32 s2, 0
                                        ; implicit-def: $vgpr6_vgpr7
	s_branch .LBB393_154
.LBB393_144:
	s_mov_b32 s3, -1
	s_branch .LBB393_146
.LBB393_145:
	s_mov_b32 s24, -1
.LBB393_146:
	s_mov_b32 s2, 0
                                        ; implicit-def: $vgpr6_vgpr7
.LBB393_147:
	s_and_b32 vcc_lo, exec_lo, s3
	s_cbranch_vccz .LBB393_153
; %bb.148:
	v_cmp_eq_u16_e32 vcc_lo, 44, v8
	s_cbranch_vccz .LBB393_152
; %bb.149:
	global_load_u8 v5, v[1:2], off
	s_mov_b32 s24, 0
	s_mov_b32 s2, -1
	s_waitcnt vmcnt(0)
	v_cmp_ne_u32_e32 vcc_lo, 0xff, v5
	v_lshlrev_b32_e32 v3, 23, v5
	s_delay_alu instid0(VALU_DEP_1) | instskip(NEXT) | instid1(VALU_DEP_1)
	v_cvt_f64_f32_e32 v[3:4], v3
	v_cndmask_b32_e32 v4, 0x7ff80000, v4, vcc_lo
	s_delay_alu instid0(VALU_DEP_2) | instskip(SKIP_1) | instid1(VALU_DEP_3)
	v_cndmask_b32_e32 v3, 0x20000000, v3, vcc_lo
	v_cmp_ne_u32_e32 vcc_lo, 0, v5
	v_cndmask_b32_e32 v7, 0x38000000, v4, vcc_lo
	s_delay_alu instid0(VALU_DEP_3)
	v_cndmask_b32_e32 v6, 0, v3, vcc_lo
	s_branch .LBB393_153
.LBB393_150:
	s_or_saveexec_b32 s37, s37
                                        ; implicit-def: $sgpr38
	s_delay_alu instid0(SALU_CYCLE_1)
	s_xor_b32 exec_lo, exec_lo, s37
	s_cbranch_execz .LBB393_52
.LBB393_151:
	v_add_f32_e64 v3, 0x46000000, |v2|
	s_and_not1_b32 s25, s25, exec_lo
	s_mov_b32 s38, 0
	s_delay_alu instid0(VALU_DEP_1) | instskip(NEXT) | instid1(VALU_DEP_1)
	v_and_b32_e32 v3, 0xff, v3
	v_cmp_ne_u32_e32 vcc_lo, 0, v3
	s_and_b32 s41, vcc_lo, exec_lo
	s_delay_alu instid0(SALU_CYCLE_1)
	s_or_b32 s25, s25, s41
	s_or_b32 exec_lo, exec_lo, s37
	v_mov_b32_e32 v6, s38
	s_and_saveexec_b32 s37, s25
	s_cbranch_execnz .LBB393_53
	s_branch .LBB393_54
.LBB393_152:
	s_mov_b32 s24, -1
                                        ; implicit-def: $vgpr6_vgpr7
.LBB393_153:
	s_mov_b32 s3, 0
.LBB393_154:
	s_delay_alu instid0(SALU_CYCLE_1)
	s_and_b32 vcc_lo, exec_lo, s3
	s_cbranch_vccz .LBB393_158
; %bb.155:
	v_cmp_eq_u16_e32 vcc_lo, 29, v8
	s_cbranch_vccz .LBB393_157
; %bb.156:
	global_load_b64 v[3:4], v[1:2], off
	s_mov_b32 s2, -1
	s_mov_b32 s24, 0
	s_mov_b32 s3, 0
	s_waitcnt vmcnt(0)
	v_cvt_f64_u32_e32 v[4:5], v4
	v_cvt_f64_u32_e32 v[6:7], v3
	s_delay_alu instid0(VALU_DEP_2) | instskip(NEXT) | instid1(VALU_DEP_1)
	v_ldexp_f64 v[4:5], v[4:5], 32
	v_add_f64 v[6:7], v[4:5], v[6:7]
	s_branch .LBB393_159
.LBB393_157:
	s_mov_b32 s24, -1
                                        ; implicit-def: $vgpr6_vgpr7
.LBB393_158:
	s_mov_b32 s3, 0
.LBB393_159:
	s_delay_alu instid0(SALU_CYCLE_1)
	s_and_b32 vcc_lo, exec_lo, s3
	s_cbranch_vccz .LBB393_179
; %bb.160:
	v_cmp_gt_i16_e32 vcc_lo, 27, v8
	s_cbranch_vccnz .LBB393_163
; %bb.161:
	v_cmp_lt_i16_e32 vcc_lo, 27, v8
	s_cbranch_vccz .LBB393_164
; %bb.162:
	global_load_b32 v3, v[1:2], off
	s_mov_b32 s2, 0
	s_waitcnt vmcnt(0)
	v_cvt_f64_u32_e32 v[6:7], v3
	s_branch .LBB393_165
.LBB393_163:
	s_mov_b32 s2, -1
                                        ; implicit-def: $vgpr6_vgpr7
	s_branch .LBB393_168
.LBB393_164:
	s_mov_b32 s2, -1
                                        ; implicit-def: $vgpr6_vgpr7
.LBB393_165:
	s_delay_alu instid0(SALU_CYCLE_1)
	s_and_not1_b32 vcc_lo, exec_lo, s2
	s_cbranch_vccnz .LBB393_167
; %bb.166:
	global_load_u16 v3, v[1:2], off
	s_waitcnt vmcnt(0)
	v_cvt_f64_u32_e32 v[6:7], v3
.LBB393_167:
	s_mov_b32 s2, 0
.LBB393_168:
	s_delay_alu instid0(SALU_CYCLE_1)
	s_and_not1_b32 vcc_lo, exec_lo, s2
	s_cbranch_vccnz .LBB393_178
; %bb.169:
	global_load_u8 v3, v[1:2], off
	s_mov_b32 s25, 0
	s_mov_b32 s37, exec_lo
                                        ; implicit-def: $sgpr2_sgpr3
	s_waitcnt vmcnt(0)
	v_cmpx_lt_i16_e32 0x7f, v3
	s_xor_b32 s37, exec_lo, s37
	s_cbranch_execz .LBB393_173
; %bb.170:
	s_mov_b32 s38, -1
	s_mov_b32 s25, exec_lo
                                        ; implicit-def: $sgpr2_sgpr3
	v_cmpx_eq_u16_e32 0x80, v3
; %bb.171:
	s_mov_b32 s3, 0x7ff80000
	s_brev_b32 s2, 4
	s_xor_b32 s38, exec_lo, -1
; %bb.172:
	s_or_b32 exec_lo, exec_lo, s25
	s_delay_alu instid0(SALU_CYCLE_1)
	s_and_b32 s25, s38, exec_lo
.LBB393_173:
	s_or_saveexec_b32 s37, s37
	v_dual_mov_b32 v7, s3 :: v_dual_mov_b32 v6, s2
	s_xor_b32 exec_lo, exec_lo, s37
; %bb.174:
	v_cmp_ne_u16_e32 vcc_lo, 0, v3
	v_mov_b32_e32 v6, 0
	v_mov_b32_e32 v7, 0
	s_and_not1_b32 s2, s25, exec_lo
	s_and_b32 s3, vcc_lo, exec_lo
	s_delay_alu instid0(SALU_CYCLE_1)
	s_or_b32 s25, s2, s3
; %bb.175:
	s_or_b32 exec_lo, exec_lo, s37
	s_and_saveexec_b32 s2, s25
	s_cbranch_execz .LBB393_177
; %bb.176:
	v_and_b32_e32 v4, 0xffff, v3
	v_lshlrev_b32_e32 v3, 24, v3
	s_delay_alu instid0(VALU_DEP_2) | instskip(NEXT) | instid1(VALU_DEP_2)
	v_and_b32_e32 v5, 7, v4
	v_and_b32_e32 v3, 0x80000000, v3
	s_delay_alu instid0(VALU_DEP_2) | instskip(NEXT) | instid1(VALU_DEP_1)
	v_clz_i32_u32_e32 v6, v5
	v_min_u32_e32 v6, 32, v6
	s_delay_alu instid0(VALU_DEP_1) | instskip(SKIP_1) | instid1(VALU_DEP_2)
	v_subrev_nc_u32_e32 v7, 28, v6
	v_sub_nc_u32_e32 v6, 29, v6
	v_lshlrev_b32_e32 v7, v7, v4
	v_bfe_u32 v4, v4, 3, 4
	s_delay_alu instid0(VALU_DEP_2) | instskip(NEXT) | instid1(VALU_DEP_2)
	v_and_b32_e32 v7, 7, v7
	v_cmp_eq_u32_e32 vcc_lo, 0, v4
	s_delay_alu instid0(VALU_DEP_2) | instskip(NEXT) | instid1(VALU_DEP_1)
	v_dual_cndmask_b32 v4, v4, v6 :: v_dual_cndmask_b32 v5, v5, v7
	v_lshl_add_u32 v4, v4, 23, 0x3b800000
	s_delay_alu instid0(VALU_DEP_2) | instskip(NEXT) | instid1(VALU_DEP_1)
	v_lshlrev_b32_e32 v5, 20, v5
	v_or3_b32 v3, v3, v4, v5
	s_delay_alu instid0(VALU_DEP_1)
	v_cvt_f64_f32_e32 v[6:7], v3
.LBB393_177:
	s_or_b32 exec_lo, exec_lo, s2
.LBB393_178:
	s_mov_b32 s2, -1
.LBB393_179:
	s_branch .LBB393_212
.LBB393_180:
	v_cmp_lt_i16_e32 vcc_lo, 22, v8
	s_cbranch_vccz .LBB393_192
; %bb.181:
	v_cmp_gt_i16_e32 vcc_lo, 24, v8
	s_cbranch_vccnz .LBB393_193
; %bb.182:
	v_cmp_lt_i16_e32 vcc_lo, 24, v8
	s_cbranch_vccz .LBB393_194
; %bb.183:
	global_load_u8 v3, v[1:2], off
	s_mov_b32 s25, 0
	s_mov_b32 s37, exec_lo
                                        ; implicit-def: $sgpr2_sgpr3
	s_waitcnt vmcnt(0)
	v_cmpx_lt_i16_e32 0x7f, v3
	s_xor_b32 s37, exec_lo, s37
	s_cbranch_execz .LBB393_187
; %bb.184:
	s_mov_b32 s38, -1
	s_mov_b32 s25, exec_lo
                                        ; implicit-def: $sgpr2_sgpr3
	v_cmpx_eq_u16_e32 0x80, v3
; %bb.185:
	s_mov_b32 s3, 0x7ff80000
	s_brev_b32 s2, 4
	s_xor_b32 s38, exec_lo, -1
; %bb.186:
	s_or_b32 exec_lo, exec_lo, s25
	s_delay_alu instid0(SALU_CYCLE_1)
	s_and_b32 s25, s38, exec_lo
.LBB393_187:
	s_or_saveexec_b32 s37, s37
	v_dual_mov_b32 v7, s3 :: v_dual_mov_b32 v6, s2
	s_xor_b32 exec_lo, exec_lo, s37
; %bb.188:
	v_cmp_ne_u16_e32 vcc_lo, 0, v3
	v_mov_b32_e32 v6, 0
	v_mov_b32_e32 v7, 0
	s_and_not1_b32 s2, s25, exec_lo
	s_and_b32 s3, vcc_lo, exec_lo
	s_delay_alu instid0(SALU_CYCLE_1)
	s_or_b32 s25, s2, s3
; %bb.189:
	s_or_b32 exec_lo, exec_lo, s37
	s_and_saveexec_b32 s2, s25
	s_cbranch_execz .LBB393_191
; %bb.190:
	v_and_b32_e32 v4, 0xffff, v3
	v_lshlrev_b32_e32 v3, 24, v3
	s_delay_alu instid0(VALU_DEP_2) | instskip(NEXT) | instid1(VALU_DEP_2)
	v_and_b32_e32 v5, 3, v4
	v_and_b32_e32 v3, 0x80000000, v3
	s_delay_alu instid0(VALU_DEP_2) | instskip(NEXT) | instid1(VALU_DEP_1)
	v_clz_i32_u32_e32 v6, v5
	v_min_u32_e32 v6, 32, v6
	s_delay_alu instid0(VALU_DEP_1) | instskip(SKIP_1) | instid1(VALU_DEP_2)
	v_subrev_nc_u32_e32 v7, 29, v6
	v_sub_nc_u32_e32 v6, 30, v6
	v_lshlrev_b32_e32 v7, v7, v4
	v_bfe_u32 v4, v4, 2, 5
	s_delay_alu instid0(VALU_DEP_2) | instskip(NEXT) | instid1(VALU_DEP_2)
	v_and_b32_e32 v7, 3, v7
	v_cmp_eq_u32_e32 vcc_lo, 0, v4
	s_delay_alu instid0(VALU_DEP_2) | instskip(NEXT) | instid1(VALU_DEP_1)
	v_dual_cndmask_b32 v4, v4, v6 :: v_dual_cndmask_b32 v5, v5, v7
	v_lshl_add_u32 v4, v4, 23, 0x37800000
	s_delay_alu instid0(VALU_DEP_2) | instskip(NEXT) | instid1(VALU_DEP_1)
	v_lshlrev_b32_e32 v5, 21, v5
	v_or3_b32 v3, v3, v4, v5
	s_delay_alu instid0(VALU_DEP_1)
	v_cvt_f64_f32_e32 v[6:7], v3
.LBB393_191:
	s_or_b32 exec_lo, exec_lo, s2
	s_mov_b32 s2, 0
	s_branch .LBB393_195
.LBB393_192:
	s_mov_b32 s3, -1
                                        ; implicit-def: $vgpr6_vgpr7
	s_branch .LBB393_201
.LBB393_193:
	s_mov_b32 s2, -1
                                        ; implicit-def: $vgpr6_vgpr7
	s_branch .LBB393_198
.LBB393_194:
	s_mov_b32 s2, -1
                                        ; implicit-def: $vgpr6_vgpr7
.LBB393_195:
	s_delay_alu instid0(SALU_CYCLE_1)
	s_and_b32 vcc_lo, exec_lo, s2
	s_cbranch_vccz .LBB393_197
; %bb.196:
	global_load_u8 v3, v[1:2], off
	s_waitcnt vmcnt(0)
	v_lshlrev_b32_e32 v3, 24, v3
	s_delay_alu instid0(VALU_DEP_1) | instskip(NEXT) | instid1(VALU_DEP_1)
	v_and_b32_e32 v4, 0x7f000000, v3
	v_clz_i32_u32_e32 v5, v4
	v_add_nc_u32_e32 v7, 0x1000000, v4
	v_cmp_ne_u32_e32 vcc_lo, 0, v4
	s_delay_alu instid0(VALU_DEP_3) | instskip(NEXT) | instid1(VALU_DEP_1)
	v_min_u32_e32 v5, 32, v5
	v_sub_nc_u32_e64 v5, v5, 4 clamp
	s_delay_alu instid0(VALU_DEP_1) | instskip(SKIP_1) | instid1(VALU_DEP_2)
	v_lshlrev_b32_e32 v6, v5, v4
	v_lshlrev_b32_e32 v5, 23, v5
	v_lshrrev_b32_e32 v6, 4, v6
	s_delay_alu instid0(VALU_DEP_1) | instskip(SKIP_1) | instid1(VALU_DEP_2)
	v_sub_nc_u32_e32 v5, v6, v5
	v_ashrrev_i32_e32 v6, 8, v7
	v_add_nc_u32_e32 v5, 0x3c000000, v5
	s_delay_alu instid0(VALU_DEP_1) | instskip(NEXT) | instid1(VALU_DEP_1)
	v_and_or_b32 v5, 0x7f800000, v6, v5
	v_cndmask_b32_e32 v4, 0, v5, vcc_lo
	s_delay_alu instid0(VALU_DEP_1) | instskip(NEXT) | instid1(VALU_DEP_1)
	v_and_or_b32 v3, 0x80000000, v3, v4
	v_cvt_f64_f32_e32 v[6:7], v3
.LBB393_197:
	s_mov_b32 s2, 0
.LBB393_198:
	s_delay_alu instid0(SALU_CYCLE_1)
	s_and_not1_b32 vcc_lo, exec_lo, s2
	s_cbranch_vccnz .LBB393_200
; %bb.199:
	global_load_u8 v3, v[1:2], off
	s_waitcnt vmcnt(0)
	v_lshlrev_b32_e32 v4, 25, v3
	v_lshlrev_b16 v3, 8, v3
	s_delay_alu instid0(VALU_DEP_2) | instskip(NEXT) | instid1(VALU_DEP_2)
	v_lshrrev_b32_e32 v5, 4, v4
	v_and_or_b32 v6, 0x7f00, v3, 0.5
	v_bfe_i32 v3, v3, 0, 16
	s_delay_alu instid0(VALU_DEP_3) | instskip(NEXT) | instid1(VALU_DEP_1)
	v_or_b32_e32 v5, 0x70000000, v5
	v_dual_add_f32 v6, -0.5, v6 :: v_dual_mul_f32 v5, 0x7800000, v5
	v_cmp_gt_u32_e32 vcc_lo, 0x8000000, v4
	s_delay_alu instid0(VALU_DEP_2) | instskip(NEXT) | instid1(VALU_DEP_1)
	v_cndmask_b32_e32 v4, v5, v6, vcc_lo
	v_and_or_b32 v3, 0x80000000, v3, v4
	s_delay_alu instid0(VALU_DEP_1)
	v_cvt_f64_f32_e32 v[6:7], v3
.LBB393_200:
	s_mov_b32 s3, 0
	s_mov_b32 s2, -1
.LBB393_201:
	s_and_not1_b32 vcc_lo, exec_lo, s3
	s_cbranch_vccnz .LBB393_212
; %bb.202:
	v_cmp_lt_i16_e32 vcc_lo, 14, v8
	s_cbranch_vccz .LBB393_205
; %bb.203:
	v_cmp_eq_u16_e32 vcc_lo, 15, v8
	s_cbranch_vccz .LBB393_206
; %bb.204:
	global_load_u16 v3, v[1:2], off
	s_mov_b32 s2, -1
	s_mov_b32 s24, 0
	s_waitcnt vmcnt(0)
	v_lshlrev_b32_e32 v3, 16, v3
	s_delay_alu instid0(VALU_DEP_1)
	v_cvt_f64_f32_e32 v[6:7], v3
	s_branch .LBB393_207
.LBB393_205:
	s_mov_b32 s3, -1
                                        ; implicit-def: $vgpr6_vgpr7
	s_branch .LBB393_208
.LBB393_206:
	s_mov_b32 s24, -1
                                        ; implicit-def: $vgpr6_vgpr7
.LBB393_207:
	s_mov_b32 s3, 0
.LBB393_208:
	s_delay_alu instid0(SALU_CYCLE_1)
	s_and_b32 vcc_lo, exec_lo, s3
	s_cbranch_vccz .LBB393_212
; %bb.209:
	v_cmp_eq_u16_e32 vcc_lo, 11, v8
	s_cbranch_vccz .LBB393_211
; %bb.210:
	global_load_u8 v3, v[1:2], off
	v_mov_b32_e32 v6, 0
	s_mov_b32 s24, 0
	s_mov_b32 s2, -1
	s_waitcnt vmcnt(0)
	v_cmp_ne_u16_e32 vcc_lo, 0, v3
	v_cndmask_b32_e64 v7, 0, 0x3ff00000, vcc_lo
	s_branch .LBB393_212
.LBB393_211:
	s_mov_b32 s24, -1
                                        ; implicit-def: $vgpr6_vgpr7
.LBB393_212:
	s_branch .LBB393_23
.LBB393_213:
	v_cmp_gt_i16_e32 vcc_lo, 5, v8
	s_cbranch_vccnz .LBB393_218
; %bb.214:
	v_cmp_gt_i16_e32 vcc_lo, 8, v8
	s_cbranch_vccnz .LBB393_219
; %bb.215:
	v_cmp_gt_i16_e32 vcc_lo, 9, v8
	s_cbranch_vccnz .LBB393_220
; %bb.216:
	v_cmp_lt_i16_e32 vcc_lo, 9, v8
	s_cbranch_vccz .LBB393_221
; %bb.217:
	global_load_b64 v[6:7], v[1:2], off
	s_mov_b32 s2, 0
	s_branch .LBB393_222
.LBB393_218:
                                        ; implicit-def: $vgpr6_vgpr7
	s_branch .LBB393_240
.LBB393_219:
	s_mov_b32 s2, -1
                                        ; implicit-def: $vgpr6_vgpr7
	s_branch .LBB393_228
.LBB393_220:
	s_mov_b32 s2, -1
                                        ; implicit-def: $vgpr6_vgpr7
	s_branch .LBB393_225
.LBB393_221:
	s_mov_b32 s2, -1
                                        ; implicit-def: $vgpr6_vgpr7
.LBB393_222:
	s_delay_alu instid0(SALU_CYCLE_1)
	s_and_not1_b32 vcc_lo, exec_lo, s2
	s_cbranch_vccnz .LBB393_224
; %bb.223:
	global_load_b32 v3, v[1:2], off
	s_waitcnt vmcnt(0)
	v_cvt_f64_f32_e32 v[6:7], v3
.LBB393_224:
	s_mov_b32 s2, 0
.LBB393_225:
	s_delay_alu instid0(SALU_CYCLE_1)
	s_and_not1_b32 vcc_lo, exec_lo, s2
	s_cbranch_vccnz .LBB393_227
; %bb.226:
	global_load_b32 v3, v[1:2], off
	s_waitcnt vmcnt(0)
	v_cvt_f32_f16_e32 v3, v3
	s_delay_alu instid0(VALU_DEP_1)
	v_cvt_f64_f32_e32 v[6:7], v3
.LBB393_227:
	s_mov_b32 s2, 0
.LBB393_228:
	s_delay_alu instid0(SALU_CYCLE_1)
	s_and_not1_b32 vcc_lo, exec_lo, s2
	s_cbranch_vccnz .LBB393_239
; %bb.229:
	v_cmp_gt_i16_e32 vcc_lo, 6, v8
	s_cbranch_vccnz .LBB393_232
; %bb.230:
	v_cmp_lt_i16_e32 vcc_lo, 6, v8
	s_cbranch_vccz .LBB393_233
; %bb.231:
	global_load_b64 v[6:7], v[1:2], off
	s_mov_b32 s2, 0
	s_branch .LBB393_234
.LBB393_232:
	s_mov_b32 s2, -1
                                        ; implicit-def: $vgpr6_vgpr7
	s_branch .LBB393_237
.LBB393_233:
	s_mov_b32 s2, -1
                                        ; implicit-def: $vgpr6_vgpr7
.LBB393_234:
	s_delay_alu instid0(SALU_CYCLE_1)
	s_and_not1_b32 vcc_lo, exec_lo, s2
	s_cbranch_vccnz .LBB393_236
; %bb.235:
	global_load_b32 v3, v[1:2], off
	s_waitcnt vmcnt(0)
	v_cvt_f64_f32_e32 v[6:7], v3
.LBB393_236:
	s_mov_b32 s2, 0
.LBB393_237:
	s_delay_alu instid0(SALU_CYCLE_1)
	s_and_not1_b32 vcc_lo, exec_lo, s2
	s_cbranch_vccnz .LBB393_239
; %bb.238:
	global_load_u16 v3, v[1:2], off
	s_waitcnt vmcnt(0)
	v_cvt_f32_f16_e32 v3, v3
	s_delay_alu instid0(VALU_DEP_1)
	v_cvt_f64_f32_e32 v[6:7], v3
.LBB393_239:
	s_cbranch_execnz .LBB393_259
.LBB393_240:
	v_cmp_gt_i16_e32 vcc_lo, 2, v8
	s_cbranch_vccnz .LBB393_244
; %bb.241:
	v_cmp_gt_i16_e32 vcc_lo, 3, v8
	s_cbranch_vccnz .LBB393_245
; %bb.242:
	v_cmp_lt_i16_e32 vcc_lo, 3, v8
	s_cbranch_vccz .LBB393_246
; %bb.243:
	global_load_b64 v[3:4], v[1:2], off
	s_mov_b32 s2, 0
	s_waitcnt vmcnt(0)
	v_cvt_f64_i32_e32 v[4:5], v4
	v_cvt_f64_u32_e32 v[6:7], v3
	s_delay_alu instid0(VALU_DEP_2) | instskip(NEXT) | instid1(VALU_DEP_1)
	v_ldexp_f64 v[4:5], v[4:5], 32
	v_add_f64 v[6:7], v[4:5], v[6:7]
	s_branch .LBB393_247
.LBB393_244:
	s_mov_b32 s2, -1
                                        ; implicit-def: $vgpr6_vgpr7
	s_branch .LBB393_253
.LBB393_245:
	s_mov_b32 s2, -1
                                        ; implicit-def: $vgpr6_vgpr7
	s_branch .LBB393_250
.LBB393_246:
	s_mov_b32 s2, -1
                                        ; implicit-def: $vgpr6_vgpr7
.LBB393_247:
	s_delay_alu instid0(SALU_CYCLE_1)
	s_and_not1_b32 vcc_lo, exec_lo, s2
	s_cbranch_vccnz .LBB393_249
; %bb.248:
	global_load_b32 v3, v[1:2], off
	s_waitcnt vmcnt(0)
	v_cvt_f64_i32_e32 v[6:7], v3
.LBB393_249:
	s_mov_b32 s2, 0
.LBB393_250:
	s_delay_alu instid0(SALU_CYCLE_1)
	s_and_not1_b32 vcc_lo, exec_lo, s2
	s_cbranch_vccnz .LBB393_252
; %bb.251:
	global_load_i16 v3, v[1:2], off
	s_waitcnt vmcnt(0)
	v_cvt_f64_i32_e32 v[6:7], v3
.LBB393_252:
	s_mov_b32 s2, 0
.LBB393_253:
	s_delay_alu instid0(SALU_CYCLE_1)
	s_and_not1_b32 vcc_lo, exec_lo, s2
	s_cbranch_vccnz .LBB393_259
; %bb.254:
	v_cmp_lt_i16_e32 vcc_lo, 0, v8
	s_mov_b32 s2, 0
	s_cbranch_vccz .LBB393_256
; %bb.255:
	global_load_i8 v3, v[1:2], off
	s_waitcnt vmcnt(0)
	v_cvt_f64_i32_e32 v[6:7], v3
	s_branch .LBB393_257
.LBB393_256:
	s_mov_b32 s2, -1
                                        ; implicit-def: $vgpr6_vgpr7
.LBB393_257:
	s_delay_alu instid0(SALU_CYCLE_1)
	s_and_not1_b32 vcc_lo, exec_lo, s2
	s_cbranch_vccnz .LBB393_259
; %bb.258:
	global_load_u8 v1, v[1:2], off
	s_waitcnt vmcnt(0)
	v_cvt_f64_u32_e32 v[6:7], v1
.LBB393_259:
	s_branch .LBB393_24
.LBB393_260:
	s_mov_b32 s3, 0
.LBB393_261:
	s_mov_b32 s2, 0
                                        ; implicit-def: $vgpr9
.LBB393_262:
	s_and_b32 s37, s3, exec_lo
	s_and_b32 s38, s24, exec_lo
	s_or_not1_b32 s3, s2, exec_lo
.LBB393_263:
	s_or_b32 exec_lo, exec_lo, s39
	s_mov_b32 s24, 0
	s_mov_b32 s2, 0
                                        ; implicit-def: $vgpr0_vgpr1
                                        ; implicit-def: $vgpr2
                                        ; implicit-def: $vgpr6_vgpr7
	s_and_saveexec_b32 s39, s3
	s_cbranch_execz .LBB393_906
; %bb.264:
	s_mov_b32 s2, -1
	s_mov_b32 s40, s38
	s_mov_b32 s41, s37
	s_mov_b32 s42, exec_lo
	v_cmpx_gt_i32_e64 s34, v9
	s_cbranch_execz .LBB393_533
; %bb.265:
	s_and_not1_b32 vcc_lo, exec_lo, s29
	s_cbranch_vccnz .LBB393_270
; %bb.266:
	v_dual_mov_b32 v0, 0 :: v_dual_mov_b32 v1, 0
	s_and_not1_b32 vcc_lo, exec_lo, s36
	s_mov_b32 s40, 0
	s_cbranch_vccnz .LBB393_275
; %bb.267:
	v_mov_b32_e32 v0, 0
	s_add_i32 s43, s35, 1
	s_cmp_eq_u32 s27, 2
	s_mov_b32 s41, 0
	s_cbranch_scc1 .LBB393_271
; %bb.268:
	v_dual_mov_b32 v1, 0 :: v_dual_mov_b32 v0, 0
	v_mov_b32_e32 v2, v9
	s_and_b32 s41, s43, 28
	s_mov_b32 s44, 0
	s_mov_b64 s[2:3], s[22:23]
	s_mov_b64 s[24:25], s[16:17]
.LBB393_269:                            ; =>This Inner Loop Header: Depth=1
	s_clause 0x1
	s_load_b256 s[48:55], s[24:25], 0x4
	s_load_b128 s[64:67], s[24:25], 0x24
	s_load_b256 s[56:63], s[2:3], 0x0
	s_add_u32 s24, s24, 48
	s_addc_u32 s25, s25, 0
	s_add_i32 s44, s44, 4
	s_add_u32 s2, s2, 32
	s_addc_u32 s3, s3, 0
	s_cmp_eq_u32 s41, s44
	s_waitcnt lgkmcnt(0)
	v_mul_hi_u32 v3, s49, v2
	s_delay_alu instid0(VALU_DEP_1) | instskip(NEXT) | instid1(VALU_DEP_1)
	v_add_nc_u32_e32 v3, v2, v3
	v_lshrrev_b32_e32 v3, s50, v3
	s_delay_alu instid0(VALU_DEP_1) | instskip(SKIP_2) | instid1(VALU_DEP_2)
	v_mul_hi_u32 v4, s52, v3
	s_waitcnt vmcnt(0)
	v_mul_lo_u32 v6, v3, s48
	v_add_nc_u32_e32 v4, v3, v4
	s_delay_alu instid0(VALU_DEP_2) | instskip(NEXT) | instid1(VALU_DEP_2)
	v_sub_nc_u32_e32 v2, v2, v6
	v_lshrrev_b32_e32 v4, s53, v4
	s_delay_alu instid0(VALU_DEP_2) | instskip(SKIP_1) | instid1(VALU_DEP_3)
	v_mul_lo_u32 v6, v2, s56
	v_mul_lo_u32 v10, v2, s57
	v_mul_hi_u32 v5, s55, v4
	s_delay_alu instid0(VALU_DEP_1) | instskip(NEXT) | instid1(VALU_DEP_1)
	v_add_nc_u32_e32 v5, v4, v5
	v_lshrrev_b32_e32 v5, s64, v5
	s_delay_alu instid0(VALU_DEP_1) | instskip(SKIP_1) | instid1(VALU_DEP_2)
	v_mul_hi_u32 v7, s66, v5
	v_mul_lo_u32 v11, v5, s54
	v_add_nc_u32_e32 v2, v5, v7
	v_mul_lo_u32 v7, v4, s51
	s_delay_alu instid0(VALU_DEP_3) | instskip(NEXT) | instid1(VALU_DEP_3)
	v_sub_nc_u32_e32 v4, v4, v11
	v_lshrrev_b32_e32 v2, s67, v2
	s_delay_alu instid0(VALU_DEP_2) | instskip(SKIP_2) | instid1(VALU_DEP_4)
	v_mul_lo_u32 v11, v4, s60
	v_mul_lo_u32 v4, v4, s61
	v_sub_nc_u32_e32 v3, v3, v7
	v_mul_lo_u32 v12, v2, s65
	s_delay_alu instid0(VALU_DEP_2) | instskip(SKIP_1) | instid1(VALU_DEP_3)
	v_mul_lo_u32 v7, v3, s58
	v_mul_lo_u32 v3, v3, s59
	v_sub_nc_u32_e32 v5, v5, v12
	s_delay_alu instid0(VALU_DEP_3) | instskip(NEXT) | instid1(VALU_DEP_2)
	v_add3_u32 v0, v6, v0, v7
	v_mul_lo_u32 v12, v5, s62
	v_mul_lo_u32 v5, v5, s63
	v_add3_u32 v1, v10, v1, v3
	s_delay_alu instid0(VALU_DEP_3) | instskip(NEXT) | instid1(VALU_DEP_2)
	v_add3_u32 v0, v11, v0, v12
	v_add3_u32 v1, v4, v1, v5
	s_cbranch_scc0 .LBB393_269
	s_branch .LBB393_272
.LBB393_270:
	s_mov_b32 s40, -1
                                        ; implicit-def: $vgpr0
                                        ; implicit-def: $vgpr1
	s_branch .LBB393_275
.LBB393_271:
	v_dual_mov_b32 v2, v9 :: v_dual_mov_b32 v1, 0
.LBB393_272:
	s_and_b32 s43, s43, 3
	s_delay_alu instid0(SALU_CYCLE_1)
	s_cmp_eq_u32 s43, 0
	s_cbranch_scc1 .LBB393_275
; %bb.273:
	s_lshl_b32 s2, s41, 3
	s_mul_i32 s24, s41, 12
	s_add_u32 s2, s2, s16
	s_addc_u32 s3, s17, 0
	s_add_u32 s2, s2, 0xc4
	s_addc_u32 s3, s3, 0
	;; [unrolled: 2-line block ×3, first 2 shown]
	.p2align	6
.LBB393_274:                            ; =>This Inner Loop Header: Depth=1
	s_clause 0x1
	s_load_b64 s[44:45], s[24:25], 0x4
	s_load_b32 s41, s[24:25], 0xc
	s_load_b64 s[46:47], s[2:3], 0x0
	s_add_u32 s24, s24, 12
	s_addc_u32 s25, s25, 0
	s_add_u32 s2, s2, 8
	s_addc_u32 s3, s3, 0
	s_add_i32 s43, s43, -1
	s_delay_alu instid0(SALU_CYCLE_1) | instskip(SKIP_2) | instid1(VALU_DEP_1)
	s_cmp_lg_u32 s43, 0
	s_waitcnt lgkmcnt(0)
	v_mul_hi_u32 v3, s45, v2
	v_add_nc_u32_e32 v3, v2, v3
	s_waitcnt vmcnt(0)
	s_delay_alu instid0(VALU_DEP_1) | instskip(NEXT) | instid1(VALU_DEP_1)
	v_lshrrev_b32_e32 v6, s41, v3
	v_mul_lo_u32 v3, v6, s44
	s_delay_alu instid0(VALU_DEP_1) | instskip(NEXT) | instid1(VALU_DEP_1)
	v_sub_nc_u32_e32 v2, v2, v3
	v_mad_u64_u32 v[3:4], null, v2, s46, v[0:1]
	v_mad_u64_u32 v[4:5], null, v2, s47, v[1:2]
	v_mov_b32_e32 v2, v6
	s_delay_alu instid0(VALU_DEP_2)
	v_dual_mov_b32 v0, v3 :: v_dual_mov_b32 v1, v4
	s_cbranch_scc1 .LBB393_274
.LBB393_275:
	s_and_not1_b32 vcc_lo, exec_lo, s40
	s_cbranch_vccnz .LBB393_278
; %bb.276:
	v_mul_hi_u32 v0, s13, v9
	s_and_not1_b32 vcc_lo, exec_lo, s33
	s_delay_alu instid0(VALU_DEP_1) | instskip(NEXT) | instid1(VALU_DEP_1)
	v_add_nc_u32_e32 v0, v9, v0
	v_lshrrev_b32_e32 v2, s14, v0
	s_delay_alu instid0(VALU_DEP_1) | instskip(NEXT) | instid1(VALU_DEP_1)
	v_mul_lo_u32 v0, v2, s12
	v_sub_nc_u32_e32 v1, v9, v0
	s_delay_alu instid0(VALU_DEP_1)
	v_mul_lo_u32 v0, v1, s8
	v_mul_lo_u32 v1, v1, s9
	s_cbranch_vccnz .LBB393_278
; %bb.277:
	v_mul_hi_u32 v3, s20, v2
	s_delay_alu instid0(VALU_DEP_1) | instskip(NEXT) | instid1(VALU_DEP_1)
	v_add_nc_u32_e32 v3, v2, v3
	v_lshrrev_b32_e32 v3, s21, v3
	s_delay_alu instid0(VALU_DEP_1) | instskip(NEXT) | instid1(VALU_DEP_1)
	v_mul_lo_u32 v3, v3, s15
	v_sub_nc_u32_e32 v5, v2, v3
	s_delay_alu instid0(VALU_DEP_1) | instskip(NEXT) | instid1(VALU_DEP_1)
	v_mad_u64_u32 v[2:3], null, v5, s10, v[0:1]
	v_mad_u64_u32 v[3:4], null, v5, s11, v[1:2]
	s_delay_alu instid0(VALU_DEP_1)
	v_dual_mov_b32 v0, v2 :: v_dual_mov_b32 v1, v3
.LBB393_278:
	v_cmp_gt_i16_e32 vcc_lo, 11, v8
	s_delay_alu instid0(VALU_DEP_2) | instskip(NEXT) | instid1(VALU_DEP_1)
	v_add_co_u32 v1, s2, s6, v1
	v_add_co_ci_u32_e64 v2, null, s7, 0, s2
	s_mov_b32 s2, 0
	s_cbranch_vccnz .LBB393_285
; %bb.279:
	v_cmp_lt_i16_e32 vcc_lo, 25, v8
	s_cbranch_vccz .LBB393_334
; %bb.280:
	v_cmp_lt_i16_e32 vcc_lo, 28, v8
	s_cbranch_vccz .LBB393_335
	;; [unrolled: 3-line block ×4, first 2 shown]
; %bb.283:
	v_cmp_eq_u16_e32 vcc_lo, 46, v8
	s_mov_b32 s3, 0
	s_cbranch_vccz .LBB393_343
; %bb.284:
	global_load_b32 v3, v[1:2], off
	s_mov_b32 s2, -1
	s_mov_b32 s24, 0
	s_waitcnt vmcnt(0)
	v_lshlrev_b32_e32 v3, 16, v3
	s_delay_alu instid0(VALU_DEP_1)
	v_cvt_f64_f32_e32 v[6:7], v3
	s_branch .LBB393_345
.LBB393_285:
	s_mov_b32 s24, s38
                                        ; implicit-def: $vgpr6_vgpr7
	s_cbranch_execnz .LBB393_482
.LBB393_286:
	s_and_not1_b32 vcc_lo, exec_lo, s2
	s_cbranch_vccnz .LBB393_530
.LBB393_287:
	v_max_f64 v[1:2], s[18:19], s[18:19]
	s_waitcnt vmcnt(0)
	s_delay_alu instid0(VALU_DEP_2) | instskip(SKIP_3) | instid1(VALU_DEP_1)
	v_max_f64 v[3:4], v[6:7], v[6:7]
	v_cmp_u_f64_e32 vcc_lo, v[6:7], v[6:7]
	v_and_b32_e64 v10, 0xff, s31
	s_mov_b32 s3, 0
	v_cmp_gt_i16_e64 s2, 11, v10
	s_delay_alu instid0(VALU_DEP_4) | instskip(SKIP_1) | instid1(VALU_DEP_1)
	v_max_f64 v[2:3], v[3:4], v[1:2]
	v_add_co_u32 v4, s25, s4, v0
	v_add_co_ci_u32_e64 v5, null, s5, 0, s25
	s_mov_b32 s25, -1
	s_delay_alu instid0(VALU_DEP_3)
	v_dual_cndmask_b32 v1, v3, v7 :: v_dual_cndmask_b32 v0, v2, v6
	s_and_b32 vcc_lo, exec_lo, s2
	s_mov_b32 s2, s37
	s_cbranch_vccnz .LBB393_294
; %bb.288:
	v_cmp_lt_i16_e32 vcc_lo, 25, v10
	s_cbranch_vccz .LBB393_336
; %bb.289:
	v_cmp_lt_i16_e32 vcc_lo, 28, v10
	s_cbranch_vccz .LBB393_338
	;; [unrolled: 3-line block ×4, first 2 shown]
; %bb.292:
	v_cmp_eq_u16_e32 vcc_lo, 46, v10
	s_mov_b32 s25, 0
	s_mov_b32 s2, -1
	s_cbranch_vccz .LBB393_349
; %bb.293:
	v_cvt_f32_f64_e32 v2, v[0:1]
	s_mov_b32 s3, -1
	s_mov_b32 s2, 0
	s_delay_alu instid0(VALU_DEP_1) | instskip(SKIP_1) | instid1(VALU_DEP_2)
	v_bfe_u32 v3, v2, 16, 1
	v_cmp_o_f32_e32 vcc_lo, v2, v2
	v_add3_u32 v3, v2, v3, 0x7fff
	s_delay_alu instid0(VALU_DEP_1) | instskip(NEXT) | instid1(VALU_DEP_1)
	v_lshrrev_b32_e32 v3, 16, v3
	v_cndmask_b32_e32 v2, 0x7fc0, v3, vcc_lo
	global_store_b32 v[4:5], v2, off
	s_branch .LBB393_349
.LBB393_294:
	s_and_b32 vcc_lo, exec_lo, s25
	s_cbranch_vccz .LBB393_418
; %bb.295:
	v_cmp_gt_i16_e32 vcc_lo, 5, v10
	s_mov_b32 s3, -1
	s_cbranch_vccnz .LBB393_316
; %bb.296:
	v_cmp_gt_i16_e32 vcc_lo, 8, v10
	s_cbranch_vccnz .LBB393_306
; %bb.297:
	v_cmp_gt_i16_e32 vcc_lo, 9, v10
	s_cbranch_vccnz .LBB393_303
; %bb.298:
	v_cmp_lt_i16_e32 vcc_lo, 9, v10
	s_cbranch_vccz .LBB393_300
; %bb.299:
	v_mov_b32_e32 v2, 0
	s_mov_b32 s3, 0
	s_delay_alu instid0(VALU_DEP_1)
	v_mov_b32_e32 v3, v2
	global_store_b128 v[4:5], v[0:3], off
.LBB393_300:
	s_and_not1_b32 vcc_lo, exec_lo, s3
	s_cbranch_vccnz .LBB393_302
; %bb.301:
	v_cvt_f32_f64_e32 v2, v[0:1]
	v_mov_b32_e32 v3, 0
	global_store_b64 v[4:5], v[2:3], off
.LBB393_302:
	s_mov_b32 s3, 0
.LBB393_303:
	s_delay_alu instid0(SALU_CYCLE_1)
	s_and_not1_b32 vcc_lo, exec_lo, s3
	s_cbranch_vccnz .LBB393_305
; %bb.304:
	v_cvt_f32_f64_e32 v2, v[0:1]
	s_delay_alu instid0(VALU_DEP_1) | instskip(NEXT) | instid1(VALU_DEP_1)
	v_cvt_f16_f32_e32 v2, v2
	v_and_b32_e32 v2, 0xffff, v2
	global_store_b32 v[4:5], v2, off
.LBB393_305:
	s_mov_b32 s3, 0
.LBB393_306:
	s_delay_alu instid0(SALU_CYCLE_1)
	s_and_not1_b32 vcc_lo, exec_lo, s3
	s_cbranch_vccnz .LBB393_315
; %bb.307:
	v_cmp_gt_i16_e32 vcc_lo, 6, v10
	s_mov_b32 s3, -1
	s_cbranch_vccnz .LBB393_313
; %bb.308:
	v_cmp_lt_i16_e32 vcc_lo, 6, v10
	s_cbranch_vccz .LBB393_310
; %bb.309:
	s_mov_b32 s3, 0
	global_store_b64 v[4:5], v[0:1], off
.LBB393_310:
	s_and_not1_b32 vcc_lo, exec_lo, s3
	s_cbranch_vccnz .LBB393_312
; %bb.311:
	v_cvt_f32_f64_e32 v2, v[0:1]
	global_store_b32 v[4:5], v2, off
.LBB393_312:
	s_mov_b32 s3, 0
.LBB393_313:
	s_delay_alu instid0(SALU_CYCLE_1)
	s_and_not1_b32 vcc_lo, exec_lo, s3
	s_cbranch_vccnz .LBB393_315
; %bb.314:
	v_cvt_f32_f64_e32 v2, v[0:1]
	s_delay_alu instid0(VALU_DEP_1)
	v_cvt_f16_f32_e32 v2, v2
	global_store_b16 v[4:5], v2, off
.LBB393_315:
	s_mov_b32 s3, 0
.LBB393_316:
	s_delay_alu instid0(SALU_CYCLE_1)
	s_and_not1_b32 vcc_lo, exec_lo, s3
	s_cbranch_vccnz .LBB393_332
; %bb.317:
	v_cmp_gt_i16_e32 vcc_lo, 2, v10
	s_mov_b32 s3, -1
	s_cbranch_vccnz .LBB393_327
; %bb.318:
	v_cmp_gt_i16_e32 vcc_lo, 3, v10
	s_cbranch_vccnz .LBB393_324
; %bb.319:
	v_cmp_lt_i16_e32 vcc_lo, 3, v10
	s_cbranch_vccz .LBB393_321
; %bb.320:
	v_trunc_f64_e32 v[2:3], v[0:1]
	s_mov_b32 s3, 0
	s_delay_alu instid0(VALU_DEP_1) | instskip(NEXT) | instid1(VALU_DEP_1)
	v_ldexp_f64 v[6:7], v[2:3], 0xffffffe0
	v_floor_f64_e32 v[6:7], v[6:7]
	s_delay_alu instid0(VALU_DEP_1) | instskip(SKIP_1) | instid1(VALU_DEP_2)
	v_fma_f64 v[2:3], 0xc1f00000, v[6:7], v[2:3]
	v_cvt_i32_f64_e32 v7, v[6:7]
	v_cvt_u32_f64_e32 v6, v[2:3]
	global_store_b64 v[4:5], v[6:7], off
.LBB393_321:
	s_and_not1_b32 vcc_lo, exec_lo, s3
	s_cbranch_vccnz .LBB393_323
; %bb.322:
	v_cvt_i32_f64_e32 v2, v[0:1]
	global_store_b32 v[4:5], v2, off
.LBB393_323:
	s_mov_b32 s3, 0
.LBB393_324:
	s_delay_alu instid0(SALU_CYCLE_1)
	s_and_not1_b32 vcc_lo, exec_lo, s3
	s_cbranch_vccnz .LBB393_326
; %bb.325:
	v_cvt_i32_f64_e32 v2, v[0:1]
	global_store_b16 v[4:5], v2, off
.LBB393_326:
	s_mov_b32 s3, 0
.LBB393_327:
	s_delay_alu instid0(SALU_CYCLE_1)
	s_and_not1_b32 vcc_lo, exec_lo, s3
	s_cbranch_vccnz .LBB393_332
; %bb.328:
	v_cmp_lt_i16_e32 vcc_lo, 0, v10
	s_mov_b32 s3, -1
	s_cbranch_vccz .LBB393_330
; %bb.329:
	v_cvt_i32_f64_e32 v2, v[0:1]
	s_mov_b32 s3, 0
	global_store_b8 v[4:5], v2, off
.LBB393_330:
	s_and_not1_b32 vcc_lo, exec_lo, s3
	s_cbranch_vccnz .LBB393_332
; %bb.331:
	v_trunc_f64_e32 v[0:1], v[0:1]
	s_delay_alu instid0(VALU_DEP_1) | instskip(NEXT) | instid1(VALU_DEP_1)
	v_ldexp_f64 v[2:3], v[0:1], 0xffffffe0
	v_floor_f64_e32 v[2:3], v[2:3]
	s_delay_alu instid0(VALU_DEP_1) | instskip(NEXT) | instid1(VALU_DEP_1)
	v_fma_f64 v[0:1], 0xc1f00000, v[2:3], v[0:1]
	v_cvt_u32_f64_e32 v0, v[0:1]
	global_store_b8 v[4:5], v0, off
.LBB393_332:
	s_branch .LBB393_419
.LBB393_333:
	s_mov_b32 s3, 0
	s_branch .LBB393_531
.LBB393_334:
	s_mov_b32 s3, -1
	s_mov_b32 s24, s38
                                        ; implicit-def: $vgpr6_vgpr7
	s_branch .LBB393_448
.LBB393_335:
	s_mov_b32 s3, -1
	s_mov_b32 s24, s38
                                        ; implicit-def: $vgpr6_vgpr7
	s_branch .LBB393_427
.LBB393_336:
	s_mov_b32 s2, s37
	s_branch .LBB393_376
.LBB393_337:
	s_mov_b32 s3, -1
	s_mov_b32 s24, s38
                                        ; implicit-def: $vgpr6_vgpr7
	s_branch .LBB393_422
.LBB393_338:
	s_mov_b32 s2, s37
	s_branch .LBB393_359
.LBB393_339:
	s_mov_b32 s3, -1
	s_mov_b32 s24, s38
	s_branch .LBB393_344
.LBB393_340:
	s_mov_b32 s2, s37
	s_branch .LBB393_355
.LBB393_341:
	s_or_saveexec_b32 s37, s37
                                        ; implicit-def: $sgpr38
	s_delay_alu instid0(SALU_CYCLE_1)
	s_xor_b32 exec_lo, exec_lo, s37
	s_cbranch_execz .LBB393_65
.LBB393_342:
	v_add_f32_e64 v3, 0x42800000, |v2|
	s_and_not1_b32 s25, s25, exec_lo
	s_mov_b32 s38, 0
	s_delay_alu instid0(VALU_DEP_1) | instskip(NEXT) | instid1(VALU_DEP_1)
	v_and_b32_e32 v3, 0xff, v3
	v_cmp_ne_u32_e32 vcc_lo, 0, v3
	s_and_b32 s41, vcc_lo, exec_lo
	s_delay_alu instid0(SALU_CYCLE_1)
	s_or_b32 s25, s25, s41
	s_or_b32 exec_lo, exec_lo, s37
	v_mov_b32_e32 v6, s38
	s_and_saveexec_b32 s37, s25
	s_cbranch_execnz .LBB393_66
	s_branch .LBB393_67
.LBB393_343:
	s_mov_b32 s24, -1
.LBB393_344:
                                        ; implicit-def: $vgpr6_vgpr7
.LBB393_345:
	s_and_b32 vcc_lo, exec_lo, s3
	s_cbranch_vccz .LBB393_421
; %bb.346:
	v_cmp_eq_u16_e32 vcc_lo, 44, v8
	s_cbranch_vccz .LBB393_420
; %bb.347:
	global_load_u8 v5, v[1:2], off
	s_mov_b32 s24, 0
	s_mov_b32 s2, -1
	s_waitcnt vmcnt(0)
	v_cmp_ne_u32_e32 vcc_lo, 0xff, v5
	v_lshlrev_b32_e32 v3, 23, v5
	s_delay_alu instid0(VALU_DEP_1) | instskip(NEXT) | instid1(VALU_DEP_1)
	v_cvt_f64_f32_e32 v[3:4], v3
	v_cndmask_b32_e32 v4, 0x7ff80000, v4, vcc_lo
	s_delay_alu instid0(VALU_DEP_2) | instskip(SKIP_1) | instid1(VALU_DEP_3)
	v_cndmask_b32_e32 v3, 0x20000000, v3, vcc_lo
	v_cmp_ne_u32_e32 vcc_lo, 0, v5
	v_cndmask_b32_e32 v7, 0x38000000, v4, vcc_lo
	s_delay_alu instid0(VALU_DEP_3)
	v_cndmask_b32_e32 v6, 0, v3, vcc_lo
	s_branch .LBB393_421
.LBB393_348:
	s_mov_b32 s2, s37
.LBB393_349:
	s_and_b32 vcc_lo, exec_lo, s25
	s_cbranch_vccz .LBB393_354
; %bb.350:
	v_cmp_eq_u16_e32 vcc_lo, 44, v10
	s_mov_b32 s2, -1
	s_cbranch_vccz .LBB393_354
; %bb.351:
	v_cvt_f32_f64_e32 v2, v[0:1]
	v_mov_b32_e32 v3, 0xff
	s_mov_b32 s3, exec_lo
	s_delay_alu instid0(VALU_DEP_2) | instskip(NEXT) | instid1(VALU_DEP_1)
	v_bfe_u32 v6, v2, 23, 8
	v_cmpx_ne_u32_e32 0xff, v6
; %bb.352:
	v_and_b32_e32 v3, 0x400000, v2
	v_and_or_b32 v6, 0x3fffff, v2, v6
	v_lshrrev_b32_e32 v2, 23, v2
	s_delay_alu instid0(VALU_DEP_3) | instskip(NEXT) | instid1(VALU_DEP_3)
	v_cmp_ne_u32_e32 vcc_lo, 0, v3
	v_cmp_ne_u32_e64 s2, 0, v6
	s_delay_alu instid0(VALU_DEP_1) | instskip(NEXT) | instid1(SALU_CYCLE_1)
	s_and_b32 s2, vcc_lo, s2
	v_cndmask_b32_e64 v3, 0, 1, s2
	s_delay_alu instid0(VALU_DEP_1)
	v_add_nc_u32_e32 v3, v2, v3
; %bb.353:
	s_or_b32 exec_lo, exec_lo, s3
	s_mov_b32 s3, -1
	s_mov_b32 s2, 0
	global_store_b8 v[4:5], v3, off
.LBB393_354:
	s_mov_b32 s25, 0
.LBB393_355:
	s_delay_alu instid0(SALU_CYCLE_1)
	s_and_b32 vcc_lo, exec_lo, s25
	s_cbranch_vccz .LBB393_358
; %bb.356:
	v_cmp_eq_u16_e32 vcc_lo, 29, v10
	s_mov_b32 s2, -1
	s_cbranch_vccz .LBB393_358
; %bb.357:
	v_trunc_f64_e32 v[2:3], v[0:1]
	s_mov_b32 s3, -1
	s_mov_b32 s2, 0
	s_mov_b32 s25, 0
	s_delay_alu instid0(VALU_DEP_1) | instskip(NEXT) | instid1(VALU_DEP_1)
	v_ldexp_f64 v[6:7], v[2:3], 0xffffffe0
	v_floor_f64_e32 v[6:7], v[6:7]
	s_delay_alu instid0(VALU_DEP_1) | instskip(SKIP_1) | instid1(VALU_DEP_2)
	v_fma_f64 v[2:3], 0xc1f00000, v[6:7], v[2:3]
	v_cvt_u32_f64_e32 v7, v[6:7]
	v_cvt_u32_f64_e32 v6, v[2:3]
	global_store_b64 v[4:5], v[6:7], off
	s_branch .LBB393_359
.LBB393_358:
	s_mov_b32 s25, 0
.LBB393_359:
	s_delay_alu instid0(SALU_CYCLE_1)
	s_and_b32 vcc_lo, exec_lo, s25
	s_cbranch_vccz .LBB393_375
; %bb.360:
	v_cmp_gt_i16_e32 vcc_lo, 27, v10
	s_mov_b32 s3, -1
	s_cbranch_vccnz .LBB393_366
; %bb.361:
	v_cmp_lt_i16_e32 vcc_lo, 27, v10
	s_cbranch_vccz .LBB393_363
; %bb.362:
	v_cvt_u32_f64_e32 v2, v[0:1]
	s_mov_b32 s3, 0
	global_store_b32 v[4:5], v2, off
.LBB393_363:
	s_and_not1_b32 vcc_lo, exec_lo, s3
	s_cbranch_vccnz .LBB393_365
; %bb.364:
	v_cvt_u32_f64_e32 v2, v[0:1]
	global_store_b16 v[4:5], v2, off
.LBB393_365:
	s_mov_b32 s3, 0
.LBB393_366:
	s_delay_alu instid0(SALU_CYCLE_1)
	s_and_not1_b32 vcc_lo, exec_lo, s3
	s_cbranch_vccnz .LBB393_374
; %bb.367:
	v_cvt_f32_f64_e32 v2, v[0:1]
	v_mov_b32_e32 v6, 0x80
	s_mov_b32 s3, exec_lo
	s_delay_alu instid0(VALU_DEP_2) | instskip(NEXT) | instid1(VALU_DEP_1)
	v_and_b32_e32 v3, 0x7fffffff, v2
	v_cmpx_gt_u32_e32 0x43800000, v3
	s_cbranch_execz .LBB393_373
; %bb.368:
	v_cmp_lt_u32_e32 vcc_lo, 0x3bffffff, v3
	s_mov_b32 s25, 0
                                        ; implicit-def: $vgpr3
	s_and_saveexec_b32 s40, vcc_lo
	s_delay_alu instid0(SALU_CYCLE_1)
	s_xor_b32 s40, exec_lo, s40
	s_cbranch_execz .LBB393_559
; %bb.369:
	v_bfe_u32 v3, v2, 20, 1
	s_mov_b32 s25, exec_lo
	s_delay_alu instid0(VALU_DEP_1) | instskip(NEXT) | instid1(VALU_DEP_1)
	v_add3_u32 v3, v2, v3, 0x487ffff
	v_lshrrev_b32_e32 v3, 20, v3
	s_or_saveexec_b32 s40, s40
                                        ; implicit-def: $sgpr41
	s_delay_alu instid0(SALU_CYCLE_1)
	s_xor_b32 exec_lo, exec_lo, s40
	s_cbranch_execnz .LBB393_560
.LBB393_370:
	s_or_b32 exec_lo, exec_lo, s40
	v_mov_b32_e32 v6, s41
	s_and_saveexec_b32 s40, s25
.LBB393_371:
	v_lshrrev_b32_e32 v2, 24, v2
	s_delay_alu instid0(VALU_DEP_1)
	v_and_or_b32 v6, 0x80, v2, v3
.LBB393_372:
	s_or_b32 exec_lo, exec_lo, s40
.LBB393_373:
	s_delay_alu instid0(SALU_CYCLE_1)
	s_or_b32 exec_lo, exec_lo, s3
	global_store_b8 v[4:5], v6, off
.LBB393_374:
	s_mov_b32 s3, -1
.LBB393_375:
	s_mov_b32 s25, 0
.LBB393_376:
	s_delay_alu instid0(SALU_CYCLE_1)
	s_and_b32 vcc_lo, exec_lo, s25
	s_cbranch_vccz .LBB393_417
; %bb.377:
	v_cmp_lt_i16_e32 vcc_lo, 22, v10
	s_mov_b32 s25, -1
	s_cbranch_vccz .LBB393_409
; %bb.378:
	v_cmp_gt_i16_e32 vcc_lo, 24, v10
	s_mov_b32 s3, -1
	s_cbranch_vccnz .LBB393_398
; %bb.379:
	v_cmp_lt_i16_e32 vcc_lo, 24, v10
	s_cbranch_vccz .LBB393_387
; %bb.380:
	v_cvt_f32_f64_e32 v2, v[0:1]
	v_mov_b32_e32 v6, 0x80
	s_mov_b32 s3, exec_lo
	s_delay_alu instid0(VALU_DEP_2) | instskip(NEXT) | instid1(VALU_DEP_1)
	v_and_b32_e32 v3, 0x7fffffff, v2
	v_cmpx_gt_u32_e32 0x47800000, v3
	s_cbranch_execz .LBB393_386
; %bb.381:
	v_cmp_lt_u32_e32 vcc_lo, 0x37ffffff, v3
	s_mov_b32 s25, 0
                                        ; implicit-def: $vgpr3
	s_and_saveexec_b32 s40, vcc_lo
	s_delay_alu instid0(SALU_CYCLE_1)
	s_xor_b32 s40, exec_lo, s40
	s_cbranch_execz .LBB393_562
; %bb.382:
	v_bfe_u32 v3, v2, 21, 1
	s_mov_b32 s25, exec_lo
	s_delay_alu instid0(VALU_DEP_1) | instskip(NEXT) | instid1(VALU_DEP_1)
	v_add3_u32 v3, v2, v3, 0x88fffff
	v_lshrrev_b32_e32 v3, 21, v3
	s_or_saveexec_b32 s40, s40
                                        ; implicit-def: $sgpr41
	s_delay_alu instid0(SALU_CYCLE_1)
	s_xor_b32 exec_lo, exec_lo, s40
	s_cbranch_execnz .LBB393_563
.LBB393_383:
	s_or_b32 exec_lo, exec_lo, s40
	v_mov_b32_e32 v6, s41
	s_and_saveexec_b32 s40, s25
.LBB393_384:
	v_lshrrev_b32_e32 v2, 24, v2
	s_delay_alu instid0(VALU_DEP_1)
	v_and_or_b32 v6, 0x80, v2, v3
.LBB393_385:
	s_or_b32 exec_lo, exec_lo, s40
.LBB393_386:
	s_delay_alu instid0(SALU_CYCLE_1)
	s_or_b32 exec_lo, exec_lo, s3
	s_mov_b32 s3, 0
	global_store_b8 v[4:5], v6, off
.LBB393_387:
	s_and_b32 vcc_lo, exec_lo, s3
	s_cbranch_vccz .LBB393_397
; %bb.388:
	v_cvt_f32_f64_e32 v2, v[0:1]
	s_mov_b32 s3, exec_lo
                                        ; implicit-def: $vgpr3
	s_delay_alu instid0(VALU_DEP_1) | instskip(NEXT) | instid1(VALU_DEP_1)
	v_and_b32_e32 v6, 0x7fffffff, v2
	v_cmpx_gt_u32_e32 0x43f00000, v6
	s_xor_b32 s3, exec_lo, s3
	s_cbranch_execz .LBB393_394
; %bb.389:
	s_mov_b32 s25, exec_lo
                                        ; implicit-def: $vgpr3
	v_cmpx_lt_u32_e32 0x3c7fffff, v6
	s_xor_b32 s25, exec_lo, s25
; %bb.390:
	v_bfe_u32 v3, v2, 20, 1
	s_delay_alu instid0(VALU_DEP_1) | instskip(NEXT) | instid1(VALU_DEP_1)
	v_add3_u32 v3, v2, v3, 0x407ffff
	v_and_b32_e32 v6, 0xff00000, v3
	v_lshrrev_b32_e32 v3, 20, v3
	s_delay_alu instid0(VALU_DEP_2) | instskip(NEXT) | instid1(VALU_DEP_2)
	v_cmp_ne_u32_e32 vcc_lo, 0x7f00000, v6
	v_cndmask_b32_e32 v3, 0x7e, v3, vcc_lo
; %bb.391:
	s_and_not1_saveexec_b32 s25, s25
; %bb.392:
	v_add_f32_e64 v3, 0x46800000, |v2|
; %bb.393:
	s_or_b32 exec_lo, exec_lo, s25
                                        ; implicit-def: $vgpr6
.LBB393_394:
	s_and_not1_saveexec_b32 s3, s3
; %bb.395:
	v_mov_b32_e32 v3, 0x7f
	v_cmp_lt_u32_e32 vcc_lo, 0x7f800000, v6
	s_delay_alu instid0(VALU_DEP_2)
	v_cndmask_b32_e32 v3, 0x7e, v3, vcc_lo
; %bb.396:
	s_or_b32 exec_lo, exec_lo, s3
	v_lshrrev_b32_e32 v2, 24, v2
	s_delay_alu instid0(VALU_DEP_1)
	v_and_or_b32 v2, 0x80, v2, v3
	global_store_b8 v[4:5], v2, off
.LBB393_397:
	s_mov_b32 s3, 0
.LBB393_398:
	s_delay_alu instid0(SALU_CYCLE_1)
	s_and_not1_b32 vcc_lo, exec_lo, s3
	s_cbranch_vccnz .LBB393_408
; %bb.399:
	v_cvt_f32_f64_e32 v2, v[0:1]
	s_mov_b32 s3, exec_lo
                                        ; implicit-def: $vgpr3
	s_delay_alu instid0(VALU_DEP_1) | instskip(NEXT) | instid1(VALU_DEP_1)
	v_and_b32_e32 v6, 0x7fffffff, v2
	v_cmpx_gt_u32_e32 0x47800000, v6
	s_xor_b32 s3, exec_lo, s3
	s_cbranch_execz .LBB393_405
; %bb.400:
	s_mov_b32 s25, exec_lo
                                        ; implicit-def: $vgpr3
	v_cmpx_lt_u32_e32 0x387fffff, v6
	s_xor_b32 s25, exec_lo, s25
; %bb.401:
	v_bfe_u32 v3, v2, 21, 1
	s_delay_alu instid0(VALU_DEP_1) | instskip(NEXT) | instid1(VALU_DEP_1)
	v_add3_u32 v3, v2, v3, 0x80fffff
	v_lshrrev_b32_e32 v3, 21, v3
; %bb.402:
	s_and_not1_saveexec_b32 s25, s25
; %bb.403:
	v_add_f32_e64 v3, 0x43000000, |v2|
; %bb.404:
	s_or_b32 exec_lo, exec_lo, s25
                                        ; implicit-def: $vgpr6
.LBB393_405:
	s_and_not1_saveexec_b32 s3, s3
; %bb.406:
	v_mov_b32_e32 v3, 0x7f
	v_cmp_lt_u32_e32 vcc_lo, 0x7f800000, v6
	s_delay_alu instid0(VALU_DEP_2)
	v_cndmask_b32_e32 v3, 0x7c, v3, vcc_lo
; %bb.407:
	s_or_b32 exec_lo, exec_lo, s3
	v_lshrrev_b32_e32 v2, 24, v2
	s_delay_alu instid0(VALU_DEP_1)
	v_and_or_b32 v2, 0x80, v2, v3
	global_store_b8 v[4:5], v2, off
.LBB393_408:
	s_mov_b32 s25, 0
	s_mov_b32 s3, -1
.LBB393_409:
	s_and_not1_b32 vcc_lo, exec_lo, s25
	s_cbranch_vccnz .LBB393_417
; %bb.410:
	v_cmp_lt_i16_e32 vcc_lo, 14, v10
	s_mov_b32 s25, -1
	s_cbranch_vccz .LBB393_414
; %bb.411:
	v_cmp_eq_u16_e32 vcc_lo, 15, v10
	s_mov_b32 s2, -1
	s_cbranch_vccz .LBB393_413
; %bb.412:
	v_cvt_f32_f64_e32 v2, v[0:1]
	s_mov_b32 s3, -1
	s_mov_b32 s2, 0
	s_delay_alu instid0(VALU_DEP_1) | instskip(SKIP_1) | instid1(VALU_DEP_2)
	v_bfe_u32 v3, v2, 16, 1
	v_cmp_o_f32_e32 vcc_lo, v2, v2
	v_add3_u32 v3, v2, v3, 0x7fff
	s_delay_alu instid0(VALU_DEP_1) | instskip(NEXT) | instid1(VALU_DEP_1)
	v_lshrrev_b32_e32 v3, 16, v3
	v_cndmask_b32_e32 v2, 0x7fc0, v3, vcc_lo
	global_store_b16 v[4:5], v2, off
.LBB393_413:
	s_mov_b32 s25, 0
.LBB393_414:
	s_delay_alu instid0(SALU_CYCLE_1)
	s_and_b32 vcc_lo, exec_lo, s25
	s_cbranch_vccz .LBB393_417
; %bb.415:
	v_cmp_eq_u16_e32 vcc_lo, 11, v10
	s_mov_b32 s2, -1
	s_cbranch_vccz .LBB393_417
; %bb.416:
	v_cmp_neq_f64_e32 vcc_lo, 0, v[0:1]
	s_mov_b32 s3, -1
	s_mov_b32 s2, 0
	v_cndmask_b32_e64 v2, 0, 1, vcc_lo
	global_store_b8 v[4:5], v2, off
.LBB393_417:
.LBB393_418:
	s_and_not1_b32 vcc_lo, exec_lo, s3
	s_cbranch_vccnz .LBB393_333
.LBB393_419:
	v_add_nc_u32_e32 v9, 0x80, v9
	s_mov_b32 s3, -1
	s_branch .LBB393_532
.LBB393_420:
	s_mov_b32 s24, -1
                                        ; implicit-def: $vgpr6_vgpr7
.LBB393_421:
	s_mov_b32 s3, 0
.LBB393_422:
	s_delay_alu instid0(SALU_CYCLE_1)
	s_and_b32 vcc_lo, exec_lo, s3
	s_cbranch_vccz .LBB393_426
; %bb.423:
	v_cmp_eq_u16_e32 vcc_lo, 29, v8
	s_cbranch_vccz .LBB393_425
; %bb.424:
	global_load_b64 v[3:4], v[1:2], off
	s_mov_b32 s2, -1
	s_mov_b32 s24, 0
	s_mov_b32 s3, 0
	s_waitcnt vmcnt(0)
	v_cvt_f64_u32_e32 v[4:5], v4
	v_cvt_f64_u32_e32 v[6:7], v3
	s_delay_alu instid0(VALU_DEP_2) | instskip(NEXT) | instid1(VALU_DEP_1)
	v_ldexp_f64 v[4:5], v[4:5], 32
	v_add_f64 v[6:7], v[4:5], v[6:7]
	s_branch .LBB393_427
.LBB393_425:
	s_mov_b32 s24, -1
                                        ; implicit-def: $vgpr6_vgpr7
.LBB393_426:
	s_mov_b32 s3, 0
.LBB393_427:
	s_delay_alu instid0(SALU_CYCLE_1)
	s_and_b32 vcc_lo, exec_lo, s3
	s_cbranch_vccz .LBB393_447
; %bb.428:
	v_cmp_gt_i16_e32 vcc_lo, 27, v8
	s_cbranch_vccnz .LBB393_431
; %bb.429:
	v_cmp_lt_i16_e32 vcc_lo, 27, v8
	s_cbranch_vccz .LBB393_432
; %bb.430:
	global_load_b32 v3, v[1:2], off
	s_mov_b32 s2, 0
	s_waitcnt vmcnt(0)
	v_cvt_f64_u32_e32 v[6:7], v3
	s_branch .LBB393_433
.LBB393_431:
	s_mov_b32 s2, -1
                                        ; implicit-def: $vgpr6_vgpr7
	s_branch .LBB393_436
.LBB393_432:
	s_mov_b32 s2, -1
                                        ; implicit-def: $vgpr6_vgpr7
.LBB393_433:
	s_delay_alu instid0(SALU_CYCLE_1)
	s_and_not1_b32 vcc_lo, exec_lo, s2
	s_cbranch_vccnz .LBB393_435
; %bb.434:
	global_load_u16 v3, v[1:2], off
	s_waitcnt vmcnt(0)
	v_cvt_f64_u32_e32 v[6:7], v3
.LBB393_435:
	s_mov_b32 s2, 0
.LBB393_436:
	s_delay_alu instid0(SALU_CYCLE_1)
	s_and_not1_b32 vcc_lo, exec_lo, s2
	s_cbranch_vccnz .LBB393_446
; %bb.437:
	global_load_u8 v3, v[1:2], off
	s_mov_b32 s25, 0
	s_mov_b32 s40, exec_lo
                                        ; implicit-def: $sgpr2_sgpr3
	s_waitcnt vmcnt(0)
	v_cmpx_lt_i16_e32 0x7f, v3
	s_xor_b32 s40, exec_lo, s40
	s_cbranch_execz .LBB393_441
; %bb.438:
	s_mov_b32 s41, -1
	s_mov_b32 s25, exec_lo
                                        ; implicit-def: $sgpr2_sgpr3
	v_cmpx_eq_u16_e32 0x80, v3
; %bb.439:
	s_mov_b32 s3, 0x7ff80000
	s_brev_b32 s2, 4
	s_xor_b32 s41, exec_lo, -1
; %bb.440:
	s_or_b32 exec_lo, exec_lo, s25
	s_delay_alu instid0(SALU_CYCLE_1)
	s_and_b32 s25, s41, exec_lo
.LBB393_441:
	s_or_saveexec_b32 s40, s40
	v_dual_mov_b32 v7, s3 :: v_dual_mov_b32 v6, s2
	s_xor_b32 exec_lo, exec_lo, s40
; %bb.442:
	v_cmp_ne_u16_e32 vcc_lo, 0, v3
	v_mov_b32_e32 v6, 0
	v_mov_b32_e32 v7, 0
	s_and_not1_b32 s2, s25, exec_lo
	s_and_b32 s3, vcc_lo, exec_lo
	s_delay_alu instid0(SALU_CYCLE_1)
	s_or_b32 s25, s2, s3
; %bb.443:
	s_or_b32 exec_lo, exec_lo, s40
	s_and_saveexec_b32 s2, s25
	s_cbranch_execz .LBB393_445
; %bb.444:
	v_and_b32_e32 v4, 0xffff, v3
	v_lshlrev_b32_e32 v3, 24, v3
	s_delay_alu instid0(VALU_DEP_2) | instskip(NEXT) | instid1(VALU_DEP_2)
	v_and_b32_e32 v5, 7, v4
	v_and_b32_e32 v3, 0x80000000, v3
	s_delay_alu instid0(VALU_DEP_2) | instskip(NEXT) | instid1(VALU_DEP_1)
	v_clz_i32_u32_e32 v6, v5
	v_min_u32_e32 v6, 32, v6
	s_delay_alu instid0(VALU_DEP_1) | instskip(SKIP_1) | instid1(VALU_DEP_2)
	v_subrev_nc_u32_e32 v7, 28, v6
	v_sub_nc_u32_e32 v6, 29, v6
	v_lshlrev_b32_e32 v7, v7, v4
	v_bfe_u32 v4, v4, 3, 4
	s_delay_alu instid0(VALU_DEP_2) | instskip(NEXT) | instid1(VALU_DEP_2)
	v_and_b32_e32 v7, 7, v7
	v_cmp_eq_u32_e32 vcc_lo, 0, v4
	s_delay_alu instid0(VALU_DEP_2) | instskip(NEXT) | instid1(VALU_DEP_1)
	v_dual_cndmask_b32 v4, v4, v6 :: v_dual_cndmask_b32 v5, v5, v7
	v_lshl_add_u32 v4, v4, 23, 0x3b800000
	s_delay_alu instid0(VALU_DEP_2) | instskip(NEXT) | instid1(VALU_DEP_1)
	v_lshlrev_b32_e32 v5, 20, v5
	v_or3_b32 v3, v3, v4, v5
	s_delay_alu instid0(VALU_DEP_1)
	v_cvt_f64_f32_e32 v[6:7], v3
.LBB393_445:
	s_or_b32 exec_lo, exec_lo, s2
.LBB393_446:
	s_mov_b32 s2, -1
.LBB393_447:
	s_mov_b32 s3, 0
.LBB393_448:
	s_delay_alu instid0(SALU_CYCLE_1)
	s_and_b32 vcc_lo, exec_lo, s3
	s_cbranch_vccz .LBB393_481
; %bb.449:
	v_cmp_lt_i16_e32 vcc_lo, 22, v8
	s_cbranch_vccz .LBB393_461
; %bb.450:
	v_cmp_gt_i16_e32 vcc_lo, 24, v8
	s_cbranch_vccnz .LBB393_462
; %bb.451:
	v_cmp_lt_i16_e32 vcc_lo, 24, v8
	s_cbranch_vccz .LBB393_463
; %bb.452:
	global_load_u8 v3, v[1:2], off
	s_mov_b32 s25, 0
	s_mov_b32 s40, exec_lo
                                        ; implicit-def: $sgpr2_sgpr3
	s_waitcnt vmcnt(0)
	v_cmpx_lt_i16_e32 0x7f, v3
	s_xor_b32 s40, exec_lo, s40
	s_cbranch_execz .LBB393_456
; %bb.453:
	s_mov_b32 s41, -1
	s_mov_b32 s25, exec_lo
                                        ; implicit-def: $sgpr2_sgpr3
	v_cmpx_eq_u16_e32 0x80, v3
; %bb.454:
	s_mov_b32 s3, 0x7ff80000
	s_brev_b32 s2, 4
	s_xor_b32 s41, exec_lo, -1
; %bb.455:
	s_or_b32 exec_lo, exec_lo, s25
	s_delay_alu instid0(SALU_CYCLE_1)
	s_and_b32 s25, s41, exec_lo
.LBB393_456:
	s_or_saveexec_b32 s40, s40
	v_dual_mov_b32 v7, s3 :: v_dual_mov_b32 v6, s2
	s_xor_b32 exec_lo, exec_lo, s40
; %bb.457:
	v_cmp_ne_u16_e32 vcc_lo, 0, v3
	v_mov_b32_e32 v6, 0
	v_mov_b32_e32 v7, 0
	s_and_not1_b32 s2, s25, exec_lo
	s_and_b32 s3, vcc_lo, exec_lo
	s_delay_alu instid0(SALU_CYCLE_1)
	s_or_b32 s25, s2, s3
; %bb.458:
	s_or_b32 exec_lo, exec_lo, s40
	s_and_saveexec_b32 s2, s25
	s_cbranch_execz .LBB393_460
; %bb.459:
	v_and_b32_e32 v4, 0xffff, v3
	v_lshlrev_b32_e32 v3, 24, v3
	s_delay_alu instid0(VALU_DEP_2) | instskip(NEXT) | instid1(VALU_DEP_2)
	v_and_b32_e32 v5, 3, v4
	v_and_b32_e32 v3, 0x80000000, v3
	s_delay_alu instid0(VALU_DEP_2) | instskip(NEXT) | instid1(VALU_DEP_1)
	v_clz_i32_u32_e32 v6, v5
	v_min_u32_e32 v6, 32, v6
	s_delay_alu instid0(VALU_DEP_1) | instskip(SKIP_1) | instid1(VALU_DEP_2)
	v_subrev_nc_u32_e32 v7, 29, v6
	v_sub_nc_u32_e32 v6, 30, v6
	v_lshlrev_b32_e32 v7, v7, v4
	v_bfe_u32 v4, v4, 2, 5
	s_delay_alu instid0(VALU_DEP_2) | instskip(NEXT) | instid1(VALU_DEP_2)
	v_and_b32_e32 v7, 3, v7
	v_cmp_eq_u32_e32 vcc_lo, 0, v4
	s_delay_alu instid0(VALU_DEP_2) | instskip(NEXT) | instid1(VALU_DEP_1)
	v_dual_cndmask_b32 v4, v4, v6 :: v_dual_cndmask_b32 v5, v5, v7
	v_lshl_add_u32 v4, v4, 23, 0x37800000
	s_delay_alu instid0(VALU_DEP_2) | instskip(NEXT) | instid1(VALU_DEP_1)
	v_lshlrev_b32_e32 v5, 21, v5
	v_or3_b32 v3, v3, v4, v5
	s_delay_alu instid0(VALU_DEP_1)
	v_cvt_f64_f32_e32 v[6:7], v3
.LBB393_460:
	s_or_b32 exec_lo, exec_lo, s2
	s_mov_b32 s2, 0
	s_branch .LBB393_464
.LBB393_461:
	s_mov_b32 s3, -1
                                        ; implicit-def: $vgpr6_vgpr7
	s_branch .LBB393_470
.LBB393_462:
	s_mov_b32 s2, -1
                                        ; implicit-def: $vgpr6_vgpr7
	s_branch .LBB393_467
.LBB393_463:
	s_mov_b32 s2, -1
                                        ; implicit-def: $vgpr6_vgpr7
.LBB393_464:
	s_delay_alu instid0(SALU_CYCLE_1)
	s_and_b32 vcc_lo, exec_lo, s2
	s_cbranch_vccz .LBB393_466
; %bb.465:
	global_load_u8 v3, v[1:2], off
	s_waitcnt vmcnt(0)
	v_lshlrev_b32_e32 v3, 24, v3
	s_delay_alu instid0(VALU_DEP_1) | instskip(NEXT) | instid1(VALU_DEP_1)
	v_and_b32_e32 v4, 0x7f000000, v3
	v_clz_i32_u32_e32 v5, v4
	v_add_nc_u32_e32 v7, 0x1000000, v4
	v_cmp_ne_u32_e32 vcc_lo, 0, v4
	s_delay_alu instid0(VALU_DEP_3) | instskip(NEXT) | instid1(VALU_DEP_1)
	v_min_u32_e32 v5, 32, v5
	v_sub_nc_u32_e64 v5, v5, 4 clamp
	s_delay_alu instid0(VALU_DEP_1) | instskip(SKIP_1) | instid1(VALU_DEP_2)
	v_lshlrev_b32_e32 v6, v5, v4
	v_lshlrev_b32_e32 v5, 23, v5
	v_lshrrev_b32_e32 v6, 4, v6
	s_delay_alu instid0(VALU_DEP_1) | instskip(SKIP_1) | instid1(VALU_DEP_2)
	v_sub_nc_u32_e32 v5, v6, v5
	v_ashrrev_i32_e32 v6, 8, v7
	v_add_nc_u32_e32 v5, 0x3c000000, v5
	s_delay_alu instid0(VALU_DEP_1) | instskip(NEXT) | instid1(VALU_DEP_1)
	v_and_or_b32 v5, 0x7f800000, v6, v5
	v_cndmask_b32_e32 v4, 0, v5, vcc_lo
	s_delay_alu instid0(VALU_DEP_1) | instskip(NEXT) | instid1(VALU_DEP_1)
	v_and_or_b32 v3, 0x80000000, v3, v4
	v_cvt_f64_f32_e32 v[6:7], v3
.LBB393_466:
	s_mov_b32 s2, 0
.LBB393_467:
	s_delay_alu instid0(SALU_CYCLE_1)
	s_and_not1_b32 vcc_lo, exec_lo, s2
	s_cbranch_vccnz .LBB393_469
; %bb.468:
	global_load_u8 v3, v[1:2], off
	s_waitcnt vmcnt(0)
	v_lshlrev_b32_e32 v4, 25, v3
	v_lshlrev_b16 v3, 8, v3
	s_delay_alu instid0(VALU_DEP_2) | instskip(NEXT) | instid1(VALU_DEP_2)
	v_lshrrev_b32_e32 v5, 4, v4
	v_and_or_b32 v6, 0x7f00, v3, 0.5
	v_bfe_i32 v3, v3, 0, 16
	s_delay_alu instid0(VALU_DEP_3) | instskip(NEXT) | instid1(VALU_DEP_1)
	v_or_b32_e32 v5, 0x70000000, v5
	v_dual_add_f32 v6, -0.5, v6 :: v_dual_mul_f32 v5, 0x7800000, v5
	v_cmp_gt_u32_e32 vcc_lo, 0x8000000, v4
	s_delay_alu instid0(VALU_DEP_2) | instskip(NEXT) | instid1(VALU_DEP_1)
	v_cndmask_b32_e32 v4, v5, v6, vcc_lo
	v_and_or_b32 v3, 0x80000000, v3, v4
	s_delay_alu instid0(VALU_DEP_1)
	v_cvt_f64_f32_e32 v[6:7], v3
.LBB393_469:
	s_mov_b32 s3, 0
	s_mov_b32 s2, -1
.LBB393_470:
	s_and_not1_b32 vcc_lo, exec_lo, s3
	s_cbranch_vccnz .LBB393_481
; %bb.471:
	v_cmp_lt_i16_e32 vcc_lo, 14, v8
	s_cbranch_vccz .LBB393_474
; %bb.472:
	v_cmp_eq_u16_e32 vcc_lo, 15, v8
	s_cbranch_vccz .LBB393_475
; %bb.473:
	global_load_u16 v3, v[1:2], off
	s_mov_b32 s2, -1
	s_mov_b32 s24, 0
	s_waitcnt vmcnt(0)
	v_lshlrev_b32_e32 v3, 16, v3
	s_delay_alu instid0(VALU_DEP_1)
	v_cvt_f64_f32_e32 v[6:7], v3
	s_branch .LBB393_476
.LBB393_474:
	s_mov_b32 s3, -1
                                        ; implicit-def: $vgpr6_vgpr7
	s_branch .LBB393_477
.LBB393_475:
	s_mov_b32 s24, -1
                                        ; implicit-def: $vgpr6_vgpr7
.LBB393_476:
	s_mov_b32 s3, 0
.LBB393_477:
	s_delay_alu instid0(SALU_CYCLE_1)
	s_and_b32 vcc_lo, exec_lo, s3
	s_cbranch_vccz .LBB393_481
; %bb.478:
	v_cmp_eq_u16_e32 vcc_lo, 11, v8
	s_cbranch_vccz .LBB393_480
; %bb.479:
	global_load_u8 v3, v[1:2], off
	s_waitcnt vmcnt(1)
	v_mov_b32_e32 v6, 0
	s_mov_b32 s24, 0
	s_mov_b32 s2, -1
	s_waitcnt vmcnt(0)
	v_cmp_ne_u16_e32 vcc_lo, 0, v3
	v_cndmask_b32_e64 v7, 0, 0x3ff00000, vcc_lo
	s_branch .LBB393_481
.LBB393_480:
	s_mov_b32 s24, -1
                                        ; implicit-def: $vgpr6_vgpr7
.LBB393_481:
	s_branch .LBB393_286
.LBB393_482:
	v_cmp_gt_i16_e32 vcc_lo, 5, v8
	s_cbranch_vccnz .LBB393_487
; %bb.483:
	v_cmp_gt_i16_e32 vcc_lo, 8, v8
	s_cbranch_vccnz .LBB393_488
; %bb.484:
	;; [unrolled: 3-line block ×3, first 2 shown]
	v_cmp_lt_i16_e32 vcc_lo, 9, v8
	s_cbranch_vccz .LBB393_490
; %bb.486:
	global_load_b64 v[6:7], v[1:2], off
	s_mov_b32 s2, 0
	s_branch .LBB393_491
.LBB393_487:
	s_mov_b32 s2, -1
                                        ; implicit-def: $vgpr6_vgpr7
	s_branch .LBB393_509
.LBB393_488:
	s_mov_b32 s2, -1
                                        ; implicit-def: $vgpr6_vgpr7
	s_branch .LBB393_497
.LBB393_489:
	s_mov_b32 s2, -1
                                        ; implicit-def: $vgpr6_vgpr7
	s_branch .LBB393_494
.LBB393_490:
	s_mov_b32 s2, -1
                                        ; implicit-def: $vgpr6_vgpr7
.LBB393_491:
	s_delay_alu instid0(SALU_CYCLE_1)
	s_and_not1_b32 vcc_lo, exec_lo, s2
	s_cbranch_vccnz .LBB393_493
; %bb.492:
	global_load_b32 v3, v[1:2], off
	s_waitcnt vmcnt(0)
	v_cvt_f64_f32_e32 v[6:7], v3
.LBB393_493:
	s_mov_b32 s2, 0
.LBB393_494:
	s_delay_alu instid0(SALU_CYCLE_1)
	s_and_not1_b32 vcc_lo, exec_lo, s2
	s_cbranch_vccnz .LBB393_496
; %bb.495:
	global_load_b32 v3, v[1:2], off
	s_waitcnt vmcnt(0)
	v_cvt_f32_f16_e32 v3, v3
	s_delay_alu instid0(VALU_DEP_1)
	v_cvt_f64_f32_e32 v[6:7], v3
.LBB393_496:
	s_mov_b32 s2, 0
.LBB393_497:
	s_delay_alu instid0(SALU_CYCLE_1)
	s_and_not1_b32 vcc_lo, exec_lo, s2
	s_cbranch_vccnz .LBB393_508
; %bb.498:
	v_cmp_gt_i16_e32 vcc_lo, 6, v8
	s_cbranch_vccnz .LBB393_501
; %bb.499:
	v_cmp_lt_i16_e32 vcc_lo, 6, v8
	s_cbranch_vccz .LBB393_502
; %bb.500:
	global_load_b64 v[6:7], v[1:2], off
	s_mov_b32 s2, 0
	s_branch .LBB393_503
.LBB393_501:
	s_mov_b32 s2, -1
                                        ; implicit-def: $vgpr6_vgpr7
	s_branch .LBB393_506
.LBB393_502:
	s_mov_b32 s2, -1
                                        ; implicit-def: $vgpr6_vgpr7
.LBB393_503:
	s_delay_alu instid0(SALU_CYCLE_1)
	s_and_not1_b32 vcc_lo, exec_lo, s2
	s_cbranch_vccnz .LBB393_505
; %bb.504:
	global_load_b32 v3, v[1:2], off
	s_waitcnt vmcnt(0)
	v_cvt_f64_f32_e32 v[6:7], v3
.LBB393_505:
	s_mov_b32 s2, 0
.LBB393_506:
	s_delay_alu instid0(SALU_CYCLE_1)
	s_and_not1_b32 vcc_lo, exec_lo, s2
	s_cbranch_vccnz .LBB393_508
; %bb.507:
	global_load_u16 v3, v[1:2], off
	s_waitcnt vmcnt(0)
	v_cvt_f32_f16_e32 v3, v3
	s_delay_alu instid0(VALU_DEP_1)
	v_cvt_f64_f32_e32 v[6:7], v3
.LBB393_508:
	s_mov_b32 s2, 0
.LBB393_509:
	s_delay_alu instid0(SALU_CYCLE_1)
	s_and_not1_b32 vcc_lo, exec_lo, s2
	s_cbranch_vccnz .LBB393_529
; %bb.510:
	v_cmp_gt_i16_e32 vcc_lo, 2, v8
	s_cbranch_vccnz .LBB393_514
; %bb.511:
	v_cmp_gt_i16_e32 vcc_lo, 3, v8
	s_cbranch_vccnz .LBB393_515
; %bb.512:
	v_cmp_lt_i16_e32 vcc_lo, 3, v8
	s_cbranch_vccz .LBB393_516
; %bb.513:
	global_load_b64 v[3:4], v[1:2], off
	s_mov_b32 s2, 0
	s_waitcnt vmcnt(0)
	v_cvt_f64_i32_e32 v[4:5], v4
	v_cvt_f64_u32_e32 v[6:7], v3
	s_delay_alu instid0(VALU_DEP_2) | instskip(NEXT) | instid1(VALU_DEP_1)
	v_ldexp_f64 v[4:5], v[4:5], 32
	v_add_f64 v[6:7], v[4:5], v[6:7]
	s_branch .LBB393_517
.LBB393_514:
	s_mov_b32 s2, -1
                                        ; implicit-def: $vgpr6_vgpr7
	s_branch .LBB393_523
.LBB393_515:
	s_mov_b32 s2, -1
                                        ; implicit-def: $vgpr6_vgpr7
	s_branch .LBB393_520
.LBB393_516:
	s_mov_b32 s2, -1
                                        ; implicit-def: $vgpr6_vgpr7
.LBB393_517:
	s_delay_alu instid0(SALU_CYCLE_1)
	s_and_not1_b32 vcc_lo, exec_lo, s2
	s_cbranch_vccnz .LBB393_519
; %bb.518:
	global_load_b32 v3, v[1:2], off
	s_waitcnt vmcnt(0)
	v_cvt_f64_i32_e32 v[6:7], v3
.LBB393_519:
	s_mov_b32 s2, 0
.LBB393_520:
	s_delay_alu instid0(SALU_CYCLE_1)
	s_and_not1_b32 vcc_lo, exec_lo, s2
	s_cbranch_vccnz .LBB393_522
; %bb.521:
	global_load_i16 v3, v[1:2], off
	s_waitcnt vmcnt(0)
	v_cvt_f64_i32_e32 v[6:7], v3
.LBB393_522:
	s_mov_b32 s2, 0
.LBB393_523:
	s_delay_alu instid0(SALU_CYCLE_1)
	s_and_not1_b32 vcc_lo, exec_lo, s2
	s_cbranch_vccnz .LBB393_529
; %bb.524:
	v_cmp_lt_i16_e32 vcc_lo, 0, v8
	s_mov_b32 s2, 0
	s_cbranch_vccz .LBB393_526
; %bb.525:
	global_load_i8 v3, v[1:2], off
	s_waitcnt vmcnt(0)
	v_cvt_f64_i32_e32 v[6:7], v3
	s_branch .LBB393_527
.LBB393_526:
	s_mov_b32 s2, -1
                                        ; implicit-def: $vgpr6_vgpr7
.LBB393_527:
	s_delay_alu instid0(SALU_CYCLE_1)
	s_and_not1_b32 vcc_lo, exec_lo, s2
	s_cbranch_vccnz .LBB393_529
; %bb.528:
	global_load_u8 v1, v[1:2], off
	s_waitcnt vmcnt(0)
	v_cvt_f64_u32_e32 v[6:7], v1
.LBB393_529:
	s_branch .LBB393_287
.LBB393_530:
	s_mov_b32 s3, 0
	s_mov_b32 s2, s37
.LBB393_531:
                                        ; implicit-def: $vgpr9
.LBB393_532:
	s_and_not1_b32 s25, s37, exec_lo
	s_and_b32 s2, s2, exec_lo
	s_and_not1_b32 s40, s38, exec_lo
	s_and_b32 s24, s24, exec_lo
	s_or_b32 s41, s25, s2
	s_or_b32 s40, s40, s24
	s_or_not1_b32 s2, s3, exec_lo
.LBB393_533:
	s_or_b32 exec_lo, exec_lo, s42
	s_mov_b32 s3, 0
	s_mov_b32 s25, 0
	;; [unrolled: 1-line block ×3, first 2 shown]
                                        ; implicit-def: $vgpr0_vgpr1
                                        ; implicit-def: $vgpr2
                                        ; implicit-def: $vgpr6_vgpr7
	s_and_saveexec_b32 s42, s2
	s_cbranch_execz .LBB393_905
; %bb.534:
	s_mov_b32 s45, -1
	s_mov_b32 s24, s40
	s_mov_b32 s25, s41
	s_mov_b32 s43, exec_lo
	v_cmpx_gt_i32_e64 s34, v9
	s_cbranch_execz .LBB393_806
; %bb.535:
	s_and_not1_b32 vcc_lo, exec_lo, s29
	s_cbranch_vccnz .LBB393_540
; %bb.536:
	v_dual_mov_b32 v0, 0 :: v_dual_mov_b32 v1, 0
	s_and_not1_b32 vcc_lo, exec_lo, s36
	s_mov_b32 s44, 0
	s_cbranch_vccnz .LBB393_545
; %bb.537:
	v_mov_b32_e32 v0, 0
	s_add_i32 s46, s35, 1
	s_cmp_eq_u32 s27, 2
	s_mov_b32 s45, 0
	s_cbranch_scc1 .LBB393_541
; %bb.538:
	v_dual_mov_b32 v1, 0 :: v_dual_mov_b32 v0, 0
	v_mov_b32_e32 v2, v9
	s_and_b32 s45, s46, 28
	s_mov_b32 s47, 0
	s_mov_b64 s[2:3], s[22:23]
	s_mov_b64 s[24:25], s[16:17]
.LBB393_539:                            ; =>This Inner Loop Header: Depth=1
	s_clause 0x1
	s_load_b256 s[48:55], s[24:25], 0x4
	s_load_b128 s[64:67], s[24:25], 0x24
	s_load_b256 s[56:63], s[2:3], 0x0
	s_add_u32 s24, s24, 48
	s_addc_u32 s25, s25, 0
	s_add_i32 s47, s47, 4
	s_add_u32 s2, s2, 32
	s_addc_u32 s3, s3, 0
	s_cmp_eq_u32 s45, s47
	s_waitcnt lgkmcnt(0)
	v_mul_hi_u32 v3, s49, v2
	s_delay_alu instid0(VALU_DEP_1) | instskip(NEXT) | instid1(VALU_DEP_1)
	v_add_nc_u32_e32 v3, v2, v3
	v_lshrrev_b32_e32 v3, s50, v3
	s_delay_alu instid0(VALU_DEP_1) | instskip(SKIP_2) | instid1(VALU_DEP_2)
	v_mul_hi_u32 v4, s52, v3
	s_waitcnt vmcnt(0)
	v_mul_lo_u32 v6, v3, s48
	v_add_nc_u32_e32 v4, v3, v4
	s_delay_alu instid0(VALU_DEP_2) | instskip(NEXT) | instid1(VALU_DEP_2)
	v_sub_nc_u32_e32 v2, v2, v6
	v_lshrrev_b32_e32 v4, s53, v4
	s_delay_alu instid0(VALU_DEP_2) | instskip(SKIP_1) | instid1(VALU_DEP_3)
	v_mul_lo_u32 v6, v2, s56
	v_mul_lo_u32 v10, v2, s57
	v_mul_hi_u32 v5, s55, v4
	s_delay_alu instid0(VALU_DEP_1) | instskip(NEXT) | instid1(VALU_DEP_1)
	v_add_nc_u32_e32 v5, v4, v5
	v_lshrrev_b32_e32 v5, s64, v5
	s_delay_alu instid0(VALU_DEP_1) | instskip(SKIP_1) | instid1(VALU_DEP_2)
	v_mul_hi_u32 v7, s66, v5
	v_mul_lo_u32 v11, v5, s54
	v_add_nc_u32_e32 v2, v5, v7
	v_mul_lo_u32 v7, v4, s51
	s_delay_alu instid0(VALU_DEP_3) | instskip(NEXT) | instid1(VALU_DEP_3)
	v_sub_nc_u32_e32 v4, v4, v11
	v_lshrrev_b32_e32 v2, s67, v2
	s_delay_alu instid0(VALU_DEP_2) | instskip(SKIP_2) | instid1(VALU_DEP_4)
	v_mul_lo_u32 v11, v4, s60
	v_mul_lo_u32 v4, v4, s61
	v_sub_nc_u32_e32 v3, v3, v7
	v_mul_lo_u32 v12, v2, s65
	s_delay_alu instid0(VALU_DEP_2) | instskip(SKIP_1) | instid1(VALU_DEP_3)
	v_mul_lo_u32 v7, v3, s58
	v_mul_lo_u32 v3, v3, s59
	v_sub_nc_u32_e32 v5, v5, v12
	s_delay_alu instid0(VALU_DEP_3) | instskip(NEXT) | instid1(VALU_DEP_2)
	v_add3_u32 v0, v6, v0, v7
	v_mul_lo_u32 v12, v5, s62
	v_mul_lo_u32 v5, v5, s63
	v_add3_u32 v1, v10, v1, v3
	s_delay_alu instid0(VALU_DEP_3) | instskip(NEXT) | instid1(VALU_DEP_2)
	v_add3_u32 v0, v11, v0, v12
	v_add3_u32 v1, v4, v1, v5
	s_cbranch_scc0 .LBB393_539
	s_branch .LBB393_542
.LBB393_540:
	s_mov_b32 s44, -1
                                        ; implicit-def: $vgpr0
                                        ; implicit-def: $vgpr1
	s_branch .LBB393_545
.LBB393_541:
	v_dual_mov_b32 v2, v9 :: v_dual_mov_b32 v1, 0
.LBB393_542:
	s_and_b32 s46, s46, 3
	s_delay_alu instid0(SALU_CYCLE_1)
	s_cmp_eq_u32 s46, 0
	s_cbranch_scc1 .LBB393_545
; %bb.543:
	s_lshl_b32 s2, s45, 3
	s_mul_i32 s24, s45, 12
	s_add_u32 s2, s2, s16
	s_addc_u32 s3, s17, 0
	s_add_u32 s2, s2, 0xc4
	s_addc_u32 s3, s3, 0
	;; [unrolled: 2-line block ×3, first 2 shown]
	.p2align	6
.LBB393_544:                            ; =>This Inner Loop Header: Depth=1
	s_clause 0x1
	s_load_b64 s[48:49], s[24:25], 0x4
	s_load_b32 s45, s[24:25], 0xc
	s_load_b64 s[50:51], s[2:3], 0x0
	s_add_u32 s24, s24, 12
	s_addc_u32 s25, s25, 0
	s_add_u32 s2, s2, 8
	s_addc_u32 s3, s3, 0
	s_add_i32 s46, s46, -1
	s_delay_alu instid0(SALU_CYCLE_1) | instskip(SKIP_2) | instid1(VALU_DEP_1)
	s_cmp_lg_u32 s46, 0
	s_waitcnt lgkmcnt(0)
	v_mul_hi_u32 v3, s49, v2
	v_add_nc_u32_e32 v3, v2, v3
	s_waitcnt vmcnt(0)
	s_delay_alu instid0(VALU_DEP_1) | instskip(NEXT) | instid1(VALU_DEP_1)
	v_lshrrev_b32_e32 v6, s45, v3
	v_mul_lo_u32 v3, v6, s48
	s_delay_alu instid0(VALU_DEP_1) | instskip(NEXT) | instid1(VALU_DEP_1)
	v_sub_nc_u32_e32 v2, v2, v3
	v_mad_u64_u32 v[3:4], null, v2, s50, v[0:1]
	v_mad_u64_u32 v[4:5], null, v2, s51, v[1:2]
	v_mov_b32_e32 v2, v6
	s_delay_alu instid0(VALU_DEP_2)
	v_dual_mov_b32 v0, v3 :: v_dual_mov_b32 v1, v4
	s_cbranch_scc1 .LBB393_544
.LBB393_545:
	s_and_not1_b32 vcc_lo, exec_lo, s44
	s_cbranch_vccnz .LBB393_548
; %bb.546:
	v_mul_hi_u32 v0, s13, v9
	s_and_not1_b32 vcc_lo, exec_lo, s33
	s_delay_alu instid0(VALU_DEP_1) | instskip(NEXT) | instid1(VALU_DEP_1)
	v_add_nc_u32_e32 v0, v9, v0
	v_lshrrev_b32_e32 v2, s14, v0
	s_delay_alu instid0(VALU_DEP_1) | instskip(NEXT) | instid1(VALU_DEP_1)
	v_mul_lo_u32 v0, v2, s12
	v_sub_nc_u32_e32 v1, v9, v0
	s_delay_alu instid0(VALU_DEP_1)
	v_mul_lo_u32 v0, v1, s8
	v_mul_lo_u32 v1, v1, s9
	s_cbranch_vccnz .LBB393_548
; %bb.547:
	v_mul_hi_u32 v3, s20, v2
	s_delay_alu instid0(VALU_DEP_1) | instskip(NEXT) | instid1(VALU_DEP_1)
	v_add_nc_u32_e32 v3, v2, v3
	v_lshrrev_b32_e32 v3, s21, v3
	s_delay_alu instid0(VALU_DEP_1) | instskip(NEXT) | instid1(VALU_DEP_1)
	v_mul_lo_u32 v3, v3, s15
	v_sub_nc_u32_e32 v5, v2, v3
	s_delay_alu instid0(VALU_DEP_1) | instskip(NEXT) | instid1(VALU_DEP_1)
	v_mad_u64_u32 v[2:3], null, v5, s10, v[0:1]
	v_mad_u64_u32 v[3:4], null, v5, s11, v[1:2]
	s_delay_alu instid0(VALU_DEP_1)
	v_dual_mov_b32 v0, v2 :: v_dual_mov_b32 v1, v3
.LBB393_548:
	v_cmp_gt_i16_e32 vcc_lo, 11, v8
	s_delay_alu instid0(VALU_DEP_2) | instskip(NEXT) | instid1(VALU_DEP_1)
	v_add_co_u32 v1, s2, s6, v1
	v_add_co_ci_u32_e64 v2, null, s7, 0, s2
	s_mov_b32 s2, 0
	s_cbranch_vccnz .LBB393_555
; %bb.549:
	v_cmp_lt_i16_e32 vcc_lo, 25, v8
	s_cbranch_vccz .LBB393_556
; %bb.550:
	v_cmp_lt_i16_e32 vcc_lo, 28, v8
	s_cbranch_vccz .LBB393_557
	;; [unrolled: 3-line block ×4, first 2 shown]
; %bb.553:
	v_cmp_eq_u16_e32 vcc_lo, 46, v8
	s_mov_b32 s3, 0
	s_cbranch_vccz .LBB393_564
; %bb.554:
	global_load_b32 v3, v[1:2], off
	s_mov_b32 s2, -1
	s_mov_b32 s24, 0
	s_waitcnt vmcnt(0)
	v_lshlrev_b32_e32 v3, 16, v3
	s_delay_alu instid0(VALU_DEP_1)
	v_cvt_f64_f32_e32 v[6:7], v3
	s_branch .LBB393_566
.LBB393_555:
	s_mov_b32 s3, -1
	s_mov_b32 s24, s40
                                        ; implicit-def: $vgpr6_vgpr7
	s_branch .LBB393_631
.LBB393_556:
	s_mov_b32 s3, -1
	s_mov_b32 s24, s40
                                        ; implicit-def: $vgpr6_vgpr7
	s_branch .LBB393_597
.LBB393_557:
	s_mov_b32 s3, -1
	s_mov_b32 s24, s40
                                        ; implicit-def: $vgpr6_vgpr7
	s_branch .LBB393_576
.LBB393_558:
	s_mov_b32 s3, -1
	s_mov_b32 s24, s40
                                        ; implicit-def: $vgpr6_vgpr7
	s_branch .LBB393_571
.LBB393_559:
	s_or_saveexec_b32 s40, s40
                                        ; implicit-def: $sgpr41
	s_delay_alu instid0(SALU_CYCLE_1)
	s_xor_b32 exec_lo, exec_lo, s40
	s_cbranch_execz .LBB393_370
.LBB393_560:
	v_add_f32_e64 v3, 0x46000000, |v2|
	s_and_not1_b32 s25, s25, exec_lo
	s_mov_b32 s41, 0
	s_delay_alu instid0(VALU_DEP_1) | instskip(NEXT) | instid1(VALU_DEP_1)
	v_and_b32_e32 v3, 0xff, v3
	v_cmp_ne_u32_e32 vcc_lo, 0, v3
	s_and_b32 s43, vcc_lo, exec_lo
	s_delay_alu instid0(SALU_CYCLE_1)
	s_or_b32 s25, s25, s43
	s_or_b32 exec_lo, exec_lo, s40
	v_mov_b32_e32 v6, s41
	s_and_saveexec_b32 s40, s25
	s_cbranch_execnz .LBB393_371
	s_branch .LBB393_372
.LBB393_561:
	s_mov_b32 s3, -1
	s_mov_b32 s24, s40
	s_branch .LBB393_565
.LBB393_562:
	s_or_saveexec_b32 s40, s40
                                        ; implicit-def: $sgpr41
	s_delay_alu instid0(SALU_CYCLE_1)
	s_xor_b32 exec_lo, exec_lo, s40
	s_cbranch_execz .LBB393_383
.LBB393_563:
	v_add_f32_e64 v3, 0x42800000, |v2|
	s_and_not1_b32 s25, s25, exec_lo
	s_mov_b32 s41, 0
	s_delay_alu instid0(VALU_DEP_1) | instskip(NEXT) | instid1(VALU_DEP_1)
	v_and_b32_e32 v3, 0xff, v3
	v_cmp_ne_u32_e32 vcc_lo, 0, v3
	s_and_b32 s43, vcc_lo, exec_lo
	s_delay_alu instid0(SALU_CYCLE_1)
	s_or_b32 s25, s25, s43
	s_or_b32 exec_lo, exec_lo, s40
	v_mov_b32_e32 v6, s41
	s_and_saveexec_b32 s40, s25
	s_cbranch_execnz .LBB393_384
	s_branch .LBB393_385
.LBB393_564:
	s_mov_b32 s24, -1
.LBB393_565:
                                        ; implicit-def: $vgpr6_vgpr7
.LBB393_566:
	s_and_b32 vcc_lo, exec_lo, s3
	s_cbranch_vccz .LBB393_570
; %bb.567:
	v_cmp_eq_u16_e32 vcc_lo, 44, v8
	s_cbranch_vccz .LBB393_569
; %bb.568:
	global_load_u8 v5, v[1:2], off
	s_mov_b32 s24, 0
	s_mov_b32 s2, -1
	s_waitcnt vmcnt(0)
	v_cmp_ne_u32_e32 vcc_lo, 0xff, v5
	v_lshlrev_b32_e32 v3, 23, v5
	s_delay_alu instid0(VALU_DEP_1) | instskip(NEXT) | instid1(VALU_DEP_1)
	v_cvt_f64_f32_e32 v[3:4], v3
	v_cndmask_b32_e32 v4, 0x7ff80000, v4, vcc_lo
	s_delay_alu instid0(VALU_DEP_2) | instskip(SKIP_1) | instid1(VALU_DEP_3)
	v_cndmask_b32_e32 v3, 0x20000000, v3, vcc_lo
	v_cmp_ne_u32_e32 vcc_lo, 0, v5
	v_cndmask_b32_e32 v7, 0x38000000, v4, vcc_lo
	s_delay_alu instid0(VALU_DEP_3)
	v_cndmask_b32_e32 v6, 0, v3, vcc_lo
	s_branch .LBB393_570
.LBB393_569:
	s_mov_b32 s24, -1
                                        ; implicit-def: $vgpr6_vgpr7
.LBB393_570:
	s_mov_b32 s3, 0
.LBB393_571:
	s_delay_alu instid0(SALU_CYCLE_1)
	s_and_b32 vcc_lo, exec_lo, s3
	s_cbranch_vccz .LBB393_575
; %bb.572:
	v_cmp_eq_u16_e32 vcc_lo, 29, v8
	s_cbranch_vccz .LBB393_574
; %bb.573:
	global_load_b64 v[3:4], v[1:2], off
	s_mov_b32 s2, -1
	s_mov_b32 s24, 0
	s_mov_b32 s3, 0
	s_waitcnt vmcnt(0)
	v_cvt_f64_u32_e32 v[4:5], v4
	v_cvt_f64_u32_e32 v[6:7], v3
	s_delay_alu instid0(VALU_DEP_2) | instskip(NEXT) | instid1(VALU_DEP_1)
	v_ldexp_f64 v[4:5], v[4:5], 32
	v_add_f64 v[6:7], v[4:5], v[6:7]
	s_branch .LBB393_576
.LBB393_574:
	s_mov_b32 s24, -1
                                        ; implicit-def: $vgpr6_vgpr7
.LBB393_575:
	s_mov_b32 s3, 0
.LBB393_576:
	s_delay_alu instid0(SALU_CYCLE_1)
	s_and_b32 vcc_lo, exec_lo, s3
	s_cbranch_vccz .LBB393_596
; %bb.577:
	v_cmp_gt_i16_e32 vcc_lo, 27, v8
	s_cbranch_vccnz .LBB393_580
; %bb.578:
	v_cmp_lt_i16_e32 vcc_lo, 27, v8
	s_cbranch_vccz .LBB393_581
; %bb.579:
	global_load_b32 v3, v[1:2], off
	s_mov_b32 s2, 0
	s_waitcnt vmcnt(0)
	v_cvt_f64_u32_e32 v[6:7], v3
	s_branch .LBB393_582
.LBB393_580:
	s_mov_b32 s2, -1
                                        ; implicit-def: $vgpr6_vgpr7
	s_branch .LBB393_585
.LBB393_581:
	s_mov_b32 s2, -1
                                        ; implicit-def: $vgpr6_vgpr7
.LBB393_582:
	s_delay_alu instid0(SALU_CYCLE_1)
	s_and_not1_b32 vcc_lo, exec_lo, s2
	s_cbranch_vccnz .LBB393_584
; %bb.583:
	global_load_u16 v3, v[1:2], off
	s_waitcnt vmcnt(0)
	v_cvt_f64_u32_e32 v[6:7], v3
.LBB393_584:
	s_mov_b32 s2, 0
.LBB393_585:
	s_delay_alu instid0(SALU_CYCLE_1)
	s_and_not1_b32 vcc_lo, exec_lo, s2
	s_cbranch_vccnz .LBB393_595
; %bb.586:
	global_load_u8 v3, v[1:2], off
	s_mov_b32 s25, 0
	s_mov_b32 s44, exec_lo
                                        ; implicit-def: $sgpr2_sgpr3
	s_waitcnt vmcnt(0)
	v_cmpx_lt_i16_e32 0x7f, v3
	s_xor_b32 s44, exec_lo, s44
	s_cbranch_execz .LBB393_590
; %bb.587:
	s_mov_b32 s45, -1
	s_mov_b32 s25, exec_lo
                                        ; implicit-def: $sgpr2_sgpr3
	v_cmpx_eq_u16_e32 0x80, v3
; %bb.588:
	s_mov_b32 s3, 0x7ff80000
	s_brev_b32 s2, 4
	s_xor_b32 s45, exec_lo, -1
; %bb.589:
	s_or_b32 exec_lo, exec_lo, s25
	s_delay_alu instid0(SALU_CYCLE_1)
	s_and_b32 s25, s45, exec_lo
.LBB393_590:
	s_or_saveexec_b32 s44, s44
	v_dual_mov_b32 v7, s3 :: v_dual_mov_b32 v6, s2
	s_xor_b32 exec_lo, exec_lo, s44
; %bb.591:
	v_cmp_ne_u16_e32 vcc_lo, 0, v3
	v_mov_b32_e32 v6, 0
	v_mov_b32_e32 v7, 0
	s_and_not1_b32 s2, s25, exec_lo
	s_and_b32 s3, vcc_lo, exec_lo
	s_delay_alu instid0(SALU_CYCLE_1)
	s_or_b32 s25, s2, s3
; %bb.592:
	s_or_b32 exec_lo, exec_lo, s44
	s_and_saveexec_b32 s2, s25
	s_cbranch_execz .LBB393_594
; %bb.593:
	v_and_b32_e32 v4, 0xffff, v3
	v_lshlrev_b32_e32 v3, 24, v3
	s_delay_alu instid0(VALU_DEP_2) | instskip(NEXT) | instid1(VALU_DEP_2)
	v_and_b32_e32 v5, 7, v4
	v_and_b32_e32 v3, 0x80000000, v3
	s_delay_alu instid0(VALU_DEP_2) | instskip(NEXT) | instid1(VALU_DEP_1)
	v_clz_i32_u32_e32 v6, v5
	v_min_u32_e32 v6, 32, v6
	s_delay_alu instid0(VALU_DEP_1) | instskip(SKIP_1) | instid1(VALU_DEP_2)
	v_subrev_nc_u32_e32 v7, 28, v6
	v_sub_nc_u32_e32 v6, 29, v6
	v_lshlrev_b32_e32 v7, v7, v4
	v_bfe_u32 v4, v4, 3, 4
	s_delay_alu instid0(VALU_DEP_2) | instskip(NEXT) | instid1(VALU_DEP_2)
	v_and_b32_e32 v7, 7, v7
	v_cmp_eq_u32_e32 vcc_lo, 0, v4
	s_delay_alu instid0(VALU_DEP_2) | instskip(NEXT) | instid1(VALU_DEP_1)
	v_dual_cndmask_b32 v4, v4, v6 :: v_dual_cndmask_b32 v5, v5, v7
	v_lshl_add_u32 v4, v4, 23, 0x3b800000
	s_delay_alu instid0(VALU_DEP_2) | instskip(NEXT) | instid1(VALU_DEP_1)
	v_lshlrev_b32_e32 v5, 20, v5
	v_or3_b32 v3, v3, v4, v5
	s_delay_alu instid0(VALU_DEP_1)
	v_cvt_f64_f32_e32 v[6:7], v3
.LBB393_594:
	s_or_b32 exec_lo, exec_lo, s2
.LBB393_595:
	s_mov_b32 s2, -1
.LBB393_596:
	s_mov_b32 s3, 0
.LBB393_597:
	s_delay_alu instid0(SALU_CYCLE_1)
	s_and_b32 vcc_lo, exec_lo, s3
	s_cbranch_vccz .LBB393_630
; %bb.598:
	v_cmp_lt_i16_e32 vcc_lo, 22, v8
	s_cbranch_vccz .LBB393_610
; %bb.599:
	v_cmp_gt_i16_e32 vcc_lo, 24, v8
	s_cbranch_vccnz .LBB393_611
; %bb.600:
	v_cmp_lt_i16_e32 vcc_lo, 24, v8
	s_cbranch_vccz .LBB393_612
; %bb.601:
	global_load_u8 v3, v[1:2], off
	s_mov_b32 s25, 0
	s_mov_b32 s44, exec_lo
                                        ; implicit-def: $sgpr2_sgpr3
	s_waitcnt vmcnt(0)
	v_cmpx_lt_i16_e32 0x7f, v3
	s_xor_b32 s44, exec_lo, s44
	s_cbranch_execz .LBB393_605
; %bb.602:
	s_mov_b32 s45, -1
	s_mov_b32 s25, exec_lo
                                        ; implicit-def: $sgpr2_sgpr3
	v_cmpx_eq_u16_e32 0x80, v3
; %bb.603:
	s_mov_b32 s3, 0x7ff80000
	s_brev_b32 s2, 4
	s_xor_b32 s45, exec_lo, -1
; %bb.604:
	s_or_b32 exec_lo, exec_lo, s25
	s_delay_alu instid0(SALU_CYCLE_1)
	s_and_b32 s25, s45, exec_lo
.LBB393_605:
	s_or_saveexec_b32 s44, s44
	v_dual_mov_b32 v7, s3 :: v_dual_mov_b32 v6, s2
	s_xor_b32 exec_lo, exec_lo, s44
; %bb.606:
	v_cmp_ne_u16_e32 vcc_lo, 0, v3
	v_mov_b32_e32 v6, 0
	v_mov_b32_e32 v7, 0
	s_and_not1_b32 s2, s25, exec_lo
	s_and_b32 s3, vcc_lo, exec_lo
	s_delay_alu instid0(SALU_CYCLE_1)
	s_or_b32 s25, s2, s3
; %bb.607:
	s_or_b32 exec_lo, exec_lo, s44
	s_and_saveexec_b32 s2, s25
	s_cbranch_execz .LBB393_609
; %bb.608:
	v_and_b32_e32 v4, 0xffff, v3
	v_lshlrev_b32_e32 v3, 24, v3
	s_delay_alu instid0(VALU_DEP_2) | instskip(NEXT) | instid1(VALU_DEP_2)
	v_and_b32_e32 v5, 3, v4
	v_and_b32_e32 v3, 0x80000000, v3
	s_delay_alu instid0(VALU_DEP_2) | instskip(NEXT) | instid1(VALU_DEP_1)
	v_clz_i32_u32_e32 v6, v5
	v_min_u32_e32 v6, 32, v6
	s_delay_alu instid0(VALU_DEP_1) | instskip(SKIP_1) | instid1(VALU_DEP_2)
	v_subrev_nc_u32_e32 v7, 29, v6
	v_sub_nc_u32_e32 v6, 30, v6
	v_lshlrev_b32_e32 v7, v7, v4
	v_bfe_u32 v4, v4, 2, 5
	s_delay_alu instid0(VALU_DEP_2) | instskip(NEXT) | instid1(VALU_DEP_2)
	v_and_b32_e32 v7, 3, v7
	v_cmp_eq_u32_e32 vcc_lo, 0, v4
	s_delay_alu instid0(VALU_DEP_2) | instskip(NEXT) | instid1(VALU_DEP_1)
	v_dual_cndmask_b32 v4, v4, v6 :: v_dual_cndmask_b32 v5, v5, v7
	v_lshl_add_u32 v4, v4, 23, 0x37800000
	s_delay_alu instid0(VALU_DEP_2) | instskip(NEXT) | instid1(VALU_DEP_1)
	v_lshlrev_b32_e32 v5, 21, v5
	v_or3_b32 v3, v3, v4, v5
	s_delay_alu instid0(VALU_DEP_1)
	v_cvt_f64_f32_e32 v[6:7], v3
.LBB393_609:
	s_or_b32 exec_lo, exec_lo, s2
	s_mov_b32 s2, 0
	s_branch .LBB393_613
.LBB393_610:
	s_mov_b32 s3, -1
                                        ; implicit-def: $vgpr6_vgpr7
	s_branch .LBB393_619
.LBB393_611:
	s_mov_b32 s2, -1
                                        ; implicit-def: $vgpr6_vgpr7
	s_branch .LBB393_616
.LBB393_612:
	s_mov_b32 s2, -1
                                        ; implicit-def: $vgpr6_vgpr7
.LBB393_613:
	s_delay_alu instid0(SALU_CYCLE_1)
	s_and_b32 vcc_lo, exec_lo, s2
	s_cbranch_vccz .LBB393_615
; %bb.614:
	global_load_u8 v3, v[1:2], off
	s_waitcnt vmcnt(0)
	v_lshlrev_b32_e32 v3, 24, v3
	s_delay_alu instid0(VALU_DEP_1) | instskip(NEXT) | instid1(VALU_DEP_1)
	v_and_b32_e32 v4, 0x7f000000, v3
	v_clz_i32_u32_e32 v5, v4
	v_add_nc_u32_e32 v7, 0x1000000, v4
	v_cmp_ne_u32_e32 vcc_lo, 0, v4
	s_delay_alu instid0(VALU_DEP_3) | instskip(NEXT) | instid1(VALU_DEP_1)
	v_min_u32_e32 v5, 32, v5
	v_sub_nc_u32_e64 v5, v5, 4 clamp
	s_delay_alu instid0(VALU_DEP_1) | instskip(SKIP_1) | instid1(VALU_DEP_2)
	v_lshlrev_b32_e32 v6, v5, v4
	v_lshlrev_b32_e32 v5, 23, v5
	v_lshrrev_b32_e32 v6, 4, v6
	s_delay_alu instid0(VALU_DEP_1) | instskip(SKIP_1) | instid1(VALU_DEP_2)
	v_sub_nc_u32_e32 v5, v6, v5
	v_ashrrev_i32_e32 v6, 8, v7
	v_add_nc_u32_e32 v5, 0x3c000000, v5
	s_delay_alu instid0(VALU_DEP_1) | instskip(NEXT) | instid1(VALU_DEP_1)
	v_and_or_b32 v5, 0x7f800000, v6, v5
	v_cndmask_b32_e32 v4, 0, v5, vcc_lo
	s_delay_alu instid0(VALU_DEP_1) | instskip(NEXT) | instid1(VALU_DEP_1)
	v_and_or_b32 v3, 0x80000000, v3, v4
	v_cvt_f64_f32_e32 v[6:7], v3
.LBB393_615:
	s_mov_b32 s2, 0
.LBB393_616:
	s_delay_alu instid0(SALU_CYCLE_1)
	s_and_not1_b32 vcc_lo, exec_lo, s2
	s_cbranch_vccnz .LBB393_618
; %bb.617:
	global_load_u8 v3, v[1:2], off
	s_waitcnt vmcnt(0)
	v_lshlrev_b32_e32 v4, 25, v3
	v_lshlrev_b16 v3, 8, v3
	s_delay_alu instid0(VALU_DEP_2) | instskip(NEXT) | instid1(VALU_DEP_2)
	v_lshrrev_b32_e32 v5, 4, v4
	v_and_or_b32 v6, 0x7f00, v3, 0.5
	v_bfe_i32 v3, v3, 0, 16
	s_delay_alu instid0(VALU_DEP_3) | instskip(NEXT) | instid1(VALU_DEP_1)
	v_or_b32_e32 v5, 0x70000000, v5
	v_dual_add_f32 v6, -0.5, v6 :: v_dual_mul_f32 v5, 0x7800000, v5
	v_cmp_gt_u32_e32 vcc_lo, 0x8000000, v4
	s_delay_alu instid0(VALU_DEP_2) | instskip(NEXT) | instid1(VALU_DEP_1)
	v_cndmask_b32_e32 v4, v5, v6, vcc_lo
	v_and_or_b32 v3, 0x80000000, v3, v4
	s_delay_alu instid0(VALU_DEP_1)
	v_cvt_f64_f32_e32 v[6:7], v3
.LBB393_618:
	s_mov_b32 s3, 0
	s_mov_b32 s2, -1
.LBB393_619:
	s_and_not1_b32 vcc_lo, exec_lo, s3
	s_cbranch_vccnz .LBB393_630
; %bb.620:
	v_cmp_lt_i16_e32 vcc_lo, 14, v8
	s_cbranch_vccz .LBB393_623
; %bb.621:
	v_cmp_eq_u16_e32 vcc_lo, 15, v8
	s_cbranch_vccz .LBB393_624
; %bb.622:
	global_load_u16 v3, v[1:2], off
	s_mov_b32 s2, -1
	s_mov_b32 s24, 0
	s_waitcnt vmcnt(0)
	v_lshlrev_b32_e32 v3, 16, v3
	s_delay_alu instid0(VALU_DEP_1)
	v_cvt_f64_f32_e32 v[6:7], v3
	s_branch .LBB393_625
.LBB393_623:
	s_mov_b32 s3, -1
                                        ; implicit-def: $vgpr6_vgpr7
	s_branch .LBB393_626
.LBB393_624:
	s_mov_b32 s24, -1
                                        ; implicit-def: $vgpr6_vgpr7
.LBB393_625:
	s_mov_b32 s3, 0
.LBB393_626:
	s_delay_alu instid0(SALU_CYCLE_1)
	s_and_b32 vcc_lo, exec_lo, s3
	s_cbranch_vccz .LBB393_630
; %bb.627:
	v_cmp_eq_u16_e32 vcc_lo, 11, v8
	s_cbranch_vccz .LBB393_629
; %bb.628:
	global_load_u8 v3, v[1:2], off
	s_waitcnt vmcnt(1)
	v_mov_b32_e32 v6, 0
	s_mov_b32 s24, 0
	s_mov_b32 s2, -1
	s_waitcnt vmcnt(0)
	v_cmp_ne_u16_e32 vcc_lo, 0, v3
	v_cndmask_b32_e64 v7, 0, 0x3ff00000, vcc_lo
	s_branch .LBB393_630
.LBB393_629:
	s_mov_b32 s24, -1
                                        ; implicit-def: $vgpr6_vgpr7
.LBB393_630:
	s_mov_b32 s3, 0
.LBB393_631:
	s_delay_alu instid0(SALU_CYCLE_1)
	s_and_b32 vcc_lo, exec_lo, s3
	s_cbranch_vccz .LBB393_680
; %bb.632:
	v_cmp_gt_i16_e32 vcc_lo, 5, v8
	s_cbranch_vccnz .LBB393_637
; %bb.633:
	v_cmp_gt_i16_e32 vcc_lo, 8, v8
	s_cbranch_vccnz .LBB393_638
	;; [unrolled: 3-line block ×3, first 2 shown]
; %bb.635:
	v_cmp_lt_i16_e32 vcc_lo, 9, v8
	s_cbranch_vccz .LBB393_640
; %bb.636:
	global_load_b64 v[6:7], v[1:2], off
	s_mov_b32 s2, 0
	s_branch .LBB393_641
.LBB393_637:
	s_mov_b32 s2, -1
                                        ; implicit-def: $vgpr6_vgpr7
	s_branch .LBB393_659
.LBB393_638:
	s_mov_b32 s2, -1
                                        ; implicit-def: $vgpr6_vgpr7
	s_branch .LBB393_647
.LBB393_639:
	s_mov_b32 s2, -1
                                        ; implicit-def: $vgpr6_vgpr7
	s_branch .LBB393_644
.LBB393_640:
	s_mov_b32 s2, -1
                                        ; implicit-def: $vgpr6_vgpr7
.LBB393_641:
	s_delay_alu instid0(SALU_CYCLE_1)
	s_and_not1_b32 vcc_lo, exec_lo, s2
	s_cbranch_vccnz .LBB393_643
; %bb.642:
	global_load_b32 v3, v[1:2], off
	s_waitcnt vmcnt(0)
	v_cvt_f64_f32_e32 v[6:7], v3
.LBB393_643:
	s_mov_b32 s2, 0
.LBB393_644:
	s_delay_alu instid0(SALU_CYCLE_1)
	s_and_not1_b32 vcc_lo, exec_lo, s2
	s_cbranch_vccnz .LBB393_646
; %bb.645:
	global_load_b32 v3, v[1:2], off
	s_waitcnt vmcnt(0)
	v_cvt_f32_f16_e32 v3, v3
	s_delay_alu instid0(VALU_DEP_1)
	v_cvt_f64_f32_e32 v[6:7], v3
.LBB393_646:
	s_mov_b32 s2, 0
.LBB393_647:
	s_delay_alu instid0(SALU_CYCLE_1)
	s_and_not1_b32 vcc_lo, exec_lo, s2
	s_cbranch_vccnz .LBB393_658
; %bb.648:
	v_cmp_gt_i16_e32 vcc_lo, 6, v8
	s_cbranch_vccnz .LBB393_651
; %bb.649:
	v_cmp_lt_i16_e32 vcc_lo, 6, v8
	s_cbranch_vccz .LBB393_652
; %bb.650:
	global_load_b64 v[6:7], v[1:2], off
	s_mov_b32 s2, 0
	s_branch .LBB393_653
.LBB393_651:
	s_mov_b32 s2, -1
                                        ; implicit-def: $vgpr6_vgpr7
	s_branch .LBB393_656
.LBB393_652:
	s_mov_b32 s2, -1
                                        ; implicit-def: $vgpr6_vgpr7
.LBB393_653:
	s_delay_alu instid0(SALU_CYCLE_1)
	s_and_not1_b32 vcc_lo, exec_lo, s2
	s_cbranch_vccnz .LBB393_655
; %bb.654:
	global_load_b32 v3, v[1:2], off
	s_waitcnt vmcnt(0)
	v_cvt_f64_f32_e32 v[6:7], v3
.LBB393_655:
	s_mov_b32 s2, 0
.LBB393_656:
	s_delay_alu instid0(SALU_CYCLE_1)
	s_and_not1_b32 vcc_lo, exec_lo, s2
	s_cbranch_vccnz .LBB393_658
; %bb.657:
	global_load_u16 v3, v[1:2], off
	s_waitcnt vmcnt(0)
	v_cvt_f32_f16_e32 v3, v3
	s_delay_alu instid0(VALU_DEP_1)
	v_cvt_f64_f32_e32 v[6:7], v3
.LBB393_658:
	s_mov_b32 s2, 0
.LBB393_659:
	s_delay_alu instid0(SALU_CYCLE_1)
	s_and_not1_b32 vcc_lo, exec_lo, s2
	s_cbranch_vccnz .LBB393_679
; %bb.660:
	v_cmp_gt_i16_e32 vcc_lo, 2, v8
	s_cbranch_vccnz .LBB393_664
; %bb.661:
	v_cmp_gt_i16_e32 vcc_lo, 3, v8
	s_cbranch_vccnz .LBB393_665
; %bb.662:
	v_cmp_lt_i16_e32 vcc_lo, 3, v8
	s_cbranch_vccz .LBB393_666
; %bb.663:
	global_load_b64 v[3:4], v[1:2], off
	s_mov_b32 s2, 0
	s_waitcnt vmcnt(0)
	v_cvt_f64_i32_e32 v[4:5], v4
	v_cvt_f64_u32_e32 v[6:7], v3
	s_delay_alu instid0(VALU_DEP_2) | instskip(NEXT) | instid1(VALU_DEP_1)
	v_ldexp_f64 v[4:5], v[4:5], 32
	v_add_f64 v[6:7], v[4:5], v[6:7]
	s_branch .LBB393_667
.LBB393_664:
	s_mov_b32 s2, -1
                                        ; implicit-def: $vgpr6_vgpr7
	s_branch .LBB393_673
.LBB393_665:
	s_mov_b32 s2, -1
                                        ; implicit-def: $vgpr6_vgpr7
	s_branch .LBB393_670
.LBB393_666:
	s_mov_b32 s2, -1
                                        ; implicit-def: $vgpr6_vgpr7
.LBB393_667:
	s_delay_alu instid0(SALU_CYCLE_1)
	s_and_not1_b32 vcc_lo, exec_lo, s2
	s_cbranch_vccnz .LBB393_669
; %bb.668:
	global_load_b32 v3, v[1:2], off
	s_waitcnt vmcnt(0)
	v_cvt_f64_i32_e32 v[6:7], v3
.LBB393_669:
	s_mov_b32 s2, 0
.LBB393_670:
	s_delay_alu instid0(SALU_CYCLE_1)
	s_and_not1_b32 vcc_lo, exec_lo, s2
	s_cbranch_vccnz .LBB393_672
; %bb.671:
	global_load_i16 v3, v[1:2], off
	s_waitcnt vmcnt(0)
	v_cvt_f64_i32_e32 v[6:7], v3
.LBB393_672:
	s_mov_b32 s2, 0
.LBB393_673:
	s_delay_alu instid0(SALU_CYCLE_1)
	s_and_not1_b32 vcc_lo, exec_lo, s2
	s_cbranch_vccnz .LBB393_679
; %bb.674:
	v_cmp_lt_i16_e32 vcc_lo, 0, v8
	s_mov_b32 s2, 0
	s_cbranch_vccz .LBB393_676
; %bb.675:
	global_load_i8 v3, v[1:2], off
	s_waitcnt vmcnt(0)
	v_cvt_f64_i32_e32 v[6:7], v3
	s_branch .LBB393_677
.LBB393_676:
	s_mov_b32 s2, -1
                                        ; implicit-def: $vgpr6_vgpr7
.LBB393_677:
	s_delay_alu instid0(SALU_CYCLE_1)
	s_and_not1_b32 vcc_lo, exec_lo, s2
	s_cbranch_vccnz .LBB393_679
; %bb.678:
	global_load_u8 v1, v[1:2], off
	s_waitcnt vmcnt(0)
	v_cvt_f64_u32_e32 v[6:7], v1
.LBB393_679:
	s_mov_b32 s2, -1
.LBB393_680:
	s_delay_alu instid0(SALU_CYCLE_1)
	s_and_not1_b32 vcc_lo, exec_lo, s2
	s_cbranch_vccnz .LBB393_688
; %bb.681:
	v_max_f64 v[1:2], s[18:19], s[18:19]
	s_waitcnt vmcnt(0)
	s_delay_alu instid0(VALU_DEP_2) | instskip(SKIP_3) | instid1(VALU_DEP_1)
	v_max_f64 v[3:4], v[6:7], v[6:7]
	v_cmp_u_f64_e32 vcc_lo, v[6:7], v[6:7]
	v_and_b32_e64 v10, 0xff, s31
	s_mov_b32 s3, 0
	v_cmp_gt_i16_e64 s2, 11, v10
	s_delay_alu instid0(VALU_DEP_4) | instskip(SKIP_1) | instid1(VALU_DEP_1)
	v_max_f64 v[2:3], v[3:4], v[1:2]
	v_add_co_u32 v4, s25, s4, v0
	v_add_co_ci_u32_e64 v5, null, s5, 0, s25
	s_mov_b32 s25, -1
	s_delay_alu instid0(VALU_DEP_3)
	v_dual_cndmask_b32 v1, v3, v7 :: v_dual_cndmask_b32 v0, v2, v6
	s_and_b32 vcc_lo, exec_lo, s2
	s_mov_b32 s2, s41
	s_cbranch_vccnz .LBB393_689
; %bb.682:
	v_cmp_lt_i16_e32 vcc_lo, 25, v10
	s_cbranch_vccz .LBB393_730
; %bb.683:
	v_cmp_lt_i16_e32 vcc_lo, 28, v10
	s_cbranch_vccz .LBB393_731
	;; [unrolled: 3-line block ×4, first 2 shown]
; %bb.686:
	v_cmp_eq_u16_e32 vcc_lo, 46, v10
	s_mov_b32 s25, 0
	s_mov_b32 s2, -1
	s_cbranch_vccz .LBB393_734
; %bb.687:
	v_cvt_f32_f64_e32 v2, v[0:1]
	s_mov_b32 s3, -1
	s_mov_b32 s2, 0
	s_delay_alu instid0(VALU_DEP_1) | instskip(SKIP_1) | instid1(VALU_DEP_2)
	v_bfe_u32 v3, v2, 16, 1
	v_cmp_o_f32_e32 vcc_lo, v2, v2
	v_add3_u32 v3, v2, v3, 0x7fff
	s_delay_alu instid0(VALU_DEP_1) | instskip(NEXT) | instid1(VALU_DEP_1)
	v_lshrrev_b32_e32 v3, 16, v3
	v_cndmask_b32_e32 v2, 0x7fc0, v3, vcc_lo
	global_store_b32 v[4:5], v2, off
	s_branch .LBB393_734
.LBB393_688:
	s_mov_b32 s3, 0
	s_mov_b32 s2, s41
	s_branch .LBB393_729
.LBB393_689:
	s_and_b32 vcc_lo, exec_lo, s25
	s_cbranch_vccz .LBB393_803
; %bb.690:
	v_cmp_gt_i16_e32 vcc_lo, 5, v10
	s_mov_b32 s3, -1
	s_cbranch_vccnz .LBB393_711
; %bb.691:
	v_cmp_gt_i16_e32 vcc_lo, 8, v10
	s_cbranch_vccnz .LBB393_701
; %bb.692:
	v_cmp_gt_i16_e32 vcc_lo, 9, v10
	s_cbranch_vccnz .LBB393_698
; %bb.693:
	v_cmp_lt_i16_e32 vcc_lo, 9, v10
	s_cbranch_vccz .LBB393_695
; %bb.694:
	v_mov_b32_e32 v2, 0
	s_mov_b32 s3, 0
	s_delay_alu instid0(VALU_DEP_1)
	v_mov_b32_e32 v3, v2
	global_store_b128 v[4:5], v[0:3], off
.LBB393_695:
	s_and_not1_b32 vcc_lo, exec_lo, s3
	s_cbranch_vccnz .LBB393_697
; %bb.696:
	v_cvt_f32_f64_e32 v2, v[0:1]
	v_mov_b32_e32 v3, 0
	global_store_b64 v[4:5], v[2:3], off
.LBB393_697:
	s_mov_b32 s3, 0
.LBB393_698:
	s_delay_alu instid0(SALU_CYCLE_1)
	s_and_not1_b32 vcc_lo, exec_lo, s3
	s_cbranch_vccnz .LBB393_700
; %bb.699:
	v_cvt_f32_f64_e32 v2, v[0:1]
	s_delay_alu instid0(VALU_DEP_1) | instskip(NEXT) | instid1(VALU_DEP_1)
	v_cvt_f16_f32_e32 v2, v2
	v_and_b32_e32 v2, 0xffff, v2
	global_store_b32 v[4:5], v2, off
.LBB393_700:
	s_mov_b32 s3, 0
.LBB393_701:
	s_delay_alu instid0(SALU_CYCLE_1)
	s_and_not1_b32 vcc_lo, exec_lo, s3
	s_cbranch_vccnz .LBB393_710
; %bb.702:
	v_cmp_gt_i16_e32 vcc_lo, 6, v10
	s_mov_b32 s3, -1
	s_cbranch_vccnz .LBB393_708
; %bb.703:
	v_cmp_lt_i16_e32 vcc_lo, 6, v10
	s_cbranch_vccz .LBB393_705
; %bb.704:
	s_mov_b32 s3, 0
	global_store_b64 v[4:5], v[0:1], off
.LBB393_705:
	s_and_not1_b32 vcc_lo, exec_lo, s3
	s_cbranch_vccnz .LBB393_707
; %bb.706:
	v_cvt_f32_f64_e32 v2, v[0:1]
	global_store_b32 v[4:5], v2, off
.LBB393_707:
	s_mov_b32 s3, 0
.LBB393_708:
	s_delay_alu instid0(SALU_CYCLE_1)
	s_and_not1_b32 vcc_lo, exec_lo, s3
	s_cbranch_vccnz .LBB393_710
; %bb.709:
	v_cvt_f32_f64_e32 v2, v[0:1]
	s_delay_alu instid0(VALU_DEP_1)
	v_cvt_f16_f32_e32 v2, v2
	global_store_b16 v[4:5], v2, off
.LBB393_710:
	s_mov_b32 s3, 0
.LBB393_711:
	s_delay_alu instid0(SALU_CYCLE_1)
	s_and_not1_b32 vcc_lo, exec_lo, s3
	s_cbranch_vccnz .LBB393_727
; %bb.712:
	v_cmp_gt_i16_e32 vcc_lo, 2, v10
	s_mov_b32 s3, -1
	s_cbranch_vccnz .LBB393_722
; %bb.713:
	v_cmp_gt_i16_e32 vcc_lo, 3, v10
	s_cbranch_vccnz .LBB393_719
; %bb.714:
	v_cmp_lt_i16_e32 vcc_lo, 3, v10
	s_cbranch_vccz .LBB393_716
; %bb.715:
	v_trunc_f64_e32 v[2:3], v[0:1]
	s_mov_b32 s3, 0
	s_delay_alu instid0(VALU_DEP_1) | instskip(NEXT) | instid1(VALU_DEP_1)
	v_ldexp_f64 v[6:7], v[2:3], 0xffffffe0
	v_floor_f64_e32 v[6:7], v[6:7]
	s_delay_alu instid0(VALU_DEP_1) | instskip(SKIP_1) | instid1(VALU_DEP_2)
	v_fma_f64 v[2:3], 0xc1f00000, v[6:7], v[2:3]
	v_cvt_i32_f64_e32 v7, v[6:7]
	v_cvt_u32_f64_e32 v6, v[2:3]
	global_store_b64 v[4:5], v[6:7], off
.LBB393_716:
	s_and_not1_b32 vcc_lo, exec_lo, s3
	s_cbranch_vccnz .LBB393_718
; %bb.717:
	v_cvt_i32_f64_e32 v2, v[0:1]
	global_store_b32 v[4:5], v2, off
.LBB393_718:
	s_mov_b32 s3, 0
.LBB393_719:
	s_delay_alu instid0(SALU_CYCLE_1)
	s_and_not1_b32 vcc_lo, exec_lo, s3
	s_cbranch_vccnz .LBB393_721
; %bb.720:
	v_cvt_i32_f64_e32 v2, v[0:1]
	global_store_b16 v[4:5], v2, off
.LBB393_721:
	s_mov_b32 s3, 0
.LBB393_722:
	s_delay_alu instid0(SALU_CYCLE_1)
	s_and_not1_b32 vcc_lo, exec_lo, s3
	s_cbranch_vccnz .LBB393_727
; %bb.723:
	v_cmp_lt_i16_e32 vcc_lo, 0, v10
	s_mov_b32 s3, -1
	s_cbranch_vccz .LBB393_725
; %bb.724:
	v_cvt_i32_f64_e32 v2, v[0:1]
	s_mov_b32 s3, 0
	global_store_b8 v[4:5], v2, off
.LBB393_725:
	s_and_not1_b32 vcc_lo, exec_lo, s3
	s_cbranch_vccnz .LBB393_727
; %bb.726:
	v_trunc_f64_e32 v[0:1], v[0:1]
	s_delay_alu instid0(VALU_DEP_1) | instskip(NEXT) | instid1(VALU_DEP_1)
	v_ldexp_f64 v[2:3], v[0:1], 0xffffffe0
	v_floor_f64_e32 v[2:3], v[2:3]
	s_delay_alu instid0(VALU_DEP_1) | instskip(NEXT) | instid1(VALU_DEP_1)
	v_fma_f64 v[0:1], 0xc1f00000, v[2:3], v[0:1]
	v_cvt_u32_f64_e32 v0, v[0:1]
	global_store_b8 v[4:5], v0, off
.LBB393_727:
	s_branch .LBB393_804
.LBB393_728:
	s_mov_b32 s3, 0
.LBB393_729:
                                        ; implicit-def: $vgpr9
	s_branch .LBB393_805
.LBB393_730:
	s_mov_b32 s2, s41
	s_branch .LBB393_761
.LBB393_731:
	s_mov_b32 s2, s41
	s_branch .LBB393_744
.LBB393_732:
	s_mov_b32 s2, s41
	s_branch .LBB393_740
.LBB393_733:
	s_mov_b32 s2, s41
.LBB393_734:
	s_and_b32 vcc_lo, exec_lo, s25
	s_cbranch_vccz .LBB393_739
; %bb.735:
	v_cmp_eq_u16_e32 vcc_lo, 44, v10
	s_mov_b32 s2, -1
	s_cbranch_vccz .LBB393_739
; %bb.736:
	v_cvt_f32_f64_e32 v2, v[0:1]
	v_mov_b32_e32 v3, 0xff
	s_mov_b32 s3, exec_lo
	s_delay_alu instid0(VALU_DEP_2) | instskip(NEXT) | instid1(VALU_DEP_1)
	v_bfe_u32 v6, v2, 23, 8
	v_cmpx_ne_u32_e32 0xff, v6
; %bb.737:
	v_and_b32_e32 v3, 0x400000, v2
	v_and_or_b32 v6, 0x3fffff, v2, v6
	v_lshrrev_b32_e32 v2, 23, v2
	s_delay_alu instid0(VALU_DEP_3) | instskip(NEXT) | instid1(VALU_DEP_3)
	v_cmp_ne_u32_e32 vcc_lo, 0, v3
	v_cmp_ne_u32_e64 s2, 0, v6
	s_delay_alu instid0(VALU_DEP_1) | instskip(NEXT) | instid1(SALU_CYCLE_1)
	s_and_b32 s2, vcc_lo, s2
	v_cndmask_b32_e64 v3, 0, 1, s2
	s_delay_alu instid0(VALU_DEP_1)
	v_add_nc_u32_e32 v3, v2, v3
; %bb.738:
	s_or_b32 exec_lo, exec_lo, s3
	s_mov_b32 s3, -1
	s_mov_b32 s2, 0
	global_store_b8 v[4:5], v3, off
.LBB393_739:
	s_mov_b32 s25, 0
.LBB393_740:
	s_delay_alu instid0(SALU_CYCLE_1)
	s_and_b32 vcc_lo, exec_lo, s25
	s_cbranch_vccz .LBB393_743
; %bb.741:
	v_cmp_eq_u16_e32 vcc_lo, 29, v10
	s_mov_b32 s2, -1
	s_cbranch_vccz .LBB393_743
; %bb.742:
	v_trunc_f64_e32 v[2:3], v[0:1]
	s_mov_b32 s3, -1
	s_mov_b32 s2, 0
	s_mov_b32 s25, 0
	s_delay_alu instid0(VALU_DEP_1) | instskip(NEXT) | instid1(VALU_DEP_1)
	v_ldexp_f64 v[6:7], v[2:3], 0xffffffe0
	v_floor_f64_e32 v[6:7], v[6:7]
	s_delay_alu instid0(VALU_DEP_1) | instskip(SKIP_1) | instid1(VALU_DEP_2)
	v_fma_f64 v[2:3], 0xc1f00000, v[6:7], v[2:3]
	v_cvt_u32_f64_e32 v7, v[6:7]
	v_cvt_u32_f64_e32 v6, v[2:3]
	global_store_b64 v[4:5], v[6:7], off
	s_branch .LBB393_744
.LBB393_743:
	s_mov_b32 s25, 0
.LBB393_744:
	s_delay_alu instid0(SALU_CYCLE_1)
	s_and_b32 vcc_lo, exec_lo, s25
	s_cbranch_vccz .LBB393_760
; %bb.745:
	v_cmp_gt_i16_e32 vcc_lo, 27, v10
	s_mov_b32 s3, -1
	s_cbranch_vccnz .LBB393_751
; %bb.746:
	v_cmp_lt_i16_e32 vcc_lo, 27, v10
	s_cbranch_vccz .LBB393_748
; %bb.747:
	v_cvt_u32_f64_e32 v2, v[0:1]
	s_mov_b32 s3, 0
	global_store_b32 v[4:5], v2, off
.LBB393_748:
	s_and_not1_b32 vcc_lo, exec_lo, s3
	s_cbranch_vccnz .LBB393_750
; %bb.749:
	v_cvt_u32_f64_e32 v2, v[0:1]
	global_store_b16 v[4:5], v2, off
.LBB393_750:
	s_mov_b32 s3, 0
.LBB393_751:
	s_delay_alu instid0(SALU_CYCLE_1)
	s_and_not1_b32 vcc_lo, exec_lo, s3
	s_cbranch_vccnz .LBB393_759
; %bb.752:
	v_cvt_f32_f64_e32 v2, v[0:1]
	v_mov_b32_e32 v6, 0x80
	s_mov_b32 s3, exec_lo
	s_delay_alu instid0(VALU_DEP_2) | instskip(NEXT) | instid1(VALU_DEP_1)
	v_and_b32_e32 v3, 0x7fffffff, v2
	v_cmpx_gt_u32_e32 0x43800000, v3
	s_cbranch_execz .LBB393_758
; %bb.753:
	v_cmp_lt_u32_e32 vcc_lo, 0x3bffffff, v3
	s_mov_b32 s25, 0
                                        ; implicit-def: $vgpr3
	s_and_saveexec_b32 s44, vcc_lo
	s_delay_alu instid0(SALU_CYCLE_1)
	s_xor_b32 s44, exec_lo, s44
	s_cbranch_execz .LBB393_832
; %bb.754:
	v_bfe_u32 v3, v2, 20, 1
	s_mov_b32 s25, exec_lo
	s_delay_alu instid0(VALU_DEP_1) | instskip(NEXT) | instid1(VALU_DEP_1)
	v_add3_u32 v3, v2, v3, 0x487ffff
	v_lshrrev_b32_e32 v3, 20, v3
	s_or_saveexec_b32 s44, s44
                                        ; implicit-def: $sgpr45
	s_delay_alu instid0(SALU_CYCLE_1)
	s_xor_b32 exec_lo, exec_lo, s44
	s_cbranch_execnz .LBB393_833
.LBB393_755:
	s_or_b32 exec_lo, exec_lo, s44
	v_mov_b32_e32 v6, s45
	s_and_saveexec_b32 s44, s25
.LBB393_756:
	v_lshrrev_b32_e32 v2, 24, v2
	s_delay_alu instid0(VALU_DEP_1)
	v_and_or_b32 v6, 0x80, v2, v3
.LBB393_757:
	s_or_b32 exec_lo, exec_lo, s44
.LBB393_758:
	s_delay_alu instid0(SALU_CYCLE_1)
	s_or_b32 exec_lo, exec_lo, s3
	global_store_b8 v[4:5], v6, off
.LBB393_759:
	s_mov_b32 s3, -1
.LBB393_760:
	s_mov_b32 s25, 0
.LBB393_761:
	s_delay_alu instid0(SALU_CYCLE_1)
	s_and_b32 vcc_lo, exec_lo, s25
	s_cbranch_vccz .LBB393_802
; %bb.762:
	v_cmp_lt_i16_e32 vcc_lo, 22, v10
	s_mov_b32 s25, -1
	s_cbranch_vccz .LBB393_794
; %bb.763:
	v_cmp_gt_i16_e32 vcc_lo, 24, v10
	s_mov_b32 s3, -1
	s_cbranch_vccnz .LBB393_783
; %bb.764:
	v_cmp_lt_i16_e32 vcc_lo, 24, v10
	s_cbranch_vccz .LBB393_772
; %bb.765:
	v_cvt_f32_f64_e32 v2, v[0:1]
	v_mov_b32_e32 v6, 0x80
	s_mov_b32 s3, exec_lo
	s_delay_alu instid0(VALU_DEP_2) | instskip(NEXT) | instid1(VALU_DEP_1)
	v_and_b32_e32 v3, 0x7fffffff, v2
	v_cmpx_gt_u32_e32 0x47800000, v3
	s_cbranch_execz .LBB393_771
; %bb.766:
	v_cmp_lt_u32_e32 vcc_lo, 0x37ffffff, v3
	s_mov_b32 s25, 0
                                        ; implicit-def: $vgpr3
	s_and_saveexec_b32 s44, vcc_lo
	s_delay_alu instid0(SALU_CYCLE_1)
	s_xor_b32 s44, exec_lo, s44
	s_cbranch_execz .LBB393_835
; %bb.767:
	v_bfe_u32 v3, v2, 21, 1
	s_mov_b32 s25, exec_lo
	s_delay_alu instid0(VALU_DEP_1) | instskip(NEXT) | instid1(VALU_DEP_1)
	v_add3_u32 v3, v2, v3, 0x88fffff
	v_lshrrev_b32_e32 v3, 21, v3
	s_or_saveexec_b32 s44, s44
                                        ; implicit-def: $sgpr45
	s_delay_alu instid0(SALU_CYCLE_1)
	s_xor_b32 exec_lo, exec_lo, s44
	s_cbranch_execnz .LBB393_836
.LBB393_768:
	s_or_b32 exec_lo, exec_lo, s44
	v_mov_b32_e32 v6, s45
	s_and_saveexec_b32 s44, s25
.LBB393_769:
	v_lshrrev_b32_e32 v2, 24, v2
	s_delay_alu instid0(VALU_DEP_1)
	v_and_or_b32 v6, 0x80, v2, v3
.LBB393_770:
	s_or_b32 exec_lo, exec_lo, s44
.LBB393_771:
	s_delay_alu instid0(SALU_CYCLE_1)
	s_or_b32 exec_lo, exec_lo, s3
	s_mov_b32 s3, 0
	global_store_b8 v[4:5], v6, off
.LBB393_772:
	s_and_b32 vcc_lo, exec_lo, s3
	s_cbranch_vccz .LBB393_782
; %bb.773:
	v_cvt_f32_f64_e32 v2, v[0:1]
	s_mov_b32 s3, exec_lo
                                        ; implicit-def: $vgpr3
	s_delay_alu instid0(VALU_DEP_1) | instskip(NEXT) | instid1(VALU_DEP_1)
	v_and_b32_e32 v6, 0x7fffffff, v2
	v_cmpx_gt_u32_e32 0x43f00000, v6
	s_xor_b32 s3, exec_lo, s3
	s_cbranch_execz .LBB393_779
; %bb.774:
	s_mov_b32 s25, exec_lo
                                        ; implicit-def: $vgpr3
	v_cmpx_lt_u32_e32 0x3c7fffff, v6
	s_xor_b32 s25, exec_lo, s25
; %bb.775:
	v_bfe_u32 v3, v2, 20, 1
	s_delay_alu instid0(VALU_DEP_1) | instskip(NEXT) | instid1(VALU_DEP_1)
	v_add3_u32 v3, v2, v3, 0x407ffff
	v_and_b32_e32 v6, 0xff00000, v3
	v_lshrrev_b32_e32 v3, 20, v3
	s_delay_alu instid0(VALU_DEP_2) | instskip(NEXT) | instid1(VALU_DEP_2)
	v_cmp_ne_u32_e32 vcc_lo, 0x7f00000, v6
	v_cndmask_b32_e32 v3, 0x7e, v3, vcc_lo
; %bb.776:
	s_and_not1_saveexec_b32 s25, s25
; %bb.777:
	v_add_f32_e64 v3, 0x46800000, |v2|
; %bb.778:
	s_or_b32 exec_lo, exec_lo, s25
                                        ; implicit-def: $vgpr6
.LBB393_779:
	s_and_not1_saveexec_b32 s3, s3
; %bb.780:
	v_mov_b32_e32 v3, 0x7f
	v_cmp_lt_u32_e32 vcc_lo, 0x7f800000, v6
	s_delay_alu instid0(VALU_DEP_2)
	v_cndmask_b32_e32 v3, 0x7e, v3, vcc_lo
; %bb.781:
	s_or_b32 exec_lo, exec_lo, s3
	v_lshrrev_b32_e32 v2, 24, v2
	s_delay_alu instid0(VALU_DEP_1)
	v_and_or_b32 v2, 0x80, v2, v3
	global_store_b8 v[4:5], v2, off
.LBB393_782:
	s_mov_b32 s3, 0
.LBB393_783:
	s_delay_alu instid0(SALU_CYCLE_1)
	s_and_not1_b32 vcc_lo, exec_lo, s3
	s_cbranch_vccnz .LBB393_793
; %bb.784:
	v_cvt_f32_f64_e32 v2, v[0:1]
	s_mov_b32 s3, exec_lo
                                        ; implicit-def: $vgpr3
	s_delay_alu instid0(VALU_DEP_1) | instskip(NEXT) | instid1(VALU_DEP_1)
	v_and_b32_e32 v6, 0x7fffffff, v2
	v_cmpx_gt_u32_e32 0x47800000, v6
	s_xor_b32 s3, exec_lo, s3
	s_cbranch_execz .LBB393_790
; %bb.785:
	s_mov_b32 s25, exec_lo
                                        ; implicit-def: $vgpr3
	v_cmpx_lt_u32_e32 0x387fffff, v6
	s_xor_b32 s25, exec_lo, s25
; %bb.786:
	v_bfe_u32 v3, v2, 21, 1
	s_delay_alu instid0(VALU_DEP_1) | instskip(NEXT) | instid1(VALU_DEP_1)
	v_add3_u32 v3, v2, v3, 0x80fffff
	v_lshrrev_b32_e32 v3, 21, v3
; %bb.787:
	s_and_not1_saveexec_b32 s25, s25
; %bb.788:
	v_add_f32_e64 v3, 0x43000000, |v2|
; %bb.789:
	s_or_b32 exec_lo, exec_lo, s25
                                        ; implicit-def: $vgpr6
.LBB393_790:
	s_and_not1_saveexec_b32 s3, s3
; %bb.791:
	v_mov_b32_e32 v3, 0x7f
	v_cmp_lt_u32_e32 vcc_lo, 0x7f800000, v6
	s_delay_alu instid0(VALU_DEP_2)
	v_cndmask_b32_e32 v3, 0x7c, v3, vcc_lo
; %bb.792:
	s_or_b32 exec_lo, exec_lo, s3
	v_lshrrev_b32_e32 v2, 24, v2
	s_delay_alu instid0(VALU_DEP_1)
	v_and_or_b32 v2, 0x80, v2, v3
	global_store_b8 v[4:5], v2, off
.LBB393_793:
	s_mov_b32 s25, 0
	s_mov_b32 s3, -1
.LBB393_794:
	s_and_not1_b32 vcc_lo, exec_lo, s25
	s_cbranch_vccnz .LBB393_802
; %bb.795:
	v_cmp_lt_i16_e32 vcc_lo, 14, v10
	s_mov_b32 s25, -1
	s_cbranch_vccz .LBB393_799
; %bb.796:
	v_cmp_eq_u16_e32 vcc_lo, 15, v10
	s_mov_b32 s2, -1
	s_cbranch_vccz .LBB393_798
; %bb.797:
	v_cvt_f32_f64_e32 v2, v[0:1]
	s_mov_b32 s3, -1
	s_mov_b32 s2, 0
	s_delay_alu instid0(VALU_DEP_1) | instskip(SKIP_1) | instid1(VALU_DEP_2)
	v_bfe_u32 v3, v2, 16, 1
	v_cmp_o_f32_e32 vcc_lo, v2, v2
	v_add3_u32 v3, v2, v3, 0x7fff
	s_delay_alu instid0(VALU_DEP_1) | instskip(NEXT) | instid1(VALU_DEP_1)
	v_lshrrev_b32_e32 v3, 16, v3
	v_cndmask_b32_e32 v2, 0x7fc0, v3, vcc_lo
	global_store_b16 v[4:5], v2, off
.LBB393_798:
	s_mov_b32 s25, 0
.LBB393_799:
	s_delay_alu instid0(SALU_CYCLE_1)
	s_and_b32 vcc_lo, exec_lo, s25
	s_cbranch_vccz .LBB393_802
; %bb.800:
	v_cmp_eq_u16_e32 vcc_lo, 11, v10
	s_mov_b32 s2, -1
	s_cbranch_vccz .LBB393_802
; %bb.801:
	v_cmp_neq_f64_e32 vcc_lo, 0, v[0:1]
	s_mov_b32 s3, -1
	s_mov_b32 s2, 0
	v_cndmask_b32_e64 v2, 0, 1, vcc_lo
	global_store_b8 v[4:5], v2, off
.LBB393_802:
.LBB393_803:
	s_and_not1_b32 vcc_lo, exec_lo, s3
	s_cbranch_vccnz .LBB393_728
.LBB393_804:
	v_add_nc_u32_e32 v9, 0x80, v9
	s_mov_b32 s3, -1
.LBB393_805:
	s_and_not1_b32 s25, s41, exec_lo
	s_and_b32 s2, s2, exec_lo
	s_and_not1_b32 s44, s40, exec_lo
	s_and_b32 s24, s24, exec_lo
	s_or_b32 s25, s25, s2
	s_or_b32 s24, s44, s24
	s_or_not1_b32 s45, s3, exec_lo
.LBB393_806:
	s_or_b32 exec_lo, exec_lo, s43
	s_mov_b32 s2, 0
	s_mov_b32 s3, 0
	;; [unrolled: 1-line block ×3, first 2 shown]
                                        ; implicit-def: $vgpr0_vgpr1
                                        ; implicit-def: $vgpr2
                                        ; implicit-def: $vgpr6_vgpr7
	s_and_saveexec_b32 s43, s45
	s_cbranch_execz .LBB393_904
; %bb.807:
	v_cmp_gt_i32_e32 vcc_lo, s34, v9
	s_mov_b32 s45, s24
                                        ; implicit-def: $vgpr0_vgpr1
                                        ; implicit-def: $vgpr2
                                        ; implicit-def: $vgpr6_vgpr7
	s_and_saveexec_b32 s34, vcc_lo
	s_cbranch_execz .LBB393_903
; %bb.808:
	s_and_not1_b32 vcc_lo, exec_lo, s29
	s_cbranch_vccnz .LBB393_813
; %bb.809:
	v_mov_b32_e32 v2, 0
	v_mov_b32_e32 v0, 0
	s_and_not1_b32 vcc_lo, exec_lo, s36
	s_mov_b32 s36, 0
	s_cbranch_vccnz .LBB393_818
; %bb.810:
	v_mov_b32_e32 v2, 0
	s_add_i32 s44, s35, 1
	s_cmp_eq_u32 s27, 2
	s_mov_b32 s35, 0
	s_cbranch_scc1 .LBB393_814
; %bb.811:
	v_dual_mov_b32 v0, 0 :: v_dual_mov_b32 v1, v9
	v_mov_b32_e32 v2, 0
	s_and_b32 s35, s44, 28
	s_mov_b32 s45, 0
	s_mov_b64 s[2:3], s[16:17]
.LBB393_812:                            ; =>This Inner Loop Header: Depth=1
	s_clause 0x1
	s_load_b256 s[48:55], s[2:3], 0x4
	s_load_b128 s[64:67], s[2:3], 0x24
	s_load_b256 s[56:63], s[22:23], 0x0
	s_add_u32 s2, s2, 48
	s_addc_u32 s3, s3, 0
	s_add_i32 s45, s45, 4
	s_add_u32 s22, s22, 32
	s_addc_u32 s23, s23, 0
	s_cmp_eq_u32 s35, s45
	s_waitcnt lgkmcnt(0)
	v_mul_hi_u32 v3, s49, v1
	s_delay_alu instid0(VALU_DEP_1) | instskip(NEXT) | instid1(VALU_DEP_1)
	v_add_nc_u32_e32 v3, v1, v3
	v_lshrrev_b32_e32 v3, s50, v3
	s_delay_alu instid0(VALU_DEP_1) | instskip(SKIP_2) | instid1(VALU_DEP_2)
	v_mul_hi_u32 v4, s52, v3
	s_waitcnt vmcnt(0)
	v_mul_lo_u32 v6, v3, s48
	v_add_nc_u32_e32 v4, v3, v4
	s_delay_alu instid0(VALU_DEP_2) | instskip(NEXT) | instid1(VALU_DEP_2)
	v_sub_nc_u32_e32 v1, v1, v6
	v_lshrrev_b32_e32 v4, s53, v4
	s_delay_alu instid0(VALU_DEP_2) | instskip(SKIP_1) | instid1(VALU_DEP_3)
	v_mul_lo_u32 v6, v1, s56
	v_mul_lo_u32 v10, v1, s57
	v_mul_hi_u32 v5, s55, v4
	s_delay_alu instid0(VALU_DEP_1) | instskip(NEXT) | instid1(VALU_DEP_1)
	v_add_nc_u32_e32 v5, v4, v5
	v_lshrrev_b32_e32 v5, s64, v5
	s_delay_alu instid0(VALU_DEP_1) | instskip(SKIP_1) | instid1(VALU_DEP_2)
	v_mul_hi_u32 v7, s66, v5
	v_mul_lo_u32 v11, v5, s54
	v_add_nc_u32_e32 v1, v5, v7
	v_mul_lo_u32 v7, v4, s51
	s_delay_alu instid0(VALU_DEP_3) | instskip(NEXT) | instid1(VALU_DEP_3)
	v_sub_nc_u32_e32 v4, v4, v11
	v_lshrrev_b32_e32 v1, s67, v1
	s_delay_alu instid0(VALU_DEP_2) | instskip(SKIP_2) | instid1(VALU_DEP_4)
	v_mul_lo_u32 v11, v4, s60
	v_mul_lo_u32 v4, v4, s61
	v_sub_nc_u32_e32 v3, v3, v7
	v_mul_lo_u32 v12, v1, s65
	s_delay_alu instid0(VALU_DEP_2) | instskip(SKIP_1) | instid1(VALU_DEP_3)
	v_mul_lo_u32 v7, v3, s58
	v_mul_lo_u32 v3, v3, s59
	v_sub_nc_u32_e32 v5, v5, v12
	s_delay_alu instid0(VALU_DEP_3) | instskip(NEXT) | instid1(VALU_DEP_2)
	v_add3_u32 v2, v6, v2, v7
	v_mul_lo_u32 v12, v5, s62
	v_mul_lo_u32 v5, v5, s63
	v_add3_u32 v0, v10, v0, v3
	s_delay_alu instid0(VALU_DEP_3) | instskip(NEXT) | instid1(VALU_DEP_2)
	v_add3_u32 v2, v11, v2, v12
	v_add3_u32 v0, v4, v0, v5
	s_cbranch_scc0 .LBB393_812
	s_branch .LBB393_815
.LBB393_813:
	s_mov_b32 s36, -1
                                        ; implicit-def: $vgpr2
                                        ; implicit-def: $vgpr0
	s_branch .LBB393_818
.LBB393_814:
	v_dual_mov_b32 v1, v9 :: v_dual_mov_b32 v0, 0
.LBB393_815:
	s_and_b32 s44, s44, 3
	s_delay_alu instid0(SALU_CYCLE_1)
	s_cmp_eq_u32 s44, 0
	s_cbranch_scc1 .LBB393_818
; %bb.816:
	s_lshl_b32 s2, s35, 3
	s_mul_i32 s22, s35, 12
	s_add_u32 s2, s2, s16
	s_addc_u32 s3, s17, 0
	s_add_u32 s2, s2, 0xc4
	s_addc_u32 s3, s3, 0
	;; [unrolled: 2-line block ×3, first 2 shown]
.LBB393_817:                            ; =>This Inner Loop Header: Depth=1
	s_clause 0x1
	s_load_b64 s[46:47], s[22:23], 0x4
	s_load_b32 s35, s[22:23], 0xc
	s_load_b64 s[48:49], s[2:3], 0x0
	s_add_u32 s22, s22, 12
	s_addc_u32 s23, s23, 0
	s_add_u32 s2, s2, 8
	s_addc_u32 s3, s3, 0
	s_add_i32 s44, s44, -1
	s_delay_alu instid0(SALU_CYCLE_1) | instskip(SKIP_2) | instid1(VALU_DEP_1)
	s_cmp_lg_u32 s44, 0
	s_waitcnt lgkmcnt(0)
	v_mul_hi_u32 v3, s47, v1
	v_add_nc_u32_e32 v3, v1, v3
	s_waitcnt vmcnt(0)
	s_delay_alu instid0(VALU_DEP_1) | instskip(NEXT) | instid1(VALU_DEP_1)
	v_lshrrev_b32_e32 v6, s35, v3
	v_mul_lo_u32 v3, v6, s46
	s_delay_alu instid0(VALU_DEP_1) | instskip(NEXT) | instid1(VALU_DEP_1)
	v_sub_nc_u32_e32 v1, v1, v3
	v_mad_u64_u32 v[3:4], null, v1, s48, v[2:3]
	v_mad_u64_u32 v[4:5], null, v1, s49, v[0:1]
	s_delay_alu instid0(VALU_DEP_2) | instskip(NEXT) | instid1(VALU_DEP_2)
	v_dual_mov_b32 v1, v6 :: v_dual_mov_b32 v2, v3
	v_mov_b32_e32 v0, v4
	s_cbranch_scc1 .LBB393_817
.LBB393_818:
	s_and_not1_b32 vcc_lo, exec_lo, s36
	s_cbranch_vccnz .LBB393_821
; %bb.819:
	v_mul_hi_u32 v0, s13, v9
	s_and_not1_b32 vcc_lo, exec_lo, s33
	s_delay_alu instid0(VALU_DEP_1) | instskip(NEXT) | instid1(VALU_DEP_1)
	v_add_nc_u32_e32 v0, v9, v0
	v_lshrrev_b32_e32 v1, s14, v0
	s_delay_alu instid0(VALU_DEP_1) | instskip(NEXT) | instid1(VALU_DEP_1)
	v_mul_lo_u32 v0, v1, s12
	v_sub_nc_u32_e32 v0, v9, v0
	s_delay_alu instid0(VALU_DEP_1)
	v_mul_lo_u32 v2, v0, s8
	v_mul_lo_u32 v0, v0, s9
	s_cbranch_vccnz .LBB393_821
; %bb.820:
	v_mul_hi_u32 v3, s20, v1
	s_delay_alu instid0(VALU_DEP_1) | instskip(NEXT) | instid1(VALU_DEP_1)
	v_add_nc_u32_e32 v3, v1, v3
	v_lshrrev_b32_e32 v3, s21, v3
	s_delay_alu instid0(VALU_DEP_1) | instskip(NEXT) | instid1(VALU_DEP_1)
	v_mul_lo_u32 v3, v3, s15
	v_sub_nc_u32_e32 v5, v1, v3
	s_delay_alu instid0(VALU_DEP_1) | instskip(SKIP_1) | instid1(VALU_DEP_2)
	v_mad_u64_u32 v[3:4], null, v5, s10, v[2:3]
	v_mad_u64_u32 v[1:2], null, v5, s11, v[0:1]
	v_mov_b32_e32 v2, v3
	s_delay_alu instid0(VALU_DEP_2)
	v_mov_b32_e32 v0, v1
.LBB393_821:
	v_cmp_gt_i16_e32 vcc_lo, 11, v8
	s_delay_alu instid0(VALU_DEP_2) | instskip(NEXT) | instid1(VALU_DEP_1)
	v_add_co_u32 v0, s2, s6, v0
	v_add_co_ci_u32_e64 v1, null, s7, 0, s2
	s_mov_b32 s2, 0
	s_cbranch_vccnz .LBB393_828
; %bb.822:
	v_cmp_lt_i16_e32 vcc_lo, 25, v8
	s_mov_b32 s7, 0
	s_cbranch_vccz .LBB393_829
; %bb.823:
	v_cmp_lt_i16_e32 vcc_lo, 28, v8
	s_cbranch_vccz .LBB393_830
; %bb.824:
	v_cmp_lt_i16_e32 vcc_lo, 43, v8
	;; [unrolled: 3-line block ×3, first 2 shown]
	s_cbranch_vccz .LBB393_834
; %bb.826:
	v_cmp_eq_u16_e32 vcc_lo, 46, v8
	s_mov_b32 s3, 0
	s_cbranch_vccz .LBB393_837
; %bb.827:
	global_load_b32 v3, v[0:1], off
	s_mov_b32 s6, 0
	s_mov_b32 s2, -1
	s_waitcnt vmcnt(0)
	v_lshlrev_b32_e32 v3, 16, v3
	s_delay_alu instid0(VALU_DEP_1)
	v_cvt_f64_f32_e32 v[6:7], v3
	s_branch .LBB393_839
.LBB393_828:
	s_mov_b32 s3, -1
	s_mov_b32 s7, 0
	s_mov_b32 s6, s24
                                        ; implicit-def: $vgpr6_vgpr7
	s_branch .LBB393_902
.LBB393_829:
	s_mov_b32 s3, -1
	s_mov_b32 s6, s24
                                        ; implicit-def: $vgpr6_vgpr7
	s_branch .LBB393_870
.LBB393_830:
	s_mov_b32 s3, -1
	s_mov_b32 s6, s24
                                        ; implicit-def: $vgpr6_vgpr7
	s_branch .LBB393_849
.LBB393_831:
	s_mov_b32 s3, -1
	s_mov_b32 s6, s24
                                        ; implicit-def: $vgpr6_vgpr7
	s_branch .LBB393_844
.LBB393_832:
	s_or_saveexec_b32 s44, s44
                                        ; implicit-def: $sgpr45
	s_delay_alu instid0(SALU_CYCLE_1)
	s_xor_b32 exec_lo, exec_lo, s44
	s_cbranch_execz .LBB393_755
.LBB393_833:
	v_add_f32_e64 v3, 0x46000000, |v2|
	s_and_not1_b32 s25, s25, exec_lo
	s_mov_b32 s45, 0
	s_delay_alu instid0(VALU_DEP_1) | instskip(NEXT) | instid1(VALU_DEP_1)
	v_and_b32_e32 v3, 0xff, v3
	v_cmp_ne_u32_e32 vcc_lo, 0, v3
	s_and_b32 s46, vcc_lo, exec_lo
	s_delay_alu instid0(SALU_CYCLE_1)
	s_or_b32 s25, s25, s46
	s_or_b32 exec_lo, exec_lo, s44
	v_mov_b32_e32 v6, s45
	s_and_saveexec_b32 s44, s25
	s_cbranch_execnz .LBB393_756
	s_branch .LBB393_757
.LBB393_834:
	s_mov_b32 s3, -1
	s_mov_b32 s6, s24
	s_branch .LBB393_838
.LBB393_835:
	s_or_saveexec_b32 s44, s44
                                        ; implicit-def: $sgpr45
	s_delay_alu instid0(SALU_CYCLE_1)
	s_xor_b32 exec_lo, exec_lo, s44
	s_cbranch_execz .LBB393_768
.LBB393_836:
	v_add_f32_e64 v3, 0x42800000, |v2|
	s_and_not1_b32 s25, s25, exec_lo
	s_mov_b32 s45, 0
	s_delay_alu instid0(VALU_DEP_1) | instskip(NEXT) | instid1(VALU_DEP_1)
	v_and_b32_e32 v3, 0xff, v3
	v_cmp_ne_u32_e32 vcc_lo, 0, v3
	s_and_b32 s46, vcc_lo, exec_lo
	s_delay_alu instid0(SALU_CYCLE_1)
	s_or_b32 s25, s25, s46
	s_or_b32 exec_lo, exec_lo, s44
	v_mov_b32_e32 v6, s45
	s_and_saveexec_b32 s44, s25
	s_cbranch_execnz .LBB393_769
	s_branch .LBB393_770
.LBB393_837:
	s_mov_b32 s6, -1
.LBB393_838:
                                        ; implicit-def: $vgpr6_vgpr7
.LBB393_839:
	s_and_b32 vcc_lo, exec_lo, s3
	s_cbranch_vccz .LBB393_843
; %bb.840:
	v_cmp_eq_u16_e32 vcc_lo, 44, v8
	s_cbranch_vccz .LBB393_842
; %bb.841:
	global_load_u8 v5, v[0:1], off
	s_mov_b32 s6, 0
	s_mov_b32 s2, -1
	s_waitcnt vmcnt(0)
	v_cmp_ne_u32_e32 vcc_lo, 0xff, v5
	v_lshlrev_b32_e32 v3, 23, v5
	s_delay_alu instid0(VALU_DEP_1) | instskip(NEXT) | instid1(VALU_DEP_1)
	v_cvt_f64_f32_e32 v[3:4], v3
	v_cndmask_b32_e32 v4, 0x7ff80000, v4, vcc_lo
	s_delay_alu instid0(VALU_DEP_2) | instskip(SKIP_1) | instid1(VALU_DEP_3)
	v_cndmask_b32_e32 v3, 0x20000000, v3, vcc_lo
	v_cmp_ne_u32_e32 vcc_lo, 0, v5
	v_cndmask_b32_e32 v7, 0x38000000, v4, vcc_lo
	s_delay_alu instid0(VALU_DEP_3)
	v_cndmask_b32_e32 v6, 0, v3, vcc_lo
	s_branch .LBB393_843
.LBB393_842:
	s_mov_b32 s6, -1
                                        ; implicit-def: $vgpr6_vgpr7
.LBB393_843:
	s_mov_b32 s3, 0
.LBB393_844:
	s_delay_alu instid0(SALU_CYCLE_1)
	s_and_b32 vcc_lo, exec_lo, s3
	s_cbranch_vccz .LBB393_848
; %bb.845:
	v_cmp_eq_u16_e32 vcc_lo, 29, v8
	s_cbranch_vccz .LBB393_847
; %bb.846:
	global_load_b64 v[3:4], v[0:1], off
	s_mov_b32 s6, 0
	s_mov_b32 s2, -1
	s_mov_b32 s3, 0
	s_waitcnt vmcnt(0)
	v_cvt_f64_u32_e32 v[4:5], v4
	v_cvt_f64_u32_e32 v[6:7], v3
	s_delay_alu instid0(VALU_DEP_2) | instskip(NEXT) | instid1(VALU_DEP_1)
	v_ldexp_f64 v[4:5], v[4:5], 32
	v_add_f64 v[6:7], v[4:5], v[6:7]
	s_branch .LBB393_849
.LBB393_847:
	s_mov_b32 s6, -1
                                        ; implicit-def: $vgpr6_vgpr7
.LBB393_848:
	s_mov_b32 s3, 0
.LBB393_849:
	s_delay_alu instid0(SALU_CYCLE_1)
	s_and_b32 vcc_lo, exec_lo, s3
	s_cbranch_vccz .LBB393_869
; %bb.850:
	v_cmp_gt_i16_e32 vcc_lo, 27, v8
	s_cbranch_vccnz .LBB393_853
; %bb.851:
	v_cmp_lt_i16_e32 vcc_lo, 27, v8
	s_cbranch_vccz .LBB393_854
; %bb.852:
	global_load_b32 v3, v[0:1], off
	s_mov_b32 s2, 0
	s_waitcnt vmcnt(0)
	v_cvt_f64_u32_e32 v[6:7], v3
	s_branch .LBB393_855
.LBB393_853:
	s_mov_b32 s2, -1
                                        ; implicit-def: $vgpr6_vgpr7
	s_branch .LBB393_858
.LBB393_854:
	s_mov_b32 s2, -1
                                        ; implicit-def: $vgpr6_vgpr7
.LBB393_855:
	s_delay_alu instid0(SALU_CYCLE_1)
	s_and_not1_b32 vcc_lo, exec_lo, s2
	s_cbranch_vccnz .LBB393_857
; %bb.856:
	global_load_u16 v3, v[0:1], off
	s_waitcnt vmcnt(0)
	v_cvt_f64_u32_e32 v[6:7], v3
.LBB393_857:
	s_mov_b32 s2, 0
.LBB393_858:
	s_delay_alu instid0(SALU_CYCLE_1)
	s_and_not1_b32 vcc_lo, exec_lo, s2
	s_cbranch_vccnz .LBB393_868
; %bb.859:
	global_load_u8 v3, v[0:1], off
	s_mov_b32 s8, 0
	s_mov_b32 s9, exec_lo
                                        ; implicit-def: $sgpr2_sgpr3
	s_waitcnt vmcnt(0)
	v_cmpx_lt_i16_e32 0x7f, v3
	s_xor_b32 s9, exec_lo, s9
	s_cbranch_execz .LBB393_863
; %bb.860:
	s_mov_b32 s10, -1
	s_mov_b32 s8, exec_lo
                                        ; implicit-def: $sgpr2_sgpr3
	v_cmpx_eq_u16_e32 0x80, v3
; %bb.861:
	s_mov_b32 s3, 0x7ff80000
	s_brev_b32 s2, 4
	s_xor_b32 s10, exec_lo, -1
; %bb.862:
	s_or_b32 exec_lo, exec_lo, s8
	s_delay_alu instid0(SALU_CYCLE_1)
	s_and_b32 s8, s10, exec_lo
.LBB393_863:
	s_or_saveexec_b32 s9, s9
	v_dual_mov_b32 v7, s3 :: v_dual_mov_b32 v6, s2
	s_xor_b32 exec_lo, exec_lo, s9
; %bb.864:
	v_cmp_ne_u16_e32 vcc_lo, 0, v3
	v_mov_b32_e32 v6, 0
	v_mov_b32_e32 v7, 0
	s_and_not1_b32 s2, s8, exec_lo
	s_and_b32 s3, vcc_lo, exec_lo
	s_delay_alu instid0(SALU_CYCLE_1)
	s_or_b32 s8, s2, s3
; %bb.865:
	s_or_b32 exec_lo, exec_lo, s9
	s_and_saveexec_b32 s2, s8
	s_cbranch_execz .LBB393_867
; %bb.866:
	v_and_b32_e32 v4, 0xffff, v3
	v_lshlrev_b32_e32 v3, 24, v3
	s_delay_alu instid0(VALU_DEP_2) | instskip(NEXT) | instid1(VALU_DEP_2)
	v_and_b32_e32 v5, 7, v4
	v_and_b32_e32 v3, 0x80000000, v3
	s_delay_alu instid0(VALU_DEP_2) | instskip(NEXT) | instid1(VALU_DEP_1)
	v_clz_i32_u32_e32 v6, v5
	v_min_u32_e32 v6, 32, v6
	s_delay_alu instid0(VALU_DEP_1) | instskip(SKIP_1) | instid1(VALU_DEP_2)
	v_subrev_nc_u32_e32 v7, 28, v6
	v_sub_nc_u32_e32 v6, 29, v6
	v_lshlrev_b32_e32 v7, v7, v4
	v_bfe_u32 v4, v4, 3, 4
	s_delay_alu instid0(VALU_DEP_2) | instskip(NEXT) | instid1(VALU_DEP_2)
	v_and_b32_e32 v7, 7, v7
	v_cmp_eq_u32_e32 vcc_lo, 0, v4
	s_delay_alu instid0(VALU_DEP_2) | instskip(NEXT) | instid1(VALU_DEP_1)
	v_dual_cndmask_b32 v4, v4, v6 :: v_dual_cndmask_b32 v5, v5, v7
	v_lshl_add_u32 v4, v4, 23, 0x3b800000
	s_delay_alu instid0(VALU_DEP_2) | instskip(NEXT) | instid1(VALU_DEP_1)
	v_lshlrev_b32_e32 v5, 20, v5
	v_or3_b32 v3, v3, v4, v5
	s_delay_alu instid0(VALU_DEP_1)
	v_cvt_f64_f32_e32 v[6:7], v3
.LBB393_867:
	s_or_b32 exec_lo, exec_lo, s2
.LBB393_868:
	s_mov_b32 s2, -1
.LBB393_869:
	s_mov_b32 s3, 0
.LBB393_870:
	s_delay_alu instid0(SALU_CYCLE_1)
	s_and_b32 vcc_lo, exec_lo, s3
	s_cbranch_vccz .LBB393_901
; %bb.871:
	v_cmp_lt_i16_e32 vcc_lo, 22, v8
	s_cbranch_vccz .LBB393_883
; %bb.872:
	v_cmp_gt_i16_e32 vcc_lo, 24, v8
	s_cbranch_vccnz .LBB393_884
; %bb.873:
	v_cmp_lt_i16_e32 vcc_lo, 24, v8
	s_cbranch_vccz .LBB393_885
; %bb.874:
	global_load_u8 v3, v[0:1], off
	s_mov_b32 s8, exec_lo
                                        ; implicit-def: $sgpr2_sgpr3
	s_waitcnt vmcnt(0)
	v_cmpx_lt_i16_e32 0x7f, v3
	s_xor_b32 s8, exec_lo, s8
	s_cbranch_execz .LBB393_878
; %bb.875:
	s_mov_b32 s9, -1
	s_mov_b32 s7, exec_lo
                                        ; implicit-def: $sgpr2_sgpr3
	v_cmpx_eq_u16_e32 0x80, v3
; %bb.876:
	s_mov_b32 s3, 0x7ff80000
	s_brev_b32 s2, 4
	s_xor_b32 s9, exec_lo, -1
; %bb.877:
	s_or_b32 exec_lo, exec_lo, s7
	s_delay_alu instid0(SALU_CYCLE_1)
	s_and_b32 s7, s9, exec_lo
.LBB393_878:
	s_or_saveexec_b32 s8, s8
	v_dual_mov_b32 v7, s3 :: v_dual_mov_b32 v6, s2
	s_xor_b32 exec_lo, exec_lo, s8
; %bb.879:
	v_cmp_ne_u16_e32 vcc_lo, 0, v3
	v_mov_b32_e32 v6, 0
	v_mov_b32_e32 v7, 0
	s_and_not1_b32 s2, s7, exec_lo
	s_and_b32 s3, vcc_lo, exec_lo
	s_delay_alu instid0(SALU_CYCLE_1)
	s_or_b32 s7, s2, s3
; %bb.880:
	s_or_b32 exec_lo, exec_lo, s8
	s_and_saveexec_b32 s2, s7
	s_cbranch_execz .LBB393_882
; %bb.881:
	v_and_b32_e32 v4, 0xffff, v3
	v_lshlrev_b32_e32 v3, 24, v3
	s_delay_alu instid0(VALU_DEP_2) | instskip(NEXT) | instid1(VALU_DEP_2)
	v_and_b32_e32 v5, 3, v4
	v_and_b32_e32 v3, 0x80000000, v3
	s_delay_alu instid0(VALU_DEP_2) | instskip(NEXT) | instid1(VALU_DEP_1)
	v_clz_i32_u32_e32 v6, v5
	v_min_u32_e32 v6, 32, v6
	s_delay_alu instid0(VALU_DEP_1) | instskip(SKIP_1) | instid1(VALU_DEP_2)
	v_subrev_nc_u32_e32 v7, 29, v6
	v_sub_nc_u32_e32 v6, 30, v6
	v_lshlrev_b32_e32 v7, v7, v4
	v_bfe_u32 v4, v4, 2, 5
	s_delay_alu instid0(VALU_DEP_2) | instskip(NEXT) | instid1(VALU_DEP_2)
	v_and_b32_e32 v7, 3, v7
	v_cmp_eq_u32_e32 vcc_lo, 0, v4
	s_delay_alu instid0(VALU_DEP_2) | instskip(NEXT) | instid1(VALU_DEP_1)
	v_dual_cndmask_b32 v4, v4, v6 :: v_dual_cndmask_b32 v5, v5, v7
	v_lshl_add_u32 v4, v4, 23, 0x37800000
	s_delay_alu instid0(VALU_DEP_2) | instskip(NEXT) | instid1(VALU_DEP_1)
	v_lshlrev_b32_e32 v5, 21, v5
	v_or3_b32 v3, v3, v4, v5
	s_delay_alu instid0(VALU_DEP_1)
	v_cvt_f64_f32_e32 v[6:7], v3
.LBB393_882:
	s_or_b32 exec_lo, exec_lo, s2
	s_mov_b32 s2, 0
	s_branch .LBB393_886
.LBB393_883:
	s_mov_b32 s3, -1
                                        ; implicit-def: $vgpr6_vgpr7
	s_branch .LBB393_892
.LBB393_884:
	s_mov_b32 s2, -1
                                        ; implicit-def: $vgpr6_vgpr7
	s_branch .LBB393_889
.LBB393_885:
	s_mov_b32 s2, -1
                                        ; implicit-def: $vgpr6_vgpr7
.LBB393_886:
	s_delay_alu instid0(SALU_CYCLE_1)
	s_and_b32 vcc_lo, exec_lo, s2
	s_cbranch_vccz .LBB393_888
; %bb.887:
	global_load_u8 v3, v[0:1], off
	s_waitcnt vmcnt(0)
	v_lshlrev_b32_e32 v3, 24, v3
	s_delay_alu instid0(VALU_DEP_1) | instskip(NEXT) | instid1(VALU_DEP_1)
	v_and_b32_e32 v4, 0x7f000000, v3
	v_clz_i32_u32_e32 v5, v4
	v_add_nc_u32_e32 v7, 0x1000000, v4
	v_cmp_ne_u32_e32 vcc_lo, 0, v4
	s_delay_alu instid0(VALU_DEP_3) | instskip(NEXT) | instid1(VALU_DEP_1)
	v_min_u32_e32 v5, 32, v5
	v_sub_nc_u32_e64 v5, v5, 4 clamp
	s_delay_alu instid0(VALU_DEP_1) | instskip(SKIP_1) | instid1(VALU_DEP_2)
	v_lshlrev_b32_e32 v6, v5, v4
	v_lshlrev_b32_e32 v5, 23, v5
	v_lshrrev_b32_e32 v6, 4, v6
	s_delay_alu instid0(VALU_DEP_1) | instskip(SKIP_1) | instid1(VALU_DEP_2)
	v_sub_nc_u32_e32 v5, v6, v5
	v_ashrrev_i32_e32 v6, 8, v7
	v_add_nc_u32_e32 v5, 0x3c000000, v5
	s_delay_alu instid0(VALU_DEP_1) | instskip(NEXT) | instid1(VALU_DEP_1)
	v_and_or_b32 v5, 0x7f800000, v6, v5
	v_cndmask_b32_e32 v4, 0, v5, vcc_lo
	s_delay_alu instid0(VALU_DEP_1) | instskip(NEXT) | instid1(VALU_DEP_1)
	v_and_or_b32 v3, 0x80000000, v3, v4
	v_cvt_f64_f32_e32 v[6:7], v3
.LBB393_888:
	s_mov_b32 s2, 0
.LBB393_889:
	s_delay_alu instid0(SALU_CYCLE_1)
	s_and_not1_b32 vcc_lo, exec_lo, s2
	s_cbranch_vccnz .LBB393_891
; %bb.890:
	global_load_u8 v3, v[0:1], off
	s_waitcnt vmcnt(0)
	v_lshlrev_b32_e32 v4, 25, v3
	v_lshlrev_b16 v3, 8, v3
	s_delay_alu instid0(VALU_DEP_2) | instskip(NEXT) | instid1(VALU_DEP_2)
	v_lshrrev_b32_e32 v5, 4, v4
	v_and_or_b32 v6, 0x7f00, v3, 0.5
	v_bfe_i32 v3, v3, 0, 16
	s_delay_alu instid0(VALU_DEP_3) | instskip(NEXT) | instid1(VALU_DEP_1)
	v_or_b32_e32 v5, 0x70000000, v5
	v_dual_add_f32 v6, -0.5, v6 :: v_dual_mul_f32 v5, 0x7800000, v5
	v_cmp_gt_u32_e32 vcc_lo, 0x8000000, v4
	s_delay_alu instid0(VALU_DEP_2) | instskip(NEXT) | instid1(VALU_DEP_1)
	v_cndmask_b32_e32 v4, v5, v6, vcc_lo
	v_and_or_b32 v3, 0x80000000, v3, v4
	s_delay_alu instid0(VALU_DEP_1)
	v_cvt_f64_f32_e32 v[6:7], v3
.LBB393_891:
	s_mov_b32 s3, 0
	s_mov_b32 s2, -1
.LBB393_892:
	s_and_not1_b32 vcc_lo, exec_lo, s3
	s_mov_b32 s7, 0
	s_cbranch_vccnz .LBB393_901
; %bb.893:
	v_cmp_lt_i16_e32 vcc_lo, 14, v8
	s_cbranch_vccz .LBB393_896
; %bb.894:
	v_cmp_eq_u16_e32 vcc_lo, 15, v8
	s_cbranch_vccz .LBB393_897
; %bb.895:
	global_load_u16 v3, v[0:1], off
	s_mov_b32 s6, 0
	s_mov_b32 s2, -1
	s_waitcnt vmcnt(0)
	v_lshlrev_b32_e32 v3, 16, v3
	s_delay_alu instid0(VALU_DEP_1)
	v_cvt_f64_f32_e32 v[6:7], v3
	s_branch .LBB393_898
.LBB393_896:
	s_mov_b32 s3, -1
                                        ; implicit-def: $vgpr6_vgpr7
	s_branch .LBB393_899
.LBB393_897:
	s_mov_b32 s6, -1
                                        ; implicit-def: $vgpr6_vgpr7
.LBB393_898:
	s_mov_b32 s3, 0
.LBB393_899:
	s_delay_alu instid0(SALU_CYCLE_1)
	s_and_b32 vcc_lo, exec_lo, s3
	s_cbranch_vccz .LBB393_901
; %bb.900:
	v_cmp_ne_u16_e32 vcc_lo, 11, v8
	s_and_not1_b32 s3, s6, exec_lo
	s_mov_b32 s7, -1
                                        ; implicit-def: $vgpr6_vgpr7
	s_and_b32 s6, vcc_lo, exec_lo
	s_delay_alu instid0(SALU_CYCLE_1)
	s_or_b32 s6, s3, s6
.LBB393_901:
	s_mov_b32 s3, 0
.LBB393_902:
	s_and_not1_b32 s8, s24, exec_lo
	s_and_b32 s6, s6, exec_lo
	s_and_b32 s44, s2, exec_lo
	;; [unrolled: 1-line block ×4, first 2 shown]
	s_or_b32 s45, s8, s6
.LBB393_903:
	s_or_b32 exec_lo, exec_lo, s34
	s_delay_alu instid0(SALU_CYCLE_1)
	s_and_not1_b32 s6, s24, exec_lo
	s_and_b32 s7, s45, exec_lo
	s_and_b32 s44, s44, exec_lo
	;; [unrolled: 1-line block ×4, first 2 shown]
	s_or_b32 s24, s6, s7
.LBB393_904:
	s_or_b32 exec_lo, exec_lo, s43
	s_delay_alu instid0(SALU_CYCLE_1)
	s_and_not1_b32 s6, s41, exec_lo
	s_and_b32 s7, s25, exec_lo
	s_and_b32 s43, s44, exec_lo
	s_or_b32 s41, s6, s7
	s_and_not1_b32 s6, s40, exec_lo
	s_and_b32 s7, s24, exec_lo
	s_and_b32 s25, s3, exec_lo
	;; [unrolled: 1-line block ×3, first 2 shown]
	s_or_b32 s40, s6, s7
.LBB393_905:
	s_or_b32 exec_lo, exec_lo, s42
	s_delay_alu instid0(SALU_CYCLE_1)
	s_and_not1_b32 s2, s37, exec_lo
	s_and_b32 s6, s41, exec_lo
	s_and_b32 s7, s40, exec_lo
	s_or_b32 s37, s2, s6
	s_and_not1_b32 s6, s38, exec_lo
	s_and_b32 s2, s43, exec_lo
	s_and_b32 s24, s25, exec_lo
	;; [unrolled: 1-line block ×3, first 2 shown]
	s_or_b32 s38, s6, s7
.LBB393_906:
	s_or_b32 exec_lo, exec_lo, s39
	s_mov_b32 s3, 0
	s_and_saveexec_b32 s6, s38
	s_cbranch_execnz .LBB393_918
; %bb.907:
	s_or_b32 exec_lo, exec_lo, s6
	s_and_saveexec_b32 s6, s40
	s_delay_alu instid0(SALU_CYCLE_1)
	s_xor_b32 s6, exec_lo, s6
	s_cbranch_execz .LBB393_909
.LBB393_908:
	global_load_u8 v3, v[0:1], off
	s_waitcnt vmcnt(1)
	v_mov_b32_e32 v6, 0
	s_or_b32 s2, s2, exec_lo
	s_waitcnt vmcnt(0)
	v_cmp_ne_u16_e32 vcc_lo, 0, v3
	v_cndmask_b32_e64 v7, 0, 0x3ff00000, vcc_lo
.LBB393_909:
	s_or_b32 exec_lo, exec_lo, s6
	s_and_saveexec_b32 s6, s24
	s_cbranch_execz .LBB393_957
; %bb.910:
	v_cmp_gt_i16_e32 vcc_lo, 5, v8
	s_cbranch_vccnz .LBB393_915
; %bb.911:
	v_cmp_gt_i16_e32 vcc_lo, 8, v8
	s_cbranch_vccnz .LBB393_916
	;; [unrolled: 3-line block ×3, first 2 shown]
; %bb.913:
	v_cmp_lt_i16_e32 vcc_lo, 9, v8
	s_cbranch_vccz .LBB393_920
; %bb.914:
	global_load_b64 v[6:7], v[0:1], off
	s_mov_b32 s7, 0
	s_branch .LBB393_921
.LBB393_915:
                                        ; implicit-def: $vgpr6_vgpr7
	s_branch .LBB393_938
.LBB393_916:
                                        ; implicit-def: $vgpr6_vgpr7
	s_branch .LBB393_927
.LBB393_917:
	s_mov_b32 s7, -1
                                        ; implicit-def: $vgpr6_vgpr7
	s_branch .LBB393_924
.LBB393_918:
	s_cbranch_execnz .LBB393_1188
; %bb.919:
	s_mov_b32 s3, exec_lo
	s_and_not1_b32 s40, s40, exec_lo
                                        ; implicit-def: $vgpr6_vgpr7
	s_or_b32 exec_lo, exec_lo, s6
	s_and_saveexec_b32 s6, s40
	s_delay_alu instid0(SALU_CYCLE_1)
	s_xor_b32 s6, exec_lo, s6
	s_cbranch_execnz .LBB393_908
	s_branch .LBB393_909
.LBB393_920:
	s_mov_b32 s7, -1
                                        ; implicit-def: $vgpr6_vgpr7
.LBB393_921:
	s_delay_alu instid0(SALU_CYCLE_1)
	s_and_not1_b32 vcc_lo, exec_lo, s7
	s_cbranch_vccnz .LBB393_923
; %bb.922:
	global_load_b32 v3, v[0:1], off
	s_waitcnt vmcnt(0)
	v_cvt_f64_f32_e32 v[6:7], v3
.LBB393_923:
	s_mov_b32 s7, 0
.LBB393_924:
	s_delay_alu instid0(SALU_CYCLE_1)
	s_and_not1_b32 vcc_lo, exec_lo, s7
	s_cbranch_vccnz .LBB393_926
; %bb.925:
	global_load_b32 v3, v[0:1], off
	s_waitcnt vmcnt(0)
	v_cvt_f32_f16_e32 v3, v3
	s_delay_alu instid0(VALU_DEP_1)
	v_cvt_f64_f32_e32 v[6:7], v3
.LBB393_926:
	s_cbranch_execnz .LBB393_937
.LBB393_927:
	v_cmp_gt_i16_e32 vcc_lo, 6, v8
	s_cbranch_vccnz .LBB393_930
; %bb.928:
	v_cmp_lt_i16_e32 vcc_lo, 6, v8
	s_cbranch_vccz .LBB393_931
; %bb.929:
	global_load_b64 v[6:7], v[0:1], off
	s_mov_b32 s7, 0
	s_branch .LBB393_932
.LBB393_930:
	s_mov_b32 s7, -1
                                        ; implicit-def: $vgpr6_vgpr7
	s_branch .LBB393_935
.LBB393_931:
	s_mov_b32 s7, -1
                                        ; implicit-def: $vgpr6_vgpr7
.LBB393_932:
	s_delay_alu instid0(SALU_CYCLE_1)
	s_and_not1_b32 vcc_lo, exec_lo, s7
	s_cbranch_vccnz .LBB393_934
; %bb.933:
	global_load_b32 v3, v[0:1], off
	s_waitcnt vmcnt(0)
	v_cvt_f64_f32_e32 v[6:7], v3
.LBB393_934:
	s_mov_b32 s7, 0
.LBB393_935:
	s_delay_alu instid0(SALU_CYCLE_1)
	s_and_not1_b32 vcc_lo, exec_lo, s7
	s_cbranch_vccnz .LBB393_937
; %bb.936:
	global_load_u16 v3, v[0:1], off
	s_waitcnt vmcnt(0)
	v_cvt_f32_f16_e32 v3, v3
	s_delay_alu instid0(VALU_DEP_1)
	v_cvt_f64_f32_e32 v[6:7], v3
.LBB393_937:
	s_cbranch_execnz .LBB393_956
.LBB393_938:
	v_cmp_gt_i16_e32 vcc_lo, 2, v8
	s_cbranch_vccnz .LBB393_942
; %bb.939:
	v_cmp_gt_i16_e32 vcc_lo, 3, v8
	s_cbranch_vccnz .LBB393_943
; %bb.940:
	v_cmp_lt_i16_e32 vcc_lo, 3, v8
	s_cbranch_vccz .LBB393_944
; %bb.941:
	global_load_b64 v[3:4], v[0:1], off
	s_mov_b32 s7, 0
	s_waitcnt vmcnt(0)
	v_cvt_f64_i32_e32 v[4:5], v4
	v_cvt_f64_u32_e32 v[6:7], v3
	s_delay_alu instid0(VALU_DEP_2) | instskip(NEXT) | instid1(VALU_DEP_1)
	v_ldexp_f64 v[4:5], v[4:5], 32
	v_add_f64 v[6:7], v[4:5], v[6:7]
	s_branch .LBB393_945
.LBB393_942:
                                        ; implicit-def: $vgpr6_vgpr7
	s_branch .LBB393_951
.LBB393_943:
	s_mov_b32 s7, -1
                                        ; implicit-def: $vgpr6_vgpr7
	s_branch .LBB393_948
.LBB393_944:
	s_mov_b32 s7, -1
                                        ; implicit-def: $vgpr6_vgpr7
.LBB393_945:
	s_delay_alu instid0(SALU_CYCLE_1)
	s_and_not1_b32 vcc_lo, exec_lo, s7
	s_cbranch_vccnz .LBB393_947
; %bb.946:
	global_load_b32 v3, v[0:1], off
	s_waitcnt vmcnt(0)
	v_cvt_f64_i32_e32 v[6:7], v3
.LBB393_947:
	s_mov_b32 s7, 0
.LBB393_948:
	s_delay_alu instid0(SALU_CYCLE_1)
	s_and_not1_b32 vcc_lo, exec_lo, s7
	s_cbranch_vccnz .LBB393_950
; %bb.949:
	global_load_i16 v3, v[0:1], off
	s_waitcnt vmcnt(0)
	v_cvt_f64_i32_e32 v[6:7], v3
.LBB393_950:
	s_cbranch_execnz .LBB393_956
.LBB393_951:
	v_cmp_lt_i16_e32 vcc_lo, 0, v8
	s_mov_b32 s7, 0
	s_cbranch_vccz .LBB393_953
; %bb.952:
	global_load_i8 v3, v[0:1], off
	s_waitcnt vmcnt(0)
	v_cvt_f64_i32_e32 v[6:7], v3
	s_branch .LBB393_954
.LBB393_953:
	s_mov_b32 s7, -1
                                        ; implicit-def: $vgpr6_vgpr7
.LBB393_954:
	s_delay_alu instid0(SALU_CYCLE_1)
	s_and_not1_b32 vcc_lo, exec_lo, s7
	s_cbranch_vccnz .LBB393_956
; %bb.955:
	global_load_u8 v0, v[0:1], off
	s_waitcnt vmcnt(0)
	v_cvt_f64_u32_e32 v[6:7], v0
.LBB393_956:
	s_or_b32 s2, s2, exec_lo
.LBB393_957:
	s_or_b32 exec_lo, exec_lo, s6
	s_mov_b32 s8, 0
	s_mov_b32 s7, 0
                                        ; implicit-def: $vgpr8
                                        ; implicit-def: $vgpr4_vgpr5
                                        ; implicit-def: $vgpr0_vgpr1
	s_and_saveexec_b32 s6, s2
	s_cbranch_execz .LBB393_1034
; %bb.958:
	v_max_f64 v[0:1], s[18:19], s[18:19]
	s_waitcnt vmcnt(0)
	s_delay_alu instid0(VALU_DEP_2) | instskip(SKIP_2) | instid1(VALU_DEP_1)
	v_max_f64 v[3:4], v[6:7], v[6:7]
	v_cmp_u_f64_e32 vcc_lo, v[6:7], v[6:7]
	v_and_b32_e64 v8, 0xff, s31
	v_cmp_gt_i16_e64 s2, 11, v8
	s_delay_alu instid0(VALU_DEP_4) | instskip(SKIP_1) | instid1(VALU_DEP_1)
	v_max_f64 v[0:1], v[3:4], v[0:1]
	v_add_co_u32 v4, s4, s4, v2
	v_add_co_ci_u32_e64 v5, null, s5, 0, s4
	s_mov_b32 s4, -1
	s_delay_alu instid0(VALU_DEP_3)
	v_dual_cndmask_b32 v1, v1, v7 :: v_dual_cndmask_b32 v0, v0, v6
	s_and_b32 vcc_lo, exec_lo, s2
	s_mov_b32 s2, s37
	s_cbranch_vccnz .LBB393_1033
; %bb.959:
	v_cmp_lt_i16_e32 vcc_lo, 25, v8
	s_mov_b32 s2, s37
	s_cbranch_vccz .LBB393_992
; %bb.960:
	v_cmp_lt_i16_e32 vcc_lo, 28, v8
	s_mov_b32 s2, s37
	s_cbranch_vccz .LBB393_976
	;; [unrolled: 4-line block ×4, first 2 shown]
; %bb.963:
	v_cmp_eq_u16_e32 vcc_lo, 46, v8
	s_mov_b32 s2, -1
	s_cbranch_vccz .LBB393_965
; %bb.964:
	v_cvt_f32_f64_e32 v2, v[0:1]
	s_mov_b32 s2, 0
	s_delay_alu instid0(VALU_DEP_1) | instskip(SKIP_1) | instid1(VALU_DEP_2)
	v_bfe_u32 v3, v2, 16, 1
	v_cmp_o_f32_e32 vcc_lo, v2, v2
	v_add3_u32 v3, v2, v3, 0x7fff
	s_delay_alu instid0(VALU_DEP_1) | instskip(NEXT) | instid1(VALU_DEP_1)
	v_lshrrev_b32_e32 v3, 16, v3
	v_cndmask_b32_e32 v2, 0x7fc0, v3, vcc_lo
	global_store_b32 v[4:5], v2, off
.LBB393_965:
	s_mov_b32 s4, 0
.LBB393_966:
	s_delay_alu instid0(SALU_CYCLE_1)
	s_and_b32 vcc_lo, exec_lo, s4
	s_cbranch_vccz .LBB393_971
; %bb.967:
	v_cmp_eq_u16_e32 vcc_lo, 44, v8
	s_mov_b32 s2, -1
	s_cbranch_vccz .LBB393_971
; %bb.968:
	v_cvt_f32_f64_e32 v2, v[0:1]
	v_mov_b32_e32 v3, 0xff
	s_mov_b32 s4, exec_lo
	s_delay_alu instid0(VALU_DEP_2) | instskip(NEXT) | instid1(VALU_DEP_1)
	v_bfe_u32 v6, v2, 23, 8
	v_cmpx_ne_u32_e32 0xff, v6
; %bb.969:
	v_and_b32_e32 v3, 0x400000, v2
	v_and_or_b32 v6, 0x3fffff, v2, v6
	v_lshrrev_b32_e32 v2, 23, v2
	s_delay_alu instid0(VALU_DEP_3) | instskip(NEXT) | instid1(VALU_DEP_3)
	v_cmp_ne_u32_e32 vcc_lo, 0, v3
	v_cmp_ne_u32_e64 s2, 0, v6
	s_delay_alu instid0(VALU_DEP_1) | instskip(NEXT) | instid1(SALU_CYCLE_1)
	s_and_b32 s2, vcc_lo, s2
	v_cndmask_b32_e64 v3, 0, 1, s2
	s_delay_alu instid0(VALU_DEP_1)
	v_add_nc_u32_e32 v3, v2, v3
; %bb.970:
	s_or_b32 exec_lo, exec_lo, s4
	s_mov_b32 s2, 0
	global_store_b8 v[4:5], v3, off
.LBB393_971:
	s_mov_b32 s4, 0
.LBB393_972:
	s_delay_alu instid0(SALU_CYCLE_1)
	s_and_b32 vcc_lo, exec_lo, s4
	s_cbranch_vccz .LBB393_975
; %bb.973:
	v_cmp_eq_u16_e32 vcc_lo, 29, v8
	s_mov_b32 s2, -1
	s_cbranch_vccz .LBB393_975
; %bb.974:
	v_trunc_f64_e32 v[2:3], v[0:1]
	s_mov_b32 s2, 0
	s_delay_alu instid0(VALU_DEP_1) | instskip(NEXT) | instid1(VALU_DEP_1)
	v_ldexp_f64 v[6:7], v[2:3], 0xffffffe0
	v_floor_f64_e32 v[6:7], v[6:7]
	s_delay_alu instid0(VALU_DEP_1) | instskip(SKIP_1) | instid1(VALU_DEP_2)
	v_fma_f64 v[2:3], 0xc1f00000, v[6:7], v[2:3]
	v_cvt_u32_f64_e32 v7, v[6:7]
	v_cvt_u32_f64_e32 v6, v[2:3]
	global_store_b64 v[4:5], v[6:7], off
.LBB393_975:
	s_mov_b32 s4, 0
.LBB393_976:
	s_delay_alu instid0(SALU_CYCLE_1)
	s_and_b32 vcc_lo, exec_lo, s4
	s_cbranch_vccz .LBB393_991
; %bb.977:
	v_cmp_gt_i16_e32 vcc_lo, 27, v8
	s_mov_b32 s4, -1
	s_cbranch_vccnz .LBB393_983
; %bb.978:
	v_cvt_u32_f64_e32 v2, v[0:1]
	v_cmp_lt_i16_e32 vcc_lo, 27, v8
	s_cbranch_vccz .LBB393_980
; %bb.979:
	s_mov_b32 s4, 0
	global_store_b32 v[4:5], v2, off
.LBB393_980:
	s_and_not1_b32 vcc_lo, exec_lo, s4
	s_cbranch_vccnz .LBB393_982
; %bb.981:
	global_store_b16 v[4:5], v2, off
.LBB393_982:
	s_mov_b32 s4, 0
.LBB393_983:
	s_delay_alu instid0(SALU_CYCLE_1)
	s_and_not1_b32 vcc_lo, exec_lo, s4
	s_cbranch_vccnz .LBB393_991
; %bb.984:
	v_cvt_f32_f64_e32 v2, v[0:1]
	v_mov_b32_e32 v6, 0x80
	s_mov_b32 s4, exec_lo
	s_delay_alu instid0(VALU_DEP_2) | instskip(NEXT) | instid1(VALU_DEP_1)
	v_and_b32_e32 v3, 0x7fffffff, v2
	v_cmpx_gt_u32_e32 0x43800000, v3
	s_cbranch_execz .LBB393_990
; %bb.985:
	v_cmp_lt_u32_e32 vcc_lo, 0x3bffffff, v3
	s_mov_b32 s5, 0
                                        ; implicit-def: $vgpr3
	s_and_saveexec_b32 s7, vcc_lo
	s_delay_alu instid0(SALU_CYCLE_1)
	s_xor_b32 s7, exec_lo, s7
	s_cbranch_execz .LBB393_1279
; %bb.986:
	v_bfe_u32 v3, v2, 20, 1
	s_mov_b32 s5, exec_lo
	s_delay_alu instid0(VALU_DEP_1) | instskip(NEXT) | instid1(VALU_DEP_1)
	v_add3_u32 v3, v2, v3, 0x487ffff
	v_lshrrev_b32_e32 v3, 20, v3
	s_or_saveexec_b32 s7, s7
                                        ; implicit-def: $sgpr8
	s_delay_alu instid0(SALU_CYCLE_1)
	s_xor_b32 exec_lo, exec_lo, s7
	s_cbranch_execnz .LBB393_1280
.LBB393_987:
	s_or_b32 exec_lo, exec_lo, s7
	v_mov_b32_e32 v6, s8
	s_and_saveexec_b32 s7, s5
.LBB393_988:
	v_lshrrev_b32_e32 v2, 24, v2
	s_delay_alu instid0(VALU_DEP_1)
	v_and_or_b32 v6, 0x80, v2, v3
.LBB393_989:
	s_or_b32 exec_lo, exec_lo, s7
.LBB393_990:
	s_delay_alu instid0(SALU_CYCLE_1)
	s_or_b32 exec_lo, exec_lo, s4
	global_store_b8 v[4:5], v6, off
.LBB393_991:
	s_mov_b32 s4, 0
.LBB393_992:
	s_delay_alu instid0(SALU_CYCLE_1)
	s_and_b32 vcc_lo, exec_lo, s4
	s_mov_b32 s4, 0
	s_cbranch_vccz .LBB393_1032
; %bb.993:
	v_cmp_lt_i16_e32 vcc_lo, 22, v8
	s_mov_b32 s5, -1
	s_cbranch_vccz .LBB393_1025
; %bb.994:
	v_cmp_gt_i16_e32 vcc_lo, 24, v8
	s_cbranch_vccnz .LBB393_1014
; %bb.995:
	v_cmp_lt_i16_e32 vcc_lo, 24, v8
	s_cbranch_vccz .LBB393_1003
; %bb.996:
	v_cvt_f32_f64_e32 v2, v[0:1]
	v_mov_b32_e32 v6, 0x80
	s_mov_b32 s5, exec_lo
	s_delay_alu instid0(VALU_DEP_2) | instskip(NEXT) | instid1(VALU_DEP_1)
	v_and_b32_e32 v3, 0x7fffffff, v2
	v_cmpx_gt_u32_e32 0x47800000, v3
	s_cbranch_execz .LBB393_1002
; %bb.997:
	v_cmp_lt_u32_e32 vcc_lo, 0x37ffffff, v3
	s_mov_b32 s7, 0
                                        ; implicit-def: $vgpr3
	s_and_saveexec_b32 s8, vcc_lo
	s_delay_alu instid0(SALU_CYCLE_1)
	s_xor_b32 s8, exec_lo, s8
	s_cbranch_execz .LBB393_1323
; %bb.998:
	v_bfe_u32 v3, v2, 21, 1
	s_mov_b32 s7, exec_lo
	s_delay_alu instid0(VALU_DEP_1) | instskip(NEXT) | instid1(VALU_DEP_1)
	v_add3_u32 v3, v2, v3, 0x88fffff
	v_lshrrev_b32_e32 v3, 21, v3
	s_or_saveexec_b32 s8, s8
                                        ; implicit-def: $sgpr9
	s_delay_alu instid0(SALU_CYCLE_1)
	s_xor_b32 exec_lo, exec_lo, s8
	s_cbranch_execnz .LBB393_1324
.LBB393_999:
	s_or_b32 exec_lo, exec_lo, s8
	v_mov_b32_e32 v6, s9
	s_and_saveexec_b32 s8, s7
.LBB393_1000:
	v_lshrrev_b32_e32 v2, 24, v2
	s_delay_alu instid0(VALU_DEP_1)
	v_and_or_b32 v6, 0x80, v2, v3
.LBB393_1001:
	s_or_b32 exec_lo, exec_lo, s8
.LBB393_1002:
	s_delay_alu instid0(SALU_CYCLE_1)
	s_or_b32 exec_lo, exec_lo, s5
	s_mov_b32 s5, 0
	global_store_b8 v[4:5], v6, off
.LBB393_1003:
	s_and_b32 vcc_lo, exec_lo, s5
	s_cbranch_vccz .LBB393_1013
; %bb.1004:
	v_cvt_f32_f64_e32 v2, v[0:1]
	s_mov_b32 s5, exec_lo
                                        ; implicit-def: $vgpr3
	s_delay_alu instid0(VALU_DEP_1) | instskip(NEXT) | instid1(VALU_DEP_1)
	v_and_b32_e32 v6, 0x7fffffff, v2
	v_cmpx_gt_u32_e32 0x43f00000, v6
	s_xor_b32 s5, exec_lo, s5
	s_cbranch_execz .LBB393_1010
; %bb.1005:
	s_mov_b32 s7, exec_lo
                                        ; implicit-def: $vgpr3
	v_cmpx_lt_u32_e32 0x3c7fffff, v6
	s_xor_b32 s7, exec_lo, s7
; %bb.1006:
	v_bfe_u32 v3, v2, 20, 1
	s_delay_alu instid0(VALU_DEP_1) | instskip(NEXT) | instid1(VALU_DEP_1)
	v_add3_u32 v3, v2, v3, 0x407ffff
	v_and_b32_e32 v6, 0xff00000, v3
	v_lshrrev_b32_e32 v3, 20, v3
	s_delay_alu instid0(VALU_DEP_2) | instskip(NEXT) | instid1(VALU_DEP_2)
	v_cmp_ne_u32_e32 vcc_lo, 0x7f00000, v6
	v_cndmask_b32_e32 v3, 0x7e, v3, vcc_lo
; %bb.1007:
	s_and_not1_saveexec_b32 s7, s7
; %bb.1008:
	v_add_f32_e64 v3, 0x46800000, |v2|
; %bb.1009:
	s_or_b32 exec_lo, exec_lo, s7
                                        ; implicit-def: $vgpr6
.LBB393_1010:
	s_and_not1_saveexec_b32 s5, s5
; %bb.1011:
	v_mov_b32_e32 v3, 0x7f
	v_cmp_lt_u32_e32 vcc_lo, 0x7f800000, v6
	s_delay_alu instid0(VALU_DEP_2)
	v_cndmask_b32_e32 v3, 0x7e, v3, vcc_lo
; %bb.1012:
	s_or_b32 exec_lo, exec_lo, s5
	v_lshrrev_b32_e32 v2, 24, v2
	s_delay_alu instid0(VALU_DEP_1)
	v_and_or_b32 v2, 0x80, v2, v3
	global_store_b8 v[4:5], v2, off
.LBB393_1013:
	s_mov_b32 s5, 0
.LBB393_1014:
	s_delay_alu instid0(SALU_CYCLE_1)
	s_and_not1_b32 vcc_lo, exec_lo, s5
	s_cbranch_vccnz .LBB393_1024
; %bb.1015:
	v_cvt_f32_f64_e32 v2, v[0:1]
	s_mov_b32 s5, exec_lo
                                        ; implicit-def: $vgpr3
	s_delay_alu instid0(VALU_DEP_1) | instskip(NEXT) | instid1(VALU_DEP_1)
	v_and_b32_e32 v6, 0x7fffffff, v2
	v_cmpx_gt_u32_e32 0x47800000, v6
	s_xor_b32 s5, exec_lo, s5
	s_cbranch_execz .LBB393_1021
; %bb.1016:
	s_mov_b32 s7, exec_lo
                                        ; implicit-def: $vgpr3
	v_cmpx_lt_u32_e32 0x387fffff, v6
	s_xor_b32 s7, exec_lo, s7
; %bb.1017:
	v_bfe_u32 v3, v2, 21, 1
	s_delay_alu instid0(VALU_DEP_1) | instskip(NEXT) | instid1(VALU_DEP_1)
	v_add3_u32 v3, v2, v3, 0x80fffff
	v_lshrrev_b32_e32 v3, 21, v3
; %bb.1018:
	s_and_not1_saveexec_b32 s7, s7
; %bb.1019:
	v_add_f32_e64 v3, 0x43000000, |v2|
; %bb.1020:
	s_or_b32 exec_lo, exec_lo, s7
                                        ; implicit-def: $vgpr6
.LBB393_1021:
	s_and_not1_saveexec_b32 s5, s5
; %bb.1022:
	v_mov_b32_e32 v3, 0x7f
	v_cmp_lt_u32_e32 vcc_lo, 0x7f800000, v6
	s_delay_alu instid0(VALU_DEP_2)
	v_cndmask_b32_e32 v3, 0x7c, v3, vcc_lo
; %bb.1023:
	s_or_b32 exec_lo, exec_lo, s5
	v_lshrrev_b32_e32 v2, 24, v2
	s_delay_alu instid0(VALU_DEP_1)
	v_and_or_b32 v2, 0x80, v2, v3
	global_store_b8 v[4:5], v2, off
.LBB393_1024:
	s_mov_b32 s5, 0
.LBB393_1025:
	s_delay_alu instid0(SALU_CYCLE_1)
	s_and_not1_b32 vcc_lo, exec_lo, s5
	s_mov_b32 s8, 0
	s_cbranch_vccnz .LBB393_1033
; %bb.1026:
	v_cmp_lt_i16_e32 vcc_lo, 14, v8
	s_mov_b32 s5, -1
	s_cbranch_vccz .LBB393_1030
; %bb.1027:
	v_cmp_eq_u16_e32 vcc_lo, 15, v8
	s_mov_b32 s2, -1
	s_cbranch_vccz .LBB393_1029
; %bb.1028:
	v_cvt_f32_f64_e32 v2, v[0:1]
	s_mov_b32 s2, 0
	s_delay_alu instid0(VALU_DEP_1) | instskip(SKIP_1) | instid1(VALU_DEP_2)
	v_bfe_u32 v3, v2, 16, 1
	v_cmp_o_f32_e32 vcc_lo, v2, v2
	v_add3_u32 v3, v2, v3, 0x7fff
	s_delay_alu instid0(VALU_DEP_1) | instskip(NEXT) | instid1(VALU_DEP_1)
	v_lshrrev_b32_e32 v3, 16, v3
	v_cndmask_b32_e32 v2, 0x7fc0, v3, vcc_lo
	global_store_b16 v[4:5], v2, off
.LBB393_1029:
	s_mov_b32 s5, 0
.LBB393_1030:
	s_delay_alu instid0(SALU_CYCLE_1)
	s_and_b32 vcc_lo, exec_lo, s5
	s_cbranch_vccz .LBB393_1033
; %bb.1031:
	v_cmp_ne_u16_e32 vcc_lo, 11, v8
	s_and_not1_b32 s2, s2, exec_lo
	s_mov_b32 s8, -1
	s_and_b32 s5, vcc_lo, exec_lo
	s_delay_alu instid0(SALU_CYCLE_1)
	s_or_b32 s2, s2, s5
	s_branch .LBB393_1033
.LBB393_1032:
	s_mov_b32 s8, 0
.LBB393_1033:
	s_and_b32 s7, s4, exec_lo
	s_and_not1_b32 s4, s37, exec_lo
	s_and_b32 s2, s2, exec_lo
	s_and_b32 s8, s8, exec_lo
	s_or_b32 s37, s4, s2
.LBB393_1034:
	s_or_b32 exec_lo, exec_lo, s6
	s_and_saveexec_b32 s2, s37
	s_cbranch_execnz .LBB393_1148
; %bb.1035:
	s_or_b32 exec_lo, exec_lo, s2
	s_and_saveexec_b32 s2, s8
	s_delay_alu instid0(SALU_CYCLE_1)
	s_xor_b32 s2, exec_lo, s2
	s_cbranch_execz .LBB393_1037
.LBB393_1036:
	v_cmp_neq_f64_e32 vcc_lo, 0, v[0:1]
	v_cndmask_b32_e64 v2, 0, 1, vcc_lo
	global_store_b8 v[4:5], v2, off
.LBB393_1037:
	s_or_b32 exec_lo, exec_lo, s2
	s_and_saveexec_b32 s2, s7
	s_delay_alu instid0(SALU_CYCLE_1)
	s_xor_b32 s2, exec_lo, s2
	s_cbranch_execz .LBB393_1075
; %bb.1038:
	v_cmp_gt_i16_e32 vcc_lo, 5, v8
	s_mov_b32 s4, -1
	s_cbranch_vccnz .LBB393_1059
; %bb.1039:
	v_cmp_gt_i16_e32 vcc_lo, 8, v8
	s_cbranch_vccnz .LBB393_1049
; %bb.1040:
	v_cmp_gt_i16_e32 vcc_lo, 9, v8
	s_cbranch_vccnz .LBB393_1046
; %bb.1041:
	v_cmp_lt_i16_e32 vcc_lo, 9, v8
	s_cbranch_vccz .LBB393_1043
; %bb.1042:
	v_mov_b32_e32 v2, 0
	s_mov_b32 s4, 0
	s_delay_alu instid0(VALU_DEP_1)
	v_mov_b32_e32 v3, v2
	global_store_b128 v[4:5], v[0:3], off
.LBB393_1043:
	s_and_not1_b32 vcc_lo, exec_lo, s4
	s_cbranch_vccnz .LBB393_1045
; %bb.1044:
	v_cvt_f32_f64_e32 v2, v[0:1]
	v_mov_b32_e32 v3, 0
	global_store_b64 v[4:5], v[2:3], off
.LBB393_1045:
	s_mov_b32 s4, 0
.LBB393_1046:
	s_delay_alu instid0(SALU_CYCLE_1)
	s_and_not1_b32 vcc_lo, exec_lo, s4
	s_cbranch_vccnz .LBB393_1048
; %bb.1047:
	v_cvt_f32_f64_e32 v2, v[0:1]
	s_delay_alu instid0(VALU_DEP_1) | instskip(NEXT) | instid1(VALU_DEP_1)
	v_cvt_f16_f32_e32 v2, v2
	v_and_b32_e32 v2, 0xffff, v2
	global_store_b32 v[4:5], v2, off
.LBB393_1048:
	s_mov_b32 s4, 0
.LBB393_1049:
	s_delay_alu instid0(SALU_CYCLE_1)
	s_and_not1_b32 vcc_lo, exec_lo, s4
	s_cbranch_vccnz .LBB393_1058
; %bb.1050:
	v_cmp_gt_i16_e32 vcc_lo, 6, v8
	s_mov_b32 s4, -1
	s_cbranch_vccnz .LBB393_1056
; %bb.1051:
	v_cmp_lt_i16_e32 vcc_lo, 6, v8
	s_cbranch_vccz .LBB393_1053
; %bb.1052:
	s_mov_b32 s4, 0
	global_store_b64 v[4:5], v[0:1], off
.LBB393_1053:
	s_and_not1_b32 vcc_lo, exec_lo, s4
	s_cbranch_vccnz .LBB393_1055
; %bb.1054:
	v_cvt_f32_f64_e32 v2, v[0:1]
	global_store_b32 v[4:5], v2, off
.LBB393_1055:
	s_mov_b32 s4, 0
.LBB393_1056:
	s_delay_alu instid0(SALU_CYCLE_1)
	s_and_not1_b32 vcc_lo, exec_lo, s4
	s_cbranch_vccnz .LBB393_1058
; %bb.1057:
	v_cvt_f32_f64_e32 v2, v[0:1]
	s_delay_alu instid0(VALU_DEP_1)
	v_cvt_f16_f32_e32 v2, v2
	global_store_b16 v[4:5], v2, off
.LBB393_1058:
	s_mov_b32 s4, 0
.LBB393_1059:
	s_delay_alu instid0(SALU_CYCLE_1)
	s_and_not1_b32 vcc_lo, exec_lo, s4
	s_cbranch_vccnz .LBB393_1075
; %bb.1060:
	v_cmp_gt_i16_e32 vcc_lo, 2, v8
	s_mov_b32 s4, -1
	s_cbranch_vccnz .LBB393_1070
; %bb.1061:
	v_cmp_gt_i16_e32 vcc_lo, 3, v8
	s_cbranch_vccnz .LBB393_1067
; %bb.1062:
	v_cmp_lt_i16_e32 vcc_lo, 3, v8
	s_cbranch_vccz .LBB393_1064
; %bb.1063:
	v_trunc_f64_e32 v[2:3], v[0:1]
	s_mov_b32 s4, 0
	s_waitcnt vmcnt(0)
	s_delay_alu instid0(VALU_DEP_1) | instskip(NEXT) | instid1(VALU_DEP_1)
	v_ldexp_f64 v[6:7], v[2:3], 0xffffffe0
	v_floor_f64_e32 v[6:7], v[6:7]
	s_delay_alu instid0(VALU_DEP_1) | instskip(SKIP_1) | instid1(VALU_DEP_2)
	v_fma_f64 v[2:3], 0xc1f00000, v[6:7], v[2:3]
	v_cvt_i32_f64_e32 v7, v[6:7]
	v_cvt_u32_f64_e32 v6, v[2:3]
	global_store_b64 v[4:5], v[6:7], off
.LBB393_1064:
	s_and_not1_b32 vcc_lo, exec_lo, s4
	s_cbranch_vccnz .LBB393_1066
; %bb.1065:
	v_cvt_i32_f64_e32 v2, v[0:1]
	global_store_b32 v[4:5], v2, off
.LBB393_1066:
	s_mov_b32 s4, 0
.LBB393_1067:
	s_delay_alu instid0(SALU_CYCLE_1)
	s_and_not1_b32 vcc_lo, exec_lo, s4
	s_cbranch_vccnz .LBB393_1069
; %bb.1068:
	v_cvt_i32_f64_e32 v2, v[0:1]
	global_store_b16 v[4:5], v2, off
.LBB393_1069:
	s_mov_b32 s4, 0
.LBB393_1070:
	s_delay_alu instid0(SALU_CYCLE_1)
	s_and_not1_b32 vcc_lo, exec_lo, s4
	s_cbranch_vccnz .LBB393_1075
; %bb.1071:
	v_cmp_lt_i16_e32 vcc_lo, 0, v8
	s_mov_b32 s4, -1
	s_cbranch_vccz .LBB393_1073
; %bb.1072:
	v_cvt_i32_f64_e32 v2, v[0:1]
	s_mov_b32 s4, 0
	global_store_b8 v[4:5], v2, off
.LBB393_1073:
	s_and_not1_b32 vcc_lo, exec_lo, s4
	s_cbranch_vccnz .LBB393_1075
; %bb.1074:
	v_trunc_f64_e32 v[0:1], v[0:1]
	s_delay_alu instid0(VALU_DEP_1) | instskip(NEXT) | instid1(VALU_DEP_1)
	v_ldexp_f64 v[2:3], v[0:1], 0xffffffe0
	v_floor_f64_e32 v[2:3], v[2:3]
	s_delay_alu instid0(VALU_DEP_1) | instskip(NEXT) | instid1(VALU_DEP_1)
	v_fma_f64 v[0:1], 0xc1f00000, v[2:3], v[0:1]
	v_cvt_u32_f64_e32 v0, v[0:1]
	global_store_b8 v[4:5], v0, off
.LBB393_1075:
	s_or_b32 exec_lo, exec_lo, s2
	s_delay_alu instid0(SALU_CYCLE_1)
	s_and_b32 s8, s3, exec_lo
                                        ; implicit-def: $vgpr3
                                        ; implicit-def: $vgpr9
.LBB393_1076:
	s_or_saveexec_b32 s9, s30
	s_mov_b32 s4, 0
                                        ; implicit-def: $vgpr4_vgpr5
                                        ; implicit-def: $sgpr3
                                        ; implicit-def: $vgpr0_vgpr1
	s_xor_b32 exec_lo, exec_lo, s9
	s_cbranch_execz .LBB393_2051
; %bb.1077:
	v_cndmask_b32_e64 v1, 0, 1, s29
	s_and_not1_b32 vcc_lo, exec_lo, s29
	s_cbranch_vccnz .LBB393_1083
; %bb.1078:
	v_mov_b32_e32 v0, 0
	v_mov_b32_e32 v2, 0
	s_cmp_lg_u32 s26, 0
	s_mov_b32 s6, 0
	s_cbranch_scc0 .LBB393_1087
; %bb.1079:
	s_min_u32 s7, s27, 15
	v_mov_b32_e32 v0, 0
	s_add_i32 s7, s7, 1
	s_cmp_eq_u32 s27, 2
	s_mov_b32 s10, 0
	s_cbranch_scc1 .LBB393_1084
; %bb.1080:
	v_mov_b32_e32 v2, 0
	v_mov_b32_e32 v0, 0
	;; [unrolled: 1-line block ×3, first 2 shown]
	s_add_u32 s2, s16, 0xc4
	s_addc_u32 s3, s17, 0
	s_and_b32 s10, s7, 28
	s_mov_b32 s11, 0
	s_mov_b64 s[4:5], s[16:17]
.LBB393_1081:                           ; =>This Inner Loop Header: Depth=1
	s_clause 0x1
	s_load_b256 s[36:43], s[4:5], 0x4
	s_load_b128 s[12:15], s[4:5], 0x24
	s_load_b256 s[44:51], s[2:3], 0x0
	s_add_u32 s4, s4, 48
	s_addc_u32 s5, s5, 0
	s_add_i32 s11, s11, 4
	s_add_u32 s2, s2, 32
	s_addc_u32 s3, s3, 0
	s_cmp_lg_u32 s10, s11
	s_waitcnt lgkmcnt(0)
	v_mul_hi_u32 v5, s37, v4
	s_delay_alu instid0(VALU_DEP_1) | instskip(NEXT) | instid1(VALU_DEP_1)
	v_add_nc_u32_e32 v5, v4, v5
	v_lshrrev_b32_e32 v5, s38, v5
	s_waitcnt vmcnt(0)
	s_delay_alu instid0(VALU_DEP_1) | instskip(SKIP_1) | instid1(VALU_DEP_2)
	v_mul_hi_u32 v6, s40, v5
	v_mul_lo_u32 v8, v5, s36
	v_add_nc_u32_e32 v6, v5, v6
	s_delay_alu instid0(VALU_DEP_2) | instskip(NEXT) | instid1(VALU_DEP_2)
	v_sub_nc_u32_e32 v4, v4, v8
	v_lshrrev_b32_e32 v6, s41, v6
	s_delay_alu instid0(VALU_DEP_2) | instskip(SKIP_1) | instid1(VALU_DEP_3)
	v_mul_lo_u32 v8, v4, s44
	v_mul_lo_u32 v11, v4, s45
	v_mul_hi_u32 v7, s43, v6
	s_delay_alu instid0(VALU_DEP_1) | instskip(NEXT) | instid1(VALU_DEP_1)
	v_add_nc_u32_e32 v7, v6, v7
	v_lshrrev_b32_e32 v7, s12, v7
	s_delay_alu instid0(VALU_DEP_1) | instskip(SKIP_1) | instid1(VALU_DEP_2)
	v_mul_hi_u32 v10, s14, v7
	v_mul_lo_u32 v12, v7, s42
	v_add_nc_u32_e32 v4, v7, v10
	v_mul_lo_u32 v10, v6, s39
	s_delay_alu instid0(VALU_DEP_3) | instskip(NEXT) | instid1(VALU_DEP_3)
	v_sub_nc_u32_e32 v6, v6, v12
	v_lshrrev_b32_e32 v4, s15, v4
	s_delay_alu instid0(VALU_DEP_2) | instskip(SKIP_2) | instid1(VALU_DEP_4)
	v_mul_lo_u32 v12, v6, s48
	v_mul_lo_u32 v6, v6, s49
	v_sub_nc_u32_e32 v5, v5, v10
	v_mul_lo_u32 v13, v4, s13
	s_delay_alu instid0(VALU_DEP_2) | instskip(SKIP_1) | instid1(VALU_DEP_3)
	v_mul_lo_u32 v10, v5, s46
	v_mul_lo_u32 v5, v5, s47
	v_sub_nc_u32_e32 v7, v7, v13
	s_delay_alu instid0(VALU_DEP_3) | instskip(NEXT) | instid1(VALU_DEP_2)
	v_add3_u32 v0, v8, v0, v10
	v_mul_lo_u32 v13, v7, s50
	v_mul_lo_u32 v7, v7, s51
	v_add3_u32 v2, v11, v2, v5
	s_delay_alu instid0(VALU_DEP_3) | instskip(NEXT) | instid1(VALU_DEP_2)
	v_add3_u32 v0, v12, v0, v13
	v_add3_u32 v2, v6, v2, v7
	s_cbranch_scc1 .LBB393_1081
; %bb.1082:
	s_and_b32 s7, s7, 3
	s_delay_alu instid0(SALU_CYCLE_1)
	s_cmp_eq_u32 s7, 0
	s_cbranch_scc0 .LBB393_1085
	s_branch .LBB393_1087
.LBB393_1083:
	s_mov_b32 s6, -1
                                        ; implicit-def: $vgpr0
                                        ; implicit-def: $vgpr2
	s_branch .LBB393_1087
.LBB393_1084:
	v_mov_b32_e32 v4, v9
	v_mov_b32_e32 v2, 0
	s_and_b32 s7, s7, 3
	s_delay_alu instid0(SALU_CYCLE_1)
	s_cmp_eq_u32 s7, 0
	s_cbranch_scc1 .LBB393_1087
.LBB393_1085:
	s_lshl_b32 s2, s10, 3
	s_mul_i32 s4, s10, 12
	s_add_u32 s2, s2, s16
	s_addc_u32 s3, 0, s17
	s_add_u32 s2, s2, 0xc4
	s_addc_u32 s3, s3, 0
	;; [unrolled: 2-line block ×3, first 2 shown]
	.p2align	6
.LBB393_1086:                           ; =>This Inner Loop Header: Depth=1
	s_clause 0x1
	s_load_b64 s[10:11], s[4:5], 0x4
	s_load_b32 s14, s[4:5], 0xc
	s_load_b64 s[12:13], s[2:3], 0x0
	s_add_u32 s4, s4, 12
	s_addc_u32 s5, s5, 0
	s_add_u32 s2, s2, 8
	s_addc_u32 s3, s3, 0
	s_add_i32 s7, s7, -1
	s_delay_alu instid0(SALU_CYCLE_1) | instskip(SKIP_2) | instid1(VALU_DEP_1)
	s_cmp_lg_u32 s7, 0
	s_waitcnt lgkmcnt(0)
	v_mul_hi_u32 v5, s11, v4
	v_add_nc_u32_e32 v5, v4, v5
	s_delay_alu instid0(VALU_DEP_1) | instskip(NEXT) | instid1(VALU_DEP_1)
	v_lshrrev_b32_e32 v8, s14, v5
	v_mul_lo_u32 v5, v8, s10
	s_delay_alu instid0(VALU_DEP_1) | instskip(SKIP_1) | instid1(VALU_DEP_1)
	v_sub_nc_u32_e32 v4, v4, v5
	s_waitcnt vmcnt(0)
	v_mad_u64_u32 v[5:6], null, v4, s12, v[0:1]
	v_mad_u64_u32 v[6:7], null, v4, s13, v[2:3]
	v_mov_b32_e32 v4, v8
	s_delay_alu instid0(VALU_DEP_3) | instskip(NEXT) | instid1(VALU_DEP_3)
	v_mov_b32_e32 v0, v5
	v_mov_b32_e32 v2, v6
	s_cbranch_scc1 .LBB393_1086
.LBB393_1087:
	s_and_not1_b32 vcc_lo, exec_lo, s6
	s_cbranch_vccnz .LBB393_1090
; %bb.1088:
	s_clause 0x1
	s_load_b128 s[4:7], s[16:17], 0x4
	s_load_b64 s[2:3], s[16:17], 0xc4
	s_cmp_lt_u32 s26, 2
	s_waitcnt lgkmcnt(0)
	v_mul_hi_u32 v0, s5, v9
	s_delay_alu instid0(VALU_DEP_1) | instskip(NEXT) | instid1(VALU_DEP_1)
	v_add_nc_u32_e32 v0, v9, v0
	v_lshrrev_b32_e32 v4, s6, v0
	s_delay_alu instid0(VALU_DEP_1) | instskip(NEXT) | instid1(VALU_DEP_1)
	v_mul_lo_u32 v0, v4, s4
	v_sub_nc_u32_e32 v2, v9, v0
	s_delay_alu instid0(VALU_DEP_1)
	v_mul_lo_u32 v0, v2, s2
	v_mul_lo_u32 v2, v2, s3
	s_cbranch_scc1 .LBB393_1090
; %bb.1089:
	s_clause 0x1
	s_load_b128 s[4:7], s[16:17], 0x10
	s_load_b64 s[2:3], s[16:17], 0xcc
	s_waitcnt lgkmcnt(0)
	v_mul_hi_u32 v5, s5, v4
	s_delay_alu instid0(VALU_DEP_1) | instskip(NEXT) | instid1(VALU_DEP_1)
	v_add_nc_u32_e32 v5, v4, v5
	v_lshrrev_b32_e32 v5, s6, v5
	s_delay_alu instid0(VALU_DEP_1) | instskip(SKIP_1) | instid1(VALU_DEP_1)
	v_mul_lo_u32 v5, v5, s4
	s_waitcnt vmcnt(0)
	v_sub_nc_u32_e32 v7, v4, v5
	s_delay_alu instid0(VALU_DEP_1) | instskip(SKIP_1) | instid1(VALU_DEP_2)
	v_mad_u64_u32 v[4:5], null, v7, s2, v[0:1]
	v_mad_u64_u32 v[5:6], null, v7, s3, v[2:3]
	v_mov_b32_e32 v0, v4
	s_delay_alu instid0(VALU_DEP_2)
	v_mov_b32_e32 v2, v5
.LBB393_1090:
	v_cmp_ne_u32_e32 vcc_lo, 1, v1
	v_add_nc_u32_e32 v4, 0x80, v9
	s_cbranch_vccnz .LBB393_1096
; %bb.1091:
	s_waitcnt vmcnt(0)
	v_dual_mov_b32 v6, 0 :: v_dual_mov_b32 v7, 0
	s_cmp_lg_u32 s26, 0
	s_mov_b32 s6, 0
	s_cbranch_scc0 .LBB393_1100
; %bb.1092:
	s_min_u32 s7, s27, 15
	v_mov_b32_e32 v6, 0
	s_add_i32 s7, s7, 1
	s_cmp_eq_u32 s27, 2
	s_mov_b32 s10, 0
	s_cbranch_scc1 .LBB393_1097
; %bb.1093:
	v_dual_mov_b32 v7, 0 :: v_dual_mov_b32 v6, 0
	v_mov_b32_e32 v5, v4
	s_add_u32 s2, s16, 0xc4
	s_addc_u32 s3, s17, 0
	s_and_b32 s10, s7, 28
	s_mov_b32 s11, 0
	s_mov_b64 s[4:5], s[16:17]
.LBB393_1094:                           ; =>This Inner Loop Header: Depth=1
	s_clause 0x1
	s_load_b256 s[36:43], s[4:5], 0x4
	s_load_b128 s[12:15], s[4:5], 0x24
	s_load_b256 s[44:51], s[2:3], 0x0
	s_add_u32 s4, s4, 48
	s_addc_u32 s5, s5, 0
	s_add_i32 s11, s11, 4
	s_add_u32 s2, s2, 32
	s_addc_u32 s3, s3, 0
	s_cmp_lg_u32 s10, s11
	s_waitcnt lgkmcnt(0)
	v_mul_hi_u32 v8, s37, v5
	s_delay_alu instid0(VALU_DEP_1) | instskip(NEXT) | instid1(VALU_DEP_1)
	v_add_nc_u32_e32 v8, v5, v8
	v_lshrrev_b32_e32 v8, s38, v8
	s_delay_alu instid0(VALU_DEP_1) | instskip(SKIP_1) | instid1(VALU_DEP_2)
	v_mul_hi_u32 v10, s40, v8
	v_mul_lo_u32 v12, v8, s36
	v_add_nc_u32_e32 v10, v8, v10
	s_delay_alu instid0(VALU_DEP_2) | instskip(NEXT) | instid1(VALU_DEP_2)
	v_sub_nc_u32_e32 v5, v5, v12
	v_lshrrev_b32_e32 v10, s41, v10
	s_delay_alu instid0(VALU_DEP_2) | instskip(SKIP_1) | instid1(VALU_DEP_3)
	v_mul_lo_u32 v12, v5, s44
	v_mul_lo_u32 v14, v5, s45
	v_mul_hi_u32 v11, s43, v10
	s_delay_alu instid0(VALU_DEP_1) | instskip(NEXT) | instid1(VALU_DEP_1)
	v_add_nc_u32_e32 v11, v10, v11
	v_lshrrev_b32_e32 v11, s12, v11
	s_delay_alu instid0(VALU_DEP_1) | instskip(SKIP_1) | instid1(VALU_DEP_2)
	v_mul_hi_u32 v13, s14, v11
	v_mul_lo_u32 v15, v11, s42
	v_add_nc_u32_e32 v5, v11, v13
	v_mul_lo_u32 v13, v10, s39
	s_delay_alu instid0(VALU_DEP_3) | instskip(NEXT) | instid1(VALU_DEP_3)
	v_sub_nc_u32_e32 v10, v10, v15
	v_lshrrev_b32_e32 v5, s15, v5
	s_delay_alu instid0(VALU_DEP_2) | instskip(SKIP_2) | instid1(VALU_DEP_4)
	v_mul_lo_u32 v15, v10, s48
	v_mul_lo_u32 v10, v10, s49
	v_sub_nc_u32_e32 v8, v8, v13
	v_mul_lo_u32 v16, v5, s13
	s_delay_alu instid0(VALU_DEP_2) | instskip(SKIP_1) | instid1(VALU_DEP_3)
	v_mul_lo_u32 v13, v8, s46
	v_mul_lo_u32 v8, v8, s47
	v_sub_nc_u32_e32 v11, v11, v16
	s_delay_alu instid0(VALU_DEP_3) | instskip(NEXT) | instid1(VALU_DEP_2)
	v_add3_u32 v6, v12, v6, v13
	v_mul_lo_u32 v16, v11, s50
	v_mul_lo_u32 v11, v11, s51
	v_add3_u32 v7, v14, v7, v8
	s_delay_alu instid0(VALU_DEP_3) | instskip(NEXT) | instid1(VALU_DEP_2)
	v_add3_u32 v6, v15, v6, v16
	v_add3_u32 v7, v10, v7, v11
	s_cbranch_scc1 .LBB393_1094
; %bb.1095:
	s_and_b32 s7, s7, 3
	s_delay_alu instid0(SALU_CYCLE_1)
	s_cmp_eq_u32 s7, 0
	s_cbranch_scc0 .LBB393_1098
	s_branch .LBB393_1100
.LBB393_1096:
	s_mov_b32 s6, -1
                                        ; implicit-def: $vgpr6
                                        ; implicit-def: $vgpr7
	s_branch .LBB393_1100
.LBB393_1097:
	v_mov_b32_e32 v5, v4
	v_mov_b32_e32 v7, 0
	s_and_b32 s7, s7, 3
	s_delay_alu instid0(SALU_CYCLE_1)
	s_cmp_eq_u32 s7, 0
	s_cbranch_scc1 .LBB393_1100
.LBB393_1098:
	s_lshl_b32 s2, s10, 3
	s_mul_i32 s4, s10, 12
	s_add_u32 s2, s2, s16
	s_addc_u32 s3, 0, s17
	s_add_u32 s2, s2, 0xc4
	s_addc_u32 s3, s3, 0
	;; [unrolled: 2-line block ×3, first 2 shown]
	.p2align	6
.LBB393_1099:                           ; =>This Inner Loop Header: Depth=1
	s_clause 0x1
	s_load_b64 s[10:11], s[4:5], 0x4
	s_load_b32 s14, s[4:5], 0xc
	s_load_b64 s[12:13], s[2:3], 0x0
	s_add_u32 s4, s4, 12
	s_addc_u32 s5, s5, 0
	s_add_u32 s2, s2, 8
	s_addc_u32 s3, s3, 0
	s_add_i32 s7, s7, -1
	s_delay_alu instid0(SALU_CYCLE_1) | instskip(SKIP_2) | instid1(VALU_DEP_1)
	s_cmp_lg_u32 s7, 0
	s_waitcnt lgkmcnt(0)
	v_mul_hi_u32 v8, s11, v5
	v_add_nc_u32_e32 v8, v5, v8
	s_delay_alu instid0(VALU_DEP_1) | instskip(NEXT) | instid1(VALU_DEP_1)
	v_lshrrev_b32_e32 v8, s14, v8
	v_mul_lo_u32 v10, v8, s10
	s_delay_alu instid0(VALU_DEP_1) | instskip(NEXT) | instid1(VALU_DEP_1)
	v_sub_nc_u32_e32 v5, v5, v10
	v_mad_u64_u32 v[10:11], null, v5, s12, v[6:7]
	v_mad_u64_u32 v[11:12], null, v5, s13, v[7:8]
	s_delay_alu instid0(VALU_DEP_2) | instskip(NEXT) | instid1(VALU_DEP_2)
	v_dual_mov_b32 v5, v8 :: v_dual_mov_b32 v6, v10
	v_mov_b32_e32 v7, v11
	s_cbranch_scc1 .LBB393_1099
.LBB393_1100:
	s_and_not1_b32 vcc_lo, exec_lo, s6
	s_cbranch_vccnz .LBB393_1103
; %bb.1101:
	s_clause 0x1
	s_load_b128 s[4:7], s[16:17], 0x4
	s_load_b64 s[2:3], s[16:17], 0xc4
	s_cmp_lt_u32 s26, 2
	s_waitcnt lgkmcnt(0)
	v_mul_hi_u32 v5, s5, v4
	s_delay_alu instid0(VALU_DEP_1) | instskip(NEXT) | instid1(VALU_DEP_1)
	v_add_nc_u32_e32 v5, v4, v5
	v_lshrrev_b32_e32 v5, s6, v5
	s_waitcnt vmcnt(0)
	s_delay_alu instid0(VALU_DEP_1) | instskip(NEXT) | instid1(VALU_DEP_1)
	v_mul_lo_u32 v6, v5, s4
	v_sub_nc_u32_e32 v4, v4, v6
	s_delay_alu instid0(VALU_DEP_1)
	v_mul_lo_u32 v6, v4, s2
	v_mul_lo_u32 v7, v4, s3
	s_cbranch_scc1 .LBB393_1103
; %bb.1102:
	s_clause 0x1
	s_load_b128 s[4:7], s[16:17], 0x10
	s_load_b64 s[2:3], s[16:17], 0xcc
	s_waitcnt lgkmcnt(0)
	v_mul_hi_u32 v4, s5, v5
	s_delay_alu instid0(VALU_DEP_1) | instskip(NEXT) | instid1(VALU_DEP_1)
	v_add_nc_u32_e32 v4, v5, v4
	v_lshrrev_b32_e32 v4, s6, v4
	s_delay_alu instid0(VALU_DEP_1) | instskip(NEXT) | instid1(VALU_DEP_1)
	v_mul_lo_u32 v4, v4, s4
	v_sub_nc_u32_e32 v8, v5, v4
	s_delay_alu instid0(VALU_DEP_1) | instskip(SKIP_1) | instid1(VALU_DEP_1)
	v_mad_u64_u32 v[4:5], null, v8, s2, v[6:7]
	v_mad_u64_u32 v[5:6], null, v8, s3, v[7:8]
	v_dual_mov_b32 v6, v4 :: v_dual_mov_b32 v7, v5
.LBB393_1103:
	v_cmp_ne_u32_e32 vcc_lo, 1, v1
	v_add_nc_u32_e32 v4, 0x100, v9
	s_cbranch_vccnz .LBB393_1109
; %bb.1104:
	v_mov_b32_e32 v5, 0
	v_mov_b32_e32 v9, 0
	s_cmp_lg_u32 s26, 0
	s_mov_b32 s6, 0
	s_cbranch_scc0 .LBB393_1113
; %bb.1105:
	s_min_u32 s7, s27, 15
	v_mov_b32_e32 v5, 0
	s_add_i32 s7, s7, 1
	s_cmp_eq_u32 s27, 2
	s_mov_b32 s10, 0
	s_cbranch_scc1 .LBB393_1110
; %bb.1106:
	v_dual_mov_b32 v9, 0 :: v_dual_mov_b32 v8, v4
	v_mov_b32_e32 v5, 0
	s_add_u32 s2, s16, 0xc4
	s_addc_u32 s3, s17, 0
	s_and_b32 s10, s7, 28
	s_mov_b32 s11, 0
	s_mov_b64 s[4:5], s[16:17]
.LBB393_1107:                           ; =>This Inner Loop Header: Depth=1
	s_clause 0x1
	s_load_b256 s[36:43], s[4:5], 0x4
	s_load_b128 s[12:15], s[4:5], 0x24
	s_load_b256 s[44:51], s[2:3], 0x0
	s_add_u32 s4, s4, 48
	s_addc_u32 s5, s5, 0
	s_add_i32 s11, s11, 4
	s_add_u32 s2, s2, 32
	s_addc_u32 s3, s3, 0
	s_cmp_lg_u32 s10, s11
	s_waitcnt lgkmcnt(0)
	v_mul_hi_u32 v10, s37, v8
	s_delay_alu instid0(VALU_DEP_1) | instskip(NEXT) | instid1(VALU_DEP_1)
	v_add_nc_u32_e32 v10, v8, v10
	v_lshrrev_b32_e32 v10, s38, v10
	s_delay_alu instid0(VALU_DEP_1) | instskip(SKIP_1) | instid1(VALU_DEP_2)
	v_mul_hi_u32 v11, s40, v10
	v_mul_lo_u32 v13, v10, s36
	v_add_nc_u32_e32 v11, v10, v11
	s_delay_alu instid0(VALU_DEP_2) | instskip(NEXT) | instid1(VALU_DEP_2)
	v_sub_nc_u32_e32 v8, v8, v13
	v_lshrrev_b32_e32 v11, s41, v11
	s_delay_alu instid0(VALU_DEP_2) | instskip(SKIP_1) | instid1(VALU_DEP_3)
	v_mul_lo_u32 v13, v8, s44
	v_mul_lo_u32 v15, v8, s45
	v_mul_hi_u32 v12, s43, v11
	s_delay_alu instid0(VALU_DEP_1) | instskip(NEXT) | instid1(VALU_DEP_1)
	v_add_nc_u32_e32 v12, v11, v12
	v_lshrrev_b32_e32 v12, s12, v12
	s_delay_alu instid0(VALU_DEP_1) | instskip(SKIP_1) | instid1(VALU_DEP_2)
	v_mul_hi_u32 v14, s14, v12
	v_mul_lo_u32 v16, v12, s42
	v_add_nc_u32_e32 v8, v12, v14
	v_mul_lo_u32 v14, v11, s39
	s_delay_alu instid0(VALU_DEP_3) | instskip(NEXT) | instid1(VALU_DEP_3)
	v_sub_nc_u32_e32 v11, v11, v16
	v_lshrrev_b32_e32 v8, s15, v8
	s_delay_alu instid0(VALU_DEP_2) | instskip(SKIP_2) | instid1(VALU_DEP_4)
	v_mul_lo_u32 v16, v11, s48
	v_mul_lo_u32 v11, v11, s49
	v_sub_nc_u32_e32 v10, v10, v14
	v_mul_lo_u32 v17, v8, s13
	s_delay_alu instid0(VALU_DEP_2) | instskip(SKIP_1) | instid1(VALU_DEP_3)
	v_mul_lo_u32 v14, v10, s46
	v_mul_lo_u32 v10, v10, s47
	v_sub_nc_u32_e32 v12, v12, v17
	s_delay_alu instid0(VALU_DEP_3) | instskip(NEXT) | instid1(VALU_DEP_2)
	v_add3_u32 v5, v13, v5, v14
	v_mul_lo_u32 v17, v12, s50
	v_mul_lo_u32 v12, v12, s51
	v_add3_u32 v9, v15, v9, v10
	s_delay_alu instid0(VALU_DEP_3) | instskip(NEXT) | instid1(VALU_DEP_2)
	v_add3_u32 v5, v16, v5, v17
	v_add3_u32 v9, v11, v9, v12
	s_cbranch_scc1 .LBB393_1107
; %bb.1108:
	s_and_b32 s7, s7, 3
	s_delay_alu instid0(SALU_CYCLE_1)
	s_cmp_eq_u32 s7, 0
	s_cbranch_scc0 .LBB393_1111
	s_branch .LBB393_1113
.LBB393_1109:
	s_mov_b32 s6, -1
                                        ; implicit-def: $vgpr5
                                        ; implicit-def: $vgpr9
	s_branch .LBB393_1113
.LBB393_1110:
	v_dual_mov_b32 v8, v4 :: v_dual_mov_b32 v9, 0
	s_and_b32 s7, s7, 3
	s_delay_alu instid0(SALU_CYCLE_1)
	s_cmp_eq_u32 s7, 0
	s_cbranch_scc1 .LBB393_1113
.LBB393_1111:
	s_lshl_b32 s2, s10, 3
	s_mul_i32 s4, s10, 12
	s_add_u32 s2, s2, s16
	s_addc_u32 s3, 0, s17
	s_add_u32 s2, s2, 0xc4
	s_addc_u32 s3, s3, 0
	;; [unrolled: 2-line block ×3, first 2 shown]
	.p2align	6
.LBB393_1112:                           ; =>This Inner Loop Header: Depth=1
	s_clause 0x1
	s_load_b64 s[10:11], s[4:5], 0x4
	s_load_b32 s14, s[4:5], 0xc
	s_load_b64 s[12:13], s[2:3], 0x0
	s_add_u32 s4, s4, 12
	s_addc_u32 s5, s5, 0
	s_add_u32 s2, s2, 8
	s_addc_u32 s3, s3, 0
	s_add_i32 s7, s7, -1
	s_delay_alu instid0(SALU_CYCLE_1) | instskip(SKIP_2) | instid1(VALU_DEP_1)
	s_cmp_lg_u32 s7, 0
	s_waitcnt lgkmcnt(0)
	v_mul_hi_u32 v10, s11, v8
	v_add_nc_u32_e32 v10, v8, v10
	s_delay_alu instid0(VALU_DEP_1) | instskip(NEXT) | instid1(VALU_DEP_1)
	v_lshrrev_b32_e32 v13, s14, v10
	v_mul_lo_u32 v10, v13, s10
	s_delay_alu instid0(VALU_DEP_1) | instskip(SKIP_1) | instid1(VALU_DEP_1)
	v_sub_nc_u32_e32 v8, v8, v10
	s_waitcnt vmcnt(0)
	v_mad_u64_u32 v[10:11], null, v8, s12, v[5:6]
	s_delay_alu instid0(VALU_DEP_1) | instskip(SKIP_1) | instid1(VALU_DEP_2)
	v_mad_u64_u32 v[11:12], null, v8, s13, v[9:10]
	v_dual_mov_b32 v8, v13 :: v_dual_mov_b32 v5, v10
	v_mov_b32_e32 v9, v11
	s_cbranch_scc1 .LBB393_1112
.LBB393_1113:
	s_and_not1_b32 vcc_lo, exec_lo, s6
	s_cbranch_vccnz .LBB393_1116
; %bb.1114:
	s_clause 0x1
	s_load_b128 s[4:7], s[16:17], 0x4
	s_load_b64 s[2:3], s[16:17], 0xc4
	s_cmp_lt_u32 s26, 2
	s_waitcnt lgkmcnt(0)
	v_mul_hi_u32 v5, s5, v4
	s_delay_alu instid0(VALU_DEP_1) | instskip(NEXT) | instid1(VALU_DEP_1)
	v_add_nc_u32_e32 v5, v4, v5
	v_lshrrev_b32_e32 v8, s6, v5
	s_delay_alu instid0(VALU_DEP_1) | instskip(NEXT) | instid1(VALU_DEP_1)
	v_mul_lo_u32 v5, v8, s4
	v_sub_nc_u32_e32 v4, v4, v5
	s_delay_alu instid0(VALU_DEP_1)
	v_mul_lo_u32 v5, v4, s2
	v_mul_lo_u32 v9, v4, s3
	s_cbranch_scc1 .LBB393_1116
; %bb.1115:
	s_clause 0x1
	s_load_b128 s[4:7], s[16:17], 0x10
	s_load_b64 s[2:3], s[16:17], 0xcc
	s_waitcnt lgkmcnt(0)
	v_mul_hi_u32 v4, s5, v8
	s_delay_alu instid0(VALU_DEP_1) | instskip(NEXT) | instid1(VALU_DEP_1)
	v_add_nc_u32_e32 v4, v8, v4
	v_lshrrev_b32_e32 v4, s6, v4
	s_delay_alu instid0(VALU_DEP_1) | instskip(NEXT) | instid1(VALU_DEP_1)
	v_mul_lo_u32 v4, v4, s4
	v_sub_nc_u32_e32 v8, v8, v4
	s_waitcnt vmcnt(0)
	s_delay_alu instid0(VALU_DEP_1) | instskip(NEXT) | instid1(VALU_DEP_1)
	v_mad_u64_u32 v[10:11], null, v8, s2, v[5:6]
	v_mad_u64_u32 v[4:5], null, v8, s3, v[9:10]
	v_mov_b32_e32 v5, v10
	s_delay_alu instid0(VALU_DEP_2)
	v_mov_b32_e32 v9, v4
.LBB393_1116:
	v_cmp_ne_u32_e32 vcc_lo, 1, v1
	s_cbranch_vccnz .LBB393_1122
; %bb.1117:
	v_dual_mov_b32 v4, 0 :: v_dual_mov_b32 v1, 0
	s_cmp_lg_u32 s26, 0
	s_mov_b32 s6, 0
	s_cbranch_scc0 .LBB393_1126
; %bb.1118:
	s_min_u32 s7, s27, 15
	v_mov_b32_e32 v4, 0
	s_add_i32 s7, s7, 1
	s_cmp_eq_u32 s27, 2
	s_mov_b32 s10, 0
	s_cbranch_scc1 .LBB393_1123
; %bb.1119:
	v_dual_mov_b32 v1, 0 :: v_dual_mov_b32 v4, 0
	v_mov_b32_e32 v8, v3
	s_add_u32 s2, s16, 0xc4
	s_addc_u32 s3, s17, 0
	s_and_b32 s10, s7, 28
	s_mov_b32 s11, 0
	s_mov_b64 s[4:5], s[16:17]
.LBB393_1120:                           ; =>This Inner Loop Header: Depth=1
	s_clause 0x1
	s_load_b256 s[36:43], s[4:5], 0x4
	s_load_b128 s[12:15], s[4:5], 0x24
	s_load_b256 s[44:51], s[2:3], 0x0
	s_add_u32 s4, s4, 48
	s_addc_u32 s5, s5, 0
	s_add_i32 s11, s11, 4
	s_add_u32 s2, s2, 32
	s_addc_u32 s3, s3, 0
	s_cmp_lg_u32 s10, s11
	s_waitcnt lgkmcnt(0)
	v_mul_hi_u32 v10, s37, v8
	s_delay_alu instid0(VALU_DEP_1) | instskip(NEXT) | instid1(VALU_DEP_1)
	v_add_nc_u32_e32 v10, v8, v10
	v_lshrrev_b32_e32 v10, s38, v10
	s_delay_alu instid0(VALU_DEP_1) | instskip(SKIP_1) | instid1(VALU_DEP_2)
	v_mul_hi_u32 v11, s40, v10
	v_mul_lo_u32 v13, v10, s36
	v_add_nc_u32_e32 v11, v10, v11
	s_delay_alu instid0(VALU_DEP_2) | instskip(NEXT) | instid1(VALU_DEP_2)
	v_sub_nc_u32_e32 v8, v8, v13
	v_lshrrev_b32_e32 v11, s41, v11
	s_delay_alu instid0(VALU_DEP_2) | instskip(SKIP_1) | instid1(VALU_DEP_3)
	v_mul_lo_u32 v13, v8, s44
	v_mul_lo_u32 v15, v8, s45
	v_mul_hi_u32 v12, s43, v11
	s_delay_alu instid0(VALU_DEP_1) | instskip(NEXT) | instid1(VALU_DEP_1)
	v_add_nc_u32_e32 v12, v11, v12
	v_lshrrev_b32_e32 v12, s12, v12
	s_delay_alu instid0(VALU_DEP_1) | instskip(SKIP_1) | instid1(VALU_DEP_2)
	v_mul_hi_u32 v14, s14, v12
	v_mul_lo_u32 v16, v12, s42
	v_add_nc_u32_e32 v8, v12, v14
	v_mul_lo_u32 v14, v11, s39
	s_delay_alu instid0(VALU_DEP_3) | instskip(NEXT) | instid1(VALU_DEP_3)
	v_sub_nc_u32_e32 v11, v11, v16
	v_lshrrev_b32_e32 v8, s15, v8
	s_delay_alu instid0(VALU_DEP_2) | instskip(SKIP_2) | instid1(VALU_DEP_4)
	v_mul_lo_u32 v16, v11, s48
	v_mul_lo_u32 v11, v11, s49
	v_sub_nc_u32_e32 v10, v10, v14
	v_mul_lo_u32 v17, v8, s13
	s_delay_alu instid0(VALU_DEP_2) | instskip(SKIP_1) | instid1(VALU_DEP_3)
	v_mul_lo_u32 v14, v10, s46
	v_mul_lo_u32 v10, v10, s47
	v_sub_nc_u32_e32 v12, v12, v17
	s_delay_alu instid0(VALU_DEP_3) | instskip(NEXT) | instid1(VALU_DEP_2)
	v_add3_u32 v4, v13, v4, v14
	v_mul_lo_u32 v17, v12, s50
	v_mul_lo_u32 v12, v12, s51
	v_add3_u32 v1, v15, v1, v10
	s_delay_alu instid0(VALU_DEP_3) | instskip(NEXT) | instid1(VALU_DEP_2)
	v_add3_u32 v4, v16, v4, v17
	v_add3_u32 v1, v11, v1, v12
	s_cbranch_scc1 .LBB393_1120
; %bb.1121:
	s_and_b32 s7, s7, 3
	s_delay_alu instid0(SALU_CYCLE_1)
	s_cmp_eq_u32 s7, 0
	s_cbranch_scc0 .LBB393_1124
	s_branch .LBB393_1126
.LBB393_1122:
	s_mov_b32 s6, -1
                                        ; implicit-def: $vgpr4
                                        ; implicit-def: $vgpr1
	s_branch .LBB393_1126
.LBB393_1123:
	v_dual_mov_b32 v8, v3 :: v_dual_mov_b32 v1, 0
	s_and_b32 s7, s7, 3
	s_delay_alu instid0(SALU_CYCLE_1)
	s_cmp_eq_u32 s7, 0
	s_cbranch_scc1 .LBB393_1126
.LBB393_1124:
	s_lshl_b32 s2, s10, 3
	s_mul_i32 s4, s10, 12
	s_add_u32 s2, s2, s16
	s_addc_u32 s3, 0, s17
	s_add_u32 s2, s2, 0xc4
	s_addc_u32 s3, s3, 0
	;; [unrolled: 2-line block ×3, first 2 shown]
	.p2align	6
.LBB393_1125:                           ; =>This Inner Loop Header: Depth=1
	s_clause 0x1
	s_load_b64 s[10:11], s[4:5], 0x4
	s_load_b32 s14, s[4:5], 0xc
	s_load_b64 s[12:13], s[2:3], 0x0
	s_add_u32 s4, s4, 12
	s_addc_u32 s5, s5, 0
	s_add_u32 s2, s2, 8
	s_addc_u32 s3, s3, 0
	s_add_i32 s7, s7, -1
	s_delay_alu instid0(SALU_CYCLE_1) | instskip(SKIP_2) | instid1(VALU_DEP_1)
	s_cmp_lg_u32 s7, 0
	s_waitcnt lgkmcnt(0)
	v_mul_hi_u32 v10, s11, v8
	v_add_nc_u32_e32 v10, v8, v10
	s_delay_alu instid0(VALU_DEP_1) | instskip(NEXT) | instid1(VALU_DEP_1)
	v_lshrrev_b32_e32 v13, s14, v10
	v_mul_lo_u32 v10, v13, s10
	s_delay_alu instid0(VALU_DEP_1) | instskip(NEXT) | instid1(VALU_DEP_1)
	v_sub_nc_u32_e32 v8, v8, v10
	v_mad_u64_u32 v[10:11], null, v8, s12, v[4:5]
	v_mad_u64_u32 v[11:12], null, v8, s13, v[1:2]
	v_mov_b32_e32 v8, v13
	s_delay_alu instid0(VALU_DEP_2)
	v_dual_mov_b32 v4, v10 :: v_dual_mov_b32 v1, v11
	s_cbranch_scc1 .LBB393_1125
.LBB393_1126:
	s_and_not1_b32 vcc_lo, exec_lo, s6
	s_cbranch_vccnz .LBB393_1129
; %bb.1127:
	s_clause 0x1
	s_load_b128 s[4:7], s[16:17], 0x4
	s_load_b64 s[2:3], s[16:17], 0xc4
	s_cmp_lt_u32 s26, 2
	s_waitcnt lgkmcnt(0)
	v_mul_hi_u32 v1, s5, v3
	s_delay_alu instid0(VALU_DEP_1) | instskip(NEXT) | instid1(VALU_DEP_1)
	v_add_nc_u32_e32 v1, v3, v1
	v_lshrrev_b32_e32 v8, s6, v1
	s_delay_alu instid0(VALU_DEP_1) | instskip(NEXT) | instid1(VALU_DEP_1)
	v_mul_lo_u32 v1, v8, s4
	v_sub_nc_u32_e32 v1, v3, v1
	s_delay_alu instid0(VALU_DEP_1)
	v_mul_lo_u32 v4, v1, s2
	v_mul_lo_u32 v1, v1, s3
	s_cbranch_scc1 .LBB393_1129
; %bb.1128:
	s_clause 0x1
	s_load_b128 s[4:7], s[16:17], 0x10
	s_load_b64 s[2:3], s[16:17], 0xcc
	s_waitcnt lgkmcnt(0)
	v_mul_hi_u32 v3, s5, v8
	s_delay_alu instid0(VALU_DEP_1) | instskip(NEXT) | instid1(VALU_DEP_1)
	v_add_nc_u32_e32 v3, v8, v3
	v_lshrrev_b32_e32 v3, s6, v3
	s_delay_alu instid0(VALU_DEP_1) | instskip(NEXT) | instid1(VALU_DEP_1)
	v_mul_lo_u32 v3, v3, s4
	v_sub_nc_u32_e32 v8, v8, v3
	s_delay_alu instid0(VALU_DEP_1) | instskip(SKIP_1) | instid1(VALU_DEP_1)
	v_mad_u64_u32 v[10:11], null, v8, s2, v[4:5]
	v_mad_u64_u32 v[3:4], null, v8, s3, v[1:2]
	v_dual_mov_b32 v4, v10 :: v_dual_mov_b32 v1, v3
.LBB393_1129:
	s_clause 0x1
	s_load_b32 s0, s[0:1], 0x168
	s_load_b128 s[4:7], s[16:17], 0x148
	s_waitcnt lgkmcnt(0)
	s_lshr_b32 s0, s0, 8
	s_delay_alu instid0(SALU_CYCLE_1) | instskip(SKIP_1) | instid1(VALU_DEP_1)
	v_and_b32_e64 v15, 0xff, s0
	v_add_co_u32 v10, s0, s6, v2
	v_add_co_ci_u32_e64 v11, null, s7, 0, s0
	s_delay_alu instid0(VALU_DEP_3)
	v_cmp_gt_i16_e32 vcc_lo, 11, v15
	s_mov_b32 s0, 0
	s_cbranch_vccnz .LBB393_1136
; %bb.1130:
	v_cmp_lt_i16_e32 vcc_lo, 25, v15
	s_mov_b32 s3, 0
	s_cbranch_vccz .LBB393_1142
; %bb.1131:
	v_cmp_lt_i16_e32 vcc_lo, 28, v15
	s_cbranch_vccz .LBB393_1144
; %bb.1132:
	v_cmp_lt_i16_e32 vcc_lo, 43, v15
	;; [unrolled: 3-line block ×3, first 2 shown]
	s_cbranch_vccz .LBB393_1150
; %bb.1134:
	v_cmp_eq_u16_e32 vcc_lo, 46, v15
	s_mov_b32 s1, 0
	s_cbranch_vccz .LBB393_1192
; %bb.1135:
	global_load_b32 v2, v[10:11], off
	s_mov_b32 s2, 0
	s_mov_b32 s0, -1
	s_waitcnt vmcnt(0)
	v_lshlrev_b32_e32 v2, 16, v2
	s_delay_alu instid0(VALU_DEP_1)
	v_cvt_f64_f32_e32 v[2:3], v2
	s_branch .LBB393_1194
.LBB393_1136:
	s_mov_b32 s2, s8
                                        ; implicit-def: $vgpr2_vgpr3
	s_cbranch_execz .LBB393_1257
; %bb.1137:
	v_cmp_gt_i16_e32 vcc_lo, 5, v15
	s_cbranch_vccnz .LBB393_1143
; %bb.1138:
	v_cmp_gt_i16_e32 vcc_lo, 8, v15
	s_cbranch_vccnz .LBB393_1145
	;; [unrolled: 3-line block ×3, first 2 shown]
; %bb.1140:
	v_cmp_lt_i16_e32 vcc_lo, 9, v15
	s_cbranch_vccz .LBB393_1151
; %bb.1141:
	global_load_b64 v[2:3], v[10:11], off
	s_mov_b32 s0, 0
	s_branch .LBB393_1152
.LBB393_1142:
	s_mov_b32 s2, 0
                                        ; implicit-def: $vgpr2_vgpr3
	s_cbranch_execnz .LBB393_1224
	s_branch .LBB393_1253
.LBB393_1143:
                                        ; implicit-def: $vgpr2_vgpr3
	s_branch .LBB393_1169
.LBB393_1144:
	s_mov_b32 s1, -1
	s_mov_b32 s2, 0
                                        ; implicit-def: $vgpr2_vgpr3
	s_branch .LBB393_1203
.LBB393_1145:
                                        ; implicit-def: $vgpr2_vgpr3
	s_branch .LBB393_1158
.LBB393_1146:
	s_mov_b32 s2, 0
                                        ; implicit-def: $vgpr2_vgpr3
	s_cbranch_execnz .LBB393_1199
	s_branch .LBB393_1202
.LBB393_1147:
	s_mov_b32 s0, -1
                                        ; implicit-def: $vgpr2_vgpr3
	s_branch .LBB393_1155
.LBB393_1148:
	s_cbranch_execnz .LBB393_1190
; %bb.1149:
	s_or_b32 s3, s3, exec_lo
	s_and_not1_b32 s8, s8, exec_lo
	s_or_b32 exec_lo, exec_lo, s2
	s_and_saveexec_b32 s2, s8
	s_delay_alu instid0(SALU_CYCLE_1)
	s_xor_b32 s2, exec_lo, s2
	s_cbranch_execnz .LBB393_1036
	s_branch .LBB393_1037
.LBB393_1150:
	s_mov_b32 s1, -1
	s_mov_b32 s2, 0
	s_branch .LBB393_1193
.LBB393_1151:
	s_mov_b32 s0, -1
                                        ; implicit-def: $vgpr2_vgpr3
.LBB393_1152:
	s_delay_alu instid0(SALU_CYCLE_1)
	s_and_not1_b32 vcc_lo, exec_lo, s0
	s_cbranch_vccnz .LBB393_1154
; %bb.1153:
	global_load_b32 v2, v[10:11], off
	s_waitcnt vmcnt(0)
	v_cvt_f64_f32_e32 v[2:3], v2
.LBB393_1154:
	s_mov_b32 s0, 0
.LBB393_1155:
	s_delay_alu instid0(SALU_CYCLE_1)
	s_and_not1_b32 vcc_lo, exec_lo, s0
	s_cbranch_vccnz .LBB393_1157
; %bb.1156:
	global_load_b32 v2, v[10:11], off
	s_waitcnt vmcnt(0)
	v_cvt_f32_f16_e32 v2, v2
	s_delay_alu instid0(VALU_DEP_1)
	v_cvt_f64_f32_e32 v[2:3], v2
.LBB393_1157:
	s_cbranch_execnz .LBB393_1168
.LBB393_1158:
	v_cmp_gt_i16_e32 vcc_lo, 6, v15
	s_cbranch_vccnz .LBB393_1161
; %bb.1159:
	v_cmp_lt_i16_e32 vcc_lo, 6, v15
	s_cbranch_vccz .LBB393_1162
; %bb.1160:
	global_load_b64 v[2:3], v[10:11], off
	s_mov_b32 s0, 0
	s_branch .LBB393_1163
.LBB393_1161:
	s_mov_b32 s0, -1
                                        ; implicit-def: $vgpr2_vgpr3
	s_branch .LBB393_1166
.LBB393_1162:
	s_mov_b32 s0, -1
                                        ; implicit-def: $vgpr2_vgpr3
.LBB393_1163:
	s_delay_alu instid0(SALU_CYCLE_1)
	s_and_not1_b32 vcc_lo, exec_lo, s0
	s_cbranch_vccnz .LBB393_1165
; %bb.1164:
	global_load_b32 v2, v[10:11], off
	s_waitcnt vmcnt(0)
	v_cvt_f64_f32_e32 v[2:3], v2
.LBB393_1165:
	s_mov_b32 s0, 0
.LBB393_1166:
	s_delay_alu instid0(SALU_CYCLE_1)
	s_and_not1_b32 vcc_lo, exec_lo, s0
	s_cbranch_vccnz .LBB393_1168
; %bb.1167:
	global_load_u16 v2, v[10:11], off
	s_waitcnt vmcnt(0)
	v_cvt_f32_f16_e32 v2, v2
	s_delay_alu instid0(VALU_DEP_1)
	v_cvt_f64_f32_e32 v[2:3], v2
.LBB393_1168:
	s_cbranch_execnz .LBB393_1187
.LBB393_1169:
	v_cmp_gt_i16_e32 vcc_lo, 2, v15
	s_cbranch_vccnz .LBB393_1173
; %bb.1170:
	v_cmp_gt_i16_e32 vcc_lo, 3, v15
	s_cbranch_vccnz .LBB393_1174
; %bb.1171:
	v_cmp_lt_i16_e32 vcc_lo, 3, v15
	s_cbranch_vccz .LBB393_1175
; %bb.1172:
	global_load_b64 v[2:3], v[10:11], off
	s_mov_b32 s0, 0
	s_waitcnt vmcnt(0)
	v_cvt_f64_i32_e32 v[12:13], v3
	v_cvt_f64_u32_e32 v[2:3], v2
	s_delay_alu instid0(VALU_DEP_2) | instskip(NEXT) | instid1(VALU_DEP_1)
	v_ldexp_f64 v[12:13], v[12:13], 32
	v_add_f64 v[2:3], v[12:13], v[2:3]
	s_branch .LBB393_1176
.LBB393_1173:
                                        ; implicit-def: $vgpr2_vgpr3
	s_branch .LBB393_1182
.LBB393_1174:
	s_mov_b32 s0, -1
                                        ; implicit-def: $vgpr2_vgpr3
	s_branch .LBB393_1179
.LBB393_1175:
	s_mov_b32 s0, -1
                                        ; implicit-def: $vgpr2_vgpr3
.LBB393_1176:
	s_delay_alu instid0(SALU_CYCLE_1)
	s_and_not1_b32 vcc_lo, exec_lo, s0
	s_cbranch_vccnz .LBB393_1178
; %bb.1177:
	global_load_b32 v2, v[10:11], off
	s_waitcnt vmcnt(0)
	v_cvt_f64_i32_e32 v[2:3], v2
.LBB393_1178:
	s_mov_b32 s0, 0
.LBB393_1179:
	s_delay_alu instid0(SALU_CYCLE_1)
	s_and_not1_b32 vcc_lo, exec_lo, s0
	s_cbranch_vccnz .LBB393_1181
; %bb.1180:
	global_load_i16 v2, v[10:11], off
	s_waitcnt vmcnt(0)
	v_cvt_f64_i32_e32 v[2:3], v2
.LBB393_1181:
	s_cbranch_execnz .LBB393_1187
.LBB393_1182:
	v_cmp_lt_i16_e32 vcc_lo, 0, v15
	s_mov_b32 s0, 0
	s_cbranch_vccz .LBB393_1184
; %bb.1183:
	global_load_i8 v2, v[10:11], off
	s_waitcnt vmcnt(0)
	v_cvt_f64_i32_e32 v[2:3], v2
	s_branch .LBB393_1185
.LBB393_1184:
	s_mov_b32 s0, -1
                                        ; implicit-def: $vgpr2_vgpr3
.LBB393_1185:
	s_delay_alu instid0(SALU_CYCLE_1)
	s_and_not1_b32 vcc_lo, exec_lo, s0
	s_cbranch_vccnz .LBB393_1187
; %bb.1186:
	global_load_u8 v2, v[10:11], off
	s_waitcnt vmcnt(0)
	v_cvt_f64_u32_e32 v[2:3], v2
.LBB393_1187:
	s_branch .LBB393_1258
.LBB393_1188:
	s_trap 2
	s_sendmsg_rtn_b32 s0, sendmsg(MSG_RTN_GET_DOORBELL)
	s_mov_b32 ttmp2, m0
	s_waitcnt lgkmcnt(0)
	s_and_b32 s0, s0, 0x3ff
	s_delay_alu instid0(SALU_CYCLE_1) | instskip(NEXT) | instid1(SALU_CYCLE_1)
	s_bitset1_b32 s0, 10
	s_mov_b32 m0, s0
	s_sendmsg sendmsg(MSG_INTERRUPT)
	s_mov_b32 m0, ttmp2
.LBB393_1189:                           ; =>This Inner Loop Header: Depth=1
	s_sethalt 5
	s_branch .LBB393_1189
.LBB393_1190:
	s_trap 2
	s_sendmsg_rtn_b32 s0, sendmsg(MSG_RTN_GET_DOORBELL)
	s_mov_b32 ttmp2, m0
	s_waitcnt lgkmcnt(0)
	s_and_b32 s0, s0, 0x3ff
	s_delay_alu instid0(SALU_CYCLE_1) | instskip(NEXT) | instid1(SALU_CYCLE_1)
	s_bitset1_b32 s0, 10
	s_mov_b32 m0, s0
	s_sendmsg sendmsg(MSG_INTERRUPT)
	s_mov_b32 m0, ttmp2
.LBB393_1191:                           ; =>This Inner Loop Header: Depth=1
	s_sethalt 5
	s_branch .LBB393_1191
.LBB393_1192:
	s_mov_b32 s2, -1
.LBB393_1193:
                                        ; implicit-def: $vgpr2_vgpr3
.LBB393_1194:
	s_and_b32 vcc_lo, exec_lo, s1
	s_cbranch_vccz .LBB393_1197
; %bb.1195:
	v_cmp_eq_u16_e32 vcc_lo, 44, v15
	s_cbranch_vccz .LBB393_1198
; %bb.1196:
	global_load_u8 v8, v[10:11], off
	s_mov_b32 s2, 0
	s_mov_b32 s0, -1
	s_waitcnt vmcnt(0)
	v_cmp_ne_u32_e32 vcc_lo, 0xff, v8
	v_lshlrev_b32_e32 v2, 23, v8
	s_delay_alu instid0(VALU_DEP_1) | instskip(NEXT) | instid1(VALU_DEP_1)
	v_cvt_f64_f32_e32 v[2:3], v2
	v_cndmask_b32_e32 v3, 0x7ff80000, v3, vcc_lo
	s_delay_alu instid0(VALU_DEP_2) | instskip(SKIP_1) | instid1(VALU_DEP_3)
	v_cndmask_b32_e32 v2, 0x20000000, v2, vcc_lo
	v_cmp_ne_u32_e32 vcc_lo, 0, v8
	v_cndmask_b32_e32 v3, 0x38000000, v3, vcc_lo
	s_delay_alu instid0(VALU_DEP_3)
	v_cndmask_b32_e32 v2, 0, v2, vcc_lo
.LBB393_1197:
	s_branch .LBB393_1202
.LBB393_1198:
	s_mov_b32 s2, -1
                                        ; implicit-def: $vgpr2_vgpr3
	s_branch .LBB393_1202
.LBB393_1199:
	v_cmp_eq_u16_e32 vcc_lo, 29, v15
	s_cbranch_vccz .LBB393_1201
; %bb.1200:
	global_load_b64 v[2:3], v[10:11], off
	s_mov_b32 s2, 0
	s_mov_b32 s0, -1
	s_mov_b32 s1, 0
	s_waitcnt vmcnt(0)
	v_cvt_f64_u32_e32 v[12:13], v3
	v_cvt_f64_u32_e32 v[2:3], v2
	s_delay_alu instid0(VALU_DEP_2) | instskip(NEXT) | instid1(VALU_DEP_1)
	v_ldexp_f64 v[12:13], v[12:13], 32
	v_add_f64 v[2:3], v[12:13], v[2:3]
	s_branch .LBB393_1203
.LBB393_1201:
	s_mov_b32 s2, -1
                                        ; implicit-def: $vgpr2_vgpr3
.LBB393_1202:
	s_mov_b32 s1, 0
.LBB393_1203:
	s_delay_alu instid0(SALU_CYCLE_1)
	s_and_b32 vcc_lo, exec_lo, s1
	s_cbranch_vccz .LBB393_1223
; %bb.1204:
	v_cmp_gt_i16_e32 vcc_lo, 27, v15
	s_cbranch_vccnz .LBB393_1207
; %bb.1205:
	v_cmp_lt_i16_e32 vcc_lo, 27, v15
	s_cbranch_vccz .LBB393_1208
; %bb.1206:
	global_load_b32 v2, v[10:11], off
	s_mov_b32 s0, 0
	s_waitcnt vmcnt(0)
	v_cvt_f64_u32_e32 v[2:3], v2
	s_branch .LBB393_1209
.LBB393_1207:
	s_mov_b32 s0, -1
                                        ; implicit-def: $vgpr2_vgpr3
	s_branch .LBB393_1212
.LBB393_1208:
	s_mov_b32 s0, -1
                                        ; implicit-def: $vgpr2_vgpr3
.LBB393_1209:
	s_delay_alu instid0(SALU_CYCLE_1)
	s_and_not1_b32 vcc_lo, exec_lo, s0
	s_cbranch_vccnz .LBB393_1211
; %bb.1210:
	global_load_u16 v2, v[10:11], off
	s_waitcnt vmcnt(0)
	v_cvt_f64_u32_e32 v[2:3], v2
.LBB393_1211:
	s_mov_b32 s0, 0
.LBB393_1212:
	s_delay_alu instid0(SALU_CYCLE_1)
	s_and_not1_b32 vcc_lo, exec_lo, s0
	s_cbranch_vccnz .LBB393_1222
; %bb.1213:
	global_load_u8 v8, v[10:11], off
	s_mov_b32 s10, 0
	s_mov_b32 s11, exec_lo
                                        ; implicit-def: $sgpr0_sgpr1
	s_waitcnt vmcnt(0)
	v_cmpx_lt_i16_e32 0x7f, v8
	s_xor_b32 s11, exec_lo, s11
	s_cbranch_execz .LBB393_1217
; %bb.1214:
	s_mov_b32 s12, -1
	s_mov_b32 s10, exec_lo
                                        ; implicit-def: $sgpr0_sgpr1
	v_cmpx_eq_u16_e32 0x80, v8
; %bb.1215:
	s_mov_b32 s1, 0x7ff80000
	s_brev_b32 s0, 4
	s_xor_b32 s12, exec_lo, -1
; %bb.1216:
	s_or_b32 exec_lo, exec_lo, s10
	s_delay_alu instid0(SALU_CYCLE_1)
	s_and_b32 s10, s12, exec_lo
.LBB393_1217:
	s_or_saveexec_b32 s11, s11
	v_dual_mov_b32 v3, s1 :: v_dual_mov_b32 v2, s0
	s_xor_b32 exec_lo, exec_lo, s11
; %bb.1218:
	v_cmp_ne_u16_e32 vcc_lo, 0, v8
	v_mov_b32_e32 v2, 0
	v_mov_b32_e32 v3, 0
	s_and_not1_b32 s0, s10, exec_lo
	s_and_b32 s1, vcc_lo, exec_lo
	s_delay_alu instid0(SALU_CYCLE_1)
	s_or_b32 s10, s0, s1
; %bb.1219:
	s_or_b32 exec_lo, exec_lo, s11
	s_and_saveexec_b32 s0, s10
	s_cbranch_execz .LBB393_1221
; %bb.1220:
	v_and_b32_e32 v2, 0xffff, v8
	v_lshlrev_b32_e32 v8, 24, v8
	s_delay_alu instid0(VALU_DEP_2) | instskip(NEXT) | instid1(VALU_DEP_2)
	v_and_b32_e32 v3, 7, v2
	v_and_b32_e32 v8, 0x80000000, v8
	s_delay_alu instid0(VALU_DEP_2) | instskip(NEXT) | instid1(VALU_DEP_1)
	v_clz_i32_u32_e32 v12, v3
	v_min_u32_e32 v12, 32, v12
	s_delay_alu instid0(VALU_DEP_1) | instskip(SKIP_1) | instid1(VALU_DEP_2)
	v_subrev_nc_u32_e32 v13, 28, v12
	v_sub_nc_u32_e32 v12, 29, v12
	v_lshlrev_b32_e32 v13, v13, v2
	v_bfe_u32 v2, v2, 3, 4
	s_delay_alu instid0(VALU_DEP_2) | instskip(NEXT) | instid1(VALU_DEP_2)
	v_and_b32_e32 v13, 7, v13
	v_cmp_eq_u32_e32 vcc_lo, 0, v2
	s_delay_alu instid0(VALU_DEP_2) | instskip(NEXT) | instid1(VALU_DEP_1)
	v_dual_cndmask_b32 v2, v2, v12 :: v_dual_cndmask_b32 v3, v3, v13
	v_lshl_add_u32 v2, v2, 23, 0x3b800000
	s_delay_alu instid0(VALU_DEP_2) | instskip(NEXT) | instid1(VALU_DEP_1)
	v_lshlrev_b32_e32 v3, 20, v3
	v_or3_b32 v2, v8, v2, v3
	s_delay_alu instid0(VALU_DEP_1)
	v_cvt_f64_f32_e32 v[2:3], v2
.LBB393_1221:
	s_or_b32 exec_lo, exec_lo, s0
.LBB393_1222:
	s_mov_b32 s0, -1
.LBB393_1223:
	s_branch .LBB393_1253
.LBB393_1224:
	v_cmp_lt_i16_e32 vcc_lo, 22, v15
	s_cbranch_vccz .LBB393_1236
; %bb.1225:
	v_cmp_gt_i16_e32 vcc_lo, 24, v15
	s_cbranch_vccnz .LBB393_1237
; %bb.1226:
	v_cmp_lt_i16_e32 vcc_lo, 24, v15
	s_cbranch_vccz .LBB393_1238
; %bb.1227:
	global_load_u8 v8, v[10:11], off
	s_mov_b32 s10, exec_lo
                                        ; implicit-def: $sgpr0_sgpr1
	s_waitcnt vmcnt(0)
	v_cmpx_lt_i16_e32 0x7f, v8
	s_xor_b32 s10, exec_lo, s10
	s_cbranch_execz .LBB393_1231
; %bb.1228:
	s_mov_b32 s11, -1
	s_mov_b32 s3, exec_lo
                                        ; implicit-def: $sgpr0_sgpr1
	v_cmpx_eq_u16_e32 0x80, v8
; %bb.1229:
	s_mov_b32 s1, 0x7ff80000
	s_brev_b32 s0, 4
	s_xor_b32 s11, exec_lo, -1
; %bb.1230:
	s_or_b32 exec_lo, exec_lo, s3
	s_delay_alu instid0(SALU_CYCLE_1)
	s_and_b32 s3, s11, exec_lo
.LBB393_1231:
	s_or_saveexec_b32 s10, s10
	v_dual_mov_b32 v3, s1 :: v_dual_mov_b32 v2, s0
	s_xor_b32 exec_lo, exec_lo, s10
; %bb.1232:
	v_cmp_ne_u16_e32 vcc_lo, 0, v8
	v_mov_b32_e32 v2, 0
	v_mov_b32_e32 v3, 0
	s_and_not1_b32 s0, s3, exec_lo
	s_and_b32 s1, vcc_lo, exec_lo
	s_delay_alu instid0(SALU_CYCLE_1)
	s_or_b32 s3, s0, s1
; %bb.1233:
	s_or_b32 exec_lo, exec_lo, s10
	s_and_saveexec_b32 s0, s3
	s_cbranch_execz .LBB393_1235
; %bb.1234:
	v_and_b32_e32 v2, 0xffff, v8
	v_lshlrev_b32_e32 v8, 24, v8
	s_delay_alu instid0(VALU_DEP_2) | instskip(NEXT) | instid1(VALU_DEP_2)
	v_and_b32_e32 v3, 3, v2
	v_and_b32_e32 v8, 0x80000000, v8
	s_delay_alu instid0(VALU_DEP_2) | instskip(NEXT) | instid1(VALU_DEP_1)
	v_clz_i32_u32_e32 v12, v3
	v_min_u32_e32 v12, 32, v12
	s_delay_alu instid0(VALU_DEP_1) | instskip(SKIP_1) | instid1(VALU_DEP_2)
	v_subrev_nc_u32_e32 v13, 29, v12
	v_sub_nc_u32_e32 v12, 30, v12
	v_lshlrev_b32_e32 v13, v13, v2
	v_bfe_u32 v2, v2, 2, 5
	s_delay_alu instid0(VALU_DEP_2) | instskip(NEXT) | instid1(VALU_DEP_2)
	v_and_b32_e32 v13, 3, v13
	v_cmp_eq_u32_e32 vcc_lo, 0, v2
	s_delay_alu instid0(VALU_DEP_2) | instskip(NEXT) | instid1(VALU_DEP_1)
	v_dual_cndmask_b32 v2, v2, v12 :: v_dual_cndmask_b32 v3, v3, v13
	v_lshl_add_u32 v2, v2, 23, 0x37800000
	s_delay_alu instid0(VALU_DEP_2) | instskip(NEXT) | instid1(VALU_DEP_1)
	v_lshlrev_b32_e32 v3, 21, v3
	v_or3_b32 v2, v8, v2, v3
	s_delay_alu instid0(VALU_DEP_1)
	v_cvt_f64_f32_e32 v[2:3], v2
.LBB393_1235:
	s_or_b32 exec_lo, exec_lo, s0
	s_mov_b32 s0, 0
	s_branch .LBB393_1239
.LBB393_1236:
                                        ; implicit-def: $vgpr2_vgpr3
	s_mov_b32 s3, 0
	s_branch .LBB393_1245
.LBB393_1237:
	s_mov_b32 s0, -1
                                        ; implicit-def: $vgpr2_vgpr3
	s_branch .LBB393_1242
.LBB393_1238:
	s_mov_b32 s0, -1
                                        ; implicit-def: $vgpr2_vgpr3
.LBB393_1239:
	s_delay_alu instid0(SALU_CYCLE_1)
	s_and_b32 vcc_lo, exec_lo, s0
	s_cbranch_vccz .LBB393_1241
; %bb.1240:
	global_load_u8 v2, v[10:11], off
	s_waitcnt vmcnt(0)
	v_lshlrev_b32_e32 v2, 24, v2
	s_delay_alu instid0(VALU_DEP_1) | instskip(NEXT) | instid1(VALU_DEP_1)
	v_and_b32_e32 v3, 0x7f000000, v2
	v_clz_i32_u32_e32 v8, v3
	v_add_nc_u32_e32 v13, 0x1000000, v3
	v_cmp_ne_u32_e32 vcc_lo, 0, v3
	s_delay_alu instid0(VALU_DEP_3) | instskip(NEXT) | instid1(VALU_DEP_1)
	v_min_u32_e32 v8, 32, v8
	v_sub_nc_u32_e64 v8, v8, 4 clamp
	s_delay_alu instid0(VALU_DEP_1) | instskip(SKIP_1) | instid1(VALU_DEP_2)
	v_lshlrev_b32_e32 v12, v8, v3
	v_lshlrev_b32_e32 v8, 23, v8
	v_lshrrev_b32_e32 v12, 4, v12
	s_delay_alu instid0(VALU_DEP_1) | instskip(SKIP_1) | instid1(VALU_DEP_2)
	v_sub_nc_u32_e32 v8, v12, v8
	v_ashrrev_i32_e32 v12, 8, v13
	v_add_nc_u32_e32 v8, 0x3c000000, v8
	s_delay_alu instid0(VALU_DEP_1) | instskip(NEXT) | instid1(VALU_DEP_1)
	v_and_or_b32 v8, 0x7f800000, v12, v8
	v_cndmask_b32_e32 v3, 0, v8, vcc_lo
	s_delay_alu instid0(VALU_DEP_1) | instskip(NEXT) | instid1(VALU_DEP_1)
	v_and_or_b32 v2, 0x80000000, v2, v3
	v_cvt_f64_f32_e32 v[2:3], v2
.LBB393_1241:
	s_mov_b32 s0, 0
.LBB393_1242:
	s_delay_alu instid0(SALU_CYCLE_1)
	s_and_not1_b32 vcc_lo, exec_lo, s0
	s_cbranch_vccnz .LBB393_1244
; %bb.1243:
	global_load_u8 v2, v[10:11], off
	s_waitcnt vmcnt(0)
	v_lshlrev_b32_e32 v3, 25, v2
	v_lshlrev_b16 v2, 8, v2
	s_delay_alu instid0(VALU_DEP_1) | instskip(SKIP_1) | instid1(VALU_DEP_2)
	v_and_or_b32 v12, 0x7f00, v2, 0.5
	v_bfe_i32 v2, v2, 0, 16
	v_add_f32_e32 v12, -0.5, v12
	v_lshrrev_b32_e32 v8, 4, v3
	v_cmp_gt_u32_e32 vcc_lo, 0x8000000, v3
	s_delay_alu instid0(VALU_DEP_2) | instskip(NEXT) | instid1(VALU_DEP_1)
	v_or_b32_e32 v8, 0x70000000, v8
	v_mul_f32_e32 v8, 0x7800000, v8
	s_delay_alu instid0(VALU_DEP_1) | instskip(NEXT) | instid1(VALU_DEP_1)
	v_cndmask_b32_e32 v3, v8, v12, vcc_lo
	v_and_or_b32 v2, 0x80000000, v2, v3
	s_delay_alu instid0(VALU_DEP_1)
	v_cvt_f64_f32_e32 v[2:3], v2
.LBB393_1244:
	s_mov_b32 s0, -1
	s_mov_b32 s3, 0
	s_cbranch_execnz .LBB393_1253
.LBB393_1245:
	v_cmp_lt_i16_e32 vcc_lo, 14, v15
	s_cbranch_vccz .LBB393_1248
; %bb.1246:
	v_cmp_eq_u16_e32 vcc_lo, 15, v15
	s_cbranch_vccz .LBB393_1249
; %bb.1247:
	global_load_u16 v2, v[10:11], off
	s_mov_b32 s2, 0
	s_mov_b32 s0, -1
	s_waitcnt vmcnt(0)
	v_lshlrev_b32_e32 v2, 16, v2
	s_delay_alu instid0(VALU_DEP_1)
	v_cvt_f64_f32_e32 v[2:3], v2
	s_branch .LBB393_1250
.LBB393_1248:
	s_mov_b32 s1, -1
                                        ; implicit-def: $vgpr2_vgpr3
	s_branch .LBB393_1251
.LBB393_1249:
	s_mov_b32 s2, -1
                                        ; implicit-def: $vgpr2_vgpr3
.LBB393_1250:
	s_mov_b32 s1, 0
.LBB393_1251:
	s_delay_alu instid0(SALU_CYCLE_1)
	s_and_b32 vcc_lo, exec_lo, s1
	s_cbranch_vccz .LBB393_1253
; %bb.1252:
	v_cmp_ne_u16_e64 s2, 11, v15
	s_mov_b32 s3, -1
                                        ; implicit-def: $vgpr2_vgpr3
.LBB393_1253:
	s_delay_alu instid0(VALU_DEP_1)
	s_and_b32 vcc_lo, exec_lo, s2
	s_mov_b32 s2, s8
	s_cbranch_vccnz .LBB393_1277
; %bb.1254:
	s_and_not1_b32 vcc_lo, exec_lo, s3
	s_cbranch_vccnz .LBB393_1256
.LBB393_1255:
	global_load_u8 v2, v[10:11], off
	s_mov_b32 s0, -1
	s_waitcnt vmcnt(0)
	v_cmp_ne_u16_e32 vcc_lo, 0, v2
	v_mov_b32_e32 v2, 0
	v_cndmask_b32_e64 v3, 0, 0x3ff00000, vcc_lo
.LBB393_1256:
.LBB393_1257:
	s_and_not1_b32 vcc_lo, exec_lo, s0
	s_cbranch_vccnz .LBB393_2049
.LBB393_1258:
	v_cmp_gt_i16_e32 vcc_lo, 11, v15
	s_waitcnt vmcnt(0)
	v_add_co_u32 v10, s0, s6, v7
	s_delay_alu instid0(VALU_DEP_1)
	v_add_co_ci_u32_e64 v11, null, s7, 0, s0
	s_mov_b32 s0, 0
	s_cbranch_vccnz .LBB393_1265
; %bb.1259:
	v_cmp_lt_i16_e32 vcc_lo, 25, v15
	s_mov_b32 s10, 0
	s_cbranch_vccz .LBB393_1271
; %bb.1260:
	v_cmp_lt_i16_e32 vcc_lo, 28, v15
	s_cbranch_vccz .LBB393_1273
; %bb.1261:
	v_cmp_lt_i16_e32 vcc_lo, 43, v15
	;; [unrolled: 3-line block ×3, first 2 shown]
	s_cbranch_vccz .LBB393_1281
; %bb.1263:
	v_cmp_eq_u16_e32 vcc_lo, 46, v15
	s_mov_b32 s1, 0
	s_cbranch_vccz .LBB393_1325
; %bb.1264:
	global_load_b32 v7, v[10:11], off
	s_mov_b32 s3, 0
	s_mov_b32 s0, -1
	s_waitcnt vmcnt(0)
	v_lshlrev_b32_e32 v7, 16, v7
	s_delay_alu instid0(VALU_DEP_1)
	v_cvt_f64_f32_e32 v[7:8], v7
	s_branch .LBB393_1327
.LBB393_1265:
                                        ; implicit-def: $vgpr7_vgpr8
	s_cbranch_execz .LBB393_1392
; %bb.1266:
	v_cmp_gt_i16_e32 vcc_lo, 5, v15
	s_cbranch_vccnz .LBB393_1272
; %bb.1267:
	v_cmp_gt_i16_e32 vcc_lo, 8, v15
	s_cbranch_vccnz .LBB393_1274
	;; [unrolled: 3-line block ×3, first 2 shown]
; %bb.1269:
	v_cmp_lt_i16_e32 vcc_lo, 9, v15
	s_cbranch_vccz .LBB393_1282
; %bb.1270:
	global_load_b64 v[7:8], v[10:11], off
	s_mov_b32 s0, 0
	s_branch .LBB393_1283
.LBB393_1271:
	s_mov_b32 s3, 0
                                        ; implicit-def: $vgpr7_vgpr8
	s_cbranch_execnz .LBB393_1358
	s_branch .LBB393_1388
.LBB393_1272:
                                        ; implicit-def: $vgpr7_vgpr8
	s_branch .LBB393_1301
.LBB393_1273:
	s_mov_b32 s1, -1
	s_mov_b32 s3, 0
                                        ; implicit-def: $vgpr7_vgpr8
	s_branch .LBB393_1337
.LBB393_1274:
	s_mov_b32 s0, -1
                                        ; implicit-def: $vgpr7_vgpr8
	s_branch .LBB393_1289
.LBB393_1275:
	s_mov_b32 s1, -1
	s_mov_b32 s3, 0
                                        ; implicit-def: $vgpr7_vgpr8
	s_branch .LBB393_1332
.LBB393_1276:
	s_mov_b32 s0, -1
                                        ; implicit-def: $vgpr7_vgpr8
	s_branch .LBB393_1286
.LBB393_1277:
	s_cbranch_execnz .LBB393_1321
; %bb.1278:
	s_or_b32 s2, s8, exec_lo
                                        ; implicit-def: $vgpr2_vgpr3
	s_cbranch_execz .LBB393_1255
	s_branch .LBB393_1256
.LBB393_1279:
	s_or_saveexec_b32 s7, s7
                                        ; implicit-def: $sgpr8
	s_delay_alu instid0(SALU_CYCLE_1)
	s_xor_b32 exec_lo, exec_lo, s7
	s_cbranch_execz .LBB393_987
.LBB393_1280:
	v_add_f32_e64 v3, 0x46000000, |v2|
	s_and_not1_b32 s5, s5, exec_lo
	s_mov_b32 s8, 0
	s_delay_alu instid0(VALU_DEP_1) | instskip(NEXT) | instid1(VALU_DEP_1)
	v_and_b32_e32 v3, 0xff, v3
	v_cmp_ne_u32_e32 vcc_lo, 0, v3
	s_and_b32 s9, vcc_lo, exec_lo
	s_delay_alu instid0(SALU_CYCLE_1)
	s_or_b32 s5, s5, s9
	s_or_b32 exec_lo, exec_lo, s7
	v_mov_b32_e32 v6, s8
	s_and_saveexec_b32 s7, s5
	s_cbranch_execnz .LBB393_988
	s_branch .LBB393_989
.LBB393_1281:
	s_mov_b32 s1, -1
	s_mov_b32 s3, 0
	s_branch .LBB393_1326
.LBB393_1282:
	s_mov_b32 s0, -1
                                        ; implicit-def: $vgpr7_vgpr8
.LBB393_1283:
	s_delay_alu instid0(SALU_CYCLE_1)
	s_and_not1_b32 vcc_lo, exec_lo, s0
	s_cbranch_vccnz .LBB393_1285
; %bb.1284:
	global_load_b32 v7, v[10:11], off
	s_waitcnt vmcnt(0)
	v_cvt_f64_f32_e32 v[7:8], v7
.LBB393_1285:
	s_mov_b32 s0, 0
.LBB393_1286:
	s_delay_alu instid0(SALU_CYCLE_1)
	s_and_not1_b32 vcc_lo, exec_lo, s0
	s_cbranch_vccnz .LBB393_1288
; %bb.1287:
	global_load_b32 v7, v[10:11], off
	s_waitcnt vmcnt(0)
	v_cvt_f32_f16_e32 v7, v7
	s_delay_alu instid0(VALU_DEP_1)
	v_cvt_f64_f32_e32 v[7:8], v7
.LBB393_1288:
	s_mov_b32 s0, 0
.LBB393_1289:
	s_delay_alu instid0(SALU_CYCLE_1)
	s_and_not1_b32 vcc_lo, exec_lo, s0
	s_cbranch_vccnz .LBB393_1300
; %bb.1290:
	v_cmp_gt_i16_e32 vcc_lo, 6, v15
	s_cbranch_vccnz .LBB393_1293
; %bb.1291:
	v_cmp_lt_i16_e32 vcc_lo, 6, v15
	s_cbranch_vccz .LBB393_1294
; %bb.1292:
	global_load_b64 v[7:8], v[10:11], off
	s_mov_b32 s0, 0
	s_branch .LBB393_1295
.LBB393_1293:
	s_mov_b32 s0, -1
                                        ; implicit-def: $vgpr7_vgpr8
	s_branch .LBB393_1298
.LBB393_1294:
	s_mov_b32 s0, -1
                                        ; implicit-def: $vgpr7_vgpr8
.LBB393_1295:
	s_delay_alu instid0(SALU_CYCLE_1)
	s_and_not1_b32 vcc_lo, exec_lo, s0
	s_cbranch_vccnz .LBB393_1297
; %bb.1296:
	global_load_b32 v7, v[10:11], off
	s_waitcnt vmcnt(0)
	v_cvt_f64_f32_e32 v[7:8], v7
.LBB393_1297:
	s_mov_b32 s0, 0
.LBB393_1298:
	s_delay_alu instid0(SALU_CYCLE_1)
	s_and_not1_b32 vcc_lo, exec_lo, s0
	s_cbranch_vccnz .LBB393_1300
; %bb.1299:
	global_load_u16 v7, v[10:11], off
	s_waitcnt vmcnt(0)
	v_cvt_f32_f16_e32 v7, v7
	s_delay_alu instid0(VALU_DEP_1)
	v_cvt_f64_f32_e32 v[7:8], v7
.LBB393_1300:
	s_cbranch_execnz .LBB393_1320
.LBB393_1301:
	v_cmp_gt_i16_e32 vcc_lo, 2, v15
	s_cbranch_vccnz .LBB393_1305
; %bb.1302:
	v_cmp_gt_i16_e32 vcc_lo, 3, v15
	s_cbranch_vccnz .LBB393_1306
; %bb.1303:
	v_cmp_lt_i16_e32 vcc_lo, 3, v15
	s_cbranch_vccz .LBB393_1307
; %bb.1304:
	global_load_b64 v[7:8], v[10:11], off
	s_mov_b32 s0, 0
	s_waitcnt vmcnt(0)
	v_cvt_f64_i32_e32 v[12:13], v8
	v_cvt_f64_u32_e32 v[7:8], v7
	s_delay_alu instid0(VALU_DEP_2) | instskip(NEXT) | instid1(VALU_DEP_1)
	v_ldexp_f64 v[12:13], v[12:13], 32
	v_add_f64 v[7:8], v[12:13], v[7:8]
	s_branch .LBB393_1308
.LBB393_1305:
	s_mov_b32 s0, -1
                                        ; implicit-def: $vgpr7_vgpr8
	s_branch .LBB393_1314
.LBB393_1306:
	s_mov_b32 s0, -1
                                        ; implicit-def: $vgpr7_vgpr8
	s_branch .LBB393_1311
.LBB393_1307:
	s_mov_b32 s0, -1
                                        ; implicit-def: $vgpr7_vgpr8
.LBB393_1308:
	s_delay_alu instid0(SALU_CYCLE_1)
	s_and_not1_b32 vcc_lo, exec_lo, s0
	s_cbranch_vccnz .LBB393_1310
; %bb.1309:
	global_load_b32 v7, v[10:11], off
	s_waitcnt vmcnt(0)
	v_cvt_f64_i32_e32 v[7:8], v7
.LBB393_1310:
	s_mov_b32 s0, 0
.LBB393_1311:
	s_delay_alu instid0(SALU_CYCLE_1)
	s_and_not1_b32 vcc_lo, exec_lo, s0
	s_cbranch_vccnz .LBB393_1313
; %bb.1312:
	global_load_i16 v7, v[10:11], off
	s_waitcnt vmcnt(0)
	v_cvt_f64_i32_e32 v[7:8], v7
.LBB393_1313:
	s_mov_b32 s0, 0
.LBB393_1314:
	s_delay_alu instid0(SALU_CYCLE_1)
	s_and_not1_b32 vcc_lo, exec_lo, s0
	s_cbranch_vccnz .LBB393_1320
; %bb.1315:
	v_cmp_lt_i16_e32 vcc_lo, 0, v15
	s_mov_b32 s0, 0
	s_cbranch_vccz .LBB393_1317
; %bb.1316:
	global_load_i8 v7, v[10:11], off
	s_waitcnt vmcnt(0)
	v_cvt_f64_i32_e32 v[7:8], v7
	s_branch .LBB393_1318
.LBB393_1317:
	s_mov_b32 s0, -1
                                        ; implicit-def: $vgpr7_vgpr8
.LBB393_1318:
	s_delay_alu instid0(SALU_CYCLE_1)
	s_and_not1_b32 vcc_lo, exec_lo, s0
	s_cbranch_vccnz .LBB393_1320
; %bb.1319:
	global_load_u8 v7, v[10:11], off
	s_waitcnt vmcnt(0)
	v_cvt_f64_u32_e32 v[7:8], v7
.LBB393_1320:
	s_branch .LBB393_1393
.LBB393_1321:
	s_trap 2
	s_sendmsg_rtn_b32 s0, sendmsg(MSG_RTN_GET_DOORBELL)
	s_mov_b32 ttmp2, m0
	s_waitcnt lgkmcnt(0)
	s_and_b32 s0, s0, 0x3ff
	s_delay_alu instid0(SALU_CYCLE_1) | instskip(NEXT) | instid1(SALU_CYCLE_1)
	s_bitset1_b32 s0, 10
	s_mov_b32 m0, s0
	s_sendmsg sendmsg(MSG_INTERRUPT)
	s_mov_b32 m0, ttmp2
.LBB393_1322:                           ; =>This Inner Loop Header: Depth=1
	s_sethalt 5
	s_branch .LBB393_1322
.LBB393_1323:
	s_or_saveexec_b32 s8, s8
                                        ; implicit-def: $sgpr9
	s_delay_alu instid0(SALU_CYCLE_1)
	s_xor_b32 exec_lo, exec_lo, s8
	s_cbranch_execz .LBB393_999
.LBB393_1324:
	v_add_f32_e64 v3, 0x42800000, |v2|
	s_and_not1_b32 s7, s7, exec_lo
	s_mov_b32 s9, 0
	s_delay_alu instid0(VALU_DEP_1) | instskip(NEXT) | instid1(VALU_DEP_1)
	v_and_b32_e32 v3, 0xff, v3
	v_cmp_ne_u32_e32 vcc_lo, 0, v3
	s_and_b32 s10, vcc_lo, exec_lo
	s_delay_alu instid0(SALU_CYCLE_1)
	s_or_b32 s7, s7, s10
	s_or_b32 exec_lo, exec_lo, s8
	v_mov_b32_e32 v6, s9
	s_and_saveexec_b32 s8, s7
	s_cbranch_execnz .LBB393_1000
	s_branch .LBB393_1001
.LBB393_1325:
	s_mov_b32 s3, -1
.LBB393_1326:
                                        ; implicit-def: $vgpr7_vgpr8
.LBB393_1327:
	s_and_b32 vcc_lo, exec_lo, s1
	s_cbranch_vccz .LBB393_1331
; %bb.1328:
	v_cmp_eq_u16_e32 vcc_lo, 44, v15
	s_cbranch_vccz .LBB393_1330
; %bb.1329:
	global_load_u8 v12, v[10:11], off
	s_mov_b32 s3, 0
	s_mov_b32 s0, -1
	s_waitcnt vmcnt(0)
	v_lshlrev_b32_e32 v7, 23, v12
	v_cmp_ne_u32_e32 vcc_lo, 0xff, v12
	s_delay_alu instid0(VALU_DEP_2) | instskip(NEXT) | instid1(VALU_DEP_1)
	v_cvt_f64_f32_e32 v[7:8], v7
	v_cndmask_b32_e32 v7, 0x20000000, v7, vcc_lo
	s_delay_alu instid0(VALU_DEP_2) | instskip(SKIP_1) | instid1(VALU_DEP_2)
	v_cndmask_b32_e32 v8, 0x7ff80000, v8, vcc_lo
	v_cmp_ne_u32_e32 vcc_lo, 0, v12
	v_cndmask_b32_e32 v8, 0x38000000, v8, vcc_lo
	s_delay_alu instid0(VALU_DEP_4)
	v_cndmask_b32_e32 v7, 0, v7, vcc_lo
	s_branch .LBB393_1331
.LBB393_1330:
	s_mov_b32 s3, -1
                                        ; implicit-def: $vgpr7_vgpr8
.LBB393_1331:
	s_mov_b32 s1, 0
.LBB393_1332:
	s_delay_alu instid0(SALU_CYCLE_1)
	s_and_b32 vcc_lo, exec_lo, s1
	s_cbranch_vccz .LBB393_1336
; %bb.1333:
	v_cmp_eq_u16_e32 vcc_lo, 29, v15
	s_cbranch_vccz .LBB393_1335
; %bb.1334:
	global_load_b64 v[7:8], v[10:11], off
	s_mov_b32 s3, 0
	s_mov_b32 s0, -1
	s_mov_b32 s1, 0
	s_waitcnt vmcnt(0)
	v_cvt_f64_u32_e32 v[12:13], v8
	v_cvt_f64_u32_e32 v[7:8], v7
	s_delay_alu instid0(VALU_DEP_2) | instskip(NEXT) | instid1(VALU_DEP_1)
	v_ldexp_f64 v[12:13], v[12:13], 32
	v_add_f64 v[7:8], v[12:13], v[7:8]
	s_branch .LBB393_1337
.LBB393_1335:
	s_mov_b32 s3, -1
                                        ; implicit-def: $vgpr7_vgpr8
.LBB393_1336:
	s_mov_b32 s1, 0
.LBB393_1337:
	s_delay_alu instid0(SALU_CYCLE_1)
	s_and_b32 vcc_lo, exec_lo, s1
	s_cbranch_vccz .LBB393_1357
; %bb.1338:
	v_cmp_gt_i16_e32 vcc_lo, 27, v15
	s_cbranch_vccnz .LBB393_1341
; %bb.1339:
	v_cmp_lt_i16_e32 vcc_lo, 27, v15
	s_cbranch_vccz .LBB393_1342
; %bb.1340:
	global_load_b32 v7, v[10:11], off
	s_mov_b32 s0, 0
	s_waitcnt vmcnt(0)
	v_cvt_f64_u32_e32 v[7:8], v7
	s_branch .LBB393_1343
.LBB393_1341:
	s_mov_b32 s0, -1
                                        ; implicit-def: $vgpr7_vgpr8
	s_branch .LBB393_1346
.LBB393_1342:
	s_mov_b32 s0, -1
                                        ; implicit-def: $vgpr7_vgpr8
.LBB393_1343:
	s_delay_alu instid0(SALU_CYCLE_1)
	s_and_not1_b32 vcc_lo, exec_lo, s0
	s_cbranch_vccnz .LBB393_1345
; %bb.1344:
	global_load_u16 v7, v[10:11], off
	s_waitcnt vmcnt(0)
	v_cvt_f64_u32_e32 v[7:8], v7
.LBB393_1345:
	s_mov_b32 s0, 0
.LBB393_1346:
	s_delay_alu instid0(SALU_CYCLE_1)
	s_and_not1_b32 vcc_lo, exec_lo, s0
	s_cbranch_vccnz .LBB393_1356
; %bb.1347:
	global_load_u8 v12, v[10:11], off
	s_mov_b32 s11, 0
	s_mov_b32 s12, exec_lo
                                        ; implicit-def: $sgpr0_sgpr1
	s_waitcnt vmcnt(0)
	v_cmpx_lt_i16_e32 0x7f, v12
	s_xor_b32 s12, exec_lo, s12
	s_cbranch_execz .LBB393_1351
; %bb.1348:
	s_mov_b32 s13, -1
	s_mov_b32 s11, exec_lo
                                        ; implicit-def: $sgpr0_sgpr1
	v_cmpx_eq_u16_e32 0x80, v12
; %bb.1349:
	s_mov_b32 s1, 0x7ff80000
	s_brev_b32 s0, 4
	s_xor_b32 s13, exec_lo, -1
; %bb.1350:
	s_or_b32 exec_lo, exec_lo, s11
	s_delay_alu instid0(SALU_CYCLE_1)
	s_and_b32 s11, s13, exec_lo
.LBB393_1351:
	s_or_saveexec_b32 s12, s12
	v_dual_mov_b32 v8, s1 :: v_dual_mov_b32 v7, s0
	s_xor_b32 exec_lo, exec_lo, s12
; %bb.1352:
	v_cmp_ne_u16_e32 vcc_lo, 0, v12
	v_mov_b32_e32 v7, 0
	v_mov_b32_e32 v8, 0
	s_and_not1_b32 s0, s11, exec_lo
	s_and_b32 s1, vcc_lo, exec_lo
	s_delay_alu instid0(SALU_CYCLE_1)
	s_or_b32 s11, s0, s1
; %bb.1353:
	s_or_b32 exec_lo, exec_lo, s12
	s_and_saveexec_b32 s0, s11
	s_cbranch_execz .LBB393_1355
; %bb.1354:
	v_and_b32_e32 v7, 0xffff, v12
	v_lshlrev_b32_e32 v12, 24, v12
	s_delay_alu instid0(VALU_DEP_2) | instskip(NEXT) | instid1(VALU_DEP_2)
	v_and_b32_e32 v8, 7, v7
	v_and_b32_e32 v12, 0x80000000, v12
	s_delay_alu instid0(VALU_DEP_2) | instskip(NEXT) | instid1(VALU_DEP_1)
	v_clz_i32_u32_e32 v13, v8
	v_min_u32_e32 v13, 32, v13
	s_delay_alu instid0(VALU_DEP_1) | instskip(SKIP_1) | instid1(VALU_DEP_2)
	v_subrev_nc_u32_e32 v14, 28, v13
	v_sub_nc_u32_e32 v13, 29, v13
	v_lshlrev_b32_e32 v14, v14, v7
	v_bfe_u32 v7, v7, 3, 4
	s_delay_alu instid0(VALU_DEP_2) | instskip(NEXT) | instid1(VALU_DEP_2)
	v_and_b32_e32 v14, 7, v14
	v_cmp_eq_u32_e32 vcc_lo, 0, v7
	s_delay_alu instid0(VALU_DEP_2) | instskip(NEXT) | instid1(VALU_DEP_1)
	v_dual_cndmask_b32 v7, v7, v13 :: v_dual_cndmask_b32 v8, v8, v14
	v_lshl_add_u32 v7, v7, 23, 0x3b800000
	s_delay_alu instid0(VALU_DEP_2) | instskip(NEXT) | instid1(VALU_DEP_1)
	v_lshlrev_b32_e32 v8, 20, v8
	v_or3_b32 v7, v12, v7, v8
	s_delay_alu instid0(VALU_DEP_1)
	v_cvt_f64_f32_e32 v[7:8], v7
.LBB393_1355:
	s_or_b32 exec_lo, exec_lo, s0
.LBB393_1356:
	s_mov_b32 s0, -1
.LBB393_1357:
	s_branch .LBB393_1388
.LBB393_1358:
	v_cmp_lt_i16_e32 vcc_lo, 22, v15
	s_cbranch_vccz .LBB393_1370
; %bb.1359:
	v_cmp_gt_i16_e32 vcc_lo, 24, v15
	s_cbranch_vccnz .LBB393_1371
; %bb.1360:
	v_cmp_lt_i16_e32 vcc_lo, 24, v15
	s_cbranch_vccz .LBB393_1372
; %bb.1361:
	global_load_u8 v12, v[10:11], off
	s_mov_b32 s11, exec_lo
                                        ; implicit-def: $sgpr0_sgpr1
	s_waitcnt vmcnt(0)
	v_cmpx_lt_i16_e32 0x7f, v12
	s_xor_b32 s11, exec_lo, s11
	s_cbranch_execz .LBB393_1365
; %bb.1362:
	s_mov_b32 s12, -1
	s_mov_b32 s10, exec_lo
                                        ; implicit-def: $sgpr0_sgpr1
	v_cmpx_eq_u16_e32 0x80, v12
; %bb.1363:
	s_mov_b32 s1, 0x7ff80000
	s_brev_b32 s0, 4
	s_xor_b32 s12, exec_lo, -1
; %bb.1364:
	s_or_b32 exec_lo, exec_lo, s10
	s_delay_alu instid0(SALU_CYCLE_1)
	s_and_b32 s10, s12, exec_lo
.LBB393_1365:
	s_or_saveexec_b32 s11, s11
	v_dual_mov_b32 v8, s1 :: v_dual_mov_b32 v7, s0
	s_xor_b32 exec_lo, exec_lo, s11
; %bb.1366:
	v_cmp_ne_u16_e32 vcc_lo, 0, v12
	v_mov_b32_e32 v7, 0
	v_mov_b32_e32 v8, 0
	s_and_not1_b32 s0, s10, exec_lo
	s_and_b32 s1, vcc_lo, exec_lo
	s_delay_alu instid0(SALU_CYCLE_1)
	s_or_b32 s10, s0, s1
; %bb.1367:
	s_or_b32 exec_lo, exec_lo, s11
	s_and_saveexec_b32 s0, s10
	s_cbranch_execz .LBB393_1369
; %bb.1368:
	v_and_b32_e32 v7, 0xffff, v12
	v_lshlrev_b32_e32 v12, 24, v12
	s_delay_alu instid0(VALU_DEP_2) | instskip(NEXT) | instid1(VALU_DEP_2)
	v_and_b32_e32 v8, 3, v7
	v_and_b32_e32 v12, 0x80000000, v12
	s_delay_alu instid0(VALU_DEP_2) | instskip(NEXT) | instid1(VALU_DEP_1)
	v_clz_i32_u32_e32 v13, v8
	v_min_u32_e32 v13, 32, v13
	s_delay_alu instid0(VALU_DEP_1) | instskip(SKIP_1) | instid1(VALU_DEP_2)
	v_subrev_nc_u32_e32 v14, 29, v13
	v_sub_nc_u32_e32 v13, 30, v13
	v_lshlrev_b32_e32 v14, v14, v7
	v_bfe_u32 v7, v7, 2, 5
	s_delay_alu instid0(VALU_DEP_2) | instskip(NEXT) | instid1(VALU_DEP_2)
	v_and_b32_e32 v14, 3, v14
	v_cmp_eq_u32_e32 vcc_lo, 0, v7
	s_delay_alu instid0(VALU_DEP_2) | instskip(NEXT) | instid1(VALU_DEP_1)
	v_dual_cndmask_b32 v7, v7, v13 :: v_dual_cndmask_b32 v8, v8, v14
	v_lshl_add_u32 v7, v7, 23, 0x37800000
	s_delay_alu instid0(VALU_DEP_2) | instskip(NEXT) | instid1(VALU_DEP_1)
	v_lshlrev_b32_e32 v8, 21, v8
	v_or3_b32 v7, v12, v7, v8
	s_delay_alu instid0(VALU_DEP_1)
	v_cvt_f64_f32_e32 v[7:8], v7
.LBB393_1369:
	s_or_b32 exec_lo, exec_lo, s0
	s_mov_b32 s0, 0
	s_branch .LBB393_1373
.LBB393_1370:
	s_mov_b32 s1, -1
                                        ; implicit-def: $vgpr7_vgpr8
	s_branch .LBB393_1379
.LBB393_1371:
	s_mov_b32 s0, -1
                                        ; implicit-def: $vgpr7_vgpr8
	s_branch .LBB393_1376
.LBB393_1372:
	s_mov_b32 s0, -1
                                        ; implicit-def: $vgpr7_vgpr8
.LBB393_1373:
	s_delay_alu instid0(SALU_CYCLE_1)
	s_and_b32 vcc_lo, exec_lo, s0
	s_cbranch_vccz .LBB393_1375
; %bb.1374:
	global_load_u8 v7, v[10:11], off
	s_waitcnt vmcnt(0)
	v_lshlrev_b32_e32 v7, 24, v7
	s_delay_alu instid0(VALU_DEP_1) | instskip(NEXT) | instid1(VALU_DEP_1)
	v_and_b32_e32 v8, 0x7f000000, v7
	v_clz_i32_u32_e32 v12, v8
	v_add_nc_u32_e32 v14, 0x1000000, v8
	v_cmp_ne_u32_e32 vcc_lo, 0, v8
	s_delay_alu instid0(VALU_DEP_3) | instskip(NEXT) | instid1(VALU_DEP_1)
	v_min_u32_e32 v12, 32, v12
	v_sub_nc_u32_e64 v12, v12, 4 clamp
	s_delay_alu instid0(VALU_DEP_1) | instskip(SKIP_1) | instid1(VALU_DEP_2)
	v_lshlrev_b32_e32 v13, v12, v8
	v_lshlrev_b32_e32 v12, 23, v12
	v_lshrrev_b32_e32 v13, 4, v13
	s_delay_alu instid0(VALU_DEP_1) | instskip(SKIP_1) | instid1(VALU_DEP_2)
	v_sub_nc_u32_e32 v12, v13, v12
	v_ashrrev_i32_e32 v13, 8, v14
	v_add_nc_u32_e32 v12, 0x3c000000, v12
	s_delay_alu instid0(VALU_DEP_1) | instskip(NEXT) | instid1(VALU_DEP_1)
	v_and_or_b32 v12, 0x7f800000, v13, v12
	v_cndmask_b32_e32 v8, 0, v12, vcc_lo
	s_delay_alu instid0(VALU_DEP_1) | instskip(NEXT) | instid1(VALU_DEP_1)
	v_and_or_b32 v7, 0x80000000, v7, v8
	v_cvt_f64_f32_e32 v[7:8], v7
.LBB393_1375:
	s_mov_b32 s0, 0
.LBB393_1376:
	s_delay_alu instid0(SALU_CYCLE_1)
	s_and_not1_b32 vcc_lo, exec_lo, s0
	s_cbranch_vccnz .LBB393_1378
; %bb.1377:
	global_load_u8 v7, v[10:11], off
	s_waitcnt vmcnt(0)
	v_lshlrev_b32_e32 v8, 25, v7
	v_lshlrev_b16 v7, 8, v7
	s_delay_alu instid0(VALU_DEP_1) | instskip(SKIP_1) | instid1(VALU_DEP_2)
	v_and_or_b32 v13, 0x7f00, v7, 0.5
	v_bfe_i32 v7, v7, 0, 16
	v_add_f32_e32 v13, -0.5, v13
	v_lshrrev_b32_e32 v12, 4, v8
	v_cmp_gt_u32_e32 vcc_lo, 0x8000000, v8
	s_delay_alu instid0(VALU_DEP_2) | instskip(NEXT) | instid1(VALU_DEP_1)
	v_or_b32_e32 v12, 0x70000000, v12
	v_mul_f32_e32 v12, 0x7800000, v12
	s_delay_alu instid0(VALU_DEP_1) | instskip(NEXT) | instid1(VALU_DEP_1)
	v_cndmask_b32_e32 v8, v12, v13, vcc_lo
	v_and_or_b32 v7, 0x80000000, v7, v8
	s_delay_alu instid0(VALU_DEP_1)
	v_cvt_f64_f32_e32 v[7:8], v7
.LBB393_1378:
	s_mov_b32 s1, 0
	s_mov_b32 s0, -1
.LBB393_1379:
	s_and_not1_b32 vcc_lo, exec_lo, s1
	s_mov_b32 s10, 0
	s_cbranch_vccnz .LBB393_1388
; %bb.1380:
	v_cmp_lt_i16_e32 vcc_lo, 14, v15
	s_cbranch_vccz .LBB393_1383
; %bb.1381:
	v_cmp_eq_u16_e32 vcc_lo, 15, v15
	s_cbranch_vccz .LBB393_1384
; %bb.1382:
	global_load_u16 v7, v[10:11], off
	s_mov_b32 s3, 0
	s_mov_b32 s0, -1
	s_waitcnt vmcnt(0)
	v_lshlrev_b32_e32 v7, 16, v7
	s_delay_alu instid0(VALU_DEP_1)
	v_cvt_f64_f32_e32 v[7:8], v7
	s_branch .LBB393_1385
.LBB393_1383:
	s_mov_b32 s1, -1
                                        ; implicit-def: $vgpr7_vgpr8
	s_branch .LBB393_1386
.LBB393_1384:
	s_mov_b32 s3, -1
                                        ; implicit-def: $vgpr7_vgpr8
.LBB393_1385:
	s_mov_b32 s1, 0
.LBB393_1386:
	s_delay_alu instid0(SALU_CYCLE_1)
	s_and_b32 vcc_lo, exec_lo, s1
	s_cbranch_vccz .LBB393_1388
; %bb.1387:
	v_cmp_ne_u16_e64 s3, 11, v15
	s_mov_b32 s10, -1
                                        ; implicit-def: $vgpr7_vgpr8
.LBB393_1388:
	s_delay_alu instid0(VALU_DEP_1)
	s_and_b32 vcc_lo, exec_lo, s3
	s_cbranch_vccnz .LBB393_1412
; %bb.1389:
	s_and_not1_b32 vcc_lo, exec_lo, s10
	s_cbranch_vccnz .LBB393_1391
.LBB393_1390:
	global_load_u8 v7, v[10:11], off
	s_mov_b32 s0, -1
	s_waitcnt vmcnt(0)
	v_cmp_ne_u16_e32 vcc_lo, 0, v7
	v_mov_b32_e32 v7, 0
	v_cndmask_b32_e64 v8, 0, 0x3ff00000, vcc_lo
.LBB393_1391:
.LBB393_1392:
	s_and_not1_b32 vcc_lo, exec_lo, s0
	s_cbranch_vccnz .LBB393_2049
.LBB393_1393:
	v_cmp_gt_i16_e32 vcc_lo, 11, v15
	v_add_co_u32 v11, s0, s6, v9
	s_delay_alu instid0(VALU_DEP_1)
	v_add_co_ci_u32_e64 v12, null, s7, 0, s0
	s_mov_b32 s0, 0
	s_cbranch_vccnz .LBB393_1400
; %bb.1394:
	v_cmp_lt_i16_e32 vcc_lo, 25, v15
	s_mov_b32 s10, 0
	s_cbranch_vccz .LBB393_1406
; %bb.1395:
	v_cmp_lt_i16_e32 vcc_lo, 28, v15
	s_cbranch_vccz .LBB393_1408
; %bb.1396:
	v_cmp_lt_i16_e32 vcc_lo, 43, v15
	;; [unrolled: 3-line block ×3, first 2 shown]
	s_cbranch_vccz .LBB393_1414
; %bb.1398:
	v_cmp_eq_u16_e32 vcc_lo, 46, v15
	s_mov_b32 s1, 0
	s_cbranch_vccz .LBB393_1457
; %bb.1399:
	global_load_b32 v9, v[11:12], off
	s_mov_b32 s3, 0
	s_mov_b32 s0, -1
	s_waitcnt vmcnt(0)
	v_lshlrev_b32_e32 v9, 16, v9
	s_delay_alu instid0(VALU_DEP_1)
	v_cvt_f64_f32_e32 v[9:10], v9
	s_branch .LBB393_1459
.LBB393_1400:
                                        ; implicit-def: $vgpr9_vgpr10
	s_cbranch_execz .LBB393_1525
; %bb.1401:
	v_cmp_gt_i16_e32 vcc_lo, 5, v15
	s_cbranch_vccnz .LBB393_1407
; %bb.1402:
	v_cmp_gt_i16_e32 vcc_lo, 8, v15
	s_cbranch_vccnz .LBB393_1409
	;; [unrolled: 3-line block ×3, first 2 shown]
; %bb.1404:
	v_cmp_lt_i16_e32 vcc_lo, 9, v15
	s_cbranch_vccz .LBB393_1415
; %bb.1405:
	global_load_b64 v[9:10], v[11:12], off
	s_mov_b32 s0, 0
	s_branch .LBB393_1416
.LBB393_1406:
	s_mov_b32 s1, -1
	s_mov_b32 s3, 0
                                        ; implicit-def: $vgpr9_vgpr10
	s_branch .LBB393_1490
.LBB393_1407:
	s_mov_b32 s0, -1
                                        ; implicit-def: $vgpr9_vgpr10
	s_branch .LBB393_1434
.LBB393_1408:
	s_mov_b32 s1, -1
	s_mov_b32 s3, 0
                                        ; implicit-def: $vgpr9_vgpr10
	s_branch .LBB393_1469
.LBB393_1409:
	s_mov_b32 s0, -1
                                        ; implicit-def: $vgpr9_vgpr10
	s_branch .LBB393_1422
.LBB393_1410:
	s_mov_b32 s1, -1
	s_mov_b32 s3, 0
                                        ; implicit-def: $vgpr9_vgpr10
	s_branch .LBB393_1464
.LBB393_1411:
	s_mov_b32 s0, -1
                                        ; implicit-def: $vgpr9_vgpr10
	s_branch .LBB393_1419
.LBB393_1412:
	s_cbranch_execnz .LBB393_1455
; %bb.1413:
	s_or_b32 s2, s2, exec_lo
                                        ; implicit-def: $vgpr7_vgpr8
	s_cbranch_execz .LBB393_1390
	s_branch .LBB393_1391
.LBB393_1414:
	s_mov_b32 s1, -1
	s_mov_b32 s3, 0
	s_branch .LBB393_1458
.LBB393_1415:
	s_mov_b32 s0, -1
                                        ; implicit-def: $vgpr9_vgpr10
.LBB393_1416:
	s_delay_alu instid0(SALU_CYCLE_1)
	s_and_not1_b32 vcc_lo, exec_lo, s0
	s_cbranch_vccnz .LBB393_1418
; %bb.1417:
	global_load_b32 v9, v[11:12], off
	s_waitcnt vmcnt(0)
	v_cvt_f64_f32_e32 v[9:10], v9
.LBB393_1418:
	s_mov_b32 s0, 0
.LBB393_1419:
	s_delay_alu instid0(SALU_CYCLE_1)
	s_and_not1_b32 vcc_lo, exec_lo, s0
	s_cbranch_vccnz .LBB393_1421
; %bb.1420:
	global_load_b32 v9, v[11:12], off
	s_waitcnt vmcnt(0)
	v_cvt_f32_f16_e32 v9, v9
	s_delay_alu instid0(VALU_DEP_1)
	v_cvt_f64_f32_e32 v[9:10], v9
.LBB393_1421:
	s_mov_b32 s0, 0
.LBB393_1422:
	s_delay_alu instid0(SALU_CYCLE_1)
	s_and_not1_b32 vcc_lo, exec_lo, s0
	s_cbranch_vccnz .LBB393_1433
; %bb.1423:
	v_cmp_gt_i16_e32 vcc_lo, 6, v15
	s_cbranch_vccnz .LBB393_1426
; %bb.1424:
	v_cmp_lt_i16_e32 vcc_lo, 6, v15
	s_cbranch_vccz .LBB393_1427
; %bb.1425:
	global_load_b64 v[9:10], v[11:12], off
	s_mov_b32 s0, 0
	s_branch .LBB393_1428
.LBB393_1426:
	s_mov_b32 s0, -1
                                        ; implicit-def: $vgpr9_vgpr10
	s_branch .LBB393_1431
.LBB393_1427:
	s_mov_b32 s0, -1
                                        ; implicit-def: $vgpr9_vgpr10
.LBB393_1428:
	s_delay_alu instid0(SALU_CYCLE_1)
	s_and_not1_b32 vcc_lo, exec_lo, s0
	s_cbranch_vccnz .LBB393_1430
; %bb.1429:
	global_load_b32 v9, v[11:12], off
	s_waitcnt vmcnt(0)
	v_cvt_f64_f32_e32 v[9:10], v9
.LBB393_1430:
	s_mov_b32 s0, 0
.LBB393_1431:
	s_delay_alu instid0(SALU_CYCLE_1)
	s_and_not1_b32 vcc_lo, exec_lo, s0
	s_cbranch_vccnz .LBB393_1433
; %bb.1432:
	global_load_u16 v9, v[11:12], off
	s_waitcnt vmcnt(0)
	v_cvt_f32_f16_e32 v9, v9
	s_delay_alu instid0(VALU_DEP_1)
	v_cvt_f64_f32_e32 v[9:10], v9
.LBB393_1433:
	s_mov_b32 s0, 0
.LBB393_1434:
	s_delay_alu instid0(SALU_CYCLE_1)
	s_and_not1_b32 vcc_lo, exec_lo, s0
	s_cbranch_vccnz .LBB393_1454
; %bb.1435:
	v_cmp_gt_i16_e32 vcc_lo, 2, v15
	s_cbranch_vccnz .LBB393_1439
; %bb.1436:
	v_cmp_gt_i16_e32 vcc_lo, 3, v15
	s_cbranch_vccnz .LBB393_1440
; %bb.1437:
	v_cmp_lt_i16_e32 vcc_lo, 3, v15
	s_cbranch_vccz .LBB393_1441
; %bb.1438:
	global_load_b64 v[9:10], v[11:12], off
	s_mov_b32 s0, 0
	s_waitcnt vmcnt(0)
	v_cvt_f64_i32_e32 v[13:14], v10
	v_cvt_f64_u32_e32 v[9:10], v9
	s_delay_alu instid0(VALU_DEP_2) | instskip(NEXT) | instid1(VALU_DEP_1)
	v_ldexp_f64 v[13:14], v[13:14], 32
	v_add_f64 v[9:10], v[13:14], v[9:10]
	s_branch .LBB393_1442
.LBB393_1439:
	s_mov_b32 s0, -1
                                        ; implicit-def: $vgpr9_vgpr10
	s_branch .LBB393_1448
.LBB393_1440:
	s_mov_b32 s0, -1
                                        ; implicit-def: $vgpr9_vgpr10
	s_branch .LBB393_1445
.LBB393_1441:
	s_mov_b32 s0, -1
                                        ; implicit-def: $vgpr9_vgpr10
.LBB393_1442:
	s_delay_alu instid0(SALU_CYCLE_1)
	s_and_not1_b32 vcc_lo, exec_lo, s0
	s_cbranch_vccnz .LBB393_1444
; %bb.1443:
	global_load_b32 v9, v[11:12], off
	s_waitcnt vmcnt(0)
	v_cvt_f64_i32_e32 v[9:10], v9
.LBB393_1444:
	s_mov_b32 s0, 0
.LBB393_1445:
	s_delay_alu instid0(SALU_CYCLE_1)
	s_and_not1_b32 vcc_lo, exec_lo, s0
	s_cbranch_vccnz .LBB393_1447
; %bb.1446:
	global_load_i16 v9, v[11:12], off
	s_waitcnt vmcnt(0)
	v_cvt_f64_i32_e32 v[9:10], v9
.LBB393_1447:
	s_mov_b32 s0, 0
.LBB393_1448:
	s_delay_alu instid0(SALU_CYCLE_1)
	s_and_not1_b32 vcc_lo, exec_lo, s0
	s_cbranch_vccnz .LBB393_1454
; %bb.1449:
	v_cmp_lt_i16_e32 vcc_lo, 0, v15
	s_mov_b32 s0, 0
	s_cbranch_vccz .LBB393_1451
; %bb.1450:
	global_load_i8 v9, v[11:12], off
	s_waitcnt vmcnt(0)
	v_cvt_f64_i32_e32 v[9:10], v9
	s_branch .LBB393_1452
.LBB393_1451:
	s_mov_b32 s0, -1
                                        ; implicit-def: $vgpr9_vgpr10
.LBB393_1452:
	s_delay_alu instid0(SALU_CYCLE_1)
	s_and_not1_b32 vcc_lo, exec_lo, s0
	s_cbranch_vccnz .LBB393_1454
; %bb.1453:
	global_load_u8 v9, v[11:12], off
	s_waitcnt vmcnt(0)
	v_cvt_f64_u32_e32 v[9:10], v9
.LBB393_1454:
	s_branch .LBB393_1526
.LBB393_1455:
	s_trap 2
	s_sendmsg_rtn_b32 s0, sendmsg(MSG_RTN_GET_DOORBELL)
	s_mov_b32 ttmp2, m0
	s_waitcnt lgkmcnt(0)
	s_and_b32 s0, s0, 0x3ff
	s_delay_alu instid0(SALU_CYCLE_1) | instskip(NEXT) | instid1(SALU_CYCLE_1)
	s_bitset1_b32 s0, 10
	s_mov_b32 m0, s0
	s_sendmsg sendmsg(MSG_INTERRUPT)
	s_mov_b32 m0, ttmp2
.LBB393_1456:                           ; =>This Inner Loop Header: Depth=1
	s_sethalt 5
	s_branch .LBB393_1456
.LBB393_1457:
	s_mov_b32 s3, -1
.LBB393_1458:
                                        ; implicit-def: $vgpr9_vgpr10
.LBB393_1459:
	s_and_b32 vcc_lo, exec_lo, s1
	s_cbranch_vccz .LBB393_1463
; %bb.1460:
	v_cmp_eq_u16_e32 vcc_lo, 44, v15
	s_cbranch_vccz .LBB393_1462
; %bb.1461:
	global_load_u8 v13, v[11:12], off
	s_mov_b32 s3, 0
	s_mov_b32 s0, -1
	s_waitcnt vmcnt(0)
	v_cmp_ne_u32_e32 vcc_lo, 0xff, v13
	v_lshlrev_b32_e32 v9, 23, v13
	s_delay_alu instid0(VALU_DEP_1) | instskip(NEXT) | instid1(VALU_DEP_1)
	v_cvt_f64_f32_e32 v[9:10], v9
	v_cndmask_b32_e32 v10, 0x7ff80000, v10, vcc_lo
	s_delay_alu instid0(VALU_DEP_2) | instskip(SKIP_1) | instid1(VALU_DEP_3)
	v_cndmask_b32_e32 v9, 0x20000000, v9, vcc_lo
	v_cmp_ne_u32_e32 vcc_lo, 0, v13
	v_cndmask_b32_e32 v10, 0x38000000, v10, vcc_lo
	s_delay_alu instid0(VALU_DEP_3)
	v_cndmask_b32_e32 v9, 0, v9, vcc_lo
	s_branch .LBB393_1463
.LBB393_1462:
	s_mov_b32 s3, -1
                                        ; implicit-def: $vgpr9_vgpr10
.LBB393_1463:
	s_mov_b32 s1, 0
.LBB393_1464:
	s_delay_alu instid0(SALU_CYCLE_1)
	s_and_b32 vcc_lo, exec_lo, s1
	s_cbranch_vccz .LBB393_1468
; %bb.1465:
	v_cmp_eq_u16_e32 vcc_lo, 29, v15
	s_cbranch_vccz .LBB393_1467
; %bb.1466:
	global_load_b64 v[9:10], v[11:12], off
	s_mov_b32 s3, 0
	s_mov_b32 s0, -1
	s_mov_b32 s1, 0
	s_waitcnt vmcnt(0)
	v_cvt_f64_u32_e32 v[13:14], v10
	v_cvt_f64_u32_e32 v[9:10], v9
	s_delay_alu instid0(VALU_DEP_2) | instskip(NEXT) | instid1(VALU_DEP_1)
	v_ldexp_f64 v[13:14], v[13:14], 32
	v_add_f64 v[9:10], v[13:14], v[9:10]
	s_branch .LBB393_1469
.LBB393_1467:
	s_mov_b32 s3, -1
                                        ; implicit-def: $vgpr9_vgpr10
.LBB393_1468:
	s_mov_b32 s1, 0
.LBB393_1469:
	s_delay_alu instid0(SALU_CYCLE_1)
	s_and_b32 vcc_lo, exec_lo, s1
	s_cbranch_vccz .LBB393_1489
; %bb.1470:
	v_cmp_gt_i16_e32 vcc_lo, 27, v15
	s_cbranch_vccnz .LBB393_1473
; %bb.1471:
	v_cmp_lt_i16_e32 vcc_lo, 27, v15
	s_cbranch_vccz .LBB393_1474
; %bb.1472:
	global_load_b32 v9, v[11:12], off
	s_mov_b32 s0, 0
	s_waitcnt vmcnt(0)
	v_cvt_f64_u32_e32 v[9:10], v9
	s_branch .LBB393_1475
.LBB393_1473:
	s_mov_b32 s0, -1
                                        ; implicit-def: $vgpr9_vgpr10
	s_branch .LBB393_1478
.LBB393_1474:
	s_mov_b32 s0, -1
                                        ; implicit-def: $vgpr9_vgpr10
.LBB393_1475:
	s_delay_alu instid0(SALU_CYCLE_1)
	s_and_not1_b32 vcc_lo, exec_lo, s0
	s_cbranch_vccnz .LBB393_1477
; %bb.1476:
	global_load_u16 v9, v[11:12], off
	s_waitcnt vmcnt(0)
	v_cvt_f64_u32_e32 v[9:10], v9
.LBB393_1477:
	s_mov_b32 s0, 0
.LBB393_1478:
	s_delay_alu instid0(SALU_CYCLE_1)
	s_and_not1_b32 vcc_lo, exec_lo, s0
	s_cbranch_vccnz .LBB393_1488
; %bb.1479:
	global_load_u8 v13, v[11:12], off
	s_mov_b32 s11, 0
	s_mov_b32 s12, exec_lo
                                        ; implicit-def: $sgpr0_sgpr1
	s_waitcnt vmcnt(0)
	v_cmpx_lt_i16_e32 0x7f, v13
	s_xor_b32 s12, exec_lo, s12
	s_cbranch_execz .LBB393_1483
; %bb.1480:
	s_mov_b32 s13, -1
	s_mov_b32 s11, exec_lo
                                        ; implicit-def: $sgpr0_sgpr1
	v_cmpx_eq_u16_e32 0x80, v13
; %bb.1481:
	s_mov_b32 s1, 0x7ff80000
	s_brev_b32 s0, 4
	s_xor_b32 s13, exec_lo, -1
; %bb.1482:
	s_or_b32 exec_lo, exec_lo, s11
	s_delay_alu instid0(SALU_CYCLE_1)
	s_and_b32 s11, s13, exec_lo
.LBB393_1483:
	s_or_saveexec_b32 s12, s12
	v_dual_mov_b32 v10, s1 :: v_dual_mov_b32 v9, s0
	s_xor_b32 exec_lo, exec_lo, s12
; %bb.1484:
	v_cmp_ne_u16_e32 vcc_lo, 0, v13
	v_mov_b32_e32 v9, 0
	v_mov_b32_e32 v10, 0
	s_and_not1_b32 s0, s11, exec_lo
	s_and_b32 s1, vcc_lo, exec_lo
	s_delay_alu instid0(SALU_CYCLE_1)
	s_or_b32 s11, s0, s1
; %bb.1485:
	s_or_b32 exec_lo, exec_lo, s12
	s_and_saveexec_b32 s0, s11
	s_cbranch_execz .LBB393_1487
; %bb.1486:
	v_and_b32_e32 v9, 0xffff, v13
	v_lshlrev_b32_e32 v13, 24, v13
	s_delay_alu instid0(VALU_DEP_2) | instskip(NEXT) | instid1(VALU_DEP_2)
	v_and_b32_e32 v10, 7, v9
	v_and_b32_e32 v13, 0x80000000, v13
	s_delay_alu instid0(VALU_DEP_2) | instskip(NEXT) | instid1(VALU_DEP_1)
	v_clz_i32_u32_e32 v14, v10
	v_min_u32_e32 v14, 32, v14
	s_delay_alu instid0(VALU_DEP_1) | instskip(SKIP_1) | instid1(VALU_DEP_2)
	v_subrev_nc_u32_e32 v16, 28, v14
	v_sub_nc_u32_e32 v14, 29, v14
	v_lshlrev_b32_e32 v16, v16, v9
	v_bfe_u32 v9, v9, 3, 4
	s_delay_alu instid0(VALU_DEP_2) | instskip(NEXT) | instid1(VALU_DEP_2)
	v_and_b32_e32 v16, 7, v16
	v_cmp_eq_u32_e32 vcc_lo, 0, v9
	s_delay_alu instid0(VALU_DEP_2) | instskip(NEXT) | instid1(VALU_DEP_1)
	v_dual_cndmask_b32 v9, v9, v14 :: v_dual_cndmask_b32 v10, v10, v16
	v_lshl_add_u32 v9, v9, 23, 0x3b800000
	s_delay_alu instid0(VALU_DEP_2) | instskip(NEXT) | instid1(VALU_DEP_1)
	v_lshlrev_b32_e32 v10, 20, v10
	v_or3_b32 v9, v13, v9, v10
	s_delay_alu instid0(VALU_DEP_1)
	v_cvt_f64_f32_e32 v[9:10], v9
.LBB393_1487:
	s_or_b32 exec_lo, exec_lo, s0
.LBB393_1488:
	s_mov_b32 s0, -1
.LBB393_1489:
	s_mov_b32 s1, 0
.LBB393_1490:
	s_delay_alu instid0(SALU_CYCLE_1)
	s_and_b32 vcc_lo, exec_lo, s1
	s_cbranch_vccz .LBB393_1521
; %bb.1491:
	v_cmp_lt_i16_e32 vcc_lo, 22, v15
	s_cbranch_vccz .LBB393_1503
; %bb.1492:
	v_cmp_gt_i16_e32 vcc_lo, 24, v15
	s_cbranch_vccnz .LBB393_1504
; %bb.1493:
	v_cmp_lt_i16_e32 vcc_lo, 24, v15
	s_cbranch_vccz .LBB393_1505
; %bb.1494:
	global_load_u8 v13, v[11:12], off
	s_mov_b32 s11, exec_lo
                                        ; implicit-def: $sgpr0_sgpr1
	s_waitcnt vmcnt(0)
	v_cmpx_lt_i16_e32 0x7f, v13
	s_xor_b32 s11, exec_lo, s11
	s_cbranch_execz .LBB393_1498
; %bb.1495:
	s_mov_b32 s12, -1
	s_mov_b32 s10, exec_lo
                                        ; implicit-def: $sgpr0_sgpr1
	v_cmpx_eq_u16_e32 0x80, v13
; %bb.1496:
	s_mov_b32 s1, 0x7ff80000
	s_brev_b32 s0, 4
	s_xor_b32 s12, exec_lo, -1
; %bb.1497:
	s_or_b32 exec_lo, exec_lo, s10
	s_delay_alu instid0(SALU_CYCLE_1)
	s_and_b32 s10, s12, exec_lo
.LBB393_1498:
	s_or_saveexec_b32 s11, s11
	v_dual_mov_b32 v10, s1 :: v_dual_mov_b32 v9, s0
	s_xor_b32 exec_lo, exec_lo, s11
; %bb.1499:
	v_cmp_ne_u16_e32 vcc_lo, 0, v13
	v_mov_b32_e32 v9, 0
	v_mov_b32_e32 v10, 0
	s_and_not1_b32 s0, s10, exec_lo
	s_and_b32 s1, vcc_lo, exec_lo
	s_delay_alu instid0(SALU_CYCLE_1)
	s_or_b32 s10, s0, s1
; %bb.1500:
	s_or_b32 exec_lo, exec_lo, s11
	s_and_saveexec_b32 s0, s10
	s_cbranch_execz .LBB393_1502
; %bb.1501:
	v_and_b32_e32 v9, 0xffff, v13
	v_lshlrev_b32_e32 v13, 24, v13
	s_delay_alu instid0(VALU_DEP_2) | instskip(NEXT) | instid1(VALU_DEP_2)
	v_and_b32_e32 v10, 3, v9
	v_and_b32_e32 v13, 0x80000000, v13
	s_delay_alu instid0(VALU_DEP_2) | instskip(NEXT) | instid1(VALU_DEP_1)
	v_clz_i32_u32_e32 v14, v10
	v_min_u32_e32 v14, 32, v14
	s_delay_alu instid0(VALU_DEP_1) | instskip(SKIP_1) | instid1(VALU_DEP_2)
	v_subrev_nc_u32_e32 v16, 29, v14
	v_sub_nc_u32_e32 v14, 30, v14
	v_lshlrev_b32_e32 v16, v16, v9
	v_bfe_u32 v9, v9, 2, 5
	s_delay_alu instid0(VALU_DEP_2) | instskip(NEXT) | instid1(VALU_DEP_2)
	v_and_b32_e32 v16, 3, v16
	v_cmp_eq_u32_e32 vcc_lo, 0, v9
	s_delay_alu instid0(VALU_DEP_2) | instskip(NEXT) | instid1(VALU_DEP_1)
	v_dual_cndmask_b32 v9, v9, v14 :: v_dual_cndmask_b32 v10, v10, v16
	v_lshl_add_u32 v9, v9, 23, 0x37800000
	s_delay_alu instid0(VALU_DEP_2) | instskip(NEXT) | instid1(VALU_DEP_1)
	v_lshlrev_b32_e32 v10, 21, v10
	v_or3_b32 v9, v13, v9, v10
	s_delay_alu instid0(VALU_DEP_1)
	v_cvt_f64_f32_e32 v[9:10], v9
.LBB393_1502:
	s_or_b32 exec_lo, exec_lo, s0
	s_mov_b32 s0, 0
	s_branch .LBB393_1506
.LBB393_1503:
	s_mov_b32 s1, -1
                                        ; implicit-def: $vgpr9_vgpr10
	s_branch .LBB393_1512
.LBB393_1504:
	s_mov_b32 s0, -1
                                        ; implicit-def: $vgpr9_vgpr10
	s_branch .LBB393_1509
.LBB393_1505:
	s_mov_b32 s0, -1
                                        ; implicit-def: $vgpr9_vgpr10
.LBB393_1506:
	s_delay_alu instid0(SALU_CYCLE_1)
	s_and_b32 vcc_lo, exec_lo, s0
	s_cbranch_vccz .LBB393_1508
; %bb.1507:
	global_load_u8 v9, v[11:12], off
	s_waitcnt vmcnt(0)
	v_lshlrev_b32_e32 v9, 24, v9
	s_delay_alu instid0(VALU_DEP_1) | instskip(NEXT) | instid1(VALU_DEP_1)
	v_and_b32_e32 v10, 0x7f000000, v9
	v_clz_i32_u32_e32 v13, v10
	v_add_nc_u32_e32 v16, 0x1000000, v10
	v_cmp_ne_u32_e32 vcc_lo, 0, v10
	s_delay_alu instid0(VALU_DEP_3) | instskip(NEXT) | instid1(VALU_DEP_1)
	v_min_u32_e32 v13, 32, v13
	v_sub_nc_u32_e64 v13, v13, 4 clamp
	s_delay_alu instid0(VALU_DEP_1) | instskip(SKIP_1) | instid1(VALU_DEP_2)
	v_lshlrev_b32_e32 v14, v13, v10
	v_lshlrev_b32_e32 v13, 23, v13
	v_lshrrev_b32_e32 v14, 4, v14
	s_delay_alu instid0(VALU_DEP_1) | instskip(SKIP_1) | instid1(VALU_DEP_2)
	v_sub_nc_u32_e32 v13, v14, v13
	v_ashrrev_i32_e32 v14, 8, v16
	v_add_nc_u32_e32 v13, 0x3c000000, v13
	s_delay_alu instid0(VALU_DEP_1) | instskip(NEXT) | instid1(VALU_DEP_1)
	v_and_or_b32 v13, 0x7f800000, v14, v13
	v_cndmask_b32_e32 v10, 0, v13, vcc_lo
	s_delay_alu instid0(VALU_DEP_1) | instskip(NEXT) | instid1(VALU_DEP_1)
	v_and_or_b32 v9, 0x80000000, v9, v10
	v_cvt_f64_f32_e32 v[9:10], v9
.LBB393_1508:
	s_mov_b32 s0, 0
.LBB393_1509:
	s_delay_alu instid0(SALU_CYCLE_1)
	s_and_not1_b32 vcc_lo, exec_lo, s0
	s_cbranch_vccnz .LBB393_1511
; %bb.1510:
	global_load_u8 v9, v[11:12], off
	s_waitcnt vmcnt(0)
	v_lshlrev_b32_e32 v10, 25, v9
	v_lshlrev_b16 v9, 8, v9
	s_delay_alu instid0(VALU_DEP_2) | instskip(NEXT) | instid1(VALU_DEP_2)
	v_lshrrev_b32_e32 v13, 4, v10
	v_and_or_b32 v14, 0x7f00, v9, 0.5
	v_cmp_gt_u32_e32 vcc_lo, 0x8000000, v10
	v_bfe_i32 v9, v9, 0, 16
	s_delay_alu instid0(VALU_DEP_4) | instskip(NEXT) | instid1(VALU_DEP_1)
	v_or_b32_e32 v13, 0x70000000, v13
	v_dual_add_f32 v14, -0.5, v14 :: v_dual_mul_f32 v13, 0x7800000, v13
	s_delay_alu instid0(VALU_DEP_1) | instskip(NEXT) | instid1(VALU_DEP_1)
	v_cndmask_b32_e32 v10, v13, v14, vcc_lo
	v_and_or_b32 v9, 0x80000000, v9, v10
	s_delay_alu instid0(VALU_DEP_1)
	v_cvt_f64_f32_e32 v[9:10], v9
.LBB393_1511:
	s_mov_b32 s1, 0
	s_mov_b32 s0, -1
.LBB393_1512:
	s_and_not1_b32 vcc_lo, exec_lo, s1
	s_mov_b32 s10, 0
	s_cbranch_vccnz .LBB393_1521
; %bb.1513:
	v_cmp_lt_i16_e32 vcc_lo, 14, v15
	s_cbranch_vccz .LBB393_1516
; %bb.1514:
	v_cmp_eq_u16_e32 vcc_lo, 15, v15
	s_cbranch_vccz .LBB393_1517
; %bb.1515:
	global_load_u16 v9, v[11:12], off
	s_mov_b32 s3, 0
	s_mov_b32 s0, -1
	s_waitcnt vmcnt(0)
	v_lshlrev_b32_e32 v9, 16, v9
	s_delay_alu instid0(VALU_DEP_1)
	v_cvt_f64_f32_e32 v[9:10], v9
	s_branch .LBB393_1518
.LBB393_1516:
	s_mov_b32 s1, -1
                                        ; implicit-def: $vgpr9_vgpr10
	s_branch .LBB393_1519
.LBB393_1517:
	s_mov_b32 s3, -1
                                        ; implicit-def: $vgpr9_vgpr10
.LBB393_1518:
	s_mov_b32 s1, 0
.LBB393_1519:
	s_delay_alu instid0(SALU_CYCLE_1)
	s_and_b32 vcc_lo, exec_lo, s1
	s_cbranch_vccz .LBB393_1521
; %bb.1520:
	v_cmp_ne_u16_e64 s3, 11, v15
	s_mov_b32 s10, -1
                                        ; implicit-def: $vgpr9_vgpr10
.LBB393_1521:
	s_delay_alu instid0(VALU_DEP_1)
	s_and_b32 vcc_lo, exec_lo, s3
	s_cbranch_vccnz .LBB393_1537
; %bb.1522:
	s_and_not1_b32 vcc_lo, exec_lo, s10
	s_cbranch_vccnz .LBB393_1524
.LBB393_1523:
	global_load_u8 v9, v[11:12], off
	s_mov_b32 s0, -1
	s_waitcnt vmcnt(0)
	v_cmp_ne_u16_e32 vcc_lo, 0, v9
	v_mov_b32_e32 v9, 0
	v_cndmask_b32_e64 v10, 0, 0x3ff00000, vcc_lo
.LBB393_1524:
.LBB393_1525:
	s_and_not1_b32 vcc_lo, exec_lo, s0
	s_cbranch_vccnz .LBB393_2049
.LBB393_1526:
	v_cmp_gt_i16_e32 vcc_lo, 11, v15
	v_add_co_u32 v13, s0, s6, v1
	s_delay_alu instid0(VALU_DEP_1)
	v_add_co_ci_u32_e64 v14, null, s7, 0, s0
	s_mov_b32 s0, 0
	s_cbranch_vccnz .LBB393_1533
; %bb.1527:
	v_cmp_lt_i16_e32 vcc_lo, 25, v15
	s_mov_b32 s6, 0
	s_cbranch_vccz .LBB393_1534
; %bb.1528:
	v_cmp_lt_i16_e32 vcc_lo, 28, v15
	s_cbranch_vccz .LBB393_1535
; %bb.1529:
	v_cmp_lt_i16_e32 vcc_lo, 43, v15
	;; [unrolled: 3-line block ×3, first 2 shown]
	s_cbranch_vccz .LBB393_1539
; %bb.1531:
	v_cmp_eq_u16_e32 vcc_lo, 46, v15
	s_mov_b32 s1, 0
	s_cbranch_vccz .LBB393_1542
; %bb.1532:
	global_load_b32 v1, v[13:14], off
	s_mov_b32 s3, 0
	s_mov_b32 s0, -1
	s_waitcnt vmcnt(0)
	v_lshlrev_b32_e32 v1, 16, v1
	s_delay_alu instid0(VALU_DEP_1)
	v_cvt_f64_f32_e32 v[11:12], v1
	s_branch .LBB393_1544
.LBB393_1533:
	s_mov_b32 s1, -1
                                        ; implicit-def: $vgpr11_vgpr12
	s_branch .LBB393_1610
.LBB393_1534:
	s_mov_b32 s1, -1
	s_mov_b32 s3, 0
                                        ; implicit-def: $vgpr11_vgpr12
	s_branch .LBB393_1575
.LBB393_1535:
	s_mov_b32 s1, -1
	s_mov_b32 s3, 0
                                        ; implicit-def: $vgpr11_vgpr12
	s_branch .LBB393_1554
.LBB393_1536:
	s_mov_b32 s1, -1
	s_mov_b32 s3, 0
                                        ; implicit-def: $vgpr11_vgpr12
	s_branch .LBB393_1549
.LBB393_1537:
	s_cbranch_execnz .LBB393_1540
; %bb.1538:
	s_or_b32 s2, s2, exec_lo
                                        ; implicit-def: $vgpr9_vgpr10
	s_cbranch_execz .LBB393_1523
	s_branch .LBB393_1524
.LBB393_1539:
	s_mov_b32 s1, -1
	s_mov_b32 s3, 0
	s_branch .LBB393_1543
.LBB393_1540:
	s_trap 2
	s_sendmsg_rtn_b32 s0, sendmsg(MSG_RTN_GET_DOORBELL)
	s_mov_b32 ttmp2, m0
	s_waitcnt lgkmcnt(0)
	s_and_b32 s0, s0, 0x3ff
	s_delay_alu instid0(SALU_CYCLE_1) | instskip(NEXT) | instid1(SALU_CYCLE_1)
	s_bitset1_b32 s0, 10
	s_mov_b32 m0, s0
	s_sendmsg sendmsg(MSG_INTERRUPT)
	s_mov_b32 m0, ttmp2
.LBB393_1541:                           ; =>This Inner Loop Header: Depth=1
	s_sethalt 5
	s_branch .LBB393_1541
.LBB393_1542:
	s_mov_b32 s3, -1
.LBB393_1543:
                                        ; implicit-def: $vgpr11_vgpr12
.LBB393_1544:
	s_and_b32 vcc_lo, exec_lo, s1
	s_cbranch_vccz .LBB393_1548
; %bb.1545:
	v_cmp_eq_u16_e32 vcc_lo, 44, v15
	s_cbranch_vccz .LBB393_1547
; %bb.1546:
	global_load_u8 v1, v[13:14], off
	s_mov_b32 s3, 0
	s_mov_b32 s0, -1
	s_waitcnt vmcnt(0)
	v_cmp_ne_u32_e32 vcc_lo, 0xff, v1
	v_lshlrev_b32_e32 v11, 23, v1
	s_delay_alu instid0(VALU_DEP_1) | instskip(NEXT) | instid1(VALU_DEP_1)
	v_cvt_f64_f32_e32 v[11:12], v11
	v_cndmask_b32_e32 v12, 0x7ff80000, v12, vcc_lo
	s_delay_alu instid0(VALU_DEP_2) | instskip(SKIP_1) | instid1(VALU_DEP_3)
	v_cndmask_b32_e32 v11, 0x20000000, v11, vcc_lo
	v_cmp_ne_u32_e32 vcc_lo, 0, v1
	v_cndmask_b32_e32 v12, 0x38000000, v12, vcc_lo
	s_delay_alu instid0(VALU_DEP_3)
	v_cndmask_b32_e32 v11, 0, v11, vcc_lo
	s_branch .LBB393_1548
.LBB393_1547:
	s_mov_b32 s3, -1
                                        ; implicit-def: $vgpr11_vgpr12
.LBB393_1548:
	s_mov_b32 s1, 0
.LBB393_1549:
	s_delay_alu instid0(SALU_CYCLE_1)
	s_and_b32 vcc_lo, exec_lo, s1
	s_cbranch_vccz .LBB393_1553
; %bb.1550:
	v_cmp_eq_u16_e32 vcc_lo, 29, v15
	s_cbranch_vccz .LBB393_1552
; %bb.1551:
	global_load_b64 v[11:12], v[13:14], off
	s_mov_b32 s3, 0
	s_mov_b32 s0, -1
	s_mov_b32 s1, 0
	s_waitcnt vmcnt(0)
	v_cvt_f64_u32_e32 v[16:17], v12
	v_cvt_f64_u32_e32 v[11:12], v11
	s_delay_alu instid0(VALU_DEP_2) | instskip(NEXT) | instid1(VALU_DEP_1)
	v_ldexp_f64 v[16:17], v[16:17], 32
	v_add_f64 v[11:12], v[16:17], v[11:12]
	s_branch .LBB393_1554
.LBB393_1552:
	s_mov_b32 s3, -1
                                        ; implicit-def: $vgpr11_vgpr12
.LBB393_1553:
	s_mov_b32 s1, 0
.LBB393_1554:
	s_delay_alu instid0(SALU_CYCLE_1)
	s_and_b32 vcc_lo, exec_lo, s1
	s_cbranch_vccz .LBB393_1574
; %bb.1555:
	v_cmp_gt_i16_e32 vcc_lo, 27, v15
	s_cbranch_vccnz .LBB393_1558
; %bb.1556:
	v_cmp_lt_i16_e32 vcc_lo, 27, v15
	s_cbranch_vccz .LBB393_1559
; %bb.1557:
	global_load_b32 v1, v[13:14], off
	s_mov_b32 s0, 0
	s_waitcnt vmcnt(0)
	v_cvt_f64_u32_e32 v[11:12], v1
	s_branch .LBB393_1560
.LBB393_1558:
	s_mov_b32 s0, -1
                                        ; implicit-def: $vgpr11_vgpr12
	s_branch .LBB393_1563
.LBB393_1559:
	s_mov_b32 s0, -1
                                        ; implicit-def: $vgpr11_vgpr12
.LBB393_1560:
	s_delay_alu instid0(SALU_CYCLE_1)
	s_and_not1_b32 vcc_lo, exec_lo, s0
	s_cbranch_vccnz .LBB393_1562
; %bb.1561:
	global_load_u16 v1, v[13:14], off
	s_waitcnt vmcnt(0)
	v_cvt_f64_u32_e32 v[11:12], v1
.LBB393_1562:
	s_mov_b32 s0, 0
.LBB393_1563:
	s_delay_alu instid0(SALU_CYCLE_1)
	s_and_not1_b32 vcc_lo, exec_lo, s0
	s_cbranch_vccnz .LBB393_1573
; %bb.1564:
	global_load_u8 v1, v[13:14], off
	s_mov_b32 s7, 0
	s_mov_b32 s10, exec_lo
                                        ; implicit-def: $sgpr0_sgpr1
	s_waitcnt vmcnt(0)
	v_cmpx_lt_i16_e32 0x7f, v1
	s_xor_b32 s10, exec_lo, s10
	s_cbranch_execz .LBB393_1568
; %bb.1565:
	s_mov_b32 s11, -1
	s_mov_b32 s7, exec_lo
                                        ; implicit-def: $sgpr0_sgpr1
	v_cmpx_eq_u16_e32 0x80, v1
; %bb.1566:
	s_mov_b32 s1, 0x7ff80000
	s_brev_b32 s0, 4
	s_xor_b32 s11, exec_lo, -1
; %bb.1567:
	s_or_b32 exec_lo, exec_lo, s7
	s_delay_alu instid0(SALU_CYCLE_1)
	s_and_b32 s7, s11, exec_lo
.LBB393_1568:
	s_or_saveexec_b32 s10, s10
	v_dual_mov_b32 v12, s1 :: v_dual_mov_b32 v11, s0
	s_xor_b32 exec_lo, exec_lo, s10
; %bb.1569:
	v_cmp_ne_u16_e32 vcc_lo, 0, v1
	v_mov_b32_e32 v11, 0
	v_mov_b32_e32 v12, 0
	s_and_not1_b32 s0, s7, exec_lo
	s_and_b32 s1, vcc_lo, exec_lo
	s_delay_alu instid0(SALU_CYCLE_1)
	s_or_b32 s7, s0, s1
; %bb.1570:
	s_or_b32 exec_lo, exec_lo, s10
	s_and_saveexec_b32 s0, s7
	s_cbranch_execz .LBB393_1572
; %bb.1571:
	v_and_b32_e32 v11, 0xffff, v1
	v_lshlrev_b32_e32 v1, 24, v1
	s_delay_alu instid0(VALU_DEP_2) | instskip(NEXT) | instid1(VALU_DEP_2)
	v_and_b32_e32 v12, 7, v11
	v_and_b32_e32 v1, 0x80000000, v1
	s_delay_alu instid0(VALU_DEP_2) | instskip(NEXT) | instid1(VALU_DEP_1)
	v_clz_i32_u32_e32 v16, v12
	v_min_u32_e32 v16, 32, v16
	s_delay_alu instid0(VALU_DEP_1) | instskip(SKIP_1) | instid1(VALU_DEP_2)
	v_subrev_nc_u32_e32 v17, 28, v16
	v_sub_nc_u32_e32 v16, 29, v16
	v_lshlrev_b32_e32 v17, v17, v11
	v_bfe_u32 v11, v11, 3, 4
	s_delay_alu instid0(VALU_DEP_2) | instskip(NEXT) | instid1(VALU_DEP_2)
	v_and_b32_e32 v17, 7, v17
	v_cmp_eq_u32_e32 vcc_lo, 0, v11
	s_delay_alu instid0(VALU_DEP_2) | instskip(NEXT) | instid1(VALU_DEP_1)
	v_dual_cndmask_b32 v11, v11, v16 :: v_dual_cndmask_b32 v12, v12, v17
	v_lshl_add_u32 v11, v11, 23, 0x3b800000
	s_delay_alu instid0(VALU_DEP_2) | instskip(NEXT) | instid1(VALU_DEP_1)
	v_lshlrev_b32_e32 v12, 20, v12
	v_or3_b32 v1, v1, v11, v12
	s_delay_alu instid0(VALU_DEP_1)
	v_cvt_f64_f32_e32 v[11:12], v1
.LBB393_1572:
	s_or_b32 exec_lo, exec_lo, s0
.LBB393_1573:
	s_mov_b32 s0, -1
.LBB393_1574:
	s_mov_b32 s1, 0
.LBB393_1575:
	s_delay_alu instid0(SALU_CYCLE_1)
	s_and_b32 vcc_lo, exec_lo, s1
	s_cbranch_vccz .LBB393_1606
; %bb.1576:
	v_cmp_lt_i16_e32 vcc_lo, 22, v15
	s_cbranch_vccz .LBB393_1588
; %bb.1577:
	v_cmp_gt_i16_e32 vcc_lo, 24, v15
	s_cbranch_vccnz .LBB393_1589
; %bb.1578:
	v_cmp_lt_i16_e32 vcc_lo, 24, v15
	s_cbranch_vccz .LBB393_1590
; %bb.1579:
	global_load_u8 v1, v[13:14], off
	s_mov_b32 s7, exec_lo
                                        ; implicit-def: $sgpr0_sgpr1
	s_waitcnt vmcnt(0)
	v_cmpx_lt_i16_e32 0x7f, v1
	s_xor_b32 s7, exec_lo, s7
	s_cbranch_execz .LBB393_1583
; %bb.1580:
	s_mov_b32 s10, -1
	s_mov_b32 s6, exec_lo
                                        ; implicit-def: $sgpr0_sgpr1
	v_cmpx_eq_u16_e32 0x80, v1
; %bb.1581:
	s_mov_b32 s1, 0x7ff80000
	s_brev_b32 s0, 4
	s_xor_b32 s10, exec_lo, -1
; %bb.1582:
	s_or_b32 exec_lo, exec_lo, s6
	s_delay_alu instid0(SALU_CYCLE_1)
	s_and_b32 s6, s10, exec_lo
.LBB393_1583:
	s_or_saveexec_b32 s7, s7
	v_dual_mov_b32 v12, s1 :: v_dual_mov_b32 v11, s0
	s_xor_b32 exec_lo, exec_lo, s7
; %bb.1584:
	v_cmp_ne_u16_e32 vcc_lo, 0, v1
	v_mov_b32_e32 v11, 0
	v_mov_b32_e32 v12, 0
	s_and_not1_b32 s0, s6, exec_lo
	s_and_b32 s1, vcc_lo, exec_lo
	s_delay_alu instid0(SALU_CYCLE_1)
	s_or_b32 s6, s0, s1
; %bb.1585:
	s_or_b32 exec_lo, exec_lo, s7
	s_and_saveexec_b32 s0, s6
	s_cbranch_execz .LBB393_1587
; %bb.1586:
	v_and_b32_e32 v11, 0xffff, v1
	v_lshlrev_b32_e32 v1, 24, v1
	s_delay_alu instid0(VALU_DEP_2) | instskip(NEXT) | instid1(VALU_DEP_2)
	v_and_b32_e32 v12, 3, v11
	v_and_b32_e32 v1, 0x80000000, v1
	s_delay_alu instid0(VALU_DEP_2) | instskip(NEXT) | instid1(VALU_DEP_1)
	v_clz_i32_u32_e32 v16, v12
	v_min_u32_e32 v16, 32, v16
	s_delay_alu instid0(VALU_DEP_1) | instskip(SKIP_1) | instid1(VALU_DEP_2)
	v_subrev_nc_u32_e32 v17, 29, v16
	v_sub_nc_u32_e32 v16, 30, v16
	v_lshlrev_b32_e32 v17, v17, v11
	v_bfe_u32 v11, v11, 2, 5
	s_delay_alu instid0(VALU_DEP_2) | instskip(NEXT) | instid1(VALU_DEP_2)
	v_and_b32_e32 v17, 3, v17
	v_cmp_eq_u32_e32 vcc_lo, 0, v11
	s_delay_alu instid0(VALU_DEP_2) | instskip(NEXT) | instid1(VALU_DEP_1)
	v_dual_cndmask_b32 v11, v11, v16 :: v_dual_cndmask_b32 v12, v12, v17
	v_lshl_add_u32 v11, v11, 23, 0x37800000
	s_delay_alu instid0(VALU_DEP_2) | instskip(NEXT) | instid1(VALU_DEP_1)
	v_lshlrev_b32_e32 v12, 21, v12
	v_or3_b32 v1, v1, v11, v12
	s_delay_alu instid0(VALU_DEP_1)
	v_cvt_f64_f32_e32 v[11:12], v1
.LBB393_1587:
	s_or_b32 exec_lo, exec_lo, s0
	s_mov_b32 s0, 0
	s_branch .LBB393_1591
.LBB393_1588:
	s_mov_b32 s1, -1
                                        ; implicit-def: $vgpr11_vgpr12
	s_branch .LBB393_1597
.LBB393_1589:
	s_mov_b32 s0, -1
                                        ; implicit-def: $vgpr11_vgpr12
	s_branch .LBB393_1594
.LBB393_1590:
	s_mov_b32 s0, -1
                                        ; implicit-def: $vgpr11_vgpr12
.LBB393_1591:
	s_delay_alu instid0(SALU_CYCLE_1)
	s_and_b32 vcc_lo, exec_lo, s0
	s_cbranch_vccz .LBB393_1593
; %bb.1592:
	global_load_u8 v1, v[13:14], off
	s_waitcnt vmcnt(0)
	v_lshlrev_b32_e32 v1, 24, v1
	s_delay_alu instid0(VALU_DEP_1) | instskip(NEXT) | instid1(VALU_DEP_1)
	v_and_b32_e32 v11, 0x7f000000, v1
	v_clz_i32_u32_e32 v12, v11
	v_cmp_ne_u32_e32 vcc_lo, 0, v11
	v_add_nc_u32_e32 v17, 0x1000000, v11
	s_delay_alu instid0(VALU_DEP_3) | instskip(NEXT) | instid1(VALU_DEP_1)
	v_min_u32_e32 v12, 32, v12
	v_sub_nc_u32_e64 v12, v12, 4 clamp
	s_delay_alu instid0(VALU_DEP_1) | instskip(SKIP_1) | instid1(VALU_DEP_2)
	v_lshlrev_b32_e32 v16, v12, v11
	v_lshlrev_b32_e32 v12, 23, v12
	v_lshrrev_b32_e32 v16, 4, v16
	s_delay_alu instid0(VALU_DEP_1) | instskip(SKIP_1) | instid1(VALU_DEP_2)
	v_sub_nc_u32_e32 v12, v16, v12
	v_ashrrev_i32_e32 v16, 8, v17
	v_add_nc_u32_e32 v12, 0x3c000000, v12
	s_delay_alu instid0(VALU_DEP_1) | instskip(NEXT) | instid1(VALU_DEP_1)
	v_and_or_b32 v12, 0x7f800000, v16, v12
	v_cndmask_b32_e32 v11, 0, v12, vcc_lo
	s_delay_alu instid0(VALU_DEP_1) | instskip(NEXT) | instid1(VALU_DEP_1)
	v_and_or_b32 v1, 0x80000000, v1, v11
	v_cvt_f64_f32_e32 v[11:12], v1
.LBB393_1593:
	s_mov_b32 s0, 0
.LBB393_1594:
	s_delay_alu instid0(SALU_CYCLE_1)
	s_and_not1_b32 vcc_lo, exec_lo, s0
	s_cbranch_vccnz .LBB393_1596
; %bb.1595:
	global_load_u8 v1, v[13:14], off
	s_waitcnt vmcnt(0)
	v_lshlrev_b32_e32 v11, 25, v1
	v_lshlrev_b16 v1, 8, v1
	s_delay_alu instid0(VALU_DEP_1) | instskip(SKIP_1) | instid1(VALU_DEP_2)
	v_and_or_b32 v16, 0x7f00, v1, 0.5
	v_bfe_i32 v1, v1, 0, 16
	v_add_f32_e32 v16, -0.5, v16
	v_lshrrev_b32_e32 v12, 4, v11
	v_cmp_gt_u32_e32 vcc_lo, 0x8000000, v11
	s_delay_alu instid0(VALU_DEP_2) | instskip(NEXT) | instid1(VALU_DEP_1)
	v_or_b32_e32 v12, 0x70000000, v12
	v_mul_f32_e32 v12, 0x7800000, v12
	s_delay_alu instid0(VALU_DEP_1) | instskip(NEXT) | instid1(VALU_DEP_1)
	v_cndmask_b32_e32 v11, v12, v16, vcc_lo
	v_and_or_b32 v1, 0x80000000, v1, v11
	s_delay_alu instid0(VALU_DEP_1)
	v_cvt_f64_f32_e32 v[11:12], v1
.LBB393_1596:
	s_mov_b32 s1, 0
	s_mov_b32 s0, -1
.LBB393_1597:
	s_and_not1_b32 vcc_lo, exec_lo, s1
	s_mov_b32 s6, 0
	s_cbranch_vccnz .LBB393_1606
; %bb.1598:
	v_cmp_lt_i16_e32 vcc_lo, 14, v15
	s_cbranch_vccz .LBB393_1601
; %bb.1599:
	v_cmp_eq_u16_e32 vcc_lo, 15, v15
	s_cbranch_vccz .LBB393_1602
; %bb.1600:
	global_load_u16 v1, v[13:14], off
	s_mov_b32 s3, 0
	s_mov_b32 s0, -1
	s_waitcnt vmcnt(0)
	v_lshlrev_b32_e32 v1, 16, v1
	s_delay_alu instid0(VALU_DEP_1)
	v_cvt_f64_f32_e32 v[11:12], v1
	s_branch .LBB393_1603
.LBB393_1601:
	s_mov_b32 s1, -1
                                        ; implicit-def: $vgpr11_vgpr12
	s_branch .LBB393_1604
.LBB393_1602:
	s_mov_b32 s3, -1
                                        ; implicit-def: $vgpr11_vgpr12
.LBB393_1603:
	s_mov_b32 s1, 0
.LBB393_1604:
	s_delay_alu instid0(SALU_CYCLE_1)
	s_and_b32 vcc_lo, exec_lo, s1
	s_cbranch_vccz .LBB393_1606
; %bb.1605:
	v_cmp_ne_u16_e64 s3, 11, v15
	s_mov_b32 s6, -1
                                        ; implicit-def: $vgpr11_vgpr12
.LBB393_1606:
	s_delay_alu instid0(VALU_DEP_1)
	s_and_b32 vcc_lo, exec_lo, s3
	s_cbranch_vccnz .LBB393_1669
; %bb.1607:
	s_and_not1_b32 vcc_lo, exec_lo, s6
	s_cbranch_vccnz .LBB393_1609
.LBB393_1608:
	global_load_u8 v1, v[13:14], off
	v_mov_b32_e32 v11, 0
	s_mov_b32 s0, -1
	s_waitcnt vmcnt(0)
	v_cmp_ne_u16_e32 vcc_lo, 0, v1
	v_cndmask_b32_e64 v12, 0, 0x3ff00000, vcc_lo
.LBB393_1609:
	s_mov_b32 s1, 0
.LBB393_1610:
	s_delay_alu instid0(SALU_CYCLE_1)
	s_and_b32 vcc_lo, exec_lo, s1
	s_cbranch_vccz .LBB393_1659
; %bb.1611:
	v_cmp_gt_i16_e32 vcc_lo, 5, v15
	s_cbranch_vccnz .LBB393_1616
; %bb.1612:
	v_cmp_gt_i16_e32 vcc_lo, 8, v15
	s_cbranch_vccnz .LBB393_1617
	;; [unrolled: 3-line block ×3, first 2 shown]
; %bb.1614:
	v_cmp_lt_i16_e32 vcc_lo, 9, v15
	s_cbranch_vccz .LBB393_1619
; %bb.1615:
	global_load_b64 v[11:12], v[13:14], off
	s_mov_b32 s0, 0
	s_branch .LBB393_1620
.LBB393_1616:
	s_mov_b32 s0, -1
                                        ; implicit-def: $vgpr11_vgpr12
	s_branch .LBB393_1638
.LBB393_1617:
	s_mov_b32 s0, -1
                                        ; implicit-def: $vgpr11_vgpr12
	s_branch .LBB393_1626
.LBB393_1618:
	s_mov_b32 s0, -1
                                        ; implicit-def: $vgpr11_vgpr12
	s_branch .LBB393_1623
.LBB393_1619:
	s_mov_b32 s0, -1
                                        ; implicit-def: $vgpr11_vgpr12
.LBB393_1620:
	s_delay_alu instid0(SALU_CYCLE_1)
	s_and_not1_b32 vcc_lo, exec_lo, s0
	s_cbranch_vccnz .LBB393_1622
; %bb.1621:
	global_load_b32 v1, v[13:14], off
	s_waitcnt vmcnt(0)
	v_cvt_f64_f32_e32 v[11:12], v1
.LBB393_1622:
	s_mov_b32 s0, 0
.LBB393_1623:
	s_delay_alu instid0(SALU_CYCLE_1)
	s_and_not1_b32 vcc_lo, exec_lo, s0
	s_cbranch_vccnz .LBB393_1625
; %bb.1624:
	global_load_b32 v1, v[13:14], off
	s_waitcnt vmcnt(0)
	v_cvt_f32_f16_e32 v1, v1
	s_delay_alu instid0(VALU_DEP_1)
	v_cvt_f64_f32_e32 v[11:12], v1
.LBB393_1625:
	s_mov_b32 s0, 0
.LBB393_1626:
	s_delay_alu instid0(SALU_CYCLE_1)
	s_and_not1_b32 vcc_lo, exec_lo, s0
	s_cbranch_vccnz .LBB393_1637
; %bb.1627:
	v_cmp_gt_i16_e32 vcc_lo, 6, v15
	s_cbranch_vccnz .LBB393_1630
; %bb.1628:
	v_cmp_lt_i16_e32 vcc_lo, 6, v15
	s_cbranch_vccz .LBB393_1631
; %bb.1629:
	global_load_b64 v[11:12], v[13:14], off
	s_mov_b32 s0, 0
	s_branch .LBB393_1632
.LBB393_1630:
	s_mov_b32 s0, -1
                                        ; implicit-def: $vgpr11_vgpr12
	s_branch .LBB393_1635
.LBB393_1631:
	s_mov_b32 s0, -1
                                        ; implicit-def: $vgpr11_vgpr12
.LBB393_1632:
	s_delay_alu instid0(SALU_CYCLE_1)
	s_and_not1_b32 vcc_lo, exec_lo, s0
	s_cbranch_vccnz .LBB393_1634
; %bb.1633:
	global_load_b32 v1, v[13:14], off
	s_waitcnt vmcnt(0)
	v_cvt_f64_f32_e32 v[11:12], v1
.LBB393_1634:
	s_mov_b32 s0, 0
.LBB393_1635:
	s_delay_alu instid0(SALU_CYCLE_1)
	s_and_not1_b32 vcc_lo, exec_lo, s0
	s_cbranch_vccnz .LBB393_1637
; %bb.1636:
	global_load_u16 v1, v[13:14], off
	s_waitcnt vmcnt(0)
	v_cvt_f32_f16_e32 v1, v1
	s_delay_alu instid0(VALU_DEP_1)
	v_cvt_f64_f32_e32 v[11:12], v1
.LBB393_1637:
	s_mov_b32 s0, 0
.LBB393_1638:
	s_delay_alu instid0(SALU_CYCLE_1)
	s_and_not1_b32 vcc_lo, exec_lo, s0
	s_cbranch_vccnz .LBB393_1658
; %bb.1639:
	v_cmp_gt_i16_e32 vcc_lo, 2, v15
	s_cbranch_vccnz .LBB393_1643
; %bb.1640:
	v_cmp_gt_i16_e32 vcc_lo, 3, v15
	s_cbranch_vccnz .LBB393_1644
; %bb.1641:
	v_cmp_lt_i16_e32 vcc_lo, 3, v15
	s_cbranch_vccz .LBB393_1645
; %bb.1642:
	global_load_b64 v[11:12], v[13:14], off
	s_mov_b32 s0, 0
	s_waitcnt vmcnt(0)
	v_cvt_f64_i32_e32 v[16:17], v12
	v_cvt_f64_u32_e32 v[11:12], v11
	s_delay_alu instid0(VALU_DEP_2) | instskip(NEXT) | instid1(VALU_DEP_1)
	v_ldexp_f64 v[16:17], v[16:17], 32
	v_add_f64 v[11:12], v[16:17], v[11:12]
	s_branch .LBB393_1646
.LBB393_1643:
	s_mov_b32 s0, -1
                                        ; implicit-def: $vgpr11_vgpr12
	s_branch .LBB393_1652
.LBB393_1644:
	s_mov_b32 s0, -1
                                        ; implicit-def: $vgpr11_vgpr12
	s_branch .LBB393_1649
.LBB393_1645:
	s_mov_b32 s0, -1
                                        ; implicit-def: $vgpr11_vgpr12
.LBB393_1646:
	s_delay_alu instid0(SALU_CYCLE_1)
	s_and_not1_b32 vcc_lo, exec_lo, s0
	s_cbranch_vccnz .LBB393_1648
; %bb.1647:
	global_load_b32 v1, v[13:14], off
	s_waitcnt vmcnt(0)
	v_cvt_f64_i32_e32 v[11:12], v1
.LBB393_1648:
	s_mov_b32 s0, 0
.LBB393_1649:
	s_delay_alu instid0(SALU_CYCLE_1)
	s_and_not1_b32 vcc_lo, exec_lo, s0
	s_cbranch_vccnz .LBB393_1651
; %bb.1650:
	global_load_i16 v1, v[13:14], off
	s_waitcnt vmcnt(0)
	v_cvt_f64_i32_e32 v[11:12], v1
.LBB393_1651:
	s_mov_b32 s0, 0
.LBB393_1652:
	s_delay_alu instid0(SALU_CYCLE_1)
	s_and_not1_b32 vcc_lo, exec_lo, s0
	s_cbranch_vccnz .LBB393_1658
; %bb.1653:
	v_cmp_lt_i16_e32 vcc_lo, 0, v15
	s_mov_b32 s0, 0
	s_cbranch_vccz .LBB393_1655
; %bb.1654:
	global_load_i8 v1, v[13:14], off
	s_waitcnt vmcnt(0)
	v_cvt_f64_i32_e32 v[11:12], v1
	s_branch .LBB393_1656
.LBB393_1655:
	s_mov_b32 s0, -1
                                        ; implicit-def: $vgpr11_vgpr12
.LBB393_1656:
	s_delay_alu instid0(SALU_CYCLE_1)
	s_and_not1_b32 vcc_lo, exec_lo, s0
	s_cbranch_vccnz .LBB393_1658
; %bb.1657:
	global_load_u8 v1, v[13:14], off
	s_waitcnt vmcnt(0)
	v_cvt_f64_u32_e32 v[11:12], v1
.LBB393_1658:
	s_mov_b32 s0, -1
.LBB393_1659:
	s_delay_alu instid0(SALU_CYCLE_1)
	s_and_not1_b32 vcc_lo, exec_lo, s0
	s_cbranch_vccnz .LBB393_2049
; %bb.1660:
	s_clause 0x1
	s_load_b64 s[0:1], s[16:17], 0x158
	s_load_b32 s3, s[16:17], 0x160
	v_max_f64 v[15:16], v[2:3], v[2:3]
	v_cmp_u_f64_e32 vcc_lo, v[2:3], v[2:3]
	s_mov_b32 s6, 0
	s_waitcnt lgkmcnt(0)
	v_max_f64 v[13:14], s[0:1], s[0:1]
	s_and_b32 s3, s3, 0xff
	s_delay_alu instid0(SALU_CYCLE_1) | instskip(NEXT) | instid1(VALU_DEP_2)
	v_cmp_lt_i16_e64 s0, s3, 11
	v_max_f64 v[17:18], v[15:16], v[13:14]
	v_add_co_u32 v15, s1, s4, v0
	s_delay_alu instid0(VALU_DEP_1) | instskip(NEXT) | instid1(VALU_DEP_3)
	v_add_co_ci_u32_e64 v16, null, s5, 0, s1
	v_dual_cndmask_b32 v1, v18, v3 :: v_dual_cndmask_b32 v0, v17, v2
	s_and_b32 vcc_lo, exec_lo, s0
	s_mov_b32 s0, -1
	s_cbranch_vccnz .LBB393_1743
; %bb.1661:
	v_cmp_gt_i16_e64 s0, s3, 25
	s_mov_b32 s7, -1
	s_mov_b32 s1, 0
	s_delay_alu instid0(VALU_DEP_1)
	s_and_b32 vcc_lo, exec_lo, s0
	s_mov_b32 s0, 0
	s_cbranch_vccz .LBB393_1699
; %bb.1662:
	v_cmp_gt_i16_e64 s0, s3, 28
	s_delay_alu instid0(VALU_DEP_1)
	s_and_b32 vcc_lo, exec_lo, s0
	s_cbranch_vccz .LBB393_1667
; %bb.1663:
	v_cmp_gt_i16_e64 s0, s3, 43
	s_delay_alu instid0(VALU_DEP_1)
	s_and_b32 vcc_lo, exec_lo, s0
	s_cbranch_vccz .LBB393_1668
; %bb.1664:
	v_cmp_gt_i16_e64 s0, s3, 45
	s_delay_alu instid0(VALU_DEP_1)
	s_and_b32 vcc_lo, exec_lo, s0
	s_cbranch_vccz .LBB393_1671
; %bb.1665:
	v_cmp_eq_u16_e64 s6, s3, 46
	s_mov_b32 s0, -1
	s_mov_b32 s7, 0
	s_delay_alu instid0(VALU_DEP_1)
	s_and_b32 vcc_lo, exec_lo, s6
	s_mov_b32 s6, 0
	s_cbranch_vccz .LBB393_1672
; %bb.1666:
	v_cvt_f32_f64_e32 v2, v[0:1]
	s_mov_b32 s0, 0
	s_mov_b32 s6, -1
	s_delay_alu instid0(VALU_DEP_1) | instskip(SKIP_1) | instid1(VALU_DEP_2)
	v_bfe_u32 v3, v2, 16, 1
	v_cmp_o_f32_e32 vcc_lo, v2, v2
	v_add3_u32 v3, v2, v3, 0x7fff
	s_delay_alu instid0(VALU_DEP_1) | instskip(NEXT) | instid1(VALU_DEP_1)
	v_lshrrev_b32_e32 v3, 16, v3
	v_cndmask_b32_e32 v2, 0x7fc0, v3, vcc_lo
	global_store_b32 v[15:16], v2, off
	s_branch .LBB393_1672
.LBB393_1667:
	s_mov_b32 s0, 0
	s_branch .LBB393_1682
.LBB393_1668:
	s_mov_b32 s0, 0
	s_branch .LBB393_1678
.LBB393_1669:
	s_cbranch_execnz .LBB393_1794
; %bb.1670:
	s_or_b32 s2, s2, exec_lo
                                        ; implicit-def: $vgpr11_vgpr12
	s_cbranch_execz .LBB393_1608
	s_branch .LBB393_1609
.LBB393_1671:
	s_mov_b32 s0, 0
.LBB393_1672:
	s_and_b32 vcc_lo, exec_lo, s7
	s_cbranch_vccz .LBB393_1677
; %bb.1673:
	v_cmp_eq_u16_e64 s0, s3, 44
	s_delay_alu instid0(VALU_DEP_1)
	s_and_b32 vcc_lo, exec_lo, s0
	s_mov_b32 s0, -1
	s_cbranch_vccz .LBB393_1677
; %bb.1674:
	v_cvt_f32_f64_e32 v2, v[0:1]
	v_mov_b32_e32 v3, 0xff
	s_mov_b32 s6, exec_lo
	s_delay_alu instid0(VALU_DEP_2) | instskip(NEXT) | instid1(VALU_DEP_1)
	v_bfe_u32 v17, v2, 23, 8
	v_cmpx_ne_u32_e32 0xff, v17
; %bb.1675:
	v_and_b32_e32 v3, 0x400000, v2
	v_and_or_b32 v17, 0x3fffff, v2, v17
	v_lshrrev_b32_e32 v2, 23, v2
	s_delay_alu instid0(VALU_DEP_3) | instskip(NEXT) | instid1(VALU_DEP_3)
	v_cmp_ne_u32_e32 vcc_lo, 0, v3
	v_cmp_ne_u32_e64 s0, 0, v17
	s_delay_alu instid0(VALU_DEP_1) | instskip(NEXT) | instid1(SALU_CYCLE_1)
	s_and_b32 s0, vcc_lo, s0
	v_cndmask_b32_e64 v3, 0, 1, s0
	s_delay_alu instid0(VALU_DEP_1)
	v_add_nc_u32_e32 v3, v2, v3
; %bb.1676:
	s_or_b32 exec_lo, exec_lo, s6
	s_mov_b32 s0, 0
	s_mov_b32 s6, -1
	global_store_b8 v[15:16], v3, off
.LBB393_1677:
	s_mov_b32 s7, 0
.LBB393_1678:
	s_delay_alu instid0(SALU_CYCLE_1)
	s_and_b32 vcc_lo, exec_lo, s7
	s_cbranch_vccz .LBB393_1681
; %bb.1679:
	v_cmp_eq_u16_e64 s0, s3, 29
	s_delay_alu instid0(VALU_DEP_1)
	s_and_b32 vcc_lo, exec_lo, s0
	s_mov_b32 s0, -1
	s_cbranch_vccz .LBB393_1681
; %bb.1680:
	v_trunc_f64_e32 v[2:3], v[0:1]
	s_mov_b32 s0, 0
	s_mov_b32 s6, -1
	s_mov_b32 s7, 0
	s_delay_alu instid0(VALU_DEP_1) | instskip(NEXT) | instid1(VALU_DEP_1)
	v_ldexp_f64 v[17:18], v[2:3], 0xffffffe0
	v_floor_f64_e32 v[17:18], v[17:18]
	s_delay_alu instid0(VALU_DEP_1) | instskip(SKIP_1) | instid1(VALU_DEP_2)
	v_fma_f64 v[2:3], 0xc1f00000, v[17:18], v[2:3]
	v_cvt_u32_f64_e32 v18, v[17:18]
	v_cvt_u32_f64_e32 v17, v[2:3]
	global_store_b64 v[15:16], v[17:18], off
	s_branch .LBB393_1682
.LBB393_1681:
	s_mov_b32 s7, 0
.LBB393_1682:
	s_delay_alu instid0(SALU_CYCLE_1)
	s_and_b32 vcc_lo, exec_lo, s7
	s_cbranch_vccz .LBB393_1698
; %bb.1683:
	v_cmp_lt_i16_e64 s6, s3, 27
	s_delay_alu instid0(VALU_DEP_1)
	s_and_b32 vcc_lo, exec_lo, s6
	s_mov_b32 s6, -1
	s_cbranch_vccnz .LBB393_1689
; %bb.1684:
	v_cvt_u32_f64_e32 v2, v[0:1]
	v_cmp_gt_i16_e64 s6, s3, 27
	s_delay_alu instid0(VALU_DEP_1)
	s_and_b32 vcc_lo, exec_lo, s6
	s_mov_b32 s6, -1
	s_cbranch_vccz .LBB393_1686
; %bb.1685:
	s_mov_b32 s6, 0
	global_store_b32 v[15:16], v2, off
.LBB393_1686:
	s_and_not1_b32 vcc_lo, exec_lo, s6
	s_cbranch_vccnz .LBB393_1688
; %bb.1687:
	global_store_b16 v[15:16], v2, off
.LBB393_1688:
	s_mov_b32 s6, 0
.LBB393_1689:
	s_delay_alu instid0(SALU_CYCLE_1)
	s_and_not1_b32 vcc_lo, exec_lo, s6
	s_cbranch_vccnz .LBB393_1697
; %bb.1690:
	v_cvt_f32_f64_e32 v2, v[0:1]
	v_mov_b32_e32 v17, 0x80
	s_mov_b32 s6, exec_lo
	s_delay_alu instid0(VALU_DEP_2) | instskip(NEXT) | instid1(VALU_DEP_1)
	v_and_b32_e32 v3, 0x7fffffff, v2
	v_cmpx_gt_u32_e32 0x43800000, v3
	s_cbranch_execz .LBB393_1696
; %bb.1691:
	v_cmp_lt_u32_e32 vcc_lo, 0x3bffffff, v3
	s_mov_b32 s7, 0
                                        ; implicit-def: $vgpr3
	s_and_saveexec_b32 s10, vcc_lo
	s_delay_alu instid0(SALU_CYCLE_1)
	s_xor_b32 s10, exec_lo, s10
	s_cbranch_execz .LBB393_1791
; %bb.1692:
	v_bfe_u32 v3, v2, 20, 1
	s_mov_b32 s7, exec_lo
	s_delay_alu instid0(VALU_DEP_1) | instskip(NEXT) | instid1(VALU_DEP_1)
	v_add3_u32 v3, v2, v3, 0x487ffff
	v_lshrrev_b32_e32 v3, 20, v3
	s_or_saveexec_b32 s10, s10
                                        ; implicit-def: $sgpr11
	s_delay_alu instid0(SALU_CYCLE_1)
	s_xor_b32 exec_lo, exec_lo, s10
	s_cbranch_execnz .LBB393_1792
.LBB393_1693:
	s_or_b32 exec_lo, exec_lo, s10
	v_mov_b32_e32 v17, s11
	s_and_saveexec_b32 s10, s7
.LBB393_1694:
	v_lshrrev_b32_e32 v2, 24, v2
	s_delay_alu instid0(VALU_DEP_1)
	v_and_or_b32 v17, 0x80, v2, v3
.LBB393_1695:
	s_or_b32 exec_lo, exec_lo, s10
.LBB393_1696:
	s_delay_alu instid0(SALU_CYCLE_1)
	s_or_b32 exec_lo, exec_lo, s6
	global_store_b8 v[15:16], v17, off
.LBB393_1697:
	s_mov_b32 s6, -1
.LBB393_1698:
	s_mov_b32 s7, 0
.LBB393_1699:
	s_delay_alu instid0(SALU_CYCLE_1)
	s_and_b32 vcc_lo, exec_lo, s7
	s_cbranch_vccz .LBB393_1739
; %bb.1700:
	v_cmp_gt_i16_e64 s1, s3, 22
	s_delay_alu instid0(VALU_DEP_1)
	s_and_b32 vcc_lo, exec_lo, s1
	s_mov_b32 s1, -1
	s_cbranch_vccz .LBB393_1732
; %bb.1701:
	v_cmp_lt_i16_e64 s1, s3, 24
	s_delay_alu instid0(VALU_DEP_1)
	s_and_b32 vcc_lo, exec_lo, s1
	s_mov_b32 s1, -1
	s_cbranch_vccnz .LBB393_1721
; %bb.1702:
	v_cmp_gt_i16_e64 s1, s3, 24
	s_delay_alu instid0(VALU_DEP_1)
	s_and_b32 vcc_lo, exec_lo, s1
	s_mov_b32 s1, -1
	s_cbranch_vccz .LBB393_1710
; %bb.1703:
	v_cvt_f32_f64_e32 v2, v[0:1]
	v_mov_b32_e32 v17, 0x80
	s_mov_b32 s1, exec_lo
	s_delay_alu instid0(VALU_DEP_2) | instskip(NEXT) | instid1(VALU_DEP_1)
	v_and_b32_e32 v3, 0x7fffffff, v2
	v_cmpx_gt_u32_e32 0x47800000, v3
	s_cbranch_execz .LBB393_1709
; %bb.1704:
	v_cmp_lt_u32_e32 vcc_lo, 0x37ffffff, v3
	s_mov_b32 s6, 0
                                        ; implicit-def: $vgpr3
	s_and_saveexec_b32 s7, vcc_lo
	s_delay_alu instid0(SALU_CYCLE_1)
	s_xor_b32 s7, exec_lo, s7
	s_cbranch_execz .LBB393_1798
; %bb.1705:
	v_bfe_u32 v3, v2, 21, 1
	s_mov_b32 s6, exec_lo
	s_delay_alu instid0(VALU_DEP_1) | instskip(NEXT) | instid1(VALU_DEP_1)
	v_add3_u32 v3, v2, v3, 0x88fffff
	v_lshrrev_b32_e32 v3, 21, v3
	s_or_saveexec_b32 s7, s7
                                        ; implicit-def: $sgpr10
	s_delay_alu instid0(SALU_CYCLE_1)
	s_xor_b32 exec_lo, exec_lo, s7
	s_cbranch_execnz .LBB393_1799
.LBB393_1706:
	s_or_b32 exec_lo, exec_lo, s7
	v_mov_b32_e32 v17, s10
	s_and_saveexec_b32 s7, s6
.LBB393_1707:
	v_lshrrev_b32_e32 v2, 24, v2
	s_delay_alu instid0(VALU_DEP_1)
	v_and_or_b32 v17, 0x80, v2, v3
.LBB393_1708:
	s_or_b32 exec_lo, exec_lo, s7
.LBB393_1709:
	s_delay_alu instid0(SALU_CYCLE_1)
	s_or_b32 exec_lo, exec_lo, s1
	s_mov_b32 s1, 0
	global_store_b8 v[15:16], v17, off
.LBB393_1710:
	s_and_b32 vcc_lo, exec_lo, s1
	s_cbranch_vccz .LBB393_1720
; %bb.1711:
	v_cvt_f32_f64_e32 v2, v[0:1]
	s_mov_b32 s1, exec_lo
                                        ; implicit-def: $vgpr3
	s_delay_alu instid0(VALU_DEP_1) | instskip(NEXT) | instid1(VALU_DEP_1)
	v_and_b32_e32 v17, 0x7fffffff, v2
	v_cmpx_gt_u32_e32 0x43f00000, v17
	s_xor_b32 s1, exec_lo, s1
	s_cbranch_execz .LBB393_1717
; %bb.1712:
	s_mov_b32 s6, exec_lo
                                        ; implicit-def: $vgpr3
	v_cmpx_lt_u32_e32 0x3c7fffff, v17
	s_xor_b32 s6, exec_lo, s6
; %bb.1713:
	v_bfe_u32 v3, v2, 20, 1
	s_delay_alu instid0(VALU_DEP_1) | instskip(NEXT) | instid1(VALU_DEP_1)
	v_add3_u32 v3, v2, v3, 0x407ffff
	v_and_b32_e32 v17, 0xff00000, v3
	v_lshrrev_b32_e32 v3, 20, v3
	s_delay_alu instid0(VALU_DEP_2) | instskip(NEXT) | instid1(VALU_DEP_2)
	v_cmp_ne_u32_e32 vcc_lo, 0x7f00000, v17
	v_cndmask_b32_e32 v3, 0x7e, v3, vcc_lo
; %bb.1714:
	s_and_not1_saveexec_b32 s6, s6
; %bb.1715:
	v_add_f32_e64 v3, 0x46800000, |v2|
; %bb.1716:
	s_or_b32 exec_lo, exec_lo, s6
                                        ; implicit-def: $vgpr17
.LBB393_1717:
	s_and_not1_saveexec_b32 s1, s1
; %bb.1718:
	v_mov_b32_e32 v3, 0x7f
	v_cmp_lt_u32_e32 vcc_lo, 0x7f800000, v17
	s_delay_alu instid0(VALU_DEP_2)
	v_cndmask_b32_e32 v3, 0x7e, v3, vcc_lo
; %bb.1719:
	s_or_b32 exec_lo, exec_lo, s1
	v_lshrrev_b32_e32 v2, 24, v2
	s_delay_alu instid0(VALU_DEP_1)
	v_and_or_b32 v2, 0x80, v2, v3
	global_store_b8 v[15:16], v2, off
.LBB393_1720:
	s_mov_b32 s1, 0
.LBB393_1721:
	s_delay_alu instid0(SALU_CYCLE_1)
	s_and_not1_b32 vcc_lo, exec_lo, s1
	s_cbranch_vccnz .LBB393_1731
; %bb.1722:
	v_cvt_f32_f64_e32 v2, v[0:1]
	s_mov_b32 s1, exec_lo
                                        ; implicit-def: $vgpr3
	s_delay_alu instid0(VALU_DEP_1) | instskip(NEXT) | instid1(VALU_DEP_1)
	v_and_b32_e32 v17, 0x7fffffff, v2
	v_cmpx_gt_u32_e32 0x47800000, v17
	s_xor_b32 s1, exec_lo, s1
	s_cbranch_execz .LBB393_1728
; %bb.1723:
	s_mov_b32 s6, exec_lo
                                        ; implicit-def: $vgpr3
	v_cmpx_lt_u32_e32 0x387fffff, v17
	s_xor_b32 s6, exec_lo, s6
; %bb.1724:
	v_bfe_u32 v3, v2, 21, 1
	s_delay_alu instid0(VALU_DEP_1) | instskip(NEXT) | instid1(VALU_DEP_1)
	v_add3_u32 v3, v2, v3, 0x80fffff
	v_lshrrev_b32_e32 v3, 21, v3
; %bb.1725:
	s_and_not1_saveexec_b32 s6, s6
; %bb.1726:
	v_add_f32_e64 v3, 0x43000000, |v2|
; %bb.1727:
	s_or_b32 exec_lo, exec_lo, s6
                                        ; implicit-def: $vgpr17
.LBB393_1728:
	s_and_not1_saveexec_b32 s1, s1
; %bb.1729:
	v_mov_b32_e32 v3, 0x7f
	v_cmp_lt_u32_e32 vcc_lo, 0x7f800000, v17
	s_delay_alu instid0(VALU_DEP_2)
	v_cndmask_b32_e32 v3, 0x7c, v3, vcc_lo
; %bb.1730:
	s_or_b32 exec_lo, exec_lo, s1
	v_lshrrev_b32_e32 v2, 24, v2
	s_delay_alu instid0(VALU_DEP_1)
	v_and_or_b32 v2, 0x80, v2, v3
	global_store_b8 v[15:16], v2, off
.LBB393_1731:
	s_mov_b32 s1, 0
	s_mov_b32 s6, -1
.LBB393_1732:
	s_and_not1_b32 vcc_lo, exec_lo, s1
	s_mov_b32 s1, 0
	s_cbranch_vccnz .LBB393_1739
; %bb.1733:
	v_cmp_gt_i16_e64 s1, s3, 14
	s_delay_alu instid0(VALU_DEP_1)
	s_and_b32 vcc_lo, exec_lo, s1
	s_mov_b32 s1, -1
	s_cbranch_vccz .LBB393_1737
; %bb.1734:
	v_cmp_eq_u16_e64 s0, s3, 15
	s_delay_alu instid0(VALU_DEP_1)
	s_and_b32 vcc_lo, exec_lo, s0
	s_mov_b32 s0, -1
	s_cbranch_vccz .LBB393_1736
; %bb.1735:
	v_cvt_f32_f64_e32 v2, v[0:1]
	s_mov_b32 s0, 0
	s_mov_b32 s6, -1
	s_delay_alu instid0(VALU_DEP_1) | instskip(SKIP_1) | instid1(VALU_DEP_2)
	v_bfe_u32 v3, v2, 16, 1
	v_cmp_o_f32_e32 vcc_lo, v2, v2
	v_add3_u32 v3, v2, v3, 0x7fff
	s_delay_alu instid0(VALU_DEP_1) | instskip(NEXT) | instid1(VALU_DEP_1)
	v_lshrrev_b32_e32 v3, 16, v3
	v_cndmask_b32_e32 v2, 0x7fc0, v3, vcc_lo
	global_store_b16 v[15:16], v2, off
.LBB393_1736:
	s_mov_b32 s1, 0
.LBB393_1737:
	s_delay_alu instid0(SALU_CYCLE_1)
	s_and_b32 vcc_lo, exec_lo, s1
	s_mov_b32 s1, 0
	s_cbranch_vccz .LBB393_1739
; %bb.1738:
	v_cmp_ne_u16_e64 s0, s3, 11
	s_mov_b32 s1, -1
.LBB393_1739:
	s_delay_alu instid0(VALU_DEP_1)
	s_and_b32 vcc_lo, exec_lo, s0
	s_cbranch_vccnz .LBB393_1796
; %bb.1740:
	s_and_not1_b32 vcc_lo, exec_lo, s1
	s_cbranch_vccnz .LBB393_1742
.LBB393_1741:
	v_cmp_neq_f64_e32 vcc_lo, 0, v[0:1]
	s_mov_b32 s6, -1
	v_cndmask_b32_e64 v2, 0, 1, vcc_lo
	global_store_b8 v[15:16], v2, off
.LBB393_1742:
	s_mov_b32 s0, 0
.LBB393_1743:
	s_delay_alu instid0(SALU_CYCLE_1)
	s_and_b32 vcc_lo, exec_lo, s0
	s_cbranch_vccz .LBB393_1782
; %bb.1744:
	v_cmp_lt_i16_e64 s0, s3, 5
	s_delay_alu instid0(VALU_DEP_1)
	s_and_b32 vcc_lo, exec_lo, s0
	s_mov_b32 s0, -1
	s_cbranch_vccnz .LBB393_1765
; %bb.1745:
	v_cmp_lt_i16_e64 s0, s3, 8
	s_delay_alu instid0(VALU_DEP_1)
	s_and_b32 vcc_lo, exec_lo, s0
	s_mov_b32 s0, -1
	s_cbranch_vccnz .LBB393_1755
	;; [unrolled: 6-line block ×3, first 2 shown]
; %bb.1747:
	v_cmp_gt_i16_e64 s0, s3, 9
	s_delay_alu instid0(VALU_DEP_1)
	s_and_b32 vcc_lo, exec_lo, s0
	s_mov_b32 s0, -1
	s_cbranch_vccz .LBB393_1749
; %bb.1748:
	v_mov_b32_e32 v2, 0
	s_mov_b32 s0, 0
	s_delay_alu instid0(VALU_DEP_1)
	v_mov_b32_e32 v3, v2
	global_store_b128 v[15:16], v[0:3], off
.LBB393_1749:
	s_and_not1_b32 vcc_lo, exec_lo, s0
	s_cbranch_vccnz .LBB393_1751
; %bb.1750:
	v_cvt_f32_f64_e32 v2, v[0:1]
	v_mov_b32_e32 v3, 0
	global_store_b64 v[15:16], v[2:3], off
.LBB393_1751:
	s_mov_b32 s0, 0
.LBB393_1752:
	s_delay_alu instid0(SALU_CYCLE_1)
	s_and_not1_b32 vcc_lo, exec_lo, s0
	s_cbranch_vccnz .LBB393_1754
; %bb.1753:
	v_cvt_f32_f64_e32 v2, v[0:1]
	s_delay_alu instid0(VALU_DEP_1) | instskip(NEXT) | instid1(VALU_DEP_1)
	v_cvt_f16_f32_e32 v2, v2
	v_and_b32_e32 v2, 0xffff, v2
	global_store_b32 v[15:16], v2, off
.LBB393_1754:
	s_mov_b32 s0, 0
.LBB393_1755:
	s_delay_alu instid0(SALU_CYCLE_1)
	s_and_not1_b32 vcc_lo, exec_lo, s0
	s_cbranch_vccnz .LBB393_1764
; %bb.1756:
	v_cmp_lt_i16_e64 s0, s3, 6
	s_delay_alu instid0(VALU_DEP_1)
	s_and_b32 vcc_lo, exec_lo, s0
	s_mov_b32 s0, -1
	s_cbranch_vccnz .LBB393_1762
; %bb.1757:
	v_cmp_gt_i16_e64 s0, s3, 6
	s_delay_alu instid0(VALU_DEP_1)
	s_and_b32 vcc_lo, exec_lo, s0
	s_mov_b32 s0, -1
	s_cbranch_vccz .LBB393_1759
; %bb.1758:
	s_mov_b32 s0, 0
	global_store_b64 v[15:16], v[0:1], off
.LBB393_1759:
	s_and_not1_b32 vcc_lo, exec_lo, s0
	s_cbranch_vccnz .LBB393_1761
; %bb.1760:
	v_cvt_f32_f64_e32 v2, v[0:1]
	global_store_b32 v[15:16], v2, off
.LBB393_1761:
	s_mov_b32 s0, 0
.LBB393_1762:
	s_delay_alu instid0(SALU_CYCLE_1)
	s_and_not1_b32 vcc_lo, exec_lo, s0
	s_cbranch_vccnz .LBB393_1764
; %bb.1763:
	v_cvt_f32_f64_e32 v2, v[0:1]
	s_delay_alu instid0(VALU_DEP_1)
	v_cvt_f16_f32_e32 v2, v2
	global_store_b16 v[15:16], v2, off
.LBB393_1764:
	s_mov_b32 s0, 0
.LBB393_1765:
	s_delay_alu instid0(SALU_CYCLE_1)
	s_and_not1_b32 vcc_lo, exec_lo, s0
	s_cbranch_vccnz .LBB393_1781
; %bb.1766:
	v_cmp_lt_i16_e64 s0, s3, 2
	s_delay_alu instid0(VALU_DEP_1)
	s_and_b32 vcc_lo, exec_lo, s0
	s_mov_b32 s0, -1
	s_cbranch_vccnz .LBB393_1776
; %bb.1767:
	v_cmp_lt_i16_e64 s0, s3, 3
	s_delay_alu instid0(VALU_DEP_1)
	s_and_b32 vcc_lo, exec_lo, s0
	s_mov_b32 s0, -1
	s_cbranch_vccnz .LBB393_1773
; %bb.1768:
	v_cmp_gt_i16_e64 s0, s3, 3
	s_delay_alu instid0(VALU_DEP_1)
	s_and_b32 vcc_lo, exec_lo, s0
	s_mov_b32 s0, -1
	s_cbranch_vccz .LBB393_1770
; %bb.1769:
	v_trunc_f64_e32 v[2:3], v[0:1]
	s_mov_b32 s0, 0
	s_delay_alu instid0(VALU_DEP_1) | instskip(NEXT) | instid1(VALU_DEP_1)
	v_ldexp_f64 v[17:18], v[2:3], 0xffffffe0
	v_floor_f64_e32 v[17:18], v[17:18]
	s_delay_alu instid0(VALU_DEP_1) | instskip(SKIP_1) | instid1(VALU_DEP_2)
	v_fma_f64 v[2:3], 0xc1f00000, v[17:18], v[2:3]
	v_cvt_i32_f64_e32 v18, v[17:18]
	v_cvt_u32_f64_e32 v17, v[2:3]
	global_store_b64 v[15:16], v[17:18], off
.LBB393_1770:
	s_and_not1_b32 vcc_lo, exec_lo, s0
	s_cbranch_vccnz .LBB393_1772
; %bb.1771:
	v_cvt_i32_f64_e32 v2, v[0:1]
	global_store_b32 v[15:16], v2, off
.LBB393_1772:
	s_mov_b32 s0, 0
.LBB393_1773:
	s_delay_alu instid0(SALU_CYCLE_1)
	s_and_not1_b32 vcc_lo, exec_lo, s0
	s_cbranch_vccnz .LBB393_1775
; %bb.1774:
	v_cvt_i32_f64_e32 v2, v[0:1]
	global_store_b16 v[15:16], v2, off
.LBB393_1775:
	s_mov_b32 s0, 0
.LBB393_1776:
	s_delay_alu instid0(SALU_CYCLE_1)
	s_and_not1_b32 vcc_lo, exec_lo, s0
	s_cbranch_vccnz .LBB393_1781
; %bb.1777:
	v_cmp_gt_i16_e64 s0, s3, 0
	s_delay_alu instid0(VALU_DEP_1)
	s_and_b32 vcc_lo, exec_lo, s0
	s_mov_b32 s0, -1
	s_cbranch_vccz .LBB393_1779
; %bb.1778:
	v_cvt_i32_f64_e32 v2, v[0:1]
	s_mov_b32 s0, 0
	global_store_b8 v[15:16], v2, off
.LBB393_1779:
	s_and_not1_b32 vcc_lo, exec_lo, s0
	s_cbranch_vccnz .LBB393_1781
; %bb.1780:
	v_trunc_f64_e32 v[0:1], v[0:1]
	s_delay_alu instid0(VALU_DEP_1) | instskip(NEXT) | instid1(VALU_DEP_1)
	v_ldexp_f64 v[2:3], v[0:1], 0xffffffe0
	v_floor_f64_e32 v[2:3], v[2:3]
	s_delay_alu instid0(VALU_DEP_1) | instskip(NEXT) | instid1(VALU_DEP_1)
	v_fma_f64 v[0:1], 0xc1f00000, v[2:3], v[0:1]
	v_cvt_u32_f64_e32 v0, v[0:1]
	global_store_b8 v[15:16], v0, off
.LBB393_1781:
	s_mov_b32 s6, -1
.LBB393_1782:
	s_delay_alu instid0(SALU_CYCLE_1)
	s_and_not1_b32 vcc_lo, exec_lo, s6
	s_cbranch_vccnz .LBB393_2049
; %bb.1783:
	s_waitcnt vmcnt(0)
	v_max_f64 v[0:1], v[7:8], v[7:8]
	v_cmp_u_f64_e32 vcc_lo, v[7:8], v[7:8]
	v_cmp_lt_i16_e64 s0, s3, 11
	v_add_co_u32 v15, s1, s4, v6
	s_delay_alu instid0(VALU_DEP_1) | instskip(SKIP_2) | instid1(VALU_DEP_1)
	v_add_co_ci_u32_e64 v16, null, s5, 0, s1
	s_mov_b32 s6, 0
	v_max_f64 v[0:1], v[0:1], v[13:14]
	v_dual_cndmask_b32 v1, v1, v8 :: v_dual_cndmask_b32 v0, v0, v7
	s_and_b32 vcc_lo, exec_lo, s0
	s_mov_b32 s0, -1
	s_cbranch_vccnz .LBB393_1872
; %bb.1784:
	v_cmp_gt_i16_e64 s0, s3, 25
	s_mov_b32 s7, -1
	s_mov_b32 s1, 0
	s_delay_alu instid0(VALU_DEP_1)
	s_and_b32 vcc_lo, exec_lo, s0
	s_mov_b32 s0, 0
	s_cbranch_vccz .LBB393_1828
; %bb.1785:
	v_cmp_gt_i16_e64 s0, s3, 28
	s_delay_alu instid0(VALU_DEP_1)
	s_and_b32 vcc_lo, exec_lo, s0
	s_cbranch_vccz .LBB393_1790
; %bb.1786:
	v_cmp_gt_i16_e64 s0, s3, 43
	s_delay_alu instid0(VALU_DEP_1)
	s_and_b32 vcc_lo, exec_lo, s0
	;; [unrolled: 5-line block ×3, first 2 shown]
	s_cbranch_vccz .LBB393_1800
; %bb.1788:
	v_cmp_eq_u16_e64 s6, s3, 46
	s_mov_b32 s0, -1
	s_mov_b32 s7, 0
	s_delay_alu instid0(VALU_DEP_1)
	s_and_b32 vcc_lo, exec_lo, s6
	s_mov_b32 s6, 0
	s_cbranch_vccz .LBB393_1801
; %bb.1789:
	v_cvt_f32_f64_e32 v2, v[0:1]
	s_mov_b32 s0, 0
	s_mov_b32 s6, -1
	s_delay_alu instid0(VALU_DEP_1) | instskip(SKIP_1) | instid1(VALU_DEP_2)
	v_bfe_u32 v3, v2, 16, 1
	v_cmp_o_f32_e32 vcc_lo, v2, v2
	v_add3_u32 v3, v2, v3, 0x7fff
	s_delay_alu instid0(VALU_DEP_1) | instskip(NEXT) | instid1(VALU_DEP_1)
	v_lshrrev_b32_e32 v3, 16, v3
	v_cndmask_b32_e32 v2, 0x7fc0, v3, vcc_lo
	global_store_b32 v[15:16], v2, off
	s_branch .LBB393_1801
.LBB393_1790:
	s_mov_b32 s0, 0
	s_branch .LBB393_1811
.LBB393_1791:
	s_or_saveexec_b32 s10, s10
                                        ; implicit-def: $sgpr11
	s_delay_alu instid0(SALU_CYCLE_1)
	s_xor_b32 exec_lo, exec_lo, s10
	s_cbranch_execz .LBB393_1693
.LBB393_1792:
	v_add_f32_e64 v3, 0x46000000, |v2|
	s_and_not1_b32 s7, s7, exec_lo
	s_mov_b32 s11, 0
	s_delay_alu instid0(VALU_DEP_1) | instskip(NEXT) | instid1(VALU_DEP_1)
	v_and_b32_e32 v3, 0xff, v3
	v_cmp_ne_u32_e32 vcc_lo, 0, v3
	s_and_b32 s12, vcc_lo, exec_lo
	s_delay_alu instid0(SALU_CYCLE_1)
	s_or_b32 s7, s7, s12
	s_or_b32 exec_lo, exec_lo, s10
	v_mov_b32_e32 v17, s11
	s_and_saveexec_b32 s10, s7
	s_cbranch_execnz .LBB393_1694
	s_branch .LBB393_1695
.LBB393_1793:
	s_mov_b32 s0, 0
	s_branch .LBB393_1807
.LBB393_1794:
	s_trap 2
	s_sendmsg_rtn_b32 s0, sendmsg(MSG_RTN_GET_DOORBELL)
	s_mov_b32 ttmp2, m0
	s_waitcnt lgkmcnt(0)
	s_and_b32 s0, s0, 0x3ff
	s_delay_alu instid0(SALU_CYCLE_1) | instskip(NEXT) | instid1(SALU_CYCLE_1)
	s_bitset1_b32 s0, 10
	s_mov_b32 m0, s0
	s_sendmsg sendmsg(MSG_INTERRUPT)
	s_mov_b32 m0, ttmp2
.LBB393_1795:                           ; =>This Inner Loop Header: Depth=1
	s_sethalt 5
	s_branch .LBB393_1795
.LBB393_1796:
	s_cbranch_execnz .LBB393_1923
; %bb.1797:
	s_or_b32 s2, s2, exec_lo
	s_cbranch_execz .LBB393_1741
	s_branch .LBB393_1742
.LBB393_1798:
	s_or_saveexec_b32 s7, s7
                                        ; implicit-def: $sgpr10
	s_delay_alu instid0(SALU_CYCLE_1)
	s_xor_b32 exec_lo, exec_lo, s7
	s_cbranch_execz .LBB393_1706
.LBB393_1799:
	v_add_f32_e64 v3, 0x42800000, |v2|
	s_and_not1_b32 s6, s6, exec_lo
	s_mov_b32 s10, 0
	s_delay_alu instid0(VALU_DEP_1) | instskip(NEXT) | instid1(VALU_DEP_1)
	v_and_b32_e32 v3, 0xff, v3
	v_cmp_ne_u32_e32 vcc_lo, 0, v3
	s_and_b32 s11, vcc_lo, exec_lo
	s_delay_alu instid0(SALU_CYCLE_1)
	s_or_b32 s6, s6, s11
	s_or_b32 exec_lo, exec_lo, s7
	v_mov_b32_e32 v17, s10
	s_and_saveexec_b32 s7, s6
	s_cbranch_execnz .LBB393_1707
	s_branch .LBB393_1708
.LBB393_1800:
	s_mov_b32 s0, 0
.LBB393_1801:
	s_and_b32 vcc_lo, exec_lo, s7
	s_cbranch_vccz .LBB393_1806
; %bb.1802:
	v_cmp_eq_u16_e64 s0, s3, 44
	s_delay_alu instid0(VALU_DEP_1)
	s_and_b32 vcc_lo, exec_lo, s0
	s_mov_b32 s0, -1
	s_cbranch_vccz .LBB393_1806
; %bb.1803:
	v_cvt_f32_f64_e32 v2, v[0:1]
	v_mov_b32_e32 v3, 0xff
	s_mov_b32 s6, exec_lo
	s_delay_alu instid0(VALU_DEP_2) | instskip(NEXT) | instid1(VALU_DEP_1)
	v_bfe_u32 v6, v2, 23, 8
	v_cmpx_ne_u32_e32 0xff, v6
; %bb.1804:
	v_and_b32_e32 v3, 0x400000, v2
	v_and_or_b32 v6, 0x3fffff, v2, v6
	v_lshrrev_b32_e32 v2, 23, v2
	s_delay_alu instid0(VALU_DEP_3) | instskip(NEXT) | instid1(VALU_DEP_3)
	v_cmp_ne_u32_e32 vcc_lo, 0, v3
	v_cmp_ne_u32_e64 s0, 0, v6
	s_delay_alu instid0(VALU_DEP_1) | instskip(NEXT) | instid1(SALU_CYCLE_1)
	s_and_b32 s0, vcc_lo, s0
	v_cndmask_b32_e64 v3, 0, 1, s0
	s_delay_alu instid0(VALU_DEP_1)
	v_add_nc_u32_e32 v3, v2, v3
; %bb.1805:
	s_or_b32 exec_lo, exec_lo, s6
	s_mov_b32 s0, 0
	s_mov_b32 s6, -1
	global_store_b8 v[15:16], v3, off
.LBB393_1806:
	s_mov_b32 s7, 0
.LBB393_1807:
	s_delay_alu instid0(SALU_CYCLE_1)
	s_and_b32 vcc_lo, exec_lo, s7
	s_cbranch_vccz .LBB393_1810
; %bb.1808:
	v_cmp_eq_u16_e64 s0, s3, 29
	s_delay_alu instid0(VALU_DEP_1)
	s_and_b32 vcc_lo, exec_lo, s0
	s_mov_b32 s0, -1
	s_cbranch_vccz .LBB393_1810
; %bb.1809:
	v_trunc_f64_e32 v[2:3], v[0:1]
	s_mov_b32 s0, 0
	s_mov_b32 s6, -1
	s_mov_b32 s7, 0
	s_delay_alu instid0(VALU_DEP_1) | instskip(NEXT) | instid1(VALU_DEP_1)
	v_ldexp_f64 v[6:7], v[2:3], 0xffffffe0
	v_floor_f64_e32 v[6:7], v[6:7]
	s_delay_alu instid0(VALU_DEP_1) | instskip(SKIP_1) | instid1(VALU_DEP_2)
	v_fma_f64 v[2:3], 0xc1f00000, v[6:7], v[2:3]
	v_cvt_u32_f64_e32 v7, v[6:7]
	v_cvt_u32_f64_e32 v6, v[2:3]
	global_store_b64 v[15:16], v[6:7], off
	s_branch .LBB393_1811
.LBB393_1810:
	s_mov_b32 s7, 0
.LBB393_1811:
	s_delay_alu instid0(SALU_CYCLE_1)
	s_and_b32 vcc_lo, exec_lo, s7
	s_cbranch_vccz .LBB393_1827
; %bb.1812:
	v_cmp_lt_i16_e64 s6, s3, 27
	s_delay_alu instid0(VALU_DEP_1)
	s_and_b32 vcc_lo, exec_lo, s6
	s_mov_b32 s6, -1
	s_cbranch_vccnz .LBB393_1818
; %bb.1813:
	v_cvt_u32_f64_e32 v2, v[0:1]
	v_cmp_gt_i16_e64 s6, s3, 27
	s_delay_alu instid0(VALU_DEP_1)
	s_and_b32 vcc_lo, exec_lo, s6
	s_mov_b32 s6, -1
	s_cbranch_vccz .LBB393_1815
; %bb.1814:
	s_mov_b32 s6, 0
	global_store_b32 v[15:16], v2, off
.LBB393_1815:
	s_and_not1_b32 vcc_lo, exec_lo, s6
	s_cbranch_vccnz .LBB393_1817
; %bb.1816:
	global_store_b16 v[15:16], v2, off
.LBB393_1817:
	s_mov_b32 s6, 0
.LBB393_1818:
	s_delay_alu instid0(SALU_CYCLE_1)
	s_and_not1_b32 vcc_lo, exec_lo, s6
	s_cbranch_vccnz .LBB393_1826
; %bb.1819:
	v_cvt_f32_f64_e32 v2, v[0:1]
	v_mov_b32_e32 v6, 0x80
	s_mov_b32 s6, exec_lo
	s_delay_alu instid0(VALU_DEP_2) | instskip(NEXT) | instid1(VALU_DEP_1)
	v_and_b32_e32 v3, 0x7fffffff, v2
	v_cmpx_gt_u32_e32 0x43800000, v3
	s_cbranch_execz .LBB393_1825
; %bb.1820:
	v_cmp_lt_u32_e32 vcc_lo, 0x3bffffff, v3
	s_mov_b32 s7, 0
                                        ; implicit-def: $vgpr3
	s_and_saveexec_b32 s10, vcc_lo
	s_delay_alu instid0(SALU_CYCLE_1)
	s_xor_b32 s10, exec_lo, s10
	s_cbranch_execz .LBB393_1920
; %bb.1821:
	v_bfe_u32 v3, v2, 20, 1
	s_mov_b32 s7, exec_lo
	s_delay_alu instid0(VALU_DEP_1) | instskip(NEXT) | instid1(VALU_DEP_1)
	v_add3_u32 v3, v2, v3, 0x487ffff
	v_lshrrev_b32_e32 v3, 20, v3
	s_or_saveexec_b32 s10, s10
                                        ; implicit-def: $sgpr11
	s_delay_alu instid0(SALU_CYCLE_1)
	s_xor_b32 exec_lo, exec_lo, s10
	s_cbranch_execnz .LBB393_1921
.LBB393_1822:
	s_or_b32 exec_lo, exec_lo, s10
	v_mov_b32_e32 v6, s11
	s_and_saveexec_b32 s10, s7
.LBB393_1823:
	v_lshrrev_b32_e32 v2, 24, v2
	s_delay_alu instid0(VALU_DEP_1)
	v_and_or_b32 v6, 0x80, v2, v3
.LBB393_1824:
	s_or_b32 exec_lo, exec_lo, s10
.LBB393_1825:
	s_delay_alu instid0(SALU_CYCLE_1)
	s_or_b32 exec_lo, exec_lo, s6
	global_store_b8 v[15:16], v6, off
.LBB393_1826:
	s_mov_b32 s6, -1
.LBB393_1827:
	s_mov_b32 s7, 0
.LBB393_1828:
	s_delay_alu instid0(SALU_CYCLE_1)
	s_and_b32 vcc_lo, exec_lo, s7
	s_cbranch_vccz .LBB393_1868
; %bb.1829:
	v_cmp_gt_i16_e64 s1, s3, 22
	s_delay_alu instid0(VALU_DEP_1)
	s_and_b32 vcc_lo, exec_lo, s1
	s_mov_b32 s1, -1
	s_cbranch_vccz .LBB393_1861
; %bb.1830:
	v_cmp_lt_i16_e64 s1, s3, 24
	s_delay_alu instid0(VALU_DEP_1)
	s_and_b32 vcc_lo, exec_lo, s1
	s_mov_b32 s1, -1
	s_cbranch_vccnz .LBB393_1850
; %bb.1831:
	v_cmp_gt_i16_e64 s1, s3, 24
	s_delay_alu instid0(VALU_DEP_1)
	s_and_b32 vcc_lo, exec_lo, s1
	s_mov_b32 s1, -1
	s_cbranch_vccz .LBB393_1839
; %bb.1832:
	v_cvt_f32_f64_e32 v2, v[0:1]
	v_mov_b32_e32 v6, 0x80
	s_mov_b32 s1, exec_lo
	s_delay_alu instid0(VALU_DEP_2) | instskip(NEXT) | instid1(VALU_DEP_1)
	v_and_b32_e32 v3, 0x7fffffff, v2
	v_cmpx_gt_u32_e32 0x47800000, v3
	s_cbranch_execz .LBB393_1838
; %bb.1833:
	v_cmp_lt_u32_e32 vcc_lo, 0x37ffffff, v3
	s_mov_b32 s6, 0
                                        ; implicit-def: $vgpr3
	s_and_saveexec_b32 s7, vcc_lo
	s_delay_alu instid0(SALU_CYCLE_1)
	s_xor_b32 s7, exec_lo, s7
	s_cbranch_execz .LBB393_1927
; %bb.1834:
	v_bfe_u32 v3, v2, 21, 1
	s_mov_b32 s6, exec_lo
	s_delay_alu instid0(VALU_DEP_1) | instskip(NEXT) | instid1(VALU_DEP_1)
	v_add3_u32 v3, v2, v3, 0x88fffff
	v_lshrrev_b32_e32 v3, 21, v3
	s_or_saveexec_b32 s7, s7
                                        ; implicit-def: $sgpr10
	s_delay_alu instid0(SALU_CYCLE_1)
	s_xor_b32 exec_lo, exec_lo, s7
	s_cbranch_execnz .LBB393_1928
.LBB393_1835:
	s_or_b32 exec_lo, exec_lo, s7
	v_mov_b32_e32 v6, s10
	s_and_saveexec_b32 s7, s6
.LBB393_1836:
	v_lshrrev_b32_e32 v2, 24, v2
	s_delay_alu instid0(VALU_DEP_1)
	v_and_or_b32 v6, 0x80, v2, v3
.LBB393_1837:
	s_or_b32 exec_lo, exec_lo, s7
.LBB393_1838:
	s_delay_alu instid0(SALU_CYCLE_1)
	s_or_b32 exec_lo, exec_lo, s1
	s_mov_b32 s1, 0
	global_store_b8 v[15:16], v6, off
.LBB393_1839:
	s_and_b32 vcc_lo, exec_lo, s1
	s_cbranch_vccz .LBB393_1849
; %bb.1840:
	v_cvt_f32_f64_e32 v2, v[0:1]
	s_mov_b32 s1, exec_lo
                                        ; implicit-def: $vgpr3
	s_delay_alu instid0(VALU_DEP_1) | instskip(NEXT) | instid1(VALU_DEP_1)
	v_and_b32_e32 v6, 0x7fffffff, v2
	v_cmpx_gt_u32_e32 0x43f00000, v6
	s_xor_b32 s1, exec_lo, s1
	s_cbranch_execz .LBB393_1846
; %bb.1841:
	s_mov_b32 s6, exec_lo
                                        ; implicit-def: $vgpr3
	v_cmpx_lt_u32_e32 0x3c7fffff, v6
	s_xor_b32 s6, exec_lo, s6
; %bb.1842:
	v_bfe_u32 v3, v2, 20, 1
	s_delay_alu instid0(VALU_DEP_1) | instskip(NEXT) | instid1(VALU_DEP_1)
	v_add3_u32 v3, v2, v3, 0x407ffff
	v_and_b32_e32 v6, 0xff00000, v3
	v_lshrrev_b32_e32 v3, 20, v3
	s_delay_alu instid0(VALU_DEP_2) | instskip(NEXT) | instid1(VALU_DEP_2)
	v_cmp_ne_u32_e32 vcc_lo, 0x7f00000, v6
	v_cndmask_b32_e32 v3, 0x7e, v3, vcc_lo
; %bb.1843:
	s_and_not1_saveexec_b32 s6, s6
; %bb.1844:
	v_add_f32_e64 v3, 0x46800000, |v2|
; %bb.1845:
	s_or_b32 exec_lo, exec_lo, s6
                                        ; implicit-def: $vgpr6
.LBB393_1846:
	s_and_not1_saveexec_b32 s1, s1
; %bb.1847:
	v_mov_b32_e32 v3, 0x7f
	v_cmp_lt_u32_e32 vcc_lo, 0x7f800000, v6
	s_delay_alu instid0(VALU_DEP_2)
	v_cndmask_b32_e32 v3, 0x7e, v3, vcc_lo
; %bb.1848:
	s_or_b32 exec_lo, exec_lo, s1
	v_lshrrev_b32_e32 v2, 24, v2
	s_delay_alu instid0(VALU_DEP_1)
	v_and_or_b32 v2, 0x80, v2, v3
	global_store_b8 v[15:16], v2, off
.LBB393_1849:
	s_mov_b32 s1, 0
.LBB393_1850:
	s_delay_alu instid0(SALU_CYCLE_1)
	s_and_not1_b32 vcc_lo, exec_lo, s1
	s_cbranch_vccnz .LBB393_1860
; %bb.1851:
	v_cvt_f32_f64_e32 v2, v[0:1]
	s_mov_b32 s1, exec_lo
                                        ; implicit-def: $vgpr3
	s_delay_alu instid0(VALU_DEP_1) | instskip(NEXT) | instid1(VALU_DEP_1)
	v_and_b32_e32 v6, 0x7fffffff, v2
	v_cmpx_gt_u32_e32 0x47800000, v6
	s_xor_b32 s1, exec_lo, s1
	s_cbranch_execz .LBB393_1857
; %bb.1852:
	s_mov_b32 s6, exec_lo
                                        ; implicit-def: $vgpr3
	v_cmpx_lt_u32_e32 0x387fffff, v6
	s_xor_b32 s6, exec_lo, s6
; %bb.1853:
	v_bfe_u32 v3, v2, 21, 1
	s_delay_alu instid0(VALU_DEP_1) | instskip(NEXT) | instid1(VALU_DEP_1)
	v_add3_u32 v3, v2, v3, 0x80fffff
	v_lshrrev_b32_e32 v3, 21, v3
; %bb.1854:
	s_and_not1_saveexec_b32 s6, s6
; %bb.1855:
	v_add_f32_e64 v3, 0x43000000, |v2|
; %bb.1856:
	s_or_b32 exec_lo, exec_lo, s6
                                        ; implicit-def: $vgpr6
.LBB393_1857:
	s_and_not1_saveexec_b32 s1, s1
; %bb.1858:
	v_mov_b32_e32 v3, 0x7f
	v_cmp_lt_u32_e32 vcc_lo, 0x7f800000, v6
	s_delay_alu instid0(VALU_DEP_2)
	v_cndmask_b32_e32 v3, 0x7c, v3, vcc_lo
; %bb.1859:
	s_or_b32 exec_lo, exec_lo, s1
	v_lshrrev_b32_e32 v2, 24, v2
	s_delay_alu instid0(VALU_DEP_1)
	v_and_or_b32 v2, 0x80, v2, v3
	global_store_b8 v[15:16], v2, off
.LBB393_1860:
	s_mov_b32 s1, 0
	s_mov_b32 s6, -1
.LBB393_1861:
	s_and_not1_b32 vcc_lo, exec_lo, s1
	s_mov_b32 s1, 0
	s_cbranch_vccnz .LBB393_1868
; %bb.1862:
	v_cmp_gt_i16_e64 s1, s3, 14
	s_delay_alu instid0(VALU_DEP_1)
	s_and_b32 vcc_lo, exec_lo, s1
	s_mov_b32 s1, -1
	s_cbranch_vccz .LBB393_1866
; %bb.1863:
	v_cmp_eq_u16_e64 s0, s3, 15
	s_delay_alu instid0(VALU_DEP_1)
	s_and_b32 vcc_lo, exec_lo, s0
	s_mov_b32 s0, -1
	s_cbranch_vccz .LBB393_1865
; %bb.1864:
	v_cvt_f32_f64_e32 v2, v[0:1]
	s_mov_b32 s0, 0
	s_mov_b32 s6, -1
	s_delay_alu instid0(VALU_DEP_1) | instskip(SKIP_1) | instid1(VALU_DEP_2)
	v_bfe_u32 v3, v2, 16, 1
	v_cmp_o_f32_e32 vcc_lo, v2, v2
	v_add3_u32 v3, v2, v3, 0x7fff
	s_delay_alu instid0(VALU_DEP_1) | instskip(NEXT) | instid1(VALU_DEP_1)
	v_lshrrev_b32_e32 v3, 16, v3
	v_cndmask_b32_e32 v2, 0x7fc0, v3, vcc_lo
	global_store_b16 v[15:16], v2, off
.LBB393_1865:
	s_mov_b32 s1, 0
.LBB393_1866:
	s_delay_alu instid0(SALU_CYCLE_1)
	s_and_b32 vcc_lo, exec_lo, s1
	s_mov_b32 s1, 0
	s_cbranch_vccz .LBB393_1868
; %bb.1867:
	v_cmp_ne_u16_e64 s0, s3, 11
	s_mov_b32 s1, -1
.LBB393_1868:
	s_delay_alu instid0(VALU_DEP_1)
	s_and_b32 vcc_lo, exec_lo, s0
	s_cbranch_vccnz .LBB393_1925
; %bb.1869:
	s_and_not1_b32 vcc_lo, exec_lo, s1
	s_cbranch_vccnz .LBB393_1871
.LBB393_1870:
	v_cmp_neq_f64_e32 vcc_lo, 0, v[0:1]
	s_mov_b32 s6, -1
	v_cndmask_b32_e64 v2, 0, 1, vcc_lo
	global_store_b8 v[15:16], v2, off
.LBB393_1871:
	s_mov_b32 s0, 0
.LBB393_1872:
	s_delay_alu instid0(SALU_CYCLE_1)
	s_and_b32 vcc_lo, exec_lo, s0
	s_cbranch_vccz .LBB393_1911
; %bb.1873:
	v_cmp_lt_i16_e64 s0, s3, 5
	s_delay_alu instid0(VALU_DEP_1)
	s_and_b32 vcc_lo, exec_lo, s0
	s_mov_b32 s0, -1
	s_cbranch_vccnz .LBB393_1894
; %bb.1874:
	v_cmp_lt_i16_e64 s0, s3, 8
	s_delay_alu instid0(VALU_DEP_1)
	s_and_b32 vcc_lo, exec_lo, s0
	s_mov_b32 s0, -1
	s_cbranch_vccnz .LBB393_1884
	;; [unrolled: 6-line block ×3, first 2 shown]
; %bb.1876:
	v_cmp_gt_i16_e64 s0, s3, 9
	s_delay_alu instid0(VALU_DEP_1)
	s_and_b32 vcc_lo, exec_lo, s0
	s_mov_b32 s0, -1
	s_cbranch_vccz .LBB393_1878
; %bb.1877:
	v_mov_b32_e32 v2, 0
	s_mov_b32 s0, 0
	s_delay_alu instid0(VALU_DEP_1)
	v_mov_b32_e32 v3, v2
	global_store_b128 v[15:16], v[0:3], off
.LBB393_1878:
	s_and_not1_b32 vcc_lo, exec_lo, s0
	s_cbranch_vccnz .LBB393_1880
; %bb.1879:
	v_cvt_f32_f64_e32 v2, v[0:1]
	v_mov_b32_e32 v3, 0
	global_store_b64 v[15:16], v[2:3], off
.LBB393_1880:
	s_mov_b32 s0, 0
.LBB393_1881:
	s_delay_alu instid0(SALU_CYCLE_1)
	s_and_not1_b32 vcc_lo, exec_lo, s0
	s_cbranch_vccnz .LBB393_1883
; %bb.1882:
	v_cvt_f32_f64_e32 v2, v[0:1]
	s_delay_alu instid0(VALU_DEP_1) | instskip(NEXT) | instid1(VALU_DEP_1)
	v_cvt_f16_f32_e32 v2, v2
	v_and_b32_e32 v2, 0xffff, v2
	global_store_b32 v[15:16], v2, off
.LBB393_1883:
	s_mov_b32 s0, 0
.LBB393_1884:
	s_delay_alu instid0(SALU_CYCLE_1)
	s_and_not1_b32 vcc_lo, exec_lo, s0
	s_cbranch_vccnz .LBB393_1893
; %bb.1885:
	v_cmp_lt_i16_e64 s0, s3, 6
	s_delay_alu instid0(VALU_DEP_1)
	s_and_b32 vcc_lo, exec_lo, s0
	s_mov_b32 s0, -1
	s_cbranch_vccnz .LBB393_1891
; %bb.1886:
	v_cmp_gt_i16_e64 s0, s3, 6
	s_delay_alu instid0(VALU_DEP_1)
	s_and_b32 vcc_lo, exec_lo, s0
	s_mov_b32 s0, -1
	s_cbranch_vccz .LBB393_1888
; %bb.1887:
	s_mov_b32 s0, 0
	global_store_b64 v[15:16], v[0:1], off
.LBB393_1888:
	s_and_not1_b32 vcc_lo, exec_lo, s0
	s_cbranch_vccnz .LBB393_1890
; %bb.1889:
	v_cvt_f32_f64_e32 v2, v[0:1]
	global_store_b32 v[15:16], v2, off
.LBB393_1890:
	s_mov_b32 s0, 0
.LBB393_1891:
	s_delay_alu instid0(SALU_CYCLE_1)
	s_and_not1_b32 vcc_lo, exec_lo, s0
	s_cbranch_vccnz .LBB393_1893
; %bb.1892:
	v_cvt_f32_f64_e32 v2, v[0:1]
	s_delay_alu instid0(VALU_DEP_1)
	v_cvt_f16_f32_e32 v2, v2
	global_store_b16 v[15:16], v2, off
.LBB393_1893:
	s_mov_b32 s0, 0
.LBB393_1894:
	s_delay_alu instid0(SALU_CYCLE_1)
	s_and_not1_b32 vcc_lo, exec_lo, s0
	s_cbranch_vccnz .LBB393_1910
; %bb.1895:
	v_cmp_lt_i16_e64 s0, s3, 2
	s_delay_alu instid0(VALU_DEP_1)
	s_and_b32 vcc_lo, exec_lo, s0
	s_mov_b32 s0, -1
	s_cbranch_vccnz .LBB393_1905
; %bb.1896:
	v_cmp_lt_i16_e64 s0, s3, 3
	s_delay_alu instid0(VALU_DEP_1)
	s_and_b32 vcc_lo, exec_lo, s0
	s_mov_b32 s0, -1
	s_cbranch_vccnz .LBB393_1902
; %bb.1897:
	v_cmp_gt_i16_e64 s0, s3, 3
	s_delay_alu instid0(VALU_DEP_1)
	s_and_b32 vcc_lo, exec_lo, s0
	s_mov_b32 s0, -1
	s_cbranch_vccz .LBB393_1899
; %bb.1898:
	v_trunc_f64_e32 v[2:3], v[0:1]
	s_mov_b32 s0, 0
	s_delay_alu instid0(VALU_DEP_1) | instskip(NEXT) | instid1(VALU_DEP_1)
	v_ldexp_f64 v[6:7], v[2:3], 0xffffffe0
	v_floor_f64_e32 v[6:7], v[6:7]
	s_delay_alu instid0(VALU_DEP_1) | instskip(SKIP_1) | instid1(VALU_DEP_2)
	v_fma_f64 v[2:3], 0xc1f00000, v[6:7], v[2:3]
	v_cvt_i32_f64_e32 v7, v[6:7]
	v_cvt_u32_f64_e32 v6, v[2:3]
	global_store_b64 v[15:16], v[6:7], off
.LBB393_1899:
	s_and_not1_b32 vcc_lo, exec_lo, s0
	s_cbranch_vccnz .LBB393_1901
; %bb.1900:
	v_cvt_i32_f64_e32 v2, v[0:1]
	global_store_b32 v[15:16], v2, off
.LBB393_1901:
	s_mov_b32 s0, 0
.LBB393_1902:
	s_delay_alu instid0(SALU_CYCLE_1)
	s_and_not1_b32 vcc_lo, exec_lo, s0
	s_cbranch_vccnz .LBB393_1904
; %bb.1903:
	v_cvt_i32_f64_e32 v2, v[0:1]
	global_store_b16 v[15:16], v2, off
.LBB393_1904:
	s_mov_b32 s0, 0
.LBB393_1905:
	s_delay_alu instid0(SALU_CYCLE_1)
	s_and_not1_b32 vcc_lo, exec_lo, s0
	s_cbranch_vccnz .LBB393_1910
; %bb.1906:
	v_cmp_gt_i16_e64 s0, s3, 0
	s_delay_alu instid0(VALU_DEP_1)
	s_and_b32 vcc_lo, exec_lo, s0
	s_mov_b32 s0, -1
	s_cbranch_vccz .LBB393_1908
; %bb.1907:
	v_cvt_i32_f64_e32 v2, v[0:1]
	s_mov_b32 s0, 0
	global_store_b8 v[15:16], v2, off
.LBB393_1908:
	s_and_not1_b32 vcc_lo, exec_lo, s0
	s_cbranch_vccnz .LBB393_1910
; %bb.1909:
	v_trunc_f64_e32 v[0:1], v[0:1]
	s_delay_alu instid0(VALU_DEP_1) | instskip(NEXT) | instid1(VALU_DEP_1)
	v_ldexp_f64 v[2:3], v[0:1], 0xffffffe0
	v_floor_f64_e32 v[2:3], v[2:3]
	s_delay_alu instid0(VALU_DEP_1) | instskip(NEXT) | instid1(VALU_DEP_1)
	v_fma_f64 v[0:1], 0xc1f00000, v[2:3], v[0:1]
	v_cvt_u32_f64_e32 v0, v[0:1]
	global_store_b8 v[15:16], v0, off
.LBB393_1910:
	s_mov_b32 s6, -1
.LBB393_1911:
	s_delay_alu instid0(SALU_CYCLE_1)
	s_and_not1_b32 vcc_lo, exec_lo, s6
	s_cbranch_vccnz .LBB393_2049
; %bb.1912:
	v_max_f64 v[0:1], v[9:10], v[9:10]
	v_cmp_u_f64_e32 vcc_lo, v[9:10], v[9:10]
	v_cmp_lt_i16_e64 s0, s3, 11
	v_add_co_u32 v5, s1, s4, v5
	s_delay_alu instid0(VALU_DEP_1) | instskip(SKIP_2) | instid1(VALU_DEP_1)
	v_add_co_ci_u32_e64 v6, null, s5, 0, s1
	s_mov_b32 s6, 0
	v_max_f64 v[0:1], v[0:1], v[13:14]
	v_dual_cndmask_b32 v1, v1, v10 :: v_dual_cndmask_b32 v0, v0, v9
	s_and_b32 vcc_lo, exec_lo, s0
	s_mov_b32 s0, -1
	s_cbranch_vccnz .LBB393_2001
; %bb.1913:
	v_cmp_gt_i16_e64 s0, s3, 25
	s_mov_b32 s7, -1
	s_mov_b32 s1, 0
	s_delay_alu instid0(VALU_DEP_1)
	s_and_b32 vcc_lo, exec_lo, s0
	s_mov_b32 s0, 0
	s_cbranch_vccz .LBB393_1957
; %bb.1914:
	v_cmp_gt_i16_e64 s0, s3, 28
	s_delay_alu instid0(VALU_DEP_1)
	s_and_b32 vcc_lo, exec_lo, s0
	s_cbranch_vccz .LBB393_1919
; %bb.1915:
	v_cmp_gt_i16_e64 s0, s3, 43
	s_delay_alu instid0(VALU_DEP_1)
	s_and_b32 vcc_lo, exec_lo, s0
	;; [unrolled: 5-line block ×3, first 2 shown]
	s_cbranch_vccz .LBB393_1929
; %bb.1917:
	v_cmp_eq_u16_e64 s6, s3, 46
	s_mov_b32 s0, -1
	s_mov_b32 s7, 0
	s_delay_alu instid0(VALU_DEP_1)
	s_and_b32 vcc_lo, exec_lo, s6
	s_mov_b32 s6, 0
	s_cbranch_vccz .LBB393_1930
; %bb.1918:
	v_cvt_f32_f64_e32 v2, v[0:1]
	s_mov_b32 s0, 0
	s_mov_b32 s6, -1
	s_delay_alu instid0(VALU_DEP_1) | instskip(SKIP_1) | instid1(VALU_DEP_2)
	v_bfe_u32 v3, v2, 16, 1
	v_cmp_o_f32_e32 vcc_lo, v2, v2
	v_add3_u32 v3, v2, v3, 0x7fff
	s_delay_alu instid0(VALU_DEP_1) | instskip(NEXT) | instid1(VALU_DEP_1)
	v_lshrrev_b32_e32 v3, 16, v3
	v_cndmask_b32_e32 v2, 0x7fc0, v3, vcc_lo
	global_store_b32 v[5:6], v2, off
	s_branch .LBB393_1930
.LBB393_1919:
	s_mov_b32 s0, 0
	s_branch .LBB393_1940
.LBB393_1920:
	s_or_saveexec_b32 s10, s10
                                        ; implicit-def: $sgpr11
	s_delay_alu instid0(SALU_CYCLE_1)
	s_xor_b32 exec_lo, exec_lo, s10
	s_cbranch_execz .LBB393_1822
.LBB393_1921:
	v_add_f32_e64 v3, 0x46000000, |v2|
	s_and_not1_b32 s7, s7, exec_lo
	s_mov_b32 s11, 0
	s_delay_alu instid0(VALU_DEP_1) | instskip(NEXT) | instid1(VALU_DEP_1)
	v_and_b32_e32 v3, 0xff, v3
	v_cmp_ne_u32_e32 vcc_lo, 0, v3
	s_and_b32 s12, vcc_lo, exec_lo
	s_delay_alu instid0(SALU_CYCLE_1)
	s_or_b32 s7, s7, s12
	s_or_b32 exec_lo, exec_lo, s10
	v_mov_b32_e32 v6, s11
	s_and_saveexec_b32 s10, s7
	s_cbranch_execnz .LBB393_1823
	s_branch .LBB393_1824
.LBB393_1922:
	s_mov_b32 s0, 0
	s_branch .LBB393_1936
.LBB393_1923:
	s_trap 2
	s_sendmsg_rtn_b32 s0, sendmsg(MSG_RTN_GET_DOORBELL)
	s_mov_b32 ttmp2, m0
	s_waitcnt lgkmcnt(0)
	s_and_b32 s0, s0, 0x3ff
	s_delay_alu instid0(SALU_CYCLE_1) | instskip(NEXT) | instid1(SALU_CYCLE_1)
	s_bitset1_b32 s0, 10
	s_mov_b32 m0, s0
	s_sendmsg sendmsg(MSG_INTERRUPT)
	s_mov_b32 m0, ttmp2
.LBB393_1924:                           ; =>This Inner Loop Header: Depth=1
	s_sethalt 5
	s_branch .LBB393_1924
.LBB393_1925:
	s_cbranch_execnz .LBB393_2098
; %bb.1926:
	s_or_b32 s2, s2, exec_lo
	s_cbranch_execz .LBB393_1870
	s_branch .LBB393_1871
.LBB393_1927:
	s_or_saveexec_b32 s7, s7
                                        ; implicit-def: $sgpr10
	s_delay_alu instid0(SALU_CYCLE_1)
	s_xor_b32 exec_lo, exec_lo, s7
	s_cbranch_execz .LBB393_1835
.LBB393_1928:
	v_add_f32_e64 v3, 0x42800000, |v2|
	s_and_not1_b32 s6, s6, exec_lo
	s_mov_b32 s10, 0
	s_delay_alu instid0(VALU_DEP_1) | instskip(NEXT) | instid1(VALU_DEP_1)
	v_and_b32_e32 v3, 0xff, v3
	v_cmp_ne_u32_e32 vcc_lo, 0, v3
	s_and_b32 s11, vcc_lo, exec_lo
	s_delay_alu instid0(SALU_CYCLE_1)
	s_or_b32 s6, s6, s11
	s_or_b32 exec_lo, exec_lo, s7
	v_mov_b32_e32 v6, s10
	s_and_saveexec_b32 s7, s6
	s_cbranch_execnz .LBB393_1836
	s_branch .LBB393_1837
.LBB393_1929:
	s_mov_b32 s0, 0
.LBB393_1930:
	s_and_b32 vcc_lo, exec_lo, s7
	s_cbranch_vccz .LBB393_1935
; %bb.1931:
	v_cmp_eq_u16_e64 s0, s3, 44
	s_delay_alu instid0(VALU_DEP_1)
	s_and_b32 vcc_lo, exec_lo, s0
	s_mov_b32 s0, -1
	s_cbranch_vccz .LBB393_1935
; %bb.1932:
	v_cvt_f32_f64_e32 v2, v[0:1]
	v_mov_b32_e32 v3, 0xff
	s_mov_b32 s6, exec_lo
	s_delay_alu instid0(VALU_DEP_2) | instskip(NEXT) | instid1(VALU_DEP_1)
	v_bfe_u32 v7, v2, 23, 8
	v_cmpx_ne_u32_e32 0xff, v7
; %bb.1933:
	v_and_b32_e32 v3, 0x400000, v2
	v_and_or_b32 v7, 0x3fffff, v2, v7
	v_lshrrev_b32_e32 v2, 23, v2
	s_delay_alu instid0(VALU_DEP_3) | instskip(NEXT) | instid1(VALU_DEP_3)
	v_cmp_ne_u32_e32 vcc_lo, 0, v3
	v_cmp_ne_u32_e64 s0, 0, v7
	s_delay_alu instid0(VALU_DEP_1) | instskip(NEXT) | instid1(SALU_CYCLE_1)
	s_and_b32 s0, vcc_lo, s0
	v_cndmask_b32_e64 v3, 0, 1, s0
	s_delay_alu instid0(VALU_DEP_1)
	v_add_nc_u32_e32 v3, v2, v3
; %bb.1934:
	s_or_b32 exec_lo, exec_lo, s6
	s_mov_b32 s0, 0
	s_mov_b32 s6, -1
	global_store_b8 v[5:6], v3, off
.LBB393_1935:
	s_mov_b32 s7, 0
.LBB393_1936:
	s_delay_alu instid0(SALU_CYCLE_1)
	s_and_b32 vcc_lo, exec_lo, s7
	s_cbranch_vccz .LBB393_1939
; %bb.1937:
	v_cmp_eq_u16_e64 s0, s3, 29
	s_delay_alu instid0(VALU_DEP_1)
	s_and_b32 vcc_lo, exec_lo, s0
	s_mov_b32 s0, -1
	s_cbranch_vccz .LBB393_1939
; %bb.1938:
	v_trunc_f64_e32 v[2:3], v[0:1]
	s_mov_b32 s0, 0
	s_mov_b32 s6, -1
	s_mov_b32 s7, 0
	s_delay_alu instid0(VALU_DEP_1) | instskip(NEXT) | instid1(VALU_DEP_1)
	v_ldexp_f64 v[7:8], v[2:3], 0xffffffe0
	v_floor_f64_e32 v[7:8], v[7:8]
	s_delay_alu instid0(VALU_DEP_1) | instskip(SKIP_1) | instid1(VALU_DEP_2)
	v_fma_f64 v[2:3], 0xc1f00000, v[7:8], v[2:3]
	v_cvt_u32_f64_e32 v8, v[7:8]
	v_cvt_u32_f64_e32 v7, v[2:3]
	global_store_b64 v[5:6], v[7:8], off
	s_branch .LBB393_1940
.LBB393_1939:
	s_mov_b32 s7, 0
.LBB393_1940:
	s_delay_alu instid0(SALU_CYCLE_1)
	s_and_b32 vcc_lo, exec_lo, s7
	s_cbranch_vccz .LBB393_1956
; %bb.1941:
	v_cmp_lt_i16_e64 s6, s3, 27
	s_delay_alu instid0(VALU_DEP_1)
	s_and_b32 vcc_lo, exec_lo, s6
	s_mov_b32 s6, -1
	s_cbranch_vccnz .LBB393_1947
; %bb.1942:
	v_cvt_u32_f64_e32 v2, v[0:1]
	v_cmp_gt_i16_e64 s6, s3, 27
	s_delay_alu instid0(VALU_DEP_1)
	s_and_b32 vcc_lo, exec_lo, s6
	s_mov_b32 s6, -1
	s_cbranch_vccz .LBB393_1944
; %bb.1943:
	s_mov_b32 s6, 0
	global_store_b32 v[5:6], v2, off
.LBB393_1944:
	s_and_not1_b32 vcc_lo, exec_lo, s6
	s_cbranch_vccnz .LBB393_1946
; %bb.1945:
	global_store_b16 v[5:6], v2, off
.LBB393_1946:
	s_mov_b32 s6, 0
.LBB393_1947:
	s_delay_alu instid0(SALU_CYCLE_1)
	s_and_not1_b32 vcc_lo, exec_lo, s6
	s_cbranch_vccnz .LBB393_1955
; %bb.1948:
	v_cvt_f32_f64_e32 v2, v[0:1]
	v_mov_b32_e32 v7, 0x80
	s_mov_b32 s6, exec_lo
	s_delay_alu instid0(VALU_DEP_2) | instskip(NEXT) | instid1(VALU_DEP_1)
	v_and_b32_e32 v3, 0x7fffffff, v2
	v_cmpx_gt_u32_e32 0x43800000, v3
	s_cbranch_execz .LBB393_1954
; %bb.1949:
	v_cmp_lt_u32_e32 vcc_lo, 0x3bffffff, v3
	s_mov_b32 s7, 0
                                        ; implicit-def: $vgpr3
	s_and_saveexec_b32 s10, vcc_lo
	s_delay_alu instid0(SALU_CYCLE_1)
	s_xor_b32 s10, exec_lo, s10
	s_cbranch_execz .LBB393_2095
; %bb.1950:
	v_bfe_u32 v3, v2, 20, 1
	s_mov_b32 s7, exec_lo
	s_delay_alu instid0(VALU_DEP_1) | instskip(NEXT) | instid1(VALU_DEP_1)
	v_add3_u32 v3, v2, v3, 0x487ffff
	v_lshrrev_b32_e32 v3, 20, v3
	s_or_saveexec_b32 s10, s10
                                        ; implicit-def: $sgpr11
	s_delay_alu instid0(SALU_CYCLE_1)
	s_xor_b32 exec_lo, exec_lo, s10
	s_cbranch_execnz .LBB393_2096
.LBB393_1951:
	s_or_b32 exec_lo, exec_lo, s10
	v_mov_b32_e32 v7, s11
	s_and_saveexec_b32 s10, s7
.LBB393_1952:
	v_lshrrev_b32_e32 v2, 24, v2
	s_delay_alu instid0(VALU_DEP_1)
	v_and_or_b32 v7, 0x80, v2, v3
.LBB393_1953:
	s_or_b32 exec_lo, exec_lo, s10
.LBB393_1954:
	s_delay_alu instid0(SALU_CYCLE_1)
	s_or_b32 exec_lo, exec_lo, s6
	global_store_b8 v[5:6], v7, off
.LBB393_1955:
	s_mov_b32 s6, -1
.LBB393_1956:
	s_mov_b32 s7, 0
.LBB393_1957:
	s_delay_alu instid0(SALU_CYCLE_1)
	s_and_b32 vcc_lo, exec_lo, s7
	s_cbranch_vccz .LBB393_1997
; %bb.1958:
	v_cmp_gt_i16_e64 s1, s3, 22
	s_delay_alu instid0(VALU_DEP_1)
	s_and_b32 vcc_lo, exec_lo, s1
	s_mov_b32 s1, -1
	s_cbranch_vccz .LBB393_1990
; %bb.1959:
	v_cmp_lt_i16_e64 s1, s3, 24
	s_delay_alu instid0(VALU_DEP_1)
	s_and_b32 vcc_lo, exec_lo, s1
	s_mov_b32 s1, -1
	s_cbranch_vccnz .LBB393_1979
; %bb.1960:
	v_cmp_gt_i16_e64 s1, s3, 24
	s_delay_alu instid0(VALU_DEP_1)
	s_and_b32 vcc_lo, exec_lo, s1
	s_mov_b32 s1, -1
	s_cbranch_vccz .LBB393_1968
; %bb.1961:
	v_cvt_f32_f64_e32 v2, v[0:1]
	v_mov_b32_e32 v7, 0x80
	s_mov_b32 s1, exec_lo
	s_delay_alu instid0(VALU_DEP_2) | instskip(NEXT) | instid1(VALU_DEP_1)
	v_and_b32_e32 v3, 0x7fffffff, v2
	v_cmpx_gt_u32_e32 0x47800000, v3
	s_cbranch_execz .LBB393_1967
; %bb.1962:
	v_cmp_lt_u32_e32 vcc_lo, 0x37ffffff, v3
	s_mov_b32 s6, 0
                                        ; implicit-def: $vgpr3
	s_and_saveexec_b32 s7, vcc_lo
	s_delay_alu instid0(SALU_CYCLE_1)
	s_xor_b32 s7, exec_lo, s7
	s_cbranch_execz .LBB393_2102
; %bb.1963:
	v_bfe_u32 v3, v2, 21, 1
	s_mov_b32 s6, exec_lo
	s_delay_alu instid0(VALU_DEP_1) | instskip(NEXT) | instid1(VALU_DEP_1)
	v_add3_u32 v3, v2, v3, 0x88fffff
	v_lshrrev_b32_e32 v3, 21, v3
	s_or_saveexec_b32 s7, s7
                                        ; implicit-def: $sgpr10
	s_delay_alu instid0(SALU_CYCLE_1)
	s_xor_b32 exec_lo, exec_lo, s7
	s_cbranch_execnz .LBB393_2103
.LBB393_1964:
	s_or_b32 exec_lo, exec_lo, s7
	v_mov_b32_e32 v7, s10
	s_and_saveexec_b32 s7, s6
.LBB393_1965:
	v_lshrrev_b32_e32 v2, 24, v2
	s_delay_alu instid0(VALU_DEP_1)
	v_and_or_b32 v7, 0x80, v2, v3
.LBB393_1966:
	s_or_b32 exec_lo, exec_lo, s7
.LBB393_1967:
	s_delay_alu instid0(SALU_CYCLE_1)
	s_or_b32 exec_lo, exec_lo, s1
	s_mov_b32 s1, 0
	global_store_b8 v[5:6], v7, off
.LBB393_1968:
	s_and_b32 vcc_lo, exec_lo, s1
	s_cbranch_vccz .LBB393_1978
; %bb.1969:
	v_cvt_f32_f64_e32 v2, v[0:1]
	s_mov_b32 s1, exec_lo
                                        ; implicit-def: $vgpr3
	s_delay_alu instid0(VALU_DEP_1) | instskip(NEXT) | instid1(VALU_DEP_1)
	v_and_b32_e32 v7, 0x7fffffff, v2
	v_cmpx_gt_u32_e32 0x43f00000, v7
	s_xor_b32 s1, exec_lo, s1
	s_cbranch_execz .LBB393_1975
; %bb.1970:
	s_mov_b32 s6, exec_lo
                                        ; implicit-def: $vgpr3
	v_cmpx_lt_u32_e32 0x3c7fffff, v7
	s_xor_b32 s6, exec_lo, s6
; %bb.1971:
	v_bfe_u32 v3, v2, 20, 1
	s_delay_alu instid0(VALU_DEP_1) | instskip(NEXT) | instid1(VALU_DEP_1)
	v_add3_u32 v3, v2, v3, 0x407ffff
	v_and_b32_e32 v7, 0xff00000, v3
	v_lshrrev_b32_e32 v3, 20, v3
	s_delay_alu instid0(VALU_DEP_2) | instskip(NEXT) | instid1(VALU_DEP_2)
	v_cmp_ne_u32_e32 vcc_lo, 0x7f00000, v7
	v_cndmask_b32_e32 v3, 0x7e, v3, vcc_lo
; %bb.1972:
	s_and_not1_saveexec_b32 s6, s6
; %bb.1973:
	v_add_f32_e64 v3, 0x46800000, |v2|
; %bb.1974:
	s_or_b32 exec_lo, exec_lo, s6
                                        ; implicit-def: $vgpr7
.LBB393_1975:
	s_and_not1_saveexec_b32 s1, s1
; %bb.1976:
	v_mov_b32_e32 v3, 0x7f
	v_cmp_lt_u32_e32 vcc_lo, 0x7f800000, v7
	s_delay_alu instid0(VALU_DEP_2)
	v_cndmask_b32_e32 v3, 0x7e, v3, vcc_lo
; %bb.1977:
	s_or_b32 exec_lo, exec_lo, s1
	v_lshrrev_b32_e32 v2, 24, v2
	s_delay_alu instid0(VALU_DEP_1)
	v_and_or_b32 v2, 0x80, v2, v3
	global_store_b8 v[5:6], v2, off
.LBB393_1978:
	s_mov_b32 s1, 0
.LBB393_1979:
	s_delay_alu instid0(SALU_CYCLE_1)
	s_and_not1_b32 vcc_lo, exec_lo, s1
	s_cbranch_vccnz .LBB393_1989
; %bb.1980:
	v_cvt_f32_f64_e32 v2, v[0:1]
	s_mov_b32 s1, exec_lo
                                        ; implicit-def: $vgpr3
	s_delay_alu instid0(VALU_DEP_1) | instskip(NEXT) | instid1(VALU_DEP_1)
	v_and_b32_e32 v7, 0x7fffffff, v2
	v_cmpx_gt_u32_e32 0x47800000, v7
	s_xor_b32 s1, exec_lo, s1
	s_cbranch_execz .LBB393_1986
; %bb.1981:
	s_mov_b32 s6, exec_lo
                                        ; implicit-def: $vgpr3
	v_cmpx_lt_u32_e32 0x387fffff, v7
	s_xor_b32 s6, exec_lo, s6
; %bb.1982:
	v_bfe_u32 v3, v2, 21, 1
	s_delay_alu instid0(VALU_DEP_1) | instskip(NEXT) | instid1(VALU_DEP_1)
	v_add3_u32 v3, v2, v3, 0x80fffff
	v_lshrrev_b32_e32 v3, 21, v3
; %bb.1983:
	s_and_not1_saveexec_b32 s6, s6
; %bb.1984:
	v_add_f32_e64 v3, 0x43000000, |v2|
; %bb.1985:
	s_or_b32 exec_lo, exec_lo, s6
                                        ; implicit-def: $vgpr7
.LBB393_1986:
	s_and_not1_saveexec_b32 s1, s1
; %bb.1987:
	v_mov_b32_e32 v3, 0x7f
	v_cmp_lt_u32_e32 vcc_lo, 0x7f800000, v7
	s_delay_alu instid0(VALU_DEP_2)
	v_cndmask_b32_e32 v3, 0x7c, v3, vcc_lo
; %bb.1988:
	s_or_b32 exec_lo, exec_lo, s1
	v_lshrrev_b32_e32 v2, 24, v2
	s_delay_alu instid0(VALU_DEP_1)
	v_and_or_b32 v2, 0x80, v2, v3
	global_store_b8 v[5:6], v2, off
.LBB393_1989:
	s_mov_b32 s1, 0
	s_mov_b32 s6, -1
.LBB393_1990:
	s_and_not1_b32 vcc_lo, exec_lo, s1
	s_mov_b32 s1, 0
	s_cbranch_vccnz .LBB393_1997
; %bb.1991:
	v_cmp_gt_i16_e64 s1, s3, 14
	s_delay_alu instid0(VALU_DEP_1)
	s_and_b32 vcc_lo, exec_lo, s1
	s_mov_b32 s1, -1
	s_cbranch_vccz .LBB393_1995
; %bb.1992:
	v_cmp_eq_u16_e64 s0, s3, 15
	s_delay_alu instid0(VALU_DEP_1)
	s_and_b32 vcc_lo, exec_lo, s0
	s_mov_b32 s0, -1
	s_cbranch_vccz .LBB393_1994
; %bb.1993:
	v_cvt_f32_f64_e32 v2, v[0:1]
	s_mov_b32 s0, 0
	s_mov_b32 s6, -1
	s_delay_alu instid0(VALU_DEP_1) | instskip(SKIP_1) | instid1(VALU_DEP_2)
	v_bfe_u32 v3, v2, 16, 1
	v_cmp_o_f32_e32 vcc_lo, v2, v2
	v_add3_u32 v3, v2, v3, 0x7fff
	s_delay_alu instid0(VALU_DEP_1) | instskip(NEXT) | instid1(VALU_DEP_1)
	v_lshrrev_b32_e32 v3, 16, v3
	v_cndmask_b32_e32 v2, 0x7fc0, v3, vcc_lo
	global_store_b16 v[5:6], v2, off
.LBB393_1994:
	s_mov_b32 s1, 0
.LBB393_1995:
	s_delay_alu instid0(SALU_CYCLE_1)
	s_and_b32 vcc_lo, exec_lo, s1
	s_mov_b32 s1, 0
	s_cbranch_vccz .LBB393_1997
; %bb.1996:
	v_cmp_ne_u16_e64 s0, s3, 11
	s_mov_b32 s1, -1
.LBB393_1997:
	s_delay_alu instid0(VALU_DEP_1)
	s_and_b32 vcc_lo, exec_lo, s0
	s_cbranch_vccnz .LBB393_2100
; %bb.1998:
	s_and_not1_b32 vcc_lo, exec_lo, s1
	s_cbranch_vccnz .LBB393_2000
.LBB393_1999:
	v_cmp_neq_f64_e32 vcc_lo, 0, v[0:1]
	s_mov_b32 s6, -1
	v_cndmask_b32_e64 v2, 0, 1, vcc_lo
	global_store_b8 v[5:6], v2, off
.LBB393_2000:
	s_mov_b32 s0, 0
.LBB393_2001:
	s_delay_alu instid0(SALU_CYCLE_1)
	s_and_b32 vcc_lo, exec_lo, s0
	s_cbranch_vccz .LBB393_2040
; %bb.2002:
	v_cmp_lt_i16_e64 s0, s3, 5
	s_delay_alu instid0(VALU_DEP_1)
	s_and_b32 vcc_lo, exec_lo, s0
	s_mov_b32 s0, -1
	s_cbranch_vccnz .LBB393_2023
; %bb.2003:
	v_cmp_lt_i16_e64 s0, s3, 8
	s_delay_alu instid0(VALU_DEP_1)
	s_and_b32 vcc_lo, exec_lo, s0
	s_mov_b32 s0, -1
	s_cbranch_vccnz .LBB393_2013
	;; [unrolled: 6-line block ×3, first 2 shown]
; %bb.2005:
	v_cmp_gt_i16_e64 s0, s3, 9
	s_delay_alu instid0(VALU_DEP_1)
	s_and_b32 vcc_lo, exec_lo, s0
	s_mov_b32 s0, -1
	s_cbranch_vccz .LBB393_2007
; %bb.2006:
	v_mov_b32_e32 v2, 0
	s_mov_b32 s0, 0
	s_delay_alu instid0(VALU_DEP_1)
	v_mov_b32_e32 v3, v2
	global_store_b128 v[5:6], v[0:3], off
.LBB393_2007:
	s_and_not1_b32 vcc_lo, exec_lo, s0
	s_cbranch_vccnz .LBB393_2009
; %bb.2008:
	v_cvt_f32_f64_e32 v2, v[0:1]
	v_mov_b32_e32 v3, 0
	global_store_b64 v[5:6], v[2:3], off
.LBB393_2009:
	s_mov_b32 s0, 0
.LBB393_2010:
	s_delay_alu instid0(SALU_CYCLE_1)
	s_and_not1_b32 vcc_lo, exec_lo, s0
	s_cbranch_vccnz .LBB393_2012
; %bb.2011:
	v_cvt_f32_f64_e32 v2, v[0:1]
	s_delay_alu instid0(VALU_DEP_1) | instskip(NEXT) | instid1(VALU_DEP_1)
	v_cvt_f16_f32_e32 v2, v2
	v_and_b32_e32 v2, 0xffff, v2
	global_store_b32 v[5:6], v2, off
.LBB393_2012:
	s_mov_b32 s0, 0
.LBB393_2013:
	s_delay_alu instid0(SALU_CYCLE_1)
	s_and_not1_b32 vcc_lo, exec_lo, s0
	s_cbranch_vccnz .LBB393_2022
; %bb.2014:
	v_cmp_lt_i16_e64 s0, s3, 6
	s_delay_alu instid0(VALU_DEP_1)
	s_and_b32 vcc_lo, exec_lo, s0
	s_mov_b32 s0, -1
	s_cbranch_vccnz .LBB393_2020
; %bb.2015:
	v_cmp_gt_i16_e64 s0, s3, 6
	s_delay_alu instid0(VALU_DEP_1)
	s_and_b32 vcc_lo, exec_lo, s0
	s_mov_b32 s0, -1
	s_cbranch_vccz .LBB393_2017
; %bb.2016:
	s_mov_b32 s0, 0
	global_store_b64 v[5:6], v[0:1], off
.LBB393_2017:
	s_and_not1_b32 vcc_lo, exec_lo, s0
	s_cbranch_vccnz .LBB393_2019
; %bb.2018:
	v_cvt_f32_f64_e32 v2, v[0:1]
	global_store_b32 v[5:6], v2, off
.LBB393_2019:
	s_mov_b32 s0, 0
.LBB393_2020:
	s_delay_alu instid0(SALU_CYCLE_1)
	s_and_not1_b32 vcc_lo, exec_lo, s0
	s_cbranch_vccnz .LBB393_2022
; %bb.2021:
	v_cvt_f32_f64_e32 v2, v[0:1]
	s_delay_alu instid0(VALU_DEP_1)
	v_cvt_f16_f32_e32 v2, v2
	global_store_b16 v[5:6], v2, off
.LBB393_2022:
	s_mov_b32 s0, 0
.LBB393_2023:
	s_delay_alu instid0(SALU_CYCLE_1)
	s_and_not1_b32 vcc_lo, exec_lo, s0
	s_cbranch_vccnz .LBB393_2039
; %bb.2024:
	v_cmp_lt_i16_e64 s0, s3, 2
	s_delay_alu instid0(VALU_DEP_1)
	s_and_b32 vcc_lo, exec_lo, s0
	s_mov_b32 s0, -1
	s_cbranch_vccnz .LBB393_2034
; %bb.2025:
	v_cmp_lt_i16_e64 s0, s3, 3
	s_delay_alu instid0(VALU_DEP_1)
	s_and_b32 vcc_lo, exec_lo, s0
	s_mov_b32 s0, -1
	s_cbranch_vccnz .LBB393_2031
; %bb.2026:
	v_cmp_gt_i16_e64 s0, s3, 3
	s_delay_alu instid0(VALU_DEP_1)
	s_and_b32 vcc_lo, exec_lo, s0
	s_mov_b32 s0, -1
	s_cbranch_vccz .LBB393_2028
; %bb.2027:
	v_trunc_f64_e32 v[2:3], v[0:1]
	s_mov_b32 s0, 0
	s_delay_alu instid0(VALU_DEP_1) | instskip(NEXT) | instid1(VALU_DEP_1)
	v_ldexp_f64 v[7:8], v[2:3], 0xffffffe0
	v_floor_f64_e32 v[7:8], v[7:8]
	s_delay_alu instid0(VALU_DEP_1) | instskip(SKIP_1) | instid1(VALU_DEP_2)
	v_fma_f64 v[2:3], 0xc1f00000, v[7:8], v[2:3]
	v_cvt_i32_f64_e32 v8, v[7:8]
	v_cvt_u32_f64_e32 v7, v[2:3]
	global_store_b64 v[5:6], v[7:8], off
.LBB393_2028:
	s_and_not1_b32 vcc_lo, exec_lo, s0
	s_cbranch_vccnz .LBB393_2030
; %bb.2029:
	v_cvt_i32_f64_e32 v2, v[0:1]
	global_store_b32 v[5:6], v2, off
.LBB393_2030:
	s_mov_b32 s0, 0
.LBB393_2031:
	s_delay_alu instid0(SALU_CYCLE_1)
	s_and_not1_b32 vcc_lo, exec_lo, s0
	s_cbranch_vccnz .LBB393_2033
; %bb.2032:
	v_cvt_i32_f64_e32 v2, v[0:1]
	global_store_b16 v[5:6], v2, off
.LBB393_2033:
	s_mov_b32 s0, 0
.LBB393_2034:
	s_delay_alu instid0(SALU_CYCLE_1)
	s_and_not1_b32 vcc_lo, exec_lo, s0
	s_cbranch_vccnz .LBB393_2039
; %bb.2035:
	v_cmp_gt_i16_e64 s0, s3, 0
	s_delay_alu instid0(VALU_DEP_1)
	s_and_b32 vcc_lo, exec_lo, s0
	s_mov_b32 s0, -1
	s_cbranch_vccz .LBB393_2037
; %bb.2036:
	v_cvt_i32_f64_e32 v2, v[0:1]
	s_mov_b32 s0, 0
	global_store_b8 v[5:6], v2, off
.LBB393_2037:
	s_and_not1_b32 vcc_lo, exec_lo, s0
	s_cbranch_vccnz .LBB393_2039
; %bb.2038:
	v_trunc_f64_e32 v[0:1], v[0:1]
	s_delay_alu instid0(VALU_DEP_1) | instskip(NEXT) | instid1(VALU_DEP_1)
	v_ldexp_f64 v[2:3], v[0:1], 0xffffffe0
	v_floor_f64_e32 v[2:3], v[2:3]
	s_delay_alu instid0(VALU_DEP_1) | instskip(NEXT) | instid1(VALU_DEP_1)
	v_fma_f64 v[0:1], 0xc1f00000, v[2:3], v[0:1]
	v_cvt_u32_f64_e32 v0, v[0:1]
	global_store_b8 v[5:6], v0, off
.LBB393_2039:
	s_mov_b32 s6, -1
.LBB393_2040:
	s_delay_alu instid0(SALU_CYCLE_1)
	s_and_not1_b32 vcc_lo, exec_lo, s6
	s_cbranch_vccnz .LBB393_2049
; %bb.2041:
	v_max_f64 v[0:1], v[11:12], v[11:12]
	v_cmp_u_f64_e32 vcc_lo, v[11:12], v[11:12]
	v_cmp_lt_i16_e64 s0, s3, 11
	v_add_co_u32 v4, s4, s4, v4
	s_delay_alu instid0(VALU_DEP_1) | instskip(SKIP_2) | instid1(VALU_DEP_1)
	v_add_co_ci_u32_e64 v5, null, s5, 0, s4
	s_mov_b32 s1, 0
	v_max_f64 v[0:1], v[0:1], v[13:14]
	v_dual_cndmask_b32 v1, v1, v12 :: v_dual_cndmask_b32 v0, v0, v11
	s_and_b32 vcc_lo, exec_lo, s0
	s_mov_b32 s0, -1
	s_cbranch_vccnz .LBB393_2050
; %bb.2042:
	v_cmp_gt_i16_e64 s0, s3, 25
	s_mov_b32 s4, -1
	s_delay_alu instid0(VALU_DEP_1)
	s_and_b32 vcc_lo, exec_lo, s0
	s_mov_b32 s0, 0
	s_cbranch_vccz .LBB393_2131
; %bb.2043:
	v_cmp_gt_i16_e64 s0, s3, 28
	s_delay_alu instid0(VALU_DEP_1)
	s_and_b32 vcc_lo, exec_lo, s0
	s_cbranch_vccz .LBB393_2094
; %bb.2044:
	v_cmp_gt_i16_e64 s0, s3, 43
	s_delay_alu instid0(VALU_DEP_1)
	s_and_b32 vcc_lo, exec_lo, s0
	;; [unrolled: 5-line block ×3, first 2 shown]
	s_cbranch_vccz .LBB393_2104
; %bb.2046:
	v_cmp_eq_u16_e64 s0, s3, 46
	s_delay_alu instid0(VALU_DEP_1)
	s_and_b32 vcc_lo, exec_lo, s0
	s_mov_b32 s0, -1
	s_cbranch_vccz .LBB393_2048
; %bb.2047:
	v_cvt_f32_f64_e32 v2, v[0:1]
	s_mov_b32 s0, 0
	s_delay_alu instid0(VALU_DEP_1) | instskip(SKIP_1) | instid1(VALU_DEP_2)
	v_bfe_u32 v3, v2, 16, 1
	v_cmp_o_f32_e32 vcc_lo, v2, v2
	v_add3_u32 v3, v2, v3, 0x7fff
	s_delay_alu instid0(VALU_DEP_1) | instskip(NEXT) | instid1(VALU_DEP_1)
	v_lshrrev_b32_e32 v3, 16, v3
	v_cndmask_b32_e32 v2, 0x7fc0, v3, vcc_lo
	global_store_b32 v[4:5], v2, off
.LBB393_2048:
	s_mov_b32 s4, 0
	s_branch .LBB393_2105
.LBB393_2049:
	s_mov_b32 s0, 0
	s_mov_b32 s1, 0
                                        ; implicit-def: $vgpr4_vgpr5
                                        ; implicit-def: $sgpr3
                                        ; implicit-def: $vgpr0_vgpr1
.LBB393_2050:
	s_and_b32 s4, s0, exec_lo
	s_and_not1_b32 s0, s8, exec_lo
	s_and_b32 s2, s2, exec_lo
	s_and_b32 s28, s1, exec_lo
	s_or_b32 s8, s0, s2
.LBB393_2051:
	s_or_b32 exec_lo, exec_lo, s9
	s_and_saveexec_b32 s0, s8
	s_cbranch_execz .LBB393_2054
; %bb.2052:
	; divergent unreachable
	s_or_b32 exec_lo, exec_lo, s0
	s_and_saveexec_b32 s0, s28
	s_delay_alu instid0(SALU_CYCLE_1)
	s_xor_b32 s0, exec_lo, s0
	s_cbranch_execnz .LBB393_2055
.LBB393_2053:
	s_or_b32 exec_lo, exec_lo, s0
	s_and_saveexec_b32 s0, s4
	s_cbranch_execnz .LBB393_2056
	s_branch .LBB393_2093
.LBB393_2054:
	s_or_b32 exec_lo, exec_lo, s0
	s_and_saveexec_b32 s0, s28
	s_delay_alu instid0(SALU_CYCLE_1)
	s_xor_b32 s0, exec_lo, s0
	s_cbranch_execz .LBB393_2053
.LBB393_2055:
	v_cmp_neq_f64_e32 vcc_lo, 0, v[0:1]
	s_waitcnt vmcnt(0)
	v_cndmask_b32_e64 v2, 0, 1, vcc_lo
	global_store_b8 v[4:5], v2, off
	s_or_b32 exec_lo, exec_lo, s0
	s_and_saveexec_b32 s0, s4
	s_cbranch_execz .LBB393_2093
.LBB393_2056:
	v_cmp_lt_i16_e64 s0, s3, 5
	s_delay_alu instid0(VALU_DEP_1)
	s_and_b32 vcc_lo, exec_lo, s0
	s_mov_b32 s0, -1
	s_cbranch_vccnz .LBB393_2077
; %bb.2057:
	v_cmp_lt_i16_e64 s0, s3, 8
	s_delay_alu instid0(VALU_DEP_1)
	s_and_b32 vcc_lo, exec_lo, s0
	s_mov_b32 s0, -1
	s_cbranch_vccnz .LBB393_2067
; %bb.2058:
	;; [unrolled: 6-line block ×3, first 2 shown]
	v_cmp_gt_i16_e64 s0, s3, 9
	s_delay_alu instid0(VALU_DEP_1)
	s_and_b32 vcc_lo, exec_lo, s0
	s_mov_b32 s0, -1
	s_cbranch_vccz .LBB393_2061
; %bb.2060:
	s_waitcnt vmcnt(0)
	v_mov_b32_e32 v2, 0
	s_mov_b32 s0, 0
	s_delay_alu instid0(VALU_DEP_1)
	v_mov_b32_e32 v3, v2
	global_store_b128 v[4:5], v[0:3], off
.LBB393_2061:
	s_and_not1_b32 vcc_lo, exec_lo, s0
	s_cbranch_vccnz .LBB393_2063
; %bb.2062:
	s_waitcnt vmcnt(0)
	v_cvt_f32_f64_e32 v2, v[0:1]
	v_mov_b32_e32 v3, 0
	global_store_b64 v[4:5], v[2:3], off
.LBB393_2063:
	s_mov_b32 s0, 0
.LBB393_2064:
	s_delay_alu instid0(SALU_CYCLE_1)
	s_and_not1_b32 vcc_lo, exec_lo, s0
	s_cbranch_vccnz .LBB393_2066
; %bb.2065:
	s_waitcnt vmcnt(0)
	v_cvt_f32_f64_e32 v2, v[0:1]
	s_delay_alu instid0(VALU_DEP_1) | instskip(NEXT) | instid1(VALU_DEP_1)
	v_cvt_f16_f32_e32 v2, v2
	v_and_b32_e32 v2, 0xffff, v2
	global_store_b32 v[4:5], v2, off
.LBB393_2066:
	s_mov_b32 s0, 0
.LBB393_2067:
	s_delay_alu instid0(SALU_CYCLE_1)
	s_and_not1_b32 vcc_lo, exec_lo, s0
	s_cbranch_vccnz .LBB393_2076
; %bb.2068:
	v_cmp_lt_i16_e64 s0, s3, 6
	s_delay_alu instid0(VALU_DEP_1)
	s_and_b32 vcc_lo, exec_lo, s0
	s_mov_b32 s0, -1
	s_cbranch_vccnz .LBB393_2074
; %bb.2069:
	v_cmp_gt_i16_e64 s0, s3, 6
	s_delay_alu instid0(VALU_DEP_1)
	s_and_b32 vcc_lo, exec_lo, s0
	s_mov_b32 s0, -1
	s_cbranch_vccz .LBB393_2071
; %bb.2070:
	s_mov_b32 s0, 0
	global_store_b64 v[4:5], v[0:1], off
.LBB393_2071:
	s_and_not1_b32 vcc_lo, exec_lo, s0
	s_cbranch_vccnz .LBB393_2073
; %bb.2072:
	s_waitcnt vmcnt(0)
	v_cvt_f32_f64_e32 v2, v[0:1]
	global_store_b32 v[4:5], v2, off
.LBB393_2073:
	s_mov_b32 s0, 0
.LBB393_2074:
	s_delay_alu instid0(SALU_CYCLE_1)
	s_and_not1_b32 vcc_lo, exec_lo, s0
	s_cbranch_vccnz .LBB393_2076
; %bb.2075:
	s_waitcnt vmcnt(0)
	v_cvt_f32_f64_e32 v2, v[0:1]
	s_delay_alu instid0(VALU_DEP_1)
	v_cvt_f16_f32_e32 v2, v2
	global_store_b16 v[4:5], v2, off
.LBB393_2076:
	s_mov_b32 s0, 0
.LBB393_2077:
	s_delay_alu instid0(SALU_CYCLE_1)
	s_and_not1_b32 vcc_lo, exec_lo, s0
	s_cbranch_vccnz .LBB393_2093
; %bb.2078:
	v_cmp_lt_i16_e64 s0, s3, 2
	s_delay_alu instid0(VALU_DEP_1)
	s_and_b32 vcc_lo, exec_lo, s0
	s_mov_b32 s0, -1
	s_cbranch_vccnz .LBB393_2088
; %bb.2079:
	v_cmp_lt_i16_e64 s0, s3, 3
	s_delay_alu instid0(VALU_DEP_1)
	s_and_b32 vcc_lo, exec_lo, s0
	s_mov_b32 s0, -1
	s_cbranch_vccnz .LBB393_2085
; %bb.2080:
	v_cmp_gt_i16_e64 s0, s3, 3
	s_delay_alu instid0(VALU_DEP_1)
	s_and_b32 vcc_lo, exec_lo, s0
	s_mov_b32 s0, -1
	s_cbranch_vccz .LBB393_2082
; %bb.2081:
	s_waitcnt vmcnt(0)
	v_trunc_f64_e32 v[2:3], v[0:1]
	s_mov_b32 s0, 0
	s_delay_alu instid0(VALU_DEP_1) | instskip(NEXT) | instid1(VALU_DEP_1)
	v_ldexp_f64 v[6:7], v[2:3], 0xffffffe0
	v_floor_f64_e32 v[6:7], v[6:7]
	s_delay_alu instid0(VALU_DEP_1) | instskip(SKIP_1) | instid1(VALU_DEP_2)
	v_fma_f64 v[2:3], 0xc1f00000, v[6:7], v[2:3]
	v_cvt_i32_f64_e32 v7, v[6:7]
	v_cvt_u32_f64_e32 v6, v[2:3]
	global_store_b64 v[4:5], v[6:7], off
.LBB393_2082:
	s_and_not1_b32 vcc_lo, exec_lo, s0
	s_cbranch_vccnz .LBB393_2084
; %bb.2083:
	s_waitcnt vmcnt(0)
	v_cvt_i32_f64_e32 v2, v[0:1]
	global_store_b32 v[4:5], v2, off
.LBB393_2084:
	s_mov_b32 s0, 0
.LBB393_2085:
	s_delay_alu instid0(SALU_CYCLE_1)
	s_and_not1_b32 vcc_lo, exec_lo, s0
	s_cbranch_vccnz .LBB393_2087
; %bb.2086:
	s_waitcnt vmcnt(0)
	v_cvt_i32_f64_e32 v2, v[0:1]
	global_store_b16 v[4:5], v2, off
.LBB393_2087:
	s_mov_b32 s0, 0
.LBB393_2088:
	s_delay_alu instid0(SALU_CYCLE_1)
	s_and_not1_b32 vcc_lo, exec_lo, s0
	s_cbranch_vccnz .LBB393_2093
; %bb.2089:
	v_cmp_gt_i16_e64 s0, s3, 0
	s_delay_alu instid0(VALU_DEP_1)
	s_and_b32 vcc_lo, exec_lo, s0
	s_mov_b32 s0, -1
	s_cbranch_vccz .LBB393_2091
; %bb.2090:
	s_waitcnt vmcnt(0)
	v_cvt_i32_f64_e32 v2, v[0:1]
	s_mov_b32 s0, 0
	global_store_b8 v[4:5], v2, off
.LBB393_2091:
	s_and_not1_b32 vcc_lo, exec_lo, s0
	s_cbranch_vccnz .LBB393_2093
; %bb.2092:
	v_trunc_f64_e32 v[0:1], v[0:1]
	s_waitcnt vmcnt(0)
	s_delay_alu instid0(VALU_DEP_1) | instskip(NEXT) | instid1(VALU_DEP_1)
	v_ldexp_f64 v[2:3], v[0:1], 0xffffffe0
	v_floor_f64_e32 v[2:3], v[2:3]
	s_delay_alu instid0(VALU_DEP_1) | instskip(NEXT) | instid1(VALU_DEP_1)
	v_fma_f64 v[0:1], 0xc1f00000, v[2:3], v[0:1]
	v_cvt_u32_f64_e32 v0, v[0:1]
	global_store_b8 v[4:5], v0, off
	s_nop 0
	s_sendmsg sendmsg(MSG_DEALLOC_VGPRS)
	s_endpgm
.LBB393_2093:
	s_nop 0
	s_sendmsg sendmsg(MSG_DEALLOC_VGPRS)
	s_endpgm
.LBB393_2094:
	s_mov_b32 s0, 0
	s_branch .LBB393_2115
.LBB393_2095:
	s_or_saveexec_b32 s10, s10
                                        ; implicit-def: $sgpr11
	s_delay_alu instid0(SALU_CYCLE_1)
	s_xor_b32 exec_lo, exec_lo, s10
	s_cbranch_execz .LBB393_1951
.LBB393_2096:
	v_add_f32_e64 v3, 0x46000000, |v2|
	s_and_not1_b32 s7, s7, exec_lo
	s_mov_b32 s11, 0
	s_delay_alu instid0(VALU_DEP_1) | instskip(NEXT) | instid1(VALU_DEP_1)
	v_and_b32_e32 v3, 0xff, v3
	v_cmp_ne_u32_e32 vcc_lo, 0, v3
	s_and_b32 s12, vcc_lo, exec_lo
	s_delay_alu instid0(SALU_CYCLE_1)
	s_or_b32 s7, s7, s12
	s_or_b32 exec_lo, exec_lo, s10
	v_mov_b32_e32 v7, s11
	s_and_saveexec_b32 s10, s7
	s_cbranch_execnz .LBB393_1952
	s_branch .LBB393_1953
.LBB393_2097:
	s_mov_b32 s0, 0
	s_branch .LBB393_2111
.LBB393_2098:
	s_trap 2
	s_sendmsg_rtn_b32 s0, sendmsg(MSG_RTN_GET_DOORBELL)
	s_mov_b32 ttmp2, m0
	s_waitcnt lgkmcnt(0)
	s_and_b32 s0, s0, 0x3ff
	s_delay_alu instid0(SALU_CYCLE_1) | instskip(NEXT) | instid1(SALU_CYCLE_1)
	s_bitset1_b32 s0, 10
	s_mov_b32 m0, s0
	s_sendmsg sendmsg(MSG_INTERRUPT)
	s_mov_b32 m0, ttmp2
.LBB393_2099:                           ; =>This Inner Loop Header: Depth=1
	s_sethalt 5
	s_branch .LBB393_2099
.LBB393_2100:
	s_cbranch_execnz .LBB393_2175
; %bb.2101:
	s_or_b32 s2, s2, exec_lo
	s_cbranch_execz .LBB393_1999
	s_branch .LBB393_2000
.LBB393_2102:
	s_or_saveexec_b32 s7, s7
                                        ; implicit-def: $sgpr10
	s_delay_alu instid0(SALU_CYCLE_1)
	s_xor_b32 exec_lo, exec_lo, s7
	s_cbranch_execz .LBB393_1964
.LBB393_2103:
	v_add_f32_e64 v3, 0x42800000, |v2|
	s_and_not1_b32 s6, s6, exec_lo
	s_mov_b32 s10, 0
	s_delay_alu instid0(VALU_DEP_1) | instskip(NEXT) | instid1(VALU_DEP_1)
	v_and_b32_e32 v3, 0xff, v3
	v_cmp_ne_u32_e32 vcc_lo, 0, v3
	s_and_b32 s11, vcc_lo, exec_lo
	s_delay_alu instid0(SALU_CYCLE_1)
	s_or_b32 s6, s6, s11
	s_or_b32 exec_lo, exec_lo, s7
	v_mov_b32_e32 v7, s10
	s_and_saveexec_b32 s7, s6
	s_cbranch_execnz .LBB393_1965
	s_branch .LBB393_1966
.LBB393_2104:
	s_mov_b32 s0, 0
.LBB393_2105:
	s_and_b32 vcc_lo, exec_lo, s4
	s_cbranch_vccz .LBB393_2110
; %bb.2106:
	v_cmp_eq_u16_e64 s0, s3, 44
	s_delay_alu instid0(VALU_DEP_1)
	s_and_b32 vcc_lo, exec_lo, s0
	s_mov_b32 s0, -1
	s_cbranch_vccz .LBB393_2110
; %bb.2107:
	v_cvt_f32_f64_e32 v2, v[0:1]
	v_mov_b32_e32 v3, 0xff
	s_mov_b32 s4, exec_lo
	s_delay_alu instid0(VALU_DEP_2) | instskip(NEXT) | instid1(VALU_DEP_1)
	v_bfe_u32 v6, v2, 23, 8
	v_cmpx_ne_u32_e32 0xff, v6
; %bb.2108:
	v_and_b32_e32 v3, 0x400000, v2
	v_and_or_b32 v6, 0x3fffff, v2, v6
	v_lshrrev_b32_e32 v2, 23, v2
	s_delay_alu instid0(VALU_DEP_3) | instskip(NEXT) | instid1(VALU_DEP_3)
	v_cmp_ne_u32_e32 vcc_lo, 0, v3
	v_cmp_ne_u32_e64 s0, 0, v6
	s_delay_alu instid0(VALU_DEP_1) | instskip(NEXT) | instid1(SALU_CYCLE_1)
	s_and_b32 s0, vcc_lo, s0
	v_cndmask_b32_e64 v3, 0, 1, s0
	s_delay_alu instid0(VALU_DEP_1)
	v_add_nc_u32_e32 v3, v2, v3
; %bb.2109:
	s_or_b32 exec_lo, exec_lo, s4
	s_mov_b32 s0, 0
	global_store_b8 v[4:5], v3, off
.LBB393_2110:
	s_mov_b32 s4, 0
.LBB393_2111:
	s_delay_alu instid0(SALU_CYCLE_1)
	s_and_b32 vcc_lo, exec_lo, s4
	s_cbranch_vccz .LBB393_2114
; %bb.2112:
	v_cmp_eq_u16_e64 s0, s3, 29
	s_delay_alu instid0(VALU_DEP_1)
	s_and_b32 vcc_lo, exec_lo, s0
	s_mov_b32 s0, -1
	s_cbranch_vccz .LBB393_2114
; %bb.2113:
	v_trunc_f64_e32 v[2:3], v[0:1]
	s_mov_b32 s0, 0
	s_delay_alu instid0(VALU_DEP_1) | instskip(NEXT) | instid1(VALU_DEP_1)
	v_ldexp_f64 v[6:7], v[2:3], 0xffffffe0
	v_floor_f64_e32 v[6:7], v[6:7]
	s_delay_alu instid0(VALU_DEP_1) | instskip(SKIP_1) | instid1(VALU_DEP_2)
	v_fma_f64 v[2:3], 0xc1f00000, v[6:7], v[2:3]
	v_cvt_u32_f64_e32 v7, v[6:7]
	v_cvt_u32_f64_e32 v6, v[2:3]
	global_store_b64 v[4:5], v[6:7], off
.LBB393_2114:
	s_mov_b32 s4, 0
.LBB393_2115:
	s_delay_alu instid0(SALU_CYCLE_1)
	s_and_b32 vcc_lo, exec_lo, s4
	s_cbranch_vccz .LBB393_2130
; %bb.2116:
	v_cmp_lt_i16_e64 s4, s3, 27
	s_delay_alu instid0(VALU_DEP_1)
	s_and_b32 vcc_lo, exec_lo, s4
	s_mov_b32 s4, -1
	s_cbranch_vccnz .LBB393_2122
; %bb.2117:
	v_cvt_u32_f64_e32 v2, v[0:1]
	v_cmp_gt_i16_e64 s4, s3, 27
	s_delay_alu instid0(VALU_DEP_1)
	s_and_b32 vcc_lo, exec_lo, s4
	s_mov_b32 s4, -1
	s_cbranch_vccz .LBB393_2119
; %bb.2118:
	s_mov_b32 s4, 0
	global_store_b32 v[4:5], v2, off
.LBB393_2119:
	s_and_not1_b32 vcc_lo, exec_lo, s4
	s_cbranch_vccnz .LBB393_2121
; %bb.2120:
	global_store_b16 v[4:5], v2, off
.LBB393_2121:
	s_mov_b32 s4, 0
.LBB393_2122:
	s_delay_alu instid0(SALU_CYCLE_1)
	s_and_not1_b32 vcc_lo, exec_lo, s4
	s_cbranch_vccnz .LBB393_2130
; %bb.2123:
	v_cvt_f32_f64_e32 v2, v[0:1]
	v_mov_b32_e32 v6, 0x80
	s_mov_b32 s4, exec_lo
	s_delay_alu instid0(VALU_DEP_2) | instskip(NEXT) | instid1(VALU_DEP_1)
	v_and_b32_e32 v3, 0x7fffffff, v2
	v_cmpx_gt_u32_e32 0x43800000, v3
	s_cbranch_execz .LBB393_2129
; %bb.2124:
	v_cmp_lt_u32_e32 vcc_lo, 0x3bffffff, v3
	s_mov_b32 s5, 0
                                        ; implicit-def: $vgpr3
	s_and_saveexec_b32 s6, vcc_lo
	s_delay_alu instid0(SALU_CYCLE_1)
	s_xor_b32 s6, exec_lo, s6
	s_cbranch_execz .LBB393_2173
; %bb.2125:
	v_bfe_u32 v3, v2, 20, 1
	s_mov_b32 s5, exec_lo
	s_delay_alu instid0(VALU_DEP_1) | instskip(NEXT) | instid1(VALU_DEP_1)
	v_add3_u32 v3, v2, v3, 0x487ffff
	v_lshrrev_b32_e32 v3, 20, v3
	s_or_saveexec_b32 s6, s6
                                        ; implicit-def: $sgpr7
	s_delay_alu instid0(SALU_CYCLE_1)
	s_xor_b32 exec_lo, exec_lo, s6
	s_cbranch_execnz .LBB393_2174
.LBB393_2126:
	s_or_b32 exec_lo, exec_lo, s6
	v_mov_b32_e32 v6, s7
	s_and_saveexec_b32 s6, s5
.LBB393_2127:
	v_lshrrev_b32_e32 v2, 24, v2
	s_delay_alu instid0(VALU_DEP_1)
	v_and_or_b32 v6, 0x80, v2, v3
.LBB393_2128:
	s_or_b32 exec_lo, exec_lo, s6
.LBB393_2129:
	s_delay_alu instid0(SALU_CYCLE_1)
	s_or_b32 exec_lo, exec_lo, s4
	global_store_b8 v[4:5], v6, off
.LBB393_2130:
	s_mov_b32 s4, 0
.LBB393_2131:
	s_delay_alu instid0(SALU_CYCLE_1)
	s_and_b32 vcc_lo, exec_lo, s4
	s_cbranch_vccz .LBB393_2171
; %bb.2132:
	v_cmp_gt_i16_e64 s1, s3, 22
	s_delay_alu instid0(VALU_DEP_1)
	s_and_b32 vcc_lo, exec_lo, s1
	s_mov_b32 s1, -1
	s_cbranch_vccz .LBB393_2164
; %bb.2133:
	v_cmp_lt_i16_e64 s1, s3, 24
	s_delay_alu instid0(VALU_DEP_1)
	s_and_b32 vcc_lo, exec_lo, s1
	s_mov_b32 s1, -1
	s_cbranch_vccnz .LBB393_2153
; %bb.2134:
	v_cmp_gt_i16_e64 s1, s3, 24
	s_delay_alu instid0(VALU_DEP_1)
	s_and_b32 vcc_lo, exec_lo, s1
	s_mov_b32 s1, -1
	s_cbranch_vccz .LBB393_2142
; %bb.2135:
	v_cvt_f32_f64_e32 v2, v[0:1]
	v_mov_b32_e32 v6, 0x80
	s_mov_b32 s1, exec_lo
	s_delay_alu instid0(VALU_DEP_2) | instskip(NEXT) | instid1(VALU_DEP_1)
	v_and_b32_e32 v3, 0x7fffffff, v2
	v_cmpx_gt_u32_e32 0x47800000, v3
	s_cbranch_execz .LBB393_2141
; %bb.2136:
	v_cmp_lt_u32_e32 vcc_lo, 0x37ffffff, v3
	s_mov_b32 s4, 0
                                        ; implicit-def: $vgpr3
	s_and_saveexec_b32 s5, vcc_lo
	s_delay_alu instid0(SALU_CYCLE_1)
	s_xor_b32 s5, exec_lo, s5
	s_cbranch_execz .LBB393_2179
; %bb.2137:
	v_bfe_u32 v3, v2, 21, 1
	s_mov_b32 s4, exec_lo
	s_delay_alu instid0(VALU_DEP_1) | instskip(NEXT) | instid1(VALU_DEP_1)
	v_add3_u32 v3, v2, v3, 0x88fffff
	v_lshrrev_b32_e32 v3, 21, v3
	s_or_saveexec_b32 s5, s5
                                        ; implicit-def: $sgpr6
	s_delay_alu instid0(SALU_CYCLE_1)
	s_xor_b32 exec_lo, exec_lo, s5
	s_cbranch_execnz .LBB393_2180
.LBB393_2138:
	s_or_b32 exec_lo, exec_lo, s5
	v_mov_b32_e32 v6, s6
	s_and_saveexec_b32 s5, s4
.LBB393_2139:
	v_lshrrev_b32_e32 v2, 24, v2
	s_delay_alu instid0(VALU_DEP_1)
	v_and_or_b32 v6, 0x80, v2, v3
.LBB393_2140:
	s_or_b32 exec_lo, exec_lo, s5
.LBB393_2141:
	s_delay_alu instid0(SALU_CYCLE_1)
	s_or_b32 exec_lo, exec_lo, s1
	s_mov_b32 s1, 0
	global_store_b8 v[4:5], v6, off
.LBB393_2142:
	s_and_b32 vcc_lo, exec_lo, s1
	s_cbranch_vccz .LBB393_2152
; %bb.2143:
	v_cvt_f32_f64_e32 v2, v[0:1]
	s_mov_b32 s1, exec_lo
                                        ; implicit-def: $vgpr3
	s_delay_alu instid0(VALU_DEP_1) | instskip(NEXT) | instid1(VALU_DEP_1)
	v_and_b32_e32 v6, 0x7fffffff, v2
	v_cmpx_gt_u32_e32 0x43f00000, v6
	s_xor_b32 s1, exec_lo, s1
	s_cbranch_execz .LBB393_2149
; %bb.2144:
	s_mov_b32 s4, exec_lo
                                        ; implicit-def: $vgpr3
	v_cmpx_lt_u32_e32 0x3c7fffff, v6
	s_xor_b32 s4, exec_lo, s4
; %bb.2145:
	v_bfe_u32 v3, v2, 20, 1
	s_delay_alu instid0(VALU_DEP_1) | instskip(NEXT) | instid1(VALU_DEP_1)
	v_add3_u32 v3, v2, v3, 0x407ffff
	v_and_b32_e32 v6, 0xff00000, v3
	v_lshrrev_b32_e32 v3, 20, v3
	s_delay_alu instid0(VALU_DEP_2) | instskip(NEXT) | instid1(VALU_DEP_2)
	v_cmp_ne_u32_e32 vcc_lo, 0x7f00000, v6
	v_cndmask_b32_e32 v3, 0x7e, v3, vcc_lo
; %bb.2146:
	s_and_not1_saveexec_b32 s4, s4
; %bb.2147:
	v_add_f32_e64 v3, 0x46800000, |v2|
; %bb.2148:
	s_or_b32 exec_lo, exec_lo, s4
                                        ; implicit-def: $vgpr6
.LBB393_2149:
	s_and_not1_saveexec_b32 s1, s1
; %bb.2150:
	v_mov_b32_e32 v3, 0x7f
	v_cmp_lt_u32_e32 vcc_lo, 0x7f800000, v6
	s_delay_alu instid0(VALU_DEP_2)
	v_cndmask_b32_e32 v3, 0x7e, v3, vcc_lo
; %bb.2151:
	s_or_b32 exec_lo, exec_lo, s1
	v_lshrrev_b32_e32 v2, 24, v2
	s_delay_alu instid0(VALU_DEP_1)
	v_and_or_b32 v2, 0x80, v2, v3
	global_store_b8 v[4:5], v2, off
.LBB393_2152:
	s_mov_b32 s1, 0
.LBB393_2153:
	s_delay_alu instid0(SALU_CYCLE_1)
	s_and_not1_b32 vcc_lo, exec_lo, s1
	s_cbranch_vccnz .LBB393_2163
; %bb.2154:
	v_cvt_f32_f64_e32 v2, v[0:1]
	s_mov_b32 s1, exec_lo
                                        ; implicit-def: $vgpr3
	s_delay_alu instid0(VALU_DEP_1) | instskip(NEXT) | instid1(VALU_DEP_1)
	v_and_b32_e32 v6, 0x7fffffff, v2
	v_cmpx_gt_u32_e32 0x47800000, v6
	s_xor_b32 s1, exec_lo, s1
	s_cbranch_execz .LBB393_2160
; %bb.2155:
	s_mov_b32 s4, exec_lo
                                        ; implicit-def: $vgpr3
	v_cmpx_lt_u32_e32 0x387fffff, v6
	s_xor_b32 s4, exec_lo, s4
; %bb.2156:
	v_bfe_u32 v3, v2, 21, 1
	s_delay_alu instid0(VALU_DEP_1) | instskip(NEXT) | instid1(VALU_DEP_1)
	v_add3_u32 v3, v2, v3, 0x80fffff
	v_lshrrev_b32_e32 v3, 21, v3
; %bb.2157:
	s_and_not1_saveexec_b32 s4, s4
; %bb.2158:
	v_add_f32_e64 v3, 0x43000000, |v2|
; %bb.2159:
	s_or_b32 exec_lo, exec_lo, s4
                                        ; implicit-def: $vgpr6
.LBB393_2160:
	s_and_not1_saveexec_b32 s1, s1
; %bb.2161:
	v_mov_b32_e32 v3, 0x7f
	v_cmp_lt_u32_e32 vcc_lo, 0x7f800000, v6
	s_delay_alu instid0(VALU_DEP_2)
	v_cndmask_b32_e32 v3, 0x7c, v3, vcc_lo
; %bb.2162:
	s_or_b32 exec_lo, exec_lo, s1
	v_lshrrev_b32_e32 v2, 24, v2
	s_delay_alu instid0(VALU_DEP_1)
	v_and_or_b32 v2, 0x80, v2, v3
	global_store_b8 v[4:5], v2, off
.LBB393_2163:
	s_mov_b32 s1, 0
.LBB393_2164:
	s_delay_alu instid0(SALU_CYCLE_1)
	s_and_not1_b32 vcc_lo, exec_lo, s1
	s_mov_b32 s1, 0
	s_cbranch_vccnz .LBB393_2171
; %bb.2165:
	v_cmp_gt_i16_e64 s1, s3, 14
	s_delay_alu instid0(VALU_DEP_1)
	s_and_b32 vcc_lo, exec_lo, s1
	s_mov_b32 s1, -1
	s_cbranch_vccz .LBB393_2169
; %bb.2166:
	v_cmp_eq_u16_e64 s0, s3, 15
	s_delay_alu instid0(VALU_DEP_1)
	s_and_b32 vcc_lo, exec_lo, s0
	s_mov_b32 s0, -1
	s_cbranch_vccz .LBB393_2168
; %bb.2167:
	v_cvt_f32_f64_e32 v2, v[0:1]
	s_mov_b32 s0, 0
	s_delay_alu instid0(VALU_DEP_1) | instskip(SKIP_1) | instid1(VALU_DEP_2)
	v_bfe_u32 v3, v2, 16, 1
	v_cmp_o_f32_e32 vcc_lo, v2, v2
	v_add3_u32 v3, v2, v3, 0x7fff
	s_delay_alu instid0(VALU_DEP_1) | instskip(NEXT) | instid1(VALU_DEP_1)
	v_lshrrev_b32_e32 v3, 16, v3
	v_cndmask_b32_e32 v2, 0x7fc0, v3, vcc_lo
	global_store_b16 v[4:5], v2, off
.LBB393_2168:
	s_mov_b32 s1, 0
.LBB393_2169:
	s_delay_alu instid0(SALU_CYCLE_1)
	s_and_b32 vcc_lo, exec_lo, s1
	s_mov_b32 s1, 0
	s_cbranch_vccz .LBB393_2171
; %bb.2170:
	v_cmp_ne_u16_e64 s0, s3, 11
	s_mov_b32 s1, -1
.LBB393_2171:
	s_delay_alu instid0(VALU_DEP_1)
	s_and_b32 vcc_lo, exec_lo, s0
	s_cbranch_vccnz .LBB393_2177
.LBB393_2172:
	s_mov_b32 s0, 0
	s_branch .LBB393_2050
.LBB393_2173:
	s_or_saveexec_b32 s6, s6
                                        ; implicit-def: $sgpr7
	s_delay_alu instid0(SALU_CYCLE_1)
	s_xor_b32 exec_lo, exec_lo, s6
	s_cbranch_execz .LBB393_2126
.LBB393_2174:
	v_add_f32_e64 v3, 0x46000000, |v2|
	s_and_not1_b32 s5, s5, exec_lo
	s_mov_b32 s7, 0
	s_delay_alu instid0(VALU_DEP_1) | instskip(NEXT) | instid1(VALU_DEP_1)
	v_and_b32_e32 v3, 0xff, v3
	v_cmp_ne_u32_e32 vcc_lo, 0, v3
	s_and_b32 s10, vcc_lo, exec_lo
	s_delay_alu instid0(SALU_CYCLE_1)
	s_or_b32 s5, s5, s10
	s_or_b32 exec_lo, exec_lo, s6
	v_mov_b32_e32 v6, s7
	s_and_saveexec_b32 s6, s5
	s_cbranch_execnz .LBB393_2127
	s_branch .LBB393_2128
.LBB393_2175:
	s_trap 2
	s_sendmsg_rtn_b32 s0, sendmsg(MSG_RTN_GET_DOORBELL)
	s_mov_b32 ttmp2, m0
	s_waitcnt lgkmcnt(0)
	s_and_b32 s0, s0, 0x3ff
	s_delay_alu instid0(SALU_CYCLE_1) | instskip(NEXT) | instid1(SALU_CYCLE_1)
	s_bitset1_b32 s0, 10
	s_mov_b32 m0, s0
	s_sendmsg sendmsg(MSG_INTERRUPT)
	s_mov_b32 m0, ttmp2
.LBB393_2176:                           ; =>This Inner Loop Header: Depth=1
	s_sethalt 5
	s_branch .LBB393_2176
.LBB393_2177:
	s_cbranch_execnz .LBB393_2181
; %bb.2178:
	s_mov_b32 s1, 0
	s_or_b32 s2, s2, exec_lo
	s_branch .LBB393_2172
.LBB393_2179:
	s_or_saveexec_b32 s5, s5
                                        ; implicit-def: $sgpr6
	s_delay_alu instid0(SALU_CYCLE_1)
	s_xor_b32 exec_lo, exec_lo, s5
	s_cbranch_execz .LBB393_2138
.LBB393_2180:
	v_add_f32_e64 v3, 0x42800000, |v2|
	s_and_not1_b32 s4, s4, exec_lo
	s_mov_b32 s6, 0
	s_delay_alu instid0(VALU_DEP_1) | instskip(NEXT) | instid1(VALU_DEP_1)
	v_and_b32_e32 v3, 0xff, v3
	v_cmp_ne_u32_e32 vcc_lo, 0, v3
	s_and_b32 s7, vcc_lo, exec_lo
	s_delay_alu instid0(SALU_CYCLE_1)
	s_or_b32 s4, s4, s7
	s_or_b32 exec_lo, exec_lo, s5
	v_mov_b32_e32 v6, s6
	s_and_saveexec_b32 s5, s4
	s_cbranch_execnz .LBB393_2139
	s_branch .LBB393_2140
.LBB393_2181:
	s_trap 2
	s_sendmsg_rtn_b32 s0, sendmsg(MSG_RTN_GET_DOORBELL)
	s_mov_b32 ttmp2, m0
	s_waitcnt lgkmcnt(0)
	s_and_b32 s0, s0, 0x3ff
	s_delay_alu instid0(SALU_CYCLE_1) | instskip(NEXT) | instid1(SALU_CYCLE_1)
	s_bitset1_b32 s0, 10
	s_mov_b32 m0, s0
	s_sendmsg sendmsg(MSG_INTERRUPT)
	s_mov_b32 m0, ttmp2
.LBB393_2182:                           ; =>This Inner Loop Header: Depth=1
	s_sethalt 5
	s_branch .LBB393_2182
	.section	.rodata,"a",@progbits
	.p2align	6, 0x0
	.amdhsa_kernel _ZN2at6native32elementwise_kernel_manual_unrollILi128ELi4EZNS0_15gpu_kernel_implIZZZNS0_21clamp_min_kernel_cudaERNS_18TensorIteratorBaseERKN3c106ScalarEENKUlvE_clEvENKUlvE4_clEvEUldE_EEvS4_RKT_EUlibE0_EEviT1_
		.amdhsa_group_segment_fixed_size 0
		.amdhsa_private_segment_fixed_size 0
		.amdhsa_kernarg_size 368
		.amdhsa_user_sgpr_count 15
		.amdhsa_user_sgpr_dispatch_ptr 0
		.amdhsa_user_sgpr_queue_ptr 0
		.amdhsa_user_sgpr_kernarg_segment_ptr 1
		.amdhsa_user_sgpr_dispatch_id 0
		.amdhsa_user_sgpr_private_segment_size 0
		.amdhsa_wavefront_size32 1
		.amdhsa_uses_dynamic_stack 0
		.amdhsa_enable_private_segment 0
		.amdhsa_system_sgpr_workgroup_id_x 1
		.amdhsa_system_sgpr_workgroup_id_y 0
		.amdhsa_system_sgpr_workgroup_id_z 0
		.amdhsa_system_sgpr_workgroup_info 0
		.amdhsa_system_vgpr_workitem_id 0
		.amdhsa_next_free_vgpr 19
		.amdhsa_next_free_sgpr 68
		.amdhsa_reserve_vcc 1
		.amdhsa_float_round_mode_32 0
		.amdhsa_float_round_mode_16_64 0
		.amdhsa_float_denorm_mode_32 3
		.amdhsa_float_denorm_mode_16_64 3
		.amdhsa_dx10_clamp 1
		.amdhsa_ieee_mode 1
		.amdhsa_fp16_overflow 0
		.amdhsa_workgroup_processor_mode 1
		.amdhsa_memory_ordered 1
		.amdhsa_forward_progress 0
		.amdhsa_shared_vgpr_count 0
		.amdhsa_exception_fp_ieee_invalid_op 0
		.amdhsa_exception_fp_denorm_src 0
		.amdhsa_exception_fp_ieee_div_zero 0
		.amdhsa_exception_fp_ieee_overflow 0
		.amdhsa_exception_fp_ieee_underflow 0
		.amdhsa_exception_fp_ieee_inexact 0
		.amdhsa_exception_int_div_zero 0
	.end_amdhsa_kernel
	.section	.text._ZN2at6native32elementwise_kernel_manual_unrollILi128ELi4EZNS0_15gpu_kernel_implIZZZNS0_21clamp_min_kernel_cudaERNS_18TensorIteratorBaseERKN3c106ScalarEENKUlvE_clEvENKUlvE4_clEvEUldE_EEvS4_RKT_EUlibE0_EEviT1_,"axG",@progbits,_ZN2at6native32elementwise_kernel_manual_unrollILi128ELi4EZNS0_15gpu_kernel_implIZZZNS0_21clamp_min_kernel_cudaERNS_18TensorIteratorBaseERKN3c106ScalarEENKUlvE_clEvENKUlvE4_clEvEUldE_EEvS4_RKT_EUlibE0_EEviT1_,comdat
.Lfunc_end393:
	.size	_ZN2at6native32elementwise_kernel_manual_unrollILi128ELi4EZNS0_15gpu_kernel_implIZZZNS0_21clamp_min_kernel_cudaERNS_18TensorIteratorBaseERKN3c106ScalarEENKUlvE_clEvENKUlvE4_clEvEUldE_EEvS4_RKT_EUlibE0_EEviT1_, .Lfunc_end393-_ZN2at6native32elementwise_kernel_manual_unrollILi128ELi4EZNS0_15gpu_kernel_implIZZZNS0_21clamp_min_kernel_cudaERNS_18TensorIteratorBaseERKN3c106ScalarEENKUlvE_clEvENKUlvE4_clEvEUldE_EEvS4_RKT_EUlibE0_EEviT1_
                                        ; -- End function
	.section	.AMDGPU.csdata,"",@progbits
; Kernel info:
; codeLenInByte = 42880
; NumSgprs: 70
; NumVgprs: 19
; ScratchSize: 0
; MemoryBound: 1
; FloatMode: 240
; IeeeMode: 1
; LDSByteSize: 0 bytes/workgroup (compile time only)
; SGPRBlocks: 8
; VGPRBlocks: 2
; NumSGPRsForWavesPerEU: 70
; NumVGPRsForWavesPerEU: 19
; Occupancy: 16
; WaveLimiterHint : 1
; COMPUTE_PGM_RSRC2:SCRATCH_EN: 0
; COMPUTE_PGM_RSRC2:USER_SGPR: 15
; COMPUTE_PGM_RSRC2:TRAP_HANDLER: 0
; COMPUTE_PGM_RSRC2:TGID_X_EN: 1
; COMPUTE_PGM_RSRC2:TGID_Y_EN: 0
; COMPUTE_PGM_RSRC2:TGID_Z_EN: 0
; COMPUTE_PGM_RSRC2:TIDIG_COMP_CNT: 0
	.section	.text._ZN2at6native29vectorized_elementwise_kernelILi16EZZZNS0_21clamp_min_kernel_cudaERNS_18TensorIteratorBaseERKN3c106ScalarEENKUlvE_clEvENKUlvE5_clEvEUlfE_St5arrayIPcLm2EEEEviT0_T1_,"axG",@progbits,_ZN2at6native29vectorized_elementwise_kernelILi16EZZZNS0_21clamp_min_kernel_cudaERNS_18TensorIteratorBaseERKN3c106ScalarEENKUlvE_clEvENKUlvE5_clEvEUlfE_St5arrayIPcLm2EEEEviT0_T1_,comdat
	.globl	_ZN2at6native29vectorized_elementwise_kernelILi16EZZZNS0_21clamp_min_kernel_cudaERNS_18TensorIteratorBaseERKN3c106ScalarEENKUlvE_clEvENKUlvE5_clEvEUlfE_St5arrayIPcLm2EEEEviT0_T1_ ; -- Begin function _ZN2at6native29vectorized_elementwise_kernelILi16EZZZNS0_21clamp_min_kernel_cudaERNS_18TensorIteratorBaseERKN3c106ScalarEENKUlvE_clEvENKUlvE5_clEvEUlfE_St5arrayIPcLm2EEEEviT0_T1_
	.p2align	8
	.type	_ZN2at6native29vectorized_elementwise_kernelILi16EZZZNS0_21clamp_min_kernel_cudaERNS_18TensorIteratorBaseERKN3c106ScalarEENKUlvE_clEvENKUlvE5_clEvEUlfE_St5arrayIPcLm2EEEEviT0_T1_,@function
_ZN2at6native29vectorized_elementwise_kernelILi16EZZZNS0_21clamp_min_kernel_cudaERNS_18TensorIteratorBaseERKN3c106ScalarEENKUlvE_clEvENKUlvE5_clEvEUlfE_St5arrayIPcLm2EEEEviT0_T1_: ; @_ZN2at6native29vectorized_elementwise_kernelILi16EZZZNS0_21clamp_min_kernel_cudaERNS_18TensorIteratorBaseERKN3c106ScalarEENKUlvE_clEvENKUlvE5_clEvEUlfE_St5arrayIPcLm2EEEEviT0_T1_
; %bb.0:
	s_clause 0x1
	s_load_b64 s[8:9], s[0:1], 0x0
	s_load_b128 s[4:7], s[0:1], 0x8
	s_lshl_b32 s2, s15, 10
	s_mov_b32 s0, -1
	s_waitcnt lgkmcnt(0)
	v_max_f32_e64 v3, s9, s9
	s_sub_i32 s1, s8, s2
	s_delay_alu instid0(SALU_CYCLE_1)
	s_cmpk_gt_i32 s1, 0x3ff
	s_cbranch_scc0 .LBB394_2
; %bb.1:
	s_ashr_i32 s3, s2, 31
	v_lshlrev_b32_e32 v1, 4, v0
	s_lshl_b64 s[8:9], s[2:3], 2
	s_mov_b32 s0, 0
	s_add_u32 s10, s6, s8
	s_addc_u32 s11, s7, s9
	s_add_u32 s8, s4, s8
	global_load_b128 v[4:7], v1, s[10:11]
	s_addc_u32 s9, s5, s9
	s_waitcnt vmcnt(0)
	v_max_f32_e32 v8, v5, v5
	v_dual_max_f32 v2, v4, v4 :: v_dual_max_f32 v9, v6, v6
	v_cmp_u_f32_e32 vcc_lo, v4, v4
	s_delay_alu instid0(VALU_DEP_3) | instskip(NEXT) | instid1(VALU_DEP_3)
	v_max_f32_e32 v8, v8, v3
	v_max_f32_e32 v2, v2, v3
	s_delay_alu instid0(VALU_DEP_1) | instskip(SKIP_1) | instid1(VALU_DEP_4)
	v_dual_max_f32 v9, v9, v3 :: v_dual_cndmask_b32 v4, v2, v4
	v_cmp_u_f32_e32 vcc_lo, v5, v5
	v_dual_max_f32 v10, v7, v7 :: v_dual_cndmask_b32 v5, v8, v5
	v_cmp_u_f32_e32 vcc_lo, v6, v6
	s_delay_alu instid0(VALU_DEP_2) | instskip(SKIP_2) | instid1(VALU_DEP_3)
	v_max_f32_e32 v10, v10, v3
	v_cndmask_b32_e32 v6, v9, v6, vcc_lo
	v_cmp_u_f32_e32 vcc_lo, v7, v7
	v_cndmask_b32_e32 v7, v10, v7, vcc_lo
	global_store_b128 v1, v[4:7], s[8:9]
.LBB394_2:
	s_and_not1_b32 vcc_lo, exec_lo, s0
	s_cbranch_vccnz .LBB394_16
; %bb.3:
	v_cmp_gt_i32_e32 vcc_lo, s1, v0
	v_dual_mov_b32 v5, 0 :: v_dual_mov_b32 v2, 0
	v_or_b32_e32 v1, s2, v0
	v_or_b32_e32 v4, 0x100, v0
	v_mov_b32_e32 v6, v0
	s_and_saveexec_b32 s3, vcc_lo
	s_cbranch_execz .LBB394_5
; %bb.4:
	v_mov_b32_e32 v2, 0
	s_delay_alu instid0(VALU_DEP_1) | instskip(NEXT) | instid1(VALU_DEP_1)
	v_lshlrev_b64 v[6:7], 2, v[1:2]
	v_add_co_u32 v6, s0, s6, v6
	s_delay_alu instid0(VALU_DEP_1)
	v_add_co_ci_u32_e64 v7, s0, s7, v7, s0
	global_load_b32 v2, v[6:7], off
	v_or_b32_e32 v6, 0x100, v0
.LBB394_5:
	s_or_b32 exec_lo, exec_lo, s3
	s_delay_alu instid0(SALU_CYCLE_1) | instskip(NEXT) | instid1(VALU_DEP_1)
	s_mov_b32 s3, exec_lo
	v_cmpx_gt_i32_e64 s1, v6
	s_cbranch_execz .LBB394_7
; %bb.6:
	v_dual_mov_b32 v8, 0 :: v_dual_add_nc_u32 v7, s2, v6
	v_add_nc_u32_e32 v6, 0x100, v6
	s_delay_alu instid0(VALU_DEP_2) | instskip(NEXT) | instid1(VALU_DEP_1)
	v_lshlrev_b64 v[7:8], 2, v[7:8]
	v_add_co_u32 v7, s0, s6, v7
	s_delay_alu instid0(VALU_DEP_1)
	v_add_co_ci_u32_e64 v8, s0, s7, v8, s0
	global_load_b32 v5, v[7:8], off
.LBB394_7:
	s_or_b32 exec_lo, exec_lo, s3
	v_dual_mov_b32 v7, 0 :: v_dual_mov_b32 v8, 0
	s_mov_b32 s3, exec_lo
	v_cmpx_gt_i32_e64 s1, v6
	s_cbranch_execz .LBB394_9
; %bb.8:
	v_dual_mov_b32 v9, 0 :: v_dual_add_nc_u32 v8, s2, v6
	v_add_nc_u32_e32 v6, 0x100, v6
	s_delay_alu instid0(VALU_DEP_2) | instskip(NEXT) | instid1(VALU_DEP_1)
	v_lshlrev_b64 v[8:9], 2, v[8:9]
	v_add_co_u32 v8, s0, s6, v8
	s_delay_alu instid0(VALU_DEP_1)
	v_add_co_ci_u32_e64 v9, s0, s7, v9, s0
	global_load_b32 v8, v[8:9], off
.LBB394_9:
	s_or_b32 exec_lo, exec_lo, s3
	s_delay_alu instid0(SALU_CYCLE_1)
	s_mov_b32 s3, exec_lo
	v_cmpx_gt_i32_e64 s1, v6
	s_cbranch_execz .LBB394_11
; %bb.10:
	v_dual_mov_b32 v7, 0 :: v_dual_add_nc_u32 v6, s2, v6
	s_delay_alu instid0(VALU_DEP_1) | instskip(NEXT) | instid1(VALU_DEP_1)
	v_lshlrev_b64 v[6:7], 2, v[6:7]
	v_add_co_u32 v6, s0, s6, v6
	s_delay_alu instid0(VALU_DEP_1)
	v_add_co_ci_u32_e64 v7, s0, s7, v7, s0
	global_load_b32 v7, v[6:7], off
.LBB394_11:
	s_or_b32 exec_lo, exec_lo, s3
	s_waitcnt vmcnt(0)
	v_dual_max_f32 v6, v2, v2 :: v_dual_max_f32 v9, v5, v5
	v_cmp_u_f32_e64 s0, v2, v2
	v_dual_max_f32 v10, v8, v8 :: v_dual_max_f32 v11, v7, v7
	s_delay_alu instid0(VALU_DEP_3) | instskip(NEXT) | instid1(VALU_DEP_4)
	v_max_f32_e32 v6, v6, v3
	v_max_f32_e32 v12, v9, v3
	s_delay_alu instid0(VALU_DEP_3) | instskip(NEXT) | instid1(VALU_DEP_4)
	v_max_f32_e32 v10, v10, v3
	v_max_f32_e32 v3, v11, v3
	s_delay_alu instid0(VALU_DEP_4) | instskip(SKIP_1) | instid1(VALU_DEP_1)
	v_cndmask_b32_e64 v9, v6, v2, s0
	v_cmp_u_f32_e64 s0, v5, v5
	v_cndmask_b32_e64 v6, v12, v5, s0
	v_cmp_u_f32_e64 s0, v8, v8
	s_delay_alu instid0(VALU_DEP_1) | instskip(SKIP_1) | instid1(VALU_DEP_1)
	v_cndmask_b32_e64 v5, v10, v8, s0
	v_cmp_u_f32_e64 s0, v7, v7
	v_cndmask_b32_e64 v3, v3, v7, s0
	s_and_saveexec_b32 s0, vcc_lo
	s_cbranch_execnz .LBB394_17
; %bb.12:
	s_or_b32 exec_lo, exec_lo, s0
	s_delay_alu instid0(SALU_CYCLE_1)
	s_mov_b32 s0, exec_lo
	v_cmpx_gt_i32_e64 s1, v0
	s_cbranch_execnz .LBB394_18
.LBB394_13:
	s_or_b32 exec_lo, exec_lo, s0
	s_delay_alu instid0(SALU_CYCLE_1)
	s_mov_b32 s0, exec_lo
	v_cmpx_gt_i32_e64 s1, v0
	s_cbranch_execnz .LBB394_19
.LBB394_14:
	s_or_b32 exec_lo, exec_lo, s0
	s_delay_alu instid0(SALU_CYCLE_1)
	s_mov_b32 s0, exec_lo
	v_cmpx_gt_i32_e64 s1, v0
	s_cbranch_execz .LBB394_16
.LBB394_15:
	v_dual_mov_b32 v1, 0 :: v_dual_add_nc_u32 v0, s2, v0
	s_delay_alu instid0(VALU_DEP_1) | instskip(NEXT) | instid1(VALU_DEP_1)
	v_lshlrev_b64 v[0:1], 2, v[0:1]
	v_add_co_u32 v0, vcc_lo, s4, v0
	s_delay_alu instid0(VALU_DEP_2)
	v_add_co_ci_u32_e32 v1, vcc_lo, s5, v1, vcc_lo
	global_store_b32 v[0:1], v3, off
.LBB394_16:
	s_nop 0
	s_sendmsg sendmsg(MSG_DEALLOC_VGPRS)
	s_endpgm
.LBB394_17:
	v_mov_b32_e32 v2, 0
	s_delay_alu instid0(VALU_DEP_1) | instskip(NEXT) | instid1(VALU_DEP_1)
	v_lshlrev_b64 v[0:1], 2, v[1:2]
	v_add_co_u32 v7, vcc_lo, s4, v0
	s_delay_alu instid0(VALU_DEP_2) | instskip(SKIP_3) | instid1(SALU_CYCLE_1)
	v_add_co_ci_u32_e32 v8, vcc_lo, s5, v1, vcc_lo
	v_mov_b32_e32 v0, v4
	global_store_b32 v[7:8], v9, off
	s_or_b32 exec_lo, exec_lo, s0
	s_mov_b32 s0, exec_lo
	v_cmpx_gt_i32_e64 s1, v0
	s_cbranch_execz .LBB394_13
.LBB394_18:
	v_dual_mov_b32 v2, 0 :: v_dual_add_nc_u32 v1, s2, v0
	v_add_nc_u32_e32 v0, 0x100, v0
	s_delay_alu instid0(VALU_DEP_2) | instskip(NEXT) | instid1(VALU_DEP_1)
	v_lshlrev_b64 v[1:2], 2, v[1:2]
	v_add_co_u32 v1, vcc_lo, s4, v1
	s_delay_alu instid0(VALU_DEP_2) | instskip(SKIP_2) | instid1(SALU_CYCLE_1)
	v_add_co_ci_u32_e32 v2, vcc_lo, s5, v2, vcc_lo
	global_store_b32 v[1:2], v6, off
	s_or_b32 exec_lo, exec_lo, s0
	s_mov_b32 s0, exec_lo
	v_cmpx_gt_i32_e64 s1, v0
	s_cbranch_execz .LBB394_14
.LBB394_19:
	v_dual_mov_b32 v2, 0 :: v_dual_add_nc_u32 v1, s2, v0
	v_add_nc_u32_e32 v0, 0x100, v0
	s_delay_alu instid0(VALU_DEP_2) | instskip(NEXT) | instid1(VALU_DEP_1)
	v_lshlrev_b64 v[1:2], 2, v[1:2]
	v_add_co_u32 v1, vcc_lo, s4, v1
	s_delay_alu instid0(VALU_DEP_2) | instskip(SKIP_2) | instid1(SALU_CYCLE_1)
	v_add_co_ci_u32_e32 v2, vcc_lo, s5, v2, vcc_lo
	global_store_b32 v[1:2], v5, off
	s_or_b32 exec_lo, exec_lo, s0
	s_mov_b32 s0, exec_lo
	v_cmpx_gt_i32_e64 s1, v0
	s_cbranch_execnz .LBB394_15
	s_branch .LBB394_16
	.section	.rodata,"a",@progbits
	.p2align	6, 0x0
	.amdhsa_kernel _ZN2at6native29vectorized_elementwise_kernelILi16EZZZNS0_21clamp_min_kernel_cudaERNS_18TensorIteratorBaseERKN3c106ScalarEENKUlvE_clEvENKUlvE5_clEvEUlfE_St5arrayIPcLm2EEEEviT0_T1_
		.amdhsa_group_segment_fixed_size 0
		.amdhsa_private_segment_fixed_size 0
		.amdhsa_kernarg_size 24
		.amdhsa_user_sgpr_count 15
		.amdhsa_user_sgpr_dispatch_ptr 0
		.amdhsa_user_sgpr_queue_ptr 0
		.amdhsa_user_sgpr_kernarg_segment_ptr 1
		.amdhsa_user_sgpr_dispatch_id 0
		.amdhsa_user_sgpr_private_segment_size 0
		.amdhsa_wavefront_size32 1
		.amdhsa_uses_dynamic_stack 0
		.amdhsa_enable_private_segment 0
		.amdhsa_system_sgpr_workgroup_id_x 1
		.amdhsa_system_sgpr_workgroup_id_y 0
		.amdhsa_system_sgpr_workgroup_id_z 0
		.amdhsa_system_sgpr_workgroup_info 0
		.amdhsa_system_vgpr_workitem_id 0
		.amdhsa_next_free_vgpr 13
		.amdhsa_next_free_sgpr 16
		.amdhsa_reserve_vcc 1
		.amdhsa_float_round_mode_32 0
		.amdhsa_float_round_mode_16_64 0
		.amdhsa_float_denorm_mode_32 3
		.amdhsa_float_denorm_mode_16_64 3
		.amdhsa_dx10_clamp 1
		.amdhsa_ieee_mode 1
		.amdhsa_fp16_overflow 0
		.amdhsa_workgroup_processor_mode 1
		.amdhsa_memory_ordered 1
		.amdhsa_forward_progress 0
		.amdhsa_shared_vgpr_count 0
		.amdhsa_exception_fp_ieee_invalid_op 0
		.amdhsa_exception_fp_denorm_src 0
		.amdhsa_exception_fp_ieee_div_zero 0
		.amdhsa_exception_fp_ieee_overflow 0
		.amdhsa_exception_fp_ieee_underflow 0
		.amdhsa_exception_fp_ieee_inexact 0
		.amdhsa_exception_int_div_zero 0
	.end_amdhsa_kernel
	.section	.text._ZN2at6native29vectorized_elementwise_kernelILi16EZZZNS0_21clamp_min_kernel_cudaERNS_18TensorIteratorBaseERKN3c106ScalarEENKUlvE_clEvENKUlvE5_clEvEUlfE_St5arrayIPcLm2EEEEviT0_T1_,"axG",@progbits,_ZN2at6native29vectorized_elementwise_kernelILi16EZZZNS0_21clamp_min_kernel_cudaERNS_18TensorIteratorBaseERKN3c106ScalarEENKUlvE_clEvENKUlvE5_clEvEUlfE_St5arrayIPcLm2EEEEviT0_T1_,comdat
.Lfunc_end394:
	.size	_ZN2at6native29vectorized_elementwise_kernelILi16EZZZNS0_21clamp_min_kernel_cudaERNS_18TensorIteratorBaseERKN3c106ScalarEENKUlvE_clEvENKUlvE5_clEvEUlfE_St5arrayIPcLm2EEEEviT0_T1_, .Lfunc_end394-_ZN2at6native29vectorized_elementwise_kernelILi16EZZZNS0_21clamp_min_kernel_cudaERNS_18TensorIteratorBaseERKN3c106ScalarEENKUlvE_clEvENKUlvE5_clEvEUlfE_St5arrayIPcLm2EEEEviT0_T1_
                                        ; -- End function
	.section	.AMDGPU.csdata,"",@progbits
; Kernel info:
; codeLenInByte = 984
; NumSgprs: 18
; NumVgprs: 13
; ScratchSize: 0
; MemoryBound: 0
; FloatMode: 240
; IeeeMode: 1
; LDSByteSize: 0 bytes/workgroup (compile time only)
; SGPRBlocks: 2
; VGPRBlocks: 1
; NumSGPRsForWavesPerEU: 18
; NumVGPRsForWavesPerEU: 13
; Occupancy: 16
; WaveLimiterHint : 0
; COMPUTE_PGM_RSRC2:SCRATCH_EN: 0
; COMPUTE_PGM_RSRC2:USER_SGPR: 15
; COMPUTE_PGM_RSRC2:TRAP_HANDLER: 0
; COMPUTE_PGM_RSRC2:TGID_X_EN: 1
; COMPUTE_PGM_RSRC2:TGID_Y_EN: 0
; COMPUTE_PGM_RSRC2:TGID_Z_EN: 0
; COMPUTE_PGM_RSRC2:TIDIG_COMP_CNT: 0
	.section	.text._ZN2at6native29vectorized_elementwise_kernelILi8EZZZNS0_21clamp_min_kernel_cudaERNS_18TensorIteratorBaseERKN3c106ScalarEENKUlvE_clEvENKUlvE5_clEvEUlfE_St5arrayIPcLm2EEEEviT0_T1_,"axG",@progbits,_ZN2at6native29vectorized_elementwise_kernelILi8EZZZNS0_21clamp_min_kernel_cudaERNS_18TensorIteratorBaseERKN3c106ScalarEENKUlvE_clEvENKUlvE5_clEvEUlfE_St5arrayIPcLm2EEEEviT0_T1_,comdat
	.globl	_ZN2at6native29vectorized_elementwise_kernelILi8EZZZNS0_21clamp_min_kernel_cudaERNS_18TensorIteratorBaseERKN3c106ScalarEENKUlvE_clEvENKUlvE5_clEvEUlfE_St5arrayIPcLm2EEEEviT0_T1_ ; -- Begin function _ZN2at6native29vectorized_elementwise_kernelILi8EZZZNS0_21clamp_min_kernel_cudaERNS_18TensorIteratorBaseERKN3c106ScalarEENKUlvE_clEvENKUlvE5_clEvEUlfE_St5arrayIPcLm2EEEEviT0_T1_
	.p2align	8
	.type	_ZN2at6native29vectorized_elementwise_kernelILi8EZZZNS0_21clamp_min_kernel_cudaERNS_18TensorIteratorBaseERKN3c106ScalarEENKUlvE_clEvENKUlvE5_clEvEUlfE_St5arrayIPcLm2EEEEviT0_T1_,@function
_ZN2at6native29vectorized_elementwise_kernelILi8EZZZNS0_21clamp_min_kernel_cudaERNS_18TensorIteratorBaseERKN3c106ScalarEENKUlvE_clEvENKUlvE5_clEvEUlfE_St5arrayIPcLm2EEEEviT0_T1_: ; @_ZN2at6native29vectorized_elementwise_kernelILi8EZZZNS0_21clamp_min_kernel_cudaERNS_18TensorIteratorBaseERKN3c106ScalarEENKUlvE_clEvENKUlvE5_clEvEUlfE_St5arrayIPcLm2EEEEviT0_T1_
; %bb.0:
	s_clause 0x1
	s_load_b64 s[8:9], s[0:1], 0x0
	s_load_b128 s[4:7], s[0:1], 0x8
	s_lshl_b32 s2, s15, 10
	s_mov_b32 s0, -1
	s_waitcnt lgkmcnt(0)
	v_max_f32_e64 v3, s9, s9
	s_sub_i32 s1, s8, s2
	s_delay_alu instid0(SALU_CYCLE_1)
	s_cmpk_gt_i32 s1, 0x3ff
	s_cbranch_scc0 .LBB395_2
; %bb.1:
	s_ashr_i32 s3, s2, 31
	v_lshlrev_b32_e32 v1, 4, v0
	s_lshl_b64 s[8:9], s[2:3], 2
	s_mov_b32 s0, 0
	s_add_u32 s10, s6, s8
	s_addc_u32 s11, s7, s9
	s_add_u32 s8, s4, s8
	global_load_b128 v[4:7], v1, s[10:11]
	s_addc_u32 s9, s5, s9
	s_waitcnt vmcnt(0)
	v_max_f32_e32 v8, v5, v5
	v_dual_max_f32 v2, v4, v4 :: v_dual_max_f32 v9, v6, v6
	v_cmp_u_f32_e32 vcc_lo, v4, v4
	s_delay_alu instid0(VALU_DEP_3) | instskip(NEXT) | instid1(VALU_DEP_3)
	v_max_f32_e32 v8, v8, v3
	v_max_f32_e32 v2, v2, v3
	s_delay_alu instid0(VALU_DEP_1) | instskip(SKIP_1) | instid1(VALU_DEP_4)
	v_dual_max_f32 v9, v9, v3 :: v_dual_cndmask_b32 v4, v2, v4
	v_cmp_u_f32_e32 vcc_lo, v5, v5
	v_dual_max_f32 v10, v7, v7 :: v_dual_cndmask_b32 v5, v8, v5
	v_cmp_u_f32_e32 vcc_lo, v6, v6
	s_delay_alu instid0(VALU_DEP_2) | instskip(SKIP_2) | instid1(VALU_DEP_3)
	v_max_f32_e32 v10, v10, v3
	v_cndmask_b32_e32 v6, v9, v6, vcc_lo
	v_cmp_u_f32_e32 vcc_lo, v7, v7
	v_cndmask_b32_e32 v7, v10, v7, vcc_lo
	global_store_b128 v1, v[4:7], s[8:9]
.LBB395_2:
	s_and_not1_b32 vcc_lo, exec_lo, s0
	s_cbranch_vccnz .LBB395_16
; %bb.3:
	v_cmp_gt_i32_e32 vcc_lo, s1, v0
	v_dual_mov_b32 v5, 0 :: v_dual_mov_b32 v2, 0
	v_or_b32_e32 v1, s2, v0
	v_or_b32_e32 v4, 0x100, v0
	v_mov_b32_e32 v6, v0
	s_and_saveexec_b32 s3, vcc_lo
	s_cbranch_execz .LBB395_5
; %bb.4:
	v_mov_b32_e32 v2, 0
	s_delay_alu instid0(VALU_DEP_1) | instskip(NEXT) | instid1(VALU_DEP_1)
	v_lshlrev_b64 v[6:7], 2, v[1:2]
	v_add_co_u32 v6, s0, s6, v6
	s_delay_alu instid0(VALU_DEP_1)
	v_add_co_ci_u32_e64 v7, s0, s7, v7, s0
	global_load_b32 v2, v[6:7], off
	v_or_b32_e32 v6, 0x100, v0
.LBB395_5:
	s_or_b32 exec_lo, exec_lo, s3
	s_delay_alu instid0(SALU_CYCLE_1) | instskip(NEXT) | instid1(VALU_DEP_1)
	s_mov_b32 s3, exec_lo
	v_cmpx_gt_i32_e64 s1, v6
	s_cbranch_execz .LBB395_7
; %bb.6:
	v_dual_mov_b32 v8, 0 :: v_dual_add_nc_u32 v7, s2, v6
	v_add_nc_u32_e32 v6, 0x100, v6
	s_delay_alu instid0(VALU_DEP_2) | instskip(NEXT) | instid1(VALU_DEP_1)
	v_lshlrev_b64 v[7:8], 2, v[7:8]
	v_add_co_u32 v7, s0, s6, v7
	s_delay_alu instid0(VALU_DEP_1)
	v_add_co_ci_u32_e64 v8, s0, s7, v8, s0
	global_load_b32 v5, v[7:8], off
.LBB395_7:
	s_or_b32 exec_lo, exec_lo, s3
	v_dual_mov_b32 v7, 0 :: v_dual_mov_b32 v8, 0
	s_mov_b32 s3, exec_lo
	v_cmpx_gt_i32_e64 s1, v6
	s_cbranch_execz .LBB395_9
; %bb.8:
	v_dual_mov_b32 v9, 0 :: v_dual_add_nc_u32 v8, s2, v6
	v_add_nc_u32_e32 v6, 0x100, v6
	s_delay_alu instid0(VALU_DEP_2) | instskip(NEXT) | instid1(VALU_DEP_1)
	v_lshlrev_b64 v[8:9], 2, v[8:9]
	v_add_co_u32 v8, s0, s6, v8
	s_delay_alu instid0(VALU_DEP_1)
	v_add_co_ci_u32_e64 v9, s0, s7, v9, s0
	global_load_b32 v8, v[8:9], off
.LBB395_9:
	s_or_b32 exec_lo, exec_lo, s3
	s_delay_alu instid0(SALU_CYCLE_1)
	s_mov_b32 s3, exec_lo
	v_cmpx_gt_i32_e64 s1, v6
	s_cbranch_execz .LBB395_11
; %bb.10:
	v_dual_mov_b32 v7, 0 :: v_dual_add_nc_u32 v6, s2, v6
	s_delay_alu instid0(VALU_DEP_1) | instskip(NEXT) | instid1(VALU_DEP_1)
	v_lshlrev_b64 v[6:7], 2, v[6:7]
	v_add_co_u32 v6, s0, s6, v6
	s_delay_alu instid0(VALU_DEP_1)
	v_add_co_ci_u32_e64 v7, s0, s7, v7, s0
	global_load_b32 v7, v[6:7], off
.LBB395_11:
	s_or_b32 exec_lo, exec_lo, s3
	s_waitcnt vmcnt(0)
	v_dual_max_f32 v6, v2, v2 :: v_dual_max_f32 v9, v5, v5
	v_cmp_u_f32_e64 s0, v2, v2
	v_dual_max_f32 v10, v8, v8 :: v_dual_max_f32 v11, v7, v7
	s_delay_alu instid0(VALU_DEP_3) | instskip(NEXT) | instid1(VALU_DEP_4)
	v_max_f32_e32 v6, v6, v3
	v_max_f32_e32 v12, v9, v3
	s_delay_alu instid0(VALU_DEP_3) | instskip(NEXT) | instid1(VALU_DEP_4)
	v_max_f32_e32 v10, v10, v3
	v_max_f32_e32 v3, v11, v3
	s_delay_alu instid0(VALU_DEP_4) | instskip(SKIP_1) | instid1(VALU_DEP_1)
	v_cndmask_b32_e64 v9, v6, v2, s0
	v_cmp_u_f32_e64 s0, v5, v5
	v_cndmask_b32_e64 v6, v12, v5, s0
	v_cmp_u_f32_e64 s0, v8, v8
	s_delay_alu instid0(VALU_DEP_1) | instskip(SKIP_1) | instid1(VALU_DEP_1)
	v_cndmask_b32_e64 v5, v10, v8, s0
	v_cmp_u_f32_e64 s0, v7, v7
	v_cndmask_b32_e64 v3, v3, v7, s0
	s_and_saveexec_b32 s0, vcc_lo
	s_cbranch_execnz .LBB395_17
; %bb.12:
	s_or_b32 exec_lo, exec_lo, s0
	s_delay_alu instid0(SALU_CYCLE_1)
	s_mov_b32 s0, exec_lo
	v_cmpx_gt_i32_e64 s1, v0
	s_cbranch_execnz .LBB395_18
.LBB395_13:
	s_or_b32 exec_lo, exec_lo, s0
	s_delay_alu instid0(SALU_CYCLE_1)
	s_mov_b32 s0, exec_lo
	v_cmpx_gt_i32_e64 s1, v0
	s_cbranch_execnz .LBB395_19
.LBB395_14:
	s_or_b32 exec_lo, exec_lo, s0
	s_delay_alu instid0(SALU_CYCLE_1)
	s_mov_b32 s0, exec_lo
	v_cmpx_gt_i32_e64 s1, v0
	s_cbranch_execz .LBB395_16
.LBB395_15:
	v_dual_mov_b32 v1, 0 :: v_dual_add_nc_u32 v0, s2, v0
	s_delay_alu instid0(VALU_DEP_1) | instskip(NEXT) | instid1(VALU_DEP_1)
	v_lshlrev_b64 v[0:1], 2, v[0:1]
	v_add_co_u32 v0, vcc_lo, s4, v0
	s_delay_alu instid0(VALU_DEP_2)
	v_add_co_ci_u32_e32 v1, vcc_lo, s5, v1, vcc_lo
	global_store_b32 v[0:1], v3, off
.LBB395_16:
	s_nop 0
	s_sendmsg sendmsg(MSG_DEALLOC_VGPRS)
	s_endpgm
.LBB395_17:
	v_mov_b32_e32 v2, 0
	s_delay_alu instid0(VALU_DEP_1) | instskip(NEXT) | instid1(VALU_DEP_1)
	v_lshlrev_b64 v[0:1], 2, v[1:2]
	v_add_co_u32 v7, vcc_lo, s4, v0
	s_delay_alu instid0(VALU_DEP_2) | instskip(SKIP_3) | instid1(SALU_CYCLE_1)
	v_add_co_ci_u32_e32 v8, vcc_lo, s5, v1, vcc_lo
	v_mov_b32_e32 v0, v4
	global_store_b32 v[7:8], v9, off
	s_or_b32 exec_lo, exec_lo, s0
	s_mov_b32 s0, exec_lo
	v_cmpx_gt_i32_e64 s1, v0
	s_cbranch_execz .LBB395_13
.LBB395_18:
	v_dual_mov_b32 v2, 0 :: v_dual_add_nc_u32 v1, s2, v0
	v_add_nc_u32_e32 v0, 0x100, v0
	s_delay_alu instid0(VALU_DEP_2) | instskip(NEXT) | instid1(VALU_DEP_1)
	v_lshlrev_b64 v[1:2], 2, v[1:2]
	v_add_co_u32 v1, vcc_lo, s4, v1
	s_delay_alu instid0(VALU_DEP_2) | instskip(SKIP_2) | instid1(SALU_CYCLE_1)
	v_add_co_ci_u32_e32 v2, vcc_lo, s5, v2, vcc_lo
	global_store_b32 v[1:2], v6, off
	s_or_b32 exec_lo, exec_lo, s0
	s_mov_b32 s0, exec_lo
	v_cmpx_gt_i32_e64 s1, v0
	s_cbranch_execz .LBB395_14
.LBB395_19:
	v_dual_mov_b32 v2, 0 :: v_dual_add_nc_u32 v1, s2, v0
	v_add_nc_u32_e32 v0, 0x100, v0
	s_delay_alu instid0(VALU_DEP_2) | instskip(NEXT) | instid1(VALU_DEP_1)
	v_lshlrev_b64 v[1:2], 2, v[1:2]
	v_add_co_u32 v1, vcc_lo, s4, v1
	s_delay_alu instid0(VALU_DEP_2) | instskip(SKIP_2) | instid1(SALU_CYCLE_1)
	v_add_co_ci_u32_e32 v2, vcc_lo, s5, v2, vcc_lo
	global_store_b32 v[1:2], v5, off
	s_or_b32 exec_lo, exec_lo, s0
	s_mov_b32 s0, exec_lo
	v_cmpx_gt_i32_e64 s1, v0
	s_cbranch_execnz .LBB395_15
	s_branch .LBB395_16
	.section	.rodata,"a",@progbits
	.p2align	6, 0x0
	.amdhsa_kernel _ZN2at6native29vectorized_elementwise_kernelILi8EZZZNS0_21clamp_min_kernel_cudaERNS_18TensorIteratorBaseERKN3c106ScalarEENKUlvE_clEvENKUlvE5_clEvEUlfE_St5arrayIPcLm2EEEEviT0_T1_
		.amdhsa_group_segment_fixed_size 0
		.amdhsa_private_segment_fixed_size 0
		.amdhsa_kernarg_size 24
		.amdhsa_user_sgpr_count 15
		.amdhsa_user_sgpr_dispatch_ptr 0
		.amdhsa_user_sgpr_queue_ptr 0
		.amdhsa_user_sgpr_kernarg_segment_ptr 1
		.amdhsa_user_sgpr_dispatch_id 0
		.amdhsa_user_sgpr_private_segment_size 0
		.amdhsa_wavefront_size32 1
		.amdhsa_uses_dynamic_stack 0
		.amdhsa_enable_private_segment 0
		.amdhsa_system_sgpr_workgroup_id_x 1
		.amdhsa_system_sgpr_workgroup_id_y 0
		.amdhsa_system_sgpr_workgroup_id_z 0
		.amdhsa_system_sgpr_workgroup_info 0
		.amdhsa_system_vgpr_workitem_id 0
		.amdhsa_next_free_vgpr 13
		.amdhsa_next_free_sgpr 16
		.amdhsa_reserve_vcc 1
		.amdhsa_float_round_mode_32 0
		.amdhsa_float_round_mode_16_64 0
		.amdhsa_float_denorm_mode_32 3
		.amdhsa_float_denorm_mode_16_64 3
		.amdhsa_dx10_clamp 1
		.amdhsa_ieee_mode 1
		.amdhsa_fp16_overflow 0
		.amdhsa_workgroup_processor_mode 1
		.amdhsa_memory_ordered 1
		.amdhsa_forward_progress 0
		.amdhsa_shared_vgpr_count 0
		.amdhsa_exception_fp_ieee_invalid_op 0
		.amdhsa_exception_fp_denorm_src 0
		.amdhsa_exception_fp_ieee_div_zero 0
		.amdhsa_exception_fp_ieee_overflow 0
		.amdhsa_exception_fp_ieee_underflow 0
		.amdhsa_exception_fp_ieee_inexact 0
		.amdhsa_exception_int_div_zero 0
	.end_amdhsa_kernel
	.section	.text._ZN2at6native29vectorized_elementwise_kernelILi8EZZZNS0_21clamp_min_kernel_cudaERNS_18TensorIteratorBaseERKN3c106ScalarEENKUlvE_clEvENKUlvE5_clEvEUlfE_St5arrayIPcLm2EEEEviT0_T1_,"axG",@progbits,_ZN2at6native29vectorized_elementwise_kernelILi8EZZZNS0_21clamp_min_kernel_cudaERNS_18TensorIteratorBaseERKN3c106ScalarEENKUlvE_clEvENKUlvE5_clEvEUlfE_St5arrayIPcLm2EEEEviT0_T1_,comdat
.Lfunc_end395:
	.size	_ZN2at6native29vectorized_elementwise_kernelILi8EZZZNS0_21clamp_min_kernel_cudaERNS_18TensorIteratorBaseERKN3c106ScalarEENKUlvE_clEvENKUlvE5_clEvEUlfE_St5arrayIPcLm2EEEEviT0_T1_, .Lfunc_end395-_ZN2at6native29vectorized_elementwise_kernelILi8EZZZNS0_21clamp_min_kernel_cudaERNS_18TensorIteratorBaseERKN3c106ScalarEENKUlvE_clEvENKUlvE5_clEvEUlfE_St5arrayIPcLm2EEEEviT0_T1_
                                        ; -- End function
	.section	.AMDGPU.csdata,"",@progbits
; Kernel info:
; codeLenInByte = 984
; NumSgprs: 18
; NumVgprs: 13
; ScratchSize: 0
; MemoryBound: 0
; FloatMode: 240
; IeeeMode: 1
; LDSByteSize: 0 bytes/workgroup (compile time only)
; SGPRBlocks: 2
; VGPRBlocks: 1
; NumSGPRsForWavesPerEU: 18
; NumVGPRsForWavesPerEU: 13
; Occupancy: 16
; WaveLimiterHint : 0
; COMPUTE_PGM_RSRC2:SCRATCH_EN: 0
; COMPUTE_PGM_RSRC2:USER_SGPR: 15
; COMPUTE_PGM_RSRC2:TRAP_HANDLER: 0
; COMPUTE_PGM_RSRC2:TGID_X_EN: 1
; COMPUTE_PGM_RSRC2:TGID_Y_EN: 0
; COMPUTE_PGM_RSRC2:TGID_Z_EN: 0
; COMPUTE_PGM_RSRC2:TIDIG_COMP_CNT: 0
	.section	.text._ZN2at6native29vectorized_elementwise_kernelILi4EZZZNS0_21clamp_min_kernel_cudaERNS_18TensorIteratorBaseERKN3c106ScalarEENKUlvE_clEvENKUlvE5_clEvEUlfE_St5arrayIPcLm2EEEEviT0_T1_,"axG",@progbits,_ZN2at6native29vectorized_elementwise_kernelILi4EZZZNS0_21clamp_min_kernel_cudaERNS_18TensorIteratorBaseERKN3c106ScalarEENKUlvE_clEvENKUlvE5_clEvEUlfE_St5arrayIPcLm2EEEEviT0_T1_,comdat
	.globl	_ZN2at6native29vectorized_elementwise_kernelILi4EZZZNS0_21clamp_min_kernel_cudaERNS_18TensorIteratorBaseERKN3c106ScalarEENKUlvE_clEvENKUlvE5_clEvEUlfE_St5arrayIPcLm2EEEEviT0_T1_ ; -- Begin function _ZN2at6native29vectorized_elementwise_kernelILi4EZZZNS0_21clamp_min_kernel_cudaERNS_18TensorIteratorBaseERKN3c106ScalarEENKUlvE_clEvENKUlvE5_clEvEUlfE_St5arrayIPcLm2EEEEviT0_T1_
	.p2align	8
	.type	_ZN2at6native29vectorized_elementwise_kernelILi4EZZZNS0_21clamp_min_kernel_cudaERNS_18TensorIteratorBaseERKN3c106ScalarEENKUlvE_clEvENKUlvE5_clEvEUlfE_St5arrayIPcLm2EEEEviT0_T1_,@function
_ZN2at6native29vectorized_elementwise_kernelILi4EZZZNS0_21clamp_min_kernel_cudaERNS_18TensorIteratorBaseERKN3c106ScalarEENKUlvE_clEvENKUlvE5_clEvEUlfE_St5arrayIPcLm2EEEEviT0_T1_: ; @_ZN2at6native29vectorized_elementwise_kernelILi4EZZZNS0_21clamp_min_kernel_cudaERNS_18TensorIteratorBaseERKN3c106ScalarEENKUlvE_clEvENKUlvE5_clEvEUlfE_St5arrayIPcLm2EEEEviT0_T1_
; %bb.0:
	s_clause 0x1
	s_load_b64 s[8:9], s[0:1], 0x0
	s_load_b128 s[4:7], s[0:1], 0x8
	s_lshl_b32 s2, s15, 10
	s_mov_b32 s0, -1
	s_waitcnt lgkmcnt(0)
	v_max_f32_e64 v3, s9, s9
	s_sub_i32 s1, s8, s2
	s_delay_alu instid0(SALU_CYCLE_1)
	s_cmpk_gt_i32 s1, 0x3ff
	s_cbranch_scc0 .LBB396_2
; %bb.1:
	s_ashr_i32 s3, s2, 31
	v_lshlrev_b32_e32 v1, 4, v0
	s_lshl_b64 s[8:9], s[2:3], 2
	s_mov_b32 s0, 0
	s_add_u32 s10, s6, s8
	s_addc_u32 s11, s7, s9
	s_add_u32 s8, s4, s8
	global_load_b128 v[4:7], v1, s[10:11]
	s_addc_u32 s9, s5, s9
	s_waitcnt vmcnt(0)
	v_max_f32_e32 v8, v5, v5
	v_dual_max_f32 v2, v4, v4 :: v_dual_max_f32 v9, v6, v6
	v_cmp_u_f32_e32 vcc_lo, v4, v4
	s_delay_alu instid0(VALU_DEP_3) | instskip(NEXT) | instid1(VALU_DEP_3)
	v_max_f32_e32 v8, v8, v3
	v_max_f32_e32 v2, v2, v3
	s_delay_alu instid0(VALU_DEP_1) | instskip(SKIP_1) | instid1(VALU_DEP_4)
	v_dual_max_f32 v9, v9, v3 :: v_dual_cndmask_b32 v4, v2, v4
	v_cmp_u_f32_e32 vcc_lo, v5, v5
	v_dual_max_f32 v10, v7, v7 :: v_dual_cndmask_b32 v5, v8, v5
	v_cmp_u_f32_e32 vcc_lo, v6, v6
	s_delay_alu instid0(VALU_DEP_2) | instskip(SKIP_2) | instid1(VALU_DEP_3)
	v_max_f32_e32 v10, v10, v3
	v_cndmask_b32_e32 v6, v9, v6, vcc_lo
	v_cmp_u_f32_e32 vcc_lo, v7, v7
	v_cndmask_b32_e32 v7, v10, v7, vcc_lo
	global_store_b128 v1, v[4:7], s[8:9]
.LBB396_2:
	s_and_not1_b32 vcc_lo, exec_lo, s0
	s_cbranch_vccnz .LBB396_16
; %bb.3:
	v_cmp_gt_i32_e32 vcc_lo, s1, v0
	v_dual_mov_b32 v5, 0 :: v_dual_mov_b32 v2, 0
	v_or_b32_e32 v1, s2, v0
	v_or_b32_e32 v4, 0x100, v0
	v_mov_b32_e32 v6, v0
	s_and_saveexec_b32 s3, vcc_lo
	s_cbranch_execz .LBB396_5
; %bb.4:
	v_mov_b32_e32 v2, 0
	s_delay_alu instid0(VALU_DEP_1) | instskip(NEXT) | instid1(VALU_DEP_1)
	v_lshlrev_b64 v[6:7], 2, v[1:2]
	v_add_co_u32 v6, s0, s6, v6
	s_delay_alu instid0(VALU_DEP_1)
	v_add_co_ci_u32_e64 v7, s0, s7, v7, s0
	global_load_b32 v2, v[6:7], off
	v_or_b32_e32 v6, 0x100, v0
.LBB396_5:
	s_or_b32 exec_lo, exec_lo, s3
	s_delay_alu instid0(SALU_CYCLE_1) | instskip(NEXT) | instid1(VALU_DEP_1)
	s_mov_b32 s3, exec_lo
	v_cmpx_gt_i32_e64 s1, v6
	s_cbranch_execz .LBB396_7
; %bb.6:
	v_dual_mov_b32 v8, 0 :: v_dual_add_nc_u32 v7, s2, v6
	v_add_nc_u32_e32 v6, 0x100, v6
	s_delay_alu instid0(VALU_DEP_2) | instskip(NEXT) | instid1(VALU_DEP_1)
	v_lshlrev_b64 v[7:8], 2, v[7:8]
	v_add_co_u32 v7, s0, s6, v7
	s_delay_alu instid0(VALU_DEP_1)
	v_add_co_ci_u32_e64 v8, s0, s7, v8, s0
	global_load_b32 v5, v[7:8], off
.LBB396_7:
	s_or_b32 exec_lo, exec_lo, s3
	v_dual_mov_b32 v7, 0 :: v_dual_mov_b32 v8, 0
	s_mov_b32 s3, exec_lo
	v_cmpx_gt_i32_e64 s1, v6
	s_cbranch_execz .LBB396_9
; %bb.8:
	v_dual_mov_b32 v9, 0 :: v_dual_add_nc_u32 v8, s2, v6
	v_add_nc_u32_e32 v6, 0x100, v6
	s_delay_alu instid0(VALU_DEP_2) | instskip(NEXT) | instid1(VALU_DEP_1)
	v_lshlrev_b64 v[8:9], 2, v[8:9]
	v_add_co_u32 v8, s0, s6, v8
	s_delay_alu instid0(VALU_DEP_1)
	v_add_co_ci_u32_e64 v9, s0, s7, v9, s0
	global_load_b32 v8, v[8:9], off
.LBB396_9:
	s_or_b32 exec_lo, exec_lo, s3
	s_delay_alu instid0(SALU_CYCLE_1)
	s_mov_b32 s3, exec_lo
	v_cmpx_gt_i32_e64 s1, v6
	s_cbranch_execz .LBB396_11
; %bb.10:
	v_dual_mov_b32 v7, 0 :: v_dual_add_nc_u32 v6, s2, v6
	s_delay_alu instid0(VALU_DEP_1) | instskip(NEXT) | instid1(VALU_DEP_1)
	v_lshlrev_b64 v[6:7], 2, v[6:7]
	v_add_co_u32 v6, s0, s6, v6
	s_delay_alu instid0(VALU_DEP_1)
	v_add_co_ci_u32_e64 v7, s0, s7, v7, s0
	global_load_b32 v7, v[6:7], off
.LBB396_11:
	s_or_b32 exec_lo, exec_lo, s3
	s_waitcnt vmcnt(0)
	v_dual_max_f32 v6, v2, v2 :: v_dual_max_f32 v9, v5, v5
	v_cmp_u_f32_e64 s0, v2, v2
	v_dual_max_f32 v10, v8, v8 :: v_dual_max_f32 v11, v7, v7
	s_delay_alu instid0(VALU_DEP_3) | instskip(NEXT) | instid1(VALU_DEP_4)
	v_max_f32_e32 v6, v6, v3
	v_max_f32_e32 v12, v9, v3
	s_delay_alu instid0(VALU_DEP_3) | instskip(NEXT) | instid1(VALU_DEP_4)
	v_max_f32_e32 v10, v10, v3
	v_max_f32_e32 v3, v11, v3
	s_delay_alu instid0(VALU_DEP_4) | instskip(SKIP_1) | instid1(VALU_DEP_1)
	v_cndmask_b32_e64 v9, v6, v2, s0
	v_cmp_u_f32_e64 s0, v5, v5
	v_cndmask_b32_e64 v6, v12, v5, s0
	v_cmp_u_f32_e64 s0, v8, v8
	s_delay_alu instid0(VALU_DEP_1) | instskip(SKIP_1) | instid1(VALU_DEP_1)
	v_cndmask_b32_e64 v5, v10, v8, s0
	v_cmp_u_f32_e64 s0, v7, v7
	v_cndmask_b32_e64 v3, v3, v7, s0
	s_and_saveexec_b32 s0, vcc_lo
	s_cbranch_execnz .LBB396_17
; %bb.12:
	s_or_b32 exec_lo, exec_lo, s0
	s_delay_alu instid0(SALU_CYCLE_1)
	s_mov_b32 s0, exec_lo
	v_cmpx_gt_i32_e64 s1, v0
	s_cbranch_execnz .LBB396_18
.LBB396_13:
	s_or_b32 exec_lo, exec_lo, s0
	s_delay_alu instid0(SALU_CYCLE_1)
	s_mov_b32 s0, exec_lo
	v_cmpx_gt_i32_e64 s1, v0
	s_cbranch_execnz .LBB396_19
.LBB396_14:
	s_or_b32 exec_lo, exec_lo, s0
	s_delay_alu instid0(SALU_CYCLE_1)
	s_mov_b32 s0, exec_lo
	v_cmpx_gt_i32_e64 s1, v0
	s_cbranch_execz .LBB396_16
.LBB396_15:
	v_dual_mov_b32 v1, 0 :: v_dual_add_nc_u32 v0, s2, v0
	s_delay_alu instid0(VALU_DEP_1) | instskip(NEXT) | instid1(VALU_DEP_1)
	v_lshlrev_b64 v[0:1], 2, v[0:1]
	v_add_co_u32 v0, vcc_lo, s4, v0
	s_delay_alu instid0(VALU_DEP_2)
	v_add_co_ci_u32_e32 v1, vcc_lo, s5, v1, vcc_lo
	global_store_b32 v[0:1], v3, off
.LBB396_16:
	s_nop 0
	s_sendmsg sendmsg(MSG_DEALLOC_VGPRS)
	s_endpgm
.LBB396_17:
	v_mov_b32_e32 v2, 0
	s_delay_alu instid0(VALU_DEP_1) | instskip(NEXT) | instid1(VALU_DEP_1)
	v_lshlrev_b64 v[0:1], 2, v[1:2]
	v_add_co_u32 v7, vcc_lo, s4, v0
	s_delay_alu instid0(VALU_DEP_2) | instskip(SKIP_3) | instid1(SALU_CYCLE_1)
	v_add_co_ci_u32_e32 v8, vcc_lo, s5, v1, vcc_lo
	v_mov_b32_e32 v0, v4
	global_store_b32 v[7:8], v9, off
	s_or_b32 exec_lo, exec_lo, s0
	s_mov_b32 s0, exec_lo
	v_cmpx_gt_i32_e64 s1, v0
	s_cbranch_execz .LBB396_13
.LBB396_18:
	v_dual_mov_b32 v2, 0 :: v_dual_add_nc_u32 v1, s2, v0
	v_add_nc_u32_e32 v0, 0x100, v0
	s_delay_alu instid0(VALU_DEP_2) | instskip(NEXT) | instid1(VALU_DEP_1)
	v_lshlrev_b64 v[1:2], 2, v[1:2]
	v_add_co_u32 v1, vcc_lo, s4, v1
	s_delay_alu instid0(VALU_DEP_2) | instskip(SKIP_2) | instid1(SALU_CYCLE_1)
	v_add_co_ci_u32_e32 v2, vcc_lo, s5, v2, vcc_lo
	global_store_b32 v[1:2], v6, off
	s_or_b32 exec_lo, exec_lo, s0
	s_mov_b32 s0, exec_lo
	v_cmpx_gt_i32_e64 s1, v0
	s_cbranch_execz .LBB396_14
.LBB396_19:
	v_dual_mov_b32 v2, 0 :: v_dual_add_nc_u32 v1, s2, v0
	v_add_nc_u32_e32 v0, 0x100, v0
	s_delay_alu instid0(VALU_DEP_2) | instskip(NEXT) | instid1(VALU_DEP_1)
	v_lshlrev_b64 v[1:2], 2, v[1:2]
	v_add_co_u32 v1, vcc_lo, s4, v1
	s_delay_alu instid0(VALU_DEP_2) | instskip(SKIP_2) | instid1(SALU_CYCLE_1)
	v_add_co_ci_u32_e32 v2, vcc_lo, s5, v2, vcc_lo
	global_store_b32 v[1:2], v5, off
	s_or_b32 exec_lo, exec_lo, s0
	s_mov_b32 s0, exec_lo
	v_cmpx_gt_i32_e64 s1, v0
	s_cbranch_execnz .LBB396_15
	s_branch .LBB396_16
	.section	.rodata,"a",@progbits
	.p2align	6, 0x0
	.amdhsa_kernel _ZN2at6native29vectorized_elementwise_kernelILi4EZZZNS0_21clamp_min_kernel_cudaERNS_18TensorIteratorBaseERKN3c106ScalarEENKUlvE_clEvENKUlvE5_clEvEUlfE_St5arrayIPcLm2EEEEviT0_T1_
		.amdhsa_group_segment_fixed_size 0
		.amdhsa_private_segment_fixed_size 0
		.amdhsa_kernarg_size 24
		.amdhsa_user_sgpr_count 15
		.amdhsa_user_sgpr_dispatch_ptr 0
		.amdhsa_user_sgpr_queue_ptr 0
		.amdhsa_user_sgpr_kernarg_segment_ptr 1
		.amdhsa_user_sgpr_dispatch_id 0
		.amdhsa_user_sgpr_private_segment_size 0
		.amdhsa_wavefront_size32 1
		.amdhsa_uses_dynamic_stack 0
		.amdhsa_enable_private_segment 0
		.amdhsa_system_sgpr_workgroup_id_x 1
		.amdhsa_system_sgpr_workgroup_id_y 0
		.amdhsa_system_sgpr_workgroup_id_z 0
		.amdhsa_system_sgpr_workgroup_info 0
		.amdhsa_system_vgpr_workitem_id 0
		.amdhsa_next_free_vgpr 13
		.amdhsa_next_free_sgpr 16
		.amdhsa_reserve_vcc 1
		.amdhsa_float_round_mode_32 0
		.amdhsa_float_round_mode_16_64 0
		.amdhsa_float_denorm_mode_32 3
		.amdhsa_float_denorm_mode_16_64 3
		.amdhsa_dx10_clamp 1
		.amdhsa_ieee_mode 1
		.amdhsa_fp16_overflow 0
		.amdhsa_workgroup_processor_mode 1
		.amdhsa_memory_ordered 1
		.amdhsa_forward_progress 0
		.amdhsa_shared_vgpr_count 0
		.amdhsa_exception_fp_ieee_invalid_op 0
		.amdhsa_exception_fp_denorm_src 0
		.amdhsa_exception_fp_ieee_div_zero 0
		.amdhsa_exception_fp_ieee_overflow 0
		.amdhsa_exception_fp_ieee_underflow 0
		.amdhsa_exception_fp_ieee_inexact 0
		.amdhsa_exception_int_div_zero 0
	.end_amdhsa_kernel
	.section	.text._ZN2at6native29vectorized_elementwise_kernelILi4EZZZNS0_21clamp_min_kernel_cudaERNS_18TensorIteratorBaseERKN3c106ScalarEENKUlvE_clEvENKUlvE5_clEvEUlfE_St5arrayIPcLm2EEEEviT0_T1_,"axG",@progbits,_ZN2at6native29vectorized_elementwise_kernelILi4EZZZNS0_21clamp_min_kernel_cudaERNS_18TensorIteratorBaseERKN3c106ScalarEENKUlvE_clEvENKUlvE5_clEvEUlfE_St5arrayIPcLm2EEEEviT0_T1_,comdat
.Lfunc_end396:
	.size	_ZN2at6native29vectorized_elementwise_kernelILi4EZZZNS0_21clamp_min_kernel_cudaERNS_18TensorIteratorBaseERKN3c106ScalarEENKUlvE_clEvENKUlvE5_clEvEUlfE_St5arrayIPcLm2EEEEviT0_T1_, .Lfunc_end396-_ZN2at6native29vectorized_elementwise_kernelILi4EZZZNS0_21clamp_min_kernel_cudaERNS_18TensorIteratorBaseERKN3c106ScalarEENKUlvE_clEvENKUlvE5_clEvEUlfE_St5arrayIPcLm2EEEEviT0_T1_
                                        ; -- End function
	.section	.AMDGPU.csdata,"",@progbits
; Kernel info:
; codeLenInByte = 984
; NumSgprs: 18
; NumVgprs: 13
; ScratchSize: 0
; MemoryBound: 0
; FloatMode: 240
; IeeeMode: 1
; LDSByteSize: 0 bytes/workgroup (compile time only)
; SGPRBlocks: 2
; VGPRBlocks: 1
; NumSGPRsForWavesPerEU: 18
; NumVGPRsForWavesPerEU: 13
; Occupancy: 16
; WaveLimiterHint : 0
; COMPUTE_PGM_RSRC2:SCRATCH_EN: 0
; COMPUTE_PGM_RSRC2:USER_SGPR: 15
; COMPUTE_PGM_RSRC2:TRAP_HANDLER: 0
; COMPUTE_PGM_RSRC2:TGID_X_EN: 1
; COMPUTE_PGM_RSRC2:TGID_Y_EN: 0
; COMPUTE_PGM_RSRC2:TGID_Z_EN: 0
; COMPUTE_PGM_RSRC2:TIDIG_COMP_CNT: 0
	.section	.text._ZN2at6native29vectorized_elementwise_kernelILi2EZZZNS0_21clamp_min_kernel_cudaERNS_18TensorIteratorBaseERKN3c106ScalarEENKUlvE_clEvENKUlvE5_clEvEUlfE_St5arrayIPcLm2EEEEviT0_T1_,"axG",@progbits,_ZN2at6native29vectorized_elementwise_kernelILi2EZZZNS0_21clamp_min_kernel_cudaERNS_18TensorIteratorBaseERKN3c106ScalarEENKUlvE_clEvENKUlvE5_clEvEUlfE_St5arrayIPcLm2EEEEviT0_T1_,comdat
	.globl	_ZN2at6native29vectorized_elementwise_kernelILi2EZZZNS0_21clamp_min_kernel_cudaERNS_18TensorIteratorBaseERKN3c106ScalarEENKUlvE_clEvENKUlvE5_clEvEUlfE_St5arrayIPcLm2EEEEviT0_T1_ ; -- Begin function _ZN2at6native29vectorized_elementwise_kernelILi2EZZZNS0_21clamp_min_kernel_cudaERNS_18TensorIteratorBaseERKN3c106ScalarEENKUlvE_clEvENKUlvE5_clEvEUlfE_St5arrayIPcLm2EEEEviT0_T1_
	.p2align	8
	.type	_ZN2at6native29vectorized_elementwise_kernelILi2EZZZNS0_21clamp_min_kernel_cudaERNS_18TensorIteratorBaseERKN3c106ScalarEENKUlvE_clEvENKUlvE5_clEvEUlfE_St5arrayIPcLm2EEEEviT0_T1_,@function
_ZN2at6native29vectorized_elementwise_kernelILi2EZZZNS0_21clamp_min_kernel_cudaERNS_18TensorIteratorBaseERKN3c106ScalarEENKUlvE_clEvENKUlvE5_clEvEUlfE_St5arrayIPcLm2EEEEviT0_T1_: ; @_ZN2at6native29vectorized_elementwise_kernelILi2EZZZNS0_21clamp_min_kernel_cudaERNS_18TensorIteratorBaseERKN3c106ScalarEENKUlvE_clEvENKUlvE5_clEvEUlfE_St5arrayIPcLm2EEEEviT0_T1_
; %bb.0:
	s_clause 0x1
	s_load_b64 s[8:9], s[0:1], 0x0
	s_load_b128 s[4:7], s[0:1], 0x8
	s_lshl_b32 s2, s15, 10
	s_mov_b32 s0, -1
	s_waitcnt lgkmcnt(0)
	v_max_f32_e64 v3, s9, s9
	s_sub_i32 s1, s8, s2
	s_delay_alu instid0(SALU_CYCLE_1)
	s_cmpk_gt_i32 s1, 0x3ff
	s_cbranch_scc0 .LBB397_2
; %bb.1:
	s_ashr_i32 s3, s2, 31
	v_lshlrev_b32_e32 v6, 3, v0
	s_lshl_b64 s[8:9], s[2:3], 2
	s_mov_b32 s0, 0
	s_add_u32 s10, s6, s8
	s_addc_u32 s11, s7, s9
	s_add_u32 s8, s4, s8
	s_clause 0x1
	global_load_b64 v[1:2], v6, s[10:11]
	global_load_b64 v[4:5], v6, s[10:11] offset:2048
	s_addc_u32 s9, s5, s9
	s_waitcnt vmcnt(1)
	v_dual_max_f32 v7, v1, v1 :: v_dual_max_f32 v8, v2, v2
	s_waitcnt vmcnt(0)
	v_dual_max_f32 v9, v4, v4 :: v_dual_max_f32 v10, v5, v5
	v_cmp_u_f32_e32 vcc_lo, v1, v1
	s_delay_alu instid0(VALU_DEP_3) | instskip(SKIP_1) | instid1(VALU_DEP_2)
	v_max_f32_e32 v7, v7, v3
	v_max_f32_e32 v8, v8, v3
	v_dual_max_f32 v10, v10, v3 :: v_dual_cndmask_b32 v1, v7, v1
	v_cmp_u_f32_e32 vcc_lo, v2, v2
	s_delay_alu instid0(VALU_DEP_3) | instskip(SKIP_1) | instid1(VALU_DEP_2)
	v_dual_max_f32 v9, v9, v3 :: v_dual_cndmask_b32 v2, v8, v2
	v_cmp_u_f32_e32 vcc_lo, v4, v4
	v_cndmask_b32_e32 v4, v9, v4, vcc_lo
	v_cmp_u_f32_e32 vcc_lo, v5, v5
	v_cndmask_b32_e32 v5, v10, v5, vcc_lo
	s_clause 0x1
	global_store_b64 v6, v[1:2], s[8:9]
	global_store_b64 v6, v[4:5], s[8:9] offset:2048
.LBB397_2:
	s_and_not1_b32 vcc_lo, exec_lo, s0
	s_cbranch_vccnz .LBB397_16
; %bb.3:
	v_cmp_gt_i32_e32 vcc_lo, s1, v0
	v_dual_mov_b32 v5, 0 :: v_dual_mov_b32 v2, 0
	v_or_b32_e32 v1, s2, v0
	v_or_b32_e32 v4, 0x100, v0
	v_mov_b32_e32 v6, v0
	s_and_saveexec_b32 s3, vcc_lo
	s_cbranch_execz .LBB397_5
; %bb.4:
	v_mov_b32_e32 v2, 0
	s_delay_alu instid0(VALU_DEP_1) | instskip(NEXT) | instid1(VALU_DEP_1)
	v_lshlrev_b64 v[6:7], 2, v[1:2]
	v_add_co_u32 v6, s0, s6, v6
	s_delay_alu instid0(VALU_DEP_1)
	v_add_co_ci_u32_e64 v7, s0, s7, v7, s0
	global_load_b32 v2, v[6:7], off
	v_or_b32_e32 v6, 0x100, v0
.LBB397_5:
	s_or_b32 exec_lo, exec_lo, s3
	s_delay_alu instid0(SALU_CYCLE_1) | instskip(NEXT) | instid1(VALU_DEP_1)
	s_mov_b32 s3, exec_lo
	v_cmpx_gt_i32_e64 s1, v6
	s_cbranch_execz .LBB397_7
; %bb.6:
	v_dual_mov_b32 v8, 0 :: v_dual_add_nc_u32 v7, s2, v6
	v_add_nc_u32_e32 v6, 0x100, v6
	s_delay_alu instid0(VALU_DEP_2) | instskip(NEXT) | instid1(VALU_DEP_1)
	v_lshlrev_b64 v[7:8], 2, v[7:8]
	v_add_co_u32 v7, s0, s6, v7
	s_delay_alu instid0(VALU_DEP_1)
	v_add_co_ci_u32_e64 v8, s0, s7, v8, s0
	global_load_b32 v5, v[7:8], off
.LBB397_7:
	s_or_b32 exec_lo, exec_lo, s3
	v_dual_mov_b32 v7, 0 :: v_dual_mov_b32 v8, 0
	s_mov_b32 s3, exec_lo
	v_cmpx_gt_i32_e64 s1, v6
	s_cbranch_execz .LBB397_9
; %bb.8:
	v_dual_mov_b32 v9, 0 :: v_dual_add_nc_u32 v8, s2, v6
	v_add_nc_u32_e32 v6, 0x100, v6
	s_delay_alu instid0(VALU_DEP_2) | instskip(NEXT) | instid1(VALU_DEP_1)
	v_lshlrev_b64 v[8:9], 2, v[8:9]
	v_add_co_u32 v8, s0, s6, v8
	s_delay_alu instid0(VALU_DEP_1)
	v_add_co_ci_u32_e64 v9, s0, s7, v9, s0
	global_load_b32 v8, v[8:9], off
.LBB397_9:
	s_or_b32 exec_lo, exec_lo, s3
	s_delay_alu instid0(SALU_CYCLE_1)
	s_mov_b32 s3, exec_lo
	v_cmpx_gt_i32_e64 s1, v6
	s_cbranch_execz .LBB397_11
; %bb.10:
	v_dual_mov_b32 v7, 0 :: v_dual_add_nc_u32 v6, s2, v6
	s_delay_alu instid0(VALU_DEP_1) | instskip(NEXT) | instid1(VALU_DEP_1)
	v_lshlrev_b64 v[6:7], 2, v[6:7]
	v_add_co_u32 v6, s0, s6, v6
	s_delay_alu instid0(VALU_DEP_1)
	v_add_co_ci_u32_e64 v7, s0, s7, v7, s0
	global_load_b32 v7, v[6:7], off
.LBB397_11:
	s_or_b32 exec_lo, exec_lo, s3
	s_waitcnt vmcnt(0)
	v_dual_max_f32 v6, v2, v2 :: v_dual_max_f32 v9, v5, v5
	v_cmp_u_f32_e64 s0, v2, v2
	v_dual_max_f32 v10, v8, v8 :: v_dual_max_f32 v11, v7, v7
	s_delay_alu instid0(VALU_DEP_3) | instskip(NEXT) | instid1(VALU_DEP_4)
	v_max_f32_e32 v6, v6, v3
	v_max_f32_e32 v12, v9, v3
	s_delay_alu instid0(VALU_DEP_3) | instskip(NEXT) | instid1(VALU_DEP_4)
	v_max_f32_e32 v10, v10, v3
	v_max_f32_e32 v3, v11, v3
	s_delay_alu instid0(VALU_DEP_4) | instskip(SKIP_1) | instid1(VALU_DEP_1)
	v_cndmask_b32_e64 v9, v6, v2, s0
	v_cmp_u_f32_e64 s0, v5, v5
	v_cndmask_b32_e64 v6, v12, v5, s0
	v_cmp_u_f32_e64 s0, v8, v8
	s_delay_alu instid0(VALU_DEP_1) | instskip(SKIP_1) | instid1(VALU_DEP_1)
	v_cndmask_b32_e64 v5, v10, v8, s0
	v_cmp_u_f32_e64 s0, v7, v7
	v_cndmask_b32_e64 v3, v3, v7, s0
	s_and_saveexec_b32 s0, vcc_lo
	s_cbranch_execnz .LBB397_17
; %bb.12:
	s_or_b32 exec_lo, exec_lo, s0
	s_delay_alu instid0(SALU_CYCLE_1)
	s_mov_b32 s0, exec_lo
	v_cmpx_gt_i32_e64 s1, v0
	s_cbranch_execnz .LBB397_18
.LBB397_13:
	s_or_b32 exec_lo, exec_lo, s0
	s_delay_alu instid0(SALU_CYCLE_1)
	s_mov_b32 s0, exec_lo
	v_cmpx_gt_i32_e64 s1, v0
	s_cbranch_execnz .LBB397_19
.LBB397_14:
	s_or_b32 exec_lo, exec_lo, s0
	s_delay_alu instid0(SALU_CYCLE_1)
	s_mov_b32 s0, exec_lo
	v_cmpx_gt_i32_e64 s1, v0
	s_cbranch_execz .LBB397_16
.LBB397_15:
	v_dual_mov_b32 v1, 0 :: v_dual_add_nc_u32 v0, s2, v0
	s_delay_alu instid0(VALU_DEP_1) | instskip(NEXT) | instid1(VALU_DEP_1)
	v_lshlrev_b64 v[0:1], 2, v[0:1]
	v_add_co_u32 v0, vcc_lo, s4, v0
	s_delay_alu instid0(VALU_DEP_2)
	v_add_co_ci_u32_e32 v1, vcc_lo, s5, v1, vcc_lo
	global_store_b32 v[0:1], v3, off
.LBB397_16:
	s_nop 0
	s_sendmsg sendmsg(MSG_DEALLOC_VGPRS)
	s_endpgm
.LBB397_17:
	v_mov_b32_e32 v2, 0
	s_delay_alu instid0(VALU_DEP_1) | instskip(NEXT) | instid1(VALU_DEP_1)
	v_lshlrev_b64 v[0:1], 2, v[1:2]
	v_add_co_u32 v7, vcc_lo, s4, v0
	s_delay_alu instid0(VALU_DEP_2) | instskip(SKIP_3) | instid1(SALU_CYCLE_1)
	v_add_co_ci_u32_e32 v8, vcc_lo, s5, v1, vcc_lo
	v_mov_b32_e32 v0, v4
	global_store_b32 v[7:8], v9, off
	s_or_b32 exec_lo, exec_lo, s0
	s_mov_b32 s0, exec_lo
	v_cmpx_gt_i32_e64 s1, v0
	s_cbranch_execz .LBB397_13
.LBB397_18:
	v_dual_mov_b32 v2, 0 :: v_dual_add_nc_u32 v1, s2, v0
	v_add_nc_u32_e32 v0, 0x100, v0
	s_delay_alu instid0(VALU_DEP_2) | instskip(NEXT) | instid1(VALU_DEP_1)
	v_lshlrev_b64 v[1:2], 2, v[1:2]
	v_add_co_u32 v1, vcc_lo, s4, v1
	s_delay_alu instid0(VALU_DEP_2) | instskip(SKIP_2) | instid1(SALU_CYCLE_1)
	v_add_co_ci_u32_e32 v2, vcc_lo, s5, v2, vcc_lo
	global_store_b32 v[1:2], v6, off
	s_or_b32 exec_lo, exec_lo, s0
	s_mov_b32 s0, exec_lo
	v_cmpx_gt_i32_e64 s1, v0
	s_cbranch_execz .LBB397_14
.LBB397_19:
	v_dual_mov_b32 v2, 0 :: v_dual_add_nc_u32 v1, s2, v0
	v_add_nc_u32_e32 v0, 0x100, v0
	s_delay_alu instid0(VALU_DEP_2) | instskip(NEXT) | instid1(VALU_DEP_1)
	v_lshlrev_b64 v[1:2], 2, v[1:2]
	v_add_co_u32 v1, vcc_lo, s4, v1
	s_delay_alu instid0(VALU_DEP_2) | instskip(SKIP_2) | instid1(SALU_CYCLE_1)
	v_add_co_ci_u32_e32 v2, vcc_lo, s5, v2, vcc_lo
	global_store_b32 v[1:2], v5, off
	s_or_b32 exec_lo, exec_lo, s0
	s_mov_b32 s0, exec_lo
	v_cmpx_gt_i32_e64 s1, v0
	s_cbranch_execnz .LBB397_15
	s_branch .LBB397_16
	.section	.rodata,"a",@progbits
	.p2align	6, 0x0
	.amdhsa_kernel _ZN2at6native29vectorized_elementwise_kernelILi2EZZZNS0_21clamp_min_kernel_cudaERNS_18TensorIteratorBaseERKN3c106ScalarEENKUlvE_clEvENKUlvE5_clEvEUlfE_St5arrayIPcLm2EEEEviT0_T1_
		.amdhsa_group_segment_fixed_size 0
		.amdhsa_private_segment_fixed_size 0
		.amdhsa_kernarg_size 24
		.amdhsa_user_sgpr_count 15
		.amdhsa_user_sgpr_dispatch_ptr 0
		.amdhsa_user_sgpr_queue_ptr 0
		.amdhsa_user_sgpr_kernarg_segment_ptr 1
		.amdhsa_user_sgpr_dispatch_id 0
		.amdhsa_user_sgpr_private_segment_size 0
		.amdhsa_wavefront_size32 1
		.amdhsa_uses_dynamic_stack 0
		.amdhsa_enable_private_segment 0
		.amdhsa_system_sgpr_workgroup_id_x 1
		.amdhsa_system_sgpr_workgroup_id_y 0
		.amdhsa_system_sgpr_workgroup_id_z 0
		.amdhsa_system_sgpr_workgroup_info 0
		.amdhsa_system_vgpr_workitem_id 0
		.amdhsa_next_free_vgpr 13
		.amdhsa_next_free_sgpr 16
		.amdhsa_reserve_vcc 1
		.amdhsa_float_round_mode_32 0
		.amdhsa_float_round_mode_16_64 0
		.amdhsa_float_denorm_mode_32 3
		.amdhsa_float_denorm_mode_16_64 3
		.amdhsa_dx10_clamp 1
		.amdhsa_ieee_mode 1
		.amdhsa_fp16_overflow 0
		.amdhsa_workgroup_processor_mode 1
		.amdhsa_memory_ordered 1
		.amdhsa_forward_progress 0
		.amdhsa_shared_vgpr_count 0
		.amdhsa_exception_fp_ieee_invalid_op 0
		.amdhsa_exception_fp_denorm_src 0
		.amdhsa_exception_fp_ieee_div_zero 0
		.amdhsa_exception_fp_ieee_overflow 0
		.amdhsa_exception_fp_ieee_underflow 0
		.amdhsa_exception_fp_ieee_inexact 0
		.amdhsa_exception_int_div_zero 0
	.end_amdhsa_kernel
	.section	.text._ZN2at6native29vectorized_elementwise_kernelILi2EZZZNS0_21clamp_min_kernel_cudaERNS_18TensorIteratorBaseERKN3c106ScalarEENKUlvE_clEvENKUlvE5_clEvEUlfE_St5arrayIPcLm2EEEEviT0_T1_,"axG",@progbits,_ZN2at6native29vectorized_elementwise_kernelILi2EZZZNS0_21clamp_min_kernel_cudaERNS_18TensorIteratorBaseERKN3c106ScalarEENKUlvE_clEvENKUlvE5_clEvEUlfE_St5arrayIPcLm2EEEEviT0_T1_,comdat
.Lfunc_end397:
	.size	_ZN2at6native29vectorized_elementwise_kernelILi2EZZZNS0_21clamp_min_kernel_cudaERNS_18TensorIteratorBaseERKN3c106ScalarEENKUlvE_clEvENKUlvE5_clEvEUlfE_St5arrayIPcLm2EEEEviT0_T1_, .Lfunc_end397-_ZN2at6native29vectorized_elementwise_kernelILi2EZZZNS0_21clamp_min_kernel_cudaERNS_18TensorIteratorBaseERKN3c106ScalarEENKUlvE_clEvENKUlvE5_clEvEUlfE_St5arrayIPcLm2EEEEviT0_T1_
                                        ; -- End function
	.section	.AMDGPU.csdata,"",@progbits
; Kernel info:
; codeLenInByte = 1008
; NumSgprs: 18
; NumVgprs: 13
; ScratchSize: 0
; MemoryBound: 0
; FloatMode: 240
; IeeeMode: 1
; LDSByteSize: 0 bytes/workgroup (compile time only)
; SGPRBlocks: 2
; VGPRBlocks: 1
; NumSGPRsForWavesPerEU: 18
; NumVGPRsForWavesPerEU: 13
; Occupancy: 16
; WaveLimiterHint : 1
; COMPUTE_PGM_RSRC2:SCRATCH_EN: 0
; COMPUTE_PGM_RSRC2:USER_SGPR: 15
; COMPUTE_PGM_RSRC2:TRAP_HANDLER: 0
; COMPUTE_PGM_RSRC2:TGID_X_EN: 1
; COMPUTE_PGM_RSRC2:TGID_Y_EN: 0
; COMPUTE_PGM_RSRC2:TGID_Z_EN: 0
; COMPUTE_PGM_RSRC2:TIDIG_COMP_CNT: 0
	.section	.text._ZN2at6native27unrolled_elementwise_kernelIZZZNS0_21clamp_min_kernel_cudaERNS_18TensorIteratorBaseERKN3c106ScalarEENKUlvE_clEvENKUlvE5_clEvEUlfE_St5arrayIPcLm2EELi4E23TrivialOffsetCalculatorILi1EjESF_NS0_6memory15LoadWithoutCastENSG_16StoreWithoutCastEEEviT_T0_T2_T3_T4_T5_,"axG",@progbits,_ZN2at6native27unrolled_elementwise_kernelIZZZNS0_21clamp_min_kernel_cudaERNS_18TensorIteratorBaseERKN3c106ScalarEENKUlvE_clEvENKUlvE5_clEvEUlfE_St5arrayIPcLm2EELi4E23TrivialOffsetCalculatorILi1EjESF_NS0_6memory15LoadWithoutCastENSG_16StoreWithoutCastEEEviT_T0_T2_T3_T4_T5_,comdat
	.globl	_ZN2at6native27unrolled_elementwise_kernelIZZZNS0_21clamp_min_kernel_cudaERNS_18TensorIteratorBaseERKN3c106ScalarEENKUlvE_clEvENKUlvE5_clEvEUlfE_St5arrayIPcLm2EELi4E23TrivialOffsetCalculatorILi1EjESF_NS0_6memory15LoadWithoutCastENSG_16StoreWithoutCastEEEviT_T0_T2_T3_T4_T5_ ; -- Begin function _ZN2at6native27unrolled_elementwise_kernelIZZZNS0_21clamp_min_kernel_cudaERNS_18TensorIteratorBaseERKN3c106ScalarEENKUlvE_clEvENKUlvE5_clEvEUlfE_St5arrayIPcLm2EELi4E23TrivialOffsetCalculatorILi1EjESF_NS0_6memory15LoadWithoutCastENSG_16StoreWithoutCastEEEviT_T0_T2_T3_T4_T5_
	.p2align	8
	.type	_ZN2at6native27unrolled_elementwise_kernelIZZZNS0_21clamp_min_kernel_cudaERNS_18TensorIteratorBaseERKN3c106ScalarEENKUlvE_clEvENKUlvE5_clEvEUlfE_St5arrayIPcLm2EELi4E23TrivialOffsetCalculatorILi1EjESF_NS0_6memory15LoadWithoutCastENSG_16StoreWithoutCastEEEviT_T0_T2_T3_T4_T5_,@function
_ZN2at6native27unrolled_elementwise_kernelIZZZNS0_21clamp_min_kernel_cudaERNS_18TensorIteratorBaseERKN3c106ScalarEENKUlvE_clEvENKUlvE5_clEvEUlfE_St5arrayIPcLm2EELi4E23TrivialOffsetCalculatorILi1EjESF_NS0_6memory15LoadWithoutCastENSG_16StoreWithoutCastEEEviT_T0_T2_T3_T4_T5_: ; @_ZN2at6native27unrolled_elementwise_kernelIZZZNS0_21clamp_min_kernel_cudaERNS_18TensorIteratorBaseERKN3c106ScalarEENKUlvE_clEvENKUlvE5_clEvEUlfE_St5arrayIPcLm2EELi4E23TrivialOffsetCalculatorILi1EjESF_NS0_6memory15LoadWithoutCastENSG_16StoreWithoutCastEEEviT_T0_T2_T3_T4_T5_
; %bb.0:
	s_clause 0x1
	s_load_b64 s[2:3], s[0:1], 0x0
	s_load_b128 s[4:7], s[0:1], 0x8
	s_lshl_b32 s1, s15, 10
	v_dual_mov_b32 v4, 0 :: v_dual_mov_b32 v5, v0
	v_mov_b32_e32 v2, 0
	v_or_b32_e32 v1, s1, v0
	v_or_b32_e32 v3, 0x100, v0
	s_waitcnt lgkmcnt(0)
	s_sub_i32 s2, s2, s1
	s_delay_alu instid0(SALU_CYCLE_1)
	v_cmp_gt_i32_e32 vcc_lo, s2, v0
	s_and_saveexec_b32 s8, vcc_lo
	s_cbranch_execz .LBB398_2
; %bb.1:
	v_mov_b32_e32 v2, 0
	s_delay_alu instid0(VALU_DEP_1) | instskip(NEXT) | instid1(VALU_DEP_1)
	v_lshlrev_b64 v[5:6], 2, v[1:2]
	v_add_co_u32 v5, s0, s6, v5
	s_delay_alu instid0(VALU_DEP_1)
	v_add_co_ci_u32_e64 v6, s0, s7, v6, s0
	global_load_b32 v2, v[5:6], off
	v_or_b32_e32 v5, 0x100, v0
.LBB398_2:
	s_or_b32 exec_lo, exec_lo, s8
	s_delay_alu instid0(SALU_CYCLE_1) | instskip(NEXT) | instid1(VALU_DEP_1)
	s_mov_b32 s8, exec_lo
	v_cmpx_gt_i32_e64 s2, v5
	s_cbranch_execz .LBB398_4
; %bb.3:
	v_dual_mov_b32 v7, 0 :: v_dual_add_nc_u32 v6, s1, v5
	v_add_nc_u32_e32 v5, 0x100, v5
	s_delay_alu instid0(VALU_DEP_2) | instskip(NEXT) | instid1(VALU_DEP_1)
	v_lshlrev_b64 v[6:7], 2, v[6:7]
	v_add_co_u32 v6, s0, s6, v6
	s_delay_alu instid0(VALU_DEP_1)
	v_add_co_ci_u32_e64 v7, s0, s7, v7, s0
	global_load_b32 v4, v[6:7], off
.LBB398_4:
	s_or_b32 exec_lo, exec_lo, s8
	v_dual_mov_b32 v6, 0 :: v_dual_mov_b32 v7, 0
	s_mov_b32 s8, exec_lo
	v_cmpx_gt_i32_e64 s2, v5
	s_cbranch_execz .LBB398_6
; %bb.5:
	v_dual_mov_b32 v8, 0 :: v_dual_add_nc_u32 v7, s1, v5
	v_add_nc_u32_e32 v5, 0x100, v5
	s_delay_alu instid0(VALU_DEP_2) | instskip(NEXT) | instid1(VALU_DEP_1)
	v_lshlrev_b64 v[7:8], 2, v[7:8]
	v_add_co_u32 v7, s0, s6, v7
	s_delay_alu instid0(VALU_DEP_1)
	v_add_co_ci_u32_e64 v8, s0, s7, v8, s0
	global_load_b32 v7, v[7:8], off
.LBB398_6:
	s_or_b32 exec_lo, exec_lo, s8
	s_delay_alu instid0(SALU_CYCLE_1)
	s_mov_b32 s8, exec_lo
	v_cmpx_gt_i32_e64 s2, v5
	s_cbranch_execz .LBB398_8
; %bb.7:
	v_dual_mov_b32 v6, 0 :: v_dual_add_nc_u32 v5, s1, v5
	s_delay_alu instid0(VALU_DEP_1) | instskip(NEXT) | instid1(VALU_DEP_1)
	v_lshlrev_b64 v[5:6], 2, v[5:6]
	v_add_co_u32 v5, s0, s6, v5
	s_delay_alu instid0(VALU_DEP_1)
	v_add_co_ci_u32_e64 v6, s0, s7, v6, s0
	global_load_b32 v6, v[5:6], off
.LBB398_8:
	s_or_b32 exec_lo, exec_lo, s8
	s_waitcnt vmcnt(0)
	v_dual_max_f32 v5, v2, v2 :: v_dual_max_f32 v10, v7, v7
	v_max_f32_e64 v8, s3, s3
	v_max_f32_e32 v9, v4, v4
	v_cmp_u_f32_e64 s0, v2, v2
	v_max_f32_e32 v11, v6, v6
	s_delay_alu instid0(VALU_DEP_4) | instskip(NEXT) | instid1(VALU_DEP_4)
	v_max_f32_e32 v5, v5, v8
	v_max_f32_e32 v12, v9, v8
	;; [unrolled: 1-line block ×3, first 2 shown]
	s_delay_alu instid0(VALU_DEP_4) | instskip(NEXT) | instid1(VALU_DEP_4)
	v_max_f32_e32 v11, v11, v8
	v_cndmask_b32_e64 v9, v5, v2, s0
	v_cmp_u_f32_e64 s0, v4, v4
	s_delay_alu instid0(VALU_DEP_1) | instskip(SKIP_1) | instid1(VALU_DEP_1)
	v_cndmask_b32_e64 v8, v12, v4, s0
	v_cmp_u_f32_e64 s0, v7, v7
	v_cndmask_b32_e64 v5, v10, v7, s0
	v_cmp_u_f32_e64 s0, v6, v6
	s_delay_alu instid0(VALU_DEP_1)
	v_cndmask_b32_e64 v4, v11, v6, s0
	s_and_saveexec_b32 s0, vcc_lo
	s_cbranch_execnz .LBB398_13
; %bb.9:
	s_or_b32 exec_lo, exec_lo, s0
	s_delay_alu instid0(SALU_CYCLE_1)
	s_mov_b32 s0, exec_lo
	v_cmpx_gt_i32_e64 s2, v0
	s_cbranch_execnz .LBB398_14
.LBB398_10:
	s_or_b32 exec_lo, exec_lo, s0
	s_delay_alu instid0(SALU_CYCLE_1)
	s_mov_b32 s0, exec_lo
	v_cmpx_gt_i32_e64 s2, v0
	s_cbranch_execnz .LBB398_15
.LBB398_11:
	s_or_b32 exec_lo, exec_lo, s0
	s_delay_alu instid0(SALU_CYCLE_1)
	s_mov_b32 s0, exec_lo
	v_cmpx_gt_i32_e64 s2, v0
	s_cbranch_execnz .LBB398_16
.LBB398_12:
	s_nop 0
	s_sendmsg sendmsg(MSG_DEALLOC_VGPRS)
	s_endpgm
.LBB398_13:
	v_mov_b32_e32 v2, 0
	s_delay_alu instid0(VALU_DEP_1) | instskip(NEXT) | instid1(VALU_DEP_1)
	v_lshlrev_b64 v[0:1], 2, v[1:2]
	v_add_co_u32 v6, vcc_lo, s4, v0
	s_delay_alu instid0(VALU_DEP_2) | instskip(SKIP_3) | instid1(SALU_CYCLE_1)
	v_add_co_ci_u32_e32 v7, vcc_lo, s5, v1, vcc_lo
	v_mov_b32_e32 v0, v3
	global_store_b32 v[6:7], v9, off
	s_or_b32 exec_lo, exec_lo, s0
	s_mov_b32 s0, exec_lo
	v_cmpx_gt_i32_e64 s2, v0
	s_cbranch_execz .LBB398_10
.LBB398_14:
	v_dual_mov_b32 v2, 0 :: v_dual_add_nc_u32 v1, s1, v0
	v_add_nc_u32_e32 v0, 0x100, v0
	s_delay_alu instid0(VALU_DEP_2) | instskip(NEXT) | instid1(VALU_DEP_1)
	v_lshlrev_b64 v[1:2], 2, v[1:2]
	v_add_co_u32 v1, vcc_lo, s4, v1
	s_delay_alu instid0(VALU_DEP_2) | instskip(SKIP_2) | instid1(SALU_CYCLE_1)
	v_add_co_ci_u32_e32 v2, vcc_lo, s5, v2, vcc_lo
	global_store_b32 v[1:2], v8, off
	s_or_b32 exec_lo, exec_lo, s0
	s_mov_b32 s0, exec_lo
	v_cmpx_gt_i32_e64 s2, v0
	s_cbranch_execz .LBB398_11
.LBB398_15:
	v_dual_mov_b32 v2, 0 :: v_dual_add_nc_u32 v1, s1, v0
	v_add_nc_u32_e32 v0, 0x100, v0
	s_delay_alu instid0(VALU_DEP_2) | instskip(NEXT) | instid1(VALU_DEP_1)
	v_lshlrev_b64 v[1:2], 2, v[1:2]
	v_add_co_u32 v1, vcc_lo, s4, v1
	s_delay_alu instid0(VALU_DEP_2) | instskip(SKIP_2) | instid1(SALU_CYCLE_1)
	v_add_co_ci_u32_e32 v2, vcc_lo, s5, v2, vcc_lo
	global_store_b32 v[1:2], v5, off
	s_or_b32 exec_lo, exec_lo, s0
	s_mov_b32 s0, exec_lo
	v_cmpx_gt_i32_e64 s2, v0
	s_cbranch_execz .LBB398_12
.LBB398_16:
	v_dual_mov_b32 v1, 0 :: v_dual_add_nc_u32 v0, s1, v0
	s_delay_alu instid0(VALU_DEP_1) | instskip(NEXT) | instid1(VALU_DEP_1)
	v_lshlrev_b64 v[0:1], 2, v[0:1]
	v_add_co_u32 v0, vcc_lo, s4, v0
	s_delay_alu instid0(VALU_DEP_2)
	v_add_co_ci_u32_e32 v1, vcc_lo, s5, v1, vcc_lo
	global_store_b32 v[0:1], v4, off
	s_nop 0
	s_sendmsg sendmsg(MSG_DEALLOC_VGPRS)
	s_endpgm
	.section	.rodata,"a",@progbits
	.p2align	6, 0x0
	.amdhsa_kernel _ZN2at6native27unrolled_elementwise_kernelIZZZNS0_21clamp_min_kernel_cudaERNS_18TensorIteratorBaseERKN3c106ScalarEENKUlvE_clEvENKUlvE5_clEvEUlfE_St5arrayIPcLm2EELi4E23TrivialOffsetCalculatorILi1EjESF_NS0_6memory15LoadWithoutCastENSG_16StoreWithoutCastEEEviT_T0_T2_T3_T4_T5_
		.amdhsa_group_segment_fixed_size 0
		.amdhsa_private_segment_fixed_size 0
		.amdhsa_kernarg_size 28
		.amdhsa_user_sgpr_count 15
		.amdhsa_user_sgpr_dispatch_ptr 0
		.amdhsa_user_sgpr_queue_ptr 0
		.amdhsa_user_sgpr_kernarg_segment_ptr 1
		.amdhsa_user_sgpr_dispatch_id 0
		.amdhsa_user_sgpr_private_segment_size 0
		.amdhsa_wavefront_size32 1
		.amdhsa_uses_dynamic_stack 0
		.amdhsa_enable_private_segment 0
		.amdhsa_system_sgpr_workgroup_id_x 1
		.amdhsa_system_sgpr_workgroup_id_y 0
		.amdhsa_system_sgpr_workgroup_id_z 0
		.amdhsa_system_sgpr_workgroup_info 0
		.amdhsa_system_vgpr_workitem_id 0
		.amdhsa_next_free_vgpr 13
		.amdhsa_next_free_sgpr 16
		.amdhsa_reserve_vcc 1
		.amdhsa_float_round_mode_32 0
		.amdhsa_float_round_mode_16_64 0
		.amdhsa_float_denorm_mode_32 3
		.amdhsa_float_denorm_mode_16_64 3
		.amdhsa_dx10_clamp 1
		.amdhsa_ieee_mode 1
		.amdhsa_fp16_overflow 0
		.amdhsa_workgroup_processor_mode 1
		.amdhsa_memory_ordered 1
		.amdhsa_forward_progress 0
		.amdhsa_shared_vgpr_count 0
		.amdhsa_exception_fp_ieee_invalid_op 0
		.amdhsa_exception_fp_denorm_src 0
		.amdhsa_exception_fp_ieee_div_zero 0
		.amdhsa_exception_fp_ieee_overflow 0
		.amdhsa_exception_fp_ieee_underflow 0
		.amdhsa_exception_fp_ieee_inexact 0
		.amdhsa_exception_int_div_zero 0
	.end_amdhsa_kernel
	.section	.text._ZN2at6native27unrolled_elementwise_kernelIZZZNS0_21clamp_min_kernel_cudaERNS_18TensorIteratorBaseERKN3c106ScalarEENKUlvE_clEvENKUlvE5_clEvEUlfE_St5arrayIPcLm2EELi4E23TrivialOffsetCalculatorILi1EjESF_NS0_6memory15LoadWithoutCastENSG_16StoreWithoutCastEEEviT_T0_T2_T3_T4_T5_,"axG",@progbits,_ZN2at6native27unrolled_elementwise_kernelIZZZNS0_21clamp_min_kernel_cudaERNS_18TensorIteratorBaseERKN3c106ScalarEENKUlvE_clEvENKUlvE5_clEvEUlfE_St5arrayIPcLm2EELi4E23TrivialOffsetCalculatorILi1EjESF_NS0_6memory15LoadWithoutCastENSG_16StoreWithoutCastEEEviT_T0_T2_T3_T4_T5_,comdat
.Lfunc_end398:
	.size	_ZN2at6native27unrolled_elementwise_kernelIZZZNS0_21clamp_min_kernel_cudaERNS_18TensorIteratorBaseERKN3c106ScalarEENKUlvE_clEvENKUlvE5_clEvEUlfE_St5arrayIPcLm2EELi4E23TrivialOffsetCalculatorILi1EjESF_NS0_6memory15LoadWithoutCastENSG_16StoreWithoutCastEEEviT_T0_T2_T3_T4_T5_, .Lfunc_end398-_ZN2at6native27unrolled_elementwise_kernelIZZZNS0_21clamp_min_kernel_cudaERNS_18TensorIteratorBaseERKN3c106ScalarEENKUlvE_clEvENKUlvE5_clEvEUlfE_St5arrayIPcLm2EELi4E23TrivialOffsetCalculatorILi1EjESF_NS0_6memory15LoadWithoutCastENSG_16StoreWithoutCastEEEviT_T0_T2_T3_T4_T5_
                                        ; -- End function
	.section	.AMDGPU.csdata,"",@progbits
; Kernel info:
; codeLenInByte = 844
; NumSgprs: 18
; NumVgprs: 13
; ScratchSize: 0
; MemoryBound: 0
; FloatMode: 240
; IeeeMode: 1
; LDSByteSize: 0 bytes/workgroup (compile time only)
; SGPRBlocks: 2
; VGPRBlocks: 1
; NumSGPRsForWavesPerEU: 18
; NumVGPRsForWavesPerEU: 13
; Occupancy: 16
; WaveLimiterHint : 0
; COMPUTE_PGM_RSRC2:SCRATCH_EN: 0
; COMPUTE_PGM_RSRC2:USER_SGPR: 15
; COMPUTE_PGM_RSRC2:TRAP_HANDLER: 0
; COMPUTE_PGM_RSRC2:TGID_X_EN: 1
; COMPUTE_PGM_RSRC2:TGID_Y_EN: 0
; COMPUTE_PGM_RSRC2:TGID_Z_EN: 0
; COMPUTE_PGM_RSRC2:TIDIG_COMP_CNT: 0
	.section	.text._ZN2at6native32elementwise_kernel_manual_unrollILi128ELi4EZNS0_22gpu_kernel_impl_nocastIZZZNS0_21clamp_min_kernel_cudaERNS_18TensorIteratorBaseERKN3c106ScalarEENKUlvE_clEvENKUlvE5_clEvEUlfE_EEvS4_RKT_EUlibE_EEviT1_,"axG",@progbits,_ZN2at6native32elementwise_kernel_manual_unrollILi128ELi4EZNS0_22gpu_kernel_impl_nocastIZZZNS0_21clamp_min_kernel_cudaERNS_18TensorIteratorBaseERKN3c106ScalarEENKUlvE_clEvENKUlvE5_clEvEUlfE_EEvS4_RKT_EUlibE_EEviT1_,comdat
	.globl	_ZN2at6native32elementwise_kernel_manual_unrollILi128ELi4EZNS0_22gpu_kernel_impl_nocastIZZZNS0_21clamp_min_kernel_cudaERNS_18TensorIteratorBaseERKN3c106ScalarEENKUlvE_clEvENKUlvE5_clEvEUlfE_EEvS4_RKT_EUlibE_EEviT1_ ; -- Begin function _ZN2at6native32elementwise_kernel_manual_unrollILi128ELi4EZNS0_22gpu_kernel_impl_nocastIZZZNS0_21clamp_min_kernel_cudaERNS_18TensorIteratorBaseERKN3c106ScalarEENKUlvE_clEvENKUlvE5_clEvEUlfE_EEvS4_RKT_EUlibE_EEviT1_
	.p2align	8
	.type	_ZN2at6native32elementwise_kernel_manual_unrollILi128ELi4EZNS0_22gpu_kernel_impl_nocastIZZZNS0_21clamp_min_kernel_cudaERNS_18TensorIteratorBaseERKN3c106ScalarEENKUlvE_clEvENKUlvE5_clEvEUlfE_EEvS4_RKT_EUlibE_EEviT1_,@function
_ZN2at6native32elementwise_kernel_manual_unrollILi128ELi4EZNS0_22gpu_kernel_impl_nocastIZZZNS0_21clamp_min_kernel_cudaERNS_18TensorIteratorBaseERKN3c106ScalarEENKUlvE_clEvENKUlvE5_clEvEUlfE_EEvS4_RKT_EUlibE_EEviT1_: ; @_ZN2at6native32elementwise_kernel_manual_unrollILi128ELi4EZNS0_22gpu_kernel_impl_nocastIZZZNS0_21clamp_min_kernel_cudaERNS_18TensorIteratorBaseERKN3c106ScalarEENKUlvE_clEvENKUlvE5_clEvEUlfE_EEvS4_RKT_EUlibE_EEviT1_
; %bb.0:
	s_clause 0x1
	s_load_b32 s22, s[0:1], 0x8
	s_load_b32 s28, s[0:1], 0x0
	v_lshl_or_b32 v4, s15, 9, v0
	s_or_b32 s0, s0, 8
	s_mov_b32 s2, exec_lo
	s_delay_alu instid0(VALU_DEP_1) | instskip(SKIP_2) | instid1(SALU_CYCLE_1)
	v_or_b32_e32 v8, 0x180, v4
	s_waitcnt lgkmcnt(0)
	s_add_i32 s23, s22, -1
	s_cmp_gt_u32 s23, 1
	s_cselect_b32 s24, -1, 0
	v_cmpx_le_i32_e64 s28, v8
	s_xor_b32 s25, exec_lo, s2
	s_cbranch_execz .LBB399_7
; %bb.1:
	s_clause 0x4
	s_load_b128 s[12:15], s[0:1], 0x4
	s_load_b64 s[2:3], s[0:1], 0x14
	s_load_b128 s[8:11], s[0:1], 0xc4
	s_load_b128 s[4:7], s[0:1], 0x148
	s_load_b32 s26, s[0:1], 0x158
	s_cmp_lg_u32 s22, 0
	s_mov_b32 s31, exec_lo
	s_cselect_b32 s30, -1, 0
	s_add_u32 s16, s0, 0xc4
	s_addc_u32 s17, s1, 0
	s_min_u32 s29, s23, 15
	s_cmp_gt_u32 s22, 1
	s_cselect_b32 s27, -1, 0
	v_cmpx_gt_i32_e64 s28, v4
	s_cbranch_execz .LBB399_14
; %bb.2:
	s_and_not1_b32 vcc_lo, exec_lo, s24
	s_cbranch_vccnz .LBB399_21
; %bb.3:
	v_dual_mov_b32 v0, 0 :: v_dual_mov_b32 v1, 0
	s_and_not1_b32 vcc_lo, exec_lo, s30
	s_mov_b32 s33, 0
	s_cbranch_vccnz .LBB399_73
; %bb.4:
	v_mov_b32_e32 v0, 0
	s_add_i32 s35, s29, 1
	s_cmp_eq_u32 s23, 2
	s_mov_b32 s34, 0
	s_cbranch_scc1 .LBB399_69
; %bb.5:
	v_dual_mov_b32 v1, 0 :: v_dual_mov_b32 v0, 0
	v_mov_b32_e32 v2, v4
	s_and_b32 s34, s35, 28
	s_mov_b32 s36, 0
	s_mov_b64 s[18:19], s[16:17]
	s_mov_b64 s[20:21], s[0:1]
.LBB399_6:                              ; =>This Inner Loop Header: Depth=1
	s_clause 0x1
	s_load_b256 s[40:47], s[20:21], 0x4
	s_load_b128 s[56:59], s[20:21], 0x24
	s_load_b256 s[48:55], s[18:19], 0x0
	s_add_u32 s20, s20, 48
	s_addc_u32 s21, s21, 0
	s_add_i32 s36, s36, 4
	s_add_u32 s18, s18, 32
	s_addc_u32 s19, s19, 0
	s_cmp_lg_u32 s34, s36
	s_waitcnt lgkmcnt(0)
	v_mul_hi_u32 v3, s41, v2
	s_delay_alu instid0(VALU_DEP_1) | instskip(NEXT) | instid1(VALU_DEP_1)
	v_add_nc_u32_e32 v3, v2, v3
	v_lshrrev_b32_e32 v3, s42, v3
	s_delay_alu instid0(VALU_DEP_1) | instskip(SKIP_1) | instid1(VALU_DEP_2)
	v_mul_hi_u32 v5, s44, v3
	v_mul_lo_u32 v7, v3, s40
	v_add_nc_u32_e32 v5, v3, v5
	s_delay_alu instid0(VALU_DEP_2) | instskip(NEXT) | instid1(VALU_DEP_2)
	v_sub_nc_u32_e32 v2, v2, v7
	v_lshrrev_b32_e32 v5, s45, v5
	s_delay_alu instid0(VALU_DEP_2) | instskip(SKIP_1) | instid1(VALU_DEP_3)
	v_mul_lo_u32 v7, v2, s48
	v_mul_lo_u32 v9, v2, s49
	v_mul_hi_u32 v6, s47, v5
	s_delay_alu instid0(VALU_DEP_1) | instskip(NEXT) | instid1(VALU_DEP_1)
	v_add_nc_u32_e32 v6, v5, v6
	v_lshrrev_b32_e32 v6, s56, v6
	s_delay_alu instid0(VALU_DEP_1) | instskip(SKIP_1) | instid1(VALU_DEP_2)
	v_mul_hi_u32 v8, s58, v6
	v_mul_lo_u32 v10, v6, s46
	v_add_nc_u32_e32 v2, v6, v8
	v_mul_lo_u32 v8, v5, s43
	s_delay_alu instid0(VALU_DEP_3) | instskip(NEXT) | instid1(VALU_DEP_3)
	v_sub_nc_u32_e32 v5, v5, v10
	v_lshrrev_b32_e32 v2, s59, v2
	s_delay_alu instid0(VALU_DEP_2) | instskip(SKIP_2) | instid1(VALU_DEP_4)
	v_mul_lo_u32 v10, v5, s52
	v_mul_lo_u32 v5, v5, s53
	v_sub_nc_u32_e32 v3, v3, v8
	v_mul_lo_u32 v11, v2, s57
	s_delay_alu instid0(VALU_DEP_2) | instskip(SKIP_1) | instid1(VALU_DEP_3)
	v_mul_lo_u32 v8, v3, s50
	v_mul_lo_u32 v3, v3, s51
	v_sub_nc_u32_e32 v6, v6, v11
	s_delay_alu instid0(VALU_DEP_3) | instskip(NEXT) | instid1(VALU_DEP_2)
	v_add3_u32 v0, v7, v0, v8
	v_mul_lo_u32 v11, v6, s54
	v_mul_lo_u32 v6, v6, s55
	v_add3_u32 v1, v9, v1, v3
	s_delay_alu instid0(VALU_DEP_3) | instskip(NEXT) | instid1(VALU_DEP_2)
	v_add3_u32 v0, v10, v0, v11
	v_add3_u32 v1, v5, v1, v6
	s_cbranch_scc1 .LBB399_6
	s_branch .LBB399_70
.LBB399_7:
	s_and_not1_saveexec_b32 s2, s25
	s_cbranch_execz .LBB399_94
.LBB399_8:
	v_cndmask_b32_e64 v6, 0, 1, s24
	s_and_not1_b32 vcc_lo, exec_lo, s24
	s_cbranch_vccnz .LBB399_20
; %bb.9:
	v_dual_mov_b32 v0, 0 :: v_dual_mov_b32 v1, 0
	s_cmp_lg_u32 s22, 0
	s_mov_b32 s6, 0
	s_cbranch_scc0 .LBB399_26
; %bb.10:
	s_min_u32 s7, s23, 15
	v_mov_b32_e32 v0, 0
	s_add_i32 s7, s7, 1
	s_cmp_eq_u32 s23, 2
	s_mov_b32 s8, 0
	s_cbranch_scc1 .LBB399_23
; %bb.11:
	v_dual_mov_b32 v1, 0 :: v_dual_mov_b32 v0, 0
	v_mov_b32_e32 v2, v4
	s_add_u32 s2, s0, 0xc4
	s_addc_u32 s3, s1, 0
	s_and_b32 s8, s7, 28
	s_mov_b32 s9, 0
	s_mov_b64 s[4:5], s[0:1]
.LBB399_12:                             ; =>This Inner Loop Header: Depth=1
	s_clause 0x1
	s_load_b256 s[12:19], s[4:5], 0x4
	s_load_b128 s[36:39], s[4:5], 0x24
	s_load_b256 s[24:31], s[2:3], 0x0
	s_add_u32 s4, s4, 48
	s_addc_u32 s5, s5, 0
	s_add_i32 s9, s9, 4
	s_add_u32 s2, s2, 32
	s_addc_u32 s3, s3, 0
	s_cmp_lg_u32 s8, s9
	s_waitcnt lgkmcnt(0)
	v_mul_hi_u32 v3, s13, v2
	s_delay_alu instid0(VALU_DEP_1) | instskip(NEXT) | instid1(VALU_DEP_1)
	v_add_nc_u32_e32 v3, v2, v3
	v_lshrrev_b32_e32 v3, s14, v3
	s_delay_alu instid0(VALU_DEP_1) | instskip(SKIP_1) | instid1(VALU_DEP_2)
	v_mul_hi_u32 v5, s16, v3
	v_mul_lo_u32 v9, v3, s12
	v_add_nc_u32_e32 v5, v3, v5
	s_delay_alu instid0(VALU_DEP_2) | instskip(NEXT) | instid1(VALU_DEP_2)
	v_sub_nc_u32_e32 v2, v2, v9
	v_lshrrev_b32_e32 v5, s17, v5
	s_delay_alu instid0(VALU_DEP_2) | instskip(SKIP_1) | instid1(VALU_DEP_3)
	v_mul_lo_u32 v9, v2, s24
	v_mul_lo_u32 v11, v2, s25
	v_mul_hi_u32 v7, s19, v5
	s_delay_alu instid0(VALU_DEP_1) | instskip(NEXT) | instid1(VALU_DEP_1)
	v_add_nc_u32_e32 v7, v5, v7
	v_lshrrev_b32_e32 v7, s36, v7
	s_delay_alu instid0(VALU_DEP_1) | instskip(SKIP_1) | instid1(VALU_DEP_2)
	v_mul_hi_u32 v10, s38, v7
	v_mul_lo_u32 v12, v7, s18
	v_add_nc_u32_e32 v2, v7, v10
	v_mul_lo_u32 v10, v5, s15
	s_delay_alu instid0(VALU_DEP_3) | instskip(NEXT) | instid1(VALU_DEP_3)
	v_sub_nc_u32_e32 v5, v5, v12
	v_lshrrev_b32_e32 v2, s39, v2
	s_delay_alu instid0(VALU_DEP_2) | instskip(SKIP_2) | instid1(VALU_DEP_4)
	v_mul_lo_u32 v12, v5, s28
	v_mul_lo_u32 v5, v5, s29
	v_sub_nc_u32_e32 v3, v3, v10
	v_mul_lo_u32 v13, v2, s37
	s_delay_alu instid0(VALU_DEP_2) | instskip(SKIP_1) | instid1(VALU_DEP_3)
	v_mul_lo_u32 v10, v3, s26
	v_mul_lo_u32 v3, v3, s27
	v_sub_nc_u32_e32 v7, v7, v13
	s_delay_alu instid0(VALU_DEP_3) | instskip(NEXT) | instid1(VALU_DEP_2)
	v_add3_u32 v0, v9, v0, v10
	v_mul_lo_u32 v13, v7, s30
	v_mul_lo_u32 v7, v7, s31
	v_add3_u32 v1, v11, v1, v3
	s_delay_alu instid0(VALU_DEP_3) | instskip(NEXT) | instid1(VALU_DEP_2)
	v_add3_u32 v0, v12, v0, v13
	v_add3_u32 v1, v5, v1, v7
	s_cbranch_scc1 .LBB399_12
; %bb.13:
	s_and_b32 s7, s7, 3
	s_delay_alu instid0(SALU_CYCLE_1)
	s_cmp_eq_u32 s7, 0
	s_cbranch_scc0 .LBB399_24
	s_branch .LBB399_26
.LBB399_14:
	s_or_b32 exec_lo, exec_lo, s31
	s_delay_alu instid0(SALU_CYCLE_1)
	s_mov_b32 s31, exec_lo
	v_cmpx_gt_i32_e64 s28, v4
	s_cbranch_execz .LBB399_77
.LBB399_15:
	s_and_not1_b32 vcc_lo, exec_lo, s24
	s_cbranch_vccnz .LBB399_22
; %bb.16:
	v_dual_mov_b32 v0, 0 :: v_dual_mov_b32 v1, 0
	s_and_not1_b32 vcc_lo, exec_lo, s30
	s_mov_b32 s33, 0
	s_cbranch_vccnz .LBB399_88
; %bb.17:
	v_mov_b32_e32 v0, 0
	s_add_i32 s35, s29, 1
	s_cmp_eq_u32 s23, 2
	s_mov_b32 s34, 0
	s_cbranch_scc1 .LBB399_84
; %bb.18:
	v_dual_mov_b32 v1, 0 :: v_dual_mov_b32 v0, 0
	v_mov_b32_e32 v2, v4
	s_and_b32 s34, s35, 28
	s_mov_b32 s36, 0
	s_mov_b64 s[18:19], s[16:17]
	s_mov_b64 s[20:21], s[0:1]
.LBB399_19:                             ; =>This Inner Loop Header: Depth=1
	s_clause 0x1
	s_load_b256 s[40:47], s[20:21], 0x4
	s_load_b128 s[56:59], s[20:21], 0x24
	s_load_b256 s[48:55], s[18:19], 0x0
	s_add_u32 s20, s20, 48
	s_addc_u32 s21, s21, 0
	s_add_i32 s36, s36, 4
	s_add_u32 s18, s18, 32
	s_addc_u32 s19, s19, 0
	s_cmp_eq_u32 s34, s36
	s_waitcnt lgkmcnt(0)
	v_mul_hi_u32 v3, s41, v2
	s_delay_alu instid0(VALU_DEP_1) | instskip(NEXT) | instid1(VALU_DEP_1)
	v_add_nc_u32_e32 v3, v2, v3
	v_lshrrev_b32_e32 v3, s42, v3
	s_delay_alu instid0(VALU_DEP_1) | instskip(SKIP_1) | instid1(VALU_DEP_2)
	v_mul_hi_u32 v5, s44, v3
	v_mul_lo_u32 v7, v3, s40
	v_add_nc_u32_e32 v5, v3, v5
	s_delay_alu instid0(VALU_DEP_2) | instskip(NEXT) | instid1(VALU_DEP_2)
	v_sub_nc_u32_e32 v2, v2, v7
	v_lshrrev_b32_e32 v5, s45, v5
	s_delay_alu instid0(VALU_DEP_2) | instskip(SKIP_1) | instid1(VALU_DEP_3)
	v_mul_lo_u32 v7, v2, s48
	v_mul_lo_u32 v9, v2, s49
	v_mul_hi_u32 v6, s47, v5
	s_delay_alu instid0(VALU_DEP_1) | instskip(NEXT) | instid1(VALU_DEP_1)
	v_add_nc_u32_e32 v6, v5, v6
	v_lshrrev_b32_e32 v6, s56, v6
	s_delay_alu instid0(VALU_DEP_1) | instskip(SKIP_1) | instid1(VALU_DEP_2)
	v_mul_hi_u32 v8, s58, v6
	v_mul_lo_u32 v10, v6, s46
	v_add_nc_u32_e32 v2, v6, v8
	v_mul_lo_u32 v8, v5, s43
	s_delay_alu instid0(VALU_DEP_3) | instskip(NEXT) | instid1(VALU_DEP_3)
	v_sub_nc_u32_e32 v5, v5, v10
	v_lshrrev_b32_e32 v2, s59, v2
	s_delay_alu instid0(VALU_DEP_2) | instskip(SKIP_2) | instid1(VALU_DEP_4)
	v_mul_lo_u32 v10, v5, s52
	v_mul_lo_u32 v5, v5, s53
	v_sub_nc_u32_e32 v3, v3, v8
	v_mul_lo_u32 v11, v2, s57
	s_delay_alu instid0(VALU_DEP_2) | instskip(SKIP_1) | instid1(VALU_DEP_3)
	v_mul_lo_u32 v8, v3, s50
	v_mul_lo_u32 v3, v3, s51
	v_sub_nc_u32_e32 v6, v6, v11
	s_delay_alu instid0(VALU_DEP_3) | instskip(NEXT) | instid1(VALU_DEP_2)
	v_add3_u32 v0, v7, v0, v8
	v_mul_lo_u32 v11, v6, s54
	v_mul_lo_u32 v6, v6, s55
	v_add3_u32 v1, v9, v1, v3
	s_delay_alu instid0(VALU_DEP_3) | instskip(NEXT) | instid1(VALU_DEP_2)
	v_add3_u32 v0, v10, v0, v11
	v_add3_u32 v1, v5, v1, v6
	s_cbranch_scc0 .LBB399_19
	s_branch .LBB399_85
.LBB399_20:
	s_mov_b32 s6, -1
                                        ; implicit-def: $vgpr0
                                        ; implicit-def: $vgpr1
	s_branch .LBB399_26
.LBB399_21:
	s_mov_b32 s33, -1
                                        ; implicit-def: $vgpr0
                                        ; implicit-def: $vgpr1
	s_branch .LBB399_73
.LBB399_22:
	s_mov_b32 s33, -1
                                        ; implicit-def: $vgpr0
                                        ; implicit-def: $vgpr1
	s_branch .LBB399_88
.LBB399_23:
	v_dual_mov_b32 v2, v4 :: v_dual_mov_b32 v1, 0
	s_and_b32 s7, s7, 3
	s_delay_alu instid0(SALU_CYCLE_1)
	s_cmp_eq_u32 s7, 0
	s_cbranch_scc1 .LBB399_26
.LBB399_24:
	s_lshl_b32 s2, s8, 3
	s_mul_i32 s4, s8, 12
	s_add_u32 s2, s2, s0
	s_addc_u32 s3, 0, s1
	s_add_u32 s2, s2, 0xc4
	s_addc_u32 s3, s3, 0
	s_add_u32 s4, s0, s4
	s_addc_u32 s5, 0, s1
	.p2align	6
.LBB399_25:                             ; =>This Inner Loop Header: Depth=1
	s_clause 0x1
	s_load_b64 s[8:9], s[4:5], 0x4
	s_load_b32 s12, s[4:5], 0xc
	s_load_b64 s[10:11], s[2:3], 0x0
	s_add_u32 s4, s4, 12
	s_addc_u32 s5, s5, 0
	s_add_u32 s2, s2, 8
	s_addc_u32 s3, s3, 0
	s_add_i32 s7, s7, -1
	s_delay_alu instid0(SALU_CYCLE_1) | instskip(SKIP_2) | instid1(VALU_DEP_1)
	s_cmp_lg_u32 s7, 0
	s_waitcnt lgkmcnt(0)
	v_mul_hi_u32 v3, s9, v2
	v_add_nc_u32_e32 v3, v2, v3
	s_delay_alu instid0(VALU_DEP_1) | instskip(NEXT) | instid1(VALU_DEP_1)
	v_lshrrev_b32_e32 v3, s12, v3
	v_mul_lo_u32 v5, v3, s8
	s_delay_alu instid0(VALU_DEP_1) | instskip(NEXT) | instid1(VALU_DEP_1)
	v_sub_nc_u32_e32 v2, v2, v5
	v_mad_u64_u32 v[9:10], null, v2, s10, v[0:1]
	v_mad_u64_u32 v[10:11], null, v2, s11, v[1:2]
	v_mov_b32_e32 v2, v3
	s_delay_alu instid0(VALU_DEP_2)
	v_dual_mov_b32 v0, v9 :: v_dual_mov_b32 v1, v10
	s_cbranch_scc1 .LBB399_25
.LBB399_26:
	s_and_not1_b32 vcc_lo, exec_lo, s6
	s_cbranch_vccnz .LBB399_29
; %bb.27:
	s_clause 0x1
	s_load_b128 s[4:7], s[0:1], 0x4
	s_load_b64 s[2:3], s[0:1], 0xc4
	s_cmp_lt_u32 s22, 2
	s_waitcnt lgkmcnt(0)
	v_mul_hi_u32 v0, s5, v4
	s_delay_alu instid0(VALU_DEP_1) | instskip(NEXT) | instid1(VALU_DEP_1)
	v_add_nc_u32_e32 v0, v4, v0
	v_lshrrev_b32_e32 v2, s6, v0
	s_delay_alu instid0(VALU_DEP_1) | instskip(NEXT) | instid1(VALU_DEP_1)
	v_mul_lo_u32 v0, v2, s4
	v_sub_nc_u32_e32 v1, v4, v0
	s_delay_alu instid0(VALU_DEP_1)
	v_mul_lo_u32 v0, v1, s2
	v_mul_lo_u32 v1, v1, s3
	s_cbranch_scc1 .LBB399_29
; %bb.28:
	s_clause 0x1
	s_load_b128 s[4:7], s[0:1], 0x10
	s_load_b64 s[2:3], s[0:1], 0xcc
	s_waitcnt lgkmcnt(0)
	v_mul_hi_u32 v3, s5, v2
	s_delay_alu instid0(VALU_DEP_1) | instskip(NEXT) | instid1(VALU_DEP_1)
	v_add_nc_u32_e32 v3, v2, v3
	v_lshrrev_b32_e32 v3, s6, v3
	s_delay_alu instid0(VALU_DEP_1) | instskip(NEXT) | instid1(VALU_DEP_1)
	v_mul_lo_u32 v3, v3, s4
	v_sub_nc_u32_e32 v5, v2, v3
	s_delay_alu instid0(VALU_DEP_1) | instskip(NEXT) | instid1(VALU_DEP_1)
	v_mad_u64_u32 v[2:3], null, v5, s2, v[0:1]
	v_mad_u64_u32 v[9:10], null, v5, s3, v[1:2]
	s_delay_alu instid0(VALU_DEP_1)
	v_dual_mov_b32 v0, v2 :: v_dual_mov_b32 v1, v9
.LBB399_29:
	v_cmp_ne_u32_e32 vcc_lo, 1, v6
	v_add_nc_u32_e32 v5, 0x80, v4
	s_cbranch_vccnz .LBB399_35
; %bb.30:
	v_dual_mov_b32 v2, 0 :: v_dual_mov_b32 v3, 0
	s_cmp_lg_u32 s22, 0
	s_mov_b32 s6, 0
	s_cbranch_scc0 .LBB399_39
; %bb.31:
	s_min_u32 s7, s23, 15
	v_mov_b32_e32 v2, 0
	s_add_i32 s7, s7, 1
	s_cmp_eq_u32 s23, 2
	s_mov_b32 s8, 0
	s_cbranch_scc1 .LBB399_36
; %bb.32:
	v_dual_mov_b32 v3, 0 :: v_dual_mov_b32 v2, 0
	v_mov_b32_e32 v7, v5
	s_add_u32 s2, s0, 0xc4
	s_addc_u32 s3, s1, 0
	s_and_b32 s8, s7, 28
	s_mov_b32 s9, 0
	s_mov_b64 s[4:5], s[0:1]
.LBB399_33:                             ; =>This Inner Loop Header: Depth=1
	s_clause 0x1
	s_load_b256 s[12:19], s[4:5], 0x4
	s_load_b128 s[36:39], s[4:5], 0x24
	s_load_b256 s[24:31], s[2:3], 0x0
	s_add_u32 s4, s4, 48
	s_addc_u32 s5, s5, 0
	s_add_i32 s9, s9, 4
	s_add_u32 s2, s2, 32
	s_addc_u32 s3, s3, 0
	s_cmp_lg_u32 s8, s9
	s_waitcnt lgkmcnt(0)
	v_mul_hi_u32 v9, s13, v7
	s_delay_alu instid0(VALU_DEP_1) | instskip(NEXT) | instid1(VALU_DEP_1)
	v_add_nc_u32_e32 v9, v7, v9
	v_lshrrev_b32_e32 v9, s14, v9
	s_delay_alu instid0(VALU_DEP_1) | instskip(SKIP_1) | instid1(VALU_DEP_2)
	v_mul_hi_u32 v10, s16, v9
	v_mul_lo_u32 v12, v9, s12
	v_add_nc_u32_e32 v10, v9, v10
	s_delay_alu instid0(VALU_DEP_2) | instskip(NEXT) | instid1(VALU_DEP_2)
	v_sub_nc_u32_e32 v7, v7, v12
	v_lshrrev_b32_e32 v10, s17, v10
	s_delay_alu instid0(VALU_DEP_2) | instskip(SKIP_1) | instid1(VALU_DEP_3)
	v_mul_lo_u32 v12, v7, s24
	v_mul_lo_u32 v14, v7, s25
	v_mul_hi_u32 v11, s19, v10
	s_delay_alu instid0(VALU_DEP_1) | instskip(NEXT) | instid1(VALU_DEP_1)
	v_add_nc_u32_e32 v11, v10, v11
	v_lshrrev_b32_e32 v11, s36, v11
	s_delay_alu instid0(VALU_DEP_1) | instskip(SKIP_1) | instid1(VALU_DEP_2)
	v_mul_hi_u32 v13, s38, v11
	v_mul_lo_u32 v15, v11, s18
	v_add_nc_u32_e32 v7, v11, v13
	v_mul_lo_u32 v13, v10, s15
	s_delay_alu instid0(VALU_DEP_3) | instskip(NEXT) | instid1(VALU_DEP_3)
	v_sub_nc_u32_e32 v10, v10, v15
	v_lshrrev_b32_e32 v7, s39, v7
	s_delay_alu instid0(VALU_DEP_2) | instskip(SKIP_2) | instid1(VALU_DEP_4)
	v_mul_lo_u32 v15, v10, s28
	v_mul_lo_u32 v10, v10, s29
	v_sub_nc_u32_e32 v9, v9, v13
	v_mul_lo_u32 v16, v7, s37
	s_delay_alu instid0(VALU_DEP_2) | instskip(SKIP_1) | instid1(VALU_DEP_3)
	v_mul_lo_u32 v13, v9, s26
	v_mul_lo_u32 v9, v9, s27
	v_sub_nc_u32_e32 v11, v11, v16
	s_delay_alu instid0(VALU_DEP_3) | instskip(NEXT) | instid1(VALU_DEP_2)
	v_add3_u32 v2, v12, v2, v13
	v_mul_lo_u32 v16, v11, s30
	v_mul_lo_u32 v11, v11, s31
	v_add3_u32 v3, v14, v3, v9
	s_delay_alu instid0(VALU_DEP_3) | instskip(NEXT) | instid1(VALU_DEP_2)
	v_add3_u32 v2, v15, v2, v16
	v_add3_u32 v3, v10, v3, v11
	s_cbranch_scc1 .LBB399_33
; %bb.34:
	s_and_b32 s7, s7, 3
	s_delay_alu instid0(SALU_CYCLE_1)
	s_cmp_eq_u32 s7, 0
	s_cbranch_scc0 .LBB399_37
	s_branch .LBB399_39
.LBB399_35:
	s_mov_b32 s6, -1
                                        ; implicit-def: $vgpr2
                                        ; implicit-def: $vgpr3
	s_branch .LBB399_39
.LBB399_36:
	v_mov_b32_e32 v7, v5
	v_mov_b32_e32 v3, 0
	s_and_b32 s7, s7, 3
	s_delay_alu instid0(SALU_CYCLE_1)
	s_cmp_eq_u32 s7, 0
	s_cbranch_scc1 .LBB399_39
.LBB399_37:
	s_lshl_b32 s2, s8, 3
	s_mul_i32 s4, s8, 12
	s_add_u32 s2, s2, s0
	s_addc_u32 s3, 0, s1
	s_add_u32 s2, s2, 0xc4
	s_addc_u32 s3, s3, 0
	s_add_u32 s4, s0, s4
	s_addc_u32 s5, 0, s1
	.p2align	6
.LBB399_38:                             ; =>This Inner Loop Header: Depth=1
	s_clause 0x1
	s_load_b64 s[8:9], s[4:5], 0x4
	s_load_b32 s12, s[4:5], 0xc
	s_load_b64 s[10:11], s[2:3], 0x0
	s_add_u32 s4, s4, 12
	s_addc_u32 s5, s5, 0
	s_add_u32 s2, s2, 8
	s_addc_u32 s3, s3, 0
	s_add_i32 s7, s7, -1
	s_delay_alu instid0(SALU_CYCLE_1) | instskip(SKIP_2) | instid1(VALU_DEP_1)
	s_cmp_lg_u32 s7, 0
	s_waitcnt lgkmcnt(0)
	v_mul_hi_u32 v9, s9, v7
	v_add_nc_u32_e32 v9, v7, v9
	s_delay_alu instid0(VALU_DEP_1) | instskip(NEXT) | instid1(VALU_DEP_1)
	v_lshrrev_b32_e32 v12, s12, v9
	v_mul_lo_u32 v9, v12, s8
	s_delay_alu instid0(VALU_DEP_1) | instskip(NEXT) | instid1(VALU_DEP_1)
	v_sub_nc_u32_e32 v7, v7, v9
	v_mad_u64_u32 v[9:10], null, v7, s10, v[2:3]
	v_mad_u64_u32 v[10:11], null, v7, s11, v[3:4]
	s_delay_alu instid0(VALU_DEP_2) | instskip(NEXT) | instid1(VALU_DEP_2)
	v_dual_mov_b32 v7, v12 :: v_dual_mov_b32 v2, v9
	v_mov_b32_e32 v3, v10
	s_cbranch_scc1 .LBB399_38
.LBB399_39:
	s_and_not1_b32 vcc_lo, exec_lo, s6
	s_cbranch_vccnz .LBB399_42
; %bb.40:
	s_clause 0x1
	s_load_b128 s[4:7], s[0:1], 0x4
	s_load_b64 s[2:3], s[0:1], 0xc4
	s_cmp_lt_u32 s22, 2
	s_waitcnt lgkmcnt(0)
	v_mul_hi_u32 v2, s5, v5
	s_delay_alu instid0(VALU_DEP_1) | instskip(NEXT) | instid1(VALU_DEP_1)
	v_add_nc_u32_e32 v2, v5, v2
	v_lshrrev_b32_e32 v7, s6, v2
	s_delay_alu instid0(VALU_DEP_1) | instskip(NEXT) | instid1(VALU_DEP_1)
	v_mul_lo_u32 v2, v7, s4
	v_sub_nc_u32_e32 v3, v5, v2
	s_delay_alu instid0(VALU_DEP_1)
	v_mul_lo_u32 v2, v3, s2
	v_mul_lo_u32 v3, v3, s3
	s_cbranch_scc1 .LBB399_42
; %bb.41:
	s_clause 0x1
	s_load_b128 s[4:7], s[0:1], 0x10
	s_load_b64 s[2:3], s[0:1], 0xcc
	s_waitcnt lgkmcnt(0)
	v_mul_hi_u32 v5, s5, v7
	s_delay_alu instid0(VALU_DEP_1) | instskip(NEXT) | instid1(VALU_DEP_1)
	v_add_nc_u32_e32 v5, v7, v5
	v_lshrrev_b32_e32 v5, s6, v5
	s_delay_alu instid0(VALU_DEP_1) | instskip(NEXT) | instid1(VALU_DEP_1)
	v_mul_lo_u32 v5, v5, s4
	v_sub_nc_u32_e32 v5, v7, v5
	s_delay_alu instid0(VALU_DEP_1) | instskip(SKIP_1) | instid1(VALU_DEP_1)
	v_mad_u64_u32 v[9:10], null, v5, s2, v[2:3]
	v_mad_u64_u32 v[10:11], null, v5, s3, v[3:4]
	v_dual_mov_b32 v2, v9 :: v_dual_mov_b32 v3, v10
.LBB399_42:
	v_cmp_ne_u32_e32 vcc_lo, 1, v6
	v_add_nc_u32_e32 v7, 0x100, v4
	s_cbranch_vccnz .LBB399_48
; %bb.43:
	v_dual_mov_b32 v4, 0 :: v_dual_mov_b32 v5, 0
	s_cmp_lg_u32 s22, 0
	s_mov_b32 s6, 0
	s_cbranch_scc0 .LBB399_52
; %bb.44:
	s_min_u32 s7, s23, 15
	v_mov_b32_e32 v4, 0
	s_add_i32 s7, s7, 1
	s_cmp_eq_u32 s23, 2
	s_mov_b32 s8, 0
	s_cbranch_scc1 .LBB399_49
; %bb.45:
	v_dual_mov_b32 v5, 0 :: v_dual_mov_b32 v4, 0
	v_mov_b32_e32 v9, v7
	s_add_u32 s2, s0, 0xc4
	s_addc_u32 s3, s1, 0
	s_and_b32 s8, s7, 28
	s_mov_b32 s9, 0
	s_mov_b64 s[4:5], s[0:1]
.LBB399_46:                             ; =>This Inner Loop Header: Depth=1
	s_clause 0x1
	s_load_b256 s[12:19], s[4:5], 0x4
	s_load_b128 s[36:39], s[4:5], 0x24
	s_load_b256 s[24:31], s[2:3], 0x0
	s_add_u32 s4, s4, 48
	s_addc_u32 s5, s5, 0
	s_add_i32 s9, s9, 4
	s_add_u32 s2, s2, 32
	s_addc_u32 s3, s3, 0
	s_cmp_lg_u32 s8, s9
	s_waitcnt lgkmcnt(0)
	v_mul_hi_u32 v10, s13, v9
	s_delay_alu instid0(VALU_DEP_1) | instskip(NEXT) | instid1(VALU_DEP_1)
	v_add_nc_u32_e32 v10, v9, v10
	v_lshrrev_b32_e32 v10, s14, v10
	s_delay_alu instid0(VALU_DEP_1) | instskip(SKIP_1) | instid1(VALU_DEP_2)
	v_mul_hi_u32 v11, s16, v10
	v_mul_lo_u32 v13, v10, s12
	v_add_nc_u32_e32 v11, v10, v11
	s_delay_alu instid0(VALU_DEP_2) | instskip(NEXT) | instid1(VALU_DEP_2)
	v_sub_nc_u32_e32 v9, v9, v13
	v_lshrrev_b32_e32 v11, s17, v11
	s_delay_alu instid0(VALU_DEP_2) | instskip(SKIP_1) | instid1(VALU_DEP_3)
	v_mul_lo_u32 v13, v9, s24
	v_mul_lo_u32 v15, v9, s25
	v_mul_hi_u32 v12, s19, v11
	s_delay_alu instid0(VALU_DEP_1) | instskip(NEXT) | instid1(VALU_DEP_1)
	v_add_nc_u32_e32 v12, v11, v12
	v_lshrrev_b32_e32 v12, s36, v12
	s_delay_alu instid0(VALU_DEP_1) | instskip(SKIP_1) | instid1(VALU_DEP_2)
	v_mul_hi_u32 v14, s38, v12
	v_mul_lo_u32 v16, v12, s18
	v_add_nc_u32_e32 v9, v12, v14
	v_mul_lo_u32 v14, v11, s15
	s_delay_alu instid0(VALU_DEP_3) | instskip(NEXT) | instid1(VALU_DEP_3)
	v_sub_nc_u32_e32 v11, v11, v16
	v_lshrrev_b32_e32 v9, s39, v9
	s_delay_alu instid0(VALU_DEP_2) | instskip(SKIP_2) | instid1(VALU_DEP_4)
	v_mul_lo_u32 v16, v11, s28
	v_mul_lo_u32 v11, v11, s29
	v_sub_nc_u32_e32 v10, v10, v14
	v_mul_lo_u32 v17, v9, s37
	s_delay_alu instid0(VALU_DEP_2) | instskip(SKIP_1) | instid1(VALU_DEP_3)
	v_mul_lo_u32 v14, v10, s26
	v_mul_lo_u32 v10, v10, s27
	v_sub_nc_u32_e32 v12, v12, v17
	s_delay_alu instid0(VALU_DEP_3) | instskip(NEXT) | instid1(VALU_DEP_2)
	v_add3_u32 v4, v13, v4, v14
	v_mul_lo_u32 v17, v12, s30
	v_mul_lo_u32 v12, v12, s31
	v_add3_u32 v5, v15, v5, v10
	s_delay_alu instid0(VALU_DEP_3) | instskip(NEXT) | instid1(VALU_DEP_2)
	v_add3_u32 v4, v16, v4, v17
	v_add3_u32 v5, v11, v5, v12
	s_cbranch_scc1 .LBB399_46
; %bb.47:
	s_and_b32 s7, s7, 3
	s_delay_alu instid0(SALU_CYCLE_1)
	s_cmp_eq_u32 s7, 0
	s_cbranch_scc0 .LBB399_50
	s_branch .LBB399_52
.LBB399_48:
	s_mov_b32 s6, -1
                                        ; implicit-def: $vgpr4
                                        ; implicit-def: $vgpr5
	s_branch .LBB399_52
.LBB399_49:
	v_mov_b32_e32 v9, v7
	v_mov_b32_e32 v5, 0
	s_and_b32 s7, s7, 3
	s_delay_alu instid0(SALU_CYCLE_1)
	s_cmp_eq_u32 s7, 0
	s_cbranch_scc1 .LBB399_52
.LBB399_50:
	s_lshl_b32 s2, s8, 3
	s_mul_i32 s4, s8, 12
	s_add_u32 s2, s2, s0
	s_addc_u32 s3, 0, s1
	s_add_u32 s2, s2, 0xc4
	s_addc_u32 s3, s3, 0
	;; [unrolled: 2-line block ×3, first 2 shown]
	.p2align	6
.LBB399_51:                             ; =>This Inner Loop Header: Depth=1
	s_clause 0x1
	s_load_b64 s[8:9], s[4:5], 0x4
	s_load_b32 s12, s[4:5], 0xc
	s_load_b64 s[10:11], s[2:3], 0x0
	s_add_u32 s4, s4, 12
	s_addc_u32 s5, s5, 0
	s_add_u32 s2, s2, 8
	s_addc_u32 s3, s3, 0
	s_add_i32 s7, s7, -1
	s_delay_alu instid0(SALU_CYCLE_1) | instskip(SKIP_2) | instid1(VALU_DEP_1)
	s_cmp_lg_u32 s7, 0
	s_waitcnt lgkmcnt(0)
	v_mul_hi_u32 v10, s9, v9
	v_add_nc_u32_e32 v10, v9, v10
	s_delay_alu instid0(VALU_DEP_1) | instskip(NEXT) | instid1(VALU_DEP_1)
	v_lshrrev_b32_e32 v13, s12, v10
	v_mul_lo_u32 v10, v13, s8
	s_delay_alu instid0(VALU_DEP_1) | instskip(NEXT) | instid1(VALU_DEP_1)
	v_sub_nc_u32_e32 v9, v9, v10
	v_mad_u64_u32 v[10:11], null, v9, s10, v[4:5]
	v_mad_u64_u32 v[11:12], null, v9, s11, v[5:6]
	s_delay_alu instid0(VALU_DEP_2) | instskip(NEXT) | instid1(VALU_DEP_2)
	v_dual_mov_b32 v9, v13 :: v_dual_mov_b32 v4, v10
	v_mov_b32_e32 v5, v11
	s_cbranch_scc1 .LBB399_51
.LBB399_52:
	s_and_not1_b32 vcc_lo, exec_lo, s6
	s_cbranch_vccnz .LBB399_55
; %bb.53:
	s_clause 0x1
	s_load_b128 s[4:7], s[0:1], 0x4
	s_load_b64 s[2:3], s[0:1], 0xc4
	s_cmp_lt_u32 s22, 2
	s_waitcnt lgkmcnt(0)
	v_mul_hi_u32 v4, s5, v7
	s_delay_alu instid0(VALU_DEP_1) | instskip(NEXT) | instid1(VALU_DEP_1)
	v_add_nc_u32_e32 v4, v7, v4
	v_lshrrev_b32_e32 v9, s6, v4
	s_delay_alu instid0(VALU_DEP_1) | instskip(NEXT) | instid1(VALU_DEP_1)
	v_mul_lo_u32 v4, v9, s4
	v_sub_nc_u32_e32 v5, v7, v4
	s_delay_alu instid0(VALU_DEP_1)
	v_mul_lo_u32 v4, v5, s2
	v_mul_lo_u32 v5, v5, s3
	s_cbranch_scc1 .LBB399_55
; %bb.54:
	s_clause 0x1
	s_load_b128 s[4:7], s[0:1], 0x10
	s_load_b64 s[2:3], s[0:1], 0xcc
	s_waitcnt lgkmcnt(0)
	v_mul_hi_u32 v7, s5, v9
	s_delay_alu instid0(VALU_DEP_1) | instskip(NEXT) | instid1(VALU_DEP_1)
	v_add_nc_u32_e32 v7, v9, v7
	v_lshrrev_b32_e32 v7, s6, v7
	s_delay_alu instid0(VALU_DEP_1) | instskip(NEXT) | instid1(VALU_DEP_1)
	v_mul_lo_u32 v7, v7, s4
	v_sub_nc_u32_e32 v7, v9, v7
	s_delay_alu instid0(VALU_DEP_1) | instskip(SKIP_1) | instid1(VALU_DEP_1)
	v_mad_u64_u32 v[9:10], null, v7, s2, v[4:5]
	v_mad_u64_u32 v[10:11], null, v7, s3, v[5:6]
	v_dual_mov_b32 v4, v9 :: v_dual_mov_b32 v5, v10
.LBB399_55:
	v_cmp_ne_u32_e32 vcc_lo, 1, v6
	s_cbranch_vccnz .LBB399_61
; %bb.56:
	v_dual_mov_b32 v6, 0 :: v_dual_mov_b32 v7, 0
	s_cmp_lg_u32 s22, 0
	s_mov_b32 s6, 0
	s_cbranch_scc0 .LBB399_65
; %bb.57:
	s_min_u32 s7, s23, 15
	v_mov_b32_e32 v6, 0
	s_add_i32 s7, s7, 1
	s_cmp_eq_u32 s23, 2
	s_mov_b32 s8, 0
	s_cbranch_scc1 .LBB399_62
; %bb.58:
	v_dual_mov_b32 v7, 0 :: v_dual_mov_b32 v6, 0
	v_mov_b32_e32 v9, v8
	s_add_u32 s2, s0, 0xc4
	s_addc_u32 s3, s1, 0
	s_and_b32 s8, s7, 28
	s_mov_b32 s9, 0
	s_mov_b64 s[4:5], s[0:1]
.LBB399_59:                             ; =>This Inner Loop Header: Depth=1
	s_clause 0x1
	s_load_b256 s[12:19], s[4:5], 0x4
	s_load_b128 s[36:39], s[4:5], 0x24
	s_load_b256 s[24:31], s[2:3], 0x0
	s_add_u32 s4, s4, 48
	s_addc_u32 s5, s5, 0
	s_add_i32 s9, s9, 4
	s_add_u32 s2, s2, 32
	s_addc_u32 s3, s3, 0
	s_cmp_lg_u32 s8, s9
	s_waitcnt lgkmcnt(0)
	v_mul_hi_u32 v10, s13, v9
	s_delay_alu instid0(VALU_DEP_1) | instskip(NEXT) | instid1(VALU_DEP_1)
	v_add_nc_u32_e32 v10, v9, v10
	v_lshrrev_b32_e32 v10, s14, v10
	s_delay_alu instid0(VALU_DEP_1) | instskip(SKIP_1) | instid1(VALU_DEP_2)
	v_mul_hi_u32 v11, s16, v10
	v_mul_lo_u32 v13, v10, s12
	v_add_nc_u32_e32 v11, v10, v11
	s_delay_alu instid0(VALU_DEP_2) | instskip(NEXT) | instid1(VALU_DEP_2)
	v_sub_nc_u32_e32 v9, v9, v13
	v_lshrrev_b32_e32 v11, s17, v11
	s_delay_alu instid0(VALU_DEP_2) | instskip(SKIP_1) | instid1(VALU_DEP_3)
	v_mul_lo_u32 v13, v9, s24
	v_mul_lo_u32 v15, v9, s25
	v_mul_hi_u32 v12, s19, v11
	s_delay_alu instid0(VALU_DEP_1) | instskip(NEXT) | instid1(VALU_DEP_1)
	v_add_nc_u32_e32 v12, v11, v12
	v_lshrrev_b32_e32 v12, s36, v12
	s_delay_alu instid0(VALU_DEP_1) | instskip(SKIP_1) | instid1(VALU_DEP_2)
	v_mul_hi_u32 v14, s38, v12
	v_mul_lo_u32 v16, v12, s18
	v_add_nc_u32_e32 v9, v12, v14
	v_mul_lo_u32 v14, v11, s15
	s_delay_alu instid0(VALU_DEP_3) | instskip(NEXT) | instid1(VALU_DEP_3)
	v_sub_nc_u32_e32 v11, v11, v16
	v_lshrrev_b32_e32 v9, s39, v9
	s_delay_alu instid0(VALU_DEP_2) | instskip(SKIP_2) | instid1(VALU_DEP_4)
	v_mul_lo_u32 v16, v11, s28
	v_mul_lo_u32 v11, v11, s29
	v_sub_nc_u32_e32 v10, v10, v14
	v_mul_lo_u32 v17, v9, s37
	s_delay_alu instid0(VALU_DEP_2) | instskip(SKIP_1) | instid1(VALU_DEP_3)
	v_mul_lo_u32 v14, v10, s26
	v_mul_lo_u32 v10, v10, s27
	v_sub_nc_u32_e32 v12, v12, v17
	s_delay_alu instid0(VALU_DEP_3) | instskip(NEXT) | instid1(VALU_DEP_2)
	v_add3_u32 v6, v13, v6, v14
	v_mul_lo_u32 v17, v12, s30
	v_mul_lo_u32 v12, v12, s31
	v_add3_u32 v7, v15, v7, v10
	s_delay_alu instid0(VALU_DEP_3) | instskip(NEXT) | instid1(VALU_DEP_2)
	v_add3_u32 v6, v16, v6, v17
	v_add3_u32 v7, v11, v7, v12
	s_cbranch_scc1 .LBB399_59
; %bb.60:
	s_and_b32 s7, s7, 3
	s_delay_alu instid0(SALU_CYCLE_1)
	s_cmp_eq_u32 s7, 0
	s_cbranch_scc0 .LBB399_63
	s_branch .LBB399_65
.LBB399_61:
	s_mov_b32 s6, -1
                                        ; implicit-def: $vgpr6
                                        ; implicit-def: $vgpr7
	s_branch .LBB399_65
.LBB399_62:
	v_mov_b32_e32 v9, v8
	v_mov_b32_e32 v7, 0
	s_and_b32 s7, s7, 3
	s_delay_alu instid0(SALU_CYCLE_1)
	s_cmp_eq_u32 s7, 0
	s_cbranch_scc1 .LBB399_65
.LBB399_63:
	s_lshl_b32 s2, s8, 3
	s_mul_i32 s4, s8, 12
	s_add_u32 s2, s2, s0
	s_addc_u32 s3, 0, s1
	s_add_u32 s2, s2, 0xc4
	s_addc_u32 s3, s3, 0
	;; [unrolled: 2-line block ×3, first 2 shown]
	.p2align	6
.LBB399_64:                             ; =>This Inner Loop Header: Depth=1
	s_clause 0x1
	s_load_b64 s[8:9], s[4:5], 0x4
	s_load_b32 s12, s[4:5], 0xc
	s_load_b64 s[10:11], s[2:3], 0x0
	s_add_u32 s4, s4, 12
	s_addc_u32 s5, s5, 0
	s_add_u32 s2, s2, 8
	s_addc_u32 s3, s3, 0
	s_add_i32 s7, s7, -1
	s_delay_alu instid0(SALU_CYCLE_1) | instskip(SKIP_2) | instid1(VALU_DEP_1)
	s_cmp_lg_u32 s7, 0
	s_waitcnt lgkmcnt(0)
	v_mul_hi_u32 v10, s9, v9
	v_add_nc_u32_e32 v10, v9, v10
	s_delay_alu instid0(VALU_DEP_1) | instskip(NEXT) | instid1(VALU_DEP_1)
	v_lshrrev_b32_e32 v13, s12, v10
	v_mul_lo_u32 v10, v13, s8
	s_delay_alu instid0(VALU_DEP_1) | instskip(NEXT) | instid1(VALU_DEP_1)
	v_sub_nc_u32_e32 v9, v9, v10
	v_mad_u64_u32 v[10:11], null, v9, s10, v[6:7]
	v_mad_u64_u32 v[11:12], null, v9, s11, v[7:8]
	s_delay_alu instid0(VALU_DEP_2) | instskip(NEXT) | instid1(VALU_DEP_2)
	v_dual_mov_b32 v9, v13 :: v_dual_mov_b32 v6, v10
	v_mov_b32_e32 v7, v11
	s_cbranch_scc1 .LBB399_64
.LBB399_65:
	s_and_not1_b32 vcc_lo, exec_lo, s6
	s_cbranch_vccnz .LBB399_68
; %bb.66:
	s_clause 0x1
	s_load_b128 s[4:7], s[0:1], 0x4
	s_load_b64 s[2:3], s[0:1], 0xc4
	s_cmp_lt_u32 s22, 2
	s_waitcnt lgkmcnt(0)
	v_mul_hi_u32 v6, s5, v8
	s_delay_alu instid0(VALU_DEP_1) | instskip(NEXT) | instid1(VALU_DEP_1)
	v_add_nc_u32_e32 v6, v8, v6
	v_lshrrev_b32_e32 v9, s6, v6
	s_delay_alu instid0(VALU_DEP_1) | instskip(NEXT) | instid1(VALU_DEP_1)
	v_mul_lo_u32 v6, v9, s4
	v_sub_nc_u32_e32 v7, v8, v6
	s_delay_alu instid0(VALU_DEP_1)
	v_mul_lo_u32 v6, v7, s2
	v_mul_lo_u32 v7, v7, s3
	s_cbranch_scc1 .LBB399_68
; %bb.67:
	s_clause 0x1
	s_load_b128 s[4:7], s[0:1], 0x10
	s_load_b64 s[2:3], s[0:1], 0xcc
	s_waitcnt lgkmcnt(0)
	v_mul_hi_u32 v8, s5, v9
	s_delay_alu instid0(VALU_DEP_1) | instskip(NEXT) | instid1(VALU_DEP_1)
	v_add_nc_u32_e32 v8, v9, v8
	v_lshrrev_b32_e32 v8, s6, v8
	s_delay_alu instid0(VALU_DEP_1) | instskip(NEXT) | instid1(VALU_DEP_1)
	v_mul_lo_u32 v8, v8, s4
	v_sub_nc_u32_e32 v11, v9, v8
	s_delay_alu instid0(VALU_DEP_1) | instskip(NEXT) | instid1(VALU_DEP_1)
	v_mad_u64_u32 v[8:9], null, v11, s2, v[6:7]
	v_mad_u64_u32 v[9:10], null, v11, s3, v[7:8]
	s_delay_alu instid0(VALU_DEP_1)
	v_dual_mov_b32 v6, v8 :: v_dual_mov_b32 v7, v9
.LBB399_68:
	s_clause 0x1
	s_load_b128 s[4:7], s[0:1], 0x148
	s_load_b32 s0, s[0:1], 0x158
	s_waitcnt lgkmcnt(0)
	s_clause 0x3
	global_load_b32 v1, v1, s[6:7]
	global_load_b32 v3, v3, s[6:7]
	;; [unrolled: 1-line block ×4, first 2 shown]
	v_max_f32_e64 v8, s0, s0
	s_waitcnt vmcnt(2)
	v_dual_max_f32 v9, v1, v1 :: v_dual_max_f32 v10, v3, v3
	v_cmp_u_f32_e32 vcc_lo, v1, v1
	s_waitcnt vmcnt(0)
	v_dual_max_f32 v11, v5, v5 :: v_dual_max_f32 v12, v7, v7
	s_delay_alu instid0(VALU_DEP_3) | instskip(SKIP_1) | instid1(VALU_DEP_3)
	v_max_f32_e32 v9, v9, v8
	v_max_f32_e32 v10, v10, v8
	;; [unrolled: 1-line block ×3, first 2 shown]
	s_delay_alu instid0(VALU_DEP_3) | instskip(SKIP_1) | instid1(VALU_DEP_4)
	v_cndmask_b32_e32 v1, v9, v1, vcc_lo
	v_cmp_u_f32_e32 vcc_lo, v3, v3
	v_dual_max_f32 v8, v12, v8 :: v_dual_cndmask_b32 v3, v10, v3
	v_cmp_u_f32_e32 vcc_lo, v5, v5
	v_cndmask_b32_e32 v5, v11, v5, vcc_lo
	v_cmp_u_f32_e32 vcc_lo, v7, v7
	s_delay_alu instid0(VALU_DEP_4)
	v_cndmask_b32_e32 v7, v8, v7, vcc_lo
	s_clause 0x3
	global_store_b32 v0, v1, s[4:5]
	global_store_b32 v2, v3, s[4:5]
	;; [unrolled: 1-line block ×4, first 2 shown]
	s_nop 0
	s_sendmsg sendmsg(MSG_DEALLOC_VGPRS)
	s_endpgm
.LBB399_69:
	v_dual_mov_b32 v2, v4 :: v_dual_mov_b32 v1, 0
.LBB399_70:
	s_and_b32 s35, s35, 3
	s_delay_alu instid0(SALU_CYCLE_1)
	s_cmp_eq_u32 s35, 0
	s_cbranch_scc1 .LBB399_73
; %bb.71:
	s_lshl_b32 s18, s34, 3
	s_mul_i32 s20, s34, 12
	s_add_u32 s18, s18, s0
	s_addc_u32 s19, s1, 0
	s_add_u32 s18, s18, 0xc4
	s_addc_u32 s19, s19, 0
	;; [unrolled: 2-line block ×3, first 2 shown]
	.p2align	6
.LBB399_72:                             ; =>This Inner Loop Header: Depth=1
	s_clause 0x1
	s_load_b64 s[36:37], s[20:21], 0x4
	s_load_b32 s34, s[20:21], 0xc
	s_load_b64 s[38:39], s[18:19], 0x0
	s_add_u32 s20, s20, 12
	s_addc_u32 s21, s21, 0
	s_add_u32 s18, s18, 8
	s_addc_u32 s19, s19, 0
	s_add_i32 s35, s35, -1
	s_delay_alu instid0(SALU_CYCLE_1) | instskip(SKIP_2) | instid1(VALU_DEP_1)
	s_cmp_lg_u32 s35, 0
	s_waitcnt lgkmcnt(0)
	v_mul_hi_u32 v3, s37, v2
	v_add_nc_u32_e32 v3, v2, v3
	s_delay_alu instid0(VALU_DEP_1) | instskip(NEXT) | instid1(VALU_DEP_1)
	v_lshrrev_b32_e32 v3, s34, v3
	v_mul_lo_u32 v5, v3, s36
	s_delay_alu instid0(VALU_DEP_1) | instskip(NEXT) | instid1(VALU_DEP_1)
	v_sub_nc_u32_e32 v2, v2, v5
	v_mad_u64_u32 v[5:6], null, v2, s38, v[0:1]
	v_mad_u64_u32 v[6:7], null, v2, s39, v[1:2]
	v_mov_b32_e32 v2, v3
	s_delay_alu instid0(VALU_DEP_2)
	v_dual_mov_b32 v0, v5 :: v_dual_mov_b32 v1, v6
	s_cbranch_scc1 .LBB399_72
.LBB399_73:
	s_and_not1_b32 vcc_lo, exec_lo, s33
	s_cbranch_vccnz .LBB399_76
; %bb.74:
	s_waitcnt lgkmcnt(0)
	v_mul_hi_u32 v0, s13, v4
	s_and_not1_b32 vcc_lo, exec_lo, s27
	s_delay_alu instid0(VALU_DEP_1) | instskip(NEXT) | instid1(VALU_DEP_1)
	v_add_nc_u32_e32 v0, v4, v0
	v_lshrrev_b32_e32 v2, s14, v0
	s_delay_alu instid0(VALU_DEP_1) | instskip(NEXT) | instid1(VALU_DEP_1)
	v_mul_lo_u32 v0, v2, s12
	v_sub_nc_u32_e32 v1, v4, v0
	s_delay_alu instid0(VALU_DEP_1)
	v_mul_lo_u32 v0, v1, s8
	v_mul_lo_u32 v1, v1, s9
	s_cbranch_vccnz .LBB399_76
; %bb.75:
	v_mul_hi_u32 v3, s2, v2
	s_delay_alu instid0(VALU_DEP_1) | instskip(NEXT) | instid1(VALU_DEP_1)
	v_add_nc_u32_e32 v3, v2, v3
	v_lshrrev_b32_e32 v3, s3, v3
	s_delay_alu instid0(VALU_DEP_1) | instskip(NEXT) | instid1(VALU_DEP_1)
	v_mul_lo_u32 v3, v3, s15
	v_sub_nc_u32_e32 v7, v2, v3
	s_delay_alu instid0(VALU_DEP_1) | instskip(NEXT) | instid1(VALU_DEP_1)
	v_mad_u64_u32 v[2:3], null, v7, s10, v[0:1]
	v_mad_u64_u32 v[5:6], null, v7, s11, v[1:2]
	s_delay_alu instid0(VALU_DEP_1)
	v_dual_mov_b32 v0, v2 :: v_dual_mov_b32 v1, v5
.LBB399_76:
	s_waitcnt lgkmcnt(0)
	global_load_b32 v1, v1, s[6:7]
	v_max_f32_e64 v3, s26, s26
	v_add_nc_u32_e32 v4, 0x80, v4
	s_waitcnt vmcnt(0)
	v_max_f32_e32 v2, v1, v1
	v_cmp_u_f32_e32 vcc_lo, v1, v1
	s_delay_alu instid0(VALU_DEP_2) | instskip(NEXT) | instid1(VALU_DEP_1)
	v_max_f32_e32 v2, v2, v3
	v_cndmask_b32_e32 v1, v2, v1, vcc_lo
	global_store_b32 v0, v1, s[4:5]
	s_or_b32 exec_lo, exec_lo, s31
	s_delay_alu instid0(SALU_CYCLE_1)
	s_mov_b32 s31, exec_lo
	v_cmpx_gt_i32_e64 s28, v4
	s_cbranch_execnz .LBB399_15
.LBB399_77:
	s_or_b32 exec_lo, exec_lo, s31
	s_delay_alu instid0(SALU_CYCLE_1)
	s_mov_b32 s31, exec_lo
	v_cmpx_gt_i32_e64 s28, v4
	s_cbranch_execz .LBB399_92
.LBB399_78:
	s_and_not1_b32 vcc_lo, exec_lo, s24
	s_cbranch_vccnz .LBB399_83
; %bb.79:
	v_dual_mov_b32 v0, 0 :: v_dual_mov_b32 v1, 0
	s_and_not1_b32 vcc_lo, exec_lo, s30
	s_mov_b32 s33, 0
	s_cbranch_vccnz .LBB399_99
; %bb.80:
	v_mov_b32_e32 v0, 0
	s_add_i32 s35, s29, 1
	s_cmp_eq_u32 s23, 2
	s_mov_b32 s34, 0
	s_cbranch_scc1 .LBB399_95
; %bb.81:
	v_dual_mov_b32 v1, 0 :: v_dual_mov_b32 v0, 0
	v_mov_b32_e32 v2, v4
	s_and_b32 s34, s35, 28
	s_mov_b32 s36, 0
	s_mov_b64 s[18:19], s[16:17]
	s_mov_b64 s[20:21], s[0:1]
.LBB399_82:                             ; =>This Inner Loop Header: Depth=1
	s_clause 0x1
	s_load_b256 s[40:47], s[20:21], 0x4
	s_load_b128 s[56:59], s[20:21], 0x24
	s_load_b256 s[48:55], s[18:19], 0x0
	s_add_u32 s20, s20, 48
	s_addc_u32 s21, s21, 0
	s_add_i32 s36, s36, 4
	s_add_u32 s18, s18, 32
	s_addc_u32 s19, s19, 0
	s_cmp_eq_u32 s34, s36
	s_waitcnt lgkmcnt(0)
	v_mul_hi_u32 v3, s41, v2
	s_delay_alu instid0(VALU_DEP_1) | instskip(NEXT) | instid1(VALU_DEP_1)
	v_add_nc_u32_e32 v3, v2, v3
	v_lshrrev_b32_e32 v3, s42, v3
	s_delay_alu instid0(VALU_DEP_1) | instskip(SKIP_1) | instid1(VALU_DEP_2)
	v_mul_hi_u32 v5, s44, v3
	v_mul_lo_u32 v7, v3, s40
	v_add_nc_u32_e32 v5, v3, v5
	s_delay_alu instid0(VALU_DEP_2) | instskip(NEXT) | instid1(VALU_DEP_2)
	v_sub_nc_u32_e32 v2, v2, v7
	v_lshrrev_b32_e32 v5, s45, v5
	s_delay_alu instid0(VALU_DEP_2) | instskip(SKIP_1) | instid1(VALU_DEP_3)
	v_mul_lo_u32 v7, v2, s48
	v_mul_lo_u32 v9, v2, s49
	v_mul_hi_u32 v6, s47, v5
	s_delay_alu instid0(VALU_DEP_1) | instskip(NEXT) | instid1(VALU_DEP_1)
	v_add_nc_u32_e32 v6, v5, v6
	v_lshrrev_b32_e32 v6, s56, v6
	s_delay_alu instid0(VALU_DEP_1) | instskip(SKIP_1) | instid1(VALU_DEP_2)
	v_mul_hi_u32 v8, s58, v6
	v_mul_lo_u32 v10, v6, s46
	v_add_nc_u32_e32 v2, v6, v8
	v_mul_lo_u32 v8, v5, s43
	s_delay_alu instid0(VALU_DEP_3) | instskip(NEXT) | instid1(VALU_DEP_3)
	v_sub_nc_u32_e32 v5, v5, v10
	v_lshrrev_b32_e32 v2, s59, v2
	s_delay_alu instid0(VALU_DEP_2) | instskip(SKIP_2) | instid1(VALU_DEP_4)
	v_mul_lo_u32 v10, v5, s52
	v_mul_lo_u32 v5, v5, s53
	v_sub_nc_u32_e32 v3, v3, v8
	v_mul_lo_u32 v11, v2, s57
	s_delay_alu instid0(VALU_DEP_2) | instskip(SKIP_1) | instid1(VALU_DEP_3)
	v_mul_lo_u32 v8, v3, s50
	v_mul_lo_u32 v3, v3, s51
	v_sub_nc_u32_e32 v6, v6, v11
	s_delay_alu instid0(VALU_DEP_3) | instskip(NEXT) | instid1(VALU_DEP_2)
	v_add3_u32 v0, v7, v0, v8
	v_mul_lo_u32 v11, v6, s54
	v_mul_lo_u32 v6, v6, s55
	v_add3_u32 v1, v9, v1, v3
	s_delay_alu instid0(VALU_DEP_3) | instskip(NEXT) | instid1(VALU_DEP_2)
	v_add3_u32 v0, v10, v0, v11
	v_add3_u32 v1, v5, v1, v6
	s_cbranch_scc0 .LBB399_82
	s_branch .LBB399_96
.LBB399_83:
	s_mov_b32 s33, -1
                                        ; implicit-def: $vgpr0
                                        ; implicit-def: $vgpr1
	s_branch .LBB399_99
.LBB399_84:
	v_dual_mov_b32 v2, v4 :: v_dual_mov_b32 v1, 0
.LBB399_85:
	s_and_b32 s35, s35, 3
	s_delay_alu instid0(SALU_CYCLE_1)
	s_cmp_eq_u32 s35, 0
	s_cbranch_scc1 .LBB399_88
; %bb.86:
	s_lshl_b32 s18, s34, 3
	s_mul_i32 s20, s34, 12
	s_add_u32 s18, s18, s0
	s_addc_u32 s19, s1, 0
	s_add_u32 s18, s18, 0xc4
	s_addc_u32 s19, s19, 0
	s_add_u32 s20, s0, s20
	s_addc_u32 s21, s1, 0
	.p2align	6
.LBB399_87:                             ; =>This Inner Loop Header: Depth=1
	s_clause 0x1
	s_load_b64 s[36:37], s[20:21], 0x4
	s_load_b32 s34, s[20:21], 0xc
	s_load_b64 s[38:39], s[18:19], 0x0
	s_add_u32 s20, s20, 12
	s_addc_u32 s21, s21, 0
	s_add_u32 s18, s18, 8
	s_addc_u32 s19, s19, 0
	s_add_i32 s35, s35, -1
	s_delay_alu instid0(SALU_CYCLE_1) | instskip(SKIP_2) | instid1(VALU_DEP_1)
	s_cmp_lg_u32 s35, 0
	s_waitcnt lgkmcnt(0)
	v_mul_hi_u32 v3, s37, v2
	v_add_nc_u32_e32 v3, v2, v3
	s_delay_alu instid0(VALU_DEP_1) | instskip(NEXT) | instid1(VALU_DEP_1)
	v_lshrrev_b32_e32 v3, s34, v3
	v_mul_lo_u32 v5, v3, s36
	s_delay_alu instid0(VALU_DEP_1) | instskip(NEXT) | instid1(VALU_DEP_1)
	v_sub_nc_u32_e32 v2, v2, v5
	v_mad_u64_u32 v[5:6], null, v2, s38, v[0:1]
	v_mad_u64_u32 v[6:7], null, v2, s39, v[1:2]
	v_mov_b32_e32 v2, v3
	s_delay_alu instid0(VALU_DEP_2)
	v_dual_mov_b32 v0, v5 :: v_dual_mov_b32 v1, v6
	s_cbranch_scc1 .LBB399_87
.LBB399_88:
	s_and_not1_b32 vcc_lo, exec_lo, s33
	s_cbranch_vccnz .LBB399_91
; %bb.89:
	s_waitcnt lgkmcnt(0)
	v_mul_hi_u32 v0, s13, v4
	s_and_not1_b32 vcc_lo, exec_lo, s27
	s_delay_alu instid0(VALU_DEP_1) | instskip(NEXT) | instid1(VALU_DEP_1)
	v_add_nc_u32_e32 v0, v4, v0
	v_lshrrev_b32_e32 v2, s14, v0
	s_delay_alu instid0(VALU_DEP_1) | instskip(NEXT) | instid1(VALU_DEP_1)
	v_mul_lo_u32 v0, v2, s12
	v_sub_nc_u32_e32 v1, v4, v0
	s_delay_alu instid0(VALU_DEP_1)
	v_mul_lo_u32 v0, v1, s8
	v_mul_lo_u32 v1, v1, s9
	s_cbranch_vccnz .LBB399_91
; %bb.90:
	v_mul_hi_u32 v3, s2, v2
	s_delay_alu instid0(VALU_DEP_1) | instskip(NEXT) | instid1(VALU_DEP_1)
	v_add_nc_u32_e32 v3, v2, v3
	v_lshrrev_b32_e32 v3, s3, v3
	s_delay_alu instid0(VALU_DEP_1) | instskip(NEXT) | instid1(VALU_DEP_1)
	v_mul_lo_u32 v3, v3, s15
	v_sub_nc_u32_e32 v7, v2, v3
	s_delay_alu instid0(VALU_DEP_1) | instskip(NEXT) | instid1(VALU_DEP_1)
	v_mad_u64_u32 v[2:3], null, v7, s10, v[0:1]
	v_mad_u64_u32 v[5:6], null, v7, s11, v[1:2]
	s_delay_alu instid0(VALU_DEP_1)
	v_dual_mov_b32 v0, v2 :: v_dual_mov_b32 v1, v5
.LBB399_91:
	s_waitcnt lgkmcnt(0)
	global_load_b32 v1, v1, s[6:7]
	v_max_f32_e64 v3, s26, s26
	v_add_nc_u32_e32 v4, 0x80, v4
	s_waitcnt vmcnt(0)
	v_max_f32_e32 v2, v1, v1
	v_cmp_u_f32_e32 vcc_lo, v1, v1
	s_delay_alu instid0(VALU_DEP_2) | instskip(NEXT) | instid1(VALU_DEP_1)
	v_max_f32_e32 v2, v2, v3
	v_cndmask_b32_e32 v1, v2, v1, vcc_lo
	global_store_b32 v0, v1, s[4:5]
	s_or_b32 exec_lo, exec_lo, s31
	s_delay_alu instid0(SALU_CYCLE_1)
	s_mov_b32 s31, exec_lo
	v_cmpx_gt_i32_e64 s28, v4
	s_cbranch_execnz .LBB399_78
.LBB399_92:
	s_or_b32 exec_lo, exec_lo, s31
	s_delay_alu instid0(SALU_CYCLE_1)
	s_mov_b32 s20, exec_lo
	v_cmpx_gt_i32_e64 s28, v4
	s_cbranch_execnz .LBB399_103
.LBB399_93:
	s_or_b32 exec_lo, exec_lo, s20
                                        ; implicit-def: $vgpr8
                                        ; implicit-def: $vgpr4
	s_waitcnt lgkmcnt(0)
	s_and_not1_saveexec_b32 s2, s25
	s_cbranch_execnz .LBB399_8
.LBB399_94:
	s_nop 0
	s_sendmsg sendmsg(MSG_DEALLOC_VGPRS)
	s_endpgm
.LBB399_95:
	v_dual_mov_b32 v2, v4 :: v_dual_mov_b32 v1, 0
.LBB399_96:
	s_and_b32 s35, s35, 3
	s_delay_alu instid0(SALU_CYCLE_1)
	s_cmp_eq_u32 s35, 0
	s_cbranch_scc1 .LBB399_99
; %bb.97:
	s_lshl_b32 s18, s34, 3
	s_mul_i32 s20, s34, 12
	s_add_u32 s18, s18, s0
	s_addc_u32 s19, s1, 0
	s_add_u32 s18, s18, 0xc4
	s_addc_u32 s19, s19, 0
	;; [unrolled: 2-line block ×3, first 2 shown]
	.p2align	6
.LBB399_98:                             ; =>This Inner Loop Header: Depth=1
	s_clause 0x1
	s_load_b64 s[36:37], s[20:21], 0x4
	s_load_b32 s34, s[20:21], 0xc
	s_load_b64 s[38:39], s[18:19], 0x0
	s_add_u32 s20, s20, 12
	s_addc_u32 s21, s21, 0
	s_add_u32 s18, s18, 8
	s_addc_u32 s19, s19, 0
	s_add_i32 s35, s35, -1
	s_delay_alu instid0(SALU_CYCLE_1) | instskip(SKIP_2) | instid1(VALU_DEP_1)
	s_cmp_lg_u32 s35, 0
	s_waitcnt lgkmcnt(0)
	v_mul_hi_u32 v3, s37, v2
	v_add_nc_u32_e32 v3, v2, v3
	s_delay_alu instid0(VALU_DEP_1) | instskip(NEXT) | instid1(VALU_DEP_1)
	v_lshrrev_b32_e32 v3, s34, v3
	v_mul_lo_u32 v5, v3, s36
	s_delay_alu instid0(VALU_DEP_1) | instskip(NEXT) | instid1(VALU_DEP_1)
	v_sub_nc_u32_e32 v2, v2, v5
	v_mad_u64_u32 v[5:6], null, v2, s38, v[0:1]
	v_mad_u64_u32 v[6:7], null, v2, s39, v[1:2]
	v_mov_b32_e32 v2, v3
	s_delay_alu instid0(VALU_DEP_2)
	v_dual_mov_b32 v0, v5 :: v_dual_mov_b32 v1, v6
	s_cbranch_scc1 .LBB399_98
.LBB399_99:
	s_and_not1_b32 vcc_lo, exec_lo, s33
	s_cbranch_vccnz .LBB399_102
; %bb.100:
	s_waitcnt lgkmcnt(0)
	v_mul_hi_u32 v0, s13, v4
	s_and_not1_b32 vcc_lo, exec_lo, s27
	s_delay_alu instid0(VALU_DEP_1) | instskip(NEXT) | instid1(VALU_DEP_1)
	v_add_nc_u32_e32 v0, v4, v0
	v_lshrrev_b32_e32 v2, s14, v0
	s_delay_alu instid0(VALU_DEP_1) | instskip(NEXT) | instid1(VALU_DEP_1)
	v_mul_lo_u32 v0, v2, s12
	v_sub_nc_u32_e32 v1, v4, v0
	s_delay_alu instid0(VALU_DEP_1)
	v_mul_lo_u32 v0, v1, s8
	v_mul_lo_u32 v1, v1, s9
	s_cbranch_vccnz .LBB399_102
; %bb.101:
	v_mul_hi_u32 v3, s2, v2
	s_delay_alu instid0(VALU_DEP_1) | instskip(NEXT) | instid1(VALU_DEP_1)
	v_add_nc_u32_e32 v3, v2, v3
	v_lshrrev_b32_e32 v3, s3, v3
	s_delay_alu instid0(VALU_DEP_1) | instskip(NEXT) | instid1(VALU_DEP_1)
	v_mul_lo_u32 v3, v3, s15
	v_sub_nc_u32_e32 v7, v2, v3
	s_delay_alu instid0(VALU_DEP_1) | instskip(NEXT) | instid1(VALU_DEP_1)
	v_mad_u64_u32 v[2:3], null, v7, s10, v[0:1]
	v_mad_u64_u32 v[5:6], null, v7, s11, v[1:2]
	s_delay_alu instid0(VALU_DEP_1)
	v_dual_mov_b32 v0, v2 :: v_dual_mov_b32 v1, v5
.LBB399_102:
	s_waitcnt lgkmcnt(0)
	global_load_b32 v1, v1, s[6:7]
	v_max_f32_e64 v3, s26, s26
	v_add_nc_u32_e32 v4, 0x80, v4
	s_waitcnt vmcnt(0)
	v_max_f32_e32 v2, v1, v1
	v_cmp_u_f32_e32 vcc_lo, v1, v1
	s_delay_alu instid0(VALU_DEP_2) | instskip(NEXT) | instid1(VALU_DEP_1)
	v_max_f32_e32 v2, v2, v3
	v_cndmask_b32_e32 v1, v2, v1, vcc_lo
	global_store_b32 v0, v1, s[4:5]
	s_or_b32 exec_lo, exec_lo, s31
	s_delay_alu instid0(SALU_CYCLE_1)
	s_mov_b32 s20, exec_lo
	v_cmpx_gt_i32_e64 s28, v4
	s_cbranch_execz .LBB399_93
.LBB399_103:
	s_and_not1_b32 vcc_lo, exec_lo, s24
	s_cbranch_vccnz .LBB399_108
; %bb.104:
	v_dual_mov_b32 v0, 0 :: v_dual_mov_b32 v1, 0
	s_and_not1_b32 vcc_lo, exec_lo, s30
	s_mov_b32 s21, 0
	s_cbranch_vccnz .LBB399_113
; %bb.105:
	v_mov_b32_e32 v0, 0
	s_add_i32 s29, s29, 1
	s_cmp_eq_u32 s23, 2
	s_mov_b32 s28, 0
	s_cbranch_scc1 .LBB399_109
; %bb.106:
	v_dual_mov_b32 v1, 0 :: v_dual_mov_b32 v0, 0
	v_mov_b32_e32 v2, v4
	s_and_b32 s28, s29, 28
	s_mov_b32 s30, 0
	s_mov_b64 s[18:19], s[0:1]
.LBB399_107:                            ; =>This Inner Loop Header: Depth=1
	s_clause 0x1
	s_load_b256 s[36:43], s[18:19], 0x4
	s_load_b128 s[52:55], s[18:19], 0x24
	s_load_b256 s[44:51], s[16:17], 0x0
	s_add_u32 s18, s18, 48
	s_addc_u32 s19, s19, 0
	s_add_i32 s30, s30, 4
	s_add_u32 s16, s16, 32
	s_addc_u32 s17, s17, 0
	s_cmp_eq_u32 s28, s30
	s_waitcnt lgkmcnt(0)
	v_mul_hi_u32 v3, s37, v2
	s_delay_alu instid0(VALU_DEP_1) | instskip(NEXT) | instid1(VALU_DEP_1)
	v_add_nc_u32_e32 v3, v2, v3
	v_lshrrev_b32_e32 v3, s38, v3
	s_delay_alu instid0(VALU_DEP_1) | instskip(SKIP_1) | instid1(VALU_DEP_2)
	v_mul_hi_u32 v5, s40, v3
	v_mul_lo_u32 v7, v3, s36
	v_add_nc_u32_e32 v5, v3, v5
	s_delay_alu instid0(VALU_DEP_2) | instskip(NEXT) | instid1(VALU_DEP_2)
	v_sub_nc_u32_e32 v2, v2, v7
	v_lshrrev_b32_e32 v5, s41, v5
	s_delay_alu instid0(VALU_DEP_2) | instskip(SKIP_1) | instid1(VALU_DEP_3)
	v_mul_lo_u32 v7, v2, s44
	v_mul_lo_u32 v9, v2, s45
	v_mul_hi_u32 v6, s43, v5
	s_delay_alu instid0(VALU_DEP_1) | instskip(NEXT) | instid1(VALU_DEP_1)
	v_add_nc_u32_e32 v6, v5, v6
	v_lshrrev_b32_e32 v6, s52, v6
	s_delay_alu instid0(VALU_DEP_1) | instskip(SKIP_1) | instid1(VALU_DEP_2)
	v_mul_hi_u32 v8, s54, v6
	v_mul_lo_u32 v10, v6, s42
	v_add_nc_u32_e32 v2, v6, v8
	v_mul_lo_u32 v8, v5, s39
	s_delay_alu instid0(VALU_DEP_3) | instskip(NEXT) | instid1(VALU_DEP_3)
	v_sub_nc_u32_e32 v5, v5, v10
	v_lshrrev_b32_e32 v2, s55, v2
	s_delay_alu instid0(VALU_DEP_2) | instskip(SKIP_2) | instid1(VALU_DEP_4)
	v_mul_lo_u32 v10, v5, s48
	v_mul_lo_u32 v5, v5, s49
	v_sub_nc_u32_e32 v3, v3, v8
	v_mul_lo_u32 v11, v2, s53
	s_delay_alu instid0(VALU_DEP_2) | instskip(SKIP_1) | instid1(VALU_DEP_3)
	v_mul_lo_u32 v8, v3, s46
	v_mul_lo_u32 v3, v3, s47
	v_sub_nc_u32_e32 v6, v6, v11
	s_delay_alu instid0(VALU_DEP_3) | instskip(NEXT) | instid1(VALU_DEP_2)
	v_add3_u32 v0, v7, v0, v8
	v_mul_lo_u32 v11, v6, s50
	v_mul_lo_u32 v6, v6, s51
	v_add3_u32 v1, v9, v1, v3
	s_delay_alu instid0(VALU_DEP_3) | instskip(NEXT) | instid1(VALU_DEP_2)
	v_add3_u32 v0, v10, v0, v11
	v_add3_u32 v1, v5, v1, v6
	s_cbranch_scc0 .LBB399_107
	s_branch .LBB399_110
.LBB399_108:
	s_mov_b32 s21, -1
                                        ; implicit-def: $vgpr0
                                        ; implicit-def: $vgpr1
	s_branch .LBB399_113
.LBB399_109:
	v_dual_mov_b32 v2, v4 :: v_dual_mov_b32 v1, 0
.LBB399_110:
	s_and_b32 s29, s29, 3
	s_delay_alu instid0(SALU_CYCLE_1)
	s_cmp_eq_u32 s29, 0
	s_cbranch_scc1 .LBB399_113
; %bb.111:
	s_lshl_b32 s16, s28, 3
	s_mul_i32 s18, s28, 12
	s_add_u32 s16, s16, s0
	s_addc_u32 s17, s1, 0
	s_add_u32 s16, s16, 0xc4
	s_addc_u32 s17, s17, 0
	;; [unrolled: 2-line block ×3, first 2 shown]
	.p2align	6
.LBB399_112:                            ; =>This Inner Loop Header: Depth=1
	s_clause 0x1
	s_load_b64 s[30:31], s[18:19], 0x4
	s_load_b32 s28, s[18:19], 0xc
	s_load_b64 s[34:35], s[16:17], 0x0
	s_add_u32 s18, s18, 12
	s_addc_u32 s19, s19, 0
	s_add_u32 s16, s16, 8
	s_addc_u32 s17, s17, 0
	s_add_i32 s29, s29, -1
	s_delay_alu instid0(SALU_CYCLE_1) | instskip(SKIP_2) | instid1(VALU_DEP_1)
	s_cmp_lg_u32 s29, 0
	s_waitcnt lgkmcnt(0)
	v_mul_hi_u32 v3, s31, v2
	v_add_nc_u32_e32 v3, v2, v3
	s_delay_alu instid0(VALU_DEP_1) | instskip(NEXT) | instid1(VALU_DEP_1)
	v_lshrrev_b32_e32 v3, s28, v3
	v_mul_lo_u32 v5, v3, s30
	s_delay_alu instid0(VALU_DEP_1) | instskip(NEXT) | instid1(VALU_DEP_1)
	v_sub_nc_u32_e32 v2, v2, v5
	v_mad_u64_u32 v[5:6], null, v2, s34, v[0:1]
	v_mad_u64_u32 v[6:7], null, v2, s35, v[1:2]
	v_mov_b32_e32 v2, v3
	s_delay_alu instid0(VALU_DEP_2)
	v_dual_mov_b32 v0, v5 :: v_dual_mov_b32 v1, v6
	s_cbranch_scc1 .LBB399_112
.LBB399_113:
	s_and_not1_b32 vcc_lo, exec_lo, s21
	s_cbranch_vccnz .LBB399_116
; %bb.114:
	s_waitcnt lgkmcnt(0)
	v_mul_hi_u32 v0, s13, v4
	s_and_not1_b32 vcc_lo, exec_lo, s27
	s_delay_alu instid0(VALU_DEP_1) | instskip(NEXT) | instid1(VALU_DEP_1)
	v_add_nc_u32_e32 v0, v4, v0
	v_lshrrev_b32_e32 v2, s14, v0
	s_delay_alu instid0(VALU_DEP_1) | instskip(NEXT) | instid1(VALU_DEP_1)
	v_mul_lo_u32 v0, v2, s12
	v_sub_nc_u32_e32 v1, v4, v0
	s_delay_alu instid0(VALU_DEP_1)
	v_mul_lo_u32 v0, v1, s8
	v_mul_lo_u32 v1, v1, s9
	s_cbranch_vccnz .LBB399_116
; %bb.115:
	v_mul_hi_u32 v3, s2, v2
	s_delay_alu instid0(VALU_DEP_1) | instskip(NEXT) | instid1(VALU_DEP_1)
	v_add_nc_u32_e32 v3, v2, v3
	v_lshrrev_b32_e32 v3, s3, v3
	s_delay_alu instid0(VALU_DEP_1) | instskip(NEXT) | instid1(VALU_DEP_1)
	v_mul_lo_u32 v3, v3, s15
	v_sub_nc_u32_e32 v5, v2, v3
	s_delay_alu instid0(VALU_DEP_1) | instskip(NEXT) | instid1(VALU_DEP_1)
	v_mad_u64_u32 v[2:3], null, v5, s10, v[0:1]
	v_mad_u64_u32 v[3:4], null, v5, s11, v[1:2]
	s_delay_alu instid0(VALU_DEP_1)
	v_dual_mov_b32 v0, v2 :: v_dual_mov_b32 v1, v3
.LBB399_116:
	s_waitcnt lgkmcnt(0)
	global_load_b32 v1, v1, s[6:7]
	v_max_f32_e64 v3, s26, s26
	s_waitcnt vmcnt(0)
	v_max_f32_e32 v2, v1, v1
	v_cmp_u_f32_e32 vcc_lo, v1, v1
	s_delay_alu instid0(VALU_DEP_2) | instskip(NEXT) | instid1(VALU_DEP_1)
	v_max_f32_e32 v2, v2, v3
	v_cndmask_b32_e32 v1, v2, v1, vcc_lo
	global_store_b32 v0, v1, s[4:5]
	s_or_b32 exec_lo, exec_lo, s20
                                        ; implicit-def: $vgpr8
                                        ; implicit-def: $vgpr4
	s_and_not1_saveexec_b32 s2, s25
	s_cbranch_execz .LBB399_94
	s_branch .LBB399_8
	.section	.rodata,"a",@progbits
	.p2align	6, 0x0
	.amdhsa_kernel _ZN2at6native32elementwise_kernel_manual_unrollILi128ELi4EZNS0_22gpu_kernel_impl_nocastIZZZNS0_21clamp_min_kernel_cudaERNS_18TensorIteratorBaseERKN3c106ScalarEENKUlvE_clEvENKUlvE5_clEvEUlfE_EEvS4_RKT_EUlibE_EEviT1_
		.amdhsa_group_segment_fixed_size 0
		.amdhsa_private_segment_fixed_size 0
		.amdhsa_kernarg_size 360
		.amdhsa_user_sgpr_count 15
		.amdhsa_user_sgpr_dispatch_ptr 0
		.amdhsa_user_sgpr_queue_ptr 0
		.amdhsa_user_sgpr_kernarg_segment_ptr 1
		.amdhsa_user_sgpr_dispatch_id 0
		.amdhsa_user_sgpr_private_segment_size 0
		.amdhsa_wavefront_size32 1
		.amdhsa_uses_dynamic_stack 0
		.amdhsa_enable_private_segment 0
		.amdhsa_system_sgpr_workgroup_id_x 1
		.amdhsa_system_sgpr_workgroup_id_y 0
		.amdhsa_system_sgpr_workgroup_id_z 0
		.amdhsa_system_sgpr_workgroup_info 0
		.amdhsa_system_vgpr_workitem_id 0
		.amdhsa_next_free_vgpr 18
		.amdhsa_next_free_sgpr 60
		.amdhsa_reserve_vcc 1
		.amdhsa_float_round_mode_32 0
		.amdhsa_float_round_mode_16_64 0
		.amdhsa_float_denorm_mode_32 3
		.amdhsa_float_denorm_mode_16_64 3
		.amdhsa_dx10_clamp 1
		.amdhsa_ieee_mode 1
		.amdhsa_fp16_overflow 0
		.amdhsa_workgroup_processor_mode 1
		.amdhsa_memory_ordered 1
		.amdhsa_forward_progress 0
		.amdhsa_shared_vgpr_count 0
		.amdhsa_exception_fp_ieee_invalid_op 0
		.amdhsa_exception_fp_denorm_src 0
		.amdhsa_exception_fp_ieee_div_zero 0
		.amdhsa_exception_fp_ieee_overflow 0
		.amdhsa_exception_fp_ieee_underflow 0
		.amdhsa_exception_fp_ieee_inexact 0
		.amdhsa_exception_int_div_zero 0
	.end_amdhsa_kernel
	.section	.text._ZN2at6native32elementwise_kernel_manual_unrollILi128ELi4EZNS0_22gpu_kernel_impl_nocastIZZZNS0_21clamp_min_kernel_cudaERNS_18TensorIteratorBaseERKN3c106ScalarEENKUlvE_clEvENKUlvE5_clEvEUlfE_EEvS4_RKT_EUlibE_EEviT1_,"axG",@progbits,_ZN2at6native32elementwise_kernel_manual_unrollILi128ELi4EZNS0_22gpu_kernel_impl_nocastIZZZNS0_21clamp_min_kernel_cudaERNS_18TensorIteratorBaseERKN3c106ScalarEENKUlvE_clEvENKUlvE5_clEvEUlfE_EEvS4_RKT_EUlibE_EEviT1_,comdat
.Lfunc_end399:
	.size	_ZN2at6native32elementwise_kernel_manual_unrollILi128ELi4EZNS0_22gpu_kernel_impl_nocastIZZZNS0_21clamp_min_kernel_cudaERNS_18TensorIteratorBaseERKN3c106ScalarEENKUlvE_clEvENKUlvE5_clEvEUlfE_EEvS4_RKT_EUlibE_EEviT1_, .Lfunc_end399-_ZN2at6native32elementwise_kernel_manual_unrollILi128ELi4EZNS0_22gpu_kernel_impl_nocastIZZZNS0_21clamp_min_kernel_cudaERNS_18TensorIteratorBaseERKN3c106ScalarEENKUlvE_clEvENKUlvE5_clEvEUlfE_EEvS4_RKT_EUlibE_EEviT1_
                                        ; -- End function
	.section	.AMDGPU.csdata,"",@progbits
; Kernel info:
; codeLenInByte = 6988
; NumSgprs: 62
; NumVgprs: 18
; ScratchSize: 0
; MemoryBound: 0
; FloatMode: 240
; IeeeMode: 1
; LDSByteSize: 0 bytes/workgroup (compile time only)
; SGPRBlocks: 7
; VGPRBlocks: 2
; NumSGPRsForWavesPerEU: 62
; NumVGPRsForWavesPerEU: 18
; Occupancy: 16
; WaveLimiterHint : 1
; COMPUTE_PGM_RSRC2:SCRATCH_EN: 0
; COMPUTE_PGM_RSRC2:USER_SGPR: 15
; COMPUTE_PGM_RSRC2:TRAP_HANDLER: 0
; COMPUTE_PGM_RSRC2:TGID_X_EN: 1
; COMPUTE_PGM_RSRC2:TGID_Y_EN: 0
; COMPUTE_PGM_RSRC2:TGID_Z_EN: 0
; COMPUTE_PGM_RSRC2:TIDIG_COMP_CNT: 0
	.section	.text._ZN2at6native32elementwise_kernel_manual_unrollILi128ELi4EZNS0_15gpu_kernel_implIZZZNS0_21clamp_min_kernel_cudaERNS_18TensorIteratorBaseERKN3c106ScalarEENKUlvE_clEvENKUlvE5_clEvEUlfE_EEvS4_RKT_EUlibE_EEviT1_,"axG",@progbits,_ZN2at6native32elementwise_kernel_manual_unrollILi128ELi4EZNS0_15gpu_kernel_implIZZZNS0_21clamp_min_kernel_cudaERNS_18TensorIteratorBaseERKN3c106ScalarEENKUlvE_clEvENKUlvE5_clEvEUlfE_EEvS4_RKT_EUlibE_EEviT1_,comdat
	.globl	_ZN2at6native32elementwise_kernel_manual_unrollILi128ELi4EZNS0_15gpu_kernel_implIZZZNS0_21clamp_min_kernel_cudaERNS_18TensorIteratorBaseERKN3c106ScalarEENKUlvE_clEvENKUlvE5_clEvEUlfE_EEvS4_RKT_EUlibE_EEviT1_ ; -- Begin function _ZN2at6native32elementwise_kernel_manual_unrollILi128ELi4EZNS0_15gpu_kernel_implIZZZNS0_21clamp_min_kernel_cudaERNS_18TensorIteratorBaseERKN3c106ScalarEENKUlvE_clEvENKUlvE5_clEvEUlfE_EEvS4_RKT_EUlibE_EEviT1_
	.p2align	8
	.type	_ZN2at6native32elementwise_kernel_manual_unrollILi128ELi4EZNS0_15gpu_kernel_implIZZZNS0_21clamp_min_kernel_cudaERNS_18TensorIteratorBaseERKN3c106ScalarEENKUlvE_clEvENKUlvE5_clEvEUlfE_EEvS4_RKT_EUlibE_EEviT1_,@function
_ZN2at6native32elementwise_kernel_manual_unrollILi128ELi4EZNS0_15gpu_kernel_implIZZZNS0_21clamp_min_kernel_cudaERNS_18TensorIteratorBaseERKN3c106ScalarEENKUlvE_clEvENKUlvE5_clEvEUlfE_EEvS4_RKT_EUlibE_EEviT1_: ; @_ZN2at6native32elementwise_kernel_manual_unrollILi128ELi4EZNS0_15gpu_kernel_implIZZZNS0_21clamp_min_kernel_cudaERNS_18TensorIteratorBaseERKN3c106ScalarEENKUlvE_clEvENKUlvE5_clEvEUlfE_EEvS4_RKT_EUlibE_EEviT1_
; %bb.0:
	s_clause 0x2
	s_load_b32 s2, s[0:1], 0x24
	s_load_b32 s12, s[0:1], 0x0
	s_load_b256 s[4:11], s[0:1], 0x8
	v_lshl_or_b32 v4, s15, 9, v0
	s_mov_b32 s1, 0
	s_waitcnt lgkmcnt(0)
	s_mov_b32 s11, 0
	s_mov_b32 s0, exec_lo
	v_or_b32_e32 v0, 0x180, v4
	v_lshrrev_b16 v5, 8, s2
	s_delay_alu instid0(VALU_DEP_2)
	v_cmpx_le_i32_e64 s12, v0
	s_xor_b32 s3, exec_lo, s0
	s_cbranch_execz .LBB400_1033
; %bb.1:
	s_mov_b32 s17, -1
	s_mov_b32 s15, 0
	s_mov_b32 s13, 0
	s_mov_b32 s14, exec_lo
	v_cmpx_gt_i32_e64 s12, v4
	s_cbranch_execz .LBB400_252
; %bb.2:
	v_mul_lo_u32 v0, v4, s9
	v_cmp_gt_i16_e32 vcc_lo, 11, v5
	s_delay_alu instid0(VALU_DEP_2) | instskip(SKIP_1) | instid1(VALU_DEP_1)
	v_ashrrev_i32_e32 v1, 31, v0
	v_add_co_u32 v0, s0, s6, v0
	v_add_co_ci_u32_e64 v1, s0, s7, v1, s0
	s_cbranch_vccnz .LBB400_9
; %bb.3:
	v_cmp_lt_i16_e32 vcc_lo, 25, v5
	s_cbranch_vccz .LBB400_18
; %bb.4:
	v_cmp_lt_i16_e32 vcc_lo, 28, v5
	s_cbranch_vccz .LBB400_21
; %bb.5:
	v_cmp_lt_i16_e32 vcc_lo, 43, v5
	s_cbranch_vccz .LBB400_23
; %bb.6:
	v_cmp_lt_i16_e32 vcc_lo, 45, v5
	s_cbranch_vccz .LBB400_25
; %bb.7:
	v_cmp_eq_u16_e32 vcc_lo, 46, v5
	s_cbranch_vccz .LBB400_27
; %bb.8:
	global_load_b32 v2, v[0:1], off
	s_mov_b32 s0, -1
	s_waitcnt vmcnt(0)
	v_lshlrev_b32_e32 v2, 16, v2
	s_branch .LBB400_29
.LBB400_9:
	s_mov_b32 s0, 0
                                        ; implicit-def: $vgpr2
	s_cbranch_execnz .LBB400_202
.LBB400_10:
	s_and_not1_b32 vcc_lo, exec_lo, s0
	s_cbranch_vccnz .LBB400_249
.LBB400_11:
	v_mul_lo_u32 v3, v4, s8
	v_max_f32_e64 v0, s10, s10
	s_waitcnt vmcnt(0)
	s_delay_alu instid0(VALU_DEP_3) | instskip(SKIP_2) | instid1(VALU_DEP_3)
	v_max_f32_e32 v1, v2, v2
	v_and_b32_e64 v6, 0xff, s2
	v_cmp_u_f32_e64 s0, v2, v2
	v_max_f32_e32 v0, v1, v0
	v_ashrrev_i32_e32 v1, 31, v3
	s_delay_alu instid0(VALU_DEP_4) | instskip(NEXT) | instid1(VALU_DEP_3)
	v_cmp_gt_i16_e32 vcc_lo, 11, v6
	v_cndmask_b32_e64 v2, v0, v2, s0
	v_add_co_u32 v0, s0, s4, v3
	s_delay_alu instid0(VALU_DEP_1)
	v_add_co_ci_u32_e64 v1, s0, s5, v1, s0
	s_cbranch_vccnz .LBB400_19
; %bb.12:
	v_cmp_lt_i16_e32 vcc_lo, 25, v6
	s_cbranch_vccz .LBB400_22
; %bb.13:
	v_cmp_lt_i16_e32 vcc_lo, 28, v6
	s_cbranch_vccz .LBB400_24
	;; [unrolled: 3-line block ×4, first 2 shown]
; %bb.16:
	v_cmp_eq_u16_e32 vcc_lo, 46, v6
	s_mov_b32 s16, 0
	s_mov_b32 s0, -1
	s_mov_b32 s11, 0
	s_cbranch_vccz .LBB400_33
; %bb.17:
	v_bfe_u32 v3, v2, 16, 1
	v_cmp_o_f32_e32 vcc_lo, v2, v2
	s_mov_b32 s11, -1
	s_mov_b32 s0, 0
	s_delay_alu instid0(VALU_DEP_2) | instskip(NEXT) | instid1(VALU_DEP_1)
	v_add3_u32 v3, v2, v3, 0x7fff
	v_lshrrev_b32_e32 v3, 16, v3
	s_delay_alu instid0(VALU_DEP_1)
	v_cndmask_b32_e32 v3, 0x7fc0, v3, vcc_lo
	global_store_b32 v[0:1], v3, off
	s_branch .LBB400_33
.LBB400_18:
	s_mov_b32 s0, 0
                                        ; implicit-def: $vgpr2
	s_cbranch_execnz .LBB400_167
	s_branch .LBB400_201
.LBB400_19:
	s_mov_b32 s0, 0
	s_mov_b32 s11, 0
	s_cbranch_execnz .LBB400_102
.LBB400_20:
	s_and_not1_b32 vcc_lo, exec_lo, s11
	s_cbranch_vccnz .LBB400_250
	s_branch .LBB400_140
.LBB400_21:
	s_mov_b32 s11, -1
	s_mov_b32 s0, 0
                                        ; implicit-def: $vgpr2
	s_branch .LBB400_148
.LBB400_22:
	s_mov_b32 s16, -1
	s_mov_b32 s0, 0
	s_mov_b32 s11, 0
	s_branch .LBB400_60
.LBB400_23:
	s_mov_b32 s11, -1
	s_mov_b32 s0, 0
                                        ; implicit-def: $vgpr2
	s_branch .LBB400_143
.LBB400_24:
	s_mov_b32 s16, -1
	s_mov_b32 s0, 0
	s_mov_b32 s11, 0
	s_branch .LBB400_43
.LBB400_25:
	s_mov_b32 s11, -1
	s_branch .LBB400_28
.LBB400_26:
	s_mov_b32 s16, -1
	s_mov_b32 s0, 0
	s_mov_b32 s11, 0
	s_branch .LBB400_39
.LBB400_27:
	s_mov_b32 s13, -1
.LBB400_28:
	s_mov_b32 s0, 0
                                        ; implicit-def: $vgpr2
.LBB400_29:
	s_and_b32 vcc_lo, exec_lo, s11
	s_cbranch_vccz .LBB400_142
; %bb.30:
	v_cmp_eq_u16_e32 vcc_lo, 44, v5
	s_cbranch_vccz .LBB400_141
; %bb.31:
	global_load_u8 v2, v[0:1], off
	s_mov_b32 s13, 0
	s_mov_b32 s0, -1
	s_waitcnt vmcnt(0)
	v_lshlrev_b32_e32 v3, 23, v2
	v_cmp_ne_u32_e32 vcc_lo, 0xff, v2
	s_delay_alu instid0(VALU_DEP_2) | instskip(SKIP_1) | instid1(VALU_DEP_2)
	v_cndmask_b32_e32 v3, 0x7f800001, v3, vcc_lo
	v_cmp_ne_u32_e32 vcc_lo, 0, v2
	v_cndmask_b32_e32 v2, 0x400000, v3, vcc_lo
	s_branch .LBB400_142
.LBB400_32:
	s_mov_b32 s16, -1
	s_mov_b32 s0, 0
	s_mov_b32 s11, 0
.LBB400_33:
	s_and_b32 vcc_lo, exec_lo, s16
	s_cbranch_vccz .LBB400_38
; %bb.34:
	v_cmp_eq_u16_e32 vcc_lo, 44, v6
	s_mov_b32 s0, -1
	s_cbranch_vccz .LBB400_38
; %bb.35:
	v_bfe_u32 v7, v2, 23, 8
	v_mov_b32_e32 v3, 0xff
	s_mov_b32 s11, exec_lo
	s_delay_alu instid0(VALU_DEP_2)
	v_cmpx_ne_u32_e32 0xff, v7
; %bb.36:
	v_and_b32_e32 v3, 0x400000, v2
	v_and_or_b32 v7, 0x3fffff, v2, v7
	s_delay_alu instid0(VALU_DEP_2) | instskip(NEXT) | instid1(VALU_DEP_2)
	v_cmp_ne_u32_e32 vcc_lo, 0, v3
	v_cmp_ne_u32_e64 s0, 0, v7
	v_lshrrev_b32_e32 v3, 23, v2
	s_delay_alu instid0(VALU_DEP_2) | instskip(NEXT) | instid1(SALU_CYCLE_1)
	s_and_b32 s0, vcc_lo, s0
	v_cndmask_b32_e64 v7, 0, 1, s0
	s_delay_alu instid0(VALU_DEP_1)
	v_add_nc_u32_e32 v3, v3, v7
; %bb.37:
	s_or_b32 exec_lo, exec_lo, s11
	s_mov_b32 s11, -1
	s_mov_b32 s0, 0
	global_store_b8 v[0:1], v3, off
.LBB400_38:
	s_mov_b32 s16, 0
.LBB400_39:
	s_delay_alu instid0(SALU_CYCLE_1)
	s_and_b32 vcc_lo, exec_lo, s16
	s_cbranch_vccz .LBB400_42
; %bb.40:
	v_cmp_eq_u16_e32 vcc_lo, 29, v6
	s_mov_b32 s0, -1
	s_cbranch_vccz .LBB400_42
; %bb.41:
	v_trunc_f32_e32 v3, v2
	s_mov_b32 s11, -1
	s_mov_b32 s0, 0
	s_mov_b32 s16, 0
	s_delay_alu instid0(VALU_DEP_1) | instskip(NEXT) | instid1(VALU_DEP_1)
	v_mul_f32_e32 v7, 0x2f800000, v3
	v_floor_f32_e32 v7, v7
	s_delay_alu instid0(VALU_DEP_1) | instskip(SKIP_1) | instid1(VALU_DEP_2)
	v_fmamk_f32 v3, v7, 0xcf800000, v3
	v_cvt_u32_f32_e32 v8, v7
	v_cvt_u32_f32_e32 v7, v3
	global_store_b64 v[0:1], v[7:8], off
	s_branch .LBB400_43
.LBB400_42:
	s_mov_b32 s16, 0
.LBB400_43:
	s_delay_alu instid0(SALU_CYCLE_1)
	s_and_b32 vcc_lo, exec_lo, s16
	s_cbranch_vccz .LBB400_59
; %bb.44:
	v_cmp_gt_i16_e32 vcc_lo, 27, v6
	s_mov_b32 s11, -1
	s_cbranch_vccnz .LBB400_50
; %bb.45:
	v_cmp_lt_i16_e32 vcc_lo, 27, v6
	s_cbranch_vccz .LBB400_47
; %bb.46:
	v_cvt_u32_f32_e32 v3, v2
	s_mov_b32 s11, 0
	global_store_b32 v[0:1], v3, off
.LBB400_47:
	s_and_not1_b32 vcc_lo, exec_lo, s11
	s_cbranch_vccnz .LBB400_49
; %bb.48:
	v_cvt_u32_f32_e32 v3, v2
	global_store_b16 v[0:1], v3, off
.LBB400_49:
	s_mov_b32 s11, 0
.LBB400_50:
	s_delay_alu instid0(SALU_CYCLE_1)
	s_and_not1_b32 vcc_lo, exec_lo, s11
	s_cbranch_vccnz .LBB400_58
; %bb.51:
	v_and_b32_e32 v3, 0x7fffffff, v2
	v_mov_b32_e32 v7, 0x80
	s_mov_b32 s11, exec_lo
	s_delay_alu instid0(VALU_DEP_2)
	v_cmpx_gt_u32_e32 0x43800000, v3
	s_cbranch_execz .LBB400_57
; %bb.52:
	v_cmp_lt_u32_e32 vcc_lo, 0x3bffffff, v3
	s_mov_b32 s16, 0
                                        ; implicit-def: $vgpr3
	s_and_saveexec_b32 s17, vcc_lo
	s_delay_alu instid0(SALU_CYCLE_1)
	s_xor_b32 s17, exec_lo, s17
	s_cbranch_execz .LBB400_276
; %bb.53:
	v_bfe_u32 v3, v2, 20, 1
	s_mov_b32 s16, exec_lo
	s_delay_alu instid0(VALU_DEP_1) | instskip(NEXT) | instid1(VALU_DEP_1)
	v_add3_u32 v3, v2, v3, 0x487ffff
	v_lshrrev_b32_e32 v3, 20, v3
	s_or_saveexec_b32 s17, s17
                                        ; implicit-def: $sgpr18
	s_delay_alu instid0(SALU_CYCLE_1)
	s_xor_b32 exec_lo, exec_lo, s17
	s_cbranch_execnz .LBB400_277
.LBB400_54:
	s_or_b32 exec_lo, exec_lo, s17
	v_mov_b32_e32 v7, s18
	s_and_saveexec_b32 s17, s16
.LBB400_55:
	v_lshrrev_b32_e32 v7, 24, v2
	s_delay_alu instid0(VALU_DEP_1)
	v_and_or_b32 v7, 0x80, v7, v3
.LBB400_56:
	s_or_b32 exec_lo, exec_lo, s17
.LBB400_57:
	s_delay_alu instid0(SALU_CYCLE_1)
	s_or_b32 exec_lo, exec_lo, s11
	global_store_b8 v[0:1], v7, off
.LBB400_58:
	s_mov_b32 s11, -1
.LBB400_59:
	s_mov_b32 s16, 0
.LBB400_60:
	s_delay_alu instid0(SALU_CYCLE_1)
	s_and_b32 vcc_lo, exec_lo, s16
	s_cbranch_vccz .LBB400_101
; %bb.61:
	v_cmp_lt_i16_e32 vcc_lo, 22, v6
	s_mov_b32 s16, -1
	s_cbranch_vccz .LBB400_93
; %bb.62:
	v_cmp_gt_i16_e32 vcc_lo, 24, v6
	s_mov_b32 s11, -1
	s_cbranch_vccnz .LBB400_82
; %bb.63:
	v_cmp_lt_i16_e32 vcc_lo, 24, v6
	s_cbranch_vccz .LBB400_71
; %bb.64:
	v_and_b32_e32 v3, 0x7fffffff, v2
	v_mov_b32_e32 v7, 0x80
	s_mov_b32 s11, exec_lo
	s_delay_alu instid0(VALU_DEP_2)
	v_cmpx_gt_u32_e32 0x47800000, v3
	s_cbranch_execz .LBB400_70
; %bb.65:
	v_cmp_lt_u32_e32 vcc_lo, 0x37ffffff, v3
	s_mov_b32 s16, 0
                                        ; implicit-def: $vgpr3
	s_and_saveexec_b32 s17, vcc_lo
	s_delay_alu instid0(SALU_CYCLE_1)
	s_xor_b32 s17, exec_lo, s17
	s_cbranch_execz .LBB400_280
; %bb.66:
	v_bfe_u32 v3, v2, 21, 1
	s_mov_b32 s16, exec_lo
	s_delay_alu instid0(VALU_DEP_1) | instskip(NEXT) | instid1(VALU_DEP_1)
	v_add3_u32 v3, v2, v3, 0x88fffff
	v_lshrrev_b32_e32 v3, 21, v3
	s_or_saveexec_b32 s17, s17
                                        ; implicit-def: $sgpr18
	s_delay_alu instid0(SALU_CYCLE_1)
	s_xor_b32 exec_lo, exec_lo, s17
	s_cbranch_execnz .LBB400_281
.LBB400_67:
	s_or_b32 exec_lo, exec_lo, s17
	v_mov_b32_e32 v7, s18
	s_and_saveexec_b32 s17, s16
.LBB400_68:
	v_lshrrev_b32_e32 v7, 24, v2
	s_delay_alu instid0(VALU_DEP_1)
	v_and_or_b32 v7, 0x80, v7, v3
.LBB400_69:
	s_or_b32 exec_lo, exec_lo, s17
.LBB400_70:
	s_delay_alu instid0(SALU_CYCLE_1)
	s_or_b32 exec_lo, exec_lo, s11
	s_mov_b32 s11, 0
	global_store_b8 v[0:1], v7, off
.LBB400_71:
	s_and_b32 vcc_lo, exec_lo, s11
	s_cbranch_vccz .LBB400_81
; %bb.72:
	v_and_b32_e32 v7, 0x7fffffff, v2
	s_mov_b32 s11, exec_lo
                                        ; implicit-def: $vgpr3
	s_delay_alu instid0(VALU_DEP_1)
	v_cmpx_gt_u32_e32 0x43f00000, v7
	s_xor_b32 s11, exec_lo, s11
	s_cbranch_execz .LBB400_78
; %bb.73:
	s_mov_b32 s16, exec_lo
                                        ; implicit-def: $vgpr3
	v_cmpx_lt_u32_e32 0x3c7fffff, v7
	s_xor_b32 s16, exec_lo, s16
; %bb.74:
	v_bfe_u32 v3, v2, 20, 1
	s_delay_alu instid0(VALU_DEP_1) | instskip(NEXT) | instid1(VALU_DEP_1)
	v_add3_u32 v3, v2, v3, 0x407ffff
	v_and_b32_e32 v7, 0xff00000, v3
	v_lshrrev_b32_e32 v3, 20, v3
	s_delay_alu instid0(VALU_DEP_2) | instskip(NEXT) | instid1(VALU_DEP_2)
	v_cmp_ne_u32_e32 vcc_lo, 0x7f00000, v7
	v_cndmask_b32_e32 v3, 0x7e, v3, vcc_lo
; %bb.75:
	s_and_not1_saveexec_b32 s16, s16
; %bb.76:
	v_add_f32_e64 v3, 0x46800000, |v2|
; %bb.77:
	s_or_b32 exec_lo, exec_lo, s16
                                        ; implicit-def: $vgpr7
.LBB400_78:
	s_and_not1_saveexec_b32 s11, s11
; %bb.79:
	v_mov_b32_e32 v3, 0x7f
	v_cmp_lt_u32_e32 vcc_lo, 0x7f800000, v7
	s_delay_alu instid0(VALU_DEP_2)
	v_cndmask_b32_e32 v3, 0x7e, v3, vcc_lo
; %bb.80:
	s_or_b32 exec_lo, exec_lo, s11
	v_lshrrev_b32_e32 v7, 24, v2
	s_delay_alu instid0(VALU_DEP_1)
	v_and_or_b32 v3, 0x80, v7, v3
	global_store_b8 v[0:1], v3, off
.LBB400_81:
	s_mov_b32 s11, 0
.LBB400_82:
	s_delay_alu instid0(SALU_CYCLE_1)
	s_and_not1_b32 vcc_lo, exec_lo, s11
	s_cbranch_vccnz .LBB400_92
; %bb.83:
	v_and_b32_e32 v7, 0x7fffffff, v2
	s_mov_b32 s11, exec_lo
                                        ; implicit-def: $vgpr3
	s_delay_alu instid0(VALU_DEP_1)
	v_cmpx_gt_u32_e32 0x47800000, v7
	s_xor_b32 s11, exec_lo, s11
	s_cbranch_execz .LBB400_89
; %bb.84:
	s_mov_b32 s16, exec_lo
                                        ; implicit-def: $vgpr3
	v_cmpx_lt_u32_e32 0x387fffff, v7
	s_xor_b32 s16, exec_lo, s16
; %bb.85:
	v_bfe_u32 v3, v2, 21, 1
	s_delay_alu instid0(VALU_DEP_1) | instskip(NEXT) | instid1(VALU_DEP_1)
	v_add3_u32 v3, v2, v3, 0x80fffff
	v_lshrrev_b32_e32 v3, 21, v3
; %bb.86:
	s_and_not1_saveexec_b32 s16, s16
; %bb.87:
	v_add_f32_e64 v3, 0x43000000, |v2|
; %bb.88:
	s_or_b32 exec_lo, exec_lo, s16
                                        ; implicit-def: $vgpr7
.LBB400_89:
	s_and_not1_saveexec_b32 s11, s11
; %bb.90:
	v_mov_b32_e32 v3, 0x7f
	v_cmp_lt_u32_e32 vcc_lo, 0x7f800000, v7
	s_delay_alu instid0(VALU_DEP_2)
	v_cndmask_b32_e32 v3, 0x7c, v3, vcc_lo
; %bb.91:
	s_or_b32 exec_lo, exec_lo, s11
	v_lshrrev_b32_e32 v7, 24, v2
	s_delay_alu instid0(VALU_DEP_1)
	v_and_or_b32 v3, 0x80, v7, v3
	global_store_b8 v[0:1], v3, off
.LBB400_92:
	s_mov_b32 s16, 0
	s_mov_b32 s11, -1
.LBB400_93:
	s_and_not1_b32 vcc_lo, exec_lo, s16
	s_cbranch_vccnz .LBB400_101
; %bb.94:
	v_cmp_lt_i16_e32 vcc_lo, 14, v6
	s_mov_b32 s16, -1
	s_cbranch_vccz .LBB400_98
; %bb.95:
	v_cmp_eq_u16_e32 vcc_lo, 15, v6
	s_mov_b32 s0, -1
	s_cbranch_vccz .LBB400_97
; %bb.96:
	v_bfe_u32 v3, v2, 16, 1
	v_cmp_o_f32_e32 vcc_lo, v2, v2
	s_mov_b32 s11, -1
	s_mov_b32 s0, 0
	s_delay_alu instid0(VALU_DEP_2) | instskip(NEXT) | instid1(VALU_DEP_1)
	v_add3_u32 v3, v2, v3, 0x7fff
	v_lshrrev_b32_e32 v3, 16, v3
	s_delay_alu instid0(VALU_DEP_1)
	v_cndmask_b32_e32 v3, 0x7fc0, v3, vcc_lo
	global_store_b16 v[0:1], v3, off
.LBB400_97:
	s_mov_b32 s16, 0
.LBB400_98:
	s_delay_alu instid0(SALU_CYCLE_1)
	s_and_b32 vcc_lo, exec_lo, s16
	s_cbranch_vccz .LBB400_101
; %bb.99:
	v_cmp_eq_u16_e32 vcc_lo, 11, v6
	s_mov_b32 s0, -1
	s_cbranch_vccz .LBB400_101
; %bb.100:
	v_cmp_neq_f32_e32 vcc_lo, 0, v2
	s_mov_b32 s0, 0
	s_mov_b32 s11, -1
	v_cndmask_b32_e64 v3, 0, 1, vcc_lo
	global_store_b8 v[0:1], v3, off
.LBB400_101:
	s_branch .LBB400_20
.LBB400_102:
	v_cmp_gt_i16_e32 vcc_lo, 5, v6
	s_mov_b32 s11, -1
	s_cbranch_vccnz .LBB400_123
; %bb.103:
	v_cmp_gt_i16_e32 vcc_lo, 8, v6
	s_cbranch_vccnz .LBB400_113
; %bb.104:
	v_cmp_gt_i16_e32 vcc_lo, 9, v6
	s_cbranch_vccnz .LBB400_110
; %bb.105:
	v_cmp_lt_i16_e32 vcc_lo, 9, v6
	s_cbranch_vccz .LBB400_107
; %bb.106:
	v_cvt_f64_f32_e32 v[7:8], v2
	v_mov_b32_e32 v9, 0
	s_mov_b32 s11, 0
	s_delay_alu instid0(VALU_DEP_1)
	v_mov_b32_e32 v10, v9
	global_store_b128 v[0:1], v[7:10], off
.LBB400_107:
	s_and_not1_b32 vcc_lo, exec_lo, s11
	s_cbranch_vccnz .LBB400_109
; %bb.108:
	v_mov_b32_e32 v3, 0
	global_store_b64 v[0:1], v[2:3], off
.LBB400_109:
	s_mov_b32 s11, 0
.LBB400_110:
	s_delay_alu instid0(SALU_CYCLE_1)
	s_and_not1_b32 vcc_lo, exec_lo, s11
	s_cbranch_vccnz .LBB400_112
; %bb.111:
	v_cvt_f16_f32_e32 v3, v2
	s_delay_alu instid0(VALU_DEP_1)
	v_and_b32_e32 v3, 0xffff, v3
	global_store_b32 v[0:1], v3, off
.LBB400_112:
	s_mov_b32 s11, 0
.LBB400_113:
	s_delay_alu instid0(SALU_CYCLE_1)
	s_and_not1_b32 vcc_lo, exec_lo, s11
	s_cbranch_vccnz .LBB400_122
; %bb.114:
	v_cmp_gt_i16_e32 vcc_lo, 6, v6
	s_mov_b32 s11, -1
	s_cbranch_vccnz .LBB400_120
; %bb.115:
	v_cmp_lt_i16_e32 vcc_lo, 6, v6
	s_cbranch_vccz .LBB400_117
; %bb.116:
	v_cvt_f64_f32_e32 v[7:8], v2
	s_mov_b32 s11, 0
	global_store_b64 v[0:1], v[7:8], off
.LBB400_117:
	s_and_not1_b32 vcc_lo, exec_lo, s11
	s_cbranch_vccnz .LBB400_119
; %bb.118:
	global_store_b32 v[0:1], v2, off
.LBB400_119:
	s_mov_b32 s11, 0
.LBB400_120:
	s_delay_alu instid0(SALU_CYCLE_1)
	s_and_not1_b32 vcc_lo, exec_lo, s11
	s_cbranch_vccnz .LBB400_122
; %bb.121:
	v_cvt_f16_f32_e32 v3, v2
	global_store_b16 v[0:1], v3, off
.LBB400_122:
	s_mov_b32 s11, 0
.LBB400_123:
	s_delay_alu instid0(SALU_CYCLE_1)
	s_and_not1_b32 vcc_lo, exec_lo, s11
	s_cbranch_vccnz .LBB400_139
; %bb.124:
	v_cmp_gt_i16_e32 vcc_lo, 2, v6
	s_mov_b32 s11, -1
	s_cbranch_vccnz .LBB400_134
; %bb.125:
	v_cmp_gt_i16_e32 vcc_lo, 3, v6
	s_cbranch_vccnz .LBB400_131
; %bb.126:
	v_cmp_lt_i16_e32 vcc_lo, 3, v6
	s_cbranch_vccz .LBB400_128
; %bb.127:
	v_trunc_f32_e32 v3, v2
	s_mov_b32 s11, 0
	s_delay_alu instid0(VALU_DEP_1) | instskip(NEXT) | instid1(VALU_DEP_1)
	v_mul_f32_e64 v7, 0x2f800000, |v3|
	v_floor_f32_e32 v7, v7
	s_delay_alu instid0(VALU_DEP_1) | instskip(SKIP_2) | instid1(VALU_DEP_3)
	v_fma_f32 v8, 0xcf800000, v7, |v3|
	v_ashrrev_i32_e32 v3, 31, v3
	v_cvt_u32_f32_e32 v7, v7
	v_cvt_u32_f32_e32 v8, v8
	s_delay_alu instid0(VALU_DEP_2) | instskip(NEXT) | instid1(VALU_DEP_2)
	v_xor_b32_e32 v9, v7, v3
	v_xor_b32_e32 v8, v8, v3
	s_delay_alu instid0(VALU_DEP_1) | instskip(NEXT) | instid1(VALU_DEP_3)
	v_sub_co_u32 v7, vcc_lo, v8, v3
	v_sub_co_ci_u32_e32 v8, vcc_lo, v9, v3, vcc_lo
	global_store_b64 v[0:1], v[7:8], off
.LBB400_128:
	s_and_not1_b32 vcc_lo, exec_lo, s11
	s_cbranch_vccnz .LBB400_130
; %bb.129:
	v_cvt_i32_f32_e32 v3, v2
	global_store_b32 v[0:1], v3, off
.LBB400_130:
	s_mov_b32 s11, 0
.LBB400_131:
	s_delay_alu instid0(SALU_CYCLE_1)
	s_and_not1_b32 vcc_lo, exec_lo, s11
	s_cbranch_vccnz .LBB400_133
; %bb.132:
	v_cvt_i32_f32_e32 v3, v2
	global_store_b16 v[0:1], v3, off
.LBB400_133:
	s_mov_b32 s11, 0
.LBB400_134:
	s_delay_alu instid0(SALU_CYCLE_1)
	s_and_not1_b32 vcc_lo, exec_lo, s11
	s_cbranch_vccnz .LBB400_139
; %bb.135:
	v_cmp_lt_i16_e32 vcc_lo, 0, v6
	s_mov_b32 s11, -1
	s_cbranch_vccz .LBB400_137
; %bb.136:
	v_cvt_i32_f32_e32 v3, v2
	s_mov_b32 s11, 0
	global_store_b8 v[0:1], v3, off
.LBB400_137:
	s_and_not1_b32 vcc_lo, exec_lo, s11
	s_cbranch_vccnz .LBB400_139
; %bb.138:
	v_trunc_f32_e32 v2, v2
	s_delay_alu instid0(VALU_DEP_1) | instskip(NEXT) | instid1(VALU_DEP_1)
	v_mul_f32_e64 v3, 0x2f800000, |v2|
	v_floor_f32_e32 v3, v3
	s_delay_alu instid0(VALU_DEP_1) | instskip(SKIP_1) | instid1(VALU_DEP_2)
	v_fma_f32 v3, 0xcf800000, v3, |v2|
	v_ashrrev_i32_e32 v2, 31, v2
	v_cvt_u32_f32_e32 v3, v3
	s_delay_alu instid0(VALU_DEP_1) | instskip(NEXT) | instid1(VALU_DEP_1)
	v_xor_b32_e32 v3, v3, v2
	v_sub_nc_u32_e32 v2, v3, v2
	global_store_b8 v[0:1], v2, off
.LBB400_139:
	s_mov_b32 s11, -1
.LBB400_140:
	v_add_nc_u32_e32 v4, 0x80, v4
	s_mov_b32 s16, -1
	s_branch .LBB400_251
.LBB400_141:
	s_mov_b32 s13, -1
                                        ; implicit-def: $vgpr2
.LBB400_142:
	s_mov_b32 s11, 0
.LBB400_143:
	s_delay_alu instid0(SALU_CYCLE_1)
	s_and_b32 vcc_lo, exec_lo, s11
	s_cbranch_vccz .LBB400_147
; %bb.144:
	v_cmp_eq_u16_e32 vcc_lo, 29, v5
	s_cbranch_vccz .LBB400_146
; %bb.145:
	global_load_b64 v[2:3], v[0:1], off
	s_mov_b32 s0, -1
	s_mov_b32 s13, 0
	s_mov_b32 s11, 0
	s_waitcnt vmcnt(0)
	v_clz_i32_u32_e32 v6, v3
	s_delay_alu instid0(VALU_DEP_1) | instskip(NEXT) | instid1(VALU_DEP_1)
	v_min_u32_e32 v6, 32, v6
	v_lshlrev_b64 v[2:3], v6, v[2:3]
	s_delay_alu instid0(VALU_DEP_1) | instskip(NEXT) | instid1(VALU_DEP_1)
	v_min_u32_e32 v2, 1, v2
	v_or_b32_e32 v2, v3, v2
	v_sub_nc_u32_e32 v3, 32, v6
	s_delay_alu instid0(VALU_DEP_2) | instskip(NEXT) | instid1(VALU_DEP_1)
	v_cvt_f32_u32_e32 v2, v2
	v_ldexp_f32 v2, v2, v3
	s_branch .LBB400_148
.LBB400_146:
	s_mov_b32 s13, -1
                                        ; implicit-def: $vgpr2
.LBB400_147:
	s_mov_b32 s11, 0
.LBB400_148:
	s_delay_alu instid0(SALU_CYCLE_1)
	s_and_b32 vcc_lo, exec_lo, s11
	s_cbranch_vccz .LBB400_166
; %bb.149:
	v_cmp_gt_i16_e32 vcc_lo, 27, v5
	s_cbranch_vccnz .LBB400_152
; %bb.150:
	v_cmp_lt_i16_e32 vcc_lo, 27, v5
	s_cbranch_vccz .LBB400_153
; %bb.151:
	global_load_b32 v2, v[0:1], off
	s_mov_b32 s0, 0
	s_waitcnt vmcnt(0)
	v_cvt_f32_u32_e32 v2, v2
	s_branch .LBB400_154
.LBB400_152:
	s_mov_b32 s0, -1
                                        ; implicit-def: $vgpr2
	s_branch .LBB400_157
.LBB400_153:
	s_mov_b32 s0, -1
                                        ; implicit-def: $vgpr2
.LBB400_154:
	s_delay_alu instid0(SALU_CYCLE_1)
	s_and_not1_b32 vcc_lo, exec_lo, s0
	s_cbranch_vccnz .LBB400_156
; %bb.155:
	global_load_u16 v2, v[0:1], off
	s_waitcnt vmcnt(0)
	v_cvt_f32_u32_e32 v2, v2
.LBB400_156:
	s_mov_b32 s0, 0
.LBB400_157:
	s_delay_alu instid0(SALU_CYCLE_1)
	s_and_not1_b32 vcc_lo, exec_lo, s0
	s_cbranch_vccnz .LBB400_165
; %bb.158:
	global_load_u8 v3, v[0:1], off
	s_mov_b32 s0, 0
	s_mov_b32 s16, exec_lo
                                        ; implicit-def: $sgpr11
	s_waitcnt vmcnt(0)
	v_cmpx_lt_i16_e32 0x7f, v3
	s_xor_b32 s16, exec_lo, s16
	s_cbranch_execz .LBB400_178
; %bb.159:
	s_mov_b32 s0, -1
	s_mov_b32 s17, exec_lo
                                        ; implicit-def: $sgpr11
	v_cmpx_eq_u16_e32 0x80, v3
; %bb.160:
	s_mov_b32 s11, 0x7f800001
	s_xor_b32 s0, exec_lo, -1
; %bb.161:
	s_or_b32 exec_lo, exec_lo, s17
	s_delay_alu instid0(SALU_CYCLE_1)
	s_and_b32 s0, s0, exec_lo
	s_or_saveexec_b32 s16, s16
	v_mov_b32_e32 v2, s11
	s_xor_b32 exec_lo, exec_lo, s16
	s_cbranch_execnz .LBB400_179
.LBB400_162:
	s_or_b32 exec_lo, exec_lo, s16
	s_and_saveexec_b32 s11, s0
	s_cbranch_execz .LBB400_164
.LBB400_163:
	v_and_b32_e32 v2, 0xffff, v3
	s_delay_alu instid0(VALU_DEP_1) | instskip(NEXT) | instid1(VALU_DEP_1)
	v_and_b32_e32 v6, 7, v2
	v_clz_i32_u32_e32 v7, v6
	s_delay_alu instid0(VALU_DEP_1) | instskip(NEXT) | instid1(VALU_DEP_1)
	v_min_u32_e32 v7, 32, v7
	v_subrev_nc_u32_e32 v8, 28, v7
	v_sub_nc_u32_e32 v7, 29, v7
	s_delay_alu instid0(VALU_DEP_2) | instskip(SKIP_1) | instid1(VALU_DEP_2)
	v_lshlrev_b32_e32 v8, v8, v2
	v_bfe_u32 v2, v2, 3, 4
	v_and_b32_e32 v8, 7, v8
	s_delay_alu instid0(VALU_DEP_2) | instskip(NEXT) | instid1(VALU_DEP_2)
	v_cmp_eq_u32_e32 vcc_lo, 0, v2
	v_dual_cndmask_b32 v6, v6, v8 :: v_dual_lshlrev_b32 v3, 24, v3
	v_cndmask_b32_e32 v2, v2, v7, vcc_lo
	s_delay_alu instid0(VALU_DEP_2) | instskip(NEXT) | instid1(VALU_DEP_3)
	v_and_b32_e32 v3, 0x80000000, v3
	v_lshlrev_b32_e32 v6, 20, v6
	s_delay_alu instid0(VALU_DEP_3) | instskip(NEXT) | instid1(VALU_DEP_1)
	v_lshl_add_u32 v2, v2, 23, 0x3b800000
	v_or3_b32 v2, v3, v2, v6
.LBB400_164:
	s_or_b32 exec_lo, exec_lo, s11
.LBB400_165:
	s_mov_b32 s0, -1
.LBB400_166:
	s_branch .LBB400_201
.LBB400_167:
	v_cmp_lt_i16_e32 vcc_lo, 22, v5
	s_cbranch_vccz .LBB400_177
; %bb.168:
	v_cmp_gt_i16_e32 vcc_lo, 24, v5
	s_cbranch_vccnz .LBB400_180
; %bb.169:
	v_cmp_lt_i16_e32 vcc_lo, 24, v5
	s_cbranch_vccz .LBB400_181
; %bb.170:
	global_load_u8 v3, v[0:1], off
	s_mov_b32 s0, 0
	s_mov_b32 s16, exec_lo
                                        ; implicit-def: $sgpr11
	s_waitcnt vmcnt(0)
	v_cmpx_lt_i16_e32 0x7f, v3
	s_xor_b32 s16, exec_lo, s16
	s_cbranch_execz .LBB400_193
; %bb.171:
	s_mov_b32 s0, -1
	s_mov_b32 s17, exec_lo
                                        ; implicit-def: $sgpr11
	v_cmpx_eq_u16_e32 0x80, v3
; %bb.172:
	s_mov_b32 s11, 0x7f800001
	s_xor_b32 s0, exec_lo, -1
; %bb.173:
	s_or_b32 exec_lo, exec_lo, s17
	s_delay_alu instid0(SALU_CYCLE_1)
	s_and_b32 s0, s0, exec_lo
	s_or_saveexec_b32 s16, s16
	v_mov_b32_e32 v2, s11
	s_xor_b32 exec_lo, exec_lo, s16
	s_cbranch_execnz .LBB400_194
.LBB400_174:
	s_or_b32 exec_lo, exec_lo, s16
	s_and_saveexec_b32 s11, s0
	s_cbranch_execz .LBB400_176
.LBB400_175:
	v_and_b32_e32 v2, 0xffff, v3
	s_delay_alu instid0(VALU_DEP_1) | instskip(NEXT) | instid1(VALU_DEP_1)
	v_and_b32_e32 v6, 3, v2
	v_clz_i32_u32_e32 v7, v6
	s_delay_alu instid0(VALU_DEP_1) | instskip(NEXT) | instid1(VALU_DEP_1)
	v_min_u32_e32 v7, 32, v7
	v_subrev_nc_u32_e32 v8, 29, v7
	v_sub_nc_u32_e32 v7, 30, v7
	s_delay_alu instid0(VALU_DEP_2) | instskip(SKIP_1) | instid1(VALU_DEP_2)
	v_lshlrev_b32_e32 v8, v8, v2
	v_bfe_u32 v2, v2, 2, 5
	v_and_b32_e32 v8, 3, v8
	s_delay_alu instid0(VALU_DEP_2) | instskip(NEXT) | instid1(VALU_DEP_2)
	v_cmp_eq_u32_e32 vcc_lo, 0, v2
	v_dual_cndmask_b32 v6, v6, v8 :: v_dual_lshlrev_b32 v3, 24, v3
	v_cndmask_b32_e32 v2, v2, v7, vcc_lo
	s_delay_alu instid0(VALU_DEP_2) | instskip(NEXT) | instid1(VALU_DEP_3)
	v_and_b32_e32 v3, 0x80000000, v3
	v_lshlrev_b32_e32 v6, 21, v6
	s_delay_alu instid0(VALU_DEP_3) | instskip(NEXT) | instid1(VALU_DEP_1)
	v_lshl_add_u32 v2, v2, 23, 0x37800000
	v_or3_b32 v2, v3, v2, v6
.LBB400_176:
	s_or_b32 exec_lo, exec_lo, s11
	s_mov_b32 s0, 0
	s_branch .LBB400_182
.LBB400_177:
	s_mov_b32 s11, -1
                                        ; implicit-def: $vgpr2
	s_branch .LBB400_188
.LBB400_178:
	s_or_saveexec_b32 s16, s16
	v_mov_b32_e32 v2, s11
	s_xor_b32 exec_lo, exec_lo, s16
	s_cbranch_execz .LBB400_162
.LBB400_179:
	v_cmp_ne_u16_e32 vcc_lo, 0, v3
	v_mov_b32_e32 v2, 0
	s_and_not1_b32 s0, s0, exec_lo
	s_and_b32 s11, vcc_lo, exec_lo
	s_delay_alu instid0(SALU_CYCLE_1)
	s_or_b32 s0, s0, s11
	s_or_b32 exec_lo, exec_lo, s16
	s_and_saveexec_b32 s11, s0
	s_cbranch_execnz .LBB400_163
	s_branch .LBB400_164
.LBB400_180:
	s_mov_b32 s0, -1
                                        ; implicit-def: $vgpr2
	s_branch .LBB400_185
.LBB400_181:
	s_mov_b32 s0, -1
                                        ; implicit-def: $vgpr2
.LBB400_182:
	s_delay_alu instid0(SALU_CYCLE_1)
	s_and_b32 vcc_lo, exec_lo, s0
	s_cbranch_vccz .LBB400_184
; %bb.183:
	global_load_u8 v2, v[0:1], off
	s_waitcnt vmcnt(0)
	v_lshlrev_b32_e32 v2, 24, v2
	s_delay_alu instid0(VALU_DEP_1) | instskip(NEXT) | instid1(VALU_DEP_1)
	v_and_b32_e32 v3, 0x7f000000, v2
	v_clz_i32_u32_e32 v6, v3
	v_cmp_ne_u32_e32 vcc_lo, 0, v3
	v_add_nc_u32_e32 v8, 0x1000000, v3
	s_delay_alu instid0(VALU_DEP_3) | instskip(NEXT) | instid1(VALU_DEP_1)
	v_min_u32_e32 v6, 32, v6
	v_sub_nc_u32_e64 v6, v6, 4 clamp
	s_delay_alu instid0(VALU_DEP_1) | instskip(SKIP_1) | instid1(VALU_DEP_2)
	v_lshlrev_b32_e32 v7, v6, v3
	v_lshlrev_b32_e32 v6, 23, v6
	v_lshrrev_b32_e32 v7, 4, v7
	s_delay_alu instid0(VALU_DEP_1) | instskip(SKIP_1) | instid1(VALU_DEP_2)
	v_sub_nc_u32_e32 v6, v7, v6
	v_ashrrev_i32_e32 v7, 8, v8
	v_add_nc_u32_e32 v6, 0x3c000000, v6
	s_delay_alu instid0(VALU_DEP_1) | instskip(NEXT) | instid1(VALU_DEP_1)
	v_and_or_b32 v6, 0x7f800000, v7, v6
	v_cndmask_b32_e32 v3, 0, v6, vcc_lo
	s_delay_alu instid0(VALU_DEP_1)
	v_and_or_b32 v2, 0x80000000, v2, v3
.LBB400_184:
	s_mov_b32 s0, 0
.LBB400_185:
	s_delay_alu instid0(SALU_CYCLE_1)
	s_and_not1_b32 vcc_lo, exec_lo, s0
	s_cbranch_vccnz .LBB400_187
; %bb.186:
	global_load_u8 v2, v[0:1], off
	s_waitcnt vmcnt(0)
	v_lshlrev_b32_e32 v3, 25, v2
	v_lshlrev_b16 v2, 8, v2
	s_delay_alu instid0(VALU_DEP_2) | instskip(NEXT) | instid1(VALU_DEP_2)
	v_lshrrev_b32_e32 v6, 4, v3
	v_and_or_b32 v7, 0x7f00, v2, 0.5
	v_cmp_gt_u32_e32 vcc_lo, 0x8000000, v3
	v_bfe_i32 v2, v2, 0, 16
	s_delay_alu instid0(VALU_DEP_4) | instskip(NEXT) | instid1(VALU_DEP_1)
	v_or_b32_e32 v6, 0x70000000, v6
	v_dual_add_f32 v7, -0.5, v7 :: v_dual_mul_f32 v6, 0x7800000, v6
	s_delay_alu instid0(VALU_DEP_1) | instskip(NEXT) | instid1(VALU_DEP_1)
	v_cndmask_b32_e32 v3, v6, v7, vcc_lo
	v_and_or_b32 v2, 0x80000000, v2, v3
.LBB400_187:
	s_mov_b32 s11, 0
	s_mov_b32 s0, -1
.LBB400_188:
	s_and_not1_b32 vcc_lo, exec_lo, s11
	s_cbranch_vccnz .LBB400_201
; %bb.189:
	v_cmp_lt_i16_e32 vcc_lo, 14, v5
	s_cbranch_vccz .LBB400_192
; %bb.190:
	v_cmp_eq_u16_e32 vcc_lo, 15, v5
	s_cbranch_vccz .LBB400_195
; %bb.191:
	global_load_u16 v2, v[0:1], off
	s_mov_b32 s0, -1
	s_mov_b32 s13, 0
	s_waitcnt vmcnt(0)
	v_lshlrev_b32_e32 v2, 16, v2
	s_branch .LBB400_196
.LBB400_192:
	s_mov_b32 s11, -1
                                        ; implicit-def: $vgpr2
	s_branch .LBB400_197
.LBB400_193:
	s_or_saveexec_b32 s16, s16
	v_mov_b32_e32 v2, s11
	s_xor_b32 exec_lo, exec_lo, s16
	s_cbranch_execz .LBB400_174
.LBB400_194:
	v_cmp_ne_u16_e32 vcc_lo, 0, v3
	v_mov_b32_e32 v2, 0
	s_and_not1_b32 s0, s0, exec_lo
	s_and_b32 s11, vcc_lo, exec_lo
	s_delay_alu instid0(SALU_CYCLE_1)
	s_or_b32 s0, s0, s11
	s_or_b32 exec_lo, exec_lo, s16
	s_and_saveexec_b32 s11, s0
	s_cbranch_execnz .LBB400_175
	s_branch .LBB400_176
.LBB400_195:
	s_mov_b32 s13, -1
                                        ; implicit-def: $vgpr2
.LBB400_196:
	s_mov_b32 s11, 0
.LBB400_197:
	s_delay_alu instid0(SALU_CYCLE_1)
	s_and_b32 vcc_lo, exec_lo, s11
	s_cbranch_vccz .LBB400_201
; %bb.198:
	v_cmp_eq_u16_e32 vcc_lo, 11, v5
	s_cbranch_vccz .LBB400_200
; %bb.199:
	global_load_u8 v2, v[0:1], off
	s_mov_b32 s13, 0
	s_mov_b32 s0, -1
	s_waitcnt vmcnt(0)
	v_cmp_ne_u16_e32 vcc_lo, 0, v2
	v_cndmask_b32_e64 v2, 0, 1.0, vcc_lo
	s_branch .LBB400_201
.LBB400_200:
	s_mov_b32 s13, -1
                                        ; implicit-def: $vgpr2
.LBB400_201:
	s_branch .LBB400_10
.LBB400_202:
	v_cmp_gt_i16_e32 vcc_lo, 5, v5
	s_cbranch_vccnz .LBB400_207
; %bb.203:
	v_cmp_gt_i16_e32 vcc_lo, 8, v5
	s_cbranch_vccnz .LBB400_208
; %bb.204:
	;; [unrolled: 3-line block ×3, first 2 shown]
	v_cmp_lt_i16_e32 vcc_lo, 9, v5
	s_cbranch_vccz .LBB400_210
; %bb.206:
	global_load_b64 v[2:3], v[0:1], off
	s_mov_b32 s0, 0
	s_waitcnt vmcnt(0)
	v_cvt_f32_f64_e32 v2, v[2:3]
	s_branch .LBB400_211
.LBB400_207:
                                        ; implicit-def: $vgpr2
	s_branch .LBB400_229
.LBB400_208:
	s_mov_b32 s0, -1
                                        ; implicit-def: $vgpr2
	s_branch .LBB400_217
.LBB400_209:
	s_mov_b32 s0, -1
                                        ; implicit-def: $vgpr2
	s_branch .LBB400_214
.LBB400_210:
	s_mov_b32 s0, -1
                                        ; implicit-def: $vgpr2
.LBB400_211:
	s_delay_alu instid0(SALU_CYCLE_1)
	s_and_not1_b32 vcc_lo, exec_lo, s0
	s_cbranch_vccnz .LBB400_213
; %bb.212:
	global_load_b32 v2, v[0:1], off
.LBB400_213:
	s_mov_b32 s0, 0
.LBB400_214:
	s_delay_alu instid0(SALU_CYCLE_1)
	s_and_not1_b32 vcc_lo, exec_lo, s0
	s_cbranch_vccnz .LBB400_216
; %bb.215:
	global_load_b32 v2, v[0:1], off
	s_waitcnt vmcnt(0)
	v_cvt_f32_f16_e32 v2, v2
.LBB400_216:
	s_mov_b32 s0, 0
.LBB400_217:
	s_delay_alu instid0(SALU_CYCLE_1)
	s_and_not1_b32 vcc_lo, exec_lo, s0
	s_cbranch_vccnz .LBB400_228
; %bb.218:
	v_cmp_gt_i16_e32 vcc_lo, 6, v5
	s_cbranch_vccnz .LBB400_221
; %bb.219:
	v_cmp_lt_i16_e32 vcc_lo, 6, v5
	s_cbranch_vccz .LBB400_222
; %bb.220:
	global_load_b64 v[2:3], v[0:1], off
	s_mov_b32 s0, 0
	s_waitcnt vmcnt(0)
	v_cvt_f32_f64_e32 v2, v[2:3]
	s_branch .LBB400_223
.LBB400_221:
	s_mov_b32 s0, -1
                                        ; implicit-def: $vgpr2
	s_branch .LBB400_226
.LBB400_222:
	s_mov_b32 s0, -1
                                        ; implicit-def: $vgpr2
.LBB400_223:
	s_delay_alu instid0(SALU_CYCLE_1)
	s_and_not1_b32 vcc_lo, exec_lo, s0
	s_cbranch_vccnz .LBB400_225
; %bb.224:
	global_load_b32 v2, v[0:1], off
.LBB400_225:
	s_mov_b32 s0, 0
.LBB400_226:
	s_delay_alu instid0(SALU_CYCLE_1)
	s_and_not1_b32 vcc_lo, exec_lo, s0
	s_cbranch_vccnz .LBB400_228
; %bb.227:
	global_load_u16 v2, v[0:1], off
	s_waitcnt vmcnt(0)
	v_cvt_f32_f16_e32 v2, v2
.LBB400_228:
	s_cbranch_execnz .LBB400_248
.LBB400_229:
	v_cmp_gt_i16_e32 vcc_lo, 2, v5
	s_cbranch_vccnz .LBB400_233
; %bb.230:
	v_cmp_gt_i16_e32 vcc_lo, 3, v5
	s_cbranch_vccnz .LBB400_234
; %bb.231:
	v_cmp_lt_i16_e32 vcc_lo, 3, v5
	s_cbranch_vccz .LBB400_235
; %bb.232:
	global_load_b64 v[2:3], v[0:1], off
	s_mov_b32 s0, 0
	s_waitcnt vmcnt(0)
	v_xor_b32_e32 v6, v2, v3
	v_cls_i32_e32 v7, v3
	s_delay_alu instid0(VALU_DEP_2) | instskip(NEXT) | instid1(VALU_DEP_2)
	v_ashrrev_i32_e32 v6, 31, v6
	v_add_nc_u32_e32 v7, -1, v7
	s_delay_alu instid0(VALU_DEP_2) | instskip(NEXT) | instid1(VALU_DEP_1)
	v_add_nc_u32_e32 v6, 32, v6
	v_min_u32_e32 v6, v7, v6
	s_delay_alu instid0(VALU_DEP_1) | instskip(NEXT) | instid1(VALU_DEP_1)
	v_lshlrev_b64 v[2:3], v6, v[2:3]
	v_min_u32_e32 v2, 1, v2
	s_delay_alu instid0(VALU_DEP_1) | instskip(SKIP_1) | instid1(VALU_DEP_2)
	v_or_b32_e32 v2, v3, v2
	v_sub_nc_u32_e32 v3, 32, v6
	v_cvt_f32_i32_e32 v2, v2
	s_delay_alu instid0(VALU_DEP_1)
	v_ldexp_f32 v2, v2, v3
	s_branch .LBB400_236
.LBB400_233:
	s_mov_b32 s0, -1
                                        ; implicit-def: $vgpr2
	s_branch .LBB400_242
.LBB400_234:
	s_mov_b32 s0, -1
                                        ; implicit-def: $vgpr2
	s_branch .LBB400_239
.LBB400_235:
	s_mov_b32 s0, -1
                                        ; implicit-def: $vgpr2
.LBB400_236:
	s_delay_alu instid0(SALU_CYCLE_1)
	s_and_not1_b32 vcc_lo, exec_lo, s0
	s_cbranch_vccnz .LBB400_238
; %bb.237:
	global_load_b32 v2, v[0:1], off
	s_waitcnt vmcnt(0)
	v_cvt_f32_i32_e32 v2, v2
.LBB400_238:
	s_mov_b32 s0, 0
.LBB400_239:
	s_delay_alu instid0(SALU_CYCLE_1)
	s_and_not1_b32 vcc_lo, exec_lo, s0
	s_cbranch_vccnz .LBB400_241
; %bb.240:
	global_load_i16 v2, v[0:1], off
	s_waitcnt vmcnt(0)
	v_cvt_f32_i32_e32 v2, v2
.LBB400_241:
	s_mov_b32 s0, 0
.LBB400_242:
	s_delay_alu instid0(SALU_CYCLE_1)
	s_and_not1_b32 vcc_lo, exec_lo, s0
	s_cbranch_vccnz .LBB400_248
; %bb.243:
	v_cmp_lt_i16_e32 vcc_lo, 0, v5
	s_mov_b32 s0, 0
	s_cbranch_vccz .LBB400_245
; %bb.244:
	global_load_i8 v2, v[0:1], off
	s_waitcnt vmcnt(0)
	v_cvt_f32_i32_e32 v2, v2
	s_branch .LBB400_246
.LBB400_245:
	s_mov_b32 s0, -1
                                        ; implicit-def: $vgpr2
.LBB400_246:
	s_delay_alu instid0(SALU_CYCLE_1)
	s_and_not1_b32 vcc_lo, exec_lo, s0
	s_cbranch_vccnz .LBB400_248
; %bb.247:
	global_load_u8 v0, v[0:1], off
	s_waitcnt vmcnt(0)
	v_cvt_f32_ubyte0_e32 v2, v0
.LBB400_248:
	s_branch .LBB400_11
.LBB400_249:
	s_mov_b32 s0, 0
.LBB400_250:
	s_mov_b32 s16, 0
                                        ; implicit-def: $vgpr4
.LBB400_251:
	s_and_b32 s11, s0, exec_lo
	s_and_b32 s13, s13, exec_lo
	s_or_not1_b32 s17, s16, exec_lo
.LBB400_252:
	s_or_b32 exec_lo, exec_lo, s14
	s_mov_b32 s16, 0
	s_mov_b32 s0, 0
                                        ; implicit-def: $vgpr0_vgpr1
                                        ; implicit-def: $vgpr3
	s_and_saveexec_b32 s14, s17
	s_cbranch_execz .LBB400_860
; %bb.253:
	s_mov_b32 s19, -1
	s_mov_b32 s15, s13
	s_mov_b32 s16, s11
	s_mov_b32 s17, exec_lo
	v_cmpx_gt_i32_e64 s12, v4
	s_cbranch_execz .LBB400_512
; %bb.254:
	v_mul_lo_u32 v0, v4, s9
	v_cmp_gt_i16_e32 vcc_lo, 11, v5
	s_delay_alu instid0(VALU_DEP_2) | instskip(SKIP_1) | instid1(VALU_DEP_1)
	v_ashrrev_i32_e32 v1, 31, v0
	v_add_co_u32 v0, s0, s6, v0
	v_add_co_ci_u32_e64 v1, s0, s7, v1, s0
	s_cbranch_vccnz .LBB400_261
; %bb.255:
	v_cmp_lt_i16_e32 vcc_lo, 25, v5
	s_cbranch_vccz .LBB400_270
; %bb.256:
	v_cmp_lt_i16_e32 vcc_lo, 28, v5
	s_cbranch_vccz .LBB400_272
	;; [unrolled: 3-line block ×4, first 2 shown]
; %bb.259:
	v_cmp_eq_u16_e32 vcc_lo, 46, v5
	s_mov_b32 s16, 0
	s_cbranch_vccz .LBB400_282
; %bb.260:
	global_load_b32 v2, v[0:1], off
	s_mov_b32 s0, -1
	s_mov_b32 s15, 0
	s_waitcnt vmcnt(0)
	v_lshlrev_b32_e32 v2, 16, v2
	s_branch .LBB400_284
.LBB400_261:
	s_mov_b32 s0, 0
	s_mov_b32 s15, s13
                                        ; implicit-def: $vgpr2
	s_cbranch_execnz .LBB400_461
.LBB400_262:
	s_and_not1_b32 vcc_lo, exec_lo, s0
	s_cbranch_vccnz .LBB400_509
.LBB400_263:
	v_mul_lo_u32 v3, v4, s8
	v_max_f32_e64 v0, s10, s10
	s_waitcnt vmcnt(0)
	s_delay_alu instid0(VALU_DEP_3) | instskip(SKIP_2) | instid1(VALU_DEP_3)
	v_max_f32_e32 v1, v2, v2
	v_and_b32_e64 v6, 0xff, s2
	v_cmp_u_f32_e64 s0, v2, v2
	v_max_f32_e32 v0, v1, v0
	v_ashrrev_i32_e32 v1, 31, v3
	s_delay_alu instid0(VALU_DEP_4) | instskip(NEXT) | instid1(VALU_DEP_3)
	v_cmp_gt_i16_e32 vcc_lo, 11, v6
	v_cndmask_b32_e64 v2, v0, v2, s0
	v_add_co_u32 v0, s0, s4, v3
	s_delay_alu instid0(VALU_DEP_1)
	v_add_co_ci_u32_e64 v1, s0, s5, v1, s0
	s_cbranch_vccnz .LBB400_271
; %bb.264:
	v_cmp_lt_i16_e32 vcc_lo, 25, v6
	s_cbranch_vccz .LBB400_273
; %bb.265:
	v_cmp_lt_i16_e32 vcc_lo, 28, v6
	s_cbranch_vccz .LBB400_275
	;; [unrolled: 3-line block ×4, first 2 shown]
; %bb.268:
	v_cmp_eq_u16_e32 vcc_lo, 46, v6
	s_mov_b32 s18, 0
	s_mov_b32 s0, -1
	s_mov_b32 s16, 0
	s_cbranch_vccz .LBB400_288
; %bb.269:
	v_bfe_u32 v3, v2, 16, 1
	v_cmp_o_f32_e32 vcc_lo, v2, v2
	s_mov_b32 s16, -1
	s_mov_b32 s0, 0
	s_delay_alu instid0(VALU_DEP_2) | instskip(NEXT) | instid1(VALU_DEP_1)
	v_add3_u32 v3, v2, v3, 0x7fff
	v_lshrrev_b32_e32 v3, 16, v3
	s_delay_alu instid0(VALU_DEP_1)
	v_cndmask_b32_e32 v3, 0x7fc0, v3, vcc_lo
	global_store_b32 v[0:1], v3, off
	s_branch .LBB400_288
.LBB400_270:
	s_mov_b32 s16, -1
	s_mov_b32 s0, 0
	s_mov_b32 s15, s13
                                        ; implicit-def: $vgpr2
	s_branch .LBB400_425
.LBB400_271:
	s_mov_b32 s18, -1
	s_mov_b32 s16, 0
	s_mov_b32 s0, s11
	s_branch .LBB400_357
.LBB400_272:
	s_mov_b32 s16, -1
	s_mov_b32 s0, 0
	s_mov_b32 s15, s13
                                        ; implicit-def: $vgpr2
	s_branch .LBB400_406
.LBB400_273:
	s_mov_b32 s18, -1
	s_mov_b32 s16, 0
	s_mov_b32 s0, s11
	s_branch .LBB400_315
.LBB400_274:
	s_mov_b32 s16, -1
	s_mov_b32 s0, 0
	s_mov_b32 s15, s13
                                        ; implicit-def: $vgpr2
	s_branch .LBB400_401
.LBB400_275:
	s_mov_b32 s18, -1
	s_mov_b32 s16, 0
	s_mov_b32 s0, s11
	s_branch .LBB400_298
.LBB400_276:
	s_or_saveexec_b32 s17, s17
                                        ; implicit-def: $sgpr18
	s_delay_alu instid0(SALU_CYCLE_1)
	s_xor_b32 exec_lo, exec_lo, s17
	s_cbranch_execz .LBB400_54
.LBB400_277:
	v_add_f32_e64 v3, 0x46000000, |v2|
	s_and_not1_b32 s16, s16, exec_lo
	s_mov_b32 s18, 0
	s_delay_alu instid0(VALU_DEP_1) | instskip(NEXT) | instid1(VALU_DEP_1)
	v_and_b32_e32 v3, 0xff, v3
	v_cmp_ne_u32_e32 vcc_lo, 0, v3
	s_and_b32 s19, vcc_lo, exec_lo
	s_delay_alu instid0(SALU_CYCLE_1)
	s_or_b32 s16, s16, s19
	s_or_b32 exec_lo, exec_lo, s17
	v_mov_b32_e32 v7, s18
	s_and_saveexec_b32 s17, s16
	s_cbranch_execnz .LBB400_55
	s_branch .LBB400_56
.LBB400_278:
	s_mov_b32 s16, -1
	s_mov_b32 s0, 0
	s_mov_b32 s15, s13
	s_branch .LBB400_283
.LBB400_279:
	s_mov_b32 s18, -1
	s_mov_b32 s16, 0
	s_mov_b32 s0, s11
	s_branch .LBB400_294
.LBB400_280:
	s_or_saveexec_b32 s17, s17
                                        ; implicit-def: $sgpr18
	s_delay_alu instid0(SALU_CYCLE_1)
	s_xor_b32 exec_lo, exec_lo, s17
	s_cbranch_execz .LBB400_67
.LBB400_281:
	v_add_f32_e64 v3, 0x42800000, |v2|
	s_and_not1_b32 s16, s16, exec_lo
	s_mov_b32 s18, 0
	s_delay_alu instid0(VALU_DEP_1) | instskip(NEXT) | instid1(VALU_DEP_1)
	v_and_b32_e32 v3, 0xff, v3
	v_cmp_ne_u32_e32 vcc_lo, 0, v3
	s_and_b32 s19, vcc_lo, exec_lo
	s_delay_alu instid0(SALU_CYCLE_1)
	s_or_b32 s16, s16, s19
	s_or_b32 exec_lo, exec_lo, s17
	v_mov_b32_e32 v7, s18
	s_and_saveexec_b32 s17, s16
	s_cbranch_execnz .LBB400_68
	s_branch .LBB400_69
.LBB400_282:
	s_mov_b32 s15, -1
	s_mov_b32 s0, 0
.LBB400_283:
                                        ; implicit-def: $vgpr2
.LBB400_284:
	s_and_b32 vcc_lo, exec_lo, s16
	s_cbranch_vccz .LBB400_400
; %bb.285:
	v_cmp_eq_u16_e32 vcc_lo, 44, v5
	s_cbranch_vccz .LBB400_399
; %bb.286:
	global_load_u8 v2, v[0:1], off
	s_mov_b32 s15, 0
	s_mov_b32 s0, -1
	s_waitcnt vmcnt(0)
	v_lshlrev_b32_e32 v3, 23, v2
	v_cmp_ne_u32_e32 vcc_lo, 0xff, v2
	s_delay_alu instid0(VALU_DEP_2) | instskip(SKIP_1) | instid1(VALU_DEP_2)
	v_cndmask_b32_e32 v3, 0x7f800001, v3, vcc_lo
	v_cmp_ne_u32_e32 vcc_lo, 0, v2
	v_cndmask_b32_e32 v2, 0x400000, v3, vcc_lo
	s_branch .LBB400_400
.LBB400_287:
	s_mov_b32 s18, -1
	s_mov_b32 s16, 0
	s_mov_b32 s0, s11
.LBB400_288:
	s_and_b32 vcc_lo, exec_lo, s18
	s_cbranch_vccz .LBB400_293
; %bb.289:
	v_cmp_eq_u16_e32 vcc_lo, 44, v6
	s_mov_b32 s0, -1
	s_cbranch_vccz .LBB400_293
; %bb.290:
	v_bfe_u32 v7, v2, 23, 8
	v_mov_b32_e32 v3, 0xff
	s_mov_b32 s16, exec_lo
	s_delay_alu instid0(VALU_DEP_2)
	v_cmpx_ne_u32_e32 0xff, v7
; %bb.291:
	v_and_b32_e32 v3, 0x400000, v2
	v_and_or_b32 v7, 0x3fffff, v2, v7
	s_delay_alu instid0(VALU_DEP_2) | instskip(NEXT) | instid1(VALU_DEP_2)
	v_cmp_ne_u32_e32 vcc_lo, 0, v3
	v_cmp_ne_u32_e64 s0, 0, v7
	v_lshrrev_b32_e32 v3, 23, v2
	s_delay_alu instid0(VALU_DEP_2) | instskip(NEXT) | instid1(SALU_CYCLE_1)
	s_and_b32 s0, vcc_lo, s0
	v_cndmask_b32_e64 v7, 0, 1, s0
	s_delay_alu instid0(VALU_DEP_1)
	v_add_nc_u32_e32 v3, v3, v7
; %bb.292:
	s_or_b32 exec_lo, exec_lo, s16
	s_mov_b32 s16, -1
	s_mov_b32 s0, 0
	global_store_b8 v[0:1], v3, off
.LBB400_293:
	s_mov_b32 s18, 0
.LBB400_294:
	s_delay_alu instid0(SALU_CYCLE_1)
	s_and_b32 vcc_lo, exec_lo, s18
	s_cbranch_vccz .LBB400_297
; %bb.295:
	v_cmp_eq_u16_e32 vcc_lo, 29, v6
	s_mov_b32 s0, -1
	s_cbranch_vccz .LBB400_297
; %bb.296:
	v_trunc_f32_e32 v3, v2
	s_mov_b32 s16, -1
	s_mov_b32 s0, 0
	s_mov_b32 s18, 0
	s_delay_alu instid0(VALU_DEP_1) | instskip(NEXT) | instid1(VALU_DEP_1)
	v_mul_f32_e32 v7, 0x2f800000, v3
	v_floor_f32_e32 v7, v7
	s_delay_alu instid0(VALU_DEP_1) | instskip(SKIP_1) | instid1(VALU_DEP_2)
	v_fmamk_f32 v3, v7, 0xcf800000, v3
	v_cvt_u32_f32_e32 v8, v7
	v_cvt_u32_f32_e32 v7, v3
	global_store_b64 v[0:1], v[7:8], off
	s_branch .LBB400_298
.LBB400_297:
	s_mov_b32 s18, 0
.LBB400_298:
	s_delay_alu instid0(SALU_CYCLE_1)
	s_and_b32 vcc_lo, exec_lo, s18
	s_cbranch_vccz .LBB400_314
; %bb.299:
	v_cmp_gt_i16_e32 vcc_lo, 27, v6
	s_mov_b32 s16, -1
	s_cbranch_vccnz .LBB400_305
; %bb.300:
	v_cmp_lt_i16_e32 vcc_lo, 27, v6
	s_cbranch_vccz .LBB400_302
; %bb.301:
	v_cvt_u32_f32_e32 v3, v2
	s_mov_b32 s16, 0
	global_store_b32 v[0:1], v3, off
.LBB400_302:
	s_and_not1_b32 vcc_lo, exec_lo, s16
	s_cbranch_vccnz .LBB400_304
; %bb.303:
	v_cvt_u32_f32_e32 v3, v2
	global_store_b16 v[0:1], v3, off
.LBB400_304:
	s_mov_b32 s16, 0
.LBB400_305:
	s_delay_alu instid0(SALU_CYCLE_1)
	s_and_not1_b32 vcc_lo, exec_lo, s16
	s_cbranch_vccnz .LBB400_313
; %bb.306:
	v_and_b32_e32 v3, 0x7fffffff, v2
	v_mov_b32_e32 v7, 0x80
	s_mov_b32 s16, exec_lo
	s_delay_alu instid0(VALU_DEP_2)
	v_cmpx_gt_u32_e32 0x43800000, v3
	s_cbranch_execz .LBB400_312
; %bb.307:
	v_cmp_lt_u32_e32 vcc_lo, 0x3bffffff, v3
	s_mov_b32 s18, 0
                                        ; implicit-def: $vgpr3
	s_and_saveexec_b32 s19, vcc_lo
	s_delay_alu instid0(SALU_CYCLE_1)
	s_xor_b32 s19, exec_lo, s19
	s_cbranch_execz .LBB400_525
; %bb.308:
	v_bfe_u32 v3, v2, 20, 1
	s_mov_b32 s18, exec_lo
	s_delay_alu instid0(VALU_DEP_1) | instskip(NEXT) | instid1(VALU_DEP_1)
	v_add3_u32 v3, v2, v3, 0x487ffff
	v_lshrrev_b32_e32 v3, 20, v3
	s_or_saveexec_b32 s19, s19
                                        ; implicit-def: $sgpr20
	s_delay_alu instid0(SALU_CYCLE_1)
	s_xor_b32 exec_lo, exec_lo, s19
	s_cbranch_execnz .LBB400_526
.LBB400_309:
	s_or_b32 exec_lo, exec_lo, s19
	v_mov_b32_e32 v7, s20
	s_and_saveexec_b32 s19, s18
.LBB400_310:
	v_lshrrev_b32_e32 v7, 24, v2
	s_delay_alu instid0(VALU_DEP_1)
	v_and_or_b32 v7, 0x80, v7, v3
.LBB400_311:
	s_or_b32 exec_lo, exec_lo, s19
.LBB400_312:
	s_delay_alu instid0(SALU_CYCLE_1)
	s_or_b32 exec_lo, exec_lo, s16
	global_store_b8 v[0:1], v7, off
.LBB400_313:
	s_mov_b32 s16, -1
.LBB400_314:
	s_mov_b32 s18, 0
.LBB400_315:
	s_delay_alu instid0(SALU_CYCLE_1)
	s_and_b32 vcc_lo, exec_lo, s18
	s_cbranch_vccz .LBB400_356
; %bb.316:
	v_cmp_lt_i16_e32 vcc_lo, 22, v6
	s_mov_b32 s18, -1
	s_cbranch_vccz .LBB400_348
; %bb.317:
	v_cmp_gt_i16_e32 vcc_lo, 24, v6
	s_mov_b32 s16, -1
	s_cbranch_vccnz .LBB400_337
; %bb.318:
	v_cmp_lt_i16_e32 vcc_lo, 24, v6
	s_cbranch_vccz .LBB400_326
; %bb.319:
	v_and_b32_e32 v3, 0x7fffffff, v2
	v_mov_b32_e32 v7, 0x80
	s_mov_b32 s16, exec_lo
	s_delay_alu instid0(VALU_DEP_2)
	v_cmpx_gt_u32_e32 0x47800000, v3
	s_cbranch_execz .LBB400_325
; %bb.320:
	v_cmp_lt_u32_e32 vcc_lo, 0x37ffffff, v3
	s_mov_b32 s18, 0
                                        ; implicit-def: $vgpr3
	s_and_saveexec_b32 s19, vcc_lo
	s_delay_alu instid0(SALU_CYCLE_1)
	s_xor_b32 s19, exec_lo, s19
	s_cbranch_execz .LBB400_528
; %bb.321:
	v_bfe_u32 v3, v2, 21, 1
	s_mov_b32 s18, exec_lo
	s_delay_alu instid0(VALU_DEP_1) | instskip(NEXT) | instid1(VALU_DEP_1)
	v_add3_u32 v3, v2, v3, 0x88fffff
	v_lshrrev_b32_e32 v3, 21, v3
	s_or_saveexec_b32 s19, s19
                                        ; implicit-def: $sgpr20
	s_delay_alu instid0(SALU_CYCLE_1)
	s_xor_b32 exec_lo, exec_lo, s19
	s_cbranch_execnz .LBB400_529
.LBB400_322:
	s_or_b32 exec_lo, exec_lo, s19
	v_mov_b32_e32 v7, s20
	s_and_saveexec_b32 s19, s18
.LBB400_323:
	v_lshrrev_b32_e32 v7, 24, v2
	s_delay_alu instid0(VALU_DEP_1)
	v_and_or_b32 v7, 0x80, v7, v3
.LBB400_324:
	s_or_b32 exec_lo, exec_lo, s19
.LBB400_325:
	s_delay_alu instid0(SALU_CYCLE_1)
	s_or_b32 exec_lo, exec_lo, s16
	s_mov_b32 s16, 0
	global_store_b8 v[0:1], v7, off
.LBB400_326:
	s_and_b32 vcc_lo, exec_lo, s16
	s_cbranch_vccz .LBB400_336
; %bb.327:
	v_and_b32_e32 v7, 0x7fffffff, v2
	s_mov_b32 s16, exec_lo
                                        ; implicit-def: $vgpr3
	s_delay_alu instid0(VALU_DEP_1)
	v_cmpx_gt_u32_e32 0x43f00000, v7
	s_xor_b32 s16, exec_lo, s16
	s_cbranch_execz .LBB400_333
; %bb.328:
	s_mov_b32 s18, exec_lo
                                        ; implicit-def: $vgpr3
	v_cmpx_lt_u32_e32 0x3c7fffff, v7
	s_xor_b32 s18, exec_lo, s18
; %bb.329:
	v_bfe_u32 v3, v2, 20, 1
	s_delay_alu instid0(VALU_DEP_1) | instskip(NEXT) | instid1(VALU_DEP_1)
	v_add3_u32 v3, v2, v3, 0x407ffff
	v_and_b32_e32 v7, 0xff00000, v3
	v_lshrrev_b32_e32 v3, 20, v3
	s_delay_alu instid0(VALU_DEP_2) | instskip(NEXT) | instid1(VALU_DEP_2)
	v_cmp_ne_u32_e32 vcc_lo, 0x7f00000, v7
	v_cndmask_b32_e32 v3, 0x7e, v3, vcc_lo
; %bb.330:
	s_and_not1_saveexec_b32 s18, s18
; %bb.331:
	v_add_f32_e64 v3, 0x46800000, |v2|
; %bb.332:
	s_or_b32 exec_lo, exec_lo, s18
                                        ; implicit-def: $vgpr7
.LBB400_333:
	s_and_not1_saveexec_b32 s16, s16
; %bb.334:
	v_mov_b32_e32 v3, 0x7f
	v_cmp_lt_u32_e32 vcc_lo, 0x7f800000, v7
	s_delay_alu instid0(VALU_DEP_2)
	v_cndmask_b32_e32 v3, 0x7e, v3, vcc_lo
; %bb.335:
	s_or_b32 exec_lo, exec_lo, s16
	v_lshrrev_b32_e32 v7, 24, v2
	s_delay_alu instid0(VALU_DEP_1)
	v_and_or_b32 v3, 0x80, v7, v3
	global_store_b8 v[0:1], v3, off
.LBB400_336:
	s_mov_b32 s16, 0
.LBB400_337:
	s_delay_alu instid0(SALU_CYCLE_1)
	s_and_not1_b32 vcc_lo, exec_lo, s16
	s_cbranch_vccnz .LBB400_347
; %bb.338:
	v_and_b32_e32 v7, 0x7fffffff, v2
	s_mov_b32 s16, exec_lo
                                        ; implicit-def: $vgpr3
	s_delay_alu instid0(VALU_DEP_1)
	v_cmpx_gt_u32_e32 0x47800000, v7
	s_xor_b32 s16, exec_lo, s16
	s_cbranch_execz .LBB400_344
; %bb.339:
	s_mov_b32 s18, exec_lo
                                        ; implicit-def: $vgpr3
	v_cmpx_lt_u32_e32 0x387fffff, v7
	s_xor_b32 s18, exec_lo, s18
; %bb.340:
	v_bfe_u32 v3, v2, 21, 1
	s_delay_alu instid0(VALU_DEP_1) | instskip(NEXT) | instid1(VALU_DEP_1)
	v_add3_u32 v3, v2, v3, 0x80fffff
	v_lshrrev_b32_e32 v3, 21, v3
; %bb.341:
	s_and_not1_saveexec_b32 s18, s18
; %bb.342:
	v_add_f32_e64 v3, 0x43000000, |v2|
; %bb.343:
	s_or_b32 exec_lo, exec_lo, s18
                                        ; implicit-def: $vgpr7
.LBB400_344:
	s_and_not1_saveexec_b32 s16, s16
; %bb.345:
	v_mov_b32_e32 v3, 0x7f
	v_cmp_lt_u32_e32 vcc_lo, 0x7f800000, v7
	s_delay_alu instid0(VALU_DEP_2)
	v_cndmask_b32_e32 v3, 0x7c, v3, vcc_lo
; %bb.346:
	s_or_b32 exec_lo, exec_lo, s16
	v_lshrrev_b32_e32 v7, 24, v2
	s_delay_alu instid0(VALU_DEP_1)
	v_and_or_b32 v3, 0x80, v7, v3
	global_store_b8 v[0:1], v3, off
.LBB400_347:
	s_mov_b32 s18, 0
	s_mov_b32 s16, -1
.LBB400_348:
	s_and_not1_b32 vcc_lo, exec_lo, s18
	s_cbranch_vccnz .LBB400_356
; %bb.349:
	v_cmp_lt_i16_e32 vcc_lo, 14, v6
	s_mov_b32 s18, -1
	s_cbranch_vccz .LBB400_353
; %bb.350:
	v_cmp_eq_u16_e32 vcc_lo, 15, v6
	s_mov_b32 s0, -1
	s_cbranch_vccz .LBB400_352
; %bb.351:
	v_bfe_u32 v3, v2, 16, 1
	v_cmp_o_f32_e32 vcc_lo, v2, v2
	s_mov_b32 s16, -1
	s_mov_b32 s0, 0
	s_delay_alu instid0(VALU_DEP_2) | instskip(NEXT) | instid1(VALU_DEP_1)
	v_add3_u32 v3, v2, v3, 0x7fff
	v_lshrrev_b32_e32 v3, 16, v3
	s_delay_alu instid0(VALU_DEP_1)
	v_cndmask_b32_e32 v3, 0x7fc0, v3, vcc_lo
	global_store_b16 v[0:1], v3, off
.LBB400_352:
	s_mov_b32 s18, 0
.LBB400_353:
	s_delay_alu instid0(SALU_CYCLE_1)
	s_and_b32 vcc_lo, exec_lo, s18
	s_cbranch_vccz .LBB400_356
; %bb.354:
	v_cmp_eq_u16_e32 vcc_lo, 11, v6
	s_mov_b32 s0, -1
	s_cbranch_vccz .LBB400_356
; %bb.355:
	v_cmp_neq_f32_e32 vcc_lo, 0, v2
	s_mov_b32 s0, 0
	s_mov_b32 s16, -1
	v_cndmask_b32_e64 v3, 0, 1, vcc_lo
	global_store_b8 v[0:1], v3, off
.LBB400_356:
	s_mov_b32 s18, 0
.LBB400_357:
	s_delay_alu instid0(SALU_CYCLE_1)
	s_and_b32 vcc_lo, exec_lo, s18
	s_cbranch_vccz .LBB400_396
; %bb.358:
	v_cmp_gt_i16_e32 vcc_lo, 5, v6
	s_mov_b32 s16, -1
	s_cbranch_vccnz .LBB400_379
; %bb.359:
	v_cmp_gt_i16_e32 vcc_lo, 8, v6
	s_cbranch_vccnz .LBB400_369
; %bb.360:
	v_cmp_gt_i16_e32 vcc_lo, 9, v6
	s_cbranch_vccnz .LBB400_366
; %bb.361:
	v_cmp_lt_i16_e32 vcc_lo, 9, v6
	s_cbranch_vccz .LBB400_363
; %bb.362:
	v_cvt_f64_f32_e32 v[7:8], v2
	v_mov_b32_e32 v9, 0
	s_mov_b32 s16, 0
	s_delay_alu instid0(VALU_DEP_1)
	v_mov_b32_e32 v10, v9
	global_store_b128 v[0:1], v[7:10], off
.LBB400_363:
	s_and_not1_b32 vcc_lo, exec_lo, s16
	s_cbranch_vccnz .LBB400_365
; %bb.364:
	v_mov_b32_e32 v3, 0
	global_store_b64 v[0:1], v[2:3], off
.LBB400_365:
	s_mov_b32 s16, 0
.LBB400_366:
	s_delay_alu instid0(SALU_CYCLE_1)
	s_and_not1_b32 vcc_lo, exec_lo, s16
	s_cbranch_vccnz .LBB400_368
; %bb.367:
	v_cvt_f16_f32_e32 v3, v2
	s_delay_alu instid0(VALU_DEP_1)
	v_and_b32_e32 v3, 0xffff, v3
	global_store_b32 v[0:1], v3, off
.LBB400_368:
	s_mov_b32 s16, 0
.LBB400_369:
	s_delay_alu instid0(SALU_CYCLE_1)
	s_and_not1_b32 vcc_lo, exec_lo, s16
	s_cbranch_vccnz .LBB400_378
; %bb.370:
	v_cmp_gt_i16_e32 vcc_lo, 6, v6
	s_mov_b32 s16, -1
	s_cbranch_vccnz .LBB400_376
; %bb.371:
	v_cmp_lt_i16_e32 vcc_lo, 6, v6
	s_cbranch_vccz .LBB400_373
; %bb.372:
	v_cvt_f64_f32_e32 v[7:8], v2
	s_mov_b32 s16, 0
	global_store_b64 v[0:1], v[7:8], off
.LBB400_373:
	s_and_not1_b32 vcc_lo, exec_lo, s16
	s_cbranch_vccnz .LBB400_375
; %bb.374:
	global_store_b32 v[0:1], v2, off
.LBB400_375:
	s_mov_b32 s16, 0
.LBB400_376:
	s_delay_alu instid0(SALU_CYCLE_1)
	s_and_not1_b32 vcc_lo, exec_lo, s16
	s_cbranch_vccnz .LBB400_378
; %bb.377:
	v_cvt_f16_f32_e32 v3, v2
	global_store_b16 v[0:1], v3, off
.LBB400_378:
	s_mov_b32 s16, 0
.LBB400_379:
	s_delay_alu instid0(SALU_CYCLE_1)
	s_and_not1_b32 vcc_lo, exec_lo, s16
	s_cbranch_vccnz .LBB400_395
; %bb.380:
	v_cmp_gt_i16_e32 vcc_lo, 2, v6
	s_mov_b32 s16, -1
	s_cbranch_vccnz .LBB400_390
; %bb.381:
	v_cmp_gt_i16_e32 vcc_lo, 3, v6
	s_cbranch_vccnz .LBB400_387
; %bb.382:
	v_cmp_lt_i16_e32 vcc_lo, 3, v6
	s_cbranch_vccz .LBB400_384
; %bb.383:
	v_trunc_f32_e32 v3, v2
	s_mov_b32 s16, 0
	s_delay_alu instid0(VALU_DEP_1) | instskip(NEXT) | instid1(VALU_DEP_1)
	v_mul_f32_e64 v7, 0x2f800000, |v3|
	v_floor_f32_e32 v7, v7
	s_delay_alu instid0(VALU_DEP_1) | instskip(SKIP_2) | instid1(VALU_DEP_3)
	v_fma_f32 v8, 0xcf800000, v7, |v3|
	v_ashrrev_i32_e32 v3, 31, v3
	v_cvt_u32_f32_e32 v7, v7
	v_cvt_u32_f32_e32 v8, v8
	s_delay_alu instid0(VALU_DEP_2) | instskip(NEXT) | instid1(VALU_DEP_2)
	v_xor_b32_e32 v9, v7, v3
	v_xor_b32_e32 v8, v8, v3
	s_delay_alu instid0(VALU_DEP_1) | instskip(NEXT) | instid1(VALU_DEP_3)
	v_sub_co_u32 v7, vcc_lo, v8, v3
	v_sub_co_ci_u32_e32 v8, vcc_lo, v9, v3, vcc_lo
	global_store_b64 v[0:1], v[7:8], off
.LBB400_384:
	s_and_not1_b32 vcc_lo, exec_lo, s16
	s_cbranch_vccnz .LBB400_386
; %bb.385:
	v_cvt_i32_f32_e32 v3, v2
	global_store_b32 v[0:1], v3, off
.LBB400_386:
	s_mov_b32 s16, 0
.LBB400_387:
	s_delay_alu instid0(SALU_CYCLE_1)
	s_and_not1_b32 vcc_lo, exec_lo, s16
	s_cbranch_vccnz .LBB400_389
; %bb.388:
	v_cvt_i32_f32_e32 v3, v2
	global_store_b16 v[0:1], v3, off
.LBB400_389:
	s_mov_b32 s16, 0
.LBB400_390:
	s_delay_alu instid0(SALU_CYCLE_1)
	s_and_not1_b32 vcc_lo, exec_lo, s16
	s_cbranch_vccnz .LBB400_395
; %bb.391:
	v_cmp_lt_i16_e32 vcc_lo, 0, v6
	s_mov_b32 s16, -1
	s_cbranch_vccz .LBB400_393
; %bb.392:
	v_cvt_i32_f32_e32 v3, v2
	s_mov_b32 s16, 0
	global_store_b8 v[0:1], v3, off
.LBB400_393:
	s_and_not1_b32 vcc_lo, exec_lo, s16
	s_cbranch_vccnz .LBB400_395
; %bb.394:
	v_trunc_f32_e32 v2, v2
	s_delay_alu instid0(VALU_DEP_1) | instskip(NEXT) | instid1(VALU_DEP_1)
	v_mul_f32_e64 v3, 0x2f800000, |v2|
	v_floor_f32_e32 v3, v3
	s_delay_alu instid0(VALU_DEP_1) | instskip(SKIP_1) | instid1(VALU_DEP_2)
	v_fma_f32 v3, 0xcf800000, v3, |v2|
	v_ashrrev_i32_e32 v2, 31, v2
	v_cvt_u32_f32_e32 v3, v3
	s_delay_alu instid0(VALU_DEP_1) | instskip(NEXT) | instid1(VALU_DEP_1)
	v_xor_b32_e32 v3, v3, v2
	v_sub_nc_u32_e32 v2, v3, v2
	global_store_b8 v[0:1], v2, off
.LBB400_395:
	s_mov_b32 s16, -1
.LBB400_396:
	s_delay_alu instid0(SALU_CYCLE_1)
	s_and_not1_b32 vcc_lo, exec_lo, s16
	s_cbranch_vccnz .LBB400_398
; %bb.397:
	v_add_nc_u32_e32 v4, 0x80, v4
	s_mov_b32 s18, -1
	s_branch .LBB400_511
.LBB400_398:
	s_mov_b32 s18, 0
	s_branch .LBB400_510
.LBB400_399:
	s_mov_b32 s15, -1
                                        ; implicit-def: $vgpr2
.LBB400_400:
	s_mov_b32 s16, 0
.LBB400_401:
	s_delay_alu instid0(SALU_CYCLE_1)
	s_and_b32 vcc_lo, exec_lo, s16
	s_cbranch_vccz .LBB400_405
; %bb.402:
	v_cmp_eq_u16_e32 vcc_lo, 29, v5
	s_cbranch_vccz .LBB400_404
; %bb.403:
	global_load_b64 v[2:3], v[0:1], off
	s_mov_b32 s0, -1
	s_mov_b32 s15, 0
	s_mov_b32 s16, 0
	s_waitcnt vmcnt(0)
	v_clz_i32_u32_e32 v6, v3
	s_delay_alu instid0(VALU_DEP_1) | instskip(NEXT) | instid1(VALU_DEP_1)
	v_min_u32_e32 v6, 32, v6
	v_lshlrev_b64 v[2:3], v6, v[2:3]
	s_delay_alu instid0(VALU_DEP_1) | instskip(NEXT) | instid1(VALU_DEP_1)
	v_min_u32_e32 v2, 1, v2
	v_or_b32_e32 v2, v3, v2
	v_sub_nc_u32_e32 v3, 32, v6
	s_delay_alu instid0(VALU_DEP_2) | instskip(NEXT) | instid1(VALU_DEP_1)
	v_cvt_f32_u32_e32 v2, v2
	v_ldexp_f32 v2, v2, v3
	s_branch .LBB400_406
.LBB400_404:
	s_mov_b32 s15, -1
                                        ; implicit-def: $vgpr2
.LBB400_405:
	s_mov_b32 s16, 0
.LBB400_406:
	s_delay_alu instid0(SALU_CYCLE_1)
	s_and_b32 vcc_lo, exec_lo, s16
	s_cbranch_vccz .LBB400_424
; %bb.407:
	v_cmp_gt_i16_e32 vcc_lo, 27, v5
	s_cbranch_vccnz .LBB400_410
; %bb.408:
	v_cmp_lt_i16_e32 vcc_lo, 27, v5
	s_cbranch_vccz .LBB400_411
; %bb.409:
	global_load_b32 v2, v[0:1], off
	s_mov_b32 s0, 0
	s_waitcnt vmcnt(0)
	v_cvt_f32_u32_e32 v2, v2
	s_branch .LBB400_412
.LBB400_410:
	s_mov_b32 s0, -1
                                        ; implicit-def: $vgpr2
	s_branch .LBB400_415
.LBB400_411:
	s_mov_b32 s0, -1
                                        ; implicit-def: $vgpr2
.LBB400_412:
	s_delay_alu instid0(SALU_CYCLE_1)
	s_and_not1_b32 vcc_lo, exec_lo, s0
	s_cbranch_vccnz .LBB400_414
; %bb.413:
	global_load_u16 v2, v[0:1], off
	s_waitcnt vmcnt(0)
	v_cvt_f32_u32_e32 v2, v2
.LBB400_414:
	s_mov_b32 s0, 0
.LBB400_415:
	s_delay_alu instid0(SALU_CYCLE_1)
	s_and_not1_b32 vcc_lo, exec_lo, s0
	s_cbranch_vccnz .LBB400_423
; %bb.416:
	global_load_u8 v3, v[0:1], off
	s_mov_b32 s0, 0
	s_mov_b32 s18, exec_lo
                                        ; implicit-def: $sgpr16
	s_waitcnt vmcnt(0)
	v_cmpx_lt_i16_e32 0x7f, v3
	s_xor_b32 s18, exec_lo, s18
	s_cbranch_execz .LBB400_437
; %bb.417:
	s_mov_b32 s0, -1
	s_mov_b32 s19, exec_lo
                                        ; implicit-def: $sgpr16
	v_cmpx_eq_u16_e32 0x80, v3
; %bb.418:
	s_mov_b32 s16, 0x7f800001
	s_xor_b32 s0, exec_lo, -1
; %bb.419:
	s_or_b32 exec_lo, exec_lo, s19
	s_delay_alu instid0(SALU_CYCLE_1)
	s_and_b32 s0, s0, exec_lo
	s_or_saveexec_b32 s18, s18
	v_mov_b32_e32 v2, s16
	s_xor_b32 exec_lo, exec_lo, s18
	s_cbranch_execnz .LBB400_438
.LBB400_420:
	s_or_b32 exec_lo, exec_lo, s18
	s_and_saveexec_b32 s16, s0
	s_cbranch_execz .LBB400_422
.LBB400_421:
	v_and_b32_e32 v2, 0xffff, v3
	s_delay_alu instid0(VALU_DEP_1) | instskip(NEXT) | instid1(VALU_DEP_1)
	v_and_b32_e32 v6, 7, v2
	v_clz_i32_u32_e32 v7, v6
	s_delay_alu instid0(VALU_DEP_1) | instskip(NEXT) | instid1(VALU_DEP_1)
	v_min_u32_e32 v7, 32, v7
	v_subrev_nc_u32_e32 v8, 28, v7
	v_sub_nc_u32_e32 v7, 29, v7
	s_delay_alu instid0(VALU_DEP_2) | instskip(SKIP_1) | instid1(VALU_DEP_2)
	v_lshlrev_b32_e32 v8, v8, v2
	v_bfe_u32 v2, v2, 3, 4
	v_and_b32_e32 v8, 7, v8
	s_delay_alu instid0(VALU_DEP_2) | instskip(NEXT) | instid1(VALU_DEP_2)
	v_cmp_eq_u32_e32 vcc_lo, 0, v2
	v_dual_cndmask_b32 v6, v6, v8 :: v_dual_lshlrev_b32 v3, 24, v3
	v_cndmask_b32_e32 v2, v2, v7, vcc_lo
	s_delay_alu instid0(VALU_DEP_2) | instskip(NEXT) | instid1(VALU_DEP_3)
	v_and_b32_e32 v3, 0x80000000, v3
	v_lshlrev_b32_e32 v6, 20, v6
	s_delay_alu instid0(VALU_DEP_3) | instskip(NEXT) | instid1(VALU_DEP_1)
	v_lshl_add_u32 v2, v2, 23, 0x3b800000
	v_or3_b32 v2, v3, v2, v6
.LBB400_422:
	s_or_b32 exec_lo, exec_lo, s16
.LBB400_423:
	s_mov_b32 s0, -1
.LBB400_424:
	s_mov_b32 s16, 0
.LBB400_425:
	s_delay_alu instid0(SALU_CYCLE_1)
	s_and_b32 vcc_lo, exec_lo, s16
	s_cbranch_vccz .LBB400_460
; %bb.426:
	v_cmp_lt_i16_e32 vcc_lo, 22, v5
	s_cbranch_vccz .LBB400_436
; %bb.427:
	v_cmp_gt_i16_e32 vcc_lo, 24, v5
	s_cbranch_vccnz .LBB400_439
; %bb.428:
	v_cmp_lt_i16_e32 vcc_lo, 24, v5
	s_cbranch_vccz .LBB400_440
; %bb.429:
	global_load_u8 v3, v[0:1], off
	s_mov_b32 s0, 0
	s_mov_b32 s18, exec_lo
                                        ; implicit-def: $sgpr16
	s_waitcnt vmcnt(0)
	v_cmpx_lt_i16_e32 0x7f, v3
	s_xor_b32 s18, exec_lo, s18
	s_cbranch_execz .LBB400_452
; %bb.430:
	s_mov_b32 s0, -1
	s_mov_b32 s19, exec_lo
                                        ; implicit-def: $sgpr16
	v_cmpx_eq_u16_e32 0x80, v3
; %bb.431:
	s_mov_b32 s16, 0x7f800001
	s_xor_b32 s0, exec_lo, -1
; %bb.432:
	s_or_b32 exec_lo, exec_lo, s19
	s_delay_alu instid0(SALU_CYCLE_1)
	s_and_b32 s0, s0, exec_lo
	s_or_saveexec_b32 s18, s18
	v_mov_b32_e32 v2, s16
	s_xor_b32 exec_lo, exec_lo, s18
	s_cbranch_execnz .LBB400_453
.LBB400_433:
	s_or_b32 exec_lo, exec_lo, s18
	s_and_saveexec_b32 s16, s0
	s_cbranch_execz .LBB400_435
.LBB400_434:
	v_and_b32_e32 v2, 0xffff, v3
	s_delay_alu instid0(VALU_DEP_1) | instskip(NEXT) | instid1(VALU_DEP_1)
	v_and_b32_e32 v6, 3, v2
	v_clz_i32_u32_e32 v7, v6
	s_delay_alu instid0(VALU_DEP_1) | instskip(NEXT) | instid1(VALU_DEP_1)
	v_min_u32_e32 v7, 32, v7
	v_subrev_nc_u32_e32 v8, 29, v7
	v_sub_nc_u32_e32 v7, 30, v7
	s_delay_alu instid0(VALU_DEP_2) | instskip(SKIP_1) | instid1(VALU_DEP_2)
	v_lshlrev_b32_e32 v8, v8, v2
	v_bfe_u32 v2, v2, 2, 5
	v_and_b32_e32 v8, 3, v8
	s_delay_alu instid0(VALU_DEP_2) | instskip(NEXT) | instid1(VALU_DEP_2)
	v_cmp_eq_u32_e32 vcc_lo, 0, v2
	v_dual_cndmask_b32 v6, v6, v8 :: v_dual_lshlrev_b32 v3, 24, v3
	v_cndmask_b32_e32 v2, v2, v7, vcc_lo
	s_delay_alu instid0(VALU_DEP_2) | instskip(NEXT) | instid1(VALU_DEP_3)
	v_and_b32_e32 v3, 0x80000000, v3
	v_lshlrev_b32_e32 v6, 21, v6
	s_delay_alu instid0(VALU_DEP_3) | instskip(NEXT) | instid1(VALU_DEP_1)
	v_lshl_add_u32 v2, v2, 23, 0x37800000
	v_or3_b32 v2, v3, v2, v6
.LBB400_435:
	s_or_b32 exec_lo, exec_lo, s16
	s_mov_b32 s0, 0
	s_branch .LBB400_441
.LBB400_436:
	s_mov_b32 s16, -1
                                        ; implicit-def: $vgpr2
	s_branch .LBB400_447
.LBB400_437:
	s_or_saveexec_b32 s18, s18
	v_mov_b32_e32 v2, s16
	s_xor_b32 exec_lo, exec_lo, s18
	s_cbranch_execz .LBB400_420
.LBB400_438:
	v_cmp_ne_u16_e32 vcc_lo, 0, v3
	v_mov_b32_e32 v2, 0
	s_and_not1_b32 s0, s0, exec_lo
	s_and_b32 s16, vcc_lo, exec_lo
	s_delay_alu instid0(SALU_CYCLE_1)
	s_or_b32 s0, s0, s16
	s_or_b32 exec_lo, exec_lo, s18
	s_and_saveexec_b32 s16, s0
	s_cbranch_execnz .LBB400_421
	s_branch .LBB400_422
.LBB400_439:
	s_mov_b32 s0, -1
                                        ; implicit-def: $vgpr2
	s_branch .LBB400_444
.LBB400_440:
	s_mov_b32 s0, -1
                                        ; implicit-def: $vgpr2
.LBB400_441:
	s_delay_alu instid0(SALU_CYCLE_1)
	s_and_b32 vcc_lo, exec_lo, s0
	s_cbranch_vccz .LBB400_443
; %bb.442:
	global_load_u8 v2, v[0:1], off
	s_waitcnt vmcnt(0)
	v_lshlrev_b32_e32 v2, 24, v2
	s_delay_alu instid0(VALU_DEP_1) | instskip(NEXT) | instid1(VALU_DEP_1)
	v_and_b32_e32 v3, 0x7f000000, v2
	v_clz_i32_u32_e32 v6, v3
	v_cmp_ne_u32_e32 vcc_lo, 0, v3
	v_add_nc_u32_e32 v8, 0x1000000, v3
	s_delay_alu instid0(VALU_DEP_3) | instskip(NEXT) | instid1(VALU_DEP_1)
	v_min_u32_e32 v6, 32, v6
	v_sub_nc_u32_e64 v6, v6, 4 clamp
	s_delay_alu instid0(VALU_DEP_1) | instskip(SKIP_1) | instid1(VALU_DEP_2)
	v_lshlrev_b32_e32 v7, v6, v3
	v_lshlrev_b32_e32 v6, 23, v6
	v_lshrrev_b32_e32 v7, 4, v7
	s_delay_alu instid0(VALU_DEP_1) | instskip(SKIP_1) | instid1(VALU_DEP_2)
	v_sub_nc_u32_e32 v6, v7, v6
	v_ashrrev_i32_e32 v7, 8, v8
	v_add_nc_u32_e32 v6, 0x3c000000, v6
	s_delay_alu instid0(VALU_DEP_1) | instskip(NEXT) | instid1(VALU_DEP_1)
	v_and_or_b32 v6, 0x7f800000, v7, v6
	v_cndmask_b32_e32 v3, 0, v6, vcc_lo
	s_delay_alu instid0(VALU_DEP_1)
	v_and_or_b32 v2, 0x80000000, v2, v3
.LBB400_443:
	s_mov_b32 s0, 0
.LBB400_444:
	s_delay_alu instid0(SALU_CYCLE_1)
	s_and_not1_b32 vcc_lo, exec_lo, s0
	s_cbranch_vccnz .LBB400_446
; %bb.445:
	global_load_u8 v2, v[0:1], off
	s_waitcnt vmcnt(0)
	v_lshlrev_b32_e32 v3, 25, v2
	v_lshlrev_b16 v2, 8, v2
	s_delay_alu instid0(VALU_DEP_2) | instskip(NEXT) | instid1(VALU_DEP_2)
	v_lshrrev_b32_e32 v6, 4, v3
	v_and_or_b32 v7, 0x7f00, v2, 0.5
	v_cmp_gt_u32_e32 vcc_lo, 0x8000000, v3
	v_bfe_i32 v2, v2, 0, 16
	s_delay_alu instid0(VALU_DEP_4) | instskip(NEXT) | instid1(VALU_DEP_1)
	v_or_b32_e32 v6, 0x70000000, v6
	v_dual_add_f32 v7, -0.5, v7 :: v_dual_mul_f32 v6, 0x7800000, v6
	s_delay_alu instid0(VALU_DEP_1) | instskip(NEXT) | instid1(VALU_DEP_1)
	v_cndmask_b32_e32 v3, v6, v7, vcc_lo
	v_and_or_b32 v2, 0x80000000, v2, v3
.LBB400_446:
	s_mov_b32 s16, 0
	s_mov_b32 s0, -1
.LBB400_447:
	s_and_not1_b32 vcc_lo, exec_lo, s16
	s_cbranch_vccnz .LBB400_460
; %bb.448:
	v_cmp_lt_i16_e32 vcc_lo, 14, v5
	s_cbranch_vccz .LBB400_451
; %bb.449:
	v_cmp_eq_u16_e32 vcc_lo, 15, v5
	s_cbranch_vccz .LBB400_454
; %bb.450:
	global_load_u16 v2, v[0:1], off
	s_mov_b32 s0, -1
	s_mov_b32 s15, 0
	s_waitcnt vmcnt(0)
	v_lshlrev_b32_e32 v2, 16, v2
	s_branch .LBB400_455
.LBB400_451:
	s_mov_b32 s16, -1
                                        ; implicit-def: $vgpr2
	s_branch .LBB400_456
.LBB400_452:
	s_or_saveexec_b32 s18, s18
	v_mov_b32_e32 v2, s16
	s_xor_b32 exec_lo, exec_lo, s18
	s_cbranch_execz .LBB400_433
.LBB400_453:
	v_cmp_ne_u16_e32 vcc_lo, 0, v3
	v_mov_b32_e32 v2, 0
	s_and_not1_b32 s0, s0, exec_lo
	s_and_b32 s16, vcc_lo, exec_lo
	s_delay_alu instid0(SALU_CYCLE_1)
	s_or_b32 s0, s0, s16
	s_or_b32 exec_lo, exec_lo, s18
	s_and_saveexec_b32 s16, s0
	s_cbranch_execnz .LBB400_434
	s_branch .LBB400_435
.LBB400_454:
	s_mov_b32 s15, -1
                                        ; implicit-def: $vgpr2
.LBB400_455:
	s_mov_b32 s16, 0
.LBB400_456:
	s_delay_alu instid0(SALU_CYCLE_1)
	s_and_b32 vcc_lo, exec_lo, s16
	s_cbranch_vccz .LBB400_460
; %bb.457:
	v_cmp_eq_u16_e32 vcc_lo, 11, v5
	s_cbranch_vccz .LBB400_459
; %bb.458:
	global_load_u8 v2, v[0:1], off
	s_mov_b32 s15, 0
	s_mov_b32 s0, -1
	s_waitcnt vmcnt(0)
	v_cmp_ne_u16_e32 vcc_lo, 0, v2
	v_cndmask_b32_e64 v2, 0, 1.0, vcc_lo
	s_branch .LBB400_460
.LBB400_459:
	s_mov_b32 s15, -1
                                        ; implicit-def: $vgpr2
.LBB400_460:
	s_branch .LBB400_262
.LBB400_461:
	v_cmp_gt_i16_e32 vcc_lo, 5, v5
	s_cbranch_vccnz .LBB400_466
; %bb.462:
	v_cmp_gt_i16_e32 vcc_lo, 8, v5
	s_cbranch_vccnz .LBB400_467
; %bb.463:
	;; [unrolled: 3-line block ×3, first 2 shown]
	v_cmp_lt_i16_e32 vcc_lo, 9, v5
	s_cbranch_vccz .LBB400_469
; %bb.465:
	global_load_b64 v[2:3], v[0:1], off
	s_mov_b32 s0, 0
	s_waitcnt vmcnt(0)
	v_cvt_f32_f64_e32 v2, v[2:3]
	s_branch .LBB400_470
.LBB400_466:
	s_mov_b32 s0, -1
                                        ; implicit-def: $vgpr2
	s_branch .LBB400_488
.LBB400_467:
	s_mov_b32 s0, -1
                                        ; implicit-def: $vgpr2
	s_branch .LBB400_476
.LBB400_468:
	s_mov_b32 s0, -1
                                        ; implicit-def: $vgpr2
	s_branch .LBB400_473
.LBB400_469:
	s_mov_b32 s0, -1
                                        ; implicit-def: $vgpr2
.LBB400_470:
	s_delay_alu instid0(SALU_CYCLE_1)
	s_and_not1_b32 vcc_lo, exec_lo, s0
	s_cbranch_vccnz .LBB400_472
; %bb.471:
	global_load_b32 v2, v[0:1], off
.LBB400_472:
	s_mov_b32 s0, 0
.LBB400_473:
	s_delay_alu instid0(SALU_CYCLE_1)
	s_and_not1_b32 vcc_lo, exec_lo, s0
	s_cbranch_vccnz .LBB400_475
; %bb.474:
	global_load_b32 v2, v[0:1], off
	s_waitcnt vmcnt(0)
	v_cvt_f32_f16_e32 v2, v2
.LBB400_475:
	s_mov_b32 s0, 0
.LBB400_476:
	s_delay_alu instid0(SALU_CYCLE_1)
	s_and_not1_b32 vcc_lo, exec_lo, s0
	s_cbranch_vccnz .LBB400_487
; %bb.477:
	v_cmp_gt_i16_e32 vcc_lo, 6, v5
	s_cbranch_vccnz .LBB400_480
; %bb.478:
	v_cmp_lt_i16_e32 vcc_lo, 6, v5
	s_cbranch_vccz .LBB400_481
; %bb.479:
	global_load_b64 v[2:3], v[0:1], off
	s_mov_b32 s0, 0
	s_waitcnt vmcnt(0)
	v_cvt_f32_f64_e32 v2, v[2:3]
	s_branch .LBB400_482
.LBB400_480:
	s_mov_b32 s0, -1
                                        ; implicit-def: $vgpr2
	s_branch .LBB400_485
.LBB400_481:
	s_mov_b32 s0, -1
                                        ; implicit-def: $vgpr2
.LBB400_482:
	s_delay_alu instid0(SALU_CYCLE_1)
	s_and_not1_b32 vcc_lo, exec_lo, s0
	s_cbranch_vccnz .LBB400_484
; %bb.483:
	global_load_b32 v2, v[0:1], off
.LBB400_484:
	s_mov_b32 s0, 0
.LBB400_485:
	s_delay_alu instid0(SALU_CYCLE_1)
	s_and_not1_b32 vcc_lo, exec_lo, s0
	s_cbranch_vccnz .LBB400_487
; %bb.486:
	global_load_u16 v2, v[0:1], off
	s_waitcnt vmcnt(0)
	v_cvt_f32_f16_e32 v2, v2
.LBB400_487:
	s_mov_b32 s0, 0
.LBB400_488:
	s_delay_alu instid0(SALU_CYCLE_1)
	s_and_not1_b32 vcc_lo, exec_lo, s0
	s_cbranch_vccnz .LBB400_508
; %bb.489:
	v_cmp_gt_i16_e32 vcc_lo, 2, v5
	s_cbranch_vccnz .LBB400_493
; %bb.490:
	v_cmp_gt_i16_e32 vcc_lo, 3, v5
	s_cbranch_vccnz .LBB400_494
; %bb.491:
	v_cmp_lt_i16_e32 vcc_lo, 3, v5
	s_cbranch_vccz .LBB400_495
; %bb.492:
	global_load_b64 v[2:3], v[0:1], off
	s_mov_b32 s0, 0
	s_waitcnt vmcnt(0)
	v_xor_b32_e32 v6, v2, v3
	v_cls_i32_e32 v7, v3
	s_delay_alu instid0(VALU_DEP_2) | instskip(NEXT) | instid1(VALU_DEP_2)
	v_ashrrev_i32_e32 v6, 31, v6
	v_add_nc_u32_e32 v7, -1, v7
	s_delay_alu instid0(VALU_DEP_2) | instskip(NEXT) | instid1(VALU_DEP_1)
	v_add_nc_u32_e32 v6, 32, v6
	v_min_u32_e32 v6, v7, v6
	s_delay_alu instid0(VALU_DEP_1) | instskip(NEXT) | instid1(VALU_DEP_1)
	v_lshlrev_b64 v[2:3], v6, v[2:3]
	v_min_u32_e32 v2, 1, v2
	s_delay_alu instid0(VALU_DEP_1) | instskip(SKIP_1) | instid1(VALU_DEP_2)
	v_or_b32_e32 v2, v3, v2
	v_sub_nc_u32_e32 v3, 32, v6
	v_cvt_f32_i32_e32 v2, v2
	s_delay_alu instid0(VALU_DEP_1)
	v_ldexp_f32 v2, v2, v3
	s_branch .LBB400_496
.LBB400_493:
	s_mov_b32 s0, -1
                                        ; implicit-def: $vgpr2
	s_branch .LBB400_502
.LBB400_494:
	s_mov_b32 s0, -1
                                        ; implicit-def: $vgpr2
	s_branch .LBB400_499
.LBB400_495:
	s_mov_b32 s0, -1
                                        ; implicit-def: $vgpr2
.LBB400_496:
	s_delay_alu instid0(SALU_CYCLE_1)
	s_and_not1_b32 vcc_lo, exec_lo, s0
	s_cbranch_vccnz .LBB400_498
; %bb.497:
	global_load_b32 v2, v[0:1], off
	s_waitcnt vmcnt(0)
	v_cvt_f32_i32_e32 v2, v2
.LBB400_498:
	s_mov_b32 s0, 0
.LBB400_499:
	s_delay_alu instid0(SALU_CYCLE_1)
	s_and_not1_b32 vcc_lo, exec_lo, s0
	s_cbranch_vccnz .LBB400_501
; %bb.500:
	global_load_i16 v2, v[0:1], off
	s_waitcnt vmcnt(0)
	v_cvt_f32_i32_e32 v2, v2
.LBB400_501:
	s_mov_b32 s0, 0
.LBB400_502:
	s_delay_alu instid0(SALU_CYCLE_1)
	s_and_not1_b32 vcc_lo, exec_lo, s0
	s_cbranch_vccnz .LBB400_508
; %bb.503:
	v_cmp_lt_i16_e32 vcc_lo, 0, v5
	s_mov_b32 s0, 0
	s_cbranch_vccz .LBB400_505
; %bb.504:
	global_load_i8 v2, v[0:1], off
	s_waitcnt vmcnt(0)
	v_cvt_f32_i32_e32 v2, v2
	s_branch .LBB400_506
.LBB400_505:
	s_mov_b32 s0, -1
                                        ; implicit-def: $vgpr2
.LBB400_506:
	s_delay_alu instid0(SALU_CYCLE_1)
	s_and_not1_b32 vcc_lo, exec_lo, s0
	s_cbranch_vccnz .LBB400_508
; %bb.507:
	global_load_u8 v0, v[0:1], off
	s_waitcnt vmcnt(0)
	v_cvt_f32_ubyte0_e32 v2, v0
.LBB400_508:
	s_branch .LBB400_263
.LBB400_509:
	s_mov_b32 s18, 0
	s_mov_b32 s0, s11
.LBB400_510:
                                        ; implicit-def: $vgpr4
.LBB400_511:
	s_and_not1_b32 s16, s11, exec_lo
	s_and_b32 s0, s0, exec_lo
	s_and_not1_b32 s19, s13, exec_lo
	s_and_b32 s15, s15, exec_lo
	s_or_b32 s16, s16, s0
	s_or_b32 s15, s19, s15
	s_or_not1_b32 s19, s18, exec_lo
.LBB400_512:
	s_or_b32 exec_lo, exec_lo, s17
	s_mov_b32 s18, 0
	s_mov_b32 s20, 0
	s_mov_b32 s0, 0
                                        ; implicit-def: $vgpr0_vgpr1
                                        ; implicit-def: $vgpr3
	s_and_saveexec_b32 s17, s19
	s_cbranch_execz .LBB400_859
; %bb.513:
	s_mov_b32 s0, -1
	s_mov_b32 s19, s15
	s_mov_b32 s20, s16
	s_mov_b32 s18, exec_lo
	v_cmpx_gt_i32_e64 s12, v4
	s_cbranch_execz .LBB400_773
; %bb.514:
	v_mul_lo_u32 v0, v4, s9
	v_cmp_gt_i16_e32 vcc_lo, 11, v5
	s_delay_alu instid0(VALU_DEP_2) | instskip(SKIP_1) | instid1(VALU_DEP_1)
	v_ashrrev_i32_e32 v1, 31, v0
	v_add_co_u32 v0, s0, s6, v0
	v_add_co_ci_u32_e64 v1, s0, s7, v1, s0
	s_cbranch_vccnz .LBB400_521
; %bb.515:
	v_cmp_lt_i16_e32 vcc_lo, 25, v5
	s_cbranch_vccz .LBB400_522
; %bb.516:
	v_cmp_lt_i16_e32 vcc_lo, 28, v5
	s_cbranch_vccz .LBB400_523
	;; [unrolled: 3-line block ×4, first 2 shown]
; %bb.519:
	v_cmp_eq_u16_e32 vcc_lo, 46, v5
	s_mov_b32 s20, 0
	s_cbranch_vccz .LBB400_530
; %bb.520:
	global_load_b32 v2, v[0:1], off
	s_mov_b32 s0, -1
	s_mov_b32 s19, 0
	s_waitcnt vmcnt(0)
	v_lshlrev_b32_e32 v2, 16, v2
	s_branch .LBB400_532
.LBB400_521:
	s_mov_b32 s20, -1
	s_mov_b32 s0, 0
	s_mov_b32 s19, s15
                                        ; implicit-def: $vgpr2
	s_branch .LBB400_597
.LBB400_522:
	s_mov_b32 s20, -1
	s_mov_b32 s0, 0
	s_mov_b32 s19, s15
                                        ; implicit-def: $vgpr2
	s_branch .LBB400_561
.LBB400_523:
	s_mov_b32 s20, -1
	s_mov_b32 s0, 0
	s_mov_b32 s19, s15
                                        ; implicit-def: $vgpr2
	s_branch .LBB400_542
.LBB400_524:
	s_mov_b32 s20, -1
	s_mov_b32 s0, 0
	s_mov_b32 s19, s15
                                        ; implicit-def: $vgpr2
	s_branch .LBB400_537
.LBB400_525:
	s_or_saveexec_b32 s19, s19
                                        ; implicit-def: $sgpr20
	s_delay_alu instid0(SALU_CYCLE_1)
	s_xor_b32 exec_lo, exec_lo, s19
	s_cbranch_execz .LBB400_309
.LBB400_526:
	v_add_f32_e64 v3, 0x46000000, |v2|
	s_and_not1_b32 s18, s18, exec_lo
	s_mov_b32 s20, 0
	s_delay_alu instid0(VALU_DEP_1) | instskip(NEXT) | instid1(VALU_DEP_1)
	v_and_b32_e32 v3, 0xff, v3
	v_cmp_ne_u32_e32 vcc_lo, 0, v3
	s_and_b32 s21, vcc_lo, exec_lo
	s_delay_alu instid0(SALU_CYCLE_1)
	s_or_b32 s18, s18, s21
	s_or_b32 exec_lo, exec_lo, s19
	v_mov_b32_e32 v7, s20
	s_and_saveexec_b32 s19, s18
	s_cbranch_execnz .LBB400_310
	s_branch .LBB400_311
.LBB400_527:
	s_mov_b32 s20, -1
	s_mov_b32 s0, 0
	s_mov_b32 s19, s15
	s_branch .LBB400_531
.LBB400_528:
	s_or_saveexec_b32 s19, s19
                                        ; implicit-def: $sgpr20
	s_delay_alu instid0(SALU_CYCLE_1)
	s_xor_b32 exec_lo, exec_lo, s19
	s_cbranch_execz .LBB400_322
.LBB400_529:
	v_add_f32_e64 v3, 0x42800000, |v2|
	s_and_not1_b32 s18, s18, exec_lo
	s_mov_b32 s20, 0
	s_delay_alu instid0(VALU_DEP_1) | instskip(NEXT) | instid1(VALU_DEP_1)
	v_and_b32_e32 v3, 0xff, v3
	v_cmp_ne_u32_e32 vcc_lo, 0, v3
	s_and_b32 s21, vcc_lo, exec_lo
	s_delay_alu instid0(SALU_CYCLE_1)
	s_or_b32 s18, s18, s21
	s_or_b32 exec_lo, exec_lo, s19
	v_mov_b32_e32 v7, s20
	s_and_saveexec_b32 s19, s18
	s_cbranch_execnz .LBB400_323
	s_branch .LBB400_324
.LBB400_530:
	s_mov_b32 s19, -1
	s_mov_b32 s0, 0
.LBB400_531:
                                        ; implicit-def: $vgpr2
.LBB400_532:
	s_and_b32 vcc_lo, exec_lo, s20
	s_cbranch_vccz .LBB400_536
; %bb.533:
	v_cmp_eq_u16_e32 vcc_lo, 44, v5
	s_cbranch_vccz .LBB400_535
; %bb.534:
	global_load_u8 v2, v[0:1], off
	s_mov_b32 s19, 0
	s_mov_b32 s0, -1
	s_waitcnt vmcnt(0)
	v_lshlrev_b32_e32 v3, 23, v2
	v_cmp_ne_u32_e32 vcc_lo, 0xff, v2
	s_delay_alu instid0(VALU_DEP_2) | instskip(SKIP_1) | instid1(VALU_DEP_2)
	v_cndmask_b32_e32 v3, 0x7f800001, v3, vcc_lo
	v_cmp_ne_u32_e32 vcc_lo, 0, v2
	v_cndmask_b32_e32 v2, 0x400000, v3, vcc_lo
	s_branch .LBB400_536
.LBB400_535:
	s_mov_b32 s19, -1
                                        ; implicit-def: $vgpr2
.LBB400_536:
	s_mov_b32 s20, 0
.LBB400_537:
	s_delay_alu instid0(SALU_CYCLE_1)
	s_and_b32 vcc_lo, exec_lo, s20
	s_cbranch_vccz .LBB400_541
; %bb.538:
	v_cmp_eq_u16_e32 vcc_lo, 29, v5
	s_cbranch_vccz .LBB400_540
; %bb.539:
	global_load_b64 v[2:3], v[0:1], off
	s_mov_b32 s0, -1
	s_mov_b32 s19, 0
	s_mov_b32 s20, 0
	s_waitcnt vmcnt(0)
	v_clz_i32_u32_e32 v6, v3
	s_delay_alu instid0(VALU_DEP_1) | instskip(NEXT) | instid1(VALU_DEP_1)
	v_min_u32_e32 v6, 32, v6
	v_lshlrev_b64 v[2:3], v6, v[2:3]
	s_delay_alu instid0(VALU_DEP_1) | instskip(NEXT) | instid1(VALU_DEP_1)
	v_min_u32_e32 v2, 1, v2
	v_or_b32_e32 v2, v3, v2
	v_sub_nc_u32_e32 v3, 32, v6
	s_delay_alu instid0(VALU_DEP_2) | instskip(NEXT) | instid1(VALU_DEP_1)
	v_cvt_f32_u32_e32 v2, v2
	v_ldexp_f32 v2, v2, v3
	s_branch .LBB400_542
.LBB400_540:
	s_mov_b32 s19, -1
                                        ; implicit-def: $vgpr2
.LBB400_541:
	s_mov_b32 s20, 0
.LBB400_542:
	s_delay_alu instid0(SALU_CYCLE_1)
	s_and_b32 vcc_lo, exec_lo, s20
	s_cbranch_vccz .LBB400_560
; %bb.543:
	v_cmp_gt_i16_e32 vcc_lo, 27, v5
	s_cbranch_vccnz .LBB400_546
; %bb.544:
	v_cmp_lt_i16_e32 vcc_lo, 27, v5
	s_cbranch_vccz .LBB400_547
; %bb.545:
	global_load_b32 v2, v[0:1], off
	s_mov_b32 s0, 0
	s_waitcnt vmcnt(0)
	v_cvt_f32_u32_e32 v2, v2
	s_branch .LBB400_548
.LBB400_546:
	s_mov_b32 s0, -1
                                        ; implicit-def: $vgpr2
	s_branch .LBB400_551
.LBB400_547:
	s_mov_b32 s0, -1
                                        ; implicit-def: $vgpr2
.LBB400_548:
	s_delay_alu instid0(SALU_CYCLE_1)
	s_and_not1_b32 vcc_lo, exec_lo, s0
	s_cbranch_vccnz .LBB400_550
; %bb.549:
	global_load_u16 v2, v[0:1], off
	s_waitcnt vmcnt(0)
	v_cvt_f32_u32_e32 v2, v2
.LBB400_550:
	s_mov_b32 s0, 0
.LBB400_551:
	s_delay_alu instid0(SALU_CYCLE_1)
	s_and_not1_b32 vcc_lo, exec_lo, s0
	s_cbranch_vccnz .LBB400_559
; %bb.552:
	global_load_u8 v3, v[0:1], off
	s_mov_b32 s0, 0
	s_mov_b32 s21, exec_lo
                                        ; implicit-def: $sgpr20
	s_waitcnt vmcnt(0)
	v_cmpx_lt_i16_e32 0x7f, v3
	s_xor_b32 s21, exec_lo, s21
	s_cbranch_execz .LBB400_573
; %bb.553:
	s_mov_b32 s0, -1
	s_mov_b32 s22, exec_lo
                                        ; implicit-def: $sgpr20
	v_cmpx_eq_u16_e32 0x80, v3
; %bb.554:
	s_mov_b32 s20, 0x7f800001
	s_xor_b32 s0, exec_lo, -1
; %bb.555:
	s_or_b32 exec_lo, exec_lo, s22
	s_delay_alu instid0(SALU_CYCLE_1)
	s_and_b32 s0, s0, exec_lo
	s_or_saveexec_b32 s21, s21
	v_mov_b32_e32 v2, s20
	s_xor_b32 exec_lo, exec_lo, s21
	s_cbranch_execnz .LBB400_574
.LBB400_556:
	s_or_b32 exec_lo, exec_lo, s21
	s_and_saveexec_b32 s20, s0
	s_cbranch_execz .LBB400_558
.LBB400_557:
	v_and_b32_e32 v2, 0xffff, v3
	s_delay_alu instid0(VALU_DEP_1) | instskip(NEXT) | instid1(VALU_DEP_1)
	v_and_b32_e32 v6, 7, v2
	v_clz_i32_u32_e32 v7, v6
	s_delay_alu instid0(VALU_DEP_1) | instskip(NEXT) | instid1(VALU_DEP_1)
	v_min_u32_e32 v7, 32, v7
	v_subrev_nc_u32_e32 v8, 28, v7
	v_sub_nc_u32_e32 v7, 29, v7
	s_delay_alu instid0(VALU_DEP_2) | instskip(SKIP_1) | instid1(VALU_DEP_2)
	v_lshlrev_b32_e32 v8, v8, v2
	v_bfe_u32 v2, v2, 3, 4
	v_and_b32_e32 v8, 7, v8
	s_delay_alu instid0(VALU_DEP_2) | instskip(NEXT) | instid1(VALU_DEP_2)
	v_cmp_eq_u32_e32 vcc_lo, 0, v2
	v_dual_cndmask_b32 v6, v6, v8 :: v_dual_lshlrev_b32 v3, 24, v3
	v_cndmask_b32_e32 v2, v2, v7, vcc_lo
	s_delay_alu instid0(VALU_DEP_2) | instskip(NEXT) | instid1(VALU_DEP_3)
	v_and_b32_e32 v3, 0x80000000, v3
	v_lshlrev_b32_e32 v6, 20, v6
	s_delay_alu instid0(VALU_DEP_3) | instskip(NEXT) | instid1(VALU_DEP_1)
	v_lshl_add_u32 v2, v2, 23, 0x3b800000
	v_or3_b32 v2, v3, v2, v6
.LBB400_558:
	s_or_b32 exec_lo, exec_lo, s20
.LBB400_559:
	s_mov_b32 s0, -1
.LBB400_560:
	s_mov_b32 s20, 0
.LBB400_561:
	s_delay_alu instid0(SALU_CYCLE_1)
	s_and_b32 vcc_lo, exec_lo, s20
	s_cbranch_vccz .LBB400_596
; %bb.562:
	v_cmp_lt_i16_e32 vcc_lo, 22, v5
	s_cbranch_vccz .LBB400_572
; %bb.563:
	v_cmp_gt_i16_e32 vcc_lo, 24, v5
	s_cbranch_vccnz .LBB400_575
; %bb.564:
	v_cmp_lt_i16_e32 vcc_lo, 24, v5
	s_cbranch_vccz .LBB400_576
; %bb.565:
	global_load_u8 v3, v[0:1], off
	s_mov_b32 s0, 0
	s_mov_b32 s21, exec_lo
                                        ; implicit-def: $sgpr20
	s_waitcnt vmcnt(0)
	v_cmpx_lt_i16_e32 0x7f, v3
	s_xor_b32 s21, exec_lo, s21
	s_cbranch_execz .LBB400_588
; %bb.566:
	s_mov_b32 s0, -1
	s_mov_b32 s22, exec_lo
                                        ; implicit-def: $sgpr20
	v_cmpx_eq_u16_e32 0x80, v3
; %bb.567:
	s_mov_b32 s20, 0x7f800001
	s_xor_b32 s0, exec_lo, -1
; %bb.568:
	s_or_b32 exec_lo, exec_lo, s22
	s_delay_alu instid0(SALU_CYCLE_1)
	s_and_b32 s0, s0, exec_lo
	s_or_saveexec_b32 s21, s21
	v_mov_b32_e32 v2, s20
	s_xor_b32 exec_lo, exec_lo, s21
	s_cbranch_execnz .LBB400_589
.LBB400_569:
	s_or_b32 exec_lo, exec_lo, s21
	s_and_saveexec_b32 s20, s0
	s_cbranch_execz .LBB400_571
.LBB400_570:
	v_and_b32_e32 v2, 0xffff, v3
	s_delay_alu instid0(VALU_DEP_1) | instskip(NEXT) | instid1(VALU_DEP_1)
	v_and_b32_e32 v6, 3, v2
	v_clz_i32_u32_e32 v7, v6
	s_delay_alu instid0(VALU_DEP_1) | instskip(NEXT) | instid1(VALU_DEP_1)
	v_min_u32_e32 v7, 32, v7
	v_subrev_nc_u32_e32 v8, 29, v7
	v_sub_nc_u32_e32 v7, 30, v7
	s_delay_alu instid0(VALU_DEP_2) | instskip(SKIP_1) | instid1(VALU_DEP_2)
	v_lshlrev_b32_e32 v8, v8, v2
	v_bfe_u32 v2, v2, 2, 5
	v_and_b32_e32 v8, 3, v8
	s_delay_alu instid0(VALU_DEP_2) | instskip(NEXT) | instid1(VALU_DEP_2)
	v_cmp_eq_u32_e32 vcc_lo, 0, v2
	v_dual_cndmask_b32 v6, v6, v8 :: v_dual_lshlrev_b32 v3, 24, v3
	v_cndmask_b32_e32 v2, v2, v7, vcc_lo
	s_delay_alu instid0(VALU_DEP_2) | instskip(NEXT) | instid1(VALU_DEP_3)
	v_and_b32_e32 v3, 0x80000000, v3
	v_lshlrev_b32_e32 v6, 21, v6
	s_delay_alu instid0(VALU_DEP_3) | instskip(NEXT) | instid1(VALU_DEP_1)
	v_lshl_add_u32 v2, v2, 23, 0x37800000
	v_or3_b32 v2, v3, v2, v6
.LBB400_571:
	s_or_b32 exec_lo, exec_lo, s20
	s_mov_b32 s0, 0
	s_branch .LBB400_577
.LBB400_572:
	s_mov_b32 s20, -1
                                        ; implicit-def: $vgpr2
	s_branch .LBB400_583
.LBB400_573:
	s_or_saveexec_b32 s21, s21
	v_mov_b32_e32 v2, s20
	s_xor_b32 exec_lo, exec_lo, s21
	s_cbranch_execz .LBB400_556
.LBB400_574:
	v_cmp_ne_u16_e32 vcc_lo, 0, v3
	v_mov_b32_e32 v2, 0
	s_and_not1_b32 s0, s0, exec_lo
	s_and_b32 s20, vcc_lo, exec_lo
	s_delay_alu instid0(SALU_CYCLE_1)
	s_or_b32 s0, s0, s20
	s_or_b32 exec_lo, exec_lo, s21
	s_and_saveexec_b32 s20, s0
	s_cbranch_execnz .LBB400_557
	s_branch .LBB400_558
.LBB400_575:
	s_mov_b32 s0, -1
                                        ; implicit-def: $vgpr2
	s_branch .LBB400_580
.LBB400_576:
	s_mov_b32 s0, -1
                                        ; implicit-def: $vgpr2
.LBB400_577:
	s_delay_alu instid0(SALU_CYCLE_1)
	s_and_b32 vcc_lo, exec_lo, s0
	s_cbranch_vccz .LBB400_579
; %bb.578:
	global_load_u8 v2, v[0:1], off
	s_waitcnt vmcnt(0)
	v_lshlrev_b32_e32 v2, 24, v2
	s_delay_alu instid0(VALU_DEP_1) | instskip(NEXT) | instid1(VALU_DEP_1)
	v_and_b32_e32 v3, 0x7f000000, v2
	v_clz_i32_u32_e32 v6, v3
	v_cmp_ne_u32_e32 vcc_lo, 0, v3
	v_add_nc_u32_e32 v8, 0x1000000, v3
	s_delay_alu instid0(VALU_DEP_3) | instskip(NEXT) | instid1(VALU_DEP_1)
	v_min_u32_e32 v6, 32, v6
	v_sub_nc_u32_e64 v6, v6, 4 clamp
	s_delay_alu instid0(VALU_DEP_1) | instskip(SKIP_1) | instid1(VALU_DEP_2)
	v_lshlrev_b32_e32 v7, v6, v3
	v_lshlrev_b32_e32 v6, 23, v6
	v_lshrrev_b32_e32 v7, 4, v7
	s_delay_alu instid0(VALU_DEP_1) | instskip(SKIP_1) | instid1(VALU_DEP_2)
	v_sub_nc_u32_e32 v6, v7, v6
	v_ashrrev_i32_e32 v7, 8, v8
	v_add_nc_u32_e32 v6, 0x3c000000, v6
	s_delay_alu instid0(VALU_DEP_1) | instskip(NEXT) | instid1(VALU_DEP_1)
	v_and_or_b32 v6, 0x7f800000, v7, v6
	v_cndmask_b32_e32 v3, 0, v6, vcc_lo
	s_delay_alu instid0(VALU_DEP_1)
	v_and_or_b32 v2, 0x80000000, v2, v3
.LBB400_579:
	s_mov_b32 s0, 0
.LBB400_580:
	s_delay_alu instid0(SALU_CYCLE_1)
	s_and_not1_b32 vcc_lo, exec_lo, s0
	s_cbranch_vccnz .LBB400_582
; %bb.581:
	global_load_u8 v2, v[0:1], off
	s_waitcnt vmcnt(0)
	v_lshlrev_b32_e32 v3, 25, v2
	v_lshlrev_b16 v2, 8, v2
	s_delay_alu instid0(VALU_DEP_2) | instskip(NEXT) | instid1(VALU_DEP_2)
	v_lshrrev_b32_e32 v6, 4, v3
	v_and_or_b32 v7, 0x7f00, v2, 0.5
	v_cmp_gt_u32_e32 vcc_lo, 0x8000000, v3
	v_bfe_i32 v2, v2, 0, 16
	s_delay_alu instid0(VALU_DEP_4) | instskip(NEXT) | instid1(VALU_DEP_1)
	v_or_b32_e32 v6, 0x70000000, v6
	v_dual_add_f32 v7, -0.5, v7 :: v_dual_mul_f32 v6, 0x7800000, v6
	s_delay_alu instid0(VALU_DEP_1) | instskip(NEXT) | instid1(VALU_DEP_1)
	v_cndmask_b32_e32 v3, v6, v7, vcc_lo
	v_and_or_b32 v2, 0x80000000, v2, v3
.LBB400_582:
	s_mov_b32 s20, 0
	s_mov_b32 s0, -1
.LBB400_583:
	s_and_not1_b32 vcc_lo, exec_lo, s20
	s_cbranch_vccnz .LBB400_596
; %bb.584:
	v_cmp_lt_i16_e32 vcc_lo, 14, v5
	s_cbranch_vccz .LBB400_587
; %bb.585:
	v_cmp_eq_u16_e32 vcc_lo, 15, v5
	s_cbranch_vccz .LBB400_590
; %bb.586:
	global_load_u16 v2, v[0:1], off
	s_mov_b32 s0, -1
	s_mov_b32 s19, 0
	s_waitcnt vmcnt(0)
	v_lshlrev_b32_e32 v2, 16, v2
	s_branch .LBB400_591
.LBB400_587:
	s_mov_b32 s20, -1
                                        ; implicit-def: $vgpr2
	s_branch .LBB400_592
.LBB400_588:
	s_or_saveexec_b32 s21, s21
	v_mov_b32_e32 v2, s20
	s_xor_b32 exec_lo, exec_lo, s21
	s_cbranch_execz .LBB400_569
.LBB400_589:
	v_cmp_ne_u16_e32 vcc_lo, 0, v3
	v_mov_b32_e32 v2, 0
	s_and_not1_b32 s0, s0, exec_lo
	s_and_b32 s20, vcc_lo, exec_lo
	s_delay_alu instid0(SALU_CYCLE_1)
	s_or_b32 s0, s0, s20
	s_or_b32 exec_lo, exec_lo, s21
	s_and_saveexec_b32 s20, s0
	s_cbranch_execnz .LBB400_570
	s_branch .LBB400_571
.LBB400_590:
	s_mov_b32 s19, -1
                                        ; implicit-def: $vgpr2
.LBB400_591:
	s_mov_b32 s20, 0
.LBB400_592:
	s_delay_alu instid0(SALU_CYCLE_1)
	s_and_b32 vcc_lo, exec_lo, s20
	s_cbranch_vccz .LBB400_596
; %bb.593:
	v_cmp_eq_u16_e32 vcc_lo, 11, v5
	s_cbranch_vccz .LBB400_595
; %bb.594:
	global_load_u8 v2, v[0:1], off
	s_mov_b32 s19, 0
	s_mov_b32 s0, -1
	s_waitcnt vmcnt(0)
	v_cmp_ne_u16_e32 vcc_lo, 0, v2
	v_cndmask_b32_e64 v2, 0, 1.0, vcc_lo
	s_branch .LBB400_596
.LBB400_595:
	s_mov_b32 s19, -1
                                        ; implicit-def: $vgpr2
.LBB400_596:
	s_mov_b32 s20, 0
.LBB400_597:
	s_delay_alu instid0(SALU_CYCLE_1)
	s_and_b32 vcc_lo, exec_lo, s20
	s_cbranch_vccz .LBB400_646
; %bb.598:
	v_cmp_gt_i16_e32 vcc_lo, 5, v5
	s_cbranch_vccnz .LBB400_603
; %bb.599:
	v_cmp_gt_i16_e32 vcc_lo, 8, v5
	s_cbranch_vccnz .LBB400_604
	;; [unrolled: 3-line block ×3, first 2 shown]
; %bb.601:
	v_cmp_lt_i16_e32 vcc_lo, 9, v5
	s_cbranch_vccz .LBB400_606
; %bb.602:
	global_load_b64 v[2:3], v[0:1], off
	s_mov_b32 s0, 0
	s_waitcnt vmcnt(0)
	v_cvt_f32_f64_e32 v2, v[2:3]
	s_branch .LBB400_607
.LBB400_603:
	s_mov_b32 s0, -1
                                        ; implicit-def: $vgpr2
	s_branch .LBB400_625
.LBB400_604:
	s_mov_b32 s0, -1
                                        ; implicit-def: $vgpr2
	s_branch .LBB400_613
.LBB400_605:
	s_mov_b32 s0, -1
                                        ; implicit-def: $vgpr2
	s_branch .LBB400_610
.LBB400_606:
	s_mov_b32 s0, -1
                                        ; implicit-def: $vgpr2
.LBB400_607:
	s_delay_alu instid0(SALU_CYCLE_1)
	s_and_not1_b32 vcc_lo, exec_lo, s0
	s_cbranch_vccnz .LBB400_609
; %bb.608:
	global_load_b32 v2, v[0:1], off
.LBB400_609:
	s_mov_b32 s0, 0
.LBB400_610:
	s_delay_alu instid0(SALU_CYCLE_1)
	s_and_not1_b32 vcc_lo, exec_lo, s0
	s_cbranch_vccnz .LBB400_612
; %bb.611:
	global_load_b32 v2, v[0:1], off
	s_waitcnt vmcnt(0)
	v_cvt_f32_f16_e32 v2, v2
.LBB400_612:
	s_mov_b32 s0, 0
.LBB400_613:
	s_delay_alu instid0(SALU_CYCLE_1)
	s_and_not1_b32 vcc_lo, exec_lo, s0
	s_cbranch_vccnz .LBB400_624
; %bb.614:
	v_cmp_gt_i16_e32 vcc_lo, 6, v5
	s_cbranch_vccnz .LBB400_617
; %bb.615:
	v_cmp_lt_i16_e32 vcc_lo, 6, v5
	s_cbranch_vccz .LBB400_618
; %bb.616:
	global_load_b64 v[2:3], v[0:1], off
	s_mov_b32 s0, 0
	s_waitcnt vmcnt(0)
	v_cvt_f32_f64_e32 v2, v[2:3]
	s_branch .LBB400_619
.LBB400_617:
	s_mov_b32 s0, -1
                                        ; implicit-def: $vgpr2
	s_branch .LBB400_622
.LBB400_618:
	s_mov_b32 s0, -1
                                        ; implicit-def: $vgpr2
.LBB400_619:
	s_delay_alu instid0(SALU_CYCLE_1)
	s_and_not1_b32 vcc_lo, exec_lo, s0
	s_cbranch_vccnz .LBB400_621
; %bb.620:
	global_load_b32 v2, v[0:1], off
.LBB400_621:
	s_mov_b32 s0, 0
.LBB400_622:
	s_delay_alu instid0(SALU_CYCLE_1)
	s_and_not1_b32 vcc_lo, exec_lo, s0
	s_cbranch_vccnz .LBB400_624
; %bb.623:
	global_load_u16 v2, v[0:1], off
	s_waitcnt vmcnt(0)
	v_cvt_f32_f16_e32 v2, v2
.LBB400_624:
	s_mov_b32 s0, 0
.LBB400_625:
	s_delay_alu instid0(SALU_CYCLE_1)
	s_and_not1_b32 vcc_lo, exec_lo, s0
	s_cbranch_vccnz .LBB400_645
; %bb.626:
	v_cmp_gt_i16_e32 vcc_lo, 2, v5
	s_cbranch_vccnz .LBB400_630
; %bb.627:
	v_cmp_gt_i16_e32 vcc_lo, 3, v5
	s_cbranch_vccnz .LBB400_631
; %bb.628:
	v_cmp_lt_i16_e32 vcc_lo, 3, v5
	s_cbranch_vccz .LBB400_632
; %bb.629:
	global_load_b64 v[2:3], v[0:1], off
	s_mov_b32 s0, 0
	s_waitcnt vmcnt(0)
	v_xor_b32_e32 v6, v2, v3
	v_cls_i32_e32 v7, v3
	s_delay_alu instid0(VALU_DEP_2) | instskip(NEXT) | instid1(VALU_DEP_2)
	v_ashrrev_i32_e32 v6, 31, v6
	v_add_nc_u32_e32 v7, -1, v7
	s_delay_alu instid0(VALU_DEP_2) | instskip(NEXT) | instid1(VALU_DEP_1)
	v_add_nc_u32_e32 v6, 32, v6
	v_min_u32_e32 v6, v7, v6
	s_delay_alu instid0(VALU_DEP_1) | instskip(NEXT) | instid1(VALU_DEP_1)
	v_lshlrev_b64 v[2:3], v6, v[2:3]
	v_min_u32_e32 v2, 1, v2
	s_delay_alu instid0(VALU_DEP_1) | instskip(SKIP_1) | instid1(VALU_DEP_2)
	v_or_b32_e32 v2, v3, v2
	v_sub_nc_u32_e32 v3, 32, v6
	v_cvt_f32_i32_e32 v2, v2
	s_delay_alu instid0(VALU_DEP_1)
	v_ldexp_f32 v2, v2, v3
	s_branch .LBB400_633
.LBB400_630:
	s_mov_b32 s0, -1
                                        ; implicit-def: $vgpr2
	s_branch .LBB400_639
.LBB400_631:
	s_mov_b32 s0, -1
                                        ; implicit-def: $vgpr2
	s_branch .LBB400_636
.LBB400_632:
	s_mov_b32 s0, -1
                                        ; implicit-def: $vgpr2
.LBB400_633:
	s_delay_alu instid0(SALU_CYCLE_1)
	s_and_not1_b32 vcc_lo, exec_lo, s0
	s_cbranch_vccnz .LBB400_635
; %bb.634:
	global_load_b32 v2, v[0:1], off
	s_waitcnt vmcnt(0)
	v_cvt_f32_i32_e32 v2, v2
.LBB400_635:
	s_mov_b32 s0, 0
.LBB400_636:
	s_delay_alu instid0(SALU_CYCLE_1)
	s_and_not1_b32 vcc_lo, exec_lo, s0
	s_cbranch_vccnz .LBB400_638
; %bb.637:
	global_load_i16 v2, v[0:1], off
	s_waitcnt vmcnt(0)
	v_cvt_f32_i32_e32 v2, v2
.LBB400_638:
	s_mov_b32 s0, 0
.LBB400_639:
	s_delay_alu instid0(SALU_CYCLE_1)
	s_and_not1_b32 vcc_lo, exec_lo, s0
	s_cbranch_vccnz .LBB400_645
; %bb.640:
	v_cmp_lt_i16_e32 vcc_lo, 0, v5
	s_mov_b32 s0, 0
	s_cbranch_vccz .LBB400_642
; %bb.641:
	global_load_i8 v2, v[0:1], off
	s_waitcnt vmcnt(0)
	v_cvt_f32_i32_e32 v2, v2
	s_branch .LBB400_643
.LBB400_642:
	s_mov_b32 s0, -1
                                        ; implicit-def: $vgpr2
.LBB400_643:
	s_delay_alu instid0(SALU_CYCLE_1)
	s_and_not1_b32 vcc_lo, exec_lo, s0
	s_cbranch_vccnz .LBB400_645
; %bb.644:
	global_load_u8 v0, v[0:1], off
	s_waitcnt vmcnt(0)
	v_cvt_f32_ubyte0_e32 v2, v0
.LBB400_645:
	s_mov_b32 s0, -1
.LBB400_646:
	s_delay_alu instid0(SALU_CYCLE_1)
	s_and_not1_b32 vcc_lo, exec_lo, s0
	s_cbranch_vccnz .LBB400_654
; %bb.647:
	v_mul_lo_u32 v3, v4, s8
	v_max_f32_e64 v0, s10, s10
	s_waitcnt vmcnt(0)
	s_delay_alu instid0(VALU_DEP_3) | instskip(SKIP_2) | instid1(VALU_DEP_3)
	v_max_f32_e32 v1, v2, v2
	v_and_b32_e64 v6, 0xff, s2
	v_cmp_u_f32_e64 s0, v2, v2
	v_max_f32_e32 v0, v1, v0
	v_ashrrev_i32_e32 v1, 31, v3
	s_delay_alu instid0(VALU_DEP_4) | instskip(NEXT) | instid1(VALU_DEP_3)
	v_cmp_gt_i16_e32 vcc_lo, 11, v6
	v_cndmask_b32_e64 v2, v0, v2, s0
	v_add_co_u32 v0, s0, s4, v3
	s_delay_alu instid0(VALU_DEP_1)
	v_add_co_ci_u32_e64 v1, s0, s5, v1, s0
	s_cbranch_vccnz .LBB400_655
; %bb.648:
	v_cmp_lt_i16_e32 vcc_lo, 25, v6
	s_cbranch_vccz .LBB400_656
; %bb.649:
	v_cmp_lt_i16_e32 vcc_lo, 28, v6
	s_cbranch_vccz .LBB400_657
	;; [unrolled: 3-line block ×4, first 2 shown]
; %bb.652:
	v_cmp_eq_u16_e32 vcc_lo, 46, v6
	s_mov_b32 s21, 0
	s_mov_b32 s0, -1
	s_mov_b32 s20, 0
	s_cbranch_vccz .LBB400_660
; %bb.653:
	v_bfe_u32 v3, v2, 16, 1
	v_cmp_o_f32_e32 vcc_lo, v2, v2
	s_mov_b32 s20, -1
	s_mov_b32 s0, 0
	s_delay_alu instid0(VALU_DEP_2) | instskip(NEXT) | instid1(VALU_DEP_1)
	v_add3_u32 v3, v2, v3, 0x7fff
	v_lshrrev_b32_e32 v3, 16, v3
	s_delay_alu instid0(VALU_DEP_1)
	v_cndmask_b32_e32 v3, 0x7fc0, v3, vcc_lo
	global_store_b32 v[0:1], v3, off
	s_branch .LBB400_660
.LBB400_654:
	s_mov_b32 s21, 0
	s_mov_b32 s0, s16
	s_branch .LBB400_771
.LBB400_655:
	s_mov_b32 s21, -1
	s_mov_b32 s20, 0
	s_mov_b32 s0, s16
	s_branch .LBB400_729
.LBB400_656:
	s_mov_b32 s21, -1
	s_mov_b32 s20, 0
	s_mov_b32 s0, s16
	s_branch .LBB400_687
.LBB400_657:
	s_mov_b32 s21, -1
	s_mov_b32 s20, 0
	s_mov_b32 s0, s16
	s_branch .LBB400_670
.LBB400_658:
	s_mov_b32 s21, -1
	s_mov_b32 s20, 0
	s_mov_b32 s0, s16
	s_branch .LBB400_666
.LBB400_659:
	s_mov_b32 s21, -1
	s_mov_b32 s20, 0
	s_mov_b32 s0, s16
.LBB400_660:
	s_and_b32 vcc_lo, exec_lo, s21
	s_cbranch_vccz .LBB400_665
; %bb.661:
	v_cmp_eq_u16_e32 vcc_lo, 44, v6
	s_mov_b32 s0, -1
	s_cbranch_vccz .LBB400_665
; %bb.662:
	v_bfe_u32 v7, v2, 23, 8
	v_mov_b32_e32 v3, 0xff
	s_mov_b32 s20, exec_lo
	s_delay_alu instid0(VALU_DEP_2)
	v_cmpx_ne_u32_e32 0xff, v7
; %bb.663:
	v_and_b32_e32 v3, 0x400000, v2
	v_and_or_b32 v7, 0x3fffff, v2, v7
	s_delay_alu instid0(VALU_DEP_2) | instskip(NEXT) | instid1(VALU_DEP_2)
	v_cmp_ne_u32_e32 vcc_lo, 0, v3
	v_cmp_ne_u32_e64 s0, 0, v7
	v_lshrrev_b32_e32 v3, 23, v2
	s_delay_alu instid0(VALU_DEP_2) | instskip(NEXT) | instid1(SALU_CYCLE_1)
	s_and_b32 s0, vcc_lo, s0
	v_cndmask_b32_e64 v7, 0, 1, s0
	s_delay_alu instid0(VALU_DEP_1)
	v_add_nc_u32_e32 v3, v3, v7
; %bb.664:
	s_or_b32 exec_lo, exec_lo, s20
	s_mov_b32 s20, -1
	s_mov_b32 s0, 0
	global_store_b8 v[0:1], v3, off
.LBB400_665:
	s_mov_b32 s21, 0
.LBB400_666:
	s_delay_alu instid0(SALU_CYCLE_1)
	s_and_b32 vcc_lo, exec_lo, s21
	s_cbranch_vccz .LBB400_669
; %bb.667:
	v_cmp_eq_u16_e32 vcc_lo, 29, v6
	s_mov_b32 s0, -1
	s_cbranch_vccz .LBB400_669
; %bb.668:
	v_trunc_f32_e32 v3, v2
	s_mov_b32 s20, -1
	s_mov_b32 s0, 0
	s_mov_b32 s21, 0
	s_delay_alu instid0(VALU_DEP_1) | instskip(NEXT) | instid1(VALU_DEP_1)
	v_mul_f32_e32 v7, 0x2f800000, v3
	v_floor_f32_e32 v7, v7
	s_delay_alu instid0(VALU_DEP_1) | instskip(SKIP_1) | instid1(VALU_DEP_2)
	v_fmamk_f32 v3, v7, 0xcf800000, v3
	v_cvt_u32_f32_e32 v8, v7
	v_cvt_u32_f32_e32 v7, v3
	global_store_b64 v[0:1], v[7:8], off
	s_branch .LBB400_670
.LBB400_669:
	s_mov_b32 s21, 0
.LBB400_670:
	s_delay_alu instid0(SALU_CYCLE_1)
	s_and_b32 vcc_lo, exec_lo, s21
	s_cbranch_vccz .LBB400_686
; %bb.671:
	v_cmp_gt_i16_e32 vcc_lo, 27, v6
	s_mov_b32 s20, -1
	s_cbranch_vccnz .LBB400_677
; %bb.672:
	v_cmp_lt_i16_e32 vcc_lo, 27, v6
	s_cbranch_vccz .LBB400_674
; %bb.673:
	v_cvt_u32_f32_e32 v3, v2
	s_mov_b32 s20, 0
	global_store_b32 v[0:1], v3, off
.LBB400_674:
	s_and_not1_b32 vcc_lo, exec_lo, s20
	s_cbranch_vccnz .LBB400_676
; %bb.675:
	v_cvt_u32_f32_e32 v3, v2
	global_store_b16 v[0:1], v3, off
.LBB400_676:
	s_mov_b32 s20, 0
.LBB400_677:
	s_delay_alu instid0(SALU_CYCLE_1)
	s_and_not1_b32 vcc_lo, exec_lo, s20
	s_cbranch_vccnz .LBB400_685
; %bb.678:
	v_and_b32_e32 v3, 0x7fffffff, v2
	v_mov_b32_e32 v7, 0x80
	s_mov_b32 s20, exec_lo
	s_delay_alu instid0(VALU_DEP_2)
	v_cmpx_gt_u32_e32 0x43800000, v3
	s_cbranch_execz .LBB400_684
; %bb.679:
	v_cmp_lt_u32_e32 vcc_lo, 0x3bffffff, v3
	s_mov_b32 s21, 0
                                        ; implicit-def: $vgpr3
	s_and_saveexec_b32 s22, vcc_lo
	s_delay_alu instid0(SALU_CYCLE_1)
	s_xor_b32 s22, exec_lo, s22
	s_cbranch_execz .LBB400_786
; %bb.680:
	v_bfe_u32 v3, v2, 20, 1
	s_mov_b32 s21, exec_lo
	s_delay_alu instid0(VALU_DEP_1) | instskip(NEXT) | instid1(VALU_DEP_1)
	v_add3_u32 v3, v2, v3, 0x487ffff
	v_lshrrev_b32_e32 v3, 20, v3
	s_or_saveexec_b32 s22, s22
                                        ; implicit-def: $sgpr23
	s_delay_alu instid0(SALU_CYCLE_1)
	s_xor_b32 exec_lo, exec_lo, s22
	s_cbranch_execnz .LBB400_787
.LBB400_681:
	s_or_b32 exec_lo, exec_lo, s22
	v_mov_b32_e32 v7, s23
	s_and_saveexec_b32 s22, s21
.LBB400_682:
	v_lshrrev_b32_e32 v7, 24, v2
	s_delay_alu instid0(VALU_DEP_1)
	v_and_or_b32 v7, 0x80, v7, v3
.LBB400_683:
	s_or_b32 exec_lo, exec_lo, s22
.LBB400_684:
	s_delay_alu instid0(SALU_CYCLE_1)
	s_or_b32 exec_lo, exec_lo, s20
	global_store_b8 v[0:1], v7, off
.LBB400_685:
	s_mov_b32 s20, -1
.LBB400_686:
	s_mov_b32 s21, 0
.LBB400_687:
	s_delay_alu instid0(SALU_CYCLE_1)
	s_and_b32 vcc_lo, exec_lo, s21
	s_cbranch_vccz .LBB400_728
; %bb.688:
	v_cmp_lt_i16_e32 vcc_lo, 22, v6
	s_mov_b32 s21, -1
	s_cbranch_vccz .LBB400_720
; %bb.689:
	v_cmp_gt_i16_e32 vcc_lo, 24, v6
	s_mov_b32 s20, -1
	s_cbranch_vccnz .LBB400_709
; %bb.690:
	v_cmp_lt_i16_e32 vcc_lo, 24, v6
	s_cbranch_vccz .LBB400_698
; %bb.691:
	v_and_b32_e32 v3, 0x7fffffff, v2
	v_mov_b32_e32 v7, 0x80
	s_mov_b32 s20, exec_lo
	s_delay_alu instid0(VALU_DEP_2)
	v_cmpx_gt_u32_e32 0x47800000, v3
	s_cbranch_execz .LBB400_697
; %bb.692:
	v_cmp_lt_u32_e32 vcc_lo, 0x37ffffff, v3
	s_mov_b32 s21, 0
                                        ; implicit-def: $vgpr3
	s_and_saveexec_b32 s22, vcc_lo
	s_delay_alu instid0(SALU_CYCLE_1)
	s_xor_b32 s22, exec_lo, s22
	s_cbranch_execz .LBB400_789
; %bb.693:
	v_bfe_u32 v3, v2, 21, 1
	s_mov_b32 s21, exec_lo
	s_delay_alu instid0(VALU_DEP_1) | instskip(NEXT) | instid1(VALU_DEP_1)
	v_add3_u32 v3, v2, v3, 0x88fffff
	v_lshrrev_b32_e32 v3, 21, v3
	s_or_saveexec_b32 s22, s22
                                        ; implicit-def: $sgpr23
	s_delay_alu instid0(SALU_CYCLE_1)
	s_xor_b32 exec_lo, exec_lo, s22
	s_cbranch_execnz .LBB400_790
.LBB400_694:
	s_or_b32 exec_lo, exec_lo, s22
	v_mov_b32_e32 v7, s23
	s_and_saveexec_b32 s22, s21
.LBB400_695:
	v_lshrrev_b32_e32 v7, 24, v2
	s_delay_alu instid0(VALU_DEP_1)
	v_and_or_b32 v7, 0x80, v7, v3
.LBB400_696:
	s_or_b32 exec_lo, exec_lo, s22
.LBB400_697:
	s_delay_alu instid0(SALU_CYCLE_1)
	s_or_b32 exec_lo, exec_lo, s20
	s_mov_b32 s20, 0
	global_store_b8 v[0:1], v7, off
.LBB400_698:
	s_and_b32 vcc_lo, exec_lo, s20
	s_cbranch_vccz .LBB400_708
; %bb.699:
	v_and_b32_e32 v7, 0x7fffffff, v2
	s_mov_b32 s20, exec_lo
                                        ; implicit-def: $vgpr3
	s_delay_alu instid0(VALU_DEP_1)
	v_cmpx_gt_u32_e32 0x43f00000, v7
	s_xor_b32 s20, exec_lo, s20
	s_cbranch_execz .LBB400_705
; %bb.700:
	s_mov_b32 s21, exec_lo
                                        ; implicit-def: $vgpr3
	v_cmpx_lt_u32_e32 0x3c7fffff, v7
	s_xor_b32 s21, exec_lo, s21
; %bb.701:
	v_bfe_u32 v3, v2, 20, 1
	s_delay_alu instid0(VALU_DEP_1) | instskip(NEXT) | instid1(VALU_DEP_1)
	v_add3_u32 v3, v2, v3, 0x407ffff
	v_and_b32_e32 v7, 0xff00000, v3
	v_lshrrev_b32_e32 v3, 20, v3
	s_delay_alu instid0(VALU_DEP_2) | instskip(NEXT) | instid1(VALU_DEP_2)
	v_cmp_ne_u32_e32 vcc_lo, 0x7f00000, v7
	v_cndmask_b32_e32 v3, 0x7e, v3, vcc_lo
; %bb.702:
	s_and_not1_saveexec_b32 s21, s21
; %bb.703:
	v_add_f32_e64 v3, 0x46800000, |v2|
; %bb.704:
	s_or_b32 exec_lo, exec_lo, s21
                                        ; implicit-def: $vgpr7
.LBB400_705:
	s_and_not1_saveexec_b32 s20, s20
; %bb.706:
	v_mov_b32_e32 v3, 0x7f
	v_cmp_lt_u32_e32 vcc_lo, 0x7f800000, v7
	s_delay_alu instid0(VALU_DEP_2)
	v_cndmask_b32_e32 v3, 0x7e, v3, vcc_lo
; %bb.707:
	s_or_b32 exec_lo, exec_lo, s20
	v_lshrrev_b32_e32 v7, 24, v2
	s_delay_alu instid0(VALU_DEP_1)
	v_and_or_b32 v3, 0x80, v7, v3
	global_store_b8 v[0:1], v3, off
.LBB400_708:
	s_mov_b32 s20, 0
.LBB400_709:
	s_delay_alu instid0(SALU_CYCLE_1)
	s_and_not1_b32 vcc_lo, exec_lo, s20
	s_cbranch_vccnz .LBB400_719
; %bb.710:
	v_and_b32_e32 v7, 0x7fffffff, v2
	s_mov_b32 s20, exec_lo
                                        ; implicit-def: $vgpr3
	s_delay_alu instid0(VALU_DEP_1)
	v_cmpx_gt_u32_e32 0x47800000, v7
	s_xor_b32 s20, exec_lo, s20
	s_cbranch_execz .LBB400_716
; %bb.711:
	s_mov_b32 s21, exec_lo
                                        ; implicit-def: $vgpr3
	v_cmpx_lt_u32_e32 0x387fffff, v7
	s_xor_b32 s21, exec_lo, s21
; %bb.712:
	v_bfe_u32 v3, v2, 21, 1
	s_delay_alu instid0(VALU_DEP_1) | instskip(NEXT) | instid1(VALU_DEP_1)
	v_add3_u32 v3, v2, v3, 0x80fffff
	v_lshrrev_b32_e32 v3, 21, v3
; %bb.713:
	s_and_not1_saveexec_b32 s21, s21
; %bb.714:
	v_add_f32_e64 v3, 0x43000000, |v2|
; %bb.715:
	s_or_b32 exec_lo, exec_lo, s21
                                        ; implicit-def: $vgpr7
.LBB400_716:
	s_and_not1_saveexec_b32 s20, s20
; %bb.717:
	v_mov_b32_e32 v3, 0x7f
	v_cmp_lt_u32_e32 vcc_lo, 0x7f800000, v7
	s_delay_alu instid0(VALU_DEP_2)
	v_cndmask_b32_e32 v3, 0x7c, v3, vcc_lo
; %bb.718:
	s_or_b32 exec_lo, exec_lo, s20
	v_lshrrev_b32_e32 v7, 24, v2
	s_delay_alu instid0(VALU_DEP_1)
	v_and_or_b32 v3, 0x80, v7, v3
	global_store_b8 v[0:1], v3, off
.LBB400_719:
	s_mov_b32 s21, 0
	s_mov_b32 s20, -1
.LBB400_720:
	s_and_not1_b32 vcc_lo, exec_lo, s21
	s_cbranch_vccnz .LBB400_728
; %bb.721:
	v_cmp_lt_i16_e32 vcc_lo, 14, v6
	s_mov_b32 s21, -1
	s_cbranch_vccz .LBB400_725
; %bb.722:
	v_cmp_eq_u16_e32 vcc_lo, 15, v6
	s_mov_b32 s0, -1
	s_cbranch_vccz .LBB400_724
; %bb.723:
	v_bfe_u32 v3, v2, 16, 1
	v_cmp_o_f32_e32 vcc_lo, v2, v2
	s_mov_b32 s20, -1
	s_mov_b32 s0, 0
	s_delay_alu instid0(VALU_DEP_2) | instskip(NEXT) | instid1(VALU_DEP_1)
	v_add3_u32 v3, v2, v3, 0x7fff
	v_lshrrev_b32_e32 v3, 16, v3
	s_delay_alu instid0(VALU_DEP_1)
	v_cndmask_b32_e32 v3, 0x7fc0, v3, vcc_lo
	global_store_b16 v[0:1], v3, off
.LBB400_724:
	s_mov_b32 s21, 0
.LBB400_725:
	s_delay_alu instid0(SALU_CYCLE_1)
	s_and_b32 vcc_lo, exec_lo, s21
	s_cbranch_vccz .LBB400_728
; %bb.726:
	v_cmp_eq_u16_e32 vcc_lo, 11, v6
	s_mov_b32 s0, -1
	s_cbranch_vccz .LBB400_728
; %bb.727:
	v_cmp_neq_f32_e32 vcc_lo, 0, v2
	s_mov_b32 s0, 0
	s_mov_b32 s20, -1
	v_cndmask_b32_e64 v3, 0, 1, vcc_lo
	global_store_b8 v[0:1], v3, off
.LBB400_728:
	s_mov_b32 s21, 0
.LBB400_729:
	s_delay_alu instid0(SALU_CYCLE_1)
	s_and_b32 vcc_lo, exec_lo, s21
	s_cbranch_vccz .LBB400_768
; %bb.730:
	v_cmp_gt_i16_e32 vcc_lo, 5, v6
	s_mov_b32 s20, -1
	s_cbranch_vccnz .LBB400_751
; %bb.731:
	v_cmp_gt_i16_e32 vcc_lo, 8, v6
	s_cbranch_vccnz .LBB400_741
; %bb.732:
	v_cmp_gt_i16_e32 vcc_lo, 9, v6
	s_cbranch_vccnz .LBB400_738
; %bb.733:
	v_cmp_lt_i16_e32 vcc_lo, 9, v6
	s_cbranch_vccz .LBB400_735
; %bb.734:
	v_cvt_f64_f32_e32 v[7:8], v2
	v_mov_b32_e32 v9, 0
	s_mov_b32 s20, 0
	s_delay_alu instid0(VALU_DEP_1)
	v_mov_b32_e32 v10, v9
	global_store_b128 v[0:1], v[7:10], off
.LBB400_735:
	s_and_not1_b32 vcc_lo, exec_lo, s20
	s_cbranch_vccnz .LBB400_737
; %bb.736:
	v_mov_b32_e32 v3, 0
	global_store_b64 v[0:1], v[2:3], off
.LBB400_737:
	s_mov_b32 s20, 0
.LBB400_738:
	s_delay_alu instid0(SALU_CYCLE_1)
	s_and_not1_b32 vcc_lo, exec_lo, s20
	s_cbranch_vccnz .LBB400_740
; %bb.739:
	v_cvt_f16_f32_e32 v3, v2
	s_delay_alu instid0(VALU_DEP_1)
	v_and_b32_e32 v3, 0xffff, v3
	global_store_b32 v[0:1], v3, off
.LBB400_740:
	s_mov_b32 s20, 0
.LBB400_741:
	s_delay_alu instid0(SALU_CYCLE_1)
	s_and_not1_b32 vcc_lo, exec_lo, s20
	s_cbranch_vccnz .LBB400_750
; %bb.742:
	v_cmp_gt_i16_e32 vcc_lo, 6, v6
	s_mov_b32 s20, -1
	s_cbranch_vccnz .LBB400_748
; %bb.743:
	v_cmp_lt_i16_e32 vcc_lo, 6, v6
	s_cbranch_vccz .LBB400_745
; %bb.744:
	v_cvt_f64_f32_e32 v[7:8], v2
	s_mov_b32 s20, 0
	global_store_b64 v[0:1], v[7:8], off
.LBB400_745:
	s_and_not1_b32 vcc_lo, exec_lo, s20
	s_cbranch_vccnz .LBB400_747
; %bb.746:
	global_store_b32 v[0:1], v2, off
.LBB400_747:
	s_mov_b32 s20, 0
.LBB400_748:
	s_delay_alu instid0(SALU_CYCLE_1)
	s_and_not1_b32 vcc_lo, exec_lo, s20
	s_cbranch_vccnz .LBB400_750
; %bb.749:
	v_cvt_f16_f32_e32 v3, v2
	global_store_b16 v[0:1], v3, off
.LBB400_750:
	s_mov_b32 s20, 0
.LBB400_751:
	s_delay_alu instid0(SALU_CYCLE_1)
	s_and_not1_b32 vcc_lo, exec_lo, s20
	s_cbranch_vccnz .LBB400_767
; %bb.752:
	v_cmp_gt_i16_e32 vcc_lo, 2, v6
	s_mov_b32 s20, -1
	s_cbranch_vccnz .LBB400_762
; %bb.753:
	v_cmp_gt_i16_e32 vcc_lo, 3, v6
	s_cbranch_vccnz .LBB400_759
; %bb.754:
	v_cmp_lt_i16_e32 vcc_lo, 3, v6
	s_cbranch_vccz .LBB400_756
; %bb.755:
	v_trunc_f32_e32 v3, v2
	s_mov_b32 s20, 0
	s_delay_alu instid0(VALU_DEP_1) | instskip(NEXT) | instid1(VALU_DEP_1)
	v_mul_f32_e64 v7, 0x2f800000, |v3|
	v_floor_f32_e32 v7, v7
	s_delay_alu instid0(VALU_DEP_1) | instskip(SKIP_2) | instid1(VALU_DEP_3)
	v_fma_f32 v8, 0xcf800000, v7, |v3|
	v_ashrrev_i32_e32 v3, 31, v3
	v_cvt_u32_f32_e32 v7, v7
	v_cvt_u32_f32_e32 v8, v8
	s_delay_alu instid0(VALU_DEP_2) | instskip(NEXT) | instid1(VALU_DEP_2)
	v_xor_b32_e32 v9, v7, v3
	v_xor_b32_e32 v8, v8, v3
	s_delay_alu instid0(VALU_DEP_1) | instskip(NEXT) | instid1(VALU_DEP_3)
	v_sub_co_u32 v7, vcc_lo, v8, v3
	v_sub_co_ci_u32_e32 v8, vcc_lo, v9, v3, vcc_lo
	global_store_b64 v[0:1], v[7:8], off
.LBB400_756:
	s_and_not1_b32 vcc_lo, exec_lo, s20
	s_cbranch_vccnz .LBB400_758
; %bb.757:
	v_cvt_i32_f32_e32 v3, v2
	global_store_b32 v[0:1], v3, off
.LBB400_758:
	s_mov_b32 s20, 0
.LBB400_759:
	s_delay_alu instid0(SALU_CYCLE_1)
	s_and_not1_b32 vcc_lo, exec_lo, s20
	s_cbranch_vccnz .LBB400_761
; %bb.760:
	v_cvt_i32_f32_e32 v3, v2
	global_store_b16 v[0:1], v3, off
.LBB400_761:
	s_mov_b32 s20, 0
.LBB400_762:
	s_delay_alu instid0(SALU_CYCLE_1)
	s_and_not1_b32 vcc_lo, exec_lo, s20
	s_cbranch_vccnz .LBB400_767
; %bb.763:
	v_cmp_lt_i16_e32 vcc_lo, 0, v6
	s_mov_b32 s20, -1
	s_cbranch_vccz .LBB400_765
; %bb.764:
	v_cvt_i32_f32_e32 v3, v2
	s_mov_b32 s20, 0
	global_store_b8 v[0:1], v3, off
.LBB400_765:
	s_and_not1_b32 vcc_lo, exec_lo, s20
	s_cbranch_vccnz .LBB400_767
; %bb.766:
	v_trunc_f32_e32 v2, v2
	s_delay_alu instid0(VALU_DEP_1) | instskip(NEXT) | instid1(VALU_DEP_1)
	v_mul_f32_e64 v3, 0x2f800000, |v2|
	v_floor_f32_e32 v3, v3
	s_delay_alu instid0(VALU_DEP_1) | instskip(SKIP_1) | instid1(VALU_DEP_2)
	v_fma_f32 v3, 0xcf800000, v3, |v2|
	v_ashrrev_i32_e32 v2, 31, v2
	v_cvt_u32_f32_e32 v3, v3
	s_delay_alu instid0(VALU_DEP_1) | instskip(NEXT) | instid1(VALU_DEP_1)
	v_xor_b32_e32 v3, v3, v2
	v_sub_nc_u32_e32 v2, v3, v2
	global_store_b8 v[0:1], v2, off
.LBB400_767:
	s_mov_b32 s20, -1
.LBB400_768:
	s_delay_alu instid0(SALU_CYCLE_1)
	s_and_not1_b32 vcc_lo, exec_lo, s20
	s_cbranch_vccnz .LBB400_770
; %bb.769:
	v_add_nc_u32_e32 v4, 0x80, v4
	s_mov_b32 s21, -1
	s_branch .LBB400_772
.LBB400_770:
	s_mov_b32 s21, 0
.LBB400_771:
                                        ; implicit-def: $vgpr4
.LBB400_772:
	s_and_not1_b32 s20, s16, exec_lo
	s_and_b32 s0, s0, exec_lo
	s_and_not1_b32 s22, s15, exec_lo
	s_and_b32 s19, s19, exec_lo
	s_or_b32 s20, s20, s0
	s_or_b32 s19, s22, s19
	s_or_not1_b32 s0, s21, exec_lo
.LBB400_773:
	s_or_b32 exec_lo, exec_lo, s18
	s_mov_b32 s21, 0
	s_mov_b32 s22, 0
	;; [unrolled: 1-line block ×3, first 2 shown]
                                        ; implicit-def: $vgpr0_vgpr1
                                        ; implicit-def: $vgpr3
	s_and_saveexec_b32 s18, s0
	s_cbranch_execz .LBB400_858
; %bb.774:
	v_cmp_gt_i32_e32 vcc_lo, s12, v4
	s_mov_b32 s0, 0
	s_mov_b32 s21, s19
                                        ; implicit-def: $vgpr0_vgpr1
                                        ; implicit-def: $vgpr3
	s_and_saveexec_b32 s12, vcc_lo
	s_cbranch_execz .LBB400_857
; %bb.775:
	v_mul_lo_u32 v0, v4, s9
	v_cmp_gt_i16_e32 vcc_lo, 11, v5
	s_delay_alu instid0(VALU_DEP_2) | instskip(SKIP_1) | instid1(VALU_DEP_1)
	v_ashrrev_i32_e32 v1, 31, v0
	v_add_co_u32 v0, s0, s6, v0
	v_add_co_ci_u32_e64 v1, s0, s7, v1, s0
	s_cbranch_vccnz .LBB400_782
; %bb.776:
	v_cmp_lt_i16_e32 vcc_lo, 25, v5
	s_mov_b32 s21, 0
	s_cbranch_vccz .LBB400_783
; %bb.777:
	v_cmp_lt_i16_e32 vcc_lo, 28, v5
	s_cbranch_vccz .LBB400_784
; %bb.778:
	v_cmp_lt_i16_e32 vcc_lo, 43, v5
	;; [unrolled: 3-line block ×3, first 2 shown]
	s_cbranch_vccz .LBB400_788
; %bb.780:
	v_cmp_eq_u16_e32 vcc_lo, 46, v5
	s_cbranch_vccz .LBB400_791
; %bb.781:
	global_load_b32 v2, v[0:1], off
	s_mov_b32 s0, 0
	s_mov_b32 s22, -1
	s_waitcnt vmcnt(0)
	v_lshlrev_b32_e32 v3, 16, v2
	s_branch .LBB400_793
.LBB400_782:
	s_mov_b32 s24, -1
	s_mov_b32 s21, 0
	s_mov_b32 s0, s19
                                        ; implicit-def: $vgpr3
	s_branch .LBB400_856
.LBB400_783:
	s_mov_b32 s23, -1
	s_mov_b32 s0, s19
                                        ; implicit-def: $vgpr3
	s_branch .LBB400_822
.LBB400_784:
	s_mov_b32 s23, -1
	s_mov_b32 s0, s19
                                        ; implicit-def: $vgpr3
	s_branch .LBB400_803
.LBB400_785:
	s_mov_b32 s23, -1
	s_mov_b32 s0, s19
                                        ; implicit-def: $vgpr3
	s_branch .LBB400_798
.LBB400_786:
	s_or_saveexec_b32 s22, s22
                                        ; implicit-def: $sgpr23
	s_delay_alu instid0(SALU_CYCLE_1)
	s_xor_b32 exec_lo, exec_lo, s22
	s_cbranch_execz .LBB400_681
.LBB400_787:
	v_add_f32_e64 v3, 0x46000000, |v2|
	s_and_not1_b32 s21, s21, exec_lo
	s_mov_b32 s23, 0
	s_delay_alu instid0(VALU_DEP_1) | instskip(NEXT) | instid1(VALU_DEP_1)
	v_and_b32_e32 v3, 0xff, v3
	v_cmp_ne_u32_e32 vcc_lo, 0, v3
	s_and_b32 s24, vcc_lo, exec_lo
	s_delay_alu instid0(SALU_CYCLE_1)
	s_or_b32 s21, s21, s24
	s_or_b32 exec_lo, exec_lo, s22
	v_mov_b32_e32 v7, s23
	s_and_saveexec_b32 s22, s21
	s_cbranch_execnz .LBB400_682
	s_branch .LBB400_683
.LBB400_788:
	s_mov_b32 s23, -1
	s_mov_b32 s0, s19
	s_branch .LBB400_792
.LBB400_789:
	s_or_saveexec_b32 s22, s22
                                        ; implicit-def: $sgpr23
	s_delay_alu instid0(SALU_CYCLE_1)
	s_xor_b32 exec_lo, exec_lo, s22
	s_cbranch_execz .LBB400_694
.LBB400_790:
	v_add_f32_e64 v3, 0x42800000, |v2|
	s_and_not1_b32 s21, s21, exec_lo
	s_mov_b32 s23, 0
	s_delay_alu instid0(VALU_DEP_1) | instskip(NEXT) | instid1(VALU_DEP_1)
	v_and_b32_e32 v3, 0xff, v3
	v_cmp_ne_u32_e32 vcc_lo, 0, v3
	s_and_b32 s24, vcc_lo, exec_lo
	s_delay_alu instid0(SALU_CYCLE_1)
	s_or_b32 s21, s21, s24
	s_or_b32 exec_lo, exec_lo, s22
	v_mov_b32_e32 v7, s23
	s_and_saveexec_b32 s22, s21
	s_cbranch_execnz .LBB400_695
	s_branch .LBB400_696
.LBB400_791:
	s_mov_b32 s0, -1
.LBB400_792:
                                        ; implicit-def: $vgpr3
.LBB400_793:
	s_and_b32 vcc_lo, exec_lo, s23
	s_cbranch_vccz .LBB400_797
; %bb.794:
	v_cmp_eq_u16_e32 vcc_lo, 44, v5
	s_cbranch_vccz .LBB400_796
; %bb.795:
	global_load_u8 v2, v[0:1], off
	s_mov_b32 s0, 0
	s_mov_b32 s22, -1
	s_waitcnt vmcnt(0)
	v_lshlrev_b32_e32 v3, 23, v2
	v_cmp_ne_u32_e32 vcc_lo, 0xff, v2
	s_delay_alu instid0(VALU_DEP_2) | instskip(SKIP_1) | instid1(VALU_DEP_2)
	v_cndmask_b32_e32 v3, 0x7f800001, v3, vcc_lo
	v_cmp_ne_u32_e32 vcc_lo, 0, v2
	v_cndmask_b32_e32 v3, 0x400000, v3, vcc_lo
	s_branch .LBB400_797
.LBB400_796:
	s_mov_b32 s0, -1
                                        ; implicit-def: $vgpr3
.LBB400_797:
	s_mov_b32 s23, 0
.LBB400_798:
	s_delay_alu instid0(SALU_CYCLE_1)
	s_and_b32 vcc_lo, exec_lo, s23
	s_cbranch_vccz .LBB400_802
; %bb.799:
	v_cmp_eq_u16_e32 vcc_lo, 29, v5
	s_cbranch_vccz .LBB400_801
; %bb.800:
	global_load_b64 v[2:3], v[0:1], off
	s_mov_b32 s0, 0
	s_mov_b32 s22, -1
	s_mov_b32 s23, 0
	s_waitcnt vmcnt(0)
	v_clz_i32_u32_e32 v6, v3
	s_delay_alu instid0(VALU_DEP_1) | instskip(NEXT) | instid1(VALU_DEP_1)
	v_min_u32_e32 v6, 32, v6
	v_lshlrev_b64 v[2:3], v6, v[2:3]
	s_delay_alu instid0(VALU_DEP_1) | instskip(NEXT) | instid1(VALU_DEP_1)
	v_min_u32_e32 v2, 1, v2
	v_or_b32_e32 v2, v3, v2
	v_sub_nc_u32_e32 v3, 32, v6
	s_delay_alu instid0(VALU_DEP_2) | instskip(NEXT) | instid1(VALU_DEP_1)
	v_cvt_f32_u32_e32 v2, v2
	v_ldexp_f32 v3, v2, v3
	s_branch .LBB400_803
.LBB400_801:
	s_mov_b32 s0, -1
                                        ; implicit-def: $vgpr3
.LBB400_802:
	s_mov_b32 s23, 0
.LBB400_803:
	s_delay_alu instid0(SALU_CYCLE_1)
	s_and_b32 vcc_lo, exec_lo, s23
	s_cbranch_vccz .LBB400_821
; %bb.804:
	v_cmp_gt_i16_e32 vcc_lo, 27, v5
	s_cbranch_vccnz .LBB400_807
; %bb.805:
	v_cmp_lt_i16_e32 vcc_lo, 27, v5
	s_cbranch_vccz .LBB400_808
; %bb.806:
	global_load_b32 v2, v[0:1], off
	s_mov_b32 s22, 0
	s_waitcnt vmcnt(0)
	v_cvt_f32_u32_e32 v3, v2
	s_branch .LBB400_809
.LBB400_807:
	s_mov_b32 s22, -1
                                        ; implicit-def: $vgpr3
	s_branch .LBB400_812
.LBB400_808:
	s_mov_b32 s22, -1
                                        ; implicit-def: $vgpr3
.LBB400_809:
	s_delay_alu instid0(SALU_CYCLE_1)
	s_and_not1_b32 vcc_lo, exec_lo, s22
	s_cbranch_vccnz .LBB400_811
; %bb.810:
	global_load_u16 v2, v[0:1], off
	s_waitcnt vmcnt(0)
	v_cvt_f32_u32_e32 v3, v2
.LBB400_811:
	s_mov_b32 s22, 0
.LBB400_812:
	s_delay_alu instid0(SALU_CYCLE_1)
	s_and_not1_b32 vcc_lo, exec_lo, s22
	s_cbranch_vccnz .LBB400_820
; %bb.813:
	global_load_u8 v2, v[0:1], off
	s_mov_b32 s22, 0
	s_mov_b32 s24, exec_lo
                                        ; implicit-def: $sgpr23
	s_waitcnt vmcnt(0)
	v_cmpx_lt_i16_e32 0x7f, v2
	s_xor_b32 s24, exec_lo, s24
	s_cbranch_execz .LBB400_834
; %bb.814:
	s_mov_b32 s22, -1
	s_mov_b32 s25, exec_lo
                                        ; implicit-def: $sgpr23
	v_cmpx_eq_u16_e32 0x80, v2
; %bb.815:
	s_mov_b32 s23, 0x7f800001
	s_xor_b32 s22, exec_lo, -1
; %bb.816:
	s_or_b32 exec_lo, exec_lo, s25
	s_delay_alu instid0(SALU_CYCLE_1)
	s_and_b32 s22, s22, exec_lo
	s_or_saveexec_b32 s24, s24
	v_mov_b32_e32 v3, s23
	s_xor_b32 exec_lo, exec_lo, s24
	s_cbranch_execnz .LBB400_835
.LBB400_817:
	s_or_b32 exec_lo, exec_lo, s24
	s_and_saveexec_b32 s23, s22
	s_cbranch_execz .LBB400_819
.LBB400_818:
	v_and_b32_e32 v3, 0xffff, v2
	v_lshlrev_b32_e32 v2, 24, v2
	s_delay_alu instid0(VALU_DEP_2) | instskip(NEXT) | instid1(VALU_DEP_2)
	v_and_b32_e32 v6, 7, v3
	v_and_b32_e32 v2, 0x80000000, v2
	s_delay_alu instid0(VALU_DEP_2) | instskip(NEXT) | instid1(VALU_DEP_1)
	v_clz_i32_u32_e32 v7, v6
	v_min_u32_e32 v7, 32, v7
	s_delay_alu instid0(VALU_DEP_1) | instskip(SKIP_1) | instid1(VALU_DEP_2)
	v_subrev_nc_u32_e32 v8, 28, v7
	v_sub_nc_u32_e32 v7, 29, v7
	v_lshlrev_b32_e32 v8, v8, v3
	v_bfe_u32 v3, v3, 3, 4
	s_delay_alu instid0(VALU_DEP_1) | instskip(NEXT) | instid1(VALU_DEP_3)
	v_cmp_eq_u32_e32 vcc_lo, 0, v3
	v_dual_cndmask_b32 v3, v3, v7 :: v_dual_and_b32 v8, 7, v8
	s_delay_alu instid0(VALU_DEP_1) | instskip(NEXT) | instid1(VALU_DEP_2)
	v_cndmask_b32_e32 v6, v6, v8, vcc_lo
	v_lshl_add_u32 v3, v3, 23, 0x3b800000
	s_delay_alu instid0(VALU_DEP_2) | instskip(NEXT) | instid1(VALU_DEP_1)
	v_lshlrev_b32_e32 v6, 20, v6
	v_or3_b32 v3, v2, v3, v6
.LBB400_819:
	s_or_b32 exec_lo, exec_lo, s23
.LBB400_820:
	s_mov_b32 s22, -1
.LBB400_821:
	s_mov_b32 s23, 0
.LBB400_822:
	s_delay_alu instid0(SALU_CYCLE_1)
	s_and_b32 vcc_lo, exec_lo, s23
	s_cbranch_vccz .LBB400_855
; %bb.823:
	v_cmp_lt_i16_e32 vcc_lo, 22, v5
	s_cbranch_vccz .LBB400_833
; %bb.824:
	v_cmp_gt_i16_e32 vcc_lo, 24, v5
	s_cbranch_vccnz .LBB400_836
; %bb.825:
	v_cmp_lt_i16_e32 vcc_lo, 24, v5
	s_cbranch_vccz .LBB400_837
; %bb.826:
	global_load_u8 v2, v[0:1], off
	s_mov_b32 s23, exec_lo
                                        ; implicit-def: $sgpr22
	s_waitcnt vmcnt(0)
	v_cmpx_lt_i16_e32 0x7f, v2
	s_xor_b32 s23, exec_lo, s23
	s_cbranch_execz .LBB400_849
; %bb.827:
	s_mov_b32 s21, -1
	s_mov_b32 s24, exec_lo
                                        ; implicit-def: $sgpr22
	v_cmpx_eq_u16_e32 0x80, v2
; %bb.828:
	s_mov_b32 s22, 0x7f800001
	s_xor_b32 s21, exec_lo, -1
; %bb.829:
	s_or_b32 exec_lo, exec_lo, s24
	s_delay_alu instid0(SALU_CYCLE_1)
	s_and_b32 s21, s21, exec_lo
	s_or_saveexec_b32 s23, s23
	v_mov_b32_e32 v3, s22
	s_xor_b32 exec_lo, exec_lo, s23
	s_cbranch_execnz .LBB400_850
.LBB400_830:
	s_or_b32 exec_lo, exec_lo, s23
	s_and_saveexec_b32 s22, s21
	s_cbranch_execz .LBB400_832
.LBB400_831:
	v_and_b32_e32 v3, 0xffff, v2
	v_lshlrev_b32_e32 v2, 24, v2
	s_delay_alu instid0(VALU_DEP_2) | instskip(NEXT) | instid1(VALU_DEP_2)
	v_and_b32_e32 v6, 3, v3
	v_and_b32_e32 v2, 0x80000000, v2
	s_delay_alu instid0(VALU_DEP_2) | instskip(NEXT) | instid1(VALU_DEP_1)
	v_clz_i32_u32_e32 v7, v6
	v_min_u32_e32 v7, 32, v7
	s_delay_alu instid0(VALU_DEP_1) | instskip(SKIP_1) | instid1(VALU_DEP_2)
	v_subrev_nc_u32_e32 v8, 29, v7
	v_sub_nc_u32_e32 v7, 30, v7
	v_lshlrev_b32_e32 v8, v8, v3
	v_bfe_u32 v3, v3, 2, 5
	s_delay_alu instid0(VALU_DEP_1) | instskip(NEXT) | instid1(VALU_DEP_3)
	v_cmp_eq_u32_e32 vcc_lo, 0, v3
	v_dual_cndmask_b32 v3, v3, v7 :: v_dual_and_b32 v8, 3, v8
	s_delay_alu instid0(VALU_DEP_1) | instskip(NEXT) | instid1(VALU_DEP_2)
	v_cndmask_b32_e32 v6, v6, v8, vcc_lo
	v_lshl_add_u32 v3, v3, 23, 0x37800000
	s_delay_alu instid0(VALU_DEP_2) | instskip(NEXT) | instid1(VALU_DEP_1)
	v_lshlrev_b32_e32 v6, 21, v6
	v_or3_b32 v3, v2, v3, v6
.LBB400_832:
	s_or_b32 exec_lo, exec_lo, s22
	s_mov_b32 s21, 0
	s_branch .LBB400_838
.LBB400_833:
	s_mov_b32 s21, -1
                                        ; implicit-def: $vgpr3
	s_branch .LBB400_844
.LBB400_834:
	s_or_saveexec_b32 s24, s24
	v_mov_b32_e32 v3, s23
	s_xor_b32 exec_lo, exec_lo, s24
	s_cbranch_execz .LBB400_817
.LBB400_835:
	v_cmp_ne_u16_e32 vcc_lo, 0, v2
	v_mov_b32_e32 v3, 0
	s_and_not1_b32 s22, s22, exec_lo
	s_and_b32 s23, vcc_lo, exec_lo
	s_delay_alu instid0(SALU_CYCLE_1)
	s_or_b32 s22, s22, s23
	s_or_b32 exec_lo, exec_lo, s24
	s_and_saveexec_b32 s23, s22
	s_cbranch_execnz .LBB400_818
	s_branch .LBB400_819
.LBB400_836:
	s_mov_b32 s21, -1
                                        ; implicit-def: $vgpr3
	s_branch .LBB400_841
.LBB400_837:
	s_mov_b32 s21, -1
                                        ; implicit-def: $vgpr3
.LBB400_838:
	s_delay_alu instid0(SALU_CYCLE_1)
	s_and_b32 vcc_lo, exec_lo, s21
	s_cbranch_vccz .LBB400_840
; %bb.839:
	global_load_u8 v2, v[0:1], off
	s_waitcnt vmcnt(0)
	v_lshlrev_b32_e32 v2, 24, v2
	s_delay_alu instid0(VALU_DEP_1) | instskip(NEXT) | instid1(VALU_DEP_1)
	v_and_b32_e32 v3, 0x7f000000, v2
	v_clz_i32_u32_e32 v6, v3
	v_cmp_ne_u32_e32 vcc_lo, 0, v3
	v_add_nc_u32_e32 v8, 0x1000000, v3
	s_delay_alu instid0(VALU_DEP_3) | instskip(NEXT) | instid1(VALU_DEP_1)
	v_min_u32_e32 v6, 32, v6
	v_sub_nc_u32_e64 v6, v6, 4 clamp
	s_delay_alu instid0(VALU_DEP_1) | instskip(SKIP_1) | instid1(VALU_DEP_2)
	v_lshlrev_b32_e32 v7, v6, v3
	v_lshlrev_b32_e32 v6, 23, v6
	v_lshrrev_b32_e32 v7, 4, v7
	s_delay_alu instid0(VALU_DEP_1) | instskip(SKIP_1) | instid1(VALU_DEP_2)
	v_sub_nc_u32_e32 v6, v7, v6
	v_ashrrev_i32_e32 v7, 8, v8
	v_add_nc_u32_e32 v6, 0x3c000000, v6
	s_delay_alu instid0(VALU_DEP_1) | instskip(NEXT) | instid1(VALU_DEP_1)
	v_and_or_b32 v6, 0x7f800000, v7, v6
	v_cndmask_b32_e32 v3, 0, v6, vcc_lo
	s_delay_alu instid0(VALU_DEP_1)
	v_and_or_b32 v3, 0x80000000, v2, v3
.LBB400_840:
	s_mov_b32 s21, 0
.LBB400_841:
	s_delay_alu instid0(SALU_CYCLE_1)
	s_and_not1_b32 vcc_lo, exec_lo, s21
	s_cbranch_vccnz .LBB400_843
; %bb.842:
	global_load_u8 v2, v[0:1], off
	s_waitcnt vmcnt(0)
	v_lshlrev_b32_e32 v3, 25, v2
	v_lshlrev_b16 v2, 8, v2
	s_delay_alu instid0(VALU_DEP_2) | instskip(NEXT) | instid1(VALU_DEP_2)
	v_lshrrev_b32_e32 v6, 4, v3
	v_and_or_b32 v7, 0x7f00, v2, 0.5
	v_cmp_gt_u32_e32 vcc_lo, 0x8000000, v3
	v_bfe_i32 v2, v2, 0, 16
	s_delay_alu instid0(VALU_DEP_4) | instskip(NEXT) | instid1(VALU_DEP_1)
	v_or_b32_e32 v6, 0x70000000, v6
	v_dual_add_f32 v7, -0.5, v7 :: v_dual_mul_f32 v6, 0x7800000, v6
	s_delay_alu instid0(VALU_DEP_1) | instskip(NEXT) | instid1(VALU_DEP_1)
	v_cndmask_b32_e32 v3, v6, v7, vcc_lo
	v_and_or_b32 v3, 0x80000000, v2, v3
.LBB400_843:
	s_mov_b32 s21, 0
	s_mov_b32 s22, -1
.LBB400_844:
	s_and_not1_b32 vcc_lo, exec_lo, s21
	s_mov_b32 s21, 0
	s_cbranch_vccnz .LBB400_855
; %bb.845:
	v_cmp_lt_i16_e32 vcc_lo, 14, v5
	s_cbranch_vccz .LBB400_848
; %bb.846:
	v_cmp_eq_u16_e32 vcc_lo, 15, v5
	s_cbranch_vccz .LBB400_851
; %bb.847:
	global_load_u16 v2, v[0:1], off
	s_mov_b32 s0, 0
	s_mov_b32 s22, -1
	s_waitcnt vmcnt(0)
	v_lshlrev_b32_e32 v3, 16, v2
	s_branch .LBB400_853
.LBB400_848:
	s_mov_b32 s21, -1
	s_branch .LBB400_852
.LBB400_849:
	s_or_saveexec_b32 s23, s23
	v_mov_b32_e32 v3, s22
	s_xor_b32 exec_lo, exec_lo, s23
	s_cbranch_execz .LBB400_830
.LBB400_850:
	v_cmp_ne_u16_e32 vcc_lo, 0, v2
	v_mov_b32_e32 v3, 0
	s_and_not1_b32 s21, s21, exec_lo
	s_and_b32 s22, vcc_lo, exec_lo
	s_delay_alu instid0(SALU_CYCLE_1)
	s_or_b32 s21, s21, s22
	s_or_b32 exec_lo, exec_lo, s23
	s_and_saveexec_b32 s22, s21
	s_cbranch_execnz .LBB400_831
	s_branch .LBB400_832
.LBB400_851:
	s_mov_b32 s0, -1
.LBB400_852:
                                        ; implicit-def: $vgpr3
.LBB400_853:
	s_and_b32 vcc_lo, exec_lo, s21
	s_mov_b32 s21, 0
	s_cbranch_vccz .LBB400_855
; %bb.854:
	v_cmp_ne_u16_e32 vcc_lo, 11, v5
	s_and_not1_b32 s0, s0, exec_lo
	s_mov_b32 s21, -1
                                        ; implicit-def: $vgpr3
	s_and_b32 s23, vcc_lo, exec_lo
	s_delay_alu instid0(SALU_CYCLE_1)
	s_or_b32 s0, s0, s23
.LBB400_855:
	s_mov_b32 s24, 0
.LBB400_856:
	s_and_b32 s23, s22, exec_lo
	s_and_b32 s22, s24, exec_lo
	s_and_not1_b32 s24, s19, exec_lo
	s_and_b32 s25, s0, exec_lo
	s_and_b32 s0, s21, exec_lo
	s_or_b32 s21, s24, s25
.LBB400_857:
	s_or_b32 exec_lo, exec_lo, s12
	s_delay_alu instid0(SALU_CYCLE_1)
	s_and_not1_b32 s12, s19, exec_lo
	s_and_b32 s19, s21, exec_lo
	s_and_b32 s23, s23, exec_lo
	;; [unrolled: 1-line block ×4, first 2 shown]
	s_or_b32 s19, s12, s19
.LBB400_858:
	s_or_b32 exec_lo, exec_lo, s18
	s_delay_alu instid0(SALU_CYCLE_1)
	s_and_not1_b32 s0, s16, exec_lo
	s_and_b32 s12, s20, exec_lo
	s_and_b32 s20, s22, exec_lo
	s_or_b32 s16, s0, s12
	s_and_not1_b32 s12, s15, exec_lo
	s_and_b32 s15, s19, exec_lo
	s_and_b32 s0, s23, exec_lo
	;; [unrolled: 1-line block ×3, first 2 shown]
	s_or_b32 s15, s12, s15
.LBB400_859:
	s_or_b32 exec_lo, exec_lo, s17
	s_delay_alu instid0(SALU_CYCLE_1)
	s_and_not1_b32 s11, s11, exec_lo
	s_and_b32 s12, s16, exec_lo
	s_and_b32 s0, s0, exec_lo
	s_or_b32 s11, s11, s12
	s_and_not1_b32 s12, s13, exec_lo
	s_and_b32 s13, s15, exec_lo
	s_and_b32 s16, s20, exec_lo
	;; [unrolled: 1-line block ×3, first 2 shown]
	s_or_b32 s13, s12, s13
.LBB400_860:
	s_or_b32 exec_lo, exec_lo, s14
	s_mov_b32 s12, 0
	s_and_saveexec_b32 s14, s13
	s_cbranch_execnz .LBB400_872
; %bb.861:
	s_or_b32 exec_lo, exec_lo, s14
	s_and_saveexec_b32 s13, s15
	s_delay_alu instid0(SALU_CYCLE_1)
	s_xor_b32 s13, exec_lo, s13
	s_cbranch_execz .LBB400_863
.LBB400_862:
	global_load_u8 v2, v[0:1], off
	s_or_b32 s0, s0, exec_lo
	s_waitcnt vmcnt(0)
	v_cmp_ne_u16_e32 vcc_lo, 0, v2
	v_cndmask_b32_e64 v3, 0, 1.0, vcc_lo
.LBB400_863:
	s_or_b32 exec_lo, exec_lo, s13
	s_and_saveexec_b32 s13, s16
	s_cbranch_execz .LBB400_911
; %bb.864:
	v_cmp_gt_i16_e32 vcc_lo, 5, v5
	s_cbranch_vccnz .LBB400_869
; %bb.865:
	v_cmp_gt_i16_e32 vcc_lo, 8, v5
	s_cbranch_vccnz .LBB400_870
	;; [unrolled: 3-line block ×3, first 2 shown]
; %bb.867:
	v_cmp_lt_i16_e32 vcc_lo, 9, v5
	s_cbranch_vccz .LBB400_874
; %bb.868:
	global_load_b64 v[2:3], v[0:1], off
	s_mov_b32 s14, 0
	s_waitcnt vmcnt(0)
	v_cvt_f32_f64_e32 v3, v[2:3]
	s_branch .LBB400_875
.LBB400_869:
                                        ; implicit-def: $vgpr3
	s_branch .LBB400_892
.LBB400_870:
                                        ; implicit-def: $vgpr3
	s_branch .LBB400_881
.LBB400_871:
	s_mov_b32 s14, -1
                                        ; implicit-def: $vgpr3
	s_branch .LBB400_878
.LBB400_872:
	s_cbranch_execnz .LBB400_920
; %bb.873:
	s_mov_b32 s12, exec_lo
	s_and_not1_b32 s15, s15, exec_lo
                                        ; implicit-def: $vgpr3
	s_or_b32 exec_lo, exec_lo, s14
	s_and_saveexec_b32 s13, s15
	s_delay_alu instid0(SALU_CYCLE_1)
	s_xor_b32 s13, exec_lo, s13
	s_cbranch_execnz .LBB400_862
	s_branch .LBB400_863
.LBB400_874:
	s_mov_b32 s14, -1
                                        ; implicit-def: $vgpr3
.LBB400_875:
	s_delay_alu instid0(SALU_CYCLE_1)
	s_and_not1_b32 vcc_lo, exec_lo, s14
	s_cbranch_vccnz .LBB400_877
; %bb.876:
	global_load_b32 v3, v[0:1], off
.LBB400_877:
	s_mov_b32 s14, 0
.LBB400_878:
	s_delay_alu instid0(SALU_CYCLE_1)
	s_and_not1_b32 vcc_lo, exec_lo, s14
	s_cbranch_vccnz .LBB400_880
; %bb.879:
	global_load_b32 v2, v[0:1], off
	s_waitcnt vmcnt(0)
	v_cvt_f32_f16_e32 v3, v2
.LBB400_880:
	s_cbranch_execnz .LBB400_891
.LBB400_881:
	v_cmp_gt_i16_e32 vcc_lo, 6, v5
	s_cbranch_vccnz .LBB400_884
; %bb.882:
	v_cmp_lt_i16_e32 vcc_lo, 6, v5
	s_cbranch_vccz .LBB400_885
; %bb.883:
	global_load_b64 v[2:3], v[0:1], off
	s_mov_b32 s14, 0
	s_waitcnt vmcnt(0)
	v_cvt_f32_f64_e32 v3, v[2:3]
	s_branch .LBB400_886
.LBB400_884:
	s_mov_b32 s14, -1
                                        ; implicit-def: $vgpr3
	s_branch .LBB400_889
.LBB400_885:
	s_mov_b32 s14, -1
                                        ; implicit-def: $vgpr3
.LBB400_886:
	s_delay_alu instid0(SALU_CYCLE_1)
	s_and_not1_b32 vcc_lo, exec_lo, s14
	s_cbranch_vccnz .LBB400_888
; %bb.887:
	global_load_b32 v3, v[0:1], off
.LBB400_888:
	s_mov_b32 s14, 0
.LBB400_889:
	s_delay_alu instid0(SALU_CYCLE_1)
	s_and_not1_b32 vcc_lo, exec_lo, s14
	s_cbranch_vccnz .LBB400_891
; %bb.890:
	global_load_u16 v2, v[0:1], off
	s_waitcnt vmcnt(0)
	v_cvt_f32_f16_e32 v3, v2
.LBB400_891:
	s_cbranch_execnz .LBB400_910
.LBB400_892:
	v_cmp_gt_i16_e32 vcc_lo, 2, v5
	s_cbranch_vccnz .LBB400_896
; %bb.893:
	v_cmp_gt_i16_e32 vcc_lo, 3, v5
	s_cbranch_vccnz .LBB400_897
; %bb.894:
	v_cmp_lt_i16_e32 vcc_lo, 3, v5
	s_cbranch_vccz .LBB400_898
; %bb.895:
	global_load_b64 v[2:3], v[0:1], off
	s_mov_b32 s14, 0
	s_waitcnt vmcnt(0)
	v_xor_b32_e32 v6, v2, v3
	v_cls_i32_e32 v7, v3
	s_delay_alu instid0(VALU_DEP_2) | instskip(NEXT) | instid1(VALU_DEP_2)
	v_ashrrev_i32_e32 v6, 31, v6
	v_add_nc_u32_e32 v7, -1, v7
	s_delay_alu instid0(VALU_DEP_2) | instskip(NEXT) | instid1(VALU_DEP_1)
	v_add_nc_u32_e32 v6, 32, v6
	v_min_u32_e32 v6, v7, v6
	s_delay_alu instid0(VALU_DEP_1) | instskip(NEXT) | instid1(VALU_DEP_1)
	v_lshlrev_b64 v[2:3], v6, v[2:3]
	v_min_u32_e32 v2, 1, v2
	s_delay_alu instid0(VALU_DEP_1) | instskip(SKIP_1) | instid1(VALU_DEP_2)
	v_or_b32_e32 v2, v3, v2
	v_sub_nc_u32_e32 v3, 32, v6
	v_cvt_f32_i32_e32 v2, v2
	s_delay_alu instid0(VALU_DEP_1)
	v_ldexp_f32 v3, v2, v3
	s_branch .LBB400_899
.LBB400_896:
                                        ; implicit-def: $vgpr3
	s_branch .LBB400_905
.LBB400_897:
	s_mov_b32 s14, -1
                                        ; implicit-def: $vgpr3
	s_branch .LBB400_902
.LBB400_898:
	s_mov_b32 s14, -1
                                        ; implicit-def: $vgpr3
.LBB400_899:
	s_delay_alu instid0(SALU_CYCLE_1)
	s_and_not1_b32 vcc_lo, exec_lo, s14
	s_cbranch_vccnz .LBB400_901
; %bb.900:
	global_load_b32 v2, v[0:1], off
	s_waitcnt vmcnt(0)
	v_cvt_f32_i32_e32 v3, v2
.LBB400_901:
	s_mov_b32 s14, 0
.LBB400_902:
	s_delay_alu instid0(SALU_CYCLE_1)
	s_and_not1_b32 vcc_lo, exec_lo, s14
	s_cbranch_vccnz .LBB400_904
; %bb.903:
	global_load_i16 v2, v[0:1], off
	s_waitcnt vmcnt(0)
	v_cvt_f32_i32_e32 v3, v2
.LBB400_904:
	s_cbranch_execnz .LBB400_910
.LBB400_905:
	v_cmp_lt_i16_e32 vcc_lo, 0, v5
	s_mov_b32 s14, 0
	s_cbranch_vccz .LBB400_907
; %bb.906:
	global_load_i8 v2, v[0:1], off
	s_waitcnt vmcnt(0)
	v_cvt_f32_i32_e32 v3, v2
	s_branch .LBB400_908
.LBB400_907:
	s_mov_b32 s14, -1
                                        ; implicit-def: $vgpr3
.LBB400_908:
	s_delay_alu instid0(SALU_CYCLE_1)
	s_and_not1_b32 vcc_lo, exec_lo, s14
	s_cbranch_vccnz .LBB400_910
; %bb.909:
	global_load_u8 v0, v[0:1], off
	s_waitcnt vmcnt(0)
	v_cvt_f32_ubyte0_e32 v3, v0
.LBB400_910:
	s_or_b32 s0, s0, exec_lo
.LBB400_911:
	s_or_b32 exec_lo, exec_lo, s13
	s_mov_b32 s15, 0
	s_mov_b32 s14, 0
                                        ; implicit-def: $vgpr5
                                        ; implicit-def: $vgpr0_vgpr1
                                        ; implicit-def: $vgpr2
	s_and_saveexec_b32 s13, s0
	s_cbranch_execz .LBB400_991
; %bb.912:
	v_mul_lo_u32 v4, v4, s8
	v_max_f32_e64 v0, s10, s10
	s_waitcnt vmcnt(0)
	s_delay_alu instid0(VALU_DEP_3) | instskip(SKIP_2) | instid1(VALU_DEP_3)
	v_max_f32_e32 v1, v3, v3
	v_and_b32_e64 v5, 0xff, s2
	v_cmp_u_f32_e64 s0, v3, v3
	v_max_f32_e32 v0, v1, v0
	v_ashrrev_i32_e32 v1, 31, v4
	s_delay_alu instid0(VALU_DEP_4) | instskip(NEXT) | instid1(VALU_DEP_3)
	v_cmp_gt_i16_e32 vcc_lo, 11, v5
	v_cndmask_b32_e64 v2, v0, v3, s0
	v_add_co_u32 v0, s0, s4, v4
	s_delay_alu instid0(VALU_DEP_1)
	v_add_co_ci_u32_e64 v1, s0, s5, v1, s0
	s_cbranch_vccnz .LBB400_919
; %bb.913:
	v_cmp_lt_i16_e32 vcc_lo, 25, v5
	s_mov_b32 s14, -1
	s_mov_b32 s0, s11
	s_cbranch_vccz .LBB400_949
; %bb.914:
	v_cmp_lt_i16_e32 vcc_lo, 28, v5
	s_mov_b32 s0, s11
	s_cbranch_vccz .LBB400_933
; %bb.915:
	v_cmp_lt_i16_e32 vcc_lo, 43, v5
	;; [unrolled: 4-line block ×3, first 2 shown]
	s_mov_b32 s0, s11
	s_cbranch_vccz .LBB400_923
; %bb.917:
	v_cmp_eq_u16_e32 vcc_lo, 46, v5
	s_mov_b32 s0, -1
	s_cbranch_vccz .LBB400_922
; %bb.918:
	v_bfe_u32 v3, v2, 16, 1
	v_cmp_o_f32_e32 vcc_lo, v2, v2
	s_mov_b32 s0, 0
	s_mov_b32 s14, 0
	s_delay_alu instid0(VALU_DEP_2) | instskip(NEXT) | instid1(VALU_DEP_1)
	v_add3_u32 v3, v2, v3, 0x7fff
	v_lshrrev_b32_e32 v3, 16, v3
	s_delay_alu instid0(VALU_DEP_1)
	v_cndmask_b32_e32 v3, 0x7fc0, v3, vcc_lo
	global_store_b32 v[0:1], v3, off
	s_branch .LBB400_923
.LBB400_919:
	s_mov_b32 s14, -1
	s_mov_b32 s0, s11
	s_branch .LBB400_990
.LBB400_920:
	s_trap 2
	s_sendmsg_rtn_b32 s0, sendmsg(MSG_RTN_GET_DOORBELL)
	s_mov_b32 ttmp2, m0
	s_waitcnt lgkmcnt(0)
	s_and_b32 s0, s0, 0x3ff
	s_delay_alu instid0(SALU_CYCLE_1) | instskip(NEXT) | instid1(SALU_CYCLE_1)
	s_bitset1_b32 s0, 10
	s_mov_b32 m0, s0
	s_sendmsg sendmsg(MSG_INTERRUPT)
	s_mov_b32 m0, ttmp2
.LBB400_921:                            ; =>This Inner Loop Header: Depth=1
	s_sethalt 5
	s_branch .LBB400_921
.LBB400_922:
	s_mov_b32 s14, 0
.LBB400_923:
	s_delay_alu instid0(SALU_CYCLE_1)
	s_and_b32 vcc_lo, exec_lo, s14
	s_cbranch_vccz .LBB400_928
; %bb.924:
	v_cmp_eq_u16_e32 vcc_lo, 44, v5
	s_mov_b32 s0, -1
	s_cbranch_vccz .LBB400_928
; %bb.925:
	v_bfe_u32 v4, v2, 23, 8
	v_mov_b32_e32 v3, 0xff
	s_mov_b32 s14, exec_lo
	s_delay_alu instid0(VALU_DEP_2)
	v_cmpx_ne_u32_e32 0xff, v4
; %bb.926:
	v_and_b32_e32 v3, 0x400000, v2
	v_and_or_b32 v4, 0x3fffff, v2, v4
	s_delay_alu instid0(VALU_DEP_2) | instskip(NEXT) | instid1(VALU_DEP_2)
	v_cmp_ne_u32_e32 vcc_lo, 0, v3
	v_cmp_ne_u32_e64 s0, 0, v4
	v_lshrrev_b32_e32 v3, 23, v2
	s_delay_alu instid0(VALU_DEP_2) | instskip(NEXT) | instid1(SALU_CYCLE_1)
	s_and_b32 s0, vcc_lo, s0
	v_cndmask_b32_e64 v4, 0, 1, s0
	s_delay_alu instid0(VALU_DEP_1)
	v_add_nc_u32_e32 v3, v3, v4
; %bb.927:
	s_or_b32 exec_lo, exec_lo, s14
	s_mov_b32 s0, 0
	global_store_b8 v[0:1], v3, off
.LBB400_928:
	s_mov_b32 s14, 0
.LBB400_929:
	s_delay_alu instid0(SALU_CYCLE_1)
	s_and_b32 vcc_lo, exec_lo, s14
	s_cbranch_vccz .LBB400_932
; %bb.930:
	v_cmp_eq_u16_e32 vcc_lo, 29, v5
	s_mov_b32 s0, -1
	s_cbranch_vccz .LBB400_932
; %bb.931:
	v_trunc_f32_e32 v3, v2
	s_mov_b32 s0, 0
	s_mov_b32 s14, 0
	s_delay_alu instid0(VALU_DEP_1) | instskip(NEXT) | instid1(VALU_DEP_1)
	v_mul_f32_e32 v4, 0x2f800000, v3
	v_floor_f32_e32 v4, v4
	s_delay_alu instid0(VALU_DEP_1) | instskip(SKIP_1) | instid1(VALU_DEP_2)
	v_fmamk_f32 v3, v4, 0xcf800000, v3
	v_cvt_u32_f32_e32 v4, v4
	v_cvt_u32_f32_e32 v3, v3
	global_store_b64 v[0:1], v[3:4], off
	s_branch .LBB400_933
.LBB400_932:
	s_mov_b32 s14, 0
.LBB400_933:
	s_delay_alu instid0(SALU_CYCLE_1)
	s_and_b32 vcc_lo, exec_lo, s14
	s_cbranch_vccz .LBB400_948
; %bb.934:
	v_cmp_gt_i16_e32 vcc_lo, 27, v5
	s_mov_b32 s14, -1
	s_cbranch_vccnz .LBB400_940
; %bb.935:
	v_cmp_lt_i16_e32 vcc_lo, 27, v5
	v_cvt_u32_f32_e32 v3, v2
	s_cbranch_vccz .LBB400_937
; %bb.936:
	s_mov_b32 s14, 0
	global_store_b32 v[0:1], v3, off
.LBB400_937:
	s_and_not1_b32 vcc_lo, exec_lo, s14
	s_cbranch_vccnz .LBB400_939
; %bb.938:
	global_store_b16 v[0:1], v3, off
.LBB400_939:
	s_mov_b32 s14, 0
.LBB400_940:
	s_delay_alu instid0(SALU_CYCLE_1)
	s_and_not1_b32 vcc_lo, exec_lo, s14
	s_cbranch_vccnz .LBB400_948
; %bb.941:
	v_and_b32_e32 v3, 0x7fffffff, v2
	v_mov_b32_e32 v4, 0x80
	s_mov_b32 s14, exec_lo
	s_delay_alu instid0(VALU_DEP_2)
	v_cmpx_gt_u32_e32 0x43800000, v3
	s_cbranch_execz .LBB400_947
; %bb.942:
	v_cmp_lt_u32_e32 vcc_lo, 0x3bffffff, v3
                                        ; implicit-def: $vgpr3
	s_and_saveexec_b32 s16, vcc_lo
	s_delay_alu instid0(SALU_CYCLE_1)
	s_xor_b32 s16, exec_lo, s16
	s_cbranch_execz .LBB400_1182
; %bb.943:
	v_bfe_u32 v3, v2, 20, 1
	s_mov_b32 s15, exec_lo
	s_delay_alu instid0(VALU_DEP_1) | instskip(NEXT) | instid1(VALU_DEP_1)
	v_add3_u32 v3, v2, v3, 0x487ffff
	v_lshrrev_b32_e32 v3, 20, v3
	s_or_saveexec_b32 s16, s16
                                        ; implicit-def: $sgpr17
	s_delay_alu instid0(SALU_CYCLE_1)
	s_xor_b32 exec_lo, exec_lo, s16
	s_cbranch_execnz .LBB400_1183
.LBB400_944:
	s_or_b32 exec_lo, exec_lo, s16
	v_mov_b32_e32 v4, s17
	s_and_saveexec_b32 s16, s15
.LBB400_945:
	v_lshrrev_b32_e32 v4, 24, v2
	s_delay_alu instid0(VALU_DEP_1)
	v_and_or_b32 v4, 0x80, v4, v3
.LBB400_946:
	s_or_b32 exec_lo, exec_lo, s16
.LBB400_947:
	s_delay_alu instid0(SALU_CYCLE_1)
	s_or_b32 exec_lo, exec_lo, s14
	global_store_b8 v[0:1], v4, off
.LBB400_948:
	s_mov_b32 s14, 0
.LBB400_949:
	s_delay_alu instid0(SALU_CYCLE_1)
	s_and_b32 vcc_lo, exec_lo, s14
	s_mov_b32 s14, 0
	s_cbranch_vccz .LBB400_989
; %bb.950:
	v_cmp_lt_i16_e32 vcc_lo, 22, v5
	s_mov_b32 s15, -1
	s_cbranch_vccz .LBB400_982
; %bb.951:
	v_cmp_gt_i16_e32 vcc_lo, 24, v5
	s_cbranch_vccnz .LBB400_971
; %bb.952:
	v_cmp_lt_i16_e32 vcc_lo, 24, v5
	s_cbranch_vccz .LBB400_960
; %bb.953:
	v_and_b32_e32 v3, 0x7fffffff, v2
	v_mov_b32_e32 v4, 0x80
	s_mov_b32 s15, exec_lo
	s_delay_alu instid0(VALU_DEP_2)
	v_cmpx_gt_u32_e32 0x47800000, v3
	s_cbranch_execz .LBB400_959
; %bb.954:
	v_cmp_lt_u32_e32 vcc_lo, 0x37ffffff, v3
	s_mov_b32 s16, 0
                                        ; implicit-def: $vgpr3
	s_and_saveexec_b32 s17, vcc_lo
	s_delay_alu instid0(SALU_CYCLE_1)
	s_xor_b32 s17, exec_lo, s17
	s_cbranch_execz .LBB400_1226
; %bb.955:
	v_bfe_u32 v3, v2, 21, 1
	s_mov_b32 s16, exec_lo
	s_delay_alu instid0(VALU_DEP_1) | instskip(NEXT) | instid1(VALU_DEP_1)
	v_add3_u32 v3, v2, v3, 0x88fffff
	v_lshrrev_b32_e32 v3, 21, v3
	s_or_saveexec_b32 s17, s17
                                        ; implicit-def: $sgpr18
	s_delay_alu instid0(SALU_CYCLE_1)
	s_xor_b32 exec_lo, exec_lo, s17
	s_cbranch_execnz .LBB400_1227
.LBB400_956:
	s_or_b32 exec_lo, exec_lo, s17
	v_mov_b32_e32 v4, s18
	s_and_saveexec_b32 s17, s16
.LBB400_957:
	v_lshrrev_b32_e32 v4, 24, v2
	s_delay_alu instid0(VALU_DEP_1)
	v_and_or_b32 v4, 0x80, v4, v3
.LBB400_958:
	s_or_b32 exec_lo, exec_lo, s17
.LBB400_959:
	s_delay_alu instid0(SALU_CYCLE_1)
	s_or_b32 exec_lo, exec_lo, s15
	s_mov_b32 s15, 0
	global_store_b8 v[0:1], v4, off
.LBB400_960:
	s_and_b32 vcc_lo, exec_lo, s15
	s_cbranch_vccz .LBB400_970
; %bb.961:
	v_and_b32_e32 v4, 0x7fffffff, v2
	s_mov_b32 s15, exec_lo
                                        ; implicit-def: $vgpr3
	s_delay_alu instid0(VALU_DEP_1)
	v_cmpx_gt_u32_e32 0x43f00000, v4
	s_xor_b32 s15, exec_lo, s15
	s_cbranch_execz .LBB400_967
; %bb.962:
	s_mov_b32 s16, exec_lo
                                        ; implicit-def: $vgpr3
	v_cmpx_lt_u32_e32 0x3c7fffff, v4
	s_xor_b32 s16, exec_lo, s16
; %bb.963:
	v_bfe_u32 v3, v2, 20, 1
	s_delay_alu instid0(VALU_DEP_1) | instskip(NEXT) | instid1(VALU_DEP_1)
	v_add3_u32 v3, v2, v3, 0x407ffff
	v_and_b32_e32 v4, 0xff00000, v3
	v_lshrrev_b32_e32 v3, 20, v3
	s_delay_alu instid0(VALU_DEP_2) | instskip(NEXT) | instid1(VALU_DEP_2)
	v_cmp_ne_u32_e32 vcc_lo, 0x7f00000, v4
	v_cndmask_b32_e32 v3, 0x7e, v3, vcc_lo
; %bb.964:
	s_and_not1_saveexec_b32 s16, s16
; %bb.965:
	v_add_f32_e64 v3, 0x46800000, |v2|
; %bb.966:
	s_or_b32 exec_lo, exec_lo, s16
                                        ; implicit-def: $vgpr4
.LBB400_967:
	s_and_not1_saveexec_b32 s15, s15
; %bb.968:
	v_mov_b32_e32 v3, 0x7f
	v_cmp_lt_u32_e32 vcc_lo, 0x7f800000, v4
	s_delay_alu instid0(VALU_DEP_2)
	v_cndmask_b32_e32 v3, 0x7e, v3, vcc_lo
; %bb.969:
	s_or_b32 exec_lo, exec_lo, s15
	v_lshrrev_b32_e32 v4, 24, v2
	s_delay_alu instid0(VALU_DEP_1)
	v_and_or_b32 v3, 0x80, v4, v3
	global_store_b8 v[0:1], v3, off
.LBB400_970:
	s_mov_b32 s15, 0
.LBB400_971:
	s_delay_alu instid0(SALU_CYCLE_1)
	s_and_not1_b32 vcc_lo, exec_lo, s15
	s_cbranch_vccnz .LBB400_981
; %bb.972:
	v_and_b32_e32 v4, 0x7fffffff, v2
	s_mov_b32 s15, exec_lo
                                        ; implicit-def: $vgpr3
	s_delay_alu instid0(VALU_DEP_1)
	v_cmpx_gt_u32_e32 0x47800000, v4
	s_xor_b32 s15, exec_lo, s15
	s_cbranch_execz .LBB400_978
; %bb.973:
	s_mov_b32 s16, exec_lo
                                        ; implicit-def: $vgpr3
	v_cmpx_lt_u32_e32 0x387fffff, v4
	s_xor_b32 s16, exec_lo, s16
; %bb.974:
	v_bfe_u32 v3, v2, 21, 1
	s_delay_alu instid0(VALU_DEP_1) | instskip(NEXT) | instid1(VALU_DEP_1)
	v_add3_u32 v3, v2, v3, 0x80fffff
	v_lshrrev_b32_e32 v3, 21, v3
; %bb.975:
	s_and_not1_saveexec_b32 s16, s16
; %bb.976:
	v_add_f32_e64 v3, 0x43000000, |v2|
; %bb.977:
	s_or_b32 exec_lo, exec_lo, s16
                                        ; implicit-def: $vgpr4
.LBB400_978:
	s_and_not1_saveexec_b32 s15, s15
; %bb.979:
	v_mov_b32_e32 v3, 0x7f
	v_cmp_lt_u32_e32 vcc_lo, 0x7f800000, v4
	s_delay_alu instid0(VALU_DEP_2)
	v_cndmask_b32_e32 v3, 0x7c, v3, vcc_lo
; %bb.980:
	s_or_b32 exec_lo, exec_lo, s15
	v_lshrrev_b32_e32 v4, 24, v2
	s_delay_alu instid0(VALU_DEP_1)
	v_and_or_b32 v3, 0x80, v4, v3
	global_store_b8 v[0:1], v3, off
.LBB400_981:
	s_mov_b32 s15, 0
.LBB400_982:
	s_delay_alu instid0(SALU_CYCLE_1)
	s_and_not1_b32 vcc_lo, exec_lo, s15
	s_mov_b32 s15, 0
	s_cbranch_vccnz .LBB400_990
; %bb.983:
	v_cmp_lt_i16_e32 vcc_lo, 14, v5
	s_mov_b32 s15, -1
	s_cbranch_vccz .LBB400_987
; %bb.984:
	v_cmp_eq_u16_e32 vcc_lo, 15, v5
	s_mov_b32 s0, -1
	s_cbranch_vccz .LBB400_986
; %bb.985:
	v_bfe_u32 v3, v2, 16, 1
	v_cmp_o_f32_e32 vcc_lo, v2, v2
	s_mov_b32 s0, 0
	s_delay_alu instid0(VALU_DEP_2) | instskip(NEXT) | instid1(VALU_DEP_1)
	v_add3_u32 v3, v2, v3, 0x7fff
	v_lshrrev_b32_e32 v3, 16, v3
	s_delay_alu instid0(VALU_DEP_1)
	v_cndmask_b32_e32 v3, 0x7fc0, v3, vcc_lo
	global_store_b16 v[0:1], v3, off
.LBB400_986:
	s_mov_b32 s15, 0
.LBB400_987:
	s_delay_alu instid0(SALU_CYCLE_1)
	s_and_b32 vcc_lo, exec_lo, s15
	s_mov_b32 s15, 0
	s_cbranch_vccz .LBB400_990
; %bb.988:
	v_cmp_ne_u16_e32 vcc_lo, 11, v5
	s_and_not1_b32 s0, s0, exec_lo
	s_mov_b32 s15, -1
	s_and_b32 s16, vcc_lo, exec_lo
	s_delay_alu instid0(SALU_CYCLE_1)
	s_or_b32 s0, s0, s16
	s_branch .LBB400_990
.LBB400_989:
	s_mov_b32 s15, 0
.LBB400_990:
	s_and_not1_b32 s11, s11, exec_lo
	s_and_b32 s0, s0, exec_lo
	s_and_b32 s14, s14, exec_lo
	;; [unrolled: 1-line block ×3, first 2 shown]
	s_or_b32 s11, s11, s0
.LBB400_991:
	s_or_b32 exec_lo, exec_lo, s13
	s_and_saveexec_b32 s0, s11
	s_cbranch_execnz .LBB400_1053
; %bb.992:
	s_or_b32 exec_lo, exec_lo, s0
	s_and_saveexec_b32 s0, s15
	s_delay_alu instid0(SALU_CYCLE_1)
	s_xor_b32 s0, exec_lo, s0
	s_cbranch_execz .LBB400_994
.LBB400_993:
	s_waitcnt vmcnt(0)
	v_cmp_neq_f32_e32 vcc_lo, 0, v2
	v_cndmask_b32_e64 v3, 0, 1, vcc_lo
	global_store_b8 v[0:1], v3, off
.LBB400_994:
	s_or_b32 exec_lo, exec_lo, s0
	s_and_saveexec_b32 s0, s14
	s_delay_alu instid0(SALU_CYCLE_1)
	s_xor_b32 s0, exec_lo, s0
	s_cbranch_execz .LBB400_1032
; %bb.995:
	v_cmp_gt_i16_e32 vcc_lo, 5, v5
	s_mov_b32 s11, -1
	s_cbranch_vccnz .LBB400_1016
; %bb.996:
	v_cmp_gt_i16_e32 vcc_lo, 8, v5
	s_cbranch_vccnz .LBB400_1006
; %bb.997:
	v_cmp_gt_i16_e32 vcc_lo, 9, v5
	s_cbranch_vccnz .LBB400_1003
; %bb.998:
	v_cmp_lt_i16_e32 vcc_lo, 9, v5
	s_cbranch_vccz .LBB400_1000
; %bb.999:
	s_waitcnt vmcnt(0)
	v_cvt_f64_f32_e32 v[6:7], v2
	v_mov_b32_e32 v8, 0
	s_mov_b32 s11, 0
	s_delay_alu instid0(VALU_DEP_1)
	v_mov_b32_e32 v9, v8
	global_store_b128 v[0:1], v[6:9], off
.LBB400_1000:
	s_and_not1_b32 vcc_lo, exec_lo, s11
	s_cbranch_vccnz .LBB400_1002
; %bb.1001:
	s_waitcnt vmcnt(0)
	v_mov_b32_e32 v3, 0
	global_store_b64 v[0:1], v[2:3], off
.LBB400_1002:
	s_mov_b32 s11, 0
.LBB400_1003:
	s_delay_alu instid0(SALU_CYCLE_1)
	s_and_not1_b32 vcc_lo, exec_lo, s11
	s_cbranch_vccnz .LBB400_1005
; %bb.1004:
	s_waitcnt vmcnt(0)
	v_cvt_f16_f32_e32 v3, v2
	s_delay_alu instid0(VALU_DEP_1)
	v_and_b32_e32 v3, 0xffff, v3
	global_store_b32 v[0:1], v3, off
.LBB400_1005:
	s_mov_b32 s11, 0
.LBB400_1006:
	s_delay_alu instid0(SALU_CYCLE_1)
	s_and_not1_b32 vcc_lo, exec_lo, s11
	s_cbranch_vccnz .LBB400_1015
; %bb.1007:
	v_cmp_gt_i16_e32 vcc_lo, 6, v5
	s_mov_b32 s11, -1
	s_cbranch_vccnz .LBB400_1013
; %bb.1008:
	v_cmp_lt_i16_e32 vcc_lo, 6, v5
	s_cbranch_vccz .LBB400_1010
; %bb.1009:
	s_waitcnt vmcnt(0)
	v_cvt_f64_f32_e32 v[3:4], v2
	s_mov_b32 s11, 0
	global_store_b64 v[0:1], v[3:4], off
.LBB400_1010:
	s_and_not1_b32 vcc_lo, exec_lo, s11
	s_cbranch_vccnz .LBB400_1012
; %bb.1011:
	s_waitcnt vmcnt(0)
	global_store_b32 v[0:1], v2, off
.LBB400_1012:
	s_mov_b32 s11, 0
.LBB400_1013:
	s_delay_alu instid0(SALU_CYCLE_1)
	s_and_not1_b32 vcc_lo, exec_lo, s11
	s_cbranch_vccnz .LBB400_1015
; %bb.1014:
	s_waitcnt vmcnt(0)
	v_cvt_f16_f32_e32 v3, v2
	global_store_b16 v[0:1], v3, off
.LBB400_1015:
	s_mov_b32 s11, 0
.LBB400_1016:
	s_delay_alu instid0(SALU_CYCLE_1)
	s_and_not1_b32 vcc_lo, exec_lo, s11
	s_cbranch_vccnz .LBB400_1032
; %bb.1017:
	v_cmp_gt_i16_e32 vcc_lo, 2, v5
	s_mov_b32 s11, -1
	s_cbranch_vccnz .LBB400_1027
; %bb.1018:
	v_cmp_gt_i16_e32 vcc_lo, 3, v5
	s_cbranch_vccnz .LBB400_1024
; %bb.1019:
	v_cmp_lt_i16_e32 vcc_lo, 3, v5
	s_cbranch_vccz .LBB400_1021
; %bb.1020:
	s_waitcnt vmcnt(0)
	v_trunc_f32_e32 v3, v2
	s_mov_b32 s11, 0
	s_delay_alu instid0(VALU_DEP_1) | instskip(SKIP_1) | instid1(VALU_DEP_2)
	v_mul_f32_e64 v4, 0x2f800000, |v3|
	v_ashrrev_i32_e32 v7, 31, v3
	v_floor_f32_e32 v4, v4
	s_delay_alu instid0(VALU_DEP_1) | instskip(SKIP_1) | instid1(VALU_DEP_2)
	v_fma_f32 v6, 0xcf800000, v4, |v3|
	v_cvt_u32_f32_e32 v4, v4
	v_cvt_u32_f32_e32 v3, v6
	s_delay_alu instid0(VALU_DEP_2) | instskip(NEXT) | instid1(VALU_DEP_2)
	v_xor_b32_e32 v4, v4, v7
	v_xor_b32_e32 v3, v3, v7
	s_delay_alu instid0(VALU_DEP_1) | instskip(NEXT) | instid1(VALU_DEP_3)
	v_sub_co_u32 v3, vcc_lo, v3, v7
	v_sub_co_ci_u32_e32 v4, vcc_lo, v4, v7, vcc_lo
	global_store_b64 v[0:1], v[3:4], off
.LBB400_1021:
	s_and_not1_b32 vcc_lo, exec_lo, s11
	s_cbranch_vccnz .LBB400_1023
; %bb.1022:
	s_waitcnt vmcnt(0)
	v_cvt_i32_f32_e32 v3, v2
	global_store_b32 v[0:1], v3, off
.LBB400_1023:
	s_mov_b32 s11, 0
.LBB400_1024:
	s_delay_alu instid0(SALU_CYCLE_1)
	s_and_not1_b32 vcc_lo, exec_lo, s11
	s_cbranch_vccnz .LBB400_1026
; %bb.1025:
	s_waitcnt vmcnt(0)
	v_cvt_i32_f32_e32 v3, v2
	global_store_b16 v[0:1], v3, off
.LBB400_1026:
	s_mov_b32 s11, 0
.LBB400_1027:
	s_delay_alu instid0(SALU_CYCLE_1)
	s_and_not1_b32 vcc_lo, exec_lo, s11
	s_cbranch_vccnz .LBB400_1032
; %bb.1028:
	v_cmp_lt_i16_e32 vcc_lo, 0, v5
	s_mov_b32 s11, -1
	s_cbranch_vccz .LBB400_1030
; %bb.1029:
	s_waitcnt vmcnt(0)
	v_cvt_i32_f32_e32 v3, v2
	s_mov_b32 s11, 0
	global_store_b8 v[0:1], v3, off
.LBB400_1030:
	s_and_not1_b32 vcc_lo, exec_lo, s11
	s_cbranch_vccnz .LBB400_1032
; %bb.1031:
	s_waitcnt vmcnt(0)
	v_trunc_f32_e32 v2, v2
	s_delay_alu instid0(VALU_DEP_1) | instskip(NEXT) | instid1(VALU_DEP_1)
	v_mul_f32_e64 v3, 0x2f800000, |v2|
	v_floor_f32_e32 v3, v3
	s_delay_alu instid0(VALU_DEP_1) | instskip(SKIP_1) | instid1(VALU_DEP_2)
	v_fma_f32 v3, 0xcf800000, v3, |v2|
	v_ashrrev_i32_e32 v2, 31, v2
	v_cvt_u32_f32_e32 v3, v3
	s_delay_alu instid0(VALU_DEP_1) | instskip(NEXT) | instid1(VALU_DEP_1)
	v_xor_b32_e32 v3, v3, v2
	v_sub_nc_u32_e32 v2, v3, v2
	global_store_b8 v[0:1], v2, off
.LBB400_1032:
	s_or_b32 exec_lo, exec_lo, s0
	s_delay_alu instid0(SALU_CYCLE_1)
	s_and_b32 s11, s12, exec_lo
                                        ; implicit-def: $vgpr4
                                        ; implicit-def: $vgpr5
.LBB400_1033:
	s_or_saveexec_b32 s3, s3
	s_mov_b32 s0, 0
                                        ; implicit-def: $vgpr6
                                        ; implicit-def: $vgpr0_vgpr1
                                        ; implicit-def: $vgpr2
	s_xor_b32 exec_lo, exec_lo, s3
	s_cbranch_execz .LBB400_1998
; %bb.1034:
	s_waitcnt vmcnt(0)
	v_mul_lo_u32 v3, s9, v4
	v_cmp_gt_i16_e32 vcc_lo, 11, v5
	s_delay_alu instid0(VALU_DEP_2) | instskip(SKIP_1) | instid1(VALU_DEP_1)
	v_ashrrev_i32_e32 v1, 31, v3
	v_add_co_u32 v0, s0, s6, v3
	v_add_co_ci_u32_e64 v1, s0, s7, v1, s0
	s_cbranch_vccnz .LBB400_1041
; %bb.1035:
	v_cmp_lt_i16_e32 vcc_lo, 25, v5
	s_mov_b32 s12, 0
	s_cbranch_vccz .LBB400_1047
; %bb.1036:
	v_cmp_lt_i16_e32 vcc_lo, 28, v5
	s_cbranch_vccz .LBB400_1049
; %bb.1037:
	v_cmp_lt_i16_e32 vcc_lo, 43, v5
	;; [unrolled: 3-line block ×3, first 2 shown]
	s_cbranch_vccz .LBB400_1055
; %bb.1039:
	v_cmp_eq_u16_e32 vcc_lo, 46, v5
	s_cbranch_vccz .LBB400_1095
; %bb.1040:
	global_load_b32 v2, v[0:1], off
	s_mov_b32 s0, 0
	s_mov_b32 s13, -1
	s_waitcnt vmcnt(0)
	v_lshlrev_b32_e32 v2, 16, v2
	s_branch .LBB400_1097
.LBB400_1041:
	s_mov_b32 s13, 0
	s_mov_b32 s1, s11
                                        ; implicit-def: $vgpr2
	s_cbranch_execz .LBB400_1160
; %bb.1042:
	v_cmp_gt_i16_e32 vcc_lo, 5, v5
	s_cbranch_vccnz .LBB400_1048
; %bb.1043:
	v_cmp_gt_i16_e32 vcc_lo, 8, v5
	s_cbranch_vccnz .LBB400_1050
	;; [unrolled: 3-line block ×3, first 2 shown]
; %bb.1045:
	v_cmp_lt_i16_e32 vcc_lo, 9, v5
	s_cbranch_vccz .LBB400_1056
; %bb.1046:
	global_load_b64 v[6:7], v[0:1], off
	s_mov_b32 s0, 0
	s_waitcnt vmcnt(0)
	v_cvt_f32_f64_e32 v2, v[6:7]
	s_branch .LBB400_1057
.LBB400_1047:
	s_mov_b32 s13, 0
	s_mov_b32 s0, 0
                                        ; implicit-def: $vgpr2
	s_cbranch_execnz .LBB400_1125
	s_branch .LBB400_1156
.LBB400_1048:
                                        ; implicit-def: $vgpr2
	s_branch .LBB400_1074
.LBB400_1049:
	s_mov_b32 s1, -1
	s_mov_b32 s13, 0
	s_mov_b32 s0, 0
                                        ; implicit-def: $vgpr2
	s_branch .LBB400_1106
.LBB400_1050:
                                        ; implicit-def: $vgpr2
	s_branch .LBB400_1063
.LBB400_1051:
	s_mov_b32 s13, 0
	s_mov_b32 s0, 0
                                        ; implicit-def: $vgpr2
	s_cbranch_execnz .LBB400_1102
	s_branch .LBB400_1105
.LBB400_1052:
	s_mov_b32 s0, -1
                                        ; implicit-def: $vgpr2
	s_branch .LBB400_1060
.LBB400_1053:
	s_cbranch_execnz .LBB400_1093
; %bb.1054:
	s_or_b32 s12, s12, exec_lo
	s_and_not1_b32 s15, s15, exec_lo
	s_or_b32 exec_lo, exec_lo, s0
	s_and_saveexec_b32 s0, s15
	s_delay_alu instid0(SALU_CYCLE_1)
	s_xor_b32 s0, exec_lo, s0
	s_cbranch_execnz .LBB400_993
	s_branch .LBB400_994
.LBB400_1055:
	s_mov_b32 s1, -1
	s_mov_b32 s13, 0
	s_mov_b32 s0, 0
	s_branch .LBB400_1096
.LBB400_1056:
	s_mov_b32 s0, -1
                                        ; implicit-def: $vgpr2
.LBB400_1057:
	s_delay_alu instid0(SALU_CYCLE_1)
	s_and_not1_b32 vcc_lo, exec_lo, s0
	s_cbranch_vccnz .LBB400_1059
; %bb.1058:
	global_load_b32 v2, v[0:1], off
.LBB400_1059:
	s_mov_b32 s0, 0
.LBB400_1060:
	s_delay_alu instid0(SALU_CYCLE_1)
	s_and_not1_b32 vcc_lo, exec_lo, s0
	s_cbranch_vccnz .LBB400_1062
; %bb.1061:
	global_load_b32 v2, v[0:1], off
	s_waitcnt vmcnt(0)
	v_cvt_f32_f16_e32 v2, v2
.LBB400_1062:
	s_cbranch_execnz .LBB400_1073
.LBB400_1063:
	v_cmp_gt_i16_e32 vcc_lo, 6, v5
	s_cbranch_vccnz .LBB400_1066
; %bb.1064:
	v_cmp_lt_i16_e32 vcc_lo, 6, v5
	s_cbranch_vccz .LBB400_1067
; %bb.1065:
	global_load_b64 v[6:7], v[0:1], off
	s_mov_b32 s0, 0
	s_waitcnt vmcnt(0)
	v_cvt_f32_f64_e32 v2, v[6:7]
	s_branch .LBB400_1068
.LBB400_1066:
	s_mov_b32 s0, -1
                                        ; implicit-def: $vgpr2
	s_branch .LBB400_1071
.LBB400_1067:
	s_mov_b32 s0, -1
                                        ; implicit-def: $vgpr2
.LBB400_1068:
	s_delay_alu instid0(SALU_CYCLE_1)
	s_and_not1_b32 vcc_lo, exec_lo, s0
	s_cbranch_vccnz .LBB400_1070
; %bb.1069:
	global_load_b32 v2, v[0:1], off
.LBB400_1070:
	s_mov_b32 s0, 0
.LBB400_1071:
	s_delay_alu instid0(SALU_CYCLE_1)
	s_and_not1_b32 vcc_lo, exec_lo, s0
	s_cbranch_vccnz .LBB400_1073
; %bb.1072:
	global_load_u16 v2, v[0:1], off
	s_waitcnt vmcnt(0)
	v_cvt_f32_f16_e32 v2, v2
.LBB400_1073:
	s_cbranch_execnz .LBB400_1092
.LBB400_1074:
	v_cmp_gt_i16_e32 vcc_lo, 2, v5
	s_cbranch_vccnz .LBB400_1078
; %bb.1075:
	v_cmp_gt_i16_e32 vcc_lo, 3, v5
	s_cbranch_vccnz .LBB400_1079
; %bb.1076:
	v_cmp_lt_i16_e32 vcc_lo, 3, v5
	s_cbranch_vccz .LBB400_1080
; %bb.1077:
	global_load_b64 v[6:7], v[0:1], off
	s_mov_b32 s0, 0
	s_waitcnt vmcnt(0)
	v_xor_b32_e32 v2, v6, v7
	v_cls_i32_e32 v8, v7
	s_delay_alu instid0(VALU_DEP_2) | instskip(NEXT) | instid1(VALU_DEP_2)
	v_ashrrev_i32_e32 v2, 31, v2
	v_add_nc_u32_e32 v8, -1, v8
	s_delay_alu instid0(VALU_DEP_2) | instskip(NEXT) | instid1(VALU_DEP_1)
	v_add_nc_u32_e32 v2, 32, v2
	v_min_u32_e32 v2, v8, v2
	s_delay_alu instid0(VALU_DEP_1) | instskip(SKIP_1) | instid1(VALU_DEP_2)
	v_lshlrev_b64 v[6:7], v2, v[6:7]
	v_sub_nc_u32_e32 v2, 32, v2
	v_min_u32_e32 v6, 1, v6
	s_delay_alu instid0(VALU_DEP_1) | instskip(NEXT) | instid1(VALU_DEP_1)
	v_or_b32_e32 v6, v7, v6
	v_cvt_f32_i32_e32 v6, v6
	s_delay_alu instid0(VALU_DEP_1)
	v_ldexp_f32 v2, v6, v2
	s_branch .LBB400_1081
.LBB400_1078:
                                        ; implicit-def: $vgpr2
	s_branch .LBB400_1087
.LBB400_1079:
	s_mov_b32 s0, -1
                                        ; implicit-def: $vgpr2
	s_branch .LBB400_1084
.LBB400_1080:
	s_mov_b32 s0, -1
                                        ; implicit-def: $vgpr2
.LBB400_1081:
	s_delay_alu instid0(SALU_CYCLE_1)
	s_and_not1_b32 vcc_lo, exec_lo, s0
	s_cbranch_vccnz .LBB400_1083
; %bb.1082:
	global_load_b32 v2, v[0:1], off
	s_waitcnt vmcnt(0)
	v_cvt_f32_i32_e32 v2, v2
.LBB400_1083:
	s_mov_b32 s0, 0
.LBB400_1084:
	s_delay_alu instid0(SALU_CYCLE_1)
	s_and_not1_b32 vcc_lo, exec_lo, s0
	s_cbranch_vccnz .LBB400_1086
; %bb.1085:
	global_load_i16 v2, v[0:1], off
	s_waitcnt vmcnt(0)
	v_cvt_f32_i32_e32 v2, v2
.LBB400_1086:
	s_cbranch_execnz .LBB400_1092
.LBB400_1087:
	v_cmp_lt_i16_e32 vcc_lo, 0, v5
	s_mov_b32 s0, 0
	s_cbranch_vccz .LBB400_1089
; %bb.1088:
	global_load_i8 v2, v[0:1], off
	s_waitcnt vmcnt(0)
	v_cvt_f32_i32_e32 v2, v2
	s_branch .LBB400_1090
.LBB400_1089:
	s_mov_b32 s0, -1
                                        ; implicit-def: $vgpr2
.LBB400_1090:
	s_delay_alu instid0(SALU_CYCLE_1)
	s_and_not1_b32 vcc_lo, exec_lo, s0
	s_cbranch_vccnz .LBB400_1092
; %bb.1091:
	global_load_u8 v0, v[0:1], off
	s_waitcnt vmcnt(0)
	v_cvt_f32_ubyte0_e32 v2, v0
.LBB400_1092:
	s_branch .LBB400_1161
.LBB400_1093:
	s_trap 2
	s_sendmsg_rtn_b32 s0, sendmsg(MSG_RTN_GET_DOORBELL)
	s_mov_b32 ttmp2, m0
	s_waitcnt lgkmcnt(0)
	s_and_b32 s0, s0, 0x3ff
	s_delay_alu instid0(SALU_CYCLE_1) | instskip(NEXT) | instid1(SALU_CYCLE_1)
	s_bitset1_b32 s0, 10
	s_mov_b32 m0, s0
	s_sendmsg sendmsg(MSG_INTERRUPT)
	s_mov_b32 m0, ttmp2
.LBB400_1094:                           ; =>This Inner Loop Header: Depth=1
	s_sethalt 5
	s_branch .LBB400_1094
.LBB400_1095:
	s_mov_b32 s0, -1
	s_mov_b32 s13, 0
.LBB400_1096:
                                        ; implicit-def: $vgpr2
.LBB400_1097:
	s_and_b32 vcc_lo, exec_lo, s1
	s_cbranch_vccz .LBB400_1100
; %bb.1098:
	v_cmp_eq_u16_e32 vcc_lo, 44, v5
	s_cbranch_vccz .LBB400_1101
; %bb.1099:
	global_load_u8 v2, v[0:1], off
	s_mov_b32 s0, 0
	s_mov_b32 s13, -1
	s_waitcnt vmcnt(0)
	v_lshlrev_b32_e32 v6, 23, v2
	v_cmp_ne_u32_e32 vcc_lo, 0xff, v2
	s_delay_alu instid0(VALU_DEP_2) | instskip(SKIP_1) | instid1(VALU_DEP_2)
	v_cndmask_b32_e32 v6, 0x7f800001, v6, vcc_lo
	v_cmp_ne_u32_e32 vcc_lo, 0, v2
	v_cndmask_b32_e32 v2, 0x400000, v6, vcc_lo
.LBB400_1100:
	s_branch .LBB400_1105
.LBB400_1101:
	s_mov_b32 s0, -1
                                        ; implicit-def: $vgpr2
	s_branch .LBB400_1105
.LBB400_1102:
	v_cmp_eq_u16_e32 vcc_lo, 29, v5
	s_cbranch_vccz .LBB400_1104
; %bb.1103:
	global_load_b64 v[6:7], v[0:1], off
	s_mov_b32 s0, 0
	s_mov_b32 s13, -1
	s_mov_b32 s1, 0
	s_waitcnt vmcnt(0)
	v_clz_i32_u32_e32 v2, v7
	s_delay_alu instid0(VALU_DEP_1) | instskip(NEXT) | instid1(VALU_DEP_1)
	v_min_u32_e32 v2, 32, v2
	v_lshlrev_b64 v[6:7], v2, v[6:7]
	v_sub_nc_u32_e32 v2, 32, v2
	s_delay_alu instid0(VALU_DEP_2) | instskip(NEXT) | instid1(VALU_DEP_1)
	v_min_u32_e32 v6, 1, v6
	v_or_b32_e32 v6, v7, v6
	s_delay_alu instid0(VALU_DEP_1) | instskip(NEXT) | instid1(VALU_DEP_1)
	v_cvt_f32_u32_e32 v6, v6
	v_ldexp_f32 v2, v6, v2
	s_branch .LBB400_1106
.LBB400_1104:
	s_mov_b32 s0, -1
                                        ; implicit-def: $vgpr2
.LBB400_1105:
	s_mov_b32 s1, 0
.LBB400_1106:
	s_delay_alu instid0(SALU_CYCLE_1)
	s_and_b32 vcc_lo, exec_lo, s1
	s_cbranch_vccz .LBB400_1124
; %bb.1107:
	v_cmp_gt_i16_e32 vcc_lo, 27, v5
	s_cbranch_vccnz .LBB400_1110
; %bb.1108:
	v_cmp_lt_i16_e32 vcc_lo, 27, v5
	s_cbranch_vccz .LBB400_1111
; %bb.1109:
	global_load_b32 v2, v[0:1], off
	s_mov_b32 s1, 0
	s_waitcnt vmcnt(0)
	v_cvt_f32_u32_e32 v2, v2
	s_branch .LBB400_1112
.LBB400_1110:
	s_mov_b32 s1, -1
                                        ; implicit-def: $vgpr2
	s_branch .LBB400_1115
.LBB400_1111:
	s_mov_b32 s1, -1
                                        ; implicit-def: $vgpr2
.LBB400_1112:
	s_delay_alu instid0(SALU_CYCLE_1)
	s_and_not1_b32 vcc_lo, exec_lo, s1
	s_cbranch_vccnz .LBB400_1114
; %bb.1113:
	global_load_u16 v2, v[0:1], off
	s_waitcnt vmcnt(0)
	v_cvt_f32_u32_e32 v2, v2
.LBB400_1114:
	s_mov_b32 s1, 0
.LBB400_1115:
	s_delay_alu instid0(SALU_CYCLE_1)
	s_and_not1_b32 vcc_lo, exec_lo, s1
	s_cbranch_vccnz .LBB400_1123
; %bb.1116:
	global_load_u8 v6, v[0:1], off
	s_mov_b32 s1, 0
	s_mov_b32 s14, exec_lo
                                        ; implicit-def: $sgpr13
	s_waitcnt vmcnt(0)
	v_cmpx_lt_i16_e32 0x7f, v6
	s_xor_b32 s14, exec_lo, s14
	s_cbranch_execz .LBB400_1136
; %bb.1117:
	s_mov_b32 s1, -1
	s_mov_b32 s15, exec_lo
                                        ; implicit-def: $sgpr13
	v_cmpx_eq_u16_e32 0x80, v6
; %bb.1118:
	s_mov_b32 s13, 0x7f800001
	s_xor_b32 s1, exec_lo, -1
; %bb.1119:
	s_or_b32 exec_lo, exec_lo, s15
	s_delay_alu instid0(SALU_CYCLE_1)
	s_and_b32 s1, s1, exec_lo
	s_or_saveexec_b32 s14, s14
	v_mov_b32_e32 v2, s13
	s_xor_b32 exec_lo, exec_lo, s14
	s_cbranch_execnz .LBB400_1137
.LBB400_1120:
	s_or_b32 exec_lo, exec_lo, s14
	s_and_saveexec_b32 s13, s1
	s_cbranch_execz .LBB400_1122
.LBB400_1121:
	v_and_b32_e32 v2, 0xffff, v6
	v_lshlrev_b32_e32 v6, 24, v6
	s_delay_alu instid0(VALU_DEP_2) | instskip(NEXT) | instid1(VALU_DEP_2)
	v_and_b32_e32 v7, 7, v2
	v_and_b32_e32 v6, 0x80000000, v6
	s_delay_alu instid0(VALU_DEP_2) | instskip(NEXT) | instid1(VALU_DEP_1)
	v_clz_i32_u32_e32 v8, v7
	v_min_u32_e32 v8, 32, v8
	s_delay_alu instid0(VALU_DEP_1) | instskip(SKIP_1) | instid1(VALU_DEP_2)
	v_subrev_nc_u32_e32 v9, 28, v8
	v_sub_nc_u32_e32 v8, 29, v8
	v_lshlrev_b32_e32 v9, v9, v2
	v_bfe_u32 v2, v2, 3, 4
	s_delay_alu instid0(VALU_DEP_2) | instskip(NEXT) | instid1(VALU_DEP_2)
	v_and_b32_e32 v9, 7, v9
	v_cmp_eq_u32_e32 vcc_lo, 0, v2
	s_delay_alu instid0(VALU_DEP_2) | instskip(NEXT) | instid1(VALU_DEP_1)
	v_dual_cndmask_b32 v2, v2, v8 :: v_dual_cndmask_b32 v7, v7, v9
	v_lshl_add_u32 v2, v2, 23, 0x3b800000
	s_delay_alu instid0(VALU_DEP_2) | instskip(NEXT) | instid1(VALU_DEP_1)
	v_lshlrev_b32_e32 v7, 20, v7
	v_or3_b32 v2, v6, v2, v7
.LBB400_1122:
	s_or_b32 exec_lo, exec_lo, s13
.LBB400_1123:
	s_mov_b32 s13, -1
.LBB400_1124:
	s_branch .LBB400_1156
.LBB400_1125:
	v_cmp_lt_i16_e32 vcc_lo, 22, v5
	s_cbranch_vccz .LBB400_1135
; %bb.1126:
	v_cmp_gt_i16_e32 vcc_lo, 24, v5
	s_cbranch_vccnz .LBB400_1138
; %bb.1127:
	v_cmp_lt_i16_e32 vcc_lo, 24, v5
	s_cbranch_vccz .LBB400_1139
; %bb.1128:
	global_load_u8 v6, v[0:1], off
	s_mov_b32 s1, 0
	s_mov_b32 s13, exec_lo
                                        ; implicit-def: $sgpr12
	s_waitcnt vmcnt(0)
	v_cmpx_lt_i16_e32 0x7f, v6
	s_xor_b32 s13, exec_lo, s13
	s_cbranch_execz .LBB400_1150
; %bb.1129:
	s_mov_b32 s1, -1
	s_mov_b32 s14, exec_lo
                                        ; implicit-def: $sgpr12
	v_cmpx_eq_u16_e32 0x80, v6
; %bb.1130:
	s_mov_b32 s12, 0x7f800001
	s_xor_b32 s1, exec_lo, -1
; %bb.1131:
	s_or_b32 exec_lo, exec_lo, s14
	s_delay_alu instid0(SALU_CYCLE_1)
	s_and_b32 s1, s1, exec_lo
	s_or_saveexec_b32 s13, s13
	v_mov_b32_e32 v2, s12
	s_xor_b32 exec_lo, exec_lo, s13
	s_cbranch_execnz .LBB400_1151
.LBB400_1132:
	s_or_b32 exec_lo, exec_lo, s13
	s_and_saveexec_b32 s12, s1
	s_cbranch_execz .LBB400_1134
.LBB400_1133:
	v_and_b32_e32 v2, 0xffff, v6
	v_lshlrev_b32_e32 v6, 24, v6
	s_delay_alu instid0(VALU_DEP_2) | instskip(NEXT) | instid1(VALU_DEP_2)
	v_and_b32_e32 v7, 3, v2
	v_and_b32_e32 v6, 0x80000000, v6
	s_delay_alu instid0(VALU_DEP_2) | instskip(NEXT) | instid1(VALU_DEP_1)
	v_clz_i32_u32_e32 v8, v7
	v_min_u32_e32 v8, 32, v8
	s_delay_alu instid0(VALU_DEP_1) | instskip(SKIP_1) | instid1(VALU_DEP_2)
	v_subrev_nc_u32_e32 v9, 29, v8
	v_sub_nc_u32_e32 v8, 30, v8
	v_lshlrev_b32_e32 v9, v9, v2
	v_bfe_u32 v2, v2, 2, 5
	s_delay_alu instid0(VALU_DEP_2) | instskip(NEXT) | instid1(VALU_DEP_2)
	v_and_b32_e32 v9, 3, v9
	v_cmp_eq_u32_e32 vcc_lo, 0, v2
	s_delay_alu instid0(VALU_DEP_2) | instskip(NEXT) | instid1(VALU_DEP_1)
	v_dual_cndmask_b32 v2, v2, v8 :: v_dual_cndmask_b32 v7, v7, v9
	v_lshl_add_u32 v2, v2, 23, 0x37800000
	s_delay_alu instid0(VALU_DEP_2) | instskip(NEXT) | instid1(VALU_DEP_1)
	v_lshlrev_b32_e32 v7, 21, v7
	v_or3_b32 v2, v6, v2, v7
.LBB400_1134:
	s_or_b32 exec_lo, exec_lo, s12
	s_mov_b32 s1, 0
	s_branch .LBB400_1140
.LBB400_1135:
                                        ; implicit-def: $vgpr2
	s_mov_b32 s12, 0
	s_branch .LBB400_1146
.LBB400_1136:
	s_or_saveexec_b32 s14, s14
	v_mov_b32_e32 v2, s13
	s_xor_b32 exec_lo, exec_lo, s14
	s_cbranch_execz .LBB400_1120
.LBB400_1137:
	v_cmp_ne_u16_e32 vcc_lo, 0, v6
	v_mov_b32_e32 v2, 0
	s_and_not1_b32 s1, s1, exec_lo
	s_and_b32 s13, vcc_lo, exec_lo
	s_delay_alu instid0(SALU_CYCLE_1)
	s_or_b32 s1, s1, s13
	s_or_b32 exec_lo, exec_lo, s14
	s_and_saveexec_b32 s13, s1
	s_cbranch_execnz .LBB400_1121
	s_branch .LBB400_1122
.LBB400_1138:
	s_mov_b32 s1, -1
                                        ; implicit-def: $vgpr2
	s_branch .LBB400_1143
.LBB400_1139:
	s_mov_b32 s1, -1
                                        ; implicit-def: $vgpr2
.LBB400_1140:
	s_delay_alu instid0(SALU_CYCLE_1)
	s_and_b32 vcc_lo, exec_lo, s1
	s_cbranch_vccz .LBB400_1142
; %bb.1141:
	global_load_u8 v2, v[0:1], off
	s_waitcnt vmcnt(0)
	v_lshlrev_b32_e32 v2, 24, v2
	s_delay_alu instid0(VALU_DEP_1) | instskip(NEXT) | instid1(VALU_DEP_1)
	v_and_b32_e32 v6, 0x7f000000, v2
	v_clz_i32_u32_e32 v7, v6
	v_cmp_ne_u32_e32 vcc_lo, 0, v6
	v_add_nc_u32_e32 v9, 0x1000000, v6
	s_delay_alu instid0(VALU_DEP_3) | instskip(NEXT) | instid1(VALU_DEP_1)
	v_min_u32_e32 v7, 32, v7
	v_sub_nc_u32_e64 v7, v7, 4 clamp
	s_delay_alu instid0(VALU_DEP_1) | instskip(SKIP_1) | instid1(VALU_DEP_2)
	v_lshlrev_b32_e32 v8, v7, v6
	v_lshlrev_b32_e32 v7, 23, v7
	v_lshrrev_b32_e32 v8, 4, v8
	s_delay_alu instid0(VALU_DEP_1) | instskip(SKIP_1) | instid1(VALU_DEP_2)
	v_sub_nc_u32_e32 v7, v8, v7
	v_ashrrev_i32_e32 v8, 8, v9
	v_add_nc_u32_e32 v7, 0x3c000000, v7
	s_delay_alu instid0(VALU_DEP_1) | instskip(NEXT) | instid1(VALU_DEP_1)
	v_and_or_b32 v7, 0x7f800000, v8, v7
	v_cndmask_b32_e32 v6, 0, v7, vcc_lo
	s_delay_alu instid0(VALU_DEP_1)
	v_and_or_b32 v2, 0x80000000, v2, v6
.LBB400_1142:
	s_mov_b32 s1, 0
.LBB400_1143:
	s_delay_alu instid0(SALU_CYCLE_1)
	s_and_not1_b32 vcc_lo, exec_lo, s1
	s_cbranch_vccnz .LBB400_1145
; %bb.1144:
	global_load_u8 v2, v[0:1], off
	s_waitcnt vmcnt(0)
	v_lshlrev_b32_e32 v6, 25, v2
	v_lshlrev_b16 v2, 8, v2
	s_delay_alu instid0(VALU_DEP_2) | instskip(NEXT) | instid1(VALU_DEP_2)
	v_lshrrev_b32_e32 v7, 4, v6
	v_and_or_b32 v8, 0x7f00, v2, 0.5
	v_bfe_i32 v2, v2, 0, 16
	s_delay_alu instid0(VALU_DEP_3) | instskip(NEXT) | instid1(VALU_DEP_1)
	v_or_b32_e32 v7, 0x70000000, v7
	v_dual_add_f32 v8, -0.5, v8 :: v_dual_mul_f32 v7, 0x7800000, v7
	v_cmp_gt_u32_e32 vcc_lo, 0x8000000, v6
	s_delay_alu instid0(VALU_DEP_2) | instskip(NEXT) | instid1(VALU_DEP_1)
	v_cndmask_b32_e32 v6, v7, v8, vcc_lo
	v_and_or_b32 v2, 0x80000000, v2, v6
.LBB400_1145:
	s_mov_b32 s13, -1
	s_mov_b32 s12, 0
	s_cbranch_execnz .LBB400_1156
.LBB400_1146:
	v_cmp_lt_i16_e32 vcc_lo, 14, v5
	s_cbranch_vccz .LBB400_1149
; %bb.1147:
	v_cmp_eq_u16_e32 vcc_lo, 15, v5
	s_cbranch_vccz .LBB400_1152
; %bb.1148:
	global_load_u16 v2, v[0:1], off
	s_mov_b32 s0, 0
	s_mov_b32 s13, -1
	s_waitcnt vmcnt(0)
	v_lshlrev_b32_e32 v2, 16, v2
	s_branch .LBB400_1153
.LBB400_1149:
	s_mov_b32 s1, -1
                                        ; implicit-def: $vgpr2
	s_branch .LBB400_1154
.LBB400_1150:
	s_or_saveexec_b32 s13, s13
	v_mov_b32_e32 v2, s12
	s_xor_b32 exec_lo, exec_lo, s13
	s_cbranch_execz .LBB400_1132
.LBB400_1151:
	v_cmp_ne_u16_e32 vcc_lo, 0, v6
	v_mov_b32_e32 v2, 0
	s_and_not1_b32 s1, s1, exec_lo
	s_and_b32 s12, vcc_lo, exec_lo
	s_delay_alu instid0(SALU_CYCLE_1)
	s_or_b32 s1, s1, s12
	s_or_b32 exec_lo, exec_lo, s13
	s_and_saveexec_b32 s12, s1
	s_cbranch_execnz .LBB400_1133
	s_branch .LBB400_1134
.LBB400_1152:
	s_mov_b32 s0, -1
                                        ; implicit-def: $vgpr2
.LBB400_1153:
	s_mov_b32 s1, 0
.LBB400_1154:
	s_delay_alu instid0(SALU_CYCLE_1)
	s_and_b32 vcc_lo, exec_lo, s1
	s_cbranch_vccz .LBB400_1156
; %bb.1155:
	v_cmp_ne_u16_e64 s0, 11, v5
	s_mov_b32 s12, -1
                                        ; implicit-def: $vgpr2
.LBB400_1156:
	s_delay_alu instid0(VALU_DEP_1)
	s_and_b32 vcc_lo, exec_lo, s0
	s_mov_b32 s1, s11
	s_cbranch_vccnz .LBB400_1180
; %bb.1157:
	s_and_not1_b32 vcc_lo, exec_lo, s12
	s_cbranch_vccnz .LBB400_1159
.LBB400_1158:
	global_load_u8 v2, v[0:1], off
	s_mov_b32 s13, -1
	s_waitcnt vmcnt(0)
	v_cmp_ne_u16_e32 vcc_lo, 0, v2
	v_cndmask_b32_e64 v2, 0, 1.0, vcc_lo
.LBB400_1159:
.LBB400_1160:
	s_and_not1_b32 vcc_lo, exec_lo, s13
	s_cbranch_vccnz .LBB400_1996
.LBB400_1161:
	s_lshl_b32 s9, s9, 7
	v_cmp_gt_i16_e32 vcc_lo, 11, v5
	v_add_nc_u32_e32 v3, s9, v3
	s_delay_alu instid0(VALU_DEP_1) | instskip(SKIP_1) | instid1(VALU_DEP_1)
	v_ashrrev_i32_e32 v1, 31, v3
	v_add_co_u32 v0, s0, s6, v3
	v_add_co_ci_u32_e64 v1, s0, s7, v1, s0
	s_cbranch_vccnz .LBB400_1168
; %bb.1162:
	v_cmp_lt_i16_e32 vcc_lo, 25, v5
	s_mov_b32 s12, 0
	s_cbranch_vccz .LBB400_1174
; %bb.1163:
	v_cmp_lt_i16_e32 vcc_lo, 28, v5
	s_cbranch_vccz .LBB400_1176
; %bb.1164:
	v_cmp_lt_i16_e32 vcc_lo, 43, v5
	;; [unrolled: 3-line block ×3, first 2 shown]
	s_cbranch_vccz .LBB400_1184
; %bb.1166:
	v_cmp_eq_u16_e32 vcc_lo, 46, v5
	s_mov_b32 s14, 0
	s_cbranch_vccz .LBB400_1228
; %bb.1167:
	global_load_b32 v6, v[0:1], off
	s_mov_b32 s0, 0
	s_mov_b32 s13, -1
	s_waitcnt vmcnt(0)
	v_lshlrev_b32_e32 v7, 16, v6
	s_branch .LBB400_1230
.LBB400_1168:
	s_mov_b32 s13, 0
                                        ; implicit-def: $vgpr7
	s_cbranch_execz .LBB400_1295
; %bb.1169:
	v_cmp_gt_i16_e32 vcc_lo, 5, v5
	s_cbranch_vccnz .LBB400_1175
; %bb.1170:
	v_cmp_gt_i16_e32 vcc_lo, 8, v5
	s_cbranch_vccnz .LBB400_1177
	;; [unrolled: 3-line block ×3, first 2 shown]
; %bb.1172:
	v_cmp_lt_i16_e32 vcc_lo, 9, v5
	s_cbranch_vccz .LBB400_1185
; %bb.1173:
	global_load_b64 v[6:7], v[0:1], off
	s_mov_b32 s0, 0
	s_waitcnt vmcnt(0)
	v_cvt_f32_f64_e32 v7, v[6:7]
	s_branch .LBB400_1186
.LBB400_1174:
	s_mov_b32 s13, 0
	s_mov_b32 s0, 0
                                        ; implicit-def: $vgpr7
	s_cbranch_execnz .LBB400_1259
	s_branch .LBB400_1291
.LBB400_1175:
                                        ; implicit-def: $vgpr7
	s_branch .LBB400_1204
.LBB400_1176:
	s_mov_b32 s14, -1
	s_mov_b32 s13, 0
	s_mov_b32 s0, 0
                                        ; implicit-def: $vgpr7
	s_branch .LBB400_1240
.LBB400_1177:
	s_mov_b32 s0, -1
                                        ; implicit-def: $vgpr7
	s_branch .LBB400_1192
.LBB400_1178:
	s_mov_b32 s14, -1
	s_mov_b32 s13, 0
	s_mov_b32 s0, 0
                                        ; implicit-def: $vgpr7
	s_branch .LBB400_1235
.LBB400_1179:
	s_mov_b32 s0, -1
                                        ; implicit-def: $vgpr7
	s_branch .LBB400_1189
.LBB400_1180:
	s_cbranch_execnz .LBB400_1224
; %bb.1181:
	s_or_b32 s1, s11, exec_lo
                                        ; implicit-def: $vgpr2
	s_cbranch_execz .LBB400_1158
	s_branch .LBB400_1159
.LBB400_1182:
	s_or_saveexec_b32 s16, s16
                                        ; implicit-def: $sgpr17
	s_delay_alu instid0(SALU_CYCLE_1)
	s_xor_b32 exec_lo, exec_lo, s16
	s_cbranch_execz .LBB400_944
.LBB400_1183:
	v_add_f32_e64 v3, 0x46000000, |v2|
	s_and_not1_b32 s15, s15, exec_lo
	s_mov_b32 s17, 0
	s_delay_alu instid0(VALU_DEP_1) | instskip(NEXT) | instid1(VALU_DEP_1)
	v_and_b32_e32 v3, 0xff, v3
	v_cmp_ne_u32_e32 vcc_lo, 0, v3
	s_and_b32 s18, vcc_lo, exec_lo
	s_delay_alu instid0(SALU_CYCLE_1)
	s_or_b32 s15, s15, s18
	s_or_b32 exec_lo, exec_lo, s16
	v_mov_b32_e32 v4, s17
	s_and_saveexec_b32 s16, s15
	s_cbranch_execnz .LBB400_945
	s_branch .LBB400_946
.LBB400_1184:
	s_mov_b32 s14, -1
	s_mov_b32 s13, 0
	s_mov_b32 s0, 0
	s_branch .LBB400_1229
.LBB400_1185:
	s_mov_b32 s0, -1
                                        ; implicit-def: $vgpr7
.LBB400_1186:
	s_delay_alu instid0(SALU_CYCLE_1)
	s_and_not1_b32 vcc_lo, exec_lo, s0
	s_cbranch_vccnz .LBB400_1188
; %bb.1187:
	global_load_b32 v7, v[0:1], off
.LBB400_1188:
	s_mov_b32 s0, 0
.LBB400_1189:
	s_delay_alu instid0(SALU_CYCLE_1)
	s_and_not1_b32 vcc_lo, exec_lo, s0
	s_cbranch_vccnz .LBB400_1191
; %bb.1190:
	global_load_b32 v6, v[0:1], off
	s_waitcnt vmcnt(0)
	v_cvt_f32_f16_e32 v7, v6
.LBB400_1191:
	s_mov_b32 s0, 0
.LBB400_1192:
	s_delay_alu instid0(SALU_CYCLE_1)
	s_and_not1_b32 vcc_lo, exec_lo, s0
	s_cbranch_vccnz .LBB400_1203
; %bb.1193:
	v_cmp_gt_i16_e32 vcc_lo, 6, v5
	s_cbranch_vccnz .LBB400_1196
; %bb.1194:
	v_cmp_lt_i16_e32 vcc_lo, 6, v5
	s_cbranch_vccz .LBB400_1197
; %bb.1195:
	global_load_b64 v[6:7], v[0:1], off
	s_mov_b32 s0, 0
	s_waitcnt vmcnt(0)
	v_cvt_f32_f64_e32 v7, v[6:7]
	s_branch .LBB400_1198
.LBB400_1196:
	s_mov_b32 s0, -1
                                        ; implicit-def: $vgpr7
	s_branch .LBB400_1201
.LBB400_1197:
	s_mov_b32 s0, -1
                                        ; implicit-def: $vgpr7
.LBB400_1198:
	s_delay_alu instid0(SALU_CYCLE_1)
	s_and_not1_b32 vcc_lo, exec_lo, s0
	s_cbranch_vccnz .LBB400_1200
; %bb.1199:
	global_load_b32 v7, v[0:1], off
.LBB400_1200:
	s_mov_b32 s0, 0
.LBB400_1201:
	s_delay_alu instid0(SALU_CYCLE_1)
	s_and_not1_b32 vcc_lo, exec_lo, s0
	s_cbranch_vccnz .LBB400_1203
; %bb.1202:
	global_load_u16 v6, v[0:1], off
	s_waitcnt vmcnt(0)
	v_cvt_f32_f16_e32 v7, v6
.LBB400_1203:
	s_cbranch_execnz .LBB400_1223
.LBB400_1204:
	v_cmp_gt_i16_e32 vcc_lo, 2, v5
	s_cbranch_vccnz .LBB400_1208
; %bb.1205:
	v_cmp_gt_i16_e32 vcc_lo, 3, v5
	s_cbranch_vccnz .LBB400_1209
; %bb.1206:
	v_cmp_lt_i16_e32 vcc_lo, 3, v5
	s_cbranch_vccz .LBB400_1210
; %bb.1207:
	global_load_b64 v[6:7], v[0:1], off
	s_mov_b32 s0, 0
	s_waitcnt vmcnt(0)
	v_xor_b32_e32 v8, v6, v7
	v_cls_i32_e32 v9, v7
	s_delay_alu instid0(VALU_DEP_2) | instskip(NEXT) | instid1(VALU_DEP_2)
	v_ashrrev_i32_e32 v8, 31, v8
	v_add_nc_u32_e32 v9, -1, v9
	s_delay_alu instid0(VALU_DEP_2) | instskip(NEXT) | instid1(VALU_DEP_1)
	v_add_nc_u32_e32 v8, 32, v8
	v_min_u32_e32 v8, v9, v8
	s_delay_alu instid0(VALU_DEP_1) | instskip(NEXT) | instid1(VALU_DEP_1)
	v_lshlrev_b64 v[6:7], v8, v[6:7]
	v_min_u32_e32 v6, 1, v6
	s_delay_alu instid0(VALU_DEP_1) | instskip(SKIP_1) | instid1(VALU_DEP_2)
	v_or_b32_e32 v6, v7, v6
	v_sub_nc_u32_e32 v7, 32, v8
	v_cvt_f32_i32_e32 v6, v6
	s_delay_alu instid0(VALU_DEP_1)
	v_ldexp_f32 v7, v6, v7
	s_branch .LBB400_1211
.LBB400_1208:
	s_mov_b32 s0, -1
                                        ; implicit-def: $vgpr7
	s_branch .LBB400_1217
.LBB400_1209:
	s_mov_b32 s0, -1
                                        ; implicit-def: $vgpr7
	s_branch .LBB400_1214
.LBB400_1210:
	s_mov_b32 s0, -1
                                        ; implicit-def: $vgpr7
.LBB400_1211:
	s_delay_alu instid0(SALU_CYCLE_1)
	s_and_not1_b32 vcc_lo, exec_lo, s0
	s_cbranch_vccnz .LBB400_1213
; %bb.1212:
	global_load_b32 v6, v[0:1], off
	s_waitcnt vmcnt(0)
	v_cvt_f32_i32_e32 v7, v6
.LBB400_1213:
	s_mov_b32 s0, 0
.LBB400_1214:
	s_delay_alu instid0(SALU_CYCLE_1)
	s_and_not1_b32 vcc_lo, exec_lo, s0
	s_cbranch_vccnz .LBB400_1216
; %bb.1215:
	global_load_i16 v6, v[0:1], off
	s_waitcnt vmcnt(0)
	v_cvt_f32_i32_e32 v7, v6
.LBB400_1216:
	s_mov_b32 s0, 0
.LBB400_1217:
	s_delay_alu instid0(SALU_CYCLE_1)
	s_and_not1_b32 vcc_lo, exec_lo, s0
	s_cbranch_vccnz .LBB400_1223
; %bb.1218:
	v_cmp_lt_i16_e32 vcc_lo, 0, v5
	s_mov_b32 s0, 0
	s_cbranch_vccz .LBB400_1220
; %bb.1219:
	global_load_i8 v6, v[0:1], off
	s_waitcnt vmcnt(0)
	v_cvt_f32_i32_e32 v7, v6
	s_branch .LBB400_1221
.LBB400_1220:
	s_mov_b32 s0, -1
                                        ; implicit-def: $vgpr7
.LBB400_1221:
	s_delay_alu instid0(SALU_CYCLE_1)
	s_and_not1_b32 vcc_lo, exec_lo, s0
	s_cbranch_vccnz .LBB400_1223
; %bb.1222:
	global_load_u8 v0, v[0:1], off
	s_waitcnt vmcnt(0)
	v_cvt_f32_ubyte0_e32 v7, v0
.LBB400_1223:
	s_branch .LBB400_1296
.LBB400_1224:
	s_trap 2
	s_sendmsg_rtn_b32 s0, sendmsg(MSG_RTN_GET_DOORBELL)
	s_mov_b32 ttmp2, m0
	s_waitcnt lgkmcnt(0)
	s_and_b32 s0, s0, 0x3ff
	s_delay_alu instid0(SALU_CYCLE_1) | instskip(NEXT) | instid1(SALU_CYCLE_1)
	s_bitset1_b32 s0, 10
	s_mov_b32 m0, s0
	s_sendmsg sendmsg(MSG_INTERRUPT)
	s_mov_b32 m0, ttmp2
.LBB400_1225:                           ; =>This Inner Loop Header: Depth=1
	s_sethalt 5
	s_branch .LBB400_1225
.LBB400_1226:
	s_or_saveexec_b32 s17, s17
                                        ; implicit-def: $sgpr18
	s_delay_alu instid0(SALU_CYCLE_1)
	s_xor_b32 exec_lo, exec_lo, s17
	s_cbranch_execz .LBB400_956
.LBB400_1227:
	v_add_f32_e64 v3, 0x42800000, |v2|
	s_and_not1_b32 s16, s16, exec_lo
	s_mov_b32 s18, 0
	s_delay_alu instid0(VALU_DEP_1) | instskip(NEXT) | instid1(VALU_DEP_1)
	v_and_b32_e32 v3, 0xff, v3
	v_cmp_ne_u32_e32 vcc_lo, 0, v3
	s_and_b32 s19, vcc_lo, exec_lo
	s_delay_alu instid0(SALU_CYCLE_1)
	s_or_b32 s16, s16, s19
	s_or_b32 exec_lo, exec_lo, s17
	v_mov_b32_e32 v4, s18
	s_and_saveexec_b32 s17, s16
	s_cbranch_execnz .LBB400_957
	s_branch .LBB400_958
.LBB400_1228:
	s_mov_b32 s0, -1
	s_mov_b32 s13, 0
.LBB400_1229:
                                        ; implicit-def: $vgpr7
.LBB400_1230:
	s_and_b32 vcc_lo, exec_lo, s14
	s_cbranch_vccz .LBB400_1234
; %bb.1231:
	v_cmp_eq_u16_e32 vcc_lo, 44, v5
	s_cbranch_vccz .LBB400_1233
; %bb.1232:
	global_load_u8 v6, v[0:1], off
	s_mov_b32 s0, 0
	s_mov_b32 s13, -1
	s_waitcnt vmcnt(0)
	v_lshlrev_b32_e32 v7, 23, v6
	v_cmp_ne_u32_e32 vcc_lo, 0xff, v6
	s_delay_alu instid0(VALU_DEP_2) | instskip(SKIP_1) | instid1(VALU_DEP_2)
	v_cndmask_b32_e32 v7, 0x7f800001, v7, vcc_lo
	v_cmp_ne_u32_e32 vcc_lo, 0, v6
	v_cndmask_b32_e32 v7, 0x400000, v7, vcc_lo
	s_branch .LBB400_1234
.LBB400_1233:
	s_mov_b32 s0, -1
                                        ; implicit-def: $vgpr7
.LBB400_1234:
	s_mov_b32 s14, 0
.LBB400_1235:
	s_delay_alu instid0(SALU_CYCLE_1)
	s_and_b32 vcc_lo, exec_lo, s14
	s_cbranch_vccz .LBB400_1239
; %bb.1236:
	v_cmp_eq_u16_e32 vcc_lo, 29, v5
	s_cbranch_vccz .LBB400_1238
; %bb.1237:
	global_load_b64 v[6:7], v[0:1], off
	s_mov_b32 s0, 0
	s_mov_b32 s13, -1
	s_mov_b32 s14, 0
	s_waitcnt vmcnt(0)
	v_clz_i32_u32_e32 v8, v7
	s_delay_alu instid0(VALU_DEP_1) | instskip(NEXT) | instid1(VALU_DEP_1)
	v_min_u32_e32 v8, 32, v8
	v_lshlrev_b64 v[6:7], v8, v[6:7]
	s_delay_alu instid0(VALU_DEP_1) | instskip(NEXT) | instid1(VALU_DEP_1)
	v_min_u32_e32 v6, 1, v6
	v_or_b32_e32 v6, v7, v6
	v_sub_nc_u32_e32 v7, 32, v8
	s_delay_alu instid0(VALU_DEP_2) | instskip(NEXT) | instid1(VALU_DEP_1)
	v_cvt_f32_u32_e32 v6, v6
	v_ldexp_f32 v7, v6, v7
	s_branch .LBB400_1240
.LBB400_1238:
	s_mov_b32 s0, -1
                                        ; implicit-def: $vgpr7
.LBB400_1239:
	s_mov_b32 s14, 0
.LBB400_1240:
	s_delay_alu instid0(SALU_CYCLE_1)
	s_and_b32 vcc_lo, exec_lo, s14
	s_cbranch_vccz .LBB400_1258
; %bb.1241:
	v_cmp_gt_i16_e32 vcc_lo, 27, v5
	s_cbranch_vccnz .LBB400_1244
; %bb.1242:
	v_cmp_lt_i16_e32 vcc_lo, 27, v5
	s_cbranch_vccz .LBB400_1245
; %bb.1243:
	global_load_b32 v6, v[0:1], off
	s_mov_b32 s13, 0
	s_waitcnt vmcnt(0)
	v_cvt_f32_u32_e32 v7, v6
	s_branch .LBB400_1246
.LBB400_1244:
	s_mov_b32 s13, -1
                                        ; implicit-def: $vgpr7
	s_branch .LBB400_1249
.LBB400_1245:
	s_mov_b32 s13, -1
                                        ; implicit-def: $vgpr7
.LBB400_1246:
	s_delay_alu instid0(SALU_CYCLE_1)
	s_and_not1_b32 vcc_lo, exec_lo, s13
	s_cbranch_vccnz .LBB400_1248
; %bb.1247:
	global_load_u16 v6, v[0:1], off
	s_waitcnt vmcnt(0)
	v_cvt_f32_u32_e32 v7, v6
.LBB400_1248:
	s_mov_b32 s13, 0
.LBB400_1249:
	s_delay_alu instid0(SALU_CYCLE_1)
	s_and_not1_b32 vcc_lo, exec_lo, s13
	s_cbranch_vccnz .LBB400_1257
; %bb.1250:
	global_load_u8 v6, v[0:1], off
	s_mov_b32 s13, 0
	s_mov_b32 s15, exec_lo
                                        ; implicit-def: $sgpr14
	s_waitcnt vmcnt(0)
	v_cmpx_lt_i16_e32 0x7f, v6
	s_xor_b32 s15, exec_lo, s15
	s_cbranch_execz .LBB400_1270
; %bb.1251:
	s_mov_b32 s13, -1
	s_mov_b32 s16, exec_lo
                                        ; implicit-def: $sgpr14
	v_cmpx_eq_u16_e32 0x80, v6
; %bb.1252:
	s_mov_b32 s14, 0x7f800001
	s_xor_b32 s13, exec_lo, -1
; %bb.1253:
	s_or_b32 exec_lo, exec_lo, s16
	s_delay_alu instid0(SALU_CYCLE_1)
	s_and_b32 s13, s13, exec_lo
	s_or_saveexec_b32 s15, s15
	v_mov_b32_e32 v7, s14
	s_xor_b32 exec_lo, exec_lo, s15
	s_cbranch_execnz .LBB400_1271
.LBB400_1254:
	s_or_b32 exec_lo, exec_lo, s15
	s_and_saveexec_b32 s14, s13
	s_cbranch_execz .LBB400_1256
.LBB400_1255:
	v_and_b32_e32 v7, 0xffff, v6
	v_lshlrev_b32_e32 v6, 24, v6
	s_delay_alu instid0(VALU_DEP_2) | instskip(NEXT) | instid1(VALU_DEP_2)
	v_and_b32_e32 v8, 7, v7
	v_and_b32_e32 v6, 0x80000000, v6
	s_delay_alu instid0(VALU_DEP_2) | instskip(NEXT) | instid1(VALU_DEP_1)
	v_clz_i32_u32_e32 v9, v8
	v_min_u32_e32 v9, 32, v9
	s_delay_alu instid0(VALU_DEP_1) | instskip(SKIP_1) | instid1(VALU_DEP_2)
	v_subrev_nc_u32_e32 v10, 28, v9
	v_sub_nc_u32_e32 v9, 29, v9
	v_lshlrev_b32_e32 v10, v10, v7
	v_bfe_u32 v7, v7, 3, 4
	s_delay_alu instid0(VALU_DEP_2) | instskip(NEXT) | instid1(VALU_DEP_2)
	v_and_b32_e32 v10, 7, v10
	v_cmp_eq_u32_e32 vcc_lo, 0, v7
	s_delay_alu instid0(VALU_DEP_2) | instskip(NEXT) | instid1(VALU_DEP_1)
	v_dual_cndmask_b32 v7, v7, v9 :: v_dual_cndmask_b32 v8, v8, v10
	v_lshl_add_u32 v7, v7, 23, 0x3b800000
	s_delay_alu instid0(VALU_DEP_2) | instskip(NEXT) | instid1(VALU_DEP_1)
	v_lshlrev_b32_e32 v8, 20, v8
	v_or3_b32 v7, v6, v7, v8
.LBB400_1256:
	s_or_b32 exec_lo, exec_lo, s14
.LBB400_1257:
	s_mov_b32 s13, -1
.LBB400_1258:
	s_branch .LBB400_1291
.LBB400_1259:
	v_cmp_lt_i16_e32 vcc_lo, 22, v5
	s_cbranch_vccz .LBB400_1269
; %bb.1260:
	v_cmp_gt_i16_e32 vcc_lo, 24, v5
	s_cbranch_vccnz .LBB400_1272
; %bb.1261:
	v_cmp_lt_i16_e32 vcc_lo, 24, v5
	s_cbranch_vccz .LBB400_1273
; %bb.1262:
	global_load_u8 v6, v[0:1], off
	s_mov_b32 s14, exec_lo
                                        ; implicit-def: $sgpr13
	s_waitcnt vmcnt(0)
	v_cmpx_lt_i16_e32 0x7f, v6
	s_xor_b32 s14, exec_lo, s14
	s_cbranch_execz .LBB400_1285
; %bb.1263:
	s_mov_b32 s12, -1
	s_mov_b32 s15, exec_lo
                                        ; implicit-def: $sgpr13
	v_cmpx_eq_u16_e32 0x80, v6
; %bb.1264:
	s_mov_b32 s13, 0x7f800001
	s_xor_b32 s12, exec_lo, -1
; %bb.1265:
	s_or_b32 exec_lo, exec_lo, s15
	s_delay_alu instid0(SALU_CYCLE_1)
	s_and_b32 s12, s12, exec_lo
	s_or_saveexec_b32 s14, s14
	v_mov_b32_e32 v7, s13
	s_xor_b32 exec_lo, exec_lo, s14
	s_cbranch_execnz .LBB400_1286
.LBB400_1266:
	s_or_b32 exec_lo, exec_lo, s14
	s_and_saveexec_b32 s13, s12
	s_cbranch_execz .LBB400_1268
.LBB400_1267:
	v_and_b32_e32 v7, 0xffff, v6
	v_lshlrev_b32_e32 v6, 24, v6
	s_delay_alu instid0(VALU_DEP_2) | instskip(NEXT) | instid1(VALU_DEP_2)
	v_and_b32_e32 v8, 3, v7
	v_and_b32_e32 v6, 0x80000000, v6
	s_delay_alu instid0(VALU_DEP_2) | instskip(NEXT) | instid1(VALU_DEP_1)
	v_clz_i32_u32_e32 v9, v8
	v_min_u32_e32 v9, 32, v9
	s_delay_alu instid0(VALU_DEP_1) | instskip(SKIP_1) | instid1(VALU_DEP_2)
	v_subrev_nc_u32_e32 v10, 29, v9
	v_sub_nc_u32_e32 v9, 30, v9
	v_lshlrev_b32_e32 v10, v10, v7
	v_bfe_u32 v7, v7, 2, 5
	s_delay_alu instid0(VALU_DEP_2) | instskip(NEXT) | instid1(VALU_DEP_2)
	v_and_b32_e32 v10, 3, v10
	v_cmp_eq_u32_e32 vcc_lo, 0, v7
	s_delay_alu instid0(VALU_DEP_2) | instskip(NEXT) | instid1(VALU_DEP_1)
	v_dual_cndmask_b32 v7, v7, v9 :: v_dual_cndmask_b32 v8, v8, v10
	v_lshl_add_u32 v7, v7, 23, 0x37800000
	s_delay_alu instid0(VALU_DEP_2) | instskip(NEXT) | instid1(VALU_DEP_1)
	v_lshlrev_b32_e32 v8, 21, v8
	v_or3_b32 v7, v6, v7, v8
.LBB400_1268:
	s_or_b32 exec_lo, exec_lo, s13
	s_mov_b32 s12, 0
	s_branch .LBB400_1274
.LBB400_1269:
	s_mov_b32 s12, -1
                                        ; implicit-def: $vgpr7
	s_branch .LBB400_1280
.LBB400_1270:
	s_or_saveexec_b32 s15, s15
	v_mov_b32_e32 v7, s14
	s_xor_b32 exec_lo, exec_lo, s15
	s_cbranch_execz .LBB400_1254
.LBB400_1271:
	v_cmp_ne_u16_e32 vcc_lo, 0, v6
	v_mov_b32_e32 v7, 0
	s_and_not1_b32 s13, s13, exec_lo
	s_and_b32 s14, vcc_lo, exec_lo
	s_delay_alu instid0(SALU_CYCLE_1)
	s_or_b32 s13, s13, s14
	s_or_b32 exec_lo, exec_lo, s15
	s_and_saveexec_b32 s14, s13
	s_cbranch_execnz .LBB400_1255
	s_branch .LBB400_1256
.LBB400_1272:
	s_mov_b32 s12, -1
                                        ; implicit-def: $vgpr7
	s_branch .LBB400_1277
.LBB400_1273:
	s_mov_b32 s12, -1
                                        ; implicit-def: $vgpr7
.LBB400_1274:
	s_delay_alu instid0(SALU_CYCLE_1)
	s_and_b32 vcc_lo, exec_lo, s12
	s_cbranch_vccz .LBB400_1276
; %bb.1275:
	global_load_u8 v6, v[0:1], off
	s_waitcnt vmcnt(0)
	v_lshlrev_b32_e32 v6, 24, v6
	s_delay_alu instid0(VALU_DEP_1) | instskip(NEXT) | instid1(VALU_DEP_1)
	v_and_b32_e32 v7, 0x7f000000, v6
	v_clz_i32_u32_e32 v8, v7
	v_add_nc_u32_e32 v10, 0x1000000, v7
	v_cmp_ne_u32_e32 vcc_lo, 0, v7
	s_delay_alu instid0(VALU_DEP_3) | instskip(NEXT) | instid1(VALU_DEP_1)
	v_min_u32_e32 v8, 32, v8
	v_sub_nc_u32_e64 v8, v8, 4 clamp
	s_delay_alu instid0(VALU_DEP_1) | instskip(SKIP_1) | instid1(VALU_DEP_2)
	v_lshlrev_b32_e32 v9, v8, v7
	v_lshlrev_b32_e32 v8, 23, v8
	v_lshrrev_b32_e32 v9, 4, v9
	s_delay_alu instid0(VALU_DEP_1) | instskip(SKIP_1) | instid1(VALU_DEP_2)
	v_sub_nc_u32_e32 v8, v9, v8
	v_ashrrev_i32_e32 v9, 8, v10
	v_add_nc_u32_e32 v8, 0x3c000000, v8
	s_delay_alu instid0(VALU_DEP_1) | instskip(NEXT) | instid1(VALU_DEP_1)
	v_and_or_b32 v8, 0x7f800000, v9, v8
	v_cndmask_b32_e32 v7, 0, v8, vcc_lo
	s_delay_alu instid0(VALU_DEP_1)
	v_and_or_b32 v7, 0x80000000, v6, v7
.LBB400_1276:
	s_mov_b32 s12, 0
.LBB400_1277:
	s_delay_alu instid0(SALU_CYCLE_1)
	s_and_not1_b32 vcc_lo, exec_lo, s12
	s_cbranch_vccnz .LBB400_1279
; %bb.1278:
	global_load_u8 v6, v[0:1], off
	s_waitcnt vmcnt(0)
	v_lshlrev_b32_e32 v7, 25, v6
	v_lshlrev_b16 v6, 8, v6
	s_delay_alu instid0(VALU_DEP_2) | instskip(NEXT) | instid1(VALU_DEP_2)
	v_lshrrev_b32_e32 v8, 4, v7
	v_and_or_b32 v9, 0x7f00, v6, 0.5
	v_bfe_i32 v6, v6, 0, 16
	s_delay_alu instid0(VALU_DEP_3) | instskip(NEXT) | instid1(VALU_DEP_1)
	v_or_b32_e32 v8, 0x70000000, v8
	v_dual_add_f32 v9, -0.5, v9 :: v_dual_mul_f32 v8, 0x7800000, v8
	v_cmp_gt_u32_e32 vcc_lo, 0x8000000, v7
	s_delay_alu instid0(VALU_DEP_2) | instskip(NEXT) | instid1(VALU_DEP_1)
	v_cndmask_b32_e32 v7, v8, v9, vcc_lo
	v_and_or_b32 v7, 0x80000000, v6, v7
.LBB400_1279:
	s_mov_b32 s12, 0
	s_mov_b32 s13, -1
.LBB400_1280:
	s_and_not1_b32 vcc_lo, exec_lo, s12
	s_mov_b32 s12, 0
	s_cbranch_vccnz .LBB400_1291
; %bb.1281:
	v_cmp_lt_i16_e32 vcc_lo, 14, v5
	s_cbranch_vccz .LBB400_1284
; %bb.1282:
	v_cmp_eq_u16_e32 vcc_lo, 15, v5
	s_cbranch_vccz .LBB400_1287
; %bb.1283:
	global_load_u16 v6, v[0:1], off
	s_mov_b32 s0, 0
	s_mov_b32 s13, -1
	s_waitcnt vmcnt(0)
	v_lshlrev_b32_e32 v7, 16, v6
	s_branch .LBB400_1289
.LBB400_1284:
	s_mov_b32 s12, -1
	s_branch .LBB400_1288
.LBB400_1285:
	s_or_saveexec_b32 s14, s14
	v_mov_b32_e32 v7, s13
	s_xor_b32 exec_lo, exec_lo, s14
	s_cbranch_execz .LBB400_1266
.LBB400_1286:
	v_cmp_ne_u16_e32 vcc_lo, 0, v6
	v_mov_b32_e32 v7, 0
	s_and_not1_b32 s12, s12, exec_lo
	s_and_b32 s13, vcc_lo, exec_lo
	s_delay_alu instid0(SALU_CYCLE_1)
	s_or_b32 s12, s12, s13
	s_or_b32 exec_lo, exec_lo, s14
	s_and_saveexec_b32 s13, s12
	s_cbranch_execnz .LBB400_1267
	s_branch .LBB400_1268
.LBB400_1287:
	s_mov_b32 s0, -1
.LBB400_1288:
                                        ; implicit-def: $vgpr7
.LBB400_1289:
	s_and_b32 vcc_lo, exec_lo, s12
	s_mov_b32 s12, 0
	s_cbranch_vccz .LBB400_1291
; %bb.1290:
	v_cmp_ne_u16_e64 s0, 11, v5
	s_mov_b32 s12, -1
                                        ; implicit-def: $vgpr7
.LBB400_1291:
	s_delay_alu instid0(VALU_DEP_1)
	s_and_b32 vcc_lo, exec_lo, s0
	s_cbranch_vccnz .LBB400_1315
; %bb.1292:
	s_and_not1_b32 vcc_lo, exec_lo, s12
	s_cbranch_vccnz .LBB400_1294
.LBB400_1293:
	global_load_u8 v6, v[0:1], off
	s_mov_b32 s13, -1
	s_waitcnt vmcnt(0)
	v_cmp_ne_u16_e32 vcc_lo, 0, v6
	v_cndmask_b32_e64 v7, 0, 1.0, vcc_lo
.LBB400_1294:
.LBB400_1295:
	s_and_not1_b32 vcc_lo, exec_lo, s13
	s_cbranch_vccnz .LBB400_1996
.LBB400_1296:
	v_add_nc_u32_e32 v3, s9, v3
	v_cmp_gt_i16_e32 vcc_lo, 11, v5
	s_delay_alu instid0(VALU_DEP_2) | instskip(SKIP_1) | instid1(VALU_DEP_1)
	v_ashrrev_i32_e32 v1, 31, v3
	v_add_co_u32 v0, s0, s6, v3
	v_add_co_ci_u32_e64 v1, s0, s7, v1, s0
	s_cbranch_vccnz .LBB400_1303
; %bb.1297:
	v_cmp_lt_i16_e32 vcc_lo, 25, v5
	s_mov_b32 s12, 0
	s_cbranch_vccz .LBB400_1309
; %bb.1298:
	v_cmp_lt_i16_e32 vcc_lo, 28, v5
	s_cbranch_vccz .LBB400_1311
; %bb.1299:
	v_cmp_lt_i16_e32 vcc_lo, 43, v5
	;; [unrolled: 3-line block ×3, first 2 shown]
	s_cbranch_vccz .LBB400_1317
; %bb.1301:
	v_cmp_eq_u16_e32 vcc_lo, 46, v5
	s_mov_b32 s14, 0
	s_cbranch_vccz .LBB400_1360
; %bb.1302:
	global_load_b32 v6, v[0:1], off
	s_mov_b32 s0, 0
	s_mov_b32 s13, -1
	s_waitcnt vmcnt(0)
	v_lshlrev_b32_e32 v8, 16, v6
	s_branch .LBB400_1362
.LBB400_1303:
	s_mov_b32 s13, 0
                                        ; implicit-def: $vgpr8
	s_cbranch_execz .LBB400_1428
; %bb.1304:
	v_cmp_gt_i16_e32 vcc_lo, 5, v5
	s_cbranch_vccnz .LBB400_1310
; %bb.1305:
	v_cmp_gt_i16_e32 vcc_lo, 8, v5
	s_cbranch_vccnz .LBB400_1312
	;; [unrolled: 3-line block ×3, first 2 shown]
; %bb.1307:
	v_cmp_lt_i16_e32 vcc_lo, 9, v5
	s_cbranch_vccz .LBB400_1318
; %bb.1308:
	global_load_b64 v[8:9], v[0:1], off
	s_mov_b32 s0, 0
	s_waitcnt vmcnt(0)
	v_cvt_f32_f64_e32 v8, v[8:9]
	s_branch .LBB400_1319
.LBB400_1309:
	s_mov_b32 s14, -1
	s_mov_b32 s13, 0
	s_mov_b32 s0, 0
                                        ; implicit-def: $vgpr8
	s_branch .LBB400_1391
.LBB400_1310:
	s_mov_b32 s0, -1
                                        ; implicit-def: $vgpr8
	s_branch .LBB400_1337
.LBB400_1311:
	s_mov_b32 s14, -1
	s_mov_b32 s13, 0
	s_mov_b32 s0, 0
                                        ; implicit-def: $vgpr8
	s_branch .LBB400_1372
.LBB400_1312:
	s_mov_b32 s0, -1
                                        ; implicit-def: $vgpr8
	s_branch .LBB400_1325
.LBB400_1313:
	s_mov_b32 s14, -1
	s_mov_b32 s13, 0
	s_mov_b32 s0, 0
                                        ; implicit-def: $vgpr8
	s_branch .LBB400_1367
.LBB400_1314:
	s_mov_b32 s0, -1
                                        ; implicit-def: $vgpr8
	s_branch .LBB400_1322
.LBB400_1315:
	s_cbranch_execnz .LBB400_1358
; %bb.1316:
	s_or_b32 s1, s1, exec_lo
                                        ; implicit-def: $vgpr7
	s_cbranch_execz .LBB400_1293
	s_branch .LBB400_1294
.LBB400_1317:
	s_mov_b32 s14, -1
	s_mov_b32 s13, 0
	s_mov_b32 s0, 0
	s_branch .LBB400_1361
.LBB400_1318:
	s_mov_b32 s0, -1
                                        ; implicit-def: $vgpr8
.LBB400_1319:
	s_delay_alu instid0(SALU_CYCLE_1)
	s_and_not1_b32 vcc_lo, exec_lo, s0
	s_cbranch_vccnz .LBB400_1321
; %bb.1320:
	global_load_b32 v8, v[0:1], off
.LBB400_1321:
	s_mov_b32 s0, 0
.LBB400_1322:
	s_delay_alu instid0(SALU_CYCLE_1)
	s_and_not1_b32 vcc_lo, exec_lo, s0
	s_cbranch_vccnz .LBB400_1324
; %bb.1323:
	global_load_b32 v6, v[0:1], off
	s_waitcnt vmcnt(0)
	v_cvt_f32_f16_e32 v8, v6
.LBB400_1324:
	s_mov_b32 s0, 0
.LBB400_1325:
	s_delay_alu instid0(SALU_CYCLE_1)
	s_and_not1_b32 vcc_lo, exec_lo, s0
	s_cbranch_vccnz .LBB400_1336
; %bb.1326:
	v_cmp_gt_i16_e32 vcc_lo, 6, v5
	s_cbranch_vccnz .LBB400_1329
; %bb.1327:
	v_cmp_lt_i16_e32 vcc_lo, 6, v5
	s_cbranch_vccz .LBB400_1330
; %bb.1328:
	global_load_b64 v[8:9], v[0:1], off
	s_mov_b32 s0, 0
	s_waitcnt vmcnt(0)
	v_cvt_f32_f64_e32 v8, v[8:9]
	s_branch .LBB400_1331
.LBB400_1329:
	s_mov_b32 s0, -1
                                        ; implicit-def: $vgpr8
	s_branch .LBB400_1334
.LBB400_1330:
	s_mov_b32 s0, -1
                                        ; implicit-def: $vgpr8
.LBB400_1331:
	s_delay_alu instid0(SALU_CYCLE_1)
	s_and_not1_b32 vcc_lo, exec_lo, s0
	s_cbranch_vccnz .LBB400_1333
; %bb.1332:
	global_load_b32 v8, v[0:1], off
.LBB400_1333:
	s_mov_b32 s0, 0
.LBB400_1334:
	s_delay_alu instid0(SALU_CYCLE_1)
	s_and_not1_b32 vcc_lo, exec_lo, s0
	s_cbranch_vccnz .LBB400_1336
; %bb.1335:
	global_load_u16 v6, v[0:1], off
	s_waitcnt vmcnt(0)
	v_cvt_f32_f16_e32 v8, v6
.LBB400_1336:
	s_mov_b32 s0, 0
.LBB400_1337:
	s_delay_alu instid0(SALU_CYCLE_1)
	s_and_not1_b32 vcc_lo, exec_lo, s0
	s_cbranch_vccnz .LBB400_1357
; %bb.1338:
	v_cmp_gt_i16_e32 vcc_lo, 2, v5
	s_cbranch_vccnz .LBB400_1342
; %bb.1339:
	v_cmp_gt_i16_e32 vcc_lo, 3, v5
	s_cbranch_vccnz .LBB400_1343
; %bb.1340:
	v_cmp_lt_i16_e32 vcc_lo, 3, v5
	s_cbranch_vccz .LBB400_1344
; %bb.1341:
	global_load_b64 v[8:9], v[0:1], off
	s_mov_b32 s0, 0
	s_waitcnt vmcnt(0)
	v_xor_b32_e32 v6, v8, v9
	v_cls_i32_e32 v10, v9
	s_delay_alu instid0(VALU_DEP_2) | instskip(NEXT) | instid1(VALU_DEP_2)
	v_ashrrev_i32_e32 v6, 31, v6
	v_add_nc_u32_e32 v10, -1, v10
	s_delay_alu instid0(VALU_DEP_2) | instskip(NEXT) | instid1(VALU_DEP_1)
	v_add_nc_u32_e32 v6, 32, v6
	v_min_u32_e32 v6, v10, v6
	s_delay_alu instid0(VALU_DEP_1) | instskip(SKIP_1) | instid1(VALU_DEP_2)
	v_lshlrev_b64 v[8:9], v6, v[8:9]
	v_sub_nc_u32_e32 v6, 32, v6
	v_min_u32_e32 v8, 1, v8
	s_delay_alu instid0(VALU_DEP_1) | instskip(NEXT) | instid1(VALU_DEP_1)
	v_or_b32_e32 v8, v9, v8
	v_cvt_f32_i32_e32 v8, v8
	s_delay_alu instid0(VALU_DEP_1)
	v_ldexp_f32 v8, v8, v6
	s_branch .LBB400_1345
.LBB400_1342:
	s_mov_b32 s0, -1
                                        ; implicit-def: $vgpr8
	s_branch .LBB400_1351
.LBB400_1343:
	s_mov_b32 s0, -1
                                        ; implicit-def: $vgpr8
	s_branch .LBB400_1348
.LBB400_1344:
	s_mov_b32 s0, -1
                                        ; implicit-def: $vgpr8
.LBB400_1345:
	s_delay_alu instid0(SALU_CYCLE_1)
	s_and_not1_b32 vcc_lo, exec_lo, s0
	s_cbranch_vccnz .LBB400_1347
; %bb.1346:
	global_load_b32 v6, v[0:1], off
	s_waitcnt vmcnt(0)
	v_cvt_f32_i32_e32 v8, v6
.LBB400_1347:
	s_mov_b32 s0, 0
.LBB400_1348:
	s_delay_alu instid0(SALU_CYCLE_1)
	s_and_not1_b32 vcc_lo, exec_lo, s0
	s_cbranch_vccnz .LBB400_1350
; %bb.1349:
	global_load_i16 v6, v[0:1], off
	s_waitcnt vmcnt(0)
	v_cvt_f32_i32_e32 v8, v6
.LBB400_1350:
	s_mov_b32 s0, 0
.LBB400_1351:
	s_delay_alu instid0(SALU_CYCLE_1)
	s_and_not1_b32 vcc_lo, exec_lo, s0
	s_cbranch_vccnz .LBB400_1357
; %bb.1352:
	v_cmp_lt_i16_e32 vcc_lo, 0, v5
	s_mov_b32 s0, 0
	s_cbranch_vccz .LBB400_1354
; %bb.1353:
	global_load_i8 v6, v[0:1], off
	s_waitcnt vmcnt(0)
	v_cvt_f32_i32_e32 v8, v6
	s_branch .LBB400_1355
.LBB400_1354:
	s_mov_b32 s0, -1
                                        ; implicit-def: $vgpr8
.LBB400_1355:
	s_delay_alu instid0(SALU_CYCLE_1)
	s_and_not1_b32 vcc_lo, exec_lo, s0
	s_cbranch_vccnz .LBB400_1357
; %bb.1356:
	global_load_u8 v0, v[0:1], off
	s_waitcnt vmcnt(0)
	v_cvt_f32_ubyte0_e32 v8, v0
.LBB400_1357:
	s_branch .LBB400_1429
.LBB400_1358:
	s_trap 2
	s_sendmsg_rtn_b32 s0, sendmsg(MSG_RTN_GET_DOORBELL)
	s_mov_b32 ttmp2, m0
	s_waitcnt lgkmcnt(0)
	s_and_b32 s0, s0, 0x3ff
	s_delay_alu instid0(SALU_CYCLE_1) | instskip(NEXT) | instid1(SALU_CYCLE_1)
	s_bitset1_b32 s0, 10
	s_mov_b32 m0, s0
	s_sendmsg sendmsg(MSG_INTERRUPT)
	s_mov_b32 m0, ttmp2
.LBB400_1359:                           ; =>This Inner Loop Header: Depth=1
	s_sethalt 5
	s_branch .LBB400_1359
.LBB400_1360:
	s_mov_b32 s0, -1
	s_mov_b32 s13, 0
.LBB400_1361:
                                        ; implicit-def: $vgpr8
.LBB400_1362:
	s_and_b32 vcc_lo, exec_lo, s14
	s_cbranch_vccz .LBB400_1366
; %bb.1363:
	v_cmp_eq_u16_e32 vcc_lo, 44, v5
	s_cbranch_vccz .LBB400_1365
; %bb.1364:
	global_load_u8 v6, v[0:1], off
	s_mov_b32 s0, 0
	s_mov_b32 s13, -1
	s_waitcnt vmcnt(0)
	v_lshlrev_b32_e32 v8, 23, v6
	v_cmp_ne_u32_e32 vcc_lo, 0xff, v6
	s_delay_alu instid0(VALU_DEP_2) | instskip(SKIP_1) | instid1(VALU_DEP_2)
	v_cndmask_b32_e32 v8, 0x7f800001, v8, vcc_lo
	v_cmp_ne_u32_e32 vcc_lo, 0, v6
	v_cndmask_b32_e32 v8, 0x400000, v8, vcc_lo
	s_branch .LBB400_1366
.LBB400_1365:
	s_mov_b32 s0, -1
                                        ; implicit-def: $vgpr8
.LBB400_1366:
	s_mov_b32 s14, 0
.LBB400_1367:
	s_delay_alu instid0(SALU_CYCLE_1)
	s_and_b32 vcc_lo, exec_lo, s14
	s_cbranch_vccz .LBB400_1371
; %bb.1368:
	v_cmp_eq_u16_e32 vcc_lo, 29, v5
	s_cbranch_vccz .LBB400_1370
; %bb.1369:
	global_load_b64 v[8:9], v[0:1], off
	s_mov_b32 s0, 0
	s_mov_b32 s13, -1
	s_mov_b32 s14, 0
	s_waitcnt vmcnt(0)
	v_clz_i32_u32_e32 v6, v9
	s_delay_alu instid0(VALU_DEP_1) | instskip(NEXT) | instid1(VALU_DEP_1)
	v_min_u32_e32 v6, 32, v6
	v_lshlrev_b64 v[8:9], v6, v[8:9]
	v_sub_nc_u32_e32 v6, 32, v6
	s_delay_alu instid0(VALU_DEP_2) | instskip(NEXT) | instid1(VALU_DEP_1)
	v_min_u32_e32 v8, 1, v8
	v_or_b32_e32 v8, v9, v8
	s_delay_alu instid0(VALU_DEP_1) | instskip(NEXT) | instid1(VALU_DEP_1)
	v_cvt_f32_u32_e32 v8, v8
	v_ldexp_f32 v8, v8, v6
	s_branch .LBB400_1372
.LBB400_1370:
	s_mov_b32 s0, -1
                                        ; implicit-def: $vgpr8
.LBB400_1371:
	s_mov_b32 s14, 0
.LBB400_1372:
	s_delay_alu instid0(SALU_CYCLE_1)
	s_and_b32 vcc_lo, exec_lo, s14
	s_cbranch_vccz .LBB400_1390
; %bb.1373:
	v_cmp_gt_i16_e32 vcc_lo, 27, v5
	s_cbranch_vccnz .LBB400_1376
; %bb.1374:
	v_cmp_lt_i16_e32 vcc_lo, 27, v5
	s_cbranch_vccz .LBB400_1377
; %bb.1375:
	global_load_b32 v6, v[0:1], off
	s_mov_b32 s13, 0
	s_waitcnt vmcnt(0)
	v_cvt_f32_u32_e32 v8, v6
	s_branch .LBB400_1378
.LBB400_1376:
	s_mov_b32 s13, -1
                                        ; implicit-def: $vgpr8
	s_branch .LBB400_1381
.LBB400_1377:
	s_mov_b32 s13, -1
                                        ; implicit-def: $vgpr8
.LBB400_1378:
	s_delay_alu instid0(SALU_CYCLE_1)
	s_and_not1_b32 vcc_lo, exec_lo, s13
	s_cbranch_vccnz .LBB400_1380
; %bb.1379:
	global_load_u16 v6, v[0:1], off
	s_waitcnt vmcnt(0)
	v_cvt_f32_u32_e32 v8, v6
.LBB400_1380:
	s_mov_b32 s13, 0
.LBB400_1381:
	s_delay_alu instid0(SALU_CYCLE_1)
	s_and_not1_b32 vcc_lo, exec_lo, s13
	s_cbranch_vccnz .LBB400_1389
; %bb.1382:
	global_load_u8 v6, v[0:1], off
	s_mov_b32 s13, 0
	s_mov_b32 s15, exec_lo
                                        ; implicit-def: $sgpr14
	s_waitcnt vmcnt(0)
	v_cmpx_lt_i16_e32 0x7f, v6
	s_xor_b32 s15, exec_lo, s15
	s_cbranch_execz .LBB400_1403
; %bb.1383:
	s_mov_b32 s13, -1
	s_mov_b32 s16, exec_lo
                                        ; implicit-def: $sgpr14
	v_cmpx_eq_u16_e32 0x80, v6
; %bb.1384:
	s_mov_b32 s14, 0x7f800001
	s_xor_b32 s13, exec_lo, -1
; %bb.1385:
	s_or_b32 exec_lo, exec_lo, s16
	s_delay_alu instid0(SALU_CYCLE_1)
	s_and_b32 s13, s13, exec_lo
	s_or_saveexec_b32 s15, s15
	v_mov_b32_e32 v8, s14
	s_xor_b32 exec_lo, exec_lo, s15
	s_cbranch_execnz .LBB400_1404
.LBB400_1386:
	s_or_b32 exec_lo, exec_lo, s15
	s_and_saveexec_b32 s14, s13
	s_cbranch_execz .LBB400_1388
.LBB400_1387:
	v_and_b32_e32 v8, 0xffff, v6
	v_lshlrev_b32_e32 v6, 24, v6
	s_delay_alu instid0(VALU_DEP_2) | instskip(NEXT) | instid1(VALU_DEP_2)
	v_and_b32_e32 v9, 7, v8
	v_and_b32_e32 v6, 0x80000000, v6
	s_delay_alu instid0(VALU_DEP_2) | instskip(NEXT) | instid1(VALU_DEP_1)
	v_clz_i32_u32_e32 v10, v9
	v_min_u32_e32 v10, 32, v10
	s_delay_alu instid0(VALU_DEP_1) | instskip(SKIP_1) | instid1(VALU_DEP_2)
	v_subrev_nc_u32_e32 v11, 28, v10
	v_sub_nc_u32_e32 v10, 29, v10
	v_lshlrev_b32_e32 v11, v11, v8
	v_bfe_u32 v8, v8, 3, 4
	s_delay_alu instid0(VALU_DEP_2) | instskip(NEXT) | instid1(VALU_DEP_2)
	v_and_b32_e32 v11, 7, v11
	v_cmp_eq_u32_e32 vcc_lo, 0, v8
	s_delay_alu instid0(VALU_DEP_2) | instskip(NEXT) | instid1(VALU_DEP_1)
	v_dual_cndmask_b32 v8, v8, v10 :: v_dual_cndmask_b32 v9, v9, v11
	v_lshl_add_u32 v8, v8, 23, 0x3b800000
	s_delay_alu instid0(VALU_DEP_2) | instskip(NEXT) | instid1(VALU_DEP_1)
	v_lshlrev_b32_e32 v9, 20, v9
	v_or3_b32 v8, v6, v8, v9
.LBB400_1388:
	s_or_b32 exec_lo, exec_lo, s14
.LBB400_1389:
	s_mov_b32 s13, -1
.LBB400_1390:
	s_mov_b32 s14, 0
.LBB400_1391:
	s_delay_alu instid0(SALU_CYCLE_1)
	s_and_b32 vcc_lo, exec_lo, s14
	s_cbranch_vccz .LBB400_1424
; %bb.1392:
	v_cmp_lt_i16_e32 vcc_lo, 22, v5
	s_cbranch_vccz .LBB400_1402
; %bb.1393:
	v_cmp_gt_i16_e32 vcc_lo, 24, v5
	s_cbranch_vccnz .LBB400_1405
; %bb.1394:
	v_cmp_lt_i16_e32 vcc_lo, 24, v5
	s_cbranch_vccz .LBB400_1406
; %bb.1395:
	global_load_u8 v6, v[0:1], off
	s_mov_b32 s14, exec_lo
                                        ; implicit-def: $sgpr13
	s_waitcnt vmcnt(0)
	v_cmpx_lt_i16_e32 0x7f, v6
	s_xor_b32 s14, exec_lo, s14
	s_cbranch_execz .LBB400_1418
; %bb.1396:
	s_mov_b32 s12, -1
	s_mov_b32 s15, exec_lo
                                        ; implicit-def: $sgpr13
	v_cmpx_eq_u16_e32 0x80, v6
; %bb.1397:
	s_mov_b32 s13, 0x7f800001
	s_xor_b32 s12, exec_lo, -1
; %bb.1398:
	s_or_b32 exec_lo, exec_lo, s15
	s_delay_alu instid0(SALU_CYCLE_1)
	s_and_b32 s12, s12, exec_lo
	s_or_saveexec_b32 s14, s14
	v_mov_b32_e32 v8, s13
	s_xor_b32 exec_lo, exec_lo, s14
	s_cbranch_execnz .LBB400_1419
.LBB400_1399:
	s_or_b32 exec_lo, exec_lo, s14
	s_and_saveexec_b32 s13, s12
	s_cbranch_execz .LBB400_1401
.LBB400_1400:
	v_and_b32_e32 v8, 0xffff, v6
	v_lshlrev_b32_e32 v6, 24, v6
	s_delay_alu instid0(VALU_DEP_2) | instskip(NEXT) | instid1(VALU_DEP_2)
	v_and_b32_e32 v9, 3, v8
	v_and_b32_e32 v6, 0x80000000, v6
	s_delay_alu instid0(VALU_DEP_2) | instskip(NEXT) | instid1(VALU_DEP_1)
	v_clz_i32_u32_e32 v10, v9
	v_min_u32_e32 v10, 32, v10
	s_delay_alu instid0(VALU_DEP_1) | instskip(SKIP_1) | instid1(VALU_DEP_2)
	v_subrev_nc_u32_e32 v11, 29, v10
	v_sub_nc_u32_e32 v10, 30, v10
	v_lshlrev_b32_e32 v11, v11, v8
	v_bfe_u32 v8, v8, 2, 5
	s_delay_alu instid0(VALU_DEP_2) | instskip(NEXT) | instid1(VALU_DEP_2)
	v_and_b32_e32 v11, 3, v11
	v_cmp_eq_u32_e32 vcc_lo, 0, v8
	s_delay_alu instid0(VALU_DEP_2) | instskip(NEXT) | instid1(VALU_DEP_1)
	v_dual_cndmask_b32 v8, v8, v10 :: v_dual_cndmask_b32 v9, v9, v11
	v_lshl_add_u32 v8, v8, 23, 0x37800000
	s_delay_alu instid0(VALU_DEP_2) | instskip(NEXT) | instid1(VALU_DEP_1)
	v_lshlrev_b32_e32 v9, 21, v9
	v_or3_b32 v8, v6, v8, v9
.LBB400_1401:
	s_or_b32 exec_lo, exec_lo, s13
	s_mov_b32 s12, 0
	s_branch .LBB400_1407
.LBB400_1402:
	s_mov_b32 s12, -1
                                        ; implicit-def: $vgpr8
	s_branch .LBB400_1413
.LBB400_1403:
	s_or_saveexec_b32 s15, s15
	v_mov_b32_e32 v8, s14
	s_xor_b32 exec_lo, exec_lo, s15
	s_cbranch_execz .LBB400_1386
.LBB400_1404:
	v_cmp_ne_u16_e32 vcc_lo, 0, v6
	v_mov_b32_e32 v8, 0
	s_and_not1_b32 s13, s13, exec_lo
	s_and_b32 s14, vcc_lo, exec_lo
	s_delay_alu instid0(SALU_CYCLE_1)
	s_or_b32 s13, s13, s14
	s_or_b32 exec_lo, exec_lo, s15
	s_and_saveexec_b32 s14, s13
	s_cbranch_execnz .LBB400_1387
	s_branch .LBB400_1388
.LBB400_1405:
	s_mov_b32 s12, -1
                                        ; implicit-def: $vgpr8
	s_branch .LBB400_1410
.LBB400_1406:
	s_mov_b32 s12, -1
                                        ; implicit-def: $vgpr8
.LBB400_1407:
	s_delay_alu instid0(SALU_CYCLE_1)
	s_and_b32 vcc_lo, exec_lo, s12
	s_cbranch_vccz .LBB400_1409
; %bb.1408:
	global_load_u8 v6, v[0:1], off
	s_waitcnt vmcnt(0)
	v_lshlrev_b32_e32 v6, 24, v6
	s_delay_alu instid0(VALU_DEP_1) | instskip(NEXT) | instid1(VALU_DEP_1)
	v_and_b32_e32 v8, 0x7f000000, v6
	v_clz_i32_u32_e32 v9, v8
	v_cmp_ne_u32_e32 vcc_lo, 0, v8
	v_add_nc_u32_e32 v11, 0x1000000, v8
	s_delay_alu instid0(VALU_DEP_3) | instskip(NEXT) | instid1(VALU_DEP_1)
	v_min_u32_e32 v9, 32, v9
	v_sub_nc_u32_e64 v9, v9, 4 clamp
	s_delay_alu instid0(VALU_DEP_1) | instskip(SKIP_1) | instid1(VALU_DEP_2)
	v_lshlrev_b32_e32 v10, v9, v8
	v_lshlrev_b32_e32 v9, 23, v9
	v_lshrrev_b32_e32 v10, 4, v10
	s_delay_alu instid0(VALU_DEP_1) | instskip(SKIP_1) | instid1(VALU_DEP_2)
	v_sub_nc_u32_e32 v9, v10, v9
	v_ashrrev_i32_e32 v10, 8, v11
	v_add_nc_u32_e32 v9, 0x3c000000, v9
	s_delay_alu instid0(VALU_DEP_1) | instskip(NEXT) | instid1(VALU_DEP_1)
	v_and_or_b32 v9, 0x7f800000, v10, v9
	v_cndmask_b32_e32 v8, 0, v9, vcc_lo
	s_delay_alu instid0(VALU_DEP_1)
	v_and_or_b32 v8, 0x80000000, v6, v8
.LBB400_1409:
	s_mov_b32 s12, 0
.LBB400_1410:
	s_delay_alu instid0(SALU_CYCLE_1)
	s_and_not1_b32 vcc_lo, exec_lo, s12
	s_cbranch_vccnz .LBB400_1412
; %bb.1411:
	global_load_u8 v6, v[0:1], off
	s_waitcnt vmcnt(0)
	v_lshlrev_b32_e32 v8, 25, v6
	v_lshlrev_b16 v6, 8, v6
	s_delay_alu instid0(VALU_DEP_2) | instskip(NEXT) | instid1(VALU_DEP_2)
	v_lshrrev_b32_e32 v9, 4, v8
	v_and_or_b32 v10, 0x7f00, v6, 0.5
	v_bfe_i32 v6, v6, 0, 16
	s_delay_alu instid0(VALU_DEP_3) | instskip(NEXT) | instid1(VALU_DEP_1)
	v_or_b32_e32 v9, 0x70000000, v9
	v_dual_add_f32 v10, -0.5, v10 :: v_dual_mul_f32 v9, 0x7800000, v9
	v_cmp_gt_u32_e32 vcc_lo, 0x8000000, v8
	s_delay_alu instid0(VALU_DEP_2) | instskip(NEXT) | instid1(VALU_DEP_1)
	v_cndmask_b32_e32 v8, v9, v10, vcc_lo
	v_and_or_b32 v8, 0x80000000, v6, v8
.LBB400_1412:
	s_mov_b32 s12, 0
	s_mov_b32 s13, -1
.LBB400_1413:
	s_and_not1_b32 vcc_lo, exec_lo, s12
	s_mov_b32 s12, 0
	s_cbranch_vccnz .LBB400_1424
; %bb.1414:
	v_cmp_lt_i16_e32 vcc_lo, 14, v5
	s_cbranch_vccz .LBB400_1417
; %bb.1415:
	v_cmp_eq_u16_e32 vcc_lo, 15, v5
	s_cbranch_vccz .LBB400_1420
; %bb.1416:
	global_load_u16 v6, v[0:1], off
	s_mov_b32 s0, 0
	s_mov_b32 s13, -1
	s_waitcnt vmcnt(0)
	v_lshlrev_b32_e32 v8, 16, v6
	s_branch .LBB400_1422
.LBB400_1417:
	s_mov_b32 s12, -1
	s_branch .LBB400_1421
.LBB400_1418:
	s_or_saveexec_b32 s14, s14
	v_mov_b32_e32 v8, s13
	s_xor_b32 exec_lo, exec_lo, s14
	s_cbranch_execz .LBB400_1399
.LBB400_1419:
	v_cmp_ne_u16_e32 vcc_lo, 0, v6
	v_mov_b32_e32 v8, 0
	s_and_not1_b32 s12, s12, exec_lo
	s_and_b32 s13, vcc_lo, exec_lo
	s_delay_alu instid0(SALU_CYCLE_1)
	s_or_b32 s12, s12, s13
	s_or_b32 exec_lo, exec_lo, s14
	s_and_saveexec_b32 s13, s12
	s_cbranch_execnz .LBB400_1400
	s_branch .LBB400_1401
.LBB400_1420:
	s_mov_b32 s0, -1
.LBB400_1421:
                                        ; implicit-def: $vgpr8
.LBB400_1422:
	s_and_b32 vcc_lo, exec_lo, s12
	s_mov_b32 s12, 0
	s_cbranch_vccz .LBB400_1424
; %bb.1423:
	v_cmp_ne_u16_e64 s0, 11, v5
	s_mov_b32 s12, -1
                                        ; implicit-def: $vgpr8
.LBB400_1424:
	s_delay_alu instid0(VALU_DEP_1)
	s_and_b32 vcc_lo, exec_lo, s0
	s_cbranch_vccnz .LBB400_1440
; %bb.1425:
	s_and_not1_b32 vcc_lo, exec_lo, s12
	s_cbranch_vccnz .LBB400_1427
.LBB400_1426:
	global_load_u8 v6, v[0:1], off
	s_mov_b32 s13, -1
	s_waitcnt vmcnt(0)
	v_cmp_ne_u16_e32 vcc_lo, 0, v6
	v_cndmask_b32_e64 v8, 0, 1.0, vcc_lo
.LBB400_1427:
.LBB400_1428:
	s_and_not1_b32 vcc_lo, exec_lo, s13
	s_cbranch_vccnz .LBB400_1996
.LBB400_1429:
	v_add_nc_u32_e32 v0, s9, v3
	v_cmp_gt_i16_e32 vcc_lo, 11, v5
	s_delay_alu instid0(VALU_DEP_2) | instskip(SKIP_1) | instid1(VALU_DEP_1)
	v_ashrrev_i32_e32 v1, 31, v0
	v_add_co_u32 v0, s0, s6, v0
	v_add_co_ci_u32_e64 v1, s0, s7, v1, s0
	s_cbranch_vccnz .LBB400_1436
; %bb.1430:
	v_cmp_lt_i16_e32 vcc_lo, 25, v5
	s_mov_b32 s6, 0
	s_cbranch_vccz .LBB400_1437
; %bb.1431:
	v_cmp_lt_i16_e32 vcc_lo, 28, v5
	s_cbranch_vccz .LBB400_1438
; %bb.1432:
	v_cmp_lt_i16_e32 vcc_lo, 43, v5
	s_cbranch_vccz .LBB400_1439
; %bb.1433:
	v_cmp_lt_i16_e32 vcc_lo, 45, v5
	s_cbranch_vccz .LBB400_1442
; %bb.1434:
	v_cmp_eq_u16_e32 vcc_lo, 46, v5
	s_mov_b32 s9, 0
	s_cbranch_vccz .LBB400_1445
; %bb.1435:
	global_load_b32 v3, v[0:1], off
	s_mov_b32 s0, 0
	s_mov_b32 s7, -1
	s_waitcnt vmcnt(0)
	v_lshlrev_b32_e32 v9, 16, v3
	s_branch .LBB400_1447
.LBB400_1436:
	s_mov_b32 s0, -1
	s_mov_b32 s7, 0
                                        ; implicit-def: $vgpr9
	s_branch .LBB400_1513
.LBB400_1437:
	s_mov_b32 s9, -1
	s_mov_b32 s7, 0
	s_mov_b32 s0, 0
                                        ; implicit-def: $vgpr9
	s_branch .LBB400_1476
.LBB400_1438:
	s_mov_b32 s9, -1
	s_mov_b32 s7, 0
	s_mov_b32 s0, 0
                                        ; implicit-def: $vgpr9
	s_branch .LBB400_1457
.LBB400_1439:
	s_mov_b32 s9, -1
	s_mov_b32 s7, 0
	s_mov_b32 s0, 0
                                        ; implicit-def: $vgpr9
	s_branch .LBB400_1452
.LBB400_1440:
	s_cbranch_execnz .LBB400_1443
; %bb.1441:
	s_or_b32 s1, s1, exec_lo
                                        ; implicit-def: $vgpr8
	s_cbranch_execz .LBB400_1426
	s_branch .LBB400_1427
.LBB400_1442:
	s_mov_b32 s9, -1
	s_mov_b32 s7, 0
	s_mov_b32 s0, 0
	s_branch .LBB400_1446
.LBB400_1443:
	s_trap 2
	s_sendmsg_rtn_b32 s0, sendmsg(MSG_RTN_GET_DOORBELL)
	s_mov_b32 ttmp2, m0
	s_waitcnt lgkmcnt(0)
	s_and_b32 s0, s0, 0x3ff
	s_delay_alu instid0(SALU_CYCLE_1) | instskip(NEXT) | instid1(SALU_CYCLE_1)
	s_bitset1_b32 s0, 10
	s_mov_b32 m0, s0
	s_sendmsg sendmsg(MSG_INTERRUPT)
	s_mov_b32 m0, ttmp2
.LBB400_1444:                           ; =>This Inner Loop Header: Depth=1
	s_sethalt 5
	s_branch .LBB400_1444
.LBB400_1445:
	s_mov_b32 s0, -1
	s_mov_b32 s7, 0
.LBB400_1446:
                                        ; implicit-def: $vgpr9
.LBB400_1447:
	s_and_b32 vcc_lo, exec_lo, s9
	s_cbranch_vccz .LBB400_1451
; %bb.1448:
	v_cmp_eq_u16_e32 vcc_lo, 44, v5
	s_cbranch_vccz .LBB400_1450
; %bb.1449:
	global_load_u8 v3, v[0:1], off
	s_mov_b32 s0, 0
	s_mov_b32 s7, -1
	s_waitcnt vmcnt(0)
	v_lshlrev_b32_e32 v6, 23, v3
	v_cmp_ne_u32_e32 vcc_lo, 0xff, v3
	s_delay_alu instid0(VALU_DEP_2) | instskip(SKIP_1) | instid1(VALU_DEP_2)
	v_cndmask_b32_e32 v6, 0x7f800001, v6, vcc_lo
	v_cmp_ne_u32_e32 vcc_lo, 0, v3
	v_cndmask_b32_e32 v9, 0x400000, v6, vcc_lo
	s_branch .LBB400_1451
.LBB400_1450:
	s_mov_b32 s0, -1
                                        ; implicit-def: $vgpr9
.LBB400_1451:
	s_mov_b32 s9, 0
.LBB400_1452:
	s_delay_alu instid0(SALU_CYCLE_1)
	s_and_b32 vcc_lo, exec_lo, s9
	s_cbranch_vccz .LBB400_1456
; %bb.1453:
	v_cmp_eq_u16_e32 vcc_lo, 29, v5
	s_cbranch_vccz .LBB400_1455
; %bb.1454:
	global_load_b64 v[9:10], v[0:1], off
	s_mov_b32 s0, 0
	s_mov_b32 s7, -1
	s_mov_b32 s9, 0
	s_waitcnt vmcnt(0)
	v_clz_i32_u32_e32 v3, v10
	s_delay_alu instid0(VALU_DEP_1) | instskip(NEXT) | instid1(VALU_DEP_1)
	v_min_u32_e32 v3, 32, v3
	v_lshlrev_b64 v[9:10], v3, v[9:10]
	v_sub_nc_u32_e32 v3, 32, v3
	s_delay_alu instid0(VALU_DEP_2) | instskip(NEXT) | instid1(VALU_DEP_1)
	v_min_u32_e32 v6, 1, v9
	v_or_b32_e32 v6, v10, v6
	s_delay_alu instid0(VALU_DEP_1) | instskip(NEXT) | instid1(VALU_DEP_1)
	v_cvt_f32_u32_e32 v6, v6
	v_ldexp_f32 v9, v6, v3
	s_branch .LBB400_1457
.LBB400_1455:
	s_mov_b32 s0, -1
                                        ; implicit-def: $vgpr9
.LBB400_1456:
	s_mov_b32 s9, 0
.LBB400_1457:
	s_delay_alu instid0(SALU_CYCLE_1)
	s_and_b32 vcc_lo, exec_lo, s9
	s_cbranch_vccz .LBB400_1475
; %bb.1458:
	v_cmp_gt_i16_e32 vcc_lo, 27, v5
	s_cbranch_vccnz .LBB400_1461
; %bb.1459:
	v_cmp_lt_i16_e32 vcc_lo, 27, v5
	s_cbranch_vccz .LBB400_1462
; %bb.1460:
	global_load_b32 v3, v[0:1], off
	s_mov_b32 s7, 0
	s_waitcnt vmcnt(0)
	v_cvt_f32_u32_e32 v9, v3
	s_branch .LBB400_1463
.LBB400_1461:
	s_mov_b32 s7, -1
                                        ; implicit-def: $vgpr9
	s_branch .LBB400_1466
.LBB400_1462:
	s_mov_b32 s7, -1
                                        ; implicit-def: $vgpr9
.LBB400_1463:
	s_delay_alu instid0(SALU_CYCLE_1)
	s_and_not1_b32 vcc_lo, exec_lo, s7
	s_cbranch_vccnz .LBB400_1465
; %bb.1464:
	global_load_u16 v3, v[0:1], off
	s_waitcnt vmcnt(0)
	v_cvt_f32_u32_e32 v9, v3
.LBB400_1465:
	s_mov_b32 s7, 0
.LBB400_1466:
	s_delay_alu instid0(SALU_CYCLE_1)
	s_and_not1_b32 vcc_lo, exec_lo, s7
	s_cbranch_vccnz .LBB400_1474
; %bb.1467:
	global_load_u8 v3, v[0:1], off
	s_mov_b32 s7, 0
	s_mov_b32 s12, exec_lo
                                        ; implicit-def: $sgpr9
	s_waitcnt vmcnt(0)
	v_cmpx_lt_i16_e32 0x7f, v3
	s_xor_b32 s12, exec_lo, s12
	s_cbranch_execz .LBB400_1488
; %bb.1468:
	s_mov_b32 s7, -1
	s_mov_b32 s13, exec_lo
                                        ; implicit-def: $sgpr9
	v_cmpx_eq_u16_e32 0x80, v3
; %bb.1469:
	s_mov_b32 s9, 0x7f800001
	s_xor_b32 s7, exec_lo, -1
; %bb.1470:
	s_or_b32 exec_lo, exec_lo, s13
	s_delay_alu instid0(SALU_CYCLE_1)
	s_and_b32 s7, s7, exec_lo
	s_or_saveexec_b32 s12, s12
	v_mov_b32_e32 v9, s9
	s_xor_b32 exec_lo, exec_lo, s12
	s_cbranch_execnz .LBB400_1489
.LBB400_1471:
	s_or_b32 exec_lo, exec_lo, s12
	s_and_saveexec_b32 s9, s7
	s_cbranch_execz .LBB400_1473
.LBB400_1472:
	v_and_b32_e32 v6, 0xffff, v3
	v_lshlrev_b32_e32 v3, 24, v3
	s_delay_alu instid0(VALU_DEP_2) | instskip(NEXT) | instid1(VALU_DEP_2)
	v_and_b32_e32 v9, 7, v6
	v_and_b32_e32 v3, 0x80000000, v3
	s_delay_alu instid0(VALU_DEP_2) | instskip(NEXT) | instid1(VALU_DEP_1)
	v_clz_i32_u32_e32 v10, v9
	v_min_u32_e32 v10, 32, v10
	s_delay_alu instid0(VALU_DEP_1) | instskip(SKIP_1) | instid1(VALU_DEP_2)
	v_subrev_nc_u32_e32 v11, 28, v10
	v_sub_nc_u32_e32 v10, 29, v10
	v_lshlrev_b32_e32 v11, v11, v6
	v_bfe_u32 v6, v6, 3, 4
	s_delay_alu instid0(VALU_DEP_1) | instskip(NEXT) | instid1(VALU_DEP_3)
	v_cmp_eq_u32_e32 vcc_lo, 0, v6
	v_dual_cndmask_b32 v6, v6, v10 :: v_dual_and_b32 v11, 7, v11
	s_delay_alu instid0(VALU_DEP_1) | instskip(NEXT) | instid1(VALU_DEP_2)
	v_cndmask_b32_e32 v9, v9, v11, vcc_lo
	v_lshl_add_u32 v6, v6, 23, 0x3b800000
	s_delay_alu instid0(VALU_DEP_2) | instskip(NEXT) | instid1(VALU_DEP_1)
	v_lshlrev_b32_e32 v9, 20, v9
	v_or3_b32 v9, v3, v6, v9
.LBB400_1473:
	s_or_b32 exec_lo, exec_lo, s9
.LBB400_1474:
	s_mov_b32 s7, -1
.LBB400_1475:
	s_mov_b32 s9, 0
.LBB400_1476:
	s_delay_alu instid0(SALU_CYCLE_1)
	s_and_b32 vcc_lo, exec_lo, s9
	s_cbranch_vccz .LBB400_1509
; %bb.1477:
	v_cmp_lt_i16_e32 vcc_lo, 22, v5
	s_cbranch_vccz .LBB400_1487
; %bb.1478:
	v_cmp_gt_i16_e32 vcc_lo, 24, v5
	s_cbranch_vccnz .LBB400_1490
; %bb.1479:
	v_cmp_lt_i16_e32 vcc_lo, 24, v5
	s_cbranch_vccz .LBB400_1491
; %bb.1480:
	global_load_u8 v3, v[0:1], off
	s_mov_b32 s9, exec_lo
                                        ; implicit-def: $sgpr7
	s_waitcnt vmcnt(0)
	v_cmpx_lt_i16_e32 0x7f, v3
	s_xor_b32 s9, exec_lo, s9
	s_cbranch_execz .LBB400_1503
; %bb.1481:
	s_mov_b32 s6, -1
	s_mov_b32 s12, exec_lo
                                        ; implicit-def: $sgpr7
	v_cmpx_eq_u16_e32 0x80, v3
; %bb.1482:
	s_mov_b32 s7, 0x7f800001
	s_xor_b32 s6, exec_lo, -1
; %bb.1483:
	s_or_b32 exec_lo, exec_lo, s12
	s_delay_alu instid0(SALU_CYCLE_1)
	s_and_b32 s6, s6, exec_lo
	s_or_saveexec_b32 s9, s9
	v_mov_b32_e32 v9, s7
	s_xor_b32 exec_lo, exec_lo, s9
	s_cbranch_execnz .LBB400_1504
.LBB400_1484:
	s_or_b32 exec_lo, exec_lo, s9
	s_and_saveexec_b32 s7, s6
	s_cbranch_execz .LBB400_1486
.LBB400_1485:
	v_and_b32_e32 v6, 0xffff, v3
	v_lshlrev_b32_e32 v3, 24, v3
	s_delay_alu instid0(VALU_DEP_2) | instskip(NEXT) | instid1(VALU_DEP_2)
	v_and_b32_e32 v9, 3, v6
	v_and_b32_e32 v3, 0x80000000, v3
	s_delay_alu instid0(VALU_DEP_2) | instskip(NEXT) | instid1(VALU_DEP_1)
	v_clz_i32_u32_e32 v10, v9
	v_min_u32_e32 v10, 32, v10
	s_delay_alu instid0(VALU_DEP_1) | instskip(SKIP_1) | instid1(VALU_DEP_2)
	v_subrev_nc_u32_e32 v11, 29, v10
	v_sub_nc_u32_e32 v10, 30, v10
	v_lshlrev_b32_e32 v11, v11, v6
	v_bfe_u32 v6, v6, 2, 5
	s_delay_alu instid0(VALU_DEP_1) | instskip(NEXT) | instid1(VALU_DEP_3)
	v_cmp_eq_u32_e32 vcc_lo, 0, v6
	v_dual_cndmask_b32 v6, v6, v10 :: v_dual_and_b32 v11, 3, v11
	s_delay_alu instid0(VALU_DEP_1) | instskip(NEXT) | instid1(VALU_DEP_2)
	v_cndmask_b32_e32 v9, v9, v11, vcc_lo
	v_lshl_add_u32 v6, v6, 23, 0x37800000
	s_delay_alu instid0(VALU_DEP_2) | instskip(NEXT) | instid1(VALU_DEP_1)
	v_lshlrev_b32_e32 v9, 21, v9
	v_or3_b32 v9, v3, v6, v9
.LBB400_1486:
	s_or_b32 exec_lo, exec_lo, s7
	s_mov_b32 s6, 0
	s_branch .LBB400_1492
.LBB400_1487:
	s_mov_b32 s6, -1
                                        ; implicit-def: $vgpr9
	s_branch .LBB400_1498
.LBB400_1488:
	s_or_saveexec_b32 s12, s12
	v_mov_b32_e32 v9, s9
	s_xor_b32 exec_lo, exec_lo, s12
	s_cbranch_execz .LBB400_1471
.LBB400_1489:
	v_cmp_ne_u16_e32 vcc_lo, 0, v3
	v_mov_b32_e32 v9, 0
	s_and_not1_b32 s7, s7, exec_lo
	s_and_b32 s9, vcc_lo, exec_lo
	s_delay_alu instid0(SALU_CYCLE_1)
	s_or_b32 s7, s7, s9
	s_or_b32 exec_lo, exec_lo, s12
	s_and_saveexec_b32 s9, s7
	s_cbranch_execnz .LBB400_1472
	s_branch .LBB400_1473
.LBB400_1490:
	s_mov_b32 s6, -1
                                        ; implicit-def: $vgpr9
	s_branch .LBB400_1495
.LBB400_1491:
	s_mov_b32 s6, -1
                                        ; implicit-def: $vgpr9
.LBB400_1492:
	s_delay_alu instid0(SALU_CYCLE_1)
	s_and_b32 vcc_lo, exec_lo, s6
	s_cbranch_vccz .LBB400_1494
; %bb.1493:
	global_load_u8 v3, v[0:1], off
	s_waitcnt vmcnt(0)
	v_lshlrev_b32_e32 v3, 24, v3
	s_delay_alu instid0(VALU_DEP_1) | instskip(NEXT) | instid1(VALU_DEP_1)
	v_and_b32_e32 v6, 0x7f000000, v3
	v_clz_i32_u32_e32 v9, v6
	v_add_nc_u32_e32 v11, 0x1000000, v6
	v_cmp_ne_u32_e32 vcc_lo, 0, v6
	s_delay_alu instid0(VALU_DEP_3) | instskip(NEXT) | instid1(VALU_DEP_1)
	v_min_u32_e32 v9, 32, v9
	v_sub_nc_u32_e64 v9, v9, 4 clamp
	s_delay_alu instid0(VALU_DEP_1) | instskip(SKIP_1) | instid1(VALU_DEP_2)
	v_lshlrev_b32_e32 v10, v9, v6
	v_lshlrev_b32_e32 v9, 23, v9
	v_lshrrev_b32_e32 v10, 4, v10
	s_delay_alu instid0(VALU_DEP_1) | instskip(SKIP_1) | instid1(VALU_DEP_2)
	v_sub_nc_u32_e32 v9, v10, v9
	v_ashrrev_i32_e32 v10, 8, v11
	v_add_nc_u32_e32 v9, 0x3c000000, v9
	s_delay_alu instid0(VALU_DEP_1) | instskip(NEXT) | instid1(VALU_DEP_1)
	v_and_or_b32 v9, 0x7f800000, v10, v9
	v_cndmask_b32_e32 v6, 0, v9, vcc_lo
	s_delay_alu instid0(VALU_DEP_1)
	v_and_or_b32 v9, 0x80000000, v3, v6
.LBB400_1494:
	s_mov_b32 s6, 0
.LBB400_1495:
	s_delay_alu instid0(SALU_CYCLE_1)
	s_and_not1_b32 vcc_lo, exec_lo, s6
	s_cbranch_vccnz .LBB400_1497
; %bb.1496:
	global_load_u8 v3, v[0:1], off
	s_waitcnt vmcnt(0)
	v_lshlrev_b32_e32 v6, 25, v3
	v_lshlrev_b16 v3, 8, v3
	s_delay_alu instid0(VALU_DEP_2) | instskip(NEXT) | instid1(VALU_DEP_2)
	v_lshrrev_b32_e32 v9, 4, v6
	v_and_or_b32 v10, 0x7f00, v3, 0.5
	v_bfe_i32 v3, v3, 0, 16
	s_delay_alu instid0(VALU_DEP_3) | instskip(NEXT) | instid1(VALU_DEP_1)
	v_or_b32_e32 v9, 0x70000000, v9
	v_dual_add_f32 v10, -0.5, v10 :: v_dual_mul_f32 v9, 0x7800000, v9
	v_cmp_gt_u32_e32 vcc_lo, 0x8000000, v6
	s_delay_alu instid0(VALU_DEP_2) | instskip(NEXT) | instid1(VALU_DEP_1)
	v_cndmask_b32_e32 v6, v9, v10, vcc_lo
	v_and_or_b32 v9, 0x80000000, v3, v6
.LBB400_1497:
	s_mov_b32 s6, 0
	s_mov_b32 s7, -1
.LBB400_1498:
	s_and_not1_b32 vcc_lo, exec_lo, s6
	s_mov_b32 s6, 0
	s_cbranch_vccnz .LBB400_1509
; %bb.1499:
	v_cmp_lt_i16_e32 vcc_lo, 14, v5
	s_cbranch_vccz .LBB400_1502
; %bb.1500:
	v_cmp_eq_u16_e32 vcc_lo, 15, v5
	s_cbranch_vccz .LBB400_1505
; %bb.1501:
	global_load_u16 v3, v[0:1], off
	s_mov_b32 s0, 0
	s_mov_b32 s7, -1
	s_waitcnt vmcnt(0)
	v_lshlrev_b32_e32 v9, 16, v3
	s_branch .LBB400_1507
.LBB400_1502:
	s_mov_b32 s6, -1
	s_branch .LBB400_1506
.LBB400_1503:
	s_or_saveexec_b32 s9, s9
	v_mov_b32_e32 v9, s7
	s_xor_b32 exec_lo, exec_lo, s9
	s_cbranch_execz .LBB400_1484
.LBB400_1504:
	v_cmp_ne_u16_e32 vcc_lo, 0, v3
	v_mov_b32_e32 v9, 0
	s_and_not1_b32 s6, s6, exec_lo
	s_and_b32 s7, vcc_lo, exec_lo
	s_delay_alu instid0(SALU_CYCLE_1)
	s_or_b32 s6, s6, s7
	s_or_b32 exec_lo, exec_lo, s9
	s_and_saveexec_b32 s7, s6
	s_cbranch_execnz .LBB400_1485
	s_branch .LBB400_1486
.LBB400_1505:
	s_mov_b32 s0, -1
.LBB400_1506:
                                        ; implicit-def: $vgpr9
.LBB400_1507:
	s_and_b32 vcc_lo, exec_lo, s6
	s_mov_b32 s6, 0
	s_cbranch_vccz .LBB400_1509
; %bb.1508:
	v_cmp_ne_u16_e64 s0, 11, v5
	s_mov_b32 s6, -1
                                        ; implicit-def: $vgpr9
.LBB400_1509:
	s_delay_alu instid0(VALU_DEP_1)
	s_and_b32 vcc_lo, exec_lo, s0
	s_cbranch_vccnz .LBB400_2042
; %bb.1510:
	s_and_not1_b32 vcc_lo, exec_lo, s6
	s_cbranch_vccnz .LBB400_1512
.LBB400_1511:
	global_load_u8 v3, v[0:1], off
	s_mov_b32 s7, -1
	s_waitcnt vmcnt(0)
	v_cmp_ne_u16_e32 vcc_lo, 0, v3
	v_cndmask_b32_e64 v9, 0, 1.0, vcc_lo
.LBB400_1512:
	s_mov_b32 s0, 0
.LBB400_1513:
	s_delay_alu instid0(SALU_CYCLE_1)
	s_and_b32 vcc_lo, exec_lo, s0
	s_cbranch_vccz .LBB400_1562
; %bb.1514:
	v_cmp_gt_i16_e32 vcc_lo, 5, v5
	s_cbranch_vccnz .LBB400_1519
; %bb.1515:
	v_cmp_gt_i16_e32 vcc_lo, 8, v5
	s_cbranch_vccnz .LBB400_1520
	;; [unrolled: 3-line block ×3, first 2 shown]
; %bb.1517:
	v_cmp_lt_i16_e32 vcc_lo, 9, v5
	s_cbranch_vccz .LBB400_1522
; %bb.1518:
	global_load_b64 v[9:10], v[0:1], off
	s_mov_b32 s0, 0
	s_waitcnt vmcnt(0)
	v_cvt_f32_f64_e32 v9, v[9:10]
	s_branch .LBB400_1523
.LBB400_1519:
	s_mov_b32 s0, -1
                                        ; implicit-def: $vgpr9
	s_branch .LBB400_1541
.LBB400_1520:
	s_mov_b32 s0, -1
                                        ; implicit-def: $vgpr9
	s_branch .LBB400_1529
.LBB400_1521:
	s_mov_b32 s0, -1
                                        ; implicit-def: $vgpr9
	s_branch .LBB400_1526
.LBB400_1522:
	s_mov_b32 s0, -1
                                        ; implicit-def: $vgpr9
.LBB400_1523:
	s_delay_alu instid0(SALU_CYCLE_1)
	s_and_not1_b32 vcc_lo, exec_lo, s0
	s_cbranch_vccnz .LBB400_1525
; %bb.1524:
	global_load_b32 v9, v[0:1], off
.LBB400_1525:
	s_mov_b32 s0, 0
.LBB400_1526:
	s_delay_alu instid0(SALU_CYCLE_1)
	s_and_not1_b32 vcc_lo, exec_lo, s0
	s_cbranch_vccnz .LBB400_1528
; %bb.1527:
	global_load_b32 v3, v[0:1], off
	s_waitcnt vmcnt(0)
	v_cvt_f32_f16_e32 v9, v3
.LBB400_1528:
	s_mov_b32 s0, 0
.LBB400_1529:
	s_delay_alu instid0(SALU_CYCLE_1)
	s_and_not1_b32 vcc_lo, exec_lo, s0
	s_cbranch_vccnz .LBB400_1540
; %bb.1530:
	v_cmp_gt_i16_e32 vcc_lo, 6, v5
	s_cbranch_vccnz .LBB400_1533
; %bb.1531:
	v_cmp_lt_i16_e32 vcc_lo, 6, v5
	s_cbranch_vccz .LBB400_1534
; %bb.1532:
	global_load_b64 v[9:10], v[0:1], off
	s_mov_b32 s0, 0
	s_waitcnt vmcnt(0)
	v_cvt_f32_f64_e32 v9, v[9:10]
	s_branch .LBB400_1535
.LBB400_1533:
	s_mov_b32 s0, -1
                                        ; implicit-def: $vgpr9
	s_branch .LBB400_1538
.LBB400_1534:
	s_mov_b32 s0, -1
                                        ; implicit-def: $vgpr9
.LBB400_1535:
	s_delay_alu instid0(SALU_CYCLE_1)
	s_and_not1_b32 vcc_lo, exec_lo, s0
	s_cbranch_vccnz .LBB400_1537
; %bb.1536:
	global_load_b32 v9, v[0:1], off
.LBB400_1537:
	s_mov_b32 s0, 0
.LBB400_1538:
	s_delay_alu instid0(SALU_CYCLE_1)
	s_and_not1_b32 vcc_lo, exec_lo, s0
	s_cbranch_vccnz .LBB400_1540
; %bb.1539:
	global_load_u16 v3, v[0:1], off
	s_waitcnt vmcnt(0)
	v_cvt_f32_f16_e32 v9, v3
.LBB400_1540:
	s_mov_b32 s0, 0
.LBB400_1541:
	s_delay_alu instid0(SALU_CYCLE_1)
	s_and_not1_b32 vcc_lo, exec_lo, s0
	s_cbranch_vccnz .LBB400_1561
; %bb.1542:
	v_cmp_gt_i16_e32 vcc_lo, 2, v5
	s_cbranch_vccnz .LBB400_1546
; %bb.1543:
	v_cmp_gt_i16_e32 vcc_lo, 3, v5
	s_cbranch_vccnz .LBB400_1547
; %bb.1544:
	v_cmp_lt_i16_e32 vcc_lo, 3, v5
	s_cbranch_vccz .LBB400_1548
; %bb.1545:
	global_load_b64 v[9:10], v[0:1], off
	s_mov_b32 s0, 0
	s_waitcnt vmcnt(0)
	v_xor_b32_e32 v3, v9, v10
	v_cls_i32_e32 v6, v10
	s_delay_alu instid0(VALU_DEP_2) | instskip(NEXT) | instid1(VALU_DEP_2)
	v_ashrrev_i32_e32 v3, 31, v3
	v_add_nc_u32_e32 v6, -1, v6
	s_delay_alu instid0(VALU_DEP_2) | instskip(NEXT) | instid1(VALU_DEP_1)
	v_add_nc_u32_e32 v3, 32, v3
	v_min_u32_e32 v3, v6, v3
	s_delay_alu instid0(VALU_DEP_1) | instskip(SKIP_1) | instid1(VALU_DEP_2)
	v_lshlrev_b64 v[9:10], v3, v[9:10]
	v_sub_nc_u32_e32 v3, 32, v3
	v_min_u32_e32 v6, 1, v9
	s_delay_alu instid0(VALU_DEP_1) | instskip(NEXT) | instid1(VALU_DEP_1)
	v_or_b32_e32 v6, v10, v6
	v_cvt_f32_i32_e32 v6, v6
	s_delay_alu instid0(VALU_DEP_1)
	v_ldexp_f32 v9, v6, v3
	s_branch .LBB400_1549
.LBB400_1546:
	s_mov_b32 s0, -1
                                        ; implicit-def: $vgpr9
	s_branch .LBB400_1555
.LBB400_1547:
	s_mov_b32 s0, -1
                                        ; implicit-def: $vgpr9
	s_branch .LBB400_1552
.LBB400_1548:
	s_mov_b32 s0, -1
                                        ; implicit-def: $vgpr9
.LBB400_1549:
	s_delay_alu instid0(SALU_CYCLE_1)
	s_and_not1_b32 vcc_lo, exec_lo, s0
	s_cbranch_vccnz .LBB400_1551
; %bb.1550:
	global_load_b32 v3, v[0:1], off
	s_waitcnt vmcnt(0)
	v_cvt_f32_i32_e32 v9, v3
.LBB400_1551:
	s_mov_b32 s0, 0
.LBB400_1552:
	s_delay_alu instid0(SALU_CYCLE_1)
	s_and_not1_b32 vcc_lo, exec_lo, s0
	s_cbranch_vccnz .LBB400_1554
; %bb.1553:
	global_load_i16 v3, v[0:1], off
	s_waitcnt vmcnt(0)
	v_cvt_f32_i32_e32 v9, v3
.LBB400_1554:
	s_mov_b32 s0, 0
.LBB400_1555:
	s_delay_alu instid0(SALU_CYCLE_1)
	s_and_not1_b32 vcc_lo, exec_lo, s0
	s_cbranch_vccnz .LBB400_1561
; %bb.1556:
	v_cmp_lt_i16_e32 vcc_lo, 0, v5
	s_mov_b32 s0, 0
	s_cbranch_vccz .LBB400_1558
; %bb.1557:
	global_load_i8 v3, v[0:1], off
	s_waitcnt vmcnt(0)
	v_cvt_f32_i32_e32 v9, v3
	s_branch .LBB400_1559
.LBB400_1558:
	s_mov_b32 s0, -1
                                        ; implicit-def: $vgpr9
.LBB400_1559:
	s_delay_alu instid0(SALU_CYCLE_1)
	s_and_not1_b32 vcc_lo, exec_lo, s0
	s_cbranch_vccnz .LBB400_1561
; %bb.1560:
	global_load_u8 v0, v[0:1], off
	s_waitcnt vmcnt(0)
	v_cvt_f32_ubyte0_e32 v9, v0
.LBB400_1561:
	s_mov_b32 s7, -1
.LBB400_1562:
	s_delay_alu instid0(SALU_CYCLE_1)
	s_and_not1_b32 vcc_lo, exec_lo, s7
	s_cbranch_vccnz .LBB400_1996
; %bb.1563:
	v_mul_lo_u32 v4, s8, v4
	v_max_f32_e64 v5, s10, s10
	s_waitcnt vmcnt(0)
	v_max_f32_e32 v0, v2, v2
	v_and_b32_e64 v6, 0xff, s2
	v_cmp_u_f32_e64 s0, v2, v2
	s_delay_alu instid0(VALU_DEP_3) | instskip(SKIP_1) | instid1(VALU_DEP_4)
	v_max_f32_e32 v0, v0, v5
	v_ashrrev_i32_e32 v1, 31, v4
	v_cmp_gt_i16_e32 vcc_lo, 11, v6
	s_delay_alu instid0(VALU_DEP_3) | instskip(SKIP_1) | instid1(VALU_DEP_1)
	v_cndmask_b32_e64 v2, v0, v2, s0
	v_add_co_u32 v0, s0, s4, v4
	v_add_co_ci_u32_e64 v1, s0, s5, v1, s0
	s_cbranch_vccnz .LBB400_1641
; %bb.1564:
	v_cmp_lt_i16_e32 vcc_lo, 25, v6
	s_mov_b32 s7, -1
	s_mov_b32 s2, 0
	s_mov_b32 s6, 0
	;; [unrolled: 1-line block ×3, first 2 shown]
	s_cbranch_vccz .LBB400_1597
; %bb.1565:
	v_cmp_lt_i16_e32 vcc_lo, 28, v6
	s_cbranch_vccz .LBB400_1580
; %bb.1566:
	v_cmp_lt_i16_e32 vcc_lo, 43, v6
	;; [unrolled: 3-line block ×3, first 2 shown]
	s_cbranch_vccz .LBB400_1570
; %bb.1568:
	v_cmp_eq_u16_e32 vcc_lo, 46, v6
	s_mov_b32 s0, -1
	s_mov_b32 s7, 0
	s_cbranch_vccz .LBB400_1570
; %bb.1569:
	v_bfe_u32 v3, v2, 16, 1
	v_cmp_o_f32_e32 vcc_lo, v2, v2
	s_mov_b32 s0, 0
	s_mov_b32 s6, -1
	s_delay_alu instid0(VALU_DEP_2) | instskip(NEXT) | instid1(VALU_DEP_1)
	v_add3_u32 v3, v2, v3, 0x7fff
	v_lshrrev_b32_e32 v3, 16, v3
	s_delay_alu instid0(VALU_DEP_1)
	v_cndmask_b32_e32 v3, 0x7fc0, v3, vcc_lo
	global_store_b32 v[0:1], v3, off
.LBB400_1570:
	s_and_b32 vcc_lo, exec_lo, s7
	s_cbranch_vccz .LBB400_1575
; %bb.1571:
	v_cmp_eq_u16_e32 vcc_lo, 44, v6
	s_mov_b32 s0, -1
	s_cbranch_vccz .LBB400_1575
; %bb.1572:
	v_bfe_u32 v10, v2, 23, 8
	v_mov_b32_e32 v3, 0xff
	s_mov_b32 s6, exec_lo
	s_delay_alu instid0(VALU_DEP_2)
	v_cmpx_ne_u32_e32 0xff, v10
; %bb.1573:
	v_and_b32_e32 v3, 0x400000, v2
	v_and_or_b32 v10, 0x3fffff, v2, v10
	s_delay_alu instid0(VALU_DEP_2) | instskip(NEXT) | instid1(VALU_DEP_2)
	v_cmp_ne_u32_e32 vcc_lo, 0, v3
	v_cmp_ne_u32_e64 s0, 0, v10
	v_lshrrev_b32_e32 v3, 23, v2
	s_delay_alu instid0(VALU_DEP_2) | instskip(NEXT) | instid1(SALU_CYCLE_1)
	s_and_b32 s0, vcc_lo, s0
	v_cndmask_b32_e64 v10, 0, 1, s0
	s_delay_alu instid0(VALU_DEP_1)
	v_add_nc_u32_e32 v3, v3, v10
; %bb.1574:
	s_or_b32 exec_lo, exec_lo, s6
	s_mov_b32 s0, 0
	s_mov_b32 s6, -1
	global_store_b8 v[0:1], v3, off
.LBB400_1575:
	s_mov_b32 s7, 0
.LBB400_1576:
	s_delay_alu instid0(SALU_CYCLE_1)
	s_and_b32 vcc_lo, exec_lo, s7
	s_cbranch_vccz .LBB400_1579
; %bb.1577:
	v_cmp_eq_u16_e32 vcc_lo, 29, v6
	s_mov_b32 s0, -1
	s_cbranch_vccz .LBB400_1579
; %bb.1578:
	v_trunc_f32_e32 v3, v2
	s_mov_b32 s0, 0
	s_mov_b32 s6, -1
	s_delay_alu instid0(VALU_DEP_1) | instskip(NEXT) | instid1(VALU_DEP_1)
	v_mul_f32_e32 v10, 0x2f800000, v3
	v_floor_f32_e32 v10, v10
	s_delay_alu instid0(VALU_DEP_1) | instskip(SKIP_1) | instid1(VALU_DEP_2)
	v_fmamk_f32 v3, v10, 0xcf800000, v3
	v_cvt_u32_f32_e32 v11, v10
	v_cvt_u32_f32_e32 v10, v3
	global_store_b64 v[0:1], v[10:11], off
.LBB400_1579:
	s_mov_b32 s7, 0
.LBB400_1580:
	s_delay_alu instid0(SALU_CYCLE_1)
	s_and_b32 vcc_lo, exec_lo, s7
	s_cbranch_vccz .LBB400_1596
; %bb.1581:
	v_cmp_gt_i16_e32 vcc_lo, 27, v6
	s_mov_b32 s6, -1
	s_cbranch_vccnz .LBB400_1587
; %bb.1582:
	v_cmp_lt_i16_e32 vcc_lo, 27, v6
	v_cvt_u32_f32_e32 v3, v2
	s_cbranch_vccz .LBB400_1584
; %bb.1583:
	s_mov_b32 s6, 0
	global_store_b32 v[0:1], v3, off
.LBB400_1584:
	s_and_not1_b32 vcc_lo, exec_lo, s6
	s_cbranch_vccnz .LBB400_1586
; %bb.1585:
	global_store_b16 v[0:1], v3, off
.LBB400_1586:
	s_mov_b32 s6, 0
.LBB400_1587:
	s_delay_alu instid0(SALU_CYCLE_1)
	s_and_not1_b32 vcc_lo, exec_lo, s6
	s_cbranch_vccnz .LBB400_1595
; %bb.1588:
	v_and_b32_e32 v3, 0x7fffffff, v2
	v_mov_b32_e32 v10, 0x80
	s_mov_b32 s6, exec_lo
	s_delay_alu instid0(VALU_DEP_2)
	v_cmpx_gt_u32_e32 0x43800000, v3
	s_cbranch_execz .LBB400_1594
; %bb.1589:
	v_cmp_lt_u32_e32 vcc_lo, 0x3bffffff, v3
	s_mov_b32 s7, 0
                                        ; implicit-def: $vgpr3
	s_and_saveexec_b32 s9, vcc_lo
	s_delay_alu instid0(SALU_CYCLE_1)
	s_xor_b32 s9, exec_lo, s9
	s_cbranch_execz .LBB400_2044
; %bb.1590:
	v_bfe_u32 v3, v2, 20, 1
	s_mov_b32 s7, exec_lo
	s_delay_alu instid0(VALU_DEP_1) | instskip(NEXT) | instid1(VALU_DEP_1)
	v_add3_u32 v3, v2, v3, 0x487ffff
	v_lshrrev_b32_e32 v3, 20, v3
	s_or_saveexec_b32 s9, s9
                                        ; implicit-def: $sgpr10
	s_delay_alu instid0(SALU_CYCLE_1)
	s_xor_b32 exec_lo, exec_lo, s9
	s_cbranch_execnz .LBB400_2045
.LBB400_1591:
	s_or_b32 exec_lo, exec_lo, s9
	v_mov_b32_e32 v10, s10
	s_and_saveexec_b32 s9, s7
.LBB400_1592:
	v_lshrrev_b32_e32 v10, 24, v2
	s_delay_alu instid0(VALU_DEP_1)
	v_and_or_b32 v10, 0x80, v10, v3
.LBB400_1593:
	s_or_b32 exec_lo, exec_lo, s9
.LBB400_1594:
	s_delay_alu instid0(SALU_CYCLE_1)
	s_or_b32 exec_lo, exec_lo, s6
	global_store_b8 v[0:1], v10, off
.LBB400_1595:
	s_mov_b32 s6, -1
.LBB400_1596:
	s_mov_b32 s7, 0
.LBB400_1597:
	s_delay_alu instid0(SALU_CYCLE_1)
	s_and_b32 vcc_lo, exec_lo, s7
	s_cbranch_vccz .LBB400_1637
; %bb.1598:
	v_cmp_lt_i16_e32 vcc_lo, 22, v6
	s_mov_b32 s2, -1
	s_cbranch_vccz .LBB400_1630
; %bb.1599:
	v_cmp_gt_i16_e32 vcc_lo, 24, v6
	s_cbranch_vccnz .LBB400_1619
; %bb.1600:
	v_cmp_lt_i16_e32 vcc_lo, 24, v6
	s_cbranch_vccz .LBB400_1608
; %bb.1601:
	v_and_b32_e32 v3, 0x7fffffff, v2
	v_mov_b32_e32 v10, 0x80
	s_mov_b32 s2, exec_lo
	s_delay_alu instid0(VALU_DEP_2)
	v_cmpx_gt_u32_e32 0x47800000, v3
	s_cbranch_execz .LBB400_1607
; %bb.1602:
	v_cmp_lt_u32_e32 vcc_lo, 0x37ffffff, v3
	s_mov_b32 s6, 0
                                        ; implicit-def: $vgpr3
	s_and_saveexec_b32 s7, vcc_lo
	s_delay_alu instid0(SALU_CYCLE_1)
	s_xor_b32 s7, exec_lo, s7
	s_cbranch_execz .LBB400_2050
; %bb.1603:
	v_bfe_u32 v3, v2, 21, 1
	s_mov_b32 s6, exec_lo
	s_delay_alu instid0(VALU_DEP_1) | instskip(NEXT) | instid1(VALU_DEP_1)
	v_add3_u32 v3, v2, v3, 0x88fffff
	v_lshrrev_b32_e32 v3, 21, v3
	s_or_saveexec_b32 s7, s7
                                        ; implicit-def: $sgpr9
	s_delay_alu instid0(SALU_CYCLE_1)
	s_xor_b32 exec_lo, exec_lo, s7
	s_cbranch_execnz .LBB400_2051
.LBB400_1604:
	s_or_b32 exec_lo, exec_lo, s7
	v_mov_b32_e32 v10, s9
	s_and_saveexec_b32 s7, s6
.LBB400_1605:
	v_lshrrev_b32_e32 v10, 24, v2
	s_delay_alu instid0(VALU_DEP_1)
	v_and_or_b32 v10, 0x80, v10, v3
.LBB400_1606:
	s_or_b32 exec_lo, exec_lo, s7
.LBB400_1607:
	s_delay_alu instid0(SALU_CYCLE_1)
	s_or_b32 exec_lo, exec_lo, s2
	s_mov_b32 s2, 0
	global_store_b8 v[0:1], v10, off
.LBB400_1608:
	s_and_b32 vcc_lo, exec_lo, s2
	s_cbranch_vccz .LBB400_1618
; %bb.1609:
	v_and_b32_e32 v10, 0x7fffffff, v2
	s_mov_b32 s2, exec_lo
                                        ; implicit-def: $vgpr3
	s_delay_alu instid0(VALU_DEP_1)
	v_cmpx_gt_u32_e32 0x43f00000, v10
	s_xor_b32 s2, exec_lo, s2
	s_cbranch_execz .LBB400_1615
; %bb.1610:
	s_mov_b32 s6, exec_lo
                                        ; implicit-def: $vgpr3
	v_cmpx_lt_u32_e32 0x3c7fffff, v10
	s_xor_b32 s6, exec_lo, s6
; %bb.1611:
	v_bfe_u32 v3, v2, 20, 1
	s_delay_alu instid0(VALU_DEP_1) | instskip(NEXT) | instid1(VALU_DEP_1)
	v_add3_u32 v3, v2, v3, 0x407ffff
	v_and_b32_e32 v10, 0xff00000, v3
	v_lshrrev_b32_e32 v3, 20, v3
	s_delay_alu instid0(VALU_DEP_2) | instskip(NEXT) | instid1(VALU_DEP_2)
	v_cmp_ne_u32_e32 vcc_lo, 0x7f00000, v10
	v_cndmask_b32_e32 v3, 0x7e, v3, vcc_lo
; %bb.1612:
	s_and_not1_saveexec_b32 s6, s6
; %bb.1613:
	v_add_f32_e64 v3, 0x46800000, |v2|
; %bb.1614:
	s_or_b32 exec_lo, exec_lo, s6
                                        ; implicit-def: $vgpr10
.LBB400_1615:
	s_and_not1_saveexec_b32 s2, s2
; %bb.1616:
	v_mov_b32_e32 v3, 0x7f
	v_cmp_lt_u32_e32 vcc_lo, 0x7f800000, v10
	s_delay_alu instid0(VALU_DEP_2)
	v_cndmask_b32_e32 v3, 0x7e, v3, vcc_lo
; %bb.1617:
	s_or_b32 exec_lo, exec_lo, s2
	v_lshrrev_b32_e32 v10, 24, v2
	s_delay_alu instid0(VALU_DEP_1)
	v_and_or_b32 v3, 0x80, v10, v3
	global_store_b8 v[0:1], v3, off
.LBB400_1618:
	s_mov_b32 s2, 0
.LBB400_1619:
	s_delay_alu instid0(SALU_CYCLE_1)
	s_and_not1_b32 vcc_lo, exec_lo, s2
	s_cbranch_vccnz .LBB400_1629
; %bb.1620:
	v_and_b32_e32 v10, 0x7fffffff, v2
	s_mov_b32 s2, exec_lo
                                        ; implicit-def: $vgpr3
	s_delay_alu instid0(VALU_DEP_1)
	v_cmpx_gt_u32_e32 0x47800000, v10
	s_xor_b32 s2, exec_lo, s2
	s_cbranch_execz .LBB400_1626
; %bb.1621:
	s_mov_b32 s6, exec_lo
                                        ; implicit-def: $vgpr3
	v_cmpx_lt_u32_e32 0x387fffff, v10
	s_xor_b32 s6, exec_lo, s6
; %bb.1622:
	v_bfe_u32 v3, v2, 21, 1
	s_delay_alu instid0(VALU_DEP_1) | instskip(NEXT) | instid1(VALU_DEP_1)
	v_add3_u32 v3, v2, v3, 0x80fffff
	v_lshrrev_b32_e32 v3, 21, v3
; %bb.1623:
	s_and_not1_saveexec_b32 s6, s6
; %bb.1624:
	v_add_f32_e64 v3, 0x43000000, |v2|
; %bb.1625:
	s_or_b32 exec_lo, exec_lo, s6
                                        ; implicit-def: $vgpr10
.LBB400_1626:
	s_and_not1_saveexec_b32 s2, s2
; %bb.1627:
	v_mov_b32_e32 v3, 0x7f
	v_cmp_lt_u32_e32 vcc_lo, 0x7f800000, v10
	s_delay_alu instid0(VALU_DEP_2)
	v_cndmask_b32_e32 v3, 0x7c, v3, vcc_lo
; %bb.1628:
	s_or_b32 exec_lo, exec_lo, s2
	v_lshrrev_b32_e32 v10, 24, v2
	s_delay_alu instid0(VALU_DEP_1)
	v_and_or_b32 v3, 0x80, v10, v3
	global_store_b8 v[0:1], v3, off
.LBB400_1629:
	s_mov_b32 s2, 0
	s_mov_b32 s6, -1
.LBB400_1630:
	s_and_not1_b32 vcc_lo, exec_lo, s2
	s_mov_b32 s2, 0
	s_cbranch_vccnz .LBB400_1637
; %bb.1631:
	v_cmp_lt_i16_e32 vcc_lo, 14, v6
	s_mov_b32 s2, -1
	s_cbranch_vccz .LBB400_1635
; %bb.1632:
	v_cmp_eq_u16_e32 vcc_lo, 15, v6
	s_mov_b32 s0, -1
	s_cbranch_vccz .LBB400_1634
; %bb.1633:
	v_bfe_u32 v3, v2, 16, 1
	v_cmp_o_f32_e32 vcc_lo, v2, v2
	s_mov_b32 s0, 0
	s_mov_b32 s6, -1
	s_delay_alu instid0(VALU_DEP_2) | instskip(NEXT) | instid1(VALU_DEP_1)
	v_add3_u32 v3, v2, v3, 0x7fff
	v_lshrrev_b32_e32 v3, 16, v3
	s_delay_alu instid0(VALU_DEP_1)
	v_cndmask_b32_e32 v3, 0x7fc0, v3, vcc_lo
	global_store_b16 v[0:1], v3, off
.LBB400_1634:
	s_mov_b32 s2, 0
.LBB400_1635:
	s_delay_alu instid0(SALU_CYCLE_1)
	s_and_b32 vcc_lo, exec_lo, s2
	s_mov_b32 s2, 0
	s_cbranch_vccz .LBB400_1637
; %bb.1636:
	v_cmp_ne_u16_e64 s0, 11, v6
	s_mov_b32 s2, -1
.LBB400_1637:
	s_delay_alu instid0(VALU_DEP_1)
	s_and_b32 vcc_lo, exec_lo, s0
	s_cbranch_vccnz .LBB400_2048
; %bb.1638:
	s_and_not1_b32 vcc_lo, exec_lo, s2
	s_cbranch_vccnz .LBB400_1640
.LBB400_1639:
	v_cmp_neq_f32_e32 vcc_lo, 0, v2
	s_mov_b32 s6, -1
	v_cndmask_b32_e64 v3, 0, 1, vcc_lo
	global_store_b8 v[0:1], v3, off
.LBB400_1640:
	s_mov_b32 s0, 0
	s_branch .LBB400_1642
.LBB400_1641:
	s_mov_b32 s0, -1
	s_mov_b32 s6, 0
.LBB400_1642:
	s_and_b32 vcc_lo, exec_lo, s0
	s_cbranch_vccz .LBB400_1681
; %bb.1643:
	v_cmp_gt_i16_e32 vcc_lo, 5, v6
	s_mov_b32 s0, -1
	s_cbranch_vccnz .LBB400_1664
; %bb.1644:
	v_cmp_gt_i16_e32 vcc_lo, 8, v6
	s_cbranch_vccnz .LBB400_1654
; %bb.1645:
	v_cmp_gt_i16_e32 vcc_lo, 9, v6
	s_cbranch_vccnz .LBB400_1651
; %bb.1646:
	v_cmp_lt_i16_e32 vcc_lo, 9, v6
	s_cbranch_vccz .LBB400_1648
; %bb.1647:
	v_cvt_f64_f32_e32 v[10:11], v2
	v_mov_b32_e32 v12, 0
	s_mov_b32 s0, 0
	s_delay_alu instid0(VALU_DEP_1)
	v_mov_b32_e32 v13, v12
	global_store_b128 v[0:1], v[10:13], off
.LBB400_1648:
	s_and_not1_b32 vcc_lo, exec_lo, s0
	s_cbranch_vccnz .LBB400_1650
; %bb.1649:
	v_mov_b32_e32 v3, 0
	global_store_b64 v[0:1], v[2:3], off
.LBB400_1650:
	s_mov_b32 s0, 0
.LBB400_1651:
	s_delay_alu instid0(SALU_CYCLE_1)
	s_and_not1_b32 vcc_lo, exec_lo, s0
	s_cbranch_vccnz .LBB400_1653
; %bb.1652:
	v_cvt_f16_f32_e32 v3, v2
	s_delay_alu instid0(VALU_DEP_1)
	v_and_b32_e32 v3, 0xffff, v3
	global_store_b32 v[0:1], v3, off
.LBB400_1653:
	s_mov_b32 s0, 0
.LBB400_1654:
	s_delay_alu instid0(SALU_CYCLE_1)
	s_and_not1_b32 vcc_lo, exec_lo, s0
	s_cbranch_vccnz .LBB400_1663
; %bb.1655:
	v_cmp_gt_i16_e32 vcc_lo, 6, v6
	s_mov_b32 s0, -1
	s_cbranch_vccnz .LBB400_1661
; %bb.1656:
	v_cmp_lt_i16_e32 vcc_lo, 6, v6
	s_cbranch_vccz .LBB400_1658
; %bb.1657:
	v_cvt_f64_f32_e32 v[10:11], v2
	s_mov_b32 s0, 0
	global_store_b64 v[0:1], v[10:11], off
.LBB400_1658:
	s_and_not1_b32 vcc_lo, exec_lo, s0
	s_cbranch_vccnz .LBB400_1660
; %bb.1659:
	global_store_b32 v[0:1], v2, off
.LBB400_1660:
	s_mov_b32 s0, 0
.LBB400_1661:
	s_delay_alu instid0(SALU_CYCLE_1)
	s_and_not1_b32 vcc_lo, exec_lo, s0
	s_cbranch_vccnz .LBB400_1663
; %bb.1662:
	v_cvt_f16_f32_e32 v3, v2
	global_store_b16 v[0:1], v3, off
.LBB400_1663:
	s_mov_b32 s0, 0
.LBB400_1664:
	s_delay_alu instid0(SALU_CYCLE_1)
	s_and_not1_b32 vcc_lo, exec_lo, s0
	s_cbranch_vccnz .LBB400_1680
; %bb.1665:
	v_cmp_gt_i16_e32 vcc_lo, 2, v6
	s_mov_b32 s0, -1
	s_cbranch_vccnz .LBB400_1675
; %bb.1666:
	v_cmp_gt_i16_e32 vcc_lo, 3, v6
	s_cbranch_vccnz .LBB400_1672
; %bb.1667:
	v_cmp_lt_i16_e32 vcc_lo, 3, v6
	s_cbranch_vccz .LBB400_1669
; %bb.1668:
	v_trunc_f32_e32 v3, v2
	s_mov_b32 s0, 0
	s_delay_alu instid0(VALU_DEP_1) | instskip(NEXT) | instid1(VALU_DEP_1)
	v_mul_f32_e64 v10, 0x2f800000, |v3|
	v_floor_f32_e32 v10, v10
	s_delay_alu instid0(VALU_DEP_1) | instskip(SKIP_2) | instid1(VALU_DEP_3)
	v_fma_f32 v11, 0xcf800000, v10, |v3|
	v_ashrrev_i32_e32 v3, 31, v3
	v_cvt_u32_f32_e32 v10, v10
	v_cvt_u32_f32_e32 v11, v11
	s_delay_alu instid0(VALU_DEP_2) | instskip(NEXT) | instid1(VALU_DEP_2)
	v_xor_b32_e32 v12, v10, v3
	v_xor_b32_e32 v11, v11, v3
	s_delay_alu instid0(VALU_DEP_1) | instskip(NEXT) | instid1(VALU_DEP_3)
	v_sub_co_u32 v10, vcc_lo, v11, v3
	v_sub_co_ci_u32_e32 v11, vcc_lo, v12, v3, vcc_lo
	global_store_b64 v[0:1], v[10:11], off
.LBB400_1669:
	s_and_not1_b32 vcc_lo, exec_lo, s0
	s_cbranch_vccnz .LBB400_1671
; %bb.1670:
	v_cvt_i32_f32_e32 v3, v2
	global_store_b32 v[0:1], v3, off
.LBB400_1671:
	s_mov_b32 s0, 0
.LBB400_1672:
	s_delay_alu instid0(SALU_CYCLE_1)
	s_and_not1_b32 vcc_lo, exec_lo, s0
	s_cbranch_vccnz .LBB400_1674
; %bb.1673:
	v_cvt_i32_f32_e32 v3, v2
	global_store_b16 v[0:1], v3, off
.LBB400_1674:
	s_mov_b32 s0, 0
.LBB400_1675:
	s_delay_alu instid0(SALU_CYCLE_1)
	s_and_not1_b32 vcc_lo, exec_lo, s0
	s_cbranch_vccnz .LBB400_1680
; %bb.1676:
	v_cmp_lt_i16_e32 vcc_lo, 0, v6
	s_mov_b32 s0, -1
	s_cbranch_vccz .LBB400_1678
; %bb.1677:
	v_cvt_i32_f32_e32 v3, v2
	s_mov_b32 s0, 0
	global_store_b8 v[0:1], v3, off
.LBB400_1678:
	s_and_not1_b32 vcc_lo, exec_lo, s0
	s_cbranch_vccnz .LBB400_1680
; %bb.1679:
	v_trunc_f32_e32 v2, v2
	s_delay_alu instid0(VALU_DEP_1) | instskip(NEXT) | instid1(VALU_DEP_1)
	v_mul_f32_e64 v3, 0x2f800000, |v2|
	v_floor_f32_e32 v3, v3
	s_delay_alu instid0(VALU_DEP_1) | instskip(SKIP_1) | instid1(VALU_DEP_2)
	v_fma_f32 v3, 0xcf800000, v3, |v2|
	v_ashrrev_i32_e32 v2, 31, v2
	v_cvt_u32_f32_e32 v3, v3
	s_delay_alu instid0(VALU_DEP_1) | instskip(NEXT) | instid1(VALU_DEP_1)
	v_xor_b32_e32 v3, v3, v2
	v_sub_nc_u32_e32 v2, v3, v2
	global_store_b8 v[0:1], v2, off
.LBB400_1680:
	s_mov_b32 s6, -1
.LBB400_1681:
	s_delay_alu instid0(SALU_CYCLE_1)
	s_and_not1_b32 vcc_lo, exec_lo, s6
	s_cbranch_vccnz .LBB400_1996
; %bb.1682:
	v_max_f32_e32 v0, v7, v7
	s_lshl_b32 s2, s8, 7
	v_cmp_u_f32_e64 s0, v7, v7
	v_add_nc_u32_e32 v4, s2, v4
	v_cmp_gt_i16_e32 vcc_lo, 11, v6
	v_max_f32_e32 v0, v0, v5
	s_delay_alu instid0(VALU_DEP_3) | instskip(NEXT) | instid1(VALU_DEP_2)
	v_ashrrev_i32_e32 v1, 31, v4
	v_cndmask_b32_e64 v2, v0, v7, s0
	v_add_co_u32 v0, s0, s4, v4
	s_delay_alu instid0(VALU_DEP_1)
	v_add_co_ci_u32_e64 v1, s0, s5, v1, s0
	s_cbranch_vccnz .LBB400_1760
; %bb.1683:
	v_cmp_lt_i16_e32 vcc_lo, 25, v6
	s_mov_b32 s8, -1
	s_mov_b32 s6, 0
	s_mov_b32 s7, 0
	;; [unrolled: 1-line block ×3, first 2 shown]
	s_cbranch_vccz .LBB400_1716
; %bb.1684:
	v_cmp_lt_i16_e32 vcc_lo, 28, v6
	s_cbranch_vccz .LBB400_1699
; %bb.1685:
	v_cmp_lt_i16_e32 vcc_lo, 43, v6
	;; [unrolled: 3-line block ×3, first 2 shown]
	s_cbranch_vccz .LBB400_1689
; %bb.1687:
	v_cmp_eq_u16_e32 vcc_lo, 46, v6
	s_mov_b32 s0, -1
	s_mov_b32 s8, 0
	s_cbranch_vccz .LBB400_1689
; %bb.1688:
	v_bfe_u32 v3, v2, 16, 1
	v_cmp_o_f32_e32 vcc_lo, v2, v2
	s_mov_b32 s0, 0
	s_mov_b32 s7, -1
	s_delay_alu instid0(VALU_DEP_2) | instskip(NEXT) | instid1(VALU_DEP_1)
	v_add3_u32 v3, v2, v3, 0x7fff
	v_lshrrev_b32_e32 v3, 16, v3
	s_delay_alu instid0(VALU_DEP_1)
	v_cndmask_b32_e32 v3, 0x7fc0, v3, vcc_lo
	global_store_b32 v[0:1], v3, off
.LBB400_1689:
	s_and_b32 vcc_lo, exec_lo, s8
	s_cbranch_vccz .LBB400_1694
; %bb.1690:
	v_cmp_eq_u16_e32 vcc_lo, 44, v6
	s_mov_b32 s0, -1
	s_cbranch_vccz .LBB400_1694
; %bb.1691:
	v_bfe_u32 v7, v2, 23, 8
	v_mov_b32_e32 v3, 0xff
	s_mov_b32 s7, exec_lo
	s_delay_alu instid0(VALU_DEP_2)
	v_cmpx_ne_u32_e32 0xff, v7
; %bb.1692:
	v_and_b32_e32 v3, 0x400000, v2
	v_and_or_b32 v7, 0x3fffff, v2, v7
	s_delay_alu instid0(VALU_DEP_2) | instskip(NEXT) | instid1(VALU_DEP_2)
	v_cmp_ne_u32_e32 vcc_lo, 0, v3
	v_cmp_ne_u32_e64 s0, 0, v7
	v_lshrrev_b32_e32 v3, 23, v2
	s_delay_alu instid0(VALU_DEP_2) | instskip(NEXT) | instid1(SALU_CYCLE_1)
	s_and_b32 s0, vcc_lo, s0
	v_cndmask_b32_e64 v7, 0, 1, s0
	s_delay_alu instid0(VALU_DEP_1)
	v_add_nc_u32_e32 v3, v3, v7
; %bb.1693:
	s_or_b32 exec_lo, exec_lo, s7
	s_mov_b32 s0, 0
	s_mov_b32 s7, -1
	global_store_b8 v[0:1], v3, off
.LBB400_1694:
	s_mov_b32 s8, 0
.LBB400_1695:
	s_delay_alu instid0(SALU_CYCLE_1)
	s_and_b32 vcc_lo, exec_lo, s8
	s_cbranch_vccz .LBB400_1698
; %bb.1696:
	v_cmp_eq_u16_e32 vcc_lo, 29, v6
	s_mov_b32 s0, -1
	s_cbranch_vccz .LBB400_1698
; %bb.1697:
	v_trunc_f32_e32 v3, v2
	s_mov_b32 s0, 0
	s_mov_b32 s7, -1
	s_delay_alu instid0(VALU_DEP_1) | instskip(NEXT) | instid1(VALU_DEP_1)
	v_mul_f32_e32 v7, 0x2f800000, v3
	v_floor_f32_e32 v7, v7
	s_delay_alu instid0(VALU_DEP_1) | instskip(SKIP_1) | instid1(VALU_DEP_2)
	v_fmamk_f32 v3, v7, 0xcf800000, v3
	v_cvt_u32_f32_e32 v11, v7
	v_cvt_u32_f32_e32 v10, v3
	global_store_b64 v[0:1], v[10:11], off
.LBB400_1698:
	s_mov_b32 s8, 0
.LBB400_1699:
	s_delay_alu instid0(SALU_CYCLE_1)
	s_and_b32 vcc_lo, exec_lo, s8
	s_cbranch_vccz .LBB400_1715
; %bb.1700:
	v_cmp_gt_i16_e32 vcc_lo, 27, v6
	s_mov_b32 s7, -1
	s_cbranch_vccnz .LBB400_1706
; %bb.1701:
	v_cmp_lt_i16_e32 vcc_lo, 27, v6
	v_cvt_u32_f32_e32 v3, v2
	s_cbranch_vccz .LBB400_1703
; %bb.1702:
	s_mov_b32 s7, 0
	global_store_b32 v[0:1], v3, off
.LBB400_1703:
	s_and_not1_b32 vcc_lo, exec_lo, s7
	s_cbranch_vccnz .LBB400_1705
; %bb.1704:
	global_store_b16 v[0:1], v3, off
.LBB400_1705:
	s_mov_b32 s7, 0
.LBB400_1706:
	s_delay_alu instid0(SALU_CYCLE_1)
	s_and_not1_b32 vcc_lo, exec_lo, s7
	s_cbranch_vccnz .LBB400_1714
; %bb.1707:
	v_and_b32_e32 v3, 0x7fffffff, v2
	v_mov_b32_e32 v7, 0x80
	s_mov_b32 s7, exec_lo
	s_delay_alu instid0(VALU_DEP_2)
	v_cmpx_gt_u32_e32 0x43800000, v3
	s_cbranch_execz .LBB400_1713
; %bb.1708:
	v_cmp_lt_u32_e32 vcc_lo, 0x3bffffff, v3
	s_mov_b32 s8, 0
                                        ; implicit-def: $vgpr3
	s_and_saveexec_b32 s9, vcc_lo
	s_delay_alu instid0(SALU_CYCLE_1)
	s_xor_b32 s9, exec_lo, s9
	s_cbranch_execz .LBB400_2052
; %bb.1709:
	v_bfe_u32 v3, v2, 20, 1
	s_mov_b32 s8, exec_lo
	s_delay_alu instid0(VALU_DEP_1) | instskip(NEXT) | instid1(VALU_DEP_1)
	v_add3_u32 v3, v2, v3, 0x487ffff
	v_lshrrev_b32_e32 v3, 20, v3
	s_or_saveexec_b32 s9, s9
                                        ; implicit-def: $sgpr10
	s_delay_alu instid0(SALU_CYCLE_1)
	s_xor_b32 exec_lo, exec_lo, s9
	s_cbranch_execnz .LBB400_2053
.LBB400_1710:
	s_or_b32 exec_lo, exec_lo, s9
	v_mov_b32_e32 v7, s10
	s_and_saveexec_b32 s9, s8
.LBB400_1711:
	v_lshrrev_b32_e32 v7, 24, v2
	s_delay_alu instid0(VALU_DEP_1)
	v_and_or_b32 v7, 0x80, v7, v3
.LBB400_1712:
	s_or_b32 exec_lo, exec_lo, s9
.LBB400_1713:
	s_delay_alu instid0(SALU_CYCLE_1)
	s_or_b32 exec_lo, exec_lo, s7
	global_store_b8 v[0:1], v7, off
.LBB400_1714:
	s_mov_b32 s7, -1
.LBB400_1715:
	s_mov_b32 s8, 0
.LBB400_1716:
	s_delay_alu instid0(SALU_CYCLE_1)
	s_and_b32 vcc_lo, exec_lo, s8
	s_cbranch_vccz .LBB400_1756
; %bb.1717:
	v_cmp_lt_i16_e32 vcc_lo, 22, v6
	s_mov_b32 s6, -1
	s_cbranch_vccz .LBB400_1749
; %bb.1718:
	v_cmp_gt_i16_e32 vcc_lo, 24, v6
	s_cbranch_vccnz .LBB400_1738
; %bb.1719:
	v_cmp_lt_i16_e32 vcc_lo, 24, v6
	s_cbranch_vccz .LBB400_1727
; %bb.1720:
	v_and_b32_e32 v3, 0x7fffffff, v2
	v_mov_b32_e32 v7, 0x80
	s_mov_b32 s6, exec_lo
	s_delay_alu instid0(VALU_DEP_2)
	v_cmpx_gt_u32_e32 0x47800000, v3
	s_cbranch_execz .LBB400_1726
; %bb.1721:
	v_cmp_lt_u32_e32 vcc_lo, 0x37ffffff, v3
	s_mov_b32 s7, 0
                                        ; implicit-def: $vgpr3
	s_and_saveexec_b32 s8, vcc_lo
	s_delay_alu instid0(SALU_CYCLE_1)
	s_xor_b32 s8, exec_lo, s8
	s_cbranch_execz .LBB400_2058
; %bb.1722:
	v_bfe_u32 v3, v2, 21, 1
	s_mov_b32 s7, exec_lo
	s_delay_alu instid0(VALU_DEP_1) | instskip(NEXT) | instid1(VALU_DEP_1)
	v_add3_u32 v3, v2, v3, 0x88fffff
	v_lshrrev_b32_e32 v3, 21, v3
	s_or_saveexec_b32 s8, s8
                                        ; implicit-def: $sgpr9
	s_delay_alu instid0(SALU_CYCLE_1)
	s_xor_b32 exec_lo, exec_lo, s8
	s_cbranch_execnz .LBB400_2059
.LBB400_1723:
	s_or_b32 exec_lo, exec_lo, s8
	v_mov_b32_e32 v7, s9
	s_and_saveexec_b32 s8, s7
.LBB400_1724:
	v_lshrrev_b32_e32 v7, 24, v2
	s_delay_alu instid0(VALU_DEP_1)
	v_and_or_b32 v7, 0x80, v7, v3
.LBB400_1725:
	s_or_b32 exec_lo, exec_lo, s8
.LBB400_1726:
	s_delay_alu instid0(SALU_CYCLE_1)
	s_or_b32 exec_lo, exec_lo, s6
	s_mov_b32 s6, 0
	global_store_b8 v[0:1], v7, off
.LBB400_1727:
	s_and_b32 vcc_lo, exec_lo, s6
	s_cbranch_vccz .LBB400_1737
; %bb.1728:
	v_and_b32_e32 v7, 0x7fffffff, v2
	s_mov_b32 s6, exec_lo
                                        ; implicit-def: $vgpr3
	s_delay_alu instid0(VALU_DEP_1)
	v_cmpx_gt_u32_e32 0x43f00000, v7
	s_xor_b32 s6, exec_lo, s6
	s_cbranch_execz .LBB400_1734
; %bb.1729:
	s_mov_b32 s7, exec_lo
                                        ; implicit-def: $vgpr3
	v_cmpx_lt_u32_e32 0x3c7fffff, v7
	s_xor_b32 s7, exec_lo, s7
; %bb.1730:
	v_bfe_u32 v3, v2, 20, 1
	s_delay_alu instid0(VALU_DEP_1) | instskip(NEXT) | instid1(VALU_DEP_1)
	v_add3_u32 v3, v2, v3, 0x407ffff
	v_and_b32_e32 v7, 0xff00000, v3
	v_lshrrev_b32_e32 v3, 20, v3
	s_delay_alu instid0(VALU_DEP_2) | instskip(NEXT) | instid1(VALU_DEP_2)
	v_cmp_ne_u32_e32 vcc_lo, 0x7f00000, v7
	v_cndmask_b32_e32 v3, 0x7e, v3, vcc_lo
; %bb.1731:
	s_and_not1_saveexec_b32 s7, s7
; %bb.1732:
	v_add_f32_e64 v3, 0x46800000, |v2|
; %bb.1733:
	s_or_b32 exec_lo, exec_lo, s7
                                        ; implicit-def: $vgpr7
.LBB400_1734:
	s_and_not1_saveexec_b32 s6, s6
; %bb.1735:
	v_mov_b32_e32 v3, 0x7f
	v_cmp_lt_u32_e32 vcc_lo, 0x7f800000, v7
	s_delay_alu instid0(VALU_DEP_2)
	v_cndmask_b32_e32 v3, 0x7e, v3, vcc_lo
; %bb.1736:
	s_or_b32 exec_lo, exec_lo, s6
	v_lshrrev_b32_e32 v7, 24, v2
	s_delay_alu instid0(VALU_DEP_1)
	v_and_or_b32 v3, 0x80, v7, v3
	global_store_b8 v[0:1], v3, off
.LBB400_1737:
	s_mov_b32 s6, 0
.LBB400_1738:
	s_delay_alu instid0(SALU_CYCLE_1)
	s_and_not1_b32 vcc_lo, exec_lo, s6
	s_cbranch_vccnz .LBB400_1748
; %bb.1739:
	v_and_b32_e32 v7, 0x7fffffff, v2
	s_mov_b32 s6, exec_lo
                                        ; implicit-def: $vgpr3
	s_delay_alu instid0(VALU_DEP_1)
	v_cmpx_gt_u32_e32 0x47800000, v7
	s_xor_b32 s6, exec_lo, s6
	s_cbranch_execz .LBB400_1745
; %bb.1740:
	s_mov_b32 s7, exec_lo
                                        ; implicit-def: $vgpr3
	v_cmpx_lt_u32_e32 0x387fffff, v7
	s_xor_b32 s7, exec_lo, s7
; %bb.1741:
	v_bfe_u32 v3, v2, 21, 1
	s_delay_alu instid0(VALU_DEP_1) | instskip(NEXT) | instid1(VALU_DEP_1)
	v_add3_u32 v3, v2, v3, 0x80fffff
	v_lshrrev_b32_e32 v3, 21, v3
; %bb.1742:
	s_and_not1_saveexec_b32 s7, s7
; %bb.1743:
	v_add_f32_e64 v3, 0x43000000, |v2|
; %bb.1744:
	s_or_b32 exec_lo, exec_lo, s7
                                        ; implicit-def: $vgpr7
.LBB400_1745:
	s_and_not1_saveexec_b32 s6, s6
; %bb.1746:
	v_mov_b32_e32 v3, 0x7f
	v_cmp_lt_u32_e32 vcc_lo, 0x7f800000, v7
	s_delay_alu instid0(VALU_DEP_2)
	v_cndmask_b32_e32 v3, 0x7c, v3, vcc_lo
; %bb.1747:
	s_or_b32 exec_lo, exec_lo, s6
	v_lshrrev_b32_e32 v7, 24, v2
	s_delay_alu instid0(VALU_DEP_1)
	v_and_or_b32 v3, 0x80, v7, v3
	global_store_b8 v[0:1], v3, off
.LBB400_1748:
	s_mov_b32 s6, 0
	s_mov_b32 s7, -1
.LBB400_1749:
	s_and_not1_b32 vcc_lo, exec_lo, s6
	s_mov_b32 s6, 0
	s_cbranch_vccnz .LBB400_1756
; %bb.1750:
	v_cmp_lt_i16_e32 vcc_lo, 14, v6
	s_mov_b32 s6, -1
	s_cbranch_vccz .LBB400_1754
; %bb.1751:
	v_cmp_eq_u16_e32 vcc_lo, 15, v6
	s_mov_b32 s0, -1
	s_cbranch_vccz .LBB400_1753
; %bb.1752:
	v_bfe_u32 v3, v2, 16, 1
	v_cmp_o_f32_e32 vcc_lo, v2, v2
	s_mov_b32 s0, 0
	s_mov_b32 s7, -1
	s_delay_alu instid0(VALU_DEP_2) | instskip(NEXT) | instid1(VALU_DEP_1)
	v_add3_u32 v3, v2, v3, 0x7fff
	v_lshrrev_b32_e32 v3, 16, v3
	s_delay_alu instid0(VALU_DEP_1)
	v_cndmask_b32_e32 v3, 0x7fc0, v3, vcc_lo
	global_store_b16 v[0:1], v3, off
.LBB400_1753:
	s_mov_b32 s6, 0
.LBB400_1754:
	s_delay_alu instid0(SALU_CYCLE_1)
	s_and_b32 vcc_lo, exec_lo, s6
	s_mov_b32 s6, 0
	s_cbranch_vccz .LBB400_1756
; %bb.1755:
	v_cmp_ne_u16_e64 s0, 11, v6
	s_mov_b32 s6, -1
.LBB400_1756:
	s_delay_alu instid0(VALU_DEP_1)
	s_and_b32 vcc_lo, exec_lo, s0
	s_cbranch_vccnz .LBB400_2056
; %bb.1757:
	s_and_not1_b32 vcc_lo, exec_lo, s6
	s_cbranch_vccnz .LBB400_1759
.LBB400_1758:
	v_cmp_neq_f32_e32 vcc_lo, 0, v2
	s_mov_b32 s7, -1
	v_cndmask_b32_e64 v3, 0, 1, vcc_lo
	global_store_b8 v[0:1], v3, off
.LBB400_1759:
	s_mov_b32 s0, 0
	s_branch .LBB400_1761
.LBB400_1760:
	s_mov_b32 s0, -1
	s_mov_b32 s7, 0
.LBB400_1761:
	s_and_b32 vcc_lo, exec_lo, s0
	s_cbranch_vccz .LBB400_1800
; %bb.1762:
	v_cmp_gt_i16_e32 vcc_lo, 5, v6
	s_mov_b32 s0, -1
	s_cbranch_vccnz .LBB400_1783
; %bb.1763:
	v_cmp_gt_i16_e32 vcc_lo, 8, v6
	s_cbranch_vccnz .LBB400_1773
; %bb.1764:
	v_cmp_gt_i16_e32 vcc_lo, 9, v6
	s_cbranch_vccnz .LBB400_1770
; %bb.1765:
	v_cmp_lt_i16_e32 vcc_lo, 9, v6
	s_cbranch_vccz .LBB400_1767
; %bb.1766:
	v_cvt_f64_f32_e32 v[10:11], v2
	v_mov_b32_e32 v12, 0
	s_mov_b32 s0, 0
	s_delay_alu instid0(VALU_DEP_1)
	v_mov_b32_e32 v13, v12
	global_store_b128 v[0:1], v[10:13], off
.LBB400_1767:
	s_and_not1_b32 vcc_lo, exec_lo, s0
	s_cbranch_vccnz .LBB400_1769
; %bb.1768:
	v_mov_b32_e32 v3, 0
	global_store_b64 v[0:1], v[2:3], off
.LBB400_1769:
	s_mov_b32 s0, 0
.LBB400_1770:
	s_delay_alu instid0(SALU_CYCLE_1)
	s_and_not1_b32 vcc_lo, exec_lo, s0
	s_cbranch_vccnz .LBB400_1772
; %bb.1771:
	v_cvt_f16_f32_e32 v3, v2
	s_delay_alu instid0(VALU_DEP_1)
	v_and_b32_e32 v3, 0xffff, v3
	global_store_b32 v[0:1], v3, off
.LBB400_1772:
	s_mov_b32 s0, 0
.LBB400_1773:
	s_delay_alu instid0(SALU_CYCLE_1)
	s_and_not1_b32 vcc_lo, exec_lo, s0
	s_cbranch_vccnz .LBB400_1782
; %bb.1774:
	v_cmp_gt_i16_e32 vcc_lo, 6, v6
	s_mov_b32 s0, -1
	s_cbranch_vccnz .LBB400_1780
; %bb.1775:
	v_cmp_lt_i16_e32 vcc_lo, 6, v6
	s_cbranch_vccz .LBB400_1777
; %bb.1776:
	v_cvt_f64_f32_e32 v[10:11], v2
	s_mov_b32 s0, 0
	global_store_b64 v[0:1], v[10:11], off
.LBB400_1777:
	s_and_not1_b32 vcc_lo, exec_lo, s0
	s_cbranch_vccnz .LBB400_1779
; %bb.1778:
	global_store_b32 v[0:1], v2, off
.LBB400_1779:
	s_mov_b32 s0, 0
.LBB400_1780:
	s_delay_alu instid0(SALU_CYCLE_1)
	s_and_not1_b32 vcc_lo, exec_lo, s0
	s_cbranch_vccnz .LBB400_1782
; %bb.1781:
	v_cvt_f16_f32_e32 v3, v2
	global_store_b16 v[0:1], v3, off
.LBB400_1782:
	s_mov_b32 s0, 0
.LBB400_1783:
	s_delay_alu instid0(SALU_CYCLE_1)
	s_and_not1_b32 vcc_lo, exec_lo, s0
	s_cbranch_vccnz .LBB400_1799
; %bb.1784:
	v_cmp_gt_i16_e32 vcc_lo, 2, v6
	s_mov_b32 s0, -1
	s_cbranch_vccnz .LBB400_1794
; %bb.1785:
	v_cmp_gt_i16_e32 vcc_lo, 3, v6
	s_cbranch_vccnz .LBB400_1791
; %bb.1786:
	v_cmp_lt_i16_e32 vcc_lo, 3, v6
	s_cbranch_vccz .LBB400_1788
; %bb.1787:
	v_trunc_f32_e32 v3, v2
	s_mov_b32 s0, 0
	s_delay_alu instid0(VALU_DEP_1) | instskip(NEXT) | instid1(VALU_DEP_1)
	v_mul_f32_e64 v7, 0x2f800000, |v3|
	v_floor_f32_e32 v7, v7
	s_delay_alu instid0(VALU_DEP_1) | instskip(SKIP_2) | instid1(VALU_DEP_3)
	v_fma_f32 v10, 0xcf800000, v7, |v3|
	v_ashrrev_i32_e32 v3, 31, v3
	v_cvt_u32_f32_e32 v7, v7
	v_cvt_u32_f32_e32 v10, v10
	s_delay_alu instid0(VALU_DEP_2) | instskip(NEXT) | instid1(VALU_DEP_2)
	v_xor_b32_e32 v7, v7, v3
	v_xor_b32_e32 v10, v10, v3
	s_delay_alu instid0(VALU_DEP_1) | instskip(NEXT) | instid1(VALU_DEP_3)
	v_sub_co_u32 v10, vcc_lo, v10, v3
	v_sub_co_ci_u32_e32 v11, vcc_lo, v7, v3, vcc_lo
	global_store_b64 v[0:1], v[10:11], off
.LBB400_1788:
	s_and_not1_b32 vcc_lo, exec_lo, s0
	s_cbranch_vccnz .LBB400_1790
; %bb.1789:
	v_cvt_i32_f32_e32 v3, v2
	global_store_b32 v[0:1], v3, off
.LBB400_1790:
	s_mov_b32 s0, 0
.LBB400_1791:
	s_delay_alu instid0(SALU_CYCLE_1)
	s_and_not1_b32 vcc_lo, exec_lo, s0
	s_cbranch_vccnz .LBB400_1793
; %bb.1792:
	v_cvt_i32_f32_e32 v3, v2
	global_store_b16 v[0:1], v3, off
.LBB400_1793:
	s_mov_b32 s0, 0
.LBB400_1794:
	s_delay_alu instid0(SALU_CYCLE_1)
	s_and_not1_b32 vcc_lo, exec_lo, s0
	s_cbranch_vccnz .LBB400_1799
; %bb.1795:
	v_cmp_lt_i16_e32 vcc_lo, 0, v6
	s_mov_b32 s0, -1
	s_cbranch_vccz .LBB400_1797
; %bb.1796:
	v_cvt_i32_f32_e32 v3, v2
	s_mov_b32 s0, 0
	global_store_b8 v[0:1], v3, off
.LBB400_1797:
	s_and_not1_b32 vcc_lo, exec_lo, s0
	s_cbranch_vccnz .LBB400_1799
; %bb.1798:
	v_trunc_f32_e32 v2, v2
	s_delay_alu instid0(VALU_DEP_1) | instskip(NEXT) | instid1(VALU_DEP_1)
	v_mul_f32_e64 v3, 0x2f800000, |v2|
	v_floor_f32_e32 v3, v3
	s_delay_alu instid0(VALU_DEP_1) | instskip(SKIP_1) | instid1(VALU_DEP_2)
	v_fma_f32 v3, 0xcf800000, v3, |v2|
	v_ashrrev_i32_e32 v2, 31, v2
	v_cvt_u32_f32_e32 v3, v3
	s_delay_alu instid0(VALU_DEP_1) | instskip(NEXT) | instid1(VALU_DEP_1)
	v_xor_b32_e32 v3, v3, v2
	v_sub_nc_u32_e32 v2, v3, v2
	global_store_b8 v[0:1], v2, off
.LBB400_1799:
	s_mov_b32 s7, -1
.LBB400_1800:
	s_delay_alu instid0(SALU_CYCLE_1)
	s_and_not1_b32 vcc_lo, exec_lo, s7
	s_cbranch_vccnz .LBB400_1996
; %bb.1801:
	v_max_f32_e32 v0, v8, v8
	v_add_nc_u32_e32 v4, s2, v4
	v_cmp_u_f32_e64 s0, v8, v8
	v_cmp_gt_i16_e32 vcc_lo, 11, v6
	s_delay_alu instid0(VALU_DEP_4) | instskip(NEXT) | instid1(VALU_DEP_4)
	v_max_f32_e32 v0, v0, v5
	v_ashrrev_i32_e32 v1, 31, v4
	s_delay_alu instid0(VALU_DEP_2) | instskip(SKIP_1) | instid1(VALU_DEP_1)
	v_cndmask_b32_e64 v2, v0, v8, s0
	v_add_co_u32 v0, s0, s4, v4
	v_add_co_ci_u32_e64 v1, s0, s5, v1, s0
	s_cbranch_vccnz .LBB400_1879
; %bb.1802:
	v_cmp_lt_i16_e32 vcc_lo, 25, v6
	s_mov_b32 s8, -1
	s_mov_b32 s6, 0
	s_mov_b32 s7, 0
	;; [unrolled: 1-line block ×3, first 2 shown]
	s_cbranch_vccz .LBB400_1835
; %bb.1803:
	v_cmp_lt_i16_e32 vcc_lo, 28, v6
	s_cbranch_vccz .LBB400_1818
; %bb.1804:
	v_cmp_lt_i16_e32 vcc_lo, 43, v6
	;; [unrolled: 3-line block ×3, first 2 shown]
	s_cbranch_vccz .LBB400_1808
; %bb.1806:
	v_cmp_eq_u16_e32 vcc_lo, 46, v6
	s_mov_b32 s0, -1
	s_mov_b32 s8, 0
	s_cbranch_vccz .LBB400_1808
; %bb.1807:
	v_bfe_u32 v3, v2, 16, 1
	v_cmp_o_f32_e32 vcc_lo, v2, v2
	s_mov_b32 s0, 0
	s_mov_b32 s7, -1
	s_delay_alu instid0(VALU_DEP_2) | instskip(NEXT) | instid1(VALU_DEP_1)
	v_add3_u32 v3, v2, v3, 0x7fff
	v_lshrrev_b32_e32 v3, 16, v3
	s_delay_alu instid0(VALU_DEP_1)
	v_cndmask_b32_e32 v3, 0x7fc0, v3, vcc_lo
	global_store_b32 v[0:1], v3, off
.LBB400_1808:
	s_and_b32 vcc_lo, exec_lo, s8
	s_cbranch_vccz .LBB400_1813
; %bb.1809:
	v_cmp_eq_u16_e32 vcc_lo, 44, v6
	s_mov_b32 s0, -1
	s_cbranch_vccz .LBB400_1813
; %bb.1810:
	v_bfe_u32 v7, v2, 23, 8
	v_mov_b32_e32 v3, 0xff
	s_mov_b32 s7, exec_lo
	s_delay_alu instid0(VALU_DEP_2)
	v_cmpx_ne_u32_e32 0xff, v7
; %bb.1811:
	v_and_b32_e32 v3, 0x400000, v2
	v_and_or_b32 v7, 0x3fffff, v2, v7
	s_delay_alu instid0(VALU_DEP_2) | instskip(NEXT) | instid1(VALU_DEP_2)
	v_cmp_ne_u32_e32 vcc_lo, 0, v3
	v_cmp_ne_u32_e64 s0, 0, v7
	v_lshrrev_b32_e32 v3, 23, v2
	s_delay_alu instid0(VALU_DEP_2) | instskip(NEXT) | instid1(SALU_CYCLE_1)
	s_and_b32 s0, vcc_lo, s0
	v_cndmask_b32_e64 v7, 0, 1, s0
	s_delay_alu instid0(VALU_DEP_1)
	v_add_nc_u32_e32 v3, v3, v7
; %bb.1812:
	s_or_b32 exec_lo, exec_lo, s7
	s_mov_b32 s0, 0
	s_mov_b32 s7, -1
	global_store_b8 v[0:1], v3, off
.LBB400_1813:
	s_mov_b32 s8, 0
.LBB400_1814:
	s_delay_alu instid0(SALU_CYCLE_1)
	s_and_b32 vcc_lo, exec_lo, s8
	s_cbranch_vccz .LBB400_1817
; %bb.1815:
	v_cmp_eq_u16_e32 vcc_lo, 29, v6
	s_mov_b32 s0, -1
	s_cbranch_vccz .LBB400_1817
; %bb.1816:
	v_trunc_f32_e32 v3, v2
	s_mov_b32 s0, 0
	s_mov_b32 s7, -1
	s_delay_alu instid0(VALU_DEP_1) | instskip(NEXT) | instid1(VALU_DEP_1)
	v_mul_f32_e32 v7, 0x2f800000, v3
	v_floor_f32_e32 v7, v7
	s_delay_alu instid0(VALU_DEP_1) | instskip(SKIP_1) | instid1(VALU_DEP_2)
	v_fmamk_f32 v3, v7, 0xcf800000, v3
	v_cvt_u32_f32_e32 v8, v7
	v_cvt_u32_f32_e32 v7, v3
	global_store_b64 v[0:1], v[7:8], off
.LBB400_1817:
	s_mov_b32 s8, 0
.LBB400_1818:
	s_delay_alu instid0(SALU_CYCLE_1)
	s_and_b32 vcc_lo, exec_lo, s8
	s_cbranch_vccz .LBB400_1834
; %bb.1819:
	v_cmp_gt_i16_e32 vcc_lo, 27, v6
	s_mov_b32 s7, -1
	s_cbranch_vccnz .LBB400_1825
; %bb.1820:
	v_cmp_lt_i16_e32 vcc_lo, 27, v6
	v_cvt_u32_f32_e32 v3, v2
	s_cbranch_vccz .LBB400_1822
; %bb.1821:
	s_mov_b32 s7, 0
	global_store_b32 v[0:1], v3, off
.LBB400_1822:
	s_and_not1_b32 vcc_lo, exec_lo, s7
	s_cbranch_vccnz .LBB400_1824
; %bb.1823:
	global_store_b16 v[0:1], v3, off
.LBB400_1824:
	s_mov_b32 s7, 0
.LBB400_1825:
	s_delay_alu instid0(SALU_CYCLE_1)
	s_and_not1_b32 vcc_lo, exec_lo, s7
	s_cbranch_vccnz .LBB400_1833
; %bb.1826:
	v_and_b32_e32 v3, 0x7fffffff, v2
	v_mov_b32_e32 v7, 0x80
	s_mov_b32 s7, exec_lo
	s_delay_alu instid0(VALU_DEP_2)
	v_cmpx_gt_u32_e32 0x43800000, v3
	s_cbranch_execz .LBB400_1832
; %bb.1827:
	v_cmp_lt_u32_e32 vcc_lo, 0x3bffffff, v3
	s_mov_b32 s8, 0
                                        ; implicit-def: $vgpr3
	s_and_saveexec_b32 s9, vcc_lo
	s_delay_alu instid0(SALU_CYCLE_1)
	s_xor_b32 s9, exec_lo, s9
	s_cbranch_execz .LBB400_2060
; %bb.1828:
	v_bfe_u32 v3, v2, 20, 1
	s_mov_b32 s8, exec_lo
	s_delay_alu instid0(VALU_DEP_1) | instskip(NEXT) | instid1(VALU_DEP_1)
	v_add3_u32 v3, v2, v3, 0x487ffff
	v_lshrrev_b32_e32 v3, 20, v3
	s_or_saveexec_b32 s9, s9
                                        ; implicit-def: $sgpr10
	s_delay_alu instid0(SALU_CYCLE_1)
	s_xor_b32 exec_lo, exec_lo, s9
	s_cbranch_execnz .LBB400_2061
.LBB400_1829:
	s_or_b32 exec_lo, exec_lo, s9
	v_mov_b32_e32 v7, s10
	s_and_saveexec_b32 s9, s8
.LBB400_1830:
	v_lshrrev_b32_e32 v7, 24, v2
	s_delay_alu instid0(VALU_DEP_1)
	v_and_or_b32 v7, 0x80, v7, v3
.LBB400_1831:
	s_or_b32 exec_lo, exec_lo, s9
.LBB400_1832:
	s_delay_alu instid0(SALU_CYCLE_1)
	s_or_b32 exec_lo, exec_lo, s7
	global_store_b8 v[0:1], v7, off
.LBB400_1833:
	s_mov_b32 s7, -1
.LBB400_1834:
	s_mov_b32 s8, 0
.LBB400_1835:
	s_delay_alu instid0(SALU_CYCLE_1)
	s_and_b32 vcc_lo, exec_lo, s8
	s_cbranch_vccz .LBB400_1875
; %bb.1836:
	v_cmp_lt_i16_e32 vcc_lo, 22, v6
	s_mov_b32 s6, -1
	s_cbranch_vccz .LBB400_1868
; %bb.1837:
	v_cmp_gt_i16_e32 vcc_lo, 24, v6
	s_cbranch_vccnz .LBB400_1857
; %bb.1838:
	v_cmp_lt_i16_e32 vcc_lo, 24, v6
	s_cbranch_vccz .LBB400_1846
; %bb.1839:
	v_and_b32_e32 v3, 0x7fffffff, v2
	v_mov_b32_e32 v7, 0x80
	s_mov_b32 s6, exec_lo
	s_delay_alu instid0(VALU_DEP_2)
	v_cmpx_gt_u32_e32 0x47800000, v3
	s_cbranch_execz .LBB400_1845
; %bb.1840:
	v_cmp_lt_u32_e32 vcc_lo, 0x37ffffff, v3
	s_mov_b32 s7, 0
                                        ; implicit-def: $vgpr3
	s_and_saveexec_b32 s8, vcc_lo
	s_delay_alu instid0(SALU_CYCLE_1)
	s_xor_b32 s8, exec_lo, s8
	s_cbranch_execz .LBB400_2066
; %bb.1841:
	v_bfe_u32 v3, v2, 21, 1
	s_mov_b32 s7, exec_lo
	s_delay_alu instid0(VALU_DEP_1) | instskip(NEXT) | instid1(VALU_DEP_1)
	v_add3_u32 v3, v2, v3, 0x88fffff
	v_lshrrev_b32_e32 v3, 21, v3
	s_or_saveexec_b32 s8, s8
                                        ; implicit-def: $sgpr9
	s_delay_alu instid0(SALU_CYCLE_1)
	s_xor_b32 exec_lo, exec_lo, s8
	s_cbranch_execnz .LBB400_2067
.LBB400_1842:
	s_or_b32 exec_lo, exec_lo, s8
	v_mov_b32_e32 v7, s9
	s_and_saveexec_b32 s8, s7
.LBB400_1843:
	v_lshrrev_b32_e32 v7, 24, v2
	s_delay_alu instid0(VALU_DEP_1)
	v_and_or_b32 v7, 0x80, v7, v3
.LBB400_1844:
	s_or_b32 exec_lo, exec_lo, s8
.LBB400_1845:
	s_delay_alu instid0(SALU_CYCLE_1)
	s_or_b32 exec_lo, exec_lo, s6
	s_mov_b32 s6, 0
	global_store_b8 v[0:1], v7, off
.LBB400_1846:
	s_and_b32 vcc_lo, exec_lo, s6
	s_cbranch_vccz .LBB400_1856
; %bb.1847:
	v_and_b32_e32 v7, 0x7fffffff, v2
	s_mov_b32 s6, exec_lo
                                        ; implicit-def: $vgpr3
	s_delay_alu instid0(VALU_DEP_1)
	v_cmpx_gt_u32_e32 0x43f00000, v7
	s_xor_b32 s6, exec_lo, s6
	s_cbranch_execz .LBB400_1853
; %bb.1848:
	s_mov_b32 s7, exec_lo
                                        ; implicit-def: $vgpr3
	v_cmpx_lt_u32_e32 0x3c7fffff, v7
	s_xor_b32 s7, exec_lo, s7
; %bb.1849:
	v_bfe_u32 v3, v2, 20, 1
	s_delay_alu instid0(VALU_DEP_1) | instskip(NEXT) | instid1(VALU_DEP_1)
	v_add3_u32 v3, v2, v3, 0x407ffff
	v_and_b32_e32 v7, 0xff00000, v3
	v_lshrrev_b32_e32 v3, 20, v3
	s_delay_alu instid0(VALU_DEP_2) | instskip(NEXT) | instid1(VALU_DEP_2)
	v_cmp_ne_u32_e32 vcc_lo, 0x7f00000, v7
	v_cndmask_b32_e32 v3, 0x7e, v3, vcc_lo
; %bb.1850:
	s_and_not1_saveexec_b32 s7, s7
; %bb.1851:
	v_add_f32_e64 v3, 0x46800000, |v2|
; %bb.1852:
	s_or_b32 exec_lo, exec_lo, s7
                                        ; implicit-def: $vgpr7
.LBB400_1853:
	s_and_not1_saveexec_b32 s6, s6
; %bb.1854:
	v_mov_b32_e32 v3, 0x7f
	v_cmp_lt_u32_e32 vcc_lo, 0x7f800000, v7
	s_delay_alu instid0(VALU_DEP_2)
	v_cndmask_b32_e32 v3, 0x7e, v3, vcc_lo
; %bb.1855:
	s_or_b32 exec_lo, exec_lo, s6
	v_lshrrev_b32_e32 v7, 24, v2
	s_delay_alu instid0(VALU_DEP_1)
	v_and_or_b32 v3, 0x80, v7, v3
	global_store_b8 v[0:1], v3, off
.LBB400_1856:
	s_mov_b32 s6, 0
.LBB400_1857:
	s_delay_alu instid0(SALU_CYCLE_1)
	s_and_not1_b32 vcc_lo, exec_lo, s6
	s_cbranch_vccnz .LBB400_1867
; %bb.1858:
	v_and_b32_e32 v7, 0x7fffffff, v2
	s_mov_b32 s6, exec_lo
                                        ; implicit-def: $vgpr3
	s_delay_alu instid0(VALU_DEP_1)
	v_cmpx_gt_u32_e32 0x47800000, v7
	s_xor_b32 s6, exec_lo, s6
	s_cbranch_execz .LBB400_1864
; %bb.1859:
	s_mov_b32 s7, exec_lo
                                        ; implicit-def: $vgpr3
	v_cmpx_lt_u32_e32 0x387fffff, v7
	s_xor_b32 s7, exec_lo, s7
; %bb.1860:
	v_bfe_u32 v3, v2, 21, 1
	s_delay_alu instid0(VALU_DEP_1) | instskip(NEXT) | instid1(VALU_DEP_1)
	v_add3_u32 v3, v2, v3, 0x80fffff
	v_lshrrev_b32_e32 v3, 21, v3
; %bb.1861:
	s_and_not1_saveexec_b32 s7, s7
; %bb.1862:
	v_add_f32_e64 v3, 0x43000000, |v2|
; %bb.1863:
	s_or_b32 exec_lo, exec_lo, s7
                                        ; implicit-def: $vgpr7
.LBB400_1864:
	s_and_not1_saveexec_b32 s6, s6
; %bb.1865:
	v_mov_b32_e32 v3, 0x7f
	v_cmp_lt_u32_e32 vcc_lo, 0x7f800000, v7
	s_delay_alu instid0(VALU_DEP_2)
	v_cndmask_b32_e32 v3, 0x7c, v3, vcc_lo
; %bb.1866:
	s_or_b32 exec_lo, exec_lo, s6
	v_lshrrev_b32_e32 v7, 24, v2
	s_delay_alu instid0(VALU_DEP_1)
	v_and_or_b32 v3, 0x80, v7, v3
	global_store_b8 v[0:1], v3, off
.LBB400_1867:
	s_mov_b32 s6, 0
	s_mov_b32 s7, -1
.LBB400_1868:
	s_and_not1_b32 vcc_lo, exec_lo, s6
	s_mov_b32 s6, 0
	s_cbranch_vccnz .LBB400_1875
; %bb.1869:
	v_cmp_lt_i16_e32 vcc_lo, 14, v6
	s_mov_b32 s6, -1
	s_cbranch_vccz .LBB400_1873
; %bb.1870:
	v_cmp_eq_u16_e32 vcc_lo, 15, v6
	s_mov_b32 s0, -1
	s_cbranch_vccz .LBB400_1872
; %bb.1871:
	v_bfe_u32 v3, v2, 16, 1
	v_cmp_o_f32_e32 vcc_lo, v2, v2
	s_mov_b32 s0, 0
	s_mov_b32 s7, -1
	s_delay_alu instid0(VALU_DEP_2) | instskip(NEXT) | instid1(VALU_DEP_1)
	v_add3_u32 v3, v2, v3, 0x7fff
	v_lshrrev_b32_e32 v3, 16, v3
	s_delay_alu instid0(VALU_DEP_1)
	v_cndmask_b32_e32 v3, 0x7fc0, v3, vcc_lo
	global_store_b16 v[0:1], v3, off
.LBB400_1872:
	s_mov_b32 s6, 0
.LBB400_1873:
	s_delay_alu instid0(SALU_CYCLE_1)
	s_and_b32 vcc_lo, exec_lo, s6
	s_mov_b32 s6, 0
	s_cbranch_vccz .LBB400_1875
; %bb.1874:
	v_cmp_ne_u16_e64 s0, 11, v6
	s_mov_b32 s6, -1
.LBB400_1875:
	s_delay_alu instid0(VALU_DEP_1)
	s_and_b32 vcc_lo, exec_lo, s0
	s_cbranch_vccnz .LBB400_2064
; %bb.1876:
	s_and_not1_b32 vcc_lo, exec_lo, s6
	s_cbranch_vccnz .LBB400_1878
.LBB400_1877:
	v_cmp_neq_f32_e32 vcc_lo, 0, v2
	s_mov_b32 s7, -1
	v_cndmask_b32_e64 v3, 0, 1, vcc_lo
	global_store_b8 v[0:1], v3, off
.LBB400_1878:
	s_mov_b32 s0, 0
	s_branch .LBB400_1880
.LBB400_1879:
	s_mov_b32 s0, -1
	s_mov_b32 s7, 0
.LBB400_1880:
	s_and_b32 vcc_lo, exec_lo, s0
	s_cbranch_vccz .LBB400_1919
; %bb.1881:
	v_cmp_gt_i16_e32 vcc_lo, 5, v6
	s_mov_b32 s0, -1
	s_cbranch_vccnz .LBB400_1902
; %bb.1882:
	v_cmp_gt_i16_e32 vcc_lo, 8, v6
	s_cbranch_vccnz .LBB400_1892
; %bb.1883:
	v_cmp_gt_i16_e32 vcc_lo, 9, v6
	s_cbranch_vccnz .LBB400_1889
; %bb.1884:
	v_cmp_lt_i16_e32 vcc_lo, 9, v6
	s_cbranch_vccz .LBB400_1886
; %bb.1885:
	v_cvt_f64_f32_e32 v[10:11], v2
	v_mov_b32_e32 v12, 0
	s_mov_b32 s0, 0
	s_delay_alu instid0(VALU_DEP_1)
	v_mov_b32_e32 v13, v12
	global_store_b128 v[0:1], v[10:13], off
.LBB400_1886:
	s_and_not1_b32 vcc_lo, exec_lo, s0
	s_cbranch_vccnz .LBB400_1888
; %bb.1887:
	v_mov_b32_e32 v3, 0
	global_store_b64 v[0:1], v[2:3], off
.LBB400_1888:
	s_mov_b32 s0, 0
.LBB400_1889:
	s_delay_alu instid0(SALU_CYCLE_1)
	s_and_not1_b32 vcc_lo, exec_lo, s0
	s_cbranch_vccnz .LBB400_1891
; %bb.1890:
	v_cvt_f16_f32_e32 v3, v2
	s_delay_alu instid0(VALU_DEP_1)
	v_and_b32_e32 v3, 0xffff, v3
	global_store_b32 v[0:1], v3, off
.LBB400_1891:
	s_mov_b32 s0, 0
.LBB400_1892:
	s_delay_alu instid0(SALU_CYCLE_1)
	s_and_not1_b32 vcc_lo, exec_lo, s0
	s_cbranch_vccnz .LBB400_1901
; %bb.1893:
	v_cmp_gt_i16_e32 vcc_lo, 6, v6
	s_mov_b32 s0, -1
	s_cbranch_vccnz .LBB400_1899
; %bb.1894:
	v_cmp_lt_i16_e32 vcc_lo, 6, v6
	s_cbranch_vccz .LBB400_1896
; %bb.1895:
	v_cvt_f64_f32_e32 v[7:8], v2
	s_mov_b32 s0, 0
	global_store_b64 v[0:1], v[7:8], off
.LBB400_1896:
	s_and_not1_b32 vcc_lo, exec_lo, s0
	s_cbranch_vccnz .LBB400_1898
; %bb.1897:
	global_store_b32 v[0:1], v2, off
.LBB400_1898:
	s_mov_b32 s0, 0
.LBB400_1899:
	s_delay_alu instid0(SALU_CYCLE_1)
	s_and_not1_b32 vcc_lo, exec_lo, s0
	s_cbranch_vccnz .LBB400_1901
; %bb.1900:
	v_cvt_f16_f32_e32 v3, v2
	global_store_b16 v[0:1], v3, off
.LBB400_1901:
	s_mov_b32 s0, 0
.LBB400_1902:
	s_delay_alu instid0(SALU_CYCLE_1)
	s_and_not1_b32 vcc_lo, exec_lo, s0
	s_cbranch_vccnz .LBB400_1918
; %bb.1903:
	v_cmp_gt_i16_e32 vcc_lo, 2, v6
	s_mov_b32 s0, -1
	s_cbranch_vccnz .LBB400_1913
; %bb.1904:
	v_cmp_gt_i16_e32 vcc_lo, 3, v6
	s_cbranch_vccnz .LBB400_1910
; %bb.1905:
	v_cmp_lt_i16_e32 vcc_lo, 3, v6
	s_cbranch_vccz .LBB400_1907
; %bb.1906:
	v_trunc_f32_e32 v3, v2
	s_mov_b32 s0, 0
	s_delay_alu instid0(VALU_DEP_1) | instskip(NEXT) | instid1(VALU_DEP_1)
	v_mul_f32_e64 v7, 0x2f800000, |v3|
	v_floor_f32_e32 v7, v7
	s_delay_alu instid0(VALU_DEP_1) | instskip(SKIP_2) | instid1(VALU_DEP_3)
	v_fma_f32 v8, 0xcf800000, v7, |v3|
	v_ashrrev_i32_e32 v3, 31, v3
	v_cvt_u32_f32_e32 v7, v7
	v_cvt_u32_f32_e32 v8, v8
	s_delay_alu instid0(VALU_DEP_2) | instskip(NEXT) | instid1(VALU_DEP_2)
	v_xor_b32_e32 v10, v7, v3
	v_xor_b32_e32 v8, v8, v3
	s_delay_alu instid0(VALU_DEP_1) | instskip(NEXT) | instid1(VALU_DEP_3)
	v_sub_co_u32 v7, vcc_lo, v8, v3
	v_sub_co_ci_u32_e32 v8, vcc_lo, v10, v3, vcc_lo
	global_store_b64 v[0:1], v[7:8], off
.LBB400_1907:
	s_and_not1_b32 vcc_lo, exec_lo, s0
	s_cbranch_vccnz .LBB400_1909
; %bb.1908:
	v_cvt_i32_f32_e32 v3, v2
	global_store_b32 v[0:1], v3, off
.LBB400_1909:
	s_mov_b32 s0, 0
.LBB400_1910:
	s_delay_alu instid0(SALU_CYCLE_1)
	s_and_not1_b32 vcc_lo, exec_lo, s0
	s_cbranch_vccnz .LBB400_1912
; %bb.1911:
	v_cvt_i32_f32_e32 v3, v2
	global_store_b16 v[0:1], v3, off
.LBB400_1912:
	s_mov_b32 s0, 0
.LBB400_1913:
	s_delay_alu instid0(SALU_CYCLE_1)
	s_and_not1_b32 vcc_lo, exec_lo, s0
	s_cbranch_vccnz .LBB400_1918
; %bb.1914:
	v_cmp_lt_i16_e32 vcc_lo, 0, v6
	s_mov_b32 s0, -1
	s_cbranch_vccz .LBB400_1916
; %bb.1915:
	v_cvt_i32_f32_e32 v3, v2
	s_mov_b32 s0, 0
	global_store_b8 v[0:1], v3, off
.LBB400_1916:
	s_and_not1_b32 vcc_lo, exec_lo, s0
	s_cbranch_vccnz .LBB400_1918
; %bb.1917:
	v_trunc_f32_e32 v2, v2
	s_delay_alu instid0(VALU_DEP_1) | instskip(NEXT) | instid1(VALU_DEP_1)
	v_mul_f32_e64 v3, 0x2f800000, |v2|
	v_floor_f32_e32 v3, v3
	s_delay_alu instid0(VALU_DEP_1) | instskip(SKIP_1) | instid1(VALU_DEP_2)
	v_fma_f32 v3, 0xcf800000, v3, |v2|
	v_ashrrev_i32_e32 v2, 31, v2
	v_cvt_u32_f32_e32 v3, v3
	s_delay_alu instid0(VALU_DEP_1) | instskip(NEXT) | instid1(VALU_DEP_1)
	v_xor_b32_e32 v3, v3, v2
	v_sub_nc_u32_e32 v2, v3, v2
	global_store_b8 v[0:1], v2, off
.LBB400_1918:
	s_mov_b32 s7, -1
.LBB400_1919:
	s_delay_alu instid0(SALU_CYCLE_1)
	s_and_not1_b32 vcc_lo, exec_lo, s7
	s_cbranch_vccnz .LBB400_1996
; %bb.1920:
	v_dual_max_f32 v0, v9, v9 :: v_dual_add_nc_u32 v1, s2, v4
	v_cmp_u_f32_e64 s0, v9, v9
	v_cmp_gt_i16_e32 vcc_lo, 11, v6
	s_delay_alu instid0(VALU_DEP_3) | instskip(NEXT) | instid1(VALU_DEP_4)
	v_max_f32_e32 v0, v0, v5
	v_ashrrev_i32_e32 v3, 31, v1
	s_delay_alu instid0(VALU_DEP_2) | instskip(SKIP_1) | instid1(VALU_DEP_1)
	v_cndmask_b32_e64 v2, v0, v9, s0
	v_add_co_u32 v0, s0, s4, v1
	v_add_co_ci_u32_e64 v1, s0, s5, v3, s0
	s_cbranch_vccnz .LBB400_2041
; %bb.1921:
	v_cmp_lt_i16_e32 vcc_lo, 25, v6
	s_mov_b32 s4, -1
	s_mov_b32 s2, 0
	s_mov_b32 s0, 0
	s_cbranch_vccz .LBB400_1954
; %bb.1922:
	v_cmp_lt_i16_e32 vcc_lo, 28, v6
	s_cbranch_vccz .LBB400_1938
; %bb.1923:
	v_cmp_lt_i16_e32 vcc_lo, 43, v6
	;; [unrolled: 3-line block ×3, first 2 shown]
	s_cbranch_vccz .LBB400_1928
; %bb.1925:
	v_cmp_eq_u16_e32 vcc_lo, 46, v6
	s_mov_b32 s0, -1
	s_cbranch_vccz .LBB400_1927
; %bb.1926:
	v_bfe_u32 v3, v2, 16, 1
	v_cmp_o_f32_e32 vcc_lo, v2, v2
	s_mov_b32 s0, 0
	s_delay_alu instid0(VALU_DEP_2) | instskip(NEXT) | instid1(VALU_DEP_1)
	v_add3_u32 v3, v2, v3, 0x7fff
	v_lshrrev_b32_e32 v3, 16, v3
	s_delay_alu instid0(VALU_DEP_1)
	v_cndmask_b32_e32 v3, 0x7fc0, v3, vcc_lo
	global_store_b32 v[0:1], v3, off
.LBB400_1927:
	s_mov_b32 s4, 0
.LBB400_1928:
	s_delay_alu instid0(SALU_CYCLE_1)
	s_and_b32 vcc_lo, exec_lo, s4
	s_cbranch_vccz .LBB400_1933
; %bb.1929:
	v_cmp_eq_u16_e32 vcc_lo, 44, v6
	s_mov_b32 s0, -1
	s_cbranch_vccz .LBB400_1933
; %bb.1930:
	v_bfe_u32 v4, v2, 23, 8
	v_mov_b32_e32 v3, 0xff
	s_mov_b32 s4, exec_lo
	s_delay_alu instid0(VALU_DEP_2)
	v_cmpx_ne_u32_e32 0xff, v4
; %bb.1931:
	v_and_b32_e32 v3, 0x400000, v2
	v_and_or_b32 v4, 0x3fffff, v2, v4
	s_delay_alu instid0(VALU_DEP_2) | instskip(NEXT) | instid1(VALU_DEP_2)
	v_cmp_ne_u32_e32 vcc_lo, 0, v3
	v_cmp_ne_u32_e64 s0, 0, v4
	v_lshrrev_b32_e32 v3, 23, v2
	s_delay_alu instid0(VALU_DEP_2) | instskip(NEXT) | instid1(SALU_CYCLE_1)
	s_and_b32 s0, vcc_lo, s0
	v_cndmask_b32_e64 v4, 0, 1, s0
	s_delay_alu instid0(VALU_DEP_1)
	v_add_nc_u32_e32 v3, v3, v4
; %bb.1932:
	s_or_b32 exec_lo, exec_lo, s4
	s_mov_b32 s0, 0
	global_store_b8 v[0:1], v3, off
.LBB400_1933:
	s_mov_b32 s4, 0
.LBB400_1934:
	s_delay_alu instid0(SALU_CYCLE_1)
	s_and_b32 vcc_lo, exec_lo, s4
	s_cbranch_vccz .LBB400_1937
; %bb.1935:
	v_cmp_eq_u16_e32 vcc_lo, 29, v6
	s_mov_b32 s0, -1
	s_cbranch_vccz .LBB400_1937
; %bb.1936:
	v_trunc_f32_e32 v3, v2
	s_mov_b32 s0, 0
	s_delay_alu instid0(VALU_DEP_1) | instskip(NEXT) | instid1(VALU_DEP_1)
	v_mul_f32_e32 v4, 0x2f800000, v3
	v_floor_f32_e32 v4, v4
	s_delay_alu instid0(VALU_DEP_1) | instskip(SKIP_1) | instid1(VALU_DEP_2)
	v_fmamk_f32 v3, v4, 0xcf800000, v3
	v_cvt_u32_f32_e32 v4, v4
	v_cvt_u32_f32_e32 v3, v3
	global_store_b64 v[0:1], v[3:4], off
.LBB400_1937:
	s_mov_b32 s4, 0
.LBB400_1938:
	s_delay_alu instid0(SALU_CYCLE_1)
	s_and_b32 vcc_lo, exec_lo, s4
	s_cbranch_vccz .LBB400_1953
; %bb.1939:
	v_cmp_gt_i16_e32 vcc_lo, 27, v6
	s_mov_b32 s4, -1
	s_cbranch_vccnz .LBB400_1945
; %bb.1940:
	v_cmp_lt_i16_e32 vcc_lo, 27, v6
	v_cvt_u32_f32_e32 v3, v2
	s_cbranch_vccz .LBB400_1942
; %bb.1941:
	s_mov_b32 s4, 0
	global_store_b32 v[0:1], v3, off
.LBB400_1942:
	s_and_not1_b32 vcc_lo, exec_lo, s4
	s_cbranch_vccnz .LBB400_1944
; %bb.1943:
	global_store_b16 v[0:1], v3, off
.LBB400_1944:
	s_mov_b32 s4, 0
.LBB400_1945:
	s_delay_alu instid0(SALU_CYCLE_1)
	s_and_not1_b32 vcc_lo, exec_lo, s4
	s_cbranch_vccnz .LBB400_1953
; %bb.1946:
	v_and_b32_e32 v3, 0x7fffffff, v2
	v_mov_b32_e32 v4, 0x80
	s_mov_b32 s4, exec_lo
	s_delay_alu instid0(VALU_DEP_2)
	v_cmpx_gt_u32_e32 0x43800000, v3
	s_cbranch_execz .LBB400_1952
; %bb.1947:
	v_cmp_lt_u32_e32 vcc_lo, 0x3bffffff, v3
	s_mov_b32 s5, 0
                                        ; implicit-def: $vgpr3
	s_and_saveexec_b32 s6, vcc_lo
	s_delay_alu instid0(SALU_CYCLE_1)
	s_xor_b32 s6, exec_lo, s6
	s_cbranch_execz .LBB400_2068
; %bb.1948:
	v_bfe_u32 v3, v2, 20, 1
	s_mov_b32 s5, exec_lo
	s_delay_alu instid0(VALU_DEP_1) | instskip(NEXT) | instid1(VALU_DEP_1)
	v_add3_u32 v3, v2, v3, 0x487ffff
	v_lshrrev_b32_e32 v3, 20, v3
	s_or_saveexec_b32 s6, s6
                                        ; implicit-def: $sgpr7
	s_delay_alu instid0(SALU_CYCLE_1)
	s_xor_b32 exec_lo, exec_lo, s6
	s_cbranch_execnz .LBB400_2069
.LBB400_1949:
	s_or_b32 exec_lo, exec_lo, s6
	v_mov_b32_e32 v4, s7
	s_and_saveexec_b32 s6, s5
.LBB400_1950:
	v_lshrrev_b32_e32 v4, 24, v2
	s_delay_alu instid0(VALU_DEP_1)
	v_and_or_b32 v4, 0x80, v4, v3
.LBB400_1951:
	s_or_b32 exec_lo, exec_lo, s6
.LBB400_1952:
	s_delay_alu instid0(SALU_CYCLE_1)
	s_or_b32 exec_lo, exec_lo, s4
	global_store_b8 v[0:1], v4, off
.LBB400_1953:
	s_mov_b32 s4, 0
.LBB400_1954:
	s_delay_alu instid0(SALU_CYCLE_1)
	s_and_b32 vcc_lo, exec_lo, s4
	s_cbranch_vccz .LBB400_1994
; %bb.1955:
	v_cmp_lt_i16_e32 vcc_lo, 22, v6
	s_mov_b32 s2, -1
	s_cbranch_vccz .LBB400_1987
; %bb.1956:
	v_cmp_gt_i16_e32 vcc_lo, 24, v6
	s_cbranch_vccnz .LBB400_1976
; %bb.1957:
	v_cmp_lt_i16_e32 vcc_lo, 24, v6
	s_cbranch_vccz .LBB400_1965
; %bb.1958:
	v_and_b32_e32 v3, 0x7fffffff, v2
	v_mov_b32_e32 v4, 0x80
	s_mov_b32 s2, exec_lo
	s_delay_alu instid0(VALU_DEP_2)
	v_cmpx_gt_u32_e32 0x47800000, v3
	s_cbranch_execz .LBB400_1964
; %bb.1959:
	v_cmp_lt_u32_e32 vcc_lo, 0x37ffffff, v3
	s_mov_b32 s4, 0
                                        ; implicit-def: $vgpr3
	s_and_saveexec_b32 s5, vcc_lo
	s_delay_alu instid0(SALU_CYCLE_1)
	s_xor_b32 s5, exec_lo, s5
	s_cbranch_execz .LBB400_2074
; %bb.1960:
	v_bfe_u32 v3, v2, 21, 1
	s_mov_b32 s4, exec_lo
	s_delay_alu instid0(VALU_DEP_1) | instskip(NEXT) | instid1(VALU_DEP_1)
	v_add3_u32 v3, v2, v3, 0x88fffff
	v_lshrrev_b32_e32 v3, 21, v3
	s_or_saveexec_b32 s5, s5
                                        ; implicit-def: $sgpr6
	s_delay_alu instid0(SALU_CYCLE_1)
	s_xor_b32 exec_lo, exec_lo, s5
	s_cbranch_execnz .LBB400_2075
.LBB400_1961:
	s_or_b32 exec_lo, exec_lo, s5
	v_mov_b32_e32 v4, s6
	s_and_saveexec_b32 s5, s4
.LBB400_1962:
	v_lshrrev_b32_e32 v4, 24, v2
	s_delay_alu instid0(VALU_DEP_1)
	v_and_or_b32 v4, 0x80, v4, v3
.LBB400_1963:
	s_or_b32 exec_lo, exec_lo, s5
.LBB400_1964:
	s_delay_alu instid0(SALU_CYCLE_1)
	s_or_b32 exec_lo, exec_lo, s2
	s_mov_b32 s2, 0
	global_store_b8 v[0:1], v4, off
.LBB400_1965:
	s_and_b32 vcc_lo, exec_lo, s2
	s_cbranch_vccz .LBB400_1975
; %bb.1966:
	v_and_b32_e32 v4, 0x7fffffff, v2
	s_mov_b32 s2, exec_lo
                                        ; implicit-def: $vgpr3
	s_delay_alu instid0(VALU_DEP_1)
	v_cmpx_gt_u32_e32 0x43f00000, v4
	s_xor_b32 s2, exec_lo, s2
	s_cbranch_execz .LBB400_1972
; %bb.1967:
	s_mov_b32 s4, exec_lo
                                        ; implicit-def: $vgpr3
	v_cmpx_lt_u32_e32 0x3c7fffff, v4
	s_xor_b32 s4, exec_lo, s4
; %bb.1968:
	v_bfe_u32 v3, v2, 20, 1
	s_delay_alu instid0(VALU_DEP_1) | instskip(NEXT) | instid1(VALU_DEP_1)
	v_add3_u32 v3, v2, v3, 0x407ffff
	v_and_b32_e32 v4, 0xff00000, v3
	v_lshrrev_b32_e32 v3, 20, v3
	s_delay_alu instid0(VALU_DEP_2) | instskip(NEXT) | instid1(VALU_DEP_2)
	v_cmp_ne_u32_e32 vcc_lo, 0x7f00000, v4
	v_cndmask_b32_e32 v3, 0x7e, v3, vcc_lo
; %bb.1969:
	s_and_not1_saveexec_b32 s4, s4
; %bb.1970:
	v_add_f32_e64 v3, 0x46800000, |v2|
; %bb.1971:
	s_or_b32 exec_lo, exec_lo, s4
                                        ; implicit-def: $vgpr4
.LBB400_1972:
	s_and_not1_saveexec_b32 s2, s2
; %bb.1973:
	v_mov_b32_e32 v3, 0x7f
	v_cmp_lt_u32_e32 vcc_lo, 0x7f800000, v4
	s_delay_alu instid0(VALU_DEP_2)
	v_cndmask_b32_e32 v3, 0x7e, v3, vcc_lo
; %bb.1974:
	s_or_b32 exec_lo, exec_lo, s2
	v_lshrrev_b32_e32 v4, 24, v2
	s_delay_alu instid0(VALU_DEP_1)
	v_and_or_b32 v3, 0x80, v4, v3
	global_store_b8 v[0:1], v3, off
.LBB400_1975:
	s_mov_b32 s2, 0
.LBB400_1976:
	s_delay_alu instid0(SALU_CYCLE_1)
	s_and_not1_b32 vcc_lo, exec_lo, s2
	s_cbranch_vccnz .LBB400_1986
; %bb.1977:
	v_and_b32_e32 v4, 0x7fffffff, v2
	s_mov_b32 s2, exec_lo
                                        ; implicit-def: $vgpr3
	s_delay_alu instid0(VALU_DEP_1)
	v_cmpx_gt_u32_e32 0x47800000, v4
	s_xor_b32 s2, exec_lo, s2
	s_cbranch_execz .LBB400_1983
; %bb.1978:
	s_mov_b32 s4, exec_lo
                                        ; implicit-def: $vgpr3
	v_cmpx_lt_u32_e32 0x387fffff, v4
	s_xor_b32 s4, exec_lo, s4
; %bb.1979:
	v_bfe_u32 v3, v2, 21, 1
	s_delay_alu instid0(VALU_DEP_1) | instskip(NEXT) | instid1(VALU_DEP_1)
	v_add3_u32 v3, v2, v3, 0x80fffff
	v_lshrrev_b32_e32 v3, 21, v3
; %bb.1980:
	s_and_not1_saveexec_b32 s4, s4
; %bb.1981:
	v_add_f32_e64 v3, 0x43000000, |v2|
; %bb.1982:
	s_or_b32 exec_lo, exec_lo, s4
                                        ; implicit-def: $vgpr4
.LBB400_1983:
	s_and_not1_saveexec_b32 s2, s2
; %bb.1984:
	v_mov_b32_e32 v3, 0x7f
	v_cmp_lt_u32_e32 vcc_lo, 0x7f800000, v4
	s_delay_alu instid0(VALU_DEP_2)
	v_cndmask_b32_e32 v3, 0x7c, v3, vcc_lo
; %bb.1985:
	s_or_b32 exec_lo, exec_lo, s2
	v_lshrrev_b32_e32 v4, 24, v2
	s_delay_alu instid0(VALU_DEP_1)
	v_and_or_b32 v3, 0x80, v4, v3
	global_store_b8 v[0:1], v3, off
.LBB400_1986:
	s_mov_b32 s2, 0
.LBB400_1987:
	s_delay_alu instid0(SALU_CYCLE_1)
	s_and_not1_b32 vcc_lo, exec_lo, s2
	s_mov_b32 s2, 0
	s_cbranch_vccnz .LBB400_1994
; %bb.1988:
	v_cmp_lt_i16_e32 vcc_lo, 14, v6
	s_mov_b32 s2, -1
	s_cbranch_vccz .LBB400_1992
; %bb.1989:
	v_cmp_eq_u16_e32 vcc_lo, 15, v6
	s_mov_b32 s0, -1
	s_cbranch_vccz .LBB400_1991
; %bb.1990:
	v_bfe_u32 v3, v2, 16, 1
	v_cmp_o_f32_e32 vcc_lo, v2, v2
	s_mov_b32 s0, 0
	s_delay_alu instid0(VALU_DEP_2) | instskip(NEXT) | instid1(VALU_DEP_1)
	v_add3_u32 v3, v2, v3, 0x7fff
	v_lshrrev_b32_e32 v3, 16, v3
	s_delay_alu instid0(VALU_DEP_1)
	v_cndmask_b32_e32 v3, 0x7fc0, v3, vcc_lo
	global_store_b16 v[0:1], v3, off
.LBB400_1991:
	s_mov_b32 s2, 0
.LBB400_1992:
	s_delay_alu instid0(SALU_CYCLE_1)
	s_and_b32 vcc_lo, exec_lo, s2
	s_mov_b32 s2, 0
	s_cbranch_vccz .LBB400_1994
; %bb.1993:
	v_cmp_ne_u16_e64 s0, 11, v6
	s_mov_b32 s2, -1
.LBB400_1994:
	s_delay_alu instid0(VALU_DEP_1)
	s_and_b32 vcc_lo, exec_lo, s0
	s_cbranch_vccnz .LBB400_2072
.LBB400_1995:
	s_mov_b32 s0, 0
	s_branch .LBB400_1997
.LBB400_1996:
	s_mov_b32 s0, 0
	s_mov_b32 s2, 0
                                        ; implicit-def: $vgpr6
                                        ; implicit-def: $vgpr0_vgpr1
                                        ; implicit-def: $vgpr2
.LBB400_1997:
	s_and_not1_b32 s4, s11, exec_lo
	s_and_b32 s5, s1, exec_lo
	s_and_b32 s0, s0, exec_lo
	;; [unrolled: 1-line block ×3, first 2 shown]
	s_or_b32 s11, s4, s5
.LBB400_1998:
	s_or_b32 exec_lo, exec_lo, s3
	s_and_saveexec_b32 s2, s11
	s_cbranch_execz .LBB400_2001
; %bb.1999:
	; divergent unreachable
	s_or_b32 exec_lo, exec_lo, s2
	s_and_saveexec_b32 s2, s1
	s_delay_alu instid0(SALU_CYCLE_1)
	s_xor_b32 s1, exec_lo, s2
	s_cbranch_execnz .LBB400_2002
.LBB400_2000:
	s_or_b32 exec_lo, exec_lo, s1
	s_and_saveexec_b32 s1, s0
	s_cbranch_execnz .LBB400_2003
	s_branch .LBB400_2040
.LBB400_2001:
	s_or_b32 exec_lo, exec_lo, s2
	s_and_saveexec_b32 s2, s1
	s_delay_alu instid0(SALU_CYCLE_1)
	s_xor_b32 s1, exec_lo, s2
	s_cbranch_execz .LBB400_2000
.LBB400_2002:
	s_waitcnt vmcnt(0)
	v_cmp_neq_f32_e32 vcc_lo, 0, v2
	v_cndmask_b32_e64 v3, 0, 1, vcc_lo
	global_store_b8 v[0:1], v3, off
	s_or_b32 exec_lo, exec_lo, s1
	s_and_saveexec_b32 s1, s0
	s_cbranch_execz .LBB400_2040
.LBB400_2003:
	v_cmp_gt_i16_e32 vcc_lo, 5, v6
	s_mov_b32 s0, -1
	s_cbranch_vccnz .LBB400_2024
; %bb.2004:
	v_cmp_gt_i16_e32 vcc_lo, 8, v6
	s_cbranch_vccnz .LBB400_2014
; %bb.2005:
	v_cmp_gt_i16_e32 vcc_lo, 9, v6
	s_cbranch_vccnz .LBB400_2011
; %bb.2006:
	v_cmp_lt_i16_e32 vcc_lo, 9, v6
	s_cbranch_vccz .LBB400_2008
; %bb.2007:
	s_waitcnt vmcnt(0)
	v_cvt_f64_f32_e32 v[7:8], v2
	v_mov_b32_e32 v9, 0
	s_mov_b32 s0, 0
	s_delay_alu instid0(VALU_DEP_1)
	v_mov_b32_e32 v10, v9
	global_store_b128 v[0:1], v[7:10], off
.LBB400_2008:
	s_and_not1_b32 vcc_lo, exec_lo, s0
	s_cbranch_vccnz .LBB400_2010
; %bb.2009:
	s_waitcnt vmcnt(0)
	v_mov_b32_e32 v3, 0
	global_store_b64 v[0:1], v[2:3], off
.LBB400_2010:
	s_mov_b32 s0, 0
.LBB400_2011:
	s_delay_alu instid0(SALU_CYCLE_1)
	s_and_not1_b32 vcc_lo, exec_lo, s0
	s_cbranch_vccnz .LBB400_2013
; %bb.2012:
	s_waitcnt vmcnt(0)
	v_cvt_f16_f32_e32 v3, v2
	s_delay_alu instid0(VALU_DEP_1)
	v_and_b32_e32 v3, 0xffff, v3
	global_store_b32 v[0:1], v3, off
.LBB400_2013:
	s_mov_b32 s0, 0
.LBB400_2014:
	s_delay_alu instid0(SALU_CYCLE_1)
	s_and_not1_b32 vcc_lo, exec_lo, s0
	s_cbranch_vccnz .LBB400_2023
; %bb.2015:
	v_cmp_gt_i16_e32 vcc_lo, 6, v6
	s_mov_b32 s0, -1
	s_cbranch_vccnz .LBB400_2021
; %bb.2016:
	v_cmp_lt_i16_e32 vcc_lo, 6, v6
	s_cbranch_vccz .LBB400_2018
; %bb.2017:
	s_waitcnt vmcnt(0)
	v_cvt_f64_f32_e32 v[3:4], v2
	s_mov_b32 s0, 0
	global_store_b64 v[0:1], v[3:4], off
.LBB400_2018:
	s_and_not1_b32 vcc_lo, exec_lo, s0
	s_cbranch_vccnz .LBB400_2020
; %bb.2019:
	s_waitcnt vmcnt(0)
	global_store_b32 v[0:1], v2, off
.LBB400_2020:
	s_mov_b32 s0, 0
.LBB400_2021:
	s_delay_alu instid0(SALU_CYCLE_1)
	s_and_not1_b32 vcc_lo, exec_lo, s0
	s_cbranch_vccnz .LBB400_2023
; %bb.2022:
	s_waitcnt vmcnt(0)
	v_cvt_f16_f32_e32 v3, v2
	global_store_b16 v[0:1], v3, off
.LBB400_2023:
	s_mov_b32 s0, 0
.LBB400_2024:
	s_delay_alu instid0(SALU_CYCLE_1)
	s_and_not1_b32 vcc_lo, exec_lo, s0
	s_cbranch_vccnz .LBB400_2040
; %bb.2025:
	v_cmp_gt_i16_e32 vcc_lo, 2, v6
	s_mov_b32 s0, -1
	s_cbranch_vccnz .LBB400_2035
; %bb.2026:
	v_cmp_gt_i16_e32 vcc_lo, 3, v6
	s_cbranch_vccnz .LBB400_2032
; %bb.2027:
	v_cmp_lt_i16_e32 vcc_lo, 3, v6
	s_cbranch_vccz .LBB400_2029
; %bb.2028:
	s_waitcnt vmcnt(0)
	v_trunc_f32_e32 v3, v2
	s_mov_b32 s0, 0
	s_delay_alu instid0(VALU_DEP_1) | instskip(SKIP_1) | instid1(VALU_DEP_2)
	v_mul_f32_e64 v4, 0x2f800000, |v3|
	v_ashrrev_i32_e32 v7, 31, v3
	v_floor_f32_e32 v4, v4
	s_delay_alu instid0(VALU_DEP_1) | instskip(SKIP_1) | instid1(VALU_DEP_2)
	v_fma_f32 v5, 0xcf800000, v4, |v3|
	v_cvt_u32_f32_e32 v4, v4
	v_cvt_u32_f32_e32 v3, v5
	s_delay_alu instid0(VALU_DEP_2) | instskip(NEXT) | instid1(VALU_DEP_2)
	v_xor_b32_e32 v4, v4, v7
	v_xor_b32_e32 v3, v3, v7
	s_delay_alu instid0(VALU_DEP_1) | instskip(NEXT) | instid1(VALU_DEP_3)
	v_sub_co_u32 v3, vcc_lo, v3, v7
	v_sub_co_ci_u32_e32 v4, vcc_lo, v4, v7, vcc_lo
	global_store_b64 v[0:1], v[3:4], off
.LBB400_2029:
	s_and_not1_b32 vcc_lo, exec_lo, s0
	s_cbranch_vccnz .LBB400_2031
; %bb.2030:
	s_waitcnt vmcnt(0)
	v_cvt_i32_f32_e32 v3, v2
	global_store_b32 v[0:1], v3, off
.LBB400_2031:
	s_mov_b32 s0, 0
.LBB400_2032:
	s_delay_alu instid0(SALU_CYCLE_1)
	s_and_not1_b32 vcc_lo, exec_lo, s0
	s_cbranch_vccnz .LBB400_2034
; %bb.2033:
	s_waitcnt vmcnt(0)
	v_cvt_i32_f32_e32 v3, v2
	global_store_b16 v[0:1], v3, off
.LBB400_2034:
	s_mov_b32 s0, 0
.LBB400_2035:
	s_delay_alu instid0(SALU_CYCLE_1)
	s_and_not1_b32 vcc_lo, exec_lo, s0
	s_cbranch_vccnz .LBB400_2040
; %bb.2036:
	v_cmp_lt_i16_e32 vcc_lo, 0, v6
	s_mov_b32 s0, -1
	s_cbranch_vccz .LBB400_2038
; %bb.2037:
	s_waitcnt vmcnt(0)
	v_cvt_i32_f32_e32 v3, v2
	s_mov_b32 s0, 0
	global_store_b8 v[0:1], v3, off
.LBB400_2038:
	s_and_not1_b32 vcc_lo, exec_lo, s0
	s_cbranch_vccnz .LBB400_2040
; %bb.2039:
	s_waitcnt vmcnt(0)
	v_trunc_f32_e32 v2, v2
	s_delay_alu instid0(VALU_DEP_1) | instskip(NEXT) | instid1(VALU_DEP_1)
	v_mul_f32_e64 v3, 0x2f800000, |v2|
	v_floor_f32_e32 v3, v3
	s_delay_alu instid0(VALU_DEP_1) | instskip(SKIP_1) | instid1(VALU_DEP_2)
	v_fma_f32 v3, 0xcf800000, v3, |v2|
	v_ashrrev_i32_e32 v2, 31, v2
	v_cvt_u32_f32_e32 v3, v3
	s_delay_alu instid0(VALU_DEP_1) | instskip(NEXT) | instid1(VALU_DEP_1)
	v_xor_b32_e32 v3, v3, v2
	v_sub_nc_u32_e32 v2, v3, v2
	global_store_b8 v[0:1], v2, off
	s_nop 0
	s_sendmsg sendmsg(MSG_DEALLOC_VGPRS)
	s_endpgm
.LBB400_2040:
	s_nop 0
	s_sendmsg sendmsg(MSG_DEALLOC_VGPRS)
	s_endpgm
.LBB400_2041:
	s_mov_b32 s2, 0
	s_mov_b32 s0, -1
	s_branch .LBB400_1997
.LBB400_2042:
	s_cbranch_execnz .LBB400_2046
; %bb.2043:
	s_or_b32 s1, s1, exec_lo
                                        ; implicit-def: $vgpr9
	s_cbranch_execz .LBB400_1511
	s_branch .LBB400_1512
.LBB400_2044:
	s_or_saveexec_b32 s9, s9
                                        ; implicit-def: $sgpr10
	s_delay_alu instid0(SALU_CYCLE_1)
	s_xor_b32 exec_lo, exec_lo, s9
	s_cbranch_execz .LBB400_1591
.LBB400_2045:
	v_add_f32_e64 v3, 0x46000000, |v2|
	s_and_not1_b32 s7, s7, exec_lo
	s_mov_b32 s10, 0
	s_delay_alu instid0(VALU_DEP_1) | instskip(NEXT) | instid1(VALU_DEP_1)
	v_and_b32_e32 v3, 0xff, v3
	v_cmp_ne_u32_e32 vcc_lo, 0, v3
	s_and_b32 s12, vcc_lo, exec_lo
	s_delay_alu instid0(SALU_CYCLE_1)
	s_or_b32 s7, s7, s12
	s_or_b32 exec_lo, exec_lo, s9
	v_mov_b32_e32 v10, s10
	s_and_saveexec_b32 s9, s7
	s_cbranch_execnz .LBB400_1592
	s_branch .LBB400_1593
.LBB400_2046:
	s_trap 2
	s_sendmsg_rtn_b32 s0, sendmsg(MSG_RTN_GET_DOORBELL)
	s_mov_b32 ttmp2, m0
	s_waitcnt lgkmcnt(0)
	s_and_b32 s0, s0, 0x3ff
	s_delay_alu instid0(SALU_CYCLE_1) | instskip(NEXT) | instid1(SALU_CYCLE_1)
	s_bitset1_b32 s0, 10
	s_mov_b32 m0, s0
	s_sendmsg sendmsg(MSG_INTERRUPT)
	s_mov_b32 m0, ttmp2
.LBB400_2047:                           ; =>This Inner Loop Header: Depth=1
	s_sethalt 5
	s_branch .LBB400_2047
.LBB400_2048:
	s_cbranch_execnz .LBB400_2054
; %bb.2049:
	s_or_b32 s1, s1, exec_lo
	s_cbranch_execz .LBB400_1639
	s_branch .LBB400_1640
.LBB400_2050:
	s_or_saveexec_b32 s7, s7
                                        ; implicit-def: $sgpr9
	s_delay_alu instid0(SALU_CYCLE_1)
	s_xor_b32 exec_lo, exec_lo, s7
	s_cbranch_execz .LBB400_1604
.LBB400_2051:
	v_add_f32_e64 v3, 0x42800000, |v2|
	s_and_not1_b32 s6, s6, exec_lo
	s_mov_b32 s9, 0
	s_delay_alu instid0(VALU_DEP_1) | instskip(NEXT) | instid1(VALU_DEP_1)
	v_and_b32_e32 v3, 0xff, v3
	v_cmp_ne_u32_e32 vcc_lo, 0, v3
	s_and_b32 s10, vcc_lo, exec_lo
	s_delay_alu instid0(SALU_CYCLE_1)
	s_or_b32 s6, s6, s10
	s_or_b32 exec_lo, exec_lo, s7
	v_mov_b32_e32 v10, s9
	s_and_saveexec_b32 s7, s6
	s_cbranch_execnz .LBB400_1605
	s_branch .LBB400_1606
.LBB400_2052:
	s_or_saveexec_b32 s9, s9
                                        ; implicit-def: $sgpr10
	s_delay_alu instid0(SALU_CYCLE_1)
	s_xor_b32 exec_lo, exec_lo, s9
	s_cbranch_execz .LBB400_1710
.LBB400_2053:
	v_add_f32_e64 v3, 0x46000000, |v2|
	s_and_not1_b32 s8, s8, exec_lo
	s_mov_b32 s10, 0
	s_delay_alu instid0(VALU_DEP_1) | instskip(NEXT) | instid1(VALU_DEP_1)
	v_and_b32_e32 v3, 0xff, v3
	v_cmp_ne_u32_e32 vcc_lo, 0, v3
	s_and_b32 s12, vcc_lo, exec_lo
	s_delay_alu instid0(SALU_CYCLE_1)
	s_or_b32 s8, s8, s12
	s_or_b32 exec_lo, exec_lo, s9
	v_mov_b32_e32 v7, s10
	s_and_saveexec_b32 s9, s8
	s_cbranch_execnz .LBB400_1711
	s_branch .LBB400_1712
.LBB400_2054:
	s_trap 2
	s_sendmsg_rtn_b32 s0, sendmsg(MSG_RTN_GET_DOORBELL)
	s_mov_b32 ttmp2, m0
	s_waitcnt lgkmcnt(0)
	s_and_b32 s0, s0, 0x3ff
	s_delay_alu instid0(SALU_CYCLE_1) | instskip(NEXT) | instid1(SALU_CYCLE_1)
	s_bitset1_b32 s0, 10
	s_mov_b32 m0, s0
	s_sendmsg sendmsg(MSG_INTERRUPT)
	s_mov_b32 m0, ttmp2
.LBB400_2055:                           ; =>This Inner Loop Header: Depth=1
	s_sethalt 5
	s_branch .LBB400_2055
.LBB400_2056:
	s_cbranch_execnz .LBB400_2062
; %bb.2057:
	s_or_b32 s1, s1, exec_lo
	s_cbranch_execz .LBB400_1758
	s_branch .LBB400_1759
.LBB400_2058:
	s_or_saveexec_b32 s8, s8
                                        ; implicit-def: $sgpr9
	s_delay_alu instid0(SALU_CYCLE_1)
	s_xor_b32 exec_lo, exec_lo, s8
	s_cbranch_execz .LBB400_1723
.LBB400_2059:
	v_add_f32_e64 v3, 0x42800000, |v2|
	s_and_not1_b32 s7, s7, exec_lo
	s_mov_b32 s9, 0
	s_delay_alu instid0(VALU_DEP_1) | instskip(NEXT) | instid1(VALU_DEP_1)
	v_and_b32_e32 v3, 0xff, v3
	v_cmp_ne_u32_e32 vcc_lo, 0, v3
	s_and_b32 s10, vcc_lo, exec_lo
	s_delay_alu instid0(SALU_CYCLE_1)
	s_or_b32 s7, s7, s10
	s_or_b32 exec_lo, exec_lo, s8
	v_mov_b32_e32 v7, s9
	s_and_saveexec_b32 s8, s7
	s_cbranch_execnz .LBB400_1724
	s_branch .LBB400_1725
.LBB400_2060:
	s_or_saveexec_b32 s9, s9
                                        ; implicit-def: $sgpr10
	s_delay_alu instid0(SALU_CYCLE_1)
	s_xor_b32 exec_lo, exec_lo, s9
	s_cbranch_execz .LBB400_1829
.LBB400_2061:
	v_add_f32_e64 v3, 0x46000000, |v2|
	s_and_not1_b32 s8, s8, exec_lo
	s_mov_b32 s10, 0
	s_delay_alu instid0(VALU_DEP_1) | instskip(NEXT) | instid1(VALU_DEP_1)
	v_and_b32_e32 v3, 0xff, v3
	v_cmp_ne_u32_e32 vcc_lo, 0, v3
	s_and_b32 s12, vcc_lo, exec_lo
	s_delay_alu instid0(SALU_CYCLE_1)
	s_or_b32 s8, s8, s12
	s_or_b32 exec_lo, exec_lo, s9
	v_mov_b32_e32 v7, s10
	s_and_saveexec_b32 s9, s8
	s_cbranch_execnz .LBB400_1830
	s_branch .LBB400_1831
.LBB400_2062:
	s_trap 2
	s_sendmsg_rtn_b32 s0, sendmsg(MSG_RTN_GET_DOORBELL)
	s_mov_b32 ttmp2, m0
	s_waitcnt lgkmcnt(0)
	s_and_b32 s0, s0, 0x3ff
	s_delay_alu instid0(SALU_CYCLE_1) | instskip(NEXT) | instid1(SALU_CYCLE_1)
	s_bitset1_b32 s0, 10
	s_mov_b32 m0, s0
	s_sendmsg sendmsg(MSG_INTERRUPT)
	s_mov_b32 m0, ttmp2
.LBB400_2063:                           ; =>This Inner Loop Header: Depth=1
	s_sethalt 5
	s_branch .LBB400_2063
.LBB400_2064:
	s_cbranch_execnz .LBB400_2070
; %bb.2065:
	s_or_b32 s1, s1, exec_lo
	s_cbranch_execz .LBB400_1877
	s_branch .LBB400_1878
.LBB400_2066:
	s_or_saveexec_b32 s8, s8
                                        ; implicit-def: $sgpr9
	s_delay_alu instid0(SALU_CYCLE_1)
	s_xor_b32 exec_lo, exec_lo, s8
	s_cbranch_execz .LBB400_1842
.LBB400_2067:
	v_add_f32_e64 v3, 0x42800000, |v2|
	s_and_not1_b32 s7, s7, exec_lo
	s_mov_b32 s9, 0
	s_delay_alu instid0(VALU_DEP_1) | instskip(NEXT) | instid1(VALU_DEP_1)
	v_and_b32_e32 v3, 0xff, v3
	v_cmp_ne_u32_e32 vcc_lo, 0, v3
	s_and_b32 s10, vcc_lo, exec_lo
	s_delay_alu instid0(SALU_CYCLE_1)
	s_or_b32 s7, s7, s10
	s_or_b32 exec_lo, exec_lo, s8
	v_mov_b32_e32 v7, s9
	s_and_saveexec_b32 s8, s7
	s_cbranch_execnz .LBB400_1843
	s_branch .LBB400_1844
.LBB400_2068:
	s_or_saveexec_b32 s6, s6
                                        ; implicit-def: $sgpr7
	s_delay_alu instid0(SALU_CYCLE_1)
	s_xor_b32 exec_lo, exec_lo, s6
	s_cbranch_execz .LBB400_1949
.LBB400_2069:
	v_add_f32_e64 v3, 0x46000000, |v2|
	s_and_not1_b32 s5, s5, exec_lo
	s_mov_b32 s7, 0
	s_delay_alu instid0(VALU_DEP_1) | instskip(NEXT) | instid1(VALU_DEP_1)
	v_and_b32_e32 v3, 0xff, v3
	v_cmp_ne_u32_e32 vcc_lo, 0, v3
	s_and_b32 s8, vcc_lo, exec_lo
	s_delay_alu instid0(SALU_CYCLE_1)
	s_or_b32 s5, s5, s8
	s_or_b32 exec_lo, exec_lo, s6
	v_mov_b32_e32 v4, s7
	s_and_saveexec_b32 s6, s5
	s_cbranch_execnz .LBB400_1950
	s_branch .LBB400_1951
.LBB400_2070:
	s_trap 2
	s_sendmsg_rtn_b32 s0, sendmsg(MSG_RTN_GET_DOORBELL)
	s_mov_b32 ttmp2, m0
	s_waitcnt lgkmcnt(0)
	s_and_b32 s0, s0, 0x3ff
	s_delay_alu instid0(SALU_CYCLE_1) | instskip(NEXT) | instid1(SALU_CYCLE_1)
	s_bitset1_b32 s0, 10
	s_mov_b32 m0, s0
	s_sendmsg sendmsg(MSG_INTERRUPT)
	s_mov_b32 m0, ttmp2
.LBB400_2071:                           ; =>This Inner Loop Header: Depth=1
	s_sethalt 5
	s_branch .LBB400_2071
.LBB400_2072:
	s_cbranch_execnz .LBB400_2076
; %bb.2073:
	s_mov_b32 s2, 0
	s_or_b32 s1, s1, exec_lo
	s_branch .LBB400_1995
.LBB400_2074:
	s_or_saveexec_b32 s5, s5
                                        ; implicit-def: $sgpr6
	s_delay_alu instid0(SALU_CYCLE_1)
	s_xor_b32 exec_lo, exec_lo, s5
	s_cbranch_execz .LBB400_1961
.LBB400_2075:
	v_add_f32_e64 v3, 0x42800000, |v2|
	s_and_not1_b32 s4, s4, exec_lo
	s_mov_b32 s6, 0
	s_delay_alu instid0(VALU_DEP_1) | instskip(NEXT) | instid1(VALU_DEP_1)
	v_and_b32_e32 v3, 0xff, v3
	v_cmp_ne_u32_e32 vcc_lo, 0, v3
	s_and_b32 s7, vcc_lo, exec_lo
	s_delay_alu instid0(SALU_CYCLE_1)
	s_or_b32 s4, s4, s7
	s_or_b32 exec_lo, exec_lo, s5
	v_mov_b32_e32 v4, s6
	s_and_saveexec_b32 s5, s4
	s_cbranch_execnz .LBB400_1962
	s_branch .LBB400_1963
.LBB400_2076:
	s_trap 2
	s_sendmsg_rtn_b32 s0, sendmsg(MSG_RTN_GET_DOORBELL)
	s_mov_b32 ttmp2, m0
	s_waitcnt lgkmcnt(0)
	s_and_b32 s0, s0, 0x3ff
	s_delay_alu instid0(SALU_CYCLE_1) | instskip(NEXT) | instid1(SALU_CYCLE_1)
	s_bitset1_b32 s0, 10
	s_mov_b32 m0, s0
	s_sendmsg sendmsg(MSG_INTERRUPT)
	s_mov_b32 m0, ttmp2
.LBB400_2077:                           ; =>This Inner Loop Header: Depth=1
	s_sethalt 5
	s_branch .LBB400_2077
	.section	.rodata,"a",@progbits
	.p2align	6, 0x0
	.amdhsa_kernel _ZN2at6native32elementwise_kernel_manual_unrollILi128ELi4EZNS0_15gpu_kernel_implIZZZNS0_21clamp_min_kernel_cudaERNS_18TensorIteratorBaseERKN3c106ScalarEENKUlvE_clEvENKUlvE5_clEvEUlfE_EEvS4_RKT_EUlibE_EEviT1_
		.amdhsa_group_segment_fixed_size 0
		.amdhsa_private_segment_fixed_size 0
		.amdhsa_kernarg_size 40
		.amdhsa_user_sgpr_count 15
		.amdhsa_user_sgpr_dispatch_ptr 0
		.amdhsa_user_sgpr_queue_ptr 0
		.amdhsa_user_sgpr_kernarg_segment_ptr 1
		.amdhsa_user_sgpr_dispatch_id 0
		.amdhsa_user_sgpr_private_segment_size 0
		.amdhsa_wavefront_size32 1
		.amdhsa_uses_dynamic_stack 0
		.amdhsa_enable_private_segment 0
		.amdhsa_system_sgpr_workgroup_id_x 1
		.amdhsa_system_sgpr_workgroup_id_y 0
		.amdhsa_system_sgpr_workgroup_id_z 0
		.amdhsa_system_sgpr_workgroup_info 0
		.amdhsa_system_vgpr_workitem_id 0
		.amdhsa_next_free_vgpr 14
		.amdhsa_next_free_sgpr 26
		.amdhsa_reserve_vcc 1
		.amdhsa_float_round_mode_32 0
		.amdhsa_float_round_mode_16_64 0
		.amdhsa_float_denorm_mode_32 3
		.amdhsa_float_denorm_mode_16_64 3
		.amdhsa_dx10_clamp 1
		.amdhsa_ieee_mode 1
		.amdhsa_fp16_overflow 0
		.amdhsa_workgroup_processor_mode 1
		.amdhsa_memory_ordered 1
		.amdhsa_forward_progress 0
		.amdhsa_shared_vgpr_count 0
		.amdhsa_exception_fp_ieee_invalid_op 0
		.amdhsa_exception_fp_denorm_src 0
		.amdhsa_exception_fp_ieee_div_zero 0
		.amdhsa_exception_fp_ieee_overflow 0
		.amdhsa_exception_fp_ieee_underflow 0
		.amdhsa_exception_fp_ieee_inexact 0
		.amdhsa_exception_int_div_zero 0
	.end_amdhsa_kernel
	.section	.text._ZN2at6native32elementwise_kernel_manual_unrollILi128ELi4EZNS0_15gpu_kernel_implIZZZNS0_21clamp_min_kernel_cudaERNS_18TensorIteratorBaseERKN3c106ScalarEENKUlvE_clEvENKUlvE5_clEvEUlfE_EEvS4_RKT_EUlibE_EEviT1_,"axG",@progbits,_ZN2at6native32elementwise_kernel_manual_unrollILi128ELi4EZNS0_15gpu_kernel_implIZZZNS0_21clamp_min_kernel_cudaERNS_18TensorIteratorBaseERKN3c106ScalarEENKUlvE_clEvENKUlvE5_clEvEUlfE_EEvS4_RKT_EUlibE_EEviT1_,comdat
.Lfunc_end400:
	.size	_ZN2at6native32elementwise_kernel_manual_unrollILi128ELi4EZNS0_15gpu_kernel_implIZZZNS0_21clamp_min_kernel_cudaERNS_18TensorIteratorBaseERKN3c106ScalarEENKUlvE_clEvENKUlvE5_clEvEUlfE_EEvS4_RKT_EUlibE_EEviT1_, .Lfunc_end400-_ZN2at6native32elementwise_kernel_manual_unrollILi128ELi4EZNS0_15gpu_kernel_implIZZZNS0_21clamp_min_kernel_cudaERNS_18TensorIteratorBaseERKN3c106ScalarEENKUlvE_clEvENKUlvE5_clEvEUlfE_EEvS4_RKT_EUlibE_EEviT1_
                                        ; -- End function
	.section	.AMDGPU.csdata,"",@progbits
; Kernel info:
; codeLenInByte = 35740
; NumSgprs: 28
; NumVgprs: 14
; ScratchSize: 0
; MemoryBound: 1
; FloatMode: 240
; IeeeMode: 1
; LDSByteSize: 0 bytes/workgroup (compile time only)
; SGPRBlocks: 3
; VGPRBlocks: 1
; NumSGPRsForWavesPerEU: 28
; NumVGPRsForWavesPerEU: 14
; Occupancy: 16
; WaveLimiterHint : 0
; COMPUTE_PGM_RSRC2:SCRATCH_EN: 0
; COMPUTE_PGM_RSRC2:USER_SGPR: 15
; COMPUTE_PGM_RSRC2:TRAP_HANDLER: 0
; COMPUTE_PGM_RSRC2:TGID_X_EN: 1
; COMPUTE_PGM_RSRC2:TGID_Y_EN: 0
; COMPUTE_PGM_RSRC2:TGID_Z_EN: 0
; COMPUTE_PGM_RSRC2:TIDIG_COMP_CNT: 0
	.section	.text._ZN2at6native32elementwise_kernel_manual_unrollILi128ELi4EZNS0_15gpu_kernel_implIZZZNS0_21clamp_min_kernel_cudaERNS_18TensorIteratorBaseERKN3c106ScalarEENKUlvE_clEvENKUlvE5_clEvEUlfE_EEvS4_RKT_EUlibE0_EEviT1_,"axG",@progbits,_ZN2at6native32elementwise_kernel_manual_unrollILi128ELi4EZNS0_15gpu_kernel_implIZZZNS0_21clamp_min_kernel_cudaERNS_18TensorIteratorBaseERKN3c106ScalarEENKUlvE_clEvENKUlvE5_clEvEUlfE_EEvS4_RKT_EUlibE0_EEviT1_,comdat
	.globl	_ZN2at6native32elementwise_kernel_manual_unrollILi128ELi4EZNS0_15gpu_kernel_implIZZZNS0_21clamp_min_kernel_cudaERNS_18TensorIteratorBaseERKN3c106ScalarEENKUlvE_clEvENKUlvE5_clEvEUlfE_EEvS4_RKT_EUlibE0_EEviT1_ ; -- Begin function _ZN2at6native32elementwise_kernel_manual_unrollILi128ELi4EZNS0_15gpu_kernel_implIZZZNS0_21clamp_min_kernel_cudaERNS_18TensorIteratorBaseERKN3c106ScalarEENKUlvE_clEvENKUlvE5_clEvEUlfE_EEvS4_RKT_EUlibE0_EEviT1_
	.p2align	8
	.type	_ZN2at6native32elementwise_kernel_manual_unrollILi128ELi4EZNS0_15gpu_kernel_implIZZZNS0_21clamp_min_kernel_cudaERNS_18TensorIteratorBaseERKN3c106ScalarEENKUlvE_clEvENKUlvE5_clEvEUlfE_EEvS4_RKT_EUlibE0_EEviT1_,@function
_ZN2at6native32elementwise_kernel_manual_unrollILi128ELi4EZNS0_15gpu_kernel_implIZZZNS0_21clamp_min_kernel_cudaERNS_18TensorIteratorBaseERKN3c106ScalarEENKUlvE_clEvENKUlvE5_clEvEUlfE_EEvS4_RKT_EUlibE0_EEviT1_: ; @_ZN2at6native32elementwise_kernel_manual_unrollILi128ELi4EZNS0_15gpu_kernel_implIZZZNS0_21clamp_min_kernel_cudaERNS_18TensorIteratorBaseERKN3c106ScalarEENKUlvE_clEvENKUlvE5_clEvEUlfE_EEvS4_RKT_EUlibE0_EEviT1_
; %bb.0:
	s_clause 0x1
	s_load_b32 s26, s[0:1], 0x8
	s_load_b32 s33, s[0:1], 0x0
	v_lshl_or_b32 v5, s15, 9, v0
	s_or_b32 s16, s0, 8
	s_mov_b32 s3, -1
	s_mov_b32 s28, 0
	s_mov_b32 s17, s1
	v_or_b32_e32 v8, 0x180, v5
	s_mov_b32 s8, 0
	s_mov_b32 s2, exec_lo
	s_waitcnt lgkmcnt(0)
	s_add_i32 s27, s26, -1
	s_delay_alu instid0(SALU_CYCLE_1)
	s_cmp_gt_u32 s27, 1
	s_cselect_b32 s29, -1, 0
	v_cmpx_le_i32_e64 s33, v8
	s_xor_b32 s30, exec_lo, s2
	s_cbranch_execz .LBB401_1076
; %bb.1:
	s_clause 0x4
	s_load_b64 s[18:19], s[16:17], 0x158
	s_load_b128 s[12:15], s[16:17], 0x4
	s_load_b64 s[20:21], s[16:17], 0x14
	s_load_b128 s[8:11], s[16:17], 0xc4
	s_load_b128 s[4:7], s[16:17], 0x148
	s_cmp_lg_u32 s26, 0
	s_mov_b32 s39, 0
	s_cselect_b32 s35, -1, 0
	s_add_u32 s22, s16, 0xc4
	s_addc_u32 s23, s17, 0
	s_min_u32 s34, s27, 15
	s_cmp_gt_u32 s26, 1
	s_mov_b32 s37, 0
	s_cselect_b32 s31, -1, 0
	s_mov_b32 s36, 0
	s_mov_b32 s38, exec_lo
	s_waitcnt lgkmcnt(0)
	v_lshrrev_b16 v4, 8, s19
	v_cmpx_gt_i32_e64 s33, v5
	s_cbranch_execz .LBB401_263
; %bb.2:
	s_and_not1_b32 vcc_lo, exec_lo, s29
	s_cbranch_vccnz .LBB401_7
; %bb.3:
	v_dual_mov_b32 v0, 0 :: v_dual_mov_b32 v1, 0
	s_and_not1_b32 vcc_lo, exec_lo, s35
	s_cbranch_vccnz .LBB401_12
; %bb.4:
	v_mov_b32_e32 v0, 0
	s_add_i32 s40, s34, 1
	s_cmp_eq_u32 s27, 2
	s_cbranch_scc1 .LBB401_8
; %bb.5:
	v_dual_mov_b32 v1, 0 :: v_dual_mov_b32 v0, 0
	v_mov_b32_e32 v2, v5
	s_and_b32 s37, s40, 28
	s_mov_b32 s41, 0
	s_mov_b64 s[2:3], s[22:23]
	s_mov_b64 s[24:25], s[16:17]
.LBB401_6:                              ; =>This Inner Loop Header: Depth=1
	s_clause 0x1
	s_load_b256 s[44:51], s[24:25], 0x4
	s_load_b128 s[60:63], s[24:25], 0x24
	s_load_b256 s[52:59], s[2:3], 0x0
	s_add_u32 s24, s24, 48
	s_addc_u32 s25, s25, 0
	s_add_i32 s41, s41, 4
	s_add_u32 s2, s2, 32
	s_addc_u32 s3, s3, 0
	s_cmp_lg_u32 s37, s41
	s_waitcnt lgkmcnt(0)
	v_mul_hi_u32 v3, s45, v2
	s_delay_alu instid0(VALU_DEP_1) | instskip(NEXT) | instid1(VALU_DEP_1)
	v_add_nc_u32_e32 v3, v2, v3
	v_lshrrev_b32_e32 v3, s46, v3
	s_delay_alu instid0(VALU_DEP_1) | instskip(SKIP_1) | instid1(VALU_DEP_2)
	v_mul_hi_u32 v6, s48, v3
	v_mul_lo_u32 v8, v3, s44
	v_add_nc_u32_e32 v6, v3, v6
	s_delay_alu instid0(VALU_DEP_2) | instskip(NEXT) | instid1(VALU_DEP_2)
	v_sub_nc_u32_e32 v2, v2, v8
	v_lshrrev_b32_e32 v6, s49, v6
	s_delay_alu instid0(VALU_DEP_2) | instskip(SKIP_1) | instid1(VALU_DEP_3)
	v_mul_lo_u32 v8, v2, s52
	v_mul_lo_u32 v10, v2, s53
	v_mul_hi_u32 v7, s51, v6
	s_delay_alu instid0(VALU_DEP_1) | instskip(NEXT) | instid1(VALU_DEP_1)
	v_add_nc_u32_e32 v7, v6, v7
	v_lshrrev_b32_e32 v7, s60, v7
	s_delay_alu instid0(VALU_DEP_1) | instskip(SKIP_1) | instid1(VALU_DEP_2)
	v_mul_hi_u32 v9, s62, v7
	v_mul_lo_u32 v11, v7, s50
	v_add_nc_u32_e32 v2, v7, v9
	v_mul_lo_u32 v9, v6, s47
	s_delay_alu instid0(VALU_DEP_3) | instskip(NEXT) | instid1(VALU_DEP_3)
	v_sub_nc_u32_e32 v6, v6, v11
	v_lshrrev_b32_e32 v2, s63, v2
	s_delay_alu instid0(VALU_DEP_2) | instskip(SKIP_2) | instid1(VALU_DEP_4)
	v_mul_lo_u32 v11, v6, s56
	v_mul_lo_u32 v6, v6, s57
	v_sub_nc_u32_e32 v3, v3, v9
	v_mul_lo_u32 v12, v2, s61
	s_delay_alu instid0(VALU_DEP_2) | instskip(SKIP_1) | instid1(VALU_DEP_3)
	v_mul_lo_u32 v9, v3, s54
	v_mul_lo_u32 v3, v3, s55
	v_sub_nc_u32_e32 v7, v7, v12
	s_delay_alu instid0(VALU_DEP_3) | instskip(NEXT) | instid1(VALU_DEP_2)
	v_add3_u32 v0, v8, v0, v9
	v_mul_lo_u32 v12, v7, s58
	v_mul_lo_u32 v7, v7, s59
	v_add3_u32 v1, v10, v1, v3
	s_delay_alu instid0(VALU_DEP_3) | instskip(NEXT) | instid1(VALU_DEP_2)
	v_add3_u32 v0, v11, v0, v12
	v_add3_u32 v1, v6, v1, v7
	s_cbranch_scc1 .LBB401_6
	s_branch .LBB401_9
.LBB401_7:
	s_mov_b32 s36, -1
                                        ; implicit-def: $vgpr0
                                        ; implicit-def: $vgpr1
	s_branch .LBB401_12
.LBB401_8:
	v_dual_mov_b32 v2, v5 :: v_dual_mov_b32 v1, 0
.LBB401_9:
	s_and_b32 s40, s40, 3
	s_delay_alu instid0(SALU_CYCLE_1)
	s_cmp_eq_u32 s40, 0
	s_cbranch_scc1 .LBB401_12
; %bb.10:
	s_lshl_b32 s2, s37, 3
	s_mul_i32 s24, s37, 12
	s_add_u32 s2, s2, s16
	s_addc_u32 s3, s17, 0
	s_add_u32 s2, s2, 0xc4
	s_addc_u32 s3, s3, 0
	;; [unrolled: 2-line block ×3, first 2 shown]
	.p2align	6
.LBB401_11:                             ; =>This Inner Loop Header: Depth=1
	s_clause 0x1
	s_load_b64 s[42:43], s[24:25], 0x4
	s_load_b32 s37, s[24:25], 0xc
	s_load_b64 s[44:45], s[2:3], 0x0
	s_add_u32 s24, s24, 12
	s_addc_u32 s25, s25, 0
	s_add_u32 s2, s2, 8
	s_addc_u32 s3, s3, 0
	s_add_i32 s40, s40, -1
	s_delay_alu instid0(SALU_CYCLE_1) | instskip(SKIP_2) | instid1(VALU_DEP_1)
	s_cmp_lg_u32 s40, 0
	s_waitcnt lgkmcnt(0)
	v_mul_hi_u32 v3, s43, v2
	v_add_nc_u32_e32 v3, v2, v3
	s_delay_alu instid0(VALU_DEP_1) | instskip(NEXT) | instid1(VALU_DEP_1)
	v_lshrrev_b32_e32 v3, s37, v3
	v_mul_lo_u32 v6, v3, s42
	s_delay_alu instid0(VALU_DEP_1) | instskip(NEXT) | instid1(VALU_DEP_1)
	v_sub_nc_u32_e32 v2, v2, v6
	v_mad_u64_u32 v[6:7], null, v2, s44, v[0:1]
	v_mad_u64_u32 v[7:8], null, v2, s45, v[1:2]
	v_mov_b32_e32 v2, v3
	s_delay_alu instid0(VALU_DEP_2)
	v_dual_mov_b32 v0, v6 :: v_dual_mov_b32 v1, v7
	s_cbranch_scc1 .LBB401_11
.LBB401_12:
	s_and_not1_b32 vcc_lo, exec_lo, s36
	s_cbranch_vccnz .LBB401_15
; %bb.13:
	v_mul_hi_u32 v0, s13, v5
	s_and_not1_b32 vcc_lo, exec_lo, s31
	s_delay_alu instid0(VALU_DEP_1) | instskip(NEXT) | instid1(VALU_DEP_1)
	v_add_nc_u32_e32 v0, v5, v0
	v_lshrrev_b32_e32 v2, s14, v0
	s_delay_alu instid0(VALU_DEP_1) | instskip(NEXT) | instid1(VALU_DEP_1)
	v_mul_lo_u32 v0, v2, s12
	v_sub_nc_u32_e32 v1, v5, v0
	s_delay_alu instid0(VALU_DEP_1)
	v_mul_lo_u32 v0, v1, s8
	v_mul_lo_u32 v1, v1, s9
	s_cbranch_vccnz .LBB401_15
; %bb.14:
	v_mul_hi_u32 v3, s20, v2
	s_delay_alu instid0(VALU_DEP_1) | instskip(NEXT) | instid1(VALU_DEP_1)
	v_add_nc_u32_e32 v3, v2, v3
	v_lshrrev_b32_e32 v3, s21, v3
	s_delay_alu instid0(VALU_DEP_1) | instskip(NEXT) | instid1(VALU_DEP_1)
	v_mul_lo_u32 v3, v3, s15
	v_sub_nc_u32_e32 v8, v2, v3
	s_delay_alu instid0(VALU_DEP_1) | instskip(NEXT) | instid1(VALU_DEP_1)
	v_mad_u64_u32 v[2:3], null, v8, s10, v[0:1]
	v_mad_u64_u32 v[6:7], null, v8, s11, v[1:2]
	v_mov_b32_e32 v0, v2
	s_delay_alu instid0(VALU_DEP_2)
	v_mov_b32_e32 v1, v6
.LBB401_15:
	v_cmp_gt_i16_e32 vcc_lo, 11, v4
	s_delay_alu instid0(VALU_DEP_2) | instskip(NEXT) | instid1(VALU_DEP_1)
	v_add_co_u32 v1, s2, s6, v1
	v_add_co_ci_u32_e64 v2, null, s7, 0, s2
	s_mov_b32 s3, 0
	s_cbranch_vccnz .LBB401_22
; %bb.16:
	v_cmp_lt_i16_e32 vcc_lo, 25, v4
	s_cbranch_vccz .LBB401_141
; %bb.17:
	v_cmp_lt_i16_e32 vcc_lo, 28, v4
	s_cbranch_vccz .LBB401_142
	;; [unrolled: 3-line block ×4, first 2 shown]
; %bb.20:
	v_cmp_eq_u16_e32 vcc_lo, 46, v4
	s_mov_b32 s24, 0
	s_cbranch_vccz .LBB401_145
; %bb.21:
	global_load_b32 v3, v[1:2], off
	s_mov_b32 s2, -1
	s_waitcnt vmcnt(0)
	v_lshlrev_b32_e32 v3, 16, v3
	s_branch .LBB401_147
.LBB401_22:
	s_mov_b32 s2, 0
                                        ; implicit-def: $vgpr3
	s_cbranch_execnz .LBB401_213
.LBB401_23:
	s_and_not1_b32 vcc_lo, exec_lo, s2
	s_cbranch_vccnz .LBB401_260
.LBB401_24:
	v_max_f32_e64 v1, s18, s18
	s_waitcnt vmcnt(0)
	s_delay_alu instid0(VALU_DEP_2)
	v_max_f32_e32 v2, v3, v3
	v_and_b32_e64 v6, 0xff, s19
	v_cmp_u_f32_e64 s2, v3, v3
	s_mov_b32 s24, 0
	s_mov_b32 s25, -1
	v_max_f32_e32 v1, v2, v1
	v_cmp_gt_i16_e32 vcc_lo, 11, v6
	s_delay_alu instid0(VALU_DEP_2) | instskip(SKIP_1) | instid1(VALU_DEP_1)
	v_cndmask_b32_e64 v2, v1, v3, s2
	v_add_co_u32 v0, s2, s4, v0
	v_add_co_ci_u32_e64 v1, null, s5, 0, s2
	s_mov_b32 s2, 0
	s_cbranch_vccnz .LBB401_101
; %bb.25:
	v_cmp_lt_i16_e32 vcc_lo, 25, v6
	s_cbranch_vccz .LBB401_58
; %bb.26:
	v_cmp_lt_i16_e32 vcc_lo, 28, v6
	s_cbranch_vccz .LBB401_41
	;; [unrolled: 3-line block ×4, first 2 shown]
; %bb.29:
	v_cmp_eq_u16_e32 vcc_lo, 46, v6
	s_mov_b32 s25, 0
	s_mov_b32 s24, -1
	s_cbranch_vccz .LBB401_31
; %bb.30:
	v_bfe_u32 v3, v2, 16, 1
	v_cmp_o_f32_e32 vcc_lo, v2, v2
	s_mov_b32 s2, -1
	s_mov_b32 s24, 0
	s_delay_alu instid0(VALU_DEP_2) | instskip(NEXT) | instid1(VALU_DEP_1)
	v_add3_u32 v3, v2, v3, 0x7fff
	v_lshrrev_b32_e32 v3, 16, v3
	s_delay_alu instid0(VALU_DEP_1)
	v_cndmask_b32_e32 v3, 0x7fc0, v3, vcc_lo
	global_store_b32 v[0:1], v3, off
.LBB401_31:
	s_and_b32 vcc_lo, exec_lo, s25
	s_cbranch_vccz .LBB401_36
; %bb.32:
	v_cmp_eq_u16_e32 vcc_lo, 44, v6
	s_mov_b32 s24, -1
	s_cbranch_vccz .LBB401_36
; %bb.33:
	v_bfe_u32 v7, v2, 23, 8
	v_mov_b32_e32 v3, 0xff
	s_mov_b32 s24, exec_lo
	s_delay_alu instid0(VALU_DEP_2)
	v_cmpx_ne_u32_e32 0xff, v7
; %bb.34:
	v_and_b32_e32 v3, 0x400000, v2
	v_and_or_b32 v7, 0x3fffff, v2, v7
	s_delay_alu instid0(VALU_DEP_2) | instskip(NEXT) | instid1(VALU_DEP_2)
	v_cmp_ne_u32_e32 vcc_lo, 0, v3
	v_cmp_ne_u32_e64 s2, 0, v7
	v_lshrrev_b32_e32 v3, 23, v2
	s_delay_alu instid0(VALU_DEP_2) | instskip(NEXT) | instid1(SALU_CYCLE_1)
	s_and_b32 s2, vcc_lo, s2
	v_cndmask_b32_e64 v7, 0, 1, s2
	s_delay_alu instid0(VALU_DEP_1)
	v_add_nc_u32_e32 v3, v3, v7
; %bb.35:
	s_or_b32 exec_lo, exec_lo, s24
	s_mov_b32 s2, -1
	s_mov_b32 s24, 0
	global_store_b8 v[0:1], v3, off
.LBB401_36:
	s_mov_b32 s25, 0
.LBB401_37:
	s_delay_alu instid0(SALU_CYCLE_1)
	s_and_b32 vcc_lo, exec_lo, s25
	s_cbranch_vccz .LBB401_40
; %bb.38:
	v_cmp_eq_u16_e32 vcc_lo, 29, v6
	s_mov_b32 s24, -1
	s_cbranch_vccz .LBB401_40
; %bb.39:
	v_trunc_f32_e32 v3, v2
	s_mov_b32 s2, -1
	s_mov_b32 s24, 0
	s_delay_alu instid0(VALU_DEP_1) | instskip(NEXT) | instid1(VALU_DEP_1)
	v_mul_f32_e32 v7, 0x2f800000, v3
	v_floor_f32_e32 v7, v7
	s_delay_alu instid0(VALU_DEP_1) | instskip(SKIP_1) | instid1(VALU_DEP_2)
	v_fmamk_f32 v3, v7, 0xcf800000, v3
	v_cvt_u32_f32_e32 v8, v7
	v_cvt_u32_f32_e32 v7, v3
	global_store_b64 v[0:1], v[7:8], off
.LBB401_40:
	s_mov_b32 s25, 0
.LBB401_41:
	s_delay_alu instid0(SALU_CYCLE_1)
	s_and_b32 vcc_lo, exec_lo, s25
	s_cbranch_vccz .LBB401_57
; %bb.42:
	v_cmp_gt_i16_e32 vcc_lo, 27, v6
	s_mov_b32 s2, -1
	s_cbranch_vccnz .LBB401_48
; %bb.43:
	v_cmp_lt_i16_e32 vcc_lo, 27, v6
	s_cbranch_vccz .LBB401_45
; %bb.44:
	v_cvt_u32_f32_e32 v3, v2
	s_mov_b32 s2, 0
	global_store_b32 v[0:1], v3, off
.LBB401_45:
	s_and_not1_b32 vcc_lo, exec_lo, s2
	s_cbranch_vccnz .LBB401_47
; %bb.46:
	v_cvt_u32_f32_e32 v3, v2
	global_store_b16 v[0:1], v3, off
.LBB401_47:
	s_mov_b32 s2, 0
.LBB401_48:
	s_delay_alu instid0(SALU_CYCLE_1)
	s_and_not1_b32 vcc_lo, exec_lo, s2
	s_cbranch_vccnz .LBB401_56
; %bb.49:
	v_and_b32_e32 v3, 0x7fffffff, v2
	v_mov_b32_e32 v7, 0x80
	s_mov_b32 s2, exec_lo
	s_delay_alu instid0(VALU_DEP_2)
	v_cmpx_gt_u32_e32 0x43800000, v3
	s_cbranch_execz .LBB401_55
; %bb.50:
	v_cmp_lt_u32_e32 vcc_lo, 0x3bffffff, v3
	s_mov_b32 s25, 0
                                        ; implicit-def: $vgpr3
	s_and_saveexec_b32 s36, vcc_lo
	s_delay_alu instid0(SALU_CYCLE_1)
	s_xor_b32 s36, exec_lo, s36
	s_cbranch_execz .LBB401_150
; %bb.51:
	v_bfe_u32 v3, v2, 20, 1
	s_mov_b32 s25, exec_lo
	s_delay_alu instid0(VALU_DEP_1) | instskip(NEXT) | instid1(VALU_DEP_1)
	v_add3_u32 v3, v2, v3, 0x487ffff
	v_lshrrev_b32_e32 v3, 20, v3
	s_or_saveexec_b32 s36, s36
                                        ; implicit-def: $sgpr37
	s_delay_alu instid0(SALU_CYCLE_1)
	s_xor_b32 exec_lo, exec_lo, s36
	s_cbranch_execnz .LBB401_151
.LBB401_52:
	s_or_b32 exec_lo, exec_lo, s36
	v_mov_b32_e32 v7, s37
	s_and_saveexec_b32 s36, s25
.LBB401_53:
	v_lshrrev_b32_e32 v7, 24, v2
	s_delay_alu instid0(VALU_DEP_1)
	v_and_or_b32 v7, 0x80, v7, v3
.LBB401_54:
	s_or_b32 exec_lo, exec_lo, s36
.LBB401_55:
	s_delay_alu instid0(SALU_CYCLE_1)
	s_or_b32 exec_lo, exec_lo, s2
	global_store_b8 v[0:1], v7, off
.LBB401_56:
	s_mov_b32 s2, -1
.LBB401_57:
	s_mov_b32 s25, 0
.LBB401_58:
	s_delay_alu instid0(SALU_CYCLE_1)
	s_and_b32 vcc_lo, exec_lo, s25
	s_cbranch_vccz .LBB401_99
; %bb.59:
	v_cmp_lt_i16_e32 vcc_lo, 22, v6
	s_mov_b32 s25, -1
	s_cbranch_vccz .LBB401_91
; %bb.60:
	v_cmp_gt_i16_e32 vcc_lo, 24, v6
	s_mov_b32 s2, -1
	s_cbranch_vccnz .LBB401_80
; %bb.61:
	v_cmp_lt_i16_e32 vcc_lo, 24, v6
	s_cbranch_vccz .LBB401_69
; %bb.62:
	v_and_b32_e32 v3, 0x7fffffff, v2
	v_mov_b32_e32 v7, 0x80
	s_mov_b32 s2, exec_lo
	s_delay_alu instid0(VALU_DEP_2)
	v_cmpx_gt_u32_e32 0x47800000, v3
	s_cbranch_execz .LBB401_68
; %bb.63:
	v_cmp_lt_u32_e32 vcc_lo, 0x37ffffff, v3
	s_mov_b32 s25, 0
                                        ; implicit-def: $vgpr3
	s_and_saveexec_b32 s36, vcc_lo
	s_delay_alu instid0(SALU_CYCLE_1)
	s_xor_b32 s36, exec_lo, s36
	s_cbranch_execz .LBB401_341
; %bb.64:
	v_bfe_u32 v3, v2, 21, 1
	s_mov_b32 s25, exec_lo
	s_delay_alu instid0(VALU_DEP_1) | instskip(NEXT) | instid1(VALU_DEP_1)
	v_add3_u32 v3, v2, v3, 0x88fffff
	v_lshrrev_b32_e32 v3, 21, v3
	s_or_saveexec_b32 s36, s36
                                        ; implicit-def: $sgpr37
	s_delay_alu instid0(SALU_CYCLE_1)
	s_xor_b32 exec_lo, exec_lo, s36
	s_cbranch_execnz .LBB401_342
.LBB401_65:
	s_or_b32 exec_lo, exec_lo, s36
	v_mov_b32_e32 v7, s37
	s_and_saveexec_b32 s36, s25
.LBB401_66:
	v_lshrrev_b32_e32 v7, 24, v2
	s_delay_alu instid0(VALU_DEP_1)
	v_and_or_b32 v7, 0x80, v7, v3
.LBB401_67:
	s_or_b32 exec_lo, exec_lo, s36
.LBB401_68:
	s_delay_alu instid0(SALU_CYCLE_1)
	s_or_b32 exec_lo, exec_lo, s2
	s_mov_b32 s2, 0
	global_store_b8 v[0:1], v7, off
.LBB401_69:
	s_and_b32 vcc_lo, exec_lo, s2
	s_cbranch_vccz .LBB401_79
; %bb.70:
	v_and_b32_e32 v7, 0x7fffffff, v2
	s_mov_b32 s2, exec_lo
                                        ; implicit-def: $vgpr3
	s_delay_alu instid0(VALU_DEP_1)
	v_cmpx_gt_u32_e32 0x43f00000, v7
	s_xor_b32 s2, exec_lo, s2
	s_cbranch_execz .LBB401_76
; %bb.71:
	s_mov_b32 s25, exec_lo
                                        ; implicit-def: $vgpr3
	v_cmpx_lt_u32_e32 0x3c7fffff, v7
	s_xor_b32 s25, exec_lo, s25
; %bb.72:
	v_bfe_u32 v3, v2, 20, 1
	s_delay_alu instid0(VALU_DEP_1) | instskip(NEXT) | instid1(VALU_DEP_1)
	v_add3_u32 v3, v2, v3, 0x407ffff
	v_and_b32_e32 v7, 0xff00000, v3
	v_lshrrev_b32_e32 v3, 20, v3
	s_delay_alu instid0(VALU_DEP_2) | instskip(NEXT) | instid1(VALU_DEP_2)
	v_cmp_ne_u32_e32 vcc_lo, 0x7f00000, v7
	v_cndmask_b32_e32 v3, 0x7e, v3, vcc_lo
; %bb.73:
	s_and_not1_saveexec_b32 s25, s25
; %bb.74:
	v_add_f32_e64 v3, 0x46800000, |v2|
; %bb.75:
	s_or_b32 exec_lo, exec_lo, s25
                                        ; implicit-def: $vgpr7
.LBB401_76:
	s_and_not1_saveexec_b32 s2, s2
; %bb.77:
	v_mov_b32_e32 v3, 0x7f
	v_cmp_lt_u32_e32 vcc_lo, 0x7f800000, v7
	s_delay_alu instid0(VALU_DEP_2)
	v_cndmask_b32_e32 v3, 0x7e, v3, vcc_lo
; %bb.78:
	s_or_b32 exec_lo, exec_lo, s2
	v_lshrrev_b32_e32 v7, 24, v2
	s_delay_alu instid0(VALU_DEP_1)
	v_and_or_b32 v3, 0x80, v7, v3
	global_store_b8 v[0:1], v3, off
.LBB401_79:
	s_mov_b32 s2, 0
.LBB401_80:
	s_delay_alu instid0(SALU_CYCLE_1)
	s_and_not1_b32 vcc_lo, exec_lo, s2
	s_cbranch_vccnz .LBB401_90
; %bb.81:
	v_and_b32_e32 v7, 0x7fffffff, v2
	s_mov_b32 s2, exec_lo
                                        ; implicit-def: $vgpr3
	s_delay_alu instid0(VALU_DEP_1)
	v_cmpx_gt_u32_e32 0x47800000, v7
	s_xor_b32 s2, exec_lo, s2
	s_cbranch_execz .LBB401_87
; %bb.82:
	s_mov_b32 s25, exec_lo
                                        ; implicit-def: $vgpr3
	v_cmpx_lt_u32_e32 0x387fffff, v7
	s_xor_b32 s25, exec_lo, s25
; %bb.83:
	v_bfe_u32 v3, v2, 21, 1
	s_delay_alu instid0(VALU_DEP_1) | instskip(NEXT) | instid1(VALU_DEP_1)
	v_add3_u32 v3, v2, v3, 0x80fffff
	v_lshrrev_b32_e32 v3, 21, v3
; %bb.84:
	s_and_not1_saveexec_b32 s25, s25
; %bb.85:
	v_add_f32_e64 v3, 0x43000000, |v2|
; %bb.86:
	s_or_b32 exec_lo, exec_lo, s25
                                        ; implicit-def: $vgpr7
.LBB401_87:
	s_and_not1_saveexec_b32 s2, s2
; %bb.88:
	v_mov_b32_e32 v3, 0x7f
	v_cmp_lt_u32_e32 vcc_lo, 0x7f800000, v7
	s_delay_alu instid0(VALU_DEP_2)
	v_cndmask_b32_e32 v3, 0x7c, v3, vcc_lo
; %bb.89:
	s_or_b32 exec_lo, exec_lo, s2
	v_lshrrev_b32_e32 v7, 24, v2
	s_delay_alu instid0(VALU_DEP_1)
	v_and_or_b32 v3, 0x80, v7, v3
	global_store_b8 v[0:1], v3, off
.LBB401_90:
	s_mov_b32 s25, 0
	s_mov_b32 s2, -1
.LBB401_91:
	s_and_not1_b32 vcc_lo, exec_lo, s25
	s_cbranch_vccnz .LBB401_99
; %bb.92:
	v_cmp_lt_i16_e32 vcc_lo, 14, v6
	s_mov_b32 s25, -1
	s_cbranch_vccz .LBB401_96
; %bb.93:
	v_cmp_eq_u16_e32 vcc_lo, 15, v6
	s_mov_b32 s24, -1
	s_cbranch_vccz .LBB401_95
; %bb.94:
	v_bfe_u32 v3, v2, 16, 1
	v_cmp_o_f32_e32 vcc_lo, v2, v2
	s_mov_b32 s2, -1
	s_mov_b32 s24, 0
	s_delay_alu instid0(VALU_DEP_2) | instskip(NEXT) | instid1(VALU_DEP_1)
	v_add3_u32 v3, v2, v3, 0x7fff
	v_lshrrev_b32_e32 v3, 16, v3
	s_delay_alu instid0(VALU_DEP_1)
	v_cndmask_b32_e32 v3, 0x7fc0, v3, vcc_lo
	global_store_b16 v[0:1], v3, off
.LBB401_95:
	s_mov_b32 s25, 0
.LBB401_96:
	s_delay_alu instid0(SALU_CYCLE_1)
	s_and_b32 vcc_lo, exec_lo, s25
	s_cbranch_vccz .LBB401_99
; %bb.97:
	v_cmp_eq_u16_e32 vcc_lo, 11, v6
	s_mov_b32 s24, -1
	s_cbranch_vccz .LBB401_99
; %bb.98:
	v_cmp_neq_f32_e32 vcc_lo, 0, v2
	s_mov_b32 s24, 0
	s_mov_b32 s2, -1
	v_cndmask_b32_e64 v3, 0, 1, vcc_lo
	global_store_b8 v[0:1], v3, off
.LBB401_99:
.LBB401_100:
	s_and_not1_b32 vcc_lo, exec_lo, s2
	s_cbranch_vccz .LBB401_140
	s_branch .LBB401_261
.LBB401_101:
	s_and_b32 vcc_lo, exec_lo, s25
	s_cbranch_vccz .LBB401_100
; %bb.102:
	v_cmp_gt_i16_e32 vcc_lo, 5, v6
	s_mov_b32 s2, -1
	s_cbranch_vccnz .LBB401_123
; %bb.103:
	v_cmp_gt_i16_e32 vcc_lo, 8, v6
	s_cbranch_vccnz .LBB401_113
; %bb.104:
	v_cmp_gt_i16_e32 vcc_lo, 9, v6
	s_cbranch_vccnz .LBB401_110
; %bb.105:
	v_cmp_lt_i16_e32 vcc_lo, 9, v6
	s_cbranch_vccz .LBB401_107
; %bb.106:
	v_cvt_f64_f32_e32 v[7:8], v2
	v_mov_b32_e32 v9, 0
	s_mov_b32 s2, 0
	s_delay_alu instid0(VALU_DEP_1)
	v_mov_b32_e32 v10, v9
	global_store_b128 v[0:1], v[7:10], off
.LBB401_107:
	s_and_not1_b32 vcc_lo, exec_lo, s2
	s_cbranch_vccnz .LBB401_109
; %bb.108:
	v_mov_b32_e32 v3, 0
	global_store_b64 v[0:1], v[2:3], off
.LBB401_109:
	s_mov_b32 s2, 0
.LBB401_110:
	s_delay_alu instid0(SALU_CYCLE_1)
	s_and_not1_b32 vcc_lo, exec_lo, s2
	s_cbranch_vccnz .LBB401_112
; %bb.111:
	v_cvt_f16_f32_e32 v3, v2
	s_delay_alu instid0(VALU_DEP_1)
	v_and_b32_e32 v3, 0xffff, v3
	global_store_b32 v[0:1], v3, off
.LBB401_112:
	s_mov_b32 s2, 0
.LBB401_113:
	s_delay_alu instid0(SALU_CYCLE_1)
	s_and_not1_b32 vcc_lo, exec_lo, s2
	s_cbranch_vccnz .LBB401_122
; %bb.114:
	v_cmp_gt_i16_e32 vcc_lo, 6, v6
	s_mov_b32 s2, -1
	s_cbranch_vccnz .LBB401_120
; %bb.115:
	v_cmp_lt_i16_e32 vcc_lo, 6, v6
	s_cbranch_vccz .LBB401_117
; %bb.116:
	v_cvt_f64_f32_e32 v[7:8], v2
	s_mov_b32 s2, 0
	global_store_b64 v[0:1], v[7:8], off
.LBB401_117:
	s_and_not1_b32 vcc_lo, exec_lo, s2
	s_cbranch_vccnz .LBB401_119
; %bb.118:
	global_store_b32 v[0:1], v2, off
.LBB401_119:
	s_mov_b32 s2, 0
.LBB401_120:
	s_delay_alu instid0(SALU_CYCLE_1)
	s_and_not1_b32 vcc_lo, exec_lo, s2
	s_cbranch_vccnz .LBB401_122
; %bb.121:
	v_cvt_f16_f32_e32 v3, v2
	global_store_b16 v[0:1], v3, off
.LBB401_122:
	s_mov_b32 s2, 0
.LBB401_123:
	s_delay_alu instid0(SALU_CYCLE_1)
	s_and_not1_b32 vcc_lo, exec_lo, s2
	s_cbranch_vccnz .LBB401_139
; %bb.124:
	v_cmp_gt_i16_e32 vcc_lo, 2, v6
	s_mov_b32 s2, -1
	s_cbranch_vccnz .LBB401_134
; %bb.125:
	v_cmp_gt_i16_e32 vcc_lo, 3, v6
	s_cbranch_vccnz .LBB401_131
; %bb.126:
	v_cmp_lt_i16_e32 vcc_lo, 3, v6
	s_cbranch_vccz .LBB401_128
; %bb.127:
	v_trunc_f32_e32 v3, v2
	s_mov_b32 s2, 0
	s_delay_alu instid0(VALU_DEP_1) | instskip(NEXT) | instid1(VALU_DEP_1)
	v_mul_f32_e64 v7, 0x2f800000, |v3|
	v_floor_f32_e32 v7, v7
	s_delay_alu instid0(VALU_DEP_1) | instskip(SKIP_2) | instid1(VALU_DEP_3)
	v_fma_f32 v8, 0xcf800000, v7, |v3|
	v_ashrrev_i32_e32 v3, 31, v3
	v_cvt_u32_f32_e32 v7, v7
	v_cvt_u32_f32_e32 v8, v8
	s_delay_alu instid0(VALU_DEP_2) | instskip(NEXT) | instid1(VALU_DEP_2)
	v_xor_b32_e32 v9, v7, v3
	v_xor_b32_e32 v8, v8, v3
	s_delay_alu instid0(VALU_DEP_1) | instskip(NEXT) | instid1(VALU_DEP_3)
	v_sub_co_u32 v7, vcc_lo, v8, v3
	v_sub_co_ci_u32_e32 v8, vcc_lo, v9, v3, vcc_lo
	global_store_b64 v[0:1], v[7:8], off
.LBB401_128:
	s_and_not1_b32 vcc_lo, exec_lo, s2
	s_cbranch_vccnz .LBB401_130
; %bb.129:
	v_cvt_i32_f32_e32 v3, v2
	global_store_b32 v[0:1], v3, off
.LBB401_130:
	s_mov_b32 s2, 0
.LBB401_131:
	s_delay_alu instid0(SALU_CYCLE_1)
	s_and_not1_b32 vcc_lo, exec_lo, s2
	s_cbranch_vccnz .LBB401_133
; %bb.132:
	v_cvt_i32_f32_e32 v3, v2
	global_store_b16 v[0:1], v3, off
.LBB401_133:
	s_mov_b32 s2, 0
.LBB401_134:
	s_delay_alu instid0(SALU_CYCLE_1)
	s_and_not1_b32 vcc_lo, exec_lo, s2
	s_cbranch_vccnz .LBB401_139
; %bb.135:
	v_cmp_lt_i16_e32 vcc_lo, 0, v6
	s_mov_b32 s2, -1
	s_cbranch_vccz .LBB401_137
; %bb.136:
	v_cvt_i32_f32_e32 v3, v2
	s_mov_b32 s2, 0
	global_store_b8 v[0:1], v3, off
.LBB401_137:
	s_and_not1_b32 vcc_lo, exec_lo, s2
	s_cbranch_vccnz .LBB401_139
; %bb.138:
	v_trunc_f32_e32 v2, v2
	s_delay_alu instid0(VALU_DEP_1) | instskip(NEXT) | instid1(VALU_DEP_1)
	v_mul_f32_e64 v3, 0x2f800000, |v2|
	v_floor_f32_e32 v3, v3
	s_delay_alu instid0(VALU_DEP_1) | instskip(SKIP_1) | instid1(VALU_DEP_2)
	v_fma_f32 v3, 0xcf800000, v3, |v2|
	v_ashrrev_i32_e32 v2, 31, v2
	v_cvt_u32_f32_e32 v3, v3
	s_delay_alu instid0(VALU_DEP_1) | instskip(NEXT) | instid1(VALU_DEP_1)
	v_xor_b32_e32 v3, v3, v2
	v_sub_nc_u32_e32 v2, v3, v2
	global_store_b8 v[0:1], v2, off
.LBB401_139:
.LBB401_140:
	v_add_nc_u32_e32 v5, 0x80, v5
	s_mov_b32 s2, -1
	s_branch .LBB401_262
.LBB401_141:
	s_mov_b32 s2, 0
                                        ; implicit-def: $vgpr3
	s_cbranch_execnz .LBB401_178
	s_branch .LBB401_212
.LBB401_142:
	s_mov_b32 s24, -1
	s_mov_b32 s2, 0
                                        ; implicit-def: $vgpr3
	s_branch .LBB401_159
.LBB401_143:
	s_mov_b32 s24, -1
	s_mov_b32 s2, 0
                                        ; implicit-def: $vgpr3
	s_branch .LBB401_154
.LBB401_144:
	s_mov_b32 s24, -1
	s_branch .LBB401_146
.LBB401_145:
	s_mov_b32 s3, -1
.LBB401_146:
	s_mov_b32 s2, 0
                                        ; implicit-def: $vgpr3
.LBB401_147:
	s_and_b32 vcc_lo, exec_lo, s24
	s_cbranch_vccz .LBB401_153
; %bb.148:
	v_cmp_eq_u16_e32 vcc_lo, 44, v4
	s_cbranch_vccz .LBB401_152
; %bb.149:
	global_load_u8 v3, v[1:2], off
	s_mov_b32 s3, 0
	s_mov_b32 s2, -1
	s_waitcnt vmcnt(0)
	v_lshlrev_b32_e32 v6, 23, v3
	v_cmp_ne_u32_e32 vcc_lo, 0xff, v3
	s_delay_alu instid0(VALU_DEP_2) | instskip(SKIP_1) | instid1(VALU_DEP_2)
	v_cndmask_b32_e32 v6, 0x7f800001, v6, vcc_lo
	v_cmp_ne_u32_e32 vcc_lo, 0, v3
	v_cndmask_b32_e32 v3, 0x400000, v6, vcc_lo
	s_branch .LBB401_153
.LBB401_150:
	s_or_saveexec_b32 s36, s36
                                        ; implicit-def: $sgpr37
	s_delay_alu instid0(SALU_CYCLE_1)
	s_xor_b32 exec_lo, exec_lo, s36
	s_cbranch_execz .LBB401_52
.LBB401_151:
	v_add_f32_e64 v3, 0x46000000, |v2|
	s_and_not1_b32 s25, s25, exec_lo
	s_mov_b32 s37, 0
	s_delay_alu instid0(VALU_DEP_1) | instskip(NEXT) | instid1(VALU_DEP_1)
	v_and_b32_e32 v3, 0xff, v3
	v_cmp_ne_u32_e32 vcc_lo, 0, v3
	s_and_b32 s40, vcc_lo, exec_lo
	s_delay_alu instid0(SALU_CYCLE_1)
	s_or_b32 s25, s25, s40
	s_or_b32 exec_lo, exec_lo, s36
	v_mov_b32_e32 v7, s37
	s_and_saveexec_b32 s36, s25
	s_cbranch_execnz .LBB401_53
	s_branch .LBB401_54
.LBB401_152:
	s_mov_b32 s3, -1
                                        ; implicit-def: $vgpr3
.LBB401_153:
	s_mov_b32 s24, 0
.LBB401_154:
	s_delay_alu instid0(SALU_CYCLE_1)
	s_and_b32 vcc_lo, exec_lo, s24
	s_cbranch_vccz .LBB401_158
; %bb.155:
	v_cmp_eq_u16_e32 vcc_lo, 29, v4
	s_cbranch_vccz .LBB401_157
; %bb.156:
	global_load_b64 v[6:7], v[1:2], off
	s_mov_b32 s2, -1
	s_mov_b32 s3, 0
	s_mov_b32 s24, 0
	s_waitcnt vmcnt(0)
	v_clz_i32_u32_e32 v3, v7
	s_delay_alu instid0(VALU_DEP_1) | instskip(NEXT) | instid1(VALU_DEP_1)
	v_min_u32_e32 v3, 32, v3
	v_lshlrev_b64 v[6:7], v3, v[6:7]
	v_sub_nc_u32_e32 v3, 32, v3
	s_delay_alu instid0(VALU_DEP_2) | instskip(NEXT) | instid1(VALU_DEP_1)
	v_min_u32_e32 v6, 1, v6
	v_or_b32_e32 v6, v7, v6
	s_delay_alu instid0(VALU_DEP_1) | instskip(NEXT) | instid1(VALU_DEP_1)
	v_cvt_f32_u32_e32 v6, v6
	v_ldexp_f32 v3, v6, v3
	s_branch .LBB401_159
.LBB401_157:
	s_mov_b32 s3, -1
                                        ; implicit-def: $vgpr3
.LBB401_158:
	s_mov_b32 s24, 0
.LBB401_159:
	s_delay_alu instid0(SALU_CYCLE_1)
	s_and_b32 vcc_lo, exec_lo, s24
	s_cbranch_vccz .LBB401_177
; %bb.160:
	v_cmp_gt_i16_e32 vcc_lo, 27, v4
	s_cbranch_vccnz .LBB401_163
; %bb.161:
	v_cmp_lt_i16_e32 vcc_lo, 27, v4
	s_cbranch_vccz .LBB401_164
; %bb.162:
	global_load_b32 v3, v[1:2], off
	s_mov_b32 s2, 0
	s_waitcnt vmcnt(0)
	v_cvt_f32_u32_e32 v3, v3
	s_branch .LBB401_165
.LBB401_163:
	s_mov_b32 s2, -1
                                        ; implicit-def: $vgpr3
	s_branch .LBB401_168
.LBB401_164:
	s_mov_b32 s2, -1
                                        ; implicit-def: $vgpr3
.LBB401_165:
	s_delay_alu instid0(SALU_CYCLE_1)
	s_and_not1_b32 vcc_lo, exec_lo, s2
	s_cbranch_vccnz .LBB401_167
; %bb.166:
	global_load_u16 v3, v[1:2], off
	s_waitcnt vmcnt(0)
	v_cvt_f32_u32_e32 v3, v3
.LBB401_167:
	s_mov_b32 s2, 0
.LBB401_168:
	s_delay_alu instid0(SALU_CYCLE_1)
	s_and_not1_b32 vcc_lo, exec_lo, s2
	s_cbranch_vccnz .LBB401_176
; %bb.169:
	global_load_u8 v6, v[1:2], off
	s_mov_b32 s2, 0
	s_mov_b32 s25, exec_lo
                                        ; implicit-def: $sgpr24
	s_waitcnt vmcnt(0)
	v_cmpx_lt_i16_e32 0x7f, v6
	s_xor_b32 s25, exec_lo, s25
	s_cbranch_execz .LBB401_189
; %bb.170:
	s_mov_b32 s2, -1
	s_mov_b32 s36, exec_lo
                                        ; implicit-def: $sgpr24
	v_cmpx_eq_u16_e32 0x80, v6
; %bb.171:
	s_mov_b32 s24, 0x7f800001
	s_xor_b32 s2, exec_lo, -1
; %bb.172:
	s_or_b32 exec_lo, exec_lo, s36
	s_delay_alu instid0(SALU_CYCLE_1)
	s_and_b32 s2, s2, exec_lo
	s_or_saveexec_b32 s25, s25
	v_mov_b32_e32 v3, s24
	s_xor_b32 exec_lo, exec_lo, s25
	s_cbranch_execnz .LBB401_190
.LBB401_173:
	s_or_b32 exec_lo, exec_lo, s25
	s_and_saveexec_b32 s24, s2
	s_cbranch_execz .LBB401_175
.LBB401_174:
	v_and_b32_e32 v3, 0xffff, v6
	s_delay_alu instid0(VALU_DEP_1) | instskip(NEXT) | instid1(VALU_DEP_1)
	v_and_b32_e32 v7, 7, v3
	v_clz_i32_u32_e32 v8, v7
	s_delay_alu instid0(VALU_DEP_1) | instskip(NEXT) | instid1(VALU_DEP_1)
	v_min_u32_e32 v8, 32, v8
	v_subrev_nc_u32_e32 v9, 28, v8
	v_sub_nc_u32_e32 v8, 29, v8
	s_delay_alu instid0(VALU_DEP_2) | instskip(SKIP_1) | instid1(VALU_DEP_2)
	v_lshlrev_b32_e32 v9, v9, v3
	v_bfe_u32 v3, v3, 3, 4
	v_and_b32_e32 v9, 7, v9
	s_delay_alu instid0(VALU_DEP_2) | instskip(SKIP_1) | instid1(VALU_DEP_1)
	v_cmp_eq_u32_e32 vcc_lo, 0, v3
	v_dual_cndmask_b32 v3, v3, v8 :: v_dual_lshlrev_b32 v6, 24, v6
	v_dual_cndmask_b32 v7, v7, v9 :: v_dual_and_b32 v6, 0x80000000, v6
	s_delay_alu instid0(VALU_DEP_2) | instskip(NEXT) | instid1(VALU_DEP_2)
	v_lshl_add_u32 v3, v3, 23, 0x3b800000
	v_lshlrev_b32_e32 v7, 20, v7
	s_delay_alu instid0(VALU_DEP_1)
	v_or3_b32 v3, v6, v3, v7
.LBB401_175:
	s_or_b32 exec_lo, exec_lo, s24
.LBB401_176:
	s_mov_b32 s2, -1
.LBB401_177:
	s_branch .LBB401_212
.LBB401_178:
	v_cmp_lt_i16_e32 vcc_lo, 22, v4
	s_cbranch_vccz .LBB401_188
; %bb.179:
	v_cmp_gt_i16_e32 vcc_lo, 24, v4
	s_cbranch_vccnz .LBB401_191
; %bb.180:
	v_cmp_lt_i16_e32 vcc_lo, 24, v4
	s_cbranch_vccz .LBB401_192
; %bb.181:
	global_load_u8 v6, v[1:2], off
	s_mov_b32 s2, 0
	s_mov_b32 s25, exec_lo
                                        ; implicit-def: $sgpr24
	s_waitcnt vmcnt(0)
	v_cmpx_lt_i16_e32 0x7f, v6
	s_xor_b32 s25, exec_lo, s25
	s_cbranch_execz .LBB401_204
; %bb.182:
	s_mov_b32 s2, -1
	s_mov_b32 s36, exec_lo
                                        ; implicit-def: $sgpr24
	v_cmpx_eq_u16_e32 0x80, v6
; %bb.183:
	s_mov_b32 s24, 0x7f800001
	s_xor_b32 s2, exec_lo, -1
; %bb.184:
	s_or_b32 exec_lo, exec_lo, s36
	s_delay_alu instid0(SALU_CYCLE_1)
	s_and_b32 s2, s2, exec_lo
	s_or_saveexec_b32 s25, s25
	v_mov_b32_e32 v3, s24
	s_xor_b32 exec_lo, exec_lo, s25
	s_cbranch_execnz .LBB401_205
.LBB401_185:
	s_or_b32 exec_lo, exec_lo, s25
	s_and_saveexec_b32 s24, s2
	s_cbranch_execz .LBB401_187
.LBB401_186:
	v_and_b32_e32 v3, 0xffff, v6
	s_delay_alu instid0(VALU_DEP_1) | instskip(NEXT) | instid1(VALU_DEP_1)
	v_and_b32_e32 v7, 3, v3
	v_clz_i32_u32_e32 v8, v7
	s_delay_alu instid0(VALU_DEP_1) | instskip(NEXT) | instid1(VALU_DEP_1)
	v_min_u32_e32 v8, 32, v8
	v_subrev_nc_u32_e32 v9, 29, v8
	v_sub_nc_u32_e32 v8, 30, v8
	s_delay_alu instid0(VALU_DEP_2) | instskip(SKIP_1) | instid1(VALU_DEP_2)
	v_lshlrev_b32_e32 v9, v9, v3
	v_bfe_u32 v3, v3, 2, 5
	v_and_b32_e32 v9, 3, v9
	s_delay_alu instid0(VALU_DEP_2) | instskip(SKIP_1) | instid1(VALU_DEP_1)
	v_cmp_eq_u32_e32 vcc_lo, 0, v3
	v_dual_cndmask_b32 v3, v3, v8 :: v_dual_lshlrev_b32 v6, 24, v6
	v_dual_cndmask_b32 v7, v7, v9 :: v_dual_and_b32 v6, 0x80000000, v6
	s_delay_alu instid0(VALU_DEP_2) | instskip(NEXT) | instid1(VALU_DEP_2)
	v_lshl_add_u32 v3, v3, 23, 0x37800000
	v_lshlrev_b32_e32 v7, 21, v7
	s_delay_alu instid0(VALU_DEP_1)
	v_or3_b32 v3, v6, v3, v7
.LBB401_187:
	s_or_b32 exec_lo, exec_lo, s24
	s_mov_b32 s2, 0
	s_branch .LBB401_193
.LBB401_188:
	s_mov_b32 s24, -1
                                        ; implicit-def: $vgpr3
	s_branch .LBB401_199
.LBB401_189:
	s_or_saveexec_b32 s25, s25
	v_mov_b32_e32 v3, s24
	s_xor_b32 exec_lo, exec_lo, s25
	s_cbranch_execz .LBB401_173
.LBB401_190:
	v_cmp_ne_u16_e32 vcc_lo, 0, v6
	v_mov_b32_e32 v3, 0
	s_and_not1_b32 s2, s2, exec_lo
	s_and_b32 s24, vcc_lo, exec_lo
	s_delay_alu instid0(SALU_CYCLE_1)
	s_or_b32 s2, s2, s24
	s_or_b32 exec_lo, exec_lo, s25
	s_and_saveexec_b32 s24, s2
	s_cbranch_execnz .LBB401_174
	s_branch .LBB401_175
.LBB401_191:
	s_mov_b32 s2, -1
                                        ; implicit-def: $vgpr3
	s_branch .LBB401_196
.LBB401_192:
	s_mov_b32 s2, -1
                                        ; implicit-def: $vgpr3
.LBB401_193:
	s_delay_alu instid0(SALU_CYCLE_1)
	s_and_b32 vcc_lo, exec_lo, s2
	s_cbranch_vccz .LBB401_195
; %bb.194:
	global_load_u8 v3, v[1:2], off
	s_waitcnt vmcnt(0)
	v_lshlrev_b32_e32 v3, 24, v3
	s_delay_alu instid0(VALU_DEP_1) | instskip(NEXT) | instid1(VALU_DEP_1)
	v_and_b32_e32 v6, 0x7f000000, v3
	v_clz_i32_u32_e32 v7, v6
	v_cmp_ne_u32_e32 vcc_lo, 0, v6
	v_add_nc_u32_e32 v9, 0x1000000, v6
	s_delay_alu instid0(VALU_DEP_3) | instskip(NEXT) | instid1(VALU_DEP_1)
	v_min_u32_e32 v7, 32, v7
	v_sub_nc_u32_e64 v7, v7, 4 clamp
	s_delay_alu instid0(VALU_DEP_1) | instskip(SKIP_1) | instid1(VALU_DEP_2)
	v_lshlrev_b32_e32 v8, v7, v6
	v_lshlrev_b32_e32 v7, 23, v7
	v_lshrrev_b32_e32 v8, 4, v8
	s_delay_alu instid0(VALU_DEP_1) | instskip(SKIP_1) | instid1(VALU_DEP_2)
	v_sub_nc_u32_e32 v7, v8, v7
	v_ashrrev_i32_e32 v8, 8, v9
	v_add_nc_u32_e32 v7, 0x3c000000, v7
	s_delay_alu instid0(VALU_DEP_1) | instskip(NEXT) | instid1(VALU_DEP_1)
	v_and_or_b32 v7, 0x7f800000, v8, v7
	v_cndmask_b32_e32 v6, 0, v7, vcc_lo
	s_delay_alu instid0(VALU_DEP_1)
	v_and_or_b32 v3, 0x80000000, v3, v6
.LBB401_195:
	s_mov_b32 s2, 0
.LBB401_196:
	s_delay_alu instid0(SALU_CYCLE_1)
	s_and_not1_b32 vcc_lo, exec_lo, s2
	s_cbranch_vccnz .LBB401_198
; %bb.197:
	global_load_u8 v3, v[1:2], off
	s_waitcnt vmcnt(0)
	v_lshlrev_b32_e32 v6, 25, v3
	v_lshlrev_b16 v3, 8, v3
	s_delay_alu instid0(VALU_DEP_2) | instskip(NEXT) | instid1(VALU_DEP_2)
	v_lshrrev_b32_e32 v7, 4, v6
	v_and_or_b32 v8, 0x7f00, v3, 0.5
	v_cmp_gt_u32_e32 vcc_lo, 0x8000000, v6
	v_bfe_i32 v3, v3, 0, 16
	s_delay_alu instid0(VALU_DEP_4) | instskip(NEXT) | instid1(VALU_DEP_1)
	v_or_b32_e32 v7, 0x70000000, v7
	v_dual_add_f32 v8, -0.5, v8 :: v_dual_mul_f32 v7, 0x7800000, v7
	s_delay_alu instid0(VALU_DEP_1) | instskip(NEXT) | instid1(VALU_DEP_1)
	v_cndmask_b32_e32 v6, v7, v8, vcc_lo
	v_and_or_b32 v3, 0x80000000, v3, v6
.LBB401_198:
	s_mov_b32 s24, 0
	s_mov_b32 s2, -1
.LBB401_199:
	s_and_not1_b32 vcc_lo, exec_lo, s24
	s_cbranch_vccnz .LBB401_212
; %bb.200:
	v_cmp_lt_i16_e32 vcc_lo, 14, v4
	s_cbranch_vccz .LBB401_203
; %bb.201:
	v_cmp_eq_u16_e32 vcc_lo, 15, v4
	s_cbranch_vccz .LBB401_206
; %bb.202:
	global_load_u16 v3, v[1:2], off
	s_mov_b32 s2, -1
	s_mov_b32 s3, 0
	s_waitcnt vmcnt(0)
	v_lshlrev_b32_e32 v3, 16, v3
	s_branch .LBB401_207
.LBB401_203:
	s_mov_b32 s24, -1
                                        ; implicit-def: $vgpr3
	s_branch .LBB401_208
.LBB401_204:
	s_or_saveexec_b32 s25, s25
	v_mov_b32_e32 v3, s24
	s_xor_b32 exec_lo, exec_lo, s25
	s_cbranch_execz .LBB401_185
.LBB401_205:
	v_cmp_ne_u16_e32 vcc_lo, 0, v6
	v_mov_b32_e32 v3, 0
	s_and_not1_b32 s2, s2, exec_lo
	s_and_b32 s24, vcc_lo, exec_lo
	s_delay_alu instid0(SALU_CYCLE_1)
	s_or_b32 s2, s2, s24
	s_or_b32 exec_lo, exec_lo, s25
	s_and_saveexec_b32 s24, s2
	s_cbranch_execnz .LBB401_186
	s_branch .LBB401_187
.LBB401_206:
	s_mov_b32 s3, -1
                                        ; implicit-def: $vgpr3
.LBB401_207:
	s_mov_b32 s24, 0
.LBB401_208:
	s_delay_alu instid0(SALU_CYCLE_1)
	s_and_b32 vcc_lo, exec_lo, s24
	s_cbranch_vccz .LBB401_212
; %bb.209:
	v_cmp_eq_u16_e32 vcc_lo, 11, v4
	s_cbranch_vccz .LBB401_211
; %bb.210:
	global_load_u8 v3, v[1:2], off
	s_mov_b32 s3, 0
	s_mov_b32 s2, -1
	s_waitcnt vmcnt(0)
	v_cmp_ne_u16_e32 vcc_lo, 0, v3
	v_cndmask_b32_e64 v3, 0, 1.0, vcc_lo
	s_branch .LBB401_212
.LBB401_211:
	s_mov_b32 s3, -1
                                        ; implicit-def: $vgpr3
.LBB401_212:
	s_branch .LBB401_23
.LBB401_213:
	v_cmp_gt_i16_e32 vcc_lo, 5, v4
	s_cbranch_vccnz .LBB401_218
; %bb.214:
	v_cmp_gt_i16_e32 vcc_lo, 8, v4
	s_cbranch_vccnz .LBB401_219
; %bb.215:
	;; [unrolled: 3-line block ×3, first 2 shown]
	v_cmp_lt_i16_e32 vcc_lo, 9, v4
	s_cbranch_vccz .LBB401_221
; %bb.217:
	global_load_b64 v[6:7], v[1:2], off
	s_mov_b32 s2, 0
	s_waitcnt vmcnt(0)
	v_cvt_f32_f64_e32 v3, v[6:7]
	s_branch .LBB401_222
.LBB401_218:
                                        ; implicit-def: $vgpr3
	s_branch .LBB401_240
.LBB401_219:
	s_mov_b32 s2, -1
                                        ; implicit-def: $vgpr3
	s_branch .LBB401_228
.LBB401_220:
	s_mov_b32 s2, -1
                                        ; implicit-def: $vgpr3
	s_branch .LBB401_225
.LBB401_221:
	s_mov_b32 s2, -1
                                        ; implicit-def: $vgpr3
.LBB401_222:
	s_delay_alu instid0(SALU_CYCLE_1)
	s_and_not1_b32 vcc_lo, exec_lo, s2
	s_cbranch_vccnz .LBB401_224
; %bb.223:
	global_load_b32 v3, v[1:2], off
.LBB401_224:
	s_mov_b32 s2, 0
.LBB401_225:
	s_delay_alu instid0(SALU_CYCLE_1)
	s_and_not1_b32 vcc_lo, exec_lo, s2
	s_cbranch_vccnz .LBB401_227
; %bb.226:
	global_load_b32 v3, v[1:2], off
	s_waitcnt vmcnt(0)
	v_cvt_f32_f16_e32 v3, v3
.LBB401_227:
	s_mov_b32 s2, 0
.LBB401_228:
	s_delay_alu instid0(SALU_CYCLE_1)
	s_and_not1_b32 vcc_lo, exec_lo, s2
	s_cbranch_vccnz .LBB401_239
; %bb.229:
	v_cmp_gt_i16_e32 vcc_lo, 6, v4
	s_cbranch_vccnz .LBB401_232
; %bb.230:
	v_cmp_lt_i16_e32 vcc_lo, 6, v4
	s_cbranch_vccz .LBB401_233
; %bb.231:
	global_load_b64 v[6:7], v[1:2], off
	s_mov_b32 s2, 0
	s_waitcnt vmcnt(0)
	v_cvt_f32_f64_e32 v3, v[6:7]
	s_branch .LBB401_234
.LBB401_232:
	s_mov_b32 s2, -1
                                        ; implicit-def: $vgpr3
	s_branch .LBB401_237
.LBB401_233:
	s_mov_b32 s2, -1
                                        ; implicit-def: $vgpr3
.LBB401_234:
	s_delay_alu instid0(SALU_CYCLE_1)
	s_and_not1_b32 vcc_lo, exec_lo, s2
	s_cbranch_vccnz .LBB401_236
; %bb.235:
	global_load_b32 v3, v[1:2], off
.LBB401_236:
	s_mov_b32 s2, 0
.LBB401_237:
	s_delay_alu instid0(SALU_CYCLE_1)
	s_and_not1_b32 vcc_lo, exec_lo, s2
	s_cbranch_vccnz .LBB401_239
; %bb.238:
	global_load_u16 v3, v[1:2], off
	s_waitcnt vmcnt(0)
	v_cvt_f32_f16_e32 v3, v3
.LBB401_239:
	s_cbranch_execnz .LBB401_259
.LBB401_240:
	v_cmp_gt_i16_e32 vcc_lo, 2, v4
	s_cbranch_vccnz .LBB401_244
; %bb.241:
	v_cmp_gt_i16_e32 vcc_lo, 3, v4
	s_cbranch_vccnz .LBB401_245
; %bb.242:
	v_cmp_lt_i16_e32 vcc_lo, 3, v4
	s_cbranch_vccz .LBB401_246
; %bb.243:
	global_load_b64 v[6:7], v[1:2], off
	s_mov_b32 s2, 0
	s_waitcnt vmcnt(0)
	v_xor_b32_e32 v3, v6, v7
	v_cls_i32_e32 v8, v7
	s_delay_alu instid0(VALU_DEP_2) | instskip(NEXT) | instid1(VALU_DEP_2)
	v_ashrrev_i32_e32 v3, 31, v3
	v_add_nc_u32_e32 v8, -1, v8
	s_delay_alu instid0(VALU_DEP_2) | instskip(NEXT) | instid1(VALU_DEP_1)
	v_add_nc_u32_e32 v3, 32, v3
	v_min_u32_e32 v3, v8, v3
	s_delay_alu instid0(VALU_DEP_1) | instskip(SKIP_1) | instid1(VALU_DEP_2)
	v_lshlrev_b64 v[6:7], v3, v[6:7]
	v_sub_nc_u32_e32 v3, 32, v3
	v_min_u32_e32 v6, 1, v6
	s_delay_alu instid0(VALU_DEP_1) | instskip(NEXT) | instid1(VALU_DEP_1)
	v_or_b32_e32 v6, v7, v6
	v_cvt_f32_i32_e32 v6, v6
	s_delay_alu instid0(VALU_DEP_1)
	v_ldexp_f32 v3, v6, v3
	s_branch .LBB401_247
.LBB401_244:
	s_mov_b32 s2, -1
                                        ; implicit-def: $vgpr3
	s_branch .LBB401_253
.LBB401_245:
	s_mov_b32 s2, -1
                                        ; implicit-def: $vgpr3
	s_branch .LBB401_250
.LBB401_246:
	s_mov_b32 s2, -1
                                        ; implicit-def: $vgpr3
.LBB401_247:
	s_delay_alu instid0(SALU_CYCLE_1)
	s_and_not1_b32 vcc_lo, exec_lo, s2
	s_cbranch_vccnz .LBB401_249
; %bb.248:
	global_load_b32 v3, v[1:2], off
	s_waitcnt vmcnt(0)
	v_cvt_f32_i32_e32 v3, v3
.LBB401_249:
	s_mov_b32 s2, 0
.LBB401_250:
	s_delay_alu instid0(SALU_CYCLE_1)
	s_and_not1_b32 vcc_lo, exec_lo, s2
	s_cbranch_vccnz .LBB401_252
; %bb.251:
	global_load_i16 v3, v[1:2], off
	s_waitcnt vmcnt(0)
	v_cvt_f32_i32_e32 v3, v3
.LBB401_252:
	s_mov_b32 s2, 0
.LBB401_253:
	s_delay_alu instid0(SALU_CYCLE_1)
	s_and_not1_b32 vcc_lo, exec_lo, s2
	s_cbranch_vccnz .LBB401_259
; %bb.254:
	v_cmp_lt_i16_e32 vcc_lo, 0, v4
	s_mov_b32 s2, 0
	s_cbranch_vccz .LBB401_256
; %bb.255:
	global_load_i8 v3, v[1:2], off
	s_waitcnt vmcnt(0)
	v_cvt_f32_i32_e32 v3, v3
	s_branch .LBB401_257
.LBB401_256:
	s_mov_b32 s2, -1
                                        ; implicit-def: $vgpr3
.LBB401_257:
	s_delay_alu instid0(SALU_CYCLE_1)
	s_and_not1_b32 vcc_lo, exec_lo, s2
	s_cbranch_vccnz .LBB401_259
; %bb.258:
	global_load_u8 v1, v[1:2], off
	s_waitcnt vmcnt(0)
	v_cvt_f32_ubyte0_e32 v3, v1
.LBB401_259:
	s_branch .LBB401_24
.LBB401_260:
	s_mov_b32 s24, 0
.LBB401_261:
	s_mov_b32 s2, 0
                                        ; implicit-def: $vgpr5
.LBB401_262:
	s_and_b32 s36, s24, exec_lo
	s_and_b32 s37, s3, exec_lo
	s_or_not1_b32 s3, s2, exec_lo
.LBB401_263:
	s_or_b32 exec_lo, exec_lo, s38
	s_mov_b32 s24, 0
	s_mov_b32 s2, 0
                                        ; implicit-def: $vgpr1_vgpr2
                                        ; implicit-def: $vgpr0
                                        ; implicit-def: $vgpr6
	s_and_saveexec_b32 s38, s3
	s_cbranch_execz .LBB401_906
; %bb.264:
	s_mov_b32 s2, -1
	s_mov_b32 s39, s37
	s_mov_b32 s40, s36
	s_mov_b32 s41, exec_lo
	v_cmpx_gt_i32_e64 s33, v5
	s_cbranch_execz .LBB401_533
; %bb.265:
	s_and_not1_b32 vcc_lo, exec_lo, s29
	s_cbranch_vccnz .LBB401_270
; %bb.266:
	v_dual_mov_b32 v0, 0 :: v_dual_mov_b32 v1, 0
	s_and_not1_b32 vcc_lo, exec_lo, s35
	s_mov_b32 s39, 0
	s_cbranch_vccnz .LBB401_275
; %bb.267:
	v_mov_b32_e32 v0, 0
	s_add_i32 s42, s34, 1
	s_cmp_eq_u32 s27, 2
	s_mov_b32 s40, 0
	s_cbranch_scc1 .LBB401_271
; %bb.268:
	v_dual_mov_b32 v1, 0 :: v_dual_mov_b32 v0, 0
	v_mov_b32_e32 v2, v5
	s_and_b32 s40, s42, 28
	s_mov_b32 s43, 0
	s_mov_b64 s[2:3], s[22:23]
	s_mov_b64 s[24:25], s[16:17]
.LBB401_269:                            ; =>This Inner Loop Header: Depth=1
	s_clause 0x1
	s_load_b256 s[44:51], s[24:25], 0x4
	s_load_b128 s[60:63], s[24:25], 0x24
	s_load_b256 s[52:59], s[2:3], 0x0
	s_add_u32 s24, s24, 48
	s_addc_u32 s25, s25, 0
	s_add_i32 s43, s43, 4
	s_add_u32 s2, s2, 32
	s_addc_u32 s3, s3, 0
	s_cmp_eq_u32 s40, s43
	s_waitcnt vmcnt(0) lgkmcnt(0)
	v_mul_hi_u32 v3, s45, v2
	s_delay_alu instid0(VALU_DEP_1) | instskip(NEXT) | instid1(VALU_DEP_1)
	v_add_nc_u32_e32 v3, v2, v3
	v_lshrrev_b32_e32 v3, s46, v3
	s_delay_alu instid0(VALU_DEP_1) | instskip(SKIP_1) | instid1(VALU_DEP_2)
	v_mul_hi_u32 v6, s48, v3
	v_mul_lo_u32 v8, v3, s44
	v_add_nc_u32_e32 v6, v3, v6
	s_delay_alu instid0(VALU_DEP_2) | instskip(NEXT) | instid1(VALU_DEP_2)
	v_sub_nc_u32_e32 v2, v2, v8
	v_lshrrev_b32_e32 v6, s49, v6
	s_delay_alu instid0(VALU_DEP_2) | instskip(SKIP_1) | instid1(VALU_DEP_3)
	v_mul_lo_u32 v8, v2, s52
	v_mul_lo_u32 v10, v2, s53
	v_mul_hi_u32 v7, s51, v6
	s_delay_alu instid0(VALU_DEP_1) | instskip(NEXT) | instid1(VALU_DEP_1)
	v_add_nc_u32_e32 v7, v6, v7
	v_lshrrev_b32_e32 v7, s60, v7
	s_delay_alu instid0(VALU_DEP_1) | instskip(SKIP_1) | instid1(VALU_DEP_2)
	v_mul_hi_u32 v9, s62, v7
	v_mul_lo_u32 v11, v7, s50
	v_add_nc_u32_e32 v2, v7, v9
	v_mul_lo_u32 v9, v6, s47
	s_delay_alu instid0(VALU_DEP_3) | instskip(NEXT) | instid1(VALU_DEP_3)
	v_sub_nc_u32_e32 v6, v6, v11
	v_lshrrev_b32_e32 v2, s63, v2
	s_delay_alu instid0(VALU_DEP_2) | instskip(SKIP_2) | instid1(VALU_DEP_4)
	v_mul_lo_u32 v11, v6, s56
	v_mul_lo_u32 v6, v6, s57
	v_sub_nc_u32_e32 v3, v3, v9
	v_mul_lo_u32 v12, v2, s61
	s_delay_alu instid0(VALU_DEP_2) | instskip(SKIP_1) | instid1(VALU_DEP_3)
	v_mul_lo_u32 v9, v3, s54
	v_mul_lo_u32 v3, v3, s55
	v_sub_nc_u32_e32 v7, v7, v12
	s_delay_alu instid0(VALU_DEP_3) | instskip(NEXT) | instid1(VALU_DEP_2)
	v_add3_u32 v0, v8, v0, v9
	v_mul_lo_u32 v12, v7, s58
	v_mul_lo_u32 v7, v7, s59
	v_add3_u32 v1, v10, v1, v3
	s_delay_alu instid0(VALU_DEP_3) | instskip(NEXT) | instid1(VALU_DEP_2)
	v_add3_u32 v0, v11, v0, v12
	v_add3_u32 v1, v6, v1, v7
	s_cbranch_scc0 .LBB401_269
	s_branch .LBB401_272
.LBB401_270:
	s_mov_b32 s39, -1
                                        ; implicit-def: $vgpr0
                                        ; implicit-def: $vgpr1
	s_branch .LBB401_275
.LBB401_271:
	v_dual_mov_b32 v2, v5 :: v_dual_mov_b32 v1, 0
.LBB401_272:
	s_and_b32 s42, s42, 3
	s_delay_alu instid0(SALU_CYCLE_1)
	s_cmp_eq_u32 s42, 0
	s_cbranch_scc1 .LBB401_275
; %bb.273:
	s_lshl_b32 s2, s40, 3
	s_mul_i32 s24, s40, 12
	s_add_u32 s2, s2, s16
	s_addc_u32 s3, s17, 0
	s_add_u32 s2, s2, 0xc4
	s_addc_u32 s3, s3, 0
	s_add_u32 s24, s16, s24
	s_addc_u32 s25, s17, 0
	.p2align	6
.LBB401_274:                            ; =>This Inner Loop Header: Depth=1
	s_clause 0x1
	s_load_b64 s[44:45], s[24:25], 0x4
	s_load_b32 s40, s[24:25], 0xc
	s_load_b64 s[46:47], s[2:3], 0x0
	s_add_u32 s24, s24, 12
	s_addc_u32 s25, s25, 0
	s_add_u32 s2, s2, 8
	s_addc_u32 s3, s3, 0
	s_add_i32 s42, s42, -1
	s_delay_alu instid0(SALU_CYCLE_1) | instskip(SKIP_2) | instid1(VALU_DEP_1)
	s_cmp_lg_u32 s42, 0
	s_waitcnt vmcnt(0) lgkmcnt(0)
	v_mul_hi_u32 v3, s45, v2
	v_add_nc_u32_e32 v3, v2, v3
	s_delay_alu instid0(VALU_DEP_1) | instskip(NEXT) | instid1(VALU_DEP_1)
	v_lshrrev_b32_e32 v3, s40, v3
	v_mul_lo_u32 v6, v3, s44
	s_delay_alu instid0(VALU_DEP_1) | instskip(NEXT) | instid1(VALU_DEP_1)
	v_sub_nc_u32_e32 v2, v2, v6
	v_mad_u64_u32 v[6:7], null, v2, s46, v[0:1]
	v_mad_u64_u32 v[7:8], null, v2, s47, v[1:2]
	v_mov_b32_e32 v2, v3
	s_delay_alu instid0(VALU_DEP_2)
	v_dual_mov_b32 v0, v6 :: v_dual_mov_b32 v1, v7
	s_cbranch_scc1 .LBB401_274
.LBB401_275:
	s_and_not1_b32 vcc_lo, exec_lo, s39
	s_cbranch_vccnz .LBB401_278
; %bb.276:
	v_mul_hi_u32 v0, s13, v5
	s_and_not1_b32 vcc_lo, exec_lo, s31
	s_delay_alu instid0(VALU_DEP_1) | instskip(NEXT) | instid1(VALU_DEP_1)
	v_add_nc_u32_e32 v0, v5, v0
	v_lshrrev_b32_e32 v2, s14, v0
	s_delay_alu instid0(VALU_DEP_1) | instskip(NEXT) | instid1(VALU_DEP_1)
	v_mul_lo_u32 v0, v2, s12
	v_sub_nc_u32_e32 v1, v5, v0
	s_delay_alu instid0(VALU_DEP_1)
	v_mul_lo_u32 v0, v1, s8
	v_mul_lo_u32 v1, v1, s9
	s_cbranch_vccnz .LBB401_278
; %bb.277:
	s_waitcnt vmcnt(0)
	v_mul_hi_u32 v3, s20, v2
	s_delay_alu instid0(VALU_DEP_1) | instskip(NEXT) | instid1(VALU_DEP_1)
	v_add_nc_u32_e32 v3, v2, v3
	v_lshrrev_b32_e32 v3, s21, v3
	s_delay_alu instid0(VALU_DEP_1) | instskip(NEXT) | instid1(VALU_DEP_1)
	v_mul_lo_u32 v3, v3, s15
	v_sub_nc_u32_e32 v8, v2, v3
	s_delay_alu instid0(VALU_DEP_1) | instskip(NEXT) | instid1(VALU_DEP_1)
	v_mad_u64_u32 v[2:3], null, v8, s10, v[0:1]
	v_mad_u64_u32 v[6:7], null, v8, s11, v[1:2]
	v_mov_b32_e32 v0, v2
	s_delay_alu instid0(VALU_DEP_2)
	v_mov_b32_e32 v1, v6
.LBB401_278:
	v_cmp_gt_i16_e32 vcc_lo, 11, v4
	s_delay_alu instid0(VALU_DEP_2) | instskip(NEXT) | instid1(VALU_DEP_1)
	v_add_co_u32 v1, s2, s6, v1
	v_add_co_ci_u32_e64 v2, null, s7, 0, s2
	s_mov_b32 s2, 0
	s_cbranch_vccnz .LBB401_285
; %bb.279:
	v_cmp_lt_i16_e32 vcc_lo, 25, v4
	s_cbranch_vccz .LBB401_334
; %bb.280:
	v_cmp_lt_i16_e32 vcc_lo, 28, v4
	s_cbranch_vccz .LBB401_335
	;; [unrolled: 3-line block ×4, first 2 shown]
; %bb.283:
	v_cmp_eq_u16_e32 vcc_lo, 46, v4
	s_mov_b32 s24, 0
	s_cbranch_vccz .LBB401_343
; %bb.284:
	global_load_b32 v3, v[1:2], off
	s_mov_b32 s2, -1
	s_mov_b32 s3, 0
	s_waitcnt vmcnt(0)
	v_lshlrev_b32_e32 v3, 16, v3
	s_branch .LBB401_345
.LBB401_285:
	s_mov_b32 s3, s37
                                        ; implicit-def: $vgpr3
	s_cbranch_execnz .LBB401_482
.LBB401_286:
	s_and_not1_b32 vcc_lo, exec_lo, s2
	s_cbranch_vccnz .LBB401_530
.LBB401_287:
	v_max_f32_e64 v1, s18, s18
	s_waitcnt vmcnt(0)
	s_delay_alu instid0(VALU_DEP_2)
	v_max_f32_e32 v2, v3, v3
	v_and_b32_e64 v6, 0xff, s19
	v_cmp_u_f32_e64 s2, v3, v3
	s_mov_b32 s24, 0
	s_mov_b32 s25, -1
	v_max_f32_e32 v1, v2, v1
	v_cmp_gt_i16_e32 vcc_lo, 11, v6
	s_delay_alu instid0(VALU_DEP_2) | instskip(SKIP_1) | instid1(VALU_DEP_1)
	v_cndmask_b32_e64 v2, v1, v3, s2
	v_add_co_u32 v0, s2, s4, v0
	v_add_co_ci_u32_e64 v1, null, s5, 0, s2
	s_mov_b32 s2, s36
	s_cbranch_vccnz .LBB401_294
; %bb.288:
	v_cmp_lt_i16_e32 vcc_lo, 25, v6
	s_cbranch_vccz .LBB401_336
; %bb.289:
	v_cmp_lt_i16_e32 vcc_lo, 28, v6
	s_cbranch_vccz .LBB401_338
	;; [unrolled: 3-line block ×4, first 2 shown]
; %bb.292:
	v_cmp_eq_u16_e32 vcc_lo, 46, v6
	s_mov_b32 s25, 0
	s_mov_b32 s2, -1
	s_cbranch_vccz .LBB401_349
; %bb.293:
	v_bfe_u32 v3, v2, 16, 1
	v_cmp_o_f32_e32 vcc_lo, v2, v2
	s_mov_b32 s24, -1
	s_mov_b32 s2, 0
	s_delay_alu instid0(VALU_DEP_2) | instskip(NEXT) | instid1(VALU_DEP_1)
	v_add3_u32 v3, v2, v3, 0x7fff
	v_lshrrev_b32_e32 v3, 16, v3
	s_delay_alu instid0(VALU_DEP_1)
	v_cndmask_b32_e32 v3, 0x7fc0, v3, vcc_lo
	global_store_b32 v[0:1], v3, off
	s_branch .LBB401_349
.LBB401_294:
	s_and_b32 vcc_lo, exec_lo, s25
	s_cbranch_vccz .LBB401_418
; %bb.295:
	v_cmp_gt_i16_e32 vcc_lo, 5, v6
	s_mov_b32 s24, -1
	s_cbranch_vccnz .LBB401_316
; %bb.296:
	v_cmp_gt_i16_e32 vcc_lo, 8, v6
	s_cbranch_vccnz .LBB401_306
; %bb.297:
	v_cmp_gt_i16_e32 vcc_lo, 9, v6
	s_cbranch_vccnz .LBB401_303
; %bb.298:
	v_cmp_lt_i16_e32 vcc_lo, 9, v6
	s_cbranch_vccz .LBB401_300
; %bb.299:
	v_cvt_f64_f32_e32 v[7:8], v2
	v_mov_b32_e32 v9, 0
	s_mov_b32 s24, 0
	s_delay_alu instid0(VALU_DEP_1)
	v_mov_b32_e32 v10, v9
	global_store_b128 v[0:1], v[7:10], off
.LBB401_300:
	s_and_not1_b32 vcc_lo, exec_lo, s24
	s_cbranch_vccnz .LBB401_302
; %bb.301:
	v_mov_b32_e32 v3, 0
	global_store_b64 v[0:1], v[2:3], off
.LBB401_302:
	s_mov_b32 s24, 0
.LBB401_303:
	s_delay_alu instid0(SALU_CYCLE_1)
	s_and_not1_b32 vcc_lo, exec_lo, s24
	s_cbranch_vccnz .LBB401_305
; %bb.304:
	v_cvt_f16_f32_e32 v3, v2
	s_delay_alu instid0(VALU_DEP_1)
	v_and_b32_e32 v3, 0xffff, v3
	global_store_b32 v[0:1], v3, off
.LBB401_305:
	s_mov_b32 s24, 0
.LBB401_306:
	s_delay_alu instid0(SALU_CYCLE_1)
	s_and_not1_b32 vcc_lo, exec_lo, s24
	s_cbranch_vccnz .LBB401_315
; %bb.307:
	v_cmp_gt_i16_e32 vcc_lo, 6, v6
	s_mov_b32 s24, -1
	s_cbranch_vccnz .LBB401_313
; %bb.308:
	v_cmp_lt_i16_e32 vcc_lo, 6, v6
	s_cbranch_vccz .LBB401_310
; %bb.309:
	v_cvt_f64_f32_e32 v[7:8], v2
	s_mov_b32 s24, 0
	global_store_b64 v[0:1], v[7:8], off
.LBB401_310:
	s_and_not1_b32 vcc_lo, exec_lo, s24
	s_cbranch_vccnz .LBB401_312
; %bb.311:
	global_store_b32 v[0:1], v2, off
.LBB401_312:
	s_mov_b32 s24, 0
.LBB401_313:
	s_delay_alu instid0(SALU_CYCLE_1)
	s_and_not1_b32 vcc_lo, exec_lo, s24
	s_cbranch_vccnz .LBB401_315
; %bb.314:
	v_cvt_f16_f32_e32 v3, v2
	global_store_b16 v[0:1], v3, off
.LBB401_315:
	s_mov_b32 s24, 0
.LBB401_316:
	s_delay_alu instid0(SALU_CYCLE_1)
	s_and_not1_b32 vcc_lo, exec_lo, s24
	s_cbranch_vccnz .LBB401_332
; %bb.317:
	v_cmp_gt_i16_e32 vcc_lo, 2, v6
	s_mov_b32 s24, -1
	s_cbranch_vccnz .LBB401_327
; %bb.318:
	v_cmp_gt_i16_e32 vcc_lo, 3, v6
	s_cbranch_vccnz .LBB401_324
; %bb.319:
	v_cmp_lt_i16_e32 vcc_lo, 3, v6
	s_cbranch_vccz .LBB401_321
; %bb.320:
	v_trunc_f32_e32 v3, v2
	s_mov_b32 s24, 0
	s_delay_alu instid0(VALU_DEP_1) | instskip(NEXT) | instid1(VALU_DEP_1)
	v_mul_f32_e64 v7, 0x2f800000, |v3|
	v_floor_f32_e32 v7, v7
	s_delay_alu instid0(VALU_DEP_1) | instskip(SKIP_2) | instid1(VALU_DEP_3)
	v_fma_f32 v8, 0xcf800000, v7, |v3|
	v_ashrrev_i32_e32 v3, 31, v3
	v_cvt_u32_f32_e32 v7, v7
	v_cvt_u32_f32_e32 v8, v8
	s_delay_alu instid0(VALU_DEP_2) | instskip(NEXT) | instid1(VALU_DEP_2)
	v_xor_b32_e32 v9, v7, v3
	v_xor_b32_e32 v8, v8, v3
	s_delay_alu instid0(VALU_DEP_1) | instskip(NEXT) | instid1(VALU_DEP_3)
	v_sub_co_u32 v7, vcc_lo, v8, v3
	v_sub_co_ci_u32_e32 v8, vcc_lo, v9, v3, vcc_lo
	global_store_b64 v[0:1], v[7:8], off
.LBB401_321:
	s_and_not1_b32 vcc_lo, exec_lo, s24
	s_cbranch_vccnz .LBB401_323
; %bb.322:
	v_cvt_i32_f32_e32 v3, v2
	global_store_b32 v[0:1], v3, off
.LBB401_323:
	s_mov_b32 s24, 0
.LBB401_324:
	s_delay_alu instid0(SALU_CYCLE_1)
	s_and_not1_b32 vcc_lo, exec_lo, s24
	s_cbranch_vccnz .LBB401_326
; %bb.325:
	v_cvt_i32_f32_e32 v3, v2
	global_store_b16 v[0:1], v3, off
.LBB401_326:
	s_mov_b32 s24, 0
.LBB401_327:
	s_delay_alu instid0(SALU_CYCLE_1)
	s_and_not1_b32 vcc_lo, exec_lo, s24
	s_cbranch_vccnz .LBB401_332
; %bb.328:
	v_cmp_lt_i16_e32 vcc_lo, 0, v6
	s_mov_b32 s24, -1
	s_cbranch_vccz .LBB401_330
; %bb.329:
	v_cvt_i32_f32_e32 v3, v2
	s_mov_b32 s24, 0
	global_store_b8 v[0:1], v3, off
.LBB401_330:
	s_and_not1_b32 vcc_lo, exec_lo, s24
	s_cbranch_vccnz .LBB401_332
; %bb.331:
	v_trunc_f32_e32 v2, v2
	s_delay_alu instid0(VALU_DEP_1) | instskip(NEXT) | instid1(VALU_DEP_1)
	v_mul_f32_e64 v3, 0x2f800000, |v2|
	v_floor_f32_e32 v3, v3
	s_delay_alu instid0(VALU_DEP_1) | instskip(SKIP_1) | instid1(VALU_DEP_2)
	v_fma_f32 v3, 0xcf800000, v3, |v2|
	v_ashrrev_i32_e32 v2, 31, v2
	v_cvt_u32_f32_e32 v3, v3
	s_delay_alu instid0(VALU_DEP_1) | instskip(NEXT) | instid1(VALU_DEP_1)
	v_xor_b32_e32 v3, v3, v2
	v_sub_nc_u32_e32 v2, v3, v2
	global_store_b8 v[0:1], v2, off
.LBB401_332:
	s_branch .LBB401_419
.LBB401_333:
	s_mov_b32 s24, 0
	s_branch .LBB401_531
.LBB401_334:
	s_mov_b32 s24, -1
	s_mov_b32 s3, s37
                                        ; implicit-def: $vgpr3
	s_branch .LBB401_446
.LBB401_335:
	s_mov_b32 s24, -1
	s_mov_b32 s3, s37
                                        ; implicit-def: $vgpr3
	s_branch .LBB401_427
.LBB401_336:
	s_mov_b32 s2, s36
	s_branch .LBB401_376
.LBB401_337:
	s_mov_b32 s24, -1
	s_mov_b32 s3, s37
                                        ; implicit-def: $vgpr3
	s_branch .LBB401_422
.LBB401_338:
	s_mov_b32 s2, s36
	s_branch .LBB401_359
.LBB401_339:
	s_mov_b32 s24, -1
	s_mov_b32 s3, s37
	s_branch .LBB401_344
.LBB401_340:
	s_mov_b32 s2, s36
	s_branch .LBB401_355
.LBB401_341:
	s_or_saveexec_b32 s36, s36
                                        ; implicit-def: $sgpr37
	s_delay_alu instid0(SALU_CYCLE_1)
	s_xor_b32 exec_lo, exec_lo, s36
	s_cbranch_execz .LBB401_65
.LBB401_342:
	v_add_f32_e64 v3, 0x42800000, |v2|
	s_and_not1_b32 s25, s25, exec_lo
	s_mov_b32 s37, 0
	s_delay_alu instid0(VALU_DEP_1) | instskip(NEXT) | instid1(VALU_DEP_1)
	v_and_b32_e32 v3, 0xff, v3
	v_cmp_ne_u32_e32 vcc_lo, 0, v3
	s_and_b32 s40, vcc_lo, exec_lo
	s_delay_alu instid0(SALU_CYCLE_1)
	s_or_b32 s25, s25, s40
	s_or_b32 exec_lo, exec_lo, s36
	v_mov_b32_e32 v7, s37
	s_and_saveexec_b32 s36, s25
	s_cbranch_execnz .LBB401_66
	s_branch .LBB401_67
.LBB401_343:
	s_mov_b32 s3, -1
.LBB401_344:
                                        ; implicit-def: $vgpr3
.LBB401_345:
	s_and_b32 vcc_lo, exec_lo, s24
	s_cbranch_vccz .LBB401_421
; %bb.346:
	v_cmp_eq_u16_e32 vcc_lo, 44, v4
	s_cbranch_vccz .LBB401_420
; %bb.347:
	global_load_u8 v3, v[1:2], off
	s_mov_b32 s3, 0
	s_mov_b32 s2, -1
	s_waitcnt vmcnt(0)
	v_lshlrev_b32_e32 v6, 23, v3
	v_cmp_ne_u32_e32 vcc_lo, 0xff, v3
	s_delay_alu instid0(VALU_DEP_2) | instskip(SKIP_1) | instid1(VALU_DEP_2)
	v_cndmask_b32_e32 v6, 0x7f800001, v6, vcc_lo
	v_cmp_ne_u32_e32 vcc_lo, 0, v3
	v_cndmask_b32_e32 v3, 0x400000, v6, vcc_lo
	s_branch .LBB401_421
.LBB401_348:
	s_mov_b32 s2, s36
.LBB401_349:
	s_and_b32 vcc_lo, exec_lo, s25
	s_cbranch_vccz .LBB401_354
; %bb.350:
	v_cmp_eq_u16_e32 vcc_lo, 44, v6
	s_mov_b32 s2, -1
	s_cbranch_vccz .LBB401_354
; %bb.351:
	v_bfe_u32 v7, v2, 23, 8
	v_mov_b32_e32 v3, 0xff
	s_mov_b32 s24, exec_lo
	s_delay_alu instid0(VALU_DEP_2)
	v_cmpx_ne_u32_e32 0xff, v7
; %bb.352:
	v_and_b32_e32 v3, 0x400000, v2
	v_and_or_b32 v7, 0x3fffff, v2, v7
	s_delay_alu instid0(VALU_DEP_2) | instskip(NEXT) | instid1(VALU_DEP_2)
	v_cmp_ne_u32_e32 vcc_lo, 0, v3
	v_cmp_ne_u32_e64 s2, 0, v7
	v_lshrrev_b32_e32 v3, 23, v2
	s_delay_alu instid0(VALU_DEP_2) | instskip(NEXT) | instid1(SALU_CYCLE_1)
	s_and_b32 s2, vcc_lo, s2
	v_cndmask_b32_e64 v7, 0, 1, s2
	s_delay_alu instid0(VALU_DEP_1)
	v_add_nc_u32_e32 v3, v3, v7
; %bb.353:
	s_or_b32 exec_lo, exec_lo, s24
	s_mov_b32 s24, -1
	s_mov_b32 s2, 0
	global_store_b8 v[0:1], v3, off
.LBB401_354:
	s_mov_b32 s25, 0
.LBB401_355:
	s_delay_alu instid0(SALU_CYCLE_1)
	s_and_b32 vcc_lo, exec_lo, s25
	s_cbranch_vccz .LBB401_358
; %bb.356:
	v_cmp_eq_u16_e32 vcc_lo, 29, v6
	s_mov_b32 s2, -1
	s_cbranch_vccz .LBB401_358
; %bb.357:
	v_trunc_f32_e32 v3, v2
	s_mov_b32 s24, -1
	s_mov_b32 s2, 0
	s_mov_b32 s25, 0
	s_delay_alu instid0(VALU_DEP_1) | instskip(NEXT) | instid1(VALU_DEP_1)
	v_mul_f32_e32 v7, 0x2f800000, v3
	v_floor_f32_e32 v7, v7
	s_delay_alu instid0(VALU_DEP_1) | instskip(SKIP_1) | instid1(VALU_DEP_2)
	v_fmamk_f32 v3, v7, 0xcf800000, v3
	v_cvt_u32_f32_e32 v8, v7
	v_cvt_u32_f32_e32 v7, v3
	global_store_b64 v[0:1], v[7:8], off
	s_branch .LBB401_359
.LBB401_358:
	s_mov_b32 s25, 0
.LBB401_359:
	s_delay_alu instid0(SALU_CYCLE_1)
	s_and_b32 vcc_lo, exec_lo, s25
	s_cbranch_vccz .LBB401_375
; %bb.360:
	v_cmp_gt_i16_e32 vcc_lo, 27, v6
	s_mov_b32 s24, -1
	s_cbranch_vccnz .LBB401_366
; %bb.361:
	v_cmp_lt_i16_e32 vcc_lo, 27, v6
	s_cbranch_vccz .LBB401_363
; %bb.362:
	v_cvt_u32_f32_e32 v3, v2
	s_mov_b32 s24, 0
	global_store_b32 v[0:1], v3, off
.LBB401_363:
	s_and_not1_b32 vcc_lo, exec_lo, s24
	s_cbranch_vccnz .LBB401_365
; %bb.364:
	v_cvt_u32_f32_e32 v3, v2
	global_store_b16 v[0:1], v3, off
.LBB401_365:
	s_mov_b32 s24, 0
.LBB401_366:
	s_delay_alu instid0(SALU_CYCLE_1)
	s_and_not1_b32 vcc_lo, exec_lo, s24
	s_cbranch_vccnz .LBB401_374
; %bb.367:
	v_and_b32_e32 v3, 0x7fffffff, v2
	v_mov_b32_e32 v7, 0x80
	s_mov_b32 s24, exec_lo
	s_delay_alu instid0(VALU_DEP_2)
	v_cmpx_gt_u32_e32 0x43800000, v3
	s_cbranch_execz .LBB401_373
; %bb.368:
	v_cmp_lt_u32_e32 vcc_lo, 0x3bffffff, v3
	s_mov_b32 s25, 0
                                        ; implicit-def: $vgpr3
	s_and_saveexec_b32 s39, vcc_lo
	s_delay_alu instid0(SALU_CYCLE_1)
	s_xor_b32 s39, exec_lo, s39
	s_cbranch_execz .LBB401_559
; %bb.369:
	v_bfe_u32 v3, v2, 20, 1
	s_mov_b32 s25, exec_lo
	s_delay_alu instid0(VALU_DEP_1) | instskip(NEXT) | instid1(VALU_DEP_1)
	v_add3_u32 v3, v2, v3, 0x487ffff
	v_lshrrev_b32_e32 v3, 20, v3
	s_or_saveexec_b32 s39, s39
                                        ; implicit-def: $sgpr40
	s_delay_alu instid0(SALU_CYCLE_1)
	s_xor_b32 exec_lo, exec_lo, s39
	s_cbranch_execnz .LBB401_560
.LBB401_370:
	s_or_b32 exec_lo, exec_lo, s39
	v_mov_b32_e32 v7, s40
	s_and_saveexec_b32 s39, s25
.LBB401_371:
	v_lshrrev_b32_e32 v7, 24, v2
	s_delay_alu instid0(VALU_DEP_1)
	v_and_or_b32 v7, 0x80, v7, v3
.LBB401_372:
	s_or_b32 exec_lo, exec_lo, s39
.LBB401_373:
	s_delay_alu instid0(SALU_CYCLE_1)
	s_or_b32 exec_lo, exec_lo, s24
	global_store_b8 v[0:1], v7, off
.LBB401_374:
	s_mov_b32 s24, -1
.LBB401_375:
	s_mov_b32 s25, 0
.LBB401_376:
	s_delay_alu instid0(SALU_CYCLE_1)
	s_and_b32 vcc_lo, exec_lo, s25
	s_cbranch_vccz .LBB401_417
; %bb.377:
	v_cmp_lt_i16_e32 vcc_lo, 22, v6
	s_mov_b32 s25, -1
	s_cbranch_vccz .LBB401_409
; %bb.378:
	v_cmp_gt_i16_e32 vcc_lo, 24, v6
	s_mov_b32 s24, -1
	s_cbranch_vccnz .LBB401_398
; %bb.379:
	v_cmp_lt_i16_e32 vcc_lo, 24, v6
	s_cbranch_vccz .LBB401_387
; %bb.380:
	v_and_b32_e32 v3, 0x7fffffff, v2
	v_mov_b32_e32 v7, 0x80
	s_mov_b32 s24, exec_lo
	s_delay_alu instid0(VALU_DEP_2)
	v_cmpx_gt_u32_e32 0x47800000, v3
	s_cbranch_execz .LBB401_386
; %bb.381:
	v_cmp_lt_u32_e32 vcc_lo, 0x37ffffff, v3
	s_mov_b32 s25, 0
                                        ; implicit-def: $vgpr3
	s_and_saveexec_b32 s39, vcc_lo
	s_delay_alu instid0(SALU_CYCLE_1)
	s_xor_b32 s39, exec_lo, s39
	s_cbranch_execz .LBB401_562
; %bb.382:
	v_bfe_u32 v3, v2, 21, 1
	s_mov_b32 s25, exec_lo
	s_delay_alu instid0(VALU_DEP_1) | instskip(NEXT) | instid1(VALU_DEP_1)
	v_add3_u32 v3, v2, v3, 0x88fffff
	v_lshrrev_b32_e32 v3, 21, v3
	s_or_saveexec_b32 s39, s39
                                        ; implicit-def: $sgpr40
	s_delay_alu instid0(SALU_CYCLE_1)
	s_xor_b32 exec_lo, exec_lo, s39
	s_cbranch_execnz .LBB401_563
.LBB401_383:
	s_or_b32 exec_lo, exec_lo, s39
	v_mov_b32_e32 v7, s40
	s_and_saveexec_b32 s39, s25
.LBB401_384:
	v_lshrrev_b32_e32 v7, 24, v2
	s_delay_alu instid0(VALU_DEP_1)
	v_and_or_b32 v7, 0x80, v7, v3
.LBB401_385:
	s_or_b32 exec_lo, exec_lo, s39
.LBB401_386:
	s_delay_alu instid0(SALU_CYCLE_1)
	s_or_b32 exec_lo, exec_lo, s24
	s_mov_b32 s24, 0
	global_store_b8 v[0:1], v7, off
.LBB401_387:
	s_and_b32 vcc_lo, exec_lo, s24
	s_cbranch_vccz .LBB401_397
; %bb.388:
	v_and_b32_e32 v7, 0x7fffffff, v2
	s_mov_b32 s24, exec_lo
                                        ; implicit-def: $vgpr3
	s_delay_alu instid0(VALU_DEP_1)
	v_cmpx_gt_u32_e32 0x43f00000, v7
	s_xor_b32 s24, exec_lo, s24
	s_cbranch_execz .LBB401_394
; %bb.389:
	s_mov_b32 s25, exec_lo
                                        ; implicit-def: $vgpr3
	v_cmpx_lt_u32_e32 0x3c7fffff, v7
	s_xor_b32 s25, exec_lo, s25
; %bb.390:
	v_bfe_u32 v3, v2, 20, 1
	s_delay_alu instid0(VALU_DEP_1) | instskip(NEXT) | instid1(VALU_DEP_1)
	v_add3_u32 v3, v2, v3, 0x407ffff
	v_and_b32_e32 v7, 0xff00000, v3
	v_lshrrev_b32_e32 v3, 20, v3
	s_delay_alu instid0(VALU_DEP_2) | instskip(NEXT) | instid1(VALU_DEP_2)
	v_cmp_ne_u32_e32 vcc_lo, 0x7f00000, v7
	v_cndmask_b32_e32 v3, 0x7e, v3, vcc_lo
; %bb.391:
	s_and_not1_saveexec_b32 s25, s25
; %bb.392:
	v_add_f32_e64 v3, 0x46800000, |v2|
; %bb.393:
	s_or_b32 exec_lo, exec_lo, s25
                                        ; implicit-def: $vgpr7
.LBB401_394:
	s_and_not1_saveexec_b32 s24, s24
; %bb.395:
	v_mov_b32_e32 v3, 0x7f
	v_cmp_lt_u32_e32 vcc_lo, 0x7f800000, v7
	s_delay_alu instid0(VALU_DEP_2)
	v_cndmask_b32_e32 v3, 0x7e, v3, vcc_lo
; %bb.396:
	s_or_b32 exec_lo, exec_lo, s24
	v_lshrrev_b32_e32 v7, 24, v2
	s_delay_alu instid0(VALU_DEP_1)
	v_and_or_b32 v3, 0x80, v7, v3
	global_store_b8 v[0:1], v3, off
.LBB401_397:
	s_mov_b32 s24, 0
.LBB401_398:
	s_delay_alu instid0(SALU_CYCLE_1)
	s_and_not1_b32 vcc_lo, exec_lo, s24
	s_cbranch_vccnz .LBB401_408
; %bb.399:
	v_and_b32_e32 v7, 0x7fffffff, v2
	s_mov_b32 s24, exec_lo
                                        ; implicit-def: $vgpr3
	s_delay_alu instid0(VALU_DEP_1)
	v_cmpx_gt_u32_e32 0x47800000, v7
	s_xor_b32 s24, exec_lo, s24
	s_cbranch_execz .LBB401_405
; %bb.400:
	s_mov_b32 s25, exec_lo
                                        ; implicit-def: $vgpr3
	v_cmpx_lt_u32_e32 0x387fffff, v7
	s_xor_b32 s25, exec_lo, s25
; %bb.401:
	v_bfe_u32 v3, v2, 21, 1
	s_delay_alu instid0(VALU_DEP_1) | instskip(NEXT) | instid1(VALU_DEP_1)
	v_add3_u32 v3, v2, v3, 0x80fffff
	v_lshrrev_b32_e32 v3, 21, v3
; %bb.402:
	s_and_not1_saveexec_b32 s25, s25
; %bb.403:
	v_add_f32_e64 v3, 0x43000000, |v2|
; %bb.404:
	s_or_b32 exec_lo, exec_lo, s25
                                        ; implicit-def: $vgpr7
.LBB401_405:
	s_and_not1_saveexec_b32 s24, s24
; %bb.406:
	v_mov_b32_e32 v3, 0x7f
	v_cmp_lt_u32_e32 vcc_lo, 0x7f800000, v7
	s_delay_alu instid0(VALU_DEP_2)
	v_cndmask_b32_e32 v3, 0x7c, v3, vcc_lo
; %bb.407:
	s_or_b32 exec_lo, exec_lo, s24
	v_lshrrev_b32_e32 v7, 24, v2
	s_delay_alu instid0(VALU_DEP_1)
	v_and_or_b32 v3, 0x80, v7, v3
	global_store_b8 v[0:1], v3, off
.LBB401_408:
	s_mov_b32 s25, 0
	s_mov_b32 s24, -1
.LBB401_409:
	s_and_not1_b32 vcc_lo, exec_lo, s25
	s_cbranch_vccnz .LBB401_417
; %bb.410:
	v_cmp_lt_i16_e32 vcc_lo, 14, v6
	s_mov_b32 s25, -1
	s_cbranch_vccz .LBB401_414
; %bb.411:
	v_cmp_eq_u16_e32 vcc_lo, 15, v6
	s_mov_b32 s2, -1
	s_cbranch_vccz .LBB401_413
; %bb.412:
	v_bfe_u32 v3, v2, 16, 1
	v_cmp_o_f32_e32 vcc_lo, v2, v2
	s_mov_b32 s24, -1
	s_mov_b32 s2, 0
	s_delay_alu instid0(VALU_DEP_2) | instskip(NEXT) | instid1(VALU_DEP_1)
	v_add3_u32 v3, v2, v3, 0x7fff
	v_lshrrev_b32_e32 v3, 16, v3
	s_delay_alu instid0(VALU_DEP_1)
	v_cndmask_b32_e32 v3, 0x7fc0, v3, vcc_lo
	global_store_b16 v[0:1], v3, off
.LBB401_413:
	s_mov_b32 s25, 0
.LBB401_414:
	s_delay_alu instid0(SALU_CYCLE_1)
	s_and_b32 vcc_lo, exec_lo, s25
	s_cbranch_vccz .LBB401_417
; %bb.415:
	v_cmp_eq_u16_e32 vcc_lo, 11, v6
	s_mov_b32 s2, -1
	s_cbranch_vccz .LBB401_417
; %bb.416:
	v_cmp_neq_f32_e32 vcc_lo, 0, v2
	s_mov_b32 s2, 0
	s_mov_b32 s24, -1
	v_cndmask_b32_e64 v3, 0, 1, vcc_lo
	global_store_b8 v[0:1], v3, off
.LBB401_417:
.LBB401_418:
	s_and_not1_b32 vcc_lo, exec_lo, s24
	s_cbranch_vccnz .LBB401_333
.LBB401_419:
	v_add_nc_u32_e32 v5, 0x80, v5
	s_mov_b32 s24, -1
	s_branch .LBB401_532
.LBB401_420:
	s_mov_b32 s3, -1
                                        ; implicit-def: $vgpr3
.LBB401_421:
	s_mov_b32 s24, 0
.LBB401_422:
	s_delay_alu instid0(SALU_CYCLE_1)
	s_and_b32 vcc_lo, exec_lo, s24
	s_cbranch_vccz .LBB401_426
; %bb.423:
	v_cmp_eq_u16_e32 vcc_lo, 29, v4
	s_cbranch_vccz .LBB401_425
; %bb.424:
	global_load_b64 v[6:7], v[1:2], off
	s_mov_b32 s2, -1
	s_mov_b32 s3, 0
	s_mov_b32 s24, 0
	s_waitcnt vmcnt(0)
	v_clz_i32_u32_e32 v3, v7
	s_delay_alu instid0(VALU_DEP_1) | instskip(NEXT) | instid1(VALU_DEP_1)
	v_min_u32_e32 v3, 32, v3
	v_lshlrev_b64 v[6:7], v3, v[6:7]
	v_sub_nc_u32_e32 v3, 32, v3
	s_delay_alu instid0(VALU_DEP_2) | instskip(NEXT) | instid1(VALU_DEP_1)
	v_min_u32_e32 v6, 1, v6
	v_or_b32_e32 v6, v7, v6
	s_delay_alu instid0(VALU_DEP_1) | instskip(NEXT) | instid1(VALU_DEP_1)
	v_cvt_f32_u32_e32 v6, v6
	v_ldexp_f32 v3, v6, v3
	s_branch .LBB401_427
.LBB401_425:
	s_mov_b32 s3, -1
                                        ; implicit-def: $vgpr3
.LBB401_426:
	s_mov_b32 s24, 0
.LBB401_427:
	s_delay_alu instid0(SALU_CYCLE_1)
	s_and_b32 vcc_lo, exec_lo, s24
	s_cbranch_vccz .LBB401_445
; %bb.428:
	v_cmp_gt_i16_e32 vcc_lo, 27, v4
	s_cbranch_vccnz .LBB401_431
; %bb.429:
	v_cmp_lt_i16_e32 vcc_lo, 27, v4
	s_cbranch_vccz .LBB401_432
; %bb.430:
	global_load_b32 v3, v[1:2], off
	s_mov_b32 s2, 0
	s_waitcnt vmcnt(0)
	v_cvt_f32_u32_e32 v3, v3
	s_branch .LBB401_433
.LBB401_431:
	s_mov_b32 s2, -1
                                        ; implicit-def: $vgpr3
	s_branch .LBB401_436
.LBB401_432:
	s_mov_b32 s2, -1
                                        ; implicit-def: $vgpr3
.LBB401_433:
	s_delay_alu instid0(SALU_CYCLE_1)
	s_and_not1_b32 vcc_lo, exec_lo, s2
	s_cbranch_vccnz .LBB401_435
; %bb.434:
	global_load_u16 v3, v[1:2], off
	s_waitcnt vmcnt(0)
	v_cvt_f32_u32_e32 v3, v3
.LBB401_435:
	s_mov_b32 s2, 0
.LBB401_436:
	s_delay_alu instid0(SALU_CYCLE_1)
	s_and_not1_b32 vcc_lo, exec_lo, s2
	s_cbranch_vccnz .LBB401_444
; %bb.437:
	global_load_u8 v6, v[1:2], off
	s_mov_b32 s2, 0
	s_mov_b32 s25, exec_lo
                                        ; implicit-def: $sgpr24
	s_waitcnt vmcnt(0)
	v_cmpx_lt_i16_e32 0x7f, v6
	s_xor_b32 s25, exec_lo, s25
	s_cbranch_execz .LBB401_458
; %bb.438:
	s_mov_b32 s2, -1
	s_mov_b32 s39, exec_lo
                                        ; implicit-def: $sgpr24
	v_cmpx_eq_u16_e32 0x80, v6
; %bb.439:
	s_mov_b32 s24, 0x7f800001
	s_xor_b32 s2, exec_lo, -1
; %bb.440:
	s_or_b32 exec_lo, exec_lo, s39
	s_delay_alu instid0(SALU_CYCLE_1)
	s_and_b32 s2, s2, exec_lo
	s_or_saveexec_b32 s25, s25
	v_mov_b32_e32 v3, s24
	s_xor_b32 exec_lo, exec_lo, s25
	s_cbranch_execnz .LBB401_459
.LBB401_441:
	s_or_b32 exec_lo, exec_lo, s25
	s_and_saveexec_b32 s24, s2
	s_cbranch_execz .LBB401_443
.LBB401_442:
	v_and_b32_e32 v3, 0xffff, v6
	s_delay_alu instid0(VALU_DEP_1) | instskip(NEXT) | instid1(VALU_DEP_1)
	v_and_b32_e32 v7, 7, v3
	v_clz_i32_u32_e32 v8, v7
	s_delay_alu instid0(VALU_DEP_1) | instskip(NEXT) | instid1(VALU_DEP_1)
	v_min_u32_e32 v8, 32, v8
	v_subrev_nc_u32_e32 v9, 28, v8
	v_sub_nc_u32_e32 v8, 29, v8
	s_delay_alu instid0(VALU_DEP_2) | instskip(SKIP_1) | instid1(VALU_DEP_2)
	v_lshlrev_b32_e32 v9, v9, v3
	v_bfe_u32 v3, v3, 3, 4
	v_and_b32_e32 v9, 7, v9
	s_delay_alu instid0(VALU_DEP_2) | instskip(SKIP_1) | instid1(VALU_DEP_1)
	v_cmp_eq_u32_e32 vcc_lo, 0, v3
	v_dual_cndmask_b32 v3, v3, v8 :: v_dual_lshlrev_b32 v6, 24, v6
	v_dual_cndmask_b32 v7, v7, v9 :: v_dual_and_b32 v6, 0x80000000, v6
	s_delay_alu instid0(VALU_DEP_2) | instskip(NEXT) | instid1(VALU_DEP_2)
	v_lshl_add_u32 v3, v3, 23, 0x3b800000
	v_lshlrev_b32_e32 v7, 20, v7
	s_delay_alu instid0(VALU_DEP_1)
	v_or3_b32 v3, v6, v3, v7
.LBB401_443:
	s_or_b32 exec_lo, exec_lo, s24
.LBB401_444:
	s_mov_b32 s2, -1
.LBB401_445:
	s_mov_b32 s24, 0
.LBB401_446:
	s_delay_alu instid0(SALU_CYCLE_1)
	s_and_b32 vcc_lo, exec_lo, s24
	s_cbranch_vccz .LBB401_481
; %bb.447:
	v_cmp_lt_i16_e32 vcc_lo, 22, v4
	s_cbranch_vccz .LBB401_457
; %bb.448:
	v_cmp_gt_i16_e32 vcc_lo, 24, v4
	s_cbranch_vccnz .LBB401_460
; %bb.449:
	v_cmp_lt_i16_e32 vcc_lo, 24, v4
	s_cbranch_vccz .LBB401_461
; %bb.450:
	global_load_u8 v6, v[1:2], off
	s_mov_b32 s2, 0
	s_mov_b32 s25, exec_lo
                                        ; implicit-def: $sgpr24
	s_waitcnt vmcnt(0)
	v_cmpx_lt_i16_e32 0x7f, v6
	s_xor_b32 s25, exec_lo, s25
	s_cbranch_execz .LBB401_473
; %bb.451:
	s_mov_b32 s2, -1
	s_mov_b32 s39, exec_lo
                                        ; implicit-def: $sgpr24
	v_cmpx_eq_u16_e32 0x80, v6
; %bb.452:
	s_mov_b32 s24, 0x7f800001
	s_xor_b32 s2, exec_lo, -1
; %bb.453:
	s_or_b32 exec_lo, exec_lo, s39
	s_delay_alu instid0(SALU_CYCLE_1)
	s_and_b32 s2, s2, exec_lo
	s_or_saveexec_b32 s25, s25
	v_mov_b32_e32 v3, s24
	s_xor_b32 exec_lo, exec_lo, s25
	s_cbranch_execnz .LBB401_474
.LBB401_454:
	s_or_b32 exec_lo, exec_lo, s25
	s_and_saveexec_b32 s24, s2
	s_cbranch_execz .LBB401_456
.LBB401_455:
	v_and_b32_e32 v3, 0xffff, v6
	s_delay_alu instid0(VALU_DEP_1) | instskip(NEXT) | instid1(VALU_DEP_1)
	v_and_b32_e32 v7, 3, v3
	v_clz_i32_u32_e32 v8, v7
	s_delay_alu instid0(VALU_DEP_1) | instskip(NEXT) | instid1(VALU_DEP_1)
	v_min_u32_e32 v8, 32, v8
	v_subrev_nc_u32_e32 v9, 29, v8
	v_sub_nc_u32_e32 v8, 30, v8
	s_delay_alu instid0(VALU_DEP_2) | instskip(SKIP_1) | instid1(VALU_DEP_2)
	v_lshlrev_b32_e32 v9, v9, v3
	v_bfe_u32 v3, v3, 2, 5
	v_and_b32_e32 v9, 3, v9
	s_delay_alu instid0(VALU_DEP_2) | instskip(SKIP_1) | instid1(VALU_DEP_1)
	v_cmp_eq_u32_e32 vcc_lo, 0, v3
	v_dual_cndmask_b32 v3, v3, v8 :: v_dual_lshlrev_b32 v6, 24, v6
	v_dual_cndmask_b32 v7, v7, v9 :: v_dual_and_b32 v6, 0x80000000, v6
	s_delay_alu instid0(VALU_DEP_2) | instskip(NEXT) | instid1(VALU_DEP_2)
	v_lshl_add_u32 v3, v3, 23, 0x37800000
	v_lshlrev_b32_e32 v7, 21, v7
	s_delay_alu instid0(VALU_DEP_1)
	v_or3_b32 v3, v6, v3, v7
.LBB401_456:
	s_or_b32 exec_lo, exec_lo, s24
	s_mov_b32 s2, 0
	s_branch .LBB401_462
.LBB401_457:
	s_mov_b32 s24, -1
                                        ; implicit-def: $vgpr3
	s_branch .LBB401_468
.LBB401_458:
	s_or_saveexec_b32 s25, s25
	v_mov_b32_e32 v3, s24
	s_xor_b32 exec_lo, exec_lo, s25
	s_cbranch_execz .LBB401_441
.LBB401_459:
	v_cmp_ne_u16_e32 vcc_lo, 0, v6
	v_mov_b32_e32 v3, 0
	s_and_not1_b32 s2, s2, exec_lo
	s_and_b32 s24, vcc_lo, exec_lo
	s_delay_alu instid0(SALU_CYCLE_1)
	s_or_b32 s2, s2, s24
	s_or_b32 exec_lo, exec_lo, s25
	s_and_saveexec_b32 s24, s2
	s_cbranch_execnz .LBB401_442
	s_branch .LBB401_443
.LBB401_460:
	s_mov_b32 s2, -1
                                        ; implicit-def: $vgpr3
	s_branch .LBB401_465
.LBB401_461:
	s_mov_b32 s2, -1
                                        ; implicit-def: $vgpr3
.LBB401_462:
	s_delay_alu instid0(SALU_CYCLE_1)
	s_and_b32 vcc_lo, exec_lo, s2
	s_cbranch_vccz .LBB401_464
; %bb.463:
	global_load_u8 v3, v[1:2], off
	s_waitcnt vmcnt(0)
	v_lshlrev_b32_e32 v3, 24, v3
	s_delay_alu instid0(VALU_DEP_1) | instskip(NEXT) | instid1(VALU_DEP_1)
	v_and_b32_e32 v6, 0x7f000000, v3
	v_clz_i32_u32_e32 v7, v6
	v_cmp_ne_u32_e32 vcc_lo, 0, v6
	v_add_nc_u32_e32 v9, 0x1000000, v6
	s_delay_alu instid0(VALU_DEP_3) | instskip(NEXT) | instid1(VALU_DEP_1)
	v_min_u32_e32 v7, 32, v7
	v_sub_nc_u32_e64 v7, v7, 4 clamp
	s_delay_alu instid0(VALU_DEP_1) | instskip(SKIP_1) | instid1(VALU_DEP_2)
	v_lshlrev_b32_e32 v8, v7, v6
	v_lshlrev_b32_e32 v7, 23, v7
	v_lshrrev_b32_e32 v8, 4, v8
	s_delay_alu instid0(VALU_DEP_1) | instskip(SKIP_1) | instid1(VALU_DEP_2)
	v_sub_nc_u32_e32 v7, v8, v7
	v_ashrrev_i32_e32 v8, 8, v9
	v_add_nc_u32_e32 v7, 0x3c000000, v7
	s_delay_alu instid0(VALU_DEP_1) | instskip(NEXT) | instid1(VALU_DEP_1)
	v_and_or_b32 v7, 0x7f800000, v8, v7
	v_cndmask_b32_e32 v6, 0, v7, vcc_lo
	s_delay_alu instid0(VALU_DEP_1)
	v_and_or_b32 v3, 0x80000000, v3, v6
.LBB401_464:
	s_mov_b32 s2, 0
.LBB401_465:
	s_delay_alu instid0(SALU_CYCLE_1)
	s_and_not1_b32 vcc_lo, exec_lo, s2
	s_cbranch_vccnz .LBB401_467
; %bb.466:
	global_load_u8 v3, v[1:2], off
	s_waitcnt vmcnt(0)
	v_lshlrev_b32_e32 v6, 25, v3
	v_lshlrev_b16 v3, 8, v3
	s_delay_alu instid0(VALU_DEP_2) | instskip(NEXT) | instid1(VALU_DEP_2)
	v_lshrrev_b32_e32 v7, 4, v6
	v_and_or_b32 v8, 0x7f00, v3, 0.5
	v_cmp_gt_u32_e32 vcc_lo, 0x8000000, v6
	v_bfe_i32 v3, v3, 0, 16
	s_delay_alu instid0(VALU_DEP_4) | instskip(NEXT) | instid1(VALU_DEP_1)
	v_or_b32_e32 v7, 0x70000000, v7
	v_dual_add_f32 v8, -0.5, v8 :: v_dual_mul_f32 v7, 0x7800000, v7
	s_delay_alu instid0(VALU_DEP_1) | instskip(NEXT) | instid1(VALU_DEP_1)
	v_cndmask_b32_e32 v6, v7, v8, vcc_lo
	v_and_or_b32 v3, 0x80000000, v3, v6
.LBB401_467:
	s_mov_b32 s24, 0
	s_mov_b32 s2, -1
.LBB401_468:
	s_and_not1_b32 vcc_lo, exec_lo, s24
	s_cbranch_vccnz .LBB401_481
; %bb.469:
	v_cmp_lt_i16_e32 vcc_lo, 14, v4
	s_cbranch_vccz .LBB401_472
; %bb.470:
	v_cmp_eq_u16_e32 vcc_lo, 15, v4
	s_cbranch_vccz .LBB401_475
; %bb.471:
	global_load_u16 v3, v[1:2], off
	s_mov_b32 s2, -1
	s_mov_b32 s3, 0
	s_waitcnt vmcnt(0)
	v_lshlrev_b32_e32 v3, 16, v3
	s_branch .LBB401_476
.LBB401_472:
	s_mov_b32 s24, -1
                                        ; implicit-def: $vgpr3
	s_branch .LBB401_477
.LBB401_473:
	s_or_saveexec_b32 s25, s25
	v_mov_b32_e32 v3, s24
	s_xor_b32 exec_lo, exec_lo, s25
	s_cbranch_execz .LBB401_454
.LBB401_474:
	v_cmp_ne_u16_e32 vcc_lo, 0, v6
	v_mov_b32_e32 v3, 0
	s_and_not1_b32 s2, s2, exec_lo
	s_and_b32 s24, vcc_lo, exec_lo
	s_delay_alu instid0(SALU_CYCLE_1)
	s_or_b32 s2, s2, s24
	s_or_b32 exec_lo, exec_lo, s25
	s_and_saveexec_b32 s24, s2
	s_cbranch_execnz .LBB401_455
	s_branch .LBB401_456
.LBB401_475:
	s_mov_b32 s3, -1
                                        ; implicit-def: $vgpr3
.LBB401_476:
	s_mov_b32 s24, 0
.LBB401_477:
	s_delay_alu instid0(SALU_CYCLE_1)
	s_and_b32 vcc_lo, exec_lo, s24
	s_cbranch_vccz .LBB401_481
; %bb.478:
	v_cmp_eq_u16_e32 vcc_lo, 11, v4
	s_cbranch_vccz .LBB401_480
; %bb.479:
	global_load_u8 v3, v[1:2], off
	s_mov_b32 s3, 0
	s_mov_b32 s2, -1
	s_waitcnt vmcnt(0)
	v_cmp_ne_u16_e32 vcc_lo, 0, v3
	v_cndmask_b32_e64 v3, 0, 1.0, vcc_lo
	s_branch .LBB401_481
.LBB401_480:
	s_mov_b32 s3, -1
                                        ; implicit-def: $vgpr3
.LBB401_481:
	s_branch .LBB401_286
.LBB401_482:
	v_cmp_gt_i16_e32 vcc_lo, 5, v4
	s_cbranch_vccnz .LBB401_487
; %bb.483:
	v_cmp_gt_i16_e32 vcc_lo, 8, v4
	s_cbranch_vccnz .LBB401_488
; %bb.484:
	;; [unrolled: 3-line block ×3, first 2 shown]
	v_cmp_lt_i16_e32 vcc_lo, 9, v4
	s_cbranch_vccz .LBB401_490
; %bb.486:
	global_load_b64 v[6:7], v[1:2], off
	s_mov_b32 s2, 0
	s_waitcnt vmcnt(0)
	v_cvt_f32_f64_e32 v3, v[6:7]
	s_branch .LBB401_491
.LBB401_487:
	s_mov_b32 s2, -1
                                        ; implicit-def: $vgpr3
	s_branch .LBB401_509
.LBB401_488:
	s_mov_b32 s2, -1
                                        ; implicit-def: $vgpr3
	s_branch .LBB401_497
.LBB401_489:
	s_mov_b32 s2, -1
                                        ; implicit-def: $vgpr3
	s_branch .LBB401_494
.LBB401_490:
	s_mov_b32 s2, -1
                                        ; implicit-def: $vgpr3
.LBB401_491:
	s_delay_alu instid0(SALU_CYCLE_1)
	s_and_not1_b32 vcc_lo, exec_lo, s2
	s_cbranch_vccnz .LBB401_493
; %bb.492:
	global_load_b32 v3, v[1:2], off
.LBB401_493:
	s_mov_b32 s2, 0
.LBB401_494:
	s_delay_alu instid0(SALU_CYCLE_1)
	s_and_not1_b32 vcc_lo, exec_lo, s2
	s_cbranch_vccnz .LBB401_496
; %bb.495:
	global_load_b32 v3, v[1:2], off
	s_waitcnt vmcnt(0)
	v_cvt_f32_f16_e32 v3, v3
.LBB401_496:
	s_mov_b32 s2, 0
.LBB401_497:
	s_delay_alu instid0(SALU_CYCLE_1)
	s_and_not1_b32 vcc_lo, exec_lo, s2
	s_cbranch_vccnz .LBB401_508
; %bb.498:
	v_cmp_gt_i16_e32 vcc_lo, 6, v4
	s_cbranch_vccnz .LBB401_501
; %bb.499:
	v_cmp_lt_i16_e32 vcc_lo, 6, v4
	s_cbranch_vccz .LBB401_502
; %bb.500:
	global_load_b64 v[6:7], v[1:2], off
	s_mov_b32 s2, 0
	s_waitcnt vmcnt(0)
	v_cvt_f32_f64_e32 v3, v[6:7]
	s_branch .LBB401_503
.LBB401_501:
	s_mov_b32 s2, -1
                                        ; implicit-def: $vgpr3
	s_branch .LBB401_506
.LBB401_502:
	s_mov_b32 s2, -1
                                        ; implicit-def: $vgpr3
.LBB401_503:
	s_delay_alu instid0(SALU_CYCLE_1)
	s_and_not1_b32 vcc_lo, exec_lo, s2
	s_cbranch_vccnz .LBB401_505
; %bb.504:
	global_load_b32 v3, v[1:2], off
.LBB401_505:
	s_mov_b32 s2, 0
.LBB401_506:
	s_delay_alu instid0(SALU_CYCLE_1)
	s_and_not1_b32 vcc_lo, exec_lo, s2
	s_cbranch_vccnz .LBB401_508
; %bb.507:
	global_load_u16 v3, v[1:2], off
	s_waitcnt vmcnt(0)
	v_cvt_f32_f16_e32 v3, v3
.LBB401_508:
	s_mov_b32 s2, 0
.LBB401_509:
	s_delay_alu instid0(SALU_CYCLE_1)
	s_and_not1_b32 vcc_lo, exec_lo, s2
	s_cbranch_vccnz .LBB401_529
; %bb.510:
	v_cmp_gt_i16_e32 vcc_lo, 2, v4
	s_cbranch_vccnz .LBB401_514
; %bb.511:
	v_cmp_gt_i16_e32 vcc_lo, 3, v4
	s_cbranch_vccnz .LBB401_515
; %bb.512:
	v_cmp_lt_i16_e32 vcc_lo, 3, v4
	s_cbranch_vccz .LBB401_516
; %bb.513:
	global_load_b64 v[6:7], v[1:2], off
	s_mov_b32 s2, 0
	s_waitcnt vmcnt(0)
	v_xor_b32_e32 v3, v6, v7
	v_cls_i32_e32 v8, v7
	s_delay_alu instid0(VALU_DEP_2) | instskip(NEXT) | instid1(VALU_DEP_2)
	v_ashrrev_i32_e32 v3, 31, v3
	v_add_nc_u32_e32 v8, -1, v8
	s_delay_alu instid0(VALU_DEP_2) | instskip(NEXT) | instid1(VALU_DEP_1)
	v_add_nc_u32_e32 v3, 32, v3
	v_min_u32_e32 v3, v8, v3
	s_delay_alu instid0(VALU_DEP_1) | instskip(SKIP_1) | instid1(VALU_DEP_2)
	v_lshlrev_b64 v[6:7], v3, v[6:7]
	v_sub_nc_u32_e32 v3, 32, v3
	v_min_u32_e32 v6, 1, v6
	s_delay_alu instid0(VALU_DEP_1) | instskip(NEXT) | instid1(VALU_DEP_1)
	v_or_b32_e32 v6, v7, v6
	v_cvt_f32_i32_e32 v6, v6
	s_delay_alu instid0(VALU_DEP_1)
	v_ldexp_f32 v3, v6, v3
	s_branch .LBB401_517
.LBB401_514:
	s_mov_b32 s2, -1
                                        ; implicit-def: $vgpr3
	s_branch .LBB401_523
.LBB401_515:
	s_mov_b32 s2, -1
                                        ; implicit-def: $vgpr3
	s_branch .LBB401_520
.LBB401_516:
	s_mov_b32 s2, -1
                                        ; implicit-def: $vgpr3
.LBB401_517:
	s_delay_alu instid0(SALU_CYCLE_1)
	s_and_not1_b32 vcc_lo, exec_lo, s2
	s_cbranch_vccnz .LBB401_519
; %bb.518:
	global_load_b32 v3, v[1:2], off
	s_waitcnt vmcnt(0)
	v_cvt_f32_i32_e32 v3, v3
.LBB401_519:
	s_mov_b32 s2, 0
.LBB401_520:
	s_delay_alu instid0(SALU_CYCLE_1)
	s_and_not1_b32 vcc_lo, exec_lo, s2
	s_cbranch_vccnz .LBB401_522
; %bb.521:
	global_load_i16 v3, v[1:2], off
	s_waitcnt vmcnt(0)
	v_cvt_f32_i32_e32 v3, v3
.LBB401_522:
	s_mov_b32 s2, 0
.LBB401_523:
	s_delay_alu instid0(SALU_CYCLE_1)
	s_and_not1_b32 vcc_lo, exec_lo, s2
	s_cbranch_vccnz .LBB401_529
; %bb.524:
	v_cmp_lt_i16_e32 vcc_lo, 0, v4
	s_mov_b32 s2, 0
	s_cbranch_vccz .LBB401_526
; %bb.525:
	global_load_i8 v3, v[1:2], off
	s_waitcnt vmcnt(0)
	v_cvt_f32_i32_e32 v3, v3
	s_branch .LBB401_527
.LBB401_526:
	s_mov_b32 s2, -1
                                        ; implicit-def: $vgpr3
.LBB401_527:
	s_delay_alu instid0(SALU_CYCLE_1)
	s_and_not1_b32 vcc_lo, exec_lo, s2
	s_cbranch_vccnz .LBB401_529
; %bb.528:
	global_load_u8 v1, v[1:2], off
	s_waitcnt vmcnt(0)
	v_cvt_f32_ubyte0_e32 v3, v1
.LBB401_529:
	s_branch .LBB401_287
.LBB401_530:
	s_mov_b32 s24, 0
	s_mov_b32 s2, s36
.LBB401_531:
                                        ; implicit-def: $vgpr5
.LBB401_532:
	s_and_not1_b32 s25, s36, exec_lo
	s_and_b32 s2, s2, exec_lo
	s_and_not1_b32 s39, s37, exec_lo
	s_and_b32 s3, s3, exec_lo
	s_or_b32 s40, s25, s2
	s_or_b32 s39, s39, s3
	s_or_not1_b32 s2, s24, exec_lo
.LBB401_533:
	s_or_b32 exec_lo, exec_lo, s41
	s_mov_b32 s3, 0
	s_mov_b32 s25, 0
	s_mov_b32 s42, 0
                                        ; implicit-def: $vgpr1_vgpr2
                                        ; implicit-def: $vgpr0
                                        ; implicit-def: $vgpr6
	s_and_saveexec_b32 s41, s2
	s_cbranch_execz .LBB401_905
; %bb.534:
	s_mov_b32 s44, -1
	s_mov_b32 s24, s39
	s_mov_b32 s25, s40
	s_mov_b32 s42, exec_lo
	v_cmpx_gt_i32_e64 s33, v5
	s_cbranch_execz .LBB401_806
; %bb.535:
	s_and_not1_b32 vcc_lo, exec_lo, s29
	s_cbranch_vccnz .LBB401_540
; %bb.536:
	v_dual_mov_b32 v0, 0 :: v_dual_mov_b32 v1, 0
	s_and_not1_b32 vcc_lo, exec_lo, s35
	s_mov_b32 s43, 0
	s_cbranch_vccnz .LBB401_545
; %bb.537:
	v_mov_b32_e32 v0, 0
	s_add_i32 s45, s34, 1
	s_cmp_eq_u32 s27, 2
	s_mov_b32 s44, 0
	s_cbranch_scc1 .LBB401_541
; %bb.538:
	v_dual_mov_b32 v1, 0 :: v_dual_mov_b32 v0, 0
	v_mov_b32_e32 v2, v5
	s_and_b32 s44, s45, 28
	s_mov_b32 s46, 0
	s_mov_b64 s[2:3], s[22:23]
	s_mov_b64 s[24:25], s[16:17]
.LBB401_539:                            ; =>This Inner Loop Header: Depth=1
	s_clause 0x1
	s_load_b256 s[48:55], s[24:25], 0x4
	s_load_b128 s[64:67], s[24:25], 0x24
	s_load_b256 s[56:63], s[2:3], 0x0
	s_add_u32 s24, s24, 48
	s_addc_u32 s25, s25, 0
	s_add_i32 s46, s46, 4
	s_add_u32 s2, s2, 32
	s_addc_u32 s3, s3, 0
	s_cmp_eq_u32 s44, s46
	s_waitcnt vmcnt(0) lgkmcnt(0)
	v_mul_hi_u32 v3, s49, v2
	s_delay_alu instid0(VALU_DEP_1) | instskip(NEXT) | instid1(VALU_DEP_1)
	v_add_nc_u32_e32 v3, v2, v3
	v_lshrrev_b32_e32 v3, s50, v3
	s_delay_alu instid0(VALU_DEP_1) | instskip(SKIP_1) | instid1(VALU_DEP_2)
	v_mul_hi_u32 v6, s52, v3
	v_mul_lo_u32 v8, v3, s48
	v_add_nc_u32_e32 v6, v3, v6
	s_delay_alu instid0(VALU_DEP_2) | instskip(NEXT) | instid1(VALU_DEP_2)
	v_sub_nc_u32_e32 v2, v2, v8
	v_lshrrev_b32_e32 v6, s53, v6
	s_delay_alu instid0(VALU_DEP_2) | instskip(SKIP_1) | instid1(VALU_DEP_3)
	v_mul_lo_u32 v8, v2, s56
	v_mul_lo_u32 v10, v2, s57
	v_mul_hi_u32 v7, s55, v6
	s_delay_alu instid0(VALU_DEP_1) | instskip(NEXT) | instid1(VALU_DEP_1)
	v_add_nc_u32_e32 v7, v6, v7
	v_lshrrev_b32_e32 v7, s64, v7
	s_delay_alu instid0(VALU_DEP_1) | instskip(SKIP_1) | instid1(VALU_DEP_2)
	v_mul_hi_u32 v9, s66, v7
	v_mul_lo_u32 v11, v7, s54
	v_add_nc_u32_e32 v2, v7, v9
	v_mul_lo_u32 v9, v6, s51
	s_delay_alu instid0(VALU_DEP_3) | instskip(NEXT) | instid1(VALU_DEP_3)
	v_sub_nc_u32_e32 v6, v6, v11
	v_lshrrev_b32_e32 v2, s67, v2
	s_delay_alu instid0(VALU_DEP_2) | instskip(SKIP_2) | instid1(VALU_DEP_4)
	v_mul_lo_u32 v11, v6, s60
	v_mul_lo_u32 v6, v6, s61
	v_sub_nc_u32_e32 v3, v3, v9
	v_mul_lo_u32 v12, v2, s65
	s_delay_alu instid0(VALU_DEP_2) | instskip(SKIP_1) | instid1(VALU_DEP_3)
	v_mul_lo_u32 v9, v3, s58
	v_mul_lo_u32 v3, v3, s59
	v_sub_nc_u32_e32 v7, v7, v12
	s_delay_alu instid0(VALU_DEP_3) | instskip(NEXT) | instid1(VALU_DEP_2)
	v_add3_u32 v0, v8, v0, v9
	v_mul_lo_u32 v12, v7, s62
	v_mul_lo_u32 v7, v7, s63
	v_add3_u32 v1, v10, v1, v3
	s_delay_alu instid0(VALU_DEP_3) | instskip(NEXT) | instid1(VALU_DEP_2)
	v_add3_u32 v0, v11, v0, v12
	v_add3_u32 v1, v6, v1, v7
	s_cbranch_scc0 .LBB401_539
	s_branch .LBB401_542
.LBB401_540:
	s_mov_b32 s43, -1
                                        ; implicit-def: $vgpr0
                                        ; implicit-def: $vgpr1
	s_branch .LBB401_545
.LBB401_541:
	v_dual_mov_b32 v2, v5 :: v_dual_mov_b32 v1, 0
.LBB401_542:
	s_and_b32 s45, s45, 3
	s_delay_alu instid0(SALU_CYCLE_1)
	s_cmp_eq_u32 s45, 0
	s_cbranch_scc1 .LBB401_545
; %bb.543:
	s_lshl_b32 s2, s44, 3
	s_mul_i32 s24, s44, 12
	s_add_u32 s2, s2, s16
	s_addc_u32 s3, s17, 0
	s_add_u32 s2, s2, 0xc4
	s_addc_u32 s3, s3, 0
	s_add_u32 s24, s16, s24
	s_addc_u32 s25, s17, 0
	.p2align	6
.LBB401_544:                            ; =>This Inner Loop Header: Depth=1
	s_clause 0x1
	s_load_b64 s[46:47], s[24:25], 0x4
	s_load_b32 s44, s[24:25], 0xc
	s_load_b64 s[48:49], s[2:3], 0x0
	s_add_u32 s24, s24, 12
	s_addc_u32 s25, s25, 0
	s_add_u32 s2, s2, 8
	s_addc_u32 s3, s3, 0
	s_add_i32 s45, s45, -1
	s_delay_alu instid0(SALU_CYCLE_1) | instskip(SKIP_2) | instid1(VALU_DEP_1)
	s_cmp_lg_u32 s45, 0
	s_waitcnt vmcnt(0) lgkmcnt(0)
	v_mul_hi_u32 v3, s47, v2
	v_add_nc_u32_e32 v3, v2, v3
	s_delay_alu instid0(VALU_DEP_1) | instskip(NEXT) | instid1(VALU_DEP_1)
	v_lshrrev_b32_e32 v3, s44, v3
	v_mul_lo_u32 v6, v3, s46
	s_delay_alu instid0(VALU_DEP_1) | instskip(NEXT) | instid1(VALU_DEP_1)
	v_sub_nc_u32_e32 v2, v2, v6
	v_mad_u64_u32 v[6:7], null, v2, s48, v[0:1]
	v_mad_u64_u32 v[7:8], null, v2, s49, v[1:2]
	v_mov_b32_e32 v2, v3
	s_delay_alu instid0(VALU_DEP_2)
	v_dual_mov_b32 v0, v6 :: v_dual_mov_b32 v1, v7
	s_cbranch_scc1 .LBB401_544
.LBB401_545:
	s_and_not1_b32 vcc_lo, exec_lo, s43
	s_cbranch_vccnz .LBB401_548
; %bb.546:
	v_mul_hi_u32 v0, s13, v5
	s_and_not1_b32 vcc_lo, exec_lo, s31
	s_delay_alu instid0(VALU_DEP_1) | instskip(NEXT) | instid1(VALU_DEP_1)
	v_add_nc_u32_e32 v0, v5, v0
	v_lshrrev_b32_e32 v2, s14, v0
	s_delay_alu instid0(VALU_DEP_1) | instskip(NEXT) | instid1(VALU_DEP_1)
	v_mul_lo_u32 v0, v2, s12
	v_sub_nc_u32_e32 v1, v5, v0
	s_delay_alu instid0(VALU_DEP_1)
	v_mul_lo_u32 v0, v1, s8
	v_mul_lo_u32 v1, v1, s9
	s_cbranch_vccnz .LBB401_548
; %bb.547:
	s_waitcnt vmcnt(0)
	v_mul_hi_u32 v3, s20, v2
	s_delay_alu instid0(VALU_DEP_1) | instskip(NEXT) | instid1(VALU_DEP_1)
	v_add_nc_u32_e32 v3, v2, v3
	v_lshrrev_b32_e32 v3, s21, v3
	s_delay_alu instid0(VALU_DEP_1) | instskip(NEXT) | instid1(VALU_DEP_1)
	v_mul_lo_u32 v3, v3, s15
	v_sub_nc_u32_e32 v8, v2, v3
	s_delay_alu instid0(VALU_DEP_1) | instskip(NEXT) | instid1(VALU_DEP_1)
	v_mad_u64_u32 v[2:3], null, v8, s10, v[0:1]
	v_mad_u64_u32 v[6:7], null, v8, s11, v[1:2]
	v_mov_b32_e32 v0, v2
	s_delay_alu instid0(VALU_DEP_2)
	v_mov_b32_e32 v1, v6
.LBB401_548:
	v_cmp_gt_i16_e32 vcc_lo, 11, v4
	s_delay_alu instid0(VALU_DEP_2) | instskip(NEXT) | instid1(VALU_DEP_1)
	v_add_co_u32 v1, s2, s6, v1
	v_add_co_ci_u32_e64 v2, null, s7, 0, s2
	s_mov_b32 s2, 0
	s_cbranch_vccnz .LBB401_555
; %bb.549:
	v_cmp_lt_i16_e32 vcc_lo, 25, v4
	s_cbranch_vccz .LBB401_556
; %bb.550:
	v_cmp_lt_i16_e32 vcc_lo, 28, v4
	s_cbranch_vccz .LBB401_557
	;; [unrolled: 3-line block ×4, first 2 shown]
; %bb.553:
	v_cmp_eq_u16_e32 vcc_lo, 46, v4
	s_mov_b32 s24, 0
	s_cbranch_vccz .LBB401_564
; %bb.554:
	global_load_b32 v3, v[1:2], off
	s_mov_b32 s2, -1
	s_mov_b32 s3, 0
	s_waitcnt vmcnt(0)
	v_lshlrev_b32_e32 v3, 16, v3
	s_branch .LBB401_566
.LBB401_555:
	s_mov_b32 s24, -1
	s_mov_b32 s3, s39
                                        ; implicit-def: $vgpr3
	s_branch .LBB401_631
.LBB401_556:
	s_mov_b32 s24, -1
	s_mov_b32 s3, s39
                                        ; implicit-def: $vgpr3
	s_branch .LBB401_595
.LBB401_557:
	s_mov_b32 s24, -1
	s_mov_b32 s3, s39
                                        ; implicit-def: $vgpr3
	s_branch .LBB401_576
.LBB401_558:
	s_mov_b32 s24, -1
	s_mov_b32 s3, s39
                                        ; implicit-def: $vgpr3
	s_branch .LBB401_571
.LBB401_559:
	s_or_saveexec_b32 s39, s39
                                        ; implicit-def: $sgpr40
	s_delay_alu instid0(SALU_CYCLE_1)
	s_xor_b32 exec_lo, exec_lo, s39
	s_cbranch_execz .LBB401_370
.LBB401_560:
	v_add_f32_e64 v3, 0x46000000, |v2|
	s_and_not1_b32 s25, s25, exec_lo
	s_mov_b32 s40, 0
	s_delay_alu instid0(VALU_DEP_1) | instskip(NEXT) | instid1(VALU_DEP_1)
	v_and_b32_e32 v3, 0xff, v3
	v_cmp_ne_u32_e32 vcc_lo, 0, v3
	s_and_b32 s42, vcc_lo, exec_lo
	s_delay_alu instid0(SALU_CYCLE_1)
	s_or_b32 s25, s25, s42
	s_or_b32 exec_lo, exec_lo, s39
	v_mov_b32_e32 v7, s40
	s_and_saveexec_b32 s39, s25
	s_cbranch_execnz .LBB401_371
	s_branch .LBB401_372
.LBB401_561:
	s_mov_b32 s24, -1
	s_mov_b32 s3, s39
	s_branch .LBB401_565
.LBB401_562:
	s_or_saveexec_b32 s39, s39
                                        ; implicit-def: $sgpr40
	s_delay_alu instid0(SALU_CYCLE_1)
	s_xor_b32 exec_lo, exec_lo, s39
	s_cbranch_execz .LBB401_383
.LBB401_563:
	v_add_f32_e64 v3, 0x42800000, |v2|
	s_and_not1_b32 s25, s25, exec_lo
	s_mov_b32 s40, 0
	s_delay_alu instid0(VALU_DEP_1) | instskip(NEXT) | instid1(VALU_DEP_1)
	v_and_b32_e32 v3, 0xff, v3
	v_cmp_ne_u32_e32 vcc_lo, 0, v3
	s_and_b32 s42, vcc_lo, exec_lo
	s_delay_alu instid0(SALU_CYCLE_1)
	s_or_b32 s25, s25, s42
	s_or_b32 exec_lo, exec_lo, s39
	v_mov_b32_e32 v7, s40
	s_and_saveexec_b32 s39, s25
	s_cbranch_execnz .LBB401_384
	s_branch .LBB401_385
.LBB401_564:
	s_mov_b32 s3, -1
.LBB401_565:
                                        ; implicit-def: $vgpr3
.LBB401_566:
	s_and_b32 vcc_lo, exec_lo, s24
	s_cbranch_vccz .LBB401_570
; %bb.567:
	v_cmp_eq_u16_e32 vcc_lo, 44, v4
	s_cbranch_vccz .LBB401_569
; %bb.568:
	global_load_u8 v3, v[1:2], off
	s_mov_b32 s3, 0
	s_mov_b32 s2, -1
	s_waitcnt vmcnt(0)
	v_lshlrev_b32_e32 v6, 23, v3
	v_cmp_ne_u32_e32 vcc_lo, 0xff, v3
	s_delay_alu instid0(VALU_DEP_2) | instskip(SKIP_1) | instid1(VALU_DEP_2)
	v_cndmask_b32_e32 v6, 0x7f800001, v6, vcc_lo
	v_cmp_ne_u32_e32 vcc_lo, 0, v3
	v_cndmask_b32_e32 v3, 0x400000, v6, vcc_lo
	s_branch .LBB401_570
.LBB401_569:
	s_mov_b32 s3, -1
                                        ; implicit-def: $vgpr3
.LBB401_570:
	s_mov_b32 s24, 0
.LBB401_571:
	s_delay_alu instid0(SALU_CYCLE_1)
	s_and_b32 vcc_lo, exec_lo, s24
	s_cbranch_vccz .LBB401_575
; %bb.572:
	v_cmp_eq_u16_e32 vcc_lo, 29, v4
	s_cbranch_vccz .LBB401_574
; %bb.573:
	global_load_b64 v[6:7], v[1:2], off
	s_mov_b32 s2, -1
	s_mov_b32 s3, 0
	s_mov_b32 s24, 0
	s_waitcnt vmcnt(0)
	v_clz_i32_u32_e32 v3, v7
	s_delay_alu instid0(VALU_DEP_1) | instskip(NEXT) | instid1(VALU_DEP_1)
	v_min_u32_e32 v3, 32, v3
	v_lshlrev_b64 v[6:7], v3, v[6:7]
	v_sub_nc_u32_e32 v3, 32, v3
	s_delay_alu instid0(VALU_DEP_2) | instskip(NEXT) | instid1(VALU_DEP_1)
	v_min_u32_e32 v6, 1, v6
	v_or_b32_e32 v6, v7, v6
	s_delay_alu instid0(VALU_DEP_1) | instskip(NEXT) | instid1(VALU_DEP_1)
	v_cvt_f32_u32_e32 v6, v6
	v_ldexp_f32 v3, v6, v3
	s_branch .LBB401_576
.LBB401_574:
	s_mov_b32 s3, -1
                                        ; implicit-def: $vgpr3
.LBB401_575:
	s_mov_b32 s24, 0
.LBB401_576:
	s_delay_alu instid0(SALU_CYCLE_1)
	s_and_b32 vcc_lo, exec_lo, s24
	s_cbranch_vccz .LBB401_594
; %bb.577:
	v_cmp_gt_i16_e32 vcc_lo, 27, v4
	s_cbranch_vccnz .LBB401_580
; %bb.578:
	v_cmp_lt_i16_e32 vcc_lo, 27, v4
	s_cbranch_vccz .LBB401_581
; %bb.579:
	global_load_b32 v3, v[1:2], off
	s_mov_b32 s2, 0
	s_waitcnt vmcnt(0)
	v_cvt_f32_u32_e32 v3, v3
	s_branch .LBB401_582
.LBB401_580:
	s_mov_b32 s2, -1
                                        ; implicit-def: $vgpr3
	s_branch .LBB401_585
.LBB401_581:
	s_mov_b32 s2, -1
                                        ; implicit-def: $vgpr3
.LBB401_582:
	s_delay_alu instid0(SALU_CYCLE_1)
	s_and_not1_b32 vcc_lo, exec_lo, s2
	s_cbranch_vccnz .LBB401_584
; %bb.583:
	global_load_u16 v3, v[1:2], off
	s_waitcnt vmcnt(0)
	v_cvt_f32_u32_e32 v3, v3
.LBB401_584:
	s_mov_b32 s2, 0
.LBB401_585:
	s_delay_alu instid0(SALU_CYCLE_1)
	s_and_not1_b32 vcc_lo, exec_lo, s2
	s_cbranch_vccnz .LBB401_593
; %bb.586:
	global_load_u8 v6, v[1:2], off
	s_mov_b32 s2, 0
	s_mov_b32 s25, exec_lo
                                        ; implicit-def: $sgpr24
	s_waitcnt vmcnt(0)
	v_cmpx_lt_i16_e32 0x7f, v6
	s_xor_b32 s25, exec_lo, s25
	s_cbranch_execz .LBB401_607
; %bb.587:
	s_mov_b32 s2, -1
	s_mov_b32 s43, exec_lo
                                        ; implicit-def: $sgpr24
	v_cmpx_eq_u16_e32 0x80, v6
; %bb.588:
	s_mov_b32 s24, 0x7f800001
	s_xor_b32 s2, exec_lo, -1
; %bb.589:
	s_or_b32 exec_lo, exec_lo, s43
	s_delay_alu instid0(SALU_CYCLE_1)
	s_and_b32 s2, s2, exec_lo
	s_or_saveexec_b32 s25, s25
	v_mov_b32_e32 v3, s24
	s_xor_b32 exec_lo, exec_lo, s25
	s_cbranch_execnz .LBB401_608
.LBB401_590:
	s_or_b32 exec_lo, exec_lo, s25
	s_and_saveexec_b32 s24, s2
	s_cbranch_execz .LBB401_592
.LBB401_591:
	v_and_b32_e32 v3, 0xffff, v6
	s_delay_alu instid0(VALU_DEP_1) | instskip(NEXT) | instid1(VALU_DEP_1)
	v_and_b32_e32 v7, 7, v3
	v_clz_i32_u32_e32 v8, v7
	s_delay_alu instid0(VALU_DEP_1) | instskip(NEXT) | instid1(VALU_DEP_1)
	v_min_u32_e32 v8, 32, v8
	v_subrev_nc_u32_e32 v9, 28, v8
	v_sub_nc_u32_e32 v8, 29, v8
	s_delay_alu instid0(VALU_DEP_2) | instskip(SKIP_1) | instid1(VALU_DEP_2)
	v_lshlrev_b32_e32 v9, v9, v3
	v_bfe_u32 v3, v3, 3, 4
	v_and_b32_e32 v9, 7, v9
	s_delay_alu instid0(VALU_DEP_2) | instskip(SKIP_1) | instid1(VALU_DEP_1)
	v_cmp_eq_u32_e32 vcc_lo, 0, v3
	v_dual_cndmask_b32 v3, v3, v8 :: v_dual_lshlrev_b32 v6, 24, v6
	v_dual_cndmask_b32 v7, v7, v9 :: v_dual_and_b32 v6, 0x80000000, v6
	s_delay_alu instid0(VALU_DEP_2) | instskip(NEXT) | instid1(VALU_DEP_2)
	v_lshl_add_u32 v3, v3, 23, 0x3b800000
	v_lshlrev_b32_e32 v7, 20, v7
	s_delay_alu instid0(VALU_DEP_1)
	v_or3_b32 v3, v6, v3, v7
.LBB401_592:
	s_or_b32 exec_lo, exec_lo, s24
.LBB401_593:
	s_mov_b32 s2, -1
.LBB401_594:
	s_mov_b32 s24, 0
.LBB401_595:
	s_delay_alu instid0(SALU_CYCLE_1)
	s_and_b32 vcc_lo, exec_lo, s24
	s_cbranch_vccz .LBB401_630
; %bb.596:
	v_cmp_lt_i16_e32 vcc_lo, 22, v4
	s_cbranch_vccz .LBB401_606
; %bb.597:
	v_cmp_gt_i16_e32 vcc_lo, 24, v4
	s_cbranch_vccnz .LBB401_609
; %bb.598:
	v_cmp_lt_i16_e32 vcc_lo, 24, v4
	s_cbranch_vccz .LBB401_610
; %bb.599:
	global_load_u8 v6, v[1:2], off
	s_mov_b32 s2, 0
	s_mov_b32 s25, exec_lo
                                        ; implicit-def: $sgpr24
	s_waitcnt vmcnt(0)
	v_cmpx_lt_i16_e32 0x7f, v6
	s_xor_b32 s25, exec_lo, s25
	s_cbranch_execz .LBB401_622
; %bb.600:
	s_mov_b32 s2, -1
	s_mov_b32 s43, exec_lo
                                        ; implicit-def: $sgpr24
	v_cmpx_eq_u16_e32 0x80, v6
; %bb.601:
	s_mov_b32 s24, 0x7f800001
	s_xor_b32 s2, exec_lo, -1
; %bb.602:
	s_or_b32 exec_lo, exec_lo, s43
	s_delay_alu instid0(SALU_CYCLE_1)
	s_and_b32 s2, s2, exec_lo
	s_or_saveexec_b32 s25, s25
	v_mov_b32_e32 v3, s24
	s_xor_b32 exec_lo, exec_lo, s25
	s_cbranch_execnz .LBB401_623
.LBB401_603:
	s_or_b32 exec_lo, exec_lo, s25
	s_and_saveexec_b32 s24, s2
	s_cbranch_execz .LBB401_605
.LBB401_604:
	v_and_b32_e32 v3, 0xffff, v6
	s_delay_alu instid0(VALU_DEP_1) | instskip(NEXT) | instid1(VALU_DEP_1)
	v_and_b32_e32 v7, 3, v3
	v_clz_i32_u32_e32 v8, v7
	s_delay_alu instid0(VALU_DEP_1) | instskip(NEXT) | instid1(VALU_DEP_1)
	v_min_u32_e32 v8, 32, v8
	v_subrev_nc_u32_e32 v9, 29, v8
	v_sub_nc_u32_e32 v8, 30, v8
	s_delay_alu instid0(VALU_DEP_2) | instskip(SKIP_1) | instid1(VALU_DEP_2)
	v_lshlrev_b32_e32 v9, v9, v3
	v_bfe_u32 v3, v3, 2, 5
	v_and_b32_e32 v9, 3, v9
	s_delay_alu instid0(VALU_DEP_2) | instskip(SKIP_1) | instid1(VALU_DEP_1)
	v_cmp_eq_u32_e32 vcc_lo, 0, v3
	v_dual_cndmask_b32 v3, v3, v8 :: v_dual_lshlrev_b32 v6, 24, v6
	v_dual_cndmask_b32 v7, v7, v9 :: v_dual_and_b32 v6, 0x80000000, v6
	s_delay_alu instid0(VALU_DEP_2) | instskip(NEXT) | instid1(VALU_DEP_2)
	v_lshl_add_u32 v3, v3, 23, 0x37800000
	v_lshlrev_b32_e32 v7, 21, v7
	s_delay_alu instid0(VALU_DEP_1)
	v_or3_b32 v3, v6, v3, v7
.LBB401_605:
	s_or_b32 exec_lo, exec_lo, s24
	s_mov_b32 s2, 0
	s_branch .LBB401_611
.LBB401_606:
	s_mov_b32 s24, -1
                                        ; implicit-def: $vgpr3
	s_branch .LBB401_617
.LBB401_607:
	s_or_saveexec_b32 s25, s25
	v_mov_b32_e32 v3, s24
	s_xor_b32 exec_lo, exec_lo, s25
	s_cbranch_execz .LBB401_590
.LBB401_608:
	v_cmp_ne_u16_e32 vcc_lo, 0, v6
	v_mov_b32_e32 v3, 0
	s_and_not1_b32 s2, s2, exec_lo
	s_and_b32 s24, vcc_lo, exec_lo
	s_delay_alu instid0(SALU_CYCLE_1)
	s_or_b32 s2, s2, s24
	s_or_b32 exec_lo, exec_lo, s25
	s_and_saveexec_b32 s24, s2
	s_cbranch_execnz .LBB401_591
	s_branch .LBB401_592
.LBB401_609:
	s_mov_b32 s2, -1
                                        ; implicit-def: $vgpr3
	s_branch .LBB401_614
.LBB401_610:
	s_mov_b32 s2, -1
                                        ; implicit-def: $vgpr3
.LBB401_611:
	s_delay_alu instid0(SALU_CYCLE_1)
	s_and_b32 vcc_lo, exec_lo, s2
	s_cbranch_vccz .LBB401_613
; %bb.612:
	global_load_u8 v3, v[1:2], off
	s_waitcnt vmcnt(0)
	v_lshlrev_b32_e32 v3, 24, v3
	s_delay_alu instid0(VALU_DEP_1) | instskip(NEXT) | instid1(VALU_DEP_1)
	v_and_b32_e32 v6, 0x7f000000, v3
	v_clz_i32_u32_e32 v7, v6
	v_cmp_ne_u32_e32 vcc_lo, 0, v6
	v_add_nc_u32_e32 v9, 0x1000000, v6
	s_delay_alu instid0(VALU_DEP_3) | instskip(NEXT) | instid1(VALU_DEP_1)
	v_min_u32_e32 v7, 32, v7
	v_sub_nc_u32_e64 v7, v7, 4 clamp
	s_delay_alu instid0(VALU_DEP_1) | instskip(SKIP_1) | instid1(VALU_DEP_2)
	v_lshlrev_b32_e32 v8, v7, v6
	v_lshlrev_b32_e32 v7, 23, v7
	v_lshrrev_b32_e32 v8, 4, v8
	s_delay_alu instid0(VALU_DEP_1) | instskip(SKIP_1) | instid1(VALU_DEP_2)
	v_sub_nc_u32_e32 v7, v8, v7
	v_ashrrev_i32_e32 v8, 8, v9
	v_add_nc_u32_e32 v7, 0x3c000000, v7
	s_delay_alu instid0(VALU_DEP_1) | instskip(NEXT) | instid1(VALU_DEP_1)
	v_and_or_b32 v7, 0x7f800000, v8, v7
	v_cndmask_b32_e32 v6, 0, v7, vcc_lo
	s_delay_alu instid0(VALU_DEP_1)
	v_and_or_b32 v3, 0x80000000, v3, v6
.LBB401_613:
	s_mov_b32 s2, 0
.LBB401_614:
	s_delay_alu instid0(SALU_CYCLE_1)
	s_and_not1_b32 vcc_lo, exec_lo, s2
	s_cbranch_vccnz .LBB401_616
; %bb.615:
	global_load_u8 v3, v[1:2], off
	s_waitcnt vmcnt(0)
	v_lshlrev_b32_e32 v6, 25, v3
	v_lshlrev_b16 v3, 8, v3
	s_delay_alu instid0(VALU_DEP_2) | instskip(NEXT) | instid1(VALU_DEP_2)
	v_lshrrev_b32_e32 v7, 4, v6
	v_and_or_b32 v8, 0x7f00, v3, 0.5
	v_cmp_gt_u32_e32 vcc_lo, 0x8000000, v6
	v_bfe_i32 v3, v3, 0, 16
	s_delay_alu instid0(VALU_DEP_4) | instskip(NEXT) | instid1(VALU_DEP_1)
	v_or_b32_e32 v7, 0x70000000, v7
	v_dual_add_f32 v8, -0.5, v8 :: v_dual_mul_f32 v7, 0x7800000, v7
	s_delay_alu instid0(VALU_DEP_1) | instskip(NEXT) | instid1(VALU_DEP_1)
	v_cndmask_b32_e32 v6, v7, v8, vcc_lo
	v_and_or_b32 v3, 0x80000000, v3, v6
.LBB401_616:
	s_mov_b32 s24, 0
	s_mov_b32 s2, -1
.LBB401_617:
	s_and_not1_b32 vcc_lo, exec_lo, s24
	s_cbranch_vccnz .LBB401_630
; %bb.618:
	v_cmp_lt_i16_e32 vcc_lo, 14, v4
	s_cbranch_vccz .LBB401_621
; %bb.619:
	v_cmp_eq_u16_e32 vcc_lo, 15, v4
	s_cbranch_vccz .LBB401_624
; %bb.620:
	global_load_u16 v3, v[1:2], off
	s_mov_b32 s2, -1
	s_mov_b32 s3, 0
	s_waitcnt vmcnt(0)
	v_lshlrev_b32_e32 v3, 16, v3
	s_branch .LBB401_625
.LBB401_621:
	s_mov_b32 s24, -1
                                        ; implicit-def: $vgpr3
	s_branch .LBB401_626
.LBB401_622:
	s_or_saveexec_b32 s25, s25
	v_mov_b32_e32 v3, s24
	s_xor_b32 exec_lo, exec_lo, s25
	s_cbranch_execz .LBB401_603
.LBB401_623:
	v_cmp_ne_u16_e32 vcc_lo, 0, v6
	v_mov_b32_e32 v3, 0
	s_and_not1_b32 s2, s2, exec_lo
	s_and_b32 s24, vcc_lo, exec_lo
	s_delay_alu instid0(SALU_CYCLE_1)
	s_or_b32 s2, s2, s24
	s_or_b32 exec_lo, exec_lo, s25
	s_and_saveexec_b32 s24, s2
	s_cbranch_execnz .LBB401_604
	s_branch .LBB401_605
.LBB401_624:
	s_mov_b32 s3, -1
                                        ; implicit-def: $vgpr3
.LBB401_625:
	s_mov_b32 s24, 0
.LBB401_626:
	s_delay_alu instid0(SALU_CYCLE_1)
	s_and_b32 vcc_lo, exec_lo, s24
	s_cbranch_vccz .LBB401_630
; %bb.627:
	v_cmp_eq_u16_e32 vcc_lo, 11, v4
	s_cbranch_vccz .LBB401_629
; %bb.628:
	global_load_u8 v3, v[1:2], off
	s_mov_b32 s3, 0
	s_mov_b32 s2, -1
	s_waitcnt vmcnt(0)
	v_cmp_ne_u16_e32 vcc_lo, 0, v3
	v_cndmask_b32_e64 v3, 0, 1.0, vcc_lo
	s_branch .LBB401_630
.LBB401_629:
	s_mov_b32 s3, -1
                                        ; implicit-def: $vgpr3
.LBB401_630:
	s_mov_b32 s24, 0
.LBB401_631:
	s_delay_alu instid0(SALU_CYCLE_1)
	s_and_b32 vcc_lo, exec_lo, s24
	s_cbranch_vccz .LBB401_680
; %bb.632:
	v_cmp_gt_i16_e32 vcc_lo, 5, v4
	s_cbranch_vccnz .LBB401_637
; %bb.633:
	v_cmp_gt_i16_e32 vcc_lo, 8, v4
	s_cbranch_vccnz .LBB401_638
	;; [unrolled: 3-line block ×3, first 2 shown]
; %bb.635:
	v_cmp_lt_i16_e32 vcc_lo, 9, v4
	s_cbranch_vccz .LBB401_640
; %bb.636:
	global_load_b64 v[6:7], v[1:2], off
	s_mov_b32 s2, 0
	s_waitcnt vmcnt(0)
	v_cvt_f32_f64_e32 v3, v[6:7]
	s_branch .LBB401_641
.LBB401_637:
	s_mov_b32 s2, -1
                                        ; implicit-def: $vgpr3
	s_branch .LBB401_659
.LBB401_638:
	s_mov_b32 s2, -1
                                        ; implicit-def: $vgpr3
	s_branch .LBB401_647
.LBB401_639:
	s_mov_b32 s2, -1
                                        ; implicit-def: $vgpr3
	s_branch .LBB401_644
.LBB401_640:
	s_mov_b32 s2, -1
                                        ; implicit-def: $vgpr3
.LBB401_641:
	s_delay_alu instid0(SALU_CYCLE_1)
	s_and_not1_b32 vcc_lo, exec_lo, s2
	s_cbranch_vccnz .LBB401_643
; %bb.642:
	global_load_b32 v3, v[1:2], off
.LBB401_643:
	s_mov_b32 s2, 0
.LBB401_644:
	s_delay_alu instid0(SALU_CYCLE_1)
	s_and_not1_b32 vcc_lo, exec_lo, s2
	s_cbranch_vccnz .LBB401_646
; %bb.645:
	global_load_b32 v3, v[1:2], off
	s_waitcnt vmcnt(0)
	v_cvt_f32_f16_e32 v3, v3
.LBB401_646:
	s_mov_b32 s2, 0
.LBB401_647:
	s_delay_alu instid0(SALU_CYCLE_1)
	s_and_not1_b32 vcc_lo, exec_lo, s2
	s_cbranch_vccnz .LBB401_658
; %bb.648:
	v_cmp_gt_i16_e32 vcc_lo, 6, v4
	s_cbranch_vccnz .LBB401_651
; %bb.649:
	v_cmp_lt_i16_e32 vcc_lo, 6, v4
	s_cbranch_vccz .LBB401_652
; %bb.650:
	global_load_b64 v[6:7], v[1:2], off
	s_mov_b32 s2, 0
	s_waitcnt vmcnt(0)
	v_cvt_f32_f64_e32 v3, v[6:7]
	s_branch .LBB401_653
.LBB401_651:
	s_mov_b32 s2, -1
                                        ; implicit-def: $vgpr3
	s_branch .LBB401_656
.LBB401_652:
	s_mov_b32 s2, -1
                                        ; implicit-def: $vgpr3
.LBB401_653:
	s_delay_alu instid0(SALU_CYCLE_1)
	s_and_not1_b32 vcc_lo, exec_lo, s2
	s_cbranch_vccnz .LBB401_655
; %bb.654:
	global_load_b32 v3, v[1:2], off
.LBB401_655:
	s_mov_b32 s2, 0
.LBB401_656:
	s_delay_alu instid0(SALU_CYCLE_1)
	s_and_not1_b32 vcc_lo, exec_lo, s2
	s_cbranch_vccnz .LBB401_658
; %bb.657:
	global_load_u16 v3, v[1:2], off
	s_waitcnt vmcnt(0)
	v_cvt_f32_f16_e32 v3, v3
.LBB401_658:
	s_mov_b32 s2, 0
.LBB401_659:
	s_delay_alu instid0(SALU_CYCLE_1)
	s_and_not1_b32 vcc_lo, exec_lo, s2
	s_cbranch_vccnz .LBB401_679
; %bb.660:
	v_cmp_gt_i16_e32 vcc_lo, 2, v4
	s_cbranch_vccnz .LBB401_664
; %bb.661:
	v_cmp_gt_i16_e32 vcc_lo, 3, v4
	s_cbranch_vccnz .LBB401_665
; %bb.662:
	v_cmp_lt_i16_e32 vcc_lo, 3, v4
	s_cbranch_vccz .LBB401_666
; %bb.663:
	global_load_b64 v[6:7], v[1:2], off
	s_mov_b32 s2, 0
	s_waitcnt vmcnt(0)
	v_xor_b32_e32 v3, v6, v7
	v_cls_i32_e32 v8, v7
	s_delay_alu instid0(VALU_DEP_2) | instskip(NEXT) | instid1(VALU_DEP_2)
	v_ashrrev_i32_e32 v3, 31, v3
	v_add_nc_u32_e32 v8, -1, v8
	s_delay_alu instid0(VALU_DEP_2) | instskip(NEXT) | instid1(VALU_DEP_1)
	v_add_nc_u32_e32 v3, 32, v3
	v_min_u32_e32 v3, v8, v3
	s_delay_alu instid0(VALU_DEP_1) | instskip(SKIP_1) | instid1(VALU_DEP_2)
	v_lshlrev_b64 v[6:7], v3, v[6:7]
	v_sub_nc_u32_e32 v3, 32, v3
	v_min_u32_e32 v6, 1, v6
	s_delay_alu instid0(VALU_DEP_1) | instskip(NEXT) | instid1(VALU_DEP_1)
	v_or_b32_e32 v6, v7, v6
	v_cvt_f32_i32_e32 v6, v6
	s_delay_alu instid0(VALU_DEP_1)
	v_ldexp_f32 v3, v6, v3
	s_branch .LBB401_667
.LBB401_664:
	s_mov_b32 s2, -1
                                        ; implicit-def: $vgpr3
	s_branch .LBB401_673
.LBB401_665:
	s_mov_b32 s2, -1
                                        ; implicit-def: $vgpr3
	s_branch .LBB401_670
.LBB401_666:
	s_mov_b32 s2, -1
                                        ; implicit-def: $vgpr3
.LBB401_667:
	s_delay_alu instid0(SALU_CYCLE_1)
	s_and_not1_b32 vcc_lo, exec_lo, s2
	s_cbranch_vccnz .LBB401_669
; %bb.668:
	global_load_b32 v3, v[1:2], off
	s_waitcnt vmcnt(0)
	v_cvt_f32_i32_e32 v3, v3
.LBB401_669:
	s_mov_b32 s2, 0
.LBB401_670:
	s_delay_alu instid0(SALU_CYCLE_1)
	s_and_not1_b32 vcc_lo, exec_lo, s2
	s_cbranch_vccnz .LBB401_672
; %bb.671:
	global_load_i16 v3, v[1:2], off
	s_waitcnt vmcnt(0)
	v_cvt_f32_i32_e32 v3, v3
.LBB401_672:
	s_mov_b32 s2, 0
.LBB401_673:
	s_delay_alu instid0(SALU_CYCLE_1)
	s_and_not1_b32 vcc_lo, exec_lo, s2
	s_cbranch_vccnz .LBB401_679
; %bb.674:
	v_cmp_lt_i16_e32 vcc_lo, 0, v4
	s_mov_b32 s2, 0
	s_cbranch_vccz .LBB401_676
; %bb.675:
	global_load_i8 v3, v[1:2], off
	s_waitcnt vmcnt(0)
	v_cvt_f32_i32_e32 v3, v3
	s_branch .LBB401_677
.LBB401_676:
	s_mov_b32 s2, -1
                                        ; implicit-def: $vgpr3
.LBB401_677:
	s_delay_alu instid0(SALU_CYCLE_1)
	s_and_not1_b32 vcc_lo, exec_lo, s2
	s_cbranch_vccnz .LBB401_679
; %bb.678:
	global_load_u8 v1, v[1:2], off
	s_waitcnt vmcnt(0)
	v_cvt_f32_ubyte0_e32 v3, v1
.LBB401_679:
	s_mov_b32 s2, -1
.LBB401_680:
	s_delay_alu instid0(SALU_CYCLE_1)
	s_and_not1_b32 vcc_lo, exec_lo, s2
	s_cbranch_vccnz .LBB401_688
; %bb.681:
	v_max_f32_e64 v1, s18, s18
	s_waitcnt vmcnt(0)
	s_delay_alu instid0(VALU_DEP_2)
	v_max_f32_e32 v2, v3, v3
	v_and_b32_e64 v6, 0xff, s19
	v_cmp_u_f32_e64 s2, v3, v3
	s_mov_b32 s24, 0
	s_mov_b32 s25, -1
	v_max_f32_e32 v1, v2, v1
	v_cmp_gt_i16_e32 vcc_lo, 11, v6
	s_delay_alu instid0(VALU_DEP_2) | instskip(SKIP_1) | instid1(VALU_DEP_1)
	v_cndmask_b32_e64 v2, v1, v3, s2
	v_add_co_u32 v0, s2, s4, v0
	v_add_co_ci_u32_e64 v1, null, s5, 0, s2
	s_mov_b32 s2, s40
	s_cbranch_vccnz .LBB401_689
; %bb.682:
	v_cmp_lt_i16_e32 vcc_lo, 25, v6
	s_cbranch_vccz .LBB401_730
; %bb.683:
	v_cmp_lt_i16_e32 vcc_lo, 28, v6
	s_cbranch_vccz .LBB401_731
	;; [unrolled: 3-line block ×4, first 2 shown]
; %bb.686:
	v_cmp_eq_u16_e32 vcc_lo, 46, v6
	s_mov_b32 s25, 0
	s_mov_b32 s2, -1
	s_cbranch_vccz .LBB401_734
; %bb.687:
	v_bfe_u32 v3, v2, 16, 1
	v_cmp_o_f32_e32 vcc_lo, v2, v2
	s_mov_b32 s24, -1
	s_mov_b32 s2, 0
	s_delay_alu instid0(VALU_DEP_2) | instskip(NEXT) | instid1(VALU_DEP_1)
	v_add3_u32 v3, v2, v3, 0x7fff
	v_lshrrev_b32_e32 v3, 16, v3
	s_delay_alu instid0(VALU_DEP_1)
	v_cndmask_b32_e32 v3, 0x7fc0, v3, vcc_lo
	global_store_b32 v[0:1], v3, off
	s_branch .LBB401_734
.LBB401_688:
	s_mov_b32 s43, 0
	s_mov_b32 s2, s40
	s_branch .LBB401_729
.LBB401_689:
	s_and_b32 vcc_lo, exec_lo, s25
	s_cbranch_vccz .LBB401_803
; %bb.690:
	v_cmp_gt_i16_e32 vcc_lo, 5, v6
	s_mov_b32 s24, -1
	s_cbranch_vccnz .LBB401_711
; %bb.691:
	v_cmp_gt_i16_e32 vcc_lo, 8, v6
	s_cbranch_vccnz .LBB401_701
; %bb.692:
	v_cmp_gt_i16_e32 vcc_lo, 9, v6
	s_cbranch_vccnz .LBB401_698
; %bb.693:
	v_cmp_lt_i16_e32 vcc_lo, 9, v6
	s_cbranch_vccz .LBB401_695
; %bb.694:
	v_cvt_f64_f32_e32 v[7:8], v2
	v_mov_b32_e32 v9, 0
	s_mov_b32 s24, 0
	s_delay_alu instid0(VALU_DEP_1)
	v_mov_b32_e32 v10, v9
	global_store_b128 v[0:1], v[7:10], off
.LBB401_695:
	s_and_not1_b32 vcc_lo, exec_lo, s24
	s_cbranch_vccnz .LBB401_697
; %bb.696:
	v_mov_b32_e32 v3, 0
	global_store_b64 v[0:1], v[2:3], off
.LBB401_697:
	s_mov_b32 s24, 0
.LBB401_698:
	s_delay_alu instid0(SALU_CYCLE_1)
	s_and_not1_b32 vcc_lo, exec_lo, s24
	s_cbranch_vccnz .LBB401_700
; %bb.699:
	v_cvt_f16_f32_e32 v3, v2
	s_delay_alu instid0(VALU_DEP_1)
	v_and_b32_e32 v3, 0xffff, v3
	global_store_b32 v[0:1], v3, off
.LBB401_700:
	s_mov_b32 s24, 0
.LBB401_701:
	s_delay_alu instid0(SALU_CYCLE_1)
	s_and_not1_b32 vcc_lo, exec_lo, s24
	s_cbranch_vccnz .LBB401_710
; %bb.702:
	v_cmp_gt_i16_e32 vcc_lo, 6, v6
	s_mov_b32 s24, -1
	s_cbranch_vccnz .LBB401_708
; %bb.703:
	v_cmp_lt_i16_e32 vcc_lo, 6, v6
	s_cbranch_vccz .LBB401_705
; %bb.704:
	v_cvt_f64_f32_e32 v[7:8], v2
	s_mov_b32 s24, 0
	global_store_b64 v[0:1], v[7:8], off
.LBB401_705:
	s_and_not1_b32 vcc_lo, exec_lo, s24
	s_cbranch_vccnz .LBB401_707
; %bb.706:
	global_store_b32 v[0:1], v2, off
.LBB401_707:
	s_mov_b32 s24, 0
.LBB401_708:
	s_delay_alu instid0(SALU_CYCLE_1)
	s_and_not1_b32 vcc_lo, exec_lo, s24
	s_cbranch_vccnz .LBB401_710
; %bb.709:
	v_cvt_f16_f32_e32 v3, v2
	global_store_b16 v[0:1], v3, off
.LBB401_710:
	s_mov_b32 s24, 0
.LBB401_711:
	s_delay_alu instid0(SALU_CYCLE_1)
	s_and_not1_b32 vcc_lo, exec_lo, s24
	s_cbranch_vccnz .LBB401_727
; %bb.712:
	v_cmp_gt_i16_e32 vcc_lo, 2, v6
	s_mov_b32 s24, -1
	s_cbranch_vccnz .LBB401_722
; %bb.713:
	v_cmp_gt_i16_e32 vcc_lo, 3, v6
	s_cbranch_vccnz .LBB401_719
; %bb.714:
	v_cmp_lt_i16_e32 vcc_lo, 3, v6
	s_cbranch_vccz .LBB401_716
; %bb.715:
	v_trunc_f32_e32 v3, v2
	s_mov_b32 s24, 0
	s_delay_alu instid0(VALU_DEP_1) | instskip(NEXT) | instid1(VALU_DEP_1)
	v_mul_f32_e64 v7, 0x2f800000, |v3|
	v_floor_f32_e32 v7, v7
	s_delay_alu instid0(VALU_DEP_1) | instskip(SKIP_2) | instid1(VALU_DEP_3)
	v_fma_f32 v8, 0xcf800000, v7, |v3|
	v_ashrrev_i32_e32 v3, 31, v3
	v_cvt_u32_f32_e32 v7, v7
	v_cvt_u32_f32_e32 v8, v8
	s_delay_alu instid0(VALU_DEP_2) | instskip(NEXT) | instid1(VALU_DEP_2)
	v_xor_b32_e32 v9, v7, v3
	v_xor_b32_e32 v8, v8, v3
	s_delay_alu instid0(VALU_DEP_1) | instskip(NEXT) | instid1(VALU_DEP_3)
	v_sub_co_u32 v7, vcc_lo, v8, v3
	v_sub_co_ci_u32_e32 v8, vcc_lo, v9, v3, vcc_lo
	global_store_b64 v[0:1], v[7:8], off
.LBB401_716:
	s_and_not1_b32 vcc_lo, exec_lo, s24
	s_cbranch_vccnz .LBB401_718
; %bb.717:
	v_cvt_i32_f32_e32 v3, v2
	global_store_b32 v[0:1], v3, off
.LBB401_718:
	s_mov_b32 s24, 0
.LBB401_719:
	s_delay_alu instid0(SALU_CYCLE_1)
	s_and_not1_b32 vcc_lo, exec_lo, s24
	s_cbranch_vccnz .LBB401_721
; %bb.720:
	v_cvt_i32_f32_e32 v3, v2
	global_store_b16 v[0:1], v3, off
.LBB401_721:
	s_mov_b32 s24, 0
.LBB401_722:
	s_delay_alu instid0(SALU_CYCLE_1)
	s_and_not1_b32 vcc_lo, exec_lo, s24
	s_cbranch_vccnz .LBB401_727
; %bb.723:
	v_cmp_lt_i16_e32 vcc_lo, 0, v6
	s_mov_b32 s24, -1
	s_cbranch_vccz .LBB401_725
; %bb.724:
	v_cvt_i32_f32_e32 v3, v2
	s_mov_b32 s24, 0
	global_store_b8 v[0:1], v3, off
.LBB401_725:
	s_and_not1_b32 vcc_lo, exec_lo, s24
	s_cbranch_vccnz .LBB401_727
; %bb.726:
	v_trunc_f32_e32 v2, v2
	s_delay_alu instid0(VALU_DEP_1) | instskip(NEXT) | instid1(VALU_DEP_1)
	v_mul_f32_e64 v3, 0x2f800000, |v2|
	v_floor_f32_e32 v3, v3
	s_delay_alu instid0(VALU_DEP_1) | instskip(SKIP_1) | instid1(VALU_DEP_2)
	v_fma_f32 v3, 0xcf800000, v3, |v2|
	v_ashrrev_i32_e32 v2, 31, v2
	v_cvt_u32_f32_e32 v3, v3
	s_delay_alu instid0(VALU_DEP_1) | instskip(NEXT) | instid1(VALU_DEP_1)
	v_xor_b32_e32 v3, v3, v2
	v_sub_nc_u32_e32 v2, v3, v2
	global_store_b8 v[0:1], v2, off
.LBB401_727:
	s_branch .LBB401_804
.LBB401_728:
	s_mov_b32 s43, 0
.LBB401_729:
                                        ; implicit-def: $vgpr5
	s_branch .LBB401_805
.LBB401_730:
	s_mov_b32 s2, s40
	s_branch .LBB401_761
.LBB401_731:
	s_mov_b32 s2, s40
	s_branch .LBB401_744
.LBB401_732:
	s_mov_b32 s2, s40
	s_branch .LBB401_740
.LBB401_733:
	s_mov_b32 s2, s40
.LBB401_734:
	s_and_b32 vcc_lo, exec_lo, s25
	s_cbranch_vccz .LBB401_739
; %bb.735:
	v_cmp_eq_u16_e32 vcc_lo, 44, v6
	s_mov_b32 s2, -1
	s_cbranch_vccz .LBB401_739
; %bb.736:
	v_bfe_u32 v7, v2, 23, 8
	v_mov_b32_e32 v3, 0xff
	s_mov_b32 s24, exec_lo
	s_delay_alu instid0(VALU_DEP_2)
	v_cmpx_ne_u32_e32 0xff, v7
; %bb.737:
	v_and_b32_e32 v3, 0x400000, v2
	v_and_or_b32 v7, 0x3fffff, v2, v7
	s_delay_alu instid0(VALU_DEP_2) | instskip(NEXT) | instid1(VALU_DEP_2)
	v_cmp_ne_u32_e32 vcc_lo, 0, v3
	v_cmp_ne_u32_e64 s2, 0, v7
	v_lshrrev_b32_e32 v3, 23, v2
	s_delay_alu instid0(VALU_DEP_2) | instskip(NEXT) | instid1(SALU_CYCLE_1)
	s_and_b32 s2, vcc_lo, s2
	v_cndmask_b32_e64 v7, 0, 1, s2
	s_delay_alu instid0(VALU_DEP_1)
	v_add_nc_u32_e32 v3, v3, v7
; %bb.738:
	s_or_b32 exec_lo, exec_lo, s24
	s_mov_b32 s24, -1
	s_mov_b32 s2, 0
	global_store_b8 v[0:1], v3, off
.LBB401_739:
	s_mov_b32 s25, 0
.LBB401_740:
	s_delay_alu instid0(SALU_CYCLE_1)
	s_and_b32 vcc_lo, exec_lo, s25
	s_cbranch_vccz .LBB401_743
; %bb.741:
	v_cmp_eq_u16_e32 vcc_lo, 29, v6
	s_mov_b32 s2, -1
	s_cbranch_vccz .LBB401_743
; %bb.742:
	v_trunc_f32_e32 v3, v2
	s_mov_b32 s24, -1
	s_mov_b32 s2, 0
	s_mov_b32 s25, 0
	s_delay_alu instid0(VALU_DEP_1) | instskip(NEXT) | instid1(VALU_DEP_1)
	v_mul_f32_e32 v7, 0x2f800000, v3
	v_floor_f32_e32 v7, v7
	s_delay_alu instid0(VALU_DEP_1) | instskip(SKIP_1) | instid1(VALU_DEP_2)
	v_fmamk_f32 v3, v7, 0xcf800000, v3
	v_cvt_u32_f32_e32 v8, v7
	v_cvt_u32_f32_e32 v7, v3
	global_store_b64 v[0:1], v[7:8], off
	s_branch .LBB401_744
.LBB401_743:
	s_mov_b32 s25, 0
.LBB401_744:
	s_delay_alu instid0(SALU_CYCLE_1)
	s_and_b32 vcc_lo, exec_lo, s25
	s_cbranch_vccz .LBB401_760
; %bb.745:
	v_cmp_gt_i16_e32 vcc_lo, 27, v6
	s_mov_b32 s24, -1
	s_cbranch_vccnz .LBB401_751
; %bb.746:
	v_cmp_lt_i16_e32 vcc_lo, 27, v6
	s_cbranch_vccz .LBB401_748
; %bb.747:
	v_cvt_u32_f32_e32 v3, v2
	s_mov_b32 s24, 0
	global_store_b32 v[0:1], v3, off
.LBB401_748:
	s_and_not1_b32 vcc_lo, exec_lo, s24
	s_cbranch_vccnz .LBB401_750
; %bb.749:
	v_cvt_u32_f32_e32 v3, v2
	global_store_b16 v[0:1], v3, off
.LBB401_750:
	s_mov_b32 s24, 0
.LBB401_751:
	s_delay_alu instid0(SALU_CYCLE_1)
	s_and_not1_b32 vcc_lo, exec_lo, s24
	s_cbranch_vccnz .LBB401_759
; %bb.752:
	v_and_b32_e32 v3, 0x7fffffff, v2
	v_mov_b32_e32 v7, 0x80
	s_mov_b32 s24, exec_lo
	s_delay_alu instid0(VALU_DEP_2)
	v_cmpx_gt_u32_e32 0x43800000, v3
	s_cbranch_execz .LBB401_758
; %bb.753:
	v_cmp_lt_u32_e32 vcc_lo, 0x3bffffff, v3
	s_mov_b32 s25, 0
                                        ; implicit-def: $vgpr3
	s_and_saveexec_b32 s43, vcc_lo
	s_delay_alu instid0(SALU_CYCLE_1)
	s_xor_b32 s43, exec_lo, s43
	s_cbranch_execz .LBB401_832
; %bb.754:
	v_bfe_u32 v3, v2, 20, 1
	s_mov_b32 s25, exec_lo
	s_delay_alu instid0(VALU_DEP_1) | instskip(NEXT) | instid1(VALU_DEP_1)
	v_add3_u32 v3, v2, v3, 0x487ffff
	v_lshrrev_b32_e32 v3, 20, v3
	s_or_saveexec_b32 s43, s43
                                        ; implicit-def: $sgpr44
	s_delay_alu instid0(SALU_CYCLE_1)
	s_xor_b32 exec_lo, exec_lo, s43
	s_cbranch_execnz .LBB401_833
.LBB401_755:
	s_or_b32 exec_lo, exec_lo, s43
	v_mov_b32_e32 v7, s44
	s_and_saveexec_b32 s43, s25
.LBB401_756:
	v_lshrrev_b32_e32 v7, 24, v2
	s_delay_alu instid0(VALU_DEP_1)
	v_and_or_b32 v7, 0x80, v7, v3
.LBB401_757:
	s_or_b32 exec_lo, exec_lo, s43
.LBB401_758:
	s_delay_alu instid0(SALU_CYCLE_1)
	s_or_b32 exec_lo, exec_lo, s24
	global_store_b8 v[0:1], v7, off
.LBB401_759:
	s_mov_b32 s24, -1
.LBB401_760:
	s_mov_b32 s25, 0
.LBB401_761:
	s_delay_alu instid0(SALU_CYCLE_1)
	s_and_b32 vcc_lo, exec_lo, s25
	s_cbranch_vccz .LBB401_802
; %bb.762:
	v_cmp_lt_i16_e32 vcc_lo, 22, v6
	s_mov_b32 s25, -1
	s_cbranch_vccz .LBB401_794
; %bb.763:
	v_cmp_gt_i16_e32 vcc_lo, 24, v6
	s_mov_b32 s24, -1
	s_cbranch_vccnz .LBB401_783
; %bb.764:
	v_cmp_lt_i16_e32 vcc_lo, 24, v6
	s_cbranch_vccz .LBB401_772
; %bb.765:
	v_and_b32_e32 v3, 0x7fffffff, v2
	v_mov_b32_e32 v7, 0x80
	s_mov_b32 s24, exec_lo
	s_delay_alu instid0(VALU_DEP_2)
	v_cmpx_gt_u32_e32 0x47800000, v3
	s_cbranch_execz .LBB401_771
; %bb.766:
	v_cmp_lt_u32_e32 vcc_lo, 0x37ffffff, v3
	s_mov_b32 s25, 0
                                        ; implicit-def: $vgpr3
	s_and_saveexec_b32 s43, vcc_lo
	s_delay_alu instid0(SALU_CYCLE_1)
	s_xor_b32 s43, exec_lo, s43
	s_cbranch_execz .LBB401_835
; %bb.767:
	v_bfe_u32 v3, v2, 21, 1
	s_mov_b32 s25, exec_lo
	s_delay_alu instid0(VALU_DEP_1) | instskip(NEXT) | instid1(VALU_DEP_1)
	v_add3_u32 v3, v2, v3, 0x88fffff
	v_lshrrev_b32_e32 v3, 21, v3
	s_or_saveexec_b32 s43, s43
                                        ; implicit-def: $sgpr44
	s_delay_alu instid0(SALU_CYCLE_1)
	s_xor_b32 exec_lo, exec_lo, s43
	s_cbranch_execnz .LBB401_836
.LBB401_768:
	s_or_b32 exec_lo, exec_lo, s43
	v_mov_b32_e32 v7, s44
	s_and_saveexec_b32 s43, s25
.LBB401_769:
	v_lshrrev_b32_e32 v7, 24, v2
	s_delay_alu instid0(VALU_DEP_1)
	v_and_or_b32 v7, 0x80, v7, v3
.LBB401_770:
	s_or_b32 exec_lo, exec_lo, s43
.LBB401_771:
	s_delay_alu instid0(SALU_CYCLE_1)
	s_or_b32 exec_lo, exec_lo, s24
	s_mov_b32 s24, 0
	global_store_b8 v[0:1], v7, off
.LBB401_772:
	s_and_b32 vcc_lo, exec_lo, s24
	s_cbranch_vccz .LBB401_782
; %bb.773:
	v_and_b32_e32 v7, 0x7fffffff, v2
	s_mov_b32 s24, exec_lo
                                        ; implicit-def: $vgpr3
	s_delay_alu instid0(VALU_DEP_1)
	v_cmpx_gt_u32_e32 0x43f00000, v7
	s_xor_b32 s24, exec_lo, s24
	s_cbranch_execz .LBB401_779
; %bb.774:
	s_mov_b32 s25, exec_lo
                                        ; implicit-def: $vgpr3
	v_cmpx_lt_u32_e32 0x3c7fffff, v7
	s_xor_b32 s25, exec_lo, s25
; %bb.775:
	v_bfe_u32 v3, v2, 20, 1
	s_delay_alu instid0(VALU_DEP_1) | instskip(NEXT) | instid1(VALU_DEP_1)
	v_add3_u32 v3, v2, v3, 0x407ffff
	v_and_b32_e32 v7, 0xff00000, v3
	v_lshrrev_b32_e32 v3, 20, v3
	s_delay_alu instid0(VALU_DEP_2) | instskip(NEXT) | instid1(VALU_DEP_2)
	v_cmp_ne_u32_e32 vcc_lo, 0x7f00000, v7
	v_cndmask_b32_e32 v3, 0x7e, v3, vcc_lo
; %bb.776:
	s_and_not1_saveexec_b32 s25, s25
; %bb.777:
	v_add_f32_e64 v3, 0x46800000, |v2|
; %bb.778:
	s_or_b32 exec_lo, exec_lo, s25
                                        ; implicit-def: $vgpr7
.LBB401_779:
	s_and_not1_saveexec_b32 s24, s24
; %bb.780:
	v_mov_b32_e32 v3, 0x7f
	v_cmp_lt_u32_e32 vcc_lo, 0x7f800000, v7
	s_delay_alu instid0(VALU_DEP_2)
	v_cndmask_b32_e32 v3, 0x7e, v3, vcc_lo
; %bb.781:
	s_or_b32 exec_lo, exec_lo, s24
	v_lshrrev_b32_e32 v7, 24, v2
	s_delay_alu instid0(VALU_DEP_1)
	v_and_or_b32 v3, 0x80, v7, v3
	global_store_b8 v[0:1], v3, off
.LBB401_782:
	s_mov_b32 s24, 0
.LBB401_783:
	s_delay_alu instid0(SALU_CYCLE_1)
	s_and_not1_b32 vcc_lo, exec_lo, s24
	s_cbranch_vccnz .LBB401_793
; %bb.784:
	v_and_b32_e32 v7, 0x7fffffff, v2
	s_mov_b32 s24, exec_lo
                                        ; implicit-def: $vgpr3
	s_delay_alu instid0(VALU_DEP_1)
	v_cmpx_gt_u32_e32 0x47800000, v7
	s_xor_b32 s24, exec_lo, s24
	s_cbranch_execz .LBB401_790
; %bb.785:
	s_mov_b32 s25, exec_lo
                                        ; implicit-def: $vgpr3
	v_cmpx_lt_u32_e32 0x387fffff, v7
	s_xor_b32 s25, exec_lo, s25
; %bb.786:
	v_bfe_u32 v3, v2, 21, 1
	s_delay_alu instid0(VALU_DEP_1) | instskip(NEXT) | instid1(VALU_DEP_1)
	v_add3_u32 v3, v2, v3, 0x80fffff
	v_lshrrev_b32_e32 v3, 21, v3
; %bb.787:
	s_and_not1_saveexec_b32 s25, s25
; %bb.788:
	v_add_f32_e64 v3, 0x43000000, |v2|
; %bb.789:
	s_or_b32 exec_lo, exec_lo, s25
                                        ; implicit-def: $vgpr7
.LBB401_790:
	s_and_not1_saveexec_b32 s24, s24
; %bb.791:
	v_mov_b32_e32 v3, 0x7f
	v_cmp_lt_u32_e32 vcc_lo, 0x7f800000, v7
	s_delay_alu instid0(VALU_DEP_2)
	v_cndmask_b32_e32 v3, 0x7c, v3, vcc_lo
; %bb.792:
	s_or_b32 exec_lo, exec_lo, s24
	v_lshrrev_b32_e32 v7, 24, v2
	s_delay_alu instid0(VALU_DEP_1)
	v_and_or_b32 v3, 0x80, v7, v3
	global_store_b8 v[0:1], v3, off
.LBB401_793:
	s_mov_b32 s25, 0
	s_mov_b32 s24, -1
.LBB401_794:
	s_and_not1_b32 vcc_lo, exec_lo, s25
	s_cbranch_vccnz .LBB401_802
; %bb.795:
	v_cmp_lt_i16_e32 vcc_lo, 14, v6
	s_mov_b32 s25, -1
	s_cbranch_vccz .LBB401_799
; %bb.796:
	v_cmp_eq_u16_e32 vcc_lo, 15, v6
	s_mov_b32 s2, -1
	s_cbranch_vccz .LBB401_798
; %bb.797:
	v_bfe_u32 v3, v2, 16, 1
	v_cmp_o_f32_e32 vcc_lo, v2, v2
	s_mov_b32 s24, -1
	s_mov_b32 s2, 0
	s_delay_alu instid0(VALU_DEP_2) | instskip(NEXT) | instid1(VALU_DEP_1)
	v_add3_u32 v3, v2, v3, 0x7fff
	v_lshrrev_b32_e32 v3, 16, v3
	s_delay_alu instid0(VALU_DEP_1)
	v_cndmask_b32_e32 v3, 0x7fc0, v3, vcc_lo
	global_store_b16 v[0:1], v3, off
.LBB401_798:
	s_mov_b32 s25, 0
.LBB401_799:
	s_delay_alu instid0(SALU_CYCLE_1)
	s_and_b32 vcc_lo, exec_lo, s25
	s_cbranch_vccz .LBB401_802
; %bb.800:
	v_cmp_eq_u16_e32 vcc_lo, 11, v6
	s_mov_b32 s2, -1
	s_cbranch_vccz .LBB401_802
; %bb.801:
	v_cmp_neq_f32_e32 vcc_lo, 0, v2
	s_mov_b32 s2, 0
	s_mov_b32 s24, -1
	v_cndmask_b32_e64 v3, 0, 1, vcc_lo
	global_store_b8 v[0:1], v3, off
.LBB401_802:
.LBB401_803:
	s_and_not1_b32 vcc_lo, exec_lo, s24
	s_cbranch_vccnz .LBB401_728
.LBB401_804:
	v_add_nc_u32_e32 v5, 0x80, v5
	s_mov_b32 s43, -1
.LBB401_805:
	s_and_not1_b32 s24, s40, exec_lo
	s_and_b32 s2, s2, exec_lo
	s_and_not1_b32 s44, s39, exec_lo
	s_and_b32 s3, s3, exec_lo
	s_or_b32 s25, s24, s2
	s_or_b32 s24, s44, s3
	s_or_not1_b32 s44, s43, exec_lo
.LBB401_806:
	s_or_b32 exec_lo, exec_lo, s42
	s_mov_b32 s2, 0
	s_mov_b32 s3, 0
	;; [unrolled: 1-line block ×3, first 2 shown]
                                        ; implicit-def: $vgpr1_vgpr2
                                        ; implicit-def: $vgpr0
                                        ; implicit-def: $vgpr6
	s_and_saveexec_b32 s42, s44
	s_cbranch_execz .LBB401_904
; %bb.807:
	v_cmp_gt_i32_e32 vcc_lo, s33, v5
	s_mov_b32 s45, s24
	s_mov_b32 s44, 0
                                        ; implicit-def: $vgpr1_vgpr2
                                        ; implicit-def: $vgpr0
                                        ; implicit-def: $vgpr6
	s_and_saveexec_b32 s33, vcc_lo
	s_cbranch_execz .LBB401_903
; %bb.808:
	s_and_not1_b32 vcc_lo, exec_lo, s29
	s_cbranch_vccnz .LBB401_813
; %bb.809:
	v_dual_mov_b32 v0, 0 :: v_dual_mov_b32 v1, 0
	s_and_not1_b32 vcc_lo, exec_lo, s35
	s_mov_b32 s35, 0
	s_cbranch_vccnz .LBB401_818
; %bb.810:
	v_mov_b32_e32 v0, 0
	s_add_i32 s43, s34, 1
	s_cmp_eq_u32 s27, 2
	s_mov_b32 s34, 0
	s_cbranch_scc1 .LBB401_814
; %bb.811:
	v_dual_mov_b32 v1, 0 :: v_dual_mov_b32 v0, 0
	v_mov_b32_e32 v2, v5
	s_and_b32 s34, s43, 28
	s_mov_b64 s[2:3], s[16:17]
.LBB401_812:                            ; =>This Inner Loop Header: Depth=1
	s_clause 0x1
	s_load_b256 s[48:55], s[2:3], 0x4
	s_load_b128 s[64:67], s[2:3], 0x24
	s_load_b256 s[56:63], s[22:23], 0x0
	s_add_u32 s2, s2, 48
	s_addc_u32 s3, s3, 0
	s_add_i32 s44, s44, 4
	s_add_u32 s22, s22, 32
	s_addc_u32 s23, s23, 0
	s_cmp_eq_u32 s34, s44
	s_waitcnt vmcnt(0) lgkmcnt(0)
	v_mul_hi_u32 v3, s49, v2
	s_delay_alu instid0(VALU_DEP_1) | instskip(NEXT) | instid1(VALU_DEP_1)
	v_add_nc_u32_e32 v3, v2, v3
	v_lshrrev_b32_e32 v3, s50, v3
	s_delay_alu instid0(VALU_DEP_1) | instskip(SKIP_1) | instid1(VALU_DEP_2)
	v_mul_hi_u32 v6, s52, v3
	v_mul_lo_u32 v8, v3, s48
	v_add_nc_u32_e32 v6, v3, v6
	s_delay_alu instid0(VALU_DEP_2) | instskip(NEXT) | instid1(VALU_DEP_2)
	v_sub_nc_u32_e32 v2, v2, v8
	v_lshrrev_b32_e32 v6, s53, v6
	s_delay_alu instid0(VALU_DEP_2) | instskip(SKIP_1) | instid1(VALU_DEP_3)
	v_mul_lo_u32 v8, v2, s56
	v_mul_lo_u32 v10, v2, s57
	v_mul_hi_u32 v7, s55, v6
	s_delay_alu instid0(VALU_DEP_1) | instskip(NEXT) | instid1(VALU_DEP_1)
	v_add_nc_u32_e32 v7, v6, v7
	v_lshrrev_b32_e32 v7, s64, v7
	s_delay_alu instid0(VALU_DEP_1) | instskip(SKIP_1) | instid1(VALU_DEP_2)
	v_mul_hi_u32 v9, s66, v7
	v_mul_lo_u32 v11, v7, s54
	v_add_nc_u32_e32 v2, v7, v9
	v_mul_lo_u32 v9, v6, s51
	s_delay_alu instid0(VALU_DEP_3) | instskip(NEXT) | instid1(VALU_DEP_3)
	v_sub_nc_u32_e32 v6, v6, v11
	v_lshrrev_b32_e32 v2, s67, v2
	s_delay_alu instid0(VALU_DEP_2) | instskip(SKIP_2) | instid1(VALU_DEP_4)
	v_mul_lo_u32 v11, v6, s60
	v_mul_lo_u32 v6, v6, s61
	v_sub_nc_u32_e32 v3, v3, v9
	v_mul_lo_u32 v12, v2, s65
	s_delay_alu instid0(VALU_DEP_2) | instskip(SKIP_1) | instid1(VALU_DEP_3)
	v_mul_lo_u32 v9, v3, s58
	v_mul_lo_u32 v3, v3, s59
	v_sub_nc_u32_e32 v7, v7, v12
	s_delay_alu instid0(VALU_DEP_3) | instskip(NEXT) | instid1(VALU_DEP_2)
	v_add3_u32 v0, v8, v0, v9
	v_mul_lo_u32 v12, v7, s62
	v_mul_lo_u32 v7, v7, s63
	v_add3_u32 v1, v10, v1, v3
	s_delay_alu instid0(VALU_DEP_3) | instskip(NEXT) | instid1(VALU_DEP_2)
	v_add3_u32 v0, v11, v0, v12
	v_add3_u32 v1, v6, v1, v7
	s_cbranch_scc0 .LBB401_812
	s_branch .LBB401_815
.LBB401_813:
	s_mov_b32 s35, -1
                                        ; implicit-def: $vgpr0
                                        ; implicit-def: $vgpr1
	s_branch .LBB401_818
.LBB401_814:
	v_dual_mov_b32 v2, v5 :: v_dual_mov_b32 v1, 0
.LBB401_815:
	s_and_b32 s43, s43, 3
	s_delay_alu instid0(SALU_CYCLE_1)
	s_cmp_eq_u32 s43, 0
	s_cbranch_scc1 .LBB401_818
; %bb.816:
	s_lshl_b32 s2, s34, 3
	s_mul_i32 s22, s34, 12
	s_add_u32 s2, s2, s16
	s_addc_u32 s3, s17, 0
	s_add_u32 s2, s2, 0xc4
	s_addc_u32 s3, s3, 0
	;; [unrolled: 2-line block ×3, first 2 shown]
.LBB401_817:                            ; =>This Inner Loop Header: Depth=1
	s_clause 0x1
	s_load_b64 s[44:45], s[22:23], 0x4
	s_load_b32 s34, s[22:23], 0xc
	s_load_b64 s[46:47], s[2:3], 0x0
	s_add_u32 s22, s22, 12
	s_addc_u32 s23, s23, 0
	s_add_u32 s2, s2, 8
	s_addc_u32 s3, s3, 0
	s_add_i32 s43, s43, -1
	s_delay_alu instid0(SALU_CYCLE_1) | instskip(SKIP_2) | instid1(VALU_DEP_1)
	s_cmp_lg_u32 s43, 0
	s_waitcnt vmcnt(0) lgkmcnt(0)
	v_mul_hi_u32 v3, s45, v2
	v_add_nc_u32_e32 v3, v2, v3
	s_delay_alu instid0(VALU_DEP_1) | instskip(NEXT) | instid1(VALU_DEP_1)
	v_lshrrev_b32_e32 v3, s34, v3
	v_mul_lo_u32 v6, v3, s44
	s_delay_alu instid0(VALU_DEP_1) | instskip(NEXT) | instid1(VALU_DEP_1)
	v_sub_nc_u32_e32 v2, v2, v6
	v_mad_u64_u32 v[6:7], null, v2, s46, v[0:1]
	v_mad_u64_u32 v[7:8], null, v2, s47, v[1:2]
	v_mov_b32_e32 v2, v3
	s_delay_alu instid0(VALU_DEP_2)
	v_dual_mov_b32 v0, v6 :: v_dual_mov_b32 v1, v7
	s_cbranch_scc1 .LBB401_817
.LBB401_818:
	s_and_not1_b32 vcc_lo, exec_lo, s35
	s_cbranch_vccnz .LBB401_821
; %bb.819:
	v_mul_hi_u32 v0, s13, v5
	s_and_not1_b32 vcc_lo, exec_lo, s31
	s_delay_alu instid0(VALU_DEP_1) | instskip(NEXT) | instid1(VALU_DEP_1)
	v_add_nc_u32_e32 v0, v5, v0
	v_lshrrev_b32_e32 v2, s14, v0
	s_delay_alu instid0(VALU_DEP_1) | instskip(NEXT) | instid1(VALU_DEP_1)
	v_mul_lo_u32 v0, v2, s12
	v_sub_nc_u32_e32 v1, v5, v0
	s_delay_alu instid0(VALU_DEP_1)
	v_mul_lo_u32 v0, v1, s8
	v_mul_lo_u32 v1, v1, s9
	s_cbranch_vccnz .LBB401_821
; %bb.820:
	s_waitcnt vmcnt(0)
	v_mul_hi_u32 v3, s20, v2
	s_delay_alu instid0(VALU_DEP_1) | instskip(NEXT) | instid1(VALU_DEP_1)
	v_add_nc_u32_e32 v3, v2, v3
	v_lshrrev_b32_e32 v3, s21, v3
	s_delay_alu instid0(VALU_DEP_1) | instskip(NEXT) | instid1(VALU_DEP_1)
	v_mul_lo_u32 v3, v3, s15
	v_sub_nc_u32_e32 v7, v2, v3
	s_delay_alu instid0(VALU_DEP_1) | instskip(NEXT) | instid1(VALU_DEP_1)
	v_mad_u64_u32 v[2:3], null, v7, s10, v[0:1]
	v_mad_u64_u32 v[5:6], null, v7, s11, v[1:2]
	s_delay_alu instid0(VALU_DEP_1)
	v_dual_mov_b32 v0, v2 :: v_dual_mov_b32 v1, v5
.LBB401_821:
	v_cmp_gt_i16_e32 vcc_lo, 11, v4
	s_delay_alu instid0(VALU_DEP_2) | instskip(NEXT) | instid1(VALU_DEP_1)
	v_add_co_u32 v1, s2, s6, v1
	v_add_co_ci_u32_e64 v2, null, s7, 0, s2
	s_mov_b32 s6, 0
	s_cbranch_vccnz .LBB401_828
; %bb.822:
	v_cmp_lt_i16_e32 vcc_lo, 25, v4
	s_mov_b32 s3, 0
	s_cbranch_vccz .LBB401_829
; %bb.823:
	v_cmp_lt_i16_e32 vcc_lo, 28, v4
	s_cbranch_vccz .LBB401_830
; %bb.824:
	v_cmp_lt_i16_e32 vcc_lo, 43, v4
	;; [unrolled: 3-line block ×3, first 2 shown]
	s_cbranch_vccz .LBB401_834
; %bb.826:
	v_cmp_eq_u16_e32 vcc_lo, 46, v4
	s_mov_b32 s7, 0
	s_cbranch_vccz .LBB401_837
; %bb.827:
	global_load_b32 v3, v[1:2], off
	s_mov_b32 s2, 0
	s_mov_b32 s6, -1
	s_waitcnt vmcnt(0)
	v_lshlrev_b32_e32 v6, 16, v3
	s_branch .LBB401_839
.LBB401_828:
	s_mov_b32 s7, -1
	s_mov_b32 s3, 0
	s_mov_b32 s2, s24
                                        ; implicit-def: $vgpr6
	s_branch .LBB401_902
.LBB401_829:
	s_mov_b32 s7, -1
	s_mov_b32 s2, s24
                                        ; implicit-def: $vgpr6
	s_branch .LBB401_868
.LBB401_830:
	s_mov_b32 s7, -1
	s_mov_b32 s2, s24
                                        ; implicit-def: $vgpr6
	s_branch .LBB401_849
.LBB401_831:
	s_mov_b32 s7, -1
	s_mov_b32 s2, s24
                                        ; implicit-def: $vgpr6
	s_branch .LBB401_844
.LBB401_832:
	s_or_saveexec_b32 s43, s43
                                        ; implicit-def: $sgpr44
	s_delay_alu instid0(SALU_CYCLE_1)
	s_xor_b32 exec_lo, exec_lo, s43
	s_cbranch_execz .LBB401_755
.LBB401_833:
	v_add_f32_e64 v3, 0x46000000, |v2|
	s_and_not1_b32 s25, s25, exec_lo
	s_mov_b32 s44, 0
	s_delay_alu instid0(VALU_DEP_1) | instskip(NEXT) | instid1(VALU_DEP_1)
	v_and_b32_e32 v3, 0xff, v3
	v_cmp_ne_u32_e32 vcc_lo, 0, v3
	s_and_b32 s45, vcc_lo, exec_lo
	s_delay_alu instid0(SALU_CYCLE_1)
	s_or_b32 s25, s25, s45
	s_or_b32 exec_lo, exec_lo, s43
	v_mov_b32_e32 v7, s44
	s_and_saveexec_b32 s43, s25
	s_cbranch_execnz .LBB401_756
	s_branch .LBB401_757
.LBB401_834:
	s_mov_b32 s7, -1
	s_mov_b32 s2, s24
	s_branch .LBB401_838
.LBB401_835:
	s_or_saveexec_b32 s43, s43
                                        ; implicit-def: $sgpr44
	s_delay_alu instid0(SALU_CYCLE_1)
	s_xor_b32 exec_lo, exec_lo, s43
	s_cbranch_execz .LBB401_768
.LBB401_836:
	v_add_f32_e64 v3, 0x42800000, |v2|
	s_and_not1_b32 s25, s25, exec_lo
	s_mov_b32 s44, 0
	s_delay_alu instid0(VALU_DEP_1) | instskip(NEXT) | instid1(VALU_DEP_1)
	v_and_b32_e32 v3, 0xff, v3
	v_cmp_ne_u32_e32 vcc_lo, 0, v3
	s_and_b32 s45, vcc_lo, exec_lo
	s_delay_alu instid0(SALU_CYCLE_1)
	s_or_b32 s25, s25, s45
	s_or_b32 exec_lo, exec_lo, s43
	v_mov_b32_e32 v7, s44
	s_and_saveexec_b32 s43, s25
	s_cbranch_execnz .LBB401_769
	s_branch .LBB401_770
.LBB401_837:
	s_mov_b32 s2, -1
.LBB401_838:
                                        ; implicit-def: $vgpr6
.LBB401_839:
	s_and_b32 vcc_lo, exec_lo, s7
	s_cbranch_vccz .LBB401_843
; %bb.840:
	v_cmp_eq_u16_e32 vcc_lo, 44, v4
	s_cbranch_vccz .LBB401_842
; %bb.841:
	global_load_u8 v3, v[1:2], off
	s_mov_b32 s2, 0
	s_mov_b32 s6, -1
	s_waitcnt vmcnt(0)
	v_lshlrev_b32_e32 v5, 23, v3
	v_cmp_ne_u32_e32 vcc_lo, 0xff, v3
	s_delay_alu instid0(VALU_DEP_2) | instskip(SKIP_1) | instid1(VALU_DEP_2)
	v_cndmask_b32_e32 v5, 0x7f800001, v5, vcc_lo
	v_cmp_ne_u32_e32 vcc_lo, 0, v3
	v_cndmask_b32_e32 v6, 0x400000, v5, vcc_lo
	s_branch .LBB401_843
.LBB401_842:
	s_mov_b32 s2, -1
                                        ; implicit-def: $vgpr6
.LBB401_843:
	s_mov_b32 s7, 0
.LBB401_844:
	s_delay_alu instid0(SALU_CYCLE_1)
	s_and_b32 vcc_lo, exec_lo, s7
	s_cbranch_vccz .LBB401_848
; %bb.845:
	v_cmp_eq_u16_e32 vcc_lo, 29, v4
	s_cbranch_vccz .LBB401_847
; %bb.846:
	global_load_b64 v[5:6], v[1:2], off
	s_mov_b32 s2, 0
	s_mov_b32 s6, -1
	s_mov_b32 s7, 0
	s_waitcnt vmcnt(0)
	v_clz_i32_u32_e32 v3, v6
	s_delay_alu instid0(VALU_DEP_1) | instskip(NEXT) | instid1(VALU_DEP_1)
	v_min_u32_e32 v3, 32, v3
	v_lshlrev_b64 v[5:6], v3, v[5:6]
	v_sub_nc_u32_e32 v3, 32, v3
	s_delay_alu instid0(VALU_DEP_2) | instskip(NEXT) | instid1(VALU_DEP_1)
	v_min_u32_e32 v5, 1, v5
	v_or_b32_e32 v5, v6, v5
	s_delay_alu instid0(VALU_DEP_1) | instskip(NEXT) | instid1(VALU_DEP_1)
	v_cvt_f32_u32_e32 v5, v5
	v_ldexp_f32 v6, v5, v3
	s_branch .LBB401_849
.LBB401_847:
	s_mov_b32 s2, -1
                                        ; implicit-def: $vgpr6
.LBB401_848:
	s_mov_b32 s7, 0
.LBB401_849:
	s_delay_alu instid0(SALU_CYCLE_1)
	s_and_b32 vcc_lo, exec_lo, s7
	s_cbranch_vccz .LBB401_867
; %bb.850:
	v_cmp_gt_i16_e32 vcc_lo, 27, v4
	s_cbranch_vccnz .LBB401_853
; %bb.851:
	v_cmp_lt_i16_e32 vcc_lo, 27, v4
	s_cbranch_vccz .LBB401_854
; %bb.852:
	global_load_b32 v3, v[1:2], off
	s_mov_b32 s6, 0
	s_waitcnt vmcnt(0)
	v_cvt_f32_u32_e32 v6, v3
	s_branch .LBB401_855
.LBB401_853:
	s_mov_b32 s6, -1
                                        ; implicit-def: $vgpr6
	s_branch .LBB401_858
.LBB401_854:
	s_mov_b32 s6, -1
                                        ; implicit-def: $vgpr6
.LBB401_855:
	s_delay_alu instid0(SALU_CYCLE_1)
	s_and_not1_b32 vcc_lo, exec_lo, s6
	s_cbranch_vccnz .LBB401_857
; %bb.856:
	global_load_u16 v3, v[1:2], off
	s_waitcnt vmcnt(0)
	v_cvt_f32_u32_e32 v6, v3
.LBB401_857:
	s_mov_b32 s6, 0
.LBB401_858:
	s_delay_alu instid0(SALU_CYCLE_1)
	s_and_not1_b32 vcc_lo, exec_lo, s6
	s_cbranch_vccnz .LBB401_866
; %bb.859:
	global_load_u8 v3, v[1:2], off
	s_mov_b32 s6, 0
	s_mov_b32 s8, exec_lo
                                        ; implicit-def: $sgpr7
	s_waitcnt vmcnt(0)
	v_cmpx_lt_i16_e32 0x7f, v3
	s_xor_b32 s8, exec_lo, s8
	s_cbranch_execz .LBB401_880
; %bb.860:
	s_mov_b32 s6, -1
	s_mov_b32 s9, exec_lo
                                        ; implicit-def: $sgpr7
	v_cmpx_eq_u16_e32 0x80, v3
; %bb.861:
	s_mov_b32 s7, 0x7f800001
	s_xor_b32 s6, exec_lo, -1
; %bb.862:
	s_or_b32 exec_lo, exec_lo, s9
	s_delay_alu instid0(SALU_CYCLE_1)
	s_and_b32 s6, s6, exec_lo
	s_or_saveexec_b32 s8, s8
	v_mov_b32_e32 v6, s7
	s_xor_b32 exec_lo, exec_lo, s8
	s_cbranch_execnz .LBB401_881
.LBB401_863:
	s_or_b32 exec_lo, exec_lo, s8
	s_and_saveexec_b32 s7, s6
	s_cbranch_execz .LBB401_865
.LBB401_864:
	v_and_b32_e32 v5, 0xffff, v3
	v_lshlrev_b32_e32 v3, 24, v3
	s_delay_alu instid0(VALU_DEP_2) | instskip(NEXT) | instid1(VALU_DEP_2)
	v_and_b32_e32 v6, 7, v5
	v_and_b32_e32 v3, 0x80000000, v3
	s_delay_alu instid0(VALU_DEP_2) | instskip(NEXT) | instid1(VALU_DEP_1)
	v_clz_i32_u32_e32 v7, v6
	v_min_u32_e32 v7, 32, v7
	s_delay_alu instid0(VALU_DEP_1) | instskip(SKIP_1) | instid1(VALU_DEP_2)
	v_subrev_nc_u32_e32 v8, 28, v7
	v_sub_nc_u32_e32 v7, 29, v7
	v_lshlrev_b32_e32 v8, v8, v5
	v_bfe_u32 v5, v5, 3, 4
	s_delay_alu instid0(VALU_DEP_2) | instskip(NEXT) | instid1(VALU_DEP_2)
	v_and_b32_e32 v8, 7, v8
	v_cmp_eq_u32_e32 vcc_lo, 0, v5
	s_delay_alu instid0(VALU_DEP_2) | instskip(NEXT) | instid1(VALU_DEP_1)
	v_dual_cndmask_b32 v5, v5, v7 :: v_dual_cndmask_b32 v6, v6, v8
	v_lshl_add_u32 v5, v5, 23, 0x3b800000
	s_delay_alu instid0(VALU_DEP_2) | instskip(NEXT) | instid1(VALU_DEP_1)
	v_lshlrev_b32_e32 v6, 20, v6
	v_or3_b32 v6, v3, v5, v6
.LBB401_865:
	s_or_b32 exec_lo, exec_lo, s7
.LBB401_866:
	s_mov_b32 s6, -1
.LBB401_867:
	s_mov_b32 s7, 0
.LBB401_868:
	s_delay_alu instid0(SALU_CYCLE_1)
	s_and_b32 vcc_lo, exec_lo, s7
	s_cbranch_vccz .LBB401_901
; %bb.869:
	v_cmp_lt_i16_e32 vcc_lo, 22, v4
	s_cbranch_vccz .LBB401_879
; %bb.870:
	v_cmp_gt_i16_e32 vcc_lo, 24, v4
	s_cbranch_vccnz .LBB401_882
; %bb.871:
	v_cmp_lt_i16_e32 vcc_lo, 24, v4
	s_cbranch_vccz .LBB401_883
; %bb.872:
	global_load_u8 v3, v[1:2], off
	s_mov_b32 s7, exec_lo
                                        ; implicit-def: $sgpr6
	s_waitcnt vmcnt(0)
	v_cmpx_lt_i16_e32 0x7f, v3
	s_xor_b32 s7, exec_lo, s7
	s_cbranch_execz .LBB401_895
; %bb.873:
	s_mov_b32 s3, -1
	s_mov_b32 s8, exec_lo
                                        ; implicit-def: $sgpr6
	v_cmpx_eq_u16_e32 0x80, v3
; %bb.874:
	s_mov_b32 s6, 0x7f800001
	s_xor_b32 s3, exec_lo, -1
; %bb.875:
	s_or_b32 exec_lo, exec_lo, s8
	s_delay_alu instid0(SALU_CYCLE_1)
	s_and_b32 s3, s3, exec_lo
	s_or_saveexec_b32 s7, s7
	v_mov_b32_e32 v6, s6
	s_xor_b32 exec_lo, exec_lo, s7
	s_cbranch_execnz .LBB401_896
.LBB401_876:
	s_or_b32 exec_lo, exec_lo, s7
	s_and_saveexec_b32 s6, s3
	s_cbranch_execz .LBB401_878
.LBB401_877:
	v_and_b32_e32 v5, 0xffff, v3
	v_lshlrev_b32_e32 v3, 24, v3
	s_delay_alu instid0(VALU_DEP_2) | instskip(NEXT) | instid1(VALU_DEP_2)
	v_and_b32_e32 v6, 3, v5
	v_and_b32_e32 v3, 0x80000000, v3
	s_delay_alu instid0(VALU_DEP_2) | instskip(NEXT) | instid1(VALU_DEP_1)
	v_clz_i32_u32_e32 v7, v6
	v_min_u32_e32 v7, 32, v7
	s_delay_alu instid0(VALU_DEP_1) | instskip(SKIP_1) | instid1(VALU_DEP_2)
	v_subrev_nc_u32_e32 v8, 29, v7
	v_sub_nc_u32_e32 v7, 30, v7
	v_lshlrev_b32_e32 v8, v8, v5
	v_bfe_u32 v5, v5, 2, 5
	s_delay_alu instid0(VALU_DEP_2) | instskip(NEXT) | instid1(VALU_DEP_2)
	v_and_b32_e32 v8, 3, v8
	v_cmp_eq_u32_e32 vcc_lo, 0, v5
	s_delay_alu instid0(VALU_DEP_2) | instskip(NEXT) | instid1(VALU_DEP_1)
	v_dual_cndmask_b32 v5, v5, v7 :: v_dual_cndmask_b32 v6, v6, v8
	v_lshl_add_u32 v5, v5, 23, 0x37800000
	s_delay_alu instid0(VALU_DEP_2) | instskip(NEXT) | instid1(VALU_DEP_1)
	v_lshlrev_b32_e32 v6, 21, v6
	v_or3_b32 v6, v3, v5, v6
.LBB401_878:
	s_or_b32 exec_lo, exec_lo, s6
	s_mov_b32 s3, 0
	s_branch .LBB401_884
.LBB401_879:
	s_mov_b32 s3, -1
                                        ; implicit-def: $vgpr6
	s_branch .LBB401_890
.LBB401_880:
	s_or_saveexec_b32 s8, s8
	v_mov_b32_e32 v6, s7
	s_xor_b32 exec_lo, exec_lo, s8
	s_cbranch_execz .LBB401_863
.LBB401_881:
	v_cmp_ne_u16_e32 vcc_lo, 0, v3
	v_mov_b32_e32 v6, 0
	s_and_not1_b32 s6, s6, exec_lo
	s_and_b32 s7, vcc_lo, exec_lo
	s_delay_alu instid0(SALU_CYCLE_1)
	s_or_b32 s6, s6, s7
	s_or_b32 exec_lo, exec_lo, s8
	s_and_saveexec_b32 s7, s6
	s_cbranch_execnz .LBB401_864
	s_branch .LBB401_865
.LBB401_882:
	s_mov_b32 s3, -1
                                        ; implicit-def: $vgpr6
	s_branch .LBB401_887
.LBB401_883:
	s_mov_b32 s3, -1
                                        ; implicit-def: $vgpr6
.LBB401_884:
	s_delay_alu instid0(SALU_CYCLE_1)
	s_and_b32 vcc_lo, exec_lo, s3
	s_cbranch_vccz .LBB401_886
; %bb.885:
	global_load_u8 v3, v[1:2], off
	s_waitcnt vmcnt(0)
	v_lshlrev_b32_e32 v3, 24, v3
	s_delay_alu instid0(VALU_DEP_1) | instskip(NEXT) | instid1(VALU_DEP_1)
	v_and_b32_e32 v5, 0x7f000000, v3
	v_clz_i32_u32_e32 v6, v5
	v_cmp_ne_u32_e32 vcc_lo, 0, v5
	v_add_nc_u32_e32 v8, 0x1000000, v5
	s_delay_alu instid0(VALU_DEP_3) | instskip(NEXT) | instid1(VALU_DEP_1)
	v_min_u32_e32 v6, 32, v6
	v_sub_nc_u32_e64 v6, v6, 4 clamp
	s_delay_alu instid0(VALU_DEP_1) | instskip(SKIP_1) | instid1(VALU_DEP_2)
	v_lshlrev_b32_e32 v7, v6, v5
	v_lshlrev_b32_e32 v6, 23, v6
	v_lshrrev_b32_e32 v7, 4, v7
	s_delay_alu instid0(VALU_DEP_1) | instskip(SKIP_1) | instid1(VALU_DEP_2)
	v_sub_nc_u32_e32 v6, v7, v6
	v_ashrrev_i32_e32 v7, 8, v8
	v_add_nc_u32_e32 v6, 0x3c000000, v6
	s_delay_alu instid0(VALU_DEP_1) | instskip(NEXT) | instid1(VALU_DEP_1)
	v_and_or_b32 v6, 0x7f800000, v7, v6
	v_cndmask_b32_e32 v5, 0, v6, vcc_lo
	s_delay_alu instid0(VALU_DEP_1)
	v_and_or_b32 v6, 0x80000000, v3, v5
.LBB401_886:
	s_mov_b32 s3, 0
.LBB401_887:
	s_delay_alu instid0(SALU_CYCLE_1)
	s_and_not1_b32 vcc_lo, exec_lo, s3
	s_cbranch_vccnz .LBB401_889
; %bb.888:
	global_load_u8 v3, v[1:2], off
	s_waitcnt vmcnt(0)
	v_lshlrev_b32_e32 v5, 25, v3
	v_lshlrev_b16 v3, 8, v3
	s_delay_alu instid0(VALU_DEP_2) | instskip(NEXT) | instid1(VALU_DEP_2)
	v_lshrrev_b32_e32 v6, 4, v5
	v_and_or_b32 v7, 0x7f00, v3, 0.5
	v_bfe_i32 v3, v3, 0, 16
	s_delay_alu instid0(VALU_DEP_3) | instskip(NEXT) | instid1(VALU_DEP_1)
	v_or_b32_e32 v6, 0x70000000, v6
	v_dual_add_f32 v7, -0.5, v7 :: v_dual_mul_f32 v6, 0x7800000, v6
	v_cmp_gt_u32_e32 vcc_lo, 0x8000000, v5
	s_delay_alu instid0(VALU_DEP_2) | instskip(NEXT) | instid1(VALU_DEP_1)
	v_cndmask_b32_e32 v5, v6, v7, vcc_lo
	v_and_or_b32 v6, 0x80000000, v3, v5
.LBB401_889:
	s_mov_b32 s3, 0
	s_mov_b32 s6, -1
.LBB401_890:
	s_and_not1_b32 vcc_lo, exec_lo, s3
	s_mov_b32 s3, 0
	s_cbranch_vccnz .LBB401_901
; %bb.891:
	v_cmp_lt_i16_e32 vcc_lo, 14, v4
	s_cbranch_vccz .LBB401_894
; %bb.892:
	v_cmp_eq_u16_e32 vcc_lo, 15, v4
	s_cbranch_vccz .LBB401_897
; %bb.893:
	global_load_u16 v3, v[1:2], off
	s_mov_b32 s2, 0
	s_mov_b32 s6, -1
	s_waitcnt vmcnt(0)
	v_lshlrev_b32_e32 v6, 16, v3
	s_branch .LBB401_899
.LBB401_894:
	s_mov_b32 s3, -1
	s_branch .LBB401_898
.LBB401_895:
	s_or_saveexec_b32 s7, s7
	v_mov_b32_e32 v6, s6
	s_xor_b32 exec_lo, exec_lo, s7
	s_cbranch_execz .LBB401_876
.LBB401_896:
	v_cmp_ne_u16_e32 vcc_lo, 0, v3
	v_mov_b32_e32 v6, 0
	s_and_not1_b32 s3, s3, exec_lo
	s_and_b32 s6, vcc_lo, exec_lo
	s_delay_alu instid0(SALU_CYCLE_1)
	s_or_b32 s3, s3, s6
	s_or_b32 exec_lo, exec_lo, s7
	s_and_saveexec_b32 s6, s3
	s_cbranch_execnz .LBB401_877
	s_branch .LBB401_878
.LBB401_897:
	s_mov_b32 s2, -1
.LBB401_898:
                                        ; implicit-def: $vgpr6
.LBB401_899:
	s_and_b32 vcc_lo, exec_lo, s3
	s_mov_b32 s3, 0
	s_cbranch_vccz .LBB401_901
; %bb.900:
	v_cmp_ne_u16_e32 vcc_lo, 11, v4
	s_and_not1_b32 s2, s2, exec_lo
	s_mov_b32 s3, -1
                                        ; implicit-def: $vgpr6
	s_and_b32 s7, vcc_lo, exec_lo
	s_delay_alu instid0(SALU_CYCLE_1)
	s_or_b32 s2, s2, s7
.LBB401_901:
	s_mov_b32 s7, 0
.LBB401_902:
	s_and_b32 s43, s6, exec_lo
	s_and_b32 s44, s7, exec_lo
	s_and_not1_b32 s6, s24, exec_lo
	s_and_b32 s7, s2, exec_lo
	s_and_b32 s2, s3, exec_lo
	s_or_b32 s45, s6, s7
.LBB401_903:
	s_or_b32 exec_lo, exec_lo, s33
	s_delay_alu instid0(SALU_CYCLE_1)
	s_and_not1_b32 s6, s24, exec_lo
	s_and_b32 s7, s45, exec_lo
	s_and_b32 s43, s43, exec_lo
	;; [unrolled: 1-line block ×4, first 2 shown]
	s_or_b32 s24, s6, s7
.LBB401_904:
	s_or_b32 exec_lo, exec_lo, s42
	s_delay_alu instid0(SALU_CYCLE_1)
	s_and_not1_b32 s6, s40, exec_lo
	s_and_b32 s7, s25, exec_lo
	s_and_b32 s42, s43, exec_lo
	s_or_b32 s40, s6, s7
	s_and_not1_b32 s6, s39, exec_lo
	s_and_b32 s7, s24, exec_lo
	s_and_b32 s25, s3, exec_lo
	;; [unrolled: 1-line block ×3, first 2 shown]
	s_or_b32 s39, s6, s7
.LBB401_905:
	s_or_b32 exec_lo, exec_lo, s41
	s_delay_alu instid0(SALU_CYCLE_1)
	s_and_not1_b32 s2, s36, exec_lo
	s_and_b32 s6, s40, exec_lo
	s_and_b32 s7, s39, exec_lo
	s_or_b32 s36, s2, s6
	s_and_not1_b32 s6, s37, exec_lo
	s_and_b32 s2, s42, exec_lo
	s_and_b32 s24, s25, exec_lo
	;; [unrolled: 1-line block ×3, first 2 shown]
	s_or_b32 s37, s6, s7
.LBB401_906:
	s_or_b32 exec_lo, exec_lo, s38
	s_mov_b32 s3, 0
	s_and_saveexec_b32 s6, s37
	s_cbranch_execnz .LBB401_918
; %bb.907:
	s_or_b32 exec_lo, exec_lo, s6
	s_and_saveexec_b32 s6, s39
	s_delay_alu instid0(SALU_CYCLE_1)
	s_xor_b32 s6, exec_lo, s6
	s_cbranch_execz .LBB401_909
.LBB401_908:
	global_load_u8 v3, v[1:2], off
	s_or_b32 s2, s2, exec_lo
	s_waitcnt vmcnt(0)
	v_cmp_ne_u16_e32 vcc_lo, 0, v3
	v_cndmask_b32_e64 v6, 0, 1.0, vcc_lo
.LBB401_909:
	s_or_b32 exec_lo, exec_lo, s6
	s_and_saveexec_b32 s6, s24
	s_cbranch_execz .LBB401_957
; %bb.910:
	v_cmp_gt_i16_e32 vcc_lo, 5, v4
	s_cbranch_vccnz .LBB401_915
; %bb.911:
	v_cmp_gt_i16_e32 vcc_lo, 8, v4
	s_cbranch_vccnz .LBB401_916
	;; [unrolled: 3-line block ×3, first 2 shown]
; %bb.913:
	v_cmp_lt_i16_e32 vcc_lo, 9, v4
	s_cbranch_vccz .LBB401_920
; %bb.914:
	global_load_b64 v[5:6], v[1:2], off
	s_mov_b32 s7, 0
	s_waitcnt vmcnt(0)
	v_cvt_f32_f64_e32 v6, v[5:6]
	s_branch .LBB401_921
.LBB401_915:
                                        ; implicit-def: $vgpr6
	s_branch .LBB401_938
.LBB401_916:
                                        ; implicit-def: $vgpr6
	s_branch .LBB401_927
.LBB401_917:
	s_mov_b32 s7, -1
                                        ; implicit-def: $vgpr6
	s_branch .LBB401_924
.LBB401_918:
	s_cbranch_execnz .LBB401_1188
; %bb.919:
	s_mov_b32 s3, exec_lo
	s_and_not1_b32 s39, s39, exec_lo
                                        ; implicit-def: $vgpr6
	s_or_b32 exec_lo, exec_lo, s6
	s_and_saveexec_b32 s6, s39
	s_delay_alu instid0(SALU_CYCLE_1)
	s_xor_b32 s6, exec_lo, s6
	s_cbranch_execnz .LBB401_908
	s_branch .LBB401_909
.LBB401_920:
	s_mov_b32 s7, -1
                                        ; implicit-def: $vgpr6
.LBB401_921:
	s_delay_alu instid0(SALU_CYCLE_1)
	s_and_not1_b32 vcc_lo, exec_lo, s7
	s_cbranch_vccnz .LBB401_923
; %bb.922:
	global_load_b32 v6, v[1:2], off
.LBB401_923:
	s_mov_b32 s7, 0
.LBB401_924:
	s_delay_alu instid0(SALU_CYCLE_1)
	s_and_not1_b32 vcc_lo, exec_lo, s7
	s_cbranch_vccnz .LBB401_926
; %bb.925:
	global_load_b32 v3, v[1:2], off
	s_waitcnt vmcnt(0)
	v_cvt_f32_f16_e32 v6, v3
.LBB401_926:
	s_cbranch_execnz .LBB401_937
.LBB401_927:
	v_cmp_gt_i16_e32 vcc_lo, 6, v4
	s_cbranch_vccnz .LBB401_930
; %bb.928:
	v_cmp_lt_i16_e32 vcc_lo, 6, v4
	s_cbranch_vccz .LBB401_931
; %bb.929:
	global_load_b64 v[5:6], v[1:2], off
	s_mov_b32 s7, 0
	s_waitcnt vmcnt(0)
	v_cvt_f32_f64_e32 v6, v[5:6]
	s_branch .LBB401_932
.LBB401_930:
	s_mov_b32 s7, -1
                                        ; implicit-def: $vgpr6
	s_branch .LBB401_935
.LBB401_931:
	s_mov_b32 s7, -1
                                        ; implicit-def: $vgpr6
.LBB401_932:
	s_delay_alu instid0(SALU_CYCLE_1)
	s_and_not1_b32 vcc_lo, exec_lo, s7
	s_cbranch_vccnz .LBB401_934
; %bb.933:
	global_load_b32 v6, v[1:2], off
.LBB401_934:
	s_mov_b32 s7, 0
.LBB401_935:
	s_delay_alu instid0(SALU_CYCLE_1)
	s_and_not1_b32 vcc_lo, exec_lo, s7
	s_cbranch_vccnz .LBB401_937
; %bb.936:
	global_load_u16 v3, v[1:2], off
	s_waitcnt vmcnt(0)
	v_cvt_f32_f16_e32 v6, v3
.LBB401_937:
	s_cbranch_execnz .LBB401_956
.LBB401_938:
	v_cmp_gt_i16_e32 vcc_lo, 2, v4
	s_cbranch_vccnz .LBB401_942
; %bb.939:
	v_cmp_gt_i16_e32 vcc_lo, 3, v4
	s_cbranch_vccnz .LBB401_943
; %bb.940:
	v_cmp_lt_i16_e32 vcc_lo, 3, v4
	s_cbranch_vccz .LBB401_944
; %bb.941:
	global_load_b64 v[5:6], v[1:2], off
	s_mov_b32 s7, 0
	s_waitcnt vmcnt(0)
	v_xor_b32_e32 v3, v5, v6
	v_cls_i32_e32 v7, v6
	s_delay_alu instid0(VALU_DEP_2) | instskip(NEXT) | instid1(VALU_DEP_2)
	v_ashrrev_i32_e32 v3, 31, v3
	v_add_nc_u32_e32 v7, -1, v7
	s_delay_alu instid0(VALU_DEP_2) | instskip(NEXT) | instid1(VALU_DEP_1)
	v_add_nc_u32_e32 v3, 32, v3
	v_min_u32_e32 v3, v7, v3
	s_delay_alu instid0(VALU_DEP_1) | instskip(SKIP_1) | instid1(VALU_DEP_2)
	v_lshlrev_b64 v[5:6], v3, v[5:6]
	v_sub_nc_u32_e32 v3, 32, v3
	v_min_u32_e32 v5, 1, v5
	s_delay_alu instid0(VALU_DEP_1) | instskip(NEXT) | instid1(VALU_DEP_1)
	v_or_b32_e32 v5, v6, v5
	v_cvt_f32_i32_e32 v5, v5
	s_delay_alu instid0(VALU_DEP_1)
	v_ldexp_f32 v6, v5, v3
	s_branch .LBB401_945
.LBB401_942:
                                        ; implicit-def: $vgpr6
	s_branch .LBB401_951
.LBB401_943:
	s_mov_b32 s7, -1
                                        ; implicit-def: $vgpr6
	s_branch .LBB401_948
.LBB401_944:
	s_mov_b32 s7, -1
                                        ; implicit-def: $vgpr6
.LBB401_945:
	s_delay_alu instid0(SALU_CYCLE_1)
	s_and_not1_b32 vcc_lo, exec_lo, s7
	s_cbranch_vccnz .LBB401_947
; %bb.946:
	global_load_b32 v3, v[1:2], off
	s_waitcnt vmcnt(0)
	v_cvt_f32_i32_e32 v6, v3
.LBB401_947:
	s_mov_b32 s7, 0
.LBB401_948:
	s_delay_alu instid0(SALU_CYCLE_1)
	s_and_not1_b32 vcc_lo, exec_lo, s7
	s_cbranch_vccnz .LBB401_950
; %bb.949:
	global_load_i16 v3, v[1:2], off
	s_waitcnt vmcnt(0)
	v_cvt_f32_i32_e32 v6, v3
.LBB401_950:
	s_cbranch_execnz .LBB401_956
.LBB401_951:
	v_cmp_lt_i16_e32 vcc_lo, 0, v4
	s_mov_b32 s7, 0
	s_cbranch_vccz .LBB401_953
; %bb.952:
	global_load_i8 v3, v[1:2], off
	s_waitcnt vmcnt(0)
	v_cvt_f32_i32_e32 v6, v3
	s_branch .LBB401_954
.LBB401_953:
	s_mov_b32 s7, -1
                                        ; implicit-def: $vgpr6
.LBB401_954:
	s_delay_alu instid0(SALU_CYCLE_1)
	s_and_not1_b32 vcc_lo, exec_lo, s7
	s_cbranch_vccnz .LBB401_956
; %bb.955:
	global_load_u8 v1, v[1:2], off
	s_waitcnt vmcnt(0)
	v_cvt_f32_ubyte0_e32 v6, v1
.LBB401_956:
	s_or_b32 s2, s2, exec_lo
.LBB401_957:
	s_or_b32 exec_lo, exec_lo, s6
	s_mov_b32 s8, 0
	s_mov_b32 s7, 0
                                        ; implicit-def: $vgpr5
                                        ; implicit-def: $vgpr1_vgpr2
                                        ; implicit-def: $vgpr3
	s_and_saveexec_b32 s6, s2
	s_cbranch_execz .LBB401_1034
; %bb.958:
	v_max_f32_e64 v1, s18, s18
	s_waitcnt vmcnt(0)
	s_delay_alu instid0(VALU_DEP_2) | instskip(SKIP_2) | instid1(VALU_DEP_3)
	v_max_f32_e32 v2, v6, v6
	v_and_b32_e64 v5, 0xff, s19
	v_cmp_u_f32_e64 s2, v6, v6
	v_max_f32_e32 v1, v2, v1
	s_delay_alu instid0(VALU_DEP_3) | instskip(NEXT) | instid1(VALU_DEP_2)
	v_cmp_gt_i16_e32 vcc_lo, 11, v5
	v_cndmask_b32_e64 v3, v1, v6, s2
	v_add_co_u32 v1, s2, s4, v0
	s_delay_alu instid0(VALU_DEP_1)
	v_add_co_ci_u32_e64 v2, null, s5, 0, s2
	s_mov_b32 s4, -1
	s_mov_b32 s2, s36
	s_cbranch_vccnz .LBB401_1033
; %bb.959:
	v_cmp_lt_i16_e32 vcc_lo, 25, v5
	s_mov_b32 s2, s36
	s_cbranch_vccz .LBB401_992
; %bb.960:
	v_cmp_lt_i16_e32 vcc_lo, 28, v5
	s_mov_b32 s2, s36
	s_cbranch_vccz .LBB401_976
; %bb.961:
	v_cmp_lt_i16_e32 vcc_lo, 43, v5
	s_mov_b32 s2, s36
	s_cbranch_vccz .LBB401_972
; %bb.962:
	v_cmp_lt_i16_e32 vcc_lo, 45, v5
	s_mov_b32 s2, s36
	s_cbranch_vccz .LBB401_966
; %bb.963:
	v_cmp_eq_u16_e32 vcc_lo, 46, v5
	s_mov_b32 s2, -1
	s_cbranch_vccz .LBB401_965
; %bb.964:
	v_bfe_u32 v0, v3, 16, 1
	v_cmp_o_f32_e32 vcc_lo, v3, v3
	s_mov_b32 s2, 0
	s_delay_alu instid0(VALU_DEP_2) | instskip(NEXT) | instid1(VALU_DEP_1)
	v_add3_u32 v0, v3, v0, 0x7fff
	v_lshrrev_b32_e32 v0, 16, v0
	s_delay_alu instid0(VALU_DEP_1)
	v_cndmask_b32_e32 v0, 0x7fc0, v0, vcc_lo
	global_store_b32 v[1:2], v0, off
.LBB401_965:
	s_mov_b32 s4, 0
.LBB401_966:
	s_delay_alu instid0(SALU_CYCLE_1)
	s_and_b32 vcc_lo, exec_lo, s4
	s_cbranch_vccz .LBB401_971
; %bb.967:
	v_cmp_eq_u16_e32 vcc_lo, 44, v5
	s_mov_b32 s2, -1
	s_cbranch_vccz .LBB401_971
; %bb.968:
	v_bfe_u32 v4, v3, 23, 8
	v_mov_b32_e32 v0, 0xff
	s_mov_b32 s4, exec_lo
	s_delay_alu instid0(VALU_DEP_2)
	v_cmpx_ne_u32_e32 0xff, v4
; %bb.969:
	v_and_b32_e32 v0, 0x400000, v3
	v_and_or_b32 v4, 0x3fffff, v3, v4
	s_delay_alu instid0(VALU_DEP_2) | instskip(NEXT) | instid1(VALU_DEP_2)
	v_cmp_ne_u32_e32 vcc_lo, 0, v0
	v_cmp_ne_u32_e64 s2, 0, v4
	v_lshrrev_b32_e32 v0, 23, v3
	s_delay_alu instid0(VALU_DEP_2) | instskip(NEXT) | instid1(SALU_CYCLE_1)
	s_and_b32 s2, vcc_lo, s2
	v_cndmask_b32_e64 v4, 0, 1, s2
	s_delay_alu instid0(VALU_DEP_1)
	v_add_nc_u32_e32 v0, v0, v4
; %bb.970:
	s_or_b32 exec_lo, exec_lo, s4
	s_mov_b32 s2, 0
	global_store_b8 v[1:2], v0, off
.LBB401_971:
	s_mov_b32 s4, 0
.LBB401_972:
	s_delay_alu instid0(SALU_CYCLE_1)
	s_and_b32 vcc_lo, exec_lo, s4
	s_cbranch_vccz .LBB401_975
; %bb.973:
	v_cmp_eq_u16_e32 vcc_lo, 29, v5
	s_mov_b32 s2, -1
	s_cbranch_vccz .LBB401_975
; %bb.974:
	v_trunc_f32_e32 v0, v3
	s_mov_b32 s2, 0
	s_delay_alu instid0(VALU_DEP_1) | instskip(NEXT) | instid1(VALU_DEP_1)
	v_mul_f32_e32 v4, 0x2f800000, v0
	v_floor_f32_e32 v4, v4
	s_delay_alu instid0(VALU_DEP_1) | instskip(SKIP_1) | instid1(VALU_DEP_2)
	v_fmamk_f32 v0, v4, 0xcf800000, v0
	v_cvt_u32_f32_e32 v7, v4
	v_cvt_u32_f32_e32 v6, v0
	global_store_b64 v[1:2], v[6:7], off
.LBB401_975:
	s_mov_b32 s4, 0
.LBB401_976:
	s_delay_alu instid0(SALU_CYCLE_1)
	s_and_b32 vcc_lo, exec_lo, s4
	s_cbranch_vccz .LBB401_991
; %bb.977:
	v_cmp_gt_i16_e32 vcc_lo, 27, v5
	s_mov_b32 s4, -1
	s_cbranch_vccnz .LBB401_983
; %bb.978:
	v_cmp_lt_i16_e32 vcc_lo, 27, v5
	v_cvt_u32_f32_e32 v0, v3
	s_cbranch_vccz .LBB401_980
; %bb.979:
	s_mov_b32 s4, 0
	global_store_b32 v[1:2], v0, off
.LBB401_980:
	s_and_not1_b32 vcc_lo, exec_lo, s4
	s_cbranch_vccnz .LBB401_982
; %bb.981:
	global_store_b16 v[1:2], v0, off
.LBB401_982:
	s_mov_b32 s4, 0
.LBB401_983:
	s_delay_alu instid0(SALU_CYCLE_1)
	s_and_not1_b32 vcc_lo, exec_lo, s4
	s_cbranch_vccnz .LBB401_991
; %bb.984:
	v_and_b32_e32 v0, 0x7fffffff, v3
	v_mov_b32_e32 v4, 0x80
	s_mov_b32 s4, exec_lo
	s_delay_alu instid0(VALU_DEP_2)
	v_cmpx_gt_u32_e32 0x43800000, v0
	s_cbranch_execz .LBB401_990
; %bb.985:
	v_cmp_lt_u32_e32 vcc_lo, 0x3bffffff, v0
	s_mov_b32 s5, 0
                                        ; implicit-def: $vgpr0
	s_and_saveexec_b32 s7, vcc_lo
	s_delay_alu instid0(SALU_CYCLE_1)
	s_xor_b32 s7, exec_lo, s7
	s_cbranch_execz .LBB401_1279
; %bb.986:
	v_bfe_u32 v0, v3, 20, 1
	s_mov_b32 s5, exec_lo
	s_delay_alu instid0(VALU_DEP_1) | instskip(NEXT) | instid1(VALU_DEP_1)
	v_add3_u32 v0, v3, v0, 0x487ffff
	v_lshrrev_b32_e32 v0, 20, v0
	s_or_saveexec_b32 s7, s7
                                        ; implicit-def: $sgpr8
	s_delay_alu instid0(SALU_CYCLE_1)
	s_xor_b32 exec_lo, exec_lo, s7
	s_cbranch_execnz .LBB401_1280
.LBB401_987:
	s_or_b32 exec_lo, exec_lo, s7
	v_mov_b32_e32 v4, s8
	s_and_saveexec_b32 s7, s5
.LBB401_988:
	v_lshrrev_b32_e32 v4, 24, v3
	s_delay_alu instid0(VALU_DEP_1)
	v_and_or_b32 v4, 0x80, v4, v0
.LBB401_989:
	s_or_b32 exec_lo, exec_lo, s7
.LBB401_990:
	s_delay_alu instid0(SALU_CYCLE_1)
	s_or_b32 exec_lo, exec_lo, s4
	global_store_b8 v[1:2], v4, off
.LBB401_991:
	s_mov_b32 s4, 0
.LBB401_992:
	s_delay_alu instid0(SALU_CYCLE_1)
	s_and_b32 vcc_lo, exec_lo, s4
	s_mov_b32 s4, 0
	s_cbranch_vccz .LBB401_1032
; %bb.993:
	v_cmp_lt_i16_e32 vcc_lo, 22, v5
	s_mov_b32 s5, -1
	s_cbranch_vccz .LBB401_1025
; %bb.994:
	v_cmp_gt_i16_e32 vcc_lo, 24, v5
	s_cbranch_vccnz .LBB401_1014
; %bb.995:
	v_cmp_lt_i16_e32 vcc_lo, 24, v5
	s_cbranch_vccz .LBB401_1003
; %bb.996:
	v_and_b32_e32 v0, 0x7fffffff, v3
	v_mov_b32_e32 v4, 0x80
	s_mov_b32 s5, exec_lo
	s_delay_alu instid0(VALU_DEP_2)
	v_cmpx_gt_u32_e32 0x47800000, v0
	s_cbranch_execz .LBB401_1002
; %bb.997:
	v_cmp_lt_u32_e32 vcc_lo, 0x37ffffff, v0
	s_mov_b32 s7, 0
                                        ; implicit-def: $vgpr0
	s_and_saveexec_b32 s8, vcc_lo
	s_delay_alu instid0(SALU_CYCLE_1)
	s_xor_b32 s8, exec_lo, s8
	s_cbranch_execz .LBB401_1323
; %bb.998:
	v_bfe_u32 v0, v3, 21, 1
	s_mov_b32 s7, exec_lo
	s_delay_alu instid0(VALU_DEP_1) | instskip(NEXT) | instid1(VALU_DEP_1)
	v_add3_u32 v0, v3, v0, 0x88fffff
	v_lshrrev_b32_e32 v0, 21, v0
	s_or_saveexec_b32 s8, s8
                                        ; implicit-def: $sgpr9
	s_delay_alu instid0(SALU_CYCLE_1)
	s_xor_b32 exec_lo, exec_lo, s8
	s_cbranch_execnz .LBB401_1324
.LBB401_999:
	s_or_b32 exec_lo, exec_lo, s8
	v_mov_b32_e32 v4, s9
	s_and_saveexec_b32 s8, s7
.LBB401_1000:
	v_lshrrev_b32_e32 v4, 24, v3
	s_delay_alu instid0(VALU_DEP_1)
	v_and_or_b32 v4, 0x80, v4, v0
.LBB401_1001:
	s_or_b32 exec_lo, exec_lo, s8
.LBB401_1002:
	s_delay_alu instid0(SALU_CYCLE_1)
	s_or_b32 exec_lo, exec_lo, s5
	s_mov_b32 s5, 0
	global_store_b8 v[1:2], v4, off
.LBB401_1003:
	s_and_b32 vcc_lo, exec_lo, s5
	s_cbranch_vccz .LBB401_1013
; %bb.1004:
	v_and_b32_e32 v4, 0x7fffffff, v3
	s_mov_b32 s5, exec_lo
                                        ; implicit-def: $vgpr0
	s_delay_alu instid0(VALU_DEP_1)
	v_cmpx_gt_u32_e32 0x43f00000, v4
	s_xor_b32 s5, exec_lo, s5
	s_cbranch_execz .LBB401_1010
; %bb.1005:
	s_mov_b32 s7, exec_lo
                                        ; implicit-def: $vgpr0
	v_cmpx_lt_u32_e32 0x3c7fffff, v4
	s_xor_b32 s7, exec_lo, s7
; %bb.1006:
	v_bfe_u32 v0, v3, 20, 1
	s_delay_alu instid0(VALU_DEP_1) | instskip(NEXT) | instid1(VALU_DEP_1)
	v_add3_u32 v0, v3, v0, 0x407ffff
	v_and_b32_e32 v4, 0xff00000, v0
	v_lshrrev_b32_e32 v0, 20, v0
	s_delay_alu instid0(VALU_DEP_2) | instskip(NEXT) | instid1(VALU_DEP_2)
	v_cmp_ne_u32_e32 vcc_lo, 0x7f00000, v4
	v_cndmask_b32_e32 v0, 0x7e, v0, vcc_lo
; %bb.1007:
	s_and_not1_saveexec_b32 s7, s7
; %bb.1008:
	v_add_f32_e64 v0, 0x46800000, |v3|
; %bb.1009:
	s_or_b32 exec_lo, exec_lo, s7
                                        ; implicit-def: $vgpr4
.LBB401_1010:
	s_and_not1_saveexec_b32 s5, s5
; %bb.1011:
	v_mov_b32_e32 v0, 0x7f
	v_cmp_lt_u32_e32 vcc_lo, 0x7f800000, v4
	s_delay_alu instid0(VALU_DEP_2)
	v_cndmask_b32_e32 v0, 0x7e, v0, vcc_lo
; %bb.1012:
	s_or_b32 exec_lo, exec_lo, s5
	v_lshrrev_b32_e32 v4, 24, v3
	s_delay_alu instid0(VALU_DEP_1)
	v_and_or_b32 v0, 0x80, v4, v0
	global_store_b8 v[1:2], v0, off
.LBB401_1013:
	s_mov_b32 s5, 0
.LBB401_1014:
	s_delay_alu instid0(SALU_CYCLE_1)
	s_and_not1_b32 vcc_lo, exec_lo, s5
	s_cbranch_vccnz .LBB401_1024
; %bb.1015:
	v_and_b32_e32 v4, 0x7fffffff, v3
	s_mov_b32 s5, exec_lo
                                        ; implicit-def: $vgpr0
	s_delay_alu instid0(VALU_DEP_1)
	v_cmpx_gt_u32_e32 0x47800000, v4
	s_xor_b32 s5, exec_lo, s5
	s_cbranch_execz .LBB401_1021
; %bb.1016:
	s_mov_b32 s7, exec_lo
                                        ; implicit-def: $vgpr0
	v_cmpx_lt_u32_e32 0x387fffff, v4
	s_xor_b32 s7, exec_lo, s7
; %bb.1017:
	v_bfe_u32 v0, v3, 21, 1
	s_delay_alu instid0(VALU_DEP_1) | instskip(NEXT) | instid1(VALU_DEP_1)
	v_add3_u32 v0, v3, v0, 0x80fffff
	v_lshrrev_b32_e32 v0, 21, v0
; %bb.1018:
	s_and_not1_saveexec_b32 s7, s7
; %bb.1019:
	v_add_f32_e64 v0, 0x43000000, |v3|
; %bb.1020:
	s_or_b32 exec_lo, exec_lo, s7
                                        ; implicit-def: $vgpr4
.LBB401_1021:
	s_and_not1_saveexec_b32 s5, s5
; %bb.1022:
	v_mov_b32_e32 v0, 0x7f
	v_cmp_lt_u32_e32 vcc_lo, 0x7f800000, v4
	s_delay_alu instid0(VALU_DEP_2)
	v_cndmask_b32_e32 v0, 0x7c, v0, vcc_lo
; %bb.1023:
	s_or_b32 exec_lo, exec_lo, s5
	v_lshrrev_b32_e32 v4, 24, v3
	s_delay_alu instid0(VALU_DEP_1)
	v_and_or_b32 v0, 0x80, v4, v0
	global_store_b8 v[1:2], v0, off
.LBB401_1024:
	s_mov_b32 s5, 0
.LBB401_1025:
	s_delay_alu instid0(SALU_CYCLE_1)
	s_and_not1_b32 vcc_lo, exec_lo, s5
	s_mov_b32 s8, 0
	s_cbranch_vccnz .LBB401_1033
; %bb.1026:
	v_cmp_lt_i16_e32 vcc_lo, 14, v5
	s_mov_b32 s5, -1
	s_cbranch_vccz .LBB401_1030
; %bb.1027:
	v_cmp_eq_u16_e32 vcc_lo, 15, v5
	s_mov_b32 s2, -1
	s_cbranch_vccz .LBB401_1029
; %bb.1028:
	v_bfe_u32 v0, v3, 16, 1
	v_cmp_o_f32_e32 vcc_lo, v3, v3
	s_mov_b32 s2, 0
	s_delay_alu instid0(VALU_DEP_2) | instskip(NEXT) | instid1(VALU_DEP_1)
	v_add3_u32 v0, v3, v0, 0x7fff
	v_lshrrev_b32_e32 v0, 16, v0
	s_delay_alu instid0(VALU_DEP_1)
	v_cndmask_b32_e32 v0, 0x7fc0, v0, vcc_lo
	global_store_b16 v[1:2], v0, off
.LBB401_1029:
	s_mov_b32 s5, 0
.LBB401_1030:
	s_delay_alu instid0(SALU_CYCLE_1)
	s_and_b32 vcc_lo, exec_lo, s5
	s_cbranch_vccz .LBB401_1033
; %bb.1031:
	v_cmp_ne_u16_e32 vcc_lo, 11, v5
	s_and_not1_b32 s2, s2, exec_lo
	s_mov_b32 s8, -1
	s_and_b32 s5, vcc_lo, exec_lo
	s_delay_alu instid0(SALU_CYCLE_1)
	s_or_b32 s2, s2, s5
	s_branch .LBB401_1033
.LBB401_1032:
	s_mov_b32 s8, 0
.LBB401_1033:
	s_and_b32 s7, s4, exec_lo
	s_and_not1_b32 s4, s36, exec_lo
	s_and_b32 s2, s2, exec_lo
	s_and_b32 s8, s8, exec_lo
	s_or_b32 s36, s4, s2
.LBB401_1034:
	s_or_b32 exec_lo, exec_lo, s6
	s_and_saveexec_b32 s2, s36
	s_cbranch_execnz .LBB401_1148
; %bb.1035:
	s_or_b32 exec_lo, exec_lo, s2
	s_and_saveexec_b32 s2, s8
	s_delay_alu instid0(SALU_CYCLE_1)
	s_xor_b32 s2, exec_lo, s2
	s_cbranch_execz .LBB401_1037
.LBB401_1036:
	s_waitcnt vmcnt(0)
	v_cmp_neq_f32_e32 vcc_lo, 0, v3
	v_cndmask_b32_e64 v0, 0, 1, vcc_lo
	global_store_b8 v[1:2], v0, off
.LBB401_1037:
	s_or_b32 exec_lo, exec_lo, s2
	s_and_saveexec_b32 s2, s7
	s_delay_alu instid0(SALU_CYCLE_1)
	s_xor_b32 s2, exec_lo, s2
	s_cbranch_execz .LBB401_1075
; %bb.1038:
	v_cmp_gt_i16_e32 vcc_lo, 5, v5
	s_mov_b32 s4, -1
	s_cbranch_vccnz .LBB401_1059
; %bb.1039:
	v_cmp_gt_i16_e32 vcc_lo, 8, v5
	s_cbranch_vccnz .LBB401_1049
; %bb.1040:
	v_cmp_gt_i16_e32 vcc_lo, 9, v5
	s_cbranch_vccnz .LBB401_1046
; %bb.1041:
	v_cmp_lt_i16_e32 vcc_lo, 9, v5
	s_cbranch_vccz .LBB401_1043
; %bb.1042:
	s_waitcnt vmcnt(0)
	v_cvt_f64_f32_e32 v[6:7], v3
	v_mov_b32_e32 v8, 0
	s_mov_b32 s4, 0
	s_delay_alu instid0(VALU_DEP_1)
	v_mov_b32_e32 v9, v8
	global_store_b128 v[1:2], v[6:9], off
.LBB401_1043:
	s_and_not1_b32 vcc_lo, exec_lo, s4
	s_cbranch_vccnz .LBB401_1045
; %bb.1044:
	v_mov_b32_e32 v4, 0
	s_waitcnt vmcnt(0)
	global_store_b64 v[1:2], v[3:4], off
.LBB401_1045:
	s_mov_b32 s4, 0
.LBB401_1046:
	s_delay_alu instid0(SALU_CYCLE_1)
	s_and_not1_b32 vcc_lo, exec_lo, s4
	s_cbranch_vccnz .LBB401_1048
; %bb.1047:
	s_waitcnt vmcnt(0)
	v_cvt_f16_f32_e32 v0, v3
	s_delay_alu instid0(VALU_DEP_1)
	v_and_b32_e32 v0, 0xffff, v0
	global_store_b32 v[1:2], v0, off
.LBB401_1048:
	s_mov_b32 s4, 0
.LBB401_1049:
	s_delay_alu instid0(SALU_CYCLE_1)
	s_and_not1_b32 vcc_lo, exec_lo, s4
	s_cbranch_vccnz .LBB401_1058
; %bb.1050:
	v_cmp_gt_i16_e32 vcc_lo, 6, v5
	s_mov_b32 s4, -1
	s_cbranch_vccnz .LBB401_1056
; %bb.1051:
	v_cmp_lt_i16_e32 vcc_lo, 6, v5
	s_cbranch_vccz .LBB401_1053
; %bb.1052:
	s_waitcnt vmcnt(0)
	v_cvt_f64_f32_e32 v[6:7], v3
	s_mov_b32 s4, 0
	global_store_b64 v[1:2], v[6:7], off
.LBB401_1053:
	s_and_not1_b32 vcc_lo, exec_lo, s4
	s_cbranch_vccnz .LBB401_1055
; %bb.1054:
	s_waitcnt vmcnt(0)
	global_store_b32 v[1:2], v3, off
.LBB401_1055:
	s_mov_b32 s4, 0
.LBB401_1056:
	s_delay_alu instid0(SALU_CYCLE_1)
	s_and_not1_b32 vcc_lo, exec_lo, s4
	s_cbranch_vccnz .LBB401_1058
; %bb.1057:
	s_waitcnt vmcnt(0)
	v_cvt_f16_f32_e32 v0, v3
	global_store_b16 v[1:2], v0, off
.LBB401_1058:
	s_mov_b32 s4, 0
.LBB401_1059:
	s_delay_alu instid0(SALU_CYCLE_1)
	s_and_not1_b32 vcc_lo, exec_lo, s4
	s_cbranch_vccnz .LBB401_1075
; %bb.1060:
	v_cmp_gt_i16_e32 vcc_lo, 2, v5
	s_mov_b32 s4, -1
	s_cbranch_vccnz .LBB401_1070
; %bb.1061:
	v_cmp_gt_i16_e32 vcc_lo, 3, v5
	s_cbranch_vccnz .LBB401_1067
; %bb.1062:
	v_cmp_lt_i16_e32 vcc_lo, 3, v5
	s_cbranch_vccz .LBB401_1064
; %bb.1063:
	s_waitcnt vmcnt(0)
	v_trunc_f32_e32 v0, v3
	s_mov_b32 s4, 0
	s_delay_alu instid0(VALU_DEP_1) | instskip(NEXT) | instid1(VALU_DEP_1)
	v_mul_f32_e64 v4, 0x2f800000, |v0|
	v_floor_f32_e32 v4, v4
	s_delay_alu instid0(VALU_DEP_1) | instskip(SKIP_2) | instid1(VALU_DEP_3)
	v_fma_f32 v6, 0xcf800000, v4, |v0|
	v_ashrrev_i32_e32 v0, 31, v0
	v_cvt_u32_f32_e32 v4, v4
	v_cvt_u32_f32_e32 v6, v6
	s_delay_alu instid0(VALU_DEP_2) | instskip(NEXT) | instid1(VALU_DEP_2)
	v_xor_b32_e32 v4, v4, v0
	v_xor_b32_e32 v6, v6, v0
	s_delay_alu instid0(VALU_DEP_1) | instskip(NEXT) | instid1(VALU_DEP_3)
	v_sub_co_u32 v6, vcc_lo, v6, v0
	v_sub_co_ci_u32_e32 v7, vcc_lo, v4, v0, vcc_lo
	global_store_b64 v[1:2], v[6:7], off
.LBB401_1064:
	s_and_not1_b32 vcc_lo, exec_lo, s4
	s_cbranch_vccnz .LBB401_1066
; %bb.1065:
	s_waitcnt vmcnt(0)
	v_cvt_i32_f32_e32 v0, v3
	global_store_b32 v[1:2], v0, off
.LBB401_1066:
	s_mov_b32 s4, 0
.LBB401_1067:
	s_delay_alu instid0(SALU_CYCLE_1)
	s_and_not1_b32 vcc_lo, exec_lo, s4
	s_cbranch_vccnz .LBB401_1069
; %bb.1068:
	s_waitcnt vmcnt(0)
	v_cvt_i32_f32_e32 v0, v3
	global_store_b16 v[1:2], v0, off
.LBB401_1069:
	s_mov_b32 s4, 0
.LBB401_1070:
	s_delay_alu instid0(SALU_CYCLE_1)
	s_and_not1_b32 vcc_lo, exec_lo, s4
	s_cbranch_vccnz .LBB401_1075
; %bb.1071:
	v_cmp_lt_i16_e32 vcc_lo, 0, v5
	s_mov_b32 s4, -1
	s_cbranch_vccz .LBB401_1073
; %bb.1072:
	s_waitcnt vmcnt(0)
	v_cvt_i32_f32_e32 v0, v3
	s_mov_b32 s4, 0
	global_store_b8 v[1:2], v0, off
.LBB401_1073:
	s_and_not1_b32 vcc_lo, exec_lo, s4
	s_cbranch_vccnz .LBB401_1075
; %bb.1074:
	s_waitcnt vmcnt(0)
	v_trunc_f32_e32 v0, v3
	s_delay_alu instid0(VALU_DEP_1) | instskip(NEXT) | instid1(VALU_DEP_1)
	v_mul_f32_e64 v3, 0x2f800000, |v0|
	v_floor_f32_e32 v3, v3
	s_delay_alu instid0(VALU_DEP_1) | instskip(SKIP_1) | instid1(VALU_DEP_2)
	v_fma_f32 v3, 0xcf800000, v3, |v0|
	v_ashrrev_i32_e32 v0, 31, v0
	v_cvt_u32_f32_e32 v3, v3
	s_delay_alu instid0(VALU_DEP_1) | instskip(NEXT) | instid1(VALU_DEP_1)
	v_xor_b32_e32 v3, v3, v0
	v_sub_nc_u32_e32 v0, v3, v0
	global_store_b8 v[1:2], v0, off
.LBB401_1075:
	s_or_b32 exec_lo, exec_lo, s2
	s_delay_alu instid0(SALU_CYCLE_1)
	s_and_b32 s8, s3, exec_lo
                                        ; implicit-def: $vgpr8
                                        ; implicit-def: $vgpr5
.LBB401_1076:
	s_or_saveexec_b32 s9, s30
	s_mov_b32 s4, 0
                                        ; implicit-def: $vgpr0_vgpr1
                                        ; implicit-def: $sgpr2
                                        ; implicit-def: $vgpr2
	s_xor_b32 exec_lo, exec_lo, s9
	s_cbranch_execz .LBB401_2051
; %bb.1077:
	v_cndmask_b32_e64 v0, 0, 1, s29
	s_and_not1_b32 vcc_lo, exec_lo, s29
	s_cbranch_vccnz .LBB401_1083
; %bb.1078:
	s_waitcnt vmcnt(0)
	v_mov_b32_e32 v3, 0
	v_mov_b32_e32 v7, 0
	s_cmp_lg_u32 s26, 0
	s_mov_b32 s6, 0
	s_cbranch_scc0 .LBB401_1087
; %bb.1079:
	s_min_u32 s7, s27, 15
	v_mov_b32_e32 v3, 0
	s_add_i32 s7, s7, 1
	s_cmp_eq_u32 s27, 2
	s_mov_b32 s10, 0
	s_cbranch_scc1 .LBB401_1084
; %bb.1080:
	v_mov_b32_e32 v7, 0
	v_mov_b32_e32 v3, 0
	;; [unrolled: 1-line block ×3, first 2 shown]
	s_add_u32 s2, s16, 0xc4
	s_addc_u32 s3, s17, 0
	s_and_b32 s10, s7, 28
	s_mov_b32 s11, 0
	s_mov_b64 s[4:5], s[16:17]
.LBB401_1081:                           ; =>This Inner Loop Header: Depth=1
	s_clause 0x1
	s_load_b256 s[36:43], s[4:5], 0x4
	s_load_b128 s[12:15], s[4:5], 0x24
	s_load_b256 s[44:51], s[2:3], 0x0
	s_add_u32 s4, s4, 48
	s_addc_u32 s5, s5, 0
	s_add_i32 s11, s11, 4
	s_add_u32 s2, s2, 32
	s_addc_u32 s3, s3, 0
	s_cmp_lg_u32 s10, s11
	s_waitcnt lgkmcnt(0)
	v_mul_hi_u32 v2, s37, v1
	s_delay_alu instid0(VALU_DEP_1) | instskip(NEXT) | instid1(VALU_DEP_1)
	v_add_nc_u32_e32 v2, v1, v2
	v_lshrrev_b32_e32 v2, s38, v2
	s_delay_alu instid0(VALU_DEP_1) | instskip(SKIP_1) | instid1(VALU_DEP_2)
	v_mul_hi_u32 v4, s40, v2
	v_mul_lo_u32 v9, v2, s36
	v_add_nc_u32_e32 v4, v2, v4
	s_delay_alu instid0(VALU_DEP_2) | instskip(NEXT) | instid1(VALU_DEP_2)
	v_sub_nc_u32_e32 v1, v1, v9
	v_lshrrev_b32_e32 v4, s41, v4
	s_delay_alu instid0(VALU_DEP_2) | instskip(SKIP_1) | instid1(VALU_DEP_3)
	v_mul_lo_u32 v9, v1, s44
	v_mul_lo_u32 v11, v1, s45
	v_mul_hi_u32 v6, s43, v4
	s_delay_alu instid0(VALU_DEP_1) | instskip(NEXT) | instid1(VALU_DEP_1)
	v_add_nc_u32_e32 v6, v4, v6
	v_lshrrev_b32_e32 v6, s12, v6
	s_delay_alu instid0(VALU_DEP_1) | instskip(SKIP_1) | instid1(VALU_DEP_2)
	v_mul_hi_u32 v10, s14, v6
	v_mul_lo_u32 v12, v6, s42
	v_add_nc_u32_e32 v1, v6, v10
	v_mul_lo_u32 v10, v4, s39
	s_delay_alu instid0(VALU_DEP_3) | instskip(NEXT) | instid1(VALU_DEP_3)
	v_sub_nc_u32_e32 v4, v4, v12
	v_lshrrev_b32_e32 v1, s15, v1
	s_delay_alu instid0(VALU_DEP_2) | instskip(SKIP_2) | instid1(VALU_DEP_4)
	v_mul_lo_u32 v12, v4, s48
	v_mul_lo_u32 v4, v4, s49
	v_sub_nc_u32_e32 v2, v2, v10
	v_mul_lo_u32 v13, v1, s13
	s_delay_alu instid0(VALU_DEP_2) | instskip(SKIP_1) | instid1(VALU_DEP_3)
	v_mul_lo_u32 v10, v2, s46
	v_mul_lo_u32 v2, v2, s47
	v_sub_nc_u32_e32 v6, v6, v13
	s_delay_alu instid0(VALU_DEP_3) | instskip(NEXT) | instid1(VALU_DEP_2)
	v_add3_u32 v3, v9, v3, v10
	v_mul_lo_u32 v13, v6, s50
	v_mul_lo_u32 v6, v6, s51
	v_add3_u32 v2, v11, v7, v2
	s_delay_alu instid0(VALU_DEP_3) | instskip(NEXT) | instid1(VALU_DEP_2)
	v_add3_u32 v3, v12, v3, v13
	v_add3_u32 v7, v4, v2, v6
	s_cbranch_scc1 .LBB401_1081
; %bb.1082:
	s_and_b32 s7, s7, 3
	s_delay_alu instid0(SALU_CYCLE_1)
	s_cmp_eq_u32 s7, 0
	s_cbranch_scc0 .LBB401_1085
	s_branch .LBB401_1087
.LBB401_1083:
	s_mov_b32 s6, -1
                                        ; implicit-def: $vgpr3
                                        ; implicit-def: $vgpr7
	s_branch .LBB401_1087
.LBB401_1084:
	v_mov_b32_e32 v1, v5
	v_mov_b32_e32 v7, 0
	s_and_b32 s7, s7, 3
	s_delay_alu instid0(SALU_CYCLE_1)
	s_cmp_eq_u32 s7, 0
	s_cbranch_scc1 .LBB401_1087
.LBB401_1085:
	s_lshl_b32 s2, s10, 3
	s_mul_i32 s4, s10, 12
	s_add_u32 s2, s2, s16
	s_addc_u32 s3, 0, s17
	s_add_u32 s2, s2, 0xc4
	s_addc_u32 s3, s3, 0
	;; [unrolled: 2-line block ×3, first 2 shown]
	.p2align	6
.LBB401_1086:                           ; =>This Inner Loop Header: Depth=1
	s_clause 0x1
	s_load_b64 s[10:11], s[4:5], 0x4
	s_load_b32 s14, s[4:5], 0xc
	s_load_b64 s[12:13], s[2:3], 0x0
	s_add_u32 s4, s4, 12
	s_addc_u32 s5, s5, 0
	s_add_u32 s2, s2, 8
	s_addc_u32 s3, s3, 0
	s_add_i32 s7, s7, -1
	s_delay_alu instid0(SALU_CYCLE_1) | instskip(SKIP_2) | instid1(VALU_DEP_1)
	s_cmp_lg_u32 s7, 0
	s_waitcnt lgkmcnt(0)
	v_mul_hi_u32 v2, s11, v1
	v_add_nc_u32_e32 v2, v1, v2
	s_delay_alu instid0(VALU_DEP_1) | instskip(NEXT) | instid1(VALU_DEP_1)
	v_lshrrev_b32_e32 v4, s14, v2
	v_mul_lo_u32 v2, v4, s10
	s_delay_alu instid0(VALU_DEP_1) | instskip(NEXT) | instid1(VALU_DEP_1)
	v_sub_nc_u32_e32 v1, v1, v2
	v_mad_u64_u32 v[9:10], null, v1, s12, v[3:4]
	v_mad_u64_u32 v[2:3], null, v1, s13, v[7:8]
	v_mov_b32_e32 v1, v4
	s_delay_alu instid0(VALU_DEP_3) | instskip(NEXT) | instid1(VALU_DEP_3)
	v_mov_b32_e32 v3, v9
	v_mov_b32_e32 v7, v2
	s_cbranch_scc1 .LBB401_1086
.LBB401_1087:
	s_and_not1_b32 vcc_lo, exec_lo, s6
	s_cbranch_vccnz .LBB401_1090
; %bb.1088:
	s_clause 0x1
	s_load_b128 s[4:7], s[16:17], 0x4
	s_load_b64 s[2:3], s[16:17], 0xc4
	s_cmp_lt_u32 s26, 2
	s_waitcnt lgkmcnt(0)
	v_mul_hi_u32 v1, s5, v5
	s_delay_alu instid0(VALU_DEP_1) | instskip(NEXT) | instid1(VALU_DEP_1)
	v_add_nc_u32_e32 v1, v5, v1
	v_lshrrev_b32_e32 v1, s6, v1
	s_delay_alu instid0(VALU_DEP_1) | instskip(NEXT) | instid1(VALU_DEP_1)
	v_mul_lo_u32 v2, v1, s4
	v_sub_nc_u32_e32 v2, v5, v2
	s_waitcnt vmcnt(0)
	s_delay_alu instid0(VALU_DEP_1)
	v_mul_lo_u32 v3, v2, s2
	v_mul_lo_u32 v7, v2, s3
	s_cbranch_scc1 .LBB401_1090
; %bb.1089:
	s_clause 0x1
	s_load_b128 s[4:7], s[16:17], 0x10
	s_load_b64 s[2:3], s[16:17], 0xcc
	s_waitcnt lgkmcnt(0)
	v_mul_hi_u32 v2, s5, v1
	s_delay_alu instid0(VALU_DEP_1) | instskip(NEXT) | instid1(VALU_DEP_1)
	v_add_nc_u32_e32 v2, v1, v2
	v_lshrrev_b32_e32 v2, s6, v2
	s_delay_alu instid0(VALU_DEP_1) | instskip(NEXT) | instid1(VALU_DEP_1)
	v_mul_lo_u32 v2, v2, s4
	v_sub_nc_u32_e32 v4, v1, v2
	s_delay_alu instid0(VALU_DEP_1) | instskip(SKIP_1) | instid1(VALU_DEP_2)
	v_mad_u64_u32 v[1:2], null, v4, s2, v[3:4]
	v_mad_u64_u32 v[2:3], null, v4, s3, v[7:8]
	v_mov_b32_e32 v3, v1
	s_delay_alu instid0(VALU_DEP_2)
	v_mov_b32_e32 v7, v2
.LBB401_1090:
	v_cmp_ne_u32_e32 vcc_lo, 1, v0
	v_add_nc_u32_e32 v1, 0x80, v5
	s_cbranch_vccnz .LBB401_1096
; %bb.1091:
	v_mov_b32_e32 v2, 0
	s_waitcnt vmcnt(0)
	v_mov_b32_e32 v6, 0
	s_cmp_lg_u32 s26, 0
	s_mov_b32 s6, 0
	s_cbranch_scc0 .LBB401_1100
; %bb.1092:
	s_min_u32 s7, s27, 15
	v_mov_b32_e32 v2, 0
	s_add_i32 s7, s7, 1
	s_cmp_eq_u32 s27, 2
	s_mov_b32 s10, 0
	s_cbranch_scc1 .LBB401_1097
; %bb.1093:
	v_mov_b32_e32 v6, 0
	v_mov_b32_e32 v2, 0
	;; [unrolled: 1-line block ×3, first 2 shown]
	s_add_u32 s2, s16, 0xc4
	s_addc_u32 s3, s17, 0
	s_and_b32 s10, s7, 28
	s_mov_b32 s11, 0
	s_mov_b64 s[4:5], s[16:17]
.LBB401_1094:                           ; =>This Inner Loop Header: Depth=1
	s_clause 0x1
	s_load_b256 s[36:43], s[4:5], 0x4
	s_load_b128 s[12:15], s[4:5], 0x24
	s_load_b256 s[44:51], s[2:3], 0x0
	s_add_u32 s4, s4, 48
	s_addc_u32 s5, s5, 0
	s_add_i32 s11, s11, 4
	s_add_u32 s2, s2, 32
	s_addc_u32 s3, s3, 0
	s_cmp_lg_u32 s10, s11
	s_waitcnt lgkmcnt(0)
	v_mul_hi_u32 v9, s37, v4
	s_delay_alu instid0(VALU_DEP_1) | instskip(NEXT) | instid1(VALU_DEP_1)
	v_add_nc_u32_e32 v9, v4, v9
	v_lshrrev_b32_e32 v9, s38, v9
	s_delay_alu instid0(VALU_DEP_1) | instskip(SKIP_1) | instid1(VALU_DEP_2)
	v_mul_hi_u32 v10, s40, v9
	v_mul_lo_u32 v12, v9, s36
	v_add_nc_u32_e32 v10, v9, v10
	s_delay_alu instid0(VALU_DEP_2) | instskip(NEXT) | instid1(VALU_DEP_2)
	v_sub_nc_u32_e32 v4, v4, v12
	v_lshrrev_b32_e32 v10, s41, v10
	s_delay_alu instid0(VALU_DEP_2) | instskip(SKIP_1) | instid1(VALU_DEP_3)
	v_mul_lo_u32 v12, v4, s44
	v_mul_lo_u32 v14, v4, s45
	v_mul_hi_u32 v11, s43, v10
	s_delay_alu instid0(VALU_DEP_1) | instskip(NEXT) | instid1(VALU_DEP_1)
	v_add_nc_u32_e32 v11, v10, v11
	v_lshrrev_b32_e32 v11, s12, v11
	s_delay_alu instid0(VALU_DEP_1) | instskip(SKIP_1) | instid1(VALU_DEP_2)
	v_mul_hi_u32 v13, s14, v11
	v_mul_lo_u32 v15, v11, s42
	v_add_nc_u32_e32 v4, v11, v13
	v_mul_lo_u32 v13, v10, s39
	s_delay_alu instid0(VALU_DEP_3) | instskip(NEXT) | instid1(VALU_DEP_3)
	v_sub_nc_u32_e32 v10, v10, v15
	v_lshrrev_b32_e32 v4, s15, v4
	s_delay_alu instid0(VALU_DEP_2) | instskip(SKIP_2) | instid1(VALU_DEP_4)
	v_mul_lo_u32 v15, v10, s48
	v_mul_lo_u32 v10, v10, s49
	v_sub_nc_u32_e32 v9, v9, v13
	v_mul_lo_u32 v16, v4, s13
	s_delay_alu instid0(VALU_DEP_2) | instskip(SKIP_1) | instid1(VALU_DEP_3)
	v_mul_lo_u32 v13, v9, s46
	v_mul_lo_u32 v9, v9, s47
	v_sub_nc_u32_e32 v11, v11, v16
	s_delay_alu instid0(VALU_DEP_3) | instskip(NEXT) | instid1(VALU_DEP_2)
	v_add3_u32 v2, v12, v2, v13
	v_mul_lo_u32 v16, v11, s50
	v_mul_lo_u32 v11, v11, s51
	v_add3_u32 v6, v14, v6, v9
	s_delay_alu instid0(VALU_DEP_3) | instskip(NEXT) | instid1(VALU_DEP_2)
	v_add3_u32 v2, v15, v2, v16
	v_add3_u32 v6, v10, v6, v11
	s_cbranch_scc1 .LBB401_1094
; %bb.1095:
	s_and_b32 s7, s7, 3
	s_delay_alu instid0(SALU_CYCLE_1)
	s_cmp_eq_u32 s7, 0
	s_cbranch_scc0 .LBB401_1098
	s_branch .LBB401_1100
.LBB401_1096:
	s_mov_b32 s6, -1
                                        ; implicit-def: $vgpr2
                                        ; implicit-def: $vgpr6
	s_branch .LBB401_1100
.LBB401_1097:
	v_mov_b32_e32 v4, v1
	v_mov_b32_e32 v6, 0
	s_and_b32 s7, s7, 3
	s_delay_alu instid0(SALU_CYCLE_1)
	s_cmp_eq_u32 s7, 0
	s_cbranch_scc1 .LBB401_1100
.LBB401_1098:
	s_lshl_b32 s2, s10, 3
	s_mul_i32 s4, s10, 12
	s_add_u32 s2, s2, s16
	s_addc_u32 s3, 0, s17
	s_add_u32 s2, s2, 0xc4
	s_addc_u32 s3, s3, 0
	;; [unrolled: 2-line block ×3, first 2 shown]
	.p2align	6
.LBB401_1099:                           ; =>This Inner Loop Header: Depth=1
	s_clause 0x1
	s_load_b64 s[10:11], s[4:5], 0x4
	s_load_b32 s14, s[4:5], 0xc
	s_load_b64 s[12:13], s[2:3], 0x0
	s_add_u32 s4, s4, 12
	s_addc_u32 s5, s5, 0
	s_add_u32 s2, s2, 8
	s_addc_u32 s3, s3, 0
	s_add_i32 s7, s7, -1
	s_delay_alu instid0(SALU_CYCLE_1) | instskip(SKIP_2) | instid1(VALU_DEP_1)
	s_cmp_lg_u32 s7, 0
	s_waitcnt lgkmcnt(0)
	v_mul_hi_u32 v9, s11, v4
	v_add_nc_u32_e32 v9, v4, v9
	s_delay_alu instid0(VALU_DEP_1) | instskip(NEXT) | instid1(VALU_DEP_1)
	v_lshrrev_b32_e32 v12, s14, v9
	v_mul_lo_u32 v9, v12, s10
	s_delay_alu instid0(VALU_DEP_1) | instskip(NEXT) | instid1(VALU_DEP_1)
	v_sub_nc_u32_e32 v4, v4, v9
	v_mad_u64_u32 v[9:10], null, v4, s12, v[2:3]
	v_mad_u64_u32 v[10:11], null, v4, s13, v[6:7]
	v_mov_b32_e32 v4, v12
	s_delay_alu instid0(VALU_DEP_3) | instskip(NEXT) | instid1(VALU_DEP_3)
	v_mov_b32_e32 v2, v9
	v_mov_b32_e32 v6, v10
	s_cbranch_scc1 .LBB401_1099
.LBB401_1100:
	s_and_not1_b32 vcc_lo, exec_lo, s6
	s_cbranch_vccnz .LBB401_1103
; %bb.1101:
	s_clause 0x1
	s_load_b128 s[4:7], s[16:17], 0x4
	s_load_b64 s[2:3], s[16:17], 0xc4
	s_cmp_lt_u32 s26, 2
	s_waitcnt lgkmcnt(0)
	v_mul_hi_u32 v2, s5, v1
	s_delay_alu instid0(VALU_DEP_1) | instskip(NEXT) | instid1(VALU_DEP_1)
	v_add_nc_u32_e32 v2, v1, v2
	v_lshrrev_b32_e32 v4, s6, v2
	s_delay_alu instid0(VALU_DEP_1) | instskip(NEXT) | instid1(VALU_DEP_1)
	v_mul_lo_u32 v2, v4, s4
	v_sub_nc_u32_e32 v1, v1, v2
	s_delay_alu instid0(VALU_DEP_1)
	v_mul_lo_u32 v2, v1, s2
	s_waitcnt vmcnt(0)
	v_mul_lo_u32 v6, v1, s3
	s_cbranch_scc1 .LBB401_1103
; %bb.1102:
	s_clause 0x1
	s_load_b128 s[4:7], s[16:17], 0x10
	s_load_b64 s[2:3], s[16:17], 0xcc
	s_waitcnt lgkmcnt(0)
	v_mul_hi_u32 v1, s5, v4
	s_delay_alu instid0(VALU_DEP_1) | instskip(NEXT) | instid1(VALU_DEP_1)
	v_add_nc_u32_e32 v1, v4, v1
	v_lshrrev_b32_e32 v1, s6, v1
	s_delay_alu instid0(VALU_DEP_1) | instskip(NEXT) | instid1(VALU_DEP_1)
	v_mul_lo_u32 v1, v1, s4
	v_sub_nc_u32_e32 v4, v4, v1
	s_delay_alu instid0(VALU_DEP_1) | instskip(SKIP_1) | instid1(VALU_DEP_2)
	v_mad_u64_u32 v[9:10], null, v4, s2, v[2:3]
	v_mad_u64_u32 v[1:2], null, v4, s3, v[6:7]
	v_mov_b32_e32 v2, v9
	s_delay_alu instid0(VALU_DEP_2)
	v_mov_b32_e32 v6, v1
.LBB401_1103:
	v_cmp_ne_u32_e32 vcc_lo, 1, v0
	v_add_nc_u32_e32 v4, 0x100, v5
	s_cbranch_vccnz .LBB401_1109
; %bb.1104:
	v_mov_b32_e32 v1, 0
	v_mov_b32_e32 v5, 0
	s_cmp_lg_u32 s26, 0
	s_mov_b32 s6, 0
	s_cbranch_scc0 .LBB401_1113
; %bb.1105:
	s_min_u32 s7, s27, 15
	v_mov_b32_e32 v1, 0
	s_add_i32 s7, s7, 1
	s_cmp_eq_u32 s27, 2
	s_mov_b32 s10, 0
	s_cbranch_scc1 .LBB401_1110
; %bb.1106:
	v_mov_b32_e32 v5, 0
	v_mov_b32_e32 v1, 0
	;; [unrolled: 1-line block ×3, first 2 shown]
	s_add_u32 s2, s16, 0xc4
	s_addc_u32 s3, s17, 0
	s_and_b32 s10, s7, 28
	s_mov_b32 s11, 0
	s_mov_b64 s[4:5], s[16:17]
.LBB401_1107:                           ; =>This Inner Loop Header: Depth=1
	s_clause 0x1
	s_load_b256 s[36:43], s[4:5], 0x4
	s_load_b128 s[12:15], s[4:5], 0x24
	s_load_b256 s[44:51], s[2:3], 0x0
	s_add_u32 s4, s4, 48
	s_addc_u32 s5, s5, 0
	s_add_i32 s11, s11, 4
	s_add_u32 s2, s2, 32
	s_addc_u32 s3, s3, 0
	s_cmp_lg_u32 s10, s11
	s_waitcnt lgkmcnt(0)
	v_mul_hi_u32 v10, s37, v9
	s_delay_alu instid0(VALU_DEP_1) | instskip(NEXT) | instid1(VALU_DEP_1)
	v_add_nc_u32_e32 v10, v9, v10
	v_lshrrev_b32_e32 v10, s38, v10
	s_delay_alu instid0(VALU_DEP_1) | instskip(SKIP_1) | instid1(VALU_DEP_2)
	v_mul_hi_u32 v11, s40, v10
	v_mul_lo_u32 v13, v10, s36
	v_add_nc_u32_e32 v11, v10, v11
	s_delay_alu instid0(VALU_DEP_2) | instskip(NEXT) | instid1(VALU_DEP_2)
	v_sub_nc_u32_e32 v9, v9, v13
	v_lshrrev_b32_e32 v11, s41, v11
	s_delay_alu instid0(VALU_DEP_2) | instskip(SKIP_1) | instid1(VALU_DEP_3)
	v_mul_lo_u32 v13, v9, s44
	v_mul_lo_u32 v15, v9, s45
	v_mul_hi_u32 v12, s43, v11
	s_delay_alu instid0(VALU_DEP_1) | instskip(NEXT) | instid1(VALU_DEP_1)
	v_add_nc_u32_e32 v12, v11, v12
	v_lshrrev_b32_e32 v12, s12, v12
	s_delay_alu instid0(VALU_DEP_1) | instskip(SKIP_1) | instid1(VALU_DEP_2)
	v_mul_hi_u32 v14, s14, v12
	v_mul_lo_u32 v16, v12, s42
	v_add_nc_u32_e32 v9, v12, v14
	v_mul_lo_u32 v14, v11, s39
	s_delay_alu instid0(VALU_DEP_3) | instskip(NEXT) | instid1(VALU_DEP_3)
	v_sub_nc_u32_e32 v11, v11, v16
	v_lshrrev_b32_e32 v9, s15, v9
	s_delay_alu instid0(VALU_DEP_2) | instskip(SKIP_2) | instid1(VALU_DEP_4)
	v_mul_lo_u32 v16, v11, s48
	v_mul_lo_u32 v11, v11, s49
	v_sub_nc_u32_e32 v10, v10, v14
	v_mul_lo_u32 v17, v9, s13
	s_delay_alu instid0(VALU_DEP_2) | instskip(SKIP_1) | instid1(VALU_DEP_3)
	v_mul_lo_u32 v14, v10, s46
	v_mul_lo_u32 v10, v10, s47
	v_sub_nc_u32_e32 v12, v12, v17
	s_delay_alu instid0(VALU_DEP_3) | instskip(NEXT) | instid1(VALU_DEP_2)
	v_add3_u32 v1, v13, v1, v14
	v_mul_lo_u32 v17, v12, s50
	v_mul_lo_u32 v12, v12, s51
	v_add3_u32 v5, v15, v5, v10
	s_delay_alu instid0(VALU_DEP_3) | instskip(NEXT) | instid1(VALU_DEP_2)
	v_add3_u32 v1, v16, v1, v17
	v_add3_u32 v5, v11, v5, v12
	s_cbranch_scc1 .LBB401_1107
; %bb.1108:
	s_and_b32 s7, s7, 3
	s_delay_alu instid0(SALU_CYCLE_1)
	s_cmp_eq_u32 s7, 0
	s_cbranch_scc0 .LBB401_1111
	s_branch .LBB401_1113
.LBB401_1109:
	s_mov_b32 s6, -1
                                        ; implicit-def: $vgpr1
                                        ; implicit-def: $vgpr5
	s_branch .LBB401_1113
.LBB401_1110:
	v_mov_b32_e32 v9, v4
	v_mov_b32_e32 v5, 0
	s_and_b32 s7, s7, 3
	s_delay_alu instid0(SALU_CYCLE_1)
	s_cmp_eq_u32 s7, 0
	s_cbranch_scc1 .LBB401_1113
.LBB401_1111:
	s_lshl_b32 s2, s10, 3
	s_mul_i32 s4, s10, 12
	s_add_u32 s2, s2, s16
	s_addc_u32 s3, 0, s17
	s_add_u32 s2, s2, 0xc4
	s_addc_u32 s3, s3, 0
	;; [unrolled: 2-line block ×3, first 2 shown]
	.p2align	6
.LBB401_1112:                           ; =>This Inner Loop Header: Depth=1
	s_clause 0x1
	s_load_b64 s[10:11], s[4:5], 0x4
	s_load_b32 s14, s[4:5], 0xc
	s_load_b64 s[12:13], s[2:3], 0x0
	s_add_u32 s4, s4, 12
	s_addc_u32 s5, s5, 0
	s_add_u32 s2, s2, 8
	s_addc_u32 s3, s3, 0
	s_add_i32 s7, s7, -1
	s_delay_alu instid0(SALU_CYCLE_1) | instskip(SKIP_2) | instid1(VALU_DEP_1)
	s_cmp_lg_u32 s7, 0
	s_waitcnt lgkmcnt(0)
	v_mul_hi_u32 v10, s11, v9
	v_add_nc_u32_e32 v10, v9, v10
	s_delay_alu instid0(VALU_DEP_1) | instskip(NEXT) | instid1(VALU_DEP_1)
	v_lshrrev_b32_e32 v13, s14, v10
	v_mul_lo_u32 v10, v13, s10
	s_delay_alu instid0(VALU_DEP_1) | instskip(NEXT) | instid1(VALU_DEP_1)
	v_sub_nc_u32_e32 v9, v9, v10
	v_mad_u64_u32 v[10:11], null, v9, s12, v[1:2]
	s_waitcnt vmcnt(0)
	v_mad_u64_u32 v[11:12], null, v9, s13, v[5:6]
	v_mov_b32_e32 v9, v13
	s_delay_alu instid0(VALU_DEP_3) | instskip(NEXT) | instid1(VALU_DEP_3)
	v_mov_b32_e32 v1, v10
	v_mov_b32_e32 v5, v11
	s_cbranch_scc1 .LBB401_1112
.LBB401_1113:
	s_and_not1_b32 vcc_lo, exec_lo, s6
	s_cbranch_vccnz .LBB401_1116
; %bb.1114:
	s_clause 0x1
	s_load_b128 s[4:7], s[16:17], 0x4
	s_load_b64 s[2:3], s[16:17], 0xc4
	s_cmp_lt_u32 s26, 2
	s_waitcnt lgkmcnt(0)
	v_mul_hi_u32 v1, s5, v4
	s_delay_alu instid0(VALU_DEP_1) | instskip(NEXT) | instid1(VALU_DEP_1)
	v_add_nc_u32_e32 v1, v4, v1
	v_lshrrev_b32_e32 v9, s6, v1
	s_delay_alu instid0(VALU_DEP_1) | instskip(NEXT) | instid1(VALU_DEP_1)
	v_mul_lo_u32 v1, v9, s4
	v_sub_nc_u32_e32 v4, v4, v1
	s_delay_alu instid0(VALU_DEP_1)
	v_mul_lo_u32 v1, v4, s2
	v_mul_lo_u32 v5, v4, s3
	s_cbranch_scc1 .LBB401_1116
; %bb.1115:
	s_clause 0x1
	s_load_b128 s[4:7], s[16:17], 0x10
	s_load_b64 s[2:3], s[16:17], 0xcc
	s_waitcnt lgkmcnt(0)
	v_mul_hi_u32 v4, s5, v9
	s_delay_alu instid0(VALU_DEP_1) | instskip(NEXT) | instid1(VALU_DEP_1)
	v_add_nc_u32_e32 v4, v9, v4
	v_lshrrev_b32_e32 v4, s6, v4
	s_delay_alu instid0(VALU_DEP_1) | instskip(NEXT) | instid1(VALU_DEP_1)
	v_mul_lo_u32 v4, v4, s4
	v_sub_nc_u32_e32 v4, v9, v4
	s_delay_alu instid0(VALU_DEP_1) | instskip(SKIP_2) | instid1(VALU_DEP_2)
	v_mad_u64_u32 v[9:10], null, v4, s2, v[1:2]
	s_waitcnt vmcnt(0)
	v_mad_u64_u32 v[10:11], null, v4, s3, v[5:6]
	v_mov_b32_e32 v1, v9
	s_delay_alu instid0(VALU_DEP_2)
	v_mov_b32_e32 v5, v10
.LBB401_1116:
	v_cmp_ne_u32_e32 vcc_lo, 1, v0
	s_cbranch_vccnz .LBB401_1122
; %bb.1117:
	v_mov_b32_e32 v0, 0
	v_mov_b32_e32 v4, 0
	s_cmp_lg_u32 s26, 0
	s_mov_b32 s6, 0
	s_cbranch_scc0 .LBB401_1126
; %bb.1118:
	s_min_u32 s7, s27, 15
	v_mov_b32_e32 v0, 0
	s_add_i32 s7, s7, 1
	s_cmp_eq_u32 s27, 2
	s_mov_b32 s10, 0
	s_cbranch_scc1 .LBB401_1123
; %bb.1119:
	v_dual_mov_b32 v4, 0 :: v_dual_mov_b32 v9, v8
	v_mov_b32_e32 v0, 0
	s_add_u32 s2, s16, 0xc4
	s_addc_u32 s3, s17, 0
	s_and_b32 s10, s7, 28
	s_mov_b32 s11, 0
	s_mov_b64 s[4:5], s[16:17]
.LBB401_1120:                           ; =>This Inner Loop Header: Depth=1
	s_clause 0x1
	s_load_b256 s[36:43], s[4:5], 0x4
	s_load_b128 s[12:15], s[4:5], 0x24
	s_load_b256 s[44:51], s[2:3], 0x0
	s_add_u32 s4, s4, 48
	s_addc_u32 s5, s5, 0
	s_add_i32 s11, s11, 4
	s_add_u32 s2, s2, 32
	s_addc_u32 s3, s3, 0
	s_cmp_lg_u32 s10, s11
	s_waitcnt lgkmcnt(0)
	v_mul_hi_u32 v10, s37, v9
	s_delay_alu instid0(VALU_DEP_1) | instskip(NEXT) | instid1(VALU_DEP_1)
	v_add_nc_u32_e32 v10, v9, v10
	v_lshrrev_b32_e32 v10, s38, v10
	s_delay_alu instid0(VALU_DEP_1) | instskip(SKIP_1) | instid1(VALU_DEP_2)
	v_mul_hi_u32 v11, s40, v10
	v_mul_lo_u32 v13, v10, s36
	v_add_nc_u32_e32 v11, v10, v11
	s_delay_alu instid0(VALU_DEP_2) | instskip(NEXT) | instid1(VALU_DEP_2)
	v_sub_nc_u32_e32 v9, v9, v13
	v_lshrrev_b32_e32 v11, s41, v11
	s_delay_alu instid0(VALU_DEP_2) | instskip(SKIP_1) | instid1(VALU_DEP_3)
	v_mul_lo_u32 v13, v9, s44
	v_mul_lo_u32 v15, v9, s45
	v_mul_hi_u32 v12, s43, v11
	s_delay_alu instid0(VALU_DEP_1) | instskip(NEXT) | instid1(VALU_DEP_1)
	v_add_nc_u32_e32 v12, v11, v12
	v_lshrrev_b32_e32 v12, s12, v12
	s_delay_alu instid0(VALU_DEP_1) | instskip(SKIP_1) | instid1(VALU_DEP_2)
	v_mul_hi_u32 v14, s14, v12
	v_mul_lo_u32 v16, v12, s42
	v_add_nc_u32_e32 v9, v12, v14
	v_mul_lo_u32 v14, v11, s39
	s_delay_alu instid0(VALU_DEP_3) | instskip(NEXT) | instid1(VALU_DEP_3)
	v_sub_nc_u32_e32 v11, v11, v16
	v_lshrrev_b32_e32 v9, s15, v9
	s_delay_alu instid0(VALU_DEP_2) | instskip(SKIP_2) | instid1(VALU_DEP_4)
	v_mul_lo_u32 v16, v11, s48
	v_mul_lo_u32 v11, v11, s49
	v_sub_nc_u32_e32 v10, v10, v14
	v_mul_lo_u32 v17, v9, s13
	s_delay_alu instid0(VALU_DEP_2) | instskip(SKIP_1) | instid1(VALU_DEP_3)
	v_mul_lo_u32 v14, v10, s46
	v_mul_lo_u32 v10, v10, s47
	v_sub_nc_u32_e32 v12, v12, v17
	s_delay_alu instid0(VALU_DEP_3) | instskip(NEXT) | instid1(VALU_DEP_2)
	v_add3_u32 v0, v13, v0, v14
	v_mul_lo_u32 v17, v12, s50
	v_mul_lo_u32 v12, v12, s51
	v_add3_u32 v4, v15, v4, v10
	s_delay_alu instid0(VALU_DEP_3) | instskip(NEXT) | instid1(VALU_DEP_2)
	v_add3_u32 v0, v16, v0, v17
	v_add3_u32 v4, v11, v4, v12
	s_cbranch_scc1 .LBB401_1120
; %bb.1121:
	s_and_b32 s7, s7, 3
	s_delay_alu instid0(SALU_CYCLE_1)
	s_cmp_eq_u32 s7, 0
	s_cbranch_scc0 .LBB401_1124
	s_branch .LBB401_1126
.LBB401_1122:
	s_mov_b32 s6, -1
                                        ; implicit-def: $vgpr0
                                        ; implicit-def: $vgpr4
	s_branch .LBB401_1126
.LBB401_1123:
	v_dual_mov_b32 v9, v8 :: v_dual_mov_b32 v4, 0
	s_and_b32 s7, s7, 3
	s_delay_alu instid0(SALU_CYCLE_1)
	s_cmp_eq_u32 s7, 0
	s_cbranch_scc1 .LBB401_1126
.LBB401_1124:
	s_lshl_b32 s2, s10, 3
	s_mul_i32 s4, s10, 12
	s_add_u32 s2, s2, s16
	s_addc_u32 s3, 0, s17
	s_add_u32 s2, s2, 0xc4
	s_addc_u32 s3, s3, 0
	;; [unrolled: 2-line block ×3, first 2 shown]
	.p2align	6
.LBB401_1125:                           ; =>This Inner Loop Header: Depth=1
	s_clause 0x1
	s_load_b64 s[10:11], s[4:5], 0x4
	s_load_b32 s14, s[4:5], 0xc
	s_load_b64 s[12:13], s[2:3], 0x0
	s_add_u32 s4, s4, 12
	s_addc_u32 s5, s5, 0
	s_add_u32 s2, s2, 8
	s_addc_u32 s3, s3, 0
	s_add_i32 s7, s7, -1
	s_delay_alu instid0(SALU_CYCLE_1) | instskip(SKIP_2) | instid1(VALU_DEP_1)
	s_cmp_lg_u32 s7, 0
	s_waitcnt lgkmcnt(0)
	v_mul_hi_u32 v10, s11, v9
	v_add_nc_u32_e32 v10, v9, v10
	s_delay_alu instid0(VALU_DEP_1) | instskip(NEXT) | instid1(VALU_DEP_1)
	v_lshrrev_b32_e32 v13, s14, v10
	v_mul_lo_u32 v10, v13, s10
	s_delay_alu instid0(VALU_DEP_1) | instskip(NEXT) | instid1(VALU_DEP_1)
	v_sub_nc_u32_e32 v9, v9, v10
	v_mad_u64_u32 v[10:11], null, v9, s12, v[0:1]
	v_mad_u64_u32 v[11:12], null, v9, s13, v[4:5]
	s_delay_alu instid0(VALU_DEP_2) | instskip(NEXT) | instid1(VALU_DEP_2)
	v_dual_mov_b32 v9, v13 :: v_dual_mov_b32 v0, v10
	v_mov_b32_e32 v4, v11
	s_cbranch_scc1 .LBB401_1125
.LBB401_1126:
	s_and_not1_b32 vcc_lo, exec_lo, s6
	s_cbranch_vccnz .LBB401_1129
; %bb.1127:
	s_clause 0x1
	s_load_b128 s[4:7], s[16:17], 0x4
	s_load_b64 s[2:3], s[16:17], 0xc4
	s_cmp_lt_u32 s26, 2
	s_waitcnt lgkmcnt(0)
	v_mul_hi_u32 v0, s5, v8
	s_delay_alu instid0(VALU_DEP_1) | instskip(NEXT) | instid1(VALU_DEP_1)
	v_add_nc_u32_e32 v0, v8, v0
	v_lshrrev_b32_e32 v9, s6, v0
	s_delay_alu instid0(VALU_DEP_1) | instskip(NEXT) | instid1(VALU_DEP_1)
	v_mul_lo_u32 v0, v9, s4
	v_sub_nc_u32_e32 v4, v8, v0
	s_delay_alu instid0(VALU_DEP_1)
	v_mul_lo_u32 v0, v4, s2
	v_mul_lo_u32 v4, v4, s3
	s_cbranch_scc1 .LBB401_1129
; %bb.1128:
	s_clause 0x1
	s_load_b128 s[4:7], s[16:17], 0x10
	s_load_b64 s[2:3], s[16:17], 0xcc
	s_waitcnt lgkmcnt(0)
	v_mul_hi_u32 v8, s5, v9
	s_delay_alu instid0(VALU_DEP_1) | instskip(NEXT) | instid1(VALU_DEP_1)
	v_add_nc_u32_e32 v8, v9, v8
	v_lshrrev_b32_e32 v8, s6, v8
	s_delay_alu instid0(VALU_DEP_1) | instskip(NEXT) | instid1(VALU_DEP_1)
	v_mul_lo_u32 v8, v8, s4
	v_sub_nc_u32_e32 v11, v9, v8
	s_delay_alu instid0(VALU_DEP_1) | instskip(SKIP_1) | instid1(VALU_DEP_2)
	v_mad_u64_u32 v[8:9], null, v11, s2, v[0:1]
	v_mad_u64_u32 v[9:10], null, v11, s3, v[4:5]
	v_mov_b32_e32 v0, v8
	s_delay_alu instid0(VALU_DEP_2)
	v_mov_b32_e32 v4, v9
.LBB401_1129:
	s_clause 0x1
	s_load_b32 s0, s[0:1], 0x164
	s_load_b128 s[4:7], s[16:17], 0x148
	s_mov_b32 s3, 0
	s_waitcnt lgkmcnt(0)
	s_lshr_b32 s0, s0, 8
	s_delay_alu instid0(SALU_CYCLE_1) | instskip(SKIP_1) | instid1(VALU_DEP_1)
	v_and_b32_e64 v9, 0xff, s0
	v_add_co_u32 v7, s0, s6, v7
	v_add_co_ci_u32_e64 v8, null, s7, 0, s0
	s_delay_alu instid0(VALU_DEP_3)
	v_cmp_gt_i16_e32 vcc_lo, 11, v9
	s_cbranch_vccnz .LBB401_1136
; %bb.1130:
	v_cmp_lt_i16_e32 vcc_lo, 25, v9
	s_mov_b32 s2, 0
	s_cbranch_vccz .LBB401_1142
; %bb.1131:
	v_cmp_lt_i16_e32 vcc_lo, 28, v9
	s_cbranch_vccz .LBB401_1144
; %bb.1132:
	v_cmp_lt_i16_e32 vcc_lo, 43, v9
	;; [unrolled: 3-line block ×3, first 2 shown]
	s_cbranch_vccz .LBB401_1150
; %bb.1134:
	v_cmp_eq_u16_e32 vcc_lo, 46, v9
	s_mov_b32 s1, 0
	s_cbranch_vccz .LBB401_1192
; %bb.1135:
	global_load_b32 v10, v[7:8], off
	s_mov_b32 s0, 0
	s_mov_b32 s3, -1
	s_waitcnt vmcnt(0)
	v_lshlrev_b32_e32 v10, 16, v10
	s_branch .LBB401_1194
.LBB401_1136:
	s_mov_b32 s1, s8
                                        ; implicit-def: $vgpr10
	s_cbranch_execz .LBB401_1257
; %bb.1137:
	v_cmp_gt_i16_e32 vcc_lo, 5, v9
	s_cbranch_vccnz .LBB401_1143
; %bb.1138:
	v_cmp_gt_i16_e32 vcc_lo, 8, v9
	s_cbranch_vccnz .LBB401_1145
	;; [unrolled: 3-line block ×3, first 2 shown]
; %bb.1140:
	v_cmp_lt_i16_e32 vcc_lo, 9, v9
	s_cbranch_vccz .LBB401_1151
; %bb.1141:
	global_load_b64 v[10:11], v[7:8], off
	s_mov_b32 s0, 0
	s_waitcnt vmcnt(0)
	v_cvt_f32_f64_e32 v10, v[10:11]
	s_branch .LBB401_1152
.LBB401_1142:
	s_mov_b32 s0, 0
                                        ; implicit-def: $vgpr10
	s_cbranch_execnz .LBB401_1222
	s_branch .LBB401_1253
.LBB401_1143:
                                        ; implicit-def: $vgpr10
	s_branch .LBB401_1169
.LBB401_1144:
	s_mov_b32 s1, -1
	s_mov_b32 s0, 0
                                        ; implicit-def: $vgpr10
	s_branch .LBB401_1203
.LBB401_1145:
                                        ; implicit-def: $vgpr10
	s_branch .LBB401_1158
.LBB401_1146:
	s_mov_b32 s0, 0
                                        ; implicit-def: $vgpr10
	s_cbranch_execnz .LBB401_1199
	s_branch .LBB401_1202
.LBB401_1147:
	s_mov_b32 s0, -1
                                        ; implicit-def: $vgpr10
	s_branch .LBB401_1155
.LBB401_1148:
	s_cbranch_execnz .LBB401_1190
; %bb.1149:
	s_or_b32 s3, s3, exec_lo
	s_and_not1_b32 s8, s8, exec_lo
	s_or_b32 exec_lo, exec_lo, s2
	s_and_saveexec_b32 s2, s8
	s_delay_alu instid0(SALU_CYCLE_1)
	s_xor_b32 s2, exec_lo, s2
	s_cbranch_execnz .LBB401_1036
	s_branch .LBB401_1037
.LBB401_1150:
	s_mov_b32 s1, -1
	s_mov_b32 s0, 0
	s_branch .LBB401_1193
.LBB401_1151:
	s_mov_b32 s0, -1
                                        ; implicit-def: $vgpr10
.LBB401_1152:
	s_delay_alu instid0(SALU_CYCLE_1)
	s_and_not1_b32 vcc_lo, exec_lo, s0
	s_cbranch_vccnz .LBB401_1154
; %bb.1153:
	global_load_b32 v10, v[7:8], off
.LBB401_1154:
	s_mov_b32 s0, 0
.LBB401_1155:
	s_delay_alu instid0(SALU_CYCLE_1)
	s_and_not1_b32 vcc_lo, exec_lo, s0
	s_cbranch_vccnz .LBB401_1157
; %bb.1156:
	global_load_b32 v10, v[7:8], off
	s_waitcnt vmcnt(0)
	v_cvt_f32_f16_e32 v10, v10
.LBB401_1157:
	s_cbranch_execnz .LBB401_1168
.LBB401_1158:
	v_cmp_gt_i16_e32 vcc_lo, 6, v9
	s_cbranch_vccnz .LBB401_1161
; %bb.1159:
	v_cmp_lt_i16_e32 vcc_lo, 6, v9
	s_cbranch_vccz .LBB401_1162
; %bb.1160:
	global_load_b64 v[10:11], v[7:8], off
	s_mov_b32 s0, 0
	s_waitcnt vmcnt(0)
	v_cvt_f32_f64_e32 v10, v[10:11]
	s_branch .LBB401_1163
.LBB401_1161:
	s_mov_b32 s0, -1
                                        ; implicit-def: $vgpr10
	s_branch .LBB401_1166
.LBB401_1162:
	s_mov_b32 s0, -1
                                        ; implicit-def: $vgpr10
.LBB401_1163:
	s_delay_alu instid0(SALU_CYCLE_1)
	s_and_not1_b32 vcc_lo, exec_lo, s0
	s_cbranch_vccnz .LBB401_1165
; %bb.1164:
	global_load_b32 v10, v[7:8], off
.LBB401_1165:
	s_mov_b32 s0, 0
.LBB401_1166:
	s_delay_alu instid0(SALU_CYCLE_1)
	s_and_not1_b32 vcc_lo, exec_lo, s0
	s_cbranch_vccnz .LBB401_1168
; %bb.1167:
	global_load_u16 v10, v[7:8], off
	s_waitcnt vmcnt(0)
	v_cvt_f32_f16_e32 v10, v10
.LBB401_1168:
	s_cbranch_execnz .LBB401_1187
.LBB401_1169:
	v_cmp_gt_i16_e32 vcc_lo, 2, v9
	s_cbranch_vccnz .LBB401_1173
; %bb.1170:
	v_cmp_gt_i16_e32 vcc_lo, 3, v9
	s_cbranch_vccnz .LBB401_1174
; %bb.1171:
	v_cmp_lt_i16_e32 vcc_lo, 3, v9
	s_cbranch_vccz .LBB401_1175
; %bb.1172:
	global_load_b64 v[10:11], v[7:8], off
	s_mov_b32 s0, 0
	s_waitcnt vmcnt(0)
	v_xor_b32_e32 v12, v10, v11
	v_cls_i32_e32 v13, v11
	s_delay_alu instid0(VALU_DEP_2) | instskip(NEXT) | instid1(VALU_DEP_2)
	v_ashrrev_i32_e32 v12, 31, v12
	v_add_nc_u32_e32 v13, -1, v13
	s_delay_alu instid0(VALU_DEP_2) | instskip(NEXT) | instid1(VALU_DEP_1)
	v_add_nc_u32_e32 v12, 32, v12
	v_min_u32_e32 v12, v13, v12
	s_delay_alu instid0(VALU_DEP_1) | instskip(NEXT) | instid1(VALU_DEP_1)
	v_lshlrev_b64 v[10:11], v12, v[10:11]
	v_min_u32_e32 v10, 1, v10
	s_delay_alu instid0(VALU_DEP_1) | instskip(SKIP_1) | instid1(VALU_DEP_2)
	v_or_b32_e32 v10, v11, v10
	v_sub_nc_u32_e32 v11, 32, v12
	v_cvt_f32_i32_e32 v10, v10
	s_delay_alu instid0(VALU_DEP_1)
	v_ldexp_f32 v10, v10, v11
	s_branch .LBB401_1176
.LBB401_1173:
                                        ; implicit-def: $vgpr10
	s_branch .LBB401_1182
.LBB401_1174:
	s_mov_b32 s0, -1
                                        ; implicit-def: $vgpr10
	s_branch .LBB401_1179
.LBB401_1175:
	s_mov_b32 s0, -1
                                        ; implicit-def: $vgpr10
.LBB401_1176:
	s_delay_alu instid0(SALU_CYCLE_1)
	s_and_not1_b32 vcc_lo, exec_lo, s0
	s_cbranch_vccnz .LBB401_1178
; %bb.1177:
	global_load_b32 v10, v[7:8], off
	s_waitcnt vmcnt(0)
	v_cvt_f32_i32_e32 v10, v10
.LBB401_1178:
	s_mov_b32 s0, 0
.LBB401_1179:
	s_delay_alu instid0(SALU_CYCLE_1)
	s_and_not1_b32 vcc_lo, exec_lo, s0
	s_cbranch_vccnz .LBB401_1181
; %bb.1180:
	global_load_i16 v10, v[7:8], off
	s_waitcnt vmcnt(0)
	v_cvt_f32_i32_e32 v10, v10
.LBB401_1181:
	s_cbranch_execnz .LBB401_1187
.LBB401_1182:
	v_cmp_lt_i16_e32 vcc_lo, 0, v9
	s_mov_b32 s0, 0
	s_cbranch_vccz .LBB401_1184
; %bb.1183:
	global_load_i8 v10, v[7:8], off
	s_waitcnt vmcnt(0)
	v_cvt_f32_i32_e32 v10, v10
	s_branch .LBB401_1185
.LBB401_1184:
	s_mov_b32 s0, -1
                                        ; implicit-def: $vgpr10
.LBB401_1185:
	s_delay_alu instid0(SALU_CYCLE_1)
	s_and_not1_b32 vcc_lo, exec_lo, s0
	s_cbranch_vccnz .LBB401_1187
; %bb.1186:
	global_load_u8 v7, v[7:8], off
	s_waitcnt vmcnt(0)
	v_cvt_f32_ubyte0_e32 v10, v7
.LBB401_1187:
	s_branch .LBB401_1258
.LBB401_1188:
	s_trap 2
	s_sendmsg_rtn_b32 s0, sendmsg(MSG_RTN_GET_DOORBELL)
	s_mov_b32 ttmp2, m0
	s_waitcnt lgkmcnt(0)
	s_and_b32 s0, s0, 0x3ff
	s_delay_alu instid0(SALU_CYCLE_1) | instskip(NEXT) | instid1(SALU_CYCLE_1)
	s_bitset1_b32 s0, 10
	s_mov_b32 m0, s0
	s_sendmsg sendmsg(MSG_INTERRUPT)
	s_mov_b32 m0, ttmp2
.LBB401_1189:                           ; =>This Inner Loop Header: Depth=1
	s_sethalt 5
	s_branch .LBB401_1189
.LBB401_1190:
	s_trap 2
	s_sendmsg_rtn_b32 s0, sendmsg(MSG_RTN_GET_DOORBELL)
	s_mov_b32 ttmp2, m0
	s_waitcnt lgkmcnt(0)
	s_and_b32 s0, s0, 0x3ff
	s_delay_alu instid0(SALU_CYCLE_1) | instskip(NEXT) | instid1(SALU_CYCLE_1)
	s_bitset1_b32 s0, 10
	s_mov_b32 m0, s0
	s_sendmsg sendmsg(MSG_INTERRUPT)
	s_mov_b32 m0, ttmp2
.LBB401_1191:                           ; =>This Inner Loop Header: Depth=1
	s_sethalt 5
	s_branch .LBB401_1191
.LBB401_1192:
	s_mov_b32 s0, -1
.LBB401_1193:
                                        ; implicit-def: $vgpr10
.LBB401_1194:
	s_and_b32 vcc_lo, exec_lo, s1
	s_cbranch_vccz .LBB401_1197
; %bb.1195:
	v_cmp_eq_u16_e32 vcc_lo, 44, v9
	s_cbranch_vccz .LBB401_1198
; %bb.1196:
	global_load_u8 v10, v[7:8], off
	s_mov_b32 s0, 0
	s_mov_b32 s3, -1
	s_waitcnt vmcnt(0)
	v_lshlrev_b32_e32 v11, 23, v10
	v_cmp_ne_u32_e32 vcc_lo, 0xff, v10
	s_delay_alu instid0(VALU_DEP_2) | instskip(SKIP_1) | instid1(VALU_DEP_2)
	v_cndmask_b32_e32 v11, 0x7f800001, v11, vcc_lo
	v_cmp_ne_u32_e32 vcc_lo, 0, v10
	v_cndmask_b32_e32 v10, 0x400000, v11, vcc_lo
.LBB401_1197:
	s_branch .LBB401_1202
.LBB401_1198:
	s_mov_b32 s0, -1
                                        ; implicit-def: $vgpr10
	s_branch .LBB401_1202
.LBB401_1199:
	v_cmp_eq_u16_e32 vcc_lo, 29, v9
	s_cbranch_vccz .LBB401_1201
; %bb.1200:
	global_load_b64 v[10:11], v[7:8], off
	s_mov_b32 s0, 0
	s_mov_b32 s3, -1
	s_mov_b32 s1, 0
	s_waitcnt vmcnt(0)
	v_clz_i32_u32_e32 v12, v11
	s_delay_alu instid0(VALU_DEP_1) | instskip(NEXT) | instid1(VALU_DEP_1)
	v_min_u32_e32 v12, 32, v12
	v_lshlrev_b64 v[10:11], v12, v[10:11]
	s_delay_alu instid0(VALU_DEP_1) | instskip(NEXT) | instid1(VALU_DEP_1)
	v_min_u32_e32 v10, 1, v10
	v_or_b32_e32 v10, v11, v10
	v_sub_nc_u32_e32 v11, 32, v12
	s_delay_alu instid0(VALU_DEP_2) | instskip(NEXT) | instid1(VALU_DEP_1)
	v_cvt_f32_u32_e32 v10, v10
	v_ldexp_f32 v10, v10, v11
	s_branch .LBB401_1203
.LBB401_1201:
	s_mov_b32 s0, -1
                                        ; implicit-def: $vgpr10
.LBB401_1202:
	s_mov_b32 s1, 0
.LBB401_1203:
	s_delay_alu instid0(SALU_CYCLE_1)
	s_and_b32 vcc_lo, exec_lo, s1
	s_cbranch_vccz .LBB401_1221
; %bb.1204:
	v_cmp_gt_i16_e32 vcc_lo, 27, v9
	s_cbranch_vccnz .LBB401_1207
; %bb.1205:
	v_cmp_lt_i16_e32 vcc_lo, 27, v9
	s_cbranch_vccz .LBB401_1208
; %bb.1206:
	global_load_b32 v10, v[7:8], off
	s_mov_b32 s1, 0
	s_waitcnt vmcnt(0)
	v_cvt_f32_u32_e32 v10, v10
	s_branch .LBB401_1209
.LBB401_1207:
	s_mov_b32 s1, -1
                                        ; implicit-def: $vgpr10
	s_branch .LBB401_1212
.LBB401_1208:
	s_mov_b32 s1, -1
                                        ; implicit-def: $vgpr10
.LBB401_1209:
	s_delay_alu instid0(SALU_CYCLE_1)
	s_and_not1_b32 vcc_lo, exec_lo, s1
	s_cbranch_vccnz .LBB401_1211
; %bb.1210:
	global_load_u16 v10, v[7:8], off
	s_waitcnt vmcnt(0)
	v_cvt_f32_u32_e32 v10, v10
.LBB401_1211:
	s_mov_b32 s1, 0
.LBB401_1212:
	s_delay_alu instid0(SALU_CYCLE_1)
	s_and_not1_b32 vcc_lo, exec_lo, s1
	s_cbranch_vccnz .LBB401_1220
; %bb.1213:
	global_load_u8 v11, v[7:8], off
	s_mov_b32 s1, 0
	s_mov_b32 s10, exec_lo
                                        ; implicit-def: $sgpr3
	s_waitcnt vmcnt(0)
	v_cmpx_lt_i16_e32 0x7f, v11
	s_xor_b32 s10, exec_lo, s10
	s_cbranch_execz .LBB401_1233
; %bb.1214:
	s_mov_b32 s1, -1
	s_mov_b32 s11, exec_lo
                                        ; implicit-def: $sgpr3
	v_cmpx_eq_u16_e32 0x80, v11
; %bb.1215:
	s_mov_b32 s3, 0x7f800001
	s_xor_b32 s1, exec_lo, -1
; %bb.1216:
	s_or_b32 exec_lo, exec_lo, s11
	s_delay_alu instid0(SALU_CYCLE_1)
	s_and_b32 s1, s1, exec_lo
	s_or_saveexec_b32 s10, s10
	v_mov_b32_e32 v10, s3
	s_xor_b32 exec_lo, exec_lo, s10
	s_cbranch_execnz .LBB401_1234
.LBB401_1217:
	s_or_b32 exec_lo, exec_lo, s10
	s_and_saveexec_b32 s3, s1
	s_cbranch_execz .LBB401_1219
.LBB401_1218:
	v_and_b32_e32 v10, 0xffff, v11
	s_delay_alu instid0(VALU_DEP_1) | instskip(NEXT) | instid1(VALU_DEP_1)
	v_and_b32_e32 v12, 7, v10
	v_clz_i32_u32_e32 v13, v12
	s_delay_alu instid0(VALU_DEP_1) | instskip(NEXT) | instid1(VALU_DEP_1)
	v_min_u32_e32 v13, 32, v13
	v_subrev_nc_u32_e32 v14, 28, v13
	v_sub_nc_u32_e32 v13, 29, v13
	s_delay_alu instid0(VALU_DEP_2) | instskip(SKIP_1) | instid1(VALU_DEP_2)
	v_lshlrev_b32_e32 v14, v14, v10
	v_bfe_u32 v10, v10, 3, 4
	v_and_b32_e32 v14, 7, v14
	s_delay_alu instid0(VALU_DEP_2) | instskip(SKIP_1) | instid1(VALU_DEP_1)
	v_cmp_eq_u32_e32 vcc_lo, 0, v10
	v_dual_cndmask_b32 v10, v10, v13 :: v_dual_lshlrev_b32 v11, 24, v11
	v_dual_cndmask_b32 v12, v12, v14 :: v_dual_and_b32 v11, 0x80000000, v11
	s_delay_alu instid0(VALU_DEP_2) | instskip(NEXT) | instid1(VALU_DEP_2)
	v_lshl_add_u32 v10, v10, 23, 0x3b800000
	v_lshlrev_b32_e32 v12, 20, v12
	s_delay_alu instid0(VALU_DEP_1)
	v_or3_b32 v10, v11, v10, v12
.LBB401_1219:
	s_or_b32 exec_lo, exec_lo, s3
.LBB401_1220:
	s_mov_b32 s3, -1
.LBB401_1221:
	s_branch .LBB401_1253
.LBB401_1222:
	v_cmp_lt_i16_e32 vcc_lo, 22, v9
	s_cbranch_vccz .LBB401_1232
; %bb.1223:
	v_cmp_gt_i16_e32 vcc_lo, 24, v9
	s_cbranch_vccnz .LBB401_1235
; %bb.1224:
	v_cmp_lt_i16_e32 vcc_lo, 24, v9
	s_cbranch_vccz .LBB401_1236
; %bb.1225:
	global_load_u8 v11, v[7:8], off
	s_mov_b32 s1, 0
	s_mov_b32 s3, exec_lo
                                        ; implicit-def: $sgpr2
	s_waitcnt vmcnt(0)
	v_cmpx_lt_i16_e32 0x7f, v11
	s_xor_b32 s3, exec_lo, s3
	s_cbranch_execz .LBB401_1247
; %bb.1226:
	s_mov_b32 s1, -1
	s_mov_b32 s10, exec_lo
                                        ; implicit-def: $sgpr2
	v_cmpx_eq_u16_e32 0x80, v11
; %bb.1227:
	s_mov_b32 s2, 0x7f800001
	s_xor_b32 s1, exec_lo, -1
; %bb.1228:
	s_or_b32 exec_lo, exec_lo, s10
	s_delay_alu instid0(SALU_CYCLE_1)
	s_and_b32 s1, s1, exec_lo
	s_or_saveexec_b32 s3, s3
	v_mov_b32_e32 v10, s2
	s_xor_b32 exec_lo, exec_lo, s3
	s_cbranch_execnz .LBB401_1248
.LBB401_1229:
	s_or_b32 exec_lo, exec_lo, s3
	s_and_saveexec_b32 s2, s1
	s_cbranch_execz .LBB401_1231
.LBB401_1230:
	v_and_b32_e32 v10, 0xffff, v11
	s_delay_alu instid0(VALU_DEP_1) | instskip(NEXT) | instid1(VALU_DEP_1)
	v_and_b32_e32 v12, 3, v10
	v_clz_i32_u32_e32 v13, v12
	s_delay_alu instid0(VALU_DEP_1) | instskip(NEXT) | instid1(VALU_DEP_1)
	v_min_u32_e32 v13, 32, v13
	v_subrev_nc_u32_e32 v14, 29, v13
	v_sub_nc_u32_e32 v13, 30, v13
	s_delay_alu instid0(VALU_DEP_2) | instskip(SKIP_1) | instid1(VALU_DEP_2)
	v_lshlrev_b32_e32 v14, v14, v10
	v_bfe_u32 v10, v10, 2, 5
	v_and_b32_e32 v14, 3, v14
	s_delay_alu instid0(VALU_DEP_2) | instskip(SKIP_1) | instid1(VALU_DEP_1)
	v_cmp_eq_u32_e32 vcc_lo, 0, v10
	v_dual_cndmask_b32 v10, v10, v13 :: v_dual_lshlrev_b32 v11, 24, v11
	v_dual_cndmask_b32 v12, v12, v14 :: v_dual_and_b32 v11, 0x80000000, v11
	s_delay_alu instid0(VALU_DEP_2) | instskip(NEXT) | instid1(VALU_DEP_2)
	v_lshl_add_u32 v10, v10, 23, 0x37800000
	v_lshlrev_b32_e32 v12, 21, v12
	s_delay_alu instid0(VALU_DEP_1)
	v_or3_b32 v10, v11, v10, v12
.LBB401_1231:
	s_or_b32 exec_lo, exec_lo, s2
	s_mov_b32 s1, 0
	s_branch .LBB401_1237
.LBB401_1232:
                                        ; implicit-def: $vgpr10
	s_mov_b32 s2, 0
	s_branch .LBB401_1243
.LBB401_1233:
	s_or_saveexec_b32 s10, s10
	v_mov_b32_e32 v10, s3
	s_xor_b32 exec_lo, exec_lo, s10
	s_cbranch_execz .LBB401_1217
.LBB401_1234:
	v_cmp_ne_u16_e32 vcc_lo, 0, v11
	v_mov_b32_e32 v10, 0
	s_and_not1_b32 s1, s1, exec_lo
	s_and_b32 s3, vcc_lo, exec_lo
	s_delay_alu instid0(SALU_CYCLE_1)
	s_or_b32 s1, s1, s3
	s_or_b32 exec_lo, exec_lo, s10
	s_and_saveexec_b32 s3, s1
	s_cbranch_execnz .LBB401_1218
	s_branch .LBB401_1219
.LBB401_1235:
	s_mov_b32 s1, -1
                                        ; implicit-def: $vgpr10
	s_branch .LBB401_1240
.LBB401_1236:
	s_mov_b32 s1, -1
                                        ; implicit-def: $vgpr10
.LBB401_1237:
	s_delay_alu instid0(SALU_CYCLE_1)
	s_and_b32 vcc_lo, exec_lo, s1
	s_cbranch_vccz .LBB401_1239
; %bb.1238:
	global_load_u8 v10, v[7:8], off
	s_waitcnt vmcnt(0)
	v_lshlrev_b32_e32 v10, 24, v10
	s_delay_alu instid0(VALU_DEP_1) | instskip(NEXT) | instid1(VALU_DEP_1)
	v_and_b32_e32 v11, 0x7f000000, v10
	v_clz_i32_u32_e32 v12, v11
	v_add_nc_u32_e32 v14, 0x1000000, v11
	v_cmp_ne_u32_e32 vcc_lo, 0, v11
	s_delay_alu instid0(VALU_DEP_3) | instskip(NEXT) | instid1(VALU_DEP_1)
	v_min_u32_e32 v12, 32, v12
	v_sub_nc_u32_e64 v12, v12, 4 clamp
	s_delay_alu instid0(VALU_DEP_1) | instskip(SKIP_1) | instid1(VALU_DEP_2)
	v_lshlrev_b32_e32 v13, v12, v11
	v_lshlrev_b32_e32 v12, 23, v12
	v_lshrrev_b32_e32 v13, 4, v13
	s_delay_alu instid0(VALU_DEP_1) | instskip(SKIP_1) | instid1(VALU_DEP_2)
	v_sub_nc_u32_e32 v12, v13, v12
	v_ashrrev_i32_e32 v13, 8, v14
	v_add_nc_u32_e32 v12, 0x3c000000, v12
	s_delay_alu instid0(VALU_DEP_1) | instskip(NEXT) | instid1(VALU_DEP_1)
	v_and_or_b32 v12, 0x7f800000, v13, v12
	v_cndmask_b32_e32 v11, 0, v12, vcc_lo
	s_delay_alu instid0(VALU_DEP_1)
	v_and_or_b32 v10, 0x80000000, v10, v11
.LBB401_1239:
	s_mov_b32 s1, 0
.LBB401_1240:
	s_delay_alu instid0(SALU_CYCLE_1)
	s_and_not1_b32 vcc_lo, exec_lo, s1
	s_cbranch_vccnz .LBB401_1242
; %bb.1241:
	global_load_u8 v10, v[7:8], off
	s_waitcnt vmcnt(0)
	v_lshlrev_b32_e32 v11, 25, v10
	v_lshlrev_b16 v10, 8, v10
	s_delay_alu instid0(VALU_DEP_2) | instskip(NEXT) | instid1(VALU_DEP_2)
	v_lshrrev_b32_e32 v12, 4, v11
	v_and_or_b32 v13, 0x7f00, v10, 0.5
	v_bfe_i32 v10, v10, 0, 16
	s_delay_alu instid0(VALU_DEP_3) | instskip(NEXT) | instid1(VALU_DEP_1)
	v_or_b32_e32 v12, 0x70000000, v12
	v_dual_add_f32 v13, -0.5, v13 :: v_dual_mul_f32 v12, 0x7800000, v12
	v_cmp_gt_u32_e32 vcc_lo, 0x8000000, v11
	s_delay_alu instid0(VALU_DEP_2) | instskip(NEXT) | instid1(VALU_DEP_1)
	v_cndmask_b32_e32 v11, v12, v13, vcc_lo
	v_and_or_b32 v10, 0x80000000, v10, v11
.LBB401_1242:
	s_mov_b32 s3, -1
	s_mov_b32 s2, 0
	s_cbranch_execnz .LBB401_1253
.LBB401_1243:
	v_cmp_lt_i16_e32 vcc_lo, 14, v9
	s_cbranch_vccz .LBB401_1246
; %bb.1244:
	v_cmp_eq_u16_e32 vcc_lo, 15, v9
	s_cbranch_vccz .LBB401_1249
; %bb.1245:
	global_load_u16 v10, v[7:8], off
	s_mov_b32 s0, 0
	s_mov_b32 s3, -1
	s_waitcnt vmcnt(0)
	v_lshlrev_b32_e32 v10, 16, v10
	s_branch .LBB401_1250
.LBB401_1246:
	s_mov_b32 s1, -1
                                        ; implicit-def: $vgpr10
	s_branch .LBB401_1251
.LBB401_1247:
	s_or_saveexec_b32 s3, s3
	v_mov_b32_e32 v10, s2
	s_xor_b32 exec_lo, exec_lo, s3
	s_cbranch_execz .LBB401_1229
.LBB401_1248:
	v_cmp_ne_u16_e32 vcc_lo, 0, v11
	v_mov_b32_e32 v10, 0
	s_and_not1_b32 s1, s1, exec_lo
	s_and_b32 s2, vcc_lo, exec_lo
	s_delay_alu instid0(SALU_CYCLE_1)
	s_or_b32 s1, s1, s2
	s_or_b32 exec_lo, exec_lo, s3
	s_and_saveexec_b32 s2, s1
	s_cbranch_execnz .LBB401_1230
	s_branch .LBB401_1231
.LBB401_1249:
	s_mov_b32 s0, -1
                                        ; implicit-def: $vgpr10
.LBB401_1250:
	s_mov_b32 s1, 0
.LBB401_1251:
	s_delay_alu instid0(SALU_CYCLE_1)
	s_and_b32 vcc_lo, exec_lo, s1
	s_cbranch_vccz .LBB401_1253
; %bb.1252:
	v_cmp_ne_u16_e64 s0, 11, v9
	s_mov_b32 s2, -1
                                        ; implicit-def: $vgpr10
.LBB401_1253:
	s_delay_alu instid0(VALU_DEP_1)
	s_and_b32 vcc_lo, exec_lo, s0
	s_mov_b32 s1, s8
	s_cbranch_vccnz .LBB401_1277
; %bb.1254:
	s_and_not1_b32 vcc_lo, exec_lo, s2
	s_cbranch_vccnz .LBB401_1256
.LBB401_1255:
	global_load_u8 v10, v[7:8], off
	s_mov_b32 s3, -1
	s_waitcnt vmcnt(0)
	v_cmp_ne_u16_e32 vcc_lo, 0, v10
	v_cndmask_b32_e64 v10, 0, 1.0, vcc_lo
.LBB401_1256:
.LBB401_1257:
	s_and_not1_b32 vcc_lo, exec_lo, s3
	s_cbranch_vccnz .LBB401_2049
.LBB401_1258:
	v_cmp_gt_i16_e32 vcc_lo, 11, v9
	s_waitcnt vmcnt(0)
	v_add_co_u32 v6, s0, s6, v6
	s_delay_alu instid0(VALU_DEP_1)
	v_add_co_ci_u32_e64 v7, null, s7, 0, s0
	s_mov_b32 s3, 0
	s_cbranch_vccnz .LBB401_1265
; %bb.1259:
	v_cmp_lt_i16_e32 vcc_lo, 25, v9
	s_mov_b32 s2, 0
	s_cbranch_vccz .LBB401_1271
; %bb.1260:
	v_cmp_lt_i16_e32 vcc_lo, 28, v9
	s_cbranch_vccz .LBB401_1273
; %bb.1261:
	v_cmp_lt_i16_e32 vcc_lo, 43, v9
	;; [unrolled: 3-line block ×3, first 2 shown]
	s_cbranch_vccz .LBB401_1281
; %bb.1263:
	v_cmp_eq_u16_e32 vcc_lo, 46, v9
	s_mov_b32 s10, 0
	s_cbranch_vccz .LBB401_1325
; %bb.1264:
	global_load_b32 v8, v[6:7], off
	s_mov_b32 s0, 0
	s_mov_b32 s3, -1
	s_waitcnt vmcnt(0)
	v_lshlrev_b32_e32 v8, 16, v8
	s_branch .LBB401_1327
.LBB401_1265:
                                        ; implicit-def: $vgpr8
	s_cbranch_execz .LBB401_1392
; %bb.1266:
	v_cmp_gt_i16_e32 vcc_lo, 5, v9
	s_cbranch_vccnz .LBB401_1272
; %bb.1267:
	v_cmp_gt_i16_e32 vcc_lo, 8, v9
	s_cbranch_vccnz .LBB401_1274
; %bb.1268:
	v_cmp_gt_i16_e32 vcc_lo, 9, v9
	s_cbranch_vccnz .LBB401_1276
; %bb.1269:
	v_cmp_lt_i16_e32 vcc_lo, 9, v9
	s_cbranch_vccz .LBB401_1282
; %bb.1270:
	global_load_b64 v[11:12], v[6:7], off
	s_mov_b32 s0, 0
	s_waitcnt vmcnt(0)
	v_cvt_f32_f64_e32 v8, v[11:12]
	s_branch .LBB401_1283
.LBB401_1271:
	s_mov_b32 s0, 0
                                        ; implicit-def: $vgpr8
	s_cbranch_execnz .LBB401_1356
	s_branch .LBB401_1388
.LBB401_1272:
                                        ; implicit-def: $vgpr8
	s_branch .LBB401_1301
.LBB401_1273:
	s_mov_b32 s10, -1
	s_mov_b32 s0, 0
                                        ; implicit-def: $vgpr8
	s_branch .LBB401_1337
.LBB401_1274:
	s_mov_b32 s0, -1
                                        ; implicit-def: $vgpr8
	s_branch .LBB401_1289
.LBB401_1275:
	s_mov_b32 s10, -1
	s_mov_b32 s0, 0
                                        ; implicit-def: $vgpr8
	s_branch .LBB401_1332
.LBB401_1276:
	s_mov_b32 s0, -1
                                        ; implicit-def: $vgpr8
	s_branch .LBB401_1286
.LBB401_1277:
	s_cbranch_execnz .LBB401_1321
; %bb.1278:
	s_or_b32 s1, s8, exec_lo
                                        ; implicit-def: $vgpr10
	s_cbranch_execz .LBB401_1255
	s_branch .LBB401_1256
.LBB401_1279:
	s_or_saveexec_b32 s7, s7
                                        ; implicit-def: $sgpr8
	s_delay_alu instid0(SALU_CYCLE_1)
	s_xor_b32 exec_lo, exec_lo, s7
	s_cbranch_execz .LBB401_987
.LBB401_1280:
	v_add_f32_e64 v0, 0x46000000, |v3|
	s_and_not1_b32 s5, s5, exec_lo
	s_mov_b32 s8, 0
	s_delay_alu instid0(VALU_DEP_1) | instskip(NEXT) | instid1(VALU_DEP_1)
	v_and_b32_e32 v0, 0xff, v0
	v_cmp_ne_u32_e32 vcc_lo, 0, v0
	s_and_b32 s9, vcc_lo, exec_lo
	s_delay_alu instid0(SALU_CYCLE_1)
	s_or_b32 s5, s5, s9
	s_or_b32 exec_lo, exec_lo, s7
	v_mov_b32_e32 v4, s8
	s_and_saveexec_b32 s7, s5
	s_cbranch_execnz .LBB401_988
	s_branch .LBB401_989
.LBB401_1281:
	s_mov_b32 s10, -1
	s_mov_b32 s0, 0
	s_branch .LBB401_1326
.LBB401_1282:
	s_mov_b32 s0, -1
                                        ; implicit-def: $vgpr8
.LBB401_1283:
	s_delay_alu instid0(SALU_CYCLE_1)
	s_and_not1_b32 vcc_lo, exec_lo, s0
	s_cbranch_vccnz .LBB401_1285
; %bb.1284:
	global_load_b32 v8, v[6:7], off
.LBB401_1285:
	s_mov_b32 s0, 0
.LBB401_1286:
	s_delay_alu instid0(SALU_CYCLE_1)
	s_and_not1_b32 vcc_lo, exec_lo, s0
	s_cbranch_vccnz .LBB401_1288
; %bb.1287:
	global_load_b32 v8, v[6:7], off
	s_waitcnt vmcnt(0)
	v_cvt_f32_f16_e32 v8, v8
.LBB401_1288:
	s_mov_b32 s0, 0
.LBB401_1289:
	s_delay_alu instid0(SALU_CYCLE_1)
	s_and_not1_b32 vcc_lo, exec_lo, s0
	s_cbranch_vccnz .LBB401_1300
; %bb.1290:
	v_cmp_gt_i16_e32 vcc_lo, 6, v9
	s_cbranch_vccnz .LBB401_1293
; %bb.1291:
	v_cmp_lt_i16_e32 vcc_lo, 6, v9
	s_cbranch_vccz .LBB401_1294
; %bb.1292:
	global_load_b64 v[11:12], v[6:7], off
	s_mov_b32 s0, 0
	s_waitcnt vmcnt(0)
	v_cvt_f32_f64_e32 v8, v[11:12]
	s_branch .LBB401_1295
.LBB401_1293:
	s_mov_b32 s0, -1
                                        ; implicit-def: $vgpr8
	s_branch .LBB401_1298
.LBB401_1294:
	s_mov_b32 s0, -1
                                        ; implicit-def: $vgpr8
.LBB401_1295:
	s_delay_alu instid0(SALU_CYCLE_1)
	s_and_not1_b32 vcc_lo, exec_lo, s0
	s_cbranch_vccnz .LBB401_1297
; %bb.1296:
	global_load_b32 v8, v[6:7], off
.LBB401_1297:
	s_mov_b32 s0, 0
.LBB401_1298:
	s_delay_alu instid0(SALU_CYCLE_1)
	s_and_not1_b32 vcc_lo, exec_lo, s0
	s_cbranch_vccnz .LBB401_1300
; %bb.1299:
	global_load_u16 v8, v[6:7], off
	s_waitcnt vmcnt(0)
	v_cvt_f32_f16_e32 v8, v8
.LBB401_1300:
	s_cbranch_execnz .LBB401_1320
.LBB401_1301:
	v_cmp_gt_i16_e32 vcc_lo, 2, v9
	s_cbranch_vccnz .LBB401_1305
; %bb.1302:
	v_cmp_gt_i16_e32 vcc_lo, 3, v9
	s_cbranch_vccnz .LBB401_1306
; %bb.1303:
	v_cmp_lt_i16_e32 vcc_lo, 3, v9
	s_cbranch_vccz .LBB401_1307
; %bb.1304:
	global_load_b64 v[11:12], v[6:7], off
	s_mov_b32 s0, 0
	s_waitcnt vmcnt(0)
	v_xor_b32_e32 v8, v11, v12
	v_cls_i32_e32 v13, v12
	s_delay_alu instid0(VALU_DEP_2) | instskip(NEXT) | instid1(VALU_DEP_2)
	v_ashrrev_i32_e32 v8, 31, v8
	v_add_nc_u32_e32 v13, -1, v13
	s_delay_alu instid0(VALU_DEP_2) | instskip(NEXT) | instid1(VALU_DEP_1)
	v_add_nc_u32_e32 v8, 32, v8
	v_min_u32_e32 v8, v13, v8
	s_delay_alu instid0(VALU_DEP_1) | instskip(SKIP_1) | instid1(VALU_DEP_2)
	v_lshlrev_b64 v[11:12], v8, v[11:12]
	v_sub_nc_u32_e32 v8, 32, v8
	v_min_u32_e32 v11, 1, v11
	s_delay_alu instid0(VALU_DEP_1) | instskip(NEXT) | instid1(VALU_DEP_1)
	v_or_b32_e32 v11, v12, v11
	v_cvt_f32_i32_e32 v11, v11
	s_delay_alu instid0(VALU_DEP_1)
	v_ldexp_f32 v8, v11, v8
	s_branch .LBB401_1308
.LBB401_1305:
	s_mov_b32 s0, -1
                                        ; implicit-def: $vgpr8
	s_branch .LBB401_1314
.LBB401_1306:
	s_mov_b32 s0, -1
                                        ; implicit-def: $vgpr8
	s_branch .LBB401_1311
.LBB401_1307:
	s_mov_b32 s0, -1
                                        ; implicit-def: $vgpr8
.LBB401_1308:
	s_delay_alu instid0(SALU_CYCLE_1)
	s_and_not1_b32 vcc_lo, exec_lo, s0
	s_cbranch_vccnz .LBB401_1310
; %bb.1309:
	global_load_b32 v8, v[6:7], off
	s_waitcnt vmcnt(0)
	v_cvt_f32_i32_e32 v8, v8
.LBB401_1310:
	s_mov_b32 s0, 0
.LBB401_1311:
	s_delay_alu instid0(SALU_CYCLE_1)
	s_and_not1_b32 vcc_lo, exec_lo, s0
	s_cbranch_vccnz .LBB401_1313
; %bb.1312:
	global_load_i16 v8, v[6:7], off
	s_waitcnt vmcnt(0)
	v_cvt_f32_i32_e32 v8, v8
.LBB401_1313:
	s_mov_b32 s0, 0
.LBB401_1314:
	s_delay_alu instid0(SALU_CYCLE_1)
	s_and_not1_b32 vcc_lo, exec_lo, s0
	s_cbranch_vccnz .LBB401_1320
; %bb.1315:
	v_cmp_lt_i16_e32 vcc_lo, 0, v9
	s_mov_b32 s0, 0
	s_cbranch_vccz .LBB401_1317
; %bb.1316:
	global_load_i8 v8, v[6:7], off
	s_waitcnt vmcnt(0)
	v_cvt_f32_i32_e32 v8, v8
	s_branch .LBB401_1318
.LBB401_1317:
	s_mov_b32 s0, -1
                                        ; implicit-def: $vgpr8
.LBB401_1318:
	s_delay_alu instid0(SALU_CYCLE_1)
	s_and_not1_b32 vcc_lo, exec_lo, s0
	s_cbranch_vccnz .LBB401_1320
; %bb.1319:
	global_load_u8 v6, v[6:7], off
	s_waitcnt vmcnt(0)
	v_cvt_f32_ubyte0_e32 v8, v6
.LBB401_1320:
	s_branch .LBB401_1393
.LBB401_1321:
	s_trap 2
	s_sendmsg_rtn_b32 s0, sendmsg(MSG_RTN_GET_DOORBELL)
	s_mov_b32 ttmp2, m0
	s_waitcnt lgkmcnt(0)
	s_and_b32 s0, s0, 0x3ff
	s_delay_alu instid0(SALU_CYCLE_1) | instskip(NEXT) | instid1(SALU_CYCLE_1)
	s_bitset1_b32 s0, 10
	s_mov_b32 m0, s0
	s_sendmsg sendmsg(MSG_INTERRUPT)
	s_mov_b32 m0, ttmp2
.LBB401_1322:                           ; =>This Inner Loop Header: Depth=1
	s_sethalt 5
	s_branch .LBB401_1322
.LBB401_1323:
	s_or_saveexec_b32 s8, s8
                                        ; implicit-def: $sgpr9
	s_delay_alu instid0(SALU_CYCLE_1)
	s_xor_b32 exec_lo, exec_lo, s8
	s_cbranch_execz .LBB401_999
.LBB401_1324:
	v_add_f32_e64 v0, 0x42800000, |v3|
	s_and_not1_b32 s7, s7, exec_lo
	s_mov_b32 s9, 0
	s_delay_alu instid0(VALU_DEP_1) | instskip(NEXT) | instid1(VALU_DEP_1)
	v_and_b32_e32 v0, 0xff, v0
	v_cmp_ne_u32_e32 vcc_lo, 0, v0
	s_and_b32 s10, vcc_lo, exec_lo
	s_delay_alu instid0(SALU_CYCLE_1)
	s_or_b32 s7, s7, s10
	s_or_b32 exec_lo, exec_lo, s8
	v_mov_b32_e32 v4, s9
	s_and_saveexec_b32 s8, s7
	s_cbranch_execnz .LBB401_1000
	s_branch .LBB401_1001
.LBB401_1325:
	s_mov_b32 s0, -1
.LBB401_1326:
                                        ; implicit-def: $vgpr8
.LBB401_1327:
	s_and_b32 vcc_lo, exec_lo, s10
	s_cbranch_vccz .LBB401_1331
; %bb.1328:
	v_cmp_eq_u16_e32 vcc_lo, 44, v9
	s_cbranch_vccz .LBB401_1330
; %bb.1329:
	global_load_u8 v8, v[6:7], off
	s_mov_b32 s0, 0
	s_mov_b32 s3, -1
	s_waitcnt vmcnt(0)
	v_lshlrev_b32_e32 v11, 23, v8
	v_cmp_ne_u32_e32 vcc_lo, 0xff, v8
	s_delay_alu instid0(VALU_DEP_2) | instskip(SKIP_1) | instid1(VALU_DEP_2)
	v_cndmask_b32_e32 v11, 0x7f800001, v11, vcc_lo
	v_cmp_ne_u32_e32 vcc_lo, 0, v8
	v_cndmask_b32_e32 v8, 0x400000, v11, vcc_lo
	s_branch .LBB401_1331
.LBB401_1330:
	s_mov_b32 s0, -1
                                        ; implicit-def: $vgpr8
.LBB401_1331:
	s_mov_b32 s10, 0
.LBB401_1332:
	s_delay_alu instid0(SALU_CYCLE_1)
	s_and_b32 vcc_lo, exec_lo, s10
	s_cbranch_vccz .LBB401_1336
; %bb.1333:
	v_cmp_eq_u16_e32 vcc_lo, 29, v9
	s_cbranch_vccz .LBB401_1335
; %bb.1334:
	global_load_b64 v[11:12], v[6:7], off
	s_mov_b32 s0, 0
	s_mov_b32 s3, -1
	s_mov_b32 s10, 0
	s_waitcnt vmcnt(0)
	v_clz_i32_u32_e32 v8, v12
	s_delay_alu instid0(VALU_DEP_1) | instskip(NEXT) | instid1(VALU_DEP_1)
	v_min_u32_e32 v8, 32, v8
	v_lshlrev_b64 v[11:12], v8, v[11:12]
	v_sub_nc_u32_e32 v8, 32, v8
	s_delay_alu instid0(VALU_DEP_2) | instskip(NEXT) | instid1(VALU_DEP_1)
	v_min_u32_e32 v11, 1, v11
	v_or_b32_e32 v11, v12, v11
	s_delay_alu instid0(VALU_DEP_1) | instskip(NEXT) | instid1(VALU_DEP_1)
	v_cvt_f32_u32_e32 v11, v11
	v_ldexp_f32 v8, v11, v8
	s_branch .LBB401_1337
.LBB401_1335:
	s_mov_b32 s0, -1
                                        ; implicit-def: $vgpr8
.LBB401_1336:
	s_mov_b32 s10, 0
.LBB401_1337:
	s_delay_alu instid0(SALU_CYCLE_1)
	s_and_b32 vcc_lo, exec_lo, s10
	s_cbranch_vccz .LBB401_1355
; %bb.1338:
	v_cmp_gt_i16_e32 vcc_lo, 27, v9
	s_cbranch_vccnz .LBB401_1341
; %bb.1339:
	v_cmp_lt_i16_e32 vcc_lo, 27, v9
	s_cbranch_vccz .LBB401_1342
; %bb.1340:
	global_load_b32 v8, v[6:7], off
	s_mov_b32 s3, 0
	s_waitcnt vmcnt(0)
	v_cvt_f32_u32_e32 v8, v8
	s_branch .LBB401_1343
.LBB401_1341:
	s_mov_b32 s3, -1
                                        ; implicit-def: $vgpr8
	s_branch .LBB401_1346
.LBB401_1342:
	s_mov_b32 s3, -1
                                        ; implicit-def: $vgpr8
.LBB401_1343:
	s_delay_alu instid0(SALU_CYCLE_1)
	s_and_not1_b32 vcc_lo, exec_lo, s3
	s_cbranch_vccnz .LBB401_1345
; %bb.1344:
	global_load_u16 v8, v[6:7], off
	s_waitcnt vmcnt(0)
	v_cvt_f32_u32_e32 v8, v8
.LBB401_1345:
	s_mov_b32 s3, 0
.LBB401_1346:
	s_delay_alu instid0(SALU_CYCLE_1)
	s_and_not1_b32 vcc_lo, exec_lo, s3
	s_cbranch_vccnz .LBB401_1354
; %bb.1347:
	global_load_u8 v11, v[6:7], off
	s_mov_b32 s3, 0
	s_mov_b32 s11, exec_lo
                                        ; implicit-def: $sgpr10
	s_waitcnt vmcnt(0)
	v_cmpx_lt_i16_e32 0x7f, v11
	s_xor_b32 s11, exec_lo, s11
	s_cbranch_execz .LBB401_1367
; %bb.1348:
	s_mov_b32 s3, -1
	s_mov_b32 s12, exec_lo
                                        ; implicit-def: $sgpr10
	v_cmpx_eq_u16_e32 0x80, v11
; %bb.1349:
	s_mov_b32 s10, 0x7f800001
	s_xor_b32 s3, exec_lo, -1
; %bb.1350:
	s_or_b32 exec_lo, exec_lo, s12
	s_delay_alu instid0(SALU_CYCLE_1)
	s_and_b32 s3, s3, exec_lo
	s_or_saveexec_b32 s11, s11
	v_mov_b32_e32 v8, s10
	s_xor_b32 exec_lo, exec_lo, s11
	s_cbranch_execnz .LBB401_1368
.LBB401_1351:
	s_or_b32 exec_lo, exec_lo, s11
	s_and_saveexec_b32 s10, s3
	s_cbranch_execz .LBB401_1353
.LBB401_1352:
	v_and_b32_e32 v8, 0xffff, v11
	s_delay_alu instid0(VALU_DEP_1) | instskip(NEXT) | instid1(VALU_DEP_1)
	v_and_b32_e32 v12, 7, v8
	v_clz_i32_u32_e32 v13, v12
	s_delay_alu instid0(VALU_DEP_1) | instskip(NEXT) | instid1(VALU_DEP_1)
	v_min_u32_e32 v13, 32, v13
	v_subrev_nc_u32_e32 v14, 28, v13
	v_sub_nc_u32_e32 v13, 29, v13
	s_delay_alu instid0(VALU_DEP_2) | instskip(SKIP_1) | instid1(VALU_DEP_2)
	v_lshlrev_b32_e32 v14, v14, v8
	v_bfe_u32 v8, v8, 3, 4
	v_and_b32_e32 v14, 7, v14
	s_delay_alu instid0(VALU_DEP_2) | instskip(SKIP_1) | instid1(VALU_DEP_1)
	v_cmp_eq_u32_e32 vcc_lo, 0, v8
	v_dual_cndmask_b32 v8, v8, v13 :: v_dual_lshlrev_b32 v11, 24, v11
	v_dual_cndmask_b32 v12, v12, v14 :: v_dual_and_b32 v11, 0x80000000, v11
	s_delay_alu instid0(VALU_DEP_2) | instskip(NEXT) | instid1(VALU_DEP_2)
	v_lshl_add_u32 v8, v8, 23, 0x3b800000
	v_lshlrev_b32_e32 v12, 20, v12
	s_delay_alu instid0(VALU_DEP_1)
	v_or3_b32 v8, v11, v8, v12
.LBB401_1353:
	s_or_b32 exec_lo, exec_lo, s10
.LBB401_1354:
	s_mov_b32 s3, -1
.LBB401_1355:
	s_branch .LBB401_1388
.LBB401_1356:
	v_cmp_lt_i16_e32 vcc_lo, 22, v9
	s_cbranch_vccz .LBB401_1366
; %bb.1357:
	v_cmp_gt_i16_e32 vcc_lo, 24, v9
	s_cbranch_vccnz .LBB401_1369
; %bb.1358:
	v_cmp_lt_i16_e32 vcc_lo, 24, v9
	s_cbranch_vccz .LBB401_1370
; %bb.1359:
	global_load_u8 v11, v[6:7], off
	s_mov_b32 s10, exec_lo
                                        ; implicit-def: $sgpr3
	s_waitcnt vmcnt(0)
	v_cmpx_lt_i16_e32 0x7f, v11
	s_xor_b32 s10, exec_lo, s10
	s_cbranch_execz .LBB401_1382
; %bb.1360:
	s_mov_b32 s2, -1
	s_mov_b32 s11, exec_lo
                                        ; implicit-def: $sgpr3
	v_cmpx_eq_u16_e32 0x80, v11
; %bb.1361:
	s_mov_b32 s3, 0x7f800001
	s_xor_b32 s2, exec_lo, -1
; %bb.1362:
	s_or_b32 exec_lo, exec_lo, s11
	s_delay_alu instid0(SALU_CYCLE_1)
	s_and_b32 s2, s2, exec_lo
	s_or_saveexec_b32 s10, s10
	v_mov_b32_e32 v8, s3
	s_xor_b32 exec_lo, exec_lo, s10
	s_cbranch_execnz .LBB401_1383
.LBB401_1363:
	s_or_b32 exec_lo, exec_lo, s10
	s_and_saveexec_b32 s3, s2
	s_cbranch_execz .LBB401_1365
.LBB401_1364:
	v_and_b32_e32 v8, 0xffff, v11
	s_delay_alu instid0(VALU_DEP_1) | instskip(NEXT) | instid1(VALU_DEP_1)
	v_and_b32_e32 v12, 3, v8
	v_clz_i32_u32_e32 v13, v12
	s_delay_alu instid0(VALU_DEP_1) | instskip(NEXT) | instid1(VALU_DEP_1)
	v_min_u32_e32 v13, 32, v13
	v_subrev_nc_u32_e32 v14, 29, v13
	v_sub_nc_u32_e32 v13, 30, v13
	s_delay_alu instid0(VALU_DEP_2) | instskip(SKIP_1) | instid1(VALU_DEP_2)
	v_lshlrev_b32_e32 v14, v14, v8
	v_bfe_u32 v8, v8, 2, 5
	v_and_b32_e32 v14, 3, v14
	s_delay_alu instid0(VALU_DEP_2) | instskip(SKIP_1) | instid1(VALU_DEP_1)
	v_cmp_eq_u32_e32 vcc_lo, 0, v8
	v_dual_cndmask_b32 v8, v8, v13 :: v_dual_lshlrev_b32 v11, 24, v11
	v_dual_cndmask_b32 v12, v12, v14 :: v_dual_and_b32 v11, 0x80000000, v11
	s_delay_alu instid0(VALU_DEP_2) | instskip(NEXT) | instid1(VALU_DEP_2)
	v_lshl_add_u32 v8, v8, 23, 0x37800000
	v_lshlrev_b32_e32 v12, 21, v12
	s_delay_alu instid0(VALU_DEP_1)
	v_or3_b32 v8, v11, v8, v12
.LBB401_1365:
	s_or_b32 exec_lo, exec_lo, s3
	s_mov_b32 s2, 0
	s_branch .LBB401_1371
.LBB401_1366:
	s_mov_b32 s2, -1
                                        ; implicit-def: $vgpr8
	s_branch .LBB401_1377
.LBB401_1367:
	s_or_saveexec_b32 s11, s11
	v_mov_b32_e32 v8, s10
	s_xor_b32 exec_lo, exec_lo, s11
	s_cbranch_execz .LBB401_1351
.LBB401_1368:
	v_cmp_ne_u16_e32 vcc_lo, 0, v11
	v_mov_b32_e32 v8, 0
	s_and_not1_b32 s3, s3, exec_lo
	s_and_b32 s10, vcc_lo, exec_lo
	s_delay_alu instid0(SALU_CYCLE_1)
	s_or_b32 s3, s3, s10
	s_or_b32 exec_lo, exec_lo, s11
	s_and_saveexec_b32 s10, s3
	s_cbranch_execnz .LBB401_1352
	s_branch .LBB401_1353
.LBB401_1369:
	s_mov_b32 s2, -1
                                        ; implicit-def: $vgpr8
	s_branch .LBB401_1374
.LBB401_1370:
	s_mov_b32 s2, -1
                                        ; implicit-def: $vgpr8
.LBB401_1371:
	s_delay_alu instid0(SALU_CYCLE_1)
	s_and_b32 vcc_lo, exec_lo, s2
	s_cbranch_vccz .LBB401_1373
; %bb.1372:
	global_load_u8 v8, v[6:7], off
	s_waitcnt vmcnt(0)
	v_lshlrev_b32_e32 v8, 24, v8
	s_delay_alu instid0(VALU_DEP_1) | instskip(NEXT) | instid1(VALU_DEP_1)
	v_and_b32_e32 v11, 0x7f000000, v8
	v_clz_i32_u32_e32 v12, v11
	v_cmp_ne_u32_e32 vcc_lo, 0, v11
	v_add_nc_u32_e32 v14, 0x1000000, v11
	s_delay_alu instid0(VALU_DEP_3) | instskip(NEXT) | instid1(VALU_DEP_1)
	v_min_u32_e32 v12, 32, v12
	v_sub_nc_u32_e64 v12, v12, 4 clamp
	s_delay_alu instid0(VALU_DEP_1) | instskip(SKIP_1) | instid1(VALU_DEP_2)
	v_lshlrev_b32_e32 v13, v12, v11
	v_lshlrev_b32_e32 v12, 23, v12
	v_lshrrev_b32_e32 v13, 4, v13
	s_delay_alu instid0(VALU_DEP_1) | instskip(SKIP_1) | instid1(VALU_DEP_2)
	v_sub_nc_u32_e32 v12, v13, v12
	v_ashrrev_i32_e32 v13, 8, v14
	v_add_nc_u32_e32 v12, 0x3c000000, v12
	s_delay_alu instid0(VALU_DEP_1) | instskip(NEXT) | instid1(VALU_DEP_1)
	v_and_or_b32 v12, 0x7f800000, v13, v12
	v_cndmask_b32_e32 v11, 0, v12, vcc_lo
	s_delay_alu instid0(VALU_DEP_1)
	v_and_or_b32 v8, 0x80000000, v8, v11
.LBB401_1373:
	s_mov_b32 s2, 0
.LBB401_1374:
	s_delay_alu instid0(SALU_CYCLE_1)
	s_and_not1_b32 vcc_lo, exec_lo, s2
	s_cbranch_vccnz .LBB401_1376
; %bb.1375:
	global_load_u8 v8, v[6:7], off
	s_waitcnt vmcnt(0)
	v_lshlrev_b32_e32 v11, 25, v8
	v_lshlrev_b16 v8, 8, v8
	s_delay_alu instid0(VALU_DEP_2) | instskip(NEXT) | instid1(VALU_DEP_2)
	v_lshrrev_b32_e32 v12, 4, v11
	v_and_or_b32 v13, 0x7f00, v8, 0.5
	v_cmp_gt_u32_e32 vcc_lo, 0x8000000, v11
	v_bfe_i32 v8, v8, 0, 16
	s_delay_alu instid0(VALU_DEP_4) | instskip(NEXT) | instid1(VALU_DEP_1)
	v_or_b32_e32 v12, 0x70000000, v12
	v_dual_add_f32 v13, -0.5, v13 :: v_dual_mul_f32 v12, 0x7800000, v12
	s_delay_alu instid0(VALU_DEP_1) | instskip(NEXT) | instid1(VALU_DEP_1)
	v_cndmask_b32_e32 v11, v12, v13, vcc_lo
	v_and_or_b32 v8, 0x80000000, v8, v11
.LBB401_1376:
	s_mov_b32 s2, 0
	s_mov_b32 s3, -1
.LBB401_1377:
	s_and_not1_b32 vcc_lo, exec_lo, s2
	s_mov_b32 s2, 0
	s_cbranch_vccnz .LBB401_1388
; %bb.1378:
	v_cmp_lt_i16_e32 vcc_lo, 14, v9
	s_cbranch_vccz .LBB401_1381
; %bb.1379:
	v_cmp_eq_u16_e32 vcc_lo, 15, v9
	s_cbranch_vccz .LBB401_1384
; %bb.1380:
	global_load_u16 v8, v[6:7], off
	s_mov_b32 s0, 0
	s_mov_b32 s3, -1
	s_waitcnt vmcnt(0)
	v_lshlrev_b32_e32 v8, 16, v8
	s_branch .LBB401_1386
.LBB401_1381:
	s_mov_b32 s2, -1
	s_branch .LBB401_1385
.LBB401_1382:
	s_or_saveexec_b32 s10, s10
	v_mov_b32_e32 v8, s3
	s_xor_b32 exec_lo, exec_lo, s10
	s_cbranch_execz .LBB401_1363
.LBB401_1383:
	v_cmp_ne_u16_e32 vcc_lo, 0, v11
	v_mov_b32_e32 v8, 0
	s_and_not1_b32 s2, s2, exec_lo
	s_and_b32 s3, vcc_lo, exec_lo
	s_delay_alu instid0(SALU_CYCLE_1)
	s_or_b32 s2, s2, s3
	s_or_b32 exec_lo, exec_lo, s10
	s_and_saveexec_b32 s3, s2
	s_cbranch_execnz .LBB401_1364
	s_branch .LBB401_1365
.LBB401_1384:
	s_mov_b32 s0, -1
.LBB401_1385:
                                        ; implicit-def: $vgpr8
.LBB401_1386:
	s_and_b32 vcc_lo, exec_lo, s2
	s_mov_b32 s2, 0
	s_cbranch_vccz .LBB401_1388
; %bb.1387:
	v_cmp_ne_u16_e64 s0, 11, v9
	s_mov_b32 s2, -1
                                        ; implicit-def: $vgpr8
.LBB401_1388:
	s_delay_alu instid0(VALU_DEP_1)
	s_and_b32 vcc_lo, exec_lo, s0
	s_cbranch_vccnz .LBB401_1412
; %bb.1389:
	s_and_not1_b32 vcc_lo, exec_lo, s2
	s_cbranch_vccnz .LBB401_1391
.LBB401_1390:
	global_load_u8 v8, v[6:7], off
	s_mov_b32 s3, -1
	s_waitcnt vmcnt(0)
	v_cmp_ne_u16_e32 vcc_lo, 0, v8
	v_cndmask_b32_e64 v8, 0, 1.0, vcc_lo
.LBB401_1391:
.LBB401_1392:
	s_and_not1_b32 vcc_lo, exec_lo, s3
	s_cbranch_vccnz .LBB401_2049
.LBB401_1393:
	v_cmp_gt_i16_e32 vcc_lo, 11, v9
	v_add_co_u32 v5, s0, s6, v5
	s_delay_alu instid0(VALU_DEP_1)
	v_add_co_ci_u32_e64 v6, null, s7, 0, s0
	s_mov_b32 s3, 0
	s_cbranch_vccnz .LBB401_1400
; %bb.1394:
	v_cmp_lt_i16_e32 vcc_lo, 25, v9
	s_mov_b32 s2, 0
	s_cbranch_vccz .LBB401_1406
; %bb.1395:
	v_cmp_lt_i16_e32 vcc_lo, 28, v9
	s_cbranch_vccz .LBB401_1408
; %bb.1396:
	v_cmp_lt_i16_e32 vcc_lo, 43, v9
	;; [unrolled: 3-line block ×3, first 2 shown]
	s_cbranch_vccz .LBB401_1414
; %bb.1398:
	v_cmp_eq_u16_e32 vcc_lo, 46, v9
	s_mov_b32 s10, 0
	s_cbranch_vccz .LBB401_1457
; %bb.1399:
	global_load_b32 v7, v[5:6], off
	s_mov_b32 s0, 0
	s_mov_b32 s3, -1
	s_waitcnt vmcnt(0)
	v_lshlrev_b32_e32 v7, 16, v7
	s_branch .LBB401_1459
.LBB401_1400:
                                        ; implicit-def: $vgpr7
	s_cbranch_execz .LBB401_1525
; %bb.1401:
	v_cmp_gt_i16_e32 vcc_lo, 5, v9
	s_cbranch_vccnz .LBB401_1407
; %bb.1402:
	v_cmp_gt_i16_e32 vcc_lo, 8, v9
	s_cbranch_vccnz .LBB401_1409
; %bb.1403:
	v_cmp_gt_i16_e32 vcc_lo, 9, v9
	s_cbranch_vccnz .LBB401_1411
; %bb.1404:
	v_cmp_lt_i16_e32 vcc_lo, 9, v9
	s_cbranch_vccz .LBB401_1415
; %bb.1405:
	global_load_b64 v[11:12], v[5:6], off
	s_mov_b32 s0, 0
	s_waitcnt vmcnt(0)
	v_cvt_f32_f64_e32 v7, v[11:12]
	s_branch .LBB401_1416
.LBB401_1406:
	s_mov_b32 s10, -1
	s_mov_b32 s0, 0
                                        ; implicit-def: $vgpr7
	s_branch .LBB401_1488
.LBB401_1407:
	s_mov_b32 s0, -1
                                        ; implicit-def: $vgpr7
	s_branch .LBB401_1434
.LBB401_1408:
	s_mov_b32 s10, -1
	s_mov_b32 s0, 0
                                        ; implicit-def: $vgpr7
	s_branch .LBB401_1469
.LBB401_1409:
	s_mov_b32 s0, -1
                                        ; implicit-def: $vgpr7
	s_branch .LBB401_1422
.LBB401_1410:
	s_mov_b32 s10, -1
	s_mov_b32 s0, 0
                                        ; implicit-def: $vgpr7
	s_branch .LBB401_1464
.LBB401_1411:
	s_mov_b32 s0, -1
                                        ; implicit-def: $vgpr7
	s_branch .LBB401_1419
.LBB401_1412:
	s_cbranch_execnz .LBB401_1455
; %bb.1413:
	s_or_b32 s1, s1, exec_lo
                                        ; implicit-def: $vgpr8
	s_cbranch_execz .LBB401_1390
	s_branch .LBB401_1391
.LBB401_1414:
	s_mov_b32 s10, -1
	s_mov_b32 s0, 0
	s_branch .LBB401_1458
.LBB401_1415:
	s_mov_b32 s0, -1
                                        ; implicit-def: $vgpr7
.LBB401_1416:
	s_delay_alu instid0(SALU_CYCLE_1)
	s_and_not1_b32 vcc_lo, exec_lo, s0
	s_cbranch_vccnz .LBB401_1418
; %bb.1417:
	global_load_b32 v7, v[5:6], off
.LBB401_1418:
	s_mov_b32 s0, 0
.LBB401_1419:
	s_delay_alu instid0(SALU_CYCLE_1)
	s_and_not1_b32 vcc_lo, exec_lo, s0
	s_cbranch_vccnz .LBB401_1421
; %bb.1420:
	global_load_b32 v7, v[5:6], off
	s_waitcnt vmcnt(0)
	v_cvt_f32_f16_e32 v7, v7
.LBB401_1421:
	s_mov_b32 s0, 0
.LBB401_1422:
	s_delay_alu instid0(SALU_CYCLE_1)
	s_and_not1_b32 vcc_lo, exec_lo, s0
	s_cbranch_vccnz .LBB401_1433
; %bb.1423:
	v_cmp_gt_i16_e32 vcc_lo, 6, v9
	s_cbranch_vccnz .LBB401_1426
; %bb.1424:
	v_cmp_lt_i16_e32 vcc_lo, 6, v9
	s_cbranch_vccz .LBB401_1427
; %bb.1425:
	global_load_b64 v[11:12], v[5:6], off
	s_mov_b32 s0, 0
	s_waitcnt vmcnt(0)
	v_cvt_f32_f64_e32 v7, v[11:12]
	s_branch .LBB401_1428
.LBB401_1426:
	s_mov_b32 s0, -1
                                        ; implicit-def: $vgpr7
	s_branch .LBB401_1431
.LBB401_1427:
	s_mov_b32 s0, -1
                                        ; implicit-def: $vgpr7
.LBB401_1428:
	s_delay_alu instid0(SALU_CYCLE_1)
	s_and_not1_b32 vcc_lo, exec_lo, s0
	s_cbranch_vccnz .LBB401_1430
; %bb.1429:
	global_load_b32 v7, v[5:6], off
.LBB401_1430:
	s_mov_b32 s0, 0
.LBB401_1431:
	s_delay_alu instid0(SALU_CYCLE_1)
	s_and_not1_b32 vcc_lo, exec_lo, s0
	s_cbranch_vccnz .LBB401_1433
; %bb.1432:
	global_load_u16 v7, v[5:6], off
	s_waitcnt vmcnt(0)
	v_cvt_f32_f16_e32 v7, v7
.LBB401_1433:
	s_mov_b32 s0, 0
.LBB401_1434:
	s_delay_alu instid0(SALU_CYCLE_1)
	s_and_not1_b32 vcc_lo, exec_lo, s0
	s_cbranch_vccnz .LBB401_1454
; %bb.1435:
	v_cmp_gt_i16_e32 vcc_lo, 2, v9
	s_cbranch_vccnz .LBB401_1439
; %bb.1436:
	v_cmp_gt_i16_e32 vcc_lo, 3, v9
	s_cbranch_vccnz .LBB401_1440
; %bb.1437:
	v_cmp_lt_i16_e32 vcc_lo, 3, v9
	s_cbranch_vccz .LBB401_1441
; %bb.1438:
	global_load_b64 v[11:12], v[5:6], off
	s_mov_b32 s0, 0
	s_waitcnt vmcnt(0)
	v_xor_b32_e32 v7, v11, v12
	v_cls_i32_e32 v13, v12
	s_delay_alu instid0(VALU_DEP_2) | instskip(NEXT) | instid1(VALU_DEP_2)
	v_ashrrev_i32_e32 v7, 31, v7
	v_add_nc_u32_e32 v13, -1, v13
	s_delay_alu instid0(VALU_DEP_2) | instskip(NEXT) | instid1(VALU_DEP_1)
	v_add_nc_u32_e32 v7, 32, v7
	v_min_u32_e32 v7, v13, v7
	s_delay_alu instid0(VALU_DEP_1) | instskip(SKIP_1) | instid1(VALU_DEP_2)
	v_lshlrev_b64 v[11:12], v7, v[11:12]
	v_sub_nc_u32_e32 v7, 32, v7
	v_min_u32_e32 v11, 1, v11
	s_delay_alu instid0(VALU_DEP_1) | instskip(NEXT) | instid1(VALU_DEP_1)
	v_or_b32_e32 v11, v12, v11
	v_cvt_f32_i32_e32 v11, v11
	s_delay_alu instid0(VALU_DEP_1)
	v_ldexp_f32 v7, v11, v7
	s_branch .LBB401_1442
.LBB401_1439:
	s_mov_b32 s0, -1
                                        ; implicit-def: $vgpr7
	s_branch .LBB401_1448
.LBB401_1440:
	s_mov_b32 s0, -1
                                        ; implicit-def: $vgpr7
	s_branch .LBB401_1445
.LBB401_1441:
	s_mov_b32 s0, -1
                                        ; implicit-def: $vgpr7
.LBB401_1442:
	s_delay_alu instid0(SALU_CYCLE_1)
	s_and_not1_b32 vcc_lo, exec_lo, s0
	s_cbranch_vccnz .LBB401_1444
; %bb.1443:
	global_load_b32 v7, v[5:6], off
	s_waitcnt vmcnt(0)
	v_cvt_f32_i32_e32 v7, v7
.LBB401_1444:
	s_mov_b32 s0, 0
.LBB401_1445:
	s_delay_alu instid0(SALU_CYCLE_1)
	s_and_not1_b32 vcc_lo, exec_lo, s0
	s_cbranch_vccnz .LBB401_1447
; %bb.1446:
	global_load_i16 v7, v[5:6], off
	s_waitcnt vmcnt(0)
	v_cvt_f32_i32_e32 v7, v7
.LBB401_1447:
	s_mov_b32 s0, 0
.LBB401_1448:
	s_delay_alu instid0(SALU_CYCLE_1)
	s_and_not1_b32 vcc_lo, exec_lo, s0
	s_cbranch_vccnz .LBB401_1454
; %bb.1449:
	v_cmp_lt_i16_e32 vcc_lo, 0, v9
	s_mov_b32 s0, 0
	s_cbranch_vccz .LBB401_1451
; %bb.1450:
	global_load_i8 v7, v[5:6], off
	s_waitcnt vmcnt(0)
	v_cvt_f32_i32_e32 v7, v7
	s_branch .LBB401_1452
.LBB401_1451:
	s_mov_b32 s0, -1
                                        ; implicit-def: $vgpr7
.LBB401_1452:
	s_delay_alu instid0(SALU_CYCLE_1)
	s_and_not1_b32 vcc_lo, exec_lo, s0
	s_cbranch_vccnz .LBB401_1454
; %bb.1453:
	global_load_u8 v5, v[5:6], off
	s_waitcnt vmcnt(0)
	v_cvt_f32_ubyte0_e32 v7, v5
.LBB401_1454:
	s_branch .LBB401_1526
.LBB401_1455:
	s_trap 2
	s_sendmsg_rtn_b32 s0, sendmsg(MSG_RTN_GET_DOORBELL)
	s_mov_b32 ttmp2, m0
	s_waitcnt lgkmcnt(0)
	s_and_b32 s0, s0, 0x3ff
	s_delay_alu instid0(SALU_CYCLE_1) | instskip(NEXT) | instid1(SALU_CYCLE_1)
	s_bitset1_b32 s0, 10
	s_mov_b32 m0, s0
	s_sendmsg sendmsg(MSG_INTERRUPT)
	s_mov_b32 m0, ttmp2
.LBB401_1456:                           ; =>This Inner Loop Header: Depth=1
	s_sethalt 5
	s_branch .LBB401_1456
.LBB401_1457:
	s_mov_b32 s0, -1
.LBB401_1458:
                                        ; implicit-def: $vgpr7
.LBB401_1459:
	s_and_b32 vcc_lo, exec_lo, s10
	s_cbranch_vccz .LBB401_1463
; %bb.1460:
	v_cmp_eq_u16_e32 vcc_lo, 44, v9
	s_cbranch_vccz .LBB401_1462
; %bb.1461:
	global_load_u8 v7, v[5:6], off
	s_mov_b32 s0, 0
	s_mov_b32 s3, -1
	s_waitcnt vmcnt(0)
	v_lshlrev_b32_e32 v11, 23, v7
	v_cmp_ne_u32_e32 vcc_lo, 0xff, v7
	s_delay_alu instid0(VALU_DEP_2) | instskip(SKIP_1) | instid1(VALU_DEP_2)
	v_cndmask_b32_e32 v11, 0x7f800001, v11, vcc_lo
	v_cmp_ne_u32_e32 vcc_lo, 0, v7
	v_cndmask_b32_e32 v7, 0x400000, v11, vcc_lo
	s_branch .LBB401_1463
.LBB401_1462:
	s_mov_b32 s0, -1
                                        ; implicit-def: $vgpr7
.LBB401_1463:
	s_mov_b32 s10, 0
.LBB401_1464:
	s_delay_alu instid0(SALU_CYCLE_1)
	s_and_b32 vcc_lo, exec_lo, s10
	s_cbranch_vccz .LBB401_1468
; %bb.1465:
	v_cmp_eq_u16_e32 vcc_lo, 29, v9
	s_cbranch_vccz .LBB401_1467
; %bb.1466:
	global_load_b64 v[11:12], v[5:6], off
	s_mov_b32 s0, 0
	s_mov_b32 s3, -1
	s_mov_b32 s10, 0
	s_waitcnt vmcnt(0)
	v_clz_i32_u32_e32 v7, v12
	s_delay_alu instid0(VALU_DEP_1) | instskip(NEXT) | instid1(VALU_DEP_1)
	v_min_u32_e32 v7, 32, v7
	v_lshlrev_b64 v[11:12], v7, v[11:12]
	v_sub_nc_u32_e32 v7, 32, v7
	s_delay_alu instid0(VALU_DEP_2) | instskip(NEXT) | instid1(VALU_DEP_1)
	v_min_u32_e32 v11, 1, v11
	v_or_b32_e32 v11, v12, v11
	s_delay_alu instid0(VALU_DEP_1) | instskip(NEXT) | instid1(VALU_DEP_1)
	v_cvt_f32_u32_e32 v11, v11
	v_ldexp_f32 v7, v11, v7
	s_branch .LBB401_1469
.LBB401_1467:
	s_mov_b32 s0, -1
                                        ; implicit-def: $vgpr7
.LBB401_1468:
	s_mov_b32 s10, 0
.LBB401_1469:
	s_delay_alu instid0(SALU_CYCLE_1)
	s_and_b32 vcc_lo, exec_lo, s10
	s_cbranch_vccz .LBB401_1487
; %bb.1470:
	v_cmp_gt_i16_e32 vcc_lo, 27, v9
	s_cbranch_vccnz .LBB401_1473
; %bb.1471:
	v_cmp_lt_i16_e32 vcc_lo, 27, v9
	s_cbranch_vccz .LBB401_1474
; %bb.1472:
	global_load_b32 v7, v[5:6], off
	s_mov_b32 s3, 0
	s_waitcnt vmcnt(0)
	v_cvt_f32_u32_e32 v7, v7
	s_branch .LBB401_1475
.LBB401_1473:
	s_mov_b32 s3, -1
                                        ; implicit-def: $vgpr7
	s_branch .LBB401_1478
.LBB401_1474:
	s_mov_b32 s3, -1
                                        ; implicit-def: $vgpr7
.LBB401_1475:
	s_delay_alu instid0(SALU_CYCLE_1)
	s_and_not1_b32 vcc_lo, exec_lo, s3
	s_cbranch_vccnz .LBB401_1477
; %bb.1476:
	global_load_u16 v7, v[5:6], off
	s_waitcnt vmcnt(0)
	v_cvt_f32_u32_e32 v7, v7
.LBB401_1477:
	s_mov_b32 s3, 0
.LBB401_1478:
	s_delay_alu instid0(SALU_CYCLE_1)
	s_and_not1_b32 vcc_lo, exec_lo, s3
	s_cbranch_vccnz .LBB401_1486
; %bb.1479:
	global_load_u8 v11, v[5:6], off
	s_mov_b32 s3, 0
	s_mov_b32 s11, exec_lo
                                        ; implicit-def: $sgpr10
	s_waitcnt vmcnt(0)
	v_cmpx_lt_i16_e32 0x7f, v11
	s_xor_b32 s11, exec_lo, s11
	s_cbranch_execz .LBB401_1500
; %bb.1480:
	s_mov_b32 s3, -1
	s_mov_b32 s12, exec_lo
                                        ; implicit-def: $sgpr10
	v_cmpx_eq_u16_e32 0x80, v11
; %bb.1481:
	s_mov_b32 s10, 0x7f800001
	s_xor_b32 s3, exec_lo, -1
; %bb.1482:
	s_or_b32 exec_lo, exec_lo, s12
	s_delay_alu instid0(SALU_CYCLE_1)
	s_and_b32 s3, s3, exec_lo
	s_or_saveexec_b32 s11, s11
	v_mov_b32_e32 v7, s10
	s_xor_b32 exec_lo, exec_lo, s11
	s_cbranch_execnz .LBB401_1501
.LBB401_1483:
	s_or_b32 exec_lo, exec_lo, s11
	s_and_saveexec_b32 s10, s3
	s_cbranch_execz .LBB401_1485
.LBB401_1484:
	v_and_b32_e32 v7, 0xffff, v11
	v_lshlrev_b32_e32 v11, 24, v11
	s_delay_alu instid0(VALU_DEP_2) | instskip(NEXT) | instid1(VALU_DEP_2)
	v_and_b32_e32 v12, 7, v7
	v_and_b32_e32 v11, 0x80000000, v11
	s_delay_alu instid0(VALU_DEP_2) | instskip(NEXT) | instid1(VALU_DEP_1)
	v_clz_i32_u32_e32 v13, v12
	v_min_u32_e32 v13, 32, v13
	s_delay_alu instid0(VALU_DEP_1) | instskip(SKIP_1) | instid1(VALU_DEP_2)
	v_subrev_nc_u32_e32 v14, 28, v13
	v_sub_nc_u32_e32 v13, 29, v13
	v_lshlrev_b32_e32 v14, v14, v7
	v_bfe_u32 v7, v7, 3, 4
	s_delay_alu instid0(VALU_DEP_2) | instskip(NEXT) | instid1(VALU_DEP_2)
	v_and_b32_e32 v14, 7, v14
	v_cmp_eq_u32_e32 vcc_lo, 0, v7
	s_delay_alu instid0(VALU_DEP_2) | instskip(NEXT) | instid1(VALU_DEP_1)
	v_dual_cndmask_b32 v7, v7, v13 :: v_dual_cndmask_b32 v12, v12, v14
	v_lshl_add_u32 v7, v7, 23, 0x3b800000
	s_delay_alu instid0(VALU_DEP_2) | instskip(NEXT) | instid1(VALU_DEP_1)
	v_lshlrev_b32_e32 v12, 20, v12
	v_or3_b32 v7, v11, v7, v12
.LBB401_1485:
	s_or_b32 exec_lo, exec_lo, s10
.LBB401_1486:
	s_mov_b32 s3, -1
.LBB401_1487:
	s_mov_b32 s10, 0
.LBB401_1488:
	s_delay_alu instid0(SALU_CYCLE_1)
	s_and_b32 vcc_lo, exec_lo, s10
	s_cbranch_vccz .LBB401_1521
; %bb.1489:
	v_cmp_lt_i16_e32 vcc_lo, 22, v9
	s_cbranch_vccz .LBB401_1499
; %bb.1490:
	v_cmp_gt_i16_e32 vcc_lo, 24, v9
	s_cbranch_vccnz .LBB401_1502
; %bb.1491:
	v_cmp_lt_i16_e32 vcc_lo, 24, v9
	s_cbranch_vccz .LBB401_1503
; %bb.1492:
	global_load_u8 v11, v[5:6], off
	s_mov_b32 s10, exec_lo
                                        ; implicit-def: $sgpr3
	s_waitcnt vmcnt(0)
	v_cmpx_lt_i16_e32 0x7f, v11
	s_xor_b32 s10, exec_lo, s10
	s_cbranch_execz .LBB401_1515
; %bb.1493:
	s_mov_b32 s2, -1
	s_mov_b32 s11, exec_lo
                                        ; implicit-def: $sgpr3
	v_cmpx_eq_u16_e32 0x80, v11
; %bb.1494:
	s_mov_b32 s3, 0x7f800001
	s_xor_b32 s2, exec_lo, -1
; %bb.1495:
	s_or_b32 exec_lo, exec_lo, s11
	s_delay_alu instid0(SALU_CYCLE_1)
	s_and_b32 s2, s2, exec_lo
	s_or_saveexec_b32 s10, s10
	v_mov_b32_e32 v7, s3
	s_xor_b32 exec_lo, exec_lo, s10
	s_cbranch_execnz .LBB401_1516
.LBB401_1496:
	s_or_b32 exec_lo, exec_lo, s10
	s_and_saveexec_b32 s3, s2
	s_cbranch_execz .LBB401_1498
.LBB401_1497:
	v_and_b32_e32 v7, 0xffff, v11
	v_lshlrev_b32_e32 v11, 24, v11
	s_delay_alu instid0(VALU_DEP_2) | instskip(NEXT) | instid1(VALU_DEP_2)
	v_and_b32_e32 v12, 3, v7
	v_and_b32_e32 v11, 0x80000000, v11
	s_delay_alu instid0(VALU_DEP_2) | instskip(NEXT) | instid1(VALU_DEP_1)
	v_clz_i32_u32_e32 v13, v12
	v_min_u32_e32 v13, 32, v13
	s_delay_alu instid0(VALU_DEP_1) | instskip(SKIP_1) | instid1(VALU_DEP_2)
	v_subrev_nc_u32_e32 v14, 29, v13
	v_sub_nc_u32_e32 v13, 30, v13
	v_lshlrev_b32_e32 v14, v14, v7
	v_bfe_u32 v7, v7, 2, 5
	s_delay_alu instid0(VALU_DEP_2) | instskip(NEXT) | instid1(VALU_DEP_2)
	v_and_b32_e32 v14, 3, v14
	v_cmp_eq_u32_e32 vcc_lo, 0, v7
	s_delay_alu instid0(VALU_DEP_2) | instskip(NEXT) | instid1(VALU_DEP_1)
	v_dual_cndmask_b32 v7, v7, v13 :: v_dual_cndmask_b32 v12, v12, v14
	v_lshl_add_u32 v7, v7, 23, 0x37800000
	s_delay_alu instid0(VALU_DEP_2) | instskip(NEXT) | instid1(VALU_DEP_1)
	v_lshlrev_b32_e32 v12, 21, v12
	v_or3_b32 v7, v11, v7, v12
.LBB401_1498:
	s_or_b32 exec_lo, exec_lo, s3
	s_mov_b32 s2, 0
	s_branch .LBB401_1504
.LBB401_1499:
	s_mov_b32 s2, -1
                                        ; implicit-def: $vgpr7
	s_branch .LBB401_1510
.LBB401_1500:
	s_or_saveexec_b32 s11, s11
	v_mov_b32_e32 v7, s10
	s_xor_b32 exec_lo, exec_lo, s11
	s_cbranch_execz .LBB401_1483
.LBB401_1501:
	v_cmp_ne_u16_e32 vcc_lo, 0, v11
	v_mov_b32_e32 v7, 0
	s_and_not1_b32 s3, s3, exec_lo
	s_and_b32 s10, vcc_lo, exec_lo
	s_delay_alu instid0(SALU_CYCLE_1)
	s_or_b32 s3, s3, s10
	s_or_b32 exec_lo, exec_lo, s11
	s_and_saveexec_b32 s10, s3
	s_cbranch_execnz .LBB401_1484
	s_branch .LBB401_1485
.LBB401_1502:
	s_mov_b32 s2, -1
                                        ; implicit-def: $vgpr7
	s_branch .LBB401_1507
.LBB401_1503:
	s_mov_b32 s2, -1
                                        ; implicit-def: $vgpr7
.LBB401_1504:
	s_delay_alu instid0(SALU_CYCLE_1)
	s_and_b32 vcc_lo, exec_lo, s2
	s_cbranch_vccz .LBB401_1506
; %bb.1505:
	global_load_u8 v7, v[5:6], off
	s_waitcnt vmcnt(0)
	v_lshlrev_b32_e32 v7, 24, v7
	s_delay_alu instid0(VALU_DEP_1) | instskip(NEXT) | instid1(VALU_DEP_1)
	v_and_b32_e32 v11, 0x7f000000, v7
	v_clz_i32_u32_e32 v12, v11
	v_cmp_ne_u32_e32 vcc_lo, 0, v11
	v_add_nc_u32_e32 v14, 0x1000000, v11
	s_delay_alu instid0(VALU_DEP_3) | instskip(NEXT) | instid1(VALU_DEP_1)
	v_min_u32_e32 v12, 32, v12
	v_sub_nc_u32_e64 v12, v12, 4 clamp
	s_delay_alu instid0(VALU_DEP_1) | instskip(SKIP_1) | instid1(VALU_DEP_2)
	v_lshlrev_b32_e32 v13, v12, v11
	v_lshlrev_b32_e32 v12, 23, v12
	v_lshrrev_b32_e32 v13, 4, v13
	s_delay_alu instid0(VALU_DEP_1) | instskip(SKIP_1) | instid1(VALU_DEP_2)
	v_sub_nc_u32_e32 v12, v13, v12
	v_ashrrev_i32_e32 v13, 8, v14
	v_add_nc_u32_e32 v12, 0x3c000000, v12
	s_delay_alu instid0(VALU_DEP_1) | instskip(NEXT) | instid1(VALU_DEP_1)
	v_and_or_b32 v12, 0x7f800000, v13, v12
	v_cndmask_b32_e32 v11, 0, v12, vcc_lo
	s_delay_alu instid0(VALU_DEP_1)
	v_and_or_b32 v7, 0x80000000, v7, v11
.LBB401_1506:
	s_mov_b32 s2, 0
.LBB401_1507:
	s_delay_alu instid0(SALU_CYCLE_1)
	s_and_not1_b32 vcc_lo, exec_lo, s2
	s_cbranch_vccnz .LBB401_1509
; %bb.1508:
	global_load_u8 v7, v[5:6], off
	s_waitcnt vmcnt(0)
	v_lshlrev_b32_e32 v11, 25, v7
	v_lshlrev_b16 v7, 8, v7
	s_delay_alu instid0(VALU_DEP_2) | instskip(NEXT) | instid1(VALU_DEP_2)
	v_lshrrev_b32_e32 v12, 4, v11
	v_and_or_b32 v13, 0x7f00, v7, 0.5
	v_bfe_i32 v7, v7, 0, 16
	s_delay_alu instid0(VALU_DEP_3) | instskip(NEXT) | instid1(VALU_DEP_1)
	v_or_b32_e32 v12, 0x70000000, v12
	v_dual_add_f32 v13, -0.5, v13 :: v_dual_mul_f32 v12, 0x7800000, v12
	v_cmp_gt_u32_e32 vcc_lo, 0x8000000, v11
	s_delay_alu instid0(VALU_DEP_2) | instskip(NEXT) | instid1(VALU_DEP_1)
	v_cndmask_b32_e32 v11, v12, v13, vcc_lo
	v_and_or_b32 v7, 0x80000000, v7, v11
.LBB401_1509:
	s_mov_b32 s2, 0
	s_mov_b32 s3, -1
.LBB401_1510:
	s_and_not1_b32 vcc_lo, exec_lo, s2
	s_mov_b32 s2, 0
	s_cbranch_vccnz .LBB401_1521
; %bb.1511:
	v_cmp_lt_i16_e32 vcc_lo, 14, v9
	s_cbranch_vccz .LBB401_1514
; %bb.1512:
	v_cmp_eq_u16_e32 vcc_lo, 15, v9
	s_cbranch_vccz .LBB401_1517
; %bb.1513:
	global_load_u16 v7, v[5:6], off
	s_mov_b32 s0, 0
	s_mov_b32 s3, -1
	s_waitcnt vmcnt(0)
	v_lshlrev_b32_e32 v7, 16, v7
	s_branch .LBB401_1519
.LBB401_1514:
	s_mov_b32 s2, -1
	s_branch .LBB401_1518
.LBB401_1515:
	s_or_saveexec_b32 s10, s10
	v_mov_b32_e32 v7, s3
	s_xor_b32 exec_lo, exec_lo, s10
	s_cbranch_execz .LBB401_1496
.LBB401_1516:
	v_cmp_ne_u16_e32 vcc_lo, 0, v11
	v_mov_b32_e32 v7, 0
	s_and_not1_b32 s2, s2, exec_lo
	s_and_b32 s3, vcc_lo, exec_lo
	s_delay_alu instid0(SALU_CYCLE_1)
	s_or_b32 s2, s2, s3
	s_or_b32 exec_lo, exec_lo, s10
	s_and_saveexec_b32 s3, s2
	s_cbranch_execnz .LBB401_1497
	s_branch .LBB401_1498
.LBB401_1517:
	s_mov_b32 s0, -1
.LBB401_1518:
                                        ; implicit-def: $vgpr7
.LBB401_1519:
	s_and_b32 vcc_lo, exec_lo, s2
	s_mov_b32 s2, 0
	s_cbranch_vccz .LBB401_1521
; %bb.1520:
	v_cmp_ne_u16_e64 s0, 11, v9
	s_mov_b32 s2, -1
                                        ; implicit-def: $vgpr7
.LBB401_1521:
	s_delay_alu instid0(VALU_DEP_1)
	s_and_b32 vcc_lo, exec_lo, s0
	s_cbranch_vccnz .LBB401_1537
; %bb.1522:
	s_and_not1_b32 vcc_lo, exec_lo, s2
	s_cbranch_vccnz .LBB401_1524
.LBB401_1523:
	global_load_u8 v7, v[5:6], off
	s_mov_b32 s3, -1
	s_waitcnt vmcnt(0)
	v_cmp_ne_u16_e32 vcc_lo, 0, v7
	v_cndmask_b32_e64 v7, 0, 1.0, vcc_lo
.LBB401_1524:
.LBB401_1525:
	s_and_not1_b32 vcc_lo, exec_lo, s3
	s_cbranch_vccnz .LBB401_2049
.LBB401_1526:
	v_cmp_gt_i16_e32 vcc_lo, 11, v9
	v_add_co_u32 v4, s0, s6, v4
	s_delay_alu instid0(VALU_DEP_1)
	v_add_co_ci_u32_e64 v5, null, s7, 0, s0
	s_mov_b32 s3, 0
	s_cbranch_vccnz .LBB401_1533
; %bb.1527:
	v_cmp_lt_i16_e32 vcc_lo, 25, v9
	s_mov_b32 s2, 0
	s_cbranch_vccz .LBB401_1534
; %bb.1528:
	v_cmp_lt_i16_e32 vcc_lo, 28, v9
	s_cbranch_vccz .LBB401_1535
; %bb.1529:
	v_cmp_lt_i16_e32 vcc_lo, 43, v9
	;; [unrolled: 3-line block ×3, first 2 shown]
	s_cbranch_vccz .LBB401_1539
; %bb.1531:
	v_cmp_eq_u16_e32 vcc_lo, 46, v9
	s_mov_b32 s6, 0
	s_cbranch_vccz .LBB401_1542
; %bb.1532:
	global_load_b32 v6, v[4:5], off
	s_mov_b32 s0, 0
	s_mov_b32 s3, -1
	s_waitcnt vmcnt(0)
	v_lshlrev_b32_e32 v11, 16, v6
	s_branch .LBB401_1544
.LBB401_1533:
	s_mov_b32 s0, -1
                                        ; implicit-def: $vgpr11
	s_branch .LBB401_1610
.LBB401_1534:
	s_mov_b32 s6, -1
	s_mov_b32 s0, 0
                                        ; implicit-def: $vgpr11
	s_branch .LBB401_1573
.LBB401_1535:
	s_mov_b32 s6, -1
	s_mov_b32 s0, 0
                                        ; implicit-def: $vgpr11
	s_branch .LBB401_1554
.LBB401_1536:
	s_mov_b32 s6, -1
	s_mov_b32 s0, 0
                                        ; implicit-def: $vgpr11
	s_branch .LBB401_1549
.LBB401_1537:
	s_cbranch_execnz .LBB401_1540
; %bb.1538:
	s_or_b32 s1, s1, exec_lo
                                        ; implicit-def: $vgpr7
	s_cbranch_execz .LBB401_1523
	s_branch .LBB401_1524
.LBB401_1539:
	s_mov_b32 s6, -1
	s_mov_b32 s0, 0
	s_branch .LBB401_1543
.LBB401_1540:
	s_trap 2
	s_sendmsg_rtn_b32 s0, sendmsg(MSG_RTN_GET_DOORBELL)
	s_mov_b32 ttmp2, m0
	s_waitcnt lgkmcnt(0)
	s_and_b32 s0, s0, 0x3ff
	s_delay_alu instid0(SALU_CYCLE_1) | instskip(NEXT) | instid1(SALU_CYCLE_1)
	s_bitset1_b32 s0, 10
	s_mov_b32 m0, s0
	s_sendmsg sendmsg(MSG_INTERRUPT)
	s_mov_b32 m0, ttmp2
.LBB401_1541:                           ; =>This Inner Loop Header: Depth=1
	s_sethalt 5
	s_branch .LBB401_1541
.LBB401_1542:
	s_mov_b32 s0, -1
.LBB401_1543:
                                        ; implicit-def: $vgpr11
.LBB401_1544:
	s_and_b32 vcc_lo, exec_lo, s6
	s_cbranch_vccz .LBB401_1548
; %bb.1545:
	v_cmp_eq_u16_e32 vcc_lo, 44, v9
	s_cbranch_vccz .LBB401_1547
; %bb.1546:
	global_load_u8 v6, v[4:5], off
	s_mov_b32 s0, 0
	s_mov_b32 s3, -1
	s_waitcnt vmcnt(0)
	v_lshlrev_b32_e32 v11, 23, v6
	v_cmp_ne_u32_e32 vcc_lo, 0xff, v6
	s_delay_alu instid0(VALU_DEP_2) | instskip(SKIP_1) | instid1(VALU_DEP_2)
	v_cndmask_b32_e32 v11, 0x7f800001, v11, vcc_lo
	v_cmp_ne_u32_e32 vcc_lo, 0, v6
	v_cndmask_b32_e32 v11, 0x400000, v11, vcc_lo
	s_branch .LBB401_1548
.LBB401_1547:
	s_mov_b32 s0, -1
                                        ; implicit-def: $vgpr11
.LBB401_1548:
	s_mov_b32 s6, 0
.LBB401_1549:
	s_delay_alu instid0(SALU_CYCLE_1)
	s_and_b32 vcc_lo, exec_lo, s6
	s_cbranch_vccz .LBB401_1553
; %bb.1550:
	v_cmp_eq_u16_e32 vcc_lo, 29, v9
	s_cbranch_vccz .LBB401_1552
; %bb.1551:
	global_load_b64 v[11:12], v[4:5], off
	s_mov_b32 s0, 0
	s_mov_b32 s3, -1
	s_mov_b32 s6, 0
	s_waitcnt vmcnt(0)
	v_clz_i32_u32_e32 v6, v12
	s_delay_alu instid0(VALU_DEP_1) | instskip(NEXT) | instid1(VALU_DEP_1)
	v_min_u32_e32 v6, 32, v6
	v_lshlrev_b64 v[11:12], v6, v[11:12]
	v_sub_nc_u32_e32 v6, 32, v6
	s_delay_alu instid0(VALU_DEP_2) | instskip(NEXT) | instid1(VALU_DEP_1)
	v_min_u32_e32 v11, 1, v11
	v_or_b32_e32 v11, v12, v11
	s_delay_alu instid0(VALU_DEP_1) | instskip(NEXT) | instid1(VALU_DEP_1)
	v_cvt_f32_u32_e32 v11, v11
	v_ldexp_f32 v11, v11, v6
	s_branch .LBB401_1554
.LBB401_1552:
	s_mov_b32 s0, -1
                                        ; implicit-def: $vgpr11
.LBB401_1553:
	s_mov_b32 s6, 0
.LBB401_1554:
	s_delay_alu instid0(SALU_CYCLE_1)
	s_and_b32 vcc_lo, exec_lo, s6
	s_cbranch_vccz .LBB401_1572
; %bb.1555:
	v_cmp_gt_i16_e32 vcc_lo, 27, v9
	s_cbranch_vccnz .LBB401_1558
; %bb.1556:
	v_cmp_lt_i16_e32 vcc_lo, 27, v9
	s_cbranch_vccz .LBB401_1559
; %bb.1557:
	global_load_b32 v6, v[4:5], off
	s_mov_b32 s3, 0
	s_waitcnt vmcnt(0)
	v_cvt_f32_u32_e32 v11, v6
	s_branch .LBB401_1560
.LBB401_1558:
	s_mov_b32 s3, -1
                                        ; implicit-def: $vgpr11
	s_branch .LBB401_1563
.LBB401_1559:
	s_mov_b32 s3, -1
                                        ; implicit-def: $vgpr11
.LBB401_1560:
	s_delay_alu instid0(SALU_CYCLE_1)
	s_and_not1_b32 vcc_lo, exec_lo, s3
	s_cbranch_vccnz .LBB401_1562
; %bb.1561:
	global_load_u16 v6, v[4:5], off
	s_waitcnt vmcnt(0)
	v_cvt_f32_u32_e32 v11, v6
.LBB401_1562:
	s_mov_b32 s3, 0
.LBB401_1563:
	s_delay_alu instid0(SALU_CYCLE_1)
	s_and_not1_b32 vcc_lo, exec_lo, s3
	s_cbranch_vccnz .LBB401_1571
; %bb.1564:
	global_load_u8 v6, v[4:5], off
	s_mov_b32 s3, 0
	s_mov_b32 s7, exec_lo
                                        ; implicit-def: $sgpr6
	s_waitcnt vmcnt(0)
	v_cmpx_lt_i16_e32 0x7f, v6
	s_xor_b32 s7, exec_lo, s7
	s_cbranch_execz .LBB401_1585
; %bb.1565:
	s_mov_b32 s3, -1
	s_mov_b32 s10, exec_lo
                                        ; implicit-def: $sgpr6
	v_cmpx_eq_u16_e32 0x80, v6
; %bb.1566:
	s_mov_b32 s6, 0x7f800001
	s_xor_b32 s3, exec_lo, -1
; %bb.1567:
	s_or_b32 exec_lo, exec_lo, s10
	s_delay_alu instid0(SALU_CYCLE_1)
	s_and_b32 s3, s3, exec_lo
	s_or_saveexec_b32 s7, s7
	v_mov_b32_e32 v11, s6
	s_xor_b32 exec_lo, exec_lo, s7
	s_cbranch_execnz .LBB401_1586
.LBB401_1568:
	s_or_b32 exec_lo, exec_lo, s7
	s_and_saveexec_b32 s6, s3
	s_cbranch_execz .LBB401_1570
.LBB401_1569:
	v_and_b32_e32 v11, 0xffff, v6
	v_lshlrev_b32_e32 v6, 24, v6
	s_delay_alu instid0(VALU_DEP_2) | instskip(NEXT) | instid1(VALU_DEP_2)
	v_and_b32_e32 v12, 7, v11
	v_and_b32_e32 v6, 0x80000000, v6
	s_delay_alu instid0(VALU_DEP_2) | instskip(NEXT) | instid1(VALU_DEP_1)
	v_clz_i32_u32_e32 v13, v12
	v_min_u32_e32 v13, 32, v13
	s_delay_alu instid0(VALU_DEP_1) | instskip(SKIP_1) | instid1(VALU_DEP_2)
	v_subrev_nc_u32_e32 v14, 28, v13
	v_sub_nc_u32_e32 v13, 29, v13
	v_lshlrev_b32_e32 v14, v14, v11
	v_bfe_u32 v11, v11, 3, 4
	s_delay_alu instid0(VALU_DEP_2) | instskip(NEXT) | instid1(VALU_DEP_2)
	v_and_b32_e32 v14, 7, v14
	v_cmp_eq_u32_e32 vcc_lo, 0, v11
	s_delay_alu instid0(VALU_DEP_2) | instskip(NEXT) | instid1(VALU_DEP_1)
	v_dual_cndmask_b32 v11, v11, v13 :: v_dual_cndmask_b32 v12, v12, v14
	v_lshl_add_u32 v11, v11, 23, 0x3b800000
	s_delay_alu instid0(VALU_DEP_2) | instskip(NEXT) | instid1(VALU_DEP_1)
	v_lshlrev_b32_e32 v12, 20, v12
	v_or3_b32 v11, v6, v11, v12
.LBB401_1570:
	s_or_b32 exec_lo, exec_lo, s6
.LBB401_1571:
	s_mov_b32 s3, -1
.LBB401_1572:
	s_mov_b32 s6, 0
.LBB401_1573:
	s_delay_alu instid0(SALU_CYCLE_1)
	s_and_b32 vcc_lo, exec_lo, s6
	s_cbranch_vccz .LBB401_1606
; %bb.1574:
	v_cmp_lt_i16_e32 vcc_lo, 22, v9
	s_cbranch_vccz .LBB401_1584
; %bb.1575:
	v_cmp_gt_i16_e32 vcc_lo, 24, v9
	s_cbranch_vccnz .LBB401_1587
; %bb.1576:
	v_cmp_lt_i16_e32 vcc_lo, 24, v9
	s_cbranch_vccz .LBB401_1588
; %bb.1577:
	global_load_u8 v6, v[4:5], off
	s_mov_b32 s6, exec_lo
                                        ; implicit-def: $sgpr3
	s_waitcnt vmcnt(0)
	v_cmpx_lt_i16_e32 0x7f, v6
	s_xor_b32 s6, exec_lo, s6
	s_cbranch_execz .LBB401_1600
; %bb.1578:
	s_mov_b32 s2, -1
	s_mov_b32 s7, exec_lo
                                        ; implicit-def: $sgpr3
	v_cmpx_eq_u16_e32 0x80, v6
; %bb.1579:
	s_mov_b32 s3, 0x7f800001
	s_xor_b32 s2, exec_lo, -1
; %bb.1580:
	s_or_b32 exec_lo, exec_lo, s7
	s_delay_alu instid0(SALU_CYCLE_1)
	s_and_b32 s2, s2, exec_lo
	s_or_saveexec_b32 s6, s6
	v_mov_b32_e32 v11, s3
	s_xor_b32 exec_lo, exec_lo, s6
	s_cbranch_execnz .LBB401_1601
.LBB401_1581:
	s_or_b32 exec_lo, exec_lo, s6
	s_and_saveexec_b32 s3, s2
	s_cbranch_execz .LBB401_1583
.LBB401_1582:
	v_and_b32_e32 v11, 0xffff, v6
	v_lshlrev_b32_e32 v6, 24, v6
	s_delay_alu instid0(VALU_DEP_2) | instskip(NEXT) | instid1(VALU_DEP_2)
	v_and_b32_e32 v12, 3, v11
	v_and_b32_e32 v6, 0x80000000, v6
	s_delay_alu instid0(VALU_DEP_2) | instskip(NEXT) | instid1(VALU_DEP_1)
	v_clz_i32_u32_e32 v13, v12
	v_min_u32_e32 v13, 32, v13
	s_delay_alu instid0(VALU_DEP_1) | instskip(SKIP_1) | instid1(VALU_DEP_2)
	v_subrev_nc_u32_e32 v14, 29, v13
	v_sub_nc_u32_e32 v13, 30, v13
	v_lshlrev_b32_e32 v14, v14, v11
	v_bfe_u32 v11, v11, 2, 5
	s_delay_alu instid0(VALU_DEP_2) | instskip(NEXT) | instid1(VALU_DEP_2)
	v_and_b32_e32 v14, 3, v14
	v_cmp_eq_u32_e32 vcc_lo, 0, v11
	s_delay_alu instid0(VALU_DEP_2) | instskip(NEXT) | instid1(VALU_DEP_1)
	v_dual_cndmask_b32 v11, v11, v13 :: v_dual_cndmask_b32 v12, v12, v14
	v_lshl_add_u32 v11, v11, 23, 0x37800000
	s_delay_alu instid0(VALU_DEP_2) | instskip(NEXT) | instid1(VALU_DEP_1)
	v_lshlrev_b32_e32 v12, 21, v12
	v_or3_b32 v11, v6, v11, v12
.LBB401_1583:
	s_or_b32 exec_lo, exec_lo, s3
	s_mov_b32 s2, 0
	s_branch .LBB401_1589
.LBB401_1584:
	s_mov_b32 s2, -1
                                        ; implicit-def: $vgpr11
	s_branch .LBB401_1595
.LBB401_1585:
	s_or_saveexec_b32 s7, s7
	v_mov_b32_e32 v11, s6
	s_xor_b32 exec_lo, exec_lo, s7
	s_cbranch_execz .LBB401_1568
.LBB401_1586:
	v_cmp_ne_u16_e32 vcc_lo, 0, v6
	v_mov_b32_e32 v11, 0
	s_and_not1_b32 s3, s3, exec_lo
	s_and_b32 s6, vcc_lo, exec_lo
	s_delay_alu instid0(SALU_CYCLE_1)
	s_or_b32 s3, s3, s6
	s_or_b32 exec_lo, exec_lo, s7
	s_and_saveexec_b32 s6, s3
	s_cbranch_execnz .LBB401_1569
	s_branch .LBB401_1570
.LBB401_1587:
	s_mov_b32 s2, -1
                                        ; implicit-def: $vgpr11
	s_branch .LBB401_1592
.LBB401_1588:
	s_mov_b32 s2, -1
                                        ; implicit-def: $vgpr11
.LBB401_1589:
	s_delay_alu instid0(SALU_CYCLE_1)
	s_and_b32 vcc_lo, exec_lo, s2
	s_cbranch_vccz .LBB401_1591
; %bb.1590:
	global_load_u8 v6, v[4:5], off
	s_waitcnt vmcnt(0)
	v_lshlrev_b32_e32 v6, 24, v6
	s_delay_alu instid0(VALU_DEP_1) | instskip(NEXT) | instid1(VALU_DEP_1)
	v_and_b32_e32 v11, 0x7f000000, v6
	v_clz_i32_u32_e32 v12, v11
	v_add_nc_u32_e32 v14, 0x1000000, v11
	v_cmp_ne_u32_e32 vcc_lo, 0, v11
	s_delay_alu instid0(VALU_DEP_3) | instskip(NEXT) | instid1(VALU_DEP_1)
	v_min_u32_e32 v12, 32, v12
	v_sub_nc_u32_e64 v12, v12, 4 clamp
	s_delay_alu instid0(VALU_DEP_1) | instskip(SKIP_1) | instid1(VALU_DEP_2)
	v_lshlrev_b32_e32 v13, v12, v11
	v_lshlrev_b32_e32 v12, 23, v12
	v_lshrrev_b32_e32 v13, 4, v13
	s_delay_alu instid0(VALU_DEP_1) | instskip(SKIP_1) | instid1(VALU_DEP_2)
	v_sub_nc_u32_e32 v12, v13, v12
	v_ashrrev_i32_e32 v13, 8, v14
	v_add_nc_u32_e32 v12, 0x3c000000, v12
	s_delay_alu instid0(VALU_DEP_1) | instskip(NEXT) | instid1(VALU_DEP_1)
	v_and_or_b32 v12, 0x7f800000, v13, v12
	v_cndmask_b32_e32 v11, 0, v12, vcc_lo
	s_delay_alu instid0(VALU_DEP_1)
	v_and_or_b32 v11, 0x80000000, v6, v11
.LBB401_1591:
	s_mov_b32 s2, 0
.LBB401_1592:
	s_delay_alu instid0(SALU_CYCLE_1)
	s_and_not1_b32 vcc_lo, exec_lo, s2
	s_cbranch_vccnz .LBB401_1594
; %bb.1593:
	global_load_u8 v6, v[4:5], off
	s_waitcnt vmcnt(0)
	v_lshlrev_b32_e32 v11, 25, v6
	v_lshlrev_b16 v6, 8, v6
	s_delay_alu instid0(VALU_DEP_2) | instskip(NEXT) | instid1(VALU_DEP_2)
	v_lshrrev_b32_e32 v12, 4, v11
	v_and_or_b32 v13, 0x7f00, v6, 0.5
	v_bfe_i32 v6, v6, 0, 16
	s_delay_alu instid0(VALU_DEP_3) | instskip(NEXT) | instid1(VALU_DEP_1)
	v_or_b32_e32 v12, 0x70000000, v12
	v_dual_add_f32 v13, -0.5, v13 :: v_dual_mul_f32 v12, 0x7800000, v12
	v_cmp_gt_u32_e32 vcc_lo, 0x8000000, v11
	s_delay_alu instid0(VALU_DEP_2) | instskip(NEXT) | instid1(VALU_DEP_1)
	v_cndmask_b32_e32 v11, v12, v13, vcc_lo
	v_and_or_b32 v11, 0x80000000, v6, v11
.LBB401_1594:
	s_mov_b32 s2, 0
	s_mov_b32 s3, -1
.LBB401_1595:
	s_and_not1_b32 vcc_lo, exec_lo, s2
	s_mov_b32 s2, 0
	s_cbranch_vccnz .LBB401_1606
; %bb.1596:
	v_cmp_lt_i16_e32 vcc_lo, 14, v9
	s_cbranch_vccz .LBB401_1599
; %bb.1597:
	v_cmp_eq_u16_e32 vcc_lo, 15, v9
	s_cbranch_vccz .LBB401_1602
; %bb.1598:
	global_load_u16 v6, v[4:5], off
	s_mov_b32 s0, 0
	s_mov_b32 s3, -1
	s_waitcnt vmcnt(0)
	v_lshlrev_b32_e32 v11, 16, v6
	s_branch .LBB401_1604
.LBB401_1599:
	s_mov_b32 s2, -1
	s_branch .LBB401_1603
.LBB401_1600:
	s_or_saveexec_b32 s6, s6
	v_mov_b32_e32 v11, s3
	s_xor_b32 exec_lo, exec_lo, s6
	s_cbranch_execz .LBB401_1581
.LBB401_1601:
	v_cmp_ne_u16_e32 vcc_lo, 0, v6
	v_mov_b32_e32 v11, 0
	s_and_not1_b32 s2, s2, exec_lo
	s_and_b32 s3, vcc_lo, exec_lo
	s_delay_alu instid0(SALU_CYCLE_1)
	s_or_b32 s2, s2, s3
	s_or_b32 exec_lo, exec_lo, s6
	s_and_saveexec_b32 s3, s2
	s_cbranch_execnz .LBB401_1582
	s_branch .LBB401_1583
.LBB401_1602:
	s_mov_b32 s0, -1
.LBB401_1603:
                                        ; implicit-def: $vgpr11
.LBB401_1604:
	s_and_b32 vcc_lo, exec_lo, s2
	s_mov_b32 s2, 0
	s_cbranch_vccz .LBB401_1606
; %bb.1605:
	v_cmp_ne_u16_e64 s0, 11, v9
	s_mov_b32 s2, -1
                                        ; implicit-def: $vgpr11
.LBB401_1606:
	s_delay_alu instid0(VALU_DEP_1)
	s_and_b32 vcc_lo, exec_lo, s0
	s_cbranch_vccnz .LBB401_1669
; %bb.1607:
	s_and_not1_b32 vcc_lo, exec_lo, s2
	s_cbranch_vccnz .LBB401_1609
.LBB401_1608:
	global_load_u8 v6, v[4:5], off
	s_mov_b32 s3, -1
	s_waitcnt vmcnt(0)
	v_cmp_ne_u16_e32 vcc_lo, 0, v6
	v_cndmask_b32_e64 v11, 0, 1.0, vcc_lo
.LBB401_1609:
	s_mov_b32 s0, 0
.LBB401_1610:
	s_delay_alu instid0(SALU_CYCLE_1)
	s_and_b32 vcc_lo, exec_lo, s0
	s_cbranch_vccz .LBB401_1659
; %bb.1611:
	v_cmp_gt_i16_e32 vcc_lo, 5, v9
	s_cbranch_vccnz .LBB401_1616
; %bb.1612:
	v_cmp_gt_i16_e32 vcc_lo, 8, v9
	s_cbranch_vccnz .LBB401_1617
	;; [unrolled: 3-line block ×3, first 2 shown]
; %bb.1614:
	v_cmp_lt_i16_e32 vcc_lo, 9, v9
	s_cbranch_vccz .LBB401_1619
; %bb.1615:
	global_load_b64 v[11:12], v[4:5], off
	s_mov_b32 s0, 0
	s_waitcnt vmcnt(0)
	v_cvt_f32_f64_e32 v11, v[11:12]
	s_branch .LBB401_1620
.LBB401_1616:
	s_mov_b32 s0, -1
                                        ; implicit-def: $vgpr11
	s_branch .LBB401_1638
.LBB401_1617:
	s_mov_b32 s0, -1
                                        ; implicit-def: $vgpr11
	s_branch .LBB401_1626
.LBB401_1618:
	s_mov_b32 s0, -1
                                        ; implicit-def: $vgpr11
	s_branch .LBB401_1623
.LBB401_1619:
	s_mov_b32 s0, -1
                                        ; implicit-def: $vgpr11
.LBB401_1620:
	s_delay_alu instid0(SALU_CYCLE_1)
	s_and_not1_b32 vcc_lo, exec_lo, s0
	s_cbranch_vccnz .LBB401_1622
; %bb.1621:
	global_load_b32 v11, v[4:5], off
.LBB401_1622:
	s_mov_b32 s0, 0
.LBB401_1623:
	s_delay_alu instid0(SALU_CYCLE_1)
	s_and_not1_b32 vcc_lo, exec_lo, s0
	s_cbranch_vccnz .LBB401_1625
; %bb.1624:
	global_load_b32 v6, v[4:5], off
	s_waitcnt vmcnt(0)
	v_cvt_f32_f16_e32 v11, v6
.LBB401_1625:
	s_mov_b32 s0, 0
.LBB401_1626:
	s_delay_alu instid0(SALU_CYCLE_1)
	s_and_not1_b32 vcc_lo, exec_lo, s0
	s_cbranch_vccnz .LBB401_1637
; %bb.1627:
	v_cmp_gt_i16_e32 vcc_lo, 6, v9
	s_cbranch_vccnz .LBB401_1630
; %bb.1628:
	v_cmp_lt_i16_e32 vcc_lo, 6, v9
	s_cbranch_vccz .LBB401_1631
; %bb.1629:
	global_load_b64 v[11:12], v[4:5], off
	s_mov_b32 s0, 0
	s_waitcnt vmcnt(0)
	v_cvt_f32_f64_e32 v11, v[11:12]
	s_branch .LBB401_1632
.LBB401_1630:
	s_mov_b32 s0, -1
                                        ; implicit-def: $vgpr11
	s_branch .LBB401_1635
.LBB401_1631:
	s_mov_b32 s0, -1
                                        ; implicit-def: $vgpr11
.LBB401_1632:
	s_delay_alu instid0(SALU_CYCLE_1)
	s_and_not1_b32 vcc_lo, exec_lo, s0
	s_cbranch_vccnz .LBB401_1634
; %bb.1633:
	global_load_b32 v11, v[4:5], off
.LBB401_1634:
	s_mov_b32 s0, 0
.LBB401_1635:
	s_delay_alu instid0(SALU_CYCLE_1)
	s_and_not1_b32 vcc_lo, exec_lo, s0
	s_cbranch_vccnz .LBB401_1637
; %bb.1636:
	global_load_u16 v6, v[4:5], off
	s_waitcnt vmcnt(0)
	v_cvt_f32_f16_e32 v11, v6
.LBB401_1637:
	s_mov_b32 s0, 0
.LBB401_1638:
	s_delay_alu instid0(SALU_CYCLE_1)
	s_and_not1_b32 vcc_lo, exec_lo, s0
	s_cbranch_vccnz .LBB401_1658
; %bb.1639:
	v_cmp_gt_i16_e32 vcc_lo, 2, v9
	s_cbranch_vccnz .LBB401_1643
; %bb.1640:
	v_cmp_gt_i16_e32 vcc_lo, 3, v9
	s_cbranch_vccnz .LBB401_1644
; %bb.1641:
	v_cmp_lt_i16_e32 vcc_lo, 3, v9
	s_cbranch_vccz .LBB401_1645
; %bb.1642:
	global_load_b64 v[11:12], v[4:5], off
	s_mov_b32 s0, 0
	s_waitcnt vmcnt(0)
	v_xor_b32_e32 v6, v11, v12
	v_cls_i32_e32 v13, v12
	s_delay_alu instid0(VALU_DEP_2) | instskip(NEXT) | instid1(VALU_DEP_2)
	v_ashrrev_i32_e32 v6, 31, v6
	v_add_nc_u32_e32 v13, -1, v13
	s_delay_alu instid0(VALU_DEP_2) | instskip(NEXT) | instid1(VALU_DEP_1)
	v_add_nc_u32_e32 v6, 32, v6
	v_min_u32_e32 v6, v13, v6
	s_delay_alu instid0(VALU_DEP_1) | instskip(SKIP_1) | instid1(VALU_DEP_2)
	v_lshlrev_b64 v[11:12], v6, v[11:12]
	v_sub_nc_u32_e32 v6, 32, v6
	v_min_u32_e32 v11, 1, v11
	s_delay_alu instid0(VALU_DEP_1) | instskip(NEXT) | instid1(VALU_DEP_1)
	v_or_b32_e32 v11, v12, v11
	v_cvt_f32_i32_e32 v11, v11
	s_delay_alu instid0(VALU_DEP_1)
	v_ldexp_f32 v11, v11, v6
	s_branch .LBB401_1646
.LBB401_1643:
	s_mov_b32 s0, -1
                                        ; implicit-def: $vgpr11
	s_branch .LBB401_1652
.LBB401_1644:
	s_mov_b32 s0, -1
                                        ; implicit-def: $vgpr11
	s_branch .LBB401_1649
.LBB401_1645:
	s_mov_b32 s0, -1
                                        ; implicit-def: $vgpr11
.LBB401_1646:
	s_delay_alu instid0(SALU_CYCLE_1)
	s_and_not1_b32 vcc_lo, exec_lo, s0
	s_cbranch_vccnz .LBB401_1648
; %bb.1647:
	global_load_b32 v6, v[4:5], off
	s_waitcnt vmcnt(0)
	v_cvt_f32_i32_e32 v11, v6
.LBB401_1648:
	s_mov_b32 s0, 0
.LBB401_1649:
	s_delay_alu instid0(SALU_CYCLE_1)
	s_and_not1_b32 vcc_lo, exec_lo, s0
	s_cbranch_vccnz .LBB401_1651
; %bb.1650:
	global_load_i16 v6, v[4:5], off
	s_waitcnt vmcnt(0)
	v_cvt_f32_i32_e32 v11, v6
.LBB401_1651:
	s_mov_b32 s0, 0
.LBB401_1652:
	s_delay_alu instid0(SALU_CYCLE_1)
	s_and_not1_b32 vcc_lo, exec_lo, s0
	s_cbranch_vccnz .LBB401_1658
; %bb.1653:
	v_cmp_lt_i16_e32 vcc_lo, 0, v9
	s_mov_b32 s0, 0
	s_cbranch_vccz .LBB401_1655
; %bb.1654:
	global_load_i8 v6, v[4:5], off
	s_waitcnt vmcnt(0)
	v_cvt_f32_i32_e32 v11, v6
	s_branch .LBB401_1656
.LBB401_1655:
	s_mov_b32 s0, -1
                                        ; implicit-def: $vgpr11
.LBB401_1656:
	s_delay_alu instid0(SALU_CYCLE_1)
	s_and_not1_b32 vcc_lo, exec_lo, s0
	s_cbranch_vccnz .LBB401_1658
; %bb.1657:
	global_load_u8 v4, v[4:5], off
	s_waitcnt vmcnt(0)
	v_cvt_f32_ubyte0_e32 v11, v4
.LBB401_1658:
	s_mov_b32 s3, -1
.LBB401_1659:
	s_delay_alu instid0(SALU_CYCLE_1)
	s_and_not1_b32 vcc_lo, exec_lo, s3
	s_cbranch_vccnz .LBB401_2049
; %bb.1660:
	s_load_b64 s[2:3], s[16:17], 0x158
	v_max_f32_e32 v4, v10, v10
	v_cmp_u_f32_e32 vcc_lo, v10, v10
	s_mov_b32 s6, 0
	s_waitcnt lgkmcnt(0)
	v_max_f32_e64 v9, s2, s2
	s_and_b32 s2, s3, 0xff
	v_add_co_u32 v3, s3, s4, v3
	v_cmp_lt_i16_e64 s0, s2, 11
	s_delay_alu instid0(VALU_DEP_3) | instskip(SKIP_1) | instid1(VALU_DEP_2)
	v_max_f32_e32 v5, v4, v9
	v_add_co_ci_u32_e64 v4, null, s5, 0, s3
	v_cndmask_b32_e32 v5, v5, v10, vcc_lo
	s_delay_alu instid0(VALU_DEP_4)
	s_and_b32 vcc_lo, exec_lo, s0
	s_mov_b32 s0, -1
	s_cbranch_vccnz .LBB401_1743
; %bb.1661:
	v_cmp_gt_i16_e64 s0, s2, 25
	s_mov_b32 s7, -1
	s_mov_b32 s3, 0
	s_delay_alu instid0(VALU_DEP_1)
	s_and_b32 vcc_lo, exec_lo, s0
	s_mov_b32 s0, 0
	s_cbranch_vccz .LBB401_1699
; %bb.1662:
	v_cmp_gt_i16_e64 s0, s2, 28
	s_delay_alu instid0(VALU_DEP_1)
	s_and_b32 vcc_lo, exec_lo, s0
	s_cbranch_vccz .LBB401_1667
; %bb.1663:
	v_cmp_gt_i16_e64 s0, s2, 43
	s_delay_alu instid0(VALU_DEP_1)
	s_and_b32 vcc_lo, exec_lo, s0
	;; [unrolled: 5-line block ×3, first 2 shown]
	s_cbranch_vccz .LBB401_1671
; %bb.1665:
	v_cmp_eq_u16_e64 s6, s2, 46
	s_mov_b32 s0, -1
	s_mov_b32 s7, 0
	s_delay_alu instid0(VALU_DEP_1)
	s_and_b32 vcc_lo, exec_lo, s6
	s_mov_b32 s6, 0
	s_cbranch_vccz .LBB401_1672
; %bb.1666:
	v_bfe_u32 v6, v5, 16, 1
	v_cmp_o_f32_e32 vcc_lo, v5, v5
	s_mov_b32 s0, 0
	s_mov_b32 s6, -1
	s_delay_alu instid0(VALU_DEP_2) | instskip(NEXT) | instid1(VALU_DEP_1)
	v_add3_u32 v6, v5, v6, 0x7fff
	v_lshrrev_b32_e32 v6, 16, v6
	s_delay_alu instid0(VALU_DEP_1)
	v_cndmask_b32_e32 v6, 0x7fc0, v6, vcc_lo
	global_store_b32 v[3:4], v6, off
	s_branch .LBB401_1672
.LBB401_1667:
	s_mov_b32 s0, 0
	s_branch .LBB401_1682
.LBB401_1668:
	s_mov_b32 s0, 0
	s_branch .LBB401_1678
.LBB401_1669:
	s_cbranch_execnz .LBB401_1794
; %bb.1670:
	s_or_b32 s1, s1, exec_lo
                                        ; implicit-def: $vgpr11
	s_cbranch_execz .LBB401_1608
	s_branch .LBB401_1609
.LBB401_1671:
	s_mov_b32 s0, 0
.LBB401_1672:
	s_and_b32 vcc_lo, exec_lo, s7
	s_cbranch_vccz .LBB401_1677
; %bb.1673:
	v_cmp_eq_u16_e64 s0, s2, 44
	s_delay_alu instid0(VALU_DEP_1)
	s_and_b32 vcc_lo, exec_lo, s0
	s_mov_b32 s0, -1
	s_cbranch_vccz .LBB401_1677
; %bb.1674:
	v_bfe_u32 v10, v5, 23, 8
	v_mov_b32_e32 v6, 0xff
	s_mov_b32 s6, exec_lo
	s_delay_alu instid0(VALU_DEP_2)
	v_cmpx_ne_u32_e32 0xff, v10
; %bb.1675:
	v_and_b32_e32 v6, 0x400000, v5
	v_and_or_b32 v10, 0x3fffff, v5, v10
	s_delay_alu instid0(VALU_DEP_2) | instskip(NEXT) | instid1(VALU_DEP_2)
	v_cmp_ne_u32_e32 vcc_lo, 0, v6
	v_cmp_ne_u32_e64 s0, 0, v10
	v_lshrrev_b32_e32 v6, 23, v5
	s_delay_alu instid0(VALU_DEP_2) | instskip(NEXT) | instid1(SALU_CYCLE_1)
	s_and_b32 s0, vcc_lo, s0
	v_cndmask_b32_e64 v10, 0, 1, s0
	s_delay_alu instid0(VALU_DEP_1)
	v_add_nc_u32_e32 v6, v6, v10
; %bb.1676:
	s_or_b32 exec_lo, exec_lo, s6
	s_mov_b32 s0, 0
	s_mov_b32 s6, -1
	global_store_b8 v[3:4], v6, off
.LBB401_1677:
	s_mov_b32 s7, 0
.LBB401_1678:
	s_delay_alu instid0(SALU_CYCLE_1)
	s_and_b32 vcc_lo, exec_lo, s7
	s_cbranch_vccz .LBB401_1681
; %bb.1679:
	v_cmp_eq_u16_e64 s0, s2, 29
	s_delay_alu instid0(VALU_DEP_1)
	s_and_b32 vcc_lo, exec_lo, s0
	s_mov_b32 s0, -1
	s_cbranch_vccz .LBB401_1681
; %bb.1680:
	v_trunc_f32_e32 v6, v5
	s_mov_b32 s0, 0
	s_mov_b32 s6, -1
	s_mov_b32 s7, 0
	s_delay_alu instid0(VALU_DEP_1) | instskip(NEXT) | instid1(VALU_DEP_1)
	v_mul_f32_e32 v10, 0x2f800000, v6
	v_floor_f32_e32 v10, v10
	s_delay_alu instid0(VALU_DEP_1) | instskip(SKIP_1) | instid1(VALU_DEP_2)
	v_fmamk_f32 v6, v10, 0xcf800000, v6
	v_cvt_u32_f32_e32 v13, v10
	v_cvt_u32_f32_e32 v12, v6
	global_store_b64 v[3:4], v[12:13], off
	s_branch .LBB401_1682
.LBB401_1681:
	s_mov_b32 s7, 0
.LBB401_1682:
	s_delay_alu instid0(SALU_CYCLE_1)
	s_and_b32 vcc_lo, exec_lo, s7
	s_cbranch_vccz .LBB401_1698
; %bb.1683:
	v_cmp_lt_i16_e64 s6, s2, 27
	s_delay_alu instid0(VALU_DEP_1)
	s_and_b32 vcc_lo, exec_lo, s6
	s_mov_b32 s6, -1
	s_cbranch_vccnz .LBB401_1689
; %bb.1684:
	v_cmp_gt_i16_e64 s6, s2, 27
	v_cvt_u32_f32_e32 v6, v5
	s_delay_alu instid0(VALU_DEP_2)
	s_and_b32 vcc_lo, exec_lo, s6
	s_mov_b32 s6, -1
	s_cbranch_vccz .LBB401_1686
; %bb.1685:
	s_mov_b32 s6, 0
	global_store_b32 v[3:4], v6, off
.LBB401_1686:
	s_and_not1_b32 vcc_lo, exec_lo, s6
	s_cbranch_vccnz .LBB401_1688
; %bb.1687:
	global_store_b16 v[3:4], v6, off
.LBB401_1688:
	s_mov_b32 s6, 0
.LBB401_1689:
	s_delay_alu instid0(SALU_CYCLE_1)
	s_and_not1_b32 vcc_lo, exec_lo, s6
	s_cbranch_vccnz .LBB401_1697
; %bb.1690:
	v_and_b32_e32 v6, 0x7fffffff, v5
	v_mov_b32_e32 v10, 0x80
	s_mov_b32 s6, exec_lo
	s_delay_alu instid0(VALU_DEP_2)
	v_cmpx_gt_u32_e32 0x43800000, v6
	s_cbranch_execz .LBB401_1696
; %bb.1691:
	v_cmp_lt_u32_e32 vcc_lo, 0x3bffffff, v6
	s_mov_b32 s7, 0
                                        ; implicit-def: $vgpr6
	s_and_saveexec_b32 s10, vcc_lo
	s_delay_alu instid0(SALU_CYCLE_1)
	s_xor_b32 s10, exec_lo, s10
	s_cbranch_execz .LBB401_1791
; %bb.1692:
	v_bfe_u32 v6, v5, 20, 1
	s_mov_b32 s7, exec_lo
	s_delay_alu instid0(VALU_DEP_1) | instskip(NEXT) | instid1(VALU_DEP_1)
	v_add3_u32 v6, v5, v6, 0x487ffff
	v_lshrrev_b32_e32 v6, 20, v6
	s_or_saveexec_b32 s10, s10
                                        ; implicit-def: $sgpr11
	s_delay_alu instid0(SALU_CYCLE_1)
	s_xor_b32 exec_lo, exec_lo, s10
	s_cbranch_execnz .LBB401_1792
.LBB401_1693:
	s_or_b32 exec_lo, exec_lo, s10
	v_mov_b32_e32 v10, s11
	s_and_saveexec_b32 s10, s7
.LBB401_1694:
	v_lshrrev_b32_e32 v10, 24, v5
	s_delay_alu instid0(VALU_DEP_1)
	v_and_or_b32 v10, 0x80, v10, v6
.LBB401_1695:
	s_or_b32 exec_lo, exec_lo, s10
.LBB401_1696:
	s_delay_alu instid0(SALU_CYCLE_1)
	s_or_b32 exec_lo, exec_lo, s6
	global_store_b8 v[3:4], v10, off
.LBB401_1697:
	s_mov_b32 s6, -1
.LBB401_1698:
	s_mov_b32 s7, 0
.LBB401_1699:
	s_delay_alu instid0(SALU_CYCLE_1)
	s_and_b32 vcc_lo, exec_lo, s7
	s_cbranch_vccz .LBB401_1739
; %bb.1700:
	v_cmp_gt_i16_e64 s3, s2, 22
	s_delay_alu instid0(VALU_DEP_1)
	s_and_b32 vcc_lo, exec_lo, s3
	s_mov_b32 s3, -1
	s_cbranch_vccz .LBB401_1732
; %bb.1701:
	v_cmp_lt_i16_e64 s3, s2, 24
	s_delay_alu instid0(VALU_DEP_1)
	s_and_b32 vcc_lo, exec_lo, s3
	s_mov_b32 s3, -1
	s_cbranch_vccnz .LBB401_1721
; %bb.1702:
	v_cmp_gt_i16_e64 s3, s2, 24
	s_delay_alu instid0(VALU_DEP_1)
	s_and_b32 vcc_lo, exec_lo, s3
	s_mov_b32 s3, -1
	s_cbranch_vccz .LBB401_1710
; %bb.1703:
	v_and_b32_e32 v6, 0x7fffffff, v5
	v_mov_b32_e32 v10, 0x80
	s_mov_b32 s3, exec_lo
	s_delay_alu instid0(VALU_DEP_2)
	v_cmpx_gt_u32_e32 0x47800000, v6
	s_cbranch_execz .LBB401_1709
; %bb.1704:
	v_cmp_lt_u32_e32 vcc_lo, 0x37ffffff, v6
	s_mov_b32 s6, 0
                                        ; implicit-def: $vgpr6
	s_and_saveexec_b32 s7, vcc_lo
	s_delay_alu instid0(SALU_CYCLE_1)
	s_xor_b32 s7, exec_lo, s7
	s_cbranch_execz .LBB401_1798
; %bb.1705:
	v_bfe_u32 v6, v5, 21, 1
	s_mov_b32 s6, exec_lo
	s_delay_alu instid0(VALU_DEP_1) | instskip(NEXT) | instid1(VALU_DEP_1)
	v_add3_u32 v6, v5, v6, 0x88fffff
	v_lshrrev_b32_e32 v6, 21, v6
	s_or_saveexec_b32 s7, s7
                                        ; implicit-def: $sgpr10
	s_delay_alu instid0(SALU_CYCLE_1)
	s_xor_b32 exec_lo, exec_lo, s7
	s_cbranch_execnz .LBB401_1799
.LBB401_1706:
	s_or_b32 exec_lo, exec_lo, s7
	v_mov_b32_e32 v10, s10
	s_and_saveexec_b32 s7, s6
.LBB401_1707:
	v_lshrrev_b32_e32 v10, 24, v5
	s_delay_alu instid0(VALU_DEP_1)
	v_and_or_b32 v10, 0x80, v10, v6
.LBB401_1708:
	s_or_b32 exec_lo, exec_lo, s7
.LBB401_1709:
	s_delay_alu instid0(SALU_CYCLE_1)
	s_or_b32 exec_lo, exec_lo, s3
	s_mov_b32 s3, 0
	global_store_b8 v[3:4], v10, off
.LBB401_1710:
	s_and_b32 vcc_lo, exec_lo, s3
	s_cbranch_vccz .LBB401_1720
; %bb.1711:
	v_and_b32_e32 v10, 0x7fffffff, v5
	s_mov_b32 s3, exec_lo
                                        ; implicit-def: $vgpr6
	s_delay_alu instid0(VALU_DEP_1)
	v_cmpx_gt_u32_e32 0x43f00000, v10
	s_xor_b32 s3, exec_lo, s3
	s_cbranch_execz .LBB401_1717
; %bb.1712:
	s_mov_b32 s6, exec_lo
                                        ; implicit-def: $vgpr6
	v_cmpx_lt_u32_e32 0x3c7fffff, v10
	s_xor_b32 s6, exec_lo, s6
; %bb.1713:
	v_bfe_u32 v6, v5, 20, 1
	s_delay_alu instid0(VALU_DEP_1) | instskip(NEXT) | instid1(VALU_DEP_1)
	v_add3_u32 v6, v5, v6, 0x407ffff
	v_and_b32_e32 v10, 0xff00000, v6
	v_lshrrev_b32_e32 v6, 20, v6
	s_delay_alu instid0(VALU_DEP_2) | instskip(NEXT) | instid1(VALU_DEP_2)
	v_cmp_ne_u32_e32 vcc_lo, 0x7f00000, v10
	v_cndmask_b32_e32 v6, 0x7e, v6, vcc_lo
; %bb.1714:
	s_and_not1_saveexec_b32 s6, s6
; %bb.1715:
	v_add_f32_e64 v6, 0x46800000, |v5|
; %bb.1716:
	s_or_b32 exec_lo, exec_lo, s6
                                        ; implicit-def: $vgpr10
.LBB401_1717:
	s_and_not1_saveexec_b32 s3, s3
; %bb.1718:
	v_mov_b32_e32 v6, 0x7f
	v_cmp_lt_u32_e32 vcc_lo, 0x7f800000, v10
	s_delay_alu instid0(VALU_DEP_2)
	v_cndmask_b32_e32 v6, 0x7e, v6, vcc_lo
; %bb.1719:
	s_or_b32 exec_lo, exec_lo, s3
	v_lshrrev_b32_e32 v10, 24, v5
	s_delay_alu instid0(VALU_DEP_1)
	v_and_or_b32 v6, 0x80, v10, v6
	global_store_b8 v[3:4], v6, off
.LBB401_1720:
	s_mov_b32 s3, 0
.LBB401_1721:
	s_delay_alu instid0(SALU_CYCLE_1)
	s_and_not1_b32 vcc_lo, exec_lo, s3
	s_cbranch_vccnz .LBB401_1731
; %bb.1722:
	v_and_b32_e32 v10, 0x7fffffff, v5
	s_mov_b32 s3, exec_lo
                                        ; implicit-def: $vgpr6
	s_delay_alu instid0(VALU_DEP_1)
	v_cmpx_gt_u32_e32 0x47800000, v10
	s_xor_b32 s3, exec_lo, s3
	s_cbranch_execz .LBB401_1728
; %bb.1723:
	s_mov_b32 s6, exec_lo
                                        ; implicit-def: $vgpr6
	v_cmpx_lt_u32_e32 0x387fffff, v10
	s_xor_b32 s6, exec_lo, s6
; %bb.1724:
	v_bfe_u32 v6, v5, 21, 1
	s_delay_alu instid0(VALU_DEP_1) | instskip(NEXT) | instid1(VALU_DEP_1)
	v_add3_u32 v6, v5, v6, 0x80fffff
	v_lshrrev_b32_e32 v6, 21, v6
; %bb.1725:
	s_and_not1_saveexec_b32 s6, s6
; %bb.1726:
	v_add_f32_e64 v6, 0x43000000, |v5|
; %bb.1727:
	s_or_b32 exec_lo, exec_lo, s6
                                        ; implicit-def: $vgpr10
.LBB401_1728:
	s_and_not1_saveexec_b32 s3, s3
; %bb.1729:
	v_mov_b32_e32 v6, 0x7f
	v_cmp_lt_u32_e32 vcc_lo, 0x7f800000, v10
	s_delay_alu instid0(VALU_DEP_2)
	v_cndmask_b32_e32 v6, 0x7c, v6, vcc_lo
; %bb.1730:
	s_or_b32 exec_lo, exec_lo, s3
	v_lshrrev_b32_e32 v10, 24, v5
	s_delay_alu instid0(VALU_DEP_1)
	v_and_or_b32 v6, 0x80, v10, v6
	global_store_b8 v[3:4], v6, off
.LBB401_1731:
	s_mov_b32 s3, 0
	s_mov_b32 s6, -1
.LBB401_1732:
	s_and_not1_b32 vcc_lo, exec_lo, s3
	s_mov_b32 s3, 0
	s_cbranch_vccnz .LBB401_1739
; %bb.1733:
	v_cmp_gt_i16_e64 s3, s2, 14
	s_delay_alu instid0(VALU_DEP_1)
	s_and_b32 vcc_lo, exec_lo, s3
	s_mov_b32 s3, -1
	s_cbranch_vccz .LBB401_1737
; %bb.1734:
	v_cmp_eq_u16_e64 s0, s2, 15
	s_delay_alu instid0(VALU_DEP_1)
	s_and_b32 vcc_lo, exec_lo, s0
	s_mov_b32 s0, -1
	s_cbranch_vccz .LBB401_1736
; %bb.1735:
	v_bfe_u32 v6, v5, 16, 1
	v_cmp_o_f32_e32 vcc_lo, v5, v5
	s_mov_b32 s0, 0
	s_mov_b32 s6, -1
	s_delay_alu instid0(VALU_DEP_2) | instskip(NEXT) | instid1(VALU_DEP_1)
	v_add3_u32 v6, v5, v6, 0x7fff
	v_lshrrev_b32_e32 v6, 16, v6
	s_delay_alu instid0(VALU_DEP_1)
	v_cndmask_b32_e32 v6, 0x7fc0, v6, vcc_lo
	global_store_b16 v[3:4], v6, off
.LBB401_1736:
	s_mov_b32 s3, 0
.LBB401_1737:
	s_delay_alu instid0(SALU_CYCLE_1)
	s_and_b32 vcc_lo, exec_lo, s3
	s_mov_b32 s3, 0
	s_cbranch_vccz .LBB401_1739
; %bb.1738:
	v_cmp_ne_u16_e64 s0, s2, 11
	s_mov_b32 s3, -1
.LBB401_1739:
	s_delay_alu instid0(VALU_DEP_1)
	s_and_b32 vcc_lo, exec_lo, s0
	s_cbranch_vccnz .LBB401_1796
; %bb.1740:
	s_and_not1_b32 vcc_lo, exec_lo, s3
	s_cbranch_vccnz .LBB401_1742
.LBB401_1741:
	v_cmp_neq_f32_e32 vcc_lo, 0, v5
	s_mov_b32 s6, -1
	v_cndmask_b32_e64 v6, 0, 1, vcc_lo
	global_store_b8 v[3:4], v6, off
.LBB401_1742:
	s_mov_b32 s0, 0
.LBB401_1743:
	s_delay_alu instid0(SALU_CYCLE_1)
	s_and_b32 vcc_lo, exec_lo, s0
	s_cbranch_vccz .LBB401_1782
; %bb.1744:
	v_cmp_lt_i16_e64 s0, s2, 5
	s_delay_alu instid0(VALU_DEP_1)
	s_and_b32 vcc_lo, exec_lo, s0
	s_mov_b32 s0, -1
	s_cbranch_vccnz .LBB401_1765
; %bb.1745:
	v_cmp_lt_i16_e64 s0, s2, 8
	s_delay_alu instid0(VALU_DEP_1)
	s_and_b32 vcc_lo, exec_lo, s0
	s_mov_b32 s0, -1
	s_cbranch_vccnz .LBB401_1755
; %bb.1746:
	v_cmp_lt_i16_e64 s0, s2, 9
	s_delay_alu instid0(VALU_DEP_1)
	s_and_b32 vcc_lo, exec_lo, s0
	s_mov_b32 s0, -1
	s_cbranch_vccnz .LBB401_1752
; %bb.1747:
	v_cmp_gt_i16_e64 s0, s2, 9
	s_delay_alu instid0(VALU_DEP_1)
	s_and_b32 vcc_lo, exec_lo, s0
	s_mov_b32 s0, -1
	s_cbranch_vccz .LBB401_1749
; %bb.1748:
	v_cvt_f64_f32_e32 v[12:13], v5
	v_mov_b32_e32 v14, 0
	s_mov_b32 s0, 0
	s_delay_alu instid0(VALU_DEP_1)
	v_mov_b32_e32 v15, v14
	global_store_b128 v[3:4], v[12:15], off
.LBB401_1749:
	s_and_not1_b32 vcc_lo, exec_lo, s0
	s_cbranch_vccnz .LBB401_1751
; %bb.1750:
	v_mov_b32_e32 v6, 0
	global_store_b64 v[3:4], v[5:6], off
.LBB401_1751:
	s_mov_b32 s0, 0
.LBB401_1752:
	s_delay_alu instid0(SALU_CYCLE_1)
	s_and_not1_b32 vcc_lo, exec_lo, s0
	s_cbranch_vccnz .LBB401_1754
; %bb.1753:
	v_cvt_f16_f32_e32 v6, v5
	s_delay_alu instid0(VALU_DEP_1)
	v_and_b32_e32 v6, 0xffff, v6
	global_store_b32 v[3:4], v6, off
.LBB401_1754:
	s_mov_b32 s0, 0
.LBB401_1755:
	s_delay_alu instid0(SALU_CYCLE_1)
	s_and_not1_b32 vcc_lo, exec_lo, s0
	s_cbranch_vccnz .LBB401_1764
; %bb.1756:
	v_cmp_lt_i16_e64 s0, s2, 6
	s_delay_alu instid0(VALU_DEP_1)
	s_and_b32 vcc_lo, exec_lo, s0
	s_mov_b32 s0, -1
	s_cbranch_vccnz .LBB401_1762
; %bb.1757:
	v_cmp_gt_i16_e64 s0, s2, 6
	s_delay_alu instid0(VALU_DEP_1)
	s_and_b32 vcc_lo, exec_lo, s0
	s_mov_b32 s0, -1
	s_cbranch_vccz .LBB401_1759
; %bb.1758:
	v_cvt_f64_f32_e32 v[12:13], v5
	s_mov_b32 s0, 0
	global_store_b64 v[3:4], v[12:13], off
.LBB401_1759:
	s_and_not1_b32 vcc_lo, exec_lo, s0
	s_cbranch_vccnz .LBB401_1761
; %bb.1760:
	global_store_b32 v[3:4], v5, off
.LBB401_1761:
	s_mov_b32 s0, 0
.LBB401_1762:
	s_delay_alu instid0(SALU_CYCLE_1)
	s_and_not1_b32 vcc_lo, exec_lo, s0
	s_cbranch_vccnz .LBB401_1764
; %bb.1763:
	v_cvt_f16_f32_e32 v6, v5
	global_store_b16 v[3:4], v6, off
.LBB401_1764:
	s_mov_b32 s0, 0
.LBB401_1765:
	s_delay_alu instid0(SALU_CYCLE_1)
	s_and_not1_b32 vcc_lo, exec_lo, s0
	s_cbranch_vccnz .LBB401_1781
; %bb.1766:
	v_cmp_lt_i16_e64 s0, s2, 2
	s_delay_alu instid0(VALU_DEP_1)
	s_and_b32 vcc_lo, exec_lo, s0
	s_mov_b32 s0, -1
	s_cbranch_vccnz .LBB401_1776
; %bb.1767:
	v_cmp_lt_i16_e64 s0, s2, 3
	s_delay_alu instid0(VALU_DEP_1)
	s_and_b32 vcc_lo, exec_lo, s0
	s_mov_b32 s0, -1
	s_cbranch_vccnz .LBB401_1773
; %bb.1768:
	v_cmp_gt_i16_e64 s0, s2, 3
	s_delay_alu instid0(VALU_DEP_1)
	s_and_b32 vcc_lo, exec_lo, s0
	s_mov_b32 s0, -1
	s_cbranch_vccz .LBB401_1770
; %bb.1769:
	v_trunc_f32_e32 v6, v5
	s_mov_b32 s0, 0
	s_delay_alu instid0(VALU_DEP_1) | instskip(NEXT) | instid1(VALU_DEP_1)
	v_mul_f32_e64 v10, 0x2f800000, |v6|
	v_floor_f32_e32 v10, v10
	s_delay_alu instid0(VALU_DEP_1) | instskip(SKIP_2) | instid1(VALU_DEP_3)
	v_fma_f32 v12, 0xcf800000, v10, |v6|
	v_ashrrev_i32_e32 v6, 31, v6
	v_cvt_u32_f32_e32 v10, v10
	v_cvt_u32_f32_e32 v12, v12
	s_delay_alu instid0(VALU_DEP_2) | instskip(NEXT) | instid1(VALU_DEP_2)
	v_xor_b32_e32 v10, v10, v6
	v_xor_b32_e32 v12, v12, v6
	s_delay_alu instid0(VALU_DEP_1) | instskip(NEXT) | instid1(VALU_DEP_3)
	v_sub_co_u32 v12, vcc_lo, v12, v6
	v_sub_co_ci_u32_e32 v13, vcc_lo, v10, v6, vcc_lo
	global_store_b64 v[3:4], v[12:13], off
.LBB401_1770:
	s_and_not1_b32 vcc_lo, exec_lo, s0
	s_cbranch_vccnz .LBB401_1772
; %bb.1771:
	v_cvt_i32_f32_e32 v6, v5
	global_store_b32 v[3:4], v6, off
.LBB401_1772:
	s_mov_b32 s0, 0
.LBB401_1773:
	s_delay_alu instid0(SALU_CYCLE_1)
	s_and_not1_b32 vcc_lo, exec_lo, s0
	s_cbranch_vccnz .LBB401_1775
; %bb.1774:
	v_cvt_i32_f32_e32 v6, v5
	global_store_b16 v[3:4], v6, off
.LBB401_1775:
	s_mov_b32 s0, 0
.LBB401_1776:
	s_delay_alu instid0(SALU_CYCLE_1)
	s_and_not1_b32 vcc_lo, exec_lo, s0
	s_cbranch_vccnz .LBB401_1781
; %bb.1777:
	v_cmp_gt_i16_e64 s0, s2, 0
	s_delay_alu instid0(VALU_DEP_1)
	s_and_b32 vcc_lo, exec_lo, s0
	s_mov_b32 s0, -1
	s_cbranch_vccz .LBB401_1779
; %bb.1778:
	v_cvt_i32_f32_e32 v6, v5
	s_mov_b32 s0, 0
	global_store_b8 v[3:4], v6, off
.LBB401_1779:
	s_and_not1_b32 vcc_lo, exec_lo, s0
	s_cbranch_vccnz .LBB401_1781
; %bb.1780:
	v_trunc_f32_e32 v5, v5
	s_delay_alu instid0(VALU_DEP_1) | instskip(NEXT) | instid1(VALU_DEP_1)
	v_mul_f32_e64 v6, 0x2f800000, |v5|
	v_floor_f32_e32 v6, v6
	s_delay_alu instid0(VALU_DEP_1) | instskip(SKIP_1) | instid1(VALU_DEP_2)
	v_fma_f32 v6, 0xcf800000, v6, |v5|
	v_ashrrev_i32_e32 v5, 31, v5
	v_cvt_u32_f32_e32 v6, v6
	s_delay_alu instid0(VALU_DEP_1) | instskip(NEXT) | instid1(VALU_DEP_1)
	v_xor_b32_e32 v6, v6, v5
	v_sub_nc_u32_e32 v5, v6, v5
	global_store_b8 v[3:4], v5, off
.LBB401_1781:
	s_mov_b32 s6, -1
.LBB401_1782:
	s_delay_alu instid0(SALU_CYCLE_1)
	s_and_not1_b32 vcc_lo, exec_lo, s6
	s_cbranch_vccnz .LBB401_2049
; %bb.1783:
	s_waitcnt vmcnt(0)
	v_max_f32_e32 v3, v8, v8
	v_cmp_u_f32_e32 vcc_lo, v8, v8
	v_cmp_lt_i16_e64 s0, s2, 11
	v_add_co_u32 v2, s3, s4, v2
	s_delay_alu instid0(VALU_DEP_4) | instskip(SKIP_2) | instid1(VALU_DEP_2)
	v_max_f32_e32 v4, v3, v9
	v_add_co_ci_u32_e64 v3, null, s5, 0, s3
	s_mov_b32 s6, 0
	v_cndmask_b32_e32 v4, v4, v8, vcc_lo
	s_and_b32 vcc_lo, exec_lo, s0
	s_mov_b32 s0, -1
	s_cbranch_vccnz .LBB401_1872
; %bb.1784:
	v_cmp_gt_i16_e64 s0, s2, 25
	s_mov_b32 s7, -1
	s_mov_b32 s3, 0
	s_delay_alu instid0(VALU_DEP_1)
	s_and_b32 vcc_lo, exec_lo, s0
	s_mov_b32 s0, 0
	s_cbranch_vccz .LBB401_1828
; %bb.1785:
	v_cmp_gt_i16_e64 s0, s2, 28
	s_delay_alu instid0(VALU_DEP_1)
	s_and_b32 vcc_lo, exec_lo, s0
	s_cbranch_vccz .LBB401_1790
; %bb.1786:
	v_cmp_gt_i16_e64 s0, s2, 43
	s_delay_alu instid0(VALU_DEP_1)
	s_and_b32 vcc_lo, exec_lo, s0
	;; [unrolled: 5-line block ×3, first 2 shown]
	s_cbranch_vccz .LBB401_1800
; %bb.1788:
	v_cmp_eq_u16_e64 s6, s2, 46
	s_mov_b32 s0, -1
	s_mov_b32 s7, 0
	s_delay_alu instid0(VALU_DEP_1)
	s_and_b32 vcc_lo, exec_lo, s6
	s_mov_b32 s6, 0
	s_cbranch_vccz .LBB401_1801
; %bb.1789:
	v_bfe_u32 v5, v4, 16, 1
	v_cmp_o_f32_e32 vcc_lo, v4, v4
	s_mov_b32 s0, 0
	s_mov_b32 s6, -1
	s_delay_alu instid0(VALU_DEP_2) | instskip(NEXT) | instid1(VALU_DEP_1)
	v_add3_u32 v5, v4, v5, 0x7fff
	v_lshrrev_b32_e32 v5, 16, v5
	s_delay_alu instid0(VALU_DEP_1)
	v_cndmask_b32_e32 v5, 0x7fc0, v5, vcc_lo
	global_store_b32 v[2:3], v5, off
	s_branch .LBB401_1801
.LBB401_1790:
	s_mov_b32 s0, 0
	s_branch .LBB401_1811
.LBB401_1791:
	s_or_saveexec_b32 s10, s10
                                        ; implicit-def: $sgpr11
	s_delay_alu instid0(SALU_CYCLE_1)
	s_xor_b32 exec_lo, exec_lo, s10
	s_cbranch_execz .LBB401_1693
.LBB401_1792:
	v_add_f32_e64 v6, 0x46000000, |v5|
	s_and_not1_b32 s7, s7, exec_lo
	s_mov_b32 s11, 0
	s_delay_alu instid0(VALU_DEP_1) | instskip(NEXT) | instid1(VALU_DEP_1)
	v_and_b32_e32 v6, 0xff, v6
	v_cmp_ne_u32_e32 vcc_lo, 0, v6
	s_and_b32 s12, vcc_lo, exec_lo
	s_delay_alu instid0(SALU_CYCLE_1)
	s_or_b32 s7, s7, s12
	s_or_b32 exec_lo, exec_lo, s10
	v_mov_b32_e32 v10, s11
	s_and_saveexec_b32 s10, s7
	s_cbranch_execnz .LBB401_1694
	s_branch .LBB401_1695
.LBB401_1793:
	s_mov_b32 s0, 0
	s_branch .LBB401_1807
.LBB401_1794:
	s_trap 2
	s_sendmsg_rtn_b32 s0, sendmsg(MSG_RTN_GET_DOORBELL)
	s_mov_b32 ttmp2, m0
	s_waitcnt lgkmcnt(0)
	s_and_b32 s0, s0, 0x3ff
	s_delay_alu instid0(SALU_CYCLE_1) | instskip(NEXT) | instid1(SALU_CYCLE_1)
	s_bitset1_b32 s0, 10
	s_mov_b32 m0, s0
	s_sendmsg sendmsg(MSG_INTERRUPT)
	s_mov_b32 m0, ttmp2
.LBB401_1795:                           ; =>This Inner Loop Header: Depth=1
	s_sethalt 5
	s_branch .LBB401_1795
.LBB401_1796:
	s_cbranch_execnz .LBB401_1923
; %bb.1797:
	s_or_b32 s1, s1, exec_lo
	s_cbranch_execz .LBB401_1741
	s_branch .LBB401_1742
.LBB401_1798:
	s_or_saveexec_b32 s7, s7
                                        ; implicit-def: $sgpr10
	s_delay_alu instid0(SALU_CYCLE_1)
	s_xor_b32 exec_lo, exec_lo, s7
	s_cbranch_execz .LBB401_1706
.LBB401_1799:
	v_add_f32_e64 v6, 0x42800000, |v5|
	s_and_not1_b32 s6, s6, exec_lo
	s_mov_b32 s10, 0
	s_delay_alu instid0(VALU_DEP_1) | instskip(NEXT) | instid1(VALU_DEP_1)
	v_and_b32_e32 v6, 0xff, v6
	v_cmp_ne_u32_e32 vcc_lo, 0, v6
	s_and_b32 s11, vcc_lo, exec_lo
	s_delay_alu instid0(SALU_CYCLE_1)
	s_or_b32 s6, s6, s11
	s_or_b32 exec_lo, exec_lo, s7
	v_mov_b32_e32 v10, s10
	s_and_saveexec_b32 s7, s6
	s_cbranch_execnz .LBB401_1707
	s_branch .LBB401_1708
.LBB401_1800:
	s_mov_b32 s0, 0
.LBB401_1801:
	s_and_b32 vcc_lo, exec_lo, s7
	s_cbranch_vccz .LBB401_1806
; %bb.1802:
	v_cmp_eq_u16_e64 s0, s2, 44
	s_delay_alu instid0(VALU_DEP_1)
	s_and_b32 vcc_lo, exec_lo, s0
	s_mov_b32 s0, -1
	s_cbranch_vccz .LBB401_1806
; %bb.1803:
	v_bfe_u32 v6, v4, 23, 8
	v_mov_b32_e32 v5, 0xff
	s_mov_b32 s6, exec_lo
	s_delay_alu instid0(VALU_DEP_2)
	v_cmpx_ne_u32_e32 0xff, v6
; %bb.1804:
	v_and_b32_e32 v5, 0x400000, v4
	v_and_or_b32 v6, 0x3fffff, v4, v6
	s_delay_alu instid0(VALU_DEP_2) | instskip(NEXT) | instid1(VALU_DEP_2)
	v_cmp_ne_u32_e32 vcc_lo, 0, v5
	v_cmp_ne_u32_e64 s0, 0, v6
	v_lshrrev_b32_e32 v5, 23, v4
	s_delay_alu instid0(VALU_DEP_2) | instskip(NEXT) | instid1(SALU_CYCLE_1)
	s_and_b32 s0, vcc_lo, s0
	v_cndmask_b32_e64 v6, 0, 1, s0
	s_delay_alu instid0(VALU_DEP_1)
	v_add_nc_u32_e32 v5, v5, v6
; %bb.1805:
	s_or_b32 exec_lo, exec_lo, s6
	s_mov_b32 s0, 0
	s_mov_b32 s6, -1
	global_store_b8 v[2:3], v5, off
.LBB401_1806:
	s_mov_b32 s7, 0
.LBB401_1807:
	s_delay_alu instid0(SALU_CYCLE_1)
	s_and_b32 vcc_lo, exec_lo, s7
	s_cbranch_vccz .LBB401_1810
; %bb.1808:
	v_cmp_eq_u16_e64 s0, s2, 29
	s_delay_alu instid0(VALU_DEP_1)
	s_and_b32 vcc_lo, exec_lo, s0
	s_mov_b32 s0, -1
	s_cbranch_vccz .LBB401_1810
; %bb.1809:
	v_trunc_f32_e32 v5, v4
	s_mov_b32 s0, 0
	s_mov_b32 s6, -1
	s_mov_b32 s7, 0
	s_delay_alu instid0(VALU_DEP_1) | instskip(NEXT) | instid1(VALU_DEP_1)
	v_mul_f32_e32 v6, 0x2f800000, v5
	v_floor_f32_e32 v6, v6
	s_delay_alu instid0(VALU_DEP_1) | instskip(SKIP_1) | instid1(VALU_DEP_2)
	v_fmamk_f32 v5, v6, 0xcf800000, v5
	v_cvt_u32_f32_e32 v6, v6
	v_cvt_u32_f32_e32 v5, v5
	global_store_b64 v[2:3], v[5:6], off
	s_branch .LBB401_1811
.LBB401_1810:
	s_mov_b32 s7, 0
.LBB401_1811:
	s_delay_alu instid0(SALU_CYCLE_1)
	s_and_b32 vcc_lo, exec_lo, s7
	s_cbranch_vccz .LBB401_1827
; %bb.1812:
	v_cmp_lt_i16_e64 s6, s2, 27
	s_delay_alu instid0(VALU_DEP_1)
	s_and_b32 vcc_lo, exec_lo, s6
	s_mov_b32 s6, -1
	s_cbranch_vccnz .LBB401_1818
; %bb.1813:
	v_cmp_gt_i16_e64 s6, s2, 27
	v_cvt_u32_f32_e32 v5, v4
	s_delay_alu instid0(VALU_DEP_2)
	s_and_b32 vcc_lo, exec_lo, s6
	s_mov_b32 s6, -1
	s_cbranch_vccz .LBB401_1815
; %bb.1814:
	s_mov_b32 s6, 0
	global_store_b32 v[2:3], v5, off
.LBB401_1815:
	s_and_not1_b32 vcc_lo, exec_lo, s6
	s_cbranch_vccnz .LBB401_1817
; %bb.1816:
	global_store_b16 v[2:3], v5, off
.LBB401_1817:
	s_mov_b32 s6, 0
.LBB401_1818:
	s_delay_alu instid0(SALU_CYCLE_1)
	s_and_not1_b32 vcc_lo, exec_lo, s6
	s_cbranch_vccnz .LBB401_1826
; %bb.1819:
	v_and_b32_e32 v5, 0x7fffffff, v4
	v_mov_b32_e32 v6, 0x80
	s_mov_b32 s6, exec_lo
	s_delay_alu instid0(VALU_DEP_2)
	v_cmpx_gt_u32_e32 0x43800000, v5
	s_cbranch_execz .LBB401_1825
; %bb.1820:
	v_cmp_lt_u32_e32 vcc_lo, 0x3bffffff, v5
	s_mov_b32 s7, 0
                                        ; implicit-def: $vgpr5
	s_and_saveexec_b32 s10, vcc_lo
	s_delay_alu instid0(SALU_CYCLE_1)
	s_xor_b32 s10, exec_lo, s10
	s_cbranch_execz .LBB401_1920
; %bb.1821:
	v_bfe_u32 v5, v4, 20, 1
	s_mov_b32 s7, exec_lo
	s_delay_alu instid0(VALU_DEP_1) | instskip(NEXT) | instid1(VALU_DEP_1)
	v_add3_u32 v5, v4, v5, 0x487ffff
	v_lshrrev_b32_e32 v5, 20, v5
	s_or_saveexec_b32 s10, s10
                                        ; implicit-def: $sgpr11
	s_delay_alu instid0(SALU_CYCLE_1)
	s_xor_b32 exec_lo, exec_lo, s10
	s_cbranch_execnz .LBB401_1921
.LBB401_1822:
	s_or_b32 exec_lo, exec_lo, s10
	v_mov_b32_e32 v6, s11
	s_and_saveexec_b32 s10, s7
.LBB401_1823:
	v_lshrrev_b32_e32 v6, 24, v4
	s_delay_alu instid0(VALU_DEP_1)
	v_and_or_b32 v6, 0x80, v6, v5
.LBB401_1824:
	s_or_b32 exec_lo, exec_lo, s10
.LBB401_1825:
	s_delay_alu instid0(SALU_CYCLE_1)
	s_or_b32 exec_lo, exec_lo, s6
	global_store_b8 v[2:3], v6, off
.LBB401_1826:
	s_mov_b32 s6, -1
.LBB401_1827:
	s_mov_b32 s7, 0
.LBB401_1828:
	s_delay_alu instid0(SALU_CYCLE_1)
	s_and_b32 vcc_lo, exec_lo, s7
	s_cbranch_vccz .LBB401_1868
; %bb.1829:
	v_cmp_gt_i16_e64 s3, s2, 22
	s_delay_alu instid0(VALU_DEP_1)
	s_and_b32 vcc_lo, exec_lo, s3
	s_mov_b32 s3, -1
	s_cbranch_vccz .LBB401_1861
; %bb.1830:
	v_cmp_lt_i16_e64 s3, s2, 24
	s_delay_alu instid0(VALU_DEP_1)
	s_and_b32 vcc_lo, exec_lo, s3
	s_mov_b32 s3, -1
	s_cbranch_vccnz .LBB401_1850
; %bb.1831:
	v_cmp_gt_i16_e64 s3, s2, 24
	s_delay_alu instid0(VALU_DEP_1)
	s_and_b32 vcc_lo, exec_lo, s3
	s_mov_b32 s3, -1
	s_cbranch_vccz .LBB401_1839
; %bb.1832:
	v_and_b32_e32 v5, 0x7fffffff, v4
	v_mov_b32_e32 v6, 0x80
	s_mov_b32 s3, exec_lo
	s_delay_alu instid0(VALU_DEP_2)
	v_cmpx_gt_u32_e32 0x47800000, v5
	s_cbranch_execz .LBB401_1838
; %bb.1833:
	v_cmp_lt_u32_e32 vcc_lo, 0x37ffffff, v5
	s_mov_b32 s6, 0
                                        ; implicit-def: $vgpr5
	s_and_saveexec_b32 s7, vcc_lo
	s_delay_alu instid0(SALU_CYCLE_1)
	s_xor_b32 s7, exec_lo, s7
	s_cbranch_execz .LBB401_1927
; %bb.1834:
	v_bfe_u32 v5, v4, 21, 1
	s_mov_b32 s6, exec_lo
	s_delay_alu instid0(VALU_DEP_1) | instskip(NEXT) | instid1(VALU_DEP_1)
	v_add3_u32 v5, v4, v5, 0x88fffff
	v_lshrrev_b32_e32 v5, 21, v5
	s_or_saveexec_b32 s7, s7
                                        ; implicit-def: $sgpr10
	s_delay_alu instid0(SALU_CYCLE_1)
	s_xor_b32 exec_lo, exec_lo, s7
	s_cbranch_execnz .LBB401_1928
.LBB401_1835:
	s_or_b32 exec_lo, exec_lo, s7
	v_mov_b32_e32 v6, s10
	s_and_saveexec_b32 s7, s6
.LBB401_1836:
	v_lshrrev_b32_e32 v6, 24, v4
	s_delay_alu instid0(VALU_DEP_1)
	v_and_or_b32 v6, 0x80, v6, v5
.LBB401_1837:
	s_or_b32 exec_lo, exec_lo, s7
.LBB401_1838:
	s_delay_alu instid0(SALU_CYCLE_1)
	s_or_b32 exec_lo, exec_lo, s3
	s_mov_b32 s3, 0
	global_store_b8 v[2:3], v6, off
.LBB401_1839:
	s_and_b32 vcc_lo, exec_lo, s3
	s_cbranch_vccz .LBB401_1849
; %bb.1840:
	v_and_b32_e32 v6, 0x7fffffff, v4
	s_mov_b32 s3, exec_lo
                                        ; implicit-def: $vgpr5
	s_delay_alu instid0(VALU_DEP_1)
	v_cmpx_gt_u32_e32 0x43f00000, v6
	s_xor_b32 s3, exec_lo, s3
	s_cbranch_execz .LBB401_1846
; %bb.1841:
	s_mov_b32 s6, exec_lo
                                        ; implicit-def: $vgpr5
	v_cmpx_lt_u32_e32 0x3c7fffff, v6
	s_xor_b32 s6, exec_lo, s6
; %bb.1842:
	v_bfe_u32 v5, v4, 20, 1
	s_delay_alu instid0(VALU_DEP_1) | instskip(NEXT) | instid1(VALU_DEP_1)
	v_add3_u32 v5, v4, v5, 0x407ffff
	v_and_b32_e32 v6, 0xff00000, v5
	v_lshrrev_b32_e32 v5, 20, v5
	s_delay_alu instid0(VALU_DEP_2) | instskip(NEXT) | instid1(VALU_DEP_2)
	v_cmp_ne_u32_e32 vcc_lo, 0x7f00000, v6
	v_cndmask_b32_e32 v5, 0x7e, v5, vcc_lo
; %bb.1843:
	s_and_not1_saveexec_b32 s6, s6
; %bb.1844:
	v_add_f32_e64 v5, 0x46800000, |v4|
; %bb.1845:
	s_or_b32 exec_lo, exec_lo, s6
                                        ; implicit-def: $vgpr6
.LBB401_1846:
	s_and_not1_saveexec_b32 s3, s3
; %bb.1847:
	v_mov_b32_e32 v5, 0x7f
	v_cmp_lt_u32_e32 vcc_lo, 0x7f800000, v6
	s_delay_alu instid0(VALU_DEP_2)
	v_cndmask_b32_e32 v5, 0x7e, v5, vcc_lo
; %bb.1848:
	s_or_b32 exec_lo, exec_lo, s3
	v_lshrrev_b32_e32 v6, 24, v4
	s_delay_alu instid0(VALU_DEP_1)
	v_and_or_b32 v5, 0x80, v6, v5
	global_store_b8 v[2:3], v5, off
.LBB401_1849:
	s_mov_b32 s3, 0
.LBB401_1850:
	s_delay_alu instid0(SALU_CYCLE_1)
	s_and_not1_b32 vcc_lo, exec_lo, s3
	s_cbranch_vccnz .LBB401_1860
; %bb.1851:
	v_and_b32_e32 v6, 0x7fffffff, v4
	s_mov_b32 s3, exec_lo
                                        ; implicit-def: $vgpr5
	s_delay_alu instid0(VALU_DEP_1)
	v_cmpx_gt_u32_e32 0x47800000, v6
	s_xor_b32 s3, exec_lo, s3
	s_cbranch_execz .LBB401_1857
; %bb.1852:
	s_mov_b32 s6, exec_lo
                                        ; implicit-def: $vgpr5
	v_cmpx_lt_u32_e32 0x387fffff, v6
	s_xor_b32 s6, exec_lo, s6
; %bb.1853:
	v_bfe_u32 v5, v4, 21, 1
	s_delay_alu instid0(VALU_DEP_1) | instskip(NEXT) | instid1(VALU_DEP_1)
	v_add3_u32 v5, v4, v5, 0x80fffff
	v_lshrrev_b32_e32 v5, 21, v5
; %bb.1854:
	s_and_not1_saveexec_b32 s6, s6
; %bb.1855:
	v_add_f32_e64 v5, 0x43000000, |v4|
; %bb.1856:
	s_or_b32 exec_lo, exec_lo, s6
                                        ; implicit-def: $vgpr6
.LBB401_1857:
	s_and_not1_saveexec_b32 s3, s3
; %bb.1858:
	v_mov_b32_e32 v5, 0x7f
	v_cmp_lt_u32_e32 vcc_lo, 0x7f800000, v6
	s_delay_alu instid0(VALU_DEP_2)
	v_cndmask_b32_e32 v5, 0x7c, v5, vcc_lo
; %bb.1859:
	s_or_b32 exec_lo, exec_lo, s3
	v_lshrrev_b32_e32 v6, 24, v4
	s_delay_alu instid0(VALU_DEP_1)
	v_and_or_b32 v5, 0x80, v6, v5
	global_store_b8 v[2:3], v5, off
.LBB401_1860:
	s_mov_b32 s3, 0
	s_mov_b32 s6, -1
.LBB401_1861:
	s_and_not1_b32 vcc_lo, exec_lo, s3
	s_mov_b32 s3, 0
	s_cbranch_vccnz .LBB401_1868
; %bb.1862:
	v_cmp_gt_i16_e64 s3, s2, 14
	s_delay_alu instid0(VALU_DEP_1)
	s_and_b32 vcc_lo, exec_lo, s3
	s_mov_b32 s3, -1
	s_cbranch_vccz .LBB401_1866
; %bb.1863:
	v_cmp_eq_u16_e64 s0, s2, 15
	s_delay_alu instid0(VALU_DEP_1)
	s_and_b32 vcc_lo, exec_lo, s0
	s_mov_b32 s0, -1
	s_cbranch_vccz .LBB401_1865
; %bb.1864:
	v_bfe_u32 v5, v4, 16, 1
	v_cmp_o_f32_e32 vcc_lo, v4, v4
	s_mov_b32 s0, 0
	s_mov_b32 s6, -1
	s_delay_alu instid0(VALU_DEP_2) | instskip(NEXT) | instid1(VALU_DEP_1)
	v_add3_u32 v5, v4, v5, 0x7fff
	v_lshrrev_b32_e32 v5, 16, v5
	s_delay_alu instid0(VALU_DEP_1)
	v_cndmask_b32_e32 v5, 0x7fc0, v5, vcc_lo
	global_store_b16 v[2:3], v5, off
.LBB401_1865:
	s_mov_b32 s3, 0
.LBB401_1866:
	s_delay_alu instid0(SALU_CYCLE_1)
	s_and_b32 vcc_lo, exec_lo, s3
	s_mov_b32 s3, 0
	s_cbranch_vccz .LBB401_1868
; %bb.1867:
	v_cmp_ne_u16_e64 s0, s2, 11
	s_mov_b32 s3, -1
.LBB401_1868:
	s_delay_alu instid0(VALU_DEP_1)
	s_and_b32 vcc_lo, exec_lo, s0
	s_cbranch_vccnz .LBB401_1925
; %bb.1869:
	s_and_not1_b32 vcc_lo, exec_lo, s3
	s_cbranch_vccnz .LBB401_1871
.LBB401_1870:
	v_cmp_neq_f32_e32 vcc_lo, 0, v4
	s_mov_b32 s6, -1
	v_cndmask_b32_e64 v5, 0, 1, vcc_lo
	global_store_b8 v[2:3], v5, off
.LBB401_1871:
	s_mov_b32 s0, 0
.LBB401_1872:
	s_delay_alu instid0(SALU_CYCLE_1)
	s_and_b32 vcc_lo, exec_lo, s0
	s_cbranch_vccz .LBB401_1911
; %bb.1873:
	v_cmp_lt_i16_e64 s0, s2, 5
	s_delay_alu instid0(VALU_DEP_1)
	s_and_b32 vcc_lo, exec_lo, s0
	s_mov_b32 s0, -1
	s_cbranch_vccnz .LBB401_1894
; %bb.1874:
	v_cmp_lt_i16_e64 s0, s2, 8
	s_delay_alu instid0(VALU_DEP_1)
	s_and_b32 vcc_lo, exec_lo, s0
	s_mov_b32 s0, -1
	s_cbranch_vccnz .LBB401_1884
	;; [unrolled: 6-line block ×3, first 2 shown]
; %bb.1876:
	v_cmp_gt_i16_e64 s0, s2, 9
	s_delay_alu instid0(VALU_DEP_1)
	s_and_b32 vcc_lo, exec_lo, s0
	s_mov_b32 s0, -1
	s_cbranch_vccz .LBB401_1878
; %bb.1877:
	v_cvt_f64_f32_e32 v[12:13], v4
	v_mov_b32_e32 v14, 0
	s_mov_b32 s0, 0
	s_delay_alu instid0(VALU_DEP_1)
	v_mov_b32_e32 v15, v14
	global_store_b128 v[2:3], v[12:15], off
.LBB401_1878:
	s_and_not1_b32 vcc_lo, exec_lo, s0
	s_cbranch_vccnz .LBB401_1880
; %bb.1879:
	v_mov_b32_e32 v5, 0
	global_store_b64 v[2:3], v[4:5], off
.LBB401_1880:
	s_mov_b32 s0, 0
.LBB401_1881:
	s_delay_alu instid0(SALU_CYCLE_1)
	s_and_not1_b32 vcc_lo, exec_lo, s0
	s_cbranch_vccnz .LBB401_1883
; %bb.1882:
	v_cvt_f16_f32_e32 v5, v4
	s_delay_alu instid0(VALU_DEP_1)
	v_and_b32_e32 v5, 0xffff, v5
	global_store_b32 v[2:3], v5, off
.LBB401_1883:
	s_mov_b32 s0, 0
.LBB401_1884:
	s_delay_alu instid0(SALU_CYCLE_1)
	s_and_not1_b32 vcc_lo, exec_lo, s0
	s_cbranch_vccnz .LBB401_1893
; %bb.1885:
	v_cmp_lt_i16_e64 s0, s2, 6
	s_delay_alu instid0(VALU_DEP_1)
	s_and_b32 vcc_lo, exec_lo, s0
	s_mov_b32 s0, -1
	s_cbranch_vccnz .LBB401_1891
; %bb.1886:
	v_cmp_gt_i16_e64 s0, s2, 6
	s_delay_alu instid0(VALU_DEP_1)
	s_and_b32 vcc_lo, exec_lo, s0
	s_mov_b32 s0, -1
	s_cbranch_vccz .LBB401_1888
; %bb.1887:
	v_cvt_f64_f32_e32 v[5:6], v4
	s_mov_b32 s0, 0
	global_store_b64 v[2:3], v[5:6], off
.LBB401_1888:
	s_and_not1_b32 vcc_lo, exec_lo, s0
	s_cbranch_vccnz .LBB401_1890
; %bb.1889:
	global_store_b32 v[2:3], v4, off
.LBB401_1890:
	s_mov_b32 s0, 0
.LBB401_1891:
	s_delay_alu instid0(SALU_CYCLE_1)
	s_and_not1_b32 vcc_lo, exec_lo, s0
	s_cbranch_vccnz .LBB401_1893
; %bb.1892:
	v_cvt_f16_f32_e32 v5, v4
	global_store_b16 v[2:3], v5, off
.LBB401_1893:
	s_mov_b32 s0, 0
.LBB401_1894:
	s_delay_alu instid0(SALU_CYCLE_1)
	s_and_not1_b32 vcc_lo, exec_lo, s0
	s_cbranch_vccnz .LBB401_1910
; %bb.1895:
	v_cmp_lt_i16_e64 s0, s2, 2
	s_delay_alu instid0(VALU_DEP_1)
	s_and_b32 vcc_lo, exec_lo, s0
	s_mov_b32 s0, -1
	s_cbranch_vccnz .LBB401_1905
; %bb.1896:
	v_cmp_lt_i16_e64 s0, s2, 3
	s_delay_alu instid0(VALU_DEP_1)
	s_and_b32 vcc_lo, exec_lo, s0
	s_mov_b32 s0, -1
	s_cbranch_vccnz .LBB401_1902
; %bb.1897:
	v_cmp_gt_i16_e64 s0, s2, 3
	s_delay_alu instid0(VALU_DEP_1)
	s_and_b32 vcc_lo, exec_lo, s0
	s_mov_b32 s0, -1
	s_cbranch_vccz .LBB401_1899
; %bb.1898:
	v_trunc_f32_e32 v5, v4
	s_mov_b32 s0, 0
	s_delay_alu instid0(VALU_DEP_1) | instskip(SKIP_1) | instid1(VALU_DEP_2)
	v_mul_f32_e64 v6, 0x2f800000, |v5|
	v_ashrrev_i32_e32 v10, 31, v5
	v_floor_f32_e32 v6, v6
	s_delay_alu instid0(VALU_DEP_1) | instskip(SKIP_1) | instid1(VALU_DEP_2)
	v_fma_f32 v8, 0xcf800000, v6, |v5|
	v_cvt_u32_f32_e32 v6, v6
	v_cvt_u32_f32_e32 v5, v8
	s_delay_alu instid0(VALU_DEP_2) | instskip(NEXT) | instid1(VALU_DEP_2)
	v_xor_b32_e32 v6, v6, v10
	v_xor_b32_e32 v5, v5, v10
	s_delay_alu instid0(VALU_DEP_1) | instskip(NEXT) | instid1(VALU_DEP_3)
	v_sub_co_u32 v5, vcc_lo, v5, v10
	v_sub_co_ci_u32_e32 v6, vcc_lo, v6, v10, vcc_lo
	global_store_b64 v[2:3], v[5:6], off
.LBB401_1899:
	s_and_not1_b32 vcc_lo, exec_lo, s0
	s_cbranch_vccnz .LBB401_1901
; %bb.1900:
	v_cvt_i32_f32_e32 v5, v4
	global_store_b32 v[2:3], v5, off
.LBB401_1901:
	s_mov_b32 s0, 0
.LBB401_1902:
	s_delay_alu instid0(SALU_CYCLE_1)
	s_and_not1_b32 vcc_lo, exec_lo, s0
	s_cbranch_vccnz .LBB401_1904
; %bb.1903:
	v_cvt_i32_f32_e32 v5, v4
	global_store_b16 v[2:3], v5, off
.LBB401_1904:
	s_mov_b32 s0, 0
.LBB401_1905:
	s_delay_alu instid0(SALU_CYCLE_1)
	s_and_not1_b32 vcc_lo, exec_lo, s0
	s_cbranch_vccnz .LBB401_1910
; %bb.1906:
	v_cmp_gt_i16_e64 s0, s2, 0
	s_delay_alu instid0(VALU_DEP_1)
	s_and_b32 vcc_lo, exec_lo, s0
	s_mov_b32 s0, -1
	s_cbranch_vccz .LBB401_1908
; %bb.1907:
	v_cvt_i32_f32_e32 v5, v4
	s_mov_b32 s0, 0
	global_store_b8 v[2:3], v5, off
.LBB401_1908:
	s_and_not1_b32 vcc_lo, exec_lo, s0
	s_cbranch_vccnz .LBB401_1910
; %bb.1909:
	v_trunc_f32_e32 v4, v4
	s_delay_alu instid0(VALU_DEP_1) | instskip(NEXT) | instid1(VALU_DEP_1)
	v_mul_f32_e64 v5, 0x2f800000, |v4|
	v_floor_f32_e32 v5, v5
	s_delay_alu instid0(VALU_DEP_1) | instskip(SKIP_1) | instid1(VALU_DEP_2)
	v_fma_f32 v5, 0xcf800000, v5, |v4|
	v_ashrrev_i32_e32 v4, 31, v4
	v_cvt_u32_f32_e32 v5, v5
	s_delay_alu instid0(VALU_DEP_1) | instskip(NEXT) | instid1(VALU_DEP_1)
	v_xor_b32_e32 v5, v5, v4
	v_sub_nc_u32_e32 v4, v5, v4
	global_store_b8 v[2:3], v4, off
.LBB401_1910:
	s_mov_b32 s6, -1
.LBB401_1911:
	s_delay_alu instid0(SALU_CYCLE_1)
	s_and_not1_b32 vcc_lo, exec_lo, s6
	s_cbranch_vccnz .LBB401_2049
; %bb.1912:
	v_max_f32_e32 v2, v7, v7
	v_cmp_u_f32_e32 vcc_lo, v7, v7
	v_cmp_lt_i16_e64 s0, s2, 11
	v_add_co_u32 v1, s3, s4, v1
	s_delay_alu instid0(VALU_DEP_4) | instskip(SKIP_2) | instid1(VALU_DEP_2)
	v_max_f32_e32 v3, v2, v9
	v_add_co_ci_u32_e64 v2, null, s5, 0, s3
	s_mov_b32 s6, 0
	v_cndmask_b32_e32 v3, v3, v7, vcc_lo
	s_and_b32 vcc_lo, exec_lo, s0
	s_mov_b32 s0, -1
	s_cbranch_vccnz .LBB401_2001
; %bb.1913:
	v_cmp_gt_i16_e64 s0, s2, 25
	s_mov_b32 s7, -1
	s_mov_b32 s3, 0
	s_delay_alu instid0(VALU_DEP_1)
	s_and_b32 vcc_lo, exec_lo, s0
	s_mov_b32 s0, 0
	s_cbranch_vccz .LBB401_1957
; %bb.1914:
	v_cmp_gt_i16_e64 s0, s2, 28
	s_delay_alu instid0(VALU_DEP_1)
	s_and_b32 vcc_lo, exec_lo, s0
	s_cbranch_vccz .LBB401_1919
; %bb.1915:
	v_cmp_gt_i16_e64 s0, s2, 43
	s_delay_alu instid0(VALU_DEP_1)
	s_and_b32 vcc_lo, exec_lo, s0
	;; [unrolled: 5-line block ×3, first 2 shown]
	s_cbranch_vccz .LBB401_1929
; %bb.1917:
	v_cmp_eq_u16_e64 s6, s2, 46
	s_mov_b32 s0, -1
	s_mov_b32 s7, 0
	s_delay_alu instid0(VALU_DEP_1)
	s_and_b32 vcc_lo, exec_lo, s6
	s_mov_b32 s6, 0
	s_cbranch_vccz .LBB401_1930
; %bb.1918:
	v_bfe_u32 v4, v3, 16, 1
	v_cmp_o_f32_e32 vcc_lo, v3, v3
	s_mov_b32 s0, 0
	s_mov_b32 s6, -1
	s_delay_alu instid0(VALU_DEP_2) | instskip(NEXT) | instid1(VALU_DEP_1)
	v_add3_u32 v4, v3, v4, 0x7fff
	v_lshrrev_b32_e32 v4, 16, v4
	s_delay_alu instid0(VALU_DEP_1)
	v_cndmask_b32_e32 v4, 0x7fc0, v4, vcc_lo
	global_store_b32 v[1:2], v4, off
	s_branch .LBB401_1930
.LBB401_1919:
	s_mov_b32 s0, 0
	s_branch .LBB401_1940
.LBB401_1920:
	s_or_saveexec_b32 s10, s10
                                        ; implicit-def: $sgpr11
	s_delay_alu instid0(SALU_CYCLE_1)
	s_xor_b32 exec_lo, exec_lo, s10
	s_cbranch_execz .LBB401_1822
.LBB401_1921:
	v_add_f32_e64 v5, 0x46000000, |v4|
	s_and_not1_b32 s7, s7, exec_lo
	s_mov_b32 s11, 0
	s_delay_alu instid0(VALU_DEP_1) | instskip(NEXT) | instid1(VALU_DEP_1)
	v_and_b32_e32 v5, 0xff, v5
	v_cmp_ne_u32_e32 vcc_lo, 0, v5
	s_and_b32 s12, vcc_lo, exec_lo
	s_delay_alu instid0(SALU_CYCLE_1)
	s_or_b32 s7, s7, s12
	s_or_b32 exec_lo, exec_lo, s10
	v_mov_b32_e32 v6, s11
	s_and_saveexec_b32 s10, s7
	s_cbranch_execnz .LBB401_1823
	s_branch .LBB401_1824
.LBB401_1922:
	s_mov_b32 s0, 0
	s_branch .LBB401_1936
.LBB401_1923:
	s_trap 2
	s_sendmsg_rtn_b32 s0, sendmsg(MSG_RTN_GET_DOORBELL)
	s_mov_b32 ttmp2, m0
	s_waitcnt lgkmcnt(0)
	s_and_b32 s0, s0, 0x3ff
	s_delay_alu instid0(SALU_CYCLE_1) | instskip(NEXT) | instid1(SALU_CYCLE_1)
	s_bitset1_b32 s0, 10
	s_mov_b32 m0, s0
	s_sendmsg sendmsg(MSG_INTERRUPT)
	s_mov_b32 m0, ttmp2
.LBB401_1924:                           ; =>This Inner Loop Header: Depth=1
	s_sethalt 5
	s_branch .LBB401_1924
.LBB401_1925:
	s_cbranch_execnz .LBB401_2098
; %bb.1926:
	s_or_b32 s1, s1, exec_lo
	s_cbranch_execz .LBB401_1870
	s_branch .LBB401_1871
.LBB401_1927:
	s_or_saveexec_b32 s7, s7
                                        ; implicit-def: $sgpr10
	s_delay_alu instid0(SALU_CYCLE_1)
	s_xor_b32 exec_lo, exec_lo, s7
	s_cbranch_execz .LBB401_1835
.LBB401_1928:
	v_add_f32_e64 v5, 0x42800000, |v4|
	s_and_not1_b32 s6, s6, exec_lo
	s_mov_b32 s10, 0
	s_delay_alu instid0(VALU_DEP_1) | instskip(NEXT) | instid1(VALU_DEP_1)
	v_and_b32_e32 v5, 0xff, v5
	v_cmp_ne_u32_e32 vcc_lo, 0, v5
	s_and_b32 s11, vcc_lo, exec_lo
	s_delay_alu instid0(SALU_CYCLE_1)
	s_or_b32 s6, s6, s11
	s_or_b32 exec_lo, exec_lo, s7
	v_mov_b32_e32 v6, s10
	s_and_saveexec_b32 s7, s6
	s_cbranch_execnz .LBB401_1836
	s_branch .LBB401_1837
.LBB401_1929:
	s_mov_b32 s0, 0
.LBB401_1930:
	s_and_b32 vcc_lo, exec_lo, s7
	s_cbranch_vccz .LBB401_1935
; %bb.1931:
	v_cmp_eq_u16_e64 s0, s2, 44
	s_delay_alu instid0(VALU_DEP_1)
	s_and_b32 vcc_lo, exec_lo, s0
	s_mov_b32 s0, -1
	s_cbranch_vccz .LBB401_1935
; %bb.1932:
	v_bfe_u32 v5, v3, 23, 8
	v_mov_b32_e32 v4, 0xff
	s_mov_b32 s6, exec_lo
	s_delay_alu instid0(VALU_DEP_2)
	v_cmpx_ne_u32_e32 0xff, v5
; %bb.1933:
	v_and_b32_e32 v4, 0x400000, v3
	v_and_or_b32 v5, 0x3fffff, v3, v5
	s_delay_alu instid0(VALU_DEP_2) | instskip(NEXT) | instid1(VALU_DEP_2)
	v_cmp_ne_u32_e32 vcc_lo, 0, v4
	v_cmp_ne_u32_e64 s0, 0, v5
	v_lshrrev_b32_e32 v4, 23, v3
	s_delay_alu instid0(VALU_DEP_2) | instskip(NEXT) | instid1(SALU_CYCLE_1)
	s_and_b32 s0, vcc_lo, s0
	v_cndmask_b32_e64 v5, 0, 1, s0
	s_delay_alu instid0(VALU_DEP_1)
	v_add_nc_u32_e32 v4, v4, v5
; %bb.1934:
	s_or_b32 exec_lo, exec_lo, s6
	s_mov_b32 s0, 0
	s_mov_b32 s6, -1
	global_store_b8 v[1:2], v4, off
.LBB401_1935:
	s_mov_b32 s7, 0
.LBB401_1936:
	s_delay_alu instid0(SALU_CYCLE_1)
	s_and_b32 vcc_lo, exec_lo, s7
	s_cbranch_vccz .LBB401_1939
; %bb.1937:
	v_cmp_eq_u16_e64 s0, s2, 29
	s_delay_alu instid0(VALU_DEP_1)
	s_and_b32 vcc_lo, exec_lo, s0
	s_mov_b32 s0, -1
	s_cbranch_vccz .LBB401_1939
; %bb.1938:
	v_trunc_f32_e32 v4, v3
	s_mov_b32 s0, 0
	s_mov_b32 s6, -1
	s_mov_b32 s7, 0
	s_delay_alu instid0(VALU_DEP_1) | instskip(NEXT) | instid1(VALU_DEP_1)
	v_mul_f32_e32 v5, 0x2f800000, v4
	v_floor_f32_e32 v5, v5
	s_delay_alu instid0(VALU_DEP_1) | instskip(SKIP_1) | instid1(VALU_DEP_2)
	v_fmamk_f32 v4, v5, 0xcf800000, v4
	v_cvt_u32_f32_e32 v5, v5
	v_cvt_u32_f32_e32 v4, v4
	global_store_b64 v[1:2], v[4:5], off
	s_branch .LBB401_1940
.LBB401_1939:
	s_mov_b32 s7, 0
.LBB401_1940:
	s_delay_alu instid0(SALU_CYCLE_1)
	s_and_b32 vcc_lo, exec_lo, s7
	s_cbranch_vccz .LBB401_1956
; %bb.1941:
	v_cmp_lt_i16_e64 s6, s2, 27
	s_delay_alu instid0(VALU_DEP_1)
	s_and_b32 vcc_lo, exec_lo, s6
	s_mov_b32 s6, -1
	s_cbranch_vccnz .LBB401_1947
; %bb.1942:
	v_cmp_gt_i16_e64 s6, s2, 27
	v_cvt_u32_f32_e32 v4, v3
	s_delay_alu instid0(VALU_DEP_2)
	s_and_b32 vcc_lo, exec_lo, s6
	s_mov_b32 s6, -1
	s_cbranch_vccz .LBB401_1944
; %bb.1943:
	s_mov_b32 s6, 0
	global_store_b32 v[1:2], v4, off
.LBB401_1944:
	s_and_not1_b32 vcc_lo, exec_lo, s6
	s_cbranch_vccnz .LBB401_1946
; %bb.1945:
	global_store_b16 v[1:2], v4, off
.LBB401_1946:
	s_mov_b32 s6, 0
.LBB401_1947:
	s_delay_alu instid0(SALU_CYCLE_1)
	s_and_not1_b32 vcc_lo, exec_lo, s6
	s_cbranch_vccnz .LBB401_1955
; %bb.1948:
	v_and_b32_e32 v4, 0x7fffffff, v3
	v_mov_b32_e32 v5, 0x80
	s_mov_b32 s6, exec_lo
	s_delay_alu instid0(VALU_DEP_2)
	v_cmpx_gt_u32_e32 0x43800000, v4
	s_cbranch_execz .LBB401_1954
; %bb.1949:
	v_cmp_lt_u32_e32 vcc_lo, 0x3bffffff, v4
	s_mov_b32 s7, 0
                                        ; implicit-def: $vgpr4
	s_and_saveexec_b32 s10, vcc_lo
	s_delay_alu instid0(SALU_CYCLE_1)
	s_xor_b32 s10, exec_lo, s10
	s_cbranch_execz .LBB401_2095
; %bb.1950:
	v_bfe_u32 v4, v3, 20, 1
	s_mov_b32 s7, exec_lo
	s_delay_alu instid0(VALU_DEP_1) | instskip(NEXT) | instid1(VALU_DEP_1)
	v_add3_u32 v4, v3, v4, 0x487ffff
	v_lshrrev_b32_e32 v4, 20, v4
	s_or_saveexec_b32 s10, s10
                                        ; implicit-def: $sgpr11
	s_delay_alu instid0(SALU_CYCLE_1)
	s_xor_b32 exec_lo, exec_lo, s10
	s_cbranch_execnz .LBB401_2096
.LBB401_1951:
	s_or_b32 exec_lo, exec_lo, s10
	v_mov_b32_e32 v5, s11
	s_and_saveexec_b32 s10, s7
.LBB401_1952:
	v_lshrrev_b32_e32 v5, 24, v3
	s_delay_alu instid0(VALU_DEP_1)
	v_and_or_b32 v5, 0x80, v5, v4
.LBB401_1953:
	s_or_b32 exec_lo, exec_lo, s10
.LBB401_1954:
	s_delay_alu instid0(SALU_CYCLE_1)
	s_or_b32 exec_lo, exec_lo, s6
	global_store_b8 v[1:2], v5, off
.LBB401_1955:
	s_mov_b32 s6, -1
.LBB401_1956:
	s_mov_b32 s7, 0
.LBB401_1957:
	s_delay_alu instid0(SALU_CYCLE_1)
	s_and_b32 vcc_lo, exec_lo, s7
	s_cbranch_vccz .LBB401_1997
; %bb.1958:
	v_cmp_gt_i16_e64 s3, s2, 22
	s_delay_alu instid0(VALU_DEP_1)
	s_and_b32 vcc_lo, exec_lo, s3
	s_mov_b32 s3, -1
	s_cbranch_vccz .LBB401_1990
; %bb.1959:
	v_cmp_lt_i16_e64 s3, s2, 24
	s_delay_alu instid0(VALU_DEP_1)
	s_and_b32 vcc_lo, exec_lo, s3
	s_mov_b32 s3, -1
	s_cbranch_vccnz .LBB401_1979
; %bb.1960:
	v_cmp_gt_i16_e64 s3, s2, 24
	s_delay_alu instid0(VALU_DEP_1)
	s_and_b32 vcc_lo, exec_lo, s3
	s_mov_b32 s3, -1
	s_cbranch_vccz .LBB401_1968
; %bb.1961:
	v_and_b32_e32 v4, 0x7fffffff, v3
	v_mov_b32_e32 v5, 0x80
	s_mov_b32 s3, exec_lo
	s_delay_alu instid0(VALU_DEP_2)
	v_cmpx_gt_u32_e32 0x47800000, v4
	s_cbranch_execz .LBB401_1967
; %bb.1962:
	v_cmp_lt_u32_e32 vcc_lo, 0x37ffffff, v4
	s_mov_b32 s6, 0
                                        ; implicit-def: $vgpr4
	s_and_saveexec_b32 s7, vcc_lo
	s_delay_alu instid0(SALU_CYCLE_1)
	s_xor_b32 s7, exec_lo, s7
	s_cbranch_execz .LBB401_2102
; %bb.1963:
	v_bfe_u32 v4, v3, 21, 1
	s_mov_b32 s6, exec_lo
	s_delay_alu instid0(VALU_DEP_1) | instskip(NEXT) | instid1(VALU_DEP_1)
	v_add3_u32 v4, v3, v4, 0x88fffff
	v_lshrrev_b32_e32 v4, 21, v4
	s_or_saveexec_b32 s7, s7
                                        ; implicit-def: $sgpr10
	s_delay_alu instid0(SALU_CYCLE_1)
	s_xor_b32 exec_lo, exec_lo, s7
	s_cbranch_execnz .LBB401_2103
.LBB401_1964:
	s_or_b32 exec_lo, exec_lo, s7
	v_mov_b32_e32 v5, s10
	s_and_saveexec_b32 s7, s6
.LBB401_1965:
	v_lshrrev_b32_e32 v5, 24, v3
	s_delay_alu instid0(VALU_DEP_1)
	v_and_or_b32 v5, 0x80, v5, v4
.LBB401_1966:
	s_or_b32 exec_lo, exec_lo, s7
.LBB401_1967:
	s_delay_alu instid0(SALU_CYCLE_1)
	s_or_b32 exec_lo, exec_lo, s3
	s_mov_b32 s3, 0
	global_store_b8 v[1:2], v5, off
.LBB401_1968:
	s_and_b32 vcc_lo, exec_lo, s3
	s_cbranch_vccz .LBB401_1978
; %bb.1969:
	v_and_b32_e32 v5, 0x7fffffff, v3
	s_mov_b32 s3, exec_lo
                                        ; implicit-def: $vgpr4
	s_delay_alu instid0(VALU_DEP_1)
	v_cmpx_gt_u32_e32 0x43f00000, v5
	s_xor_b32 s3, exec_lo, s3
	s_cbranch_execz .LBB401_1975
; %bb.1970:
	s_mov_b32 s6, exec_lo
                                        ; implicit-def: $vgpr4
	v_cmpx_lt_u32_e32 0x3c7fffff, v5
	s_xor_b32 s6, exec_lo, s6
; %bb.1971:
	v_bfe_u32 v4, v3, 20, 1
	s_delay_alu instid0(VALU_DEP_1) | instskip(NEXT) | instid1(VALU_DEP_1)
	v_add3_u32 v4, v3, v4, 0x407ffff
	v_and_b32_e32 v5, 0xff00000, v4
	v_lshrrev_b32_e32 v4, 20, v4
	s_delay_alu instid0(VALU_DEP_2) | instskip(NEXT) | instid1(VALU_DEP_2)
	v_cmp_ne_u32_e32 vcc_lo, 0x7f00000, v5
	v_cndmask_b32_e32 v4, 0x7e, v4, vcc_lo
; %bb.1972:
	s_and_not1_saveexec_b32 s6, s6
; %bb.1973:
	v_add_f32_e64 v4, 0x46800000, |v3|
; %bb.1974:
	s_or_b32 exec_lo, exec_lo, s6
                                        ; implicit-def: $vgpr5
.LBB401_1975:
	s_and_not1_saveexec_b32 s3, s3
; %bb.1976:
	v_mov_b32_e32 v4, 0x7f
	v_cmp_lt_u32_e32 vcc_lo, 0x7f800000, v5
	s_delay_alu instid0(VALU_DEP_2)
	v_cndmask_b32_e32 v4, 0x7e, v4, vcc_lo
; %bb.1977:
	s_or_b32 exec_lo, exec_lo, s3
	v_lshrrev_b32_e32 v5, 24, v3
	s_delay_alu instid0(VALU_DEP_1)
	v_and_or_b32 v4, 0x80, v5, v4
	global_store_b8 v[1:2], v4, off
.LBB401_1978:
	s_mov_b32 s3, 0
.LBB401_1979:
	s_delay_alu instid0(SALU_CYCLE_1)
	s_and_not1_b32 vcc_lo, exec_lo, s3
	s_cbranch_vccnz .LBB401_1989
; %bb.1980:
	v_and_b32_e32 v5, 0x7fffffff, v3
	s_mov_b32 s3, exec_lo
                                        ; implicit-def: $vgpr4
	s_delay_alu instid0(VALU_DEP_1)
	v_cmpx_gt_u32_e32 0x47800000, v5
	s_xor_b32 s3, exec_lo, s3
	s_cbranch_execz .LBB401_1986
; %bb.1981:
	s_mov_b32 s6, exec_lo
                                        ; implicit-def: $vgpr4
	v_cmpx_lt_u32_e32 0x387fffff, v5
	s_xor_b32 s6, exec_lo, s6
; %bb.1982:
	v_bfe_u32 v4, v3, 21, 1
	s_delay_alu instid0(VALU_DEP_1) | instskip(NEXT) | instid1(VALU_DEP_1)
	v_add3_u32 v4, v3, v4, 0x80fffff
	v_lshrrev_b32_e32 v4, 21, v4
; %bb.1983:
	s_and_not1_saveexec_b32 s6, s6
; %bb.1984:
	v_add_f32_e64 v4, 0x43000000, |v3|
; %bb.1985:
	s_or_b32 exec_lo, exec_lo, s6
                                        ; implicit-def: $vgpr5
.LBB401_1986:
	s_and_not1_saveexec_b32 s3, s3
; %bb.1987:
	v_mov_b32_e32 v4, 0x7f
	v_cmp_lt_u32_e32 vcc_lo, 0x7f800000, v5
	s_delay_alu instid0(VALU_DEP_2)
	v_cndmask_b32_e32 v4, 0x7c, v4, vcc_lo
; %bb.1988:
	s_or_b32 exec_lo, exec_lo, s3
	v_lshrrev_b32_e32 v5, 24, v3
	s_delay_alu instid0(VALU_DEP_1)
	v_and_or_b32 v4, 0x80, v5, v4
	global_store_b8 v[1:2], v4, off
.LBB401_1989:
	s_mov_b32 s3, 0
	s_mov_b32 s6, -1
.LBB401_1990:
	s_and_not1_b32 vcc_lo, exec_lo, s3
	s_mov_b32 s3, 0
	s_cbranch_vccnz .LBB401_1997
; %bb.1991:
	v_cmp_gt_i16_e64 s3, s2, 14
	s_delay_alu instid0(VALU_DEP_1)
	s_and_b32 vcc_lo, exec_lo, s3
	s_mov_b32 s3, -1
	s_cbranch_vccz .LBB401_1995
; %bb.1992:
	v_cmp_eq_u16_e64 s0, s2, 15
	s_delay_alu instid0(VALU_DEP_1)
	s_and_b32 vcc_lo, exec_lo, s0
	s_mov_b32 s0, -1
	s_cbranch_vccz .LBB401_1994
; %bb.1993:
	v_bfe_u32 v4, v3, 16, 1
	v_cmp_o_f32_e32 vcc_lo, v3, v3
	s_mov_b32 s0, 0
	s_mov_b32 s6, -1
	s_delay_alu instid0(VALU_DEP_2) | instskip(NEXT) | instid1(VALU_DEP_1)
	v_add3_u32 v4, v3, v4, 0x7fff
	v_lshrrev_b32_e32 v4, 16, v4
	s_delay_alu instid0(VALU_DEP_1)
	v_cndmask_b32_e32 v4, 0x7fc0, v4, vcc_lo
	global_store_b16 v[1:2], v4, off
.LBB401_1994:
	s_mov_b32 s3, 0
.LBB401_1995:
	s_delay_alu instid0(SALU_CYCLE_1)
	s_and_b32 vcc_lo, exec_lo, s3
	s_mov_b32 s3, 0
	s_cbranch_vccz .LBB401_1997
; %bb.1996:
	v_cmp_ne_u16_e64 s0, s2, 11
	s_mov_b32 s3, -1
.LBB401_1997:
	s_delay_alu instid0(VALU_DEP_1)
	s_and_b32 vcc_lo, exec_lo, s0
	s_cbranch_vccnz .LBB401_2100
; %bb.1998:
	s_and_not1_b32 vcc_lo, exec_lo, s3
	s_cbranch_vccnz .LBB401_2000
.LBB401_1999:
	v_cmp_neq_f32_e32 vcc_lo, 0, v3
	s_mov_b32 s6, -1
	v_cndmask_b32_e64 v4, 0, 1, vcc_lo
	global_store_b8 v[1:2], v4, off
.LBB401_2000:
	s_mov_b32 s0, 0
.LBB401_2001:
	s_delay_alu instid0(SALU_CYCLE_1)
	s_and_b32 vcc_lo, exec_lo, s0
	s_cbranch_vccz .LBB401_2040
; %bb.2002:
	v_cmp_lt_i16_e64 s0, s2, 5
	s_delay_alu instid0(VALU_DEP_1)
	s_and_b32 vcc_lo, exec_lo, s0
	s_mov_b32 s0, -1
	s_cbranch_vccnz .LBB401_2023
; %bb.2003:
	v_cmp_lt_i16_e64 s0, s2, 8
	s_delay_alu instid0(VALU_DEP_1)
	s_and_b32 vcc_lo, exec_lo, s0
	s_mov_b32 s0, -1
	s_cbranch_vccnz .LBB401_2013
	;; [unrolled: 6-line block ×3, first 2 shown]
; %bb.2005:
	v_cmp_gt_i16_e64 s0, s2, 9
	s_delay_alu instid0(VALU_DEP_1)
	s_and_b32 vcc_lo, exec_lo, s0
	s_mov_b32 s0, -1
	s_cbranch_vccz .LBB401_2007
; %bb.2006:
	v_cvt_f64_f32_e32 v[4:5], v3
	v_mov_b32_e32 v6, 0
	s_mov_b32 s0, 0
	s_delay_alu instid0(VALU_DEP_1)
	v_mov_b32_e32 v7, v6
	global_store_b128 v[1:2], v[4:7], off
.LBB401_2007:
	s_and_not1_b32 vcc_lo, exec_lo, s0
	s_cbranch_vccnz .LBB401_2009
; %bb.2008:
	v_mov_b32_e32 v4, 0
	global_store_b64 v[1:2], v[3:4], off
.LBB401_2009:
	s_mov_b32 s0, 0
.LBB401_2010:
	s_delay_alu instid0(SALU_CYCLE_1)
	s_and_not1_b32 vcc_lo, exec_lo, s0
	s_cbranch_vccnz .LBB401_2012
; %bb.2011:
	v_cvt_f16_f32_e32 v4, v3
	s_delay_alu instid0(VALU_DEP_1)
	v_and_b32_e32 v4, 0xffff, v4
	global_store_b32 v[1:2], v4, off
.LBB401_2012:
	s_mov_b32 s0, 0
.LBB401_2013:
	s_delay_alu instid0(SALU_CYCLE_1)
	s_and_not1_b32 vcc_lo, exec_lo, s0
	s_cbranch_vccnz .LBB401_2022
; %bb.2014:
	v_cmp_lt_i16_e64 s0, s2, 6
	s_delay_alu instid0(VALU_DEP_1)
	s_and_b32 vcc_lo, exec_lo, s0
	s_mov_b32 s0, -1
	s_cbranch_vccnz .LBB401_2020
; %bb.2015:
	v_cmp_gt_i16_e64 s0, s2, 6
	s_delay_alu instid0(VALU_DEP_1)
	s_and_b32 vcc_lo, exec_lo, s0
	s_mov_b32 s0, -1
	s_cbranch_vccz .LBB401_2017
; %bb.2016:
	v_cvt_f64_f32_e32 v[4:5], v3
	s_mov_b32 s0, 0
	global_store_b64 v[1:2], v[4:5], off
.LBB401_2017:
	s_and_not1_b32 vcc_lo, exec_lo, s0
	s_cbranch_vccnz .LBB401_2019
; %bb.2018:
	global_store_b32 v[1:2], v3, off
.LBB401_2019:
	s_mov_b32 s0, 0
.LBB401_2020:
	s_delay_alu instid0(SALU_CYCLE_1)
	s_and_not1_b32 vcc_lo, exec_lo, s0
	s_cbranch_vccnz .LBB401_2022
; %bb.2021:
	v_cvt_f16_f32_e32 v4, v3
	global_store_b16 v[1:2], v4, off
.LBB401_2022:
	s_mov_b32 s0, 0
.LBB401_2023:
	s_delay_alu instid0(SALU_CYCLE_1)
	s_and_not1_b32 vcc_lo, exec_lo, s0
	s_cbranch_vccnz .LBB401_2039
; %bb.2024:
	v_cmp_lt_i16_e64 s0, s2, 2
	s_delay_alu instid0(VALU_DEP_1)
	s_and_b32 vcc_lo, exec_lo, s0
	s_mov_b32 s0, -1
	s_cbranch_vccnz .LBB401_2034
; %bb.2025:
	v_cmp_lt_i16_e64 s0, s2, 3
	s_delay_alu instid0(VALU_DEP_1)
	s_and_b32 vcc_lo, exec_lo, s0
	s_mov_b32 s0, -1
	s_cbranch_vccnz .LBB401_2031
; %bb.2026:
	v_cmp_gt_i16_e64 s0, s2, 3
	s_delay_alu instid0(VALU_DEP_1)
	s_and_b32 vcc_lo, exec_lo, s0
	s_mov_b32 s0, -1
	s_cbranch_vccz .LBB401_2028
; %bb.2027:
	v_trunc_f32_e32 v4, v3
	s_mov_b32 s0, 0
	s_delay_alu instid0(VALU_DEP_1) | instskip(SKIP_1) | instid1(VALU_DEP_2)
	v_mul_f32_e64 v5, 0x2f800000, |v4|
	v_ashrrev_i32_e32 v7, 31, v4
	v_floor_f32_e32 v5, v5
	s_delay_alu instid0(VALU_DEP_1) | instskip(SKIP_1) | instid1(VALU_DEP_2)
	v_fma_f32 v6, 0xcf800000, v5, |v4|
	v_cvt_u32_f32_e32 v5, v5
	v_cvt_u32_f32_e32 v4, v6
	s_delay_alu instid0(VALU_DEP_2) | instskip(NEXT) | instid1(VALU_DEP_2)
	v_xor_b32_e32 v5, v5, v7
	v_xor_b32_e32 v4, v4, v7
	s_delay_alu instid0(VALU_DEP_1) | instskip(NEXT) | instid1(VALU_DEP_3)
	v_sub_co_u32 v4, vcc_lo, v4, v7
	v_sub_co_ci_u32_e32 v5, vcc_lo, v5, v7, vcc_lo
	global_store_b64 v[1:2], v[4:5], off
.LBB401_2028:
	s_and_not1_b32 vcc_lo, exec_lo, s0
	s_cbranch_vccnz .LBB401_2030
; %bb.2029:
	v_cvt_i32_f32_e32 v4, v3
	global_store_b32 v[1:2], v4, off
.LBB401_2030:
	s_mov_b32 s0, 0
.LBB401_2031:
	s_delay_alu instid0(SALU_CYCLE_1)
	s_and_not1_b32 vcc_lo, exec_lo, s0
	s_cbranch_vccnz .LBB401_2033
; %bb.2032:
	v_cvt_i32_f32_e32 v4, v3
	global_store_b16 v[1:2], v4, off
.LBB401_2033:
	s_mov_b32 s0, 0
.LBB401_2034:
	s_delay_alu instid0(SALU_CYCLE_1)
	s_and_not1_b32 vcc_lo, exec_lo, s0
	s_cbranch_vccnz .LBB401_2039
; %bb.2035:
	v_cmp_gt_i16_e64 s0, s2, 0
	s_delay_alu instid0(VALU_DEP_1)
	s_and_b32 vcc_lo, exec_lo, s0
	s_mov_b32 s0, -1
	s_cbranch_vccz .LBB401_2037
; %bb.2036:
	v_cvt_i32_f32_e32 v4, v3
	s_mov_b32 s0, 0
	global_store_b8 v[1:2], v4, off
.LBB401_2037:
	s_and_not1_b32 vcc_lo, exec_lo, s0
	s_cbranch_vccnz .LBB401_2039
; %bb.2038:
	v_trunc_f32_e32 v3, v3
	s_delay_alu instid0(VALU_DEP_1) | instskip(NEXT) | instid1(VALU_DEP_1)
	v_mul_f32_e64 v4, 0x2f800000, |v3|
	v_floor_f32_e32 v4, v4
	s_delay_alu instid0(VALU_DEP_1) | instskip(SKIP_1) | instid1(VALU_DEP_2)
	v_fma_f32 v4, 0xcf800000, v4, |v3|
	v_ashrrev_i32_e32 v3, 31, v3
	v_cvt_u32_f32_e32 v4, v4
	s_delay_alu instid0(VALU_DEP_1) | instskip(NEXT) | instid1(VALU_DEP_1)
	v_xor_b32_e32 v4, v4, v3
	v_sub_nc_u32_e32 v3, v4, v3
	global_store_b8 v[1:2], v3, off
.LBB401_2039:
	s_mov_b32 s6, -1
.LBB401_2040:
	s_delay_alu instid0(SALU_CYCLE_1)
	s_and_not1_b32 vcc_lo, exec_lo, s6
	s_cbranch_vccnz .LBB401_2049
; %bb.2041:
	v_max_f32_e32 v1, v11, v11
	v_cmp_u_f32_e32 vcc_lo, v11, v11
	v_cmp_lt_i16_e64 s0, s2, 11
	v_add_co_u32 v0, s4, s4, v0
	s_delay_alu instid0(VALU_DEP_4) | instskip(SKIP_2) | instid1(VALU_DEP_2)
	v_max_f32_e32 v2, v1, v9
	v_add_co_ci_u32_e64 v1, null, s5, 0, s4
	s_mov_b32 s3, 0
	v_cndmask_b32_e32 v2, v2, v11, vcc_lo
	s_and_b32 vcc_lo, exec_lo, s0
	s_mov_b32 s0, -1
	s_cbranch_vccnz .LBB401_2050
; %bb.2042:
	v_cmp_gt_i16_e64 s0, s2, 25
	s_mov_b32 s4, -1
	s_delay_alu instid0(VALU_DEP_1)
	s_and_b32 vcc_lo, exec_lo, s0
	s_mov_b32 s0, 0
	s_cbranch_vccz .LBB401_2131
; %bb.2043:
	v_cmp_gt_i16_e64 s0, s2, 28
	s_delay_alu instid0(VALU_DEP_1)
	s_and_b32 vcc_lo, exec_lo, s0
	s_cbranch_vccz .LBB401_2094
; %bb.2044:
	v_cmp_gt_i16_e64 s0, s2, 43
	s_delay_alu instid0(VALU_DEP_1)
	s_and_b32 vcc_lo, exec_lo, s0
	s_cbranch_vccz .LBB401_2097
; %bb.2045:
	v_cmp_gt_i16_e64 s0, s2, 45
	s_delay_alu instid0(VALU_DEP_1)
	s_and_b32 vcc_lo, exec_lo, s0
	s_cbranch_vccz .LBB401_2104
; %bb.2046:
	v_cmp_eq_u16_e64 s0, s2, 46
	s_delay_alu instid0(VALU_DEP_1)
	s_and_b32 vcc_lo, exec_lo, s0
	s_mov_b32 s0, -1
	s_cbranch_vccz .LBB401_2048
; %bb.2047:
	v_bfe_u32 v3, v2, 16, 1
	v_cmp_o_f32_e32 vcc_lo, v2, v2
	s_mov_b32 s0, 0
	s_delay_alu instid0(VALU_DEP_2) | instskip(NEXT) | instid1(VALU_DEP_1)
	v_add3_u32 v3, v2, v3, 0x7fff
	v_lshrrev_b32_e32 v3, 16, v3
	s_delay_alu instid0(VALU_DEP_1)
	v_cndmask_b32_e32 v3, 0x7fc0, v3, vcc_lo
	global_store_b32 v[0:1], v3, off
.LBB401_2048:
	s_mov_b32 s4, 0
	s_branch .LBB401_2105
.LBB401_2049:
	s_mov_b32 s0, 0
	s_mov_b32 s3, 0
                                        ; implicit-def: $vgpr0_vgpr1
                                        ; implicit-def: $sgpr2
                                        ; implicit-def: $vgpr2
.LBB401_2050:
	s_and_b32 s4, s0, exec_lo
	s_and_not1_b32 s0, s8, exec_lo
	s_and_b32 s1, s1, exec_lo
	s_and_b32 s28, s3, exec_lo
	s_or_b32 s8, s0, s1
.LBB401_2051:
	s_or_b32 exec_lo, exec_lo, s9
	s_and_saveexec_b32 s0, s8
	s_cbranch_execz .LBB401_2054
; %bb.2052:
	; divergent unreachable
	s_or_b32 exec_lo, exec_lo, s0
	s_and_saveexec_b32 s0, s28
	s_delay_alu instid0(SALU_CYCLE_1)
	s_xor_b32 s0, exec_lo, s0
	s_cbranch_execnz .LBB401_2055
.LBB401_2053:
	s_or_b32 exec_lo, exec_lo, s0
	s_and_saveexec_b32 s0, s4
	s_cbranch_execnz .LBB401_2056
	s_branch .LBB401_2093
.LBB401_2054:
	s_or_b32 exec_lo, exec_lo, s0
	s_and_saveexec_b32 s0, s28
	s_delay_alu instid0(SALU_CYCLE_1)
	s_xor_b32 s0, exec_lo, s0
	s_cbranch_execz .LBB401_2053
.LBB401_2055:
	v_cmp_neq_f32_e32 vcc_lo, 0, v2
	s_waitcnt vmcnt(0)
	v_cndmask_b32_e64 v3, 0, 1, vcc_lo
	global_store_b8 v[0:1], v3, off
	s_or_b32 exec_lo, exec_lo, s0
	s_and_saveexec_b32 s0, s4
	s_cbranch_execz .LBB401_2093
.LBB401_2056:
	v_cmp_lt_i16_e64 s0, s2, 5
	s_delay_alu instid0(VALU_DEP_1)
	s_and_b32 vcc_lo, exec_lo, s0
	s_mov_b32 s0, -1
	s_cbranch_vccnz .LBB401_2077
; %bb.2057:
	v_cmp_lt_i16_e64 s0, s2, 8
	s_delay_alu instid0(VALU_DEP_1)
	s_and_b32 vcc_lo, exec_lo, s0
	s_mov_b32 s0, -1
	s_cbranch_vccnz .LBB401_2067
; %bb.2058:
	;; [unrolled: 6-line block ×3, first 2 shown]
	v_cmp_gt_i16_e64 s0, s2, 9
	s_delay_alu instid0(VALU_DEP_1)
	s_and_b32 vcc_lo, exec_lo, s0
	s_mov_b32 s0, -1
	s_cbranch_vccz .LBB401_2061
; %bb.2060:
	s_waitcnt vmcnt(0)
	v_cvt_f64_f32_e32 v[3:4], v2
	v_mov_b32_e32 v5, 0
	s_mov_b32 s0, 0
	s_delay_alu instid0(VALU_DEP_1)
	v_mov_b32_e32 v6, v5
	global_store_b128 v[0:1], v[3:6], off
.LBB401_2061:
	s_and_not1_b32 vcc_lo, exec_lo, s0
	s_cbranch_vccnz .LBB401_2063
; %bb.2062:
	s_waitcnt vmcnt(0)
	v_mov_b32_e32 v3, 0
	global_store_b64 v[0:1], v[2:3], off
.LBB401_2063:
	s_mov_b32 s0, 0
.LBB401_2064:
	s_delay_alu instid0(SALU_CYCLE_1)
	s_and_not1_b32 vcc_lo, exec_lo, s0
	s_cbranch_vccnz .LBB401_2066
; %bb.2065:
	s_waitcnt vmcnt(0)
	v_cvt_f16_f32_e32 v3, v2
	s_delay_alu instid0(VALU_DEP_1)
	v_and_b32_e32 v3, 0xffff, v3
	global_store_b32 v[0:1], v3, off
.LBB401_2066:
	s_mov_b32 s0, 0
.LBB401_2067:
	s_delay_alu instid0(SALU_CYCLE_1)
	s_and_not1_b32 vcc_lo, exec_lo, s0
	s_cbranch_vccnz .LBB401_2076
; %bb.2068:
	v_cmp_lt_i16_e64 s0, s2, 6
	s_delay_alu instid0(VALU_DEP_1)
	s_and_b32 vcc_lo, exec_lo, s0
	s_mov_b32 s0, -1
	s_cbranch_vccnz .LBB401_2074
; %bb.2069:
	v_cmp_gt_i16_e64 s0, s2, 6
	s_delay_alu instid0(VALU_DEP_1)
	s_and_b32 vcc_lo, exec_lo, s0
	s_mov_b32 s0, -1
	s_cbranch_vccz .LBB401_2071
; %bb.2070:
	s_waitcnt vmcnt(0)
	v_cvt_f64_f32_e32 v[3:4], v2
	s_mov_b32 s0, 0
	global_store_b64 v[0:1], v[3:4], off
.LBB401_2071:
	s_and_not1_b32 vcc_lo, exec_lo, s0
	s_cbranch_vccnz .LBB401_2073
; %bb.2072:
	global_store_b32 v[0:1], v2, off
.LBB401_2073:
	s_mov_b32 s0, 0
.LBB401_2074:
	s_delay_alu instid0(SALU_CYCLE_1)
	s_and_not1_b32 vcc_lo, exec_lo, s0
	s_cbranch_vccnz .LBB401_2076
; %bb.2075:
	s_waitcnt vmcnt(0)
	v_cvt_f16_f32_e32 v3, v2
	global_store_b16 v[0:1], v3, off
.LBB401_2076:
	s_mov_b32 s0, 0
.LBB401_2077:
	s_delay_alu instid0(SALU_CYCLE_1)
	s_and_not1_b32 vcc_lo, exec_lo, s0
	s_cbranch_vccnz .LBB401_2093
; %bb.2078:
	v_cmp_lt_i16_e64 s0, s2, 2
	s_delay_alu instid0(VALU_DEP_1)
	s_and_b32 vcc_lo, exec_lo, s0
	s_mov_b32 s0, -1
	s_cbranch_vccnz .LBB401_2088
; %bb.2079:
	v_cmp_lt_i16_e64 s0, s2, 3
	s_delay_alu instid0(VALU_DEP_1)
	s_and_b32 vcc_lo, exec_lo, s0
	s_mov_b32 s0, -1
	s_cbranch_vccnz .LBB401_2085
; %bb.2080:
	v_cmp_gt_i16_e64 s0, s2, 3
	s_delay_alu instid0(VALU_DEP_1)
	s_and_b32 vcc_lo, exec_lo, s0
	s_mov_b32 s0, -1
	s_cbranch_vccz .LBB401_2082
; %bb.2081:
	s_waitcnt vmcnt(0)
	v_trunc_f32_e32 v3, v2
	s_mov_b32 s0, 0
	s_delay_alu instid0(VALU_DEP_1) | instskip(SKIP_1) | instid1(VALU_DEP_2)
	v_mul_f32_e64 v4, 0x2f800000, |v3|
	v_ashrrev_i32_e32 v6, 31, v3
	v_floor_f32_e32 v4, v4
	s_delay_alu instid0(VALU_DEP_1) | instskip(SKIP_1) | instid1(VALU_DEP_2)
	v_fma_f32 v5, 0xcf800000, v4, |v3|
	v_cvt_u32_f32_e32 v4, v4
	v_cvt_u32_f32_e32 v3, v5
	s_delay_alu instid0(VALU_DEP_2) | instskip(NEXT) | instid1(VALU_DEP_2)
	v_xor_b32_e32 v4, v4, v6
	v_xor_b32_e32 v3, v3, v6
	s_delay_alu instid0(VALU_DEP_1) | instskip(NEXT) | instid1(VALU_DEP_3)
	v_sub_co_u32 v3, vcc_lo, v3, v6
	v_sub_co_ci_u32_e32 v4, vcc_lo, v4, v6, vcc_lo
	global_store_b64 v[0:1], v[3:4], off
.LBB401_2082:
	s_and_not1_b32 vcc_lo, exec_lo, s0
	s_cbranch_vccnz .LBB401_2084
; %bb.2083:
	s_waitcnt vmcnt(0)
	v_cvt_i32_f32_e32 v3, v2
	global_store_b32 v[0:1], v3, off
.LBB401_2084:
	s_mov_b32 s0, 0
.LBB401_2085:
	s_delay_alu instid0(SALU_CYCLE_1)
	s_and_not1_b32 vcc_lo, exec_lo, s0
	s_cbranch_vccnz .LBB401_2087
; %bb.2086:
	s_waitcnt vmcnt(0)
	v_cvt_i32_f32_e32 v3, v2
	global_store_b16 v[0:1], v3, off
.LBB401_2087:
	s_mov_b32 s0, 0
.LBB401_2088:
	s_delay_alu instid0(SALU_CYCLE_1)
	s_and_not1_b32 vcc_lo, exec_lo, s0
	s_cbranch_vccnz .LBB401_2093
; %bb.2089:
	v_cmp_gt_i16_e64 s0, s2, 0
	s_delay_alu instid0(VALU_DEP_1)
	s_and_b32 vcc_lo, exec_lo, s0
	s_mov_b32 s0, -1
	s_cbranch_vccz .LBB401_2091
; %bb.2090:
	s_waitcnt vmcnt(0)
	v_cvt_i32_f32_e32 v3, v2
	s_mov_b32 s0, 0
	global_store_b8 v[0:1], v3, off
.LBB401_2091:
	s_and_not1_b32 vcc_lo, exec_lo, s0
	s_cbranch_vccnz .LBB401_2093
; %bb.2092:
	v_trunc_f32_e32 v2, v2
	s_waitcnt vmcnt(0)
	s_delay_alu instid0(VALU_DEP_1) | instskip(NEXT) | instid1(VALU_DEP_1)
	v_mul_f32_e64 v3, 0x2f800000, |v2|
	v_floor_f32_e32 v3, v3
	s_delay_alu instid0(VALU_DEP_1) | instskip(SKIP_1) | instid1(VALU_DEP_2)
	v_fma_f32 v3, 0xcf800000, v3, |v2|
	v_ashrrev_i32_e32 v2, 31, v2
	v_cvt_u32_f32_e32 v3, v3
	s_delay_alu instid0(VALU_DEP_1) | instskip(NEXT) | instid1(VALU_DEP_1)
	v_xor_b32_e32 v3, v3, v2
	v_sub_nc_u32_e32 v2, v3, v2
	global_store_b8 v[0:1], v2, off
	s_nop 0
	s_sendmsg sendmsg(MSG_DEALLOC_VGPRS)
	s_endpgm
.LBB401_2093:
	s_nop 0
	s_sendmsg sendmsg(MSG_DEALLOC_VGPRS)
	s_endpgm
.LBB401_2094:
	s_mov_b32 s0, 0
	s_branch .LBB401_2115
.LBB401_2095:
	s_or_saveexec_b32 s10, s10
                                        ; implicit-def: $sgpr11
	s_delay_alu instid0(SALU_CYCLE_1)
	s_xor_b32 exec_lo, exec_lo, s10
	s_cbranch_execz .LBB401_1951
.LBB401_2096:
	v_add_f32_e64 v4, 0x46000000, |v3|
	s_and_not1_b32 s7, s7, exec_lo
	s_mov_b32 s11, 0
	s_delay_alu instid0(VALU_DEP_1) | instskip(NEXT) | instid1(VALU_DEP_1)
	v_and_b32_e32 v4, 0xff, v4
	v_cmp_ne_u32_e32 vcc_lo, 0, v4
	s_and_b32 s12, vcc_lo, exec_lo
	s_delay_alu instid0(SALU_CYCLE_1)
	s_or_b32 s7, s7, s12
	s_or_b32 exec_lo, exec_lo, s10
	v_mov_b32_e32 v5, s11
	s_and_saveexec_b32 s10, s7
	s_cbranch_execnz .LBB401_1952
	s_branch .LBB401_1953
.LBB401_2097:
	s_mov_b32 s0, 0
	s_branch .LBB401_2111
.LBB401_2098:
	s_trap 2
	s_sendmsg_rtn_b32 s0, sendmsg(MSG_RTN_GET_DOORBELL)
	s_mov_b32 ttmp2, m0
	s_waitcnt lgkmcnt(0)
	s_and_b32 s0, s0, 0x3ff
	s_delay_alu instid0(SALU_CYCLE_1) | instskip(NEXT) | instid1(SALU_CYCLE_1)
	s_bitset1_b32 s0, 10
	s_mov_b32 m0, s0
	s_sendmsg sendmsg(MSG_INTERRUPT)
	s_mov_b32 m0, ttmp2
.LBB401_2099:                           ; =>This Inner Loop Header: Depth=1
	s_sethalt 5
	s_branch .LBB401_2099
.LBB401_2100:
	s_cbranch_execnz .LBB401_2175
; %bb.2101:
	s_or_b32 s1, s1, exec_lo
	s_cbranch_execz .LBB401_1999
	s_branch .LBB401_2000
.LBB401_2102:
	s_or_saveexec_b32 s7, s7
                                        ; implicit-def: $sgpr10
	s_delay_alu instid0(SALU_CYCLE_1)
	s_xor_b32 exec_lo, exec_lo, s7
	s_cbranch_execz .LBB401_1964
.LBB401_2103:
	v_add_f32_e64 v4, 0x42800000, |v3|
	s_and_not1_b32 s6, s6, exec_lo
	s_mov_b32 s10, 0
	s_delay_alu instid0(VALU_DEP_1) | instskip(NEXT) | instid1(VALU_DEP_1)
	v_and_b32_e32 v4, 0xff, v4
	v_cmp_ne_u32_e32 vcc_lo, 0, v4
	s_and_b32 s11, vcc_lo, exec_lo
	s_delay_alu instid0(SALU_CYCLE_1)
	s_or_b32 s6, s6, s11
	s_or_b32 exec_lo, exec_lo, s7
	v_mov_b32_e32 v5, s10
	s_and_saveexec_b32 s7, s6
	s_cbranch_execnz .LBB401_1965
	s_branch .LBB401_1966
.LBB401_2104:
	s_mov_b32 s0, 0
.LBB401_2105:
	s_and_b32 vcc_lo, exec_lo, s4
	s_cbranch_vccz .LBB401_2110
; %bb.2106:
	v_cmp_eq_u16_e64 s0, s2, 44
	s_delay_alu instid0(VALU_DEP_1)
	s_and_b32 vcc_lo, exec_lo, s0
	s_mov_b32 s0, -1
	s_cbranch_vccz .LBB401_2110
; %bb.2107:
	v_bfe_u32 v4, v2, 23, 8
	v_mov_b32_e32 v3, 0xff
	s_mov_b32 s4, exec_lo
	s_delay_alu instid0(VALU_DEP_2)
	v_cmpx_ne_u32_e32 0xff, v4
; %bb.2108:
	v_and_b32_e32 v3, 0x400000, v2
	v_and_or_b32 v4, 0x3fffff, v2, v4
	s_delay_alu instid0(VALU_DEP_2) | instskip(NEXT) | instid1(VALU_DEP_2)
	v_cmp_ne_u32_e32 vcc_lo, 0, v3
	v_cmp_ne_u32_e64 s0, 0, v4
	v_lshrrev_b32_e32 v3, 23, v2
	s_delay_alu instid0(VALU_DEP_2) | instskip(NEXT) | instid1(SALU_CYCLE_1)
	s_and_b32 s0, vcc_lo, s0
	v_cndmask_b32_e64 v4, 0, 1, s0
	s_delay_alu instid0(VALU_DEP_1)
	v_add_nc_u32_e32 v3, v3, v4
; %bb.2109:
	s_or_b32 exec_lo, exec_lo, s4
	s_mov_b32 s0, 0
	global_store_b8 v[0:1], v3, off
.LBB401_2110:
	s_mov_b32 s4, 0
.LBB401_2111:
	s_delay_alu instid0(SALU_CYCLE_1)
	s_and_b32 vcc_lo, exec_lo, s4
	s_cbranch_vccz .LBB401_2114
; %bb.2112:
	v_cmp_eq_u16_e64 s0, s2, 29
	s_delay_alu instid0(VALU_DEP_1)
	s_and_b32 vcc_lo, exec_lo, s0
	s_mov_b32 s0, -1
	s_cbranch_vccz .LBB401_2114
; %bb.2113:
	v_trunc_f32_e32 v3, v2
	s_mov_b32 s0, 0
	s_delay_alu instid0(VALU_DEP_1) | instskip(NEXT) | instid1(VALU_DEP_1)
	v_mul_f32_e32 v4, 0x2f800000, v3
	v_floor_f32_e32 v4, v4
	s_delay_alu instid0(VALU_DEP_1) | instskip(SKIP_1) | instid1(VALU_DEP_2)
	v_fmamk_f32 v3, v4, 0xcf800000, v3
	v_cvt_u32_f32_e32 v4, v4
	v_cvt_u32_f32_e32 v3, v3
	global_store_b64 v[0:1], v[3:4], off
.LBB401_2114:
	s_mov_b32 s4, 0
.LBB401_2115:
	s_delay_alu instid0(SALU_CYCLE_1)
	s_and_b32 vcc_lo, exec_lo, s4
	s_cbranch_vccz .LBB401_2130
; %bb.2116:
	v_cmp_lt_i16_e64 s4, s2, 27
	s_delay_alu instid0(VALU_DEP_1)
	s_and_b32 vcc_lo, exec_lo, s4
	s_mov_b32 s4, -1
	s_cbranch_vccnz .LBB401_2122
; %bb.2117:
	v_cmp_gt_i16_e64 s4, s2, 27
	v_cvt_u32_f32_e32 v3, v2
	s_delay_alu instid0(VALU_DEP_2)
	s_and_b32 vcc_lo, exec_lo, s4
	s_mov_b32 s4, -1
	s_cbranch_vccz .LBB401_2119
; %bb.2118:
	s_mov_b32 s4, 0
	global_store_b32 v[0:1], v3, off
.LBB401_2119:
	s_and_not1_b32 vcc_lo, exec_lo, s4
	s_cbranch_vccnz .LBB401_2121
; %bb.2120:
	global_store_b16 v[0:1], v3, off
.LBB401_2121:
	s_mov_b32 s4, 0
.LBB401_2122:
	s_delay_alu instid0(SALU_CYCLE_1)
	s_and_not1_b32 vcc_lo, exec_lo, s4
	s_cbranch_vccnz .LBB401_2130
; %bb.2123:
	v_and_b32_e32 v3, 0x7fffffff, v2
	v_mov_b32_e32 v4, 0x80
	s_mov_b32 s4, exec_lo
	s_delay_alu instid0(VALU_DEP_2)
	v_cmpx_gt_u32_e32 0x43800000, v3
	s_cbranch_execz .LBB401_2129
; %bb.2124:
	v_cmp_lt_u32_e32 vcc_lo, 0x3bffffff, v3
	s_mov_b32 s5, 0
                                        ; implicit-def: $vgpr3
	s_and_saveexec_b32 s6, vcc_lo
	s_delay_alu instid0(SALU_CYCLE_1)
	s_xor_b32 s6, exec_lo, s6
	s_cbranch_execz .LBB401_2173
; %bb.2125:
	v_bfe_u32 v3, v2, 20, 1
	s_mov_b32 s5, exec_lo
	s_delay_alu instid0(VALU_DEP_1) | instskip(NEXT) | instid1(VALU_DEP_1)
	v_add3_u32 v3, v2, v3, 0x487ffff
	v_lshrrev_b32_e32 v3, 20, v3
	s_or_saveexec_b32 s6, s6
                                        ; implicit-def: $sgpr7
	s_delay_alu instid0(SALU_CYCLE_1)
	s_xor_b32 exec_lo, exec_lo, s6
	s_cbranch_execnz .LBB401_2174
.LBB401_2126:
	s_or_b32 exec_lo, exec_lo, s6
	v_mov_b32_e32 v4, s7
	s_and_saveexec_b32 s6, s5
.LBB401_2127:
	v_lshrrev_b32_e32 v4, 24, v2
	s_delay_alu instid0(VALU_DEP_1)
	v_and_or_b32 v4, 0x80, v4, v3
.LBB401_2128:
	s_or_b32 exec_lo, exec_lo, s6
.LBB401_2129:
	s_delay_alu instid0(SALU_CYCLE_1)
	s_or_b32 exec_lo, exec_lo, s4
	global_store_b8 v[0:1], v4, off
.LBB401_2130:
	s_mov_b32 s4, 0
.LBB401_2131:
	s_delay_alu instid0(SALU_CYCLE_1)
	s_and_b32 vcc_lo, exec_lo, s4
	s_cbranch_vccz .LBB401_2171
; %bb.2132:
	v_cmp_gt_i16_e64 s3, s2, 22
	s_delay_alu instid0(VALU_DEP_1)
	s_and_b32 vcc_lo, exec_lo, s3
	s_mov_b32 s3, -1
	s_cbranch_vccz .LBB401_2164
; %bb.2133:
	v_cmp_lt_i16_e64 s3, s2, 24
	s_delay_alu instid0(VALU_DEP_1)
	s_and_b32 vcc_lo, exec_lo, s3
	s_mov_b32 s3, -1
	s_cbranch_vccnz .LBB401_2153
; %bb.2134:
	v_cmp_gt_i16_e64 s3, s2, 24
	s_delay_alu instid0(VALU_DEP_1)
	s_and_b32 vcc_lo, exec_lo, s3
	s_mov_b32 s3, -1
	s_cbranch_vccz .LBB401_2142
; %bb.2135:
	v_and_b32_e32 v3, 0x7fffffff, v2
	v_mov_b32_e32 v4, 0x80
	s_mov_b32 s3, exec_lo
	s_delay_alu instid0(VALU_DEP_2)
	v_cmpx_gt_u32_e32 0x47800000, v3
	s_cbranch_execz .LBB401_2141
; %bb.2136:
	v_cmp_lt_u32_e32 vcc_lo, 0x37ffffff, v3
	s_mov_b32 s4, 0
                                        ; implicit-def: $vgpr3
	s_and_saveexec_b32 s5, vcc_lo
	s_delay_alu instid0(SALU_CYCLE_1)
	s_xor_b32 s5, exec_lo, s5
	s_cbranch_execz .LBB401_2179
; %bb.2137:
	v_bfe_u32 v3, v2, 21, 1
	s_mov_b32 s4, exec_lo
	s_delay_alu instid0(VALU_DEP_1) | instskip(NEXT) | instid1(VALU_DEP_1)
	v_add3_u32 v3, v2, v3, 0x88fffff
	v_lshrrev_b32_e32 v3, 21, v3
	s_or_saveexec_b32 s5, s5
                                        ; implicit-def: $sgpr6
	s_delay_alu instid0(SALU_CYCLE_1)
	s_xor_b32 exec_lo, exec_lo, s5
	s_cbranch_execnz .LBB401_2180
.LBB401_2138:
	s_or_b32 exec_lo, exec_lo, s5
	v_mov_b32_e32 v4, s6
	s_and_saveexec_b32 s5, s4
.LBB401_2139:
	v_lshrrev_b32_e32 v4, 24, v2
	s_delay_alu instid0(VALU_DEP_1)
	v_and_or_b32 v4, 0x80, v4, v3
.LBB401_2140:
	s_or_b32 exec_lo, exec_lo, s5
.LBB401_2141:
	s_delay_alu instid0(SALU_CYCLE_1)
	s_or_b32 exec_lo, exec_lo, s3
	s_mov_b32 s3, 0
	global_store_b8 v[0:1], v4, off
.LBB401_2142:
	s_and_b32 vcc_lo, exec_lo, s3
	s_cbranch_vccz .LBB401_2152
; %bb.2143:
	v_and_b32_e32 v4, 0x7fffffff, v2
	s_mov_b32 s3, exec_lo
                                        ; implicit-def: $vgpr3
	s_delay_alu instid0(VALU_DEP_1)
	v_cmpx_gt_u32_e32 0x43f00000, v4
	s_xor_b32 s3, exec_lo, s3
	s_cbranch_execz .LBB401_2149
; %bb.2144:
	s_mov_b32 s4, exec_lo
                                        ; implicit-def: $vgpr3
	v_cmpx_lt_u32_e32 0x3c7fffff, v4
	s_xor_b32 s4, exec_lo, s4
; %bb.2145:
	v_bfe_u32 v3, v2, 20, 1
	s_delay_alu instid0(VALU_DEP_1) | instskip(NEXT) | instid1(VALU_DEP_1)
	v_add3_u32 v3, v2, v3, 0x407ffff
	v_and_b32_e32 v4, 0xff00000, v3
	v_lshrrev_b32_e32 v3, 20, v3
	s_delay_alu instid0(VALU_DEP_2) | instskip(NEXT) | instid1(VALU_DEP_2)
	v_cmp_ne_u32_e32 vcc_lo, 0x7f00000, v4
	v_cndmask_b32_e32 v3, 0x7e, v3, vcc_lo
; %bb.2146:
	s_and_not1_saveexec_b32 s4, s4
; %bb.2147:
	v_add_f32_e64 v3, 0x46800000, |v2|
; %bb.2148:
	s_or_b32 exec_lo, exec_lo, s4
                                        ; implicit-def: $vgpr4
.LBB401_2149:
	s_and_not1_saveexec_b32 s3, s3
; %bb.2150:
	v_mov_b32_e32 v3, 0x7f
	v_cmp_lt_u32_e32 vcc_lo, 0x7f800000, v4
	s_delay_alu instid0(VALU_DEP_2)
	v_cndmask_b32_e32 v3, 0x7e, v3, vcc_lo
; %bb.2151:
	s_or_b32 exec_lo, exec_lo, s3
	v_lshrrev_b32_e32 v4, 24, v2
	s_delay_alu instid0(VALU_DEP_1)
	v_and_or_b32 v3, 0x80, v4, v3
	global_store_b8 v[0:1], v3, off
.LBB401_2152:
	s_mov_b32 s3, 0
.LBB401_2153:
	s_delay_alu instid0(SALU_CYCLE_1)
	s_and_not1_b32 vcc_lo, exec_lo, s3
	s_cbranch_vccnz .LBB401_2163
; %bb.2154:
	v_and_b32_e32 v4, 0x7fffffff, v2
	s_mov_b32 s3, exec_lo
                                        ; implicit-def: $vgpr3
	s_delay_alu instid0(VALU_DEP_1)
	v_cmpx_gt_u32_e32 0x47800000, v4
	s_xor_b32 s3, exec_lo, s3
	s_cbranch_execz .LBB401_2160
; %bb.2155:
	s_mov_b32 s4, exec_lo
                                        ; implicit-def: $vgpr3
	v_cmpx_lt_u32_e32 0x387fffff, v4
	s_xor_b32 s4, exec_lo, s4
; %bb.2156:
	v_bfe_u32 v3, v2, 21, 1
	s_delay_alu instid0(VALU_DEP_1) | instskip(NEXT) | instid1(VALU_DEP_1)
	v_add3_u32 v3, v2, v3, 0x80fffff
	v_lshrrev_b32_e32 v3, 21, v3
; %bb.2157:
	s_and_not1_saveexec_b32 s4, s4
; %bb.2158:
	v_add_f32_e64 v3, 0x43000000, |v2|
; %bb.2159:
	s_or_b32 exec_lo, exec_lo, s4
                                        ; implicit-def: $vgpr4
.LBB401_2160:
	s_and_not1_saveexec_b32 s3, s3
; %bb.2161:
	v_mov_b32_e32 v3, 0x7f
	v_cmp_lt_u32_e32 vcc_lo, 0x7f800000, v4
	s_delay_alu instid0(VALU_DEP_2)
	v_cndmask_b32_e32 v3, 0x7c, v3, vcc_lo
; %bb.2162:
	s_or_b32 exec_lo, exec_lo, s3
	v_lshrrev_b32_e32 v4, 24, v2
	s_delay_alu instid0(VALU_DEP_1)
	v_and_or_b32 v3, 0x80, v4, v3
	global_store_b8 v[0:1], v3, off
.LBB401_2163:
	s_mov_b32 s3, 0
.LBB401_2164:
	s_delay_alu instid0(SALU_CYCLE_1)
	s_and_not1_b32 vcc_lo, exec_lo, s3
	s_mov_b32 s3, 0
	s_cbranch_vccnz .LBB401_2171
; %bb.2165:
	v_cmp_gt_i16_e64 s3, s2, 14
	s_delay_alu instid0(VALU_DEP_1)
	s_and_b32 vcc_lo, exec_lo, s3
	s_mov_b32 s3, -1
	s_cbranch_vccz .LBB401_2169
; %bb.2166:
	v_cmp_eq_u16_e64 s0, s2, 15
	s_delay_alu instid0(VALU_DEP_1)
	s_and_b32 vcc_lo, exec_lo, s0
	s_mov_b32 s0, -1
	s_cbranch_vccz .LBB401_2168
; %bb.2167:
	v_bfe_u32 v3, v2, 16, 1
	v_cmp_o_f32_e32 vcc_lo, v2, v2
	s_mov_b32 s0, 0
	s_delay_alu instid0(VALU_DEP_2) | instskip(NEXT) | instid1(VALU_DEP_1)
	v_add3_u32 v3, v2, v3, 0x7fff
	v_lshrrev_b32_e32 v3, 16, v3
	s_delay_alu instid0(VALU_DEP_1)
	v_cndmask_b32_e32 v3, 0x7fc0, v3, vcc_lo
	global_store_b16 v[0:1], v3, off
.LBB401_2168:
	s_mov_b32 s3, 0
.LBB401_2169:
	s_delay_alu instid0(SALU_CYCLE_1)
	s_and_b32 vcc_lo, exec_lo, s3
	s_mov_b32 s3, 0
	s_cbranch_vccz .LBB401_2171
; %bb.2170:
	v_cmp_ne_u16_e64 s0, s2, 11
	s_mov_b32 s3, -1
.LBB401_2171:
	s_delay_alu instid0(VALU_DEP_1)
	s_and_b32 vcc_lo, exec_lo, s0
	s_cbranch_vccnz .LBB401_2177
.LBB401_2172:
	s_mov_b32 s0, 0
	s_branch .LBB401_2050
.LBB401_2173:
	s_or_saveexec_b32 s6, s6
                                        ; implicit-def: $sgpr7
	s_delay_alu instid0(SALU_CYCLE_1)
	s_xor_b32 exec_lo, exec_lo, s6
	s_cbranch_execz .LBB401_2126
.LBB401_2174:
	v_add_f32_e64 v3, 0x46000000, |v2|
	s_and_not1_b32 s5, s5, exec_lo
	s_mov_b32 s7, 0
	s_delay_alu instid0(VALU_DEP_1) | instskip(NEXT) | instid1(VALU_DEP_1)
	v_and_b32_e32 v3, 0xff, v3
	v_cmp_ne_u32_e32 vcc_lo, 0, v3
	s_and_b32 s10, vcc_lo, exec_lo
	s_delay_alu instid0(SALU_CYCLE_1)
	s_or_b32 s5, s5, s10
	s_or_b32 exec_lo, exec_lo, s6
	v_mov_b32_e32 v4, s7
	s_and_saveexec_b32 s6, s5
	s_cbranch_execnz .LBB401_2127
	s_branch .LBB401_2128
.LBB401_2175:
	s_trap 2
	s_sendmsg_rtn_b32 s0, sendmsg(MSG_RTN_GET_DOORBELL)
	s_mov_b32 ttmp2, m0
	s_waitcnt lgkmcnt(0)
	s_and_b32 s0, s0, 0x3ff
	s_delay_alu instid0(SALU_CYCLE_1) | instskip(NEXT) | instid1(SALU_CYCLE_1)
	s_bitset1_b32 s0, 10
	s_mov_b32 m0, s0
	s_sendmsg sendmsg(MSG_INTERRUPT)
	s_mov_b32 m0, ttmp2
.LBB401_2176:                           ; =>This Inner Loop Header: Depth=1
	s_sethalt 5
	s_branch .LBB401_2176
.LBB401_2177:
	s_cbranch_execnz .LBB401_2181
; %bb.2178:
	s_mov_b32 s3, 0
	s_or_b32 s1, s1, exec_lo
	s_branch .LBB401_2172
.LBB401_2179:
	s_or_saveexec_b32 s5, s5
                                        ; implicit-def: $sgpr6
	s_delay_alu instid0(SALU_CYCLE_1)
	s_xor_b32 exec_lo, exec_lo, s5
	s_cbranch_execz .LBB401_2138
.LBB401_2180:
	v_add_f32_e64 v3, 0x42800000, |v2|
	s_and_not1_b32 s4, s4, exec_lo
	s_mov_b32 s6, 0
	s_delay_alu instid0(VALU_DEP_1) | instskip(NEXT) | instid1(VALU_DEP_1)
	v_and_b32_e32 v3, 0xff, v3
	v_cmp_ne_u32_e32 vcc_lo, 0, v3
	s_and_b32 s7, vcc_lo, exec_lo
	s_delay_alu instid0(SALU_CYCLE_1)
	s_or_b32 s4, s4, s7
	s_or_b32 exec_lo, exec_lo, s5
	v_mov_b32_e32 v4, s6
	s_and_saveexec_b32 s5, s4
	s_cbranch_execnz .LBB401_2139
	s_branch .LBB401_2140
.LBB401_2181:
	s_trap 2
	s_sendmsg_rtn_b32 s0, sendmsg(MSG_RTN_GET_DOORBELL)
	s_mov_b32 ttmp2, m0
	s_waitcnt lgkmcnt(0)
	s_and_b32 s0, s0, 0x3ff
	s_delay_alu instid0(SALU_CYCLE_1) | instskip(NEXT) | instid1(SALU_CYCLE_1)
	s_bitset1_b32 s0, 10
	s_mov_b32 m0, s0
	s_sendmsg sendmsg(MSG_INTERRUPT)
	s_mov_b32 m0, ttmp2
.LBB401_2182:                           ; =>This Inner Loop Header: Depth=1
	s_sethalt 5
	s_branch .LBB401_2182
	.section	.rodata,"a",@progbits
	.p2align	6, 0x0
	.amdhsa_kernel _ZN2at6native32elementwise_kernel_manual_unrollILi128ELi4EZNS0_15gpu_kernel_implIZZZNS0_21clamp_min_kernel_cudaERNS_18TensorIteratorBaseERKN3c106ScalarEENKUlvE_clEvENKUlvE5_clEvEUlfE_EEvS4_RKT_EUlibE0_EEviT1_
		.amdhsa_group_segment_fixed_size 0
		.amdhsa_private_segment_fixed_size 0
		.amdhsa_kernarg_size 360
		.amdhsa_user_sgpr_count 15
		.amdhsa_user_sgpr_dispatch_ptr 0
		.amdhsa_user_sgpr_queue_ptr 0
		.amdhsa_user_sgpr_kernarg_segment_ptr 1
		.amdhsa_user_sgpr_dispatch_id 0
		.amdhsa_user_sgpr_private_segment_size 0
		.amdhsa_wavefront_size32 1
		.amdhsa_uses_dynamic_stack 0
		.amdhsa_enable_private_segment 0
		.amdhsa_system_sgpr_workgroup_id_x 1
		.amdhsa_system_sgpr_workgroup_id_y 0
		.amdhsa_system_sgpr_workgroup_id_z 0
		.amdhsa_system_sgpr_workgroup_info 0
		.amdhsa_system_vgpr_workitem_id 0
		.amdhsa_next_free_vgpr 18
		.amdhsa_next_free_sgpr 68
		.amdhsa_reserve_vcc 1
		.amdhsa_float_round_mode_32 0
		.amdhsa_float_round_mode_16_64 0
		.amdhsa_float_denorm_mode_32 3
		.amdhsa_float_denorm_mode_16_64 3
		.amdhsa_dx10_clamp 1
		.amdhsa_ieee_mode 1
		.amdhsa_fp16_overflow 0
		.amdhsa_workgroup_processor_mode 1
		.amdhsa_memory_ordered 1
		.amdhsa_forward_progress 0
		.amdhsa_shared_vgpr_count 0
		.amdhsa_exception_fp_ieee_invalid_op 0
		.amdhsa_exception_fp_denorm_src 0
		.amdhsa_exception_fp_ieee_div_zero 0
		.amdhsa_exception_fp_ieee_overflow 0
		.amdhsa_exception_fp_ieee_underflow 0
		.amdhsa_exception_fp_ieee_inexact 0
		.amdhsa_exception_int_div_zero 0
	.end_amdhsa_kernel
	.section	.text._ZN2at6native32elementwise_kernel_manual_unrollILi128ELi4EZNS0_15gpu_kernel_implIZZZNS0_21clamp_min_kernel_cudaERNS_18TensorIteratorBaseERKN3c106ScalarEENKUlvE_clEvENKUlvE5_clEvEUlfE_EEvS4_RKT_EUlibE0_EEviT1_,"axG",@progbits,_ZN2at6native32elementwise_kernel_manual_unrollILi128ELi4EZNS0_15gpu_kernel_implIZZZNS0_21clamp_min_kernel_cudaERNS_18TensorIteratorBaseERKN3c106ScalarEENKUlvE_clEvENKUlvE5_clEvEUlfE_EEvS4_RKT_EUlibE0_EEviT1_,comdat
.Lfunc_end401:
	.size	_ZN2at6native32elementwise_kernel_manual_unrollILi128ELi4EZNS0_15gpu_kernel_implIZZZNS0_21clamp_min_kernel_cudaERNS_18TensorIteratorBaseERKN3c106ScalarEENKUlvE_clEvENKUlvE5_clEvEUlfE_EEvS4_RKT_EUlibE0_EEviT1_, .Lfunc_end401-_ZN2at6native32elementwise_kernel_manual_unrollILi128ELi4EZNS0_15gpu_kernel_implIZZZNS0_21clamp_min_kernel_cudaERNS_18TensorIteratorBaseERKN3c106ScalarEENKUlvE_clEvENKUlvE5_clEvEUlfE_EEvS4_RKT_EUlibE0_EEviT1_
                                        ; -- End function
	.section	.AMDGPU.csdata,"",@progbits
; Kernel info:
; codeLenInByte = 42988
; NumSgprs: 70
; NumVgprs: 18
; ScratchSize: 0
; MemoryBound: 1
; FloatMode: 240
; IeeeMode: 1
; LDSByteSize: 0 bytes/workgroup (compile time only)
; SGPRBlocks: 8
; VGPRBlocks: 2
; NumSGPRsForWavesPerEU: 70
; NumVGPRsForWavesPerEU: 18
; Occupancy: 16
; WaveLimiterHint : 1
; COMPUTE_PGM_RSRC2:SCRATCH_EN: 0
; COMPUTE_PGM_RSRC2:USER_SGPR: 15
; COMPUTE_PGM_RSRC2:TRAP_HANDLER: 0
; COMPUTE_PGM_RSRC2:TGID_X_EN: 1
; COMPUTE_PGM_RSRC2:TGID_Y_EN: 0
; COMPUTE_PGM_RSRC2:TGID_Z_EN: 0
; COMPUTE_PGM_RSRC2:TIDIG_COMP_CNT: 0
	.section	.text._ZN2at6native29vectorized_elementwise_kernelILi16EZZZNS0_21clamp_min_kernel_cudaERNS_18TensorIteratorBaseERKN3c106ScalarEENKUlvE_clEvENKUlvE6_clEvEUlNS4_4HalfEE_St5arrayIPcLm2EEEEviT0_T1_,"axG",@progbits,_ZN2at6native29vectorized_elementwise_kernelILi16EZZZNS0_21clamp_min_kernel_cudaERNS_18TensorIteratorBaseERKN3c106ScalarEENKUlvE_clEvENKUlvE6_clEvEUlNS4_4HalfEE_St5arrayIPcLm2EEEEviT0_T1_,comdat
	.globl	_ZN2at6native29vectorized_elementwise_kernelILi16EZZZNS0_21clamp_min_kernel_cudaERNS_18TensorIteratorBaseERKN3c106ScalarEENKUlvE_clEvENKUlvE6_clEvEUlNS4_4HalfEE_St5arrayIPcLm2EEEEviT0_T1_ ; -- Begin function _ZN2at6native29vectorized_elementwise_kernelILi16EZZZNS0_21clamp_min_kernel_cudaERNS_18TensorIteratorBaseERKN3c106ScalarEENKUlvE_clEvENKUlvE6_clEvEUlNS4_4HalfEE_St5arrayIPcLm2EEEEviT0_T1_
	.p2align	8
	.type	_ZN2at6native29vectorized_elementwise_kernelILi16EZZZNS0_21clamp_min_kernel_cudaERNS_18TensorIteratorBaseERKN3c106ScalarEENKUlvE_clEvENKUlvE6_clEvEUlNS4_4HalfEE_St5arrayIPcLm2EEEEviT0_T1_,@function
_ZN2at6native29vectorized_elementwise_kernelILi16EZZZNS0_21clamp_min_kernel_cudaERNS_18TensorIteratorBaseERKN3c106ScalarEENKUlvE_clEvENKUlvE6_clEvEUlNS4_4HalfEE_St5arrayIPcLm2EEEEviT0_T1_: ; @_ZN2at6native29vectorized_elementwise_kernelILi16EZZZNS0_21clamp_min_kernel_cudaERNS_18TensorIteratorBaseERKN3c106ScalarEENKUlvE_clEvENKUlvE6_clEvEUlNS4_4HalfEE_St5arrayIPcLm2EEEEviT0_T1_
; %bb.0:
	s_clause 0x1
	s_load_b64 s[8:9], s[0:1], 0x0
	s_load_b128 s[16:19], s[0:1], 0x8
	s_lshl_b32 s10, s15, 11
	s_mov_b32 s0, -1
	s_waitcnt lgkmcnt(0)
	s_sub_i32 s12, s8, s10
	s_delay_alu instid0(SALU_CYCLE_1)
	s_cmpk_gt_i32 s12, 0x7ff
	s_cbranch_scc0 .LBB402_2
; %bb.1:
	s_ashr_i32 s11, s10, 31
	v_lshlrev_b32_e32 v5, 4, v0
	s_lshl_b64 s[14:15], s[10:11], 1
	s_delay_alu instid0(SALU_CYCLE_1)
	s_add_u32 s0, s18, s14
	s_addc_u32 s1, s19, s15
	global_load_b128 v[1:4], v5, s[0:1]
	s_waitcnt vmcnt(0)
	v_cmp_u_f16_e64 s1, v2, v2
	v_cmp_lt_f16_e64 s2, s9, v2
	v_lshrrev_b32_e32 v7, 16, v2
	v_lshrrev_b32_e32 v9, 16, v4
	v_cmp_u_f16_e32 vcc_lo, v1, v1
	v_cmp_lt_f16_e64 s0, s9, v1
	v_cmp_u_f16_e64 s3, v3, v3
	v_cmp_lt_f16_e64 s4, s9, v3
	s_or_b32 s1, s1, s2
	v_lshrrev_b32_e32 v6, 16, v1
	v_lshrrev_b32_e32 v8, 16, v3
	v_cndmask_b32_e64 v2, s9, v2, s1
	v_cmp_u_f16_e64 s1, v7, v7
	v_cmp_lt_f16_e64 s2, s9, v7
	s_or_b32 vcc_lo, vcc_lo, s0
	s_or_b32 s3, s3, s4
	v_cmp_u_f16_e64 s7, v9, v9
	v_cmp_lt_f16_e64 s8, s9, v9
	v_cmp_u_f16_e64 s5, v4, v4
	v_cmp_lt_f16_e64 s6, s9, v4
	v_cndmask_b32_e32 v1, s9, v1, vcc_lo
	v_cmp_u_f16_e32 vcc_lo, v6, v6
	v_cmp_lt_f16_e64 s0, s9, v6
	v_cndmask_b32_e64 v3, s9, v3, s3
	v_cmp_u_f16_e64 s3, v8, v8
	v_cmp_lt_f16_e64 s4, s9, v8
	s_or_b32 s1, s1, s2
	s_or_b32 s5, s5, s6
	v_cndmask_b32_e64 v7, s9, v7, s1
	s_or_b32 s1, s7, s8
	s_or_b32 vcc_lo, vcc_lo, s0
	v_cndmask_b32_e64 v9, s9, v9, s1
	v_cndmask_b32_e32 v6, s9, v6, vcc_lo
	s_or_b32 s1, s3, s4
	v_cndmask_b32_e64 v4, s9, v4, s5
	v_cndmask_b32_e64 v8, s9, v8, s1
	v_perm_b32 v2, v7, v2, 0x5040100
	v_perm_b32 v1, v6, v1, 0x5040100
	s_add_u32 s2, s16, s14
	v_perm_b32 v4, v9, v4, 0x5040100
	v_perm_b32 v3, v8, v3, 0x5040100
	s_addc_u32 s3, s17, s15
	s_mov_b32 s0, 0
	global_store_b128 v5, v[1:4], s[2:3]
.LBB402_2:
	s_and_not1_b32 vcc_lo, exec_lo, s0
	s_cbranch_vccnz .LBB402_26
; %bb.3:
	v_cmp_gt_i32_e32 vcc_lo, s12, v0
	v_dual_mov_b32 v6, 0 :: v_dual_mov_b32 v11, 0
	v_or_b32_e32 v1, s10, v0
	v_or_b32_e32 v8, 0x100, v0
	v_mov_b32_e32 v2, v0
	s_and_saveexec_b32 s1, vcc_lo
	s_cbranch_execz .LBB402_5
; %bb.4:
	v_mov_b32_e32 v2, 0
	s_delay_alu instid0(VALU_DEP_1) | instskip(NEXT) | instid1(VALU_DEP_1)
	v_lshlrev_b64 v[2:3], 1, v[1:2]
	v_add_co_u32 v2, s0, s18, v2
	s_delay_alu instid0(VALU_DEP_1)
	v_add_co_ci_u32_e64 v3, s0, s19, v3, s0
	global_load_u16 v11, v[2:3], off
	v_or_b32_e32 v2, 0x100, v0
.LBB402_5:
	s_or_b32 exec_lo, exec_lo, s1
	s_delay_alu instid0(SALU_CYCLE_1) | instskip(NEXT) | instid1(VALU_DEP_1)
	s_mov_b32 s1, exec_lo
	v_cmpx_gt_i32_e64 s12, v2
	s_cbranch_execz .LBB402_7
; %bb.6:
	v_dual_mov_b32 v4, 0 :: v_dual_add_nc_u32 v3, s10, v2
	v_add_nc_u32_e32 v2, 0x100, v2
	s_delay_alu instid0(VALU_DEP_2) | instskip(NEXT) | instid1(VALU_DEP_1)
	v_lshlrev_b64 v[3:4], 1, v[3:4]
	v_add_co_u32 v3, s0, s18, v3
	s_delay_alu instid0(VALU_DEP_1)
	v_add_co_ci_u32_e64 v4, s0, s19, v4, s0
	global_load_u16 v6, v[3:4], off
.LBB402_7:
	s_or_b32 exec_lo, exec_lo, s1
	v_dual_mov_b32 v5, 0 :: v_dual_mov_b32 v10, 0
	s_mov_b32 s1, exec_lo
	v_cmpx_gt_i32_e64 s12, v2
	s_cbranch_execz .LBB402_9
; %bb.8:
	v_dual_mov_b32 v4, 0 :: v_dual_add_nc_u32 v3, s10, v2
	v_add_nc_u32_e32 v2, 0x100, v2
	s_delay_alu instid0(VALU_DEP_2) | instskip(NEXT) | instid1(VALU_DEP_1)
	v_lshlrev_b64 v[3:4], 1, v[3:4]
	v_add_co_u32 v3, s0, s18, v3
	s_delay_alu instid0(VALU_DEP_1)
	v_add_co_ci_u32_e64 v4, s0, s19, v4, s0
	global_load_u16 v10, v[3:4], off
.LBB402_9:
	s_or_b32 exec_lo, exec_lo, s1
	s_delay_alu instid0(SALU_CYCLE_1)
	s_mov_b32 s1, exec_lo
	v_cmpx_gt_i32_e64 s12, v2
	s_cbranch_execz .LBB402_11
; %bb.10:
	v_dual_mov_b32 v4, 0 :: v_dual_add_nc_u32 v3, s10, v2
	v_add_nc_u32_e32 v2, 0x100, v2
	s_delay_alu instid0(VALU_DEP_2) | instskip(NEXT) | instid1(VALU_DEP_1)
	v_lshlrev_b64 v[3:4], 1, v[3:4]
	v_add_co_u32 v3, s0, s18, v3
	s_delay_alu instid0(VALU_DEP_1)
	v_add_co_ci_u32_e64 v4, s0, s19, v4, s0
	global_load_u16 v5, v[3:4], off
.LBB402_11:
	s_or_b32 exec_lo, exec_lo, s1
	v_dual_mov_b32 v4, 0 :: v_dual_mov_b32 v9, 0
	s_mov_b32 s1, exec_lo
	v_cmpx_gt_i32_e64 s12, v2
	s_cbranch_execz .LBB402_13
; %bb.12:
	v_dual_mov_b32 v13, 0 :: v_dual_add_nc_u32 v12, s10, v2
	v_add_nc_u32_e32 v2, 0x100, v2
	s_delay_alu instid0(VALU_DEP_2) | instskip(NEXT) | instid1(VALU_DEP_1)
	v_lshlrev_b64 v[12:13], 1, v[12:13]
	v_add_co_u32 v12, s0, s18, v12
	s_delay_alu instid0(VALU_DEP_1)
	v_add_co_ci_u32_e64 v13, s0, s19, v13, s0
	global_load_u16 v9, v[12:13], off
.LBB402_13:
	s_or_b32 exec_lo, exec_lo, s1
	s_delay_alu instid0(SALU_CYCLE_1)
	s_mov_b32 s1, exec_lo
	v_cmpx_gt_i32_e64 s12, v2
	s_cbranch_execz .LBB402_15
; %bb.14:
	v_dual_mov_b32 v4, 0 :: v_dual_add_nc_u32 v3, s10, v2
	v_add_nc_u32_e32 v2, 0x100, v2
	s_delay_alu instid0(VALU_DEP_2) | instskip(NEXT) | instid1(VALU_DEP_1)
	v_lshlrev_b64 v[3:4], 1, v[3:4]
	v_add_co_u32 v3, s0, s18, v3
	s_delay_alu instid0(VALU_DEP_1)
	v_add_co_ci_u32_e64 v4, s0, s19, v4, s0
	global_load_u16 v4, v[3:4], off
.LBB402_15:
	s_or_b32 exec_lo, exec_lo, s1
	v_mov_b32_e32 v3, 0
	v_mov_b32_e32 v7, 0
	s_mov_b32 s1, exec_lo
	v_cmpx_gt_i32_e64 s12, v2
	s_cbranch_execnz .LBB402_27
; %bb.16:
	s_or_b32 exec_lo, exec_lo, s1
	s_delay_alu instid0(SALU_CYCLE_1)
	s_mov_b32 s1, exec_lo
	v_cmpx_gt_i32_e64 s12, v2
	s_cbranch_execnz .LBB402_28
.LBB402_17:
	s_or_b32 exec_lo, exec_lo, s1
	s_and_saveexec_b32 s2, vcc_lo
	s_cbranch_execnz .LBB402_29
.LBB402_18:
	s_or_b32 exec_lo, exec_lo, s2
	s_delay_alu instid0(SALU_CYCLE_1)
	s_mov_b32 s1, exec_lo
	v_cmpx_gt_i32_e64 s12, v0
	s_cbranch_execnz .LBB402_30
.LBB402_19:
	s_or_b32 exec_lo, exec_lo, s1
	s_delay_alu instid0(SALU_CYCLE_1)
	s_mov_b32 s1, exec_lo
	v_cmpx_gt_i32_e64 s12, v0
	s_cbranch_execnz .LBB402_31
.LBB402_20:
	s_or_b32 exec_lo, exec_lo, s1
	s_delay_alu instid0(SALU_CYCLE_1)
	s_mov_b32 s1, exec_lo
	v_cmpx_gt_i32_e64 s12, v0
	s_cbranch_execnz .LBB402_32
.LBB402_21:
	s_or_b32 exec_lo, exec_lo, s1
	s_delay_alu instid0(SALU_CYCLE_1)
	s_mov_b32 s1, exec_lo
	v_cmpx_gt_i32_e64 s12, v0
	s_cbranch_execnz .LBB402_33
.LBB402_22:
	s_or_b32 exec_lo, exec_lo, s1
	s_delay_alu instid0(SALU_CYCLE_1)
	s_mov_b32 s1, exec_lo
	v_cmpx_gt_i32_e64 s12, v0
	s_cbranch_execnz .LBB402_34
.LBB402_23:
	s_or_b32 exec_lo, exec_lo, s1
	s_delay_alu instid0(SALU_CYCLE_1)
	s_mov_b32 s1, exec_lo
	v_cmpx_gt_i32_e64 s12, v0
	s_cbranch_execnz .LBB402_35
.LBB402_24:
	s_or_b32 exec_lo, exec_lo, s1
	s_delay_alu instid0(SALU_CYCLE_1)
	s_mov_b32 s0, exec_lo
	v_cmpx_gt_i32_e64 s12, v0
	s_cbranch_execz .LBB402_26
.LBB402_25:
	v_dual_mov_b32 v1, 0 :: v_dual_add_nc_u32 v0, s10, v0
	s_waitcnt vmcnt(0)
	v_cmp_u_f16_e32 vcc_lo, v3, v3
	v_cmp_lt_f16_e64 s0, s9, v3
	s_delay_alu instid0(VALU_DEP_3) | instskip(NEXT) | instid1(VALU_DEP_2)
	v_lshlrev_b64 v[0:1], 1, v[0:1]
	s_or_b32 vcc_lo, vcc_lo, s0
	v_cndmask_b32_e32 v2, s9, v3, vcc_lo
	s_delay_alu instid0(VALU_DEP_2) | instskip(NEXT) | instid1(VALU_DEP_3)
	v_add_co_u32 v0, vcc_lo, s16, v0
	v_add_co_ci_u32_e32 v1, vcc_lo, s17, v1, vcc_lo
	global_store_b16 v[0:1], v2, off
.LBB402_26:
	s_nop 0
	s_sendmsg sendmsg(MSG_DEALLOC_VGPRS)
	s_endpgm
.LBB402_27:
	v_dual_mov_b32 v13, 0 :: v_dual_add_nc_u32 v12, s10, v2
	v_add_nc_u32_e32 v2, 0x100, v2
	s_delay_alu instid0(VALU_DEP_2) | instskip(NEXT) | instid1(VALU_DEP_1)
	v_lshlrev_b64 v[12:13], 1, v[12:13]
	v_add_co_u32 v12, s0, s18, v12
	s_delay_alu instid0(VALU_DEP_1) | instskip(SKIP_2) | instid1(SALU_CYCLE_1)
	v_add_co_ci_u32_e64 v13, s0, s19, v13, s0
	global_load_u16 v7, v[12:13], off
	s_or_b32 exec_lo, exec_lo, s1
	s_mov_b32 s1, exec_lo
	v_cmpx_gt_i32_e64 s12, v2
	s_cbranch_execz .LBB402_17
.LBB402_28:
	v_dual_mov_b32 v3, 0 :: v_dual_add_nc_u32 v2, s10, v2
	s_delay_alu instid0(VALU_DEP_1) | instskip(NEXT) | instid1(VALU_DEP_1)
	v_lshlrev_b64 v[2:3], 1, v[2:3]
	v_add_co_u32 v2, s0, s18, v2
	s_delay_alu instid0(VALU_DEP_1)
	v_add_co_ci_u32_e64 v3, s0, s19, v3, s0
	global_load_u16 v3, v[2:3], off
	s_or_b32 exec_lo, exec_lo, s1
	s_and_saveexec_b32 s2, vcc_lo
	s_cbranch_execz .LBB402_18
.LBB402_29:
	s_waitcnt vmcnt(0)
	v_cmp_u_f16_e32 vcc_lo, v11, v11
	v_cmp_lt_f16_e64 s0, s9, v11
	s_delay_alu instid0(VALU_DEP_1) | instskip(SKIP_1) | instid1(VALU_DEP_1)
	s_or_b32 vcc_lo, vcc_lo, s0
	v_mov_b32_e32 v2, 0
	v_lshlrev_b64 v[0:1], 1, v[1:2]
	s_delay_alu instid0(VALU_DEP_1) | instskip(NEXT) | instid1(VALU_DEP_1)
	v_add_co_u32 v12, s1, s16, v0
	v_add_co_ci_u32_e64 v13, s1, s17, v1, s1
	v_dual_cndmask_b32 v1, s9, v11 :: v_dual_mov_b32 v0, v8
	global_store_b16 v[12:13], v1, off
	s_or_b32 exec_lo, exec_lo, s2
	s_delay_alu instid0(SALU_CYCLE_1)
	s_mov_b32 s1, exec_lo
	v_cmpx_gt_i32_e64 s12, v0
	s_cbranch_execz .LBB402_19
.LBB402_30:
	v_dual_mov_b32 v2, 0 :: v_dual_add_nc_u32 v1, s10, v0
	s_waitcnt vmcnt(0)
	v_cmp_u_f16_e32 vcc_lo, v6, v6
	v_cmp_lt_f16_e64 s0, s9, v6
	v_add_nc_u32_e32 v0, 0x100, v0
	v_lshlrev_b64 v[1:2], 1, v[1:2]
	s_delay_alu instid0(VALU_DEP_3) | instskip(SKIP_1) | instid1(VALU_DEP_2)
	s_or_b32 vcc_lo, vcc_lo, s0
	v_cndmask_b32_e32 v6, s9, v6, vcc_lo
	v_add_co_u32 v1, vcc_lo, s16, v1
	s_delay_alu instid0(VALU_DEP_3) | instskip(SKIP_2) | instid1(SALU_CYCLE_1)
	v_add_co_ci_u32_e32 v2, vcc_lo, s17, v2, vcc_lo
	global_store_b16 v[1:2], v6, off
	s_or_b32 exec_lo, exec_lo, s1
	s_mov_b32 s1, exec_lo
	v_cmpx_gt_i32_e64 s12, v0
	s_cbranch_execz .LBB402_20
.LBB402_31:
	v_dual_mov_b32 v2, 0 :: v_dual_add_nc_u32 v1, s10, v0
	s_waitcnt vmcnt(0)
	v_cmp_u_f16_e32 vcc_lo, v10, v10
	v_cmp_lt_f16_e64 s0, s9, v10
	v_add_nc_u32_e32 v0, 0x100, v0
	v_lshlrev_b64 v[1:2], 1, v[1:2]
	s_delay_alu instid0(VALU_DEP_3) | instskip(SKIP_1) | instid1(VALU_DEP_2)
	s_or_b32 vcc_lo, vcc_lo, s0
	v_cndmask_b32_e32 v6, s9, v10, vcc_lo
	v_add_co_u32 v1, vcc_lo, s16, v1
	s_delay_alu instid0(VALU_DEP_3) | instskip(SKIP_2) | instid1(SALU_CYCLE_1)
	v_add_co_ci_u32_e32 v2, vcc_lo, s17, v2, vcc_lo
	global_store_b16 v[1:2], v6, off
	s_or_b32 exec_lo, exec_lo, s1
	s_mov_b32 s1, exec_lo
	v_cmpx_gt_i32_e64 s12, v0
	s_cbranch_execz .LBB402_21
.LBB402_32:
	v_dual_mov_b32 v2, 0 :: v_dual_add_nc_u32 v1, s10, v0
	s_waitcnt vmcnt(0)
	v_cmp_u_f16_e32 vcc_lo, v5, v5
	v_cmp_lt_f16_e64 s0, s9, v5
	v_add_nc_u32_e32 v0, 0x100, v0
	v_lshlrev_b64 v[1:2], 1, v[1:2]
	s_delay_alu instid0(VALU_DEP_3) | instskip(SKIP_1) | instid1(VALU_DEP_2)
	s_or_b32 vcc_lo, vcc_lo, s0
	v_cndmask_b32_e32 v5, s9, v5, vcc_lo
	v_add_co_u32 v1, vcc_lo, s16, v1
	s_delay_alu instid0(VALU_DEP_3) | instskip(SKIP_2) | instid1(SALU_CYCLE_1)
	v_add_co_ci_u32_e32 v2, vcc_lo, s17, v2, vcc_lo
	global_store_b16 v[1:2], v5, off
	s_or_b32 exec_lo, exec_lo, s1
	s_mov_b32 s1, exec_lo
	v_cmpx_gt_i32_e64 s12, v0
	s_cbranch_execz .LBB402_22
.LBB402_33:
	v_dual_mov_b32 v2, 0 :: v_dual_add_nc_u32 v1, s10, v0
	s_waitcnt vmcnt(0)
	v_cmp_u_f16_e32 vcc_lo, v9, v9
	v_cmp_lt_f16_e64 s0, s9, v9
	v_add_nc_u32_e32 v0, 0x100, v0
	v_lshlrev_b64 v[1:2], 1, v[1:2]
	s_delay_alu instid0(VALU_DEP_3) | instskip(SKIP_1) | instid1(VALU_DEP_2)
	s_or_b32 vcc_lo, vcc_lo, s0
	v_cndmask_b32_e32 v5, s9, v9, vcc_lo
	v_add_co_u32 v1, vcc_lo, s16, v1
	s_delay_alu instid0(VALU_DEP_3) | instskip(SKIP_2) | instid1(SALU_CYCLE_1)
	v_add_co_ci_u32_e32 v2, vcc_lo, s17, v2, vcc_lo
	global_store_b16 v[1:2], v5, off
	s_or_b32 exec_lo, exec_lo, s1
	s_mov_b32 s1, exec_lo
	v_cmpx_gt_i32_e64 s12, v0
	s_cbranch_execz .LBB402_23
.LBB402_34:
	v_dual_mov_b32 v2, 0 :: v_dual_add_nc_u32 v1, s10, v0
	s_waitcnt vmcnt(0)
	v_cmp_u_f16_e32 vcc_lo, v4, v4
	v_cmp_lt_f16_e64 s0, s9, v4
	v_add_nc_u32_e32 v0, 0x100, v0
	v_lshlrev_b64 v[1:2], 1, v[1:2]
	s_delay_alu instid0(VALU_DEP_3) | instskip(SKIP_1) | instid1(VALU_DEP_2)
	s_or_b32 vcc_lo, vcc_lo, s0
	v_cndmask_b32_e32 v4, s9, v4, vcc_lo
	v_add_co_u32 v1, vcc_lo, s16, v1
	s_delay_alu instid0(VALU_DEP_3) | instskip(SKIP_2) | instid1(SALU_CYCLE_1)
	v_add_co_ci_u32_e32 v2, vcc_lo, s17, v2, vcc_lo
	global_store_b16 v[1:2], v4, off
	s_or_b32 exec_lo, exec_lo, s1
	s_mov_b32 s1, exec_lo
	v_cmpx_gt_i32_e64 s12, v0
	s_cbranch_execz .LBB402_24
.LBB402_35:
	v_dual_mov_b32 v2, 0 :: v_dual_add_nc_u32 v1, s10, v0
	s_waitcnt vmcnt(0)
	v_cmp_u_f16_e32 vcc_lo, v7, v7
	v_cmp_lt_f16_e64 s0, s9, v7
	v_add_nc_u32_e32 v0, 0x100, v0
	v_lshlrev_b64 v[1:2], 1, v[1:2]
	s_delay_alu instid0(VALU_DEP_3) | instskip(SKIP_1) | instid1(VALU_DEP_2)
	s_or_b32 vcc_lo, vcc_lo, s0
	v_cndmask_b32_e32 v4, s9, v7, vcc_lo
	v_add_co_u32 v1, vcc_lo, s16, v1
	s_delay_alu instid0(VALU_DEP_3) | instskip(SKIP_2) | instid1(SALU_CYCLE_1)
	v_add_co_ci_u32_e32 v2, vcc_lo, s17, v2, vcc_lo
	global_store_b16 v[1:2], v4, off
	s_or_b32 exec_lo, exec_lo, s1
	s_mov_b32 s0, exec_lo
	v_cmpx_gt_i32_e64 s12, v0
	s_cbranch_execnz .LBB402_25
	s_branch .LBB402_26
	.section	.rodata,"a",@progbits
	.p2align	6, 0x0
	.amdhsa_kernel _ZN2at6native29vectorized_elementwise_kernelILi16EZZZNS0_21clamp_min_kernel_cudaERNS_18TensorIteratorBaseERKN3c106ScalarEENKUlvE_clEvENKUlvE6_clEvEUlNS4_4HalfEE_St5arrayIPcLm2EEEEviT0_T1_
		.amdhsa_group_segment_fixed_size 0
		.amdhsa_private_segment_fixed_size 0
		.amdhsa_kernarg_size 24
		.amdhsa_user_sgpr_count 15
		.amdhsa_user_sgpr_dispatch_ptr 0
		.amdhsa_user_sgpr_queue_ptr 0
		.amdhsa_user_sgpr_kernarg_segment_ptr 1
		.amdhsa_user_sgpr_dispatch_id 0
		.amdhsa_user_sgpr_private_segment_size 0
		.amdhsa_wavefront_size32 1
		.amdhsa_uses_dynamic_stack 0
		.amdhsa_enable_private_segment 0
		.amdhsa_system_sgpr_workgroup_id_x 1
		.amdhsa_system_sgpr_workgroup_id_y 0
		.amdhsa_system_sgpr_workgroup_id_z 0
		.amdhsa_system_sgpr_workgroup_info 0
		.amdhsa_system_vgpr_workitem_id 0
		.amdhsa_next_free_vgpr 14
		.amdhsa_next_free_sgpr 20
		.amdhsa_reserve_vcc 1
		.amdhsa_float_round_mode_32 0
		.amdhsa_float_round_mode_16_64 0
		.amdhsa_float_denorm_mode_32 3
		.amdhsa_float_denorm_mode_16_64 3
		.amdhsa_dx10_clamp 1
		.amdhsa_ieee_mode 1
		.amdhsa_fp16_overflow 0
		.amdhsa_workgroup_processor_mode 1
		.amdhsa_memory_ordered 1
		.amdhsa_forward_progress 0
		.amdhsa_shared_vgpr_count 0
		.amdhsa_exception_fp_ieee_invalid_op 0
		.amdhsa_exception_fp_denorm_src 0
		.amdhsa_exception_fp_ieee_div_zero 0
		.amdhsa_exception_fp_ieee_overflow 0
		.amdhsa_exception_fp_ieee_underflow 0
		.amdhsa_exception_fp_ieee_inexact 0
		.amdhsa_exception_int_div_zero 0
	.end_amdhsa_kernel
	.section	.text._ZN2at6native29vectorized_elementwise_kernelILi16EZZZNS0_21clamp_min_kernel_cudaERNS_18TensorIteratorBaseERKN3c106ScalarEENKUlvE_clEvENKUlvE6_clEvEUlNS4_4HalfEE_St5arrayIPcLm2EEEEviT0_T1_,"axG",@progbits,_ZN2at6native29vectorized_elementwise_kernelILi16EZZZNS0_21clamp_min_kernel_cudaERNS_18TensorIteratorBaseERKN3c106ScalarEENKUlvE_clEvENKUlvE6_clEvEUlNS4_4HalfEE_St5arrayIPcLm2EEEEviT0_T1_,comdat
.Lfunc_end402:
	.size	_ZN2at6native29vectorized_elementwise_kernelILi16EZZZNS0_21clamp_min_kernel_cudaERNS_18TensorIteratorBaseERKN3c106ScalarEENKUlvE_clEvENKUlvE6_clEvEUlNS4_4HalfEE_St5arrayIPcLm2EEEEviT0_T1_, .Lfunc_end402-_ZN2at6native29vectorized_elementwise_kernelILi16EZZZNS0_21clamp_min_kernel_cudaERNS_18TensorIteratorBaseERKN3c106ScalarEENKUlvE_clEvENKUlvE6_clEvEUlNS4_4HalfEE_St5arrayIPcLm2EEEEviT0_T1_
                                        ; -- End function
	.section	.AMDGPU.csdata,"",@progbits
; Kernel info:
; codeLenInByte = 2004
; NumSgprs: 22
; NumVgprs: 14
; ScratchSize: 0
; MemoryBound: 0
; FloatMode: 240
; IeeeMode: 1
; LDSByteSize: 0 bytes/workgroup (compile time only)
; SGPRBlocks: 2
; VGPRBlocks: 1
; NumSGPRsForWavesPerEU: 22
; NumVGPRsForWavesPerEU: 14
; Occupancy: 16
; WaveLimiterHint : 0
; COMPUTE_PGM_RSRC2:SCRATCH_EN: 0
; COMPUTE_PGM_RSRC2:USER_SGPR: 15
; COMPUTE_PGM_RSRC2:TRAP_HANDLER: 0
; COMPUTE_PGM_RSRC2:TGID_X_EN: 1
; COMPUTE_PGM_RSRC2:TGID_Y_EN: 0
; COMPUTE_PGM_RSRC2:TGID_Z_EN: 0
; COMPUTE_PGM_RSRC2:TIDIG_COMP_CNT: 0
	.section	.text._ZN2at6native29vectorized_elementwise_kernelILi8EZZZNS0_21clamp_min_kernel_cudaERNS_18TensorIteratorBaseERKN3c106ScalarEENKUlvE_clEvENKUlvE6_clEvEUlNS4_4HalfEE_St5arrayIPcLm2EEEEviT0_T1_,"axG",@progbits,_ZN2at6native29vectorized_elementwise_kernelILi8EZZZNS0_21clamp_min_kernel_cudaERNS_18TensorIteratorBaseERKN3c106ScalarEENKUlvE_clEvENKUlvE6_clEvEUlNS4_4HalfEE_St5arrayIPcLm2EEEEviT0_T1_,comdat
	.globl	_ZN2at6native29vectorized_elementwise_kernelILi8EZZZNS0_21clamp_min_kernel_cudaERNS_18TensorIteratorBaseERKN3c106ScalarEENKUlvE_clEvENKUlvE6_clEvEUlNS4_4HalfEE_St5arrayIPcLm2EEEEviT0_T1_ ; -- Begin function _ZN2at6native29vectorized_elementwise_kernelILi8EZZZNS0_21clamp_min_kernel_cudaERNS_18TensorIteratorBaseERKN3c106ScalarEENKUlvE_clEvENKUlvE6_clEvEUlNS4_4HalfEE_St5arrayIPcLm2EEEEviT0_T1_
	.p2align	8
	.type	_ZN2at6native29vectorized_elementwise_kernelILi8EZZZNS0_21clamp_min_kernel_cudaERNS_18TensorIteratorBaseERKN3c106ScalarEENKUlvE_clEvENKUlvE6_clEvEUlNS4_4HalfEE_St5arrayIPcLm2EEEEviT0_T1_,@function
_ZN2at6native29vectorized_elementwise_kernelILi8EZZZNS0_21clamp_min_kernel_cudaERNS_18TensorIteratorBaseERKN3c106ScalarEENKUlvE_clEvENKUlvE6_clEvEUlNS4_4HalfEE_St5arrayIPcLm2EEEEviT0_T1_: ; @_ZN2at6native29vectorized_elementwise_kernelILi8EZZZNS0_21clamp_min_kernel_cudaERNS_18TensorIteratorBaseERKN3c106ScalarEENKUlvE_clEvENKUlvE6_clEvEUlNS4_4HalfEE_St5arrayIPcLm2EEEEviT0_T1_
; %bb.0:
	s_clause 0x1
	s_load_b64 s[8:9], s[0:1], 0x0
	s_load_b128 s[16:19], s[0:1], 0x8
	s_lshl_b32 s10, s15, 11
	s_mov_b32 s0, -1
	s_waitcnt lgkmcnt(0)
	s_sub_i32 s12, s8, s10
	s_delay_alu instid0(SALU_CYCLE_1)
	s_cmpk_gt_i32 s12, 0x7ff
	s_cbranch_scc0 .LBB403_2
; %bb.1:
	s_ashr_i32 s11, s10, 31
	v_lshlrev_b32_e32 v5, 4, v0
	s_lshl_b64 s[14:15], s[10:11], 1
	s_delay_alu instid0(SALU_CYCLE_1)
	s_add_u32 s0, s18, s14
	s_addc_u32 s1, s19, s15
	global_load_b128 v[1:4], v5, s[0:1]
	s_waitcnt vmcnt(0)
	v_cmp_u_f16_e64 s1, v2, v2
	v_cmp_lt_f16_e64 s2, s9, v2
	v_lshrrev_b32_e32 v7, 16, v2
	v_lshrrev_b32_e32 v9, 16, v4
	v_cmp_u_f16_e32 vcc_lo, v1, v1
	v_cmp_lt_f16_e64 s0, s9, v1
	v_cmp_u_f16_e64 s3, v3, v3
	v_cmp_lt_f16_e64 s4, s9, v3
	s_or_b32 s1, s1, s2
	v_lshrrev_b32_e32 v6, 16, v1
	v_lshrrev_b32_e32 v8, 16, v3
	v_cndmask_b32_e64 v2, s9, v2, s1
	v_cmp_u_f16_e64 s1, v7, v7
	v_cmp_lt_f16_e64 s2, s9, v7
	s_or_b32 vcc_lo, vcc_lo, s0
	s_or_b32 s3, s3, s4
	v_cmp_u_f16_e64 s7, v9, v9
	v_cmp_lt_f16_e64 s8, s9, v9
	v_cmp_u_f16_e64 s5, v4, v4
	v_cmp_lt_f16_e64 s6, s9, v4
	v_cndmask_b32_e32 v1, s9, v1, vcc_lo
	v_cmp_u_f16_e32 vcc_lo, v6, v6
	v_cmp_lt_f16_e64 s0, s9, v6
	v_cndmask_b32_e64 v3, s9, v3, s3
	v_cmp_u_f16_e64 s3, v8, v8
	v_cmp_lt_f16_e64 s4, s9, v8
	s_or_b32 s1, s1, s2
	s_or_b32 s5, s5, s6
	v_cndmask_b32_e64 v7, s9, v7, s1
	s_or_b32 s1, s7, s8
	s_or_b32 vcc_lo, vcc_lo, s0
	v_cndmask_b32_e64 v9, s9, v9, s1
	v_cndmask_b32_e32 v6, s9, v6, vcc_lo
	s_or_b32 s1, s3, s4
	v_cndmask_b32_e64 v4, s9, v4, s5
	v_cndmask_b32_e64 v8, s9, v8, s1
	v_perm_b32 v2, v7, v2, 0x5040100
	v_perm_b32 v1, v6, v1, 0x5040100
	s_add_u32 s2, s16, s14
	v_perm_b32 v4, v9, v4, 0x5040100
	v_perm_b32 v3, v8, v3, 0x5040100
	s_addc_u32 s3, s17, s15
	s_mov_b32 s0, 0
	global_store_b128 v5, v[1:4], s[2:3]
.LBB403_2:
	s_and_not1_b32 vcc_lo, exec_lo, s0
	s_cbranch_vccnz .LBB403_26
; %bb.3:
	v_cmp_gt_i32_e32 vcc_lo, s12, v0
	v_dual_mov_b32 v6, 0 :: v_dual_mov_b32 v11, 0
	v_or_b32_e32 v1, s10, v0
	v_or_b32_e32 v8, 0x100, v0
	v_mov_b32_e32 v2, v0
	s_and_saveexec_b32 s1, vcc_lo
	s_cbranch_execz .LBB403_5
; %bb.4:
	v_mov_b32_e32 v2, 0
	s_delay_alu instid0(VALU_DEP_1) | instskip(NEXT) | instid1(VALU_DEP_1)
	v_lshlrev_b64 v[2:3], 1, v[1:2]
	v_add_co_u32 v2, s0, s18, v2
	s_delay_alu instid0(VALU_DEP_1)
	v_add_co_ci_u32_e64 v3, s0, s19, v3, s0
	global_load_u16 v11, v[2:3], off
	v_or_b32_e32 v2, 0x100, v0
.LBB403_5:
	s_or_b32 exec_lo, exec_lo, s1
	s_delay_alu instid0(SALU_CYCLE_1) | instskip(NEXT) | instid1(VALU_DEP_1)
	s_mov_b32 s1, exec_lo
	v_cmpx_gt_i32_e64 s12, v2
	s_cbranch_execz .LBB403_7
; %bb.6:
	v_dual_mov_b32 v4, 0 :: v_dual_add_nc_u32 v3, s10, v2
	v_add_nc_u32_e32 v2, 0x100, v2
	s_delay_alu instid0(VALU_DEP_2) | instskip(NEXT) | instid1(VALU_DEP_1)
	v_lshlrev_b64 v[3:4], 1, v[3:4]
	v_add_co_u32 v3, s0, s18, v3
	s_delay_alu instid0(VALU_DEP_1)
	v_add_co_ci_u32_e64 v4, s0, s19, v4, s0
	global_load_u16 v6, v[3:4], off
.LBB403_7:
	s_or_b32 exec_lo, exec_lo, s1
	v_dual_mov_b32 v5, 0 :: v_dual_mov_b32 v10, 0
	s_mov_b32 s1, exec_lo
	v_cmpx_gt_i32_e64 s12, v2
	s_cbranch_execz .LBB403_9
; %bb.8:
	v_dual_mov_b32 v4, 0 :: v_dual_add_nc_u32 v3, s10, v2
	v_add_nc_u32_e32 v2, 0x100, v2
	s_delay_alu instid0(VALU_DEP_2) | instskip(NEXT) | instid1(VALU_DEP_1)
	v_lshlrev_b64 v[3:4], 1, v[3:4]
	v_add_co_u32 v3, s0, s18, v3
	s_delay_alu instid0(VALU_DEP_1)
	v_add_co_ci_u32_e64 v4, s0, s19, v4, s0
	global_load_u16 v10, v[3:4], off
.LBB403_9:
	s_or_b32 exec_lo, exec_lo, s1
	s_delay_alu instid0(SALU_CYCLE_1)
	s_mov_b32 s1, exec_lo
	v_cmpx_gt_i32_e64 s12, v2
	s_cbranch_execz .LBB403_11
; %bb.10:
	v_dual_mov_b32 v4, 0 :: v_dual_add_nc_u32 v3, s10, v2
	v_add_nc_u32_e32 v2, 0x100, v2
	s_delay_alu instid0(VALU_DEP_2) | instskip(NEXT) | instid1(VALU_DEP_1)
	v_lshlrev_b64 v[3:4], 1, v[3:4]
	v_add_co_u32 v3, s0, s18, v3
	s_delay_alu instid0(VALU_DEP_1)
	v_add_co_ci_u32_e64 v4, s0, s19, v4, s0
	global_load_u16 v5, v[3:4], off
.LBB403_11:
	s_or_b32 exec_lo, exec_lo, s1
	v_dual_mov_b32 v4, 0 :: v_dual_mov_b32 v9, 0
	s_mov_b32 s1, exec_lo
	v_cmpx_gt_i32_e64 s12, v2
	s_cbranch_execz .LBB403_13
; %bb.12:
	v_dual_mov_b32 v13, 0 :: v_dual_add_nc_u32 v12, s10, v2
	v_add_nc_u32_e32 v2, 0x100, v2
	s_delay_alu instid0(VALU_DEP_2) | instskip(NEXT) | instid1(VALU_DEP_1)
	v_lshlrev_b64 v[12:13], 1, v[12:13]
	v_add_co_u32 v12, s0, s18, v12
	s_delay_alu instid0(VALU_DEP_1)
	v_add_co_ci_u32_e64 v13, s0, s19, v13, s0
	global_load_u16 v9, v[12:13], off
.LBB403_13:
	s_or_b32 exec_lo, exec_lo, s1
	s_delay_alu instid0(SALU_CYCLE_1)
	s_mov_b32 s1, exec_lo
	v_cmpx_gt_i32_e64 s12, v2
	s_cbranch_execz .LBB403_15
; %bb.14:
	v_dual_mov_b32 v4, 0 :: v_dual_add_nc_u32 v3, s10, v2
	v_add_nc_u32_e32 v2, 0x100, v2
	s_delay_alu instid0(VALU_DEP_2) | instskip(NEXT) | instid1(VALU_DEP_1)
	v_lshlrev_b64 v[3:4], 1, v[3:4]
	v_add_co_u32 v3, s0, s18, v3
	s_delay_alu instid0(VALU_DEP_1)
	v_add_co_ci_u32_e64 v4, s0, s19, v4, s0
	global_load_u16 v4, v[3:4], off
.LBB403_15:
	s_or_b32 exec_lo, exec_lo, s1
	v_mov_b32_e32 v3, 0
	v_mov_b32_e32 v7, 0
	s_mov_b32 s1, exec_lo
	v_cmpx_gt_i32_e64 s12, v2
	s_cbranch_execnz .LBB403_27
; %bb.16:
	s_or_b32 exec_lo, exec_lo, s1
	s_delay_alu instid0(SALU_CYCLE_1)
	s_mov_b32 s1, exec_lo
	v_cmpx_gt_i32_e64 s12, v2
	s_cbranch_execnz .LBB403_28
.LBB403_17:
	s_or_b32 exec_lo, exec_lo, s1
	s_and_saveexec_b32 s2, vcc_lo
	s_cbranch_execnz .LBB403_29
.LBB403_18:
	s_or_b32 exec_lo, exec_lo, s2
	s_delay_alu instid0(SALU_CYCLE_1)
	s_mov_b32 s1, exec_lo
	v_cmpx_gt_i32_e64 s12, v0
	s_cbranch_execnz .LBB403_30
.LBB403_19:
	s_or_b32 exec_lo, exec_lo, s1
	s_delay_alu instid0(SALU_CYCLE_1)
	s_mov_b32 s1, exec_lo
	v_cmpx_gt_i32_e64 s12, v0
	s_cbranch_execnz .LBB403_31
.LBB403_20:
	s_or_b32 exec_lo, exec_lo, s1
	s_delay_alu instid0(SALU_CYCLE_1)
	s_mov_b32 s1, exec_lo
	v_cmpx_gt_i32_e64 s12, v0
	s_cbranch_execnz .LBB403_32
.LBB403_21:
	s_or_b32 exec_lo, exec_lo, s1
	s_delay_alu instid0(SALU_CYCLE_1)
	s_mov_b32 s1, exec_lo
	v_cmpx_gt_i32_e64 s12, v0
	s_cbranch_execnz .LBB403_33
.LBB403_22:
	s_or_b32 exec_lo, exec_lo, s1
	s_delay_alu instid0(SALU_CYCLE_1)
	s_mov_b32 s1, exec_lo
	v_cmpx_gt_i32_e64 s12, v0
	s_cbranch_execnz .LBB403_34
.LBB403_23:
	s_or_b32 exec_lo, exec_lo, s1
	s_delay_alu instid0(SALU_CYCLE_1)
	s_mov_b32 s1, exec_lo
	v_cmpx_gt_i32_e64 s12, v0
	s_cbranch_execnz .LBB403_35
.LBB403_24:
	s_or_b32 exec_lo, exec_lo, s1
	s_delay_alu instid0(SALU_CYCLE_1)
	s_mov_b32 s0, exec_lo
	v_cmpx_gt_i32_e64 s12, v0
	s_cbranch_execz .LBB403_26
.LBB403_25:
	v_dual_mov_b32 v1, 0 :: v_dual_add_nc_u32 v0, s10, v0
	s_waitcnt vmcnt(0)
	v_cmp_u_f16_e32 vcc_lo, v3, v3
	v_cmp_lt_f16_e64 s0, s9, v3
	s_delay_alu instid0(VALU_DEP_3) | instskip(NEXT) | instid1(VALU_DEP_2)
	v_lshlrev_b64 v[0:1], 1, v[0:1]
	s_or_b32 vcc_lo, vcc_lo, s0
	v_cndmask_b32_e32 v2, s9, v3, vcc_lo
	s_delay_alu instid0(VALU_DEP_2) | instskip(NEXT) | instid1(VALU_DEP_3)
	v_add_co_u32 v0, vcc_lo, s16, v0
	v_add_co_ci_u32_e32 v1, vcc_lo, s17, v1, vcc_lo
	global_store_b16 v[0:1], v2, off
.LBB403_26:
	s_nop 0
	s_sendmsg sendmsg(MSG_DEALLOC_VGPRS)
	s_endpgm
.LBB403_27:
	v_dual_mov_b32 v13, 0 :: v_dual_add_nc_u32 v12, s10, v2
	v_add_nc_u32_e32 v2, 0x100, v2
	s_delay_alu instid0(VALU_DEP_2) | instskip(NEXT) | instid1(VALU_DEP_1)
	v_lshlrev_b64 v[12:13], 1, v[12:13]
	v_add_co_u32 v12, s0, s18, v12
	s_delay_alu instid0(VALU_DEP_1) | instskip(SKIP_2) | instid1(SALU_CYCLE_1)
	v_add_co_ci_u32_e64 v13, s0, s19, v13, s0
	global_load_u16 v7, v[12:13], off
	s_or_b32 exec_lo, exec_lo, s1
	s_mov_b32 s1, exec_lo
	v_cmpx_gt_i32_e64 s12, v2
	s_cbranch_execz .LBB403_17
.LBB403_28:
	v_dual_mov_b32 v3, 0 :: v_dual_add_nc_u32 v2, s10, v2
	s_delay_alu instid0(VALU_DEP_1) | instskip(NEXT) | instid1(VALU_DEP_1)
	v_lshlrev_b64 v[2:3], 1, v[2:3]
	v_add_co_u32 v2, s0, s18, v2
	s_delay_alu instid0(VALU_DEP_1)
	v_add_co_ci_u32_e64 v3, s0, s19, v3, s0
	global_load_u16 v3, v[2:3], off
	s_or_b32 exec_lo, exec_lo, s1
	s_and_saveexec_b32 s2, vcc_lo
	s_cbranch_execz .LBB403_18
.LBB403_29:
	s_waitcnt vmcnt(0)
	v_cmp_u_f16_e32 vcc_lo, v11, v11
	v_cmp_lt_f16_e64 s0, s9, v11
	s_delay_alu instid0(VALU_DEP_1) | instskip(SKIP_1) | instid1(VALU_DEP_1)
	s_or_b32 vcc_lo, vcc_lo, s0
	v_mov_b32_e32 v2, 0
	v_lshlrev_b64 v[0:1], 1, v[1:2]
	s_delay_alu instid0(VALU_DEP_1) | instskip(NEXT) | instid1(VALU_DEP_1)
	v_add_co_u32 v12, s1, s16, v0
	v_add_co_ci_u32_e64 v13, s1, s17, v1, s1
	v_dual_cndmask_b32 v1, s9, v11 :: v_dual_mov_b32 v0, v8
	global_store_b16 v[12:13], v1, off
	s_or_b32 exec_lo, exec_lo, s2
	s_delay_alu instid0(SALU_CYCLE_1)
	s_mov_b32 s1, exec_lo
	v_cmpx_gt_i32_e64 s12, v0
	s_cbranch_execz .LBB403_19
.LBB403_30:
	v_dual_mov_b32 v2, 0 :: v_dual_add_nc_u32 v1, s10, v0
	s_waitcnt vmcnt(0)
	v_cmp_u_f16_e32 vcc_lo, v6, v6
	v_cmp_lt_f16_e64 s0, s9, v6
	v_add_nc_u32_e32 v0, 0x100, v0
	v_lshlrev_b64 v[1:2], 1, v[1:2]
	s_delay_alu instid0(VALU_DEP_3) | instskip(SKIP_1) | instid1(VALU_DEP_2)
	s_or_b32 vcc_lo, vcc_lo, s0
	v_cndmask_b32_e32 v6, s9, v6, vcc_lo
	v_add_co_u32 v1, vcc_lo, s16, v1
	s_delay_alu instid0(VALU_DEP_3) | instskip(SKIP_2) | instid1(SALU_CYCLE_1)
	v_add_co_ci_u32_e32 v2, vcc_lo, s17, v2, vcc_lo
	global_store_b16 v[1:2], v6, off
	s_or_b32 exec_lo, exec_lo, s1
	s_mov_b32 s1, exec_lo
	v_cmpx_gt_i32_e64 s12, v0
	s_cbranch_execz .LBB403_20
.LBB403_31:
	v_dual_mov_b32 v2, 0 :: v_dual_add_nc_u32 v1, s10, v0
	s_waitcnt vmcnt(0)
	v_cmp_u_f16_e32 vcc_lo, v10, v10
	v_cmp_lt_f16_e64 s0, s9, v10
	v_add_nc_u32_e32 v0, 0x100, v0
	v_lshlrev_b64 v[1:2], 1, v[1:2]
	s_delay_alu instid0(VALU_DEP_3) | instskip(SKIP_1) | instid1(VALU_DEP_2)
	s_or_b32 vcc_lo, vcc_lo, s0
	v_cndmask_b32_e32 v6, s9, v10, vcc_lo
	v_add_co_u32 v1, vcc_lo, s16, v1
	s_delay_alu instid0(VALU_DEP_3) | instskip(SKIP_2) | instid1(SALU_CYCLE_1)
	v_add_co_ci_u32_e32 v2, vcc_lo, s17, v2, vcc_lo
	global_store_b16 v[1:2], v6, off
	s_or_b32 exec_lo, exec_lo, s1
	s_mov_b32 s1, exec_lo
	v_cmpx_gt_i32_e64 s12, v0
	s_cbranch_execz .LBB403_21
.LBB403_32:
	v_dual_mov_b32 v2, 0 :: v_dual_add_nc_u32 v1, s10, v0
	s_waitcnt vmcnt(0)
	v_cmp_u_f16_e32 vcc_lo, v5, v5
	v_cmp_lt_f16_e64 s0, s9, v5
	v_add_nc_u32_e32 v0, 0x100, v0
	v_lshlrev_b64 v[1:2], 1, v[1:2]
	s_delay_alu instid0(VALU_DEP_3) | instskip(SKIP_1) | instid1(VALU_DEP_2)
	s_or_b32 vcc_lo, vcc_lo, s0
	v_cndmask_b32_e32 v5, s9, v5, vcc_lo
	v_add_co_u32 v1, vcc_lo, s16, v1
	s_delay_alu instid0(VALU_DEP_3) | instskip(SKIP_2) | instid1(SALU_CYCLE_1)
	v_add_co_ci_u32_e32 v2, vcc_lo, s17, v2, vcc_lo
	global_store_b16 v[1:2], v5, off
	s_or_b32 exec_lo, exec_lo, s1
	s_mov_b32 s1, exec_lo
	v_cmpx_gt_i32_e64 s12, v0
	s_cbranch_execz .LBB403_22
.LBB403_33:
	v_dual_mov_b32 v2, 0 :: v_dual_add_nc_u32 v1, s10, v0
	s_waitcnt vmcnt(0)
	v_cmp_u_f16_e32 vcc_lo, v9, v9
	v_cmp_lt_f16_e64 s0, s9, v9
	v_add_nc_u32_e32 v0, 0x100, v0
	v_lshlrev_b64 v[1:2], 1, v[1:2]
	s_delay_alu instid0(VALU_DEP_3) | instskip(SKIP_1) | instid1(VALU_DEP_2)
	s_or_b32 vcc_lo, vcc_lo, s0
	v_cndmask_b32_e32 v5, s9, v9, vcc_lo
	v_add_co_u32 v1, vcc_lo, s16, v1
	s_delay_alu instid0(VALU_DEP_3) | instskip(SKIP_2) | instid1(SALU_CYCLE_1)
	v_add_co_ci_u32_e32 v2, vcc_lo, s17, v2, vcc_lo
	global_store_b16 v[1:2], v5, off
	s_or_b32 exec_lo, exec_lo, s1
	s_mov_b32 s1, exec_lo
	v_cmpx_gt_i32_e64 s12, v0
	s_cbranch_execz .LBB403_23
.LBB403_34:
	v_dual_mov_b32 v2, 0 :: v_dual_add_nc_u32 v1, s10, v0
	s_waitcnt vmcnt(0)
	v_cmp_u_f16_e32 vcc_lo, v4, v4
	v_cmp_lt_f16_e64 s0, s9, v4
	v_add_nc_u32_e32 v0, 0x100, v0
	v_lshlrev_b64 v[1:2], 1, v[1:2]
	s_delay_alu instid0(VALU_DEP_3) | instskip(SKIP_1) | instid1(VALU_DEP_2)
	s_or_b32 vcc_lo, vcc_lo, s0
	v_cndmask_b32_e32 v4, s9, v4, vcc_lo
	v_add_co_u32 v1, vcc_lo, s16, v1
	s_delay_alu instid0(VALU_DEP_3) | instskip(SKIP_2) | instid1(SALU_CYCLE_1)
	v_add_co_ci_u32_e32 v2, vcc_lo, s17, v2, vcc_lo
	global_store_b16 v[1:2], v4, off
	s_or_b32 exec_lo, exec_lo, s1
	s_mov_b32 s1, exec_lo
	v_cmpx_gt_i32_e64 s12, v0
	s_cbranch_execz .LBB403_24
.LBB403_35:
	v_dual_mov_b32 v2, 0 :: v_dual_add_nc_u32 v1, s10, v0
	s_waitcnt vmcnt(0)
	v_cmp_u_f16_e32 vcc_lo, v7, v7
	v_cmp_lt_f16_e64 s0, s9, v7
	v_add_nc_u32_e32 v0, 0x100, v0
	v_lshlrev_b64 v[1:2], 1, v[1:2]
	s_delay_alu instid0(VALU_DEP_3) | instskip(SKIP_1) | instid1(VALU_DEP_2)
	s_or_b32 vcc_lo, vcc_lo, s0
	v_cndmask_b32_e32 v4, s9, v7, vcc_lo
	v_add_co_u32 v1, vcc_lo, s16, v1
	s_delay_alu instid0(VALU_DEP_3) | instskip(SKIP_2) | instid1(SALU_CYCLE_1)
	v_add_co_ci_u32_e32 v2, vcc_lo, s17, v2, vcc_lo
	global_store_b16 v[1:2], v4, off
	s_or_b32 exec_lo, exec_lo, s1
	s_mov_b32 s0, exec_lo
	v_cmpx_gt_i32_e64 s12, v0
	s_cbranch_execnz .LBB403_25
	s_branch .LBB403_26
	.section	.rodata,"a",@progbits
	.p2align	6, 0x0
	.amdhsa_kernel _ZN2at6native29vectorized_elementwise_kernelILi8EZZZNS0_21clamp_min_kernel_cudaERNS_18TensorIteratorBaseERKN3c106ScalarEENKUlvE_clEvENKUlvE6_clEvEUlNS4_4HalfEE_St5arrayIPcLm2EEEEviT0_T1_
		.amdhsa_group_segment_fixed_size 0
		.amdhsa_private_segment_fixed_size 0
		.amdhsa_kernarg_size 24
		.amdhsa_user_sgpr_count 15
		.amdhsa_user_sgpr_dispatch_ptr 0
		.amdhsa_user_sgpr_queue_ptr 0
		.amdhsa_user_sgpr_kernarg_segment_ptr 1
		.amdhsa_user_sgpr_dispatch_id 0
		.amdhsa_user_sgpr_private_segment_size 0
		.amdhsa_wavefront_size32 1
		.amdhsa_uses_dynamic_stack 0
		.amdhsa_enable_private_segment 0
		.amdhsa_system_sgpr_workgroup_id_x 1
		.amdhsa_system_sgpr_workgroup_id_y 0
		.amdhsa_system_sgpr_workgroup_id_z 0
		.amdhsa_system_sgpr_workgroup_info 0
		.amdhsa_system_vgpr_workitem_id 0
		.amdhsa_next_free_vgpr 14
		.amdhsa_next_free_sgpr 20
		.amdhsa_reserve_vcc 1
		.amdhsa_float_round_mode_32 0
		.amdhsa_float_round_mode_16_64 0
		.amdhsa_float_denorm_mode_32 3
		.amdhsa_float_denorm_mode_16_64 3
		.amdhsa_dx10_clamp 1
		.amdhsa_ieee_mode 1
		.amdhsa_fp16_overflow 0
		.amdhsa_workgroup_processor_mode 1
		.amdhsa_memory_ordered 1
		.amdhsa_forward_progress 0
		.amdhsa_shared_vgpr_count 0
		.amdhsa_exception_fp_ieee_invalid_op 0
		.amdhsa_exception_fp_denorm_src 0
		.amdhsa_exception_fp_ieee_div_zero 0
		.amdhsa_exception_fp_ieee_overflow 0
		.amdhsa_exception_fp_ieee_underflow 0
		.amdhsa_exception_fp_ieee_inexact 0
		.amdhsa_exception_int_div_zero 0
	.end_amdhsa_kernel
	.section	.text._ZN2at6native29vectorized_elementwise_kernelILi8EZZZNS0_21clamp_min_kernel_cudaERNS_18TensorIteratorBaseERKN3c106ScalarEENKUlvE_clEvENKUlvE6_clEvEUlNS4_4HalfEE_St5arrayIPcLm2EEEEviT0_T1_,"axG",@progbits,_ZN2at6native29vectorized_elementwise_kernelILi8EZZZNS0_21clamp_min_kernel_cudaERNS_18TensorIteratorBaseERKN3c106ScalarEENKUlvE_clEvENKUlvE6_clEvEUlNS4_4HalfEE_St5arrayIPcLm2EEEEviT0_T1_,comdat
.Lfunc_end403:
	.size	_ZN2at6native29vectorized_elementwise_kernelILi8EZZZNS0_21clamp_min_kernel_cudaERNS_18TensorIteratorBaseERKN3c106ScalarEENKUlvE_clEvENKUlvE6_clEvEUlNS4_4HalfEE_St5arrayIPcLm2EEEEviT0_T1_, .Lfunc_end403-_ZN2at6native29vectorized_elementwise_kernelILi8EZZZNS0_21clamp_min_kernel_cudaERNS_18TensorIteratorBaseERKN3c106ScalarEENKUlvE_clEvENKUlvE6_clEvEUlNS4_4HalfEE_St5arrayIPcLm2EEEEviT0_T1_
                                        ; -- End function
	.section	.AMDGPU.csdata,"",@progbits
; Kernel info:
; codeLenInByte = 2004
; NumSgprs: 22
; NumVgprs: 14
; ScratchSize: 0
; MemoryBound: 0
; FloatMode: 240
; IeeeMode: 1
; LDSByteSize: 0 bytes/workgroup (compile time only)
; SGPRBlocks: 2
; VGPRBlocks: 1
; NumSGPRsForWavesPerEU: 22
; NumVGPRsForWavesPerEU: 14
; Occupancy: 16
; WaveLimiterHint : 0
; COMPUTE_PGM_RSRC2:SCRATCH_EN: 0
; COMPUTE_PGM_RSRC2:USER_SGPR: 15
; COMPUTE_PGM_RSRC2:TRAP_HANDLER: 0
; COMPUTE_PGM_RSRC2:TGID_X_EN: 1
; COMPUTE_PGM_RSRC2:TGID_Y_EN: 0
; COMPUTE_PGM_RSRC2:TGID_Z_EN: 0
; COMPUTE_PGM_RSRC2:TIDIG_COMP_CNT: 0
	.section	.text._ZN2at6native29vectorized_elementwise_kernelILi4EZZZNS0_21clamp_min_kernel_cudaERNS_18TensorIteratorBaseERKN3c106ScalarEENKUlvE_clEvENKUlvE6_clEvEUlNS4_4HalfEE_St5arrayIPcLm2EEEEviT0_T1_,"axG",@progbits,_ZN2at6native29vectorized_elementwise_kernelILi4EZZZNS0_21clamp_min_kernel_cudaERNS_18TensorIteratorBaseERKN3c106ScalarEENKUlvE_clEvENKUlvE6_clEvEUlNS4_4HalfEE_St5arrayIPcLm2EEEEviT0_T1_,comdat
	.globl	_ZN2at6native29vectorized_elementwise_kernelILi4EZZZNS0_21clamp_min_kernel_cudaERNS_18TensorIteratorBaseERKN3c106ScalarEENKUlvE_clEvENKUlvE6_clEvEUlNS4_4HalfEE_St5arrayIPcLm2EEEEviT0_T1_ ; -- Begin function _ZN2at6native29vectorized_elementwise_kernelILi4EZZZNS0_21clamp_min_kernel_cudaERNS_18TensorIteratorBaseERKN3c106ScalarEENKUlvE_clEvENKUlvE6_clEvEUlNS4_4HalfEE_St5arrayIPcLm2EEEEviT0_T1_
	.p2align	8
	.type	_ZN2at6native29vectorized_elementwise_kernelILi4EZZZNS0_21clamp_min_kernel_cudaERNS_18TensorIteratorBaseERKN3c106ScalarEENKUlvE_clEvENKUlvE6_clEvEUlNS4_4HalfEE_St5arrayIPcLm2EEEEviT0_T1_,@function
_ZN2at6native29vectorized_elementwise_kernelILi4EZZZNS0_21clamp_min_kernel_cudaERNS_18TensorIteratorBaseERKN3c106ScalarEENKUlvE_clEvENKUlvE6_clEvEUlNS4_4HalfEE_St5arrayIPcLm2EEEEviT0_T1_: ; @_ZN2at6native29vectorized_elementwise_kernelILi4EZZZNS0_21clamp_min_kernel_cudaERNS_18TensorIteratorBaseERKN3c106ScalarEENKUlvE_clEvENKUlvE6_clEvEUlNS4_4HalfEE_St5arrayIPcLm2EEEEviT0_T1_
; %bb.0:
	s_clause 0x1
	s_load_b64 s[6:7], s[0:1], 0x0
	s_load_b128 s[8:11], s[0:1], 0x8
	s_lshl_b32 s12, s15, 11
	s_mov_b32 s0, -1
	s_waitcnt lgkmcnt(0)
	s_sub_i32 s14, s6, s12
	s_delay_alu instid0(SALU_CYCLE_1)
	s_cmpk_gt_i32 s14, 0x7ff
	s_cbranch_scc0 .LBB404_2
; %bb.1:
	s_ashr_i32 s13, s12, 31
	v_lshlrev_b32_e32 v5, 3, v0
	s_lshl_b64 s[16:17], s[12:13], 1
	s_delay_alu instid0(SALU_CYCLE_1)
	s_add_u32 s0, s10, s16
	s_addc_u32 s1, s11, s17
	s_clause 0x1
	global_load_b64 v[1:2], v5, s[0:1]
	global_load_b64 v[3:4], v5, s[0:1] offset:2048
	s_waitcnt vmcnt(1)
	v_cmp_u_f16_e32 vcc_lo, v1, v1
	v_cmp_lt_f16_e64 s0, s7, v1
	v_lshrrev_b32_e32 v6, 16, v1
	v_cmp_u_f16_e64 s1, v2, v2
	v_cmp_lt_f16_e64 s2, s7, v2
	v_lshrrev_b32_e32 v7, 16, v2
	s_waitcnt vmcnt(0)
	v_cmp_u_f16_e64 s3, v3, v3
	v_cmp_lt_f16_e64 s4, s7, v3
	s_or_b32 vcc_lo, vcc_lo, s0
	v_lshrrev_b32_e32 v8, 16, v3
	v_cndmask_b32_e32 v1, s7, v1, vcc_lo
	v_cmp_u_f16_e32 vcc_lo, v6, v6
	v_cmp_lt_f16_e64 s0, s7, v6
	s_or_b32 s1, s1, s2
	v_cmp_u_f16_e64 s5, v4, v4
	v_cmp_lt_f16_e64 s6, s7, v4
	v_cndmask_b32_e64 v2, s7, v2, s1
	v_cmp_u_f16_e64 s1, v7, v7
	v_cmp_lt_f16_e64 s2, s7, v7
	s_or_b32 s3, s3, s4
	v_lshrrev_b32_e32 v9, 16, v4
	v_cndmask_b32_e64 v3, s7, v3, s3
	v_cmp_u_f16_e64 s3, v8, v8
	v_cmp_lt_f16_e64 s4, s7, v8
	s_or_b32 vcc_lo, vcc_lo, s0
	s_or_b32 s5, s5, s6
	v_cndmask_b32_e32 v6, s7, v6, vcc_lo
	s_or_b32 vcc_lo, s1, s2
	v_cndmask_b32_e64 v4, s7, v4, s5
	v_cmp_u_f16_e64 s5, v9, v9
	v_cmp_lt_f16_e64 s6, s7, v9
	v_dual_cndmask_b32 v7, s7, v7 :: v_dual_lshlrev_b32 v6, 16, v6
	s_or_b32 vcc_lo, s3, s4
	v_and_b32_e32 v1, 0xffff, v1
	v_cndmask_b32_e32 v8, s7, v8, vcc_lo
	s_or_b32 vcc_lo, s5, s6
	v_and_b32_e32 v3, 0xffff, v3
	v_cndmask_b32_e32 v9, s7, v9, vcc_lo
	v_and_b32_e32 v2, 0xffff, v2
	v_lshlrev_b32_e32 v8, 16, v8
	v_lshlrev_b32_e32 v7, 16, v7
	v_or_b32_e32 v1, v6, v1
	v_and_b32_e32 v4, 0xffff, v4
	v_lshlrev_b32_e32 v9, 16, v9
	v_or_b32_e32 v3, v8, v3
	v_or3_b32 v2, 0, v2, v7
	v_or3_b32 v1, v1, 0, 0
	s_add_u32 s2, s8, s16
	v_or3_b32 v4, 0, v4, v9
	v_or3_b32 v3, v3, 0, 0
	s_addc_u32 s3, s9, s17
	s_mov_b32 s0, 0
	s_clause 0x1
	global_store_b64 v5, v[1:2], s[2:3]
	global_store_b64 v5, v[3:4], s[2:3] offset:2048
.LBB404_2:
	s_and_not1_b32 vcc_lo, exec_lo, s0
	s_cbranch_vccnz .LBB404_26
; %bb.3:
	v_cmp_gt_i32_e32 vcc_lo, s14, v0
	v_dual_mov_b32 v6, 0 :: v_dual_mov_b32 v11, 0
	v_or_b32_e32 v1, s12, v0
	v_or_b32_e32 v8, 0x100, v0
	v_mov_b32_e32 v2, v0
	s_and_saveexec_b32 s1, vcc_lo
	s_cbranch_execz .LBB404_5
; %bb.4:
	v_mov_b32_e32 v2, 0
	s_delay_alu instid0(VALU_DEP_1) | instskip(NEXT) | instid1(VALU_DEP_1)
	v_lshlrev_b64 v[2:3], 1, v[1:2]
	v_add_co_u32 v2, s0, s10, v2
	s_delay_alu instid0(VALU_DEP_1)
	v_add_co_ci_u32_e64 v3, s0, s11, v3, s0
	global_load_u16 v11, v[2:3], off
	v_or_b32_e32 v2, 0x100, v0
.LBB404_5:
	s_or_b32 exec_lo, exec_lo, s1
	s_delay_alu instid0(SALU_CYCLE_1) | instskip(NEXT) | instid1(VALU_DEP_1)
	s_mov_b32 s1, exec_lo
	v_cmpx_gt_i32_e64 s14, v2
	s_cbranch_execz .LBB404_7
; %bb.6:
	v_dual_mov_b32 v4, 0 :: v_dual_add_nc_u32 v3, s12, v2
	v_add_nc_u32_e32 v2, 0x100, v2
	s_delay_alu instid0(VALU_DEP_2) | instskip(NEXT) | instid1(VALU_DEP_1)
	v_lshlrev_b64 v[3:4], 1, v[3:4]
	v_add_co_u32 v3, s0, s10, v3
	s_delay_alu instid0(VALU_DEP_1)
	v_add_co_ci_u32_e64 v4, s0, s11, v4, s0
	global_load_u16 v6, v[3:4], off
.LBB404_7:
	s_or_b32 exec_lo, exec_lo, s1
	v_dual_mov_b32 v5, 0 :: v_dual_mov_b32 v10, 0
	s_mov_b32 s1, exec_lo
	v_cmpx_gt_i32_e64 s14, v2
	s_cbranch_execz .LBB404_9
; %bb.8:
	v_dual_mov_b32 v4, 0 :: v_dual_add_nc_u32 v3, s12, v2
	v_add_nc_u32_e32 v2, 0x100, v2
	s_delay_alu instid0(VALU_DEP_2) | instskip(NEXT) | instid1(VALU_DEP_1)
	v_lshlrev_b64 v[3:4], 1, v[3:4]
	v_add_co_u32 v3, s0, s10, v3
	s_delay_alu instid0(VALU_DEP_1)
	v_add_co_ci_u32_e64 v4, s0, s11, v4, s0
	global_load_u16 v10, v[3:4], off
.LBB404_9:
	s_or_b32 exec_lo, exec_lo, s1
	s_delay_alu instid0(SALU_CYCLE_1)
	s_mov_b32 s1, exec_lo
	v_cmpx_gt_i32_e64 s14, v2
	s_cbranch_execz .LBB404_11
; %bb.10:
	v_dual_mov_b32 v4, 0 :: v_dual_add_nc_u32 v3, s12, v2
	v_add_nc_u32_e32 v2, 0x100, v2
	s_delay_alu instid0(VALU_DEP_2) | instskip(NEXT) | instid1(VALU_DEP_1)
	v_lshlrev_b64 v[3:4], 1, v[3:4]
	v_add_co_u32 v3, s0, s10, v3
	s_delay_alu instid0(VALU_DEP_1)
	v_add_co_ci_u32_e64 v4, s0, s11, v4, s0
	global_load_u16 v5, v[3:4], off
.LBB404_11:
	s_or_b32 exec_lo, exec_lo, s1
	v_dual_mov_b32 v4, 0 :: v_dual_mov_b32 v9, 0
	s_mov_b32 s1, exec_lo
	v_cmpx_gt_i32_e64 s14, v2
	s_cbranch_execz .LBB404_13
; %bb.12:
	v_dual_mov_b32 v13, 0 :: v_dual_add_nc_u32 v12, s12, v2
	v_add_nc_u32_e32 v2, 0x100, v2
	s_delay_alu instid0(VALU_DEP_2) | instskip(NEXT) | instid1(VALU_DEP_1)
	v_lshlrev_b64 v[12:13], 1, v[12:13]
	v_add_co_u32 v12, s0, s10, v12
	s_delay_alu instid0(VALU_DEP_1)
	v_add_co_ci_u32_e64 v13, s0, s11, v13, s0
	global_load_u16 v9, v[12:13], off
.LBB404_13:
	s_or_b32 exec_lo, exec_lo, s1
	s_delay_alu instid0(SALU_CYCLE_1)
	s_mov_b32 s1, exec_lo
	v_cmpx_gt_i32_e64 s14, v2
	s_cbranch_execz .LBB404_15
; %bb.14:
	v_dual_mov_b32 v4, 0 :: v_dual_add_nc_u32 v3, s12, v2
	v_add_nc_u32_e32 v2, 0x100, v2
	s_delay_alu instid0(VALU_DEP_2) | instskip(NEXT) | instid1(VALU_DEP_1)
	v_lshlrev_b64 v[3:4], 1, v[3:4]
	v_add_co_u32 v3, s0, s10, v3
	s_delay_alu instid0(VALU_DEP_1)
	v_add_co_ci_u32_e64 v4, s0, s11, v4, s0
	global_load_u16 v4, v[3:4], off
.LBB404_15:
	s_or_b32 exec_lo, exec_lo, s1
	v_mov_b32_e32 v3, 0
	v_mov_b32_e32 v7, 0
	s_mov_b32 s1, exec_lo
	v_cmpx_gt_i32_e64 s14, v2
	s_cbranch_execnz .LBB404_27
; %bb.16:
	s_or_b32 exec_lo, exec_lo, s1
	s_delay_alu instid0(SALU_CYCLE_1)
	s_mov_b32 s1, exec_lo
	v_cmpx_gt_i32_e64 s14, v2
	s_cbranch_execnz .LBB404_28
.LBB404_17:
	s_or_b32 exec_lo, exec_lo, s1
	s_and_saveexec_b32 s2, vcc_lo
	s_cbranch_execnz .LBB404_29
.LBB404_18:
	s_or_b32 exec_lo, exec_lo, s2
	s_delay_alu instid0(SALU_CYCLE_1)
	s_mov_b32 s1, exec_lo
	v_cmpx_gt_i32_e64 s14, v0
	s_cbranch_execnz .LBB404_30
.LBB404_19:
	s_or_b32 exec_lo, exec_lo, s1
	s_delay_alu instid0(SALU_CYCLE_1)
	s_mov_b32 s1, exec_lo
	v_cmpx_gt_i32_e64 s14, v0
	s_cbranch_execnz .LBB404_31
.LBB404_20:
	s_or_b32 exec_lo, exec_lo, s1
	s_delay_alu instid0(SALU_CYCLE_1)
	s_mov_b32 s1, exec_lo
	v_cmpx_gt_i32_e64 s14, v0
	s_cbranch_execnz .LBB404_32
.LBB404_21:
	s_or_b32 exec_lo, exec_lo, s1
	s_delay_alu instid0(SALU_CYCLE_1)
	s_mov_b32 s1, exec_lo
	v_cmpx_gt_i32_e64 s14, v0
	s_cbranch_execnz .LBB404_33
.LBB404_22:
	s_or_b32 exec_lo, exec_lo, s1
	s_delay_alu instid0(SALU_CYCLE_1)
	s_mov_b32 s1, exec_lo
	v_cmpx_gt_i32_e64 s14, v0
	s_cbranch_execnz .LBB404_34
.LBB404_23:
	s_or_b32 exec_lo, exec_lo, s1
	s_delay_alu instid0(SALU_CYCLE_1)
	s_mov_b32 s1, exec_lo
	v_cmpx_gt_i32_e64 s14, v0
	s_cbranch_execnz .LBB404_35
.LBB404_24:
	s_or_b32 exec_lo, exec_lo, s1
	s_delay_alu instid0(SALU_CYCLE_1)
	s_mov_b32 s0, exec_lo
	v_cmpx_gt_i32_e64 s14, v0
	s_cbranch_execz .LBB404_26
.LBB404_25:
	v_dual_mov_b32 v1, 0 :: v_dual_add_nc_u32 v0, s12, v0
	s_waitcnt vmcnt(0)
	v_cmp_u_f16_e32 vcc_lo, v3, v3
	v_cmp_lt_f16_e64 s0, s7, v3
	s_delay_alu instid0(VALU_DEP_3) | instskip(NEXT) | instid1(VALU_DEP_2)
	v_lshlrev_b64 v[0:1], 1, v[0:1]
	s_or_b32 vcc_lo, vcc_lo, s0
	v_cndmask_b32_e32 v2, s7, v3, vcc_lo
	s_delay_alu instid0(VALU_DEP_2) | instskip(NEXT) | instid1(VALU_DEP_3)
	v_add_co_u32 v0, vcc_lo, s8, v0
	v_add_co_ci_u32_e32 v1, vcc_lo, s9, v1, vcc_lo
	global_store_b16 v[0:1], v2, off
.LBB404_26:
	s_nop 0
	s_sendmsg sendmsg(MSG_DEALLOC_VGPRS)
	s_endpgm
.LBB404_27:
	v_dual_mov_b32 v13, 0 :: v_dual_add_nc_u32 v12, s12, v2
	v_add_nc_u32_e32 v2, 0x100, v2
	s_delay_alu instid0(VALU_DEP_2) | instskip(NEXT) | instid1(VALU_DEP_1)
	v_lshlrev_b64 v[12:13], 1, v[12:13]
	v_add_co_u32 v12, s0, s10, v12
	s_delay_alu instid0(VALU_DEP_1) | instskip(SKIP_2) | instid1(SALU_CYCLE_1)
	v_add_co_ci_u32_e64 v13, s0, s11, v13, s0
	global_load_u16 v7, v[12:13], off
	s_or_b32 exec_lo, exec_lo, s1
	s_mov_b32 s1, exec_lo
	v_cmpx_gt_i32_e64 s14, v2
	s_cbranch_execz .LBB404_17
.LBB404_28:
	v_dual_mov_b32 v3, 0 :: v_dual_add_nc_u32 v2, s12, v2
	s_delay_alu instid0(VALU_DEP_1) | instskip(NEXT) | instid1(VALU_DEP_1)
	v_lshlrev_b64 v[2:3], 1, v[2:3]
	v_add_co_u32 v2, s0, s10, v2
	s_delay_alu instid0(VALU_DEP_1)
	v_add_co_ci_u32_e64 v3, s0, s11, v3, s0
	global_load_u16 v3, v[2:3], off
	s_or_b32 exec_lo, exec_lo, s1
	s_and_saveexec_b32 s2, vcc_lo
	s_cbranch_execz .LBB404_18
.LBB404_29:
	s_waitcnt vmcnt(0)
	v_cmp_u_f16_e32 vcc_lo, v11, v11
	v_cmp_lt_f16_e64 s0, s7, v11
	s_delay_alu instid0(VALU_DEP_1) | instskip(SKIP_1) | instid1(VALU_DEP_1)
	s_or_b32 vcc_lo, vcc_lo, s0
	v_mov_b32_e32 v2, 0
	v_lshlrev_b64 v[0:1], 1, v[1:2]
	s_delay_alu instid0(VALU_DEP_1) | instskip(NEXT) | instid1(VALU_DEP_1)
	v_add_co_u32 v12, s1, s8, v0
	v_add_co_ci_u32_e64 v13, s1, s9, v1, s1
	v_dual_cndmask_b32 v1, s7, v11 :: v_dual_mov_b32 v0, v8
	global_store_b16 v[12:13], v1, off
	s_or_b32 exec_lo, exec_lo, s2
	s_delay_alu instid0(SALU_CYCLE_1)
	s_mov_b32 s1, exec_lo
	v_cmpx_gt_i32_e64 s14, v0
	s_cbranch_execz .LBB404_19
.LBB404_30:
	v_dual_mov_b32 v2, 0 :: v_dual_add_nc_u32 v1, s12, v0
	s_waitcnt vmcnt(0)
	v_cmp_u_f16_e32 vcc_lo, v6, v6
	v_cmp_lt_f16_e64 s0, s7, v6
	v_add_nc_u32_e32 v0, 0x100, v0
	v_lshlrev_b64 v[1:2], 1, v[1:2]
	s_delay_alu instid0(VALU_DEP_3) | instskip(SKIP_1) | instid1(VALU_DEP_2)
	s_or_b32 vcc_lo, vcc_lo, s0
	v_cndmask_b32_e32 v6, s7, v6, vcc_lo
	v_add_co_u32 v1, vcc_lo, s8, v1
	s_delay_alu instid0(VALU_DEP_3) | instskip(SKIP_2) | instid1(SALU_CYCLE_1)
	v_add_co_ci_u32_e32 v2, vcc_lo, s9, v2, vcc_lo
	global_store_b16 v[1:2], v6, off
	s_or_b32 exec_lo, exec_lo, s1
	s_mov_b32 s1, exec_lo
	v_cmpx_gt_i32_e64 s14, v0
	s_cbranch_execz .LBB404_20
.LBB404_31:
	v_dual_mov_b32 v2, 0 :: v_dual_add_nc_u32 v1, s12, v0
	s_waitcnt vmcnt(0)
	v_cmp_u_f16_e32 vcc_lo, v10, v10
	v_cmp_lt_f16_e64 s0, s7, v10
	v_add_nc_u32_e32 v0, 0x100, v0
	v_lshlrev_b64 v[1:2], 1, v[1:2]
	s_delay_alu instid0(VALU_DEP_3) | instskip(SKIP_1) | instid1(VALU_DEP_2)
	s_or_b32 vcc_lo, vcc_lo, s0
	v_cndmask_b32_e32 v6, s7, v10, vcc_lo
	v_add_co_u32 v1, vcc_lo, s8, v1
	s_delay_alu instid0(VALU_DEP_3) | instskip(SKIP_2) | instid1(SALU_CYCLE_1)
	v_add_co_ci_u32_e32 v2, vcc_lo, s9, v2, vcc_lo
	global_store_b16 v[1:2], v6, off
	s_or_b32 exec_lo, exec_lo, s1
	s_mov_b32 s1, exec_lo
	v_cmpx_gt_i32_e64 s14, v0
	s_cbranch_execz .LBB404_21
.LBB404_32:
	v_dual_mov_b32 v2, 0 :: v_dual_add_nc_u32 v1, s12, v0
	s_waitcnt vmcnt(0)
	v_cmp_u_f16_e32 vcc_lo, v5, v5
	v_cmp_lt_f16_e64 s0, s7, v5
	v_add_nc_u32_e32 v0, 0x100, v0
	v_lshlrev_b64 v[1:2], 1, v[1:2]
	s_delay_alu instid0(VALU_DEP_3) | instskip(SKIP_1) | instid1(VALU_DEP_2)
	s_or_b32 vcc_lo, vcc_lo, s0
	v_cndmask_b32_e32 v5, s7, v5, vcc_lo
	v_add_co_u32 v1, vcc_lo, s8, v1
	s_delay_alu instid0(VALU_DEP_3) | instskip(SKIP_2) | instid1(SALU_CYCLE_1)
	v_add_co_ci_u32_e32 v2, vcc_lo, s9, v2, vcc_lo
	global_store_b16 v[1:2], v5, off
	s_or_b32 exec_lo, exec_lo, s1
	s_mov_b32 s1, exec_lo
	v_cmpx_gt_i32_e64 s14, v0
	s_cbranch_execz .LBB404_22
.LBB404_33:
	v_dual_mov_b32 v2, 0 :: v_dual_add_nc_u32 v1, s12, v0
	s_waitcnt vmcnt(0)
	v_cmp_u_f16_e32 vcc_lo, v9, v9
	v_cmp_lt_f16_e64 s0, s7, v9
	v_add_nc_u32_e32 v0, 0x100, v0
	v_lshlrev_b64 v[1:2], 1, v[1:2]
	s_delay_alu instid0(VALU_DEP_3) | instskip(SKIP_1) | instid1(VALU_DEP_2)
	s_or_b32 vcc_lo, vcc_lo, s0
	v_cndmask_b32_e32 v5, s7, v9, vcc_lo
	v_add_co_u32 v1, vcc_lo, s8, v1
	s_delay_alu instid0(VALU_DEP_3) | instskip(SKIP_2) | instid1(SALU_CYCLE_1)
	v_add_co_ci_u32_e32 v2, vcc_lo, s9, v2, vcc_lo
	global_store_b16 v[1:2], v5, off
	s_or_b32 exec_lo, exec_lo, s1
	s_mov_b32 s1, exec_lo
	v_cmpx_gt_i32_e64 s14, v0
	s_cbranch_execz .LBB404_23
.LBB404_34:
	v_dual_mov_b32 v2, 0 :: v_dual_add_nc_u32 v1, s12, v0
	s_waitcnt vmcnt(0)
	v_cmp_u_f16_e32 vcc_lo, v4, v4
	v_cmp_lt_f16_e64 s0, s7, v4
	v_add_nc_u32_e32 v0, 0x100, v0
	v_lshlrev_b64 v[1:2], 1, v[1:2]
	s_delay_alu instid0(VALU_DEP_3) | instskip(SKIP_1) | instid1(VALU_DEP_2)
	s_or_b32 vcc_lo, vcc_lo, s0
	v_cndmask_b32_e32 v4, s7, v4, vcc_lo
	v_add_co_u32 v1, vcc_lo, s8, v1
	s_delay_alu instid0(VALU_DEP_3) | instskip(SKIP_2) | instid1(SALU_CYCLE_1)
	v_add_co_ci_u32_e32 v2, vcc_lo, s9, v2, vcc_lo
	global_store_b16 v[1:2], v4, off
	s_or_b32 exec_lo, exec_lo, s1
	s_mov_b32 s1, exec_lo
	v_cmpx_gt_i32_e64 s14, v0
	s_cbranch_execz .LBB404_24
.LBB404_35:
	v_dual_mov_b32 v2, 0 :: v_dual_add_nc_u32 v1, s12, v0
	s_waitcnt vmcnt(0)
	v_cmp_u_f16_e32 vcc_lo, v7, v7
	v_cmp_lt_f16_e64 s0, s7, v7
	v_add_nc_u32_e32 v0, 0x100, v0
	v_lshlrev_b64 v[1:2], 1, v[1:2]
	s_delay_alu instid0(VALU_DEP_3) | instskip(SKIP_1) | instid1(VALU_DEP_2)
	s_or_b32 vcc_lo, vcc_lo, s0
	v_cndmask_b32_e32 v4, s7, v7, vcc_lo
	v_add_co_u32 v1, vcc_lo, s8, v1
	s_delay_alu instid0(VALU_DEP_3) | instskip(SKIP_2) | instid1(SALU_CYCLE_1)
	v_add_co_ci_u32_e32 v2, vcc_lo, s9, v2, vcc_lo
	global_store_b16 v[1:2], v4, off
	s_or_b32 exec_lo, exec_lo, s1
	s_mov_b32 s0, exec_lo
	v_cmpx_gt_i32_e64 s14, v0
	s_cbranch_execnz .LBB404_25
	s_branch .LBB404_26
	.section	.rodata,"a",@progbits
	.p2align	6, 0x0
	.amdhsa_kernel _ZN2at6native29vectorized_elementwise_kernelILi4EZZZNS0_21clamp_min_kernel_cudaERNS_18TensorIteratorBaseERKN3c106ScalarEENKUlvE_clEvENKUlvE6_clEvEUlNS4_4HalfEE_St5arrayIPcLm2EEEEviT0_T1_
		.amdhsa_group_segment_fixed_size 0
		.amdhsa_private_segment_fixed_size 0
		.amdhsa_kernarg_size 24
		.amdhsa_user_sgpr_count 15
		.amdhsa_user_sgpr_dispatch_ptr 0
		.amdhsa_user_sgpr_queue_ptr 0
		.amdhsa_user_sgpr_kernarg_segment_ptr 1
		.amdhsa_user_sgpr_dispatch_id 0
		.amdhsa_user_sgpr_private_segment_size 0
		.amdhsa_wavefront_size32 1
		.amdhsa_uses_dynamic_stack 0
		.amdhsa_enable_private_segment 0
		.amdhsa_system_sgpr_workgroup_id_x 1
		.amdhsa_system_sgpr_workgroup_id_y 0
		.amdhsa_system_sgpr_workgroup_id_z 0
		.amdhsa_system_sgpr_workgroup_info 0
		.amdhsa_system_vgpr_workitem_id 0
		.amdhsa_next_free_vgpr 14
		.amdhsa_next_free_sgpr 18
		.amdhsa_reserve_vcc 1
		.amdhsa_float_round_mode_32 0
		.amdhsa_float_round_mode_16_64 0
		.amdhsa_float_denorm_mode_32 3
		.amdhsa_float_denorm_mode_16_64 3
		.amdhsa_dx10_clamp 1
		.amdhsa_ieee_mode 1
		.amdhsa_fp16_overflow 0
		.amdhsa_workgroup_processor_mode 1
		.amdhsa_memory_ordered 1
		.amdhsa_forward_progress 0
		.amdhsa_shared_vgpr_count 0
		.amdhsa_exception_fp_ieee_invalid_op 0
		.amdhsa_exception_fp_denorm_src 0
		.amdhsa_exception_fp_ieee_div_zero 0
		.amdhsa_exception_fp_ieee_overflow 0
		.amdhsa_exception_fp_ieee_underflow 0
		.amdhsa_exception_fp_ieee_inexact 0
		.amdhsa_exception_int_div_zero 0
	.end_amdhsa_kernel
	.section	.text._ZN2at6native29vectorized_elementwise_kernelILi4EZZZNS0_21clamp_min_kernel_cudaERNS_18TensorIteratorBaseERKN3c106ScalarEENKUlvE_clEvENKUlvE6_clEvEUlNS4_4HalfEE_St5arrayIPcLm2EEEEviT0_T1_,"axG",@progbits,_ZN2at6native29vectorized_elementwise_kernelILi4EZZZNS0_21clamp_min_kernel_cudaERNS_18TensorIteratorBaseERKN3c106ScalarEENKUlvE_clEvENKUlvE6_clEvEUlNS4_4HalfEE_St5arrayIPcLm2EEEEviT0_T1_,comdat
.Lfunc_end404:
	.size	_ZN2at6native29vectorized_elementwise_kernelILi4EZZZNS0_21clamp_min_kernel_cudaERNS_18TensorIteratorBaseERKN3c106ScalarEENKUlvE_clEvENKUlvE6_clEvEUlNS4_4HalfEE_St5arrayIPcLm2EEEEviT0_T1_, .Lfunc_end404-_ZN2at6native29vectorized_elementwise_kernelILi4EZZZNS0_21clamp_min_kernel_cudaERNS_18TensorIteratorBaseERKN3c106ScalarEENKUlvE_clEvENKUlvE6_clEvEUlNS4_4HalfEE_St5arrayIPcLm2EEEEviT0_T1_
                                        ; -- End function
	.section	.AMDGPU.csdata,"",@progbits
; Kernel info:
; codeLenInByte = 2060
; NumSgprs: 20
; NumVgprs: 14
; ScratchSize: 0
; MemoryBound: 0
; FloatMode: 240
; IeeeMode: 1
; LDSByteSize: 0 bytes/workgroup (compile time only)
; SGPRBlocks: 2
; VGPRBlocks: 1
; NumSGPRsForWavesPerEU: 20
; NumVGPRsForWavesPerEU: 14
; Occupancy: 16
; WaveLimiterHint : 1
; COMPUTE_PGM_RSRC2:SCRATCH_EN: 0
; COMPUTE_PGM_RSRC2:USER_SGPR: 15
; COMPUTE_PGM_RSRC2:TRAP_HANDLER: 0
; COMPUTE_PGM_RSRC2:TGID_X_EN: 1
; COMPUTE_PGM_RSRC2:TGID_Y_EN: 0
; COMPUTE_PGM_RSRC2:TGID_Z_EN: 0
; COMPUTE_PGM_RSRC2:TIDIG_COMP_CNT: 0
	.section	.text._ZN2at6native29vectorized_elementwise_kernelILi2EZZZNS0_21clamp_min_kernel_cudaERNS_18TensorIteratorBaseERKN3c106ScalarEENKUlvE_clEvENKUlvE6_clEvEUlNS4_4HalfEE_St5arrayIPcLm2EEEEviT0_T1_,"axG",@progbits,_ZN2at6native29vectorized_elementwise_kernelILi2EZZZNS0_21clamp_min_kernel_cudaERNS_18TensorIteratorBaseERKN3c106ScalarEENKUlvE_clEvENKUlvE6_clEvEUlNS4_4HalfEE_St5arrayIPcLm2EEEEviT0_T1_,comdat
	.globl	_ZN2at6native29vectorized_elementwise_kernelILi2EZZZNS0_21clamp_min_kernel_cudaERNS_18TensorIteratorBaseERKN3c106ScalarEENKUlvE_clEvENKUlvE6_clEvEUlNS4_4HalfEE_St5arrayIPcLm2EEEEviT0_T1_ ; -- Begin function _ZN2at6native29vectorized_elementwise_kernelILi2EZZZNS0_21clamp_min_kernel_cudaERNS_18TensorIteratorBaseERKN3c106ScalarEENKUlvE_clEvENKUlvE6_clEvEUlNS4_4HalfEE_St5arrayIPcLm2EEEEviT0_T1_
	.p2align	8
	.type	_ZN2at6native29vectorized_elementwise_kernelILi2EZZZNS0_21clamp_min_kernel_cudaERNS_18TensorIteratorBaseERKN3c106ScalarEENKUlvE_clEvENKUlvE6_clEvEUlNS4_4HalfEE_St5arrayIPcLm2EEEEviT0_T1_,@function
_ZN2at6native29vectorized_elementwise_kernelILi2EZZZNS0_21clamp_min_kernel_cudaERNS_18TensorIteratorBaseERKN3c106ScalarEENKUlvE_clEvENKUlvE6_clEvEUlNS4_4HalfEE_St5arrayIPcLm2EEEEviT0_T1_: ; @_ZN2at6native29vectorized_elementwise_kernelILi2EZZZNS0_21clamp_min_kernel_cudaERNS_18TensorIteratorBaseERKN3c106ScalarEENKUlvE_clEvENKUlvE6_clEvEUlNS4_4HalfEE_St5arrayIPcLm2EEEEviT0_T1_
; %bb.0:
	s_clause 0x1
	s_load_b64 s[6:7], s[0:1], 0x0
	s_load_b128 s[8:11], s[0:1], 0x8
	s_lshl_b32 s12, s15, 11
	s_mov_b32 s0, -1
	s_waitcnt lgkmcnt(0)
	s_sub_i32 s14, s6, s12
	s_delay_alu instid0(SALU_CYCLE_1)
	s_cmpk_gt_i32 s14, 0x7ff
	s_cbranch_scc0 .LBB405_2
; %bb.1:
	s_ashr_i32 s13, s12, 31
	v_lshlrev_b32_e32 v1, 2, v0
	s_lshl_b64 s[16:17], s[12:13], 1
	s_delay_alu instid0(SALU_CYCLE_1)
	s_add_u32 s0, s10, s16
	s_addc_u32 s1, s11, s17
	s_clause 0x3
	global_load_b32 v2, v1, s[0:1]
	global_load_b32 v3, v1, s[0:1] offset:1024
	global_load_b32 v4, v1, s[0:1] offset:2048
	;; [unrolled: 1-line block ×3, first 2 shown]
	s_waitcnt vmcnt(3)
	v_cmp_u_f16_e32 vcc_lo, v2, v2
	v_cmp_lt_f16_e64 s0, s7, v2
	v_lshrrev_b32_e32 v6, 16, v2
	s_waitcnt vmcnt(2)
	v_cmp_u_f16_e64 s1, v3, v3
	v_cmp_lt_f16_e64 s2, s7, v3
	v_lshrrev_b32_e32 v7, 16, v3
	s_waitcnt vmcnt(1)
	v_cmp_u_f16_e64 s3, v4, v4
	v_cmp_lt_f16_e64 s4, s7, v4
	s_or_b32 vcc_lo, vcc_lo, s0
	v_lshrrev_b32_e32 v8, 16, v4
	v_cndmask_b32_e32 v2, s7, v2, vcc_lo
	s_waitcnt vmcnt(0)
	v_cmp_u_f16_e64 s5, v5, v5
	v_cmp_lt_f16_e64 s6, s7, v5
	v_cmp_u_f16_e32 vcc_lo, v6, v6
	v_cmp_lt_f16_e64 s0, s7, v6
	s_or_b32 s1, s1, s2
	v_lshrrev_b32_e32 v9, 16, v5
	v_cndmask_b32_e64 v3, s7, v3, s1
	v_cmp_u_f16_e64 s1, v7, v7
	v_cmp_lt_f16_e64 s2, s7, v7
	s_or_b32 s3, s3, s4
	v_cmp_lt_f16_e64 s4, s7, v8
	v_cndmask_b32_e64 v4, s7, v4, s3
	v_cmp_u_f16_e64 s3, v8, v8
	s_or_b32 s5, s5, s6
	s_or_b32 vcc_lo, vcc_lo, s0
	v_cndmask_b32_e64 v5, s7, v5, s5
	v_cmp_u_f16_e64 s5, v9, v9
	v_cmp_lt_f16_e64 s6, s7, v9
	v_cndmask_b32_e32 v6, s7, v6, vcc_lo
	s_or_b32 vcc_lo, s1, s2
	v_and_b32_e32 v2, 0xffff, v2
	v_cndmask_b32_e32 v7, s7, v7, vcc_lo
	s_or_b32 vcc_lo, s3, s4
	v_and_b32_e32 v3, 0xffff, v3
	v_cndmask_b32_e32 v8, s7, v8, vcc_lo
	s_or_b32 vcc_lo, s5, s6
	v_lshlrev_b32_e32 v7, 16, v7
	v_dual_cndmask_b32 v9, s7, v9 :: v_dual_lshlrev_b32 v6, 16, v6
	v_and_b32_e32 v4, 0xffff, v4
	v_and_b32_e32 v5, 0xffff, v5
	s_delay_alu instid0(VALU_DEP_4) | instskip(NEXT) | instid1(VALU_DEP_4)
	v_or_b32_e32 v3, v7, v3
	v_lshlrev_b32_e32 v9, 16, v9
	v_lshlrev_b32_e32 v8, 16, v8
	v_or_b32_e32 v2, v6, v2
	s_add_u32 s2, s8, s16
	s_addc_u32 s3, s9, s17
	v_or_b32_e32 v5, v9, v5
	v_or_b32_e32 v4, v8, v4
	s_mov_b32 s0, 0
	s_clause 0x3
	global_store_b32 v1, v2, s[2:3]
	global_store_b32 v1, v3, s[2:3] offset:1024
	global_store_b32 v1, v4, s[2:3] offset:2048
	;; [unrolled: 1-line block ×3, first 2 shown]
.LBB405_2:
	s_and_not1_b32 vcc_lo, exec_lo, s0
	s_cbranch_vccnz .LBB405_26
; %bb.3:
	v_cmp_gt_i32_e32 vcc_lo, s14, v0
	v_dual_mov_b32 v6, 0 :: v_dual_mov_b32 v11, 0
	v_or_b32_e32 v1, s12, v0
	v_or_b32_e32 v8, 0x100, v0
	v_mov_b32_e32 v2, v0
	s_and_saveexec_b32 s1, vcc_lo
	s_cbranch_execz .LBB405_5
; %bb.4:
	v_mov_b32_e32 v2, 0
	s_delay_alu instid0(VALU_DEP_1) | instskip(NEXT) | instid1(VALU_DEP_1)
	v_lshlrev_b64 v[2:3], 1, v[1:2]
	v_add_co_u32 v2, s0, s10, v2
	s_delay_alu instid0(VALU_DEP_1)
	v_add_co_ci_u32_e64 v3, s0, s11, v3, s0
	global_load_u16 v11, v[2:3], off
	v_or_b32_e32 v2, 0x100, v0
.LBB405_5:
	s_or_b32 exec_lo, exec_lo, s1
	s_delay_alu instid0(SALU_CYCLE_1) | instskip(NEXT) | instid1(VALU_DEP_1)
	s_mov_b32 s1, exec_lo
	v_cmpx_gt_i32_e64 s14, v2
	s_cbranch_execz .LBB405_7
; %bb.6:
	v_dual_mov_b32 v4, 0 :: v_dual_add_nc_u32 v3, s12, v2
	v_add_nc_u32_e32 v2, 0x100, v2
	s_delay_alu instid0(VALU_DEP_2) | instskip(NEXT) | instid1(VALU_DEP_1)
	v_lshlrev_b64 v[3:4], 1, v[3:4]
	v_add_co_u32 v3, s0, s10, v3
	s_delay_alu instid0(VALU_DEP_1)
	v_add_co_ci_u32_e64 v4, s0, s11, v4, s0
	global_load_u16 v6, v[3:4], off
.LBB405_7:
	s_or_b32 exec_lo, exec_lo, s1
	v_dual_mov_b32 v5, 0 :: v_dual_mov_b32 v10, 0
	s_mov_b32 s1, exec_lo
	v_cmpx_gt_i32_e64 s14, v2
	s_cbranch_execz .LBB405_9
; %bb.8:
	v_dual_mov_b32 v4, 0 :: v_dual_add_nc_u32 v3, s12, v2
	v_add_nc_u32_e32 v2, 0x100, v2
	s_delay_alu instid0(VALU_DEP_2) | instskip(NEXT) | instid1(VALU_DEP_1)
	v_lshlrev_b64 v[3:4], 1, v[3:4]
	v_add_co_u32 v3, s0, s10, v3
	s_delay_alu instid0(VALU_DEP_1)
	v_add_co_ci_u32_e64 v4, s0, s11, v4, s0
	global_load_u16 v10, v[3:4], off
.LBB405_9:
	s_or_b32 exec_lo, exec_lo, s1
	s_delay_alu instid0(SALU_CYCLE_1)
	s_mov_b32 s1, exec_lo
	v_cmpx_gt_i32_e64 s14, v2
	s_cbranch_execz .LBB405_11
; %bb.10:
	v_dual_mov_b32 v4, 0 :: v_dual_add_nc_u32 v3, s12, v2
	v_add_nc_u32_e32 v2, 0x100, v2
	s_delay_alu instid0(VALU_DEP_2) | instskip(NEXT) | instid1(VALU_DEP_1)
	v_lshlrev_b64 v[3:4], 1, v[3:4]
	v_add_co_u32 v3, s0, s10, v3
	s_delay_alu instid0(VALU_DEP_1)
	v_add_co_ci_u32_e64 v4, s0, s11, v4, s0
	global_load_u16 v5, v[3:4], off
.LBB405_11:
	s_or_b32 exec_lo, exec_lo, s1
	v_dual_mov_b32 v4, 0 :: v_dual_mov_b32 v9, 0
	s_mov_b32 s1, exec_lo
	v_cmpx_gt_i32_e64 s14, v2
	s_cbranch_execz .LBB405_13
; %bb.12:
	v_dual_mov_b32 v13, 0 :: v_dual_add_nc_u32 v12, s12, v2
	v_add_nc_u32_e32 v2, 0x100, v2
	s_delay_alu instid0(VALU_DEP_2) | instskip(NEXT) | instid1(VALU_DEP_1)
	v_lshlrev_b64 v[12:13], 1, v[12:13]
	v_add_co_u32 v12, s0, s10, v12
	s_delay_alu instid0(VALU_DEP_1)
	v_add_co_ci_u32_e64 v13, s0, s11, v13, s0
	global_load_u16 v9, v[12:13], off
.LBB405_13:
	s_or_b32 exec_lo, exec_lo, s1
	s_delay_alu instid0(SALU_CYCLE_1)
	s_mov_b32 s1, exec_lo
	v_cmpx_gt_i32_e64 s14, v2
	s_cbranch_execz .LBB405_15
; %bb.14:
	v_dual_mov_b32 v4, 0 :: v_dual_add_nc_u32 v3, s12, v2
	v_add_nc_u32_e32 v2, 0x100, v2
	s_delay_alu instid0(VALU_DEP_2) | instskip(NEXT) | instid1(VALU_DEP_1)
	v_lshlrev_b64 v[3:4], 1, v[3:4]
	v_add_co_u32 v3, s0, s10, v3
	s_delay_alu instid0(VALU_DEP_1)
	v_add_co_ci_u32_e64 v4, s0, s11, v4, s0
	global_load_u16 v4, v[3:4], off
.LBB405_15:
	s_or_b32 exec_lo, exec_lo, s1
	v_mov_b32_e32 v3, 0
	v_mov_b32_e32 v7, 0
	s_mov_b32 s1, exec_lo
	v_cmpx_gt_i32_e64 s14, v2
	s_cbranch_execnz .LBB405_27
; %bb.16:
	s_or_b32 exec_lo, exec_lo, s1
	s_delay_alu instid0(SALU_CYCLE_1)
	s_mov_b32 s1, exec_lo
	v_cmpx_gt_i32_e64 s14, v2
	s_cbranch_execnz .LBB405_28
.LBB405_17:
	s_or_b32 exec_lo, exec_lo, s1
	s_and_saveexec_b32 s2, vcc_lo
	s_cbranch_execnz .LBB405_29
.LBB405_18:
	s_or_b32 exec_lo, exec_lo, s2
	s_delay_alu instid0(SALU_CYCLE_1)
	s_mov_b32 s1, exec_lo
	v_cmpx_gt_i32_e64 s14, v0
	s_cbranch_execnz .LBB405_30
.LBB405_19:
	s_or_b32 exec_lo, exec_lo, s1
	s_delay_alu instid0(SALU_CYCLE_1)
	s_mov_b32 s1, exec_lo
	v_cmpx_gt_i32_e64 s14, v0
	s_cbranch_execnz .LBB405_31
.LBB405_20:
	s_or_b32 exec_lo, exec_lo, s1
	s_delay_alu instid0(SALU_CYCLE_1)
	s_mov_b32 s1, exec_lo
	v_cmpx_gt_i32_e64 s14, v0
	s_cbranch_execnz .LBB405_32
.LBB405_21:
	s_or_b32 exec_lo, exec_lo, s1
	s_delay_alu instid0(SALU_CYCLE_1)
	s_mov_b32 s1, exec_lo
	v_cmpx_gt_i32_e64 s14, v0
	s_cbranch_execnz .LBB405_33
.LBB405_22:
	s_or_b32 exec_lo, exec_lo, s1
	s_delay_alu instid0(SALU_CYCLE_1)
	s_mov_b32 s1, exec_lo
	v_cmpx_gt_i32_e64 s14, v0
	s_cbranch_execnz .LBB405_34
.LBB405_23:
	s_or_b32 exec_lo, exec_lo, s1
	s_delay_alu instid0(SALU_CYCLE_1)
	s_mov_b32 s1, exec_lo
	v_cmpx_gt_i32_e64 s14, v0
	s_cbranch_execnz .LBB405_35
.LBB405_24:
	s_or_b32 exec_lo, exec_lo, s1
	s_delay_alu instid0(SALU_CYCLE_1)
	s_mov_b32 s0, exec_lo
	v_cmpx_gt_i32_e64 s14, v0
	s_cbranch_execz .LBB405_26
.LBB405_25:
	v_dual_mov_b32 v1, 0 :: v_dual_add_nc_u32 v0, s12, v0
	s_waitcnt vmcnt(0)
	v_cmp_u_f16_e32 vcc_lo, v3, v3
	v_cmp_lt_f16_e64 s0, s7, v3
	s_delay_alu instid0(VALU_DEP_3) | instskip(NEXT) | instid1(VALU_DEP_2)
	v_lshlrev_b64 v[0:1], 1, v[0:1]
	s_or_b32 vcc_lo, vcc_lo, s0
	v_cndmask_b32_e32 v2, s7, v3, vcc_lo
	s_delay_alu instid0(VALU_DEP_2) | instskip(NEXT) | instid1(VALU_DEP_3)
	v_add_co_u32 v0, vcc_lo, s8, v0
	v_add_co_ci_u32_e32 v1, vcc_lo, s9, v1, vcc_lo
	global_store_b16 v[0:1], v2, off
.LBB405_26:
	s_nop 0
	s_sendmsg sendmsg(MSG_DEALLOC_VGPRS)
	s_endpgm
.LBB405_27:
	v_dual_mov_b32 v13, 0 :: v_dual_add_nc_u32 v12, s12, v2
	v_add_nc_u32_e32 v2, 0x100, v2
	s_delay_alu instid0(VALU_DEP_2) | instskip(NEXT) | instid1(VALU_DEP_1)
	v_lshlrev_b64 v[12:13], 1, v[12:13]
	v_add_co_u32 v12, s0, s10, v12
	s_delay_alu instid0(VALU_DEP_1) | instskip(SKIP_2) | instid1(SALU_CYCLE_1)
	v_add_co_ci_u32_e64 v13, s0, s11, v13, s0
	global_load_u16 v7, v[12:13], off
	s_or_b32 exec_lo, exec_lo, s1
	s_mov_b32 s1, exec_lo
	v_cmpx_gt_i32_e64 s14, v2
	s_cbranch_execz .LBB405_17
.LBB405_28:
	v_dual_mov_b32 v3, 0 :: v_dual_add_nc_u32 v2, s12, v2
	s_delay_alu instid0(VALU_DEP_1) | instskip(NEXT) | instid1(VALU_DEP_1)
	v_lshlrev_b64 v[2:3], 1, v[2:3]
	v_add_co_u32 v2, s0, s10, v2
	s_delay_alu instid0(VALU_DEP_1)
	v_add_co_ci_u32_e64 v3, s0, s11, v3, s0
	global_load_u16 v3, v[2:3], off
	s_or_b32 exec_lo, exec_lo, s1
	s_and_saveexec_b32 s2, vcc_lo
	s_cbranch_execz .LBB405_18
.LBB405_29:
	s_waitcnt vmcnt(0)
	v_cmp_u_f16_e32 vcc_lo, v11, v11
	v_cmp_lt_f16_e64 s0, s7, v11
	s_delay_alu instid0(VALU_DEP_1) | instskip(SKIP_1) | instid1(VALU_DEP_1)
	s_or_b32 vcc_lo, vcc_lo, s0
	v_mov_b32_e32 v2, 0
	v_lshlrev_b64 v[0:1], 1, v[1:2]
	s_delay_alu instid0(VALU_DEP_1) | instskip(NEXT) | instid1(VALU_DEP_1)
	v_add_co_u32 v12, s1, s8, v0
	v_add_co_ci_u32_e64 v13, s1, s9, v1, s1
	v_dual_cndmask_b32 v1, s7, v11 :: v_dual_mov_b32 v0, v8
	global_store_b16 v[12:13], v1, off
	s_or_b32 exec_lo, exec_lo, s2
	s_delay_alu instid0(SALU_CYCLE_1)
	s_mov_b32 s1, exec_lo
	v_cmpx_gt_i32_e64 s14, v0
	s_cbranch_execz .LBB405_19
.LBB405_30:
	v_dual_mov_b32 v2, 0 :: v_dual_add_nc_u32 v1, s12, v0
	s_waitcnt vmcnt(0)
	v_cmp_u_f16_e32 vcc_lo, v6, v6
	v_cmp_lt_f16_e64 s0, s7, v6
	v_add_nc_u32_e32 v0, 0x100, v0
	v_lshlrev_b64 v[1:2], 1, v[1:2]
	s_delay_alu instid0(VALU_DEP_3) | instskip(SKIP_1) | instid1(VALU_DEP_2)
	s_or_b32 vcc_lo, vcc_lo, s0
	v_cndmask_b32_e32 v6, s7, v6, vcc_lo
	v_add_co_u32 v1, vcc_lo, s8, v1
	s_delay_alu instid0(VALU_DEP_3) | instskip(SKIP_2) | instid1(SALU_CYCLE_1)
	v_add_co_ci_u32_e32 v2, vcc_lo, s9, v2, vcc_lo
	global_store_b16 v[1:2], v6, off
	s_or_b32 exec_lo, exec_lo, s1
	s_mov_b32 s1, exec_lo
	v_cmpx_gt_i32_e64 s14, v0
	s_cbranch_execz .LBB405_20
.LBB405_31:
	v_dual_mov_b32 v2, 0 :: v_dual_add_nc_u32 v1, s12, v0
	s_waitcnt vmcnt(0)
	v_cmp_u_f16_e32 vcc_lo, v10, v10
	v_cmp_lt_f16_e64 s0, s7, v10
	v_add_nc_u32_e32 v0, 0x100, v0
	v_lshlrev_b64 v[1:2], 1, v[1:2]
	s_delay_alu instid0(VALU_DEP_3) | instskip(SKIP_1) | instid1(VALU_DEP_2)
	s_or_b32 vcc_lo, vcc_lo, s0
	v_cndmask_b32_e32 v6, s7, v10, vcc_lo
	v_add_co_u32 v1, vcc_lo, s8, v1
	s_delay_alu instid0(VALU_DEP_3) | instskip(SKIP_2) | instid1(SALU_CYCLE_1)
	v_add_co_ci_u32_e32 v2, vcc_lo, s9, v2, vcc_lo
	global_store_b16 v[1:2], v6, off
	s_or_b32 exec_lo, exec_lo, s1
	s_mov_b32 s1, exec_lo
	v_cmpx_gt_i32_e64 s14, v0
	s_cbranch_execz .LBB405_21
.LBB405_32:
	v_dual_mov_b32 v2, 0 :: v_dual_add_nc_u32 v1, s12, v0
	s_waitcnt vmcnt(0)
	v_cmp_u_f16_e32 vcc_lo, v5, v5
	v_cmp_lt_f16_e64 s0, s7, v5
	v_add_nc_u32_e32 v0, 0x100, v0
	v_lshlrev_b64 v[1:2], 1, v[1:2]
	s_delay_alu instid0(VALU_DEP_3) | instskip(SKIP_1) | instid1(VALU_DEP_2)
	s_or_b32 vcc_lo, vcc_lo, s0
	v_cndmask_b32_e32 v5, s7, v5, vcc_lo
	v_add_co_u32 v1, vcc_lo, s8, v1
	s_delay_alu instid0(VALU_DEP_3) | instskip(SKIP_2) | instid1(SALU_CYCLE_1)
	v_add_co_ci_u32_e32 v2, vcc_lo, s9, v2, vcc_lo
	global_store_b16 v[1:2], v5, off
	s_or_b32 exec_lo, exec_lo, s1
	s_mov_b32 s1, exec_lo
	v_cmpx_gt_i32_e64 s14, v0
	s_cbranch_execz .LBB405_22
.LBB405_33:
	v_dual_mov_b32 v2, 0 :: v_dual_add_nc_u32 v1, s12, v0
	s_waitcnt vmcnt(0)
	v_cmp_u_f16_e32 vcc_lo, v9, v9
	v_cmp_lt_f16_e64 s0, s7, v9
	v_add_nc_u32_e32 v0, 0x100, v0
	v_lshlrev_b64 v[1:2], 1, v[1:2]
	s_delay_alu instid0(VALU_DEP_3) | instskip(SKIP_1) | instid1(VALU_DEP_2)
	s_or_b32 vcc_lo, vcc_lo, s0
	v_cndmask_b32_e32 v5, s7, v9, vcc_lo
	v_add_co_u32 v1, vcc_lo, s8, v1
	s_delay_alu instid0(VALU_DEP_3) | instskip(SKIP_2) | instid1(SALU_CYCLE_1)
	v_add_co_ci_u32_e32 v2, vcc_lo, s9, v2, vcc_lo
	global_store_b16 v[1:2], v5, off
	s_or_b32 exec_lo, exec_lo, s1
	s_mov_b32 s1, exec_lo
	v_cmpx_gt_i32_e64 s14, v0
	s_cbranch_execz .LBB405_23
.LBB405_34:
	v_dual_mov_b32 v2, 0 :: v_dual_add_nc_u32 v1, s12, v0
	s_waitcnt vmcnt(0)
	v_cmp_u_f16_e32 vcc_lo, v4, v4
	v_cmp_lt_f16_e64 s0, s7, v4
	v_add_nc_u32_e32 v0, 0x100, v0
	v_lshlrev_b64 v[1:2], 1, v[1:2]
	s_delay_alu instid0(VALU_DEP_3) | instskip(SKIP_1) | instid1(VALU_DEP_2)
	s_or_b32 vcc_lo, vcc_lo, s0
	v_cndmask_b32_e32 v4, s7, v4, vcc_lo
	v_add_co_u32 v1, vcc_lo, s8, v1
	s_delay_alu instid0(VALU_DEP_3) | instskip(SKIP_2) | instid1(SALU_CYCLE_1)
	v_add_co_ci_u32_e32 v2, vcc_lo, s9, v2, vcc_lo
	global_store_b16 v[1:2], v4, off
	s_or_b32 exec_lo, exec_lo, s1
	s_mov_b32 s1, exec_lo
	v_cmpx_gt_i32_e64 s14, v0
	s_cbranch_execz .LBB405_24
.LBB405_35:
	v_dual_mov_b32 v2, 0 :: v_dual_add_nc_u32 v1, s12, v0
	s_waitcnt vmcnt(0)
	v_cmp_u_f16_e32 vcc_lo, v7, v7
	v_cmp_lt_f16_e64 s0, s7, v7
	v_add_nc_u32_e32 v0, 0x100, v0
	v_lshlrev_b64 v[1:2], 1, v[1:2]
	s_delay_alu instid0(VALU_DEP_3) | instskip(SKIP_1) | instid1(VALU_DEP_2)
	s_or_b32 vcc_lo, vcc_lo, s0
	v_cndmask_b32_e32 v4, s7, v7, vcc_lo
	v_add_co_u32 v1, vcc_lo, s8, v1
	s_delay_alu instid0(VALU_DEP_3) | instskip(SKIP_2) | instid1(SALU_CYCLE_1)
	v_add_co_ci_u32_e32 v2, vcc_lo, s9, v2, vcc_lo
	global_store_b16 v[1:2], v4, off
	s_or_b32 exec_lo, exec_lo, s1
	s_mov_b32 s0, exec_lo
	v_cmpx_gt_i32_e64 s14, v0
	s_cbranch_execnz .LBB405_25
	s_branch .LBB405_26
	.section	.rodata,"a",@progbits
	.p2align	6, 0x0
	.amdhsa_kernel _ZN2at6native29vectorized_elementwise_kernelILi2EZZZNS0_21clamp_min_kernel_cudaERNS_18TensorIteratorBaseERKN3c106ScalarEENKUlvE_clEvENKUlvE6_clEvEUlNS4_4HalfEE_St5arrayIPcLm2EEEEviT0_T1_
		.amdhsa_group_segment_fixed_size 0
		.amdhsa_private_segment_fixed_size 0
		.amdhsa_kernarg_size 24
		.amdhsa_user_sgpr_count 15
		.amdhsa_user_sgpr_dispatch_ptr 0
		.amdhsa_user_sgpr_queue_ptr 0
		.amdhsa_user_sgpr_kernarg_segment_ptr 1
		.amdhsa_user_sgpr_dispatch_id 0
		.amdhsa_user_sgpr_private_segment_size 0
		.amdhsa_wavefront_size32 1
		.amdhsa_uses_dynamic_stack 0
		.amdhsa_enable_private_segment 0
		.amdhsa_system_sgpr_workgroup_id_x 1
		.amdhsa_system_sgpr_workgroup_id_y 0
		.amdhsa_system_sgpr_workgroup_id_z 0
		.amdhsa_system_sgpr_workgroup_info 0
		.amdhsa_system_vgpr_workitem_id 0
		.amdhsa_next_free_vgpr 14
		.amdhsa_next_free_sgpr 18
		.amdhsa_reserve_vcc 1
		.amdhsa_float_round_mode_32 0
		.amdhsa_float_round_mode_16_64 0
		.amdhsa_float_denorm_mode_32 3
		.amdhsa_float_denorm_mode_16_64 3
		.amdhsa_dx10_clamp 1
		.amdhsa_ieee_mode 1
		.amdhsa_fp16_overflow 0
		.amdhsa_workgroup_processor_mode 1
		.amdhsa_memory_ordered 1
		.amdhsa_forward_progress 0
		.amdhsa_shared_vgpr_count 0
		.amdhsa_exception_fp_ieee_invalid_op 0
		.amdhsa_exception_fp_denorm_src 0
		.amdhsa_exception_fp_ieee_div_zero 0
		.amdhsa_exception_fp_ieee_overflow 0
		.amdhsa_exception_fp_ieee_underflow 0
		.amdhsa_exception_fp_ieee_inexact 0
		.amdhsa_exception_int_div_zero 0
	.end_amdhsa_kernel
	.section	.text._ZN2at6native29vectorized_elementwise_kernelILi2EZZZNS0_21clamp_min_kernel_cudaERNS_18TensorIteratorBaseERKN3c106ScalarEENKUlvE_clEvENKUlvE6_clEvEUlNS4_4HalfEE_St5arrayIPcLm2EEEEviT0_T1_,"axG",@progbits,_ZN2at6native29vectorized_elementwise_kernelILi2EZZZNS0_21clamp_min_kernel_cudaERNS_18TensorIteratorBaseERKN3c106ScalarEENKUlvE_clEvENKUlvE6_clEvEUlNS4_4HalfEE_St5arrayIPcLm2EEEEviT0_T1_,comdat
.Lfunc_end405:
	.size	_ZN2at6native29vectorized_elementwise_kernelILi2EZZZNS0_21clamp_min_kernel_cudaERNS_18TensorIteratorBaseERKN3c106ScalarEENKUlvE_clEvENKUlvE6_clEvEUlNS4_4HalfEE_St5arrayIPcLm2EEEEviT0_T1_, .Lfunc_end405-_ZN2at6native29vectorized_elementwise_kernelILi2EZZZNS0_21clamp_min_kernel_cudaERNS_18TensorIteratorBaseERKN3c106ScalarEENKUlvE_clEvENKUlvE6_clEvEUlNS4_4HalfEE_St5arrayIPcLm2EEEEviT0_T1_
                                        ; -- End function
	.section	.AMDGPU.csdata,"",@progbits
; Kernel info:
; codeLenInByte = 2080
; NumSgprs: 20
; NumVgprs: 14
; ScratchSize: 0
; MemoryBound: 0
; FloatMode: 240
; IeeeMode: 1
; LDSByteSize: 0 bytes/workgroup (compile time only)
; SGPRBlocks: 2
; VGPRBlocks: 1
; NumSGPRsForWavesPerEU: 20
; NumVGPRsForWavesPerEU: 14
; Occupancy: 16
; WaveLimiterHint : 1
; COMPUTE_PGM_RSRC2:SCRATCH_EN: 0
; COMPUTE_PGM_RSRC2:USER_SGPR: 15
; COMPUTE_PGM_RSRC2:TRAP_HANDLER: 0
; COMPUTE_PGM_RSRC2:TGID_X_EN: 1
; COMPUTE_PGM_RSRC2:TGID_Y_EN: 0
; COMPUTE_PGM_RSRC2:TGID_Z_EN: 0
; COMPUTE_PGM_RSRC2:TIDIG_COMP_CNT: 0
	.section	.text._ZN2at6native27unrolled_elementwise_kernelIZZZNS0_21clamp_min_kernel_cudaERNS_18TensorIteratorBaseERKN3c106ScalarEENKUlvE_clEvENKUlvE6_clEvEUlNS4_4HalfEE_St5arrayIPcLm2EELi4E23TrivialOffsetCalculatorILi1EjESG_NS0_6memory15LoadWithoutCastENSH_16StoreWithoutCastEEEviT_T0_T2_T3_T4_T5_,"axG",@progbits,_ZN2at6native27unrolled_elementwise_kernelIZZZNS0_21clamp_min_kernel_cudaERNS_18TensorIteratorBaseERKN3c106ScalarEENKUlvE_clEvENKUlvE6_clEvEUlNS4_4HalfEE_St5arrayIPcLm2EELi4E23TrivialOffsetCalculatorILi1EjESG_NS0_6memory15LoadWithoutCastENSH_16StoreWithoutCastEEEviT_T0_T2_T3_T4_T5_,comdat
	.globl	_ZN2at6native27unrolled_elementwise_kernelIZZZNS0_21clamp_min_kernel_cudaERNS_18TensorIteratorBaseERKN3c106ScalarEENKUlvE_clEvENKUlvE6_clEvEUlNS4_4HalfEE_St5arrayIPcLm2EELi4E23TrivialOffsetCalculatorILi1EjESG_NS0_6memory15LoadWithoutCastENSH_16StoreWithoutCastEEEviT_T0_T2_T3_T4_T5_ ; -- Begin function _ZN2at6native27unrolled_elementwise_kernelIZZZNS0_21clamp_min_kernel_cudaERNS_18TensorIteratorBaseERKN3c106ScalarEENKUlvE_clEvENKUlvE6_clEvEUlNS4_4HalfEE_St5arrayIPcLm2EELi4E23TrivialOffsetCalculatorILi1EjESG_NS0_6memory15LoadWithoutCastENSH_16StoreWithoutCastEEEviT_T0_T2_T3_T4_T5_
	.p2align	8
	.type	_ZN2at6native27unrolled_elementwise_kernelIZZZNS0_21clamp_min_kernel_cudaERNS_18TensorIteratorBaseERKN3c106ScalarEENKUlvE_clEvENKUlvE6_clEvEUlNS4_4HalfEE_St5arrayIPcLm2EELi4E23TrivialOffsetCalculatorILi1EjESG_NS0_6memory15LoadWithoutCastENSH_16StoreWithoutCastEEEviT_T0_T2_T3_T4_T5_,@function
_ZN2at6native27unrolled_elementwise_kernelIZZZNS0_21clamp_min_kernel_cudaERNS_18TensorIteratorBaseERKN3c106ScalarEENKUlvE_clEvENKUlvE6_clEvEUlNS4_4HalfEE_St5arrayIPcLm2EELi4E23TrivialOffsetCalculatorILi1EjESG_NS0_6memory15LoadWithoutCastENSH_16StoreWithoutCastEEEviT_T0_T2_T3_T4_T5_: ; @_ZN2at6native27unrolled_elementwise_kernelIZZZNS0_21clamp_min_kernel_cudaERNS_18TensorIteratorBaseERKN3c106ScalarEENKUlvE_clEvENKUlvE6_clEvEUlNS4_4HalfEE_St5arrayIPcLm2EELi4E23TrivialOffsetCalculatorILi1EjESG_NS0_6memory15LoadWithoutCastENSH_16StoreWithoutCastEEEviT_T0_T2_T3_T4_T5_
; %bb.0:
	s_clause 0x1
	s_load_b64 s[2:3], s[0:1], 0x0
	s_load_b128 s[4:7], s[0:1], 0x8
	s_lshl_b32 s8, s15, 10
	v_dual_mov_b32 v4, 0 :: v_dual_mov_b32 v7, 0
	v_or_b32_e32 v1, s8, v0
	v_or_b32_e32 v5, 0x100, v0
	v_mov_b32_e32 v2, v0
	s_waitcnt lgkmcnt(0)
	s_sub_i32 s2, s2, s8
	s_delay_alu instid0(SALU_CYCLE_1)
	v_cmp_gt_i32_e32 vcc_lo, s2, v0
	s_and_saveexec_b32 s1, vcc_lo
	s_cbranch_execz .LBB406_2
; %bb.1:
	v_mov_b32_e32 v2, 0
	s_delay_alu instid0(VALU_DEP_1) | instskip(NEXT) | instid1(VALU_DEP_1)
	v_lshlrev_b64 v[2:3], 1, v[1:2]
	v_add_co_u32 v2, s0, s6, v2
	s_delay_alu instid0(VALU_DEP_1)
	v_add_co_ci_u32_e64 v3, s0, s7, v3, s0
	global_load_u16 v7, v[2:3], off
	v_or_b32_e32 v2, 0x100, v0
.LBB406_2:
	s_or_b32 exec_lo, exec_lo, s1
	s_delay_alu instid0(SALU_CYCLE_1) | instskip(NEXT) | instid1(VALU_DEP_1)
	s_mov_b32 s1, exec_lo
	v_cmpx_gt_i32_e64 s2, v2
	s_cbranch_execz .LBB406_4
; %bb.3:
	v_dual_mov_b32 v4, 0 :: v_dual_add_nc_u32 v3, s8, v2
	v_add_nc_u32_e32 v2, 0x100, v2
	s_delay_alu instid0(VALU_DEP_2) | instskip(NEXT) | instid1(VALU_DEP_1)
	v_lshlrev_b64 v[3:4], 1, v[3:4]
	v_add_co_u32 v3, s0, s6, v3
	s_delay_alu instid0(VALU_DEP_1)
	v_add_co_ci_u32_e64 v4, s0, s7, v4, s0
	global_load_u16 v4, v[3:4], off
.LBB406_4:
	s_or_b32 exec_lo, exec_lo, s1
	v_dual_mov_b32 v3, 0 :: v_dual_mov_b32 v6, 0
	s_mov_b32 s1, exec_lo
	v_cmpx_gt_i32_e64 s2, v2
	s_cbranch_execnz .LBB406_11
; %bb.5:
	s_or_b32 exec_lo, exec_lo, s1
	s_delay_alu instid0(SALU_CYCLE_1)
	s_mov_b32 s1, exec_lo
	v_cmpx_gt_i32_e64 s2, v2
	s_cbranch_execnz .LBB406_12
.LBB406_6:
	s_or_b32 exec_lo, exec_lo, s1
	s_and_saveexec_b32 s6, vcc_lo
	s_cbranch_execnz .LBB406_13
.LBB406_7:
	s_or_b32 exec_lo, exec_lo, s6
	s_delay_alu instid0(SALU_CYCLE_1)
	s_mov_b32 s1, exec_lo
	v_cmpx_gt_i32_e64 s2, v0
	s_cbranch_execnz .LBB406_14
.LBB406_8:
	s_or_b32 exec_lo, exec_lo, s1
	s_delay_alu instid0(SALU_CYCLE_1)
	s_mov_b32 s1, exec_lo
	v_cmpx_gt_i32_e64 s2, v0
	s_cbranch_execnz .LBB406_15
.LBB406_9:
	s_or_b32 exec_lo, exec_lo, s1
	s_delay_alu instid0(SALU_CYCLE_1)
	s_mov_b32 s0, exec_lo
	v_cmpx_gt_i32_e64 s2, v0
	s_cbranch_execnz .LBB406_16
.LBB406_10:
	s_nop 0
	s_sendmsg sendmsg(MSG_DEALLOC_VGPRS)
	s_endpgm
.LBB406_11:
	v_dual_mov_b32 v9, 0 :: v_dual_add_nc_u32 v8, s8, v2
	v_add_nc_u32_e32 v2, 0x100, v2
	s_delay_alu instid0(VALU_DEP_2) | instskip(NEXT) | instid1(VALU_DEP_1)
	v_lshlrev_b64 v[8:9], 1, v[8:9]
	v_add_co_u32 v8, s0, s6, v8
	s_delay_alu instid0(VALU_DEP_1) | instskip(SKIP_2) | instid1(SALU_CYCLE_1)
	v_add_co_ci_u32_e64 v9, s0, s7, v9, s0
	global_load_u16 v6, v[8:9], off
	s_or_b32 exec_lo, exec_lo, s1
	s_mov_b32 s1, exec_lo
	v_cmpx_gt_i32_e64 s2, v2
	s_cbranch_execz .LBB406_6
.LBB406_12:
	v_dual_mov_b32 v3, 0 :: v_dual_add_nc_u32 v2, s8, v2
	s_delay_alu instid0(VALU_DEP_1) | instskip(NEXT) | instid1(VALU_DEP_1)
	v_lshlrev_b64 v[2:3], 1, v[2:3]
	v_add_co_u32 v2, s0, s6, v2
	s_delay_alu instid0(VALU_DEP_1)
	v_add_co_ci_u32_e64 v3, s0, s7, v3, s0
	global_load_u16 v3, v[2:3], off
	s_or_b32 exec_lo, exec_lo, s1
	s_and_saveexec_b32 s6, vcc_lo
	s_cbranch_execz .LBB406_7
.LBB406_13:
	s_waitcnt vmcnt(0)
	v_cmp_u_f16_e32 vcc_lo, v7, v7
	v_cmp_lt_f16_e64 s0, s3, v7
	s_delay_alu instid0(VALU_DEP_1) | instskip(SKIP_1) | instid1(VALU_DEP_1)
	s_or_b32 vcc_lo, vcc_lo, s0
	v_mov_b32_e32 v2, 0
	v_lshlrev_b64 v[0:1], 1, v[1:2]
	s_delay_alu instid0(VALU_DEP_1) | instskip(NEXT) | instid1(VALU_DEP_1)
	v_add_co_u32 v8, s1, s4, v0
	v_add_co_ci_u32_e64 v9, s1, s5, v1, s1
	v_dual_cndmask_b32 v1, s3, v7 :: v_dual_mov_b32 v0, v5
	global_store_b16 v[8:9], v1, off
	s_or_b32 exec_lo, exec_lo, s6
	s_delay_alu instid0(SALU_CYCLE_1)
	s_mov_b32 s1, exec_lo
	v_cmpx_gt_i32_e64 s2, v0
	s_cbranch_execz .LBB406_8
.LBB406_14:
	v_dual_mov_b32 v2, 0 :: v_dual_add_nc_u32 v1, s8, v0
	s_waitcnt vmcnt(0)
	v_cmp_u_f16_e32 vcc_lo, v4, v4
	v_cmp_lt_f16_e64 s0, s3, v4
	v_add_nc_u32_e32 v0, 0x100, v0
	v_lshlrev_b64 v[1:2], 1, v[1:2]
	s_delay_alu instid0(VALU_DEP_3) | instskip(SKIP_1) | instid1(VALU_DEP_2)
	s_or_b32 vcc_lo, vcc_lo, s0
	v_cndmask_b32_e32 v4, s3, v4, vcc_lo
	v_add_co_u32 v1, vcc_lo, s4, v1
	s_delay_alu instid0(VALU_DEP_3) | instskip(SKIP_2) | instid1(SALU_CYCLE_1)
	v_add_co_ci_u32_e32 v2, vcc_lo, s5, v2, vcc_lo
	global_store_b16 v[1:2], v4, off
	s_or_b32 exec_lo, exec_lo, s1
	s_mov_b32 s1, exec_lo
	v_cmpx_gt_i32_e64 s2, v0
	s_cbranch_execz .LBB406_9
.LBB406_15:
	v_dual_mov_b32 v2, 0 :: v_dual_add_nc_u32 v1, s8, v0
	s_waitcnt vmcnt(0)
	v_cmp_u_f16_e32 vcc_lo, v6, v6
	v_cmp_lt_f16_e64 s0, s3, v6
	v_add_nc_u32_e32 v0, 0x100, v0
	v_lshlrev_b64 v[1:2], 1, v[1:2]
	s_delay_alu instid0(VALU_DEP_3) | instskip(SKIP_1) | instid1(VALU_DEP_2)
	s_or_b32 vcc_lo, vcc_lo, s0
	v_cndmask_b32_e32 v4, s3, v6, vcc_lo
	v_add_co_u32 v1, vcc_lo, s4, v1
	s_delay_alu instid0(VALU_DEP_3) | instskip(SKIP_2) | instid1(SALU_CYCLE_1)
	v_add_co_ci_u32_e32 v2, vcc_lo, s5, v2, vcc_lo
	global_store_b16 v[1:2], v4, off
	s_or_b32 exec_lo, exec_lo, s1
	s_mov_b32 s0, exec_lo
	v_cmpx_gt_i32_e64 s2, v0
	s_cbranch_execz .LBB406_10
.LBB406_16:
	v_dual_mov_b32 v1, 0 :: v_dual_add_nc_u32 v0, s8, v0
	s_waitcnt vmcnt(0)
	v_cmp_u_f16_e32 vcc_lo, v3, v3
	v_cmp_lt_f16_e64 s0, s3, v3
	s_delay_alu instid0(VALU_DEP_3) | instskip(NEXT) | instid1(VALU_DEP_2)
	v_lshlrev_b64 v[0:1], 1, v[0:1]
	s_or_b32 vcc_lo, vcc_lo, s0
	v_cndmask_b32_e32 v2, s3, v3, vcc_lo
	s_delay_alu instid0(VALU_DEP_2) | instskip(NEXT) | instid1(VALU_DEP_3)
	v_add_co_u32 v0, vcc_lo, s4, v0
	v_add_co_ci_u32_e32 v1, vcc_lo, s5, v1, vcc_lo
	global_store_b16 v[0:1], v2, off
	s_nop 0
	s_sendmsg sendmsg(MSG_DEALLOC_VGPRS)
	s_endpgm
	.section	.rodata,"a",@progbits
	.p2align	6, 0x0
	.amdhsa_kernel _ZN2at6native27unrolled_elementwise_kernelIZZZNS0_21clamp_min_kernel_cudaERNS_18TensorIteratorBaseERKN3c106ScalarEENKUlvE_clEvENKUlvE6_clEvEUlNS4_4HalfEE_St5arrayIPcLm2EELi4E23TrivialOffsetCalculatorILi1EjESG_NS0_6memory15LoadWithoutCastENSH_16StoreWithoutCastEEEviT_T0_T2_T3_T4_T5_
		.amdhsa_group_segment_fixed_size 0
		.amdhsa_private_segment_fixed_size 0
		.amdhsa_kernarg_size 28
		.amdhsa_user_sgpr_count 15
		.amdhsa_user_sgpr_dispatch_ptr 0
		.amdhsa_user_sgpr_queue_ptr 0
		.amdhsa_user_sgpr_kernarg_segment_ptr 1
		.amdhsa_user_sgpr_dispatch_id 0
		.amdhsa_user_sgpr_private_segment_size 0
		.amdhsa_wavefront_size32 1
		.amdhsa_uses_dynamic_stack 0
		.amdhsa_enable_private_segment 0
		.amdhsa_system_sgpr_workgroup_id_x 1
		.amdhsa_system_sgpr_workgroup_id_y 0
		.amdhsa_system_sgpr_workgroup_id_z 0
		.amdhsa_system_sgpr_workgroup_info 0
		.amdhsa_system_vgpr_workitem_id 0
		.amdhsa_next_free_vgpr 10
		.amdhsa_next_free_sgpr 16
		.amdhsa_reserve_vcc 1
		.amdhsa_float_round_mode_32 0
		.amdhsa_float_round_mode_16_64 0
		.amdhsa_float_denorm_mode_32 3
		.amdhsa_float_denorm_mode_16_64 3
		.amdhsa_dx10_clamp 1
		.amdhsa_ieee_mode 1
		.amdhsa_fp16_overflow 0
		.amdhsa_workgroup_processor_mode 1
		.amdhsa_memory_ordered 1
		.amdhsa_forward_progress 0
		.amdhsa_shared_vgpr_count 0
		.amdhsa_exception_fp_ieee_invalid_op 0
		.amdhsa_exception_fp_denorm_src 0
		.amdhsa_exception_fp_ieee_div_zero 0
		.amdhsa_exception_fp_ieee_overflow 0
		.amdhsa_exception_fp_ieee_underflow 0
		.amdhsa_exception_fp_ieee_inexact 0
		.amdhsa_exception_int_div_zero 0
	.end_amdhsa_kernel
	.section	.text._ZN2at6native27unrolled_elementwise_kernelIZZZNS0_21clamp_min_kernel_cudaERNS_18TensorIteratorBaseERKN3c106ScalarEENKUlvE_clEvENKUlvE6_clEvEUlNS4_4HalfEE_St5arrayIPcLm2EELi4E23TrivialOffsetCalculatorILi1EjESG_NS0_6memory15LoadWithoutCastENSH_16StoreWithoutCastEEEviT_T0_T2_T3_T4_T5_,"axG",@progbits,_ZN2at6native27unrolled_elementwise_kernelIZZZNS0_21clamp_min_kernel_cudaERNS_18TensorIteratorBaseERKN3c106ScalarEENKUlvE_clEvENKUlvE6_clEvEUlNS4_4HalfEE_St5arrayIPcLm2EELi4E23TrivialOffsetCalculatorILi1EjESG_NS0_6memory15LoadWithoutCastENSH_16StoreWithoutCastEEEviT_T0_T2_T3_T4_T5_,comdat
.Lfunc_end406:
	.size	_ZN2at6native27unrolled_elementwise_kernelIZZZNS0_21clamp_min_kernel_cudaERNS_18TensorIteratorBaseERKN3c106ScalarEENKUlvE_clEvENKUlvE6_clEvEUlNS4_4HalfEE_St5arrayIPcLm2EELi4E23TrivialOffsetCalculatorILi1EjESG_NS0_6memory15LoadWithoutCastENSH_16StoreWithoutCastEEEviT_T0_T2_T3_T4_T5_, .Lfunc_end406-_ZN2at6native27unrolled_elementwise_kernelIZZZNS0_21clamp_min_kernel_cudaERNS_18TensorIteratorBaseERKN3c106ScalarEENKUlvE_clEvENKUlvE6_clEvEUlNS4_4HalfEE_St5arrayIPcLm2EELi4E23TrivialOffsetCalculatorILi1EjESG_NS0_6memory15LoadWithoutCastENSH_16StoreWithoutCastEEEviT_T0_T2_T3_T4_T5_
                                        ; -- End function
	.section	.AMDGPU.csdata,"",@progbits
; Kernel info:
; codeLenInByte = 856
; NumSgprs: 18
; NumVgprs: 10
; ScratchSize: 0
; MemoryBound: 0
; FloatMode: 240
; IeeeMode: 1
; LDSByteSize: 0 bytes/workgroup (compile time only)
; SGPRBlocks: 2
; VGPRBlocks: 1
; NumSGPRsForWavesPerEU: 18
; NumVGPRsForWavesPerEU: 10
; Occupancy: 16
; WaveLimiterHint : 0
; COMPUTE_PGM_RSRC2:SCRATCH_EN: 0
; COMPUTE_PGM_RSRC2:USER_SGPR: 15
; COMPUTE_PGM_RSRC2:TRAP_HANDLER: 0
; COMPUTE_PGM_RSRC2:TGID_X_EN: 1
; COMPUTE_PGM_RSRC2:TGID_Y_EN: 0
; COMPUTE_PGM_RSRC2:TGID_Z_EN: 0
; COMPUTE_PGM_RSRC2:TIDIG_COMP_CNT: 0
	.section	.text._ZN2at6native32elementwise_kernel_manual_unrollILi128ELi8EZNS0_22gpu_kernel_impl_nocastIZZZNS0_21clamp_min_kernel_cudaERNS_18TensorIteratorBaseERKN3c106ScalarEENKUlvE_clEvENKUlvE6_clEvEUlNS5_4HalfEE_EEvS4_RKT_EUlibE_EEviT1_,"axG",@progbits,_ZN2at6native32elementwise_kernel_manual_unrollILi128ELi8EZNS0_22gpu_kernel_impl_nocastIZZZNS0_21clamp_min_kernel_cudaERNS_18TensorIteratorBaseERKN3c106ScalarEENKUlvE_clEvENKUlvE6_clEvEUlNS5_4HalfEE_EEvS4_RKT_EUlibE_EEviT1_,comdat
	.globl	_ZN2at6native32elementwise_kernel_manual_unrollILi128ELi8EZNS0_22gpu_kernel_impl_nocastIZZZNS0_21clamp_min_kernel_cudaERNS_18TensorIteratorBaseERKN3c106ScalarEENKUlvE_clEvENKUlvE6_clEvEUlNS5_4HalfEE_EEvS4_RKT_EUlibE_EEviT1_ ; -- Begin function _ZN2at6native32elementwise_kernel_manual_unrollILi128ELi8EZNS0_22gpu_kernel_impl_nocastIZZZNS0_21clamp_min_kernel_cudaERNS_18TensorIteratorBaseERKN3c106ScalarEENKUlvE_clEvENKUlvE6_clEvEUlNS5_4HalfEE_EEvS4_RKT_EUlibE_EEviT1_
	.p2align	8
	.type	_ZN2at6native32elementwise_kernel_manual_unrollILi128ELi8EZNS0_22gpu_kernel_impl_nocastIZZZNS0_21clamp_min_kernel_cudaERNS_18TensorIteratorBaseERKN3c106ScalarEENKUlvE_clEvENKUlvE6_clEvEUlNS5_4HalfEE_EEvS4_RKT_EUlibE_EEviT1_,@function
_ZN2at6native32elementwise_kernel_manual_unrollILi128ELi8EZNS0_22gpu_kernel_impl_nocastIZZZNS0_21clamp_min_kernel_cudaERNS_18TensorIteratorBaseERKN3c106ScalarEENKUlvE_clEvENKUlvE6_clEvEUlNS5_4HalfEE_EEvS4_RKT_EUlibE_EEviT1_: ; @_ZN2at6native32elementwise_kernel_manual_unrollILi128ELi8EZNS0_22gpu_kernel_impl_nocastIZZZNS0_21clamp_min_kernel_cudaERNS_18TensorIteratorBaseERKN3c106ScalarEENKUlvE_clEvENKUlvE6_clEvEUlNS5_4HalfEE_EEvS4_RKT_EUlibE_EEviT1_
; %bb.0:
	s_clause 0x1
	s_load_b32 s22, s[0:1], 0x8
	s_load_b32 s28, s[0:1], 0x0
	v_lshl_or_b32 v12, s15, 10, v0
	s_or_b32 s0, s0, 8
	s_mov_b32 s2, exec_lo
	s_delay_alu instid0(VALU_DEP_1) | instskip(SKIP_2) | instid1(SALU_CYCLE_1)
	v_or_b32_e32 v16, 0x380, v12
	s_waitcnt lgkmcnt(0)
	s_add_i32 s23, s22, -1
	s_cmp_gt_u32 s23, 1
	s_cselect_b32 s24, -1, 0
	v_cmpx_le_i32_e64 s28, v16
	s_xor_b32 s25, exec_lo, s2
	s_cbranch_execz .LBB407_7
; %bb.1:
	s_clause 0x4
	s_load_b128 s[12:15], s[0:1], 0x4
	s_load_b64 s[16:17], s[0:1], 0x14
	s_load_b128 s[8:11], s[0:1], 0xc4
	s_load_b128 s[4:7], s[0:1], 0x148
	s_load_b32 s26, s[0:1], 0x158
	s_cmp_lg_u32 s22, 0
	s_mov_b32 s31, exec_lo
	s_cselect_b32 s30, -1, 0
	s_add_u32 s18, s0, 0xc4
	s_addc_u32 s19, s1, 0
	s_min_u32 s29, s23, 15
	s_cmp_gt_u32 s22, 1
	s_cselect_b32 s27, -1, 0
	v_cmpx_gt_i32_e64 s28, v12
	s_cbranch_execz .LBB407_14
; %bb.2:
	s_and_not1_b32 vcc_lo, exec_lo, s24
	s_cbranch_vccnz .LBB407_21
; %bb.3:
	v_dual_mov_b32 v0, 0 :: v_dual_mov_b32 v1, 0
	s_and_not1_b32 vcc_lo, exec_lo, s30
	s_mov_b32 s33, 0
	s_cbranch_vccnz .LBB407_125
; %bb.4:
	v_mov_b32_e32 v0, 0
	s_add_i32 s35, s29, 1
	s_cmp_eq_u32 s23, 2
	s_mov_b32 s34, 0
	s_cbranch_scc1 .LBB407_121
; %bb.5:
	v_dual_mov_b32 v1, 0 :: v_dual_mov_b32 v0, 0
	v_mov_b32_e32 v2, v12
	s_and_b32 s34, s35, 28
	s_mov_b32 s36, 0
	s_mov_b64 s[2:3], s[18:19]
	s_mov_b64 s[20:21], s[0:1]
.LBB407_6:                              ; =>This Inner Loop Header: Depth=1
	s_clause 0x1
	s_load_b256 s[40:47], s[20:21], 0x4
	s_load_b128 s[56:59], s[20:21], 0x24
	s_load_b256 s[48:55], s[2:3], 0x0
	s_add_u32 s20, s20, 48
	s_addc_u32 s21, s21, 0
	s_add_i32 s36, s36, 4
	s_add_u32 s2, s2, 32
	s_addc_u32 s3, s3, 0
	s_cmp_lg_u32 s34, s36
	s_waitcnt lgkmcnt(0)
	v_mul_hi_u32 v3, s41, v2
	s_delay_alu instid0(VALU_DEP_1) | instskip(NEXT) | instid1(VALU_DEP_1)
	v_add_nc_u32_e32 v3, v2, v3
	v_lshrrev_b32_e32 v3, s42, v3
	s_delay_alu instid0(VALU_DEP_1) | instskip(SKIP_1) | instid1(VALU_DEP_2)
	v_mul_hi_u32 v4, s44, v3
	v_mul_lo_u32 v6, v3, s40
	v_add_nc_u32_e32 v4, v3, v4
	s_delay_alu instid0(VALU_DEP_2) | instskip(NEXT) | instid1(VALU_DEP_2)
	v_sub_nc_u32_e32 v2, v2, v6
	v_lshrrev_b32_e32 v4, s45, v4
	s_delay_alu instid0(VALU_DEP_2) | instskip(SKIP_1) | instid1(VALU_DEP_3)
	v_mul_lo_u32 v6, v2, s48
	v_mul_lo_u32 v8, v2, s49
	v_mul_hi_u32 v5, s47, v4
	s_delay_alu instid0(VALU_DEP_1) | instskip(NEXT) | instid1(VALU_DEP_1)
	v_add_nc_u32_e32 v5, v4, v5
	v_lshrrev_b32_e32 v5, s56, v5
	s_delay_alu instid0(VALU_DEP_1) | instskip(SKIP_1) | instid1(VALU_DEP_2)
	v_mul_hi_u32 v7, s58, v5
	v_mul_lo_u32 v9, v5, s46
	v_add_nc_u32_e32 v2, v5, v7
	v_mul_lo_u32 v7, v4, s43
	s_delay_alu instid0(VALU_DEP_3) | instskip(NEXT) | instid1(VALU_DEP_3)
	v_sub_nc_u32_e32 v4, v4, v9
	v_lshrrev_b32_e32 v2, s59, v2
	s_delay_alu instid0(VALU_DEP_2) | instskip(SKIP_2) | instid1(VALU_DEP_4)
	v_mul_lo_u32 v9, v4, s52
	v_mul_lo_u32 v4, v4, s53
	v_sub_nc_u32_e32 v3, v3, v7
	v_mul_lo_u32 v10, v2, s57
	s_delay_alu instid0(VALU_DEP_2) | instskip(SKIP_1) | instid1(VALU_DEP_3)
	v_mul_lo_u32 v7, v3, s50
	v_mul_lo_u32 v3, v3, s51
	v_sub_nc_u32_e32 v5, v5, v10
	s_delay_alu instid0(VALU_DEP_3) | instskip(NEXT) | instid1(VALU_DEP_2)
	v_add3_u32 v0, v6, v0, v7
	v_mul_lo_u32 v10, v5, s54
	v_mul_lo_u32 v5, v5, s55
	v_add3_u32 v1, v8, v1, v3
	s_delay_alu instid0(VALU_DEP_3) | instskip(NEXT) | instid1(VALU_DEP_2)
	v_add3_u32 v0, v9, v0, v10
	v_add3_u32 v1, v4, v1, v5
	s_cbranch_scc1 .LBB407_6
	s_branch .LBB407_122
.LBB407_7:
	s_and_not1_saveexec_b32 s2, s25
	s_cbranch_execz .LBB407_206
.LBB407_8:
	v_cndmask_b32_e64 v14, 0, 1, s24
	s_and_not1_b32 vcc_lo, exec_lo, s24
	s_cbranch_vccnz .LBB407_20
; %bb.9:
	v_dual_mov_b32 v0, 0 :: v_dual_mov_b32 v1, 0
	s_cmp_lg_u32 s22, 0
	s_waitcnt lgkmcnt(0)
	s_mov_b32 s6, 0
	s_cbranch_scc0 .LBB407_26
; %bb.10:
	s_min_u32 s7, s23, 15
	v_mov_b32_e32 v0, 0
	s_add_i32 s7, s7, 1
	s_cmp_eq_u32 s23, 2
	s_mov_b32 s8, 0
	s_cbranch_scc1 .LBB407_23
; %bb.11:
	v_dual_mov_b32 v1, 0 :: v_dual_mov_b32 v0, 0
	v_mov_b32_e32 v2, v12
	s_add_u32 s2, s0, 0xc4
	s_addc_u32 s3, s1, 0
	s_and_b32 s8, s7, 28
	s_mov_b32 s9, 0
	s_mov_b64 s[4:5], s[0:1]
.LBB407_12:                             ; =>This Inner Loop Header: Depth=1
	s_clause 0x1
	s_load_b256 s[12:19], s[4:5], 0x4
	s_load_b128 s[36:39], s[4:5], 0x24
	s_load_b256 s[24:31], s[2:3], 0x0
	s_add_u32 s4, s4, 48
	s_addc_u32 s5, s5, 0
	s_add_i32 s9, s9, 4
	s_add_u32 s2, s2, 32
	s_addc_u32 s3, s3, 0
	s_cmp_lg_u32 s8, s9
	s_waitcnt lgkmcnt(0)
	v_mul_hi_u32 v3, s13, v2
	s_delay_alu instid0(VALU_DEP_1) | instskip(NEXT) | instid1(VALU_DEP_1)
	v_add_nc_u32_e32 v3, v2, v3
	v_lshrrev_b32_e32 v3, s14, v3
	s_delay_alu instid0(VALU_DEP_1) | instskip(SKIP_1) | instid1(VALU_DEP_2)
	v_mul_hi_u32 v4, s16, v3
	v_mul_lo_u32 v6, v3, s12
	v_add_nc_u32_e32 v4, v3, v4
	s_delay_alu instid0(VALU_DEP_2) | instskip(NEXT) | instid1(VALU_DEP_2)
	v_sub_nc_u32_e32 v2, v2, v6
	v_lshrrev_b32_e32 v4, s17, v4
	s_delay_alu instid0(VALU_DEP_2) | instskip(SKIP_1) | instid1(VALU_DEP_3)
	v_mul_lo_u32 v6, v2, s24
	v_mul_lo_u32 v8, v2, s25
	v_mul_hi_u32 v5, s19, v4
	s_delay_alu instid0(VALU_DEP_1) | instskip(NEXT) | instid1(VALU_DEP_1)
	v_add_nc_u32_e32 v5, v4, v5
	v_lshrrev_b32_e32 v5, s36, v5
	s_delay_alu instid0(VALU_DEP_1) | instskip(SKIP_1) | instid1(VALU_DEP_2)
	v_mul_hi_u32 v7, s38, v5
	v_mul_lo_u32 v9, v5, s18
	v_add_nc_u32_e32 v2, v5, v7
	v_mul_lo_u32 v7, v4, s15
	s_delay_alu instid0(VALU_DEP_3) | instskip(NEXT) | instid1(VALU_DEP_3)
	v_sub_nc_u32_e32 v4, v4, v9
	v_lshrrev_b32_e32 v2, s39, v2
	s_delay_alu instid0(VALU_DEP_2) | instskip(SKIP_2) | instid1(VALU_DEP_4)
	v_mul_lo_u32 v9, v4, s28
	v_mul_lo_u32 v4, v4, s29
	v_sub_nc_u32_e32 v3, v3, v7
	v_mul_lo_u32 v10, v2, s37
	s_delay_alu instid0(VALU_DEP_2) | instskip(SKIP_1) | instid1(VALU_DEP_3)
	v_mul_lo_u32 v7, v3, s26
	v_mul_lo_u32 v3, v3, s27
	v_sub_nc_u32_e32 v5, v5, v10
	s_delay_alu instid0(VALU_DEP_3) | instskip(NEXT) | instid1(VALU_DEP_2)
	v_add3_u32 v0, v6, v0, v7
	v_mul_lo_u32 v10, v5, s30
	v_mul_lo_u32 v5, v5, s31
	v_add3_u32 v1, v8, v1, v3
	s_delay_alu instid0(VALU_DEP_3) | instskip(NEXT) | instid1(VALU_DEP_2)
	v_add3_u32 v0, v9, v0, v10
	v_add3_u32 v1, v4, v1, v5
	s_cbranch_scc1 .LBB407_12
; %bb.13:
	s_and_b32 s7, s7, 3
	s_delay_alu instid0(SALU_CYCLE_1)
	s_cmp_eq_u32 s7, 0
	s_cbranch_scc0 .LBB407_24
	s_branch .LBB407_26
.LBB407_14:
	s_or_b32 exec_lo, exec_lo, s31
	s_delay_alu instid0(SALU_CYCLE_1)
	s_mov_b32 s31, exec_lo
	v_cmpx_gt_i32_e64 s28, v12
	s_cbranch_execz .LBB407_129
.LBB407_15:
	s_and_not1_b32 vcc_lo, exec_lo, s24
	s_cbranch_vccnz .LBB407_22
; %bb.16:
	v_dual_mov_b32 v0, 0 :: v_dual_mov_b32 v1, 0
	s_and_not1_b32 vcc_lo, exec_lo, s30
	s_mov_b32 s33, 0
	s_cbranch_vccnz .LBB407_140
; %bb.17:
	v_mov_b32_e32 v0, 0
	s_add_i32 s35, s29, 1
	s_cmp_eq_u32 s23, 2
	s_mov_b32 s34, 0
	s_cbranch_scc1 .LBB407_136
; %bb.18:
	v_dual_mov_b32 v1, 0 :: v_dual_mov_b32 v0, 0
	v_mov_b32_e32 v2, v12
	s_and_b32 s34, s35, 28
	s_mov_b32 s36, 0
	s_mov_b64 s[2:3], s[18:19]
	s_mov_b64 s[20:21], s[0:1]
.LBB407_19:                             ; =>This Inner Loop Header: Depth=1
	s_clause 0x1
	s_load_b256 s[40:47], s[20:21], 0x4
	s_load_b128 s[56:59], s[20:21], 0x24
	s_load_b256 s[48:55], s[2:3], 0x0
	s_add_u32 s20, s20, 48
	s_addc_u32 s21, s21, 0
	s_add_i32 s36, s36, 4
	s_add_u32 s2, s2, 32
	s_addc_u32 s3, s3, 0
	s_cmp_eq_u32 s34, s36
	s_waitcnt lgkmcnt(0)
	v_mul_hi_u32 v3, s41, v2
	s_delay_alu instid0(VALU_DEP_1) | instskip(NEXT) | instid1(VALU_DEP_1)
	v_add_nc_u32_e32 v3, v2, v3
	v_lshrrev_b32_e32 v3, s42, v3
	s_delay_alu instid0(VALU_DEP_1) | instskip(SKIP_1) | instid1(VALU_DEP_2)
	v_mul_hi_u32 v4, s44, v3
	v_mul_lo_u32 v6, v3, s40
	v_add_nc_u32_e32 v4, v3, v4
	s_delay_alu instid0(VALU_DEP_2) | instskip(NEXT) | instid1(VALU_DEP_2)
	v_sub_nc_u32_e32 v2, v2, v6
	v_lshrrev_b32_e32 v4, s45, v4
	s_delay_alu instid0(VALU_DEP_2) | instskip(SKIP_1) | instid1(VALU_DEP_3)
	v_mul_lo_u32 v6, v2, s48
	v_mul_lo_u32 v8, v2, s49
	v_mul_hi_u32 v5, s47, v4
	s_delay_alu instid0(VALU_DEP_1) | instskip(NEXT) | instid1(VALU_DEP_1)
	v_add_nc_u32_e32 v5, v4, v5
	v_lshrrev_b32_e32 v5, s56, v5
	s_delay_alu instid0(VALU_DEP_1) | instskip(SKIP_1) | instid1(VALU_DEP_2)
	v_mul_hi_u32 v7, s58, v5
	v_mul_lo_u32 v9, v5, s46
	v_add_nc_u32_e32 v2, v5, v7
	v_mul_lo_u32 v7, v4, s43
	s_delay_alu instid0(VALU_DEP_3) | instskip(NEXT) | instid1(VALU_DEP_3)
	v_sub_nc_u32_e32 v4, v4, v9
	v_lshrrev_b32_e32 v2, s59, v2
	s_delay_alu instid0(VALU_DEP_2) | instskip(SKIP_2) | instid1(VALU_DEP_4)
	v_mul_lo_u32 v9, v4, s52
	v_mul_lo_u32 v4, v4, s53
	v_sub_nc_u32_e32 v3, v3, v7
	v_mul_lo_u32 v10, v2, s57
	s_delay_alu instid0(VALU_DEP_2) | instskip(SKIP_1) | instid1(VALU_DEP_3)
	v_mul_lo_u32 v7, v3, s50
	v_mul_lo_u32 v3, v3, s51
	v_sub_nc_u32_e32 v5, v5, v10
	s_delay_alu instid0(VALU_DEP_3) | instskip(NEXT) | instid1(VALU_DEP_2)
	v_add3_u32 v0, v6, v0, v7
	v_mul_lo_u32 v10, v5, s54
	v_mul_lo_u32 v5, v5, s55
	v_add3_u32 v1, v8, v1, v3
	s_delay_alu instid0(VALU_DEP_3) | instskip(NEXT) | instid1(VALU_DEP_2)
	v_add3_u32 v0, v9, v0, v10
	v_add3_u32 v1, v4, v1, v5
	s_cbranch_scc0 .LBB407_19
	s_branch .LBB407_137
.LBB407_20:
	s_waitcnt lgkmcnt(0)
	s_mov_b32 s6, -1
                                        ; implicit-def: $vgpr0
                                        ; implicit-def: $vgpr1
	s_branch .LBB407_26
.LBB407_21:
	s_mov_b32 s33, -1
                                        ; implicit-def: $vgpr0
                                        ; implicit-def: $vgpr1
	s_branch .LBB407_125
.LBB407_22:
	s_mov_b32 s33, -1
                                        ; implicit-def: $vgpr0
                                        ; implicit-def: $vgpr1
	s_branch .LBB407_140
.LBB407_23:
	v_dual_mov_b32 v2, v12 :: v_dual_mov_b32 v1, 0
	s_and_b32 s7, s7, 3
	s_delay_alu instid0(SALU_CYCLE_1)
	s_cmp_eq_u32 s7, 0
	s_cbranch_scc1 .LBB407_26
.LBB407_24:
	s_lshl_b32 s2, s8, 3
	s_mul_i32 s4, s8, 12
	s_add_u32 s2, s2, s0
	s_addc_u32 s3, 0, s1
	s_add_u32 s2, s2, 0xc4
	s_addc_u32 s3, s3, 0
	;; [unrolled: 2-line block ×3, first 2 shown]
	.p2align	6
.LBB407_25:                             ; =>This Inner Loop Header: Depth=1
	s_clause 0x1
	s_load_b64 s[8:9], s[4:5], 0x4
	s_load_b32 s12, s[4:5], 0xc
	s_load_b64 s[10:11], s[2:3], 0x0
	s_add_u32 s4, s4, 12
	s_addc_u32 s5, s5, 0
	s_add_u32 s2, s2, 8
	s_addc_u32 s3, s3, 0
	s_add_i32 s7, s7, -1
	s_delay_alu instid0(SALU_CYCLE_1) | instskip(SKIP_2) | instid1(VALU_DEP_1)
	s_cmp_lg_u32 s7, 0
	s_waitcnt lgkmcnt(0)
	v_mul_hi_u32 v3, s9, v2
	v_add_nc_u32_e32 v3, v2, v3
	s_delay_alu instid0(VALU_DEP_1) | instskip(NEXT) | instid1(VALU_DEP_1)
	v_lshrrev_b32_e32 v6, s12, v3
	v_mul_lo_u32 v3, v6, s8
	s_delay_alu instid0(VALU_DEP_1) | instskip(NEXT) | instid1(VALU_DEP_1)
	v_sub_nc_u32_e32 v2, v2, v3
	v_mad_u64_u32 v[3:4], null, v2, s10, v[0:1]
	v_mad_u64_u32 v[4:5], null, v2, s11, v[1:2]
	v_mov_b32_e32 v2, v6
	s_delay_alu instid0(VALU_DEP_2)
	v_dual_mov_b32 v0, v3 :: v_dual_mov_b32 v1, v4
	s_cbranch_scc1 .LBB407_25
.LBB407_26:
	s_and_not1_b32 vcc_lo, exec_lo, s6
	s_cbranch_vccnz .LBB407_29
; %bb.27:
	s_clause 0x1
	s_load_b128 s[4:7], s[0:1], 0x4
	s_load_b64 s[2:3], s[0:1], 0xc4
	s_cmp_lt_u32 s22, 2
	s_waitcnt lgkmcnt(0)
	v_mul_hi_u32 v0, s5, v12
	s_delay_alu instid0(VALU_DEP_1) | instskip(NEXT) | instid1(VALU_DEP_1)
	v_add_nc_u32_e32 v0, v12, v0
	v_lshrrev_b32_e32 v2, s6, v0
	s_delay_alu instid0(VALU_DEP_1) | instskip(NEXT) | instid1(VALU_DEP_1)
	v_mul_lo_u32 v0, v2, s4
	v_sub_nc_u32_e32 v1, v12, v0
	s_delay_alu instid0(VALU_DEP_1)
	v_mul_lo_u32 v0, v1, s2
	v_mul_lo_u32 v1, v1, s3
	s_cbranch_scc1 .LBB407_29
; %bb.28:
	s_clause 0x1
	s_load_b128 s[4:7], s[0:1], 0x10
	s_load_b64 s[2:3], s[0:1], 0xcc
	s_waitcnt lgkmcnt(0)
	v_mul_hi_u32 v3, s5, v2
	s_delay_alu instid0(VALU_DEP_1) | instskip(NEXT) | instid1(VALU_DEP_1)
	v_add_nc_u32_e32 v3, v2, v3
	v_lshrrev_b32_e32 v3, s6, v3
	s_delay_alu instid0(VALU_DEP_1) | instskip(NEXT) | instid1(VALU_DEP_1)
	v_mul_lo_u32 v3, v3, s4
	v_sub_nc_u32_e32 v5, v2, v3
	s_delay_alu instid0(VALU_DEP_1) | instskip(NEXT) | instid1(VALU_DEP_1)
	v_mad_u64_u32 v[2:3], null, v5, s2, v[0:1]
	v_mad_u64_u32 v[3:4], null, v5, s3, v[1:2]
	s_delay_alu instid0(VALU_DEP_1)
	v_dual_mov_b32 v0, v2 :: v_dual_mov_b32 v1, v3
.LBB407_29:
	v_cmp_ne_u32_e32 vcc_lo, 1, v14
	v_add_nc_u32_e32 v4, 0x80, v12
	s_cbranch_vccnz .LBB407_35
; %bb.30:
	v_dual_mov_b32 v2, 0 :: v_dual_mov_b32 v3, 0
	s_cmp_lg_u32 s22, 0
	s_mov_b32 s6, 0
	s_cbranch_scc0 .LBB407_39
; %bb.31:
	s_min_u32 s7, s23, 15
	v_mov_b32_e32 v2, 0
	s_add_i32 s7, s7, 1
	s_cmp_eq_u32 s23, 2
	s_mov_b32 s8, 0
	s_cbranch_scc1 .LBB407_36
; %bb.32:
	v_dual_mov_b32 v3, 0 :: v_dual_mov_b32 v2, 0
	v_mov_b32_e32 v5, v4
	s_add_u32 s2, s0, 0xc4
	s_addc_u32 s3, s1, 0
	s_and_b32 s8, s7, 28
	s_mov_b32 s9, 0
	s_mov_b64 s[4:5], s[0:1]
.LBB407_33:                             ; =>This Inner Loop Header: Depth=1
	s_clause 0x1
	s_load_b256 s[12:19], s[4:5], 0x4
	s_load_b128 s[36:39], s[4:5], 0x24
	s_load_b256 s[24:31], s[2:3], 0x0
	s_add_u32 s4, s4, 48
	s_addc_u32 s5, s5, 0
	s_add_i32 s9, s9, 4
	s_add_u32 s2, s2, 32
	s_addc_u32 s3, s3, 0
	s_cmp_lg_u32 s8, s9
	s_waitcnt lgkmcnt(0)
	v_mul_hi_u32 v6, s13, v5
	s_delay_alu instid0(VALU_DEP_1) | instskip(NEXT) | instid1(VALU_DEP_1)
	v_add_nc_u32_e32 v6, v5, v6
	v_lshrrev_b32_e32 v6, s14, v6
	s_delay_alu instid0(VALU_DEP_1) | instskip(SKIP_1) | instid1(VALU_DEP_2)
	v_mul_hi_u32 v7, s16, v6
	v_mul_lo_u32 v9, v6, s12
	v_add_nc_u32_e32 v7, v6, v7
	s_delay_alu instid0(VALU_DEP_2) | instskip(NEXT) | instid1(VALU_DEP_2)
	v_sub_nc_u32_e32 v5, v5, v9
	v_lshrrev_b32_e32 v7, s17, v7
	s_delay_alu instid0(VALU_DEP_2) | instskip(SKIP_1) | instid1(VALU_DEP_3)
	v_mul_lo_u32 v9, v5, s24
	v_mul_lo_u32 v11, v5, s25
	v_mul_hi_u32 v8, s19, v7
	s_delay_alu instid0(VALU_DEP_1) | instskip(NEXT) | instid1(VALU_DEP_1)
	v_add_nc_u32_e32 v8, v7, v8
	v_lshrrev_b32_e32 v8, s36, v8
	s_delay_alu instid0(VALU_DEP_1) | instskip(SKIP_1) | instid1(VALU_DEP_2)
	v_mul_hi_u32 v10, s38, v8
	v_mul_lo_u32 v13, v8, s18
	v_add_nc_u32_e32 v5, v8, v10
	v_mul_lo_u32 v10, v7, s15
	s_delay_alu instid0(VALU_DEP_3) | instskip(NEXT) | instid1(VALU_DEP_3)
	v_sub_nc_u32_e32 v7, v7, v13
	v_lshrrev_b32_e32 v5, s39, v5
	s_delay_alu instid0(VALU_DEP_2) | instskip(SKIP_2) | instid1(VALU_DEP_4)
	v_mul_lo_u32 v13, v7, s28
	v_mul_lo_u32 v7, v7, s29
	v_sub_nc_u32_e32 v6, v6, v10
	v_mul_lo_u32 v15, v5, s37
	s_delay_alu instid0(VALU_DEP_2) | instskip(SKIP_1) | instid1(VALU_DEP_3)
	v_mul_lo_u32 v10, v6, s26
	v_mul_lo_u32 v6, v6, s27
	v_sub_nc_u32_e32 v8, v8, v15
	s_delay_alu instid0(VALU_DEP_3) | instskip(NEXT) | instid1(VALU_DEP_2)
	v_add3_u32 v2, v9, v2, v10
	v_mul_lo_u32 v15, v8, s30
	v_mul_lo_u32 v8, v8, s31
	v_add3_u32 v3, v11, v3, v6
	s_delay_alu instid0(VALU_DEP_3) | instskip(NEXT) | instid1(VALU_DEP_2)
	v_add3_u32 v2, v13, v2, v15
	v_add3_u32 v3, v7, v3, v8
	s_cbranch_scc1 .LBB407_33
; %bb.34:
	s_and_b32 s7, s7, 3
	s_delay_alu instid0(SALU_CYCLE_1)
	s_cmp_eq_u32 s7, 0
	s_cbranch_scc0 .LBB407_37
	s_branch .LBB407_39
.LBB407_35:
	s_mov_b32 s6, -1
                                        ; implicit-def: $vgpr2
                                        ; implicit-def: $vgpr3
	s_branch .LBB407_39
.LBB407_36:
	v_mov_b32_e32 v5, v4
	v_mov_b32_e32 v3, 0
	s_and_b32 s7, s7, 3
	s_delay_alu instid0(SALU_CYCLE_1)
	s_cmp_eq_u32 s7, 0
	s_cbranch_scc1 .LBB407_39
.LBB407_37:
	s_lshl_b32 s2, s8, 3
	s_mul_i32 s4, s8, 12
	s_add_u32 s2, s2, s0
	s_addc_u32 s3, 0, s1
	s_add_u32 s2, s2, 0xc4
	s_addc_u32 s3, s3, 0
	;; [unrolled: 2-line block ×3, first 2 shown]
	.p2align	6
.LBB407_38:                             ; =>This Inner Loop Header: Depth=1
	s_clause 0x1
	s_load_b64 s[8:9], s[4:5], 0x4
	s_load_b32 s12, s[4:5], 0xc
	s_load_b64 s[10:11], s[2:3], 0x0
	s_add_u32 s4, s4, 12
	s_addc_u32 s5, s5, 0
	s_add_u32 s2, s2, 8
	s_addc_u32 s3, s3, 0
	s_add_i32 s7, s7, -1
	s_delay_alu instid0(SALU_CYCLE_1) | instskip(SKIP_2) | instid1(VALU_DEP_1)
	s_cmp_lg_u32 s7, 0
	s_waitcnt lgkmcnt(0)
	v_mul_hi_u32 v6, s9, v5
	v_add_nc_u32_e32 v6, v5, v6
	s_delay_alu instid0(VALU_DEP_1) | instskip(NEXT) | instid1(VALU_DEP_1)
	v_lshrrev_b32_e32 v9, s12, v6
	v_mul_lo_u32 v6, v9, s8
	s_delay_alu instid0(VALU_DEP_1) | instskip(NEXT) | instid1(VALU_DEP_1)
	v_sub_nc_u32_e32 v5, v5, v6
	v_mad_u64_u32 v[6:7], null, v5, s10, v[2:3]
	v_mad_u64_u32 v[7:8], null, v5, s11, v[3:4]
	s_delay_alu instid0(VALU_DEP_2) | instskip(NEXT) | instid1(VALU_DEP_2)
	v_dual_mov_b32 v5, v9 :: v_dual_mov_b32 v2, v6
	v_mov_b32_e32 v3, v7
	s_cbranch_scc1 .LBB407_38
.LBB407_39:
	s_and_not1_b32 vcc_lo, exec_lo, s6
	s_cbranch_vccnz .LBB407_42
; %bb.40:
	s_clause 0x1
	s_load_b128 s[4:7], s[0:1], 0x4
	s_load_b64 s[2:3], s[0:1], 0xc4
	s_cmp_lt_u32 s22, 2
	s_waitcnt lgkmcnt(0)
	v_mul_hi_u32 v2, s5, v4
	s_delay_alu instid0(VALU_DEP_1) | instskip(NEXT) | instid1(VALU_DEP_1)
	v_add_nc_u32_e32 v2, v4, v2
	v_lshrrev_b32_e32 v5, s6, v2
	s_delay_alu instid0(VALU_DEP_1) | instskip(NEXT) | instid1(VALU_DEP_1)
	v_mul_lo_u32 v2, v5, s4
	v_sub_nc_u32_e32 v3, v4, v2
	s_delay_alu instid0(VALU_DEP_1)
	v_mul_lo_u32 v2, v3, s2
	v_mul_lo_u32 v3, v3, s3
	s_cbranch_scc1 .LBB407_42
; %bb.41:
	s_clause 0x1
	s_load_b128 s[4:7], s[0:1], 0x10
	s_load_b64 s[2:3], s[0:1], 0xcc
	s_waitcnt lgkmcnt(0)
	v_mul_hi_u32 v4, s5, v5
	s_delay_alu instid0(VALU_DEP_1) | instskip(NEXT) | instid1(VALU_DEP_1)
	v_add_nc_u32_e32 v4, v5, v4
	v_lshrrev_b32_e32 v4, s6, v4
	s_delay_alu instid0(VALU_DEP_1) | instskip(NEXT) | instid1(VALU_DEP_1)
	v_mul_lo_u32 v4, v4, s4
	v_sub_nc_u32_e32 v7, v5, v4
	s_delay_alu instid0(VALU_DEP_1) | instskip(NEXT) | instid1(VALU_DEP_1)
	v_mad_u64_u32 v[4:5], null, v7, s2, v[2:3]
	v_mad_u64_u32 v[5:6], null, v7, s3, v[3:4]
	s_delay_alu instid0(VALU_DEP_1)
	v_dual_mov_b32 v2, v4 :: v_dual_mov_b32 v3, v5
.LBB407_42:
	v_cmp_ne_u32_e32 vcc_lo, 1, v14
	v_add_nc_u32_e32 v6, 0x100, v12
	s_cbranch_vccnz .LBB407_48
; %bb.43:
	v_dual_mov_b32 v4, 0 :: v_dual_mov_b32 v5, 0
	s_cmp_lg_u32 s22, 0
	s_mov_b32 s6, 0
	s_cbranch_scc0 .LBB407_52
; %bb.44:
	s_min_u32 s7, s23, 15
	v_mov_b32_e32 v4, 0
	s_add_i32 s7, s7, 1
	s_cmp_eq_u32 s23, 2
	s_mov_b32 s8, 0
	s_cbranch_scc1 .LBB407_49
; %bb.45:
	v_dual_mov_b32 v5, 0 :: v_dual_mov_b32 v4, 0
	v_mov_b32_e32 v7, v6
	s_add_u32 s2, s0, 0xc4
	s_addc_u32 s3, s1, 0
	s_and_b32 s8, s7, 28
	s_mov_b32 s9, 0
	s_mov_b64 s[4:5], s[0:1]
.LBB407_46:                             ; =>This Inner Loop Header: Depth=1
	s_clause 0x1
	s_load_b256 s[12:19], s[4:5], 0x4
	s_load_b128 s[36:39], s[4:5], 0x24
	s_load_b256 s[24:31], s[2:3], 0x0
	s_add_u32 s4, s4, 48
	s_addc_u32 s5, s5, 0
	s_add_i32 s9, s9, 4
	s_add_u32 s2, s2, 32
	s_addc_u32 s3, s3, 0
	s_cmp_lg_u32 s8, s9
	s_waitcnt lgkmcnt(0)
	v_mul_hi_u32 v8, s13, v7
	s_delay_alu instid0(VALU_DEP_1) | instskip(NEXT) | instid1(VALU_DEP_1)
	v_add_nc_u32_e32 v8, v7, v8
	v_lshrrev_b32_e32 v8, s14, v8
	s_delay_alu instid0(VALU_DEP_1) | instskip(SKIP_1) | instid1(VALU_DEP_2)
	v_mul_hi_u32 v9, s16, v8
	v_mul_lo_u32 v11, v8, s12
	v_add_nc_u32_e32 v9, v8, v9
	s_delay_alu instid0(VALU_DEP_2) | instskip(NEXT) | instid1(VALU_DEP_2)
	v_sub_nc_u32_e32 v7, v7, v11
	v_lshrrev_b32_e32 v9, s17, v9
	s_delay_alu instid0(VALU_DEP_2) | instskip(SKIP_1) | instid1(VALU_DEP_3)
	v_mul_lo_u32 v11, v7, s24
	v_mul_lo_u32 v15, v7, s25
	v_mul_hi_u32 v10, s19, v9
	s_delay_alu instid0(VALU_DEP_1) | instskip(NEXT) | instid1(VALU_DEP_1)
	v_add_nc_u32_e32 v10, v9, v10
	v_lshrrev_b32_e32 v10, s36, v10
	s_delay_alu instid0(VALU_DEP_1) | instskip(SKIP_1) | instid1(VALU_DEP_2)
	v_mul_hi_u32 v13, s38, v10
	v_mul_lo_u32 v17, v10, s18
	v_add_nc_u32_e32 v7, v10, v13
	v_mul_lo_u32 v13, v9, s15
	s_delay_alu instid0(VALU_DEP_3) | instskip(NEXT) | instid1(VALU_DEP_3)
	v_sub_nc_u32_e32 v9, v9, v17
	v_lshrrev_b32_e32 v7, s39, v7
	s_delay_alu instid0(VALU_DEP_2) | instskip(SKIP_2) | instid1(VALU_DEP_4)
	v_mul_lo_u32 v17, v9, s28
	v_mul_lo_u32 v9, v9, s29
	v_sub_nc_u32_e32 v8, v8, v13
	v_mul_lo_u32 v18, v7, s37
	s_delay_alu instid0(VALU_DEP_2) | instskip(SKIP_1) | instid1(VALU_DEP_3)
	v_mul_lo_u32 v13, v8, s26
	v_mul_lo_u32 v8, v8, s27
	v_sub_nc_u32_e32 v10, v10, v18
	s_delay_alu instid0(VALU_DEP_3) | instskip(NEXT) | instid1(VALU_DEP_2)
	v_add3_u32 v4, v11, v4, v13
	v_mul_lo_u32 v18, v10, s30
	v_mul_lo_u32 v10, v10, s31
	v_add3_u32 v5, v15, v5, v8
	s_delay_alu instid0(VALU_DEP_3) | instskip(NEXT) | instid1(VALU_DEP_2)
	v_add3_u32 v4, v17, v4, v18
	v_add3_u32 v5, v9, v5, v10
	s_cbranch_scc1 .LBB407_46
; %bb.47:
	s_and_b32 s7, s7, 3
	s_delay_alu instid0(SALU_CYCLE_1)
	s_cmp_eq_u32 s7, 0
	s_cbranch_scc0 .LBB407_50
	s_branch .LBB407_52
.LBB407_48:
	s_mov_b32 s6, -1
                                        ; implicit-def: $vgpr4
                                        ; implicit-def: $vgpr5
	s_branch .LBB407_52
.LBB407_49:
	v_mov_b32_e32 v7, v6
	v_mov_b32_e32 v5, 0
	s_and_b32 s7, s7, 3
	s_delay_alu instid0(SALU_CYCLE_1)
	s_cmp_eq_u32 s7, 0
	s_cbranch_scc1 .LBB407_52
.LBB407_50:
	s_lshl_b32 s2, s8, 3
	s_mul_i32 s4, s8, 12
	s_add_u32 s2, s2, s0
	s_addc_u32 s3, 0, s1
	s_add_u32 s2, s2, 0xc4
	s_addc_u32 s3, s3, 0
	;; [unrolled: 2-line block ×3, first 2 shown]
	.p2align	6
.LBB407_51:                             ; =>This Inner Loop Header: Depth=1
	s_clause 0x1
	s_load_b64 s[8:9], s[4:5], 0x4
	s_load_b32 s12, s[4:5], 0xc
	s_load_b64 s[10:11], s[2:3], 0x0
	s_add_u32 s4, s4, 12
	s_addc_u32 s5, s5, 0
	s_add_u32 s2, s2, 8
	s_addc_u32 s3, s3, 0
	s_add_i32 s7, s7, -1
	s_delay_alu instid0(SALU_CYCLE_1) | instskip(SKIP_2) | instid1(VALU_DEP_1)
	s_cmp_lg_u32 s7, 0
	s_waitcnt lgkmcnt(0)
	v_mul_hi_u32 v8, s9, v7
	v_add_nc_u32_e32 v8, v7, v8
	s_delay_alu instid0(VALU_DEP_1) | instskip(NEXT) | instid1(VALU_DEP_1)
	v_lshrrev_b32_e32 v11, s12, v8
	v_mul_lo_u32 v8, v11, s8
	s_delay_alu instid0(VALU_DEP_1) | instskip(NEXT) | instid1(VALU_DEP_1)
	v_sub_nc_u32_e32 v7, v7, v8
	v_mad_u64_u32 v[8:9], null, v7, s10, v[4:5]
	v_mad_u64_u32 v[9:10], null, v7, s11, v[5:6]
	s_delay_alu instid0(VALU_DEP_2) | instskip(NEXT) | instid1(VALU_DEP_2)
	v_dual_mov_b32 v7, v11 :: v_dual_mov_b32 v4, v8
	v_mov_b32_e32 v5, v9
	s_cbranch_scc1 .LBB407_51
.LBB407_52:
	s_and_not1_b32 vcc_lo, exec_lo, s6
	s_cbranch_vccnz .LBB407_55
; %bb.53:
	s_clause 0x1
	s_load_b128 s[4:7], s[0:1], 0x4
	s_load_b64 s[2:3], s[0:1], 0xc4
	s_cmp_lt_u32 s22, 2
	s_waitcnt lgkmcnt(0)
	v_mul_hi_u32 v4, s5, v6
	s_delay_alu instid0(VALU_DEP_1) | instskip(NEXT) | instid1(VALU_DEP_1)
	v_add_nc_u32_e32 v4, v6, v4
	v_lshrrev_b32_e32 v7, s6, v4
	s_delay_alu instid0(VALU_DEP_1) | instskip(NEXT) | instid1(VALU_DEP_1)
	v_mul_lo_u32 v4, v7, s4
	v_sub_nc_u32_e32 v5, v6, v4
	s_delay_alu instid0(VALU_DEP_1)
	v_mul_lo_u32 v4, v5, s2
	v_mul_lo_u32 v5, v5, s3
	s_cbranch_scc1 .LBB407_55
; %bb.54:
	s_clause 0x1
	s_load_b128 s[4:7], s[0:1], 0x10
	s_load_b64 s[2:3], s[0:1], 0xcc
	s_waitcnt lgkmcnt(0)
	v_mul_hi_u32 v6, s5, v7
	s_delay_alu instid0(VALU_DEP_1) | instskip(NEXT) | instid1(VALU_DEP_1)
	v_add_nc_u32_e32 v6, v7, v6
	v_lshrrev_b32_e32 v6, s6, v6
	s_delay_alu instid0(VALU_DEP_1) | instskip(NEXT) | instid1(VALU_DEP_1)
	v_mul_lo_u32 v6, v6, s4
	v_sub_nc_u32_e32 v9, v7, v6
	s_delay_alu instid0(VALU_DEP_1) | instskip(NEXT) | instid1(VALU_DEP_1)
	v_mad_u64_u32 v[6:7], null, v9, s2, v[4:5]
	v_mad_u64_u32 v[7:8], null, v9, s3, v[5:6]
	s_delay_alu instid0(VALU_DEP_1)
	v_dual_mov_b32 v4, v6 :: v_dual_mov_b32 v5, v7
.LBB407_55:
	v_cmp_ne_u32_e32 vcc_lo, 1, v14
	v_add_nc_u32_e32 v8, 0x180, v12
	s_cbranch_vccnz .LBB407_61
; %bb.56:
	v_dual_mov_b32 v6, 0 :: v_dual_mov_b32 v7, 0
	s_cmp_lg_u32 s22, 0
	s_mov_b32 s6, 0
	s_cbranch_scc0 .LBB407_65
; %bb.57:
	s_min_u32 s7, s23, 15
	v_mov_b32_e32 v6, 0
	s_add_i32 s7, s7, 1
	s_cmp_eq_u32 s23, 2
	s_mov_b32 s8, 0
	s_cbranch_scc1 .LBB407_62
; %bb.58:
	v_dual_mov_b32 v7, 0 :: v_dual_mov_b32 v6, 0
	v_mov_b32_e32 v9, v8
	s_add_u32 s2, s0, 0xc4
	s_addc_u32 s3, s1, 0
	s_and_b32 s8, s7, 28
	s_mov_b32 s9, 0
	s_mov_b64 s[4:5], s[0:1]
.LBB407_59:                             ; =>This Inner Loop Header: Depth=1
	s_clause 0x1
	s_load_b256 s[12:19], s[4:5], 0x4
	s_load_b128 s[36:39], s[4:5], 0x24
	s_load_b256 s[24:31], s[2:3], 0x0
	s_add_u32 s4, s4, 48
	s_addc_u32 s5, s5, 0
	s_add_i32 s9, s9, 4
	s_add_u32 s2, s2, 32
	s_addc_u32 s3, s3, 0
	s_cmp_lg_u32 s8, s9
	s_waitcnt lgkmcnt(0)
	v_mul_hi_u32 v10, s13, v9
	s_delay_alu instid0(VALU_DEP_1) | instskip(NEXT) | instid1(VALU_DEP_1)
	v_add_nc_u32_e32 v10, v9, v10
	v_lshrrev_b32_e32 v10, s14, v10
	s_delay_alu instid0(VALU_DEP_1) | instskip(SKIP_1) | instid1(VALU_DEP_2)
	v_mul_hi_u32 v11, s16, v10
	v_mul_lo_u32 v15, v10, s12
	v_add_nc_u32_e32 v11, v10, v11
	s_delay_alu instid0(VALU_DEP_2) | instskip(NEXT) | instid1(VALU_DEP_2)
	v_sub_nc_u32_e32 v9, v9, v15
	v_lshrrev_b32_e32 v11, s17, v11
	s_delay_alu instid0(VALU_DEP_2) | instskip(SKIP_1) | instid1(VALU_DEP_3)
	v_mul_lo_u32 v15, v9, s24
	v_mul_lo_u32 v18, v9, s25
	v_mul_hi_u32 v13, s19, v11
	s_delay_alu instid0(VALU_DEP_1) | instskip(NEXT) | instid1(VALU_DEP_1)
	v_add_nc_u32_e32 v13, v11, v13
	v_lshrrev_b32_e32 v13, s36, v13
	s_delay_alu instid0(VALU_DEP_1) | instskip(SKIP_1) | instid1(VALU_DEP_2)
	v_mul_hi_u32 v17, s38, v13
	v_mul_lo_u32 v19, v13, s18
	v_add_nc_u32_e32 v9, v13, v17
	v_mul_lo_u32 v17, v11, s15
	s_delay_alu instid0(VALU_DEP_3) | instskip(NEXT) | instid1(VALU_DEP_3)
	v_sub_nc_u32_e32 v11, v11, v19
	v_lshrrev_b32_e32 v9, s39, v9
	s_delay_alu instid0(VALU_DEP_2) | instskip(SKIP_2) | instid1(VALU_DEP_4)
	v_mul_lo_u32 v19, v11, s28
	v_mul_lo_u32 v11, v11, s29
	v_sub_nc_u32_e32 v10, v10, v17
	v_mul_lo_u32 v20, v9, s37
	s_delay_alu instid0(VALU_DEP_2) | instskip(SKIP_1) | instid1(VALU_DEP_3)
	v_mul_lo_u32 v17, v10, s26
	v_mul_lo_u32 v10, v10, s27
	v_sub_nc_u32_e32 v13, v13, v20
	s_delay_alu instid0(VALU_DEP_3) | instskip(NEXT) | instid1(VALU_DEP_2)
	v_add3_u32 v6, v15, v6, v17
	v_mul_lo_u32 v20, v13, s30
	v_mul_lo_u32 v13, v13, s31
	v_add3_u32 v7, v18, v7, v10
	s_delay_alu instid0(VALU_DEP_3) | instskip(NEXT) | instid1(VALU_DEP_2)
	v_add3_u32 v6, v19, v6, v20
	v_add3_u32 v7, v11, v7, v13
	s_cbranch_scc1 .LBB407_59
; %bb.60:
	s_and_b32 s7, s7, 3
	s_delay_alu instid0(SALU_CYCLE_1)
	s_cmp_eq_u32 s7, 0
	s_cbranch_scc0 .LBB407_63
	s_branch .LBB407_65
.LBB407_61:
	s_mov_b32 s6, -1
                                        ; implicit-def: $vgpr6
                                        ; implicit-def: $vgpr7
	s_branch .LBB407_65
.LBB407_62:
	v_mov_b32_e32 v9, v8
	v_mov_b32_e32 v7, 0
	s_and_b32 s7, s7, 3
	s_delay_alu instid0(SALU_CYCLE_1)
	s_cmp_eq_u32 s7, 0
	s_cbranch_scc1 .LBB407_65
.LBB407_63:
	s_lshl_b32 s2, s8, 3
	s_mul_i32 s4, s8, 12
	s_add_u32 s2, s2, s0
	s_addc_u32 s3, 0, s1
	s_add_u32 s2, s2, 0xc4
	s_addc_u32 s3, s3, 0
	;; [unrolled: 2-line block ×3, first 2 shown]
	.p2align	6
.LBB407_64:                             ; =>This Inner Loop Header: Depth=1
	s_clause 0x1
	s_load_b64 s[8:9], s[4:5], 0x4
	s_load_b32 s12, s[4:5], 0xc
	s_load_b64 s[10:11], s[2:3], 0x0
	s_add_u32 s4, s4, 12
	s_addc_u32 s5, s5, 0
	s_add_u32 s2, s2, 8
	s_addc_u32 s3, s3, 0
	s_add_i32 s7, s7, -1
	s_delay_alu instid0(SALU_CYCLE_1) | instskip(SKIP_2) | instid1(VALU_DEP_1)
	s_cmp_lg_u32 s7, 0
	s_waitcnt lgkmcnt(0)
	v_mul_hi_u32 v10, s9, v9
	v_add_nc_u32_e32 v10, v9, v10
	s_delay_alu instid0(VALU_DEP_1) | instskip(NEXT) | instid1(VALU_DEP_1)
	v_lshrrev_b32_e32 v13, s12, v10
	v_mul_lo_u32 v10, v13, s8
	s_delay_alu instid0(VALU_DEP_1) | instskip(NEXT) | instid1(VALU_DEP_1)
	v_sub_nc_u32_e32 v9, v9, v10
	v_mad_u64_u32 v[10:11], null, v9, s10, v[6:7]
	v_mad_u64_u32 v[17:18], null, v9, s11, v[7:8]
	s_delay_alu instid0(VALU_DEP_2) | instskip(NEXT) | instid1(VALU_DEP_2)
	v_dual_mov_b32 v9, v13 :: v_dual_mov_b32 v6, v10
	v_mov_b32_e32 v7, v17
	s_cbranch_scc1 .LBB407_64
.LBB407_65:
	s_and_not1_b32 vcc_lo, exec_lo, s6
	s_cbranch_vccnz .LBB407_68
; %bb.66:
	s_clause 0x1
	s_load_b128 s[4:7], s[0:1], 0x4
	s_load_b64 s[2:3], s[0:1], 0xc4
	s_cmp_lt_u32 s22, 2
	s_waitcnt lgkmcnt(0)
	v_mul_hi_u32 v6, s5, v8
	s_delay_alu instid0(VALU_DEP_1) | instskip(NEXT) | instid1(VALU_DEP_1)
	v_add_nc_u32_e32 v6, v8, v6
	v_lshrrev_b32_e32 v9, s6, v6
	s_delay_alu instid0(VALU_DEP_1) | instskip(NEXT) | instid1(VALU_DEP_1)
	v_mul_lo_u32 v6, v9, s4
	v_sub_nc_u32_e32 v7, v8, v6
	s_delay_alu instid0(VALU_DEP_1)
	v_mul_lo_u32 v6, v7, s2
	v_mul_lo_u32 v7, v7, s3
	s_cbranch_scc1 .LBB407_68
; %bb.67:
	s_clause 0x1
	s_load_b128 s[4:7], s[0:1], 0x10
	s_load_b64 s[2:3], s[0:1], 0xcc
	s_waitcnt lgkmcnt(0)
	v_mul_hi_u32 v8, s5, v9
	s_delay_alu instid0(VALU_DEP_1) | instskip(NEXT) | instid1(VALU_DEP_1)
	v_add_nc_u32_e32 v8, v9, v8
	v_lshrrev_b32_e32 v8, s6, v8
	s_delay_alu instid0(VALU_DEP_1) | instskip(NEXT) | instid1(VALU_DEP_1)
	v_mul_lo_u32 v8, v8, s4
	v_sub_nc_u32_e32 v11, v9, v8
	s_delay_alu instid0(VALU_DEP_1) | instskip(NEXT) | instid1(VALU_DEP_1)
	v_mad_u64_u32 v[8:9], null, v11, s2, v[6:7]
	v_mad_u64_u32 v[9:10], null, v11, s3, v[7:8]
	s_delay_alu instid0(VALU_DEP_1)
	v_dual_mov_b32 v6, v8 :: v_dual_mov_b32 v7, v9
.LBB407_68:
	v_cmp_ne_u32_e32 vcc_lo, 1, v14
	v_add_nc_u32_e32 v10, 0x200, v12
	s_cbranch_vccnz .LBB407_74
; %bb.69:
	v_dual_mov_b32 v8, 0 :: v_dual_mov_b32 v9, 0
	s_cmp_lg_u32 s22, 0
	s_mov_b32 s6, 0
	s_cbranch_scc0 .LBB407_78
; %bb.70:
	s_min_u32 s7, s23, 15
	v_mov_b32_e32 v8, 0
	s_add_i32 s7, s7, 1
	s_cmp_eq_u32 s23, 2
	s_mov_b32 s8, 0
	s_cbranch_scc1 .LBB407_75
; %bb.71:
	v_dual_mov_b32 v9, 0 :: v_dual_mov_b32 v8, 0
	v_mov_b32_e32 v11, v10
	s_add_u32 s2, s0, 0xc4
	s_addc_u32 s3, s1, 0
	s_and_b32 s8, s7, 28
	s_mov_b32 s9, 0
	s_mov_b64 s[4:5], s[0:1]
.LBB407_72:                             ; =>This Inner Loop Header: Depth=1
	s_clause 0x1
	s_load_b256 s[12:19], s[4:5], 0x4
	s_load_b128 s[36:39], s[4:5], 0x24
	s_load_b256 s[24:31], s[2:3], 0x0
	s_add_u32 s4, s4, 48
	s_addc_u32 s5, s5, 0
	s_add_i32 s9, s9, 4
	s_add_u32 s2, s2, 32
	s_addc_u32 s3, s3, 0
	s_cmp_lg_u32 s8, s9
	s_waitcnt lgkmcnt(0)
	v_mul_hi_u32 v13, s13, v11
	s_delay_alu instid0(VALU_DEP_1) | instskip(NEXT) | instid1(VALU_DEP_1)
	v_add_nc_u32_e32 v13, v11, v13
	v_lshrrev_b32_e32 v13, s14, v13
	s_delay_alu instid0(VALU_DEP_1) | instskip(SKIP_1) | instid1(VALU_DEP_2)
	v_mul_hi_u32 v15, s16, v13
	v_mul_lo_u32 v18, v13, s12
	v_add_nc_u32_e32 v15, v13, v15
	s_delay_alu instid0(VALU_DEP_2) | instskip(NEXT) | instid1(VALU_DEP_2)
	v_sub_nc_u32_e32 v11, v11, v18
	v_lshrrev_b32_e32 v15, s17, v15
	s_delay_alu instid0(VALU_DEP_2) | instskip(SKIP_1) | instid1(VALU_DEP_3)
	v_mul_lo_u32 v18, v11, s24
	v_mul_lo_u32 v20, v11, s25
	v_mul_hi_u32 v17, s19, v15
	s_delay_alu instid0(VALU_DEP_1) | instskip(NEXT) | instid1(VALU_DEP_1)
	v_add_nc_u32_e32 v17, v15, v17
	v_lshrrev_b32_e32 v17, s36, v17
	s_delay_alu instid0(VALU_DEP_1) | instskip(SKIP_1) | instid1(VALU_DEP_2)
	v_mul_hi_u32 v19, s38, v17
	v_mul_lo_u32 v21, v17, s18
	v_add_nc_u32_e32 v11, v17, v19
	v_mul_lo_u32 v19, v15, s15
	s_delay_alu instid0(VALU_DEP_3) | instskip(NEXT) | instid1(VALU_DEP_3)
	v_sub_nc_u32_e32 v15, v15, v21
	v_lshrrev_b32_e32 v11, s39, v11
	s_delay_alu instid0(VALU_DEP_2) | instskip(SKIP_2) | instid1(VALU_DEP_4)
	v_mul_lo_u32 v21, v15, s28
	v_mul_lo_u32 v15, v15, s29
	v_sub_nc_u32_e32 v13, v13, v19
	v_mul_lo_u32 v22, v11, s37
	s_delay_alu instid0(VALU_DEP_2) | instskip(SKIP_1) | instid1(VALU_DEP_3)
	v_mul_lo_u32 v19, v13, s26
	v_mul_lo_u32 v13, v13, s27
	v_sub_nc_u32_e32 v17, v17, v22
	s_delay_alu instid0(VALU_DEP_3) | instskip(NEXT) | instid1(VALU_DEP_2)
	v_add3_u32 v8, v18, v8, v19
	v_mul_lo_u32 v22, v17, s30
	v_mul_lo_u32 v17, v17, s31
	v_add3_u32 v9, v20, v9, v13
	s_delay_alu instid0(VALU_DEP_3) | instskip(NEXT) | instid1(VALU_DEP_2)
	v_add3_u32 v8, v21, v8, v22
	v_add3_u32 v9, v15, v9, v17
	s_cbranch_scc1 .LBB407_72
; %bb.73:
	s_and_b32 s7, s7, 3
	s_delay_alu instid0(SALU_CYCLE_1)
	s_cmp_eq_u32 s7, 0
	s_cbranch_scc0 .LBB407_76
	s_branch .LBB407_78
.LBB407_74:
	s_mov_b32 s6, -1
                                        ; implicit-def: $vgpr8
                                        ; implicit-def: $vgpr9
	s_branch .LBB407_78
.LBB407_75:
	v_mov_b32_e32 v11, v10
	v_mov_b32_e32 v9, 0
	s_and_b32 s7, s7, 3
	s_delay_alu instid0(SALU_CYCLE_1)
	s_cmp_eq_u32 s7, 0
	s_cbranch_scc1 .LBB407_78
.LBB407_76:
	s_lshl_b32 s2, s8, 3
	s_mul_i32 s4, s8, 12
	s_add_u32 s2, s2, s0
	s_addc_u32 s3, 0, s1
	s_add_u32 s2, s2, 0xc4
	s_addc_u32 s3, s3, 0
	;; [unrolled: 2-line block ×3, first 2 shown]
	.p2align	6
.LBB407_77:                             ; =>This Inner Loop Header: Depth=1
	s_clause 0x1
	s_load_b64 s[8:9], s[4:5], 0x4
	s_load_b32 s12, s[4:5], 0xc
	s_load_b64 s[10:11], s[2:3], 0x0
	s_add_u32 s4, s4, 12
	s_addc_u32 s5, s5, 0
	s_add_u32 s2, s2, 8
	s_addc_u32 s3, s3, 0
	s_add_i32 s7, s7, -1
	s_delay_alu instid0(SALU_CYCLE_1) | instskip(SKIP_2) | instid1(VALU_DEP_1)
	s_cmp_lg_u32 s7, 0
	s_waitcnt lgkmcnt(0)
	v_mul_hi_u32 v13, s9, v11
	v_add_nc_u32_e32 v13, v11, v13
	s_delay_alu instid0(VALU_DEP_1) | instskip(NEXT) | instid1(VALU_DEP_1)
	v_lshrrev_b32_e32 v13, s12, v13
	v_mul_lo_u32 v15, v13, s8
	s_delay_alu instid0(VALU_DEP_1) | instskip(NEXT) | instid1(VALU_DEP_1)
	v_sub_nc_u32_e32 v11, v11, v15
	v_mad_u64_u32 v[17:18], null, v11, s10, v[8:9]
	v_mad_u64_u32 v[18:19], null, v11, s11, v[9:10]
	v_mov_b32_e32 v11, v13
	s_delay_alu instid0(VALU_DEP_2)
	v_dual_mov_b32 v8, v17 :: v_dual_mov_b32 v9, v18
	s_cbranch_scc1 .LBB407_77
.LBB407_78:
	s_and_not1_b32 vcc_lo, exec_lo, s6
	s_cbranch_vccnz .LBB407_81
; %bb.79:
	s_clause 0x1
	s_load_b128 s[4:7], s[0:1], 0x4
	s_load_b64 s[2:3], s[0:1], 0xc4
	s_cmp_lt_u32 s22, 2
	s_waitcnt lgkmcnt(0)
	v_mul_hi_u32 v8, s5, v10
	s_delay_alu instid0(VALU_DEP_1) | instskip(NEXT) | instid1(VALU_DEP_1)
	v_add_nc_u32_e32 v8, v10, v8
	v_lshrrev_b32_e32 v11, s6, v8
	s_delay_alu instid0(VALU_DEP_1) | instskip(NEXT) | instid1(VALU_DEP_1)
	v_mul_lo_u32 v8, v11, s4
	v_sub_nc_u32_e32 v9, v10, v8
	s_delay_alu instid0(VALU_DEP_1)
	v_mul_lo_u32 v8, v9, s2
	v_mul_lo_u32 v9, v9, s3
	s_cbranch_scc1 .LBB407_81
; %bb.80:
	s_clause 0x1
	s_load_b128 s[4:7], s[0:1], 0x10
	s_load_b64 s[2:3], s[0:1], 0xcc
	s_waitcnt lgkmcnt(0)
	v_mul_hi_u32 v10, s5, v11
	s_delay_alu instid0(VALU_DEP_1) | instskip(NEXT) | instid1(VALU_DEP_1)
	v_add_nc_u32_e32 v10, v11, v10
	v_lshrrev_b32_e32 v10, s6, v10
	s_delay_alu instid0(VALU_DEP_1) | instskip(NEXT) | instid1(VALU_DEP_1)
	v_mul_lo_u32 v10, v10, s4
	v_sub_nc_u32_e32 v13, v11, v10
	s_delay_alu instid0(VALU_DEP_1) | instskip(NEXT) | instid1(VALU_DEP_1)
	v_mad_u64_u32 v[10:11], null, v13, s2, v[8:9]
	v_mad_u64_u32 v[17:18], null, v13, s3, v[9:10]
	s_delay_alu instid0(VALU_DEP_1)
	v_dual_mov_b32 v8, v10 :: v_dual_mov_b32 v9, v17
.LBB407_81:
	v_cmp_ne_u32_e32 vcc_lo, 1, v14
	v_add_nc_u32_e32 v13, 0x280, v12
	s_cbranch_vccnz .LBB407_87
; %bb.82:
	v_dual_mov_b32 v10, 0 :: v_dual_mov_b32 v11, 0
	s_cmp_lg_u32 s22, 0
	s_mov_b32 s6, 0
	s_cbranch_scc0 .LBB407_91
; %bb.83:
	s_min_u32 s7, s23, 15
	v_mov_b32_e32 v10, 0
	s_add_i32 s7, s7, 1
	s_cmp_eq_u32 s23, 2
	s_mov_b32 s8, 0
	s_cbranch_scc1 .LBB407_88
; %bb.84:
	v_dual_mov_b32 v11, 0 :: v_dual_mov_b32 v10, 0
	v_mov_b32_e32 v15, v13
	s_add_u32 s2, s0, 0xc4
	s_addc_u32 s3, s1, 0
	s_and_b32 s8, s7, 28
	s_mov_b32 s9, 0
	s_mov_b64 s[4:5], s[0:1]
.LBB407_85:                             ; =>This Inner Loop Header: Depth=1
	s_clause 0x1
	s_load_b256 s[12:19], s[4:5], 0x4
	s_load_b128 s[36:39], s[4:5], 0x24
	s_load_b256 s[24:31], s[2:3], 0x0
	s_add_u32 s4, s4, 48
	s_addc_u32 s5, s5, 0
	s_add_i32 s9, s9, 4
	s_add_u32 s2, s2, 32
	s_addc_u32 s3, s3, 0
	s_cmp_lg_u32 s8, s9
	s_waitcnt lgkmcnt(0)
	v_mul_hi_u32 v17, s13, v15
	s_delay_alu instid0(VALU_DEP_1) | instskip(NEXT) | instid1(VALU_DEP_1)
	v_add_nc_u32_e32 v17, v15, v17
	v_lshrrev_b32_e32 v17, s14, v17
	s_delay_alu instid0(VALU_DEP_1) | instskip(SKIP_1) | instid1(VALU_DEP_2)
	v_mul_hi_u32 v18, s16, v17
	v_mul_lo_u32 v20, v17, s12
	v_add_nc_u32_e32 v18, v17, v18
	s_delay_alu instid0(VALU_DEP_2) | instskip(NEXT) | instid1(VALU_DEP_2)
	v_sub_nc_u32_e32 v15, v15, v20
	v_lshrrev_b32_e32 v18, s17, v18
	s_delay_alu instid0(VALU_DEP_2) | instskip(SKIP_1) | instid1(VALU_DEP_3)
	v_mul_lo_u32 v20, v15, s24
	v_mul_lo_u32 v22, v15, s25
	v_mul_hi_u32 v19, s19, v18
	s_delay_alu instid0(VALU_DEP_1) | instskip(NEXT) | instid1(VALU_DEP_1)
	v_add_nc_u32_e32 v19, v18, v19
	v_lshrrev_b32_e32 v19, s36, v19
	s_delay_alu instid0(VALU_DEP_1) | instskip(SKIP_1) | instid1(VALU_DEP_2)
	v_mul_hi_u32 v21, s38, v19
	v_mul_lo_u32 v23, v19, s18
	v_add_nc_u32_e32 v15, v19, v21
	v_mul_lo_u32 v21, v18, s15
	s_delay_alu instid0(VALU_DEP_3) | instskip(NEXT) | instid1(VALU_DEP_3)
	v_sub_nc_u32_e32 v18, v18, v23
	v_lshrrev_b32_e32 v15, s39, v15
	s_delay_alu instid0(VALU_DEP_2) | instskip(SKIP_2) | instid1(VALU_DEP_4)
	v_mul_lo_u32 v23, v18, s28
	v_mul_lo_u32 v18, v18, s29
	v_sub_nc_u32_e32 v17, v17, v21
	v_mul_lo_u32 v24, v15, s37
	s_delay_alu instid0(VALU_DEP_2) | instskip(SKIP_1) | instid1(VALU_DEP_3)
	v_mul_lo_u32 v21, v17, s26
	v_mul_lo_u32 v17, v17, s27
	v_sub_nc_u32_e32 v19, v19, v24
	s_delay_alu instid0(VALU_DEP_3) | instskip(NEXT) | instid1(VALU_DEP_2)
	v_add3_u32 v10, v20, v10, v21
	v_mul_lo_u32 v24, v19, s30
	v_mul_lo_u32 v19, v19, s31
	v_add3_u32 v11, v22, v11, v17
	s_delay_alu instid0(VALU_DEP_3) | instskip(NEXT) | instid1(VALU_DEP_2)
	v_add3_u32 v10, v23, v10, v24
	v_add3_u32 v11, v18, v11, v19
	s_cbranch_scc1 .LBB407_85
; %bb.86:
	s_and_b32 s7, s7, 3
	s_delay_alu instid0(SALU_CYCLE_1)
	s_cmp_eq_u32 s7, 0
	s_cbranch_scc0 .LBB407_89
	s_branch .LBB407_91
.LBB407_87:
	s_mov_b32 s6, -1
                                        ; implicit-def: $vgpr10
                                        ; implicit-def: $vgpr11
	s_branch .LBB407_91
.LBB407_88:
	v_mov_b32_e32 v15, v13
	v_mov_b32_e32 v11, 0
	s_and_b32 s7, s7, 3
	s_delay_alu instid0(SALU_CYCLE_1)
	s_cmp_eq_u32 s7, 0
	s_cbranch_scc1 .LBB407_91
.LBB407_89:
	s_lshl_b32 s2, s8, 3
	s_mul_i32 s4, s8, 12
	s_add_u32 s2, s2, s0
	s_addc_u32 s3, 0, s1
	s_add_u32 s2, s2, 0xc4
	s_addc_u32 s3, s3, 0
	s_add_u32 s4, s0, s4
	s_addc_u32 s5, 0, s1
	.p2align	6
.LBB407_90:                             ; =>This Inner Loop Header: Depth=1
	s_clause 0x1
	s_load_b64 s[8:9], s[4:5], 0x4
	s_load_b32 s12, s[4:5], 0xc
	s_load_b64 s[10:11], s[2:3], 0x0
	s_add_u32 s4, s4, 12
	s_addc_u32 s5, s5, 0
	s_add_u32 s2, s2, 8
	s_addc_u32 s3, s3, 0
	s_add_i32 s7, s7, -1
	s_delay_alu instid0(SALU_CYCLE_1) | instskip(SKIP_2) | instid1(VALU_DEP_1)
	s_cmp_lg_u32 s7, 0
	s_waitcnt lgkmcnt(0)
	v_mul_hi_u32 v17, s9, v15
	v_add_nc_u32_e32 v17, v15, v17
	s_delay_alu instid0(VALU_DEP_1) | instskip(NEXT) | instid1(VALU_DEP_1)
	v_lshrrev_b32_e32 v20, s12, v17
	v_mul_lo_u32 v17, v20, s8
	s_delay_alu instid0(VALU_DEP_1) | instskip(NEXT) | instid1(VALU_DEP_1)
	v_sub_nc_u32_e32 v15, v15, v17
	v_mad_u64_u32 v[17:18], null, v15, s10, v[10:11]
	v_mad_u64_u32 v[18:19], null, v15, s11, v[11:12]
	s_delay_alu instid0(VALU_DEP_2) | instskip(NEXT) | instid1(VALU_DEP_2)
	v_dual_mov_b32 v15, v20 :: v_dual_mov_b32 v10, v17
	v_mov_b32_e32 v11, v18
	s_cbranch_scc1 .LBB407_90
.LBB407_91:
	s_and_not1_b32 vcc_lo, exec_lo, s6
	s_cbranch_vccnz .LBB407_94
; %bb.92:
	s_clause 0x1
	s_load_b128 s[4:7], s[0:1], 0x4
	s_load_b64 s[2:3], s[0:1], 0xc4
	s_cmp_lt_u32 s22, 2
	s_waitcnt lgkmcnt(0)
	v_mul_hi_u32 v10, s5, v13
	s_delay_alu instid0(VALU_DEP_1) | instskip(NEXT) | instid1(VALU_DEP_1)
	v_add_nc_u32_e32 v10, v13, v10
	v_lshrrev_b32_e32 v15, s6, v10
	s_delay_alu instid0(VALU_DEP_1) | instskip(NEXT) | instid1(VALU_DEP_1)
	v_mul_lo_u32 v10, v15, s4
	v_sub_nc_u32_e32 v11, v13, v10
	s_delay_alu instid0(VALU_DEP_1)
	v_mul_lo_u32 v10, v11, s2
	v_mul_lo_u32 v11, v11, s3
	s_cbranch_scc1 .LBB407_94
; %bb.93:
	s_clause 0x1
	s_load_b128 s[4:7], s[0:1], 0x10
	s_load_b64 s[2:3], s[0:1], 0xcc
	s_waitcnt lgkmcnt(0)
	v_mul_hi_u32 v13, s5, v15
	s_delay_alu instid0(VALU_DEP_1) | instskip(NEXT) | instid1(VALU_DEP_1)
	v_add_nc_u32_e32 v13, v15, v13
	v_lshrrev_b32_e32 v13, s6, v13
	s_delay_alu instid0(VALU_DEP_1) | instskip(NEXT) | instid1(VALU_DEP_1)
	v_mul_lo_u32 v13, v13, s4
	v_sub_nc_u32_e32 v13, v15, v13
	s_delay_alu instid0(VALU_DEP_1) | instskip(SKIP_1) | instid1(VALU_DEP_1)
	v_mad_u64_u32 v[17:18], null, v13, s2, v[10:11]
	v_mad_u64_u32 v[18:19], null, v13, s3, v[11:12]
	v_dual_mov_b32 v10, v17 :: v_dual_mov_b32 v11, v18
.LBB407_94:
	v_cmp_ne_u32_e32 vcc_lo, 1, v14
	v_add_nc_u32_e32 v15, 0x300, v12
	s_cbranch_vccnz .LBB407_100
; %bb.95:
	v_dual_mov_b32 v12, 0 :: v_dual_mov_b32 v13, 0
	s_cmp_lg_u32 s22, 0
	s_mov_b32 s6, 0
	s_cbranch_scc0 .LBB407_104
; %bb.96:
	s_min_u32 s7, s23, 15
	v_mov_b32_e32 v12, 0
	s_add_i32 s7, s7, 1
	s_cmp_eq_u32 s23, 2
	s_mov_b32 s8, 0
	s_cbranch_scc1 .LBB407_101
; %bb.97:
	v_dual_mov_b32 v13, 0 :: v_dual_mov_b32 v12, 0
	v_mov_b32_e32 v17, v15
	s_add_u32 s2, s0, 0xc4
	s_addc_u32 s3, s1, 0
	s_and_b32 s8, s7, 28
	s_mov_b32 s9, 0
	s_mov_b64 s[4:5], s[0:1]
.LBB407_98:                             ; =>This Inner Loop Header: Depth=1
	s_clause 0x1
	s_load_b256 s[12:19], s[4:5], 0x4
	s_load_b128 s[36:39], s[4:5], 0x24
	s_load_b256 s[24:31], s[2:3], 0x0
	s_add_u32 s4, s4, 48
	s_addc_u32 s5, s5, 0
	s_add_i32 s9, s9, 4
	s_add_u32 s2, s2, 32
	s_addc_u32 s3, s3, 0
	s_cmp_lg_u32 s8, s9
	s_waitcnt lgkmcnt(0)
	v_mul_hi_u32 v18, s13, v17
	s_delay_alu instid0(VALU_DEP_1) | instskip(NEXT) | instid1(VALU_DEP_1)
	v_add_nc_u32_e32 v18, v17, v18
	v_lshrrev_b32_e32 v18, s14, v18
	s_delay_alu instid0(VALU_DEP_1) | instskip(SKIP_1) | instid1(VALU_DEP_2)
	v_mul_hi_u32 v19, s16, v18
	v_mul_lo_u32 v21, v18, s12
	v_add_nc_u32_e32 v19, v18, v19
	s_delay_alu instid0(VALU_DEP_2) | instskip(NEXT) | instid1(VALU_DEP_2)
	v_sub_nc_u32_e32 v17, v17, v21
	v_lshrrev_b32_e32 v19, s17, v19
	s_delay_alu instid0(VALU_DEP_2) | instskip(SKIP_1) | instid1(VALU_DEP_3)
	v_mul_lo_u32 v21, v17, s24
	v_mul_lo_u32 v23, v17, s25
	v_mul_hi_u32 v20, s19, v19
	s_delay_alu instid0(VALU_DEP_1) | instskip(NEXT) | instid1(VALU_DEP_1)
	v_add_nc_u32_e32 v20, v19, v20
	v_lshrrev_b32_e32 v20, s36, v20
	s_delay_alu instid0(VALU_DEP_1) | instskip(SKIP_1) | instid1(VALU_DEP_2)
	v_mul_hi_u32 v22, s38, v20
	v_mul_lo_u32 v24, v20, s18
	v_add_nc_u32_e32 v17, v20, v22
	v_mul_lo_u32 v22, v19, s15
	s_delay_alu instid0(VALU_DEP_3) | instskip(NEXT) | instid1(VALU_DEP_3)
	v_sub_nc_u32_e32 v19, v19, v24
	v_lshrrev_b32_e32 v17, s39, v17
	s_delay_alu instid0(VALU_DEP_2) | instskip(SKIP_2) | instid1(VALU_DEP_4)
	v_mul_lo_u32 v24, v19, s28
	v_mul_lo_u32 v19, v19, s29
	v_sub_nc_u32_e32 v18, v18, v22
	v_mul_lo_u32 v25, v17, s37
	s_delay_alu instid0(VALU_DEP_2) | instskip(SKIP_1) | instid1(VALU_DEP_3)
	v_mul_lo_u32 v22, v18, s26
	v_mul_lo_u32 v18, v18, s27
	v_sub_nc_u32_e32 v20, v20, v25
	s_delay_alu instid0(VALU_DEP_3) | instskip(NEXT) | instid1(VALU_DEP_2)
	v_add3_u32 v12, v21, v12, v22
	v_mul_lo_u32 v25, v20, s30
	v_mul_lo_u32 v20, v20, s31
	v_add3_u32 v13, v23, v13, v18
	s_delay_alu instid0(VALU_DEP_3) | instskip(NEXT) | instid1(VALU_DEP_2)
	v_add3_u32 v12, v24, v12, v25
	v_add3_u32 v13, v19, v13, v20
	s_cbranch_scc1 .LBB407_98
; %bb.99:
	s_and_b32 s7, s7, 3
	s_delay_alu instid0(SALU_CYCLE_1)
	s_cmp_eq_u32 s7, 0
	s_cbranch_scc0 .LBB407_102
	s_branch .LBB407_104
.LBB407_100:
	s_mov_b32 s6, -1
                                        ; implicit-def: $vgpr12
                                        ; implicit-def: $vgpr13
	s_branch .LBB407_104
.LBB407_101:
	v_mov_b32_e32 v17, v15
	v_mov_b32_e32 v13, 0
	s_and_b32 s7, s7, 3
	s_delay_alu instid0(SALU_CYCLE_1)
	s_cmp_eq_u32 s7, 0
	s_cbranch_scc1 .LBB407_104
.LBB407_102:
	s_lshl_b32 s2, s8, 3
	s_mul_i32 s4, s8, 12
	s_add_u32 s2, s2, s0
	s_addc_u32 s3, 0, s1
	s_add_u32 s2, s2, 0xc4
	s_addc_u32 s3, s3, 0
	;; [unrolled: 2-line block ×3, first 2 shown]
	.p2align	6
.LBB407_103:                            ; =>This Inner Loop Header: Depth=1
	s_clause 0x1
	s_load_b64 s[8:9], s[4:5], 0x4
	s_load_b32 s12, s[4:5], 0xc
	s_load_b64 s[10:11], s[2:3], 0x0
	s_add_u32 s4, s4, 12
	s_addc_u32 s5, s5, 0
	s_add_u32 s2, s2, 8
	s_addc_u32 s3, s3, 0
	s_add_i32 s7, s7, -1
	s_delay_alu instid0(SALU_CYCLE_1) | instskip(SKIP_2) | instid1(VALU_DEP_1)
	s_cmp_lg_u32 s7, 0
	s_waitcnt lgkmcnt(0)
	v_mul_hi_u32 v18, s9, v17
	v_add_nc_u32_e32 v18, v17, v18
	s_delay_alu instid0(VALU_DEP_1) | instskip(NEXT) | instid1(VALU_DEP_1)
	v_lshrrev_b32_e32 v21, s12, v18
	v_mul_lo_u32 v18, v21, s8
	s_delay_alu instid0(VALU_DEP_1) | instskip(NEXT) | instid1(VALU_DEP_1)
	v_sub_nc_u32_e32 v17, v17, v18
	v_mad_u64_u32 v[18:19], null, v17, s10, v[12:13]
	v_mad_u64_u32 v[19:20], null, v17, s11, v[13:14]
	s_delay_alu instid0(VALU_DEP_2) | instskip(NEXT) | instid1(VALU_DEP_2)
	v_dual_mov_b32 v17, v21 :: v_dual_mov_b32 v12, v18
	v_mov_b32_e32 v13, v19
	s_cbranch_scc1 .LBB407_103
.LBB407_104:
	s_and_not1_b32 vcc_lo, exec_lo, s6
	s_cbranch_vccnz .LBB407_107
; %bb.105:
	s_clause 0x1
	s_load_b128 s[4:7], s[0:1], 0x4
	s_load_b64 s[2:3], s[0:1], 0xc4
	s_cmp_lt_u32 s22, 2
	s_waitcnt lgkmcnt(0)
	v_mul_hi_u32 v12, s5, v15
	s_delay_alu instid0(VALU_DEP_1) | instskip(NEXT) | instid1(VALU_DEP_1)
	v_add_nc_u32_e32 v12, v15, v12
	v_lshrrev_b32_e32 v17, s6, v12
	s_delay_alu instid0(VALU_DEP_1) | instskip(NEXT) | instid1(VALU_DEP_1)
	v_mul_lo_u32 v12, v17, s4
	v_sub_nc_u32_e32 v13, v15, v12
	s_delay_alu instid0(VALU_DEP_1)
	v_mul_lo_u32 v12, v13, s2
	v_mul_lo_u32 v13, v13, s3
	s_cbranch_scc1 .LBB407_107
; %bb.106:
	s_clause 0x1
	s_load_b128 s[4:7], s[0:1], 0x10
	s_load_b64 s[2:3], s[0:1], 0xcc
	s_waitcnt lgkmcnt(0)
	v_mul_hi_u32 v15, s5, v17
	s_delay_alu instid0(VALU_DEP_1) | instskip(NEXT) | instid1(VALU_DEP_1)
	v_add_nc_u32_e32 v15, v17, v15
	v_lshrrev_b32_e32 v15, s6, v15
	s_delay_alu instid0(VALU_DEP_1) | instskip(NEXT) | instid1(VALU_DEP_1)
	v_mul_lo_u32 v15, v15, s4
	v_sub_nc_u32_e32 v15, v17, v15
	s_delay_alu instid0(VALU_DEP_1) | instskip(SKIP_1) | instid1(VALU_DEP_1)
	v_mad_u64_u32 v[17:18], null, v15, s2, v[12:13]
	v_mad_u64_u32 v[18:19], null, v15, s3, v[13:14]
	v_dual_mov_b32 v12, v17 :: v_dual_mov_b32 v13, v18
.LBB407_107:
	v_cmp_ne_u32_e32 vcc_lo, 1, v14
	s_cbranch_vccnz .LBB407_113
; %bb.108:
	v_dual_mov_b32 v14, 0 :: v_dual_mov_b32 v15, 0
	s_cmp_lg_u32 s22, 0
	s_mov_b32 s6, 0
	s_cbranch_scc0 .LBB407_117
; %bb.109:
	s_min_u32 s7, s23, 15
	v_mov_b32_e32 v14, 0
	s_add_i32 s7, s7, 1
	s_cmp_eq_u32 s23, 2
	s_mov_b32 s8, 0
	s_cbranch_scc1 .LBB407_114
; %bb.110:
	v_dual_mov_b32 v15, 0 :: v_dual_mov_b32 v14, 0
	v_mov_b32_e32 v17, v16
	s_add_u32 s2, s0, 0xc4
	s_addc_u32 s3, s1, 0
	s_and_b32 s8, s7, 28
	s_mov_b32 s9, 0
	s_mov_b64 s[4:5], s[0:1]
.LBB407_111:                            ; =>This Inner Loop Header: Depth=1
	s_clause 0x1
	s_load_b256 s[12:19], s[4:5], 0x4
	s_load_b128 s[36:39], s[4:5], 0x24
	s_load_b256 s[24:31], s[2:3], 0x0
	s_add_u32 s4, s4, 48
	s_addc_u32 s5, s5, 0
	s_add_i32 s9, s9, 4
	s_add_u32 s2, s2, 32
	s_addc_u32 s3, s3, 0
	s_cmp_lg_u32 s8, s9
	s_waitcnt lgkmcnt(0)
	v_mul_hi_u32 v18, s13, v17
	s_delay_alu instid0(VALU_DEP_1) | instskip(NEXT) | instid1(VALU_DEP_1)
	v_add_nc_u32_e32 v18, v17, v18
	v_lshrrev_b32_e32 v18, s14, v18
	s_delay_alu instid0(VALU_DEP_1) | instskip(SKIP_1) | instid1(VALU_DEP_2)
	v_mul_hi_u32 v19, s16, v18
	v_mul_lo_u32 v21, v18, s12
	v_add_nc_u32_e32 v19, v18, v19
	s_delay_alu instid0(VALU_DEP_2) | instskip(NEXT) | instid1(VALU_DEP_2)
	v_sub_nc_u32_e32 v17, v17, v21
	v_lshrrev_b32_e32 v19, s17, v19
	s_delay_alu instid0(VALU_DEP_2) | instskip(SKIP_1) | instid1(VALU_DEP_3)
	v_mul_lo_u32 v21, v17, s24
	v_mul_lo_u32 v23, v17, s25
	v_mul_hi_u32 v20, s19, v19
	s_delay_alu instid0(VALU_DEP_1) | instskip(NEXT) | instid1(VALU_DEP_1)
	v_add_nc_u32_e32 v20, v19, v20
	v_lshrrev_b32_e32 v20, s36, v20
	s_delay_alu instid0(VALU_DEP_1) | instskip(SKIP_1) | instid1(VALU_DEP_2)
	v_mul_hi_u32 v22, s38, v20
	v_mul_lo_u32 v24, v20, s18
	v_add_nc_u32_e32 v17, v20, v22
	v_mul_lo_u32 v22, v19, s15
	s_delay_alu instid0(VALU_DEP_3) | instskip(NEXT) | instid1(VALU_DEP_3)
	v_sub_nc_u32_e32 v19, v19, v24
	v_lshrrev_b32_e32 v17, s39, v17
	s_delay_alu instid0(VALU_DEP_2) | instskip(SKIP_2) | instid1(VALU_DEP_4)
	v_mul_lo_u32 v24, v19, s28
	v_mul_lo_u32 v19, v19, s29
	v_sub_nc_u32_e32 v18, v18, v22
	v_mul_lo_u32 v25, v17, s37
	s_delay_alu instid0(VALU_DEP_2) | instskip(SKIP_1) | instid1(VALU_DEP_3)
	v_mul_lo_u32 v22, v18, s26
	v_mul_lo_u32 v18, v18, s27
	v_sub_nc_u32_e32 v20, v20, v25
	s_delay_alu instid0(VALU_DEP_3) | instskip(NEXT) | instid1(VALU_DEP_2)
	v_add3_u32 v14, v21, v14, v22
	v_mul_lo_u32 v25, v20, s30
	v_mul_lo_u32 v20, v20, s31
	v_add3_u32 v15, v23, v15, v18
	s_delay_alu instid0(VALU_DEP_3) | instskip(NEXT) | instid1(VALU_DEP_2)
	v_add3_u32 v14, v24, v14, v25
	v_add3_u32 v15, v19, v15, v20
	s_cbranch_scc1 .LBB407_111
; %bb.112:
	s_and_b32 s7, s7, 3
	s_delay_alu instid0(SALU_CYCLE_1)
	s_cmp_eq_u32 s7, 0
	s_cbranch_scc0 .LBB407_115
	s_branch .LBB407_117
.LBB407_113:
	s_mov_b32 s6, -1
                                        ; implicit-def: $vgpr14
                                        ; implicit-def: $vgpr15
	s_branch .LBB407_117
.LBB407_114:
	v_mov_b32_e32 v17, v16
	v_mov_b32_e32 v15, 0
	s_and_b32 s7, s7, 3
	s_delay_alu instid0(SALU_CYCLE_1)
	s_cmp_eq_u32 s7, 0
	s_cbranch_scc1 .LBB407_117
.LBB407_115:
	s_lshl_b32 s2, s8, 3
	s_mul_i32 s4, s8, 12
	s_add_u32 s2, s2, s0
	s_addc_u32 s3, 0, s1
	s_add_u32 s2, s2, 0xc4
	s_addc_u32 s3, s3, 0
	;; [unrolled: 2-line block ×3, first 2 shown]
	.p2align	6
.LBB407_116:                            ; =>This Inner Loop Header: Depth=1
	s_clause 0x1
	s_load_b64 s[8:9], s[4:5], 0x4
	s_load_b32 s12, s[4:5], 0xc
	s_load_b64 s[10:11], s[2:3], 0x0
	s_add_u32 s4, s4, 12
	s_addc_u32 s5, s5, 0
	s_add_u32 s2, s2, 8
	s_addc_u32 s3, s3, 0
	s_add_i32 s7, s7, -1
	s_delay_alu instid0(SALU_CYCLE_1) | instskip(SKIP_2) | instid1(VALU_DEP_1)
	s_cmp_lg_u32 s7, 0
	s_waitcnt lgkmcnt(0)
	v_mul_hi_u32 v18, s9, v17
	v_add_nc_u32_e32 v18, v17, v18
	s_delay_alu instid0(VALU_DEP_1) | instskip(NEXT) | instid1(VALU_DEP_1)
	v_lshrrev_b32_e32 v21, s12, v18
	v_mul_lo_u32 v18, v21, s8
	s_delay_alu instid0(VALU_DEP_1) | instskip(NEXT) | instid1(VALU_DEP_1)
	v_sub_nc_u32_e32 v17, v17, v18
	v_mad_u64_u32 v[18:19], null, v17, s10, v[14:15]
	v_mad_u64_u32 v[19:20], null, v17, s11, v[15:16]
	s_delay_alu instid0(VALU_DEP_2) | instskip(NEXT) | instid1(VALU_DEP_2)
	v_dual_mov_b32 v17, v21 :: v_dual_mov_b32 v14, v18
	v_mov_b32_e32 v15, v19
	s_cbranch_scc1 .LBB407_116
.LBB407_117:
	s_and_not1_b32 vcc_lo, exec_lo, s6
	s_cbranch_vccnz .LBB407_120
; %bb.118:
	s_clause 0x1
	s_load_b128 s[4:7], s[0:1], 0x4
	s_load_b64 s[2:3], s[0:1], 0xc4
	s_cmp_lt_u32 s22, 2
	s_waitcnt lgkmcnt(0)
	v_mul_hi_u32 v14, s5, v16
	s_delay_alu instid0(VALU_DEP_1) | instskip(NEXT) | instid1(VALU_DEP_1)
	v_add_nc_u32_e32 v14, v16, v14
	v_lshrrev_b32_e32 v17, s6, v14
	s_delay_alu instid0(VALU_DEP_1) | instskip(NEXT) | instid1(VALU_DEP_1)
	v_mul_lo_u32 v14, v17, s4
	v_sub_nc_u32_e32 v15, v16, v14
	s_delay_alu instid0(VALU_DEP_1)
	v_mul_lo_u32 v14, v15, s2
	v_mul_lo_u32 v15, v15, s3
	s_cbranch_scc1 .LBB407_120
; %bb.119:
	s_clause 0x1
	s_load_b128 s[4:7], s[0:1], 0x10
	s_load_b64 s[2:3], s[0:1], 0xcc
	s_waitcnt lgkmcnt(0)
	v_mul_hi_u32 v16, s5, v17
	s_delay_alu instid0(VALU_DEP_1) | instskip(NEXT) | instid1(VALU_DEP_1)
	v_add_nc_u32_e32 v16, v17, v16
	v_lshrrev_b32_e32 v16, s6, v16
	s_delay_alu instid0(VALU_DEP_1) | instskip(NEXT) | instid1(VALU_DEP_1)
	v_mul_lo_u32 v16, v16, s4
	v_sub_nc_u32_e32 v19, v17, v16
	s_delay_alu instid0(VALU_DEP_1) | instskip(NEXT) | instid1(VALU_DEP_1)
	v_mad_u64_u32 v[16:17], null, v19, s2, v[14:15]
	v_mad_u64_u32 v[17:18], null, v19, s3, v[15:16]
	s_delay_alu instid0(VALU_DEP_1)
	v_dual_mov_b32 v14, v16 :: v_dual_mov_b32 v15, v17
.LBB407_120:
	s_clause 0x1
	s_load_b128 s[16:19], s[0:1], 0x148
	s_load_b32 s15, s[0:1], 0x158
	s_waitcnt lgkmcnt(0)
	s_clause 0x7
	global_load_u16 v1, v1, s[18:19]
	global_load_u16 v3, v3, s[18:19]
	;; [unrolled: 1-line block ×8, first 2 shown]
	s_waitcnt vmcnt(7)
	v_cmp_u_f16_e32 vcc_lo, v1, v1
	v_cmp_lt_f16_e64 s0, s15, v1
	s_waitcnt vmcnt(6)
	v_cmp_u_f16_e64 s1, v3, v3
	v_cmp_lt_f16_e64 s2, s15, v3
	s_waitcnt vmcnt(5)
	v_cmp_u_f16_e64 s3, v5, v5
	v_cmp_lt_f16_e64 s4, s15, v5
	s_or_b32 vcc_lo, vcc_lo, s0
	s_waitcnt vmcnt(4)
	v_cmp_u_f16_e64 s5, v7, v7
	v_cmp_lt_f16_e64 s6, s15, v7
	v_cndmask_b32_e32 v1, s15, v1, vcc_lo
	s_or_b32 vcc_lo, s1, s2
	s_waitcnt vmcnt(3)
	v_cmp_u_f16_e64 s7, v9, v9
	v_cmp_lt_f16_e64 s8, s15, v9
	v_cndmask_b32_e32 v3, s15, v3, vcc_lo
	s_or_b32 vcc_lo, s3, s4
	;; [unrolled: 5-line block ×5, first 2 shown]
	v_cndmask_b32_e32 v11, s15, v11, vcc_lo
	s_or_b32 vcc_lo, s11, s12
	v_cndmask_b32_e32 v13, s15, v13, vcc_lo
	s_or_b32 vcc_lo, s13, s14
	v_cndmask_b32_e32 v15, s15, v15, vcc_lo
	s_clause 0x7
	global_store_b16 v0, v1, s[16:17]
	global_store_b16 v2, v3, s[16:17]
	global_store_b16 v4, v5, s[16:17]
	global_store_b16 v6, v7, s[16:17]
	global_store_b16 v8, v9, s[16:17]
	global_store_b16 v10, v11, s[16:17]
	global_store_b16 v12, v13, s[16:17]
	global_store_b16 v14, v15, s[16:17]
	s_nop 0
	s_sendmsg sendmsg(MSG_DEALLOC_VGPRS)
	s_endpgm
.LBB407_121:
	v_dual_mov_b32 v2, v12 :: v_dual_mov_b32 v1, 0
.LBB407_122:
	s_and_b32 s35, s35, 3
	s_delay_alu instid0(SALU_CYCLE_1)
	s_cmp_eq_u32 s35, 0
	s_cbranch_scc1 .LBB407_125
; %bb.123:
	s_lshl_b32 s2, s34, 3
	s_mul_i32 s20, s34, 12
	s_add_u32 s2, s2, s0
	s_addc_u32 s3, s1, 0
	s_add_u32 s2, s2, 0xc4
	s_addc_u32 s3, s3, 0
	;; [unrolled: 2-line block ×3, first 2 shown]
	.p2align	6
.LBB407_124:                            ; =>This Inner Loop Header: Depth=1
	s_clause 0x1
	s_load_b64 s[36:37], s[20:21], 0x4
	s_load_b32 s34, s[20:21], 0xc
	s_load_b64 s[38:39], s[2:3], 0x0
	s_add_u32 s20, s20, 12
	s_addc_u32 s21, s21, 0
	s_add_u32 s2, s2, 8
	s_addc_u32 s3, s3, 0
	s_add_i32 s35, s35, -1
	s_delay_alu instid0(SALU_CYCLE_1) | instskip(SKIP_2) | instid1(VALU_DEP_1)
	s_cmp_lg_u32 s35, 0
	s_waitcnt lgkmcnt(0)
	v_mul_hi_u32 v3, s37, v2
	v_add_nc_u32_e32 v3, v2, v3
	s_delay_alu instid0(VALU_DEP_1) | instskip(NEXT) | instid1(VALU_DEP_1)
	v_lshrrev_b32_e32 v6, s34, v3
	v_mul_lo_u32 v3, v6, s36
	s_delay_alu instid0(VALU_DEP_1) | instskip(NEXT) | instid1(VALU_DEP_1)
	v_sub_nc_u32_e32 v2, v2, v3
	v_mad_u64_u32 v[3:4], null, v2, s38, v[0:1]
	v_mad_u64_u32 v[4:5], null, v2, s39, v[1:2]
	v_mov_b32_e32 v2, v6
	s_delay_alu instid0(VALU_DEP_2)
	v_dual_mov_b32 v0, v3 :: v_dual_mov_b32 v1, v4
	s_cbranch_scc1 .LBB407_124
.LBB407_125:
	s_and_not1_b32 vcc_lo, exec_lo, s33
	s_cbranch_vccnz .LBB407_128
; %bb.126:
	s_waitcnt lgkmcnt(0)
	v_mul_hi_u32 v0, s13, v12
	s_and_not1_b32 vcc_lo, exec_lo, s27
	s_delay_alu instid0(VALU_DEP_1) | instskip(NEXT) | instid1(VALU_DEP_1)
	v_add_nc_u32_e32 v0, v12, v0
	v_lshrrev_b32_e32 v2, s14, v0
	s_delay_alu instid0(VALU_DEP_1) | instskip(NEXT) | instid1(VALU_DEP_1)
	v_mul_lo_u32 v0, v2, s12
	v_sub_nc_u32_e32 v1, v12, v0
	s_delay_alu instid0(VALU_DEP_1)
	v_mul_lo_u32 v0, v1, s8
	v_mul_lo_u32 v1, v1, s9
	s_cbranch_vccnz .LBB407_128
; %bb.127:
	v_mul_hi_u32 v3, s16, v2
	s_delay_alu instid0(VALU_DEP_1) | instskip(NEXT) | instid1(VALU_DEP_1)
	v_add_nc_u32_e32 v3, v2, v3
	v_lshrrev_b32_e32 v3, s17, v3
	s_delay_alu instid0(VALU_DEP_1) | instskip(NEXT) | instid1(VALU_DEP_1)
	v_mul_lo_u32 v3, v3, s15
	v_sub_nc_u32_e32 v5, v2, v3
	s_delay_alu instid0(VALU_DEP_1) | instskip(NEXT) | instid1(VALU_DEP_1)
	v_mad_u64_u32 v[2:3], null, v5, s10, v[0:1]
	v_mad_u64_u32 v[3:4], null, v5, s11, v[1:2]
	s_delay_alu instid0(VALU_DEP_1)
	v_dual_mov_b32 v0, v2 :: v_dual_mov_b32 v1, v3
.LBB407_128:
	s_waitcnt lgkmcnt(0)
	global_load_u16 v1, v1, s[6:7]
	v_add_nc_u32_e32 v12, 0x80, v12
	s_waitcnt vmcnt(0)
	v_cmp_u_f16_e32 vcc_lo, v1, v1
	v_cmp_lt_f16_e64 s2, s26, v1
	s_delay_alu instid0(VALU_DEP_1) | instskip(SKIP_3) | instid1(SALU_CYCLE_1)
	s_or_b32 vcc_lo, vcc_lo, s2
	v_cndmask_b32_e32 v1, s26, v1, vcc_lo
	global_store_b16 v0, v1, s[4:5]
	s_or_b32 exec_lo, exec_lo, s31
	s_mov_b32 s31, exec_lo
	v_cmpx_gt_i32_e64 s28, v12
	s_cbranch_execnz .LBB407_15
.LBB407_129:
	s_or_b32 exec_lo, exec_lo, s31
	s_delay_alu instid0(SALU_CYCLE_1)
	s_mov_b32 s31, exec_lo
	v_cmpx_gt_i32_e64 s28, v12
	s_cbranch_execz .LBB407_144
.LBB407_130:
	s_and_not1_b32 vcc_lo, exec_lo, s24
	s_cbranch_vccnz .LBB407_135
; %bb.131:
	v_dual_mov_b32 v0, 0 :: v_dual_mov_b32 v1, 0
	s_and_not1_b32 vcc_lo, exec_lo, s30
	s_mov_b32 s33, 0
	s_cbranch_vccnz .LBB407_155
; %bb.132:
	v_mov_b32_e32 v0, 0
	s_add_i32 s35, s29, 1
	s_cmp_eq_u32 s23, 2
	s_mov_b32 s34, 0
	s_cbranch_scc1 .LBB407_151
; %bb.133:
	v_dual_mov_b32 v1, 0 :: v_dual_mov_b32 v0, 0
	v_mov_b32_e32 v2, v12
	s_and_b32 s34, s35, 28
	s_mov_b32 s36, 0
	s_mov_b64 s[2:3], s[18:19]
	s_mov_b64 s[20:21], s[0:1]
.LBB407_134:                            ; =>This Inner Loop Header: Depth=1
	s_clause 0x1
	s_load_b256 s[40:47], s[20:21], 0x4
	s_load_b128 s[56:59], s[20:21], 0x24
	s_load_b256 s[48:55], s[2:3], 0x0
	s_add_u32 s20, s20, 48
	s_addc_u32 s21, s21, 0
	s_add_i32 s36, s36, 4
	s_add_u32 s2, s2, 32
	s_addc_u32 s3, s3, 0
	s_cmp_eq_u32 s34, s36
	s_waitcnt lgkmcnt(0)
	v_mul_hi_u32 v3, s41, v2
	s_delay_alu instid0(VALU_DEP_1) | instskip(NEXT) | instid1(VALU_DEP_1)
	v_add_nc_u32_e32 v3, v2, v3
	v_lshrrev_b32_e32 v3, s42, v3
	s_delay_alu instid0(VALU_DEP_1) | instskip(SKIP_1) | instid1(VALU_DEP_2)
	v_mul_hi_u32 v4, s44, v3
	v_mul_lo_u32 v6, v3, s40
	v_add_nc_u32_e32 v4, v3, v4
	s_delay_alu instid0(VALU_DEP_2) | instskip(NEXT) | instid1(VALU_DEP_2)
	v_sub_nc_u32_e32 v2, v2, v6
	v_lshrrev_b32_e32 v4, s45, v4
	s_delay_alu instid0(VALU_DEP_2) | instskip(SKIP_1) | instid1(VALU_DEP_3)
	v_mul_lo_u32 v6, v2, s48
	v_mul_lo_u32 v8, v2, s49
	v_mul_hi_u32 v5, s47, v4
	s_delay_alu instid0(VALU_DEP_1) | instskip(NEXT) | instid1(VALU_DEP_1)
	v_add_nc_u32_e32 v5, v4, v5
	v_lshrrev_b32_e32 v5, s56, v5
	s_delay_alu instid0(VALU_DEP_1) | instskip(SKIP_1) | instid1(VALU_DEP_2)
	v_mul_hi_u32 v7, s58, v5
	v_mul_lo_u32 v9, v5, s46
	v_add_nc_u32_e32 v2, v5, v7
	v_mul_lo_u32 v7, v4, s43
	s_delay_alu instid0(VALU_DEP_3) | instskip(NEXT) | instid1(VALU_DEP_3)
	v_sub_nc_u32_e32 v4, v4, v9
	v_lshrrev_b32_e32 v2, s59, v2
	s_delay_alu instid0(VALU_DEP_2) | instskip(SKIP_2) | instid1(VALU_DEP_4)
	v_mul_lo_u32 v9, v4, s52
	v_mul_lo_u32 v4, v4, s53
	v_sub_nc_u32_e32 v3, v3, v7
	v_mul_lo_u32 v10, v2, s57
	s_delay_alu instid0(VALU_DEP_2) | instskip(SKIP_1) | instid1(VALU_DEP_3)
	v_mul_lo_u32 v7, v3, s50
	v_mul_lo_u32 v3, v3, s51
	v_sub_nc_u32_e32 v5, v5, v10
	s_delay_alu instid0(VALU_DEP_3) | instskip(NEXT) | instid1(VALU_DEP_2)
	v_add3_u32 v0, v6, v0, v7
	v_mul_lo_u32 v10, v5, s54
	v_mul_lo_u32 v5, v5, s55
	v_add3_u32 v1, v8, v1, v3
	s_delay_alu instid0(VALU_DEP_3) | instskip(NEXT) | instid1(VALU_DEP_2)
	v_add3_u32 v0, v9, v0, v10
	v_add3_u32 v1, v4, v1, v5
	s_cbranch_scc0 .LBB407_134
	s_branch .LBB407_152
.LBB407_135:
	s_mov_b32 s33, -1
                                        ; implicit-def: $vgpr0
                                        ; implicit-def: $vgpr1
	s_branch .LBB407_155
.LBB407_136:
	v_dual_mov_b32 v2, v12 :: v_dual_mov_b32 v1, 0
.LBB407_137:
	s_and_b32 s35, s35, 3
	s_delay_alu instid0(SALU_CYCLE_1)
	s_cmp_eq_u32 s35, 0
	s_cbranch_scc1 .LBB407_140
; %bb.138:
	s_lshl_b32 s2, s34, 3
	s_mul_i32 s20, s34, 12
	s_add_u32 s2, s2, s0
	s_addc_u32 s3, s1, 0
	s_add_u32 s2, s2, 0xc4
	s_addc_u32 s3, s3, 0
	;; [unrolled: 2-line block ×3, first 2 shown]
	.p2align	6
.LBB407_139:                            ; =>This Inner Loop Header: Depth=1
	s_clause 0x1
	s_load_b64 s[36:37], s[20:21], 0x4
	s_load_b32 s34, s[20:21], 0xc
	s_load_b64 s[38:39], s[2:3], 0x0
	s_add_u32 s20, s20, 12
	s_addc_u32 s21, s21, 0
	s_add_u32 s2, s2, 8
	s_addc_u32 s3, s3, 0
	s_add_i32 s35, s35, -1
	s_delay_alu instid0(SALU_CYCLE_1) | instskip(SKIP_2) | instid1(VALU_DEP_1)
	s_cmp_lg_u32 s35, 0
	s_waitcnt lgkmcnt(0)
	v_mul_hi_u32 v3, s37, v2
	v_add_nc_u32_e32 v3, v2, v3
	s_delay_alu instid0(VALU_DEP_1) | instskip(NEXT) | instid1(VALU_DEP_1)
	v_lshrrev_b32_e32 v6, s34, v3
	v_mul_lo_u32 v3, v6, s36
	s_delay_alu instid0(VALU_DEP_1) | instskip(NEXT) | instid1(VALU_DEP_1)
	v_sub_nc_u32_e32 v2, v2, v3
	v_mad_u64_u32 v[3:4], null, v2, s38, v[0:1]
	v_mad_u64_u32 v[4:5], null, v2, s39, v[1:2]
	v_mov_b32_e32 v2, v6
	s_delay_alu instid0(VALU_DEP_2)
	v_dual_mov_b32 v0, v3 :: v_dual_mov_b32 v1, v4
	s_cbranch_scc1 .LBB407_139
.LBB407_140:
	s_and_not1_b32 vcc_lo, exec_lo, s33
	s_cbranch_vccnz .LBB407_143
; %bb.141:
	s_waitcnt lgkmcnt(0)
	v_mul_hi_u32 v0, s13, v12
	s_and_not1_b32 vcc_lo, exec_lo, s27
	s_delay_alu instid0(VALU_DEP_1) | instskip(NEXT) | instid1(VALU_DEP_1)
	v_add_nc_u32_e32 v0, v12, v0
	v_lshrrev_b32_e32 v2, s14, v0
	s_delay_alu instid0(VALU_DEP_1) | instskip(NEXT) | instid1(VALU_DEP_1)
	v_mul_lo_u32 v0, v2, s12
	v_sub_nc_u32_e32 v1, v12, v0
	s_delay_alu instid0(VALU_DEP_1)
	v_mul_lo_u32 v0, v1, s8
	v_mul_lo_u32 v1, v1, s9
	s_cbranch_vccnz .LBB407_143
; %bb.142:
	v_mul_hi_u32 v3, s16, v2
	s_delay_alu instid0(VALU_DEP_1) | instskip(NEXT) | instid1(VALU_DEP_1)
	v_add_nc_u32_e32 v3, v2, v3
	v_lshrrev_b32_e32 v3, s17, v3
	s_delay_alu instid0(VALU_DEP_1) | instskip(NEXT) | instid1(VALU_DEP_1)
	v_mul_lo_u32 v3, v3, s15
	v_sub_nc_u32_e32 v5, v2, v3
	s_delay_alu instid0(VALU_DEP_1) | instskip(NEXT) | instid1(VALU_DEP_1)
	v_mad_u64_u32 v[2:3], null, v5, s10, v[0:1]
	v_mad_u64_u32 v[3:4], null, v5, s11, v[1:2]
	s_delay_alu instid0(VALU_DEP_1)
	v_dual_mov_b32 v0, v2 :: v_dual_mov_b32 v1, v3
.LBB407_143:
	s_waitcnt lgkmcnt(0)
	global_load_u16 v1, v1, s[6:7]
	v_add_nc_u32_e32 v12, 0x80, v12
	s_waitcnt vmcnt(0)
	v_cmp_u_f16_e32 vcc_lo, v1, v1
	v_cmp_lt_f16_e64 s2, s26, v1
	s_delay_alu instid0(VALU_DEP_1) | instskip(SKIP_3) | instid1(SALU_CYCLE_1)
	s_or_b32 vcc_lo, vcc_lo, s2
	v_cndmask_b32_e32 v1, s26, v1, vcc_lo
	global_store_b16 v0, v1, s[4:5]
	s_or_b32 exec_lo, exec_lo, s31
	s_mov_b32 s31, exec_lo
	v_cmpx_gt_i32_e64 s28, v12
	s_cbranch_execnz .LBB407_130
.LBB407_144:
	s_or_b32 exec_lo, exec_lo, s31
	s_delay_alu instid0(SALU_CYCLE_1)
	s_mov_b32 s31, exec_lo
	v_cmpx_gt_i32_e64 s28, v12
	s_cbranch_execz .LBB407_159
.LBB407_145:
	s_and_not1_b32 vcc_lo, exec_lo, s24
	s_cbranch_vccnz .LBB407_150
; %bb.146:
	v_dual_mov_b32 v0, 0 :: v_dual_mov_b32 v1, 0
	s_and_not1_b32 vcc_lo, exec_lo, s30
	s_mov_b32 s33, 0
	s_cbranch_vccnz .LBB407_170
; %bb.147:
	v_mov_b32_e32 v0, 0
	s_add_i32 s35, s29, 1
	s_cmp_eq_u32 s23, 2
	s_mov_b32 s34, 0
	s_cbranch_scc1 .LBB407_166
; %bb.148:
	v_dual_mov_b32 v1, 0 :: v_dual_mov_b32 v0, 0
	v_mov_b32_e32 v2, v12
	s_and_b32 s34, s35, 28
	s_mov_b32 s36, 0
	s_mov_b64 s[2:3], s[18:19]
	s_mov_b64 s[20:21], s[0:1]
.LBB407_149:                            ; =>This Inner Loop Header: Depth=1
	s_clause 0x1
	s_load_b256 s[40:47], s[20:21], 0x4
	s_load_b128 s[56:59], s[20:21], 0x24
	s_load_b256 s[48:55], s[2:3], 0x0
	s_add_u32 s20, s20, 48
	s_addc_u32 s21, s21, 0
	s_add_i32 s36, s36, 4
	s_add_u32 s2, s2, 32
	s_addc_u32 s3, s3, 0
	s_cmp_eq_u32 s34, s36
	s_waitcnt lgkmcnt(0)
	v_mul_hi_u32 v3, s41, v2
	s_delay_alu instid0(VALU_DEP_1) | instskip(NEXT) | instid1(VALU_DEP_1)
	v_add_nc_u32_e32 v3, v2, v3
	v_lshrrev_b32_e32 v3, s42, v3
	s_delay_alu instid0(VALU_DEP_1) | instskip(SKIP_1) | instid1(VALU_DEP_2)
	v_mul_hi_u32 v4, s44, v3
	v_mul_lo_u32 v6, v3, s40
	v_add_nc_u32_e32 v4, v3, v4
	s_delay_alu instid0(VALU_DEP_2) | instskip(NEXT) | instid1(VALU_DEP_2)
	v_sub_nc_u32_e32 v2, v2, v6
	v_lshrrev_b32_e32 v4, s45, v4
	s_delay_alu instid0(VALU_DEP_2) | instskip(SKIP_1) | instid1(VALU_DEP_3)
	v_mul_lo_u32 v6, v2, s48
	v_mul_lo_u32 v8, v2, s49
	v_mul_hi_u32 v5, s47, v4
	s_delay_alu instid0(VALU_DEP_1) | instskip(NEXT) | instid1(VALU_DEP_1)
	v_add_nc_u32_e32 v5, v4, v5
	v_lshrrev_b32_e32 v5, s56, v5
	s_delay_alu instid0(VALU_DEP_1) | instskip(SKIP_1) | instid1(VALU_DEP_2)
	v_mul_hi_u32 v7, s58, v5
	v_mul_lo_u32 v9, v5, s46
	v_add_nc_u32_e32 v2, v5, v7
	v_mul_lo_u32 v7, v4, s43
	s_delay_alu instid0(VALU_DEP_3) | instskip(NEXT) | instid1(VALU_DEP_3)
	v_sub_nc_u32_e32 v4, v4, v9
	v_lshrrev_b32_e32 v2, s59, v2
	s_delay_alu instid0(VALU_DEP_2) | instskip(SKIP_2) | instid1(VALU_DEP_4)
	v_mul_lo_u32 v9, v4, s52
	v_mul_lo_u32 v4, v4, s53
	v_sub_nc_u32_e32 v3, v3, v7
	v_mul_lo_u32 v10, v2, s57
	s_delay_alu instid0(VALU_DEP_2) | instskip(SKIP_1) | instid1(VALU_DEP_3)
	v_mul_lo_u32 v7, v3, s50
	v_mul_lo_u32 v3, v3, s51
	v_sub_nc_u32_e32 v5, v5, v10
	s_delay_alu instid0(VALU_DEP_3) | instskip(NEXT) | instid1(VALU_DEP_2)
	v_add3_u32 v0, v6, v0, v7
	v_mul_lo_u32 v10, v5, s54
	v_mul_lo_u32 v5, v5, s55
	v_add3_u32 v1, v8, v1, v3
	s_delay_alu instid0(VALU_DEP_3) | instskip(NEXT) | instid1(VALU_DEP_2)
	v_add3_u32 v0, v9, v0, v10
	v_add3_u32 v1, v4, v1, v5
	s_cbranch_scc0 .LBB407_149
	s_branch .LBB407_167
.LBB407_150:
	s_mov_b32 s33, -1
                                        ; implicit-def: $vgpr0
                                        ; implicit-def: $vgpr1
	s_branch .LBB407_170
.LBB407_151:
	v_dual_mov_b32 v2, v12 :: v_dual_mov_b32 v1, 0
.LBB407_152:
	s_and_b32 s35, s35, 3
	s_delay_alu instid0(SALU_CYCLE_1)
	s_cmp_eq_u32 s35, 0
	s_cbranch_scc1 .LBB407_155
; %bb.153:
	s_lshl_b32 s2, s34, 3
	s_mul_i32 s20, s34, 12
	s_add_u32 s2, s2, s0
	s_addc_u32 s3, s1, 0
	s_add_u32 s2, s2, 0xc4
	s_addc_u32 s3, s3, 0
	;; [unrolled: 2-line block ×3, first 2 shown]
	.p2align	6
.LBB407_154:                            ; =>This Inner Loop Header: Depth=1
	s_clause 0x1
	s_load_b64 s[36:37], s[20:21], 0x4
	s_load_b32 s34, s[20:21], 0xc
	s_load_b64 s[38:39], s[2:3], 0x0
	s_add_u32 s20, s20, 12
	s_addc_u32 s21, s21, 0
	s_add_u32 s2, s2, 8
	s_addc_u32 s3, s3, 0
	s_add_i32 s35, s35, -1
	s_delay_alu instid0(SALU_CYCLE_1) | instskip(SKIP_2) | instid1(VALU_DEP_1)
	s_cmp_lg_u32 s35, 0
	s_waitcnt lgkmcnt(0)
	v_mul_hi_u32 v3, s37, v2
	v_add_nc_u32_e32 v3, v2, v3
	s_delay_alu instid0(VALU_DEP_1) | instskip(NEXT) | instid1(VALU_DEP_1)
	v_lshrrev_b32_e32 v6, s34, v3
	v_mul_lo_u32 v3, v6, s36
	s_delay_alu instid0(VALU_DEP_1) | instskip(NEXT) | instid1(VALU_DEP_1)
	v_sub_nc_u32_e32 v2, v2, v3
	v_mad_u64_u32 v[3:4], null, v2, s38, v[0:1]
	v_mad_u64_u32 v[4:5], null, v2, s39, v[1:2]
	v_mov_b32_e32 v2, v6
	s_delay_alu instid0(VALU_DEP_2)
	v_dual_mov_b32 v0, v3 :: v_dual_mov_b32 v1, v4
	s_cbranch_scc1 .LBB407_154
.LBB407_155:
	s_and_not1_b32 vcc_lo, exec_lo, s33
	s_cbranch_vccnz .LBB407_158
; %bb.156:
	s_waitcnt lgkmcnt(0)
	v_mul_hi_u32 v0, s13, v12
	s_and_not1_b32 vcc_lo, exec_lo, s27
	s_delay_alu instid0(VALU_DEP_1) | instskip(NEXT) | instid1(VALU_DEP_1)
	v_add_nc_u32_e32 v0, v12, v0
	v_lshrrev_b32_e32 v2, s14, v0
	s_delay_alu instid0(VALU_DEP_1) | instskip(NEXT) | instid1(VALU_DEP_1)
	v_mul_lo_u32 v0, v2, s12
	v_sub_nc_u32_e32 v1, v12, v0
	s_delay_alu instid0(VALU_DEP_1)
	v_mul_lo_u32 v0, v1, s8
	v_mul_lo_u32 v1, v1, s9
	s_cbranch_vccnz .LBB407_158
; %bb.157:
	v_mul_hi_u32 v3, s16, v2
	s_delay_alu instid0(VALU_DEP_1) | instskip(NEXT) | instid1(VALU_DEP_1)
	v_add_nc_u32_e32 v3, v2, v3
	v_lshrrev_b32_e32 v3, s17, v3
	s_delay_alu instid0(VALU_DEP_1) | instskip(NEXT) | instid1(VALU_DEP_1)
	v_mul_lo_u32 v3, v3, s15
	v_sub_nc_u32_e32 v5, v2, v3
	s_delay_alu instid0(VALU_DEP_1) | instskip(NEXT) | instid1(VALU_DEP_1)
	v_mad_u64_u32 v[2:3], null, v5, s10, v[0:1]
	v_mad_u64_u32 v[3:4], null, v5, s11, v[1:2]
	s_delay_alu instid0(VALU_DEP_1)
	v_dual_mov_b32 v0, v2 :: v_dual_mov_b32 v1, v3
.LBB407_158:
	s_waitcnt lgkmcnt(0)
	global_load_u16 v1, v1, s[6:7]
	v_add_nc_u32_e32 v12, 0x80, v12
	s_waitcnt vmcnt(0)
	v_cmp_u_f16_e32 vcc_lo, v1, v1
	v_cmp_lt_f16_e64 s2, s26, v1
	s_delay_alu instid0(VALU_DEP_1) | instskip(SKIP_3) | instid1(SALU_CYCLE_1)
	s_or_b32 vcc_lo, vcc_lo, s2
	v_cndmask_b32_e32 v1, s26, v1, vcc_lo
	global_store_b16 v0, v1, s[4:5]
	s_or_b32 exec_lo, exec_lo, s31
	s_mov_b32 s31, exec_lo
	v_cmpx_gt_i32_e64 s28, v12
	s_cbranch_execnz .LBB407_145
.LBB407_159:
	s_or_b32 exec_lo, exec_lo, s31
	s_delay_alu instid0(SALU_CYCLE_1)
	s_mov_b32 s31, exec_lo
	v_cmpx_gt_i32_e64 s28, v12
	s_cbranch_execz .LBB407_174
.LBB407_160:
	s_and_not1_b32 vcc_lo, exec_lo, s24
	s_cbranch_vccnz .LBB407_165
; %bb.161:
	v_dual_mov_b32 v0, 0 :: v_dual_mov_b32 v1, 0
	s_and_not1_b32 vcc_lo, exec_lo, s30
	s_mov_b32 s33, 0
	s_cbranch_vccnz .LBB407_185
; %bb.162:
	v_mov_b32_e32 v0, 0
	s_add_i32 s35, s29, 1
	s_cmp_eq_u32 s23, 2
	s_mov_b32 s34, 0
	s_cbranch_scc1 .LBB407_181
; %bb.163:
	v_dual_mov_b32 v1, 0 :: v_dual_mov_b32 v0, 0
	v_mov_b32_e32 v2, v12
	s_and_b32 s34, s35, 28
	s_mov_b32 s36, 0
	s_mov_b64 s[2:3], s[18:19]
	s_mov_b64 s[20:21], s[0:1]
.LBB407_164:                            ; =>This Inner Loop Header: Depth=1
	s_clause 0x1
	s_load_b256 s[40:47], s[20:21], 0x4
	s_load_b128 s[56:59], s[20:21], 0x24
	s_load_b256 s[48:55], s[2:3], 0x0
	s_add_u32 s20, s20, 48
	s_addc_u32 s21, s21, 0
	s_add_i32 s36, s36, 4
	s_add_u32 s2, s2, 32
	s_addc_u32 s3, s3, 0
	s_cmp_eq_u32 s34, s36
	s_waitcnt lgkmcnt(0)
	v_mul_hi_u32 v3, s41, v2
	s_delay_alu instid0(VALU_DEP_1) | instskip(NEXT) | instid1(VALU_DEP_1)
	v_add_nc_u32_e32 v3, v2, v3
	v_lshrrev_b32_e32 v3, s42, v3
	s_delay_alu instid0(VALU_DEP_1) | instskip(SKIP_1) | instid1(VALU_DEP_2)
	v_mul_hi_u32 v4, s44, v3
	v_mul_lo_u32 v6, v3, s40
	v_add_nc_u32_e32 v4, v3, v4
	s_delay_alu instid0(VALU_DEP_2) | instskip(NEXT) | instid1(VALU_DEP_2)
	v_sub_nc_u32_e32 v2, v2, v6
	v_lshrrev_b32_e32 v4, s45, v4
	s_delay_alu instid0(VALU_DEP_2) | instskip(SKIP_1) | instid1(VALU_DEP_3)
	v_mul_lo_u32 v6, v2, s48
	v_mul_lo_u32 v8, v2, s49
	v_mul_hi_u32 v5, s47, v4
	s_delay_alu instid0(VALU_DEP_1) | instskip(NEXT) | instid1(VALU_DEP_1)
	v_add_nc_u32_e32 v5, v4, v5
	v_lshrrev_b32_e32 v5, s56, v5
	s_delay_alu instid0(VALU_DEP_1) | instskip(SKIP_1) | instid1(VALU_DEP_2)
	v_mul_hi_u32 v7, s58, v5
	v_mul_lo_u32 v9, v5, s46
	v_add_nc_u32_e32 v2, v5, v7
	v_mul_lo_u32 v7, v4, s43
	s_delay_alu instid0(VALU_DEP_3) | instskip(NEXT) | instid1(VALU_DEP_3)
	v_sub_nc_u32_e32 v4, v4, v9
	v_lshrrev_b32_e32 v2, s59, v2
	s_delay_alu instid0(VALU_DEP_2) | instskip(SKIP_2) | instid1(VALU_DEP_4)
	v_mul_lo_u32 v9, v4, s52
	v_mul_lo_u32 v4, v4, s53
	v_sub_nc_u32_e32 v3, v3, v7
	v_mul_lo_u32 v10, v2, s57
	s_delay_alu instid0(VALU_DEP_2) | instskip(SKIP_1) | instid1(VALU_DEP_3)
	v_mul_lo_u32 v7, v3, s50
	v_mul_lo_u32 v3, v3, s51
	v_sub_nc_u32_e32 v5, v5, v10
	s_delay_alu instid0(VALU_DEP_3) | instskip(NEXT) | instid1(VALU_DEP_2)
	v_add3_u32 v0, v6, v0, v7
	v_mul_lo_u32 v10, v5, s54
	v_mul_lo_u32 v5, v5, s55
	v_add3_u32 v1, v8, v1, v3
	s_delay_alu instid0(VALU_DEP_3) | instskip(NEXT) | instid1(VALU_DEP_2)
	v_add3_u32 v0, v9, v0, v10
	v_add3_u32 v1, v4, v1, v5
	s_cbranch_scc0 .LBB407_164
	s_branch .LBB407_182
.LBB407_165:
	s_mov_b32 s33, -1
                                        ; implicit-def: $vgpr0
                                        ; implicit-def: $vgpr1
	s_branch .LBB407_185
.LBB407_166:
	v_dual_mov_b32 v2, v12 :: v_dual_mov_b32 v1, 0
.LBB407_167:
	s_and_b32 s35, s35, 3
	s_delay_alu instid0(SALU_CYCLE_1)
	s_cmp_eq_u32 s35, 0
	s_cbranch_scc1 .LBB407_170
; %bb.168:
	s_lshl_b32 s2, s34, 3
	s_mul_i32 s20, s34, 12
	s_add_u32 s2, s2, s0
	s_addc_u32 s3, s1, 0
	s_add_u32 s2, s2, 0xc4
	s_addc_u32 s3, s3, 0
	;; [unrolled: 2-line block ×3, first 2 shown]
	.p2align	6
.LBB407_169:                            ; =>This Inner Loop Header: Depth=1
	s_clause 0x1
	s_load_b64 s[36:37], s[20:21], 0x4
	s_load_b32 s34, s[20:21], 0xc
	s_load_b64 s[38:39], s[2:3], 0x0
	s_add_u32 s20, s20, 12
	s_addc_u32 s21, s21, 0
	s_add_u32 s2, s2, 8
	s_addc_u32 s3, s3, 0
	s_add_i32 s35, s35, -1
	s_delay_alu instid0(SALU_CYCLE_1) | instskip(SKIP_2) | instid1(VALU_DEP_1)
	s_cmp_lg_u32 s35, 0
	s_waitcnt lgkmcnt(0)
	v_mul_hi_u32 v3, s37, v2
	v_add_nc_u32_e32 v3, v2, v3
	s_delay_alu instid0(VALU_DEP_1) | instskip(NEXT) | instid1(VALU_DEP_1)
	v_lshrrev_b32_e32 v6, s34, v3
	v_mul_lo_u32 v3, v6, s36
	s_delay_alu instid0(VALU_DEP_1) | instskip(NEXT) | instid1(VALU_DEP_1)
	v_sub_nc_u32_e32 v2, v2, v3
	v_mad_u64_u32 v[3:4], null, v2, s38, v[0:1]
	v_mad_u64_u32 v[4:5], null, v2, s39, v[1:2]
	v_mov_b32_e32 v2, v6
	s_delay_alu instid0(VALU_DEP_2)
	v_dual_mov_b32 v0, v3 :: v_dual_mov_b32 v1, v4
	s_cbranch_scc1 .LBB407_169
.LBB407_170:
	s_and_not1_b32 vcc_lo, exec_lo, s33
	s_cbranch_vccnz .LBB407_173
; %bb.171:
	s_waitcnt lgkmcnt(0)
	v_mul_hi_u32 v0, s13, v12
	s_and_not1_b32 vcc_lo, exec_lo, s27
	s_delay_alu instid0(VALU_DEP_1) | instskip(NEXT) | instid1(VALU_DEP_1)
	v_add_nc_u32_e32 v0, v12, v0
	v_lshrrev_b32_e32 v2, s14, v0
	s_delay_alu instid0(VALU_DEP_1) | instskip(NEXT) | instid1(VALU_DEP_1)
	v_mul_lo_u32 v0, v2, s12
	v_sub_nc_u32_e32 v1, v12, v0
	s_delay_alu instid0(VALU_DEP_1)
	v_mul_lo_u32 v0, v1, s8
	v_mul_lo_u32 v1, v1, s9
	s_cbranch_vccnz .LBB407_173
; %bb.172:
	v_mul_hi_u32 v3, s16, v2
	s_delay_alu instid0(VALU_DEP_1) | instskip(NEXT) | instid1(VALU_DEP_1)
	v_add_nc_u32_e32 v3, v2, v3
	v_lshrrev_b32_e32 v3, s17, v3
	s_delay_alu instid0(VALU_DEP_1) | instskip(NEXT) | instid1(VALU_DEP_1)
	v_mul_lo_u32 v3, v3, s15
	v_sub_nc_u32_e32 v5, v2, v3
	s_delay_alu instid0(VALU_DEP_1) | instskip(NEXT) | instid1(VALU_DEP_1)
	v_mad_u64_u32 v[2:3], null, v5, s10, v[0:1]
	v_mad_u64_u32 v[3:4], null, v5, s11, v[1:2]
	s_delay_alu instid0(VALU_DEP_1)
	v_dual_mov_b32 v0, v2 :: v_dual_mov_b32 v1, v3
.LBB407_173:
	s_waitcnt lgkmcnt(0)
	global_load_u16 v1, v1, s[6:7]
	v_add_nc_u32_e32 v12, 0x80, v12
	s_waitcnt vmcnt(0)
	v_cmp_u_f16_e32 vcc_lo, v1, v1
	v_cmp_lt_f16_e64 s2, s26, v1
	s_delay_alu instid0(VALU_DEP_1) | instskip(SKIP_3) | instid1(SALU_CYCLE_1)
	s_or_b32 vcc_lo, vcc_lo, s2
	v_cndmask_b32_e32 v1, s26, v1, vcc_lo
	global_store_b16 v0, v1, s[4:5]
	s_or_b32 exec_lo, exec_lo, s31
	s_mov_b32 s31, exec_lo
	v_cmpx_gt_i32_e64 s28, v12
	s_cbranch_execnz .LBB407_160
.LBB407_174:
	s_or_b32 exec_lo, exec_lo, s31
	s_delay_alu instid0(SALU_CYCLE_1)
	s_mov_b32 s31, exec_lo
	v_cmpx_gt_i32_e64 s28, v12
	s_cbranch_execz .LBB407_189
.LBB407_175:
	s_and_not1_b32 vcc_lo, exec_lo, s24
	s_cbranch_vccnz .LBB407_180
; %bb.176:
	v_dual_mov_b32 v0, 0 :: v_dual_mov_b32 v1, 0
	s_and_not1_b32 vcc_lo, exec_lo, s30
	s_mov_b32 s33, 0
	s_cbranch_vccnz .LBB407_200
; %bb.177:
	v_mov_b32_e32 v0, 0
	s_add_i32 s35, s29, 1
	s_cmp_eq_u32 s23, 2
	s_mov_b32 s34, 0
	s_cbranch_scc1 .LBB407_196
; %bb.178:
	v_dual_mov_b32 v1, 0 :: v_dual_mov_b32 v0, 0
	v_mov_b32_e32 v2, v12
	s_and_b32 s34, s35, 28
	s_mov_b32 s36, 0
	s_mov_b64 s[2:3], s[18:19]
	s_mov_b64 s[20:21], s[0:1]
.LBB407_179:                            ; =>This Inner Loop Header: Depth=1
	s_clause 0x1
	s_load_b256 s[40:47], s[20:21], 0x4
	s_load_b128 s[56:59], s[20:21], 0x24
	s_load_b256 s[48:55], s[2:3], 0x0
	s_add_u32 s20, s20, 48
	s_addc_u32 s21, s21, 0
	s_add_i32 s36, s36, 4
	s_add_u32 s2, s2, 32
	s_addc_u32 s3, s3, 0
	s_cmp_eq_u32 s34, s36
	s_waitcnt lgkmcnt(0)
	v_mul_hi_u32 v3, s41, v2
	s_delay_alu instid0(VALU_DEP_1) | instskip(NEXT) | instid1(VALU_DEP_1)
	v_add_nc_u32_e32 v3, v2, v3
	v_lshrrev_b32_e32 v3, s42, v3
	s_delay_alu instid0(VALU_DEP_1) | instskip(SKIP_1) | instid1(VALU_DEP_2)
	v_mul_hi_u32 v4, s44, v3
	v_mul_lo_u32 v6, v3, s40
	v_add_nc_u32_e32 v4, v3, v4
	s_delay_alu instid0(VALU_DEP_2) | instskip(NEXT) | instid1(VALU_DEP_2)
	v_sub_nc_u32_e32 v2, v2, v6
	v_lshrrev_b32_e32 v4, s45, v4
	s_delay_alu instid0(VALU_DEP_2) | instskip(SKIP_1) | instid1(VALU_DEP_3)
	v_mul_lo_u32 v6, v2, s48
	v_mul_lo_u32 v8, v2, s49
	v_mul_hi_u32 v5, s47, v4
	s_delay_alu instid0(VALU_DEP_1) | instskip(NEXT) | instid1(VALU_DEP_1)
	v_add_nc_u32_e32 v5, v4, v5
	v_lshrrev_b32_e32 v5, s56, v5
	s_delay_alu instid0(VALU_DEP_1) | instskip(SKIP_1) | instid1(VALU_DEP_2)
	v_mul_hi_u32 v7, s58, v5
	v_mul_lo_u32 v9, v5, s46
	v_add_nc_u32_e32 v2, v5, v7
	v_mul_lo_u32 v7, v4, s43
	s_delay_alu instid0(VALU_DEP_3) | instskip(NEXT) | instid1(VALU_DEP_3)
	v_sub_nc_u32_e32 v4, v4, v9
	v_lshrrev_b32_e32 v2, s59, v2
	s_delay_alu instid0(VALU_DEP_2) | instskip(SKIP_2) | instid1(VALU_DEP_4)
	v_mul_lo_u32 v9, v4, s52
	v_mul_lo_u32 v4, v4, s53
	v_sub_nc_u32_e32 v3, v3, v7
	v_mul_lo_u32 v10, v2, s57
	s_delay_alu instid0(VALU_DEP_2) | instskip(SKIP_1) | instid1(VALU_DEP_3)
	v_mul_lo_u32 v7, v3, s50
	v_mul_lo_u32 v3, v3, s51
	v_sub_nc_u32_e32 v5, v5, v10
	s_delay_alu instid0(VALU_DEP_3) | instskip(NEXT) | instid1(VALU_DEP_2)
	v_add3_u32 v0, v6, v0, v7
	v_mul_lo_u32 v10, v5, s54
	v_mul_lo_u32 v5, v5, s55
	v_add3_u32 v1, v8, v1, v3
	s_delay_alu instid0(VALU_DEP_3) | instskip(NEXT) | instid1(VALU_DEP_2)
	v_add3_u32 v0, v9, v0, v10
	v_add3_u32 v1, v4, v1, v5
	s_cbranch_scc0 .LBB407_179
	s_branch .LBB407_197
.LBB407_180:
	s_mov_b32 s33, -1
                                        ; implicit-def: $vgpr0
                                        ; implicit-def: $vgpr1
	s_branch .LBB407_200
.LBB407_181:
	v_dual_mov_b32 v2, v12 :: v_dual_mov_b32 v1, 0
.LBB407_182:
	s_and_b32 s35, s35, 3
	s_delay_alu instid0(SALU_CYCLE_1)
	s_cmp_eq_u32 s35, 0
	s_cbranch_scc1 .LBB407_185
; %bb.183:
	s_lshl_b32 s2, s34, 3
	s_mul_i32 s20, s34, 12
	s_add_u32 s2, s2, s0
	s_addc_u32 s3, s1, 0
	s_add_u32 s2, s2, 0xc4
	s_addc_u32 s3, s3, 0
	;; [unrolled: 2-line block ×3, first 2 shown]
	.p2align	6
.LBB407_184:                            ; =>This Inner Loop Header: Depth=1
	s_clause 0x1
	s_load_b64 s[36:37], s[20:21], 0x4
	s_load_b32 s34, s[20:21], 0xc
	s_load_b64 s[38:39], s[2:3], 0x0
	s_add_u32 s20, s20, 12
	s_addc_u32 s21, s21, 0
	s_add_u32 s2, s2, 8
	s_addc_u32 s3, s3, 0
	s_add_i32 s35, s35, -1
	s_delay_alu instid0(SALU_CYCLE_1) | instskip(SKIP_2) | instid1(VALU_DEP_1)
	s_cmp_lg_u32 s35, 0
	s_waitcnt lgkmcnt(0)
	v_mul_hi_u32 v3, s37, v2
	v_add_nc_u32_e32 v3, v2, v3
	s_delay_alu instid0(VALU_DEP_1) | instskip(NEXT) | instid1(VALU_DEP_1)
	v_lshrrev_b32_e32 v6, s34, v3
	v_mul_lo_u32 v3, v6, s36
	s_delay_alu instid0(VALU_DEP_1) | instskip(NEXT) | instid1(VALU_DEP_1)
	v_sub_nc_u32_e32 v2, v2, v3
	v_mad_u64_u32 v[3:4], null, v2, s38, v[0:1]
	v_mad_u64_u32 v[4:5], null, v2, s39, v[1:2]
	v_mov_b32_e32 v2, v6
	s_delay_alu instid0(VALU_DEP_2)
	v_dual_mov_b32 v0, v3 :: v_dual_mov_b32 v1, v4
	s_cbranch_scc1 .LBB407_184
.LBB407_185:
	s_and_not1_b32 vcc_lo, exec_lo, s33
	s_cbranch_vccnz .LBB407_188
; %bb.186:
	s_waitcnt lgkmcnt(0)
	v_mul_hi_u32 v0, s13, v12
	s_and_not1_b32 vcc_lo, exec_lo, s27
	s_delay_alu instid0(VALU_DEP_1) | instskip(NEXT) | instid1(VALU_DEP_1)
	v_add_nc_u32_e32 v0, v12, v0
	v_lshrrev_b32_e32 v2, s14, v0
	s_delay_alu instid0(VALU_DEP_1) | instskip(NEXT) | instid1(VALU_DEP_1)
	v_mul_lo_u32 v0, v2, s12
	v_sub_nc_u32_e32 v1, v12, v0
	s_delay_alu instid0(VALU_DEP_1)
	v_mul_lo_u32 v0, v1, s8
	v_mul_lo_u32 v1, v1, s9
	s_cbranch_vccnz .LBB407_188
; %bb.187:
	v_mul_hi_u32 v3, s16, v2
	s_delay_alu instid0(VALU_DEP_1) | instskip(NEXT) | instid1(VALU_DEP_1)
	v_add_nc_u32_e32 v3, v2, v3
	v_lshrrev_b32_e32 v3, s17, v3
	s_delay_alu instid0(VALU_DEP_1) | instskip(NEXT) | instid1(VALU_DEP_1)
	v_mul_lo_u32 v3, v3, s15
	v_sub_nc_u32_e32 v5, v2, v3
	s_delay_alu instid0(VALU_DEP_1) | instskip(NEXT) | instid1(VALU_DEP_1)
	v_mad_u64_u32 v[2:3], null, v5, s10, v[0:1]
	v_mad_u64_u32 v[3:4], null, v5, s11, v[1:2]
	s_delay_alu instid0(VALU_DEP_1)
	v_dual_mov_b32 v0, v2 :: v_dual_mov_b32 v1, v3
.LBB407_188:
	s_waitcnt lgkmcnt(0)
	global_load_u16 v1, v1, s[6:7]
	v_add_nc_u32_e32 v12, 0x80, v12
	s_waitcnt vmcnt(0)
	v_cmp_u_f16_e32 vcc_lo, v1, v1
	v_cmp_lt_f16_e64 s2, s26, v1
	s_delay_alu instid0(VALU_DEP_1) | instskip(SKIP_3) | instid1(SALU_CYCLE_1)
	s_or_b32 vcc_lo, vcc_lo, s2
	v_cndmask_b32_e32 v1, s26, v1, vcc_lo
	global_store_b16 v0, v1, s[4:5]
	s_or_b32 exec_lo, exec_lo, s31
	s_mov_b32 s31, exec_lo
	v_cmpx_gt_i32_e64 s28, v12
	s_cbranch_execnz .LBB407_175
.LBB407_189:
	s_or_b32 exec_lo, exec_lo, s31
	s_delay_alu instid0(SALU_CYCLE_1)
	s_mov_b32 s31, exec_lo
	v_cmpx_gt_i32_e64 s28, v12
	s_cbranch_execz .LBB407_204
.LBB407_190:
	s_and_not1_b32 vcc_lo, exec_lo, s24
	s_cbranch_vccnz .LBB407_195
; %bb.191:
	v_dual_mov_b32 v0, 0 :: v_dual_mov_b32 v1, 0
	s_and_not1_b32 vcc_lo, exec_lo, s30
	s_mov_b32 s33, 0
	s_cbranch_vccnz .LBB407_211
; %bb.192:
	v_mov_b32_e32 v0, 0
	s_add_i32 s35, s29, 1
	s_cmp_eq_u32 s23, 2
	s_mov_b32 s34, 0
	s_cbranch_scc1 .LBB407_207
; %bb.193:
	v_dual_mov_b32 v1, 0 :: v_dual_mov_b32 v0, 0
	v_mov_b32_e32 v2, v12
	s_and_b32 s34, s35, 28
	s_mov_b32 s36, 0
	s_mov_b64 s[2:3], s[18:19]
	s_mov_b64 s[20:21], s[0:1]
.LBB407_194:                            ; =>This Inner Loop Header: Depth=1
	s_clause 0x1
	s_load_b256 s[40:47], s[20:21], 0x4
	s_load_b128 s[56:59], s[20:21], 0x24
	s_load_b256 s[48:55], s[2:3], 0x0
	s_add_u32 s20, s20, 48
	s_addc_u32 s21, s21, 0
	s_add_i32 s36, s36, 4
	s_add_u32 s2, s2, 32
	s_addc_u32 s3, s3, 0
	s_cmp_eq_u32 s34, s36
	s_waitcnt lgkmcnt(0)
	v_mul_hi_u32 v3, s41, v2
	s_delay_alu instid0(VALU_DEP_1) | instskip(NEXT) | instid1(VALU_DEP_1)
	v_add_nc_u32_e32 v3, v2, v3
	v_lshrrev_b32_e32 v3, s42, v3
	s_delay_alu instid0(VALU_DEP_1) | instskip(SKIP_1) | instid1(VALU_DEP_2)
	v_mul_hi_u32 v4, s44, v3
	v_mul_lo_u32 v6, v3, s40
	v_add_nc_u32_e32 v4, v3, v4
	s_delay_alu instid0(VALU_DEP_2) | instskip(NEXT) | instid1(VALU_DEP_2)
	v_sub_nc_u32_e32 v2, v2, v6
	v_lshrrev_b32_e32 v4, s45, v4
	s_delay_alu instid0(VALU_DEP_2) | instskip(SKIP_1) | instid1(VALU_DEP_3)
	v_mul_lo_u32 v6, v2, s48
	v_mul_lo_u32 v8, v2, s49
	v_mul_hi_u32 v5, s47, v4
	s_delay_alu instid0(VALU_DEP_1) | instskip(NEXT) | instid1(VALU_DEP_1)
	v_add_nc_u32_e32 v5, v4, v5
	v_lshrrev_b32_e32 v5, s56, v5
	s_delay_alu instid0(VALU_DEP_1) | instskip(SKIP_1) | instid1(VALU_DEP_2)
	v_mul_hi_u32 v7, s58, v5
	v_mul_lo_u32 v9, v5, s46
	v_add_nc_u32_e32 v2, v5, v7
	v_mul_lo_u32 v7, v4, s43
	s_delay_alu instid0(VALU_DEP_3) | instskip(NEXT) | instid1(VALU_DEP_3)
	v_sub_nc_u32_e32 v4, v4, v9
	v_lshrrev_b32_e32 v2, s59, v2
	s_delay_alu instid0(VALU_DEP_2) | instskip(SKIP_2) | instid1(VALU_DEP_4)
	v_mul_lo_u32 v9, v4, s52
	v_mul_lo_u32 v4, v4, s53
	v_sub_nc_u32_e32 v3, v3, v7
	v_mul_lo_u32 v10, v2, s57
	s_delay_alu instid0(VALU_DEP_2) | instskip(SKIP_1) | instid1(VALU_DEP_3)
	v_mul_lo_u32 v7, v3, s50
	v_mul_lo_u32 v3, v3, s51
	v_sub_nc_u32_e32 v5, v5, v10
	s_delay_alu instid0(VALU_DEP_3) | instskip(NEXT) | instid1(VALU_DEP_2)
	v_add3_u32 v0, v6, v0, v7
	v_mul_lo_u32 v10, v5, s54
	v_mul_lo_u32 v5, v5, s55
	v_add3_u32 v1, v8, v1, v3
	s_delay_alu instid0(VALU_DEP_3) | instskip(NEXT) | instid1(VALU_DEP_2)
	v_add3_u32 v0, v9, v0, v10
	v_add3_u32 v1, v4, v1, v5
	s_cbranch_scc0 .LBB407_194
	s_branch .LBB407_208
.LBB407_195:
	s_mov_b32 s33, -1
                                        ; implicit-def: $vgpr0
                                        ; implicit-def: $vgpr1
	s_branch .LBB407_211
.LBB407_196:
	v_dual_mov_b32 v2, v12 :: v_dual_mov_b32 v1, 0
.LBB407_197:
	s_and_b32 s35, s35, 3
	s_delay_alu instid0(SALU_CYCLE_1)
	s_cmp_eq_u32 s35, 0
	s_cbranch_scc1 .LBB407_200
; %bb.198:
	s_lshl_b32 s2, s34, 3
	s_mul_i32 s20, s34, 12
	s_add_u32 s2, s2, s0
	s_addc_u32 s3, s1, 0
	s_add_u32 s2, s2, 0xc4
	s_addc_u32 s3, s3, 0
	;; [unrolled: 2-line block ×3, first 2 shown]
	.p2align	6
.LBB407_199:                            ; =>This Inner Loop Header: Depth=1
	s_clause 0x1
	s_load_b64 s[36:37], s[20:21], 0x4
	s_load_b32 s34, s[20:21], 0xc
	s_load_b64 s[38:39], s[2:3], 0x0
	s_add_u32 s20, s20, 12
	s_addc_u32 s21, s21, 0
	s_add_u32 s2, s2, 8
	s_addc_u32 s3, s3, 0
	s_add_i32 s35, s35, -1
	s_delay_alu instid0(SALU_CYCLE_1) | instskip(SKIP_2) | instid1(VALU_DEP_1)
	s_cmp_lg_u32 s35, 0
	s_waitcnt lgkmcnt(0)
	v_mul_hi_u32 v3, s37, v2
	v_add_nc_u32_e32 v3, v2, v3
	s_delay_alu instid0(VALU_DEP_1) | instskip(NEXT) | instid1(VALU_DEP_1)
	v_lshrrev_b32_e32 v6, s34, v3
	v_mul_lo_u32 v3, v6, s36
	s_delay_alu instid0(VALU_DEP_1) | instskip(NEXT) | instid1(VALU_DEP_1)
	v_sub_nc_u32_e32 v2, v2, v3
	v_mad_u64_u32 v[3:4], null, v2, s38, v[0:1]
	v_mad_u64_u32 v[4:5], null, v2, s39, v[1:2]
	v_mov_b32_e32 v2, v6
	s_delay_alu instid0(VALU_DEP_2)
	v_dual_mov_b32 v0, v3 :: v_dual_mov_b32 v1, v4
	s_cbranch_scc1 .LBB407_199
.LBB407_200:
	s_and_not1_b32 vcc_lo, exec_lo, s33
	s_cbranch_vccnz .LBB407_203
; %bb.201:
	s_waitcnt lgkmcnt(0)
	v_mul_hi_u32 v0, s13, v12
	s_and_not1_b32 vcc_lo, exec_lo, s27
	s_delay_alu instid0(VALU_DEP_1) | instskip(NEXT) | instid1(VALU_DEP_1)
	v_add_nc_u32_e32 v0, v12, v0
	v_lshrrev_b32_e32 v2, s14, v0
	s_delay_alu instid0(VALU_DEP_1) | instskip(NEXT) | instid1(VALU_DEP_1)
	v_mul_lo_u32 v0, v2, s12
	v_sub_nc_u32_e32 v1, v12, v0
	s_delay_alu instid0(VALU_DEP_1)
	v_mul_lo_u32 v0, v1, s8
	v_mul_lo_u32 v1, v1, s9
	s_cbranch_vccnz .LBB407_203
; %bb.202:
	v_mul_hi_u32 v3, s16, v2
	s_delay_alu instid0(VALU_DEP_1) | instskip(NEXT) | instid1(VALU_DEP_1)
	v_add_nc_u32_e32 v3, v2, v3
	v_lshrrev_b32_e32 v3, s17, v3
	s_delay_alu instid0(VALU_DEP_1) | instskip(NEXT) | instid1(VALU_DEP_1)
	v_mul_lo_u32 v3, v3, s15
	v_sub_nc_u32_e32 v5, v2, v3
	s_delay_alu instid0(VALU_DEP_1) | instskip(NEXT) | instid1(VALU_DEP_1)
	v_mad_u64_u32 v[2:3], null, v5, s10, v[0:1]
	v_mad_u64_u32 v[3:4], null, v5, s11, v[1:2]
	s_delay_alu instid0(VALU_DEP_1)
	v_dual_mov_b32 v0, v2 :: v_dual_mov_b32 v1, v3
.LBB407_203:
	s_waitcnt lgkmcnt(0)
	global_load_u16 v1, v1, s[6:7]
	v_add_nc_u32_e32 v12, 0x80, v12
	s_waitcnt vmcnt(0)
	v_cmp_u_f16_e32 vcc_lo, v1, v1
	v_cmp_lt_f16_e64 s2, s26, v1
	s_delay_alu instid0(VALU_DEP_1) | instskip(SKIP_3) | instid1(SALU_CYCLE_1)
	s_or_b32 vcc_lo, vcc_lo, s2
	v_cndmask_b32_e32 v1, s26, v1, vcc_lo
	global_store_b16 v0, v1, s[4:5]
	s_or_b32 exec_lo, exec_lo, s31
	s_mov_b32 s31, exec_lo
	v_cmpx_gt_i32_e64 s28, v12
	s_cbranch_execnz .LBB407_190
.LBB407_204:
	s_or_b32 exec_lo, exec_lo, s31
	s_delay_alu instid0(SALU_CYCLE_1)
	s_mov_b32 s20, exec_lo
	v_cmpx_gt_i32_e64 s28, v12
	s_cbranch_execnz .LBB407_215
.LBB407_205:
	s_or_b32 exec_lo, exec_lo, s20
                                        ; implicit-def: $vgpr16
                                        ; implicit-def: $vgpr12
	s_and_not1_saveexec_b32 s2, s25
	s_cbranch_execnz .LBB407_8
.LBB407_206:
	s_nop 0
	s_sendmsg sendmsg(MSG_DEALLOC_VGPRS)
	s_endpgm
.LBB407_207:
	v_dual_mov_b32 v2, v12 :: v_dual_mov_b32 v1, 0
.LBB407_208:
	s_and_b32 s35, s35, 3
	s_delay_alu instid0(SALU_CYCLE_1)
	s_cmp_eq_u32 s35, 0
	s_cbranch_scc1 .LBB407_211
; %bb.209:
	s_lshl_b32 s2, s34, 3
	s_mul_i32 s20, s34, 12
	s_add_u32 s2, s2, s0
	s_addc_u32 s3, s1, 0
	s_add_u32 s2, s2, 0xc4
	s_addc_u32 s3, s3, 0
	;; [unrolled: 2-line block ×3, first 2 shown]
	.p2align	6
.LBB407_210:                            ; =>This Inner Loop Header: Depth=1
	s_clause 0x1
	s_load_b64 s[36:37], s[20:21], 0x4
	s_load_b32 s34, s[20:21], 0xc
	s_load_b64 s[38:39], s[2:3], 0x0
	s_add_u32 s20, s20, 12
	s_addc_u32 s21, s21, 0
	s_add_u32 s2, s2, 8
	s_addc_u32 s3, s3, 0
	s_add_i32 s35, s35, -1
	s_delay_alu instid0(SALU_CYCLE_1) | instskip(SKIP_2) | instid1(VALU_DEP_1)
	s_cmp_lg_u32 s35, 0
	s_waitcnt lgkmcnt(0)
	v_mul_hi_u32 v3, s37, v2
	v_add_nc_u32_e32 v3, v2, v3
	s_delay_alu instid0(VALU_DEP_1) | instskip(NEXT) | instid1(VALU_DEP_1)
	v_lshrrev_b32_e32 v6, s34, v3
	v_mul_lo_u32 v3, v6, s36
	s_delay_alu instid0(VALU_DEP_1) | instskip(NEXT) | instid1(VALU_DEP_1)
	v_sub_nc_u32_e32 v2, v2, v3
	v_mad_u64_u32 v[3:4], null, v2, s38, v[0:1]
	v_mad_u64_u32 v[4:5], null, v2, s39, v[1:2]
	v_mov_b32_e32 v2, v6
	s_delay_alu instid0(VALU_DEP_2)
	v_dual_mov_b32 v0, v3 :: v_dual_mov_b32 v1, v4
	s_cbranch_scc1 .LBB407_210
.LBB407_211:
	s_and_not1_b32 vcc_lo, exec_lo, s33
	s_cbranch_vccnz .LBB407_214
; %bb.212:
	s_waitcnt lgkmcnt(0)
	v_mul_hi_u32 v0, s13, v12
	s_and_not1_b32 vcc_lo, exec_lo, s27
	s_delay_alu instid0(VALU_DEP_1) | instskip(NEXT) | instid1(VALU_DEP_1)
	v_add_nc_u32_e32 v0, v12, v0
	v_lshrrev_b32_e32 v2, s14, v0
	s_delay_alu instid0(VALU_DEP_1) | instskip(NEXT) | instid1(VALU_DEP_1)
	v_mul_lo_u32 v0, v2, s12
	v_sub_nc_u32_e32 v1, v12, v0
	s_delay_alu instid0(VALU_DEP_1)
	v_mul_lo_u32 v0, v1, s8
	v_mul_lo_u32 v1, v1, s9
	s_cbranch_vccnz .LBB407_214
; %bb.213:
	v_mul_hi_u32 v3, s16, v2
	s_delay_alu instid0(VALU_DEP_1) | instskip(NEXT) | instid1(VALU_DEP_1)
	v_add_nc_u32_e32 v3, v2, v3
	v_lshrrev_b32_e32 v3, s17, v3
	s_delay_alu instid0(VALU_DEP_1) | instskip(NEXT) | instid1(VALU_DEP_1)
	v_mul_lo_u32 v3, v3, s15
	v_sub_nc_u32_e32 v5, v2, v3
	s_delay_alu instid0(VALU_DEP_1) | instskip(NEXT) | instid1(VALU_DEP_1)
	v_mad_u64_u32 v[2:3], null, v5, s10, v[0:1]
	v_mad_u64_u32 v[3:4], null, v5, s11, v[1:2]
	s_delay_alu instid0(VALU_DEP_1)
	v_dual_mov_b32 v0, v2 :: v_dual_mov_b32 v1, v3
.LBB407_214:
	s_waitcnt lgkmcnt(0)
	global_load_u16 v1, v1, s[6:7]
	v_add_nc_u32_e32 v12, 0x80, v12
	s_waitcnt vmcnt(0)
	v_cmp_u_f16_e32 vcc_lo, v1, v1
	v_cmp_lt_f16_e64 s2, s26, v1
	s_delay_alu instid0(VALU_DEP_1) | instskip(SKIP_3) | instid1(SALU_CYCLE_1)
	s_or_b32 vcc_lo, vcc_lo, s2
	v_cndmask_b32_e32 v1, s26, v1, vcc_lo
	global_store_b16 v0, v1, s[4:5]
	s_or_b32 exec_lo, exec_lo, s31
	s_mov_b32 s20, exec_lo
	v_cmpx_gt_i32_e64 s28, v12
	s_cbranch_execz .LBB407_205
.LBB407_215:
	s_and_not1_b32 vcc_lo, exec_lo, s24
	s_cbranch_vccnz .LBB407_220
; %bb.216:
	v_dual_mov_b32 v0, 0 :: v_dual_mov_b32 v1, 0
	s_and_not1_b32 vcc_lo, exec_lo, s30
	s_mov_b32 s21, 0
	s_cbranch_vccnz .LBB407_225
; %bb.217:
	v_mov_b32_e32 v0, 0
	s_add_i32 s29, s29, 1
	s_cmp_eq_u32 s23, 2
	s_mov_b32 s28, 0
	s_cbranch_scc1 .LBB407_221
; %bb.218:
	v_dual_mov_b32 v1, 0 :: v_dual_mov_b32 v0, 0
	v_mov_b32_e32 v2, v12
	s_and_b32 s28, s29, 28
	s_mov_b32 s30, 0
	s_mov_b64 s[2:3], s[0:1]
.LBB407_219:                            ; =>This Inner Loop Header: Depth=1
	s_clause 0x1
	s_load_b256 s[36:43], s[2:3], 0x4
	s_load_b128 s[52:55], s[2:3], 0x24
	s_load_b256 s[44:51], s[18:19], 0x0
	s_add_u32 s2, s2, 48
	s_addc_u32 s3, s3, 0
	s_add_i32 s30, s30, 4
	s_add_u32 s18, s18, 32
	s_addc_u32 s19, s19, 0
	s_cmp_eq_u32 s28, s30
	s_waitcnt lgkmcnt(0)
	v_mul_hi_u32 v3, s37, v2
	s_delay_alu instid0(VALU_DEP_1) | instskip(NEXT) | instid1(VALU_DEP_1)
	v_add_nc_u32_e32 v3, v2, v3
	v_lshrrev_b32_e32 v3, s38, v3
	s_delay_alu instid0(VALU_DEP_1) | instskip(SKIP_1) | instid1(VALU_DEP_2)
	v_mul_hi_u32 v4, s40, v3
	v_mul_lo_u32 v6, v3, s36
	v_add_nc_u32_e32 v4, v3, v4
	s_delay_alu instid0(VALU_DEP_2) | instskip(NEXT) | instid1(VALU_DEP_2)
	v_sub_nc_u32_e32 v2, v2, v6
	v_lshrrev_b32_e32 v4, s41, v4
	s_delay_alu instid0(VALU_DEP_2) | instskip(SKIP_1) | instid1(VALU_DEP_3)
	v_mul_lo_u32 v6, v2, s44
	v_mul_lo_u32 v8, v2, s45
	v_mul_hi_u32 v5, s43, v4
	s_delay_alu instid0(VALU_DEP_1) | instskip(NEXT) | instid1(VALU_DEP_1)
	v_add_nc_u32_e32 v5, v4, v5
	v_lshrrev_b32_e32 v5, s52, v5
	s_delay_alu instid0(VALU_DEP_1) | instskip(SKIP_1) | instid1(VALU_DEP_2)
	v_mul_hi_u32 v7, s54, v5
	v_mul_lo_u32 v9, v5, s42
	v_add_nc_u32_e32 v2, v5, v7
	v_mul_lo_u32 v7, v4, s39
	s_delay_alu instid0(VALU_DEP_3) | instskip(NEXT) | instid1(VALU_DEP_3)
	v_sub_nc_u32_e32 v4, v4, v9
	v_lshrrev_b32_e32 v2, s55, v2
	s_delay_alu instid0(VALU_DEP_2) | instskip(SKIP_2) | instid1(VALU_DEP_4)
	v_mul_lo_u32 v9, v4, s48
	v_mul_lo_u32 v4, v4, s49
	v_sub_nc_u32_e32 v3, v3, v7
	v_mul_lo_u32 v10, v2, s53
	s_delay_alu instid0(VALU_DEP_2) | instskip(SKIP_1) | instid1(VALU_DEP_3)
	v_mul_lo_u32 v7, v3, s46
	v_mul_lo_u32 v3, v3, s47
	v_sub_nc_u32_e32 v5, v5, v10
	s_delay_alu instid0(VALU_DEP_3) | instskip(NEXT) | instid1(VALU_DEP_2)
	v_add3_u32 v0, v6, v0, v7
	v_mul_lo_u32 v10, v5, s50
	v_mul_lo_u32 v5, v5, s51
	v_add3_u32 v1, v8, v1, v3
	s_delay_alu instid0(VALU_DEP_3) | instskip(NEXT) | instid1(VALU_DEP_2)
	v_add3_u32 v0, v9, v0, v10
	v_add3_u32 v1, v4, v1, v5
	s_cbranch_scc0 .LBB407_219
	s_branch .LBB407_222
.LBB407_220:
	s_mov_b32 s21, -1
                                        ; implicit-def: $vgpr0
                                        ; implicit-def: $vgpr1
	s_branch .LBB407_225
.LBB407_221:
	v_dual_mov_b32 v2, v12 :: v_dual_mov_b32 v1, 0
.LBB407_222:
	s_and_b32 s29, s29, 3
	s_delay_alu instid0(SALU_CYCLE_1)
	s_cmp_eq_u32 s29, 0
	s_cbranch_scc1 .LBB407_225
; %bb.223:
	s_lshl_b32 s2, s28, 3
	s_mul_i32 s18, s28, 12
	s_add_u32 s2, s2, s0
	s_addc_u32 s3, s1, 0
	s_add_u32 s2, s2, 0xc4
	s_addc_u32 s3, s3, 0
	s_add_u32 s18, s0, s18
	s_addc_u32 s19, s1, 0
	.p2align	6
.LBB407_224:                            ; =>This Inner Loop Header: Depth=1
	s_clause 0x1
	s_load_b64 s[30:31], s[18:19], 0x4
	s_load_b32 s28, s[18:19], 0xc
	s_load_b64 s[34:35], s[2:3], 0x0
	s_add_u32 s18, s18, 12
	s_addc_u32 s19, s19, 0
	s_add_u32 s2, s2, 8
	s_addc_u32 s3, s3, 0
	s_add_i32 s29, s29, -1
	s_delay_alu instid0(SALU_CYCLE_1) | instskip(SKIP_2) | instid1(VALU_DEP_1)
	s_cmp_lg_u32 s29, 0
	s_waitcnt lgkmcnt(0)
	v_mul_hi_u32 v3, s31, v2
	v_add_nc_u32_e32 v3, v2, v3
	s_delay_alu instid0(VALU_DEP_1) | instskip(NEXT) | instid1(VALU_DEP_1)
	v_lshrrev_b32_e32 v6, s28, v3
	v_mul_lo_u32 v3, v6, s30
	s_delay_alu instid0(VALU_DEP_1) | instskip(NEXT) | instid1(VALU_DEP_1)
	v_sub_nc_u32_e32 v2, v2, v3
	v_mad_u64_u32 v[3:4], null, v2, s34, v[0:1]
	v_mad_u64_u32 v[4:5], null, v2, s35, v[1:2]
	v_mov_b32_e32 v2, v6
	s_delay_alu instid0(VALU_DEP_2)
	v_dual_mov_b32 v0, v3 :: v_dual_mov_b32 v1, v4
	s_cbranch_scc1 .LBB407_224
.LBB407_225:
	s_and_not1_b32 vcc_lo, exec_lo, s21
	s_cbranch_vccnz .LBB407_228
; %bb.226:
	s_waitcnt lgkmcnt(0)
	v_mul_hi_u32 v0, s13, v12
	s_and_not1_b32 vcc_lo, exec_lo, s27
	s_delay_alu instid0(VALU_DEP_1) | instskip(NEXT) | instid1(VALU_DEP_1)
	v_add_nc_u32_e32 v0, v12, v0
	v_lshrrev_b32_e32 v2, s14, v0
	s_delay_alu instid0(VALU_DEP_1) | instskip(NEXT) | instid1(VALU_DEP_1)
	v_mul_lo_u32 v0, v2, s12
	v_sub_nc_u32_e32 v1, v12, v0
	s_delay_alu instid0(VALU_DEP_1)
	v_mul_lo_u32 v0, v1, s8
	v_mul_lo_u32 v1, v1, s9
	s_cbranch_vccnz .LBB407_228
; %bb.227:
	v_mul_hi_u32 v3, s16, v2
	s_delay_alu instid0(VALU_DEP_1) | instskip(NEXT) | instid1(VALU_DEP_1)
	v_add_nc_u32_e32 v3, v2, v3
	v_lshrrev_b32_e32 v3, s17, v3
	s_delay_alu instid0(VALU_DEP_1) | instskip(NEXT) | instid1(VALU_DEP_1)
	v_mul_lo_u32 v3, v3, s15
	v_sub_nc_u32_e32 v5, v2, v3
	s_delay_alu instid0(VALU_DEP_1) | instskip(NEXT) | instid1(VALU_DEP_1)
	v_mad_u64_u32 v[2:3], null, v5, s10, v[0:1]
	v_mad_u64_u32 v[3:4], null, v5, s11, v[1:2]
	s_delay_alu instid0(VALU_DEP_1)
	v_dual_mov_b32 v0, v2 :: v_dual_mov_b32 v1, v3
.LBB407_228:
	s_waitcnt lgkmcnt(0)
	global_load_u16 v1, v1, s[6:7]
	s_waitcnt vmcnt(0)
	v_cmp_u_f16_e32 vcc_lo, v1, v1
	v_cmp_lt_f16_e64 s2, s26, v1
	s_delay_alu instid0(VALU_DEP_1)
	s_or_b32 vcc_lo, vcc_lo, s2
	v_cndmask_b32_e32 v1, s26, v1, vcc_lo
	global_store_b16 v0, v1, s[4:5]
	s_or_b32 exec_lo, exec_lo, s20
                                        ; implicit-def: $vgpr16
                                        ; implicit-def: $vgpr12
	s_and_not1_saveexec_b32 s2, s25
	s_cbranch_execz .LBB407_206
	s_branch .LBB407_8
	.section	.rodata,"a",@progbits
	.p2align	6, 0x0
	.amdhsa_kernel _ZN2at6native32elementwise_kernel_manual_unrollILi128ELi8EZNS0_22gpu_kernel_impl_nocastIZZZNS0_21clamp_min_kernel_cudaERNS_18TensorIteratorBaseERKN3c106ScalarEENKUlvE_clEvENKUlvE6_clEvEUlNS5_4HalfEE_EEvS4_RKT_EUlibE_EEviT1_
		.amdhsa_group_segment_fixed_size 0
		.amdhsa_private_segment_fixed_size 0
		.amdhsa_kernarg_size 360
		.amdhsa_user_sgpr_count 15
		.amdhsa_user_sgpr_dispatch_ptr 0
		.amdhsa_user_sgpr_queue_ptr 0
		.amdhsa_user_sgpr_kernarg_segment_ptr 1
		.amdhsa_user_sgpr_dispatch_id 0
		.amdhsa_user_sgpr_private_segment_size 0
		.amdhsa_wavefront_size32 1
		.amdhsa_uses_dynamic_stack 0
		.amdhsa_enable_private_segment 0
		.amdhsa_system_sgpr_workgroup_id_x 1
		.amdhsa_system_sgpr_workgroup_id_y 0
		.amdhsa_system_sgpr_workgroup_id_z 0
		.amdhsa_system_sgpr_workgroup_info 0
		.amdhsa_system_vgpr_workitem_id 0
		.amdhsa_next_free_vgpr 26
		.amdhsa_next_free_sgpr 60
		.amdhsa_reserve_vcc 1
		.amdhsa_float_round_mode_32 0
		.amdhsa_float_round_mode_16_64 0
		.amdhsa_float_denorm_mode_32 3
		.amdhsa_float_denorm_mode_16_64 3
		.amdhsa_dx10_clamp 1
		.amdhsa_ieee_mode 1
		.amdhsa_fp16_overflow 0
		.amdhsa_workgroup_processor_mode 1
		.amdhsa_memory_ordered 1
		.amdhsa_forward_progress 0
		.amdhsa_shared_vgpr_count 0
		.amdhsa_exception_fp_ieee_invalid_op 0
		.amdhsa_exception_fp_denorm_src 0
		.amdhsa_exception_fp_ieee_div_zero 0
		.amdhsa_exception_fp_ieee_overflow 0
		.amdhsa_exception_fp_ieee_underflow 0
		.amdhsa_exception_fp_ieee_inexact 0
		.amdhsa_exception_int_div_zero 0
	.end_amdhsa_kernel
	.section	.text._ZN2at6native32elementwise_kernel_manual_unrollILi128ELi8EZNS0_22gpu_kernel_impl_nocastIZZZNS0_21clamp_min_kernel_cudaERNS_18TensorIteratorBaseERKN3c106ScalarEENKUlvE_clEvENKUlvE6_clEvEUlNS5_4HalfEE_EEvS4_RKT_EUlibE_EEviT1_,"axG",@progbits,_ZN2at6native32elementwise_kernel_manual_unrollILi128ELi8EZNS0_22gpu_kernel_impl_nocastIZZZNS0_21clamp_min_kernel_cudaERNS_18TensorIteratorBaseERKN3c106ScalarEENKUlvE_clEvENKUlvE6_clEvEUlNS5_4HalfEE_EEvS4_RKT_EUlibE_EEviT1_,comdat
.Lfunc_end407:
	.size	_ZN2at6native32elementwise_kernel_manual_unrollILi128ELi8EZNS0_22gpu_kernel_impl_nocastIZZZNS0_21clamp_min_kernel_cudaERNS_18TensorIteratorBaseERKN3c106ScalarEENKUlvE_clEvENKUlvE6_clEvEUlNS5_4HalfEE_EEvS4_RKT_EUlibE_EEviT1_, .Lfunc_end407-_ZN2at6native32elementwise_kernel_manual_unrollILi128ELi8EZNS0_22gpu_kernel_impl_nocastIZZZNS0_21clamp_min_kernel_cudaERNS_18TensorIteratorBaseERKN3c106ScalarEENKUlvE_clEvENKUlvE6_clEvEUlNS5_4HalfEE_EEvS4_RKT_EUlibE_EEviT1_
                                        ; -- End function
	.section	.AMDGPU.csdata,"",@progbits
; Kernel info:
; codeLenInByte = 13764
; NumSgprs: 62
; NumVgprs: 26
; ScratchSize: 0
; MemoryBound: 0
; FloatMode: 240
; IeeeMode: 1
; LDSByteSize: 0 bytes/workgroup (compile time only)
; SGPRBlocks: 7
; VGPRBlocks: 3
; NumSGPRsForWavesPerEU: 62
; NumVGPRsForWavesPerEU: 26
; Occupancy: 16
; WaveLimiterHint : 1
; COMPUTE_PGM_RSRC2:SCRATCH_EN: 0
; COMPUTE_PGM_RSRC2:USER_SGPR: 15
; COMPUTE_PGM_RSRC2:TRAP_HANDLER: 0
; COMPUTE_PGM_RSRC2:TGID_X_EN: 1
; COMPUTE_PGM_RSRC2:TGID_Y_EN: 0
; COMPUTE_PGM_RSRC2:TGID_Z_EN: 0
; COMPUTE_PGM_RSRC2:TIDIG_COMP_CNT: 0
	.section	.text._ZN2at6native32elementwise_kernel_manual_unrollILi128ELi4EZNS0_15gpu_kernel_implIZZZNS0_21clamp_min_kernel_cudaERNS_18TensorIteratorBaseERKN3c106ScalarEENKUlvE_clEvENKUlvE6_clEvEUlNS5_4HalfEE_EEvS4_RKT_EUlibE_EEviT1_,"axG",@progbits,_ZN2at6native32elementwise_kernel_manual_unrollILi128ELi4EZNS0_15gpu_kernel_implIZZZNS0_21clamp_min_kernel_cudaERNS_18TensorIteratorBaseERKN3c106ScalarEENKUlvE_clEvENKUlvE6_clEvEUlNS5_4HalfEE_EEvS4_RKT_EUlibE_EEviT1_,comdat
	.globl	_ZN2at6native32elementwise_kernel_manual_unrollILi128ELi4EZNS0_15gpu_kernel_implIZZZNS0_21clamp_min_kernel_cudaERNS_18TensorIteratorBaseERKN3c106ScalarEENKUlvE_clEvENKUlvE6_clEvEUlNS5_4HalfEE_EEvS4_RKT_EUlibE_EEviT1_ ; -- Begin function _ZN2at6native32elementwise_kernel_manual_unrollILi128ELi4EZNS0_15gpu_kernel_implIZZZNS0_21clamp_min_kernel_cudaERNS_18TensorIteratorBaseERKN3c106ScalarEENKUlvE_clEvENKUlvE6_clEvEUlNS5_4HalfEE_EEvS4_RKT_EUlibE_EEviT1_
	.p2align	8
	.type	_ZN2at6native32elementwise_kernel_manual_unrollILi128ELi4EZNS0_15gpu_kernel_implIZZZNS0_21clamp_min_kernel_cudaERNS_18TensorIteratorBaseERKN3c106ScalarEENKUlvE_clEvENKUlvE6_clEvEUlNS5_4HalfEE_EEvS4_RKT_EUlibE_EEviT1_,@function
_ZN2at6native32elementwise_kernel_manual_unrollILi128ELi4EZNS0_15gpu_kernel_implIZZZNS0_21clamp_min_kernel_cudaERNS_18TensorIteratorBaseERKN3c106ScalarEENKUlvE_clEvENKUlvE6_clEvEUlNS5_4HalfEE_EEvS4_RKT_EUlibE_EEviT1_: ; @_ZN2at6native32elementwise_kernel_manual_unrollILi128ELi4EZNS0_15gpu_kernel_implIZZZNS0_21clamp_min_kernel_cudaERNS_18TensorIteratorBaseERKN3c106ScalarEENKUlvE_clEvENKUlvE6_clEvEUlNS5_4HalfEE_EEvS4_RKT_EUlibE_EEviT1_
; %bb.0:
	s_clause 0x3
	s_load_b32 s8, s[0:1], 0x20
	s_load_b32 s13, s[0:1], 0x0
	s_load_b64 s[2:3], s[0:1], 0x18
	s_load_b128 s[4:7], s[0:1], 0x8
	v_lshl_or_b32 v2, s15, 9, v0
	s_mov_b32 s10, 0
	s_mov_b32 s12, 0
	s_mov_b32 s0, exec_lo
	s_delay_alu instid0(VALU_DEP_1) | instskip(SKIP_3) | instid1(VALU_DEP_1)
	v_or_b32_e32 v0, 0x180, v2
	s_waitcnt lgkmcnt(0)
	s_lshr_b32 s1, s8, 16
	s_lshr_b32 s9, s8, 24
	v_cmpx_le_i32_e64 s13, v0
	s_xor_b32 s11, exec_lo, s0
	s_cbranch_execz .LBB408_1033
; %bb.1:
	s_mov_b32 s18, -1
	s_mov_b32 s16, 0
	s_mov_b32 s14, 0
	s_mov_b32 s15, exec_lo
	v_cmpx_gt_i32_e64 s13, v2
	s_cbranch_execz .LBB408_252
; %bb.2:
	v_mul_lo_u32 v0, v2, s3
	v_cmp_lt_i16_e64 s0, s9, 11
	s_delay_alu instid0(VALU_DEP_2) | instskip(SKIP_1) | instid1(VALU_DEP_2)
	v_ashrrev_i32_e32 v1, 31, v0
	v_add_co_u32 v0, vcc_lo, s6, v0
	v_add_co_ci_u32_e32 v1, vcc_lo, s7, v1, vcc_lo
	s_delay_alu instid0(VALU_DEP_4)
	s_and_b32 vcc_lo, exec_lo, s0
	s_cbranch_vccnz .LBB408_9
; %bb.3:
	v_cmp_gt_i16_e64 s0, s9, 25
	s_delay_alu instid0(VALU_DEP_1)
	s_and_b32 vcc_lo, exec_lo, s0
	s_cbranch_vccz .LBB408_18
; %bb.4:
	v_cmp_gt_i16_e64 s0, s9, 28
	s_delay_alu instid0(VALU_DEP_1)
	s_and_b32 vcc_lo, exec_lo, s0
	s_cbranch_vccz .LBB408_21
	;; [unrolled: 5-line block ×4, first 2 shown]
; %bb.7:
	v_cmp_eq_u16_e64 s0, s9, 46
	s_delay_alu instid0(VALU_DEP_1)
	s_and_b32 vcc_lo, exec_lo, s0
	s_cbranch_vccz .LBB408_27
; %bb.8:
	global_load_b32 v3, v[0:1], off
	s_mov_b32 s0, -1
	s_waitcnt vmcnt(0)
	v_lshlrev_b32_e32 v3, 16, v3
	s_delay_alu instid0(VALU_DEP_1)
	v_cvt_f16_f32_e32 v3, v3
	s_branch .LBB408_29
.LBB408_9:
	s_mov_b32 s0, 0
                                        ; implicit-def: $vgpr3
	s_cbranch_execnz .LBB408_202
.LBB408_10:
	s_and_not1_b32 vcc_lo, exec_lo, s0
	s_cbranch_vccnz .LBB408_249
.LBB408_11:
	v_mul_lo_u32 v0, v2, s2
	s_waitcnt vmcnt(0)
	s_delay_alu instid0(VALU_DEP_2) | instskip(SKIP_2) | instid1(VALU_DEP_2)
	v_cmp_u_f16_e32 vcc_lo, v3, v3
	v_cmp_lt_f16_e64 s0, s8, v3
	v_and_b32_e64 v4, 0xff, s1
	s_or_b32 vcc_lo, vcc_lo, s0
	s_delay_alu instid0(VALU_DEP_4) | instskip(SKIP_1) | instid1(VALU_DEP_3)
	v_ashrrev_i32_e32 v1, 31, v0
	v_cndmask_b32_e32 v3, s8, v3, vcc_lo
	v_cmp_gt_i16_e32 vcc_lo, 11, v4
	v_add_co_u32 v0, s0, s4, v0
	s_delay_alu instid0(VALU_DEP_1)
	v_add_co_ci_u32_e64 v1, s0, s5, v1, s0
	s_cbranch_vccnz .LBB408_19
; %bb.12:
	v_cmp_lt_i16_e32 vcc_lo, 25, v4
	s_cbranch_vccz .LBB408_22
; %bb.13:
	v_cmp_lt_i16_e32 vcc_lo, 28, v4
	s_cbranch_vccz .LBB408_24
	;; [unrolled: 3-line block ×4, first 2 shown]
; %bb.16:
	v_cmp_eq_u16_e32 vcc_lo, 46, v4
	s_mov_b32 s17, 0
	s_mov_b32 s0, -1
	s_mov_b32 s12, 0
	s_cbranch_vccz .LBB408_33
; %bb.17:
	v_cvt_f32_f16_e32 v5, v3
	v_cmp_o_f16_e32 vcc_lo, v3, v3
	s_mov_b32 s12, -1
	s_mov_b32 s0, 0
	s_delay_alu instid0(VALU_DEP_2) | instskip(NEXT) | instid1(VALU_DEP_1)
	v_bfe_u32 v6, v5, 16, 1
	v_add3_u32 v5, v5, v6, 0x7fff
	s_delay_alu instid0(VALU_DEP_1) | instskip(NEXT) | instid1(VALU_DEP_1)
	v_lshrrev_b32_e32 v5, 16, v5
	v_cndmask_b32_e32 v5, 0x7fc0, v5, vcc_lo
	global_store_b32 v[0:1], v5, off
	s_branch .LBB408_33
.LBB408_18:
	s_mov_b32 s0, 0
                                        ; implicit-def: $vgpr3
	s_cbranch_execnz .LBB408_167
	s_branch .LBB408_201
.LBB408_19:
	s_mov_b32 s0, 0
	s_mov_b32 s12, 0
	s_cbranch_execnz .LBB408_102
.LBB408_20:
	s_and_not1_b32 vcc_lo, exec_lo, s12
	s_cbranch_vccnz .LBB408_250
	s_branch .LBB408_140
.LBB408_21:
	s_mov_b32 s12, -1
	s_mov_b32 s0, 0
                                        ; implicit-def: $vgpr3
	s_branch .LBB408_148
.LBB408_22:
	s_mov_b32 s17, -1
	s_mov_b32 s0, 0
	s_mov_b32 s12, 0
	s_branch .LBB408_60
.LBB408_23:
	s_mov_b32 s12, -1
	s_mov_b32 s0, 0
                                        ; implicit-def: $vgpr3
	s_branch .LBB408_143
.LBB408_24:
	s_mov_b32 s17, -1
	s_mov_b32 s0, 0
	s_mov_b32 s12, 0
	s_branch .LBB408_43
.LBB408_25:
	s_mov_b32 s12, -1
	s_branch .LBB408_28
.LBB408_26:
	s_mov_b32 s17, -1
	s_mov_b32 s0, 0
	s_mov_b32 s12, 0
	s_branch .LBB408_39
.LBB408_27:
	s_mov_b32 s14, -1
.LBB408_28:
	s_mov_b32 s0, 0
                                        ; implicit-def: $vgpr3
.LBB408_29:
	s_and_b32 vcc_lo, exec_lo, s12
	s_cbranch_vccz .LBB408_142
; %bb.30:
	v_cmp_eq_u16_e64 s12, s9, 44
	s_delay_alu instid0(VALU_DEP_1)
	s_and_b32 vcc_lo, exec_lo, s12
	s_cbranch_vccz .LBB408_141
; %bb.31:
	global_load_u8 v3, v[0:1], off
	s_mov_b32 s14, 0
	s_mov_b32 s0, -1
	s_waitcnt vmcnt(0)
	v_lshlrev_b32_e32 v4, 23, v3
	v_cmp_ne_u32_e32 vcc_lo, 0xff, v3
	s_delay_alu instid0(VALU_DEP_2) | instskip(NEXT) | instid1(VALU_DEP_1)
	v_cvt_f16_f32_e32 v4, v4
	v_cndmask_b32_e32 v4, 0x7e00, v4, vcc_lo
	v_cmp_ne_u32_e32 vcc_lo, 0, v3
	s_delay_alu instid0(VALU_DEP_2)
	v_cndmask_b32_e32 v3, 0, v4, vcc_lo
	s_branch .LBB408_142
.LBB408_32:
	s_mov_b32 s17, -1
	s_mov_b32 s0, 0
	s_mov_b32 s12, 0
.LBB408_33:
	s_and_b32 vcc_lo, exec_lo, s17
	s_cbranch_vccz .LBB408_38
; %bb.34:
	v_cmp_eq_u16_e32 vcc_lo, 44, v4
	s_mov_b32 s0, -1
	s_cbranch_vccz .LBB408_38
; %bb.35:
	v_cvt_f32_f16_e32 v5, v3
	v_mov_b32_e32 v6, 0xff
	s_mov_b32 s12, exec_lo
	s_delay_alu instid0(VALU_DEP_2) | instskip(NEXT) | instid1(VALU_DEP_1)
	v_bfe_u32 v7, v5, 23, 8
	v_cmpx_ne_u32_e32 0xff, v7
; %bb.36:
	v_and_b32_e32 v6, 0x400000, v5
	v_and_or_b32 v7, 0x3fffff, v5, v7
	v_lshrrev_b32_e32 v5, 23, v5
	s_delay_alu instid0(VALU_DEP_3) | instskip(NEXT) | instid1(VALU_DEP_3)
	v_cmp_ne_u32_e32 vcc_lo, 0, v6
	v_cmp_ne_u32_e64 s0, 0, v7
	s_delay_alu instid0(VALU_DEP_1) | instskip(NEXT) | instid1(SALU_CYCLE_1)
	s_and_b32 s0, vcc_lo, s0
	v_cndmask_b32_e64 v6, 0, 1, s0
	s_delay_alu instid0(VALU_DEP_1)
	v_add_nc_u32_e32 v6, v5, v6
; %bb.37:
	s_or_b32 exec_lo, exec_lo, s12
	s_mov_b32 s12, -1
	s_mov_b32 s0, 0
	global_store_b8 v[0:1], v6, off
.LBB408_38:
	s_mov_b32 s17, 0
.LBB408_39:
	s_delay_alu instid0(SALU_CYCLE_1)
	s_and_b32 vcc_lo, exec_lo, s17
	s_cbranch_vccz .LBB408_42
; %bb.40:
	v_cmp_eq_u16_e32 vcc_lo, 29, v4
	s_mov_b32 s0, -1
	s_cbranch_vccz .LBB408_42
; %bb.41:
	v_cvt_f32_f16_e32 v5, v3
	v_mov_b32_e32 v6, 0
	s_mov_b32 s0, 0
	s_mov_b32 s12, -1
	s_mov_b32 s17, 0
	v_cvt_u32_f32_e32 v5, v5
	global_store_b64 v[0:1], v[5:6], off
	s_branch .LBB408_43
.LBB408_42:
	s_mov_b32 s17, 0
.LBB408_43:
	s_delay_alu instid0(SALU_CYCLE_1)
	s_and_b32 vcc_lo, exec_lo, s17
	s_cbranch_vccz .LBB408_59
; %bb.44:
	v_cmp_gt_i16_e32 vcc_lo, 27, v4
	s_mov_b32 s12, -1
	s_cbranch_vccnz .LBB408_50
; %bb.45:
	v_cmp_lt_i16_e32 vcc_lo, 27, v4
	s_cbranch_vccz .LBB408_47
; %bb.46:
	v_cvt_f32_f16_e32 v5, v3
	s_mov_b32 s12, 0
	s_delay_alu instid0(VALU_DEP_1)
	v_cvt_u32_f32_e32 v5, v5
	global_store_b32 v[0:1], v5, off
.LBB408_47:
	s_and_not1_b32 vcc_lo, exec_lo, s12
	s_cbranch_vccnz .LBB408_49
; %bb.48:
	v_cvt_u16_f16_e32 v5, v3
	global_store_b16 v[0:1], v5, off
.LBB408_49:
	s_mov_b32 s12, 0
.LBB408_50:
	s_delay_alu instid0(SALU_CYCLE_1)
	s_and_not1_b32 vcc_lo, exec_lo, s12
	s_cbranch_vccnz .LBB408_58
; %bb.51:
	v_cvt_f32_f16_e32 v5, v3
	v_mov_b32_e32 v7, 0x80
	s_mov_b32 s12, exec_lo
	s_delay_alu instid0(VALU_DEP_2) | instskip(NEXT) | instid1(VALU_DEP_1)
	v_and_b32_e32 v6, 0x7fffffff, v5
	v_cmpx_gt_u32_e32 0x43800000, v6
	s_cbranch_execz .LBB408_57
; %bb.52:
	v_cmp_lt_u32_e32 vcc_lo, 0x3bffffff, v6
	s_mov_b32 s17, 0
                                        ; implicit-def: $vgpr6
	s_and_saveexec_b32 s18, vcc_lo
	s_delay_alu instid0(SALU_CYCLE_1)
	s_xor_b32 s18, exec_lo, s18
	s_cbranch_execz .LBB408_276
; %bb.53:
	v_bfe_u32 v6, v5, 20, 1
	s_mov_b32 s17, exec_lo
	s_delay_alu instid0(VALU_DEP_1) | instskip(NEXT) | instid1(VALU_DEP_1)
	v_add3_u32 v6, v5, v6, 0x487ffff
	v_lshrrev_b32_e32 v6, 20, v6
	s_or_saveexec_b32 s18, s18
                                        ; implicit-def: $sgpr19
	s_delay_alu instid0(SALU_CYCLE_1)
	s_xor_b32 exec_lo, exec_lo, s18
	s_cbranch_execnz .LBB408_277
.LBB408_54:
	s_or_b32 exec_lo, exec_lo, s18
	v_mov_b32_e32 v7, s19
	s_and_saveexec_b32 s18, s17
.LBB408_55:
	v_lshrrev_b32_e32 v5, 24, v5
	s_delay_alu instid0(VALU_DEP_1)
	v_and_or_b32 v7, 0x80, v5, v6
.LBB408_56:
	s_or_b32 exec_lo, exec_lo, s18
.LBB408_57:
	s_delay_alu instid0(SALU_CYCLE_1)
	s_or_b32 exec_lo, exec_lo, s12
	global_store_b8 v[0:1], v7, off
.LBB408_58:
	s_mov_b32 s12, -1
.LBB408_59:
	s_mov_b32 s17, 0
.LBB408_60:
	s_delay_alu instid0(SALU_CYCLE_1)
	s_and_b32 vcc_lo, exec_lo, s17
	s_cbranch_vccz .LBB408_101
; %bb.61:
	v_cmp_lt_i16_e32 vcc_lo, 22, v4
	s_mov_b32 s17, -1
	s_cbranch_vccz .LBB408_93
; %bb.62:
	v_cmp_gt_i16_e32 vcc_lo, 24, v4
	s_mov_b32 s12, -1
	s_cbranch_vccnz .LBB408_82
; %bb.63:
	v_cmp_lt_i16_e32 vcc_lo, 24, v4
	s_cbranch_vccz .LBB408_71
; %bb.64:
	v_cvt_f32_f16_e32 v5, v3
	v_mov_b32_e32 v7, 0x80
	s_mov_b32 s12, exec_lo
	s_delay_alu instid0(VALU_DEP_2) | instskip(NEXT) | instid1(VALU_DEP_1)
	v_and_b32_e32 v6, 0x7fffffff, v5
	v_cmpx_gt_u32_e32 0x47800000, v6
	s_cbranch_execz .LBB408_70
; %bb.65:
	v_cmp_lt_u32_e32 vcc_lo, 0x37ffffff, v6
	s_mov_b32 s17, 0
                                        ; implicit-def: $vgpr6
	s_and_saveexec_b32 s18, vcc_lo
	s_delay_alu instid0(SALU_CYCLE_1)
	s_xor_b32 s18, exec_lo, s18
	s_cbranch_execz .LBB408_280
; %bb.66:
	v_bfe_u32 v6, v5, 21, 1
	s_mov_b32 s17, exec_lo
	s_delay_alu instid0(VALU_DEP_1) | instskip(NEXT) | instid1(VALU_DEP_1)
	v_add3_u32 v6, v5, v6, 0x88fffff
	v_lshrrev_b32_e32 v6, 21, v6
	s_or_saveexec_b32 s18, s18
                                        ; implicit-def: $sgpr19
	s_delay_alu instid0(SALU_CYCLE_1)
	s_xor_b32 exec_lo, exec_lo, s18
	s_cbranch_execnz .LBB408_281
.LBB408_67:
	s_or_b32 exec_lo, exec_lo, s18
	v_mov_b32_e32 v7, s19
	s_and_saveexec_b32 s18, s17
.LBB408_68:
	v_lshrrev_b32_e32 v5, 24, v5
	s_delay_alu instid0(VALU_DEP_1)
	v_and_or_b32 v7, 0x80, v5, v6
.LBB408_69:
	s_or_b32 exec_lo, exec_lo, s18
.LBB408_70:
	s_delay_alu instid0(SALU_CYCLE_1)
	s_or_b32 exec_lo, exec_lo, s12
	s_mov_b32 s12, 0
	global_store_b8 v[0:1], v7, off
.LBB408_71:
	s_and_b32 vcc_lo, exec_lo, s12
	s_cbranch_vccz .LBB408_81
; %bb.72:
	v_cvt_f32_f16_e32 v5, v3
	s_mov_b32 s12, exec_lo
                                        ; implicit-def: $vgpr6
	s_delay_alu instid0(VALU_DEP_1) | instskip(NEXT) | instid1(VALU_DEP_1)
	v_and_b32_e32 v7, 0x7fffffff, v5
	v_cmpx_gt_u32_e32 0x43f00000, v7
	s_xor_b32 s12, exec_lo, s12
	s_cbranch_execz .LBB408_78
; %bb.73:
	s_mov_b32 s17, exec_lo
                                        ; implicit-def: $vgpr6
	v_cmpx_lt_u32_e32 0x3c7fffff, v7
	s_xor_b32 s17, exec_lo, s17
; %bb.74:
	v_bfe_u32 v6, v5, 20, 1
	s_delay_alu instid0(VALU_DEP_1) | instskip(NEXT) | instid1(VALU_DEP_1)
	v_add3_u32 v6, v5, v6, 0x407ffff
	v_and_b32_e32 v7, 0xff00000, v6
	v_lshrrev_b32_e32 v6, 20, v6
	s_delay_alu instid0(VALU_DEP_2) | instskip(NEXT) | instid1(VALU_DEP_2)
	v_cmp_ne_u32_e32 vcc_lo, 0x7f00000, v7
	v_cndmask_b32_e32 v6, 0x7e, v6, vcc_lo
; %bb.75:
	s_and_not1_saveexec_b32 s17, s17
; %bb.76:
	v_add_f32_e64 v6, 0x46800000, |v5|
; %bb.77:
	s_or_b32 exec_lo, exec_lo, s17
                                        ; implicit-def: $vgpr7
.LBB408_78:
	s_and_not1_saveexec_b32 s12, s12
; %bb.79:
	v_mov_b32_e32 v6, 0x7f
	v_cmp_lt_u32_e32 vcc_lo, 0x7f800000, v7
	s_delay_alu instid0(VALU_DEP_2)
	v_cndmask_b32_e32 v6, 0x7e, v6, vcc_lo
; %bb.80:
	s_or_b32 exec_lo, exec_lo, s12
	v_lshrrev_b32_e32 v5, 24, v5
	s_delay_alu instid0(VALU_DEP_1)
	v_and_or_b32 v5, 0x80, v5, v6
	global_store_b8 v[0:1], v5, off
.LBB408_81:
	s_mov_b32 s12, 0
.LBB408_82:
	s_delay_alu instid0(SALU_CYCLE_1)
	s_and_not1_b32 vcc_lo, exec_lo, s12
	s_cbranch_vccnz .LBB408_92
; %bb.83:
	v_cvt_f32_f16_e32 v5, v3
	s_mov_b32 s12, exec_lo
                                        ; implicit-def: $vgpr6
	s_delay_alu instid0(VALU_DEP_1) | instskip(NEXT) | instid1(VALU_DEP_1)
	v_and_b32_e32 v7, 0x7fffffff, v5
	v_cmpx_gt_u32_e32 0x47800000, v7
	s_xor_b32 s12, exec_lo, s12
	s_cbranch_execz .LBB408_89
; %bb.84:
	s_mov_b32 s17, exec_lo
                                        ; implicit-def: $vgpr6
	v_cmpx_lt_u32_e32 0x387fffff, v7
	s_xor_b32 s17, exec_lo, s17
; %bb.85:
	v_bfe_u32 v6, v5, 21, 1
	s_delay_alu instid0(VALU_DEP_1) | instskip(NEXT) | instid1(VALU_DEP_1)
	v_add3_u32 v6, v5, v6, 0x80fffff
	v_lshrrev_b32_e32 v6, 21, v6
; %bb.86:
	s_and_not1_saveexec_b32 s17, s17
; %bb.87:
	v_add_f32_e64 v6, 0x43000000, |v5|
; %bb.88:
	s_or_b32 exec_lo, exec_lo, s17
                                        ; implicit-def: $vgpr7
.LBB408_89:
	s_and_not1_saveexec_b32 s12, s12
; %bb.90:
	v_mov_b32_e32 v6, 0x7f
	v_cmp_lt_u32_e32 vcc_lo, 0x7f800000, v7
	s_delay_alu instid0(VALU_DEP_2)
	v_cndmask_b32_e32 v6, 0x7c, v6, vcc_lo
; %bb.91:
	s_or_b32 exec_lo, exec_lo, s12
	v_lshrrev_b32_e32 v5, 24, v5
	s_delay_alu instid0(VALU_DEP_1)
	v_and_or_b32 v5, 0x80, v5, v6
	global_store_b8 v[0:1], v5, off
.LBB408_92:
	s_mov_b32 s17, 0
	s_mov_b32 s12, -1
.LBB408_93:
	s_and_not1_b32 vcc_lo, exec_lo, s17
	s_cbranch_vccnz .LBB408_101
; %bb.94:
	v_cmp_lt_i16_e32 vcc_lo, 14, v4
	s_mov_b32 s17, -1
	s_cbranch_vccz .LBB408_98
; %bb.95:
	v_cmp_eq_u16_e32 vcc_lo, 15, v4
	s_mov_b32 s0, -1
	s_cbranch_vccz .LBB408_97
; %bb.96:
	v_cvt_f32_f16_e32 v5, v3
	v_cmp_o_f16_e32 vcc_lo, v3, v3
	s_mov_b32 s12, -1
	s_mov_b32 s0, 0
	s_delay_alu instid0(VALU_DEP_2) | instskip(NEXT) | instid1(VALU_DEP_1)
	v_bfe_u32 v6, v5, 16, 1
	v_add3_u32 v5, v5, v6, 0x7fff
	s_delay_alu instid0(VALU_DEP_1) | instskip(NEXT) | instid1(VALU_DEP_1)
	v_lshrrev_b32_e32 v5, 16, v5
	v_cndmask_b32_e32 v5, 0x7fc0, v5, vcc_lo
	global_store_b16 v[0:1], v5, off
.LBB408_97:
	s_mov_b32 s17, 0
.LBB408_98:
	s_delay_alu instid0(SALU_CYCLE_1)
	s_and_b32 vcc_lo, exec_lo, s17
	s_cbranch_vccz .LBB408_101
; %bb.99:
	v_cmp_eq_u16_e32 vcc_lo, 11, v4
	s_mov_b32 s0, -1
	s_cbranch_vccz .LBB408_101
; %bb.100:
	v_and_b32_e32 v5, 0x7fff, v3
	s_mov_b32 s0, 0
	s_mov_b32 s12, -1
	s_delay_alu instid0(VALU_DEP_1)
	v_cmp_ne_u16_e32 vcc_lo, 0, v5
	v_cndmask_b32_e64 v5, 0, 1, vcc_lo
	global_store_b8 v[0:1], v5, off
.LBB408_101:
	s_branch .LBB408_20
.LBB408_102:
	v_cmp_gt_i16_e32 vcc_lo, 5, v4
	s_mov_b32 s12, -1
	s_cbranch_vccnz .LBB408_123
; %bb.103:
	v_cmp_gt_i16_e32 vcc_lo, 8, v4
	s_cbranch_vccnz .LBB408_113
; %bb.104:
	v_cmp_gt_i16_e32 vcc_lo, 9, v4
	s_cbranch_vccnz .LBB408_110
; %bb.105:
	v_cmp_lt_i16_e32 vcc_lo, 9, v4
	s_cbranch_vccz .LBB408_107
; %bb.106:
	v_cvt_f32_f16_e32 v5, v3
	v_mov_b32_e32 v7, 0
	s_mov_b32 s12, 0
	s_delay_alu instid0(VALU_DEP_2) | instskip(NEXT) | instid1(VALU_DEP_2)
	v_cvt_f64_f32_e32 v[5:6], v5
	v_mov_b32_e32 v8, v7
	global_store_b128 v[0:1], v[5:8], off
.LBB408_107:
	s_and_not1_b32 vcc_lo, exec_lo, s12
	s_cbranch_vccnz .LBB408_109
; %bb.108:
	v_cvt_f32_f16_e32 v5, v3
	v_mov_b32_e32 v6, 0
	global_store_b64 v[0:1], v[5:6], off
.LBB408_109:
	s_mov_b32 s12, 0
.LBB408_110:
	s_delay_alu instid0(SALU_CYCLE_1)
	s_and_not1_b32 vcc_lo, exec_lo, s12
	s_cbranch_vccnz .LBB408_112
; %bb.111:
	v_and_b32_e32 v5, 0xffff, v3
	global_store_b32 v[0:1], v5, off
.LBB408_112:
	s_mov_b32 s12, 0
.LBB408_113:
	s_delay_alu instid0(SALU_CYCLE_1)
	s_and_not1_b32 vcc_lo, exec_lo, s12
	s_cbranch_vccnz .LBB408_122
; %bb.114:
	v_cmp_gt_i16_e32 vcc_lo, 6, v4
	s_mov_b32 s12, -1
	s_cbranch_vccnz .LBB408_120
; %bb.115:
	v_cmp_lt_i16_e32 vcc_lo, 6, v4
	s_cbranch_vccz .LBB408_117
; %bb.116:
	v_cvt_f32_f16_e32 v5, v3
	s_mov_b32 s12, 0
	s_delay_alu instid0(VALU_DEP_1)
	v_cvt_f64_f32_e32 v[5:6], v5
	global_store_b64 v[0:1], v[5:6], off
.LBB408_117:
	s_and_not1_b32 vcc_lo, exec_lo, s12
	s_cbranch_vccnz .LBB408_119
; %bb.118:
	v_cvt_f32_f16_e32 v5, v3
	global_store_b32 v[0:1], v5, off
.LBB408_119:
	s_mov_b32 s12, 0
.LBB408_120:
	s_delay_alu instid0(SALU_CYCLE_1)
	s_and_not1_b32 vcc_lo, exec_lo, s12
	s_cbranch_vccnz .LBB408_122
; %bb.121:
	global_store_b16 v[0:1], v3, off
.LBB408_122:
	s_mov_b32 s12, 0
.LBB408_123:
	s_delay_alu instid0(SALU_CYCLE_1)
	s_and_not1_b32 vcc_lo, exec_lo, s12
	s_cbranch_vccnz .LBB408_139
; %bb.124:
	v_cmp_gt_i16_e32 vcc_lo, 2, v4
	s_mov_b32 s12, -1
	s_cbranch_vccnz .LBB408_134
; %bb.125:
	v_cmp_gt_i16_e32 vcc_lo, 3, v4
	s_cbranch_vccnz .LBB408_131
; %bb.126:
	v_cmp_lt_i16_e32 vcc_lo, 3, v4
	s_cbranch_vccz .LBB408_128
; %bb.127:
	v_cvt_f32_f16_e32 v5, v3
	s_mov_b32 s12, 0
	s_delay_alu instid0(VALU_DEP_1) | instskip(NEXT) | instid1(VALU_DEP_1)
	v_cvt_i32_f32_e32 v5, v5
	v_ashrrev_i32_e32 v6, 31, v5
	global_store_b64 v[0:1], v[5:6], off
.LBB408_128:
	s_and_not1_b32 vcc_lo, exec_lo, s12
	s_cbranch_vccnz .LBB408_130
; %bb.129:
	v_cvt_f32_f16_e32 v5, v3
	s_delay_alu instid0(VALU_DEP_1)
	v_cvt_i32_f32_e32 v5, v5
	global_store_b32 v[0:1], v5, off
.LBB408_130:
	s_mov_b32 s12, 0
.LBB408_131:
	s_delay_alu instid0(SALU_CYCLE_1)
	s_and_not1_b32 vcc_lo, exec_lo, s12
	s_cbranch_vccnz .LBB408_133
; %bb.132:
	v_cvt_i16_f16_e32 v5, v3
	global_store_b16 v[0:1], v5, off
.LBB408_133:
	s_mov_b32 s12, 0
.LBB408_134:
	s_delay_alu instid0(SALU_CYCLE_1)
	s_and_not1_b32 vcc_lo, exec_lo, s12
	s_cbranch_vccnz .LBB408_139
; %bb.135:
	v_cmp_lt_i16_e32 vcc_lo, 0, v4
	s_mov_b32 s12, -1
	s_cbranch_vccz .LBB408_137
; %bb.136:
	v_cvt_i16_f16_e32 v4, v3
	s_mov_b32 s12, 0
	global_store_b8 v[0:1], v4, off
.LBB408_137:
	s_and_not1_b32 vcc_lo, exec_lo, s12
	s_cbranch_vccnz .LBB408_139
; %bb.138:
	v_cvt_f32_f16_e32 v3, v3
	s_delay_alu instid0(VALU_DEP_1)
	v_cvt_i32_f32_e32 v3, v3
	global_store_b8 v[0:1], v3, off
.LBB408_139:
.LBB408_140:
	v_add_nc_u32_e32 v2, 0x80, v2
	s_mov_b32 s17, -1
	s_branch .LBB408_251
.LBB408_141:
	s_mov_b32 s14, -1
                                        ; implicit-def: $vgpr3
.LBB408_142:
	s_mov_b32 s12, 0
.LBB408_143:
	s_delay_alu instid0(SALU_CYCLE_1)
	s_and_b32 vcc_lo, exec_lo, s12
	s_cbranch_vccz .LBB408_147
; %bb.144:
	v_cmp_eq_u16_e64 s12, s9, 29
	s_delay_alu instid0(VALU_DEP_1)
	s_and_b32 vcc_lo, exec_lo, s12
	s_cbranch_vccz .LBB408_146
; %bb.145:
	global_load_b64 v[3:4], v[0:1], off
	s_mov_b32 s0, -1
	s_mov_b32 s14, 0
	s_mov_b32 s12, 0
	s_waitcnt vmcnt(0)
	v_clz_i32_u32_e32 v5, v4
	s_delay_alu instid0(VALU_DEP_1) | instskip(NEXT) | instid1(VALU_DEP_1)
	v_min_u32_e32 v5, 32, v5
	v_lshlrev_b64 v[3:4], v5, v[3:4]
	s_delay_alu instid0(VALU_DEP_1) | instskip(NEXT) | instid1(VALU_DEP_1)
	v_min_u32_e32 v3, 1, v3
	v_or_b32_e32 v3, v4, v3
	v_sub_nc_u32_e32 v4, 32, v5
	s_delay_alu instid0(VALU_DEP_2) | instskip(NEXT) | instid1(VALU_DEP_1)
	v_cvt_f32_u32_e32 v3, v3
	v_ldexp_f32 v3, v3, v4
	s_delay_alu instid0(VALU_DEP_1)
	v_cvt_f16_f32_e32 v3, v3
	s_branch .LBB408_148
.LBB408_146:
	s_mov_b32 s14, -1
                                        ; implicit-def: $vgpr3
.LBB408_147:
	s_mov_b32 s12, 0
.LBB408_148:
	s_delay_alu instid0(SALU_CYCLE_1)
	s_and_b32 vcc_lo, exec_lo, s12
	s_cbranch_vccz .LBB408_166
; %bb.149:
	v_cmp_lt_i16_e64 s0, s9, 27
	s_delay_alu instid0(VALU_DEP_1)
	s_and_b32 vcc_lo, exec_lo, s0
	s_cbranch_vccnz .LBB408_152
; %bb.150:
	v_cmp_gt_i16_e64 s0, s9, 27
	s_delay_alu instid0(VALU_DEP_1)
	s_and_b32 vcc_lo, exec_lo, s0
	s_cbranch_vccz .LBB408_153
; %bb.151:
	global_load_b32 v3, v[0:1], off
	s_mov_b32 s0, 0
	s_waitcnt vmcnt(0)
	v_cvt_f32_u32_e32 v3, v3
	s_delay_alu instid0(VALU_DEP_1)
	v_cvt_f16_f32_e32 v3, v3
	s_branch .LBB408_154
.LBB408_152:
	s_mov_b32 s0, -1
                                        ; implicit-def: $vgpr3
	s_branch .LBB408_157
.LBB408_153:
	s_mov_b32 s0, -1
                                        ; implicit-def: $vgpr3
.LBB408_154:
	s_delay_alu instid0(SALU_CYCLE_1)
	s_and_not1_b32 vcc_lo, exec_lo, s0
	s_cbranch_vccnz .LBB408_156
; %bb.155:
	global_load_u16 v3, v[0:1], off
	s_waitcnt vmcnt(0)
	v_cvt_f16_u16_e32 v3, v3
.LBB408_156:
	s_mov_b32 s0, 0
.LBB408_157:
	s_delay_alu instid0(SALU_CYCLE_1)
	s_and_not1_b32 vcc_lo, exec_lo, s0
	s_cbranch_vccnz .LBB408_165
; %bb.158:
	global_load_u8 v4, v[0:1], off
	s_mov_b32 s0, 0
	s_mov_b32 s17, exec_lo
                                        ; implicit-def: $sgpr12
	s_waitcnt vmcnt(0)
	v_cmpx_lt_i16_e32 0x7f, v4
	s_xor_b32 s17, exec_lo, s17
	s_cbranch_execz .LBB408_178
; %bb.159:
	s_mov_b32 s0, -1
	s_mov_b32 s18, exec_lo
                                        ; implicit-def: $sgpr12
	v_cmpx_eq_u16_e32 0x80, v4
; %bb.160:
	s_movk_i32 s12, 0x7e00
	s_xor_b32 s0, exec_lo, -1
; %bb.161:
	s_or_b32 exec_lo, exec_lo, s18
	s_delay_alu instid0(SALU_CYCLE_1)
	s_and_b32 s0, s0, exec_lo
	s_or_saveexec_b32 s17, s17
	v_mov_b32_e32 v3, s12
	s_xor_b32 exec_lo, exec_lo, s17
	s_cbranch_execnz .LBB408_179
.LBB408_162:
	s_or_b32 exec_lo, exec_lo, s17
	s_and_saveexec_b32 s12, s0
	s_cbranch_execz .LBB408_164
.LBB408_163:
	v_and_b32_e32 v3, 0xffff, v4
	s_delay_alu instid0(VALU_DEP_1) | instskip(NEXT) | instid1(VALU_DEP_1)
	v_and_b32_e32 v5, 7, v3
	v_clz_i32_u32_e32 v6, v5
	s_delay_alu instid0(VALU_DEP_1) | instskip(NEXT) | instid1(VALU_DEP_1)
	v_min_u32_e32 v6, 32, v6
	v_subrev_nc_u32_e32 v7, 28, v6
	v_sub_nc_u32_e32 v6, 29, v6
	s_delay_alu instid0(VALU_DEP_2) | instskip(SKIP_1) | instid1(VALU_DEP_2)
	v_lshlrev_b32_e32 v7, v7, v3
	v_bfe_u32 v3, v3, 3, 4
	v_and_b32_e32 v7, 7, v7
	s_delay_alu instid0(VALU_DEP_2) | instskip(SKIP_1) | instid1(VALU_DEP_1)
	v_cmp_eq_u32_e32 vcc_lo, 0, v3
	v_dual_cndmask_b32 v3, v3, v6 :: v_dual_lshlrev_b32 v4, 24, v4
	v_dual_cndmask_b32 v5, v5, v7 :: v_dual_and_b32 v4, 0x80000000, v4
	s_delay_alu instid0(VALU_DEP_2) | instskip(NEXT) | instid1(VALU_DEP_2)
	v_lshl_add_u32 v3, v3, 23, 0x3b800000
	v_lshlrev_b32_e32 v5, 20, v5
	s_delay_alu instid0(VALU_DEP_1) | instskip(NEXT) | instid1(VALU_DEP_1)
	v_or3_b32 v3, v4, v3, v5
	v_cvt_f16_f32_e32 v3, v3
.LBB408_164:
	s_or_b32 exec_lo, exec_lo, s12
.LBB408_165:
	s_mov_b32 s0, -1
.LBB408_166:
	s_branch .LBB408_201
.LBB408_167:
	v_cmp_gt_i16_e64 s12, s9, 22
	s_delay_alu instid0(VALU_DEP_1)
	s_and_b32 vcc_lo, exec_lo, s12
	s_cbranch_vccz .LBB408_177
; %bb.168:
	v_cmp_lt_i16_e64 s0, s9, 24
	s_delay_alu instid0(VALU_DEP_1)
	s_and_b32 vcc_lo, exec_lo, s0
	s_cbranch_vccnz .LBB408_180
; %bb.169:
	v_cmp_gt_i16_e64 s0, s9, 24
	s_delay_alu instid0(VALU_DEP_1)
	s_and_b32 vcc_lo, exec_lo, s0
	s_cbranch_vccz .LBB408_181
; %bb.170:
	global_load_u8 v4, v[0:1], off
	s_mov_b32 s0, 0
	s_mov_b32 s17, exec_lo
                                        ; implicit-def: $sgpr12
	s_waitcnt vmcnt(0)
	v_cmpx_lt_i16_e32 0x7f, v4
	s_xor_b32 s17, exec_lo, s17
	s_cbranch_execz .LBB408_193
; %bb.171:
	s_mov_b32 s0, -1
	s_mov_b32 s18, exec_lo
                                        ; implicit-def: $sgpr12
	v_cmpx_eq_u16_e32 0x80, v4
; %bb.172:
	s_movk_i32 s12, 0x7e00
	s_xor_b32 s0, exec_lo, -1
; %bb.173:
	s_or_b32 exec_lo, exec_lo, s18
	s_delay_alu instid0(SALU_CYCLE_1)
	s_and_b32 s0, s0, exec_lo
	s_or_saveexec_b32 s17, s17
	v_mov_b32_e32 v3, s12
	s_xor_b32 exec_lo, exec_lo, s17
	s_cbranch_execnz .LBB408_194
.LBB408_174:
	s_or_b32 exec_lo, exec_lo, s17
	s_and_saveexec_b32 s12, s0
	s_cbranch_execz .LBB408_176
.LBB408_175:
	v_and_b32_e32 v3, 0xffff, v4
	s_delay_alu instid0(VALU_DEP_1) | instskip(NEXT) | instid1(VALU_DEP_1)
	v_and_b32_e32 v5, 3, v3
	v_clz_i32_u32_e32 v6, v5
	s_delay_alu instid0(VALU_DEP_1) | instskip(NEXT) | instid1(VALU_DEP_1)
	v_min_u32_e32 v6, 32, v6
	v_subrev_nc_u32_e32 v7, 29, v6
	v_sub_nc_u32_e32 v6, 30, v6
	s_delay_alu instid0(VALU_DEP_2) | instskip(SKIP_1) | instid1(VALU_DEP_2)
	v_lshlrev_b32_e32 v7, v7, v3
	v_bfe_u32 v3, v3, 2, 5
	v_and_b32_e32 v7, 3, v7
	s_delay_alu instid0(VALU_DEP_2) | instskip(SKIP_1) | instid1(VALU_DEP_1)
	v_cmp_eq_u32_e32 vcc_lo, 0, v3
	v_dual_cndmask_b32 v3, v3, v6 :: v_dual_lshlrev_b32 v4, 24, v4
	v_dual_cndmask_b32 v5, v5, v7 :: v_dual_and_b32 v4, 0x80000000, v4
	s_delay_alu instid0(VALU_DEP_2) | instskip(NEXT) | instid1(VALU_DEP_2)
	v_lshl_add_u32 v3, v3, 23, 0x37800000
	v_lshlrev_b32_e32 v5, 21, v5
	s_delay_alu instid0(VALU_DEP_1) | instskip(NEXT) | instid1(VALU_DEP_1)
	v_or3_b32 v3, v4, v3, v5
	v_cvt_f16_f32_e32 v3, v3
.LBB408_176:
	s_or_b32 exec_lo, exec_lo, s12
	s_mov_b32 s0, 0
	s_branch .LBB408_182
.LBB408_177:
	s_mov_b32 s12, -1
                                        ; implicit-def: $vgpr3
	s_branch .LBB408_188
.LBB408_178:
	s_or_saveexec_b32 s17, s17
	v_mov_b32_e32 v3, s12
	s_xor_b32 exec_lo, exec_lo, s17
	s_cbranch_execz .LBB408_162
.LBB408_179:
	v_cmp_ne_u16_e32 vcc_lo, 0, v4
	v_mov_b32_e32 v3, v4
	s_and_not1_b32 s0, s0, exec_lo
	s_and_b32 s12, vcc_lo, exec_lo
	s_delay_alu instid0(SALU_CYCLE_1)
	s_or_b32 s0, s0, s12
	s_or_b32 exec_lo, exec_lo, s17
	s_and_saveexec_b32 s12, s0
	s_cbranch_execnz .LBB408_163
	s_branch .LBB408_164
.LBB408_180:
	s_mov_b32 s0, -1
                                        ; implicit-def: $vgpr3
	s_branch .LBB408_185
.LBB408_181:
	s_mov_b32 s0, -1
                                        ; implicit-def: $vgpr3
.LBB408_182:
	s_delay_alu instid0(SALU_CYCLE_1)
	s_and_b32 vcc_lo, exec_lo, s0
	s_cbranch_vccz .LBB408_184
; %bb.183:
	global_load_u8 v3, v[0:1], off
	s_waitcnt vmcnt(0)
	v_lshlrev_b32_e32 v3, 24, v3
	s_delay_alu instid0(VALU_DEP_1) | instskip(NEXT) | instid1(VALU_DEP_1)
	v_and_b32_e32 v4, 0x7f000000, v3
	v_clz_i32_u32_e32 v5, v4
	v_add_nc_u32_e32 v7, 0x1000000, v4
	v_cmp_ne_u32_e32 vcc_lo, 0, v4
	s_delay_alu instid0(VALU_DEP_3) | instskip(NEXT) | instid1(VALU_DEP_1)
	v_min_u32_e32 v5, 32, v5
	v_sub_nc_u32_e64 v5, v5, 4 clamp
	s_delay_alu instid0(VALU_DEP_1) | instskip(SKIP_1) | instid1(VALU_DEP_2)
	v_lshlrev_b32_e32 v6, v5, v4
	v_lshlrev_b32_e32 v5, 23, v5
	v_lshrrev_b32_e32 v6, 4, v6
	s_delay_alu instid0(VALU_DEP_1) | instskip(SKIP_1) | instid1(VALU_DEP_2)
	v_sub_nc_u32_e32 v5, v6, v5
	v_ashrrev_i32_e32 v6, 8, v7
	v_add_nc_u32_e32 v5, 0x3c000000, v5
	s_delay_alu instid0(VALU_DEP_1) | instskip(NEXT) | instid1(VALU_DEP_1)
	v_and_or_b32 v5, 0x7f800000, v6, v5
	v_cndmask_b32_e32 v4, 0, v5, vcc_lo
	s_delay_alu instid0(VALU_DEP_1) | instskip(NEXT) | instid1(VALU_DEP_1)
	v_and_or_b32 v3, 0x80000000, v3, v4
	v_cvt_f16_f32_e32 v3, v3
.LBB408_184:
	s_mov_b32 s0, 0
.LBB408_185:
	s_delay_alu instid0(SALU_CYCLE_1)
	s_and_not1_b32 vcc_lo, exec_lo, s0
	s_cbranch_vccnz .LBB408_187
; %bb.186:
	global_load_u8 v3, v[0:1], off
	s_waitcnt vmcnt(0)
	v_lshlrev_b32_e32 v4, 25, v3
	v_lshlrev_b16 v3, 8, v3
	s_delay_alu instid0(VALU_DEP_2) | instskip(NEXT) | instid1(VALU_DEP_2)
	v_lshrrev_b32_e32 v5, 4, v4
	v_and_or_b32 v6, 0x7f00, v3, 0.5
	v_bfe_i32 v3, v3, 0, 16
	s_delay_alu instid0(VALU_DEP_3) | instskip(NEXT) | instid1(VALU_DEP_1)
	v_or_b32_e32 v5, 0x70000000, v5
	v_dual_add_f32 v6, -0.5, v6 :: v_dual_mul_f32 v5, 0x7800000, v5
	v_cmp_gt_u32_e32 vcc_lo, 0x8000000, v4
	s_delay_alu instid0(VALU_DEP_2) | instskip(NEXT) | instid1(VALU_DEP_1)
	v_cndmask_b32_e32 v4, v5, v6, vcc_lo
	v_and_or_b32 v3, 0x80000000, v3, v4
	s_delay_alu instid0(VALU_DEP_1)
	v_cvt_f16_f32_e32 v3, v3
.LBB408_187:
	s_mov_b32 s12, 0
	s_mov_b32 s0, -1
.LBB408_188:
	s_and_not1_b32 vcc_lo, exec_lo, s12
	s_cbranch_vccnz .LBB408_201
; %bb.189:
	v_cmp_gt_i16_e64 s12, s9, 14
	s_delay_alu instid0(VALU_DEP_1)
	s_and_b32 vcc_lo, exec_lo, s12
	s_cbranch_vccz .LBB408_192
; %bb.190:
	v_cmp_eq_u16_e64 s12, s9, 15
	s_delay_alu instid0(VALU_DEP_1)
	s_and_b32 vcc_lo, exec_lo, s12
	s_cbranch_vccz .LBB408_195
; %bb.191:
	global_load_u16 v3, v[0:1], off
	s_mov_b32 s0, -1
	s_mov_b32 s14, 0
	s_waitcnt vmcnt(0)
	v_lshlrev_b32_e32 v3, 16, v3
	s_delay_alu instid0(VALU_DEP_1)
	v_cvt_f16_f32_e32 v3, v3
	s_branch .LBB408_196
.LBB408_192:
	s_mov_b32 s12, -1
                                        ; implicit-def: $vgpr3
	s_branch .LBB408_197
.LBB408_193:
	s_or_saveexec_b32 s17, s17
	v_mov_b32_e32 v3, s12
	s_xor_b32 exec_lo, exec_lo, s17
	s_cbranch_execz .LBB408_174
.LBB408_194:
	v_cmp_ne_u16_e32 vcc_lo, 0, v4
	v_mov_b32_e32 v3, v4
	s_and_not1_b32 s0, s0, exec_lo
	s_and_b32 s12, vcc_lo, exec_lo
	s_delay_alu instid0(SALU_CYCLE_1)
	s_or_b32 s0, s0, s12
	s_or_b32 exec_lo, exec_lo, s17
	s_and_saveexec_b32 s12, s0
	s_cbranch_execnz .LBB408_175
	s_branch .LBB408_176
.LBB408_195:
	s_mov_b32 s14, -1
                                        ; implicit-def: $vgpr3
.LBB408_196:
	s_mov_b32 s12, 0
.LBB408_197:
	s_delay_alu instid0(SALU_CYCLE_1)
	s_and_b32 vcc_lo, exec_lo, s12
	s_cbranch_vccz .LBB408_201
; %bb.198:
	v_cmp_eq_u16_e64 s12, s9, 11
	s_delay_alu instid0(VALU_DEP_1)
	s_and_b32 vcc_lo, exec_lo, s12
	s_cbranch_vccz .LBB408_200
; %bb.199:
	global_load_u8 v3, v[0:1], off
	s_mov_b32 s14, 0
	s_mov_b32 s0, -1
	s_waitcnt vmcnt(0)
	v_cmp_ne_u16_e32 vcc_lo, 0, v3
	v_cndmask_b32_e64 v3, 0, 0x3c00, vcc_lo
	s_branch .LBB408_201
.LBB408_200:
	s_mov_b32 s14, -1
                                        ; implicit-def: $vgpr3
.LBB408_201:
	s_branch .LBB408_10
.LBB408_202:
	v_cmp_lt_i16_e64 s0, s9, 5
	s_delay_alu instid0(VALU_DEP_1)
	s_and_b32 vcc_lo, exec_lo, s0
	s_cbranch_vccnz .LBB408_207
; %bb.203:
	v_cmp_lt_i16_e64 s0, s9, 8
	s_delay_alu instid0(VALU_DEP_1)
	s_and_b32 vcc_lo, exec_lo, s0
	s_cbranch_vccnz .LBB408_208
; %bb.204:
	;; [unrolled: 5-line block ×3, first 2 shown]
	v_cmp_gt_i16_e64 s0, s9, 9
	s_delay_alu instid0(VALU_DEP_1)
	s_and_b32 vcc_lo, exec_lo, s0
	s_cbranch_vccz .LBB408_210
; %bb.206:
	global_load_b64 v[3:4], v[0:1], off
	s_mov_b32 s0, 0
	s_waitcnt vmcnt(0)
	v_cvt_f32_f64_e32 v3, v[3:4]
	s_delay_alu instid0(VALU_DEP_1)
	v_cvt_f16_f32_e32 v3, v3
	s_branch .LBB408_211
.LBB408_207:
                                        ; implicit-def: $vgpr3
	s_branch .LBB408_229
.LBB408_208:
	s_mov_b32 s0, -1
                                        ; implicit-def: $vgpr3
	s_branch .LBB408_217
.LBB408_209:
	s_mov_b32 s0, -1
                                        ; implicit-def: $vgpr3
	s_branch .LBB408_214
.LBB408_210:
	s_mov_b32 s0, -1
                                        ; implicit-def: $vgpr3
.LBB408_211:
	s_delay_alu instid0(SALU_CYCLE_1)
	s_and_not1_b32 vcc_lo, exec_lo, s0
	s_cbranch_vccnz .LBB408_213
; %bb.212:
	global_load_b32 v3, v[0:1], off
	s_waitcnt vmcnt(0)
	v_cvt_f16_f32_e32 v3, v3
.LBB408_213:
	s_mov_b32 s0, 0
.LBB408_214:
	s_delay_alu instid0(SALU_CYCLE_1)
	s_and_not1_b32 vcc_lo, exec_lo, s0
	s_cbranch_vccnz .LBB408_216
; %bb.215:
	global_load_b32 v3, v[0:1], off
.LBB408_216:
	s_mov_b32 s0, 0
.LBB408_217:
	s_delay_alu instid0(SALU_CYCLE_1)
	s_and_not1_b32 vcc_lo, exec_lo, s0
	s_cbranch_vccnz .LBB408_228
; %bb.218:
	v_cmp_lt_i16_e64 s0, s9, 6
	s_delay_alu instid0(VALU_DEP_1)
	s_and_b32 vcc_lo, exec_lo, s0
	s_cbranch_vccnz .LBB408_221
; %bb.219:
	v_cmp_gt_i16_e64 s0, s9, 6
	s_delay_alu instid0(VALU_DEP_1)
	s_and_b32 vcc_lo, exec_lo, s0
	s_cbranch_vccz .LBB408_222
; %bb.220:
	global_load_b64 v[3:4], v[0:1], off
	s_mov_b32 s0, 0
	s_waitcnt vmcnt(0)
	v_cvt_f32_f64_e32 v3, v[3:4]
	s_delay_alu instid0(VALU_DEP_1)
	v_cvt_f16_f32_e32 v3, v3
	s_branch .LBB408_223
.LBB408_221:
	s_mov_b32 s0, -1
                                        ; implicit-def: $vgpr3
	s_branch .LBB408_226
.LBB408_222:
	s_mov_b32 s0, -1
                                        ; implicit-def: $vgpr3
.LBB408_223:
	s_delay_alu instid0(SALU_CYCLE_1)
	s_and_not1_b32 vcc_lo, exec_lo, s0
	s_cbranch_vccnz .LBB408_225
; %bb.224:
	global_load_b32 v3, v[0:1], off
	s_waitcnt vmcnt(0)
	v_cvt_f16_f32_e32 v3, v3
.LBB408_225:
	s_mov_b32 s0, 0
.LBB408_226:
	s_delay_alu instid0(SALU_CYCLE_1)
	s_and_not1_b32 vcc_lo, exec_lo, s0
	s_cbranch_vccnz .LBB408_228
; %bb.227:
	global_load_u16 v3, v[0:1], off
.LBB408_228:
	s_cbranch_execnz .LBB408_248
.LBB408_229:
	v_cmp_lt_i16_e64 s0, s9, 2
	s_delay_alu instid0(VALU_DEP_1)
	s_and_b32 vcc_lo, exec_lo, s0
	s_cbranch_vccnz .LBB408_233
; %bb.230:
	v_cmp_lt_i16_e64 s0, s9, 3
	s_delay_alu instid0(VALU_DEP_1)
	s_and_b32 vcc_lo, exec_lo, s0
	s_cbranch_vccnz .LBB408_234
; %bb.231:
	v_cmp_gt_i16_e64 s0, s9, 3
	s_delay_alu instid0(VALU_DEP_1)
	s_and_b32 vcc_lo, exec_lo, s0
	s_cbranch_vccz .LBB408_235
; %bb.232:
	global_load_b64 v[3:4], v[0:1], off
	s_mov_b32 s0, 0
	s_waitcnt vmcnt(0)
	v_xor_b32_e32 v5, v3, v4
	v_cls_i32_e32 v6, v4
	s_delay_alu instid0(VALU_DEP_2) | instskip(NEXT) | instid1(VALU_DEP_2)
	v_ashrrev_i32_e32 v5, 31, v5
	v_add_nc_u32_e32 v6, -1, v6
	s_delay_alu instid0(VALU_DEP_2) | instskip(NEXT) | instid1(VALU_DEP_1)
	v_add_nc_u32_e32 v5, 32, v5
	v_min_u32_e32 v5, v6, v5
	s_delay_alu instid0(VALU_DEP_1) | instskip(NEXT) | instid1(VALU_DEP_1)
	v_lshlrev_b64 v[3:4], v5, v[3:4]
	v_min_u32_e32 v3, 1, v3
	s_delay_alu instid0(VALU_DEP_1) | instskip(SKIP_1) | instid1(VALU_DEP_2)
	v_or_b32_e32 v3, v4, v3
	v_sub_nc_u32_e32 v4, 32, v5
	v_cvt_f32_i32_e32 v3, v3
	s_delay_alu instid0(VALU_DEP_1) | instskip(NEXT) | instid1(VALU_DEP_1)
	v_ldexp_f32 v3, v3, v4
	v_cvt_f16_f32_e32 v3, v3
	s_branch .LBB408_236
.LBB408_233:
	s_mov_b32 s0, -1
                                        ; implicit-def: $vgpr3
	s_branch .LBB408_242
.LBB408_234:
	s_mov_b32 s0, -1
                                        ; implicit-def: $vgpr3
	s_branch .LBB408_239
.LBB408_235:
	s_mov_b32 s0, -1
                                        ; implicit-def: $vgpr3
.LBB408_236:
	s_delay_alu instid0(SALU_CYCLE_1)
	s_and_not1_b32 vcc_lo, exec_lo, s0
	s_cbranch_vccnz .LBB408_238
; %bb.237:
	global_load_b32 v3, v[0:1], off
	s_waitcnt vmcnt(0)
	v_cvt_f32_i32_e32 v3, v3
	s_delay_alu instid0(VALU_DEP_1)
	v_cvt_f16_f32_e32 v3, v3
.LBB408_238:
	s_mov_b32 s0, 0
.LBB408_239:
	s_delay_alu instid0(SALU_CYCLE_1)
	s_and_not1_b32 vcc_lo, exec_lo, s0
	s_cbranch_vccnz .LBB408_241
; %bb.240:
	global_load_u16 v3, v[0:1], off
	s_waitcnt vmcnt(0)
	v_cvt_f16_i16_e32 v3, v3
.LBB408_241:
	s_mov_b32 s0, 0
.LBB408_242:
	s_delay_alu instid0(SALU_CYCLE_1)
	s_and_not1_b32 vcc_lo, exec_lo, s0
	s_cbranch_vccnz .LBB408_248
; %bb.243:
	v_cmp_gt_i16_e64 s0, s9, 0
	s_delay_alu instid0(VALU_DEP_1)
	s_and_b32 vcc_lo, exec_lo, s0
	s_mov_b32 s0, 0
	s_cbranch_vccz .LBB408_245
; %bb.244:
	global_load_i8 v3, v[0:1], off
	s_waitcnt vmcnt(0)
	v_cvt_f16_i16_e32 v3, v3
	s_branch .LBB408_246
.LBB408_245:
	s_mov_b32 s0, -1
                                        ; implicit-def: $vgpr3
.LBB408_246:
	s_delay_alu instid0(SALU_CYCLE_1)
	s_and_not1_b32 vcc_lo, exec_lo, s0
	s_cbranch_vccnz .LBB408_248
; %bb.247:
	global_load_u8 v0, v[0:1], off
	s_waitcnt vmcnt(0)
	v_cvt_f16_u16_e32 v3, v0
.LBB408_248:
	s_branch .LBB408_11
.LBB408_249:
	s_mov_b32 s0, 0
.LBB408_250:
	s_mov_b32 s17, 0
                                        ; implicit-def: $vgpr2
.LBB408_251:
	s_and_b32 s12, s0, exec_lo
	s_and_b32 s14, s14, exec_lo
	s_or_not1_b32 s18, s17, exec_lo
.LBB408_252:
	s_or_b32 exec_lo, exec_lo, s15
	s_mov_b32 s17, 0
	s_mov_b32 s0, 0
                                        ; implicit-def: $vgpr0_vgpr1
                                        ; implicit-def: $vgpr5
	s_and_saveexec_b32 s15, s18
	s_cbranch_execz .LBB408_860
; %bb.253:
	s_mov_b32 s0, -1
	s_mov_b32 s16, s14
	s_mov_b32 s17, s12
	s_mov_b32 s18, exec_lo
	v_cmpx_gt_i32_e64 s13, v2
	s_cbranch_execz .LBB408_512
; %bb.254:
	v_mul_lo_u32 v0, v2, s3
	v_cmp_lt_i16_e64 s0, s9, 11
	s_delay_alu instid0(VALU_DEP_2) | instskip(SKIP_1) | instid1(VALU_DEP_2)
	v_ashrrev_i32_e32 v1, 31, v0
	v_add_co_u32 v0, vcc_lo, s6, v0
	v_add_co_ci_u32_e32 v1, vcc_lo, s7, v1, vcc_lo
	s_delay_alu instid0(VALU_DEP_4)
	s_and_b32 vcc_lo, exec_lo, s0
	s_cbranch_vccnz .LBB408_261
; %bb.255:
	v_cmp_gt_i16_e64 s0, s9, 25
	s_delay_alu instid0(VALU_DEP_1)
	s_and_b32 vcc_lo, exec_lo, s0
	s_cbranch_vccz .LBB408_270
; %bb.256:
	v_cmp_gt_i16_e64 s0, s9, 28
	s_delay_alu instid0(VALU_DEP_1)
	s_and_b32 vcc_lo, exec_lo, s0
	s_cbranch_vccz .LBB408_272
; %bb.257:
	v_cmp_gt_i16_e64 s0, s9, 43
	s_delay_alu instid0(VALU_DEP_1)
	s_and_b32 vcc_lo, exec_lo, s0
	s_cbranch_vccz .LBB408_274
; %bb.258:
	v_cmp_gt_i16_e64 s0, s9, 45
	s_delay_alu instid0(VALU_DEP_1)
	s_and_b32 vcc_lo, exec_lo, s0
	s_cbranch_vccz .LBB408_278
; %bb.259:
	v_cmp_eq_u16_e64 s0, s9, 46
	s_mov_b32 s17, 0
	s_delay_alu instid0(VALU_DEP_1)
	s_and_b32 vcc_lo, exec_lo, s0
	s_cbranch_vccz .LBB408_282
; %bb.260:
	global_load_b32 v3, v[0:1], off
	s_mov_b32 s0, -1
	s_mov_b32 s16, 0
	s_waitcnt vmcnt(0)
	v_lshlrev_b32_e32 v3, 16, v3
	s_delay_alu instid0(VALU_DEP_1)
	v_cvt_f16_f32_e32 v3, v3
	s_branch .LBB408_284
.LBB408_261:
	s_mov_b32 s0, 0
	s_mov_b32 s16, s14
                                        ; implicit-def: $vgpr3
	s_cbranch_execnz .LBB408_461
.LBB408_262:
	s_and_not1_b32 vcc_lo, exec_lo, s0
	s_cbranch_vccnz .LBB408_509
.LBB408_263:
	v_mul_lo_u32 v0, v2, s2
	s_waitcnt vmcnt(0)
	s_delay_alu instid0(VALU_DEP_2) | instskip(SKIP_2) | instid1(VALU_DEP_2)
	v_cmp_u_f16_e32 vcc_lo, v3, v3
	v_cmp_lt_f16_e64 s0, s8, v3
	v_and_b32_e64 v4, 0xff, s1
	s_or_b32 vcc_lo, vcc_lo, s0
	s_delay_alu instid0(VALU_DEP_4) | instskip(SKIP_1) | instid1(VALU_DEP_3)
	v_ashrrev_i32_e32 v1, 31, v0
	v_cndmask_b32_e32 v3, s8, v3, vcc_lo
	v_cmp_gt_i16_e32 vcc_lo, 11, v4
	v_add_co_u32 v0, s0, s4, v0
	s_delay_alu instid0(VALU_DEP_1)
	v_add_co_ci_u32_e64 v1, s0, s5, v1, s0
	s_cbranch_vccnz .LBB408_271
; %bb.264:
	v_cmp_lt_i16_e32 vcc_lo, 25, v4
	s_cbranch_vccz .LBB408_273
; %bb.265:
	v_cmp_lt_i16_e32 vcc_lo, 28, v4
	s_cbranch_vccz .LBB408_275
	;; [unrolled: 3-line block ×4, first 2 shown]
; %bb.268:
	v_cmp_eq_u16_e32 vcc_lo, 46, v4
	s_mov_b32 s19, 0
	s_mov_b32 s0, -1
	s_mov_b32 s17, 0
	s_cbranch_vccz .LBB408_288
; %bb.269:
	v_cvt_f32_f16_e32 v5, v3
	v_cmp_o_f16_e32 vcc_lo, v3, v3
	s_mov_b32 s17, -1
	s_mov_b32 s0, 0
	s_delay_alu instid0(VALU_DEP_2) | instskip(NEXT) | instid1(VALU_DEP_1)
	v_bfe_u32 v6, v5, 16, 1
	v_add3_u32 v5, v5, v6, 0x7fff
	s_delay_alu instid0(VALU_DEP_1) | instskip(NEXT) | instid1(VALU_DEP_1)
	v_lshrrev_b32_e32 v5, 16, v5
	v_cndmask_b32_e32 v5, 0x7fc0, v5, vcc_lo
	global_store_b32 v[0:1], v5, off
	s_branch .LBB408_288
.LBB408_270:
	s_mov_b32 s17, -1
	s_mov_b32 s0, 0
	s_mov_b32 s16, s14
                                        ; implicit-def: $vgpr3
	s_branch .LBB408_425
.LBB408_271:
	s_mov_b32 s19, -1
	s_mov_b32 s17, 0
	s_mov_b32 s0, s12
	s_branch .LBB408_357
.LBB408_272:
	s_mov_b32 s17, -1
	s_mov_b32 s0, 0
	s_mov_b32 s16, s14
                                        ; implicit-def: $vgpr3
	s_branch .LBB408_406
.LBB408_273:
	s_mov_b32 s19, -1
	s_mov_b32 s17, 0
	s_mov_b32 s0, s12
	s_branch .LBB408_315
.LBB408_274:
	s_mov_b32 s17, -1
	s_mov_b32 s0, 0
	s_mov_b32 s16, s14
                                        ; implicit-def: $vgpr3
	s_branch .LBB408_401
.LBB408_275:
	s_mov_b32 s19, -1
	s_mov_b32 s17, 0
	s_mov_b32 s0, s12
	s_branch .LBB408_298
.LBB408_276:
	s_or_saveexec_b32 s18, s18
                                        ; implicit-def: $sgpr19
	s_delay_alu instid0(SALU_CYCLE_1)
	s_xor_b32 exec_lo, exec_lo, s18
	s_cbranch_execz .LBB408_54
.LBB408_277:
	v_add_f32_e64 v6, 0x46000000, |v5|
	s_and_not1_b32 s17, s17, exec_lo
	s_mov_b32 s19, 0
	s_delay_alu instid0(VALU_DEP_1) | instskip(NEXT) | instid1(VALU_DEP_1)
	v_and_b32_e32 v6, 0xff, v6
	v_cmp_ne_u32_e32 vcc_lo, 0, v6
	s_and_b32 s20, vcc_lo, exec_lo
	s_delay_alu instid0(SALU_CYCLE_1)
	s_or_b32 s17, s17, s20
	s_or_b32 exec_lo, exec_lo, s18
	v_mov_b32_e32 v7, s19
	s_and_saveexec_b32 s18, s17
	s_cbranch_execnz .LBB408_55
	s_branch .LBB408_56
.LBB408_278:
	s_mov_b32 s17, -1
	s_mov_b32 s0, 0
	s_mov_b32 s16, s14
	s_branch .LBB408_283
.LBB408_279:
	s_mov_b32 s19, -1
	s_mov_b32 s17, 0
	s_mov_b32 s0, s12
	s_branch .LBB408_294
.LBB408_280:
	s_or_saveexec_b32 s18, s18
                                        ; implicit-def: $sgpr19
	s_delay_alu instid0(SALU_CYCLE_1)
	s_xor_b32 exec_lo, exec_lo, s18
	s_cbranch_execz .LBB408_67
.LBB408_281:
	v_add_f32_e64 v6, 0x42800000, |v5|
	s_and_not1_b32 s17, s17, exec_lo
	s_mov_b32 s19, 0
	s_delay_alu instid0(VALU_DEP_1) | instskip(NEXT) | instid1(VALU_DEP_1)
	v_and_b32_e32 v6, 0xff, v6
	v_cmp_ne_u32_e32 vcc_lo, 0, v6
	s_and_b32 s20, vcc_lo, exec_lo
	s_delay_alu instid0(SALU_CYCLE_1)
	s_or_b32 s17, s17, s20
	s_or_b32 exec_lo, exec_lo, s18
	v_mov_b32_e32 v7, s19
	s_and_saveexec_b32 s18, s17
	s_cbranch_execnz .LBB408_68
	s_branch .LBB408_69
.LBB408_282:
	s_mov_b32 s16, -1
	s_mov_b32 s0, 0
.LBB408_283:
                                        ; implicit-def: $vgpr3
.LBB408_284:
	s_and_b32 vcc_lo, exec_lo, s17
	s_cbranch_vccz .LBB408_400
; %bb.285:
	v_cmp_eq_u16_e64 s16, s9, 44
	s_delay_alu instid0(VALU_DEP_1)
	s_and_b32 vcc_lo, exec_lo, s16
	s_cbranch_vccz .LBB408_399
; %bb.286:
	global_load_u8 v3, v[0:1], off
	s_mov_b32 s16, 0
	s_mov_b32 s0, -1
	s_waitcnt vmcnt(0)
	v_lshlrev_b32_e32 v4, 23, v3
	v_cmp_ne_u32_e32 vcc_lo, 0xff, v3
	s_delay_alu instid0(VALU_DEP_2) | instskip(NEXT) | instid1(VALU_DEP_1)
	v_cvt_f16_f32_e32 v4, v4
	v_cndmask_b32_e32 v4, 0x7e00, v4, vcc_lo
	v_cmp_ne_u32_e32 vcc_lo, 0, v3
	s_delay_alu instid0(VALU_DEP_2)
	v_cndmask_b32_e32 v3, 0, v4, vcc_lo
	s_branch .LBB408_400
.LBB408_287:
	s_mov_b32 s19, -1
	s_mov_b32 s17, 0
	s_mov_b32 s0, s12
.LBB408_288:
	s_and_b32 vcc_lo, exec_lo, s19
	s_cbranch_vccz .LBB408_293
; %bb.289:
	v_cmp_eq_u16_e32 vcc_lo, 44, v4
	s_mov_b32 s0, -1
	s_cbranch_vccz .LBB408_293
; %bb.290:
	v_cvt_f32_f16_e32 v5, v3
	v_mov_b32_e32 v6, 0xff
	s_mov_b32 s17, exec_lo
	s_delay_alu instid0(VALU_DEP_2) | instskip(NEXT) | instid1(VALU_DEP_1)
	v_bfe_u32 v7, v5, 23, 8
	v_cmpx_ne_u32_e32 0xff, v7
; %bb.291:
	v_and_b32_e32 v6, 0x400000, v5
	v_and_or_b32 v7, 0x3fffff, v5, v7
	v_lshrrev_b32_e32 v5, 23, v5
	s_delay_alu instid0(VALU_DEP_3) | instskip(NEXT) | instid1(VALU_DEP_3)
	v_cmp_ne_u32_e32 vcc_lo, 0, v6
	v_cmp_ne_u32_e64 s0, 0, v7
	s_delay_alu instid0(VALU_DEP_1) | instskip(NEXT) | instid1(SALU_CYCLE_1)
	s_and_b32 s0, vcc_lo, s0
	v_cndmask_b32_e64 v6, 0, 1, s0
	s_delay_alu instid0(VALU_DEP_1)
	v_add_nc_u32_e32 v6, v5, v6
; %bb.292:
	s_or_b32 exec_lo, exec_lo, s17
	s_mov_b32 s17, -1
	s_mov_b32 s0, 0
	global_store_b8 v[0:1], v6, off
.LBB408_293:
	s_mov_b32 s19, 0
.LBB408_294:
	s_delay_alu instid0(SALU_CYCLE_1)
	s_and_b32 vcc_lo, exec_lo, s19
	s_cbranch_vccz .LBB408_297
; %bb.295:
	v_cmp_eq_u16_e32 vcc_lo, 29, v4
	s_mov_b32 s0, -1
	s_cbranch_vccz .LBB408_297
; %bb.296:
	v_cvt_f32_f16_e32 v5, v3
	v_mov_b32_e32 v6, 0
	s_mov_b32 s0, 0
	s_mov_b32 s17, -1
	s_mov_b32 s19, 0
	v_cvt_u32_f32_e32 v5, v5
	global_store_b64 v[0:1], v[5:6], off
	s_branch .LBB408_298
.LBB408_297:
	s_mov_b32 s19, 0
.LBB408_298:
	s_delay_alu instid0(SALU_CYCLE_1)
	s_and_b32 vcc_lo, exec_lo, s19
	s_cbranch_vccz .LBB408_314
; %bb.299:
	v_cmp_gt_i16_e32 vcc_lo, 27, v4
	s_mov_b32 s17, -1
	s_cbranch_vccnz .LBB408_305
; %bb.300:
	v_cmp_lt_i16_e32 vcc_lo, 27, v4
	s_cbranch_vccz .LBB408_302
; %bb.301:
	v_cvt_f32_f16_e32 v5, v3
	s_mov_b32 s17, 0
	s_delay_alu instid0(VALU_DEP_1)
	v_cvt_u32_f32_e32 v5, v5
	global_store_b32 v[0:1], v5, off
.LBB408_302:
	s_and_not1_b32 vcc_lo, exec_lo, s17
	s_cbranch_vccnz .LBB408_304
; %bb.303:
	v_cvt_u16_f16_e32 v5, v3
	global_store_b16 v[0:1], v5, off
.LBB408_304:
	s_mov_b32 s17, 0
.LBB408_305:
	s_delay_alu instid0(SALU_CYCLE_1)
	s_and_not1_b32 vcc_lo, exec_lo, s17
	s_cbranch_vccnz .LBB408_313
; %bb.306:
	v_cvt_f32_f16_e32 v5, v3
	v_mov_b32_e32 v7, 0x80
	s_mov_b32 s17, exec_lo
	s_delay_alu instid0(VALU_DEP_2) | instskip(NEXT) | instid1(VALU_DEP_1)
	v_and_b32_e32 v6, 0x7fffffff, v5
	v_cmpx_gt_u32_e32 0x43800000, v6
	s_cbranch_execz .LBB408_312
; %bb.307:
	v_cmp_lt_u32_e32 vcc_lo, 0x3bffffff, v6
	s_mov_b32 s19, 0
                                        ; implicit-def: $vgpr6
	s_and_saveexec_b32 s20, vcc_lo
	s_delay_alu instid0(SALU_CYCLE_1)
	s_xor_b32 s20, exec_lo, s20
	s_cbranch_execz .LBB408_525
; %bb.308:
	v_bfe_u32 v6, v5, 20, 1
	s_mov_b32 s19, exec_lo
	s_delay_alu instid0(VALU_DEP_1) | instskip(NEXT) | instid1(VALU_DEP_1)
	v_add3_u32 v6, v5, v6, 0x487ffff
	v_lshrrev_b32_e32 v6, 20, v6
	s_or_saveexec_b32 s20, s20
                                        ; implicit-def: $sgpr21
	s_delay_alu instid0(SALU_CYCLE_1)
	s_xor_b32 exec_lo, exec_lo, s20
	s_cbranch_execnz .LBB408_526
.LBB408_309:
	s_or_b32 exec_lo, exec_lo, s20
	v_mov_b32_e32 v7, s21
	s_and_saveexec_b32 s20, s19
.LBB408_310:
	v_lshrrev_b32_e32 v5, 24, v5
	s_delay_alu instid0(VALU_DEP_1)
	v_and_or_b32 v7, 0x80, v5, v6
.LBB408_311:
	s_or_b32 exec_lo, exec_lo, s20
.LBB408_312:
	s_delay_alu instid0(SALU_CYCLE_1)
	s_or_b32 exec_lo, exec_lo, s17
	global_store_b8 v[0:1], v7, off
.LBB408_313:
	s_mov_b32 s17, -1
.LBB408_314:
	s_mov_b32 s19, 0
.LBB408_315:
	s_delay_alu instid0(SALU_CYCLE_1)
	s_and_b32 vcc_lo, exec_lo, s19
	s_cbranch_vccz .LBB408_356
; %bb.316:
	v_cmp_lt_i16_e32 vcc_lo, 22, v4
	s_mov_b32 s19, -1
	s_cbranch_vccz .LBB408_348
; %bb.317:
	v_cmp_gt_i16_e32 vcc_lo, 24, v4
	s_mov_b32 s17, -1
	s_cbranch_vccnz .LBB408_337
; %bb.318:
	v_cmp_lt_i16_e32 vcc_lo, 24, v4
	s_cbranch_vccz .LBB408_326
; %bb.319:
	v_cvt_f32_f16_e32 v5, v3
	v_mov_b32_e32 v7, 0x80
	s_mov_b32 s17, exec_lo
	s_delay_alu instid0(VALU_DEP_2) | instskip(NEXT) | instid1(VALU_DEP_1)
	v_and_b32_e32 v6, 0x7fffffff, v5
	v_cmpx_gt_u32_e32 0x47800000, v6
	s_cbranch_execz .LBB408_325
; %bb.320:
	v_cmp_lt_u32_e32 vcc_lo, 0x37ffffff, v6
	s_mov_b32 s19, 0
                                        ; implicit-def: $vgpr6
	s_and_saveexec_b32 s20, vcc_lo
	s_delay_alu instid0(SALU_CYCLE_1)
	s_xor_b32 s20, exec_lo, s20
	s_cbranch_execz .LBB408_528
; %bb.321:
	v_bfe_u32 v6, v5, 21, 1
	s_mov_b32 s19, exec_lo
	s_delay_alu instid0(VALU_DEP_1) | instskip(NEXT) | instid1(VALU_DEP_1)
	v_add3_u32 v6, v5, v6, 0x88fffff
	v_lshrrev_b32_e32 v6, 21, v6
	s_or_saveexec_b32 s20, s20
                                        ; implicit-def: $sgpr21
	s_delay_alu instid0(SALU_CYCLE_1)
	s_xor_b32 exec_lo, exec_lo, s20
	s_cbranch_execnz .LBB408_529
.LBB408_322:
	s_or_b32 exec_lo, exec_lo, s20
	v_mov_b32_e32 v7, s21
	s_and_saveexec_b32 s20, s19
.LBB408_323:
	v_lshrrev_b32_e32 v5, 24, v5
	s_delay_alu instid0(VALU_DEP_1)
	v_and_or_b32 v7, 0x80, v5, v6
.LBB408_324:
	s_or_b32 exec_lo, exec_lo, s20
.LBB408_325:
	s_delay_alu instid0(SALU_CYCLE_1)
	s_or_b32 exec_lo, exec_lo, s17
	s_mov_b32 s17, 0
	global_store_b8 v[0:1], v7, off
.LBB408_326:
	s_and_b32 vcc_lo, exec_lo, s17
	s_cbranch_vccz .LBB408_336
; %bb.327:
	v_cvt_f32_f16_e32 v5, v3
	s_mov_b32 s17, exec_lo
                                        ; implicit-def: $vgpr6
	s_delay_alu instid0(VALU_DEP_1) | instskip(NEXT) | instid1(VALU_DEP_1)
	v_and_b32_e32 v7, 0x7fffffff, v5
	v_cmpx_gt_u32_e32 0x43f00000, v7
	s_xor_b32 s17, exec_lo, s17
	s_cbranch_execz .LBB408_333
; %bb.328:
	s_mov_b32 s19, exec_lo
                                        ; implicit-def: $vgpr6
	v_cmpx_lt_u32_e32 0x3c7fffff, v7
	s_xor_b32 s19, exec_lo, s19
; %bb.329:
	v_bfe_u32 v6, v5, 20, 1
	s_delay_alu instid0(VALU_DEP_1) | instskip(NEXT) | instid1(VALU_DEP_1)
	v_add3_u32 v6, v5, v6, 0x407ffff
	v_and_b32_e32 v7, 0xff00000, v6
	v_lshrrev_b32_e32 v6, 20, v6
	s_delay_alu instid0(VALU_DEP_2) | instskip(NEXT) | instid1(VALU_DEP_2)
	v_cmp_ne_u32_e32 vcc_lo, 0x7f00000, v7
	v_cndmask_b32_e32 v6, 0x7e, v6, vcc_lo
; %bb.330:
	s_and_not1_saveexec_b32 s19, s19
; %bb.331:
	v_add_f32_e64 v6, 0x46800000, |v5|
; %bb.332:
	s_or_b32 exec_lo, exec_lo, s19
                                        ; implicit-def: $vgpr7
.LBB408_333:
	s_and_not1_saveexec_b32 s17, s17
; %bb.334:
	v_mov_b32_e32 v6, 0x7f
	v_cmp_lt_u32_e32 vcc_lo, 0x7f800000, v7
	s_delay_alu instid0(VALU_DEP_2)
	v_cndmask_b32_e32 v6, 0x7e, v6, vcc_lo
; %bb.335:
	s_or_b32 exec_lo, exec_lo, s17
	v_lshrrev_b32_e32 v5, 24, v5
	s_delay_alu instid0(VALU_DEP_1)
	v_and_or_b32 v5, 0x80, v5, v6
	global_store_b8 v[0:1], v5, off
.LBB408_336:
	s_mov_b32 s17, 0
.LBB408_337:
	s_delay_alu instid0(SALU_CYCLE_1)
	s_and_not1_b32 vcc_lo, exec_lo, s17
	s_cbranch_vccnz .LBB408_347
; %bb.338:
	v_cvt_f32_f16_e32 v5, v3
	s_mov_b32 s17, exec_lo
                                        ; implicit-def: $vgpr6
	s_delay_alu instid0(VALU_DEP_1) | instskip(NEXT) | instid1(VALU_DEP_1)
	v_and_b32_e32 v7, 0x7fffffff, v5
	v_cmpx_gt_u32_e32 0x47800000, v7
	s_xor_b32 s17, exec_lo, s17
	s_cbranch_execz .LBB408_344
; %bb.339:
	s_mov_b32 s19, exec_lo
                                        ; implicit-def: $vgpr6
	v_cmpx_lt_u32_e32 0x387fffff, v7
	s_xor_b32 s19, exec_lo, s19
; %bb.340:
	v_bfe_u32 v6, v5, 21, 1
	s_delay_alu instid0(VALU_DEP_1) | instskip(NEXT) | instid1(VALU_DEP_1)
	v_add3_u32 v6, v5, v6, 0x80fffff
	v_lshrrev_b32_e32 v6, 21, v6
; %bb.341:
	s_and_not1_saveexec_b32 s19, s19
; %bb.342:
	v_add_f32_e64 v6, 0x43000000, |v5|
; %bb.343:
	s_or_b32 exec_lo, exec_lo, s19
                                        ; implicit-def: $vgpr7
.LBB408_344:
	s_and_not1_saveexec_b32 s17, s17
; %bb.345:
	v_mov_b32_e32 v6, 0x7f
	v_cmp_lt_u32_e32 vcc_lo, 0x7f800000, v7
	s_delay_alu instid0(VALU_DEP_2)
	v_cndmask_b32_e32 v6, 0x7c, v6, vcc_lo
; %bb.346:
	s_or_b32 exec_lo, exec_lo, s17
	v_lshrrev_b32_e32 v5, 24, v5
	s_delay_alu instid0(VALU_DEP_1)
	v_and_or_b32 v5, 0x80, v5, v6
	global_store_b8 v[0:1], v5, off
.LBB408_347:
	s_mov_b32 s19, 0
	s_mov_b32 s17, -1
.LBB408_348:
	s_and_not1_b32 vcc_lo, exec_lo, s19
	s_cbranch_vccnz .LBB408_356
; %bb.349:
	v_cmp_lt_i16_e32 vcc_lo, 14, v4
	s_mov_b32 s19, -1
	s_cbranch_vccz .LBB408_353
; %bb.350:
	v_cmp_eq_u16_e32 vcc_lo, 15, v4
	s_mov_b32 s0, -1
	s_cbranch_vccz .LBB408_352
; %bb.351:
	v_cvt_f32_f16_e32 v5, v3
	v_cmp_o_f16_e32 vcc_lo, v3, v3
	s_mov_b32 s17, -1
	s_mov_b32 s0, 0
	s_delay_alu instid0(VALU_DEP_2) | instskip(NEXT) | instid1(VALU_DEP_1)
	v_bfe_u32 v6, v5, 16, 1
	v_add3_u32 v5, v5, v6, 0x7fff
	s_delay_alu instid0(VALU_DEP_1) | instskip(NEXT) | instid1(VALU_DEP_1)
	v_lshrrev_b32_e32 v5, 16, v5
	v_cndmask_b32_e32 v5, 0x7fc0, v5, vcc_lo
	global_store_b16 v[0:1], v5, off
.LBB408_352:
	s_mov_b32 s19, 0
.LBB408_353:
	s_delay_alu instid0(SALU_CYCLE_1)
	s_and_b32 vcc_lo, exec_lo, s19
	s_cbranch_vccz .LBB408_356
; %bb.354:
	v_cmp_eq_u16_e32 vcc_lo, 11, v4
	s_mov_b32 s0, -1
	s_cbranch_vccz .LBB408_356
; %bb.355:
	v_and_b32_e32 v5, 0x7fff, v3
	s_mov_b32 s0, 0
	s_mov_b32 s17, -1
	s_delay_alu instid0(VALU_DEP_1)
	v_cmp_ne_u16_e32 vcc_lo, 0, v5
	v_cndmask_b32_e64 v5, 0, 1, vcc_lo
	global_store_b8 v[0:1], v5, off
.LBB408_356:
	s_mov_b32 s19, 0
.LBB408_357:
	s_delay_alu instid0(SALU_CYCLE_1)
	s_and_b32 vcc_lo, exec_lo, s19
	s_cbranch_vccz .LBB408_396
; %bb.358:
	v_cmp_gt_i16_e32 vcc_lo, 5, v4
	s_mov_b32 s17, -1
	s_cbranch_vccnz .LBB408_379
; %bb.359:
	v_cmp_gt_i16_e32 vcc_lo, 8, v4
	s_cbranch_vccnz .LBB408_369
; %bb.360:
	v_cmp_gt_i16_e32 vcc_lo, 9, v4
	s_cbranch_vccnz .LBB408_366
; %bb.361:
	v_cmp_lt_i16_e32 vcc_lo, 9, v4
	s_cbranch_vccz .LBB408_363
; %bb.362:
	v_cvt_f32_f16_e32 v5, v3
	v_mov_b32_e32 v7, 0
	s_mov_b32 s17, 0
	s_delay_alu instid0(VALU_DEP_2) | instskip(NEXT) | instid1(VALU_DEP_2)
	v_cvt_f64_f32_e32 v[5:6], v5
	v_mov_b32_e32 v8, v7
	global_store_b128 v[0:1], v[5:8], off
.LBB408_363:
	s_and_not1_b32 vcc_lo, exec_lo, s17
	s_cbranch_vccnz .LBB408_365
; %bb.364:
	v_cvt_f32_f16_e32 v5, v3
	v_mov_b32_e32 v6, 0
	global_store_b64 v[0:1], v[5:6], off
.LBB408_365:
	s_mov_b32 s17, 0
.LBB408_366:
	s_delay_alu instid0(SALU_CYCLE_1)
	s_and_not1_b32 vcc_lo, exec_lo, s17
	s_cbranch_vccnz .LBB408_368
; %bb.367:
	v_and_b32_e32 v5, 0xffff, v3
	global_store_b32 v[0:1], v5, off
.LBB408_368:
	s_mov_b32 s17, 0
.LBB408_369:
	s_delay_alu instid0(SALU_CYCLE_1)
	s_and_not1_b32 vcc_lo, exec_lo, s17
	s_cbranch_vccnz .LBB408_378
; %bb.370:
	v_cmp_gt_i16_e32 vcc_lo, 6, v4
	s_mov_b32 s17, -1
	s_cbranch_vccnz .LBB408_376
; %bb.371:
	v_cmp_lt_i16_e32 vcc_lo, 6, v4
	s_cbranch_vccz .LBB408_373
; %bb.372:
	v_cvt_f32_f16_e32 v5, v3
	s_mov_b32 s17, 0
	s_delay_alu instid0(VALU_DEP_1)
	v_cvt_f64_f32_e32 v[5:6], v5
	global_store_b64 v[0:1], v[5:6], off
.LBB408_373:
	s_and_not1_b32 vcc_lo, exec_lo, s17
	s_cbranch_vccnz .LBB408_375
; %bb.374:
	v_cvt_f32_f16_e32 v5, v3
	global_store_b32 v[0:1], v5, off
.LBB408_375:
	s_mov_b32 s17, 0
.LBB408_376:
	s_delay_alu instid0(SALU_CYCLE_1)
	s_and_not1_b32 vcc_lo, exec_lo, s17
	s_cbranch_vccnz .LBB408_378
; %bb.377:
	global_store_b16 v[0:1], v3, off
.LBB408_378:
	s_mov_b32 s17, 0
.LBB408_379:
	s_delay_alu instid0(SALU_CYCLE_1)
	s_and_not1_b32 vcc_lo, exec_lo, s17
	s_cbranch_vccnz .LBB408_395
; %bb.380:
	v_cmp_gt_i16_e32 vcc_lo, 2, v4
	s_mov_b32 s17, -1
	s_cbranch_vccnz .LBB408_390
; %bb.381:
	v_cmp_gt_i16_e32 vcc_lo, 3, v4
	s_cbranch_vccnz .LBB408_387
; %bb.382:
	v_cmp_lt_i16_e32 vcc_lo, 3, v4
	s_cbranch_vccz .LBB408_384
; %bb.383:
	v_cvt_f32_f16_e32 v5, v3
	s_mov_b32 s17, 0
	s_delay_alu instid0(VALU_DEP_1) | instskip(NEXT) | instid1(VALU_DEP_1)
	v_cvt_i32_f32_e32 v5, v5
	v_ashrrev_i32_e32 v6, 31, v5
	global_store_b64 v[0:1], v[5:6], off
.LBB408_384:
	s_and_not1_b32 vcc_lo, exec_lo, s17
	s_cbranch_vccnz .LBB408_386
; %bb.385:
	v_cvt_f32_f16_e32 v5, v3
	s_delay_alu instid0(VALU_DEP_1)
	v_cvt_i32_f32_e32 v5, v5
	global_store_b32 v[0:1], v5, off
.LBB408_386:
	s_mov_b32 s17, 0
.LBB408_387:
	s_delay_alu instid0(SALU_CYCLE_1)
	s_and_not1_b32 vcc_lo, exec_lo, s17
	s_cbranch_vccnz .LBB408_389
; %bb.388:
	v_cvt_i16_f16_e32 v5, v3
	global_store_b16 v[0:1], v5, off
.LBB408_389:
	s_mov_b32 s17, 0
.LBB408_390:
	s_delay_alu instid0(SALU_CYCLE_1)
	s_and_not1_b32 vcc_lo, exec_lo, s17
	s_cbranch_vccnz .LBB408_395
; %bb.391:
	v_cmp_lt_i16_e32 vcc_lo, 0, v4
	s_mov_b32 s17, -1
	s_cbranch_vccz .LBB408_393
; %bb.392:
	v_cvt_i16_f16_e32 v4, v3
	s_mov_b32 s17, 0
	global_store_b8 v[0:1], v4, off
.LBB408_393:
	s_and_not1_b32 vcc_lo, exec_lo, s17
	s_cbranch_vccnz .LBB408_395
; %bb.394:
	v_cvt_f32_f16_e32 v3, v3
	s_delay_alu instid0(VALU_DEP_1)
	v_cvt_i32_f32_e32 v3, v3
	global_store_b8 v[0:1], v3, off
.LBB408_395:
	s_mov_b32 s17, -1
.LBB408_396:
	s_delay_alu instid0(SALU_CYCLE_1)
	s_and_not1_b32 vcc_lo, exec_lo, s17
	s_cbranch_vccnz .LBB408_398
; %bb.397:
	v_add_nc_u32_e32 v2, 0x80, v2
	s_mov_b32 s19, -1
	s_branch .LBB408_511
.LBB408_398:
	s_mov_b32 s19, 0
	s_branch .LBB408_510
.LBB408_399:
	s_mov_b32 s16, -1
                                        ; implicit-def: $vgpr3
.LBB408_400:
	s_mov_b32 s17, 0
.LBB408_401:
	s_delay_alu instid0(SALU_CYCLE_1)
	s_and_b32 vcc_lo, exec_lo, s17
	s_cbranch_vccz .LBB408_405
; %bb.402:
	v_cmp_eq_u16_e64 s16, s9, 29
	s_delay_alu instid0(VALU_DEP_1)
	s_and_b32 vcc_lo, exec_lo, s16
	s_cbranch_vccz .LBB408_404
; %bb.403:
	global_load_b64 v[3:4], v[0:1], off
	s_mov_b32 s0, -1
	s_mov_b32 s16, 0
	s_mov_b32 s17, 0
	s_waitcnt vmcnt(0)
	v_clz_i32_u32_e32 v5, v4
	s_delay_alu instid0(VALU_DEP_1) | instskip(NEXT) | instid1(VALU_DEP_1)
	v_min_u32_e32 v5, 32, v5
	v_lshlrev_b64 v[3:4], v5, v[3:4]
	s_delay_alu instid0(VALU_DEP_1) | instskip(NEXT) | instid1(VALU_DEP_1)
	v_min_u32_e32 v3, 1, v3
	v_or_b32_e32 v3, v4, v3
	v_sub_nc_u32_e32 v4, 32, v5
	s_delay_alu instid0(VALU_DEP_2) | instskip(NEXT) | instid1(VALU_DEP_1)
	v_cvt_f32_u32_e32 v3, v3
	v_ldexp_f32 v3, v3, v4
	s_delay_alu instid0(VALU_DEP_1)
	v_cvt_f16_f32_e32 v3, v3
	s_branch .LBB408_406
.LBB408_404:
	s_mov_b32 s16, -1
                                        ; implicit-def: $vgpr3
.LBB408_405:
	s_mov_b32 s17, 0
.LBB408_406:
	s_delay_alu instid0(SALU_CYCLE_1)
	s_and_b32 vcc_lo, exec_lo, s17
	s_cbranch_vccz .LBB408_424
; %bb.407:
	v_cmp_lt_i16_e64 s0, s9, 27
	s_delay_alu instid0(VALU_DEP_1)
	s_and_b32 vcc_lo, exec_lo, s0
	s_cbranch_vccnz .LBB408_410
; %bb.408:
	v_cmp_gt_i16_e64 s0, s9, 27
	s_delay_alu instid0(VALU_DEP_1)
	s_and_b32 vcc_lo, exec_lo, s0
	s_cbranch_vccz .LBB408_411
; %bb.409:
	global_load_b32 v3, v[0:1], off
	s_mov_b32 s0, 0
	s_waitcnt vmcnt(0)
	v_cvt_f32_u32_e32 v3, v3
	s_delay_alu instid0(VALU_DEP_1)
	v_cvt_f16_f32_e32 v3, v3
	s_branch .LBB408_412
.LBB408_410:
	s_mov_b32 s0, -1
                                        ; implicit-def: $vgpr3
	s_branch .LBB408_415
.LBB408_411:
	s_mov_b32 s0, -1
                                        ; implicit-def: $vgpr3
.LBB408_412:
	s_delay_alu instid0(SALU_CYCLE_1)
	s_and_not1_b32 vcc_lo, exec_lo, s0
	s_cbranch_vccnz .LBB408_414
; %bb.413:
	global_load_u16 v3, v[0:1], off
	s_waitcnt vmcnt(0)
	v_cvt_f16_u16_e32 v3, v3
.LBB408_414:
	s_mov_b32 s0, 0
.LBB408_415:
	s_delay_alu instid0(SALU_CYCLE_1)
	s_and_not1_b32 vcc_lo, exec_lo, s0
	s_cbranch_vccnz .LBB408_423
; %bb.416:
	global_load_u8 v4, v[0:1], off
	s_mov_b32 s0, 0
	s_mov_b32 s19, exec_lo
                                        ; implicit-def: $sgpr17
	s_waitcnt vmcnt(0)
	v_cmpx_lt_i16_e32 0x7f, v4
	s_xor_b32 s19, exec_lo, s19
	s_cbranch_execz .LBB408_437
; %bb.417:
	s_mov_b32 s0, -1
	s_mov_b32 s20, exec_lo
                                        ; implicit-def: $sgpr17
	v_cmpx_eq_u16_e32 0x80, v4
; %bb.418:
	s_movk_i32 s17, 0x7e00
	s_xor_b32 s0, exec_lo, -1
; %bb.419:
	s_or_b32 exec_lo, exec_lo, s20
	s_delay_alu instid0(SALU_CYCLE_1)
	s_and_b32 s0, s0, exec_lo
	s_or_saveexec_b32 s19, s19
	v_mov_b32_e32 v3, s17
	s_xor_b32 exec_lo, exec_lo, s19
	s_cbranch_execnz .LBB408_438
.LBB408_420:
	s_or_b32 exec_lo, exec_lo, s19
	s_and_saveexec_b32 s17, s0
	s_cbranch_execz .LBB408_422
.LBB408_421:
	v_and_b32_e32 v3, 0xffff, v4
	s_delay_alu instid0(VALU_DEP_1) | instskip(NEXT) | instid1(VALU_DEP_1)
	v_and_b32_e32 v5, 7, v3
	v_clz_i32_u32_e32 v6, v5
	s_delay_alu instid0(VALU_DEP_1) | instskip(NEXT) | instid1(VALU_DEP_1)
	v_min_u32_e32 v6, 32, v6
	v_subrev_nc_u32_e32 v7, 28, v6
	v_sub_nc_u32_e32 v6, 29, v6
	s_delay_alu instid0(VALU_DEP_2) | instskip(SKIP_1) | instid1(VALU_DEP_2)
	v_lshlrev_b32_e32 v7, v7, v3
	v_bfe_u32 v3, v3, 3, 4
	v_and_b32_e32 v7, 7, v7
	s_delay_alu instid0(VALU_DEP_2) | instskip(SKIP_1) | instid1(VALU_DEP_1)
	v_cmp_eq_u32_e32 vcc_lo, 0, v3
	v_dual_cndmask_b32 v3, v3, v6 :: v_dual_lshlrev_b32 v4, 24, v4
	v_dual_cndmask_b32 v5, v5, v7 :: v_dual_and_b32 v4, 0x80000000, v4
	s_delay_alu instid0(VALU_DEP_2) | instskip(NEXT) | instid1(VALU_DEP_2)
	v_lshl_add_u32 v3, v3, 23, 0x3b800000
	v_lshlrev_b32_e32 v5, 20, v5
	s_delay_alu instid0(VALU_DEP_1) | instskip(NEXT) | instid1(VALU_DEP_1)
	v_or3_b32 v3, v4, v3, v5
	v_cvt_f16_f32_e32 v3, v3
.LBB408_422:
	s_or_b32 exec_lo, exec_lo, s17
.LBB408_423:
	s_mov_b32 s0, -1
.LBB408_424:
	s_mov_b32 s17, 0
.LBB408_425:
	s_delay_alu instid0(SALU_CYCLE_1)
	s_and_b32 vcc_lo, exec_lo, s17
	s_cbranch_vccz .LBB408_460
; %bb.426:
	v_cmp_gt_i16_e64 s17, s9, 22
	s_delay_alu instid0(VALU_DEP_1)
	s_and_b32 vcc_lo, exec_lo, s17
	s_cbranch_vccz .LBB408_436
; %bb.427:
	v_cmp_lt_i16_e64 s0, s9, 24
	s_delay_alu instid0(VALU_DEP_1)
	s_and_b32 vcc_lo, exec_lo, s0
	s_cbranch_vccnz .LBB408_439
; %bb.428:
	v_cmp_gt_i16_e64 s0, s9, 24
	s_delay_alu instid0(VALU_DEP_1)
	s_and_b32 vcc_lo, exec_lo, s0
	s_cbranch_vccz .LBB408_440
; %bb.429:
	global_load_u8 v4, v[0:1], off
	s_mov_b32 s0, 0
	s_mov_b32 s19, exec_lo
                                        ; implicit-def: $sgpr17
	s_waitcnt vmcnt(0)
	v_cmpx_lt_i16_e32 0x7f, v4
	s_xor_b32 s19, exec_lo, s19
	s_cbranch_execz .LBB408_452
; %bb.430:
	s_mov_b32 s0, -1
	s_mov_b32 s20, exec_lo
                                        ; implicit-def: $sgpr17
	v_cmpx_eq_u16_e32 0x80, v4
; %bb.431:
	s_movk_i32 s17, 0x7e00
	s_xor_b32 s0, exec_lo, -1
; %bb.432:
	s_or_b32 exec_lo, exec_lo, s20
	s_delay_alu instid0(SALU_CYCLE_1)
	s_and_b32 s0, s0, exec_lo
	s_or_saveexec_b32 s19, s19
	v_mov_b32_e32 v3, s17
	s_xor_b32 exec_lo, exec_lo, s19
	s_cbranch_execnz .LBB408_453
.LBB408_433:
	s_or_b32 exec_lo, exec_lo, s19
	s_and_saveexec_b32 s17, s0
	s_cbranch_execz .LBB408_435
.LBB408_434:
	v_and_b32_e32 v3, 0xffff, v4
	s_delay_alu instid0(VALU_DEP_1) | instskip(NEXT) | instid1(VALU_DEP_1)
	v_and_b32_e32 v5, 3, v3
	v_clz_i32_u32_e32 v6, v5
	s_delay_alu instid0(VALU_DEP_1) | instskip(NEXT) | instid1(VALU_DEP_1)
	v_min_u32_e32 v6, 32, v6
	v_subrev_nc_u32_e32 v7, 29, v6
	v_sub_nc_u32_e32 v6, 30, v6
	s_delay_alu instid0(VALU_DEP_2) | instskip(SKIP_1) | instid1(VALU_DEP_2)
	v_lshlrev_b32_e32 v7, v7, v3
	v_bfe_u32 v3, v3, 2, 5
	v_and_b32_e32 v7, 3, v7
	s_delay_alu instid0(VALU_DEP_2) | instskip(SKIP_1) | instid1(VALU_DEP_1)
	v_cmp_eq_u32_e32 vcc_lo, 0, v3
	v_dual_cndmask_b32 v3, v3, v6 :: v_dual_lshlrev_b32 v4, 24, v4
	v_dual_cndmask_b32 v5, v5, v7 :: v_dual_and_b32 v4, 0x80000000, v4
	s_delay_alu instid0(VALU_DEP_2) | instskip(NEXT) | instid1(VALU_DEP_2)
	v_lshl_add_u32 v3, v3, 23, 0x37800000
	v_lshlrev_b32_e32 v5, 21, v5
	s_delay_alu instid0(VALU_DEP_1) | instskip(NEXT) | instid1(VALU_DEP_1)
	v_or3_b32 v3, v4, v3, v5
	v_cvt_f16_f32_e32 v3, v3
.LBB408_435:
	s_or_b32 exec_lo, exec_lo, s17
	s_mov_b32 s0, 0
	s_branch .LBB408_441
.LBB408_436:
	s_mov_b32 s17, -1
                                        ; implicit-def: $vgpr3
	s_branch .LBB408_447
.LBB408_437:
	s_or_saveexec_b32 s19, s19
	v_mov_b32_e32 v3, s17
	s_xor_b32 exec_lo, exec_lo, s19
	s_cbranch_execz .LBB408_420
.LBB408_438:
	v_cmp_ne_u16_e32 vcc_lo, 0, v4
	v_mov_b32_e32 v3, v4
	s_and_not1_b32 s0, s0, exec_lo
	s_and_b32 s17, vcc_lo, exec_lo
	s_delay_alu instid0(SALU_CYCLE_1)
	s_or_b32 s0, s0, s17
	s_or_b32 exec_lo, exec_lo, s19
	s_and_saveexec_b32 s17, s0
	s_cbranch_execnz .LBB408_421
	s_branch .LBB408_422
.LBB408_439:
	s_mov_b32 s0, -1
                                        ; implicit-def: $vgpr3
	s_branch .LBB408_444
.LBB408_440:
	s_mov_b32 s0, -1
                                        ; implicit-def: $vgpr3
.LBB408_441:
	s_delay_alu instid0(SALU_CYCLE_1)
	s_and_b32 vcc_lo, exec_lo, s0
	s_cbranch_vccz .LBB408_443
; %bb.442:
	global_load_u8 v3, v[0:1], off
	s_waitcnt vmcnt(0)
	v_lshlrev_b32_e32 v3, 24, v3
	s_delay_alu instid0(VALU_DEP_1) | instskip(NEXT) | instid1(VALU_DEP_1)
	v_and_b32_e32 v4, 0x7f000000, v3
	v_clz_i32_u32_e32 v5, v4
	v_add_nc_u32_e32 v7, 0x1000000, v4
	v_cmp_ne_u32_e32 vcc_lo, 0, v4
	s_delay_alu instid0(VALU_DEP_3) | instskip(NEXT) | instid1(VALU_DEP_1)
	v_min_u32_e32 v5, 32, v5
	v_sub_nc_u32_e64 v5, v5, 4 clamp
	s_delay_alu instid0(VALU_DEP_1) | instskip(SKIP_1) | instid1(VALU_DEP_2)
	v_lshlrev_b32_e32 v6, v5, v4
	v_lshlrev_b32_e32 v5, 23, v5
	v_lshrrev_b32_e32 v6, 4, v6
	s_delay_alu instid0(VALU_DEP_1) | instskip(SKIP_1) | instid1(VALU_DEP_2)
	v_sub_nc_u32_e32 v5, v6, v5
	v_ashrrev_i32_e32 v6, 8, v7
	v_add_nc_u32_e32 v5, 0x3c000000, v5
	s_delay_alu instid0(VALU_DEP_1) | instskip(NEXT) | instid1(VALU_DEP_1)
	v_and_or_b32 v5, 0x7f800000, v6, v5
	v_cndmask_b32_e32 v4, 0, v5, vcc_lo
	s_delay_alu instid0(VALU_DEP_1) | instskip(NEXT) | instid1(VALU_DEP_1)
	v_and_or_b32 v3, 0x80000000, v3, v4
	v_cvt_f16_f32_e32 v3, v3
.LBB408_443:
	s_mov_b32 s0, 0
.LBB408_444:
	s_delay_alu instid0(SALU_CYCLE_1)
	s_and_not1_b32 vcc_lo, exec_lo, s0
	s_cbranch_vccnz .LBB408_446
; %bb.445:
	global_load_u8 v3, v[0:1], off
	s_waitcnt vmcnt(0)
	v_lshlrev_b32_e32 v4, 25, v3
	v_lshlrev_b16 v3, 8, v3
	s_delay_alu instid0(VALU_DEP_2) | instskip(NEXT) | instid1(VALU_DEP_2)
	v_lshrrev_b32_e32 v5, 4, v4
	v_and_or_b32 v6, 0x7f00, v3, 0.5
	v_bfe_i32 v3, v3, 0, 16
	s_delay_alu instid0(VALU_DEP_3) | instskip(NEXT) | instid1(VALU_DEP_1)
	v_or_b32_e32 v5, 0x70000000, v5
	v_dual_add_f32 v6, -0.5, v6 :: v_dual_mul_f32 v5, 0x7800000, v5
	v_cmp_gt_u32_e32 vcc_lo, 0x8000000, v4
	s_delay_alu instid0(VALU_DEP_2) | instskip(NEXT) | instid1(VALU_DEP_1)
	v_cndmask_b32_e32 v4, v5, v6, vcc_lo
	v_and_or_b32 v3, 0x80000000, v3, v4
	s_delay_alu instid0(VALU_DEP_1)
	v_cvt_f16_f32_e32 v3, v3
.LBB408_446:
	s_mov_b32 s17, 0
	s_mov_b32 s0, -1
.LBB408_447:
	s_and_not1_b32 vcc_lo, exec_lo, s17
	s_cbranch_vccnz .LBB408_460
; %bb.448:
	v_cmp_gt_i16_e64 s17, s9, 14
	s_delay_alu instid0(VALU_DEP_1)
	s_and_b32 vcc_lo, exec_lo, s17
	s_cbranch_vccz .LBB408_451
; %bb.449:
	v_cmp_eq_u16_e64 s16, s9, 15
	s_delay_alu instid0(VALU_DEP_1)
	s_and_b32 vcc_lo, exec_lo, s16
	s_cbranch_vccz .LBB408_454
; %bb.450:
	global_load_u16 v3, v[0:1], off
	s_mov_b32 s0, -1
	s_mov_b32 s16, 0
	s_waitcnt vmcnt(0)
	v_lshlrev_b32_e32 v3, 16, v3
	s_delay_alu instid0(VALU_DEP_1)
	v_cvt_f16_f32_e32 v3, v3
	s_branch .LBB408_455
.LBB408_451:
	s_mov_b32 s17, -1
                                        ; implicit-def: $vgpr3
	s_branch .LBB408_456
.LBB408_452:
	s_or_saveexec_b32 s19, s19
	v_mov_b32_e32 v3, s17
	s_xor_b32 exec_lo, exec_lo, s19
	s_cbranch_execz .LBB408_433
.LBB408_453:
	v_cmp_ne_u16_e32 vcc_lo, 0, v4
	v_mov_b32_e32 v3, v4
	s_and_not1_b32 s0, s0, exec_lo
	s_and_b32 s17, vcc_lo, exec_lo
	s_delay_alu instid0(SALU_CYCLE_1)
	s_or_b32 s0, s0, s17
	s_or_b32 exec_lo, exec_lo, s19
	s_and_saveexec_b32 s17, s0
	s_cbranch_execnz .LBB408_434
	s_branch .LBB408_435
.LBB408_454:
	s_mov_b32 s16, -1
                                        ; implicit-def: $vgpr3
.LBB408_455:
	s_mov_b32 s17, 0
.LBB408_456:
	s_delay_alu instid0(SALU_CYCLE_1)
	s_and_b32 vcc_lo, exec_lo, s17
	s_cbranch_vccz .LBB408_460
; %bb.457:
	v_cmp_eq_u16_e64 s16, s9, 11
	s_delay_alu instid0(VALU_DEP_1)
	s_and_b32 vcc_lo, exec_lo, s16
	s_cbranch_vccz .LBB408_459
; %bb.458:
	global_load_u8 v3, v[0:1], off
	s_mov_b32 s16, 0
	s_mov_b32 s0, -1
	s_waitcnt vmcnt(0)
	v_cmp_ne_u16_e32 vcc_lo, 0, v3
	v_cndmask_b32_e64 v3, 0, 0x3c00, vcc_lo
	s_branch .LBB408_460
.LBB408_459:
	s_mov_b32 s16, -1
                                        ; implicit-def: $vgpr3
.LBB408_460:
	s_branch .LBB408_262
.LBB408_461:
	v_cmp_lt_i16_e64 s0, s9, 5
	s_delay_alu instid0(VALU_DEP_1)
	s_and_b32 vcc_lo, exec_lo, s0
	s_cbranch_vccnz .LBB408_466
; %bb.462:
	v_cmp_lt_i16_e64 s0, s9, 8
	s_delay_alu instid0(VALU_DEP_1)
	s_and_b32 vcc_lo, exec_lo, s0
	s_cbranch_vccnz .LBB408_467
; %bb.463:
	;; [unrolled: 5-line block ×3, first 2 shown]
	v_cmp_gt_i16_e64 s0, s9, 9
	s_delay_alu instid0(VALU_DEP_1)
	s_and_b32 vcc_lo, exec_lo, s0
	s_cbranch_vccz .LBB408_469
; %bb.465:
	global_load_b64 v[3:4], v[0:1], off
	s_mov_b32 s0, 0
	s_waitcnt vmcnt(0)
	v_cvt_f32_f64_e32 v3, v[3:4]
	s_delay_alu instid0(VALU_DEP_1)
	v_cvt_f16_f32_e32 v3, v3
	s_branch .LBB408_470
.LBB408_466:
	s_mov_b32 s0, -1
                                        ; implicit-def: $vgpr3
	s_branch .LBB408_488
.LBB408_467:
	s_mov_b32 s0, -1
                                        ; implicit-def: $vgpr3
	s_branch .LBB408_476
.LBB408_468:
	s_mov_b32 s0, -1
                                        ; implicit-def: $vgpr3
	s_branch .LBB408_473
.LBB408_469:
	s_mov_b32 s0, -1
                                        ; implicit-def: $vgpr3
.LBB408_470:
	s_delay_alu instid0(SALU_CYCLE_1)
	s_and_not1_b32 vcc_lo, exec_lo, s0
	s_cbranch_vccnz .LBB408_472
; %bb.471:
	global_load_b32 v3, v[0:1], off
	s_waitcnt vmcnt(0)
	v_cvt_f16_f32_e32 v3, v3
.LBB408_472:
	s_mov_b32 s0, 0
.LBB408_473:
	s_delay_alu instid0(SALU_CYCLE_1)
	s_and_not1_b32 vcc_lo, exec_lo, s0
	s_cbranch_vccnz .LBB408_475
; %bb.474:
	global_load_b32 v3, v[0:1], off
.LBB408_475:
	s_mov_b32 s0, 0
.LBB408_476:
	s_delay_alu instid0(SALU_CYCLE_1)
	s_and_not1_b32 vcc_lo, exec_lo, s0
	s_cbranch_vccnz .LBB408_487
; %bb.477:
	v_cmp_lt_i16_e64 s0, s9, 6
	s_delay_alu instid0(VALU_DEP_1)
	s_and_b32 vcc_lo, exec_lo, s0
	s_cbranch_vccnz .LBB408_480
; %bb.478:
	v_cmp_gt_i16_e64 s0, s9, 6
	s_delay_alu instid0(VALU_DEP_1)
	s_and_b32 vcc_lo, exec_lo, s0
	s_cbranch_vccz .LBB408_481
; %bb.479:
	global_load_b64 v[3:4], v[0:1], off
	s_mov_b32 s0, 0
	s_waitcnt vmcnt(0)
	v_cvt_f32_f64_e32 v3, v[3:4]
	s_delay_alu instid0(VALU_DEP_1)
	v_cvt_f16_f32_e32 v3, v3
	s_branch .LBB408_482
.LBB408_480:
	s_mov_b32 s0, -1
                                        ; implicit-def: $vgpr3
	s_branch .LBB408_485
.LBB408_481:
	s_mov_b32 s0, -1
                                        ; implicit-def: $vgpr3
.LBB408_482:
	s_delay_alu instid0(SALU_CYCLE_1)
	s_and_not1_b32 vcc_lo, exec_lo, s0
	s_cbranch_vccnz .LBB408_484
; %bb.483:
	global_load_b32 v3, v[0:1], off
	s_waitcnt vmcnt(0)
	v_cvt_f16_f32_e32 v3, v3
.LBB408_484:
	s_mov_b32 s0, 0
.LBB408_485:
	s_delay_alu instid0(SALU_CYCLE_1)
	s_and_not1_b32 vcc_lo, exec_lo, s0
	s_cbranch_vccnz .LBB408_487
; %bb.486:
	global_load_u16 v3, v[0:1], off
.LBB408_487:
	s_mov_b32 s0, 0
.LBB408_488:
	s_delay_alu instid0(SALU_CYCLE_1)
	s_and_not1_b32 vcc_lo, exec_lo, s0
	s_cbranch_vccnz .LBB408_508
; %bb.489:
	v_cmp_lt_i16_e64 s0, s9, 2
	s_delay_alu instid0(VALU_DEP_1)
	s_and_b32 vcc_lo, exec_lo, s0
	s_cbranch_vccnz .LBB408_493
; %bb.490:
	v_cmp_lt_i16_e64 s0, s9, 3
	s_delay_alu instid0(VALU_DEP_1)
	s_and_b32 vcc_lo, exec_lo, s0
	s_cbranch_vccnz .LBB408_494
; %bb.491:
	v_cmp_gt_i16_e64 s0, s9, 3
	s_delay_alu instid0(VALU_DEP_1)
	s_and_b32 vcc_lo, exec_lo, s0
	s_cbranch_vccz .LBB408_495
; %bb.492:
	global_load_b64 v[3:4], v[0:1], off
	s_mov_b32 s0, 0
	s_waitcnt vmcnt(0)
	v_xor_b32_e32 v5, v3, v4
	v_cls_i32_e32 v6, v4
	s_delay_alu instid0(VALU_DEP_2) | instskip(NEXT) | instid1(VALU_DEP_2)
	v_ashrrev_i32_e32 v5, 31, v5
	v_add_nc_u32_e32 v6, -1, v6
	s_delay_alu instid0(VALU_DEP_2) | instskip(NEXT) | instid1(VALU_DEP_1)
	v_add_nc_u32_e32 v5, 32, v5
	v_min_u32_e32 v5, v6, v5
	s_delay_alu instid0(VALU_DEP_1) | instskip(NEXT) | instid1(VALU_DEP_1)
	v_lshlrev_b64 v[3:4], v5, v[3:4]
	v_min_u32_e32 v3, 1, v3
	s_delay_alu instid0(VALU_DEP_1) | instskip(SKIP_1) | instid1(VALU_DEP_2)
	v_or_b32_e32 v3, v4, v3
	v_sub_nc_u32_e32 v4, 32, v5
	v_cvt_f32_i32_e32 v3, v3
	s_delay_alu instid0(VALU_DEP_1) | instskip(NEXT) | instid1(VALU_DEP_1)
	v_ldexp_f32 v3, v3, v4
	v_cvt_f16_f32_e32 v3, v3
	s_branch .LBB408_496
.LBB408_493:
	s_mov_b32 s0, -1
                                        ; implicit-def: $vgpr3
	s_branch .LBB408_502
.LBB408_494:
	s_mov_b32 s0, -1
                                        ; implicit-def: $vgpr3
	s_branch .LBB408_499
.LBB408_495:
	s_mov_b32 s0, -1
                                        ; implicit-def: $vgpr3
.LBB408_496:
	s_delay_alu instid0(SALU_CYCLE_1)
	s_and_not1_b32 vcc_lo, exec_lo, s0
	s_cbranch_vccnz .LBB408_498
; %bb.497:
	global_load_b32 v3, v[0:1], off
	s_waitcnt vmcnt(0)
	v_cvt_f32_i32_e32 v3, v3
	s_delay_alu instid0(VALU_DEP_1)
	v_cvt_f16_f32_e32 v3, v3
.LBB408_498:
	s_mov_b32 s0, 0
.LBB408_499:
	s_delay_alu instid0(SALU_CYCLE_1)
	s_and_not1_b32 vcc_lo, exec_lo, s0
	s_cbranch_vccnz .LBB408_501
; %bb.500:
	global_load_u16 v3, v[0:1], off
	s_waitcnt vmcnt(0)
	v_cvt_f16_i16_e32 v3, v3
.LBB408_501:
	s_mov_b32 s0, 0
.LBB408_502:
	s_delay_alu instid0(SALU_CYCLE_1)
	s_and_not1_b32 vcc_lo, exec_lo, s0
	s_cbranch_vccnz .LBB408_508
; %bb.503:
	v_cmp_gt_i16_e64 s0, s9, 0
	s_delay_alu instid0(VALU_DEP_1)
	s_and_b32 vcc_lo, exec_lo, s0
	s_mov_b32 s0, 0
	s_cbranch_vccz .LBB408_505
; %bb.504:
	global_load_i8 v3, v[0:1], off
	s_waitcnt vmcnt(0)
	v_cvt_f16_i16_e32 v3, v3
	s_branch .LBB408_506
.LBB408_505:
	s_mov_b32 s0, -1
                                        ; implicit-def: $vgpr3
.LBB408_506:
	s_delay_alu instid0(SALU_CYCLE_1)
	s_and_not1_b32 vcc_lo, exec_lo, s0
	s_cbranch_vccnz .LBB408_508
; %bb.507:
	global_load_u8 v0, v[0:1], off
	s_waitcnt vmcnt(0)
	v_cvt_f16_u16_e32 v3, v0
.LBB408_508:
	s_branch .LBB408_263
.LBB408_509:
	s_mov_b32 s19, 0
	s_mov_b32 s0, s12
.LBB408_510:
                                        ; implicit-def: $vgpr2
.LBB408_511:
	s_and_not1_b32 s17, s12, exec_lo
	s_and_b32 s0, s0, exec_lo
	s_and_not1_b32 s20, s14, exec_lo
	s_and_b32 s16, s16, exec_lo
	s_or_b32 s17, s17, s0
	s_or_b32 s16, s20, s16
	s_or_not1_b32 s0, s19, exec_lo
.LBB408_512:
	s_or_b32 exec_lo, exec_lo, s18
	s_mov_b32 s19, 0
	s_mov_b32 s20, 0
	;; [unrolled: 1-line block ×3, first 2 shown]
                                        ; implicit-def: $vgpr0_vgpr1
                                        ; implicit-def: $vgpr5
	s_and_saveexec_b32 s18, s0
	s_cbranch_execz .LBB408_859
; %bb.513:
	s_mov_b32 s21, -1
	s_mov_b32 s0, s16
	s_mov_b32 s20, s17
	s_mov_b32 s19, exec_lo
	v_cmpx_gt_i32_e64 s13, v2
	s_cbranch_execz .LBB408_773
; %bb.514:
	v_mul_lo_u32 v0, v2, s3
	v_cmp_lt_i16_e64 s0, s9, 11
	s_delay_alu instid0(VALU_DEP_2) | instskip(SKIP_1) | instid1(VALU_DEP_2)
	v_ashrrev_i32_e32 v1, 31, v0
	v_add_co_u32 v0, vcc_lo, s6, v0
	v_add_co_ci_u32_e32 v1, vcc_lo, s7, v1, vcc_lo
	s_delay_alu instid0(VALU_DEP_4)
	s_and_b32 vcc_lo, exec_lo, s0
	s_cbranch_vccnz .LBB408_521
; %bb.515:
	v_cmp_gt_i16_e64 s0, s9, 25
	s_delay_alu instid0(VALU_DEP_1)
	s_and_b32 vcc_lo, exec_lo, s0
	s_cbranch_vccz .LBB408_522
; %bb.516:
	v_cmp_gt_i16_e64 s0, s9, 28
	s_delay_alu instid0(VALU_DEP_1)
	s_and_b32 vcc_lo, exec_lo, s0
	s_cbranch_vccz .LBB408_523
	;; [unrolled: 5-line block ×4, first 2 shown]
; %bb.519:
	v_cmp_eq_u16_e64 s0, s9, 46
	s_mov_b32 s21, 0
	s_delay_alu instid0(VALU_DEP_1)
	s_and_b32 vcc_lo, exec_lo, s0
	s_cbranch_vccz .LBB408_530
; %bb.520:
	global_load_b32 v3, v[0:1], off
	s_mov_b32 s0, -1
	s_mov_b32 s20, 0
	s_waitcnt vmcnt(0)
	v_lshlrev_b32_e32 v3, 16, v3
	s_delay_alu instid0(VALU_DEP_1)
	v_cvt_f16_f32_e32 v3, v3
	s_branch .LBB408_532
.LBB408_521:
	s_mov_b32 s0, 0
	s_mov_b32 s20, s16
                                        ; implicit-def: $vgpr3
	s_branch .LBB408_597
.LBB408_522:
	s_mov_b32 s0, 0
	s_mov_b32 s20, s16
                                        ; implicit-def: $vgpr3
	s_branch .LBB408_561
.LBB408_523:
	s_mov_b32 s0, 0
	s_mov_b32 s20, s16
                                        ; implicit-def: $vgpr3
	s_branch .LBB408_542
.LBB408_524:
	s_mov_b32 s0, 0
	s_mov_b32 s20, s16
                                        ; implicit-def: $vgpr3
	s_branch .LBB408_537
.LBB408_525:
	s_or_saveexec_b32 s20, s20
                                        ; implicit-def: $sgpr21
	s_delay_alu instid0(SALU_CYCLE_1)
	s_xor_b32 exec_lo, exec_lo, s20
	s_cbranch_execz .LBB408_309
.LBB408_526:
	v_add_f32_e64 v6, 0x46000000, |v5|
	s_and_not1_b32 s19, s19, exec_lo
	s_mov_b32 s21, 0
	s_delay_alu instid0(VALU_DEP_1) | instskip(NEXT) | instid1(VALU_DEP_1)
	v_and_b32_e32 v6, 0xff, v6
	v_cmp_ne_u32_e32 vcc_lo, 0, v6
	s_and_b32 s22, vcc_lo, exec_lo
	s_delay_alu instid0(SALU_CYCLE_1)
	s_or_b32 s19, s19, s22
	s_or_b32 exec_lo, exec_lo, s20
	v_mov_b32_e32 v7, s21
	s_and_saveexec_b32 s20, s19
	s_cbranch_execnz .LBB408_310
	s_branch .LBB408_311
.LBB408_527:
	s_mov_b32 s0, 0
	s_mov_b32 s20, s16
	s_branch .LBB408_531
.LBB408_528:
	s_or_saveexec_b32 s20, s20
                                        ; implicit-def: $sgpr21
	s_delay_alu instid0(SALU_CYCLE_1)
	s_xor_b32 exec_lo, exec_lo, s20
	s_cbranch_execz .LBB408_322
.LBB408_529:
	v_add_f32_e64 v6, 0x42800000, |v5|
	s_and_not1_b32 s19, s19, exec_lo
	s_mov_b32 s21, 0
	s_delay_alu instid0(VALU_DEP_1) | instskip(NEXT) | instid1(VALU_DEP_1)
	v_and_b32_e32 v6, 0xff, v6
	v_cmp_ne_u32_e32 vcc_lo, 0, v6
	s_and_b32 s22, vcc_lo, exec_lo
	s_delay_alu instid0(SALU_CYCLE_1)
	s_or_b32 s19, s19, s22
	s_or_b32 exec_lo, exec_lo, s20
	v_mov_b32_e32 v7, s21
	s_and_saveexec_b32 s20, s19
	s_cbranch_execnz .LBB408_323
	s_branch .LBB408_324
.LBB408_530:
	s_mov_b32 s20, -1
	s_mov_b32 s0, 0
.LBB408_531:
                                        ; implicit-def: $vgpr3
.LBB408_532:
	s_and_b32 vcc_lo, exec_lo, s21
	s_cbranch_vccz .LBB408_536
; %bb.533:
	v_cmp_eq_u16_e64 s20, s9, 44
	s_delay_alu instid0(VALU_DEP_1)
	s_and_b32 vcc_lo, exec_lo, s20
	s_cbranch_vccz .LBB408_535
; %bb.534:
	global_load_u8 v3, v[0:1], off
	s_mov_b32 s20, 0
	s_mov_b32 s0, -1
	s_waitcnt vmcnt(0)
	v_lshlrev_b32_e32 v4, 23, v3
	v_cmp_ne_u32_e32 vcc_lo, 0xff, v3
	s_delay_alu instid0(VALU_DEP_2) | instskip(NEXT) | instid1(VALU_DEP_1)
	v_cvt_f16_f32_e32 v4, v4
	v_cndmask_b32_e32 v4, 0x7e00, v4, vcc_lo
	v_cmp_ne_u32_e32 vcc_lo, 0, v3
	s_delay_alu instid0(VALU_DEP_2)
	v_cndmask_b32_e32 v3, 0, v4, vcc_lo
	s_branch .LBB408_536
.LBB408_535:
	s_mov_b32 s20, -1
                                        ; implicit-def: $vgpr3
.LBB408_536:
	s_mov_b32 s21, 0
.LBB408_537:
	s_delay_alu instid0(SALU_CYCLE_1)
	s_and_b32 vcc_lo, exec_lo, s21
	s_cbranch_vccz .LBB408_541
; %bb.538:
	v_cmp_eq_u16_e64 s20, s9, 29
	s_delay_alu instid0(VALU_DEP_1)
	s_and_b32 vcc_lo, exec_lo, s20
	s_cbranch_vccz .LBB408_540
; %bb.539:
	global_load_b64 v[3:4], v[0:1], off
	s_mov_b32 s0, -1
	s_mov_b32 s20, 0
	s_mov_b32 s21, 0
	s_waitcnt vmcnt(0)
	v_clz_i32_u32_e32 v5, v4
	s_delay_alu instid0(VALU_DEP_1) | instskip(NEXT) | instid1(VALU_DEP_1)
	v_min_u32_e32 v5, 32, v5
	v_lshlrev_b64 v[3:4], v5, v[3:4]
	s_delay_alu instid0(VALU_DEP_1) | instskip(NEXT) | instid1(VALU_DEP_1)
	v_min_u32_e32 v3, 1, v3
	v_or_b32_e32 v3, v4, v3
	v_sub_nc_u32_e32 v4, 32, v5
	s_delay_alu instid0(VALU_DEP_2) | instskip(NEXT) | instid1(VALU_DEP_1)
	v_cvt_f32_u32_e32 v3, v3
	v_ldexp_f32 v3, v3, v4
	s_delay_alu instid0(VALU_DEP_1)
	v_cvt_f16_f32_e32 v3, v3
	s_branch .LBB408_542
.LBB408_540:
	s_mov_b32 s20, -1
                                        ; implicit-def: $vgpr3
.LBB408_541:
	s_mov_b32 s21, 0
.LBB408_542:
	s_delay_alu instid0(SALU_CYCLE_1)
	s_and_b32 vcc_lo, exec_lo, s21
	s_cbranch_vccz .LBB408_560
; %bb.543:
	v_cmp_lt_i16_e64 s0, s9, 27
	s_delay_alu instid0(VALU_DEP_1)
	s_and_b32 vcc_lo, exec_lo, s0
	s_cbranch_vccnz .LBB408_546
; %bb.544:
	v_cmp_gt_i16_e64 s0, s9, 27
	s_delay_alu instid0(VALU_DEP_1)
	s_and_b32 vcc_lo, exec_lo, s0
	s_cbranch_vccz .LBB408_547
; %bb.545:
	global_load_b32 v3, v[0:1], off
	s_mov_b32 s0, 0
	s_waitcnt vmcnt(0)
	v_cvt_f32_u32_e32 v3, v3
	s_delay_alu instid0(VALU_DEP_1)
	v_cvt_f16_f32_e32 v3, v3
	s_branch .LBB408_548
.LBB408_546:
	s_mov_b32 s0, -1
                                        ; implicit-def: $vgpr3
	s_branch .LBB408_551
.LBB408_547:
	s_mov_b32 s0, -1
                                        ; implicit-def: $vgpr3
.LBB408_548:
	s_delay_alu instid0(SALU_CYCLE_1)
	s_and_not1_b32 vcc_lo, exec_lo, s0
	s_cbranch_vccnz .LBB408_550
; %bb.549:
	global_load_u16 v3, v[0:1], off
	s_waitcnt vmcnt(0)
	v_cvt_f16_u16_e32 v3, v3
.LBB408_550:
	s_mov_b32 s0, 0
.LBB408_551:
	s_delay_alu instid0(SALU_CYCLE_1)
	s_and_not1_b32 vcc_lo, exec_lo, s0
	s_cbranch_vccnz .LBB408_559
; %bb.552:
	global_load_u8 v4, v[0:1], off
	s_mov_b32 s0, 0
	s_mov_b32 s22, exec_lo
                                        ; implicit-def: $sgpr21
	s_waitcnt vmcnt(0)
	v_cmpx_lt_i16_e32 0x7f, v4
	s_xor_b32 s22, exec_lo, s22
	s_cbranch_execz .LBB408_573
; %bb.553:
	s_mov_b32 s0, -1
	s_mov_b32 s23, exec_lo
                                        ; implicit-def: $sgpr21
	v_cmpx_eq_u16_e32 0x80, v4
; %bb.554:
	s_movk_i32 s21, 0x7e00
	s_xor_b32 s0, exec_lo, -1
; %bb.555:
	s_or_b32 exec_lo, exec_lo, s23
	s_delay_alu instid0(SALU_CYCLE_1)
	s_and_b32 s0, s0, exec_lo
	s_or_saveexec_b32 s22, s22
	v_mov_b32_e32 v3, s21
	s_xor_b32 exec_lo, exec_lo, s22
	s_cbranch_execnz .LBB408_574
.LBB408_556:
	s_or_b32 exec_lo, exec_lo, s22
	s_and_saveexec_b32 s21, s0
	s_cbranch_execz .LBB408_558
.LBB408_557:
	v_and_b32_e32 v3, 0xffff, v4
	s_delay_alu instid0(VALU_DEP_1) | instskip(NEXT) | instid1(VALU_DEP_1)
	v_and_b32_e32 v5, 7, v3
	v_clz_i32_u32_e32 v6, v5
	s_delay_alu instid0(VALU_DEP_1) | instskip(NEXT) | instid1(VALU_DEP_1)
	v_min_u32_e32 v6, 32, v6
	v_subrev_nc_u32_e32 v7, 28, v6
	v_sub_nc_u32_e32 v6, 29, v6
	s_delay_alu instid0(VALU_DEP_2) | instskip(SKIP_1) | instid1(VALU_DEP_2)
	v_lshlrev_b32_e32 v7, v7, v3
	v_bfe_u32 v3, v3, 3, 4
	v_and_b32_e32 v7, 7, v7
	s_delay_alu instid0(VALU_DEP_2) | instskip(SKIP_1) | instid1(VALU_DEP_1)
	v_cmp_eq_u32_e32 vcc_lo, 0, v3
	v_dual_cndmask_b32 v3, v3, v6 :: v_dual_lshlrev_b32 v4, 24, v4
	v_dual_cndmask_b32 v5, v5, v7 :: v_dual_and_b32 v4, 0x80000000, v4
	s_delay_alu instid0(VALU_DEP_2) | instskip(NEXT) | instid1(VALU_DEP_2)
	v_lshl_add_u32 v3, v3, 23, 0x3b800000
	v_lshlrev_b32_e32 v5, 20, v5
	s_delay_alu instid0(VALU_DEP_1) | instskip(NEXT) | instid1(VALU_DEP_1)
	v_or3_b32 v3, v4, v3, v5
	v_cvt_f16_f32_e32 v3, v3
.LBB408_558:
	s_or_b32 exec_lo, exec_lo, s21
.LBB408_559:
	s_mov_b32 s0, -1
.LBB408_560:
	s_mov_b32 s21, 0
.LBB408_561:
	s_delay_alu instid0(SALU_CYCLE_1)
	s_and_b32 vcc_lo, exec_lo, s21
	s_cbranch_vccz .LBB408_596
; %bb.562:
	v_cmp_gt_i16_e64 s21, s9, 22
	s_delay_alu instid0(VALU_DEP_1)
	s_and_b32 vcc_lo, exec_lo, s21
	s_cbranch_vccz .LBB408_572
; %bb.563:
	v_cmp_lt_i16_e64 s0, s9, 24
	s_delay_alu instid0(VALU_DEP_1)
	s_and_b32 vcc_lo, exec_lo, s0
	s_cbranch_vccnz .LBB408_575
; %bb.564:
	v_cmp_gt_i16_e64 s0, s9, 24
	s_delay_alu instid0(VALU_DEP_1)
	s_and_b32 vcc_lo, exec_lo, s0
	s_cbranch_vccz .LBB408_576
; %bb.565:
	global_load_u8 v4, v[0:1], off
	s_mov_b32 s0, 0
	s_mov_b32 s22, exec_lo
                                        ; implicit-def: $sgpr21
	s_waitcnt vmcnt(0)
	v_cmpx_lt_i16_e32 0x7f, v4
	s_xor_b32 s22, exec_lo, s22
	s_cbranch_execz .LBB408_588
; %bb.566:
	s_mov_b32 s0, -1
	s_mov_b32 s23, exec_lo
                                        ; implicit-def: $sgpr21
	v_cmpx_eq_u16_e32 0x80, v4
; %bb.567:
	s_movk_i32 s21, 0x7e00
	s_xor_b32 s0, exec_lo, -1
; %bb.568:
	s_or_b32 exec_lo, exec_lo, s23
	s_delay_alu instid0(SALU_CYCLE_1)
	s_and_b32 s0, s0, exec_lo
	s_or_saveexec_b32 s22, s22
	v_mov_b32_e32 v3, s21
	s_xor_b32 exec_lo, exec_lo, s22
	s_cbranch_execnz .LBB408_589
.LBB408_569:
	s_or_b32 exec_lo, exec_lo, s22
	s_and_saveexec_b32 s21, s0
	s_cbranch_execz .LBB408_571
.LBB408_570:
	v_and_b32_e32 v3, 0xffff, v4
	s_delay_alu instid0(VALU_DEP_1) | instskip(NEXT) | instid1(VALU_DEP_1)
	v_and_b32_e32 v5, 3, v3
	v_clz_i32_u32_e32 v6, v5
	s_delay_alu instid0(VALU_DEP_1) | instskip(NEXT) | instid1(VALU_DEP_1)
	v_min_u32_e32 v6, 32, v6
	v_subrev_nc_u32_e32 v7, 29, v6
	v_sub_nc_u32_e32 v6, 30, v6
	s_delay_alu instid0(VALU_DEP_2) | instskip(SKIP_1) | instid1(VALU_DEP_2)
	v_lshlrev_b32_e32 v7, v7, v3
	v_bfe_u32 v3, v3, 2, 5
	v_and_b32_e32 v7, 3, v7
	s_delay_alu instid0(VALU_DEP_2) | instskip(SKIP_1) | instid1(VALU_DEP_1)
	v_cmp_eq_u32_e32 vcc_lo, 0, v3
	v_dual_cndmask_b32 v3, v3, v6 :: v_dual_lshlrev_b32 v4, 24, v4
	v_dual_cndmask_b32 v5, v5, v7 :: v_dual_and_b32 v4, 0x80000000, v4
	s_delay_alu instid0(VALU_DEP_2) | instskip(NEXT) | instid1(VALU_DEP_2)
	v_lshl_add_u32 v3, v3, 23, 0x37800000
	v_lshlrev_b32_e32 v5, 21, v5
	s_delay_alu instid0(VALU_DEP_1) | instskip(NEXT) | instid1(VALU_DEP_1)
	v_or3_b32 v3, v4, v3, v5
	v_cvt_f16_f32_e32 v3, v3
.LBB408_571:
	s_or_b32 exec_lo, exec_lo, s21
	s_mov_b32 s0, 0
	s_branch .LBB408_577
.LBB408_572:
	s_mov_b32 s21, -1
                                        ; implicit-def: $vgpr3
	s_branch .LBB408_583
.LBB408_573:
	s_or_saveexec_b32 s22, s22
	v_mov_b32_e32 v3, s21
	s_xor_b32 exec_lo, exec_lo, s22
	s_cbranch_execz .LBB408_556
.LBB408_574:
	v_cmp_ne_u16_e32 vcc_lo, 0, v4
	v_mov_b32_e32 v3, v4
	s_and_not1_b32 s0, s0, exec_lo
	s_and_b32 s21, vcc_lo, exec_lo
	s_delay_alu instid0(SALU_CYCLE_1)
	s_or_b32 s0, s0, s21
	s_or_b32 exec_lo, exec_lo, s22
	s_and_saveexec_b32 s21, s0
	s_cbranch_execnz .LBB408_557
	s_branch .LBB408_558
.LBB408_575:
	s_mov_b32 s0, -1
                                        ; implicit-def: $vgpr3
	s_branch .LBB408_580
.LBB408_576:
	s_mov_b32 s0, -1
                                        ; implicit-def: $vgpr3
.LBB408_577:
	s_delay_alu instid0(SALU_CYCLE_1)
	s_and_b32 vcc_lo, exec_lo, s0
	s_cbranch_vccz .LBB408_579
; %bb.578:
	global_load_u8 v3, v[0:1], off
	s_waitcnt vmcnt(0)
	v_lshlrev_b32_e32 v3, 24, v3
	s_delay_alu instid0(VALU_DEP_1) | instskip(NEXT) | instid1(VALU_DEP_1)
	v_and_b32_e32 v4, 0x7f000000, v3
	v_clz_i32_u32_e32 v5, v4
	v_add_nc_u32_e32 v7, 0x1000000, v4
	v_cmp_ne_u32_e32 vcc_lo, 0, v4
	s_delay_alu instid0(VALU_DEP_3) | instskip(NEXT) | instid1(VALU_DEP_1)
	v_min_u32_e32 v5, 32, v5
	v_sub_nc_u32_e64 v5, v5, 4 clamp
	s_delay_alu instid0(VALU_DEP_1) | instskip(SKIP_1) | instid1(VALU_DEP_2)
	v_lshlrev_b32_e32 v6, v5, v4
	v_lshlrev_b32_e32 v5, 23, v5
	v_lshrrev_b32_e32 v6, 4, v6
	s_delay_alu instid0(VALU_DEP_1) | instskip(SKIP_1) | instid1(VALU_DEP_2)
	v_sub_nc_u32_e32 v5, v6, v5
	v_ashrrev_i32_e32 v6, 8, v7
	v_add_nc_u32_e32 v5, 0x3c000000, v5
	s_delay_alu instid0(VALU_DEP_1) | instskip(NEXT) | instid1(VALU_DEP_1)
	v_and_or_b32 v5, 0x7f800000, v6, v5
	v_cndmask_b32_e32 v4, 0, v5, vcc_lo
	s_delay_alu instid0(VALU_DEP_1) | instskip(NEXT) | instid1(VALU_DEP_1)
	v_and_or_b32 v3, 0x80000000, v3, v4
	v_cvt_f16_f32_e32 v3, v3
.LBB408_579:
	s_mov_b32 s0, 0
.LBB408_580:
	s_delay_alu instid0(SALU_CYCLE_1)
	s_and_not1_b32 vcc_lo, exec_lo, s0
	s_cbranch_vccnz .LBB408_582
; %bb.581:
	global_load_u8 v3, v[0:1], off
	s_waitcnt vmcnt(0)
	v_lshlrev_b32_e32 v4, 25, v3
	v_lshlrev_b16 v3, 8, v3
	s_delay_alu instid0(VALU_DEP_2) | instskip(NEXT) | instid1(VALU_DEP_2)
	v_lshrrev_b32_e32 v5, 4, v4
	v_and_or_b32 v6, 0x7f00, v3, 0.5
	v_bfe_i32 v3, v3, 0, 16
	s_delay_alu instid0(VALU_DEP_3) | instskip(NEXT) | instid1(VALU_DEP_1)
	v_or_b32_e32 v5, 0x70000000, v5
	v_dual_add_f32 v6, -0.5, v6 :: v_dual_mul_f32 v5, 0x7800000, v5
	v_cmp_gt_u32_e32 vcc_lo, 0x8000000, v4
	s_delay_alu instid0(VALU_DEP_2) | instskip(NEXT) | instid1(VALU_DEP_1)
	v_cndmask_b32_e32 v4, v5, v6, vcc_lo
	v_and_or_b32 v3, 0x80000000, v3, v4
	s_delay_alu instid0(VALU_DEP_1)
	v_cvt_f16_f32_e32 v3, v3
.LBB408_582:
	s_mov_b32 s21, 0
	s_mov_b32 s0, -1
.LBB408_583:
	s_and_not1_b32 vcc_lo, exec_lo, s21
	s_cbranch_vccnz .LBB408_596
; %bb.584:
	v_cmp_gt_i16_e64 s21, s9, 14
	s_delay_alu instid0(VALU_DEP_1)
	s_and_b32 vcc_lo, exec_lo, s21
	s_cbranch_vccz .LBB408_587
; %bb.585:
	v_cmp_eq_u16_e64 s20, s9, 15
	s_delay_alu instid0(VALU_DEP_1)
	s_and_b32 vcc_lo, exec_lo, s20
	s_cbranch_vccz .LBB408_590
; %bb.586:
	global_load_u16 v3, v[0:1], off
	s_mov_b32 s0, -1
	s_mov_b32 s20, 0
	s_waitcnt vmcnt(0)
	v_lshlrev_b32_e32 v3, 16, v3
	s_delay_alu instid0(VALU_DEP_1)
	v_cvt_f16_f32_e32 v3, v3
	s_branch .LBB408_591
.LBB408_587:
	s_mov_b32 s21, -1
                                        ; implicit-def: $vgpr3
	s_branch .LBB408_592
.LBB408_588:
	s_or_saveexec_b32 s22, s22
	v_mov_b32_e32 v3, s21
	s_xor_b32 exec_lo, exec_lo, s22
	s_cbranch_execz .LBB408_569
.LBB408_589:
	v_cmp_ne_u16_e32 vcc_lo, 0, v4
	v_mov_b32_e32 v3, v4
	s_and_not1_b32 s0, s0, exec_lo
	s_and_b32 s21, vcc_lo, exec_lo
	s_delay_alu instid0(SALU_CYCLE_1)
	s_or_b32 s0, s0, s21
	s_or_b32 exec_lo, exec_lo, s22
	s_and_saveexec_b32 s21, s0
	s_cbranch_execnz .LBB408_570
	s_branch .LBB408_571
.LBB408_590:
	s_mov_b32 s20, -1
                                        ; implicit-def: $vgpr3
.LBB408_591:
	s_mov_b32 s21, 0
.LBB408_592:
	s_delay_alu instid0(SALU_CYCLE_1)
	s_and_b32 vcc_lo, exec_lo, s21
	s_cbranch_vccz .LBB408_596
; %bb.593:
	v_cmp_eq_u16_e64 s20, s9, 11
	s_delay_alu instid0(VALU_DEP_1)
	s_and_b32 vcc_lo, exec_lo, s20
	s_cbranch_vccz .LBB408_595
; %bb.594:
	global_load_u8 v3, v[0:1], off
	s_mov_b32 s20, 0
	s_mov_b32 s0, -1
	s_waitcnt vmcnt(0)
	v_cmp_ne_u16_e32 vcc_lo, 0, v3
	v_cndmask_b32_e64 v3, 0, 0x3c00, vcc_lo
	s_branch .LBB408_596
.LBB408_595:
	s_mov_b32 s20, -1
                                        ; implicit-def: $vgpr3
.LBB408_596:
	s_mov_b32 s21, 0
.LBB408_597:
	s_delay_alu instid0(SALU_CYCLE_1)
	s_and_b32 vcc_lo, exec_lo, s21
	s_cbranch_vccz .LBB408_646
; %bb.598:
	v_cmp_lt_i16_e64 s0, s9, 5
	s_delay_alu instid0(VALU_DEP_1)
	s_and_b32 vcc_lo, exec_lo, s0
	s_cbranch_vccnz .LBB408_603
; %bb.599:
	v_cmp_lt_i16_e64 s0, s9, 8
	s_delay_alu instid0(VALU_DEP_1)
	s_and_b32 vcc_lo, exec_lo, s0
	s_cbranch_vccnz .LBB408_604
	;; [unrolled: 5-line block ×3, first 2 shown]
; %bb.601:
	v_cmp_gt_i16_e64 s0, s9, 9
	s_delay_alu instid0(VALU_DEP_1)
	s_and_b32 vcc_lo, exec_lo, s0
	s_cbranch_vccz .LBB408_606
; %bb.602:
	global_load_b64 v[3:4], v[0:1], off
	s_mov_b32 s0, 0
	s_waitcnt vmcnt(0)
	v_cvt_f32_f64_e32 v3, v[3:4]
	s_delay_alu instid0(VALU_DEP_1)
	v_cvt_f16_f32_e32 v3, v3
	s_branch .LBB408_607
.LBB408_603:
	s_mov_b32 s0, -1
                                        ; implicit-def: $vgpr3
	s_branch .LBB408_625
.LBB408_604:
	s_mov_b32 s0, -1
                                        ; implicit-def: $vgpr3
	s_branch .LBB408_613
.LBB408_605:
	s_mov_b32 s0, -1
                                        ; implicit-def: $vgpr3
	s_branch .LBB408_610
.LBB408_606:
	s_mov_b32 s0, -1
                                        ; implicit-def: $vgpr3
.LBB408_607:
	s_delay_alu instid0(SALU_CYCLE_1)
	s_and_not1_b32 vcc_lo, exec_lo, s0
	s_cbranch_vccnz .LBB408_609
; %bb.608:
	global_load_b32 v3, v[0:1], off
	s_waitcnt vmcnt(0)
	v_cvt_f16_f32_e32 v3, v3
.LBB408_609:
	s_mov_b32 s0, 0
.LBB408_610:
	s_delay_alu instid0(SALU_CYCLE_1)
	s_and_not1_b32 vcc_lo, exec_lo, s0
	s_cbranch_vccnz .LBB408_612
; %bb.611:
	global_load_b32 v3, v[0:1], off
.LBB408_612:
	s_mov_b32 s0, 0
.LBB408_613:
	s_delay_alu instid0(SALU_CYCLE_1)
	s_and_not1_b32 vcc_lo, exec_lo, s0
	s_cbranch_vccnz .LBB408_624
; %bb.614:
	v_cmp_lt_i16_e64 s0, s9, 6
	s_delay_alu instid0(VALU_DEP_1)
	s_and_b32 vcc_lo, exec_lo, s0
	s_cbranch_vccnz .LBB408_617
; %bb.615:
	v_cmp_gt_i16_e64 s0, s9, 6
	s_delay_alu instid0(VALU_DEP_1)
	s_and_b32 vcc_lo, exec_lo, s0
	s_cbranch_vccz .LBB408_618
; %bb.616:
	global_load_b64 v[3:4], v[0:1], off
	s_mov_b32 s0, 0
	s_waitcnt vmcnt(0)
	v_cvt_f32_f64_e32 v3, v[3:4]
	s_delay_alu instid0(VALU_DEP_1)
	v_cvt_f16_f32_e32 v3, v3
	s_branch .LBB408_619
.LBB408_617:
	s_mov_b32 s0, -1
                                        ; implicit-def: $vgpr3
	s_branch .LBB408_622
.LBB408_618:
	s_mov_b32 s0, -1
                                        ; implicit-def: $vgpr3
.LBB408_619:
	s_delay_alu instid0(SALU_CYCLE_1)
	s_and_not1_b32 vcc_lo, exec_lo, s0
	s_cbranch_vccnz .LBB408_621
; %bb.620:
	global_load_b32 v3, v[0:1], off
	s_waitcnt vmcnt(0)
	v_cvt_f16_f32_e32 v3, v3
.LBB408_621:
	s_mov_b32 s0, 0
.LBB408_622:
	s_delay_alu instid0(SALU_CYCLE_1)
	s_and_not1_b32 vcc_lo, exec_lo, s0
	s_cbranch_vccnz .LBB408_624
; %bb.623:
	global_load_u16 v3, v[0:1], off
.LBB408_624:
	s_mov_b32 s0, 0
.LBB408_625:
	s_delay_alu instid0(SALU_CYCLE_1)
	s_and_not1_b32 vcc_lo, exec_lo, s0
	s_cbranch_vccnz .LBB408_645
; %bb.626:
	v_cmp_lt_i16_e64 s0, s9, 2
	s_delay_alu instid0(VALU_DEP_1)
	s_and_b32 vcc_lo, exec_lo, s0
	s_cbranch_vccnz .LBB408_630
; %bb.627:
	v_cmp_lt_i16_e64 s0, s9, 3
	s_delay_alu instid0(VALU_DEP_1)
	s_and_b32 vcc_lo, exec_lo, s0
	s_cbranch_vccnz .LBB408_631
; %bb.628:
	v_cmp_gt_i16_e64 s0, s9, 3
	s_delay_alu instid0(VALU_DEP_1)
	s_and_b32 vcc_lo, exec_lo, s0
	s_cbranch_vccz .LBB408_632
; %bb.629:
	global_load_b64 v[3:4], v[0:1], off
	s_mov_b32 s0, 0
	s_waitcnt vmcnt(0)
	v_xor_b32_e32 v5, v3, v4
	v_cls_i32_e32 v6, v4
	s_delay_alu instid0(VALU_DEP_2) | instskip(NEXT) | instid1(VALU_DEP_2)
	v_ashrrev_i32_e32 v5, 31, v5
	v_add_nc_u32_e32 v6, -1, v6
	s_delay_alu instid0(VALU_DEP_2) | instskip(NEXT) | instid1(VALU_DEP_1)
	v_add_nc_u32_e32 v5, 32, v5
	v_min_u32_e32 v5, v6, v5
	s_delay_alu instid0(VALU_DEP_1) | instskip(NEXT) | instid1(VALU_DEP_1)
	v_lshlrev_b64 v[3:4], v5, v[3:4]
	v_min_u32_e32 v3, 1, v3
	s_delay_alu instid0(VALU_DEP_1) | instskip(SKIP_1) | instid1(VALU_DEP_2)
	v_or_b32_e32 v3, v4, v3
	v_sub_nc_u32_e32 v4, 32, v5
	v_cvt_f32_i32_e32 v3, v3
	s_delay_alu instid0(VALU_DEP_1) | instskip(NEXT) | instid1(VALU_DEP_1)
	v_ldexp_f32 v3, v3, v4
	v_cvt_f16_f32_e32 v3, v3
	s_branch .LBB408_633
.LBB408_630:
	s_mov_b32 s0, -1
                                        ; implicit-def: $vgpr3
	s_branch .LBB408_639
.LBB408_631:
	s_mov_b32 s0, -1
                                        ; implicit-def: $vgpr3
	s_branch .LBB408_636
.LBB408_632:
	s_mov_b32 s0, -1
                                        ; implicit-def: $vgpr3
.LBB408_633:
	s_delay_alu instid0(SALU_CYCLE_1)
	s_and_not1_b32 vcc_lo, exec_lo, s0
	s_cbranch_vccnz .LBB408_635
; %bb.634:
	global_load_b32 v3, v[0:1], off
	s_waitcnt vmcnt(0)
	v_cvt_f32_i32_e32 v3, v3
	s_delay_alu instid0(VALU_DEP_1)
	v_cvt_f16_f32_e32 v3, v3
.LBB408_635:
	s_mov_b32 s0, 0
.LBB408_636:
	s_delay_alu instid0(SALU_CYCLE_1)
	s_and_not1_b32 vcc_lo, exec_lo, s0
	s_cbranch_vccnz .LBB408_638
; %bb.637:
	global_load_u16 v3, v[0:1], off
	s_waitcnt vmcnt(0)
	v_cvt_f16_i16_e32 v3, v3
.LBB408_638:
	s_mov_b32 s0, 0
.LBB408_639:
	s_delay_alu instid0(SALU_CYCLE_1)
	s_and_not1_b32 vcc_lo, exec_lo, s0
	s_cbranch_vccnz .LBB408_645
; %bb.640:
	v_cmp_gt_i16_e64 s0, s9, 0
	s_delay_alu instid0(VALU_DEP_1)
	s_and_b32 vcc_lo, exec_lo, s0
	s_mov_b32 s0, 0
	s_cbranch_vccz .LBB408_642
; %bb.641:
	global_load_i8 v3, v[0:1], off
	s_waitcnt vmcnt(0)
	v_cvt_f16_i16_e32 v3, v3
	s_branch .LBB408_643
.LBB408_642:
	s_mov_b32 s0, -1
                                        ; implicit-def: $vgpr3
.LBB408_643:
	s_delay_alu instid0(SALU_CYCLE_1)
	s_and_not1_b32 vcc_lo, exec_lo, s0
	s_cbranch_vccnz .LBB408_645
; %bb.644:
	global_load_u8 v0, v[0:1], off
	s_waitcnt vmcnt(0)
	v_cvt_f16_u16_e32 v3, v0
.LBB408_645:
	s_mov_b32 s0, -1
.LBB408_646:
	s_delay_alu instid0(SALU_CYCLE_1)
	s_and_not1_b32 vcc_lo, exec_lo, s0
	s_cbranch_vccnz .LBB408_654
; %bb.647:
	v_mul_lo_u32 v0, v2, s2
	s_waitcnt vmcnt(0)
	v_cmp_u_f16_e32 vcc_lo, v3, v3
	v_cmp_lt_f16_e64 s0, s8, v3
	v_and_b32_e64 v4, 0xff, s1
	s_delay_alu instid0(VALU_DEP_2) | instskip(NEXT) | instid1(VALU_DEP_4)
	s_or_b32 vcc_lo, vcc_lo, s0
	v_ashrrev_i32_e32 v1, 31, v0
	v_cndmask_b32_e32 v3, s8, v3, vcc_lo
	s_delay_alu instid0(VALU_DEP_3) | instskip(SKIP_1) | instid1(VALU_DEP_1)
	v_cmp_gt_i16_e32 vcc_lo, 11, v4
	v_add_co_u32 v0, s0, s4, v0
	v_add_co_ci_u32_e64 v1, s0, s5, v1, s0
	s_cbranch_vccnz .LBB408_655
; %bb.648:
	v_cmp_lt_i16_e32 vcc_lo, 25, v4
	s_cbranch_vccz .LBB408_656
; %bb.649:
	v_cmp_lt_i16_e32 vcc_lo, 28, v4
	s_cbranch_vccz .LBB408_657
	;; [unrolled: 3-line block ×4, first 2 shown]
; %bb.652:
	v_cmp_eq_u16_e32 vcc_lo, 46, v4
	s_mov_b32 s22, 0
	s_mov_b32 s0, -1
	s_mov_b32 s21, 0
	s_cbranch_vccz .LBB408_660
; %bb.653:
	v_cvt_f32_f16_e32 v5, v3
	v_cmp_o_f16_e32 vcc_lo, v3, v3
	s_mov_b32 s21, -1
	s_mov_b32 s0, 0
	s_delay_alu instid0(VALU_DEP_2) | instskip(NEXT) | instid1(VALU_DEP_1)
	v_bfe_u32 v6, v5, 16, 1
	v_add3_u32 v5, v5, v6, 0x7fff
	s_delay_alu instid0(VALU_DEP_1) | instskip(NEXT) | instid1(VALU_DEP_1)
	v_lshrrev_b32_e32 v5, 16, v5
	v_cndmask_b32_e32 v5, 0x7fc0, v5, vcc_lo
	global_store_b32 v[0:1], v5, off
	s_branch .LBB408_660
.LBB408_654:
	s_mov_b32 s21, 0
	s_mov_b32 s0, s17
	s_branch .LBB408_771
.LBB408_655:
	s_mov_b32 s22, -1
	s_mov_b32 s21, 0
	s_mov_b32 s0, s17
	s_branch .LBB408_729
.LBB408_656:
	s_mov_b32 s22, -1
	s_mov_b32 s21, 0
	s_mov_b32 s0, s17
	s_branch .LBB408_687
.LBB408_657:
	s_mov_b32 s22, -1
	s_mov_b32 s21, 0
	s_mov_b32 s0, s17
	s_branch .LBB408_670
.LBB408_658:
	s_mov_b32 s22, -1
	s_mov_b32 s21, 0
	s_mov_b32 s0, s17
	s_branch .LBB408_666
.LBB408_659:
	s_mov_b32 s22, -1
	s_mov_b32 s21, 0
	s_mov_b32 s0, s17
.LBB408_660:
	s_and_b32 vcc_lo, exec_lo, s22
	s_cbranch_vccz .LBB408_665
; %bb.661:
	v_cmp_eq_u16_e32 vcc_lo, 44, v4
	s_mov_b32 s0, -1
	s_cbranch_vccz .LBB408_665
; %bb.662:
	v_cvt_f32_f16_e32 v5, v3
	v_mov_b32_e32 v6, 0xff
	s_mov_b32 s21, exec_lo
	s_delay_alu instid0(VALU_DEP_2) | instskip(NEXT) | instid1(VALU_DEP_1)
	v_bfe_u32 v7, v5, 23, 8
	v_cmpx_ne_u32_e32 0xff, v7
; %bb.663:
	v_and_b32_e32 v6, 0x400000, v5
	v_and_or_b32 v7, 0x3fffff, v5, v7
	v_lshrrev_b32_e32 v5, 23, v5
	s_delay_alu instid0(VALU_DEP_3) | instskip(NEXT) | instid1(VALU_DEP_3)
	v_cmp_ne_u32_e32 vcc_lo, 0, v6
	v_cmp_ne_u32_e64 s0, 0, v7
	s_delay_alu instid0(VALU_DEP_1) | instskip(NEXT) | instid1(SALU_CYCLE_1)
	s_and_b32 s0, vcc_lo, s0
	v_cndmask_b32_e64 v6, 0, 1, s0
	s_delay_alu instid0(VALU_DEP_1)
	v_add_nc_u32_e32 v6, v5, v6
; %bb.664:
	s_or_b32 exec_lo, exec_lo, s21
	s_mov_b32 s21, -1
	s_mov_b32 s0, 0
	global_store_b8 v[0:1], v6, off
.LBB408_665:
	s_mov_b32 s22, 0
.LBB408_666:
	s_delay_alu instid0(SALU_CYCLE_1)
	s_and_b32 vcc_lo, exec_lo, s22
	s_cbranch_vccz .LBB408_669
; %bb.667:
	v_cmp_eq_u16_e32 vcc_lo, 29, v4
	s_mov_b32 s0, -1
	s_cbranch_vccz .LBB408_669
; %bb.668:
	v_cvt_f32_f16_e32 v5, v3
	v_mov_b32_e32 v6, 0
	s_mov_b32 s0, 0
	s_mov_b32 s21, -1
	s_mov_b32 s22, 0
	v_cvt_u32_f32_e32 v5, v5
	global_store_b64 v[0:1], v[5:6], off
	s_branch .LBB408_670
.LBB408_669:
	s_mov_b32 s22, 0
.LBB408_670:
	s_delay_alu instid0(SALU_CYCLE_1)
	s_and_b32 vcc_lo, exec_lo, s22
	s_cbranch_vccz .LBB408_686
; %bb.671:
	v_cmp_gt_i16_e32 vcc_lo, 27, v4
	s_mov_b32 s21, -1
	s_cbranch_vccnz .LBB408_677
; %bb.672:
	v_cmp_lt_i16_e32 vcc_lo, 27, v4
	s_cbranch_vccz .LBB408_674
; %bb.673:
	v_cvt_f32_f16_e32 v5, v3
	s_mov_b32 s21, 0
	s_delay_alu instid0(VALU_DEP_1)
	v_cvt_u32_f32_e32 v5, v5
	global_store_b32 v[0:1], v5, off
.LBB408_674:
	s_and_not1_b32 vcc_lo, exec_lo, s21
	s_cbranch_vccnz .LBB408_676
; %bb.675:
	v_cvt_u16_f16_e32 v5, v3
	global_store_b16 v[0:1], v5, off
.LBB408_676:
	s_mov_b32 s21, 0
.LBB408_677:
	s_delay_alu instid0(SALU_CYCLE_1)
	s_and_not1_b32 vcc_lo, exec_lo, s21
	s_cbranch_vccnz .LBB408_685
; %bb.678:
	v_cvt_f32_f16_e32 v5, v3
	v_mov_b32_e32 v7, 0x80
	s_mov_b32 s21, exec_lo
	s_delay_alu instid0(VALU_DEP_2) | instskip(NEXT) | instid1(VALU_DEP_1)
	v_and_b32_e32 v6, 0x7fffffff, v5
	v_cmpx_gt_u32_e32 0x43800000, v6
	s_cbranch_execz .LBB408_684
; %bb.679:
	v_cmp_lt_u32_e32 vcc_lo, 0x3bffffff, v6
	s_mov_b32 s22, 0
                                        ; implicit-def: $vgpr6
	s_and_saveexec_b32 s23, vcc_lo
	s_delay_alu instid0(SALU_CYCLE_1)
	s_xor_b32 s23, exec_lo, s23
	s_cbranch_execz .LBB408_786
; %bb.680:
	v_bfe_u32 v6, v5, 20, 1
	s_mov_b32 s22, exec_lo
	s_delay_alu instid0(VALU_DEP_1) | instskip(NEXT) | instid1(VALU_DEP_1)
	v_add3_u32 v6, v5, v6, 0x487ffff
	v_lshrrev_b32_e32 v6, 20, v6
	s_or_saveexec_b32 s23, s23
                                        ; implicit-def: $sgpr24
	s_delay_alu instid0(SALU_CYCLE_1)
	s_xor_b32 exec_lo, exec_lo, s23
	s_cbranch_execnz .LBB408_787
.LBB408_681:
	s_or_b32 exec_lo, exec_lo, s23
	v_mov_b32_e32 v7, s24
	s_and_saveexec_b32 s23, s22
.LBB408_682:
	v_lshrrev_b32_e32 v5, 24, v5
	s_delay_alu instid0(VALU_DEP_1)
	v_and_or_b32 v7, 0x80, v5, v6
.LBB408_683:
	s_or_b32 exec_lo, exec_lo, s23
.LBB408_684:
	s_delay_alu instid0(SALU_CYCLE_1)
	s_or_b32 exec_lo, exec_lo, s21
	global_store_b8 v[0:1], v7, off
.LBB408_685:
	s_mov_b32 s21, -1
.LBB408_686:
	s_mov_b32 s22, 0
.LBB408_687:
	s_delay_alu instid0(SALU_CYCLE_1)
	s_and_b32 vcc_lo, exec_lo, s22
	s_cbranch_vccz .LBB408_728
; %bb.688:
	v_cmp_lt_i16_e32 vcc_lo, 22, v4
	s_mov_b32 s22, -1
	s_cbranch_vccz .LBB408_720
; %bb.689:
	v_cmp_gt_i16_e32 vcc_lo, 24, v4
	s_mov_b32 s21, -1
	s_cbranch_vccnz .LBB408_709
; %bb.690:
	v_cmp_lt_i16_e32 vcc_lo, 24, v4
	s_cbranch_vccz .LBB408_698
; %bb.691:
	v_cvt_f32_f16_e32 v5, v3
	v_mov_b32_e32 v7, 0x80
	s_mov_b32 s21, exec_lo
	s_delay_alu instid0(VALU_DEP_2) | instskip(NEXT) | instid1(VALU_DEP_1)
	v_and_b32_e32 v6, 0x7fffffff, v5
	v_cmpx_gt_u32_e32 0x47800000, v6
	s_cbranch_execz .LBB408_697
; %bb.692:
	v_cmp_lt_u32_e32 vcc_lo, 0x37ffffff, v6
	s_mov_b32 s22, 0
                                        ; implicit-def: $vgpr6
	s_and_saveexec_b32 s23, vcc_lo
	s_delay_alu instid0(SALU_CYCLE_1)
	s_xor_b32 s23, exec_lo, s23
	s_cbranch_execz .LBB408_789
; %bb.693:
	v_bfe_u32 v6, v5, 21, 1
	s_mov_b32 s22, exec_lo
	s_delay_alu instid0(VALU_DEP_1) | instskip(NEXT) | instid1(VALU_DEP_1)
	v_add3_u32 v6, v5, v6, 0x88fffff
	v_lshrrev_b32_e32 v6, 21, v6
	s_or_saveexec_b32 s23, s23
                                        ; implicit-def: $sgpr24
	s_delay_alu instid0(SALU_CYCLE_1)
	s_xor_b32 exec_lo, exec_lo, s23
	s_cbranch_execnz .LBB408_790
.LBB408_694:
	s_or_b32 exec_lo, exec_lo, s23
	v_mov_b32_e32 v7, s24
	s_and_saveexec_b32 s23, s22
.LBB408_695:
	v_lshrrev_b32_e32 v5, 24, v5
	s_delay_alu instid0(VALU_DEP_1)
	v_and_or_b32 v7, 0x80, v5, v6
.LBB408_696:
	s_or_b32 exec_lo, exec_lo, s23
.LBB408_697:
	s_delay_alu instid0(SALU_CYCLE_1)
	s_or_b32 exec_lo, exec_lo, s21
	s_mov_b32 s21, 0
	global_store_b8 v[0:1], v7, off
.LBB408_698:
	s_and_b32 vcc_lo, exec_lo, s21
	s_cbranch_vccz .LBB408_708
; %bb.699:
	v_cvt_f32_f16_e32 v5, v3
	s_mov_b32 s21, exec_lo
                                        ; implicit-def: $vgpr6
	s_delay_alu instid0(VALU_DEP_1) | instskip(NEXT) | instid1(VALU_DEP_1)
	v_and_b32_e32 v7, 0x7fffffff, v5
	v_cmpx_gt_u32_e32 0x43f00000, v7
	s_xor_b32 s21, exec_lo, s21
	s_cbranch_execz .LBB408_705
; %bb.700:
	s_mov_b32 s22, exec_lo
                                        ; implicit-def: $vgpr6
	v_cmpx_lt_u32_e32 0x3c7fffff, v7
	s_xor_b32 s22, exec_lo, s22
; %bb.701:
	v_bfe_u32 v6, v5, 20, 1
	s_delay_alu instid0(VALU_DEP_1) | instskip(NEXT) | instid1(VALU_DEP_1)
	v_add3_u32 v6, v5, v6, 0x407ffff
	v_and_b32_e32 v7, 0xff00000, v6
	v_lshrrev_b32_e32 v6, 20, v6
	s_delay_alu instid0(VALU_DEP_2) | instskip(NEXT) | instid1(VALU_DEP_2)
	v_cmp_ne_u32_e32 vcc_lo, 0x7f00000, v7
	v_cndmask_b32_e32 v6, 0x7e, v6, vcc_lo
; %bb.702:
	s_and_not1_saveexec_b32 s22, s22
; %bb.703:
	v_add_f32_e64 v6, 0x46800000, |v5|
; %bb.704:
	s_or_b32 exec_lo, exec_lo, s22
                                        ; implicit-def: $vgpr7
.LBB408_705:
	s_and_not1_saveexec_b32 s21, s21
; %bb.706:
	v_mov_b32_e32 v6, 0x7f
	v_cmp_lt_u32_e32 vcc_lo, 0x7f800000, v7
	s_delay_alu instid0(VALU_DEP_2)
	v_cndmask_b32_e32 v6, 0x7e, v6, vcc_lo
; %bb.707:
	s_or_b32 exec_lo, exec_lo, s21
	v_lshrrev_b32_e32 v5, 24, v5
	s_delay_alu instid0(VALU_DEP_1)
	v_and_or_b32 v5, 0x80, v5, v6
	global_store_b8 v[0:1], v5, off
.LBB408_708:
	s_mov_b32 s21, 0
.LBB408_709:
	s_delay_alu instid0(SALU_CYCLE_1)
	s_and_not1_b32 vcc_lo, exec_lo, s21
	s_cbranch_vccnz .LBB408_719
; %bb.710:
	v_cvt_f32_f16_e32 v5, v3
	s_mov_b32 s21, exec_lo
                                        ; implicit-def: $vgpr6
	s_delay_alu instid0(VALU_DEP_1) | instskip(NEXT) | instid1(VALU_DEP_1)
	v_and_b32_e32 v7, 0x7fffffff, v5
	v_cmpx_gt_u32_e32 0x47800000, v7
	s_xor_b32 s21, exec_lo, s21
	s_cbranch_execz .LBB408_716
; %bb.711:
	s_mov_b32 s22, exec_lo
                                        ; implicit-def: $vgpr6
	v_cmpx_lt_u32_e32 0x387fffff, v7
	s_xor_b32 s22, exec_lo, s22
; %bb.712:
	v_bfe_u32 v6, v5, 21, 1
	s_delay_alu instid0(VALU_DEP_1) | instskip(NEXT) | instid1(VALU_DEP_1)
	v_add3_u32 v6, v5, v6, 0x80fffff
	v_lshrrev_b32_e32 v6, 21, v6
; %bb.713:
	s_and_not1_saveexec_b32 s22, s22
; %bb.714:
	v_add_f32_e64 v6, 0x43000000, |v5|
; %bb.715:
	s_or_b32 exec_lo, exec_lo, s22
                                        ; implicit-def: $vgpr7
.LBB408_716:
	s_and_not1_saveexec_b32 s21, s21
; %bb.717:
	v_mov_b32_e32 v6, 0x7f
	v_cmp_lt_u32_e32 vcc_lo, 0x7f800000, v7
	s_delay_alu instid0(VALU_DEP_2)
	v_cndmask_b32_e32 v6, 0x7c, v6, vcc_lo
; %bb.718:
	s_or_b32 exec_lo, exec_lo, s21
	v_lshrrev_b32_e32 v5, 24, v5
	s_delay_alu instid0(VALU_DEP_1)
	v_and_or_b32 v5, 0x80, v5, v6
	global_store_b8 v[0:1], v5, off
.LBB408_719:
	s_mov_b32 s22, 0
	s_mov_b32 s21, -1
.LBB408_720:
	s_and_not1_b32 vcc_lo, exec_lo, s22
	s_cbranch_vccnz .LBB408_728
; %bb.721:
	v_cmp_lt_i16_e32 vcc_lo, 14, v4
	s_mov_b32 s22, -1
	s_cbranch_vccz .LBB408_725
; %bb.722:
	v_cmp_eq_u16_e32 vcc_lo, 15, v4
	s_mov_b32 s0, -1
	s_cbranch_vccz .LBB408_724
; %bb.723:
	v_cvt_f32_f16_e32 v5, v3
	v_cmp_o_f16_e32 vcc_lo, v3, v3
	s_mov_b32 s21, -1
	s_mov_b32 s0, 0
	s_delay_alu instid0(VALU_DEP_2) | instskip(NEXT) | instid1(VALU_DEP_1)
	v_bfe_u32 v6, v5, 16, 1
	v_add3_u32 v5, v5, v6, 0x7fff
	s_delay_alu instid0(VALU_DEP_1) | instskip(NEXT) | instid1(VALU_DEP_1)
	v_lshrrev_b32_e32 v5, 16, v5
	v_cndmask_b32_e32 v5, 0x7fc0, v5, vcc_lo
	global_store_b16 v[0:1], v5, off
.LBB408_724:
	s_mov_b32 s22, 0
.LBB408_725:
	s_delay_alu instid0(SALU_CYCLE_1)
	s_and_b32 vcc_lo, exec_lo, s22
	s_cbranch_vccz .LBB408_728
; %bb.726:
	v_cmp_eq_u16_e32 vcc_lo, 11, v4
	s_mov_b32 s0, -1
	s_cbranch_vccz .LBB408_728
; %bb.727:
	v_and_b32_e32 v5, 0x7fff, v3
	s_mov_b32 s0, 0
	s_mov_b32 s21, -1
	s_delay_alu instid0(VALU_DEP_1)
	v_cmp_ne_u16_e32 vcc_lo, 0, v5
	v_cndmask_b32_e64 v5, 0, 1, vcc_lo
	global_store_b8 v[0:1], v5, off
.LBB408_728:
	s_mov_b32 s22, 0
.LBB408_729:
	s_delay_alu instid0(SALU_CYCLE_1)
	s_and_b32 vcc_lo, exec_lo, s22
	s_cbranch_vccz .LBB408_768
; %bb.730:
	v_cmp_gt_i16_e32 vcc_lo, 5, v4
	s_mov_b32 s21, -1
	s_cbranch_vccnz .LBB408_751
; %bb.731:
	v_cmp_gt_i16_e32 vcc_lo, 8, v4
	s_cbranch_vccnz .LBB408_741
; %bb.732:
	v_cmp_gt_i16_e32 vcc_lo, 9, v4
	s_cbranch_vccnz .LBB408_738
; %bb.733:
	v_cmp_lt_i16_e32 vcc_lo, 9, v4
	s_cbranch_vccz .LBB408_735
; %bb.734:
	v_cvt_f32_f16_e32 v5, v3
	v_mov_b32_e32 v7, 0
	s_mov_b32 s21, 0
	s_delay_alu instid0(VALU_DEP_2) | instskip(NEXT) | instid1(VALU_DEP_2)
	v_cvt_f64_f32_e32 v[5:6], v5
	v_mov_b32_e32 v8, v7
	global_store_b128 v[0:1], v[5:8], off
.LBB408_735:
	s_and_not1_b32 vcc_lo, exec_lo, s21
	s_cbranch_vccnz .LBB408_737
; %bb.736:
	v_cvt_f32_f16_e32 v5, v3
	v_mov_b32_e32 v6, 0
	global_store_b64 v[0:1], v[5:6], off
.LBB408_737:
	s_mov_b32 s21, 0
.LBB408_738:
	s_delay_alu instid0(SALU_CYCLE_1)
	s_and_not1_b32 vcc_lo, exec_lo, s21
	s_cbranch_vccnz .LBB408_740
; %bb.739:
	v_and_b32_e32 v5, 0xffff, v3
	global_store_b32 v[0:1], v5, off
.LBB408_740:
	s_mov_b32 s21, 0
.LBB408_741:
	s_delay_alu instid0(SALU_CYCLE_1)
	s_and_not1_b32 vcc_lo, exec_lo, s21
	s_cbranch_vccnz .LBB408_750
; %bb.742:
	v_cmp_gt_i16_e32 vcc_lo, 6, v4
	s_mov_b32 s21, -1
	s_cbranch_vccnz .LBB408_748
; %bb.743:
	v_cmp_lt_i16_e32 vcc_lo, 6, v4
	s_cbranch_vccz .LBB408_745
; %bb.744:
	v_cvt_f32_f16_e32 v5, v3
	s_mov_b32 s21, 0
	s_delay_alu instid0(VALU_DEP_1)
	v_cvt_f64_f32_e32 v[5:6], v5
	global_store_b64 v[0:1], v[5:6], off
.LBB408_745:
	s_and_not1_b32 vcc_lo, exec_lo, s21
	s_cbranch_vccnz .LBB408_747
; %bb.746:
	v_cvt_f32_f16_e32 v5, v3
	global_store_b32 v[0:1], v5, off
.LBB408_747:
	s_mov_b32 s21, 0
.LBB408_748:
	s_delay_alu instid0(SALU_CYCLE_1)
	s_and_not1_b32 vcc_lo, exec_lo, s21
	s_cbranch_vccnz .LBB408_750
; %bb.749:
	global_store_b16 v[0:1], v3, off
.LBB408_750:
	s_mov_b32 s21, 0
.LBB408_751:
	s_delay_alu instid0(SALU_CYCLE_1)
	s_and_not1_b32 vcc_lo, exec_lo, s21
	s_cbranch_vccnz .LBB408_767
; %bb.752:
	v_cmp_gt_i16_e32 vcc_lo, 2, v4
	s_mov_b32 s21, -1
	s_cbranch_vccnz .LBB408_762
; %bb.753:
	v_cmp_gt_i16_e32 vcc_lo, 3, v4
	s_cbranch_vccnz .LBB408_759
; %bb.754:
	v_cmp_lt_i16_e32 vcc_lo, 3, v4
	s_cbranch_vccz .LBB408_756
; %bb.755:
	v_cvt_f32_f16_e32 v5, v3
	s_mov_b32 s21, 0
	s_delay_alu instid0(VALU_DEP_1) | instskip(NEXT) | instid1(VALU_DEP_1)
	v_cvt_i32_f32_e32 v5, v5
	v_ashrrev_i32_e32 v6, 31, v5
	global_store_b64 v[0:1], v[5:6], off
.LBB408_756:
	s_and_not1_b32 vcc_lo, exec_lo, s21
	s_cbranch_vccnz .LBB408_758
; %bb.757:
	v_cvt_f32_f16_e32 v5, v3
	s_delay_alu instid0(VALU_DEP_1)
	v_cvt_i32_f32_e32 v5, v5
	global_store_b32 v[0:1], v5, off
.LBB408_758:
	s_mov_b32 s21, 0
.LBB408_759:
	s_delay_alu instid0(SALU_CYCLE_1)
	s_and_not1_b32 vcc_lo, exec_lo, s21
	s_cbranch_vccnz .LBB408_761
; %bb.760:
	v_cvt_i16_f16_e32 v5, v3
	global_store_b16 v[0:1], v5, off
.LBB408_761:
	s_mov_b32 s21, 0
.LBB408_762:
	s_delay_alu instid0(SALU_CYCLE_1)
	s_and_not1_b32 vcc_lo, exec_lo, s21
	s_cbranch_vccnz .LBB408_767
; %bb.763:
	v_cmp_lt_i16_e32 vcc_lo, 0, v4
	s_mov_b32 s21, -1
	s_cbranch_vccz .LBB408_765
; %bb.764:
	v_cvt_i16_f16_e32 v4, v3
	s_mov_b32 s21, 0
	global_store_b8 v[0:1], v4, off
.LBB408_765:
	s_and_not1_b32 vcc_lo, exec_lo, s21
	s_cbranch_vccnz .LBB408_767
; %bb.766:
	v_cvt_f32_f16_e32 v3, v3
	s_delay_alu instid0(VALU_DEP_1)
	v_cvt_i32_f32_e32 v3, v3
	global_store_b8 v[0:1], v3, off
.LBB408_767:
	s_mov_b32 s21, -1
.LBB408_768:
	s_delay_alu instid0(SALU_CYCLE_1)
	s_and_not1_b32 vcc_lo, exec_lo, s21
	s_cbranch_vccnz .LBB408_770
; %bb.769:
	v_add_nc_u32_e32 v2, 0x80, v2
	s_mov_b32 s21, -1
	s_branch .LBB408_772
.LBB408_770:
	s_mov_b32 s21, 0
.LBB408_771:
                                        ; implicit-def: $vgpr2
.LBB408_772:
	s_and_not1_b32 s22, s17, exec_lo
	s_and_b32 s0, s0, exec_lo
	s_and_not1_b32 s23, s16, exec_lo
	s_and_b32 s24, s20, exec_lo
	s_or_b32 s20, s22, s0
	s_or_b32 s0, s23, s24
	s_or_not1_b32 s21, s21, exec_lo
.LBB408_773:
	s_or_b32 exec_lo, exec_lo, s19
	s_mov_b32 s22, 0
	s_mov_b32 s23, 0
	;; [unrolled: 1-line block ×3, first 2 shown]
                                        ; implicit-def: $vgpr0_vgpr1
                                        ; implicit-def: $vgpr5
	s_and_saveexec_b32 s19, s21
	s_cbranch_execz .LBB408_858
; %bb.774:
	v_cmp_gt_i32_e32 vcc_lo, s13, v2
	s_mov_b32 s21, 0
	s_mov_b32 s22, s0
                                        ; implicit-def: $vgpr0_vgpr1
                                        ; implicit-def: $vgpr5
	s_and_saveexec_b32 s13, vcc_lo
	s_cbranch_execz .LBB408_857
; %bb.775:
	v_mul_lo_u32 v0, v2, s3
	v_cmp_lt_i16_e64 s21, s9, 11
	s_delay_alu instid0(VALU_DEP_2) | instskip(SKIP_1) | instid1(VALU_DEP_2)
	v_ashrrev_i32_e32 v1, 31, v0
	v_add_co_u32 v0, vcc_lo, s6, v0
	v_add_co_ci_u32_e32 v1, vcc_lo, s7, v1, vcc_lo
	s_delay_alu instid0(VALU_DEP_4)
	s_and_b32 vcc_lo, exec_lo, s21
	s_cbranch_vccnz .LBB408_782
; %bb.776:
	v_cmp_gt_i16_e64 s21, s9, 25
	s_mov_b32 s22, 0
	s_delay_alu instid0(VALU_DEP_1)
	s_and_b32 vcc_lo, exec_lo, s21
	s_cbranch_vccz .LBB408_783
; %bb.777:
	v_cmp_gt_i16_e64 s21, s9, 28
	s_delay_alu instid0(VALU_DEP_1)
	s_and_b32 vcc_lo, exec_lo, s21
	s_cbranch_vccz .LBB408_784
; %bb.778:
	v_cmp_gt_i16_e64 s21, s9, 43
	;; [unrolled: 5-line block ×3, first 2 shown]
	s_delay_alu instid0(VALU_DEP_1)
	s_and_b32 vcc_lo, exec_lo, s21
	s_cbranch_vccz .LBB408_788
; %bb.780:
	v_cmp_eq_u16_e64 s21, s9, 46
	s_delay_alu instid0(VALU_DEP_1)
	s_and_b32 vcc_lo, exec_lo, s21
	s_cbranch_vccz .LBB408_791
; %bb.781:
	global_load_b32 v3, v[0:1], off
	s_mov_b32 s21, 0
	s_mov_b32 s23, -1
	s_waitcnt vmcnt(0)
	v_lshlrev_b32_e32 v3, 16, v3
	s_delay_alu instid0(VALU_DEP_1)
	v_cvt_f16_f32_e32 v5, v3
	s_branch .LBB408_793
.LBB408_782:
	s_mov_b32 s25, -1
	s_mov_b32 s22, 0
	s_mov_b32 s21, s0
                                        ; implicit-def: $vgpr5
	s_branch .LBB408_856
.LBB408_783:
	s_mov_b32 s24, -1
	s_mov_b32 s21, s0
                                        ; implicit-def: $vgpr5
	s_branch .LBB408_822
.LBB408_784:
	s_mov_b32 s24, -1
	s_mov_b32 s21, s0
                                        ; implicit-def: $vgpr5
	s_branch .LBB408_803
.LBB408_785:
	s_mov_b32 s24, -1
	s_mov_b32 s21, s0
                                        ; implicit-def: $vgpr5
	s_branch .LBB408_798
.LBB408_786:
	s_or_saveexec_b32 s23, s23
                                        ; implicit-def: $sgpr24
	s_delay_alu instid0(SALU_CYCLE_1)
	s_xor_b32 exec_lo, exec_lo, s23
	s_cbranch_execz .LBB408_681
.LBB408_787:
	v_add_f32_e64 v6, 0x46000000, |v5|
	s_and_not1_b32 s22, s22, exec_lo
	s_mov_b32 s24, 0
	s_delay_alu instid0(VALU_DEP_1) | instskip(NEXT) | instid1(VALU_DEP_1)
	v_and_b32_e32 v6, 0xff, v6
	v_cmp_ne_u32_e32 vcc_lo, 0, v6
	s_and_b32 s25, vcc_lo, exec_lo
	s_delay_alu instid0(SALU_CYCLE_1)
	s_or_b32 s22, s22, s25
	s_or_b32 exec_lo, exec_lo, s23
	v_mov_b32_e32 v7, s24
	s_and_saveexec_b32 s23, s22
	s_cbranch_execnz .LBB408_682
	s_branch .LBB408_683
.LBB408_788:
	s_mov_b32 s24, -1
	s_mov_b32 s21, s0
	s_branch .LBB408_792
.LBB408_789:
	s_or_saveexec_b32 s23, s23
                                        ; implicit-def: $sgpr24
	s_delay_alu instid0(SALU_CYCLE_1)
	s_xor_b32 exec_lo, exec_lo, s23
	s_cbranch_execz .LBB408_694
.LBB408_790:
	v_add_f32_e64 v6, 0x42800000, |v5|
	s_and_not1_b32 s22, s22, exec_lo
	s_mov_b32 s24, 0
	s_delay_alu instid0(VALU_DEP_1) | instskip(NEXT) | instid1(VALU_DEP_1)
	v_and_b32_e32 v6, 0xff, v6
	v_cmp_ne_u32_e32 vcc_lo, 0, v6
	s_and_b32 s25, vcc_lo, exec_lo
	s_delay_alu instid0(SALU_CYCLE_1)
	s_or_b32 s22, s22, s25
	s_or_b32 exec_lo, exec_lo, s23
	v_mov_b32_e32 v7, s24
	s_and_saveexec_b32 s23, s22
	s_cbranch_execnz .LBB408_695
	s_branch .LBB408_696
.LBB408_791:
	s_mov_b32 s21, -1
.LBB408_792:
                                        ; implicit-def: $vgpr5
.LBB408_793:
	s_and_b32 vcc_lo, exec_lo, s24
	s_cbranch_vccz .LBB408_797
; %bb.794:
	v_cmp_eq_u16_e64 s21, s9, 44
	s_delay_alu instid0(VALU_DEP_1)
	s_and_b32 vcc_lo, exec_lo, s21
	s_cbranch_vccz .LBB408_796
; %bb.795:
	global_load_u8 v3, v[0:1], off
	s_mov_b32 s21, 0
	s_mov_b32 s23, -1
	s_waitcnt vmcnt(0)
	v_lshlrev_b32_e32 v4, 23, v3
	v_cmp_ne_u32_e32 vcc_lo, 0xff, v3
	s_delay_alu instid0(VALU_DEP_2) | instskip(NEXT) | instid1(VALU_DEP_1)
	v_cvt_f16_f32_e32 v4, v4
	v_cndmask_b32_e32 v4, 0x7e00, v4, vcc_lo
	v_cmp_ne_u32_e32 vcc_lo, 0, v3
	s_delay_alu instid0(VALU_DEP_2)
	v_cndmask_b32_e32 v5, 0, v4, vcc_lo
	s_branch .LBB408_797
.LBB408_796:
	s_mov_b32 s21, -1
                                        ; implicit-def: $vgpr5
.LBB408_797:
	s_mov_b32 s24, 0
.LBB408_798:
	s_delay_alu instid0(SALU_CYCLE_1)
	s_and_b32 vcc_lo, exec_lo, s24
	s_cbranch_vccz .LBB408_802
; %bb.799:
	v_cmp_eq_u16_e64 s21, s9, 29
	s_delay_alu instid0(VALU_DEP_1)
	s_and_b32 vcc_lo, exec_lo, s21
	s_cbranch_vccz .LBB408_801
; %bb.800:
	global_load_b64 v[3:4], v[0:1], off
	s_mov_b32 s21, 0
	s_mov_b32 s23, -1
	s_mov_b32 s24, 0
	s_waitcnt vmcnt(0)
	v_clz_i32_u32_e32 v5, v4
	s_delay_alu instid0(VALU_DEP_1) | instskip(NEXT) | instid1(VALU_DEP_1)
	v_min_u32_e32 v5, 32, v5
	v_lshlrev_b64 v[3:4], v5, v[3:4]
	s_delay_alu instid0(VALU_DEP_1) | instskip(NEXT) | instid1(VALU_DEP_1)
	v_min_u32_e32 v3, 1, v3
	v_or_b32_e32 v3, v4, v3
	v_sub_nc_u32_e32 v4, 32, v5
	s_delay_alu instid0(VALU_DEP_2) | instskip(NEXT) | instid1(VALU_DEP_1)
	v_cvt_f32_u32_e32 v3, v3
	v_ldexp_f32 v3, v3, v4
	s_delay_alu instid0(VALU_DEP_1)
	v_cvt_f16_f32_e32 v5, v3
	s_branch .LBB408_803
.LBB408_801:
	s_mov_b32 s21, -1
                                        ; implicit-def: $vgpr5
.LBB408_802:
	s_mov_b32 s24, 0
.LBB408_803:
	s_delay_alu instid0(SALU_CYCLE_1)
	s_and_b32 vcc_lo, exec_lo, s24
	s_cbranch_vccz .LBB408_821
; %bb.804:
	v_cmp_lt_i16_e64 s23, s9, 27
	s_delay_alu instid0(VALU_DEP_1)
	s_and_b32 vcc_lo, exec_lo, s23
	s_cbranch_vccnz .LBB408_807
; %bb.805:
	v_cmp_gt_i16_e64 s23, s9, 27
	s_delay_alu instid0(VALU_DEP_1)
	s_and_b32 vcc_lo, exec_lo, s23
	s_cbranch_vccz .LBB408_808
; %bb.806:
	global_load_b32 v3, v[0:1], off
	s_mov_b32 s23, 0
	s_waitcnt vmcnt(0)
	v_cvt_f32_u32_e32 v3, v3
	s_delay_alu instid0(VALU_DEP_1)
	v_cvt_f16_f32_e32 v5, v3
	s_branch .LBB408_809
.LBB408_807:
	s_mov_b32 s23, -1
                                        ; implicit-def: $vgpr5
	s_branch .LBB408_812
.LBB408_808:
	s_mov_b32 s23, -1
                                        ; implicit-def: $vgpr5
.LBB408_809:
	s_delay_alu instid0(SALU_CYCLE_1)
	s_and_not1_b32 vcc_lo, exec_lo, s23
	s_cbranch_vccnz .LBB408_811
; %bb.810:
	global_load_u16 v3, v[0:1], off
	s_waitcnt vmcnt(0)
	v_cvt_f16_u16_e32 v5, v3
.LBB408_811:
	s_mov_b32 s23, 0
.LBB408_812:
	s_delay_alu instid0(SALU_CYCLE_1)
	s_and_not1_b32 vcc_lo, exec_lo, s23
	s_cbranch_vccnz .LBB408_820
; %bb.813:
	global_load_u8 v3, v[0:1], off
	s_mov_b32 s23, 0
	s_mov_b32 s25, exec_lo
                                        ; implicit-def: $sgpr24
	s_waitcnt vmcnt(0)
	v_cmpx_lt_i16_e32 0x7f, v3
	s_xor_b32 s25, exec_lo, s25
	s_cbranch_execz .LBB408_834
; %bb.814:
	s_mov_b32 s23, -1
	s_mov_b32 s26, exec_lo
                                        ; implicit-def: $sgpr24
	v_cmpx_eq_u16_e32 0x80, v3
; %bb.815:
	s_movk_i32 s24, 0x7e00
	s_xor_b32 s23, exec_lo, -1
; %bb.816:
	s_or_b32 exec_lo, exec_lo, s26
	s_delay_alu instid0(SALU_CYCLE_1)
	s_and_b32 s23, s23, exec_lo
	s_or_saveexec_b32 s25, s25
	v_mov_b32_e32 v5, s24
	s_xor_b32 exec_lo, exec_lo, s25
	s_cbranch_execnz .LBB408_835
.LBB408_817:
	s_or_b32 exec_lo, exec_lo, s25
	s_and_saveexec_b32 s24, s23
	s_cbranch_execz .LBB408_819
.LBB408_818:
	v_and_b32_e32 v4, 0xffff, v3
	v_lshlrev_b32_e32 v3, 24, v3
	s_delay_alu instid0(VALU_DEP_2) | instskip(NEXT) | instid1(VALU_DEP_2)
	v_and_b32_e32 v5, 7, v4
	v_and_b32_e32 v3, 0x80000000, v3
	s_delay_alu instid0(VALU_DEP_2) | instskip(NEXT) | instid1(VALU_DEP_1)
	v_clz_i32_u32_e32 v6, v5
	v_min_u32_e32 v6, 32, v6
	s_delay_alu instid0(VALU_DEP_1) | instskip(SKIP_1) | instid1(VALU_DEP_2)
	v_subrev_nc_u32_e32 v7, 28, v6
	v_sub_nc_u32_e32 v6, 29, v6
	v_lshlrev_b32_e32 v7, v7, v4
	v_bfe_u32 v4, v4, 3, 4
	s_delay_alu instid0(VALU_DEP_2) | instskip(NEXT) | instid1(VALU_DEP_2)
	v_and_b32_e32 v7, 7, v7
	v_cmp_eq_u32_e32 vcc_lo, 0, v4
	s_delay_alu instid0(VALU_DEP_2) | instskip(NEXT) | instid1(VALU_DEP_1)
	v_dual_cndmask_b32 v4, v4, v6 :: v_dual_cndmask_b32 v5, v5, v7
	v_lshl_add_u32 v4, v4, 23, 0x3b800000
	s_delay_alu instid0(VALU_DEP_2) | instskip(NEXT) | instid1(VALU_DEP_1)
	v_lshlrev_b32_e32 v5, 20, v5
	v_or3_b32 v3, v3, v4, v5
	s_delay_alu instid0(VALU_DEP_1)
	v_cvt_f16_f32_e32 v5, v3
.LBB408_819:
	s_or_b32 exec_lo, exec_lo, s24
.LBB408_820:
	s_mov_b32 s23, -1
.LBB408_821:
	s_mov_b32 s24, 0
.LBB408_822:
	s_delay_alu instid0(SALU_CYCLE_1)
	s_and_b32 vcc_lo, exec_lo, s24
	s_cbranch_vccz .LBB408_855
; %bb.823:
	v_cmp_gt_i16_e64 s22, s9, 22
	s_delay_alu instid0(VALU_DEP_1)
	s_and_b32 vcc_lo, exec_lo, s22
	s_cbranch_vccz .LBB408_833
; %bb.824:
	v_cmp_lt_i16_e64 s22, s9, 24
	s_delay_alu instid0(VALU_DEP_1)
	s_and_b32 vcc_lo, exec_lo, s22
	s_cbranch_vccnz .LBB408_836
; %bb.825:
	v_cmp_gt_i16_e64 s22, s9, 24
	s_delay_alu instid0(VALU_DEP_1)
	s_and_b32 vcc_lo, exec_lo, s22
	s_cbranch_vccz .LBB408_837
; %bb.826:
	global_load_u8 v3, v[0:1], off
	s_mov_b32 s22, 0
	s_mov_b32 s24, exec_lo
                                        ; implicit-def: $sgpr23
	s_waitcnt vmcnt(0)
	v_cmpx_lt_i16_e32 0x7f, v3
	s_xor_b32 s24, exec_lo, s24
	s_cbranch_execz .LBB408_849
; %bb.827:
	s_mov_b32 s22, -1
	s_mov_b32 s25, exec_lo
                                        ; implicit-def: $sgpr23
	v_cmpx_eq_u16_e32 0x80, v3
; %bb.828:
	s_movk_i32 s23, 0x7e00
	s_xor_b32 s22, exec_lo, -1
; %bb.829:
	s_or_b32 exec_lo, exec_lo, s25
	s_delay_alu instid0(SALU_CYCLE_1)
	s_and_b32 s22, s22, exec_lo
	s_or_saveexec_b32 s24, s24
	v_mov_b32_e32 v5, s23
	s_xor_b32 exec_lo, exec_lo, s24
	s_cbranch_execnz .LBB408_850
.LBB408_830:
	s_or_b32 exec_lo, exec_lo, s24
	s_and_saveexec_b32 s23, s22
	s_cbranch_execz .LBB408_832
.LBB408_831:
	v_and_b32_e32 v4, 0xffff, v3
	v_lshlrev_b32_e32 v3, 24, v3
	s_delay_alu instid0(VALU_DEP_2) | instskip(NEXT) | instid1(VALU_DEP_2)
	v_and_b32_e32 v5, 3, v4
	v_and_b32_e32 v3, 0x80000000, v3
	s_delay_alu instid0(VALU_DEP_2) | instskip(NEXT) | instid1(VALU_DEP_1)
	v_clz_i32_u32_e32 v6, v5
	v_min_u32_e32 v6, 32, v6
	s_delay_alu instid0(VALU_DEP_1) | instskip(SKIP_1) | instid1(VALU_DEP_2)
	v_subrev_nc_u32_e32 v7, 29, v6
	v_sub_nc_u32_e32 v6, 30, v6
	v_lshlrev_b32_e32 v7, v7, v4
	v_bfe_u32 v4, v4, 2, 5
	s_delay_alu instid0(VALU_DEP_2) | instskip(NEXT) | instid1(VALU_DEP_2)
	v_and_b32_e32 v7, 3, v7
	v_cmp_eq_u32_e32 vcc_lo, 0, v4
	s_delay_alu instid0(VALU_DEP_2) | instskip(NEXT) | instid1(VALU_DEP_1)
	v_dual_cndmask_b32 v4, v4, v6 :: v_dual_cndmask_b32 v5, v5, v7
	v_lshl_add_u32 v4, v4, 23, 0x37800000
	s_delay_alu instid0(VALU_DEP_2) | instskip(NEXT) | instid1(VALU_DEP_1)
	v_lshlrev_b32_e32 v5, 21, v5
	v_or3_b32 v3, v3, v4, v5
	s_delay_alu instid0(VALU_DEP_1)
	v_cvt_f16_f32_e32 v5, v3
.LBB408_832:
	s_or_b32 exec_lo, exec_lo, s23
	s_mov_b32 s22, 0
	s_branch .LBB408_838
.LBB408_833:
	s_mov_b32 s22, -1
                                        ; implicit-def: $vgpr5
	s_branch .LBB408_844
.LBB408_834:
	s_or_saveexec_b32 s25, s25
	v_mov_b32_e32 v5, s24
	s_xor_b32 exec_lo, exec_lo, s25
	s_cbranch_execz .LBB408_817
.LBB408_835:
	v_cmp_ne_u16_e32 vcc_lo, 0, v3
	v_mov_b32_e32 v5, v3
	s_and_not1_b32 s23, s23, exec_lo
	s_and_b32 s24, vcc_lo, exec_lo
	s_delay_alu instid0(SALU_CYCLE_1)
	s_or_b32 s23, s23, s24
	s_or_b32 exec_lo, exec_lo, s25
	s_and_saveexec_b32 s24, s23
	s_cbranch_execnz .LBB408_818
	s_branch .LBB408_819
.LBB408_836:
	s_mov_b32 s22, -1
                                        ; implicit-def: $vgpr5
	s_branch .LBB408_841
.LBB408_837:
	s_mov_b32 s22, -1
                                        ; implicit-def: $vgpr5
.LBB408_838:
	s_delay_alu instid0(SALU_CYCLE_1)
	s_and_b32 vcc_lo, exec_lo, s22
	s_cbranch_vccz .LBB408_840
; %bb.839:
	global_load_u8 v3, v[0:1], off
	s_waitcnt vmcnt(0)
	v_lshlrev_b32_e32 v3, 24, v3
	s_delay_alu instid0(VALU_DEP_1) | instskip(NEXT) | instid1(VALU_DEP_1)
	v_and_b32_e32 v4, 0x7f000000, v3
	v_clz_i32_u32_e32 v5, v4
	v_add_nc_u32_e32 v7, 0x1000000, v4
	v_cmp_ne_u32_e32 vcc_lo, 0, v4
	s_delay_alu instid0(VALU_DEP_3) | instskip(NEXT) | instid1(VALU_DEP_1)
	v_min_u32_e32 v5, 32, v5
	v_sub_nc_u32_e64 v5, v5, 4 clamp
	s_delay_alu instid0(VALU_DEP_1) | instskip(SKIP_1) | instid1(VALU_DEP_2)
	v_lshlrev_b32_e32 v6, v5, v4
	v_lshlrev_b32_e32 v5, 23, v5
	v_lshrrev_b32_e32 v6, 4, v6
	s_delay_alu instid0(VALU_DEP_1) | instskip(SKIP_1) | instid1(VALU_DEP_2)
	v_sub_nc_u32_e32 v5, v6, v5
	v_ashrrev_i32_e32 v6, 8, v7
	v_add_nc_u32_e32 v5, 0x3c000000, v5
	s_delay_alu instid0(VALU_DEP_1) | instskip(NEXT) | instid1(VALU_DEP_1)
	v_and_or_b32 v5, 0x7f800000, v6, v5
	v_cndmask_b32_e32 v4, 0, v5, vcc_lo
	s_delay_alu instid0(VALU_DEP_1) | instskip(NEXT) | instid1(VALU_DEP_1)
	v_and_or_b32 v3, 0x80000000, v3, v4
	v_cvt_f16_f32_e32 v5, v3
.LBB408_840:
	s_mov_b32 s22, 0
.LBB408_841:
	s_delay_alu instid0(SALU_CYCLE_1)
	s_and_not1_b32 vcc_lo, exec_lo, s22
	s_cbranch_vccnz .LBB408_843
; %bb.842:
	global_load_u8 v3, v[0:1], off
	s_waitcnt vmcnt(0)
	v_lshlrev_b32_e32 v4, 25, v3
	v_lshlrev_b16 v3, 8, v3
	s_delay_alu instid0(VALU_DEP_2) | instskip(NEXT) | instid1(VALU_DEP_2)
	v_lshrrev_b32_e32 v5, 4, v4
	v_and_or_b32 v6, 0x7f00, v3, 0.5
	v_bfe_i32 v3, v3, 0, 16
	s_delay_alu instid0(VALU_DEP_3) | instskip(NEXT) | instid1(VALU_DEP_1)
	v_or_b32_e32 v5, 0x70000000, v5
	v_dual_add_f32 v6, -0.5, v6 :: v_dual_mul_f32 v5, 0x7800000, v5
	v_cmp_gt_u32_e32 vcc_lo, 0x8000000, v4
	s_delay_alu instid0(VALU_DEP_2) | instskip(NEXT) | instid1(VALU_DEP_1)
	v_cndmask_b32_e32 v4, v5, v6, vcc_lo
	v_and_or_b32 v3, 0x80000000, v3, v4
	s_delay_alu instid0(VALU_DEP_1)
	v_cvt_f16_f32_e32 v5, v3
.LBB408_843:
	s_mov_b32 s22, 0
	s_mov_b32 s23, -1
.LBB408_844:
	s_and_not1_b32 vcc_lo, exec_lo, s22
	s_mov_b32 s22, 0
	s_cbranch_vccnz .LBB408_855
; %bb.845:
	v_cmp_gt_i16_e64 s22, s9, 14
	s_delay_alu instid0(VALU_DEP_1)
	s_and_b32 vcc_lo, exec_lo, s22
	s_cbranch_vccz .LBB408_848
; %bb.846:
	v_cmp_eq_u16_e64 s21, s9, 15
	s_delay_alu instid0(VALU_DEP_1)
	s_and_b32 vcc_lo, exec_lo, s21
	s_cbranch_vccz .LBB408_851
; %bb.847:
	global_load_u16 v3, v[0:1], off
	s_mov_b32 s21, 0
	s_mov_b32 s23, -1
	s_waitcnt vmcnt(0)
	v_lshlrev_b32_e32 v3, 16, v3
	s_delay_alu instid0(VALU_DEP_1)
	v_cvt_f16_f32_e32 v5, v3
	s_branch .LBB408_852
.LBB408_848:
	s_mov_b32 s22, -1
                                        ; implicit-def: $vgpr5
	s_branch .LBB408_853
.LBB408_849:
	s_or_saveexec_b32 s24, s24
	v_mov_b32_e32 v5, s23
	s_xor_b32 exec_lo, exec_lo, s24
	s_cbranch_execz .LBB408_830
.LBB408_850:
	v_cmp_ne_u16_e32 vcc_lo, 0, v3
	v_mov_b32_e32 v5, v3
	s_and_not1_b32 s22, s22, exec_lo
	s_and_b32 s23, vcc_lo, exec_lo
	s_delay_alu instid0(SALU_CYCLE_1)
	s_or_b32 s22, s22, s23
	s_or_b32 exec_lo, exec_lo, s24
	s_and_saveexec_b32 s23, s22
	s_cbranch_execnz .LBB408_831
	s_branch .LBB408_832
.LBB408_851:
	s_mov_b32 s21, -1
                                        ; implicit-def: $vgpr5
.LBB408_852:
	s_mov_b32 s22, 0
.LBB408_853:
	s_delay_alu instid0(SALU_CYCLE_1)
	s_and_b32 vcc_lo, exec_lo, s22
	s_mov_b32 s22, 0
	s_cbranch_vccz .LBB408_855
; %bb.854:
	v_cmp_ne_u16_e64 s22, s9, 11
	s_and_not1_b32 s21, s21, exec_lo
                                        ; implicit-def: $vgpr5
	s_delay_alu instid0(VALU_DEP_1)
	s_and_b32 s24, s22, exec_lo
	s_mov_b32 s22, -1
	s_or_b32 s21, s21, s24
.LBB408_855:
	s_mov_b32 s25, 0
.LBB408_856:
	s_and_b32 s24, s23, exec_lo
	s_and_b32 s23, s25, exec_lo
	s_and_not1_b32 s25, s0, exec_lo
	s_and_b32 s26, s21, exec_lo
	s_and_b32 s21, s22, exec_lo
	s_or_b32 s22, s25, s26
.LBB408_857:
	s_or_b32 exec_lo, exec_lo, s13
	s_delay_alu instid0(SALU_CYCLE_1)
	s_and_not1_b32 s0, s0, exec_lo
	s_and_b32 s13, s22, exec_lo
	s_and_b32 s24, s24, exec_lo
	;; [unrolled: 1-line block ×4, first 2 shown]
	s_or_b32 s0, s0, s13
.LBB408_858:
	s_or_b32 exec_lo, exec_lo, s19
	s_delay_alu instid0(SALU_CYCLE_1)
	s_and_not1_b32 s13, s17, exec_lo
	s_and_b32 s17, s20, exec_lo
	s_and_b32 s0, s0, exec_lo
	s_or_b32 s17, s13, s17
	s_and_not1_b32 s13, s16, exec_lo
	s_and_b32 s21, s24, exec_lo
	s_and_b32 s20, s23, exec_lo
	;; [unrolled: 1-line block ×3, first 2 shown]
	s_or_b32 s16, s13, s0
.LBB408_859:
	s_or_b32 exec_lo, exec_lo, s18
	s_delay_alu instid0(SALU_CYCLE_1)
	s_and_not1_b32 s0, s12, exec_lo
	s_and_b32 s12, s17, exec_lo
	s_and_not1_b32 s13, s14, exec_lo
	s_and_b32 s14, s16, exec_lo
	s_or_b32 s12, s0, s12
	s_and_b32 s0, s21, exec_lo
	s_and_b32 s17, s20, exec_lo
	;; [unrolled: 1-line block ×3, first 2 shown]
	s_or_b32 s14, s13, s14
.LBB408_860:
	s_or_b32 exec_lo, exec_lo, s15
	s_mov_b32 s13, 0
	s_and_saveexec_b32 s15, s14
	s_cbranch_execnz .LBB408_872
; %bb.861:
	s_or_b32 exec_lo, exec_lo, s15
	s_and_saveexec_b32 s14, s16
	s_delay_alu instid0(SALU_CYCLE_1)
	s_xor_b32 s14, exec_lo, s14
	s_cbranch_execz .LBB408_863
.LBB408_862:
	global_load_u8 v3, v[0:1], off
	s_or_b32 s0, s0, exec_lo
	s_waitcnt vmcnt(0)
	v_cmp_ne_u16_e32 vcc_lo, 0, v3
	v_cndmask_b32_e64 v5, 0, 0x3c00, vcc_lo
.LBB408_863:
	s_or_b32 exec_lo, exec_lo, s14
	s_and_saveexec_b32 s14, s17
	s_cbranch_execz .LBB408_911
; %bb.864:
	v_cmp_lt_i16_e64 s15, s9, 5
	s_delay_alu instid0(VALU_DEP_1)
	s_and_b32 vcc_lo, exec_lo, s15
	s_cbranch_vccnz .LBB408_869
; %bb.865:
	v_cmp_lt_i16_e64 s15, s9, 8
	s_delay_alu instid0(VALU_DEP_1)
	s_and_b32 vcc_lo, exec_lo, s15
	s_cbranch_vccnz .LBB408_870
	;; [unrolled: 5-line block ×3, first 2 shown]
; %bb.867:
	v_cmp_gt_i16_e64 s15, s9, 9
	s_delay_alu instid0(VALU_DEP_1)
	s_and_b32 vcc_lo, exec_lo, s15
	s_cbranch_vccz .LBB408_874
; %bb.868:
	global_load_b64 v[3:4], v[0:1], off
	s_mov_b32 s15, 0
	s_waitcnt vmcnt(0)
	v_cvt_f32_f64_e32 v3, v[3:4]
	s_delay_alu instid0(VALU_DEP_1)
	v_cvt_f16_f32_e32 v5, v3
	s_branch .LBB408_875
.LBB408_869:
                                        ; implicit-def: $vgpr5
	s_branch .LBB408_892
.LBB408_870:
                                        ; implicit-def: $vgpr5
	s_branch .LBB408_881
.LBB408_871:
	s_mov_b32 s15, -1
                                        ; implicit-def: $vgpr5
	s_branch .LBB408_878
.LBB408_872:
	s_cbranch_execnz .LBB408_920
; %bb.873:
	s_mov_b32 s13, exec_lo
	s_and_not1_b32 s16, s16, exec_lo
                                        ; implicit-def: $vgpr5
	s_or_b32 exec_lo, exec_lo, s15
	s_and_saveexec_b32 s14, s16
	s_delay_alu instid0(SALU_CYCLE_1)
	s_xor_b32 s14, exec_lo, s14
	s_cbranch_execnz .LBB408_862
	s_branch .LBB408_863
.LBB408_874:
	s_mov_b32 s15, -1
                                        ; implicit-def: $vgpr5
.LBB408_875:
	s_delay_alu instid0(SALU_CYCLE_1)
	s_and_not1_b32 vcc_lo, exec_lo, s15
	s_cbranch_vccnz .LBB408_877
; %bb.876:
	global_load_b32 v3, v[0:1], off
	s_waitcnt vmcnt(0)
	v_cvt_f16_f32_e32 v5, v3
.LBB408_877:
	s_mov_b32 s15, 0
.LBB408_878:
	s_delay_alu instid0(SALU_CYCLE_1)
	s_and_not1_b32 vcc_lo, exec_lo, s15
	s_cbranch_vccnz .LBB408_880
; %bb.879:
	global_load_b32 v5, v[0:1], off
.LBB408_880:
	s_cbranch_execnz .LBB408_891
.LBB408_881:
	v_cmp_lt_i16_e64 s15, s9, 6
	s_delay_alu instid0(VALU_DEP_1)
	s_and_b32 vcc_lo, exec_lo, s15
	s_cbranch_vccnz .LBB408_884
; %bb.882:
	v_cmp_gt_i16_e64 s15, s9, 6
	s_delay_alu instid0(VALU_DEP_1)
	s_and_b32 vcc_lo, exec_lo, s15
	s_cbranch_vccz .LBB408_885
; %bb.883:
	global_load_b64 v[3:4], v[0:1], off
	s_mov_b32 s15, 0
	s_waitcnt vmcnt(0)
	v_cvt_f32_f64_e32 v3, v[3:4]
	s_delay_alu instid0(VALU_DEP_1)
	v_cvt_f16_f32_e32 v5, v3
	s_branch .LBB408_886
.LBB408_884:
	s_mov_b32 s15, -1
                                        ; implicit-def: $vgpr5
	s_branch .LBB408_889
.LBB408_885:
	s_mov_b32 s15, -1
                                        ; implicit-def: $vgpr5
.LBB408_886:
	s_delay_alu instid0(SALU_CYCLE_1)
	s_and_not1_b32 vcc_lo, exec_lo, s15
	s_cbranch_vccnz .LBB408_888
; %bb.887:
	global_load_b32 v3, v[0:1], off
	s_waitcnt vmcnt(0)
	v_cvt_f16_f32_e32 v5, v3
.LBB408_888:
	s_mov_b32 s15, 0
.LBB408_889:
	s_delay_alu instid0(SALU_CYCLE_1)
	s_and_not1_b32 vcc_lo, exec_lo, s15
	s_cbranch_vccnz .LBB408_891
; %bb.890:
	global_load_u16 v5, v[0:1], off
.LBB408_891:
	s_cbranch_execnz .LBB408_910
.LBB408_892:
	v_cmp_lt_i16_e64 s15, s9, 2
	s_delay_alu instid0(VALU_DEP_1)
	s_and_b32 vcc_lo, exec_lo, s15
	s_cbranch_vccnz .LBB408_896
; %bb.893:
	v_cmp_lt_i16_e64 s15, s9, 3
	s_delay_alu instid0(VALU_DEP_1)
	s_and_b32 vcc_lo, exec_lo, s15
	s_cbranch_vccnz .LBB408_897
; %bb.894:
	v_cmp_gt_i16_e64 s15, s9, 3
	s_delay_alu instid0(VALU_DEP_1)
	s_and_b32 vcc_lo, exec_lo, s15
	s_cbranch_vccz .LBB408_898
; %bb.895:
	global_load_b64 v[3:4], v[0:1], off
	s_mov_b32 s15, 0
	s_waitcnt vmcnt(0)
	v_xor_b32_e32 v5, v3, v4
	v_cls_i32_e32 v6, v4
	s_delay_alu instid0(VALU_DEP_2) | instskip(NEXT) | instid1(VALU_DEP_2)
	v_ashrrev_i32_e32 v5, 31, v5
	v_add_nc_u32_e32 v6, -1, v6
	s_delay_alu instid0(VALU_DEP_2) | instskip(NEXT) | instid1(VALU_DEP_1)
	v_add_nc_u32_e32 v5, 32, v5
	v_min_u32_e32 v5, v6, v5
	s_delay_alu instid0(VALU_DEP_1) | instskip(NEXT) | instid1(VALU_DEP_1)
	v_lshlrev_b64 v[3:4], v5, v[3:4]
	v_min_u32_e32 v3, 1, v3
	s_delay_alu instid0(VALU_DEP_1) | instskip(SKIP_1) | instid1(VALU_DEP_2)
	v_or_b32_e32 v3, v4, v3
	v_sub_nc_u32_e32 v4, 32, v5
	v_cvt_f32_i32_e32 v3, v3
	s_delay_alu instid0(VALU_DEP_1) | instskip(NEXT) | instid1(VALU_DEP_1)
	v_ldexp_f32 v3, v3, v4
	v_cvt_f16_f32_e32 v5, v3
	s_branch .LBB408_899
.LBB408_896:
                                        ; implicit-def: $vgpr5
	s_branch .LBB408_905
.LBB408_897:
	s_mov_b32 s15, -1
                                        ; implicit-def: $vgpr5
	s_branch .LBB408_902
.LBB408_898:
	s_mov_b32 s15, -1
                                        ; implicit-def: $vgpr5
.LBB408_899:
	s_delay_alu instid0(SALU_CYCLE_1)
	s_and_not1_b32 vcc_lo, exec_lo, s15
	s_cbranch_vccnz .LBB408_901
; %bb.900:
	global_load_b32 v3, v[0:1], off
	s_waitcnt vmcnt(0)
	v_cvt_f32_i32_e32 v3, v3
	s_delay_alu instid0(VALU_DEP_1)
	v_cvt_f16_f32_e32 v5, v3
.LBB408_901:
	s_mov_b32 s15, 0
.LBB408_902:
	s_delay_alu instid0(SALU_CYCLE_1)
	s_and_not1_b32 vcc_lo, exec_lo, s15
	s_cbranch_vccnz .LBB408_904
; %bb.903:
	global_load_u16 v3, v[0:1], off
	s_waitcnt vmcnt(0)
	v_cvt_f16_i16_e32 v5, v3
.LBB408_904:
	s_cbranch_execnz .LBB408_910
.LBB408_905:
	v_cmp_gt_i16_e64 s15, s9, 0
	s_delay_alu instid0(VALU_DEP_1)
	s_and_b32 vcc_lo, exec_lo, s15
	s_mov_b32 s15, 0
	s_cbranch_vccz .LBB408_907
; %bb.906:
	global_load_i8 v3, v[0:1], off
	s_waitcnt vmcnt(0)
	v_cvt_f16_i16_e32 v5, v3
	s_branch .LBB408_908
.LBB408_907:
	s_mov_b32 s15, -1
                                        ; implicit-def: $vgpr5
.LBB408_908:
	s_delay_alu instid0(SALU_CYCLE_1)
	s_and_not1_b32 vcc_lo, exec_lo, s15
	s_cbranch_vccnz .LBB408_910
; %bb.909:
	global_load_u8 v0, v[0:1], off
	s_waitcnt vmcnt(0)
	v_cvt_f16_u16_e32 v5, v0
.LBB408_910:
	s_or_b32 s0, s0, exec_lo
.LBB408_911:
	s_or_b32 exec_lo, exec_lo, s14
	s_mov_b32 s16, 0
	s_mov_b32 s15, 0
                                        ; implicit-def: $vgpr4
                                        ; implicit-def: $vgpr0_vgpr1
                                        ; implicit-def: $vgpr3
	s_and_saveexec_b32 s14, s0
	s_cbranch_execz .LBB408_991
; %bb.912:
	v_mul_lo_u32 v0, v2, s2
	s_waitcnt vmcnt(0)
	v_cmp_u_f16_e32 vcc_lo, v5, v5
	v_cmp_lt_f16_e64 s0, s8, v5
	v_and_b32_e64 v4, 0xff, s1
	s_delay_alu instid0(VALU_DEP_2) | instskip(NEXT) | instid1(VALU_DEP_4)
	s_or_b32 vcc_lo, vcc_lo, s0
	v_ashrrev_i32_e32 v1, 31, v0
	v_cndmask_b32_e32 v3, s8, v5, vcc_lo
	s_delay_alu instid0(VALU_DEP_3) | instskip(SKIP_1) | instid1(VALU_DEP_1)
	v_cmp_gt_i16_e32 vcc_lo, 11, v4
	v_add_co_u32 v0, s0, s4, v0
	v_add_co_ci_u32_e64 v1, s0, s5, v1, s0
	s_cbranch_vccnz .LBB408_919
; %bb.913:
	v_cmp_lt_i16_e32 vcc_lo, 25, v4
	s_mov_b32 s15, -1
	s_mov_b32 s0, s12
	s_cbranch_vccz .LBB408_949
; %bb.914:
	v_cmp_lt_i16_e32 vcc_lo, 28, v4
	s_mov_b32 s0, s12
	s_cbranch_vccz .LBB408_933
; %bb.915:
	v_cmp_lt_i16_e32 vcc_lo, 43, v4
	;; [unrolled: 4-line block ×3, first 2 shown]
	s_mov_b32 s0, s12
	s_cbranch_vccz .LBB408_923
; %bb.917:
	v_cmp_eq_u16_e32 vcc_lo, 46, v4
	s_mov_b32 s0, -1
	s_cbranch_vccz .LBB408_922
; %bb.918:
	v_cvt_f32_f16_e32 v2, v3
	v_cmp_o_f16_e32 vcc_lo, v3, v3
	s_mov_b32 s0, 0
	s_mov_b32 s15, 0
	s_delay_alu instid0(VALU_DEP_2) | instskip(NEXT) | instid1(VALU_DEP_1)
	v_bfe_u32 v5, v2, 16, 1
	v_add3_u32 v2, v2, v5, 0x7fff
	s_delay_alu instid0(VALU_DEP_1) | instskip(NEXT) | instid1(VALU_DEP_1)
	v_lshrrev_b32_e32 v2, 16, v2
	v_cndmask_b32_e32 v2, 0x7fc0, v2, vcc_lo
	global_store_b32 v[0:1], v2, off
	s_branch .LBB408_923
.LBB408_919:
	s_mov_b32 s15, -1
	s_mov_b32 s0, s12
	s_branch .LBB408_990
.LBB408_920:
	s_trap 2
	s_sendmsg_rtn_b32 s0, sendmsg(MSG_RTN_GET_DOORBELL)
	s_mov_b32 ttmp2, m0
	s_waitcnt lgkmcnt(0)
	s_and_b32 s0, s0, 0x3ff
	s_delay_alu instid0(SALU_CYCLE_1) | instskip(NEXT) | instid1(SALU_CYCLE_1)
	s_bitset1_b32 s0, 10
	s_mov_b32 m0, s0
	s_sendmsg sendmsg(MSG_INTERRUPT)
	s_mov_b32 m0, ttmp2
.LBB408_921:                            ; =>This Inner Loop Header: Depth=1
	s_sethalt 5
	s_branch .LBB408_921
.LBB408_922:
	s_mov_b32 s15, 0
.LBB408_923:
	s_delay_alu instid0(SALU_CYCLE_1)
	s_and_b32 vcc_lo, exec_lo, s15
	s_cbranch_vccz .LBB408_928
; %bb.924:
	v_cmp_eq_u16_e32 vcc_lo, 44, v4
	s_mov_b32 s0, -1
	s_cbranch_vccz .LBB408_928
; %bb.925:
	v_cvt_f32_f16_e32 v2, v3
	v_mov_b32_e32 v5, 0xff
	s_mov_b32 s15, exec_lo
	s_delay_alu instid0(VALU_DEP_2) | instskip(NEXT) | instid1(VALU_DEP_1)
	v_bfe_u32 v6, v2, 23, 8
	v_cmpx_ne_u32_e32 0xff, v6
; %bb.926:
	v_and_b32_e32 v5, 0x400000, v2
	v_and_or_b32 v6, 0x3fffff, v2, v6
	v_lshrrev_b32_e32 v2, 23, v2
	s_delay_alu instid0(VALU_DEP_3) | instskip(NEXT) | instid1(VALU_DEP_3)
	v_cmp_ne_u32_e32 vcc_lo, 0, v5
	v_cmp_ne_u32_e64 s0, 0, v6
	s_delay_alu instid0(VALU_DEP_1) | instskip(NEXT) | instid1(SALU_CYCLE_1)
	s_and_b32 s0, vcc_lo, s0
	v_cndmask_b32_e64 v5, 0, 1, s0
	s_delay_alu instid0(VALU_DEP_1)
	v_add_nc_u32_e32 v5, v2, v5
; %bb.927:
	s_or_b32 exec_lo, exec_lo, s15
	s_mov_b32 s0, 0
	global_store_b8 v[0:1], v5, off
.LBB408_928:
	s_mov_b32 s15, 0
.LBB408_929:
	s_delay_alu instid0(SALU_CYCLE_1)
	s_and_b32 vcc_lo, exec_lo, s15
	s_cbranch_vccz .LBB408_932
; %bb.930:
	v_cmp_eq_u16_e32 vcc_lo, 29, v4
	s_mov_b32 s0, -1
	s_cbranch_vccz .LBB408_932
; %bb.931:
	v_cvt_f32_f16_e32 v2, v3
	v_mov_b32_e32 v6, 0
	s_mov_b32 s0, 0
	s_mov_b32 s15, 0
	s_delay_alu instid0(VALU_DEP_2)
	v_cvt_u32_f32_e32 v5, v2
	global_store_b64 v[0:1], v[5:6], off
	s_branch .LBB408_933
.LBB408_932:
	s_mov_b32 s15, 0
.LBB408_933:
	s_delay_alu instid0(SALU_CYCLE_1)
	s_and_b32 vcc_lo, exec_lo, s15
	s_cbranch_vccz .LBB408_948
; %bb.934:
	v_cmp_gt_i16_e32 vcc_lo, 27, v4
	s_mov_b32 s15, -1
	s_cbranch_vccnz .LBB408_940
; %bb.935:
	v_cmp_lt_i16_e32 vcc_lo, 27, v4
	s_cbranch_vccz .LBB408_937
; %bb.936:
	v_cvt_f32_f16_e32 v2, v3
	s_mov_b32 s15, 0
	s_delay_alu instid0(VALU_DEP_1)
	v_cvt_u32_f32_e32 v2, v2
	global_store_b32 v[0:1], v2, off
.LBB408_937:
	s_and_not1_b32 vcc_lo, exec_lo, s15
	s_cbranch_vccnz .LBB408_939
; %bb.938:
	v_cvt_u16_f16_e32 v2, v3
	global_store_b16 v[0:1], v2, off
.LBB408_939:
	s_mov_b32 s15, 0
.LBB408_940:
	s_delay_alu instid0(SALU_CYCLE_1)
	s_and_not1_b32 vcc_lo, exec_lo, s15
	s_cbranch_vccnz .LBB408_948
; %bb.941:
	v_cvt_f32_f16_e32 v2, v3
	v_mov_b32_e32 v6, 0x80
	s_mov_b32 s15, exec_lo
	s_delay_alu instid0(VALU_DEP_2) | instskip(NEXT) | instid1(VALU_DEP_1)
	v_and_b32_e32 v5, 0x7fffffff, v2
	v_cmpx_gt_u32_e32 0x43800000, v5
	s_cbranch_execz .LBB408_947
; %bb.942:
	v_cmp_lt_u32_e32 vcc_lo, 0x3bffffff, v5
                                        ; implicit-def: $vgpr5
	s_and_saveexec_b32 s17, vcc_lo
	s_delay_alu instid0(SALU_CYCLE_1)
	s_xor_b32 s17, exec_lo, s17
	s_cbranch_execz .LBB408_1182
; %bb.943:
	v_bfe_u32 v5, v2, 20, 1
	s_mov_b32 s16, exec_lo
	s_delay_alu instid0(VALU_DEP_1) | instskip(NEXT) | instid1(VALU_DEP_1)
	v_add3_u32 v5, v2, v5, 0x487ffff
	v_lshrrev_b32_e32 v5, 20, v5
	s_or_saveexec_b32 s17, s17
                                        ; implicit-def: $sgpr18
	s_delay_alu instid0(SALU_CYCLE_1)
	s_xor_b32 exec_lo, exec_lo, s17
	s_cbranch_execnz .LBB408_1183
.LBB408_944:
	s_or_b32 exec_lo, exec_lo, s17
	v_mov_b32_e32 v6, s18
	s_and_saveexec_b32 s17, s16
.LBB408_945:
	v_lshrrev_b32_e32 v2, 24, v2
	s_delay_alu instid0(VALU_DEP_1)
	v_and_or_b32 v6, 0x80, v2, v5
.LBB408_946:
	s_or_b32 exec_lo, exec_lo, s17
.LBB408_947:
	s_delay_alu instid0(SALU_CYCLE_1)
	s_or_b32 exec_lo, exec_lo, s15
	global_store_b8 v[0:1], v6, off
.LBB408_948:
	s_mov_b32 s15, 0
.LBB408_949:
	s_delay_alu instid0(SALU_CYCLE_1)
	s_and_b32 vcc_lo, exec_lo, s15
	s_mov_b32 s15, 0
	s_cbranch_vccz .LBB408_989
; %bb.950:
	v_cmp_lt_i16_e32 vcc_lo, 22, v4
	s_mov_b32 s16, -1
	s_cbranch_vccz .LBB408_982
; %bb.951:
	v_cmp_gt_i16_e32 vcc_lo, 24, v4
	s_cbranch_vccnz .LBB408_971
; %bb.952:
	v_cmp_lt_i16_e32 vcc_lo, 24, v4
	s_cbranch_vccz .LBB408_960
; %bb.953:
	v_cvt_f32_f16_e32 v2, v3
	v_mov_b32_e32 v6, 0x80
	s_mov_b32 s16, exec_lo
	s_delay_alu instid0(VALU_DEP_2) | instskip(NEXT) | instid1(VALU_DEP_1)
	v_and_b32_e32 v5, 0x7fffffff, v2
	v_cmpx_gt_u32_e32 0x47800000, v5
	s_cbranch_execz .LBB408_959
; %bb.954:
	v_cmp_lt_u32_e32 vcc_lo, 0x37ffffff, v5
	s_mov_b32 s17, 0
                                        ; implicit-def: $vgpr5
	s_and_saveexec_b32 s18, vcc_lo
	s_delay_alu instid0(SALU_CYCLE_1)
	s_xor_b32 s18, exec_lo, s18
	s_cbranch_execz .LBB408_1226
; %bb.955:
	v_bfe_u32 v5, v2, 21, 1
	s_mov_b32 s17, exec_lo
	s_delay_alu instid0(VALU_DEP_1) | instskip(NEXT) | instid1(VALU_DEP_1)
	v_add3_u32 v5, v2, v5, 0x88fffff
	v_lshrrev_b32_e32 v5, 21, v5
	s_or_saveexec_b32 s18, s18
                                        ; implicit-def: $sgpr19
	s_delay_alu instid0(SALU_CYCLE_1)
	s_xor_b32 exec_lo, exec_lo, s18
	s_cbranch_execnz .LBB408_1227
.LBB408_956:
	s_or_b32 exec_lo, exec_lo, s18
	v_mov_b32_e32 v6, s19
	s_and_saveexec_b32 s18, s17
.LBB408_957:
	v_lshrrev_b32_e32 v2, 24, v2
	s_delay_alu instid0(VALU_DEP_1)
	v_and_or_b32 v6, 0x80, v2, v5
.LBB408_958:
	s_or_b32 exec_lo, exec_lo, s18
.LBB408_959:
	s_delay_alu instid0(SALU_CYCLE_1)
	s_or_b32 exec_lo, exec_lo, s16
	s_mov_b32 s16, 0
	global_store_b8 v[0:1], v6, off
.LBB408_960:
	s_and_b32 vcc_lo, exec_lo, s16
	s_cbranch_vccz .LBB408_970
; %bb.961:
	v_cvt_f32_f16_e32 v2, v3
	s_mov_b32 s16, exec_lo
                                        ; implicit-def: $vgpr5
	s_delay_alu instid0(VALU_DEP_1) | instskip(NEXT) | instid1(VALU_DEP_1)
	v_and_b32_e32 v6, 0x7fffffff, v2
	v_cmpx_gt_u32_e32 0x43f00000, v6
	s_xor_b32 s16, exec_lo, s16
	s_cbranch_execz .LBB408_967
; %bb.962:
	s_mov_b32 s17, exec_lo
                                        ; implicit-def: $vgpr5
	v_cmpx_lt_u32_e32 0x3c7fffff, v6
	s_xor_b32 s17, exec_lo, s17
; %bb.963:
	v_bfe_u32 v5, v2, 20, 1
	s_delay_alu instid0(VALU_DEP_1) | instskip(NEXT) | instid1(VALU_DEP_1)
	v_add3_u32 v5, v2, v5, 0x407ffff
	v_and_b32_e32 v6, 0xff00000, v5
	v_lshrrev_b32_e32 v5, 20, v5
	s_delay_alu instid0(VALU_DEP_2) | instskip(NEXT) | instid1(VALU_DEP_2)
	v_cmp_ne_u32_e32 vcc_lo, 0x7f00000, v6
	v_cndmask_b32_e32 v5, 0x7e, v5, vcc_lo
; %bb.964:
	s_and_not1_saveexec_b32 s17, s17
; %bb.965:
	v_add_f32_e64 v5, 0x46800000, |v2|
; %bb.966:
	s_or_b32 exec_lo, exec_lo, s17
                                        ; implicit-def: $vgpr6
.LBB408_967:
	s_and_not1_saveexec_b32 s16, s16
; %bb.968:
	v_mov_b32_e32 v5, 0x7f
	v_cmp_lt_u32_e32 vcc_lo, 0x7f800000, v6
	s_delay_alu instid0(VALU_DEP_2)
	v_cndmask_b32_e32 v5, 0x7e, v5, vcc_lo
; %bb.969:
	s_or_b32 exec_lo, exec_lo, s16
	v_lshrrev_b32_e32 v2, 24, v2
	s_delay_alu instid0(VALU_DEP_1)
	v_and_or_b32 v2, 0x80, v2, v5
	global_store_b8 v[0:1], v2, off
.LBB408_970:
	s_mov_b32 s16, 0
.LBB408_971:
	s_delay_alu instid0(SALU_CYCLE_1)
	s_and_not1_b32 vcc_lo, exec_lo, s16
	s_cbranch_vccnz .LBB408_981
; %bb.972:
	v_cvt_f32_f16_e32 v2, v3
	s_mov_b32 s16, exec_lo
                                        ; implicit-def: $vgpr5
	s_delay_alu instid0(VALU_DEP_1) | instskip(NEXT) | instid1(VALU_DEP_1)
	v_and_b32_e32 v6, 0x7fffffff, v2
	v_cmpx_gt_u32_e32 0x47800000, v6
	s_xor_b32 s16, exec_lo, s16
	s_cbranch_execz .LBB408_978
; %bb.973:
	s_mov_b32 s17, exec_lo
                                        ; implicit-def: $vgpr5
	v_cmpx_lt_u32_e32 0x387fffff, v6
	s_xor_b32 s17, exec_lo, s17
; %bb.974:
	v_bfe_u32 v5, v2, 21, 1
	s_delay_alu instid0(VALU_DEP_1) | instskip(NEXT) | instid1(VALU_DEP_1)
	v_add3_u32 v5, v2, v5, 0x80fffff
	v_lshrrev_b32_e32 v5, 21, v5
; %bb.975:
	s_and_not1_saveexec_b32 s17, s17
; %bb.976:
	v_add_f32_e64 v5, 0x43000000, |v2|
; %bb.977:
	s_or_b32 exec_lo, exec_lo, s17
                                        ; implicit-def: $vgpr6
.LBB408_978:
	s_and_not1_saveexec_b32 s16, s16
; %bb.979:
	v_mov_b32_e32 v5, 0x7f
	v_cmp_lt_u32_e32 vcc_lo, 0x7f800000, v6
	s_delay_alu instid0(VALU_DEP_2)
	v_cndmask_b32_e32 v5, 0x7c, v5, vcc_lo
; %bb.980:
	s_or_b32 exec_lo, exec_lo, s16
	v_lshrrev_b32_e32 v2, 24, v2
	s_delay_alu instid0(VALU_DEP_1)
	v_and_or_b32 v2, 0x80, v2, v5
	global_store_b8 v[0:1], v2, off
.LBB408_981:
	s_mov_b32 s16, 0
.LBB408_982:
	s_delay_alu instid0(SALU_CYCLE_1)
	s_and_not1_b32 vcc_lo, exec_lo, s16
	s_mov_b32 s16, 0
	s_cbranch_vccnz .LBB408_990
; %bb.983:
	v_cmp_lt_i16_e32 vcc_lo, 14, v4
	s_mov_b32 s16, -1
	s_cbranch_vccz .LBB408_987
; %bb.984:
	v_cmp_eq_u16_e32 vcc_lo, 15, v4
	s_mov_b32 s0, -1
	s_cbranch_vccz .LBB408_986
; %bb.985:
	v_cvt_f32_f16_e32 v2, v3
	v_cmp_o_f16_e32 vcc_lo, v3, v3
	s_mov_b32 s0, 0
	s_delay_alu instid0(VALU_DEP_2) | instskip(NEXT) | instid1(VALU_DEP_1)
	v_bfe_u32 v5, v2, 16, 1
	v_add3_u32 v2, v2, v5, 0x7fff
	s_delay_alu instid0(VALU_DEP_1) | instskip(NEXT) | instid1(VALU_DEP_1)
	v_lshrrev_b32_e32 v2, 16, v2
	v_cndmask_b32_e32 v2, 0x7fc0, v2, vcc_lo
	global_store_b16 v[0:1], v2, off
.LBB408_986:
	s_mov_b32 s16, 0
.LBB408_987:
	s_delay_alu instid0(SALU_CYCLE_1)
	s_and_b32 vcc_lo, exec_lo, s16
	s_mov_b32 s16, 0
	s_cbranch_vccz .LBB408_990
; %bb.988:
	v_cmp_ne_u16_e32 vcc_lo, 11, v4
	s_and_not1_b32 s0, s0, exec_lo
	s_mov_b32 s16, -1
	s_and_b32 s17, vcc_lo, exec_lo
	s_delay_alu instid0(SALU_CYCLE_1)
	s_or_b32 s0, s0, s17
	s_branch .LBB408_990
.LBB408_989:
	s_mov_b32 s16, 0
.LBB408_990:
	s_and_not1_b32 s12, s12, exec_lo
	s_and_b32 s0, s0, exec_lo
	s_and_b32 s15, s15, exec_lo
	;; [unrolled: 1-line block ×3, first 2 shown]
	s_or_b32 s12, s12, s0
.LBB408_991:
	s_or_b32 exec_lo, exec_lo, s14
	s_and_saveexec_b32 s0, s12
	s_cbranch_execnz .LBB408_1053
; %bb.992:
	s_or_b32 exec_lo, exec_lo, s0
	s_and_saveexec_b32 s0, s16
	s_delay_alu instid0(SALU_CYCLE_1)
	s_xor_b32 s0, exec_lo, s0
	s_cbranch_execz .LBB408_994
.LBB408_993:
	s_waitcnt vmcnt(0)
	v_and_b32_e32 v2, 0x7fff, v3
	s_delay_alu instid0(VALU_DEP_1)
	v_cmp_ne_u16_e32 vcc_lo, 0, v2
	v_cndmask_b32_e64 v2, 0, 1, vcc_lo
	global_store_b8 v[0:1], v2, off
.LBB408_994:
	s_or_b32 exec_lo, exec_lo, s0
	s_and_saveexec_b32 s0, s15
	s_delay_alu instid0(SALU_CYCLE_1)
	s_xor_b32 s0, exec_lo, s0
	s_cbranch_execz .LBB408_1032
; %bb.995:
	v_cmp_gt_i16_e32 vcc_lo, 5, v4
	s_mov_b32 s12, -1
	s_cbranch_vccnz .LBB408_1016
; %bb.996:
	v_cmp_gt_i16_e32 vcc_lo, 8, v4
	s_cbranch_vccnz .LBB408_1006
; %bb.997:
	v_cmp_gt_i16_e32 vcc_lo, 9, v4
	s_cbranch_vccnz .LBB408_1003
; %bb.998:
	v_cmp_lt_i16_e32 vcc_lo, 9, v4
	s_cbranch_vccz .LBB408_1000
; %bb.999:
	s_waitcnt vmcnt(0)
	v_cvt_f32_f16_e32 v2, v3
	v_mov_b32_e32 v7, 0
	s_mov_b32 s12, 0
	s_delay_alu instid0(VALU_DEP_2) | instskip(NEXT) | instid1(VALU_DEP_2)
	v_cvt_f64_f32_e32 v[5:6], v2
	v_mov_b32_e32 v8, v7
	global_store_b128 v[0:1], v[5:8], off
.LBB408_1000:
	s_and_not1_b32 vcc_lo, exec_lo, s12
	s_cbranch_vccnz .LBB408_1002
; %bb.1001:
	s_waitcnt vmcnt(0)
	v_cvt_f32_f16_e32 v5, v3
	v_mov_b32_e32 v6, 0
	global_store_b64 v[0:1], v[5:6], off
.LBB408_1002:
	s_mov_b32 s12, 0
.LBB408_1003:
	s_delay_alu instid0(SALU_CYCLE_1)
	s_and_not1_b32 vcc_lo, exec_lo, s12
	s_cbranch_vccnz .LBB408_1005
; %bb.1004:
	s_waitcnt vmcnt(0)
	v_and_b32_e32 v2, 0xffff, v3
	global_store_b32 v[0:1], v2, off
.LBB408_1005:
	s_mov_b32 s12, 0
.LBB408_1006:
	s_delay_alu instid0(SALU_CYCLE_1)
	s_and_not1_b32 vcc_lo, exec_lo, s12
	s_cbranch_vccnz .LBB408_1015
; %bb.1007:
	v_cmp_gt_i16_e32 vcc_lo, 6, v4
	s_mov_b32 s12, -1
	s_cbranch_vccnz .LBB408_1013
; %bb.1008:
	v_cmp_lt_i16_e32 vcc_lo, 6, v4
	s_cbranch_vccz .LBB408_1010
; %bb.1009:
	s_waitcnt vmcnt(0)
	v_cvt_f32_f16_e32 v2, v3
	s_mov_b32 s12, 0
	s_delay_alu instid0(VALU_DEP_1)
	v_cvt_f64_f32_e32 v[5:6], v2
	global_store_b64 v[0:1], v[5:6], off
.LBB408_1010:
	s_and_not1_b32 vcc_lo, exec_lo, s12
	s_cbranch_vccnz .LBB408_1012
; %bb.1011:
	s_waitcnt vmcnt(0)
	v_cvt_f32_f16_e32 v2, v3
	global_store_b32 v[0:1], v2, off
.LBB408_1012:
	s_mov_b32 s12, 0
.LBB408_1013:
	s_delay_alu instid0(SALU_CYCLE_1)
	s_and_not1_b32 vcc_lo, exec_lo, s12
	s_cbranch_vccnz .LBB408_1015
; %bb.1014:
	s_waitcnt vmcnt(0)
	global_store_b16 v[0:1], v3, off
.LBB408_1015:
	s_mov_b32 s12, 0
.LBB408_1016:
	s_delay_alu instid0(SALU_CYCLE_1)
	s_and_not1_b32 vcc_lo, exec_lo, s12
	s_cbranch_vccnz .LBB408_1032
; %bb.1017:
	v_cmp_gt_i16_e32 vcc_lo, 2, v4
	s_mov_b32 s12, -1
	s_cbranch_vccnz .LBB408_1027
; %bb.1018:
	v_cmp_gt_i16_e32 vcc_lo, 3, v4
	s_cbranch_vccnz .LBB408_1024
; %bb.1019:
	v_cmp_lt_i16_e32 vcc_lo, 3, v4
	s_cbranch_vccz .LBB408_1021
; %bb.1020:
	s_waitcnt vmcnt(0)
	v_cvt_f32_f16_e32 v2, v3
	s_mov_b32 s12, 0
	s_delay_alu instid0(VALU_DEP_1) | instskip(NEXT) | instid1(VALU_DEP_1)
	v_cvt_i32_f32_e32 v5, v2
	v_ashrrev_i32_e32 v6, 31, v5
	global_store_b64 v[0:1], v[5:6], off
.LBB408_1021:
	s_and_not1_b32 vcc_lo, exec_lo, s12
	s_cbranch_vccnz .LBB408_1023
; %bb.1022:
	s_waitcnt vmcnt(0)
	v_cvt_f32_f16_e32 v2, v3
	s_delay_alu instid0(VALU_DEP_1)
	v_cvt_i32_f32_e32 v2, v2
	global_store_b32 v[0:1], v2, off
.LBB408_1023:
	s_mov_b32 s12, 0
.LBB408_1024:
	s_delay_alu instid0(SALU_CYCLE_1)
	s_and_not1_b32 vcc_lo, exec_lo, s12
	s_cbranch_vccnz .LBB408_1026
; %bb.1025:
	s_waitcnt vmcnt(0)
	v_cvt_i16_f16_e32 v2, v3
	global_store_b16 v[0:1], v2, off
.LBB408_1026:
	s_mov_b32 s12, 0
.LBB408_1027:
	s_delay_alu instid0(SALU_CYCLE_1)
	s_and_not1_b32 vcc_lo, exec_lo, s12
	s_cbranch_vccnz .LBB408_1032
; %bb.1028:
	v_cmp_lt_i16_e32 vcc_lo, 0, v4
	s_mov_b32 s12, -1
	s_cbranch_vccz .LBB408_1030
; %bb.1029:
	s_waitcnt vmcnt(0)
	v_cvt_i16_f16_e32 v2, v3
	s_mov_b32 s12, 0
	global_store_b8 v[0:1], v2, off
.LBB408_1030:
	s_and_not1_b32 vcc_lo, exec_lo, s12
	s_cbranch_vccnz .LBB408_1032
; %bb.1031:
	s_waitcnt vmcnt(0)
	v_cvt_f32_f16_e32 v2, v3
	s_delay_alu instid0(VALU_DEP_1)
	v_cvt_i32_f32_e32 v2, v2
	global_store_b8 v[0:1], v2, off
.LBB408_1032:
	s_or_b32 exec_lo, exec_lo, s0
	s_delay_alu instid0(SALU_CYCLE_1)
	s_and_b32 s12, s13, exec_lo
                                        ; implicit-def: $vgpr2
.LBB408_1033:
	s_or_saveexec_b32 s11, s11
	s_mov_b32 s0, 0
                                        ; implicit-def: $vgpr3
                                        ; implicit-def: $vgpr0_vgpr1
                                        ; implicit-def: $vgpr4
	s_xor_b32 exec_lo, exec_lo, s11
	s_cbranch_execz .LBB408_1998
; %bb.1034:
	s_waitcnt vmcnt(0)
	v_mul_lo_u32 v3, s3, v2
	v_cmp_lt_i16_e64 s0, s9, 11
	s_delay_alu instid0(VALU_DEP_2) | instskip(SKIP_1) | instid1(VALU_DEP_2)
	v_ashrrev_i32_e32 v1, 31, v3
	v_add_co_u32 v0, vcc_lo, s6, v3
	v_add_co_ci_u32_e32 v1, vcc_lo, s7, v1, vcc_lo
	s_delay_alu instid0(VALU_DEP_4)
	s_and_b32 vcc_lo, exec_lo, s0
	s_cbranch_vccnz .LBB408_1041
; %bb.1035:
	v_cmp_gt_i16_e64 s0, s9, 25
	s_mov_b32 s13, 0
	s_delay_alu instid0(VALU_DEP_1)
	s_and_b32 vcc_lo, exec_lo, s0
	s_cbranch_vccz .LBB408_1047
; %bb.1036:
	v_cmp_gt_i16_e64 s0, s9, 28
	s_delay_alu instid0(VALU_DEP_1)
	s_and_b32 vcc_lo, exec_lo, s0
	s_cbranch_vccz .LBB408_1049
; %bb.1037:
	v_cmp_gt_i16_e64 s0, s9, 43
	;; [unrolled: 5-line block ×3, first 2 shown]
	s_delay_alu instid0(VALU_DEP_1)
	s_and_b32 vcc_lo, exec_lo, s0
	s_cbranch_vccz .LBB408_1055
; %bb.1039:
	v_cmp_eq_u16_e64 s0, s9, 46
	s_delay_alu instid0(VALU_DEP_1)
	s_and_b32 vcc_lo, exec_lo, s0
	s_cbranch_vccz .LBB408_1095
; %bb.1040:
	global_load_b32 v4, v[0:1], off
	s_mov_b32 s0, 0
	s_mov_b32 s14, -1
	s_waitcnt vmcnt(0)
	v_lshlrev_b32_e32 v4, 16, v4
	s_delay_alu instid0(VALU_DEP_1)
	v_cvt_f16_f32_e32 v4, v4
	s_branch .LBB408_1097
.LBB408_1041:
	s_mov_b32 s14, 0
	s_mov_b32 s10, s12
                                        ; implicit-def: $vgpr4
	s_cbranch_execz .LBB408_1160
; %bb.1042:
	v_cmp_lt_i16_e64 s0, s9, 5
	s_delay_alu instid0(VALU_DEP_1)
	s_and_b32 vcc_lo, exec_lo, s0
	s_cbranch_vccnz .LBB408_1048
; %bb.1043:
	v_cmp_lt_i16_e64 s0, s9, 8
	s_delay_alu instid0(VALU_DEP_1)
	s_and_b32 vcc_lo, exec_lo, s0
	s_cbranch_vccnz .LBB408_1050
; %bb.1044:
	v_cmp_lt_i16_e64 s0, s9, 9
	s_delay_alu instid0(VALU_DEP_1)
	s_and_b32 vcc_lo, exec_lo, s0
	s_cbranch_vccnz .LBB408_1052
; %bb.1045:
	v_cmp_gt_i16_e64 s0, s9, 9
	s_delay_alu instid0(VALU_DEP_1)
	s_and_b32 vcc_lo, exec_lo, s0
	s_cbranch_vccz .LBB408_1056
; %bb.1046:
	global_load_b64 v[4:5], v[0:1], off
	s_mov_b32 s0, 0
	s_waitcnt vmcnt(0)
	v_cvt_f32_f64_e32 v4, v[4:5]
	s_delay_alu instid0(VALU_DEP_1)
	v_cvt_f16_f32_e32 v4, v4
	s_branch .LBB408_1057
.LBB408_1047:
	s_mov_b32 s14, 0
	s_mov_b32 s0, 0
                                        ; implicit-def: $vgpr4
	s_cbranch_execnz .LBB408_1125
	s_branch .LBB408_1156
.LBB408_1048:
                                        ; implicit-def: $vgpr4
	s_branch .LBB408_1074
.LBB408_1049:
	s_mov_b32 s10, -1
	s_mov_b32 s14, 0
	s_mov_b32 s0, 0
                                        ; implicit-def: $vgpr4
	s_branch .LBB408_1106
.LBB408_1050:
                                        ; implicit-def: $vgpr4
	s_branch .LBB408_1063
.LBB408_1051:
	s_mov_b32 s14, 0
	s_mov_b32 s0, 0
                                        ; implicit-def: $vgpr4
	s_cbranch_execnz .LBB408_1102
	s_branch .LBB408_1105
.LBB408_1052:
	s_mov_b32 s0, -1
                                        ; implicit-def: $vgpr4
	s_branch .LBB408_1060
.LBB408_1053:
	s_cbranch_execnz .LBB408_1093
; %bb.1054:
	s_or_b32 s13, s13, exec_lo
	s_and_not1_b32 s16, s16, exec_lo
	s_or_b32 exec_lo, exec_lo, s0
	s_and_saveexec_b32 s0, s16
	s_delay_alu instid0(SALU_CYCLE_1)
	s_xor_b32 s0, exec_lo, s0
	s_cbranch_execnz .LBB408_993
	s_branch .LBB408_994
.LBB408_1055:
	s_mov_b32 s10, -1
	s_mov_b32 s14, 0
	s_mov_b32 s0, 0
	s_branch .LBB408_1096
.LBB408_1056:
	s_mov_b32 s0, -1
                                        ; implicit-def: $vgpr4
.LBB408_1057:
	s_delay_alu instid0(SALU_CYCLE_1)
	s_and_not1_b32 vcc_lo, exec_lo, s0
	s_cbranch_vccnz .LBB408_1059
; %bb.1058:
	global_load_b32 v4, v[0:1], off
	s_waitcnt vmcnt(0)
	v_cvt_f16_f32_e32 v4, v4
.LBB408_1059:
	s_mov_b32 s0, 0
.LBB408_1060:
	s_delay_alu instid0(SALU_CYCLE_1)
	s_and_not1_b32 vcc_lo, exec_lo, s0
	s_cbranch_vccnz .LBB408_1062
; %bb.1061:
	global_load_b32 v4, v[0:1], off
.LBB408_1062:
	s_cbranch_execnz .LBB408_1073
.LBB408_1063:
	v_cmp_lt_i16_e64 s0, s9, 6
	s_delay_alu instid0(VALU_DEP_1)
	s_and_b32 vcc_lo, exec_lo, s0
	s_cbranch_vccnz .LBB408_1066
; %bb.1064:
	v_cmp_gt_i16_e64 s0, s9, 6
	s_delay_alu instid0(VALU_DEP_1)
	s_and_b32 vcc_lo, exec_lo, s0
	s_cbranch_vccz .LBB408_1067
; %bb.1065:
	global_load_b64 v[4:5], v[0:1], off
	s_mov_b32 s0, 0
	s_waitcnt vmcnt(0)
	v_cvt_f32_f64_e32 v4, v[4:5]
	s_delay_alu instid0(VALU_DEP_1)
	v_cvt_f16_f32_e32 v4, v4
	s_branch .LBB408_1068
.LBB408_1066:
	s_mov_b32 s0, -1
                                        ; implicit-def: $vgpr4
	s_branch .LBB408_1071
.LBB408_1067:
	s_mov_b32 s0, -1
                                        ; implicit-def: $vgpr4
.LBB408_1068:
	s_delay_alu instid0(SALU_CYCLE_1)
	s_and_not1_b32 vcc_lo, exec_lo, s0
	s_cbranch_vccnz .LBB408_1070
; %bb.1069:
	global_load_b32 v4, v[0:1], off
	s_waitcnt vmcnt(0)
	v_cvt_f16_f32_e32 v4, v4
.LBB408_1070:
	s_mov_b32 s0, 0
.LBB408_1071:
	s_delay_alu instid0(SALU_CYCLE_1)
	s_and_not1_b32 vcc_lo, exec_lo, s0
	s_cbranch_vccnz .LBB408_1073
; %bb.1072:
	global_load_u16 v4, v[0:1], off
.LBB408_1073:
	s_cbranch_execnz .LBB408_1092
.LBB408_1074:
	v_cmp_lt_i16_e64 s0, s9, 2
	s_delay_alu instid0(VALU_DEP_1)
	s_and_b32 vcc_lo, exec_lo, s0
	s_cbranch_vccnz .LBB408_1078
; %bb.1075:
	v_cmp_lt_i16_e64 s0, s9, 3
	s_delay_alu instid0(VALU_DEP_1)
	s_and_b32 vcc_lo, exec_lo, s0
	s_cbranch_vccnz .LBB408_1079
; %bb.1076:
	v_cmp_gt_i16_e64 s0, s9, 3
	s_delay_alu instid0(VALU_DEP_1)
	s_and_b32 vcc_lo, exec_lo, s0
	s_cbranch_vccz .LBB408_1080
; %bb.1077:
	global_load_b64 v[4:5], v[0:1], off
	s_mov_b32 s0, 0
	s_waitcnt vmcnt(0)
	v_xor_b32_e32 v6, v4, v5
	v_cls_i32_e32 v7, v5
	s_delay_alu instid0(VALU_DEP_2) | instskip(NEXT) | instid1(VALU_DEP_2)
	v_ashrrev_i32_e32 v6, 31, v6
	v_add_nc_u32_e32 v7, -1, v7
	s_delay_alu instid0(VALU_DEP_2) | instskip(NEXT) | instid1(VALU_DEP_1)
	v_add_nc_u32_e32 v6, 32, v6
	v_min_u32_e32 v6, v7, v6
	s_delay_alu instid0(VALU_DEP_1) | instskip(NEXT) | instid1(VALU_DEP_1)
	v_lshlrev_b64 v[4:5], v6, v[4:5]
	v_min_u32_e32 v4, 1, v4
	s_delay_alu instid0(VALU_DEP_1) | instskip(SKIP_1) | instid1(VALU_DEP_2)
	v_or_b32_e32 v4, v5, v4
	v_sub_nc_u32_e32 v5, 32, v6
	v_cvt_f32_i32_e32 v4, v4
	s_delay_alu instid0(VALU_DEP_1) | instskip(NEXT) | instid1(VALU_DEP_1)
	v_ldexp_f32 v4, v4, v5
	v_cvt_f16_f32_e32 v4, v4
	s_branch .LBB408_1081
.LBB408_1078:
                                        ; implicit-def: $vgpr4
	s_branch .LBB408_1087
.LBB408_1079:
	s_mov_b32 s0, -1
                                        ; implicit-def: $vgpr4
	s_branch .LBB408_1084
.LBB408_1080:
	s_mov_b32 s0, -1
                                        ; implicit-def: $vgpr4
.LBB408_1081:
	s_delay_alu instid0(SALU_CYCLE_1)
	s_and_not1_b32 vcc_lo, exec_lo, s0
	s_cbranch_vccnz .LBB408_1083
; %bb.1082:
	global_load_b32 v4, v[0:1], off
	s_waitcnt vmcnt(0)
	v_cvt_f32_i32_e32 v4, v4
	s_delay_alu instid0(VALU_DEP_1)
	v_cvt_f16_f32_e32 v4, v4
.LBB408_1083:
	s_mov_b32 s0, 0
.LBB408_1084:
	s_delay_alu instid0(SALU_CYCLE_1)
	s_and_not1_b32 vcc_lo, exec_lo, s0
	s_cbranch_vccnz .LBB408_1086
; %bb.1085:
	global_load_u16 v4, v[0:1], off
	s_waitcnt vmcnt(0)
	v_cvt_f16_i16_e32 v4, v4
.LBB408_1086:
	s_cbranch_execnz .LBB408_1092
.LBB408_1087:
	v_cmp_gt_i16_e64 s0, s9, 0
	s_delay_alu instid0(VALU_DEP_1)
	s_and_b32 vcc_lo, exec_lo, s0
	s_mov_b32 s0, 0
	s_cbranch_vccz .LBB408_1089
; %bb.1088:
	global_load_i8 v4, v[0:1], off
	s_waitcnt vmcnt(0)
	v_cvt_f16_i16_e32 v4, v4
	s_branch .LBB408_1090
.LBB408_1089:
	s_mov_b32 s0, -1
                                        ; implicit-def: $vgpr4
.LBB408_1090:
	s_delay_alu instid0(SALU_CYCLE_1)
	s_and_not1_b32 vcc_lo, exec_lo, s0
	s_cbranch_vccnz .LBB408_1092
; %bb.1091:
	global_load_u8 v0, v[0:1], off
	s_waitcnt vmcnt(0)
	v_cvt_f16_u16_e32 v4, v0
.LBB408_1092:
	s_branch .LBB408_1161
.LBB408_1093:
	s_trap 2
	s_sendmsg_rtn_b32 s0, sendmsg(MSG_RTN_GET_DOORBELL)
	s_mov_b32 ttmp2, m0
	s_waitcnt lgkmcnt(0)
	s_and_b32 s0, s0, 0x3ff
	s_delay_alu instid0(SALU_CYCLE_1) | instskip(NEXT) | instid1(SALU_CYCLE_1)
	s_bitset1_b32 s0, 10
	s_mov_b32 m0, s0
	s_sendmsg sendmsg(MSG_INTERRUPT)
	s_mov_b32 m0, ttmp2
.LBB408_1094:                           ; =>This Inner Loop Header: Depth=1
	s_sethalt 5
	s_branch .LBB408_1094
.LBB408_1095:
	s_mov_b32 s0, -1
	s_mov_b32 s14, 0
.LBB408_1096:
                                        ; implicit-def: $vgpr4
.LBB408_1097:
	s_and_b32 vcc_lo, exec_lo, s10
	s_cbranch_vccz .LBB408_1100
; %bb.1098:
	v_cmp_eq_u16_e64 s0, s9, 44
	s_delay_alu instid0(VALU_DEP_1)
	s_and_b32 vcc_lo, exec_lo, s0
	s_cbranch_vccz .LBB408_1101
; %bb.1099:
	global_load_u8 v4, v[0:1], off
	s_mov_b32 s0, 0
	s_mov_b32 s14, -1
	s_waitcnt vmcnt(0)
	v_lshlrev_b32_e32 v5, 23, v4
	v_cmp_ne_u32_e32 vcc_lo, 0xff, v4
	s_delay_alu instid0(VALU_DEP_2) | instskip(NEXT) | instid1(VALU_DEP_1)
	v_cvt_f16_f32_e32 v5, v5
	v_cndmask_b32_e32 v5, 0x7e00, v5, vcc_lo
	v_cmp_ne_u32_e32 vcc_lo, 0, v4
	s_delay_alu instid0(VALU_DEP_2)
	v_cndmask_b32_e32 v4, 0, v5, vcc_lo
.LBB408_1100:
	s_branch .LBB408_1105
.LBB408_1101:
	s_mov_b32 s0, -1
                                        ; implicit-def: $vgpr4
	s_branch .LBB408_1105
.LBB408_1102:
	v_cmp_eq_u16_e64 s0, s9, 29
	s_delay_alu instid0(VALU_DEP_1)
	s_and_b32 vcc_lo, exec_lo, s0
	s_cbranch_vccz .LBB408_1104
; %bb.1103:
	global_load_b64 v[4:5], v[0:1], off
	s_mov_b32 s0, 0
	s_mov_b32 s14, -1
	s_mov_b32 s10, 0
	s_waitcnt vmcnt(0)
	v_clz_i32_u32_e32 v6, v5
	s_delay_alu instid0(VALU_DEP_1) | instskip(NEXT) | instid1(VALU_DEP_1)
	v_min_u32_e32 v6, 32, v6
	v_lshlrev_b64 v[4:5], v6, v[4:5]
	s_delay_alu instid0(VALU_DEP_1) | instskip(NEXT) | instid1(VALU_DEP_1)
	v_min_u32_e32 v4, 1, v4
	v_or_b32_e32 v4, v5, v4
	v_sub_nc_u32_e32 v5, 32, v6
	s_delay_alu instid0(VALU_DEP_2) | instskip(NEXT) | instid1(VALU_DEP_1)
	v_cvt_f32_u32_e32 v4, v4
	v_ldexp_f32 v4, v4, v5
	s_delay_alu instid0(VALU_DEP_1)
	v_cvt_f16_f32_e32 v4, v4
	s_branch .LBB408_1106
.LBB408_1104:
	s_mov_b32 s0, -1
                                        ; implicit-def: $vgpr4
.LBB408_1105:
	s_mov_b32 s10, 0
.LBB408_1106:
	s_delay_alu instid0(SALU_CYCLE_1)
	s_and_b32 vcc_lo, exec_lo, s10
	s_cbranch_vccz .LBB408_1124
; %bb.1107:
	v_cmp_lt_i16_e64 s10, s9, 27
	s_delay_alu instid0(VALU_DEP_1)
	s_and_b32 vcc_lo, exec_lo, s10
	s_cbranch_vccnz .LBB408_1110
; %bb.1108:
	v_cmp_gt_i16_e64 s10, s9, 27
	s_delay_alu instid0(VALU_DEP_1)
	s_and_b32 vcc_lo, exec_lo, s10
	s_cbranch_vccz .LBB408_1111
; %bb.1109:
	global_load_b32 v4, v[0:1], off
	s_mov_b32 s10, 0
	s_waitcnt vmcnt(0)
	v_cvt_f32_u32_e32 v4, v4
	s_delay_alu instid0(VALU_DEP_1)
	v_cvt_f16_f32_e32 v4, v4
	s_branch .LBB408_1112
.LBB408_1110:
	s_mov_b32 s10, -1
                                        ; implicit-def: $vgpr4
	s_branch .LBB408_1115
.LBB408_1111:
	s_mov_b32 s10, -1
                                        ; implicit-def: $vgpr4
.LBB408_1112:
	s_delay_alu instid0(SALU_CYCLE_1)
	s_and_not1_b32 vcc_lo, exec_lo, s10
	s_cbranch_vccnz .LBB408_1114
; %bb.1113:
	global_load_u16 v4, v[0:1], off
	s_waitcnt vmcnt(0)
	v_cvt_f16_u16_e32 v4, v4
.LBB408_1114:
	s_mov_b32 s10, 0
.LBB408_1115:
	s_delay_alu instid0(SALU_CYCLE_1)
	s_and_not1_b32 vcc_lo, exec_lo, s10
	s_cbranch_vccnz .LBB408_1123
; %bb.1116:
	global_load_u8 v5, v[0:1], off
	s_mov_b32 s10, 0
	s_mov_b32 s15, exec_lo
                                        ; implicit-def: $sgpr14
	s_waitcnt vmcnt(0)
	v_cmpx_lt_i16_e32 0x7f, v5
	s_xor_b32 s15, exec_lo, s15
	s_cbranch_execz .LBB408_1136
; %bb.1117:
	s_mov_b32 s10, -1
	s_mov_b32 s16, exec_lo
                                        ; implicit-def: $sgpr14
	v_cmpx_eq_u16_e32 0x80, v5
; %bb.1118:
	s_movk_i32 s14, 0x7e00
	s_xor_b32 s10, exec_lo, -1
; %bb.1119:
	s_or_b32 exec_lo, exec_lo, s16
	s_delay_alu instid0(SALU_CYCLE_1)
	s_and_b32 s10, s10, exec_lo
	s_or_saveexec_b32 s15, s15
	v_mov_b32_e32 v4, s14
	s_xor_b32 exec_lo, exec_lo, s15
	s_cbranch_execnz .LBB408_1137
.LBB408_1120:
	s_or_b32 exec_lo, exec_lo, s15
	s_and_saveexec_b32 s14, s10
	s_cbranch_execz .LBB408_1122
.LBB408_1121:
	v_and_b32_e32 v4, 0xffff, v5
	s_delay_alu instid0(VALU_DEP_1) | instskip(NEXT) | instid1(VALU_DEP_1)
	v_and_b32_e32 v6, 7, v4
	v_clz_i32_u32_e32 v7, v6
	s_delay_alu instid0(VALU_DEP_1) | instskip(NEXT) | instid1(VALU_DEP_1)
	v_min_u32_e32 v7, 32, v7
	v_subrev_nc_u32_e32 v8, 28, v7
	v_sub_nc_u32_e32 v7, 29, v7
	s_delay_alu instid0(VALU_DEP_2) | instskip(SKIP_1) | instid1(VALU_DEP_2)
	v_lshlrev_b32_e32 v8, v8, v4
	v_bfe_u32 v4, v4, 3, 4
	v_and_b32_e32 v8, 7, v8
	s_delay_alu instid0(VALU_DEP_2) | instskip(SKIP_1) | instid1(VALU_DEP_1)
	v_cmp_eq_u32_e32 vcc_lo, 0, v4
	v_dual_cndmask_b32 v4, v4, v7 :: v_dual_lshlrev_b32 v5, 24, v5
	v_dual_cndmask_b32 v6, v6, v8 :: v_dual_and_b32 v5, 0x80000000, v5
	s_delay_alu instid0(VALU_DEP_2) | instskip(NEXT) | instid1(VALU_DEP_2)
	v_lshl_add_u32 v4, v4, 23, 0x3b800000
	v_lshlrev_b32_e32 v6, 20, v6
	s_delay_alu instid0(VALU_DEP_1) | instskip(NEXT) | instid1(VALU_DEP_1)
	v_or3_b32 v4, v5, v4, v6
	v_cvt_f16_f32_e32 v4, v4
.LBB408_1122:
	s_or_b32 exec_lo, exec_lo, s14
.LBB408_1123:
	s_mov_b32 s14, -1
.LBB408_1124:
	s_branch .LBB408_1156
.LBB408_1125:
	v_cmp_gt_i16_e64 s10, s9, 22
	s_delay_alu instid0(VALU_DEP_1)
	s_and_b32 vcc_lo, exec_lo, s10
	s_cbranch_vccz .LBB408_1135
; %bb.1126:
	v_cmp_lt_i16_e64 s10, s9, 24
	s_delay_alu instid0(VALU_DEP_1)
	s_and_b32 vcc_lo, exec_lo, s10
	s_cbranch_vccnz .LBB408_1138
; %bb.1127:
	v_cmp_gt_i16_e64 s10, s9, 24
	s_delay_alu instid0(VALU_DEP_1)
	s_and_b32 vcc_lo, exec_lo, s10
	s_cbranch_vccz .LBB408_1139
; %bb.1128:
	global_load_u8 v5, v[0:1], off
	s_mov_b32 s10, 0
	s_mov_b32 s14, exec_lo
                                        ; implicit-def: $sgpr13
	s_waitcnt vmcnt(0)
	v_cmpx_lt_i16_e32 0x7f, v5
	s_xor_b32 s14, exec_lo, s14
	s_cbranch_execz .LBB408_1150
; %bb.1129:
	s_mov_b32 s10, -1
	s_mov_b32 s15, exec_lo
                                        ; implicit-def: $sgpr13
	v_cmpx_eq_u16_e32 0x80, v5
; %bb.1130:
	s_movk_i32 s13, 0x7e00
	s_xor_b32 s10, exec_lo, -1
; %bb.1131:
	s_or_b32 exec_lo, exec_lo, s15
	s_delay_alu instid0(SALU_CYCLE_1)
	s_and_b32 s10, s10, exec_lo
	s_or_saveexec_b32 s14, s14
	v_mov_b32_e32 v4, s13
	s_xor_b32 exec_lo, exec_lo, s14
	s_cbranch_execnz .LBB408_1151
.LBB408_1132:
	s_or_b32 exec_lo, exec_lo, s14
	s_and_saveexec_b32 s13, s10
	s_cbranch_execz .LBB408_1134
.LBB408_1133:
	v_and_b32_e32 v4, 0xffff, v5
	s_delay_alu instid0(VALU_DEP_1) | instskip(NEXT) | instid1(VALU_DEP_1)
	v_and_b32_e32 v6, 3, v4
	v_clz_i32_u32_e32 v7, v6
	s_delay_alu instid0(VALU_DEP_1) | instskip(NEXT) | instid1(VALU_DEP_1)
	v_min_u32_e32 v7, 32, v7
	v_subrev_nc_u32_e32 v8, 29, v7
	v_sub_nc_u32_e32 v7, 30, v7
	s_delay_alu instid0(VALU_DEP_2) | instskip(SKIP_1) | instid1(VALU_DEP_2)
	v_lshlrev_b32_e32 v8, v8, v4
	v_bfe_u32 v4, v4, 2, 5
	v_and_b32_e32 v8, 3, v8
	s_delay_alu instid0(VALU_DEP_2) | instskip(SKIP_1) | instid1(VALU_DEP_1)
	v_cmp_eq_u32_e32 vcc_lo, 0, v4
	v_dual_cndmask_b32 v4, v4, v7 :: v_dual_lshlrev_b32 v5, 24, v5
	v_dual_cndmask_b32 v6, v6, v8 :: v_dual_and_b32 v5, 0x80000000, v5
	s_delay_alu instid0(VALU_DEP_2) | instskip(NEXT) | instid1(VALU_DEP_2)
	v_lshl_add_u32 v4, v4, 23, 0x37800000
	v_lshlrev_b32_e32 v6, 21, v6
	s_delay_alu instid0(VALU_DEP_1) | instskip(NEXT) | instid1(VALU_DEP_1)
	v_or3_b32 v4, v5, v4, v6
	v_cvt_f16_f32_e32 v4, v4
.LBB408_1134:
	s_or_b32 exec_lo, exec_lo, s13
	s_mov_b32 s10, 0
	s_branch .LBB408_1140
.LBB408_1135:
                                        ; implicit-def: $vgpr4
	s_mov_b32 s13, 0
	s_branch .LBB408_1146
.LBB408_1136:
	s_or_saveexec_b32 s15, s15
	v_mov_b32_e32 v4, s14
	s_xor_b32 exec_lo, exec_lo, s15
	s_cbranch_execz .LBB408_1120
.LBB408_1137:
	v_cmp_ne_u16_e32 vcc_lo, 0, v5
	v_mov_b32_e32 v4, v5
	s_and_not1_b32 s10, s10, exec_lo
	s_and_b32 s14, vcc_lo, exec_lo
	s_delay_alu instid0(SALU_CYCLE_1)
	s_or_b32 s10, s10, s14
	s_or_b32 exec_lo, exec_lo, s15
	s_and_saveexec_b32 s14, s10
	s_cbranch_execnz .LBB408_1121
	s_branch .LBB408_1122
.LBB408_1138:
	s_mov_b32 s10, -1
                                        ; implicit-def: $vgpr4
	s_branch .LBB408_1143
.LBB408_1139:
	s_mov_b32 s10, -1
                                        ; implicit-def: $vgpr4
.LBB408_1140:
	s_delay_alu instid0(SALU_CYCLE_1)
	s_and_b32 vcc_lo, exec_lo, s10
	s_cbranch_vccz .LBB408_1142
; %bb.1141:
	global_load_u8 v4, v[0:1], off
	s_waitcnt vmcnt(0)
	v_lshlrev_b32_e32 v4, 24, v4
	s_delay_alu instid0(VALU_DEP_1) | instskip(NEXT) | instid1(VALU_DEP_1)
	v_and_b32_e32 v5, 0x7f000000, v4
	v_clz_i32_u32_e32 v6, v5
	v_add_nc_u32_e32 v8, 0x1000000, v5
	v_cmp_ne_u32_e32 vcc_lo, 0, v5
	s_delay_alu instid0(VALU_DEP_3) | instskip(NEXT) | instid1(VALU_DEP_1)
	v_min_u32_e32 v6, 32, v6
	v_sub_nc_u32_e64 v6, v6, 4 clamp
	s_delay_alu instid0(VALU_DEP_1) | instskip(SKIP_1) | instid1(VALU_DEP_2)
	v_lshlrev_b32_e32 v7, v6, v5
	v_lshlrev_b32_e32 v6, 23, v6
	v_lshrrev_b32_e32 v7, 4, v7
	s_delay_alu instid0(VALU_DEP_1) | instskip(SKIP_1) | instid1(VALU_DEP_2)
	v_sub_nc_u32_e32 v6, v7, v6
	v_ashrrev_i32_e32 v7, 8, v8
	v_add_nc_u32_e32 v6, 0x3c000000, v6
	s_delay_alu instid0(VALU_DEP_1) | instskip(NEXT) | instid1(VALU_DEP_1)
	v_and_or_b32 v6, 0x7f800000, v7, v6
	v_cndmask_b32_e32 v5, 0, v6, vcc_lo
	s_delay_alu instid0(VALU_DEP_1) | instskip(NEXT) | instid1(VALU_DEP_1)
	v_and_or_b32 v4, 0x80000000, v4, v5
	v_cvt_f16_f32_e32 v4, v4
.LBB408_1142:
	s_mov_b32 s10, 0
.LBB408_1143:
	s_delay_alu instid0(SALU_CYCLE_1)
	s_and_not1_b32 vcc_lo, exec_lo, s10
	s_cbranch_vccnz .LBB408_1145
; %bb.1144:
	global_load_u8 v4, v[0:1], off
	s_waitcnt vmcnt(0)
	v_lshlrev_b32_e32 v5, 25, v4
	v_lshlrev_b16 v4, 8, v4
	s_delay_alu instid0(VALU_DEP_2) | instskip(NEXT) | instid1(VALU_DEP_2)
	v_lshrrev_b32_e32 v6, 4, v5
	v_and_or_b32 v7, 0x7f00, v4, 0.5
	v_bfe_i32 v4, v4, 0, 16
	s_delay_alu instid0(VALU_DEP_3) | instskip(NEXT) | instid1(VALU_DEP_1)
	v_or_b32_e32 v6, 0x70000000, v6
	v_dual_add_f32 v7, -0.5, v7 :: v_dual_mul_f32 v6, 0x7800000, v6
	v_cmp_gt_u32_e32 vcc_lo, 0x8000000, v5
	s_delay_alu instid0(VALU_DEP_2) | instskip(NEXT) | instid1(VALU_DEP_1)
	v_cndmask_b32_e32 v5, v6, v7, vcc_lo
	v_and_or_b32 v4, 0x80000000, v4, v5
	s_delay_alu instid0(VALU_DEP_1)
	v_cvt_f16_f32_e32 v4, v4
.LBB408_1145:
	s_mov_b32 s14, -1
	s_mov_b32 s13, 0
	s_cbranch_execnz .LBB408_1156
.LBB408_1146:
	v_cmp_gt_i16_e64 s10, s9, 14
	s_delay_alu instid0(VALU_DEP_1)
	s_and_b32 vcc_lo, exec_lo, s10
	s_cbranch_vccz .LBB408_1149
; %bb.1147:
	v_cmp_eq_u16_e64 s0, s9, 15
	s_delay_alu instid0(VALU_DEP_1)
	s_and_b32 vcc_lo, exec_lo, s0
	s_cbranch_vccz .LBB408_1152
; %bb.1148:
	global_load_u16 v4, v[0:1], off
	s_mov_b32 s0, 0
	s_mov_b32 s14, -1
	s_waitcnt vmcnt(0)
	v_lshlrev_b32_e32 v4, 16, v4
	s_delay_alu instid0(VALU_DEP_1)
	v_cvt_f16_f32_e32 v4, v4
	s_branch .LBB408_1153
.LBB408_1149:
	s_mov_b32 s10, -1
                                        ; implicit-def: $vgpr4
	s_branch .LBB408_1154
.LBB408_1150:
	s_or_saveexec_b32 s14, s14
	v_mov_b32_e32 v4, s13
	s_xor_b32 exec_lo, exec_lo, s14
	s_cbranch_execz .LBB408_1132
.LBB408_1151:
	v_cmp_ne_u16_e32 vcc_lo, 0, v5
	v_mov_b32_e32 v4, v5
	s_and_not1_b32 s10, s10, exec_lo
	s_and_b32 s13, vcc_lo, exec_lo
	s_delay_alu instid0(SALU_CYCLE_1)
	s_or_b32 s10, s10, s13
	s_or_b32 exec_lo, exec_lo, s14
	s_and_saveexec_b32 s13, s10
	s_cbranch_execnz .LBB408_1133
	s_branch .LBB408_1134
.LBB408_1152:
	s_mov_b32 s0, -1
                                        ; implicit-def: $vgpr4
.LBB408_1153:
	s_mov_b32 s10, 0
.LBB408_1154:
	s_delay_alu instid0(SALU_CYCLE_1)
	s_and_b32 vcc_lo, exec_lo, s10
	s_cbranch_vccz .LBB408_1156
; %bb.1155:
	v_cmp_ne_u16_e64 s0, s9, 11
	s_mov_b32 s13, -1
                                        ; implicit-def: $vgpr4
.LBB408_1156:
	s_delay_alu instid0(VALU_DEP_1)
	s_and_b32 vcc_lo, exec_lo, s0
	s_mov_b32 s10, s12
	s_cbranch_vccnz .LBB408_1180
; %bb.1157:
	s_and_not1_b32 vcc_lo, exec_lo, s13
	s_cbranch_vccnz .LBB408_1159
.LBB408_1158:
	global_load_u8 v4, v[0:1], off
	s_mov_b32 s14, -1
	s_waitcnt vmcnt(0)
	v_cmp_ne_u16_e32 vcc_lo, 0, v4
	v_cndmask_b32_e64 v4, 0, 0x3c00, vcc_lo
.LBB408_1159:
.LBB408_1160:
	s_and_not1_b32 vcc_lo, exec_lo, s14
	s_cbranch_vccnz .LBB408_1996
.LBB408_1161:
	s_lshl_b32 s0, s3, 7
	v_cmp_lt_i16_e64 s3, s9, 11
	v_add_nc_u32_e32 v3, s0, v3
	s_delay_alu instid0(VALU_DEP_1) | instskip(SKIP_1) | instid1(VALU_DEP_2)
	v_ashrrev_i32_e32 v1, 31, v3
	v_add_co_u32 v0, vcc_lo, s6, v3
	v_add_co_ci_u32_e32 v1, vcc_lo, s7, v1, vcc_lo
	s_and_b32 vcc_lo, exec_lo, s3
	s_cbranch_vccnz .LBB408_1168
; %bb.1162:
	v_cmp_gt_i16_e64 s3, s9, 25
	s_mov_b32 s13, 0
	s_delay_alu instid0(VALU_DEP_1)
	s_and_b32 vcc_lo, exec_lo, s3
	s_cbranch_vccz .LBB408_1174
; %bb.1163:
	v_cmp_gt_i16_e64 s3, s9, 28
	s_delay_alu instid0(VALU_DEP_1)
	s_and_b32 vcc_lo, exec_lo, s3
	s_cbranch_vccz .LBB408_1176
; %bb.1164:
	v_cmp_gt_i16_e64 s3, s9, 43
	;; [unrolled: 5-line block ×3, first 2 shown]
	s_delay_alu instid0(VALU_DEP_1)
	s_and_b32 vcc_lo, exec_lo, s3
	s_cbranch_vccz .LBB408_1184
; %bb.1166:
	v_cmp_eq_u16_e64 s3, s9, 46
	s_mov_b32 s15, 0
	s_delay_alu instid0(VALU_DEP_1)
	s_and_b32 vcc_lo, exec_lo, s3
	s_cbranch_vccz .LBB408_1228
; %bb.1167:
	global_load_b32 v5, v[0:1], off
	s_mov_b32 s3, 0
	s_mov_b32 s14, -1
	s_waitcnt vmcnt(0)
	v_lshlrev_b32_e32 v5, 16, v5
	s_delay_alu instid0(VALU_DEP_1)
	v_cvt_f16_f32_e32 v5, v5
	s_branch .LBB408_1230
.LBB408_1168:
	s_mov_b32 s14, 0
                                        ; implicit-def: $vgpr5
	s_cbranch_execz .LBB408_1295
; %bb.1169:
	v_cmp_lt_i16_e64 s3, s9, 5
	s_delay_alu instid0(VALU_DEP_1)
	s_and_b32 vcc_lo, exec_lo, s3
	s_cbranch_vccnz .LBB408_1175
; %bb.1170:
	v_cmp_lt_i16_e64 s3, s9, 8
	s_delay_alu instid0(VALU_DEP_1)
	s_and_b32 vcc_lo, exec_lo, s3
	s_cbranch_vccnz .LBB408_1177
; %bb.1171:
	v_cmp_lt_i16_e64 s3, s9, 9
	s_delay_alu instid0(VALU_DEP_1)
	s_and_b32 vcc_lo, exec_lo, s3
	s_cbranch_vccnz .LBB408_1179
; %bb.1172:
	v_cmp_gt_i16_e64 s3, s9, 9
	s_delay_alu instid0(VALU_DEP_1)
	s_and_b32 vcc_lo, exec_lo, s3
	s_cbranch_vccz .LBB408_1185
; %bb.1173:
	global_load_b64 v[5:6], v[0:1], off
	s_mov_b32 s3, 0
	s_waitcnt vmcnt(0)
	v_cvt_f32_f64_e32 v5, v[5:6]
	s_delay_alu instid0(VALU_DEP_1)
	v_cvt_f16_f32_e32 v5, v5
	s_branch .LBB408_1186
.LBB408_1174:
	s_mov_b32 s14, 0
	s_mov_b32 s3, 0
                                        ; implicit-def: $vgpr5
	s_cbranch_execnz .LBB408_1259
	s_branch .LBB408_1291
.LBB408_1175:
                                        ; implicit-def: $vgpr5
	s_branch .LBB408_1204
.LBB408_1176:
	s_mov_b32 s15, -1
	s_mov_b32 s14, 0
	s_mov_b32 s3, 0
                                        ; implicit-def: $vgpr5
	s_branch .LBB408_1240
.LBB408_1177:
	s_mov_b32 s3, -1
                                        ; implicit-def: $vgpr5
	s_branch .LBB408_1192
.LBB408_1178:
	s_mov_b32 s15, -1
	s_mov_b32 s14, 0
	s_mov_b32 s3, 0
                                        ; implicit-def: $vgpr5
	s_branch .LBB408_1235
.LBB408_1179:
	s_mov_b32 s3, -1
                                        ; implicit-def: $vgpr5
	s_branch .LBB408_1189
.LBB408_1180:
	s_cbranch_execnz .LBB408_1224
; %bb.1181:
	s_or_b32 s10, s12, exec_lo
                                        ; implicit-def: $vgpr4
	s_cbranch_execz .LBB408_1158
	s_branch .LBB408_1159
.LBB408_1182:
	s_or_saveexec_b32 s17, s17
                                        ; implicit-def: $sgpr18
	s_delay_alu instid0(SALU_CYCLE_1)
	s_xor_b32 exec_lo, exec_lo, s17
	s_cbranch_execz .LBB408_944
.LBB408_1183:
	v_add_f32_e64 v5, 0x46000000, |v2|
	s_and_not1_b32 s16, s16, exec_lo
	s_mov_b32 s18, 0
	s_delay_alu instid0(VALU_DEP_1) | instskip(NEXT) | instid1(VALU_DEP_1)
	v_and_b32_e32 v5, 0xff, v5
	v_cmp_ne_u32_e32 vcc_lo, 0, v5
	s_and_b32 s19, vcc_lo, exec_lo
	s_delay_alu instid0(SALU_CYCLE_1)
	s_or_b32 s16, s16, s19
	s_or_b32 exec_lo, exec_lo, s17
	v_mov_b32_e32 v6, s18
	s_and_saveexec_b32 s17, s16
	s_cbranch_execnz .LBB408_945
	s_branch .LBB408_946
.LBB408_1184:
	s_mov_b32 s15, -1
	s_mov_b32 s14, 0
	s_mov_b32 s3, 0
	s_branch .LBB408_1229
.LBB408_1185:
	s_mov_b32 s3, -1
                                        ; implicit-def: $vgpr5
.LBB408_1186:
	s_delay_alu instid0(SALU_CYCLE_1)
	s_and_not1_b32 vcc_lo, exec_lo, s3
	s_cbranch_vccnz .LBB408_1188
; %bb.1187:
	global_load_b32 v5, v[0:1], off
	s_waitcnt vmcnt(0)
	v_cvt_f16_f32_e32 v5, v5
.LBB408_1188:
	s_mov_b32 s3, 0
.LBB408_1189:
	s_delay_alu instid0(SALU_CYCLE_1)
	s_and_not1_b32 vcc_lo, exec_lo, s3
	s_cbranch_vccnz .LBB408_1191
; %bb.1190:
	global_load_b32 v5, v[0:1], off
.LBB408_1191:
	s_mov_b32 s3, 0
.LBB408_1192:
	s_delay_alu instid0(SALU_CYCLE_1)
	s_and_not1_b32 vcc_lo, exec_lo, s3
	s_cbranch_vccnz .LBB408_1203
; %bb.1193:
	v_cmp_lt_i16_e64 s3, s9, 6
	s_delay_alu instid0(VALU_DEP_1)
	s_and_b32 vcc_lo, exec_lo, s3
	s_cbranch_vccnz .LBB408_1196
; %bb.1194:
	v_cmp_gt_i16_e64 s3, s9, 6
	s_delay_alu instid0(VALU_DEP_1)
	s_and_b32 vcc_lo, exec_lo, s3
	s_cbranch_vccz .LBB408_1197
; %bb.1195:
	global_load_b64 v[5:6], v[0:1], off
	s_mov_b32 s3, 0
	s_waitcnt vmcnt(0)
	v_cvt_f32_f64_e32 v5, v[5:6]
	s_delay_alu instid0(VALU_DEP_1)
	v_cvt_f16_f32_e32 v5, v5
	s_branch .LBB408_1198
.LBB408_1196:
	s_mov_b32 s3, -1
                                        ; implicit-def: $vgpr5
	s_branch .LBB408_1201
.LBB408_1197:
	s_mov_b32 s3, -1
                                        ; implicit-def: $vgpr5
.LBB408_1198:
	s_delay_alu instid0(SALU_CYCLE_1)
	s_and_not1_b32 vcc_lo, exec_lo, s3
	s_cbranch_vccnz .LBB408_1200
; %bb.1199:
	global_load_b32 v5, v[0:1], off
	s_waitcnt vmcnt(0)
	v_cvt_f16_f32_e32 v5, v5
.LBB408_1200:
	s_mov_b32 s3, 0
.LBB408_1201:
	s_delay_alu instid0(SALU_CYCLE_1)
	s_and_not1_b32 vcc_lo, exec_lo, s3
	s_cbranch_vccnz .LBB408_1203
; %bb.1202:
	global_load_u16 v5, v[0:1], off
.LBB408_1203:
	s_cbranch_execnz .LBB408_1223
.LBB408_1204:
	v_cmp_lt_i16_e64 s3, s9, 2
	s_delay_alu instid0(VALU_DEP_1)
	s_and_b32 vcc_lo, exec_lo, s3
	s_cbranch_vccnz .LBB408_1208
; %bb.1205:
	v_cmp_lt_i16_e64 s3, s9, 3
	s_delay_alu instid0(VALU_DEP_1)
	s_and_b32 vcc_lo, exec_lo, s3
	s_cbranch_vccnz .LBB408_1209
; %bb.1206:
	v_cmp_gt_i16_e64 s3, s9, 3
	s_delay_alu instid0(VALU_DEP_1)
	s_and_b32 vcc_lo, exec_lo, s3
	s_cbranch_vccz .LBB408_1210
; %bb.1207:
	global_load_b64 v[5:6], v[0:1], off
	s_mov_b32 s3, 0
	s_waitcnt vmcnt(0)
	v_xor_b32_e32 v7, v5, v6
	v_cls_i32_e32 v8, v6
	s_delay_alu instid0(VALU_DEP_2) | instskip(NEXT) | instid1(VALU_DEP_2)
	v_ashrrev_i32_e32 v7, 31, v7
	v_add_nc_u32_e32 v8, -1, v8
	s_delay_alu instid0(VALU_DEP_2) | instskip(NEXT) | instid1(VALU_DEP_1)
	v_add_nc_u32_e32 v7, 32, v7
	v_min_u32_e32 v7, v8, v7
	s_delay_alu instid0(VALU_DEP_1) | instskip(NEXT) | instid1(VALU_DEP_1)
	v_lshlrev_b64 v[5:6], v7, v[5:6]
	v_min_u32_e32 v5, 1, v5
	s_delay_alu instid0(VALU_DEP_1) | instskip(SKIP_1) | instid1(VALU_DEP_2)
	v_or_b32_e32 v5, v6, v5
	v_sub_nc_u32_e32 v6, 32, v7
	v_cvt_f32_i32_e32 v5, v5
	s_delay_alu instid0(VALU_DEP_1) | instskip(NEXT) | instid1(VALU_DEP_1)
	v_ldexp_f32 v5, v5, v6
	v_cvt_f16_f32_e32 v5, v5
	s_branch .LBB408_1211
.LBB408_1208:
	s_mov_b32 s3, -1
                                        ; implicit-def: $vgpr5
	s_branch .LBB408_1217
.LBB408_1209:
	s_mov_b32 s3, -1
                                        ; implicit-def: $vgpr5
	s_branch .LBB408_1214
.LBB408_1210:
	s_mov_b32 s3, -1
                                        ; implicit-def: $vgpr5
.LBB408_1211:
	s_delay_alu instid0(SALU_CYCLE_1)
	s_and_not1_b32 vcc_lo, exec_lo, s3
	s_cbranch_vccnz .LBB408_1213
; %bb.1212:
	global_load_b32 v5, v[0:1], off
	s_waitcnt vmcnt(0)
	v_cvt_f32_i32_e32 v5, v5
	s_delay_alu instid0(VALU_DEP_1)
	v_cvt_f16_f32_e32 v5, v5
.LBB408_1213:
	s_mov_b32 s3, 0
.LBB408_1214:
	s_delay_alu instid0(SALU_CYCLE_1)
	s_and_not1_b32 vcc_lo, exec_lo, s3
	s_cbranch_vccnz .LBB408_1216
; %bb.1215:
	global_load_u16 v5, v[0:1], off
	s_waitcnt vmcnt(0)
	v_cvt_f16_i16_e32 v5, v5
.LBB408_1216:
	s_mov_b32 s3, 0
.LBB408_1217:
	s_delay_alu instid0(SALU_CYCLE_1)
	s_and_not1_b32 vcc_lo, exec_lo, s3
	s_cbranch_vccnz .LBB408_1223
; %bb.1218:
	v_cmp_gt_i16_e64 s3, s9, 0
	s_delay_alu instid0(VALU_DEP_1)
	s_and_b32 vcc_lo, exec_lo, s3
	s_mov_b32 s3, 0
	s_cbranch_vccz .LBB408_1220
; %bb.1219:
	global_load_i8 v5, v[0:1], off
	s_waitcnt vmcnt(0)
	v_cvt_f16_i16_e32 v5, v5
	s_branch .LBB408_1221
.LBB408_1220:
	s_mov_b32 s3, -1
                                        ; implicit-def: $vgpr5
.LBB408_1221:
	s_delay_alu instid0(SALU_CYCLE_1)
	s_and_not1_b32 vcc_lo, exec_lo, s3
	s_cbranch_vccnz .LBB408_1223
; %bb.1222:
	global_load_u8 v0, v[0:1], off
	s_waitcnt vmcnt(0)
	v_cvt_f16_u16_e32 v5, v0
.LBB408_1223:
	s_branch .LBB408_1296
.LBB408_1224:
	s_trap 2
	s_sendmsg_rtn_b32 s0, sendmsg(MSG_RTN_GET_DOORBELL)
	s_mov_b32 ttmp2, m0
	s_waitcnt lgkmcnt(0)
	s_and_b32 s0, s0, 0x3ff
	s_delay_alu instid0(SALU_CYCLE_1) | instskip(NEXT) | instid1(SALU_CYCLE_1)
	s_bitset1_b32 s0, 10
	s_mov_b32 m0, s0
	s_sendmsg sendmsg(MSG_INTERRUPT)
	s_mov_b32 m0, ttmp2
.LBB408_1225:                           ; =>This Inner Loop Header: Depth=1
	s_sethalt 5
	s_branch .LBB408_1225
.LBB408_1226:
	s_or_saveexec_b32 s18, s18
                                        ; implicit-def: $sgpr19
	s_delay_alu instid0(SALU_CYCLE_1)
	s_xor_b32 exec_lo, exec_lo, s18
	s_cbranch_execz .LBB408_956
.LBB408_1227:
	v_add_f32_e64 v5, 0x42800000, |v2|
	s_and_not1_b32 s17, s17, exec_lo
	s_mov_b32 s19, 0
	s_delay_alu instid0(VALU_DEP_1) | instskip(NEXT) | instid1(VALU_DEP_1)
	v_and_b32_e32 v5, 0xff, v5
	v_cmp_ne_u32_e32 vcc_lo, 0, v5
	s_and_b32 s20, vcc_lo, exec_lo
	s_delay_alu instid0(SALU_CYCLE_1)
	s_or_b32 s17, s17, s20
	s_or_b32 exec_lo, exec_lo, s18
	v_mov_b32_e32 v6, s19
	s_and_saveexec_b32 s18, s17
	s_cbranch_execnz .LBB408_957
	s_branch .LBB408_958
.LBB408_1228:
	s_mov_b32 s3, -1
	s_mov_b32 s14, 0
.LBB408_1229:
                                        ; implicit-def: $vgpr5
.LBB408_1230:
	s_and_b32 vcc_lo, exec_lo, s15
	s_cbranch_vccz .LBB408_1234
; %bb.1231:
	v_cmp_eq_u16_e64 s3, s9, 44
	s_delay_alu instid0(VALU_DEP_1)
	s_and_b32 vcc_lo, exec_lo, s3
	s_cbranch_vccz .LBB408_1233
; %bb.1232:
	global_load_u8 v5, v[0:1], off
	s_mov_b32 s3, 0
	s_mov_b32 s14, -1
	s_waitcnt vmcnt(0)
	v_lshlrev_b32_e32 v6, 23, v5
	v_cmp_ne_u32_e32 vcc_lo, 0xff, v5
	s_delay_alu instid0(VALU_DEP_2) | instskip(NEXT) | instid1(VALU_DEP_1)
	v_cvt_f16_f32_e32 v6, v6
	v_cndmask_b32_e32 v6, 0x7e00, v6, vcc_lo
	v_cmp_ne_u32_e32 vcc_lo, 0, v5
	s_delay_alu instid0(VALU_DEP_2)
	v_cndmask_b32_e32 v5, 0, v6, vcc_lo
	s_branch .LBB408_1234
.LBB408_1233:
	s_mov_b32 s3, -1
                                        ; implicit-def: $vgpr5
.LBB408_1234:
	s_mov_b32 s15, 0
.LBB408_1235:
	s_delay_alu instid0(SALU_CYCLE_1)
	s_and_b32 vcc_lo, exec_lo, s15
	s_cbranch_vccz .LBB408_1239
; %bb.1236:
	v_cmp_eq_u16_e64 s3, s9, 29
	s_delay_alu instid0(VALU_DEP_1)
	s_and_b32 vcc_lo, exec_lo, s3
	s_cbranch_vccz .LBB408_1238
; %bb.1237:
	global_load_b64 v[5:6], v[0:1], off
	s_mov_b32 s3, 0
	s_mov_b32 s14, -1
	s_mov_b32 s15, 0
	s_waitcnt vmcnt(0)
	v_clz_i32_u32_e32 v7, v6
	s_delay_alu instid0(VALU_DEP_1) | instskip(NEXT) | instid1(VALU_DEP_1)
	v_min_u32_e32 v7, 32, v7
	v_lshlrev_b64 v[5:6], v7, v[5:6]
	s_delay_alu instid0(VALU_DEP_1) | instskip(NEXT) | instid1(VALU_DEP_1)
	v_min_u32_e32 v5, 1, v5
	v_or_b32_e32 v5, v6, v5
	v_sub_nc_u32_e32 v6, 32, v7
	s_delay_alu instid0(VALU_DEP_2) | instskip(NEXT) | instid1(VALU_DEP_1)
	v_cvt_f32_u32_e32 v5, v5
	v_ldexp_f32 v5, v5, v6
	s_delay_alu instid0(VALU_DEP_1)
	v_cvt_f16_f32_e32 v5, v5
	s_branch .LBB408_1240
.LBB408_1238:
	s_mov_b32 s3, -1
                                        ; implicit-def: $vgpr5
.LBB408_1239:
	s_mov_b32 s15, 0
.LBB408_1240:
	s_delay_alu instid0(SALU_CYCLE_1)
	s_and_b32 vcc_lo, exec_lo, s15
	s_cbranch_vccz .LBB408_1258
; %bb.1241:
	v_cmp_lt_i16_e64 s14, s9, 27
	s_delay_alu instid0(VALU_DEP_1)
	s_and_b32 vcc_lo, exec_lo, s14
	s_cbranch_vccnz .LBB408_1244
; %bb.1242:
	v_cmp_gt_i16_e64 s14, s9, 27
	s_delay_alu instid0(VALU_DEP_1)
	s_and_b32 vcc_lo, exec_lo, s14
	s_cbranch_vccz .LBB408_1245
; %bb.1243:
	global_load_b32 v5, v[0:1], off
	s_mov_b32 s14, 0
	s_waitcnt vmcnt(0)
	v_cvt_f32_u32_e32 v5, v5
	s_delay_alu instid0(VALU_DEP_1)
	v_cvt_f16_f32_e32 v5, v5
	s_branch .LBB408_1246
.LBB408_1244:
	s_mov_b32 s14, -1
                                        ; implicit-def: $vgpr5
	s_branch .LBB408_1249
.LBB408_1245:
	s_mov_b32 s14, -1
                                        ; implicit-def: $vgpr5
.LBB408_1246:
	s_delay_alu instid0(SALU_CYCLE_1)
	s_and_not1_b32 vcc_lo, exec_lo, s14
	s_cbranch_vccnz .LBB408_1248
; %bb.1247:
	global_load_u16 v5, v[0:1], off
	s_waitcnt vmcnt(0)
	v_cvt_f16_u16_e32 v5, v5
.LBB408_1248:
	s_mov_b32 s14, 0
.LBB408_1249:
	s_delay_alu instid0(SALU_CYCLE_1)
	s_and_not1_b32 vcc_lo, exec_lo, s14
	s_cbranch_vccnz .LBB408_1257
; %bb.1250:
	global_load_u8 v6, v[0:1], off
	s_mov_b32 s14, 0
	s_mov_b32 s16, exec_lo
                                        ; implicit-def: $sgpr15
	s_waitcnt vmcnt(0)
	v_cmpx_lt_i16_e32 0x7f, v6
	s_xor_b32 s16, exec_lo, s16
	s_cbranch_execz .LBB408_1270
; %bb.1251:
	s_mov_b32 s14, -1
	s_mov_b32 s17, exec_lo
                                        ; implicit-def: $sgpr15
	v_cmpx_eq_u16_e32 0x80, v6
; %bb.1252:
	s_movk_i32 s15, 0x7e00
	s_xor_b32 s14, exec_lo, -1
; %bb.1253:
	s_or_b32 exec_lo, exec_lo, s17
	s_delay_alu instid0(SALU_CYCLE_1)
	s_and_b32 s14, s14, exec_lo
	s_or_saveexec_b32 s16, s16
	v_mov_b32_e32 v5, s15
	s_xor_b32 exec_lo, exec_lo, s16
	s_cbranch_execnz .LBB408_1271
.LBB408_1254:
	s_or_b32 exec_lo, exec_lo, s16
	s_and_saveexec_b32 s15, s14
	s_cbranch_execz .LBB408_1256
.LBB408_1255:
	v_and_b32_e32 v5, 0xffff, v6
	s_delay_alu instid0(VALU_DEP_1) | instskip(NEXT) | instid1(VALU_DEP_1)
	v_and_b32_e32 v7, 7, v5
	v_clz_i32_u32_e32 v8, v7
	s_delay_alu instid0(VALU_DEP_1) | instskip(NEXT) | instid1(VALU_DEP_1)
	v_min_u32_e32 v8, 32, v8
	v_subrev_nc_u32_e32 v9, 28, v8
	v_sub_nc_u32_e32 v8, 29, v8
	s_delay_alu instid0(VALU_DEP_2) | instskip(SKIP_1) | instid1(VALU_DEP_2)
	v_lshlrev_b32_e32 v9, v9, v5
	v_bfe_u32 v5, v5, 3, 4
	v_and_b32_e32 v9, 7, v9
	s_delay_alu instid0(VALU_DEP_2) | instskip(SKIP_1) | instid1(VALU_DEP_1)
	v_cmp_eq_u32_e32 vcc_lo, 0, v5
	v_dual_cndmask_b32 v5, v5, v8 :: v_dual_lshlrev_b32 v6, 24, v6
	v_dual_cndmask_b32 v7, v7, v9 :: v_dual_and_b32 v6, 0x80000000, v6
	s_delay_alu instid0(VALU_DEP_2) | instskip(NEXT) | instid1(VALU_DEP_2)
	v_lshl_add_u32 v5, v5, 23, 0x3b800000
	v_lshlrev_b32_e32 v7, 20, v7
	s_delay_alu instid0(VALU_DEP_1) | instskip(NEXT) | instid1(VALU_DEP_1)
	v_or3_b32 v5, v6, v5, v7
	v_cvt_f16_f32_e32 v5, v5
.LBB408_1256:
	s_or_b32 exec_lo, exec_lo, s15
.LBB408_1257:
	s_mov_b32 s14, -1
.LBB408_1258:
	s_branch .LBB408_1291
.LBB408_1259:
	v_cmp_gt_i16_e64 s13, s9, 22
	s_delay_alu instid0(VALU_DEP_1)
	s_and_b32 vcc_lo, exec_lo, s13
	s_cbranch_vccz .LBB408_1269
; %bb.1260:
	v_cmp_lt_i16_e64 s13, s9, 24
	s_delay_alu instid0(VALU_DEP_1)
	s_and_b32 vcc_lo, exec_lo, s13
	s_cbranch_vccnz .LBB408_1272
; %bb.1261:
	v_cmp_gt_i16_e64 s13, s9, 24
	s_delay_alu instid0(VALU_DEP_1)
	s_and_b32 vcc_lo, exec_lo, s13
	s_cbranch_vccz .LBB408_1273
; %bb.1262:
	global_load_u8 v6, v[0:1], off
	s_mov_b32 s13, 0
	s_mov_b32 s15, exec_lo
                                        ; implicit-def: $sgpr14
	s_waitcnt vmcnt(0)
	v_cmpx_lt_i16_e32 0x7f, v6
	s_xor_b32 s15, exec_lo, s15
	s_cbranch_execz .LBB408_1285
; %bb.1263:
	s_mov_b32 s13, -1
	s_mov_b32 s16, exec_lo
                                        ; implicit-def: $sgpr14
	v_cmpx_eq_u16_e32 0x80, v6
; %bb.1264:
	s_movk_i32 s14, 0x7e00
	s_xor_b32 s13, exec_lo, -1
; %bb.1265:
	s_or_b32 exec_lo, exec_lo, s16
	s_delay_alu instid0(SALU_CYCLE_1)
	s_and_b32 s13, s13, exec_lo
	s_or_saveexec_b32 s15, s15
	v_mov_b32_e32 v5, s14
	s_xor_b32 exec_lo, exec_lo, s15
	s_cbranch_execnz .LBB408_1286
.LBB408_1266:
	s_or_b32 exec_lo, exec_lo, s15
	s_and_saveexec_b32 s14, s13
	s_cbranch_execz .LBB408_1268
.LBB408_1267:
	v_and_b32_e32 v5, 0xffff, v6
	s_delay_alu instid0(VALU_DEP_1) | instskip(NEXT) | instid1(VALU_DEP_1)
	v_and_b32_e32 v7, 3, v5
	v_clz_i32_u32_e32 v8, v7
	s_delay_alu instid0(VALU_DEP_1) | instskip(NEXT) | instid1(VALU_DEP_1)
	v_min_u32_e32 v8, 32, v8
	v_subrev_nc_u32_e32 v9, 29, v8
	v_sub_nc_u32_e32 v8, 30, v8
	s_delay_alu instid0(VALU_DEP_2) | instskip(SKIP_1) | instid1(VALU_DEP_2)
	v_lshlrev_b32_e32 v9, v9, v5
	v_bfe_u32 v5, v5, 2, 5
	v_and_b32_e32 v9, 3, v9
	s_delay_alu instid0(VALU_DEP_2) | instskip(SKIP_1) | instid1(VALU_DEP_1)
	v_cmp_eq_u32_e32 vcc_lo, 0, v5
	v_dual_cndmask_b32 v5, v5, v8 :: v_dual_lshlrev_b32 v6, 24, v6
	v_dual_cndmask_b32 v7, v7, v9 :: v_dual_and_b32 v6, 0x80000000, v6
	s_delay_alu instid0(VALU_DEP_2) | instskip(NEXT) | instid1(VALU_DEP_2)
	v_lshl_add_u32 v5, v5, 23, 0x37800000
	v_lshlrev_b32_e32 v7, 21, v7
	s_delay_alu instid0(VALU_DEP_1) | instskip(NEXT) | instid1(VALU_DEP_1)
	v_or3_b32 v5, v6, v5, v7
	v_cvt_f16_f32_e32 v5, v5
.LBB408_1268:
	s_or_b32 exec_lo, exec_lo, s14
	s_mov_b32 s13, 0
	s_branch .LBB408_1274
.LBB408_1269:
	s_mov_b32 s13, -1
                                        ; implicit-def: $vgpr5
	s_branch .LBB408_1280
.LBB408_1270:
	s_or_saveexec_b32 s16, s16
	v_mov_b32_e32 v5, s15
	s_xor_b32 exec_lo, exec_lo, s16
	s_cbranch_execz .LBB408_1254
.LBB408_1271:
	v_cmp_ne_u16_e32 vcc_lo, 0, v6
	v_mov_b32_e32 v5, v6
	s_and_not1_b32 s14, s14, exec_lo
	s_and_b32 s15, vcc_lo, exec_lo
	s_delay_alu instid0(SALU_CYCLE_1)
	s_or_b32 s14, s14, s15
	s_or_b32 exec_lo, exec_lo, s16
	s_and_saveexec_b32 s15, s14
	s_cbranch_execnz .LBB408_1255
	s_branch .LBB408_1256
.LBB408_1272:
	s_mov_b32 s13, -1
                                        ; implicit-def: $vgpr5
	s_branch .LBB408_1277
.LBB408_1273:
	s_mov_b32 s13, -1
                                        ; implicit-def: $vgpr5
.LBB408_1274:
	s_delay_alu instid0(SALU_CYCLE_1)
	s_and_b32 vcc_lo, exec_lo, s13
	s_cbranch_vccz .LBB408_1276
; %bb.1275:
	global_load_u8 v5, v[0:1], off
	s_waitcnt vmcnt(0)
	v_lshlrev_b32_e32 v5, 24, v5
	s_delay_alu instid0(VALU_DEP_1) | instskip(NEXT) | instid1(VALU_DEP_1)
	v_and_b32_e32 v6, 0x7f000000, v5
	v_clz_i32_u32_e32 v7, v6
	v_add_nc_u32_e32 v9, 0x1000000, v6
	v_cmp_ne_u32_e32 vcc_lo, 0, v6
	s_delay_alu instid0(VALU_DEP_3) | instskip(NEXT) | instid1(VALU_DEP_1)
	v_min_u32_e32 v7, 32, v7
	v_sub_nc_u32_e64 v7, v7, 4 clamp
	s_delay_alu instid0(VALU_DEP_1) | instskip(SKIP_1) | instid1(VALU_DEP_2)
	v_lshlrev_b32_e32 v8, v7, v6
	v_lshlrev_b32_e32 v7, 23, v7
	v_lshrrev_b32_e32 v8, 4, v8
	s_delay_alu instid0(VALU_DEP_1) | instskip(SKIP_1) | instid1(VALU_DEP_2)
	v_sub_nc_u32_e32 v7, v8, v7
	v_ashrrev_i32_e32 v8, 8, v9
	v_add_nc_u32_e32 v7, 0x3c000000, v7
	s_delay_alu instid0(VALU_DEP_1) | instskip(NEXT) | instid1(VALU_DEP_1)
	v_and_or_b32 v7, 0x7f800000, v8, v7
	v_cndmask_b32_e32 v6, 0, v7, vcc_lo
	s_delay_alu instid0(VALU_DEP_1) | instskip(NEXT) | instid1(VALU_DEP_1)
	v_and_or_b32 v5, 0x80000000, v5, v6
	v_cvt_f16_f32_e32 v5, v5
.LBB408_1276:
	s_mov_b32 s13, 0
.LBB408_1277:
	s_delay_alu instid0(SALU_CYCLE_1)
	s_and_not1_b32 vcc_lo, exec_lo, s13
	s_cbranch_vccnz .LBB408_1279
; %bb.1278:
	global_load_u8 v5, v[0:1], off
	s_waitcnt vmcnt(0)
	v_lshlrev_b32_e32 v6, 25, v5
	v_lshlrev_b16 v5, 8, v5
	s_delay_alu instid0(VALU_DEP_2) | instskip(NEXT) | instid1(VALU_DEP_2)
	v_lshrrev_b32_e32 v7, 4, v6
	v_and_or_b32 v8, 0x7f00, v5, 0.5
	v_bfe_i32 v5, v5, 0, 16
	s_delay_alu instid0(VALU_DEP_3) | instskip(NEXT) | instid1(VALU_DEP_1)
	v_or_b32_e32 v7, 0x70000000, v7
	v_dual_add_f32 v8, -0.5, v8 :: v_dual_mul_f32 v7, 0x7800000, v7
	v_cmp_gt_u32_e32 vcc_lo, 0x8000000, v6
	s_delay_alu instid0(VALU_DEP_2) | instskip(NEXT) | instid1(VALU_DEP_1)
	v_cndmask_b32_e32 v6, v7, v8, vcc_lo
	v_and_or_b32 v5, 0x80000000, v5, v6
	s_delay_alu instid0(VALU_DEP_1)
	v_cvt_f16_f32_e32 v5, v5
.LBB408_1279:
	s_mov_b32 s13, 0
	s_mov_b32 s14, -1
.LBB408_1280:
	s_and_not1_b32 vcc_lo, exec_lo, s13
	s_mov_b32 s13, 0
	s_cbranch_vccnz .LBB408_1291
; %bb.1281:
	v_cmp_gt_i16_e64 s13, s9, 14
	s_delay_alu instid0(VALU_DEP_1)
	s_and_b32 vcc_lo, exec_lo, s13
	s_cbranch_vccz .LBB408_1284
; %bb.1282:
	v_cmp_eq_u16_e64 s3, s9, 15
	s_delay_alu instid0(VALU_DEP_1)
	s_and_b32 vcc_lo, exec_lo, s3
	s_cbranch_vccz .LBB408_1287
; %bb.1283:
	global_load_u16 v5, v[0:1], off
	s_mov_b32 s3, 0
	s_mov_b32 s14, -1
	s_waitcnt vmcnt(0)
	v_lshlrev_b32_e32 v5, 16, v5
	s_delay_alu instid0(VALU_DEP_1)
	v_cvt_f16_f32_e32 v5, v5
	s_branch .LBB408_1288
.LBB408_1284:
	s_mov_b32 s13, -1
                                        ; implicit-def: $vgpr5
	s_branch .LBB408_1289
.LBB408_1285:
	s_or_saveexec_b32 s15, s15
	v_mov_b32_e32 v5, s14
	s_xor_b32 exec_lo, exec_lo, s15
	s_cbranch_execz .LBB408_1266
.LBB408_1286:
	v_cmp_ne_u16_e32 vcc_lo, 0, v6
	v_mov_b32_e32 v5, v6
	s_and_not1_b32 s13, s13, exec_lo
	s_and_b32 s14, vcc_lo, exec_lo
	s_delay_alu instid0(SALU_CYCLE_1)
	s_or_b32 s13, s13, s14
	s_or_b32 exec_lo, exec_lo, s15
	s_and_saveexec_b32 s14, s13
	s_cbranch_execnz .LBB408_1267
	s_branch .LBB408_1268
.LBB408_1287:
	s_mov_b32 s3, -1
                                        ; implicit-def: $vgpr5
.LBB408_1288:
	s_mov_b32 s13, 0
.LBB408_1289:
	s_delay_alu instid0(SALU_CYCLE_1)
	s_and_b32 vcc_lo, exec_lo, s13
	s_mov_b32 s13, 0
	s_cbranch_vccz .LBB408_1291
; %bb.1290:
	v_cmp_ne_u16_e64 s3, s9, 11
	s_mov_b32 s13, -1
                                        ; implicit-def: $vgpr5
.LBB408_1291:
	s_delay_alu instid0(VALU_DEP_1)
	s_and_b32 vcc_lo, exec_lo, s3
	s_cbranch_vccnz .LBB408_1315
; %bb.1292:
	s_and_not1_b32 vcc_lo, exec_lo, s13
	s_cbranch_vccnz .LBB408_1294
.LBB408_1293:
	global_load_u8 v5, v[0:1], off
	s_mov_b32 s14, -1
	s_waitcnt vmcnt(0)
	v_cmp_ne_u16_e32 vcc_lo, 0, v5
	v_cndmask_b32_e64 v5, 0, 0x3c00, vcc_lo
.LBB408_1294:
.LBB408_1295:
	s_and_not1_b32 vcc_lo, exec_lo, s14
	s_cbranch_vccnz .LBB408_1996
.LBB408_1296:
	v_add_nc_u32_e32 v3, s0, v3
	v_cmp_lt_i16_e64 s3, s9, 11
	s_delay_alu instid0(VALU_DEP_2) | instskip(SKIP_1) | instid1(VALU_DEP_2)
	v_ashrrev_i32_e32 v1, 31, v3
	v_add_co_u32 v0, vcc_lo, s6, v3
	v_add_co_ci_u32_e32 v1, vcc_lo, s7, v1, vcc_lo
	s_delay_alu instid0(VALU_DEP_4)
	s_and_b32 vcc_lo, exec_lo, s3
	s_cbranch_vccnz .LBB408_1303
; %bb.1297:
	v_cmp_gt_i16_e64 s3, s9, 25
	s_mov_b32 s13, 0
	s_delay_alu instid0(VALU_DEP_1)
	s_and_b32 vcc_lo, exec_lo, s3
	s_cbranch_vccz .LBB408_1309
; %bb.1298:
	v_cmp_gt_i16_e64 s3, s9, 28
	s_delay_alu instid0(VALU_DEP_1)
	s_and_b32 vcc_lo, exec_lo, s3
	s_cbranch_vccz .LBB408_1311
; %bb.1299:
	v_cmp_gt_i16_e64 s3, s9, 43
	;; [unrolled: 5-line block ×3, first 2 shown]
	s_delay_alu instid0(VALU_DEP_1)
	s_and_b32 vcc_lo, exec_lo, s3
	s_cbranch_vccz .LBB408_1317
; %bb.1301:
	v_cmp_eq_u16_e64 s3, s9, 46
	s_mov_b32 s15, 0
	s_delay_alu instid0(VALU_DEP_1)
	s_and_b32 vcc_lo, exec_lo, s3
	s_cbranch_vccz .LBB408_1360
; %bb.1302:
	global_load_b32 v6, v[0:1], off
	s_mov_b32 s3, 0
	s_mov_b32 s14, -1
	s_waitcnt vmcnt(0)
	v_lshlrev_b32_e32 v6, 16, v6
	s_delay_alu instid0(VALU_DEP_1)
	v_cvt_f16_f32_e32 v6, v6
	s_branch .LBB408_1362
.LBB408_1303:
	s_mov_b32 s14, 0
                                        ; implicit-def: $vgpr6
	s_cbranch_execz .LBB408_1428
; %bb.1304:
	v_cmp_lt_i16_e64 s3, s9, 5
	s_delay_alu instid0(VALU_DEP_1)
	s_and_b32 vcc_lo, exec_lo, s3
	s_cbranch_vccnz .LBB408_1310
; %bb.1305:
	v_cmp_lt_i16_e64 s3, s9, 8
	s_delay_alu instid0(VALU_DEP_1)
	s_and_b32 vcc_lo, exec_lo, s3
	s_cbranch_vccnz .LBB408_1312
	;; [unrolled: 5-line block ×3, first 2 shown]
; %bb.1307:
	v_cmp_gt_i16_e64 s3, s9, 9
	s_delay_alu instid0(VALU_DEP_1)
	s_and_b32 vcc_lo, exec_lo, s3
	s_cbranch_vccz .LBB408_1318
; %bb.1308:
	global_load_b64 v[6:7], v[0:1], off
	s_mov_b32 s3, 0
	s_waitcnt vmcnt(0)
	v_cvt_f32_f64_e32 v6, v[6:7]
	s_delay_alu instid0(VALU_DEP_1)
	v_cvt_f16_f32_e32 v6, v6
	s_branch .LBB408_1319
.LBB408_1309:
	s_mov_b32 s15, -1
	s_mov_b32 s14, 0
	s_mov_b32 s3, 0
                                        ; implicit-def: $vgpr6
	s_branch .LBB408_1391
.LBB408_1310:
	s_mov_b32 s3, -1
                                        ; implicit-def: $vgpr6
	s_branch .LBB408_1337
.LBB408_1311:
	s_mov_b32 s15, -1
	s_mov_b32 s14, 0
	s_mov_b32 s3, 0
                                        ; implicit-def: $vgpr6
	s_branch .LBB408_1372
.LBB408_1312:
	s_mov_b32 s3, -1
                                        ; implicit-def: $vgpr6
	s_branch .LBB408_1325
.LBB408_1313:
	s_mov_b32 s15, -1
	s_mov_b32 s14, 0
	s_mov_b32 s3, 0
                                        ; implicit-def: $vgpr6
	s_branch .LBB408_1367
.LBB408_1314:
	s_mov_b32 s3, -1
                                        ; implicit-def: $vgpr6
	s_branch .LBB408_1322
.LBB408_1315:
	s_cbranch_execnz .LBB408_1358
; %bb.1316:
	s_or_b32 s10, s10, exec_lo
                                        ; implicit-def: $vgpr5
	s_cbranch_execz .LBB408_1293
	s_branch .LBB408_1294
.LBB408_1317:
	s_mov_b32 s15, -1
	s_mov_b32 s14, 0
	s_mov_b32 s3, 0
	s_branch .LBB408_1361
.LBB408_1318:
	s_mov_b32 s3, -1
                                        ; implicit-def: $vgpr6
.LBB408_1319:
	s_delay_alu instid0(SALU_CYCLE_1)
	s_and_not1_b32 vcc_lo, exec_lo, s3
	s_cbranch_vccnz .LBB408_1321
; %bb.1320:
	global_load_b32 v6, v[0:1], off
	s_waitcnt vmcnt(0)
	v_cvt_f16_f32_e32 v6, v6
.LBB408_1321:
	s_mov_b32 s3, 0
.LBB408_1322:
	s_delay_alu instid0(SALU_CYCLE_1)
	s_and_not1_b32 vcc_lo, exec_lo, s3
	s_cbranch_vccnz .LBB408_1324
; %bb.1323:
	global_load_b32 v6, v[0:1], off
.LBB408_1324:
	s_mov_b32 s3, 0
.LBB408_1325:
	s_delay_alu instid0(SALU_CYCLE_1)
	s_and_not1_b32 vcc_lo, exec_lo, s3
	s_cbranch_vccnz .LBB408_1336
; %bb.1326:
	v_cmp_lt_i16_e64 s3, s9, 6
	s_delay_alu instid0(VALU_DEP_1)
	s_and_b32 vcc_lo, exec_lo, s3
	s_cbranch_vccnz .LBB408_1329
; %bb.1327:
	v_cmp_gt_i16_e64 s3, s9, 6
	s_delay_alu instid0(VALU_DEP_1)
	s_and_b32 vcc_lo, exec_lo, s3
	s_cbranch_vccz .LBB408_1330
; %bb.1328:
	global_load_b64 v[6:7], v[0:1], off
	s_mov_b32 s3, 0
	s_waitcnt vmcnt(0)
	v_cvt_f32_f64_e32 v6, v[6:7]
	s_delay_alu instid0(VALU_DEP_1)
	v_cvt_f16_f32_e32 v6, v6
	s_branch .LBB408_1331
.LBB408_1329:
	s_mov_b32 s3, -1
                                        ; implicit-def: $vgpr6
	s_branch .LBB408_1334
.LBB408_1330:
	s_mov_b32 s3, -1
                                        ; implicit-def: $vgpr6
.LBB408_1331:
	s_delay_alu instid0(SALU_CYCLE_1)
	s_and_not1_b32 vcc_lo, exec_lo, s3
	s_cbranch_vccnz .LBB408_1333
; %bb.1332:
	global_load_b32 v6, v[0:1], off
	s_waitcnt vmcnt(0)
	v_cvt_f16_f32_e32 v6, v6
.LBB408_1333:
	s_mov_b32 s3, 0
.LBB408_1334:
	s_delay_alu instid0(SALU_CYCLE_1)
	s_and_not1_b32 vcc_lo, exec_lo, s3
	s_cbranch_vccnz .LBB408_1336
; %bb.1335:
	global_load_u16 v6, v[0:1], off
.LBB408_1336:
	s_mov_b32 s3, 0
.LBB408_1337:
	s_delay_alu instid0(SALU_CYCLE_1)
	s_and_not1_b32 vcc_lo, exec_lo, s3
	s_cbranch_vccnz .LBB408_1357
; %bb.1338:
	v_cmp_lt_i16_e64 s3, s9, 2
	s_delay_alu instid0(VALU_DEP_1)
	s_and_b32 vcc_lo, exec_lo, s3
	s_cbranch_vccnz .LBB408_1342
; %bb.1339:
	v_cmp_lt_i16_e64 s3, s9, 3
	s_delay_alu instid0(VALU_DEP_1)
	s_and_b32 vcc_lo, exec_lo, s3
	s_cbranch_vccnz .LBB408_1343
; %bb.1340:
	v_cmp_gt_i16_e64 s3, s9, 3
	s_delay_alu instid0(VALU_DEP_1)
	s_and_b32 vcc_lo, exec_lo, s3
	s_cbranch_vccz .LBB408_1344
; %bb.1341:
	global_load_b64 v[6:7], v[0:1], off
	s_mov_b32 s3, 0
	s_waitcnt vmcnt(0)
	v_xor_b32_e32 v8, v6, v7
	v_cls_i32_e32 v9, v7
	s_delay_alu instid0(VALU_DEP_2) | instskip(NEXT) | instid1(VALU_DEP_2)
	v_ashrrev_i32_e32 v8, 31, v8
	v_add_nc_u32_e32 v9, -1, v9
	s_delay_alu instid0(VALU_DEP_2) | instskip(NEXT) | instid1(VALU_DEP_1)
	v_add_nc_u32_e32 v8, 32, v8
	v_min_u32_e32 v8, v9, v8
	s_delay_alu instid0(VALU_DEP_1) | instskip(NEXT) | instid1(VALU_DEP_1)
	v_lshlrev_b64 v[6:7], v8, v[6:7]
	v_min_u32_e32 v6, 1, v6
	s_delay_alu instid0(VALU_DEP_1) | instskip(SKIP_1) | instid1(VALU_DEP_2)
	v_or_b32_e32 v6, v7, v6
	v_sub_nc_u32_e32 v7, 32, v8
	v_cvt_f32_i32_e32 v6, v6
	s_delay_alu instid0(VALU_DEP_1) | instskip(NEXT) | instid1(VALU_DEP_1)
	v_ldexp_f32 v6, v6, v7
	v_cvt_f16_f32_e32 v6, v6
	s_branch .LBB408_1345
.LBB408_1342:
	s_mov_b32 s3, -1
                                        ; implicit-def: $vgpr6
	s_branch .LBB408_1351
.LBB408_1343:
	s_mov_b32 s3, -1
                                        ; implicit-def: $vgpr6
	s_branch .LBB408_1348
.LBB408_1344:
	s_mov_b32 s3, -1
                                        ; implicit-def: $vgpr6
.LBB408_1345:
	s_delay_alu instid0(SALU_CYCLE_1)
	s_and_not1_b32 vcc_lo, exec_lo, s3
	s_cbranch_vccnz .LBB408_1347
; %bb.1346:
	global_load_b32 v6, v[0:1], off
	s_waitcnt vmcnt(0)
	v_cvt_f32_i32_e32 v6, v6
	s_delay_alu instid0(VALU_DEP_1)
	v_cvt_f16_f32_e32 v6, v6
.LBB408_1347:
	s_mov_b32 s3, 0
.LBB408_1348:
	s_delay_alu instid0(SALU_CYCLE_1)
	s_and_not1_b32 vcc_lo, exec_lo, s3
	s_cbranch_vccnz .LBB408_1350
; %bb.1349:
	global_load_u16 v6, v[0:1], off
	s_waitcnt vmcnt(0)
	v_cvt_f16_i16_e32 v6, v6
.LBB408_1350:
	s_mov_b32 s3, 0
.LBB408_1351:
	s_delay_alu instid0(SALU_CYCLE_1)
	s_and_not1_b32 vcc_lo, exec_lo, s3
	s_cbranch_vccnz .LBB408_1357
; %bb.1352:
	v_cmp_gt_i16_e64 s3, s9, 0
	s_delay_alu instid0(VALU_DEP_1)
	s_and_b32 vcc_lo, exec_lo, s3
	s_mov_b32 s3, 0
	s_cbranch_vccz .LBB408_1354
; %bb.1353:
	global_load_i8 v6, v[0:1], off
	s_waitcnt vmcnt(0)
	v_cvt_f16_i16_e32 v6, v6
	s_branch .LBB408_1355
.LBB408_1354:
	s_mov_b32 s3, -1
                                        ; implicit-def: $vgpr6
.LBB408_1355:
	s_delay_alu instid0(SALU_CYCLE_1)
	s_and_not1_b32 vcc_lo, exec_lo, s3
	s_cbranch_vccnz .LBB408_1357
; %bb.1356:
	global_load_u8 v0, v[0:1], off
	s_waitcnt vmcnt(0)
	v_cvt_f16_u16_e32 v6, v0
.LBB408_1357:
	s_branch .LBB408_1429
.LBB408_1358:
	s_trap 2
	s_sendmsg_rtn_b32 s0, sendmsg(MSG_RTN_GET_DOORBELL)
	s_mov_b32 ttmp2, m0
	s_waitcnt lgkmcnt(0)
	s_and_b32 s0, s0, 0x3ff
	s_delay_alu instid0(SALU_CYCLE_1) | instskip(NEXT) | instid1(SALU_CYCLE_1)
	s_bitset1_b32 s0, 10
	s_mov_b32 m0, s0
	s_sendmsg sendmsg(MSG_INTERRUPT)
	s_mov_b32 m0, ttmp2
.LBB408_1359:                           ; =>This Inner Loop Header: Depth=1
	s_sethalt 5
	s_branch .LBB408_1359
.LBB408_1360:
	s_mov_b32 s3, -1
	s_mov_b32 s14, 0
.LBB408_1361:
                                        ; implicit-def: $vgpr6
.LBB408_1362:
	s_and_b32 vcc_lo, exec_lo, s15
	s_cbranch_vccz .LBB408_1366
; %bb.1363:
	v_cmp_eq_u16_e64 s3, s9, 44
	s_delay_alu instid0(VALU_DEP_1)
	s_and_b32 vcc_lo, exec_lo, s3
	s_cbranch_vccz .LBB408_1365
; %bb.1364:
	global_load_u8 v6, v[0:1], off
	s_mov_b32 s3, 0
	s_mov_b32 s14, -1
	s_waitcnt vmcnt(0)
	v_lshlrev_b32_e32 v7, 23, v6
	v_cmp_ne_u32_e32 vcc_lo, 0xff, v6
	s_delay_alu instid0(VALU_DEP_2) | instskip(NEXT) | instid1(VALU_DEP_1)
	v_cvt_f16_f32_e32 v7, v7
	v_cndmask_b32_e32 v7, 0x7e00, v7, vcc_lo
	v_cmp_ne_u32_e32 vcc_lo, 0, v6
	s_delay_alu instid0(VALU_DEP_2)
	v_cndmask_b32_e32 v6, 0, v7, vcc_lo
	s_branch .LBB408_1366
.LBB408_1365:
	s_mov_b32 s3, -1
                                        ; implicit-def: $vgpr6
.LBB408_1366:
	s_mov_b32 s15, 0
.LBB408_1367:
	s_delay_alu instid0(SALU_CYCLE_1)
	s_and_b32 vcc_lo, exec_lo, s15
	s_cbranch_vccz .LBB408_1371
; %bb.1368:
	v_cmp_eq_u16_e64 s3, s9, 29
	s_delay_alu instid0(VALU_DEP_1)
	s_and_b32 vcc_lo, exec_lo, s3
	s_cbranch_vccz .LBB408_1370
; %bb.1369:
	global_load_b64 v[6:7], v[0:1], off
	s_mov_b32 s3, 0
	s_mov_b32 s14, -1
	s_mov_b32 s15, 0
	s_waitcnt vmcnt(0)
	v_clz_i32_u32_e32 v8, v7
	s_delay_alu instid0(VALU_DEP_1) | instskip(NEXT) | instid1(VALU_DEP_1)
	v_min_u32_e32 v8, 32, v8
	v_lshlrev_b64 v[6:7], v8, v[6:7]
	s_delay_alu instid0(VALU_DEP_1) | instskip(NEXT) | instid1(VALU_DEP_1)
	v_min_u32_e32 v6, 1, v6
	v_or_b32_e32 v6, v7, v6
	v_sub_nc_u32_e32 v7, 32, v8
	s_delay_alu instid0(VALU_DEP_2) | instskip(NEXT) | instid1(VALU_DEP_1)
	v_cvt_f32_u32_e32 v6, v6
	v_ldexp_f32 v6, v6, v7
	s_delay_alu instid0(VALU_DEP_1)
	v_cvt_f16_f32_e32 v6, v6
	s_branch .LBB408_1372
.LBB408_1370:
	s_mov_b32 s3, -1
                                        ; implicit-def: $vgpr6
.LBB408_1371:
	s_mov_b32 s15, 0
.LBB408_1372:
	s_delay_alu instid0(SALU_CYCLE_1)
	s_and_b32 vcc_lo, exec_lo, s15
	s_cbranch_vccz .LBB408_1390
; %bb.1373:
	v_cmp_lt_i16_e64 s14, s9, 27
	s_delay_alu instid0(VALU_DEP_1)
	s_and_b32 vcc_lo, exec_lo, s14
	s_cbranch_vccnz .LBB408_1376
; %bb.1374:
	v_cmp_gt_i16_e64 s14, s9, 27
	s_delay_alu instid0(VALU_DEP_1)
	s_and_b32 vcc_lo, exec_lo, s14
	s_cbranch_vccz .LBB408_1377
; %bb.1375:
	global_load_b32 v6, v[0:1], off
	s_mov_b32 s14, 0
	s_waitcnt vmcnt(0)
	v_cvt_f32_u32_e32 v6, v6
	s_delay_alu instid0(VALU_DEP_1)
	v_cvt_f16_f32_e32 v6, v6
	s_branch .LBB408_1378
.LBB408_1376:
	s_mov_b32 s14, -1
                                        ; implicit-def: $vgpr6
	s_branch .LBB408_1381
.LBB408_1377:
	s_mov_b32 s14, -1
                                        ; implicit-def: $vgpr6
.LBB408_1378:
	s_delay_alu instid0(SALU_CYCLE_1)
	s_and_not1_b32 vcc_lo, exec_lo, s14
	s_cbranch_vccnz .LBB408_1380
; %bb.1379:
	global_load_u16 v6, v[0:1], off
	s_waitcnt vmcnt(0)
	v_cvt_f16_u16_e32 v6, v6
.LBB408_1380:
	s_mov_b32 s14, 0
.LBB408_1381:
	s_delay_alu instid0(SALU_CYCLE_1)
	s_and_not1_b32 vcc_lo, exec_lo, s14
	s_cbranch_vccnz .LBB408_1389
; %bb.1382:
	global_load_u8 v7, v[0:1], off
	s_mov_b32 s14, 0
	s_mov_b32 s16, exec_lo
                                        ; implicit-def: $sgpr15
	s_waitcnt vmcnt(0)
	v_cmpx_lt_i16_e32 0x7f, v7
	s_xor_b32 s16, exec_lo, s16
	s_cbranch_execz .LBB408_1403
; %bb.1383:
	s_mov_b32 s14, -1
	s_mov_b32 s17, exec_lo
                                        ; implicit-def: $sgpr15
	v_cmpx_eq_u16_e32 0x80, v7
; %bb.1384:
	s_movk_i32 s15, 0x7e00
	s_xor_b32 s14, exec_lo, -1
; %bb.1385:
	s_or_b32 exec_lo, exec_lo, s17
	s_delay_alu instid0(SALU_CYCLE_1)
	s_and_b32 s14, s14, exec_lo
	s_or_saveexec_b32 s16, s16
	v_mov_b32_e32 v6, s15
	s_xor_b32 exec_lo, exec_lo, s16
	s_cbranch_execnz .LBB408_1404
.LBB408_1386:
	s_or_b32 exec_lo, exec_lo, s16
	s_and_saveexec_b32 s15, s14
	s_cbranch_execz .LBB408_1388
.LBB408_1387:
	v_and_b32_e32 v6, 0xffff, v7
	s_delay_alu instid0(VALU_DEP_1) | instskip(NEXT) | instid1(VALU_DEP_1)
	v_and_b32_e32 v8, 7, v6
	v_clz_i32_u32_e32 v9, v8
	s_delay_alu instid0(VALU_DEP_1) | instskip(NEXT) | instid1(VALU_DEP_1)
	v_min_u32_e32 v9, 32, v9
	v_subrev_nc_u32_e32 v10, 28, v9
	v_sub_nc_u32_e32 v9, 29, v9
	s_delay_alu instid0(VALU_DEP_2) | instskip(SKIP_1) | instid1(VALU_DEP_2)
	v_lshlrev_b32_e32 v10, v10, v6
	v_bfe_u32 v6, v6, 3, 4
	v_and_b32_e32 v10, 7, v10
	s_delay_alu instid0(VALU_DEP_2) | instskip(SKIP_1) | instid1(VALU_DEP_1)
	v_cmp_eq_u32_e32 vcc_lo, 0, v6
	v_dual_cndmask_b32 v6, v6, v9 :: v_dual_lshlrev_b32 v7, 24, v7
	v_dual_cndmask_b32 v8, v8, v10 :: v_dual_and_b32 v7, 0x80000000, v7
	s_delay_alu instid0(VALU_DEP_2) | instskip(NEXT) | instid1(VALU_DEP_2)
	v_lshl_add_u32 v6, v6, 23, 0x3b800000
	v_lshlrev_b32_e32 v8, 20, v8
	s_delay_alu instid0(VALU_DEP_1) | instskip(NEXT) | instid1(VALU_DEP_1)
	v_or3_b32 v6, v7, v6, v8
	v_cvt_f16_f32_e32 v6, v6
.LBB408_1388:
	s_or_b32 exec_lo, exec_lo, s15
.LBB408_1389:
	s_mov_b32 s14, -1
.LBB408_1390:
	s_mov_b32 s15, 0
.LBB408_1391:
	s_delay_alu instid0(SALU_CYCLE_1)
	s_and_b32 vcc_lo, exec_lo, s15
	s_cbranch_vccz .LBB408_1424
; %bb.1392:
	v_cmp_gt_i16_e64 s13, s9, 22
	s_delay_alu instid0(VALU_DEP_1)
	s_and_b32 vcc_lo, exec_lo, s13
	s_cbranch_vccz .LBB408_1402
; %bb.1393:
	v_cmp_lt_i16_e64 s13, s9, 24
	s_delay_alu instid0(VALU_DEP_1)
	s_and_b32 vcc_lo, exec_lo, s13
	s_cbranch_vccnz .LBB408_1405
; %bb.1394:
	v_cmp_gt_i16_e64 s13, s9, 24
	s_delay_alu instid0(VALU_DEP_1)
	s_and_b32 vcc_lo, exec_lo, s13
	s_cbranch_vccz .LBB408_1406
; %bb.1395:
	global_load_u8 v7, v[0:1], off
	s_mov_b32 s13, 0
	s_mov_b32 s15, exec_lo
                                        ; implicit-def: $sgpr14
	s_waitcnt vmcnt(0)
	v_cmpx_lt_i16_e32 0x7f, v7
	s_xor_b32 s15, exec_lo, s15
	s_cbranch_execz .LBB408_1418
; %bb.1396:
	s_mov_b32 s13, -1
	s_mov_b32 s16, exec_lo
                                        ; implicit-def: $sgpr14
	v_cmpx_eq_u16_e32 0x80, v7
; %bb.1397:
	s_movk_i32 s14, 0x7e00
	s_xor_b32 s13, exec_lo, -1
; %bb.1398:
	s_or_b32 exec_lo, exec_lo, s16
	s_delay_alu instid0(SALU_CYCLE_1)
	s_and_b32 s13, s13, exec_lo
	s_or_saveexec_b32 s15, s15
	v_mov_b32_e32 v6, s14
	s_xor_b32 exec_lo, exec_lo, s15
	s_cbranch_execnz .LBB408_1419
.LBB408_1399:
	s_or_b32 exec_lo, exec_lo, s15
	s_and_saveexec_b32 s14, s13
	s_cbranch_execz .LBB408_1401
.LBB408_1400:
	v_and_b32_e32 v6, 0xffff, v7
	s_delay_alu instid0(VALU_DEP_1) | instskip(NEXT) | instid1(VALU_DEP_1)
	v_and_b32_e32 v8, 3, v6
	v_clz_i32_u32_e32 v9, v8
	s_delay_alu instid0(VALU_DEP_1) | instskip(NEXT) | instid1(VALU_DEP_1)
	v_min_u32_e32 v9, 32, v9
	v_subrev_nc_u32_e32 v10, 29, v9
	v_sub_nc_u32_e32 v9, 30, v9
	s_delay_alu instid0(VALU_DEP_2) | instskip(SKIP_1) | instid1(VALU_DEP_2)
	v_lshlrev_b32_e32 v10, v10, v6
	v_bfe_u32 v6, v6, 2, 5
	v_and_b32_e32 v10, 3, v10
	s_delay_alu instid0(VALU_DEP_2) | instskip(SKIP_1) | instid1(VALU_DEP_1)
	v_cmp_eq_u32_e32 vcc_lo, 0, v6
	v_dual_cndmask_b32 v6, v6, v9 :: v_dual_lshlrev_b32 v7, 24, v7
	v_dual_cndmask_b32 v8, v8, v10 :: v_dual_and_b32 v7, 0x80000000, v7
	s_delay_alu instid0(VALU_DEP_2) | instskip(NEXT) | instid1(VALU_DEP_2)
	v_lshl_add_u32 v6, v6, 23, 0x37800000
	v_lshlrev_b32_e32 v8, 21, v8
	s_delay_alu instid0(VALU_DEP_1) | instskip(NEXT) | instid1(VALU_DEP_1)
	v_or3_b32 v6, v7, v6, v8
	v_cvt_f16_f32_e32 v6, v6
.LBB408_1401:
	s_or_b32 exec_lo, exec_lo, s14
	s_mov_b32 s13, 0
	s_branch .LBB408_1407
.LBB408_1402:
	s_mov_b32 s13, -1
                                        ; implicit-def: $vgpr6
	s_branch .LBB408_1413
.LBB408_1403:
	s_or_saveexec_b32 s16, s16
	v_mov_b32_e32 v6, s15
	s_xor_b32 exec_lo, exec_lo, s16
	s_cbranch_execz .LBB408_1386
.LBB408_1404:
	v_cmp_ne_u16_e32 vcc_lo, 0, v7
	v_mov_b32_e32 v6, v7
	s_and_not1_b32 s14, s14, exec_lo
	s_and_b32 s15, vcc_lo, exec_lo
	s_delay_alu instid0(SALU_CYCLE_1)
	s_or_b32 s14, s14, s15
	s_or_b32 exec_lo, exec_lo, s16
	s_and_saveexec_b32 s15, s14
	s_cbranch_execnz .LBB408_1387
	s_branch .LBB408_1388
.LBB408_1405:
	s_mov_b32 s13, -1
                                        ; implicit-def: $vgpr6
	s_branch .LBB408_1410
.LBB408_1406:
	s_mov_b32 s13, -1
                                        ; implicit-def: $vgpr6
.LBB408_1407:
	s_delay_alu instid0(SALU_CYCLE_1)
	s_and_b32 vcc_lo, exec_lo, s13
	s_cbranch_vccz .LBB408_1409
; %bb.1408:
	global_load_u8 v6, v[0:1], off
	s_waitcnt vmcnt(0)
	v_lshlrev_b32_e32 v6, 24, v6
	s_delay_alu instid0(VALU_DEP_1) | instskip(NEXT) | instid1(VALU_DEP_1)
	v_and_b32_e32 v7, 0x7f000000, v6
	v_clz_i32_u32_e32 v8, v7
	v_add_nc_u32_e32 v10, 0x1000000, v7
	v_cmp_ne_u32_e32 vcc_lo, 0, v7
	s_delay_alu instid0(VALU_DEP_3) | instskip(NEXT) | instid1(VALU_DEP_1)
	v_min_u32_e32 v8, 32, v8
	v_sub_nc_u32_e64 v8, v8, 4 clamp
	s_delay_alu instid0(VALU_DEP_1) | instskip(SKIP_1) | instid1(VALU_DEP_2)
	v_lshlrev_b32_e32 v9, v8, v7
	v_lshlrev_b32_e32 v8, 23, v8
	v_lshrrev_b32_e32 v9, 4, v9
	s_delay_alu instid0(VALU_DEP_1) | instskip(SKIP_1) | instid1(VALU_DEP_2)
	v_sub_nc_u32_e32 v8, v9, v8
	v_ashrrev_i32_e32 v9, 8, v10
	v_add_nc_u32_e32 v8, 0x3c000000, v8
	s_delay_alu instid0(VALU_DEP_1) | instskip(NEXT) | instid1(VALU_DEP_1)
	v_and_or_b32 v8, 0x7f800000, v9, v8
	v_cndmask_b32_e32 v7, 0, v8, vcc_lo
	s_delay_alu instid0(VALU_DEP_1) | instskip(NEXT) | instid1(VALU_DEP_1)
	v_and_or_b32 v6, 0x80000000, v6, v7
	v_cvt_f16_f32_e32 v6, v6
.LBB408_1409:
	s_mov_b32 s13, 0
.LBB408_1410:
	s_delay_alu instid0(SALU_CYCLE_1)
	s_and_not1_b32 vcc_lo, exec_lo, s13
	s_cbranch_vccnz .LBB408_1412
; %bb.1411:
	global_load_u8 v6, v[0:1], off
	s_waitcnt vmcnt(0)
	v_lshlrev_b32_e32 v7, 25, v6
	v_lshlrev_b16 v6, 8, v6
	s_delay_alu instid0(VALU_DEP_2) | instskip(NEXT) | instid1(VALU_DEP_2)
	v_lshrrev_b32_e32 v8, 4, v7
	v_and_or_b32 v9, 0x7f00, v6, 0.5
	v_bfe_i32 v6, v6, 0, 16
	s_delay_alu instid0(VALU_DEP_3) | instskip(NEXT) | instid1(VALU_DEP_1)
	v_or_b32_e32 v8, 0x70000000, v8
	v_dual_add_f32 v9, -0.5, v9 :: v_dual_mul_f32 v8, 0x7800000, v8
	v_cmp_gt_u32_e32 vcc_lo, 0x8000000, v7
	s_delay_alu instid0(VALU_DEP_2) | instskip(NEXT) | instid1(VALU_DEP_1)
	v_cndmask_b32_e32 v7, v8, v9, vcc_lo
	v_and_or_b32 v6, 0x80000000, v6, v7
	s_delay_alu instid0(VALU_DEP_1)
	v_cvt_f16_f32_e32 v6, v6
.LBB408_1412:
	s_mov_b32 s13, 0
	s_mov_b32 s14, -1
.LBB408_1413:
	s_and_not1_b32 vcc_lo, exec_lo, s13
	s_mov_b32 s13, 0
	s_cbranch_vccnz .LBB408_1424
; %bb.1414:
	v_cmp_gt_i16_e64 s13, s9, 14
	s_delay_alu instid0(VALU_DEP_1)
	s_and_b32 vcc_lo, exec_lo, s13
	s_cbranch_vccz .LBB408_1417
; %bb.1415:
	v_cmp_eq_u16_e64 s3, s9, 15
	s_delay_alu instid0(VALU_DEP_1)
	s_and_b32 vcc_lo, exec_lo, s3
	s_cbranch_vccz .LBB408_1420
; %bb.1416:
	global_load_u16 v6, v[0:1], off
	s_mov_b32 s3, 0
	s_mov_b32 s14, -1
	s_waitcnt vmcnt(0)
	v_lshlrev_b32_e32 v6, 16, v6
	s_delay_alu instid0(VALU_DEP_1)
	v_cvt_f16_f32_e32 v6, v6
	s_branch .LBB408_1421
.LBB408_1417:
	s_mov_b32 s13, -1
                                        ; implicit-def: $vgpr6
	s_branch .LBB408_1422
.LBB408_1418:
	s_or_saveexec_b32 s15, s15
	v_mov_b32_e32 v6, s14
	s_xor_b32 exec_lo, exec_lo, s15
	s_cbranch_execz .LBB408_1399
.LBB408_1419:
	v_cmp_ne_u16_e32 vcc_lo, 0, v7
	v_mov_b32_e32 v6, v7
	s_and_not1_b32 s13, s13, exec_lo
	s_and_b32 s14, vcc_lo, exec_lo
	s_delay_alu instid0(SALU_CYCLE_1)
	s_or_b32 s13, s13, s14
	s_or_b32 exec_lo, exec_lo, s15
	s_and_saveexec_b32 s14, s13
	s_cbranch_execnz .LBB408_1400
	s_branch .LBB408_1401
.LBB408_1420:
	s_mov_b32 s3, -1
                                        ; implicit-def: $vgpr6
.LBB408_1421:
	s_mov_b32 s13, 0
.LBB408_1422:
	s_delay_alu instid0(SALU_CYCLE_1)
	s_and_b32 vcc_lo, exec_lo, s13
	s_mov_b32 s13, 0
	s_cbranch_vccz .LBB408_1424
; %bb.1423:
	v_cmp_ne_u16_e64 s3, s9, 11
	s_mov_b32 s13, -1
                                        ; implicit-def: $vgpr6
.LBB408_1424:
	s_delay_alu instid0(VALU_DEP_1)
	s_and_b32 vcc_lo, exec_lo, s3
	s_cbranch_vccnz .LBB408_1440
; %bb.1425:
	s_and_not1_b32 vcc_lo, exec_lo, s13
	s_cbranch_vccnz .LBB408_1427
.LBB408_1426:
	global_load_u8 v6, v[0:1], off
	s_mov_b32 s14, -1
	s_waitcnt vmcnt(0)
	v_cmp_ne_u16_e32 vcc_lo, 0, v6
	v_cndmask_b32_e64 v6, 0, 0x3c00, vcc_lo
.LBB408_1427:
.LBB408_1428:
	s_and_not1_b32 vcc_lo, exec_lo, s14
	s_cbranch_vccnz .LBB408_1996
.LBB408_1429:
	v_add_nc_u32_e32 v0, s0, v3
	v_cmp_lt_i16_e64 s0, s9, 11
	s_delay_alu instid0(VALU_DEP_2) | instskip(SKIP_1) | instid1(VALU_DEP_2)
	v_ashrrev_i32_e32 v1, 31, v0
	v_add_co_u32 v0, vcc_lo, s6, v0
	v_add_co_ci_u32_e32 v1, vcc_lo, s7, v1, vcc_lo
	s_delay_alu instid0(VALU_DEP_4)
	s_and_b32 vcc_lo, exec_lo, s0
	s_cbranch_vccnz .LBB408_1436
; %bb.1430:
	v_cmp_gt_i16_e64 s0, s9, 25
	s_mov_b32 s3, 0
	s_delay_alu instid0(VALU_DEP_1)
	s_and_b32 vcc_lo, exec_lo, s0
	s_cbranch_vccz .LBB408_1437
; %bb.1431:
	v_cmp_gt_i16_e64 s0, s9, 28
	s_delay_alu instid0(VALU_DEP_1)
	s_and_b32 vcc_lo, exec_lo, s0
	s_cbranch_vccz .LBB408_1438
; %bb.1432:
	v_cmp_gt_i16_e64 s0, s9, 43
	s_delay_alu instid0(VALU_DEP_1)
	s_and_b32 vcc_lo, exec_lo, s0
	s_cbranch_vccz .LBB408_1439
; %bb.1433:
	v_cmp_gt_i16_e64 s0, s9, 45
	s_delay_alu instid0(VALU_DEP_1)
	s_and_b32 vcc_lo, exec_lo, s0
	s_cbranch_vccz .LBB408_1442
; %bb.1434:
	v_cmp_eq_u16_e64 s0, s9, 46
	s_mov_b32 s7, 0
	s_delay_alu instid0(VALU_DEP_1)
	s_and_b32 vcc_lo, exec_lo, s0
	s_cbranch_vccz .LBB408_1445
; %bb.1435:
	global_load_b32 v3, v[0:1], off
	s_mov_b32 s0, 0
	s_mov_b32 s6, -1
	s_waitcnt vmcnt(0)
	v_lshlrev_b32_e32 v3, 16, v3
	s_delay_alu instid0(VALU_DEP_1)
	v_cvt_f16_f32_e32 v7, v3
	s_branch .LBB408_1447
.LBB408_1436:
	s_mov_b32 s0, -1
	s_mov_b32 s6, 0
                                        ; implicit-def: $vgpr7
	s_branch .LBB408_1513
.LBB408_1437:
	s_mov_b32 s7, -1
	s_mov_b32 s6, 0
	s_mov_b32 s0, 0
                                        ; implicit-def: $vgpr7
	s_branch .LBB408_1476
.LBB408_1438:
	s_mov_b32 s7, -1
	s_mov_b32 s6, 0
	s_mov_b32 s0, 0
                                        ; implicit-def: $vgpr7
	s_branch .LBB408_1457
.LBB408_1439:
	s_mov_b32 s7, -1
	s_mov_b32 s6, 0
	s_mov_b32 s0, 0
                                        ; implicit-def: $vgpr7
	s_branch .LBB408_1452
.LBB408_1440:
	s_cbranch_execnz .LBB408_1443
; %bb.1441:
	s_or_b32 s10, s10, exec_lo
                                        ; implicit-def: $vgpr6
	s_cbranch_execz .LBB408_1426
	s_branch .LBB408_1427
.LBB408_1442:
	s_mov_b32 s7, -1
	s_mov_b32 s6, 0
	s_mov_b32 s0, 0
	s_branch .LBB408_1446
.LBB408_1443:
	s_trap 2
	s_sendmsg_rtn_b32 s0, sendmsg(MSG_RTN_GET_DOORBELL)
	s_mov_b32 ttmp2, m0
	s_waitcnt lgkmcnt(0)
	s_and_b32 s0, s0, 0x3ff
	s_delay_alu instid0(SALU_CYCLE_1) | instskip(NEXT) | instid1(SALU_CYCLE_1)
	s_bitset1_b32 s0, 10
	s_mov_b32 m0, s0
	s_sendmsg sendmsg(MSG_INTERRUPT)
	s_mov_b32 m0, ttmp2
.LBB408_1444:                           ; =>This Inner Loop Header: Depth=1
	s_sethalt 5
	s_branch .LBB408_1444
.LBB408_1445:
	s_mov_b32 s0, -1
	s_mov_b32 s6, 0
.LBB408_1446:
                                        ; implicit-def: $vgpr7
.LBB408_1447:
	s_and_b32 vcc_lo, exec_lo, s7
	s_cbranch_vccz .LBB408_1451
; %bb.1448:
	v_cmp_eq_u16_e64 s0, s9, 44
	s_delay_alu instid0(VALU_DEP_1)
	s_and_b32 vcc_lo, exec_lo, s0
	s_cbranch_vccz .LBB408_1450
; %bb.1449:
	global_load_u8 v3, v[0:1], off
	s_mov_b32 s0, 0
	s_mov_b32 s6, -1
	s_waitcnt vmcnt(0)
	v_lshlrev_b32_e32 v7, 23, v3
	v_cmp_ne_u32_e32 vcc_lo, 0xff, v3
	s_delay_alu instid0(VALU_DEP_2) | instskip(NEXT) | instid1(VALU_DEP_1)
	v_cvt_f16_f32_e32 v7, v7
	v_cndmask_b32_e32 v7, 0x7e00, v7, vcc_lo
	v_cmp_ne_u32_e32 vcc_lo, 0, v3
	s_delay_alu instid0(VALU_DEP_2)
	v_cndmask_b32_e32 v7, 0, v7, vcc_lo
	s_branch .LBB408_1451
.LBB408_1450:
	s_mov_b32 s0, -1
                                        ; implicit-def: $vgpr7
.LBB408_1451:
	s_mov_b32 s7, 0
.LBB408_1452:
	s_delay_alu instid0(SALU_CYCLE_1)
	s_and_b32 vcc_lo, exec_lo, s7
	s_cbranch_vccz .LBB408_1456
; %bb.1453:
	v_cmp_eq_u16_e64 s0, s9, 29
	s_delay_alu instid0(VALU_DEP_1)
	s_and_b32 vcc_lo, exec_lo, s0
	s_cbranch_vccz .LBB408_1455
; %bb.1454:
	global_load_b64 v[7:8], v[0:1], off
	s_mov_b32 s0, 0
	s_mov_b32 s6, -1
	s_mov_b32 s7, 0
	s_waitcnt vmcnt(0)
	v_clz_i32_u32_e32 v3, v8
	s_delay_alu instid0(VALU_DEP_1) | instskip(NEXT) | instid1(VALU_DEP_1)
	v_min_u32_e32 v3, 32, v3
	v_lshlrev_b64 v[7:8], v3, v[7:8]
	v_sub_nc_u32_e32 v3, 32, v3
	s_delay_alu instid0(VALU_DEP_2) | instskip(NEXT) | instid1(VALU_DEP_1)
	v_min_u32_e32 v7, 1, v7
	v_or_b32_e32 v7, v8, v7
	s_delay_alu instid0(VALU_DEP_1) | instskip(NEXT) | instid1(VALU_DEP_1)
	v_cvt_f32_u32_e32 v7, v7
	v_ldexp_f32 v3, v7, v3
	s_delay_alu instid0(VALU_DEP_1)
	v_cvt_f16_f32_e32 v7, v3
	s_branch .LBB408_1457
.LBB408_1455:
	s_mov_b32 s0, -1
                                        ; implicit-def: $vgpr7
.LBB408_1456:
	s_mov_b32 s7, 0
.LBB408_1457:
	s_delay_alu instid0(SALU_CYCLE_1)
	s_and_b32 vcc_lo, exec_lo, s7
	s_cbranch_vccz .LBB408_1475
; %bb.1458:
	v_cmp_lt_i16_e64 s6, s9, 27
	s_delay_alu instid0(VALU_DEP_1)
	s_and_b32 vcc_lo, exec_lo, s6
	s_cbranch_vccnz .LBB408_1461
; %bb.1459:
	v_cmp_gt_i16_e64 s6, s9, 27
	s_delay_alu instid0(VALU_DEP_1)
	s_and_b32 vcc_lo, exec_lo, s6
	s_cbranch_vccz .LBB408_1462
; %bb.1460:
	global_load_b32 v3, v[0:1], off
	s_mov_b32 s6, 0
	s_waitcnt vmcnt(0)
	v_cvt_f32_u32_e32 v3, v3
	s_delay_alu instid0(VALU_DEP_1)
	v_cvt_f16_f32_e32 v7, v3
	s_branch .LBB408_1463
.LBB408_1461:
	s_mov_b32 s6, -1
                                        ; implicit-def: $vgpr7
	s_branch .LBB408_1466
.LBB408_1462:
	s_mov_b32 s6, -1
                                        ; implicit-def: $vgpr7
.LBB408_1463:
	s_delay_alu instid0(SALU_CYCLE_1)
	s_and_not1_b32 vcc_lo, exec_lo, s6
	s_cbranch_vccnz .LBB408_1465
; %bb.1464:
	global_load_u16 v3, v[0:1], off
	s_waitcnt vmcnt(0)
	v_cvt_f16_u16_e32 v7, v3
.LBB408_1465:
	s_mov_b32 s6, 0
.LBB408_1466:
	s_delay_alu instid0(SALU_CYCLE_1)
	s_and_not1_b32 vcc_lo, exec_lo, s6
	s_cbranch_vccnz .LBB408_1474
; %bb.1467:
	global_load_u8 v3, v[0:1], off
	s_mov_b32 s6, 0
	s_mov_b32 s13, exec_lo
                                        ; implicit-def: $sgpr7
	s_waitcnt vmcnt(0)
	v_cmpx_lt_i16_e32 0x7f, v3
	s_xor_b32 s13, exec_lo, s13
	s_cbranch_execz .LBB408_1488
; %bb.1468:
	s_mov_b32 s6, -1
	s_mov_b32 s14, exec_lo
                                        ; implicit-def: $sgpr7
	v_cmpx_eq_u16_e32 0x80, v3
; %bb.1469:
	s_movk_i32 s7, 0x7e00
	s_xor_b32 s6, exec_lo, -1
; %bb.1470:
	s_or_b32 exec_lo, exec_lo, s14
	s_delay_alu instid0(SALU_CYCLE_1)
	s_and_b32 s6, s6, exec_lo
	s_or_saveexec_b32 s13, s13
	v_mov_b32_e32 v7, s7
	s_xor_b32 exec_lo, exec_lo, s13
	s_cbranch_execnz .LBB408_1489
.LBB408_1471:
	s_or_b32 exec_lo, exec_lo, s13
	s_and_saveexec_b32 s7, s6
	s_cbranch_execz .LBB408_1473
.LBB408_1472:
	v_and_b32_e32 v7, 0xffff, v3
	v_lshlrev_b32_e32 v3, 24, v3
	s_delay_alu instid0(VALU_DEP_2) | instskip(NEXT) | instid1(VALU_DEP_2)
	v_and_b32_e32 v8, 7, v7
	v_and_b32_e32 v3, 0x80000000, v3
	s_delay_alu instid0(VALU_DEP_2) | instskip(NEXT) | instid1(VALU_DEP_1)
	v_clz_i32_u32_e32 v9, v8
	v_min_u32_e32 v9, 32, v9
	s_delay_alu instid0(VALU_DEP_1) | instskip(SKIP_1) | instid1(VALU_DEP_2)
	v_subrev_nc_u32_e32 v10, 28, v9
	v_sub_nc_u32_e32 v9, 29, v9
	v_lshlrev_b32_e32 v10, v10, v7
	v_bfe_u32 v7, v7, 3, 4
	s_delay_alu instid0(VALU_DEP_2) | instskip(NEXT) | instid1(VALU_DEP_2)
	v_and_b32_e32 v10, 7, v10
	v_cmp_eq_u32_e32 vcc_lo, 0, v7
	s_delay_alu instid0(VALU_DEP_2) | instskip(NEXT) | instid1(VALU_DEP_1)
	v_dual_cndmask_b32 v7, v7, v9 :: v_dual_cndmask_b32 v8, v8, v10
	v_lshl_add_u32 v7, v7, 23, 0x3b800000
	s_delay_alu instid0(VALU_DEP_2) | instskip(NEXT) | instid1(VALU_DEP_1)
	v_lshlrev_b32_e32 v8, 20, v8
	v_or3_b32 v3, v3, v7, v8
	s_delay_alu instid0(VALU_DEP_1)
	v_cvt_f16_f32_e32 v7, v3
.LBB408_1473:
	s_or_b32 exec_lo, exec_lo, s7
.LBB408_1474:
	s_mov_b32 s6, -1
.LBB408_1475:
	s_mov_b32 s7, 0
.LBB408_1476:
	s_delay_alu instid0(SALU_CYCLE_1)
	s_and_b32 vcc_lo, exec_lo, s7
	s_cbranch_vccz .LBB408_1509
; %bb.1477:
	v_cmp_gt_i16_e64 s3, s9, 22
	s_delay_alu instid0(VALU_DEP_1)
	s_and_b32 vcc_lo, exec_lo, s3
	s_cbranch_vccz .LBB408_1487
; %bb.1478:
	v_cmp_lt_i16_e64 s3, s9, 24
	s_delay_alu instid0(VALU_DEP_1)
	s_and_b32 vcc_lo, exec_lo, s3
	s_cbranch_vccnz .LBB408_1490
; %bb.1479:
	v_cmp_gt_i16_e64 s3, s9, 24
	s_delay_alu instid0(VALU_DEP_1)
	s_and_b32 vcc_lo, exec_lo, s3
	s_cbranch_vccz .LBB408_1491
; %bb.1480:
	global_load_u8 v3, v[0:1], off
	s_mov_b32 s3, 0
	s_mov_b32 s7, exec_lo
                                        ; implicit-def: $sgpr6
	s_waitcnt vmcnt(0)
	v_cmpx_lt_i16_e32 0x7f, v3
	s_xor_b32 s7, exec_lo, s7
	s_cbranch_execz .LBB408_1503
; %bb.1481:
	s_mov_b32 s3, -1
	s_mov_b32 s13, exec_lo
                                        ; implicit-def: $sgpr6
	v_cmpx_eq_u16_e32 0x80, v3
; %bb.1482:
	s_movk_i32 s6, 0x7e00
	s_xor_b32 s3, exec_lo, -1
; %bb.1483:
	s_or_b32 exec_lo, exec_lo, s13
	s_delay_alu instid0(SALU_CYCLE_1)
	s_and_b32 s3, s3, exec_lo
	s_or_saveexec_b32 s7, s7
	v_mov_b32_e32 v7, s6
	s_xor_b32 exec_lo, exec_lo, s7
	s_cbranch_execnz .LBB408_1504
.LBB408_1484:
	s_or_b32 exec_lo, exec_lo, s7
	s_and_saveexec_b32 s6, s3
	s_cbranch_execz .LBB408_1486
.LBB408_1485:
	v_and_b32_e32 v7, 0xffff, v3
	v_lshlrev_b32_e32 v3, 24, v3
	s_delay_alu instid0(VALU_DEP_2) | instskip(NEXT) | instid1(VALU_DEP_2)
	v_and_b32_e32 v8, 3, v7
	v_and_b32_e32 v3, 0x80000000, v3
	s_delay_alu instid0(VALU_DEP_2) | instskip(NEXT) | instid1(VALU_DEP_1)
	v_clz_i32_u32_e32 v9, v8
	v_min_u32_e32 v9, 32, v9
	s_delay_alu instid0(VALU_DEP_1) | instskip(SKIP_1) | instid1(VALU_DEP_2)
	v_subrev_nc_u32_e32 v10, 29, v9
	v_sub_nc_u32_e32 v9, 30, v9
	v_lshlrev_b32_e32 v10, v10, v7
	v_bfe_u32 v7, v7, 2, 5
	s_delay_alu instid0(VALU_DEP_2) | instskip(NEXT) | instid1(VALU_DEP_2)
	v_and_b32_e32 v10, 3, v10
	v_cmp_eq_u32_e32 vcc_lo, 0, v7
	s_delay_alu instid0(VALU_DEP_2) | instskip(NEXT) | instid1(VALU_DEP_1)
	v_dual_cndmask_b32 v7, v7, v9 :: v_dual_cndmask_b32 v8, v8, v10
	v_lshl_add_u32 v7, v7, 23, 0x37800000
	s_delay_alu instid0(VALU_DEP_2) | instskip(NEXT) | instid1(VALU_DEP_1)
	v_lshlrev_b32_e32 v8, 21, v8
	v_or3_b32 v3, v3, v7, v8
	s_delay_alu instid0(VALU_DEP_1)
	v_cvt_f16_f32_e32 v7, v3
.LBB408_1486:
	s_or_b32 exec_lo, exec_lo, s6
	s_mov_b32 s3, 0
	s_branch .LBB408_1492
.LBB408_1487:
	s_mov_b32 s3, -1
                                        ; implicit-def: $vgpr7
	s_branch .LBB408_1498
.LBB408_1488:
	s_or_saveexec_b32 s13, s13
	v_mov_b32_e32 v7, s7
	s_xor_b32 exec_lo, exec_lo, s13
	s_cbranch_execz .LBB408_1471
.LBB408_1489:
	v_cmp_ne_u16_e32 vcc_lo, 0, v3
	v_mov_b32_e32 v7, v3
	s_and_not1_b32 s6, s6, exec_lo
	s_and_b32 s7, vcc_lo, exec_lo
	s_delay_alu instid0(SALU_CYCLE_1)
	s_or_b32 s6, s6, s7
	s_or_b32 exec_lo, exec_lo, s13
	s_and_saveexec_b32 s7, s6
	s_cbranch_execnz .LBB408_1472
	s_branch .LBB408_1473
.LBB408_1490:
	s_mov_b32 s3, -1
                                        ; implicit-def: $vgpr7
	s_branch .LBB408_1495
.LBB408_1491:
	s_mov_b32 s3, -1
                                        ; implicit-def: $vgpr7
.LBB408_1492:
	s_delay_alu instid0(SALU_CYCLE_1)
	s_and_b32 vcc_lo, exec_lo, s3
	s_cbranch_vccz .LBB408_1494
; %bb.1493:
	global_load_u8 v3, v[0:1], off
	s_waitcnt vmcnt(0)
	v_lshlrev_b32_e32 v3, 24, v3
	s_delay_alu instid0(VALU_DEP_1) | instskip(NEXT) | instid1(VALU_DEP_1)
	v_and_b32_e32 v7, 0x7f000000, v3
	v_clz_i32_u32_e32 v8, v7
	v_cmp_ne_u32_e32 vcc_lo, 0, v7
	v_add_nc_u32_e32 v10, 0x1000000, v7
	s_delay_alu instid0(VALU_DEP_3) | instskip(NEXT) | instid1(VALU_DEP_1)
	v_min_u32_e32 v8, 32, v8
	v_sub_nc_u32_e64 v8, v8, 4 clamp
	s_delay_alu instid0(VALU_DEP_1) | instskip(SKIP_1) | instid1(VALU_DEP_2)
	v_lshlrev_b32_e32 v9, v8, v7
	v_lshlrev_b32_e32 v8, 23, v8
	v_lshrrev_b32_e32 v9, 4, v9
	s_delay_alu instid0(VALU_DEP_1) | instskip(SKIP_1) | instid1(VALU_DEP_2)
	v_sub_nc_u32_e32 v8, v9, v8
	v_ashrrev_i32_e32 v9, 8, v10
	v_add_nc_u32_e32 v8, 0x3c000000, v8
	s_delay_alu instid0(VALU_DEP_1) | instskip(NEXT) | instid1(VALU_DEP_1)
	v_and_or_b32 v8, 0x7f800000, v9, v8
	v_cndmask_b32_e32 v7, 0, v8, vcc_lo
	s_delay_alu instid0(VALU_DEP_1) | instskip(NEXT) | instid1(VALU_DEP_1)
	v_and_or_b32 v3, 0x80000000, v3, v7
	v_cvt_f16_f32_e32 v7, v3
.LBB408_1494:
	s_mov_b32 s3, 0
.LBB408_1495:
	s_delay_alu instid0(SALU_CYCLE_1)
	s_and_not1_b32 vcc_lo, exec_lo, s3
	s_cbranch_vccnz .LBB408_1497
; %bb.1496:
	global_load_u8 v3, v[0:1], off
	s_waitcnt vmcnt(0)
	v_lshlrev_b32_e32 v7, 25, v3
	v_lshlrev_b16 v3, 8, v3
	s_delay_alu instid0(VALU_DEP_2) | instskip(NEXT) | instid1(VALU_DEP_2)
	v_lshrrev_b32_e32 v8, 4, v7
	v_and_or_b32 v9, 0x7f00, v3, 0.5
	v_bfe_i32 v3, v3, 0, 16
	s_delay_alu instid0(VALU_DEP_3) | instskip(NEXT) | instid1(VALU_DEP_1)
	v_or_b32_e32 v8, 0x70000000, v8
	v_dual_add_f32 v9, -0.5, v9 :: v_dual_mul_f32 v8, 0x7800000, v8
	v_cmp_gt_u32_e32 vcc_lo, 0x8000000, v7
	s_delay_alu instid0(VALU_DEP_2) | instskip(NEXT) | instid1(VALU_DEP_1)
	v_cndmask_b32_e32 v7, v8, v9, vcc_lo
	v_and_or_b32 v3, 0x80000000, v3, v7
	s_delay_alu instid0(VALU_DEP_1)
	v_cvt_f16_f32_e32 v7, v3
.LBB408_1497:
	s_mov_b32 s3, 0
	s_mov_b32 s6, -1
.LBB408_1498:
	s_and_not1_b32 vcc_lo, exec_lo, s3
	s_mov_b32 s3, 0
	s_cbranch_vccnz .LBB408_1509
; %bb.1499:
	v_cmp_gt_i16_e64 s3, s9, 14
	s_delay_alu instid0(VALU_DEP_1)
	s_and_b32 vcc_lo, exec_lo, s3
	s_cbranch_vccz .LBB408_1502
; %bb.1500:
	v_cmp_eq_u16_e64 s0, s9, 15
	s_delay_alu instid0(VALU_DEP_1)
	s_and_b32 vcc_lo, exec_lo, s0
	s_cbranch_vccz .LBB408_1505
; %bb.1501:
	global_load_u16 v3, v[0:1], off
	s_mov_b32 s0, 0
	s_mov_b32 s6, -1
	s_waitcnt vmcnt(0)
	v_lshlrev_b32_e32 v3, 16, v3
	s_delay_alu instid0(VALU_DEP_1)
	v_cvt_f16_f32_e32 v7, v3
	s_branch .LBB408_1506
.LBB408_1502:
	s_mov_b32 s3, -1
                                        ; implicit-def: $vgpr7
	s_branch .LBB408_1507
.LBB408_1503:
	s_or_saveexec_b32 s7, s7
	v_mov_b32_e32 v7, s6
	s_xor_b32 exec_lo, exec_lo, s7
	s_cbranch_execz .LBB408_1484
.LBB408_1504:
	v_cmp_ne_u16_e32 vcc_lo, 0, v3
	v_mov_b32_e32 v7, v3
	s_and_not1_b32 s3, s3, exec_lo
	s_and_b32 s6, vcc_lo, exec_lo
	s_delay_alu instid0(SALU_CYCLE_1)
	s_or_b32 s3, s3, s6
	s_or_b32 exec_lo, exec_lo, s7
	s_and_saveexec_b32 s6, s3
	s_cbranch_execnz .LBB408_1485
	s_branch .LBB408_1486
.LBB408_1505:
	s_mov_b32 s0, -1
                                        ; implicit-def: $vgpr7
.LBB408_1506:
	s_mov_b32 s3, 0
.LBB408_1507:
	s_delay_alu instid0(SALU_CYCLE_1)
	s_and_b32 vcc_lo, exec_lo, s3
	s_mov_b32 s3, 0
	s_cbranch_vccz .LBB408_1509
; %bb.1508:
	v_cmp_ne_u16_e64 s0, s9, 11
	s_mov_b32 s3, -1
                                        ; implicit-def: $vgpr7
.LBB408_1509:
	s_delay_alu instid0(VALU_DEP_1)
	s_and_b32 vcc_lo, exec_lo, s0
	s_cbranch_vccnz .LBB408_2042
; %bb.1510:
	s_and_not1_b32 vcc_lo, exec_lo, s3
	s_cbranch_vccnz .LBB408_1512
.LBB408_1511:
	global_load_u8 v3, v[0:1], off
	s_mov_b32 s6, -1
	s_waitcnt vmcnt(0)
	v_cmp_ne_u16_e32 vcc_lo, 0, v3
	v_cndmask_b32_e64 v7, 0, 0x3c00, vcc_lo
.LBB408_1512:
	s_mov_b32 s0, 0
.LBB408_1513:
	s_delay_alu instid0(SALU_CYCLE_1)
	s_and_b32 vcc_lo, exec_lo, s0
	s_cbranch_vccz .LBB408_1562
; %bb.1514:
	v_cmp_lt_i16_e64 s0, s9, 5
	s_delay_alu instid0(VALU_DEP_1)
	s_and_b32 vcc_lo, exec_lo, s0
	s_cbranch_vccnz .LBB408_1519
; %bb.1515:
	v_cmp_lt_i16_e64 s0, s9, 8
	s_delay_alu instid0(VALU_DEP_1)
	s_and_b32 vcc_lo, exec_lo, s0
	s_cbranch_vccnz .LBB408_1520
	;; [unrolled: 5-line block ×3, first 2 shown]
; %bb.1517:
	v_cmp_gt_i16_e64 s0, s9, 9
	s_delay_alu instid0(VALU_DEP_1)
	s_and_b32 vcc_lo, exec_lo, s0
	s_cbranch_vccz .LBB408_1522
; %bb.1518:
	global_load_b64 v[7:8], v[0:1], off
	s_mov_b32 s0, 0
	s_waitcnt vmcnt(0)
	v_cvt_f32_f64_e32 v3, v[7:8]
	s_delay_alu instid0(VALU_DEP_1)
	v_cvt_f16_f32_e32 v7, v3
	s_branch .LBB408_1523
.LBB408_1519:
	s_mov_b32 s0, -1
                                        ; implicit-def: $vgpr7
	s_branch .LBB408_1541
.LBB408_1520:
	s_mov_b32 s0, -1
                                        ; implicit-def: $vgpr7
	s_branch .LBB408_1529
.LBB408_1521:
	s_mov_b32 s0, -1
                                        ; implicit-def: $vgpr7
	s_branch .LBB408_1526
.LBB408_1522:
	s_mov_b32 s0, -1
                                        ; implicit-def: $vgpr7
.LBB408_1523:
	s_delay_alu instid0(SALU_CYCLE_1)
	s_and_not1_b32 vcc_lo, exec_lo, s0
	s_cbranch_vccnz .LBB408_1525
; %bb.1524:
	global_load_b32 v3, v[0:1], off
	s_waitcnt vmcnt(0)
	v_cvt_f16_f32_e32 v7, v3
.LBB408_1525:
	s_mov_b32 s0, 0
.LBB408_1526:
	s_delay_alu instid0(SALU_CYCLE_1)
	s_and_not1_b32 vcc_lo, exec_lo, s0
	s_cbranch_vccnz .LBB408_1528
; %bb.1527:
	global_load_b32 v7, v[0:1], off
.LBB408_1528:
	s_mov_b32 s0, 0
.LBB408_1529:
	s_delay_alu instid0(SALU_CYCLE_1)
	s_and_not1_b32 vcc_lo, exec_lo, s0
	s_cbranch_vccnz .LBB408_1540
; %bb.1530:
	v_cmp_lt_i16_e64 s0, s9, 6
	s_delay_alu instid0(VALU_DEP_1)
	s_and_b32 vcc_lo, exec_lo, s0
	s_cbranch_vccnz .LBB408_1533
; %bb.1531:
	v_cmp_gt_i16_e64 s0, s9, 6
	s_delay_alu instid0(VALU_DEP_1)
	s_and_b32 vcc_lo, exec_lo, s0
	s_cbranch_vccz .LBB408_1534
; %bb.1532:
	global_load_b64 v[7:8], v[0:1], off
	s_mov_b32 s0, 0
	s_waitcnt vmcnt(0)
	v_cvt_f32_f64_e32 v3, v[7:8]
	s_delay_alu instid0(VALU_DEP_1)
	v_cvt_f16_f32_e32 v7, v3
	s_branch .LBB408_1535
.LBB408_1533:
	s_mov_b32 s0, -1
                                        ; implicit-def: $vgpr7
	s_branch .LBB408_1538
.LBB408_1534:
	s_mov_b32 s0, -1
                                        ; implicit-def: $vgpr7
.LBB408_1535:
	s_delay_alu instid0(SALU_CYCLE_1)
	s_and_not1_b32 vcc_lo, exec_lo, s0
	s_cbranch_vccnz .LBB408_1537
; %bb.1536:
	global_load_b32 v3, v[0:1], off
	s_waitcnt vmcnt(0)
	v_cvt_f16_f32_e32 v7, v3
.LBB408_1537:
	s_mov_b32 s0, 0
.LBB408_1538:
	s_delay_alu instid0(SALU_CYCLE_1)
	s_and_not1_b32 vcc_lo, exec_lo, s0
	s_cbranch_vccnz .LBB408_1540
; %bb.1539:
	global_load_u16 v7, v[0:1], off
.LBB408_1540:
	s_mov_b32 s0, 0
.LBB408_1541:
	s_delay_alu instid0(SALU_CYCLE_1)
	s_and_not1_b32 vcc_lo, exec_lo, s0
	s_cbranch_vccnz .LBB408_1561
; %bb.1542:
	v_cmp_lt_i16_e64 s0, s9, 2
	s_delay_alu instid0(VALU_DEP_1)
	s_and_b32 vcc_lo, exec_lo, s0
	s_cbranch_vccnz .LBB408_1546
; %bb.1543:
	v_cmp_lt_i16_e64 s0, s9, 3
	s_delay_alu instid0(VALU_DEP_1)
	s_and_b32 vcc_lo, exec_lo, s0
	s_cbranch_vccnz .LBB408_1547
; %bb.1544:
	v_cmp_gt_i16_e64 s0, s9, 3
	s_delay_alu instid0(VALU_DEP_1)
	s_and_b32 vcc_lo, exec_lo, s0
	s_cbranch_vccz .LBB408_1548
; %bb.1545:
	global_load_b64 v[7:8], v[0:1], off
	s_mov_b32 s0, 0
	s_waitcnt vmcnt(0)
	v_xor_b32_e32 v3, v7, v8
	v_cls_i32_e32 v9, v8
	s_delay_alu instid0(VALU_DEP_2) | instskip(NEXT) | instid1(VALU_DEP_2)
	v_ashrrev_i32_e32 v3, 31, v3
	v_add_nc_u32_e32 v9, -1, v9
	s_delay_alu instid0(VALU_DEP_2) | instskip(NEXT) | instid1(VALU_DEP_1)
	v_add_nc_u32_e32 v3, 32, v3
	v_min_u32_e32 v3, v9, v3
	s_delay_alu instid0(VALU_DEP_1) | instskip(SKIP_1) | instid1(VALU_DEP_2)
	v_lshlrev_b64 v[7:8], v3, v[7:8]
	v_sub_nc_u32_e32 v3, 32, v3
	v_min_u32_e32 v7, 1, v7
	s_delay_alu instid0(VALU_DEP_1) | instskip(NEXT) | instid1(VALU_DEP_1)
	v_or_b32_e32 v7, v8, v7
	v_cvt_f32_i32_e32 v7, v7
	s_delay_alu instid0(VALU_DEP_1) | instskip(NEXT) | instid1(VALU_DEP_1)
	v_ldexp_f32 v3, v7, v3
	v_cvt_f16_f32_e32 v7, v3
	s_branch .LBB408_1549
.LBB408_1546:
	s_mov_b32 s0, -1
                                        ; implicit-def: $vgpr7
	s_branch .LBB408_1555
.LBB408_1547:
	s_mov_b32 s0, -1
                                        ; implicit-def: $vgpr7
	s_branch .LBB408_1552
.LBB408_1548:
	s_mov_b32 s0, -1
                                        ; implicit-def: $vgpr7
.LBB408_1549:
	s_delay_alu instid0(SALU_CYCLE_1)
	s_and_not1_b32 vcc_lo, exec_lo, s0
	s_cbranch_vccnz .LBB408_1551
; %bb.1550:
	global_load_b32 v3, v[0:1], off
	s_waitcnt vmcnt(0)
	v_cvt_f32_i32_e32 v3, v3
	s_delay_alu instid0(VALU_DEP_1)
	v_cvt_f16_f32_e32 v7, v3
.LBB408_1551:
	s_mov_b32 s0, 0
.LBB408_1552:
	s_delay_alu instid0(SALU_CYCLE_1)
	s_and_not1_b32 vcc_lo, exec_lo, s0
	s_cbranch_vccnz .LBB408_1554
; %bb.1553:
	global_load_u16 v3, v[0:1], off
	s_waitcnt vmcnt(0)
	v_cvt_f16_i16_e32 v7, v3
.LBB408_1554:
	s_mov_b32 s0, 0
.LBB408_1555:
	s_delay_alu instid0(SALU_CYCLE_1)
	s_and_not1_b32 vcc_lo, exec_lo, s0
	s_cbranch_vccnz .LBB408_1561
; %bb.1556:
	v_cmp_gt_i16_e64 s0, s9, 0
	s_delay_alu instid0(VALU_DEP_1)
	s_and_b32 vcc_lo, exec_lo, s0
	s_mov_b32 s0, 0
	s_cbranch_vccz .LBB408_1558
; %bb.1557:
	global_load_i8 v3, v[0:1], off
	s_waitcnt vmcnt(0)
	v_cvt_f16_i16_e32 v7, v3
	s_branch .LBB408_1559
.LBB408_1558:
	s_mov_b32 s0, -1
                                        ; implicit-def: $vgpr7
.LBB408_1559:
	s_delay_alu instid0(SALU_CYCLE_1)
	s_and_not1_b32 vcc_lo, exec_lo, s0
	s_cbranch_vccnz .LBB408_1561
; %bb.1560:
	global_load_u8 v0, v[0:1], off
	s_waitcnt vmcnt(0)
	v_cvt_f16_u16_e32 v7, v0
.LBB408_1561:
	s_mov_b32 s6, -1
.LBB408_1562:
	s_delay_alu instid0(SALU_CYCLE_1)
	s_and_not1_b32 vcc_lo, exec_lo, s6
	s_cbranch_vccnz .LBB408_1996
; %bb.1563:
	v_mul_lo_u32 v2, s2, v2
	s_waitcnt vmcnt(0)
	v_cmp_u_f16_e32 vcc_lo, v4, v4
	v_cmp_lt_f16_e64 s0, s8, v4
	v_and_b32_e64 v3, 0xff, s1
	s_delay_alu instid0(VALU_DEP_2) | instskip(NEXT) | instid1(VALU_DEP_4)
	s_or_b32 vcc_lo, vcc_lo, s0
	v_ashrrev_i32_e32 v1, 31, v2
	v_cndmask_b32_e32 v4, s8, v4, vcc_lo
	s_delay_alu instid0(VALU_DEP_3) | instskip(SKIP_1) | instid1(VALU_DEP_1)
	v_cmp_gt_i16_e32 vcc_lo, 11, v3
	v_add_co_u32 v0, s0, s4, v2
	v_add_co_ci_u32_e64 v1, s0, s5, v1, s0
	s_cbranch_vccnz .LBB408_1641
; %bb.1564:
	v_cmp_lt_i16_e32 vcc_lo, 25, v3
	s_mov_b32 s6, -1
	s_mov_b32 s1, 0
	s_mov_b32 s3, 0
	s_mov_b32 s0, 0
	s_cbranch_vccz .LBB408_1597
; %bb.1565:
	v_cmp_lt_i16_e32 vcc_lo, 28, v3
	s_cbranch_vccz .LBB408_1580
; %bb.1566:
	v_cmp_lt_i16_e32 vcc_lo, 43, v3
	;; [unrolled: 3-line block ×3, first 2 shown]
	s_cbranch_vccz .LBB408_1570
; %bb.1568:
	v_cmp_eq_u16_e32 vcc_lo, 46, v3
	s_mov_b32 s0, -1
	s_mov_b32 s6, 0
	s_cbranch_vccz .LBB408_1570
; %bb.1569:
	v_cvt_f32_f16_e32 v8, v4
	v_cmp_o_f16_e32 vcc_lo, v4, v4
	s_mov_b32 s0, 0
	s_mov_b32 s3, -1
	s_delay_alu instid0(VALU_DEP_2) | instskip(NEXT) | instid1(VALU_DEP_1)
	v_bfe_u32 v9, v8, 16, 1
	v_add3_u32 v8, v8, v9, 0x7fff
	s_delay_alu instid0(VALU_DEP_1) | instskip(NEXT) | instid1(VALU_DEP_1)
	v_lshrrev_b32_e32 v8, 16, v8
	v_cndmask_b32_e32 v8, 0x7fc0, v8, vcc_lo
	global_store_b32 v[0:1], v8, off
.LBB408_1570:
	s_and_b32 vcc_lo, exec_lo, s6
	s_cbranch_vccz .LBB408_1575
; %bb.1571:
	v_cmp_eq_u16_e32 vcc_lo, 44, v3
	s_mov_b32 s0, -1
	s_cbranch_vccz .LBB408_1575
; %bb.1572:
	v_cvt_f32_f16_e32 v8, v4
	v_mov_b32_e32 v9, 0xff
	s_mov_b32 s3, exec_lo
	s_delay_alu instid0(VALU_DEP_2) | instskip(NEXT) | instid1(VALU_DEP_1)
	v_bfe_u32 v10, v8, 23, 8
	v_cmpx_ne_u32_e32 0xff, v10
; %bb.1573:
	v_and_b32_e32 v9, 0x400000, v8
	v_and_or_b32 v10, 0x3fffff, v8, v10
	v_lshrrev_b32_e32 v8, 23, v8
	s_delay_alu instid0(VALU_DEP_3) | instskip(NEXT) | instid1(VALU_DEP_3)
	v_cmp_ne_u32_e32 vcc_lo, 0, v9
	v_cmp_ne_u32_e64 s0, 0, v10
	s_delay_alu instid0(VALU_DEP_1) | instskip(NEXT) | instid1(SALU_CYCLE_1)
	s_and_b32 s0, vcc_lo, s0
	v_cndmask_b32_e64 v9, 0, 1, s0
	s_delay_alu instid0(VALU_DEP_1)
	v_add_nc_u32_e32 v9, v8, v9
; %bb.1574:
	s_or_b32 exec_lo, exec_lo, s3
	s_mov_b32 s0, 0
	s_mov_b32 s3, -1
	global_store_b8 v[0:1], v9, off
.LBB408_1575:
	s_mov_b32 s6, 0
.LBB408_1576:
	s_delay_alu instid0(SALU_CYCLE_1)
	s_and_b32 vcc_lo, exec_lo, s6
	s_cbranch_vccz .LBB408_1579
; %bb.1577:
	v_cmp_eq_u16_e32 vcc_lo, 29, v3
	s_mov_b32 s0, -1
	s_cbranch_vccz .LBB408_1579
; %bb.1578:
	v_cvt_f32_f16_e32 v8, v4
	v_mov_b32_e32 v9, 0
	s_mov_b32 s0, 0
	s_mov_b32 s3, -1
	s_delay_alu instid0(VALU_DEP_2)
	v_cvt_u32_f32_e32 v8, v8
	global_store_b64 v[0:1], v[8:9], off
.LBB408_1579:
	s_mov_b32 s6, 0
.LBB408_1580:
	s_delay_alu instid0(SALU_CYCLE_1)
	s_and_b32 vcc_lo, exec_lo, s6
	s_cbranch_vccz .LBB408_1596
; %bb.1581:
	v_cmp_gt_i16_e32 vcc_lo, 27, v3
	s_mov_b32 s3, -1
	s_cbranch_vccnz .LBB408_1587
; %bb.1582:
	v_cmp_lt_i16_e32 vcc_lo, 27, v3
	s_cbranch_vccz .LBB408_1584
; %bb.1583:
	v_cvt_f32_f16_e32 v8, v4
	s_mov_b32 s3, 0
	s_delay_alu instid0(VALU_DEP_1)
	v_cvt_u32_f32_e32 v8, v8
	global_store_b32 v[0:1], v8, off
.LBB408_1584:
	s_and_not1_b32 vcc_lo, exec_lo, s3
	s_cbranch_vccnz .LBB408_1586
; %bb.1585:
	v_cvt_u16_f16_e32 v8, v4
	global_store_b16 v[0:1], v8, off
.LBB408_1586:
	s_mov_b32 s3, 0
.LBB408_1587:
	s_delay_alu instid0(SALU_CYCLE_1)
	s_and_not1_b32 vcc_lo, exec_lo, s3
	s_cbranch_vccnz .LBB408_1595
; %bb.1588:
	v_cvt_f32_f16_e32 v8, v4
	v_mov_b32_e32 v10, 0x80
	s_mov_b32 s3, exec_lo
	s_delay_alu instid0(VALU_DEP_2) | instskip(NEXT) | instid1(VALU_DEP_1)
	v_and_b32_e32 v9, 0x7fffffff, v8
	v_cmpx_gt_u32_e32 0x43800000, v9
	s_cbranch_execz .LBB408_1594
; %bb.1589:
	v_cmp_lt_u32_e32 vcc_lo, 0x3bffffff, v9
	s_mov_b32 s6, 0
                                        ; implicit-def: $vgpr9
	s_and_saveexec_b32 s7, vcc_lo
	s_delay_alu instid0(SALU_CYCLE_1)
	s_xor_b32 s7, exec_lo, s7
	s_cbranch_execz .LBB408_2044
; %bb.1590:
	v_bfe_u32 v9, v8, 20, 1
	s_mov_b32 s6, exec_lo
	s_delay_alu instid0(VALU_DEP_1) | instskip(NEXT) | instid1(VALU_DEP_1)
	v_add3_u32 v9, v8, v9, 0x487ffff
	v_lshrrev_b32_e32 v9, 20, v9
	s_or_saveexec_b32 s7, s7
                                        ; implicit-def: $sgpr9
	s_delay_alu instid0(SALU_CYCLE_1)
	s_xor_b32 exec_lo, exec_lo, s7
	s_cbranch_execnz .LBB408_2045
.LBB408_1591:
	s_or_b32 exec_lo, exec_lo, s7
	v_mov_b32_e32 v10, s9
	s_and_saveexec_b32 s7, s6
.LBB408_1592:
	v_lshrrev_b32_e32 v8, 24, v8
	s_delay_alu instid0(VALU_DEP_1)
	v_and_or_b32 v10, 0x80, v8, v9
.LBB408_1593:
	s_or_b32 exec_lo, exec_lo, s7
.LBB408_1594:
	s_delay_alu instid0(SALU_CYCLE_1)
	s_or_b32 exec_lo, exec_lo, s3
	global_store_b8 v[0:1], v10, off
.LBB408_1595:
	s_mov_b32 s3, -1
.LBB408_1596:
	s_mov_b32 s6, 0
.LBB408_1597:
	s_delay_alu instid0(SALU_CYCLE_1)
	s_and_b32 vcc_lo, exec_lo, s6
	s_cbranch_vccz .LBB408_1637
; %bb.1598:
	v_cmp_lt_i16_e32 vcc_lo, 22, v3
	s_mov_b32 s1, -1
	s_cbranch_vccz .LBB408_1630
; %bb.1599:
	v_cmp_gt_i16_e32 vcc_lo, 24, v3
	s_cbranch_vccnz .LBB408_1619
; %bb.1600:
	v_cmp_lt_i16_e32 vcc_lo, 24, v3
	s_cbranch_vccz .LBB408_1608
; %bb.1601:
	v_cvt_f32_f16_e32 v8, v4
	v_mov_b32_e32 v10, 0x80
	s_mov_b32 s1, exec_lo
	s_delay_alu instid0(VALU_DEP_2) | instskip(NEXT) | instid1(VALU_DEP_1)
	v_and_b32_e32 v9, 0x7fffffff, v8
	v_cmpx_gt_u32_e32 0x47800000, v9
	s_cbranch_execz .LBB408_1607
; %bb.1602:
	v_cmp_lt_u32_e32 vcc_lo, 0x37ffffff, v9
	s_mov_b32 s3, 0
                                        ; implicit-def: $vgpr9
	s_and_saveexec_b32 s6, vcc_lo
	s_delay_alu instid0(SALU_CYCLE_1)
	s_xor_b32 s6, exec_lo, s6
	s_cbranch_execz .LBB408_2050
; %bb.1603:
	v_bfe_u32 v9, v8, 21, 1
	s_mov_b32 s3, exec_lo
	s_delay_alu instid0(VALU_DEP_1) | instskip(NEXT) | instid1(VALU_DEP_1)
	v_add3_u32 v9, v8, v9, 0x88fffff
	v_lshrrev_b32_e32 v9, 21, v9
	s_or_saveexec_b32 s6, s6
                                        ; implicit-def: $sgpr7
	s_delay_alu instid0(SALU_CYCLE_1)
	s_xor_b32 exec_lo, exec_lo, s6
	s_cbranch_execnz .LBB408_2051
.LBB408_1604:
	s_or_b32 exec_lo, exec_lo, s6
	v_mov_b32_e32 v10, s7
	s_and_saveexec_b32 s6, s3
.LBB408_1605:
	v_lshrrev_b32_e32 v8, 24, v8
	s_delay_alu instid0(VALU_DEP_1)
	v_and_or_b32 v10, 0x80, v8, v9
.LBB408_1606:
	s_or_b32 exec_lo, exec_lo, s6
.LBB408_1607:
	s_delay_alu instid0(SALU_CYCLE_1)
	s_or_b32 exec_lo, exec_lo, s1
	s_mov_b32 s1, 0
	global_store_b8 v[0:1], v10, off
.LBB408_1608:
	s_and_b32 vcc_lo, exec_lo, s1
	s_cbranch_vccz .LBB408_1618
; %bb.1609:
	v_cvt_f32_f16_e32 v8, v4
	s_mov_b32 s1, exec_lo
                                        ; implicit-def: $vgpr9
	s_delay_alu instid0(VALU_DEP_1) | instskip(NEXT) | instid1(VALU_DEP_1)
	v_and_b32_e32 v10, 0x7fffffff, v8
	v_cmpx_gt_u32_e32 0x43f00000, v10
	s_xor_b32 s1, exec_lo, s1
	s_cbranch_execz .LBB408_1615
; %bb.1610:
	s_mov_b32 s3, exec_lo
                                        ; implicit-def: $vgpr9
	v_cmpx_lt_u32_e32 0x3c7fffff, v10
	s_xor_b32 s3, exec_lo, s3
; %bb.1611:
	v_bfe_u32 v9, v8, 20, 1
	s_delay_alu instid0(VALU_DEP_1) | instskip(NEXT) | instid1(VALU_DEP_1)
	v_add3_u32 v9, v8, v9, 0x407ffff
	v_and_b32_e32 v10, 0xff00000, v9
	v_lshrrev_b32_e32 v9, 20, v9
	s_delay_alu instid0(VALU_DEP_2) | instskip(NEXT) | instid1(VALU_DEP_2)
	v_cmp_ne_u32_e32 vcc_lo, 0x7f00000, v10
	v_cndmask_b32_e32 v9, 0x7e, v9, vcc_lo
; %bb.1612:
	s_and_not1_saveexec_b32 s3, s3
; %bb.1613:
	v_add_f32_e64 v9, 0x46800000, |v8|
; %bb.1614:
	s_or_b32 exec_lo, exec_lo, s3
                                        ; implicit-def: $vgpr10
.LBB408_1615:
	s_and_not1_saveexec_b32 s1, s1
; %bb.1616:
	v_mov_b32_e32 v9, 0x7f
	v_cmp_lt_u32_e32 vcc_lo, 0x7f800000, v10
	s_delay_alu instid0(VALU_DEP_2)
	v_cndmask_b32_e32 v9, 0x7e, v9, vcc_lo
; %bb.1617:
	s_or_b32 exec_lo, exec_lo, s1
	v_lshrrev_b32_e32 v8, 24, v8
	s_delay_alu instid0(VALU_DEP_1)
	v_and_or_b32 v8, 0x80, v8, v9
	global_store_b8 v[0:1], v8, off
.LBB408_1618:
	s_mov_b32 s1, 0
.LBB408_1619:
	s_delay_alu instid0(SALU_CYCLE_1)
	s_and_not1_b32 vcc_lo, exec_lo, s1
	s_cbranch_vccnz .LBB408_1629
; %bb.1620:
	v_cvt_f32_f16_e32 v8, v4
	s_mov_b32 s1, exec_lo
                                        ; implicit-def: $vgpr9
	s_delay_alu instid0(VALU_DEP_1) | instskip(NEXT) | instid1(VALU_DEP_1)
	v_and_b32_e32 v10, 0x7fffffff, v8
	v_cmpx_gt_u32_e32 0x47800000, v10
	s_xor_b32 s1, exec_lo, s1
	s_cbranch_execz .LBB408_1626
; %bb.1621:
	s_mov_b32 s3, exec_lo
                                        ; implicit-def: $vgpr9
	v_cmpx_lt_u32_e32 0x387fffff, v10
	s_xor_b32 s3, exec_lo, s3
; %bb.1622:
	v_bfe_u32 v9, v8, 21, 1
	s_delay_alu instid0(VALU_DEP_1) | instskip(NEXT) | instid1(VALU_DEP_1)
	v_add3_u32 v9, v8, v9, 0x80fffff
	v_lshrrev_b32_e32 v9, 21, v9
; %bb.1623:
	s_and_not1_saveexec_b32 s3, s3
; %bb.1624:
	v_add_f32_e64 v9, 0x43000000, |v8|
; %bb.1625:
	s_or_b32 exec_lo, exec_lo, s3
                                        ; implicit-def: $vgpr10
.LBB408_1626:
	s_and_not1_saveexec_b32 s1, s1
; %bb.1627:
	v_mov_b32_e32 v9, 0x7f
	v_cmp_lt_u32_e32 vcc_lo, 0x7f800000, v10
	s_delay_alu instid0(VALU_DEP_2)
	v_cndmask_b32_e32 v9, 0x7c, v9, vcc_lo
; %bb.1628:
	s_or_b32 exec_lo, exec_lo, s1
	v_lshrrev_b32_e32 v8, 24, v8
	s_delay_alu instid0(VALU_DEP_1)
	v_and_or_b32 v8, 0x80, v8, v9
	global_store_b8 v[0:1], v8, off
.LBB408_1629:
	s_mov_b32 s1, 0
	s_mov_b32 s3, -1
.LBB408_1630:
	s_and_not1_b32 vcc_lo, exec_lo, s1
	s_mov_b32 s1, 0
	s_cbranch_vccnz .LBB408_1637
; %bb.1631:
	v_cmp_lt_i16_e32 vcc_lo, 14, v3
	s_mov_b32 s1, -1
	s_cbranch_vccz .LBB408_1635
; %bb.1632:
	v_cmp_eq_u16_e32 vcc_lo, 15, v3
	s_mov_b32 s0, -1
	s_cbranch_vccz .LBB408_1634
; %bb.1633:
	v_cvt_f32_f16_e32 v8, v4
	v_cmp_o_f16_e32 vcc_lo, v4, v4
	s_mov_b32 s0, 0
	s_mov_b32 s3, -1
	s_delay_alu instid0(VALU_DEP_2) | instskip(NEXT) | instid1(VALU_DEP_1)
	v_bfe_u32 v9, v8, 16, 1
	v_add3_u32 v8, v8, v9, 0x7fff
	s_delay_alu instid0(VALU_DEP_1) | instskip(NEXT) | instid1(VALU_DEP_1)
	v_lshrrev_b32_e32 v8, 16, v8
	v_cndmask_b32_e32 v8, 0x7fc0, v8, vcc_lo
	global_store_b16 v[0:1], v8, off
.LBB408_1634:
	s_mov_b32 s1, 0
.LBB408_1635:
	s_delay_alu instid0(SALU_CYCLE_1)
	s_and_b32 vcc_lo, exec_lo, s1
	s_mov_b32 s1, 0
	s_cbranch_vccz .LBB408_1637
; %bb.1636:
	v_cmp_ne_u16_e64 s0, 11, v3
	s_mov_b32 s1, -1
.LBB408_1637:
	s_delay_alu instid0(VALU_DEP_1)
	s_and_b32 vcc_lo, exec_lo, s0
	s_cbranch_vccnz .LBB408_2048
; %bb.1638:
	s_and_not1_b32 vcc_lo, exec_lo, s1
	s_cbranch_vccnz .LBB408_1640
.LBB408_1639:
	v_and_b32_e32 v8, 0x7fff, v4
	s_mov_b32 s3, -1
	s_delay_alu instid0(VALU_DEP_1)
	v_cmp_ne_u16_e32 vcc_lo, 0, v8
	v_cndmask_b32_e64 v8, 0, 1, vcc_lo
	global_store_b8 v[0:1], v8, off
.LBB408_1640:
	s_mov_b32 s0, 0
	s_branch .LBB408_1642
.LBB408_1641:
	s_mov_b32 s0, -1
	s_mov_b32 s3, 0
.LBB408_1642:
	s_and_b32 vcc_lo, exec_lo, s0
	s_cbranch_vccz .LBB408_1681
; %bb.1643:
	v_cmp_gt_i16_e32 vcc_lo, 5, v3
	s_mov_b32 s0, -1
	s_cbranch_vccnz .LBB408_1664
; %bb.1644:
	v_cmp_gt_i16_e32 vcc_lo, 8, v3
	s_cbranch_vccnz .LBB408_1654
; %bb.1645:
	v_cmp_gt_i16_e32 vcc_lo, 9, v3
	s_cbranch_vccnz .LBB408_1651
; %bb.1646:
	v_cmp_lt_i16_e32 vcc_lo, 9, v3
	s_cbranch_vccz .LBB408_1648
; %bb.1647:
	v_cvt_f32_f16_e32 v8, v4
	v_mov_b32_e32 v10, 0
	s_mov_b32 s0, 0
	s_delay_alu instid0(VALU_DEP_2) | instskip(NEXT) | instid1(VALU_DEP_2)
	v_cvt_f64_f32_e32 v[8:9], v8
	v_mov_b32_e32 v11, v10
	global_store_b128 v[0:1], v[8:11], off
.LBB408_1648:
	s_and_not1_b32 vcc_lo, exec_lo, s0
	s_cbranch_vccnz .LBB408_1650
; %bb.1649:
	v_cvt_f32_f16_e32 v8, v4
	v_mov_b32_e32 v9, 0
	global_store_b64 v[0:1], v[8:9], off
.LBB408_1650:
	s_mov_b32 s0, 0
.LBB408_1651:
	s_delay_alu instid0(SALU_CYCLE_1)
	s_and_not1_b32 vcc_lo, exec_lo, s0
	s_cbranch_vccnz .LBB408_1653
; %bb.1652:
	v_and_b32_e32 v8, 0xffff, v4
	global_store_b32 v[0:1], v8, off
.LBB408_1653:
	s_mov_b32 s0, 0
.LBB408_1654:
	s_delay_alu instid0(SALU_CYCLE_1)
	s_and_not1_b32 vcc_lo, exec_lo, s0
	s_cbranch_vccnz .LBB408_1663
; %bb.1655:
	v_cmp_gt_i16_e32 vcc_lo, 6, v3
	s_mov_b32 s0, -1
	s_cbranch_vccnz .LBB408_1661
; %bb.1656:
	v_cmp_lt_i16_e32 vcc_lo, 6, v3
	s_cbranch_vccz .LBB408_1658
; %bb.1657:
	v_cvt_f32_f16_e32 v8, v4
	s_mov_b32 s0, 0
	s_delay_alu instid0(VALU_DEP_1)
	v_cvt_f64_f32_e32 v[8:9], v8
	global_store_b64 v[0:1], v[8:9], off
.LBB408_1658:
	s_and_not1_b32 vcc_lo, exec_lo, s0
	s_cbranch_vccnz .LBB408_1660
; %bb.1659:
	v_cvt_f32_f16_e32 v8, v4
	global_store_b32 v[0:1], v8, off
.LBB408_1660:
	s_mov_b32 s0, 0
.LBB408_1661:
	s_delay_alu instid0(SALU_CYCLE_1)
	s_and_not1_b32 vcc_lo, exec_lo, s0
	s_cbranch_vccnz .LBB408_1663
; %bb.1662:
	global_store_b16 v[0:1], v4, off
.LBB408_1663:
	s_mov_b32 s0, 0
.LBB408_1664:
	s_delay_alu instid0(SALU_CYCLE_1)
	s_and_not1_b32 vcc_lo, exec_lo, s0
	s_cbranch_vccnz .LBB408_1680
; %bb.1665:
	v_cmp_gt_i16_e32 vcc_lo, 2, v3
	s_mov_b32 s0, -1
	s_cbranch_vccnz .LBB408_1675
; %bb.1666:
	v_cmp_gt_i16_e32 vcc_lo, 3, v3
	s_cbranch_vccnz .LBB408_1672
; %bb.1667:
	v_cmp_lt_i16_e32 vcc_lo, 3, v3
	s_cbranch_vccz .LBB408_1669
; %bb.1668:
	v_cvt_f32_f16_e32 v8, v4
	s_mov_b32 s0, 0
	s_delay_alu instid0(VALU_DEP_1) | instskip(NEXT) | instid1(VALU_DEP_1)
	v_cvt_i32_f32_e32 v8, v8
	v_ashrrev_i32_e32 v9, 31, v8
	global_store_b64 v[0:1], v[8:9], off
.LBB408_1669:
	s_and_not1_b32 vcc_lo, exec_lo, s0
	s_cbranch_vccnz .LBB408_1671
; %bb.1670:
	v_cvt_f32_f16_e32 v8, v4
	s_delay_alu instid0(VALU_DEP_1)
	v_cvt_i32_f32_e32 v8, v8
	global_store_b32 v[0:1], v8, off
.LBB408_1671:
	s_mov_b32 s0, 0
.LBB408_1672:
	s_delay_alu instid0(SALU_CYCLE_1)
	s_and_not1_b32 vcc_lo, exec_lo, s0
	s_cbranch_vccnz .LBB408_1674
; %bb.1673:
	v_cvt_i16_f16_e32 v8, v4
	global_store_b16 v[0:1], v8, off
.LBB408_1674:
	s_mov_b32 s0, 0
.LBB408_1675:
	s_delay_alu instid0(SALU_CYCLE_1)
	s_and_not1_b32 vcc_lo, exec_lo, s0
	s_cbranch_vccnz .LBB408_1680
; %bb.1676:
	v_cmp_lt_i16_e32 vcc_lo, 0, v3
	s_mov_b32 s0, -1
	s_cbranch_vccz .LBB408_1678
; %bb.1677:
	v_cvt_i16_f16_e32 v8, v4
	s_mov_b32 s0, 0
	global_store_b8 v[0:1], v8, off
.LBB408_1678:
	s_and_not1_b32 vcc_lo, exec_lo, s0
	s_cbranch_vccnz .LBB408_1680
; %bb.1679:
	v_cvt_f32_f16_e32 v4, v4
	s_delay_alu instid0(VALU_DEP_1)
	v_cvt_i32_f32_e32 v4, v4
	global_store_b8 v[0:1], v4, off
.LBB408_1680:
	s_mov_b32 s3, -1
.LBB408_1681:
	s_delay_alu instid0(SALU_CYCLE_1)
	s_and_not1_b32 vcc_lo, exec_lo, s3
	s_cbranch_vccnz .LBB408_1996
; %bb.1682:
	s_lshl_b32 s2, s2, 7
	v_cmp_u_f16_e32 vcc_lo, v5, v5
	v_add_nc_u32_e32 v2, s2, v2
	v_cmp_lt_f16_e64 s0, s8, v5
	v_cmp_gt_i16_e64 s1, 11, v3
	s_delay_alu instid0(VALU_DEP_3) | instskip(NEXT) | instid1(VALU_DEP_3)
	v_ashrrev_i32_e32 v1, 31, v2
	s_or_b32 vcc_lo, vcc_lo, s0
	v_cndmask_b32_e32 v4, s8, v5, vcc_lo
	v_add_co_u32 v0, vcc_lo, s4, v2
	s_delay_alu instid0(VALU_DEP_3)
	v_add_co_ci_u32_e32 v1, vcc_lo, s5, v1, vcc_lo
	s_and_b32 vcc_lo, exec_lo, s1
	s_cbranch_vccnz .LBB408_1760
; %bb.1683:
	v_cmp_lt_i16_e32 vcc_lo, 25, v3
	s_mov_b32 s6, -1
	s_mov_b32 s1, 0
	s_mov_b32 s3, 0
	;; [unrolled: 1-line block ×3, first 2 shown]
	s_cbranch_vccz .LBB408_1716
; %bb.1684:
	v_cmp_lt_i16_e32 vcc_lo, 28, v3
	s_cbranch_vccz .LBB408_1699
; %bb.1685:
	v_cmp_lt_i16_e32 vcc_lo, 43, v3
	;; [unrolled: 3-line block ×3, first 2 shown]
	s_cbranch_vccz .LBB408_1689
; %bb.1687:
	v_cmp_eq_u16_e32 vcc_lo, 46, v3
	s_mov_b32 s0, -1
	s_mov_b32 s6, 0
	s_cbranch_vccz .LBB408_1689
; %bb.1688:
	v_cvt_f32_f16_e32 v5, v4
	v_cmp_o_f16_e32 vcc_lo, v4, v4
	s_mov_b32 s0, 0
	s_mov_b32 s3, -1
	s_delay_alu instid0(VALU_DEP_2) | instskip(NEXT) | instid1(VALU_DEP_1)
	v_bfe_u32 v8, v5, 16, 1
	v_add3_u32 v5, v5, v8, 0x7fff
	s_delay_alu instid0(VALU_DEP_1) | instskip(NEXT) | instid1(VALU_DEP_1)
	v_lshrrev_b32_e32 v5, 16, v5
	v_cndmask_b32_e32 v5, 0x7fc0, v5, vcc_lo
	global_store_b32 v[0:1], v5, off
.LBB408_1689:
	s_and_b32 vcc_lo, exec_lo, s6
	s_cbranch_vccz .LBB408_1694
; %bb.1690:
	v_cmp_eq_u16_e32 vcc_lo, 44, v3
	s_mov_b32 s0, -1
	s_cbranch_vccz .LBB408_1694
; %bb.1691:
	v_cvt_f32_f16_e32 v5, v4
	v_mov_b32_e32 v8, 0xff
	s_mov_b32 s3, exec_lo
	s_delay_alu instid0(VALU_DEP_2) | instskip(NEXT) | instid1(VALU_DEP_1)
	v_bfe_u32 v9, v5, 23, 8
	v_cmpx_ne_u32_e32 0xff, v9
; %bb.1692:
	v_and_b32_e32 v8, 0x400000, v5
	v_and_or_b32 v9, 0x3fffff, v5, v9
	v_lshrrev_b32_e32 v5, 23, v5
	s_delay_alu instid0(VALU_DEP_3) | instskip(NEXT) | instid1(VALU_DEP_3)
	v_cmp_ne_u32_e32 vcc_lo, 0, v8
	v_cmp_ne_u32_e64 s0, 0, v9
	s_delay_alu instid0(VALU_DEP_1) | instskip(NEXT) | instid1(SALU_CYCLE_1)
	s_and_b32 s0, vcc_lo, s0
	v_cndmask_b32_e64 v8, 0, 1, s0
	s_delay_alu instid0(VALU_DEP_1)
	v_add_nc_u32_e32 v8, v5, v8
; %bb.1693:
	s_or_b32 exec_lo, exec_lo, s3
	s_mov_b32 s0, 0
	s_mov_b32 s3, -1
	global_store_b8 v[0:1], v8, off
.LBB408_1694:
	s_mov_b32 s6, 0
.LBB408_1695:
	s_delay_alu instid0(SALU_CYCLE_1)
	s_and_b32 vcc_lo, exec_lo, s6
	s_cbranch_vccz .LBB408_1698
; %bb.1696:
	v_cmp_eq_u16_e32 vcc_lo, 29, v3
	s_mov_b32 s0, -1
	s_cbranch_vccz .LBB408_1698
; %bb.1697:
	v_cvt_f32_f16_e32 v5, v4
	v_mov_b32_e32 v9, 0
	s_mov_b32 s0, 0
	s_mov_b32 s3, -1
	s_delay_alu instid0(VALU_DEP_2)
	v_cvt_u32_f32_e32 v8, v5
	global_store_b64 v[0:1], v[8:9], off
.LBB408_1698:
	s_mov_b32 s6, 0
.LBB408_1699:
	s_delay_alu instid0(SALU_CYCLE_1)
	s_and_b32 vcc_lo, exec_lo, s6
	s_cbranch_vccz .LBB408_1715
; %bb.1700:
	v_cmp_gt_i16_e32 vcc_lo, 27, v3
	s_mov_b32 s3, -1
	s_cbranch_vccnz .LBB408_1706
; %bb.1701:
	v_cmp_lt_i16_e32 vcc_lo, 27, v3
	s_cbranch_vccz .LBB408_1703
; %bb.1702:
	v_cvt_f32_f16_e32 v5, v4
	s_mov_b32 s3, 0
	s_delay_alu instid0(VALU_DEP_1)
	v_cvt_u32_f32_e32 v5, v5
	global_store_b32 v[0:1], v5, off
.LBB408_1703:
	s_and_not1_b32 vcc_lo, exec_lo, s3
	s_cbranch_vccnz .LBB408_1705
; %bb.1704:
	v_cvt_u16_f16_e32 v5, v4
	global_store_b16 v[0:1], v5, off
.LBB408_1705:
	s_mov_b32 s3, 0
.LBB408_1706:
	s_delay_alu instid0(SALU_CYCLE_1)
	s_and_not1_b32 vcc_lo, exec_lo, s3
	s_cbranch_vccnz .LBB408_1714
; %bb.1707:
	v_cvt_f32_f16_e32 v5, v4
	v_mov_b32_e32 v9, 0x80
	s_mov_b32 s3, exec_lo
	s_delay_alu instid0(VALU_DEP_2) | instskip(NEXT) | instid1(VALU_DEP_1)
	v_and_b32_e32 v8, 0x7fffffff, v5
	v_cmpx_gt_u32_e32 0x43800000, v8
	s_cbranch_execz .LBB408_1713
; %bb.1708:
	v_cmp_lt_u32_e32 vcc_lo, 0x3bffffff, v8
	s_mov_b32 s6, 0
                                        ; implicit-def: $vgpr8
	s_and_saveexec_b32 s7, vcc_lo
	s_delay_alu instid0(SALU_CYCLE_1)
	s_xor_b32 s7, exec_lo, s7
	s_cbranch_execz .LBB408_2052
; %bb.1709:
	v_bfe_u32 v8, v5, 20, 1
	s_mov_b32 s6, exec_lo
	s_delay_alu instid0(VALU_DEP_1) | instskip(NEXT) | instid1(VALU_DEP_1)
	v_add3_u32 v8, v5, v8, 0x487ffff
	v_lshrrev_b32_e32 v8, 20, v8
	s_or_saveexec_b32 s7, s7
                                        ; implicit-def: $sgpr9
	s_delay_alu instid0(SALU_CYCLE_1)
	s_xor_b32 exec_lo, exec_lo, s7
	s_cbranch_execnz .LBB408_2053
.LBB408_1710:
	s_or_b32 exec_lo, exec_lo, s7
	v_mov_b32_e32 v9, s9
	s_and_saveexec_b32 s7, s6
.LBB408_1711:
	v_lshrrev_b32_e32 v5, 24, v5
	s_delay_alu instid0(VALU_DEP_1)
	v_and_or_b32 v9, 0x80, v5, v8
.LBB408_1712:
	s_or_b32 exec_lo, exec_lo, s7
.LBB408_1713:
	s_delay_alu instid0(SALU_CYCLE_1)
	s_or_b32 exec_lo, exec_lo, s3
	global_store_b8 v[0:1], v9, off
.LBB408_1714:
	s_mov_b32 s3, -1
.LBB408_1715:
	s_mov_b32 s6, 0
.LBB408_1716:
	s_delay_alu instid0(SALU_CYCLE_1)
	s_and_b32 vcc_lo, exec_lo, s6
	s_cbranch_vccz .LBB408_1756
; %bb.1717:
	v_cmp_lt_i16_e32 vcc_lo, 22, v3
	s_mov_b32 s1, -1
	s_cbranch_vccz .LBB408_1749
; %bb.1718:
	v_cmp_gt_i16_e32 vcc_lo, 24, v3
	s_cbranch_vccnz .LBB408_1738
; %bb.1719:
	v_cmp_lt_i16_e32 vcc_lo, 24, v3
	s_cbranch_vccz .LBB408_1727
; %bb.1720:
	v_cvt_f32_f16_e32 v5, v4
	v_mov_b32_e32 v9, 0x80
	s_mov_b32 s1, exec_lo
	s_delay_alu instid0(VALU_DEP_2) | instskip(NEXT) | instid1(VALU_DEP_1)
	v_and_b32_e32 v8, 0x7fffffff, v5
	v_cmpx_gt_u32_e32 0x47800000, v8
	s_cbranch_execz .LBB408_1726
; %bb.1721:
	v_cmp_lt_u32_e32 vcc_lo, 0x37ffffff, v8
	s_mov_b32 s3, 0
                                        ; implicit-def: $vgpr8
	s_and_saveexec_b32 s6, vcc_lo
	s_delay_alu instid0(SALU_CYCLE_1)
	s_xor_b32 s6, exec_lo, s6
	s_cbranch_execz .LBB408_2058
; %bb.1722:
	v_bfe_u32 v8, v5, 21, 1
	s_mov_b32 s3, exec_lo
	s_delay_alu instid0(VALU_DEP_1) | instskip(NEXT) | instid1(VALU_DEP_1)
	v_add3_u32 v8, v5, v8, 0x88fffff
	v_lshrrev_b32_e32 v8, 21, v8
	s_or_saveexec_b32 s6, s6
                                        ; implicit-def: $sgpr7
	s_delay_alu instid0(SALU_CYCLE_1)
	s_xor_b32 exec_lo, exec_lo, s6
	s_cbranch_execnz .LBB408_2059
.LBB408_1723:
	s_or_b32 exec_lo, exec_lo, s6
	v_mov_b32_e32 v9, s7
	s_and_saveexec_b32 s6, s3
.LBB408_1724:
	v_lshrrev_b32_e32 v5, 24, v5
	s_delay_alu instid0(VALU_DEP_1)
	v_and_or_b32 v9, 0x80, v5, v8
.LBB408_1725:
	s_or_b32 exec_lo, exec_lo, s6
.LBB408_1726:
	s_delay_alu instid0(SALU_CYCLE_1)
	s_or_b32 exec_lo, exec_lo, s1
	s_mov_b32 s1, 0
	global_store_b8 v[0:1], v9, off
.LBB408_1727:
	s_and_b32 vcc_lo, exec_lo, s1
	s_cbranch_vccz .LBB408_1737
; %bb.1728:
	v_cvt_f32_f16_e32 v5, v4
	s_mov_b32 s1, exec_lo
                                        ; implicit-def: $vgpr8
	s_delay_alu instid0(VALU_DEP_1) | instskip(NEXT) | instid1(VALU_DEP_1)
	v_and_b32_e32 v9, 0x7fffffff, v5
	v_cmpx_gt_u32_e32 0x43f00000, v9
	s_xor_b32 s1, exec_lo, s1
	s_cbranch_execz .LBB408_1734
; %bb.1729:
	s_mov_b32 s3, exec_lo
                                        ; implicit-def: $vgpr8
	v_cmpx_lt_u32_e32 0x3c7fffff, v9
	s_xor_b32 s3, exec_lo, s3
; %bb.1730:
	v_bfe_u32 v8, v5, 20, 1
	s_delay_alu instid0(VALU_DEP_1) | instskip(NEXT) | instid1(VALU_DEP_1)
	v_add3_u32 v8, v5, v8, 0x407ffff
	v_and_b32_e32 v9, 0xff00000, v8
	v_lshrrev_b32_e32 v8, 20, v8
	s_delay_alu instid0(VALU_DEP_2) | instskip(NEXT) | instid1(VALU_DEP_2)
	v_cmp_ne_u32_e32 vcc_lo, 0x7f00000, v9
	v_cndmask_b32_e32 v8, 0x7e, v8, vcc_lo
; %bb.1731:
	s_and_not1_saveexec_b32 s3, s3
; %bb.1732:
	v_add_f32_e64 v8, 0x46800000, |v5|
; %bb.1733:
	s_or_b32 exec_lo, exec_lo, s3
                                        ; implicit-def: $vgpr9
.LBB408_1734:
	s_and_not1_saveexec_b32 s1, s1
; %bb.1735:
	v_mov_b32_e32 v8, 0x7f
	v_cmp_lt_u32_e32 vcc_lo, 0x7f800000, v9
	s_delay_alu instid0(VALU_DEP_2)
	v_cndmask_b32_e32 v8, 0x7e, v8, vcc_lo
; %bb.1736:
	s_or_b32 exec_lo, exec_lo, s1
	v_lshrrev_b32_e32 v5, 24, v5
	s_delay_alu instid0(VALU_DEP_1)
	v_and_or_b32 v5, 0x80, v5, v8
	global_store_b8 v[0:1], v5, off
.LBB408_1737:
	s_mov_b32 s1, 0
.LBB408_1738:
	s_delay_alu instid0(SALU_CYCLE_1)
	s_and_not1_b32 vcc_lo, exec_lo, s1
	s_cbranch_vccnz .LBB408_1748
; %bb.1739:
	v_cvt_f32_f16_e32 v5, v4
	s_mov_b32 s1, exec_lo
                                        ; implicit-def: $vgpr8
	s_delay_alu instid0(VALU_DEP_1) | instskip(NEXT) | instid1(VALU_DEP_1)
	v_and_b32_e32 v9, 0x7fffffff, v5
	v_cmpx_gt_u32_e32 0x47800000, v9
	s_xor_b32 s1, exec_lo, s1
	s_cbranch_execz .LBB408_1745
; %bb.1740:
	s_mov_b32 s3, exec_lo
                                        ; implicit-def: $vgpr8
	v_cmpx_lt_u32_e32 0x387fffff, v9
	s_xor_b32 s3, exec_lo, s3
; %bb.1741:
	v_bfe_u32 v8, v5, 21, 1
	s_delay_alu instid0(VALU_DEP_1) | instskip(NEXT) | instid1(VALU_DEP_1)
	v_add3_u32 v8, v5, v8, 0x80fffff
	v_lshrrev_b32_e32 v8, 21, v8
; %bb.1742:
	s_and_not1_saveexec_b32 s3, s3
; %bb.1743:
	v_add_f32_e64 v8, 0x43000000, |v5|
; %bb.1744:
	s_or_b32 exec_lo, exec_lo, s3
                                        ; implicit-def: $vgpr9
.LBB408_1745:
	s_and_not1_saveexec_b32 s1, s1
; %bb.1746:
	v_mov_b32_e32 v8, 0x7f
	v_cmp_lt_u32_e32 vcc_lo, 0x7f800000, v9
	s_delay_alu instid0(VALU_DEP_2)
	v_cndmask_b32_e32 v8, 0x7c, v8, vcc_lo
; %bb.1747:
	s_or_b32 exec_lo, exec_lo, s1
	v_lshrrev_b32_e32 v5, 24, v5
	s_delay_alu instid0(VALU_DEP_1)
	v_and_or_b32 v5, 0x80, v5, v8
	global_store_b8 v[0:1], v5, off
.LBB408_1748:
	s_mov_b32 s1, 0
	s_mov_b32 s3, -1
.LBB408_1749:
	s_and_not1_b32 vcc_lo, exec_lo, s1
	s_mov_b32 s1, 0
	s_cbranch_vccnz .LBB408_1756
; %bb.1750:
	v_cmp_lt_i16_e32 vcc_lo, 14, v3
	s_mov_b32 s1, -1
	s_cbranch_vccz .LBB408_1754
; %bb.1751:
	v_cmp_eq_u16_e32 vcc_lo, 15, v3
	s_mov_b32 s0, -1
	s_cbranch_vccz .LBB408_1753
; %bb.1752:
	v_cvt_f32_f16_e32 v5, v4
	v_cmp_o_f16_e32 vcc_lo, v4, v4
	s_mov_b32 s0, 0
	s_mov_b32 s3, -1
	s_delay_alu instid0(VALU_DEP_2) | instskip(NEXT) | instid1(VALU_DEP_1)
	v_bfe_u32 v8, v5, 16, 1
	v_add3_u32 v5, v5, v8, 0x7fff
	s_delay_alu instid0(VALU_DEP_1) | instskip(NEXT) | instid1(VALU_DEP_1)
	v_lshrrev_b32_e32 v5, 16, v5
	v_cndmask_b32_e32 v5, 0x7fc0, v5, vcc_lo
	global_store_b16 v[0:1], v5, off
.LBB408_1753:
	s_mov_b32 s1, 0
.LBB408_1754:
	s_delay_alu instid0(SALU_CYCLE_1)
	s_and_b32 vcc_lo, exec_lo, s1
	s_mov_b32 s1, 0
	s_cbranch_vccz .LBB408_1756
; %bb.1755:
	v_cmp_ne_u16_e64 s0, 11, v3
	s_mov_b32 s1, -1
.LBB408_1756:
	s_delay_alu instid0(VALU_DEP_1)
	s_and_b32 vcc_lo, exec_lo, s0
	s_cbranch_vccnz .LBB408_2056
; %bb.1757:
	s_and_not1_b32 vcc_lo, exec_lo, s1
	s_cbranch_vccnz .LBB408_1759
.LBB408_1758:
	v_and_b32_e32 v5, 0x7fff, v4
	s_mov_b32 s3, -1
	s_delay_alu instid0(VALU_DEP_1)
	v_cmp_ne_u16_e32 vcc_lo, 0, v5
	v_cndmask_b32_e64 v5, 0, 1, vcc_lo
	global_store_b8 v[0:1], v5, off
.LBB408_1759:
	s_mov_b32 s0, 0
	s_branch .LBB408_1761
.LBB408_1760:
	s_mov_b32 s0, -1
	s_mov_b32 s3, 0
.LBB408_1761:
	s_and_b32 vcc_lo, exec_lo, s0
	s_cbranch_vccz .LBB408_1800
; %bb.1762:
	v_cmp_gt_i16_e32 vcc_lo, 5, v3
	s_mov_b32 s0, -1
	s_cbranch_vccnz .LBB408_1783
; %bb.1763:
	v_cmp_gt_i16_e32 vcc_lo, 8, v3
	s_cbranch_vccnz .LBB408_1773
; %bb.1764:
	v_cmp_gt_i16_e32 vcc_lo, 9, v3
	s_cbranch_vccnz .LBB408_1770
; %bb.1765:
	v_cmp_lt_i16_e32 vcc_lo, 9, v3
	s_cbranch_vccz .LBB408_1767
; %bb.1766:
	v_cvt_f32_f16_e32 v5, v4
	v_mov_b32_e32 v10, 0
	s_mov_b32 s0, 0
	s_delay_alu instid0(VALU_DEP_2) | instskip(NEXT) | instid1(VALU_DEP_2)
	v_cvt_f64_f32_e32 v[8:9], v5
	v_mov_b32_e32 v11, v10
	global_store_b128 v[0:1], v[8:11], off
.LBB408_1767:
	s_and_not1_b32 vcc_lo, exec_lo, s0
	s_cbranch_vccnz .LBB408_1769
; %bb.1768:
	v_cvt_f32_f16_e32 v8, v4
	v_mov_b32_e32 v9, 0
	global_store_b64 v[0:1], v[8:9], off
.LBB408_1769:
	s_mov_b32 s0, 0
.LBB408_1770:
	s_delay_alu instid0(SALU_CYCLE_1)
	s_and_not1_b32 vcc_lo, exec_lo, s0
	s_cbranch_vccnz .LBB408_1772
; %bb.1771:
	v_and_b32_e32 v5, 0xffff, v4
	global_store_b32 v[0:1], v5, off
.LBB408_1772:
	s_mov_b32 s0, 0
.LBB408_1773:
	s_delay_alu instid0(SALU_CYCLE_1)
	s_and_not1_b32 vcc_lo, exec_lo, s0
	s_cbranch_vccnz .LBB408_1782
; %bb.1774:
	v_cmp_gt_i16_e32 vcc_lo, 6, v3
	s_mov_b32 s0, -1
	s_cbranch_vccnz .LBB408_1780
; %bb.1775:
	v_cmp_lt_i16_e32 vcc_lo, 6, v3
	s_cbranch_vccz .LBB408_1777
; %bb.1776:
	v_cvt_f32_f16_e32 v5, v4
	s_mov_b32 s0, 0
	s_delay_alu instid0(VALU_DEP_1)
	v_cvt_f64_f32_e32 v[8:9], v5
	global_store_b64 v[0:1], v[8:9], off
.LBB408_1777:
	s_and_not1_b32 vcc_lo, exec_lo, s0
	s_cbranch_vccnz .LBB408_1779
; %bb.1778:
	v_cvt_f32_f16_e32 v5, v4
	global_store_b32 v[0:1], v5, off
.LBB408_1779:
	s_mov_b32 s0, 0
.LBB408_1780:
	s_delay_alu instid0(SALU_CYCLE_1)
	s_and_not1_b32 vcc_lo, exec_lo, s0
	s_cbranch_vccnz .LBB408_1782
; %bb.1781:
	global_store_b16 v[0:1], v4, off
.LBB408_1782:
	s_mov_b32 s0, 0
.LBB408_1783:
	s_delay_alu instid0(SALU_CYCLE_1)
	s_and_not1_b32 vcc_lo, exec_lo, s0
	s_cbranch_vccnz .LBB408_1799
; %bb.1784:
	v_cmp_gt_i16_e32 vcc_lo, 2, v3
	s_mov_b32 s0, -1
	s_cbranch_vccnz .LBB408_1794
; %bb.1785:
	v_cmp_gt_i16_e32 vcc_lo, 3, v3
	s_cbranch_vccnz .LBB408_1791
; %bb.1786:
	v_cmp_lt_i16_e32 vcc_lo, 3, v3
	s_cbranch_vccz .LBB408_1788
; %bb.1787:
	v_cvt_f32_f16_e32 v5, v4
	s_mov_b32 s0, 0
	s_delay_alu instid0(VALU_DEP_1) | instskip(NEXT) | instid1(VALU_DEP_1)
	v_cvt_i32_f32_e32 v8, v5
	v_ashrrev_i32_e32 v9, 31, v8
	global_store_b64 v[0:1], v[8:9], off
.LBB408_1788:
	s_and_not1_b32 vcc_lo, exec_lo, s0
	s_cbranch_vccnz .LBB408_1790
; %bb.1789:
	v_cvt_f32_f16_e32 v5, v4
	s_delay_alu instid0(VALU_DEP_1)
	v_cvt_i32_f32_e32 v5, v5
	global_store_b32 v[0:1], v5, off
.LBB408_1790:
	s_mov_b32 s0, 0
.LBB408_1791:
	s_delay_alu instid0(SALU_CYCLE_1)
	s_and_not1_b32 vcc_lo, exec_lo, s0
	s_cbranch_vccnz .LBB408_1793
; %bb.1792:
	v_cvt_i16_f16_e32 v5, v4
	global_store_b16 v[0:1], v5, off
.LBB408_1793:
	s_mov_b32 s0, 0
.LBB408_1794:
	s_delay_alu instid0(SALU_CYCLE_1)
	s_and_not1_b32 vcc_lo, exec_lo, s0
	s_cbranch_vccnz .LBB408_1799
; %bb.1795:
	v_cmp_lt_i16_e32 vcc_lo, 0, v3
	s_mov_b32 s0, -1
	s_cbranch_vccz .LBB408_1797
; %bb.1796:
	v_cvt_i16_f16_e32 v5, v4
	s_mov_b32 s0, 0
	global_store_b8 v[0:1], v5, off
.LBB408_1797:
	s_and_not1_b32 vcc_lo, exec_lo, s0
	s_cbranch_vccnz .LBB408_1799
; %bb.1798:
	v_cvt_f32_f16_e32 v4, v4
	s_delay_alu instid0(VALU_DEP_1)
	v_cvt_i32_f32_e32 v4, v4
	global_store_b8 v[0:1], v4, off
.LBB408_1799:
	s_mov_b32 s3, -1
.LBB408_1800:
	s_delay_alu instid0(SALU_CYCLE_1)
	s_and_not1_b32 vcc_lo, exec_lo, s3
	s_cbranch_vccnz .LBB408_1996
; %bb.1801:
	v_add_nc_u32_e32 v2, s2, v2
	v_cmp_u_f16_e32 vcc_lo, v6, v6
	v_cmp_lt_f16_e64 s0, s8, v6
	v_cmp_gt_i16_e64 s1, 11, v3
	s_delay_alu instid0(VALU_DEP_4) | instskip(NEXT) | instid1(VALU_DEP_3)
	v_ashrrev_i32_e32 v1, 31, v2
	s_or_b32 vcc_lo, vcc_lo, s0
	v_cndmask_b32_e32 v4, s8, v6, vcc_lo
	v_add_co_u32 v0, vcc_lo, s4, v2
	s_delay_alu instid0(VALU_DEP_3)
	v_add_co_ci_u32_e32 v1, vcc_lo, s5, v1, vcc_lo
	s_and_b32 vcc_lo, exec_lo, s1
	s_cbranch_vccnz .LBB408_1879
; %bb.1802:
	v_cmp_lt_i16_e32 vcc_lo, 25, v3
	s_mov_b32 s6, -1
	s_mov_b32 s1, 0
	s_mov_b32 s3, 0
	;; [unrolled: 1-line block ×3, first 2 shown]
	s_cbranch_vccz .LBB408_1835
; %bb.1803:
	v_cmp_lt_i16_e32 vcc_lo, 28, v3
	s_cbranch_vccz .LBB408_1818
; %bb.1804:
	v_cmp_lt_i16_e32 vcc_lo, 43, v3
	;; [unrolled: 3-line block ×3, first 2 shown]
	s_cbranch_vccz .LBB408_1808
; %bb.1806:
	v_cmp_eq_u16_e32 vcc_lo, 46, v3
	s_mov_b32 s0, -1
	s_mov_b32 s6, 0
	s_cbranch_vccz .LBB408_1808
; %bb.1807:
	v_cvt_f32_f16_e32 v5, v4
	v_cmp_o_f16_e32 vcc_lo, v4, v4
	s_mov_b32 s0, 0
	s_mov_b32 s3, -1
	s_delay_alu instid0(VALU_DEP_2) | instskip(NEXT) | instid1(VALU_DEP_1)
	v_bfe_u32 v6, v5, 16, 1
	v_add3_u32 v5, v5, v6, 0x7fff
	s_delay_alu instid0(VALU_DEP_1) | instskip(NEXT) | instid1(VALU_DEP_1)
	v_lshrrev_b32_e32 v5, 16, v5
	v_cndmask_b32_e32 v5, 0x7fc0, v5, vcc_lo
	global_store_b32 v[0:1], v5, off
.LBB408_1808:
	s_and_b32 vcc_lo, exec_lo, s6
	s_cbranch_vccz .LBB408_1813
; %bb.1809:
	v_cmp_eq_u16_e32 vcc_lo, 44, v3
	s_mov_b32 s0, -1
	s_cbranch_vccz .LBB408_1813
; %bb.1810:
	v_cvt_f32_f16_e32 v5, v4
	v_mov_b32_e32 v6, 0xff
	s_mov_b32 s3, exec_lo
	s_delay_alu instid0(VALU_DEP_2) | instskip(NEXT) | instid1(VALU_DEP_1)
	v_bfe_u32 v8, v5, 23, 8
	v_cmpx_ne_u32_e32 0xff, v8
; %bb.1811:
	v_and_b32_e32 v6, 0x400000, v5
	v_and_or_b32 v8, 0x3fffff, v5, v8
	v_lshrrev_b32_e32 v5, 23, v5
	s_delay_alu instid0(VALU_DEP_3) | instskip(NEXT) | instid1(VALU_DEP_3)
	v_cmp_ne_u32_e32 vcc_lo, 0, v6
	v_cmp_ne_u32_e64 s0, 0, v8
	s_delay_alu instid0(VALU_DEP_1) | instskip(NEXT) | instid1(SALU_CYCLE_1)
	s_and_b32 s0, vcc_lo, s0
	v_cndmask_b32_e64 v6, 0, 1, s0
	s_delay_alu instid0(VALU_DEP_1)
	v_add_nc_u32_e32 v6, v5, v6
; %bb.1812:
	s_or_b32 exec_lo, exec_lo, s3
	s_mov_b32 s0, 0
	s_mov_b32 s3, -1
	global_store_b8 v[0:1], v6, off
.LBB408_1813:
	s_mov_b32 s6, 0
.LBB408_1814:
	s_delay_alu instid0(SALU_CYCLE_1)
	s_and_b32 vcc_lo, exec_lo, s6
	s_cbranch_vccz .LBB408_1817
; %bb.1815:
	v_cmp_eq_u16_e32 vcc_lo, 29, v3
	s_mov_b32 s0, -1
	s_cbranch_vccz .LBB408_1817
; %bb.1816:
	v_cvt_f32_f16_e32 v5, v4
	v_mov_b32_e32 v6, 0
	s_mov_b32 s0, 0
	s_mov_b32 s3, -1
	s_delay_alu instid0(VALU_DEP_2)
	v_cvt_u32_f32_e32 v5, v5
	global_store_b64 v[0:1], v[5:6], off
.LBB408_1817:
	s_mov_b32 s6, 0
.LBB408_1818:
	s_delay_alu instid0(SALU_CYCLE_1)
	s_and_b32 vcc_lo, exec_lo, s6
	s_cbranch_vccz .LBB408_1834
; %bb.1819:
	v_cmp_gt_i16_e32 vcc_lo, 27, v3
	s_mov_b32 s3, -1
	s_cbranch_vccnz .LBB408_1825
; %bb.1820:
	v_cmp_lt_i16_e32 vcc_lo, 27, v3
	s_cbranch_vccz .LBB408_1822
; %bb.1821:
	v_cvt_f32_f16_e32 v5, v4
	s_mov_b32 s3, 0
	s_delay_alu instid0(VALU_DEP_1)
	v_cvt_u32_f32_e32 v5, v5
	global_store_b32 v[0:1], v5, off
.LBB408_1822:
	s_and_not1_b32 vcc_lo, exec_lo, s3
	s_cbranch_vccnz .LBB408_1824
; %bb.1823:
	v_cvt_u16_f16_e32 v5, v4
	global_store_b16 v[0:1], v5, off
.LBB408_1824:
	s_mov_b32 s3, 0
.LBB408_1825:
	s_delay_alu instid0(SALU_CYCLE_1)
	s_and_not1_b32 vcc_lo, exec_lo, s3
	s_cbranch_vccnz .LBB408_1833
; %bb.1826:
	v_cvt_f32_f16_e32 v5, v4
	v_mov_b32_e32 v8, 0x80
	s_mov_b32 s3, exec_lo
	s_delay_alu instid0(VALU_DEP_2) | instskip(NEXT) | instid1(VALU_DEP_1)
	v_and_b32_e32 v6, 0x7fffffff, v5
	v_cmpx_gt_u32_e32 0x43800000, v6
	s_cbranch_execz .LBB408_1832
; %bb.1827:
	v_cmp_lt_u32_e32 vcc_lo, 0x3bffffff, v6
	s_mov_b32 s6, 0
                                        ; implicit-def: $vgpr6
	s_and_saveexec_b32 s7, vcc_lo
	s_delay_alu instid0(SALU_CYCLE_1)
	s_xor_b32 s7, exec_lo, s7
	s_cbranch_execz .LBB408_2060
; %bb.1828:
	v_bfe_u32 v6, v5, 20, 1
	s_mov_b32 s6, exec_lo
	s_delay_alu instid0(VALU_DEP_1) | instskip(NEXT) | instid1(VALU_DEP_1)
	v_add3_u32 v6, v5, v6, 0x487ffff
	v_lshrrev_b32_e32 v6, 20, v6
	s_or_saveexec_b32 s7, s7
                                        ; implicit-def: $sgpr9
	s_delay_alu instid0(SALU_CYCLE_1)
	s_xor_b32 exec_lo, exec_lo, s7
	s_cbranch_execnz .LBB408_2061
.LBB408_1829:
	s_or_b32 exec_lo, exec_lo, s7
	v_mov_b32_e32 v8, s9
	s_and_saveexec_b32 s7, s6
.LBB408_1830:
	v_lshrrev_b32_e32 v5, 24, v5
	s_delay_alu instid0(VALU_DEP_1)
	v_and_or_b32 v8, 0x80, v5, v6
.LBB408_1831:
	s_or_b32 exec_lo, exec_lo, s7
.LBB408_1832:
	s_delay_alu instid0(SALU_CYCLE_1)
	s_or_b32 exec_lo, exec_lo, s3
	global_store_b8 v[0:1], v8, off
.LBB408_1833:
	s_mov_b32 s3, -1
.LBB408_1834:
	s_mov_b32 s6, 0
.LBB408_1835:
	s_delay_alu instid0(SALU_CYCLE_1)
	s_and_b32 vcc_lo, exec_lo, s6
	s_cbranch_vccz .LBB408_1875
; %bb.1836:
	v_cmp_lt_i16_e32 vcc_lo, 22, v3
	s_mov_b32 s1, -1
	s_cbranch_vccz .LBB408_1868
; %bb.1837:
	v_cmp_gt_i16_e32 vcc_lo, 24, v3
	s_cbranch_vccnz .LBB408_1857
; %bb.1838:
	v_cmp_lt_i16_e32 vcc_lo, 24, v3
	s_cbranch_vccz .LBB408_1846
; %bb.1839:
	v_cvt_f32_f16_e32 v5, v4
	v_mov_b32_e32 v8, 0x80
	s_mov_b32 s1, exec_lo
	s_delay_alu instid0(VALU_DEP_2) | instskip(NEXT) | instid1(VALU_DEP_1)
	v_and_b32_e32 v6, 0x7fffffff, v5
	v_cmpx_gt_u32_e32 0x47800000, v6
	s_cbranch_execz .LBB408_1845
; %bb.1840:
	v_cmp_lt_u32_e32 vcc_lo, 0x37ffffff, v6
	s_mov_b32 s3, 0
                                        ; implicit-def: $vgpr6
	s_and_saveexec_b32 s6, vcc_lo
	s_delay_alu instid0(SALU_CYCLE_1)
	s_xor_b32 s6, exec_lo, s6
	s_cbranch_execz .LBB408_2066
; %bb.1841:
	v_bfe_u32 v6, v5, 21, 1
	s_mov_b32 s3, exec_lo
	s_delay_alu instid0(VALU_DEP_1) | instskip(NEXT) | instid1(VALU_DEP_1)
	v_add3_u32 v6, v5, v6, 0x88fffff
	v_lshrrev_b32_e32 v6, 21, v6
	s_or_saveexec_b32 s6, s6
                                        ; implicit-def: $sgpr7
	s_delay_alu instid0(SALU_CYCLE_1)
	s_xor_b32 exec_lo, exec_lo, s6
	s_cbranch_execnz .LBB408_2067
.LBB408_1842:
	s_or_b32 exec_lo, exec_lo, s6
	v_mov_b32_e32 v8, s7
	s_and_saveexec_b32 s6, s3
.LBB408_1843:
	v_lshrrev_b32_e32 v5, 24, v5
	s_delay_alu instid0(VALU_DEP_1)
	v_and_or_b32 v8, 0x80, v5, v6
.LBB408_1844:
	s_or_b32 exec_lo, exec_lo, s6
.LBB408_1845:
	s_delay_alu instid0(SALU_CYCLE_1)
	s_or_b32 exec_lo, exec_lo, s1
	s_mov_b32 s1, 0
	global_store_b8 v[0:1], v8, off
.LBB408_1846:
	s_and_b32 vcc_lo, exec_lo, s1
	s_cbranch_vccz .LBB408_1856
; %bb.1847:
	v_cvt_f32_f16_e32 v5, v4
	s_mov_b32 s1, exec_lo
                                        ; implicit-def: $vgpr6
	s_delay_alu instid0(VALU_DEP_1) | instskip(NEXT) | instid1(VALU_DEP_1)
	v_and_b32_e32 v8, 0x7fffffff, v5
	v_cmpx_gt_u32_e32 0x43f00000, v8
	s_xor_b32 s1, exec_lo, s1
	s_cbranch_execz .LBB408_1853
; %bb.1848:
	s_mov_b32 s3, exec_lo
                                        ; implicit-def: $vgpr6
	v_cmpx_lt_u32_e32 0x3c7fffff, v8
	s_xor_b32 s3, exec_lo, s3
; %bb.1849:
	v_bfe_u32 v6, v5, 20, 1
	s_delay_alu instid0(VALU_DEP_1) | instskip(NEXT) | instid1(VALU_DEP_1)
	v_add3_u32 v6, v5, v6, 0x407ffff
	v_and_b32_e32 v8, 0xff00000, v6
	v_lshrrev_b32_e32 v6, 20, v6
	s_delay_alu instid0(VALU_DEP_2) | instskip(NEXT) | instid1(VALU_DEP_2)
	v_cmp_ne_u32_e32 vcc_lo, 0x7f00000, v8
	v_cndmask_b32_e32 v6, 0x7e, v6, vcc_lo
; %bb.1850:
	s_and_not1_saveexec_b32 s3, s3
; %bb.1851:
	v_add_f32_e64 v6, 0x46800000, |v5|
; %bb.1852:
	s_or_b32 exec_lo, exec_lo, s3
                                        ; implicit-def: $vgpr8
.LBB408_1853:
	s_and_not1_saveexec_b32 s1, s1
; %bb.1854:
	v_mov_b32_e32 v6, 0x7f
	v_cmp_lt_u32_e32 vcc_lo, 0x7f800000, v8
	s_delay_alu instid0(VALU_DEP_2)
	v_cndmask_b32_e32 v6, 0x7e, v6, vcc_lo
; %bb.1855:
	s_or_b32 exec_lo, exec_lo, s1
	v_lshrrev_b32_e32 v5, 24, v5
	s_delay_alu instid0(VALU_DEP_1)
	v_and_or_b32 v5, 0x80, v5, v6
	global_store_b8 v[0:1], v5, off
.LBB408_1856:
	s_mov_b32 s1, 0
.LBB408_1857:
	s_delay_alu instid0(SALU_CYCLE_1)
	s_and_not1_b32 vcc_lo, exec_lo, s1
	s_cbranch_vccnz .LBB408_1867
; %bb.1858:
	v_cvt_f32_f16_e32 v5, v4
	s_mov_b32 s1, exec_lo
                                        ; implicit-def: $vgpr6
	s_delay_alu instid0(VALU_DEP_1) | instskip(NEXT) | instid1(VALU_DEP_1)
	v_and_b32_e32 v8, 0x7fffffff, v5
	v_cmpx_gt_u32_e32 0x47800000, v8
	s_xor_b32 s1, exec_lo, s1
	s_cbranch_execz .LBB408_1864
; %bb.1859:
	s_mov_b32 s3, exec_lo
                                        ; implicit-def: $vgpr6
	v_cmpx_lt_u32_e32 0x387fffff, v8
	s_xor_b32 s3, exec_lo, s3
; %bb.1860:
	v_bfe_u32 v6, v5, 21, 1
	s_delay_alu instid0(VALU_DEP_1) | instskip(NEXT) | instid1(VALU_DEP_1)
	v_add3_u32 v6, v5, v6, 0x80fffff
	v_lshrrev_b32_e32 v6, 21, v6
; %bb.1861:
	s_and_not1_saveexec_b32 s3, s3
; %bb.1862:
	v_add_f32_e64 v6, 0x43000000, |v5|
; %bb.1863:
	s_or_b32 exec_lo, exec_lo, s3
                                        ; implicit-def: $vgpr8
.LBB408_1864:
	s_and_not1_saveexec_b32 s1, s1
; %bb.1865:
	v_mov_b32_e32 v6, 0x7f
	v_cmp_lt_u32_e32 vcc_lo, 0x7f800000, v8
	s_delay_alu instid0(VALU_DEP_2)
	v_cndmask_b32_e32 v6, 0x7c, v6, vcc_lo
; %bb.1866:
	s_or_b32 exec_lo, exec_lo, s1
	v_lshrrev_b32_e32 v5, 24, v5
	s_delay_alu instid0(VALU_DEP_1)
	v_and_or_b32 v5, 0x80, v5, v6
	global_store_b8 v[0:1], v5, off
.LBB408_1867:
	s_mov_b32 s1, 0
	s_mov_b32 s3, -1
.LBB408_1868:
	s_and_not1_b32 vcc_lo, exec_lo, s1
	s_mov_b32 s1, 0
	s_cbranch_vccnz .LBB408_1875
; %bb.1869:
	v_cmp_lt_i16_e32 vcc_lo, 14, v3
	s_mov_b32 s1, -1
	s_cbranch_vccz .LBB408_1873
; %bb.1870:
	v_cmp_eq_u16_e32 vcc_lo, 15, v3
	s_mov_b32 s0, -1
	s_cbranch_vccz .LBB408_1872
; %bb.1871:
	v_cvt_f32_f16_e32 v5, v4
	v_cmp_o_f16_e32 vcc_lo, v4, v4
	s_mov_b32 s0, 0
	s_mov_b32 s3, -1
	s_delay_alu instid0(VALU_DEP_2) | instskip(NEXT) | instid1(VALU_DEP_1)
	v_bfe_u32 v6, v5, 16, 1
	v_add3_u32 v5, v5, v6, 0x7fff
	s_delay_alu instid0(VALU_DEP_1) | instskip(NEXT) | instid1(VALU_DEP_1)
	v_lshrrev_b32_e32 v5, 16, v5
	v_cndmask_b32_e32 v5, 0x7fc0, v5, vcc_lo
	global_store_b16 v[0:1], v5, off
.LBB408_1872:
	s_mov_b32 s1, 0
.LBB408_1873:
	s_delay_alu instid0(SALU_CYCLE_1)
	s_and_b32 vcc_lo, exec_lo, s1
	s_mov_b32 s1, 0
	s_cbranch_vccz .LBB408_1875
; %bb.1874:
	v_cmp_ne_u16_e64 s0, 11, v3
	s_mov_b32 s1, -1
.LBB408_1875:
	s_delay_alu instid0(VALU_DEP_1)
	s_and_b32 vcc_lo, exec_lo, s0
	s_cbranch_vccnz .LBB408_2064
; %bb.1876:
	s_and_not1_b32 vcc_lo, exec_lo, s1
	s_cbranch_vccnz .LBB408_1878
.LBB408_1877:
	v_and_b32_e32 v5, 0x7fff, v4
	s_mov_b32 s3, -1
	s_delay_alu instid0(VALU_DEP_1)
	v_cmp_ne_u16_e32 vcc_lo, 0, v5
	v_cndmask_b32_e64 v5, 0, 1, vcc_lo
	global_store_b8 v[0:1], v5, off
.LBB408_1878:
	s_mov_b32 s0, 0
	s_branch .LBB408_1880
.LBB408_1879:
	s_mov_b32 s0, -1
	s_mov_b32 s3, 0
.LBB408_1880:
	s_and_b32 vcc_lo, exec_lo, s0
	s_cbranch_vccz .LBB408_1919
; %bb.1881:
	v_cmp_gt_i16_e32 vcc_lo, 5, v3
	s_mov_b32 s0, -1
	s_cbranch_vccnz .LBB408_1902
; %bb.1882:
	v_cmp_gt_i16_e32 vcc_lo, 8, v3
	s_cbranch_vccnz .LBB408_1892
; %bb.1883:
	v_cmp_gt_i16_e32 vcc_lo, 9, v3
	s_cbranch_vccnz .LBB408_1889
; %bb.1884:
	v_cmp_lt_i16_e32 vcc_lo, 9, v3
	s_cbranch_vccz .LBB408_1886
; %bb.1885:
	v_cvt_f32_f16_e32 v5, v4
	v_mov_b32_e32 v10, 0
	s_mov_b32 s0, 0
	s_delay_alu instid0(VALU_DEP_2) | instskip(NEXT) | instid1(VALU_DEP_2)
	v_cvt_f64_f32_e32 v[8:9], v5
	v_mov_b32_e32 v11, v10
	global_store_b128 v[0:1], v[8:11], off
.LBB408_1886:
	s_and_not1_b32 vcc_lo, exec_lo, s0
	s_cbranch_vccnz .LBB408_1888
; %bb.1887:
	v_cvt_f32_f16_e32 v5, v4
	v_mov_b32_e32 v6, 0
	global_store_b64 v[0:1], v[5:6], off
.LBB408_1888:
	s_mov_b32 s0, 0
.LBB408_1889:
	s_delay_alu instid0(SALU_CYCLE_1)
	s_and_not1_b32 vcc_lo, exec_lo, s0
	s_cbranch_vccnz .LBB408_1891
; %bb.1890:
	v_and_b32_e32 v5, 0xffff, v4
	global_store_b32 v[0:1], v5, off
.LBB408_1891:
	s_mov_b32 s0, 0
.LBB408_1892:
	s_delay_alu instid0(SALU_CYCLE_1)
	s_and_not1_b32 vcc_lo, exec_lo, s0
	s_cbranch_vccnz .LBB408_1901
; %bb.1893:
	v_cmp_gt_i16_e32 vcc_lo, 6, v3
	s_mov_b32 s0, -1
	s_cbranch_vccnz .LBB408_1899
; %bb.1894:
	v_cmp_lt_i16_e32 vcc_lo, 6, v3
	s_cbranch_vccz .LBB408_1896
; %bb.1895:
	v_cvt_f32_f16_e32 v5, v4
	s_mov_b32 s0, 0
	s_delay_alu instid0(VALU_DEP_1)
	v_cvt_f64_f32_e32 v[5:6], v5
	global_store_b64 v[0:1], v[5:6], off
.LBB408_1896:
	s_and_not1_b32 vcc_lo, exec_lo, s0
	s_cbranch_vccnz .LBB408_1898
; %bb.1897:
	v_cvt_f32_f16_e32 v5, v4
	global_store_b32 v[0:1], v5, off
.LBB408_1898:
	s_mov_b32 s0, 0
.LBB408_1899:
	s_delay_alu instid0(SALU_CYCLE_1)
	s_and_not1_b32 vcc_lo, exec_lo, s0
	s_cbranch_vccnz .LBB408_1901
; %bb.1900:
	global_store_b16 v[0:1], v4, off
.LBB408_1901:
	s_mov_b32 s0, 0
.LBB408_1902:
	s_delay_alu instid0(SALU_CYCLE_1)
	s_and_not1_b32 vcc_lo, exec_lo, s0
	s_cbranch_vccnz .LBB408_1918
; %bb.1903:
	v_cmp_gt_i16_e32 vcc_lo, 2, v3
	s_mov_b32 s0, -1
	s_cbranch_vccnz .LBB408_1913
; %bb.1904:
	v_cmp_gt_i16_e32 vcc_lo, 3, v3
	s_cbranch_vccnz .LBB408_1910
; %bb.1905:
	v_cmp_lt_i16_e32 vcc_lo, 3, v3
	s_cbranch_vccz .LBB408_1907
; %bb.1906:
	v_cvt_f32_f16_e32 v5, v4
	s_mov_b32 s0, 0
	s_delay_alu instid0(VALU_DEP_1) | instskip(NEXT) | instid1(VALU_DEP_1)
	v_cvt_i32_f32_e32 v5, v5
	v_ashrrev_i32_e32 v6, 31, v5
	global_store_b64 v[0:1], v[5:6], off
.LBB408_1907:
	s_and_not1_b32 vcc_lo, exec_lo, s0
	s_cbranch_vccnz .LBB408_1909
; %bb.1908:
	v_cvt_f32_f16_e32 v5, v4
	s_delay_alu instid0(VALU_DEP_1)
	v_cvt_i32_f32_e32 v5, v5
	global_store_b32 v[0:1], v5, off
.LBB408_1909:
	s_mov_b32 s0, 0
.LBB408_1910:
	s_delay_alu instid0(SALU_CYCLE_1)
	s_and_not1_b32 vcc_lo, exec_lo, s0
	s_cbranch_vccnz .LBB408_1912
; %bb.1911:
	v_cvt_i16_f16_e32 v5, v4
	global_store_b16 v[0:1], v5, off
.LBB408_1912:
	s_mov_b32 s0, 0
.LBB408_1913:
	s_delay_alu instid0(SALU_CYCLE_1)
	s_and_not1_b32 vcc_lo, exec_lo, s0
	s_cbranch_vccnz .LBB408_1918
; %bb.1914:
	v_cmp_lt_i16_e32 vcc_lo, 0, v3
	s_mov_b32 s0, -1
	s_cbranch_vccz .LBB408_1916
; %bb.1915:
	v_cvt_i16_f16_e32 v5, v4
	s_mov_b32 s0, 0
	global_store_b8 v[0:1], v5, off
.LBB408_1916:
	s_and_not1_b32 vcc_lo, exec_lo, s0
	s_cbranch_vccnz .LBB408_1918
; %bb.1917:
	v_cvt_f32_f16_e32 v4, v4
	s_delay_alu instid0(VALU_DEP_1)
	v_cvt_i32_f32_e32 v4, v4
	global_store_b8 v[0:1], v4, off
.LBB408_1918:
	s_mov_b32 s3, -1
.LBB408_1919:
	s_delay_alu instid0(SALU_CYCLE_1)
	s_and_not1_b32 vcc_lo, exec_lo, s3
	s_cbranch_vccnz .LBB408_1996
; %bb.1920:
	v_add_nc_u32_e32 v0, s2, v2
	v_cmp_u_f16_e32 vcc_lo, v7, v7
	v_cmp_lt_f16_e64 s0, s8, v7
	v_cmp_gt_i16_e64 s1, 11, v3
	s_delay_alu instid0(VALU_DEP_4) | instskip(NEXT) | instid1(VALU_DEP_3)
	v_ashrrev_i32_e32 v1, 31, v0
	s_or_b32 vcc_lo, vcc_lo, s0
	v_cndmask_b32_e32 v4, s8, v7, vcc_lo
	v_add_co_u32 v0, vcc_lo, s4, v0
	s_delay_alu instid0(VALU_DEP_3)
	v_add_co_ci_u32_e32 v1, vcc_lo, s5, v1, vcc_lo
	s_and_b32 vcc_lo, exec_lo, s1
	s_cbranch_vccnz .LBB408_2041
; %bb.1921:
	v_cmp_lt_i16_e32 vcc_lo, 25, v3
	s_mov_b32 s2, -1
	s_mov_b32 s1, 0
	s_mov_b32 s0, 0
	s_cbranch_vccz .LBB408_1954
; %bb.1922:
	v_cmp_lt_i16_e32 vcc_lo, 28, v3
	s_cbranch_vccz .LBB408_1938
; %bb.1923:
	v_cmp_lt_i16_e32 vcc_lo, 43, v3
	;; [unrolled: 3-line block ×3, first 2 shown]
	s_cbranch_vccz .LBB408_1928
; %bb.1925:
	v_cmp_eq_u16_e32 vcc_lo, 46, v3
	s_mov_b32 s0, -1
	s_cbranch_vccz .LBB408_1927
; %bb.1926:
	v_cvt_f32_f16_e32 v2, v4
	v_cmp_o_f16_e32 vcc_lo, v4, v4
	s_mov_b32 s0, 0
	s_delay_alu instid0(VALU_DEP_2) | instskip(NEXT) | instid1(VALU_DEP_1)
	v_bfe_u32 v5, v2, 16, 1
	v_add3_u32 v2, v2, v5, 0x7fff
	s_delay_alu instid0(VALU_DEP_1) | instskip(NEXT) | instid1(VALU_DEP_1)
	v_lshrrev_b32_e32 v2, 16, v2
	v_cndmask_b32_e32 v2, 0x7fc0, v2, vcc_lo
	global_store_b32 v[0:1], v2, off
.LBB408_1927:
	s_mov_b32 s2, 0
.LBB408_1928:
	s_delay_alu instid0(SALU_CYCLE_1)
	s_and_b32 vcc_lo, exec_lo, s2
	s_cbranch_vccz .LBB408_1933
; %bb.1929:
	v_cmp_eq_u16_e32 vcc_lo, 44, v3
	s_mov_b32 s0, -1
	s_cbranch_vccz .LBB408_1933
; %bb.1930:
	v_cvt_f32_f16_e32 v2, v4
	v_mov_b32_e32 v5, 0xff
	s_mov_b32 s2, exec_lo
	s_delay_alu instid0(VALU_DEP_2) | instskip(NEXT) | instid1(VALU_DEP_1)
	v_bfe_u32 v6, v2, 23, 8
	v_cmpx_ne_u32_e32 0xff, v6
; %bb.1931:
	v_and_b32_e32 v5, 0x400000, v2
	v_and_or_b32 v6, 0x3fffff, v2, v6
	v_lshrrev_b32_e32 v2, 23, v2
	s_delay_alu instid0(VALU_DEP_3) | instskip(NEXT) | instid1(VALU_DEP_3)
	v_cmp_ne_u32_e32 vcc_lo, 0, v5
	v_cmp_ne_u32_e64 s0, 0, v6
	s_delay_alu instid0(VALU_DEP_1) | instskip(NEXT) | instid1(SALU_CYCLE_1)
	s_and_b32 s0, vcc_lo, s0
	v_cndmask_b32_e64 v5, 0, 1, s0
	s_delay_alu instid0(VALU_DEP_1)
	v_add_nc_u32_e32 v5, v2, v5
; %bb.1932:
	s_or_b32 exec_lo, exec_lo, s2
	s_mov_b32 s0, 0
	global_store_b8 v[0:1], v5, off
.LBB408_1933:
	s_mov_b32 s2, 0
.LBB408_1934:
	s_delay_alu instid0(SALU_CYCLE_1)
	s_and_b32 vcc_lo, exec_lo, s2
	s_cbranch_vccz .LBB408_1937
; %bb.1935:
	v_cmp_eq_u16_e32 vcc_lo, 29, v3
	s_mov_b32 s0, -1
	s_cbranch_vccz .LBB408_1937
; %bb.1936:
	v_cvt_f32_f16_e32 v2, v4
	v_mov_b32_e32 v6, 0
	s_mov_b32 s0, 0
	s_delay_alu instid0(VALU_DEP_2)
	v_cvt_u32_f32_e32 v5, v2
	global_store_b64 v[0:1], v[5:6], off
.LBB408_1937:
	s_mov_b32 s2, 0
.LBB408_1938:
	s_delay_alu instid0(SALU_CYCLE_1)
	s_and_b32 vcc_lo, exec_lo, s2
	s_cbranch_vccz .LBB408_1953
; %bb.1939:
	v_cmp_gt_i16_e32 vcc_lo, 27, v3
	s_mov_b32 s2, -1
	s_cbranch_vccnz .LBB408_1945
; %bb.1940:
	v_cmp_lt_i16_e32 vcc_lo, 27, v3
	s_cbranch_vccz .LBB408_1942
; %bb.1941:
	v_cvt_f32_f16_e32 v2, v4
	s_mov_b32 s2, 0
	s_delay_alu instid0(VALU_DEP_1)
	v_cvt_u32_f32_e32 v2, v2
	global_store_b32 v[0:1], v2, off
.LBB408_1942:
	s_and_not1_b32 vcc_lo, exec_lo, s2
	s_cbranch_vccnz .LBB408_1944
; %bb.1943:
	v_cvt_u16_f16_e32 v2, v4
	global_store_b16 v[0:1], v2, off
.LBB408_1944:
	s_mov_b32 s2, 0
.LBB408_1945:
	s_delay_alu instid0(SALU_CYCLE_1)
	s_and_not1_b32 vcc_lo, exec_lo, s2
	s_cbranch_vccnz .LBB408_1953
; %bb.1946:
	v_cvt_f32_f16_e32 v2, v4
	v_mov_b32_e32 v6, 0x80
	s_mov_b32 s2, exec_lo
	s_delay_alu instid0(VALU_DEP_2) | instskip(NEXT) | instid1(VALU_DEP_1)
	v_and_b32_e32 v5, 0x7fffffff, v2
	v_cmpx_gt_u32_e32 0x43800000, v5
	s_cbranch_execz .LBB408_1952
; %bb.1947:
	v_cmp_lt_u32_e32 vcc_lo, 0x3bffffff, v5
	s_mov_b32 s3, 0
                                        ; implicit-def: $vgpr5
	s_and_saveexec_b32 s4, vcc_lo
	s_delay_alu instid0(SALU_CYCLE_1)
	s_xor_b32 s4, exec_lo, s4
	s_cbranch_execz .LBB408_2068
; %bb.1948:
	v_bfe_u32 v5, v2, 20, 1
	s_mov_b32 s3, exec_lo
	s_delay_alu instid0(VALU_DEP_1) | instskip(NEXT) | instid1(VALU_DEP_1)
	v_add3_u32 v5, v2, v5, 0x487ffff
	v_lshrrev_b32_e32 v5, 20, v5
	s_or_saveexec_b32 s4, s4
                                        ; implicit-def: $sgpr5
	s_delay_alu instid0(SALU_CYCLE_1)
	s_xor_b32 exec_lo, exec_lo, s4
	s_cbranch_execnz .LBB408_2069
.LBB408_1949:
	s_or_b32 exec_lo, exec_lo, s4
	v_mov_b32_e32 v6, s5
	s_and_saveexec_b32 s4, s3
.LBB408_1950:
	v_lshrrev_b32_e32 v2, 24, v2
	s_delay_alu instid0(VALU_DEP_1)
	v_and_or_b32 v6, 0x80, v2, v5
.LBB408_1951:
	s_or_b32 exec_lo, exec_lo, s4
.LBB408_1952:
	s_delay_alu instid0(SALU_CYCLE_1)
	s_or_b32 exec_lo, exec_lo, s2
	global_store_b8 v[0:1], v6, off
.LBB408_1953:
	s_mov_b32 s2, 0
.LBB408_1954:
	s_delay_alu instid0(SALU_CYCLE_1)
	s_and_b32 vcc_lo, exec_lo, s2
	s_cbranch_vccz .LBB408_1994
; %bb.1955:
	v_cmp_lt_i16_e32 vcc_lo, 22, v3
	s_mov_b32 s1, -1
	s_cbranch_vccz .LBB408_1987
; %bb.1956:
	v_cmp_gt_i16_e32 vcc_lo, 24, v3
	s_cbranch_vccnz .LBB408_1976
; %bb.1957:
	v_cmp_lt_i16_e32 vcc_lo, 24, v3
	s_cbranch_vccz .LBB408_1965
; %bb.1958:
	v_cvt_f32_f16_e32 v2, v4
	v_mov_b32_e32 v6, 0x80
	s_mov_b32 s1, exec_lo
	s_delay_alu instid0(VALU_DEP_2) | instskip(NEXT) | instid1(VALU_DEP_1)
	v_and_b32_e32 v5, 0x7fffffff, v2
	v_cmpx_gt_u32_e32 0x47800000, v5
	s_cbranch_execz .LBB408_1964
; %bb.1959:
	v_cmp_lt_u32_e32 vcc_lo, 0x37ffffff, v5
	s_mov_b32 s2, 0
                                        ; implicit-def: $vgpr5
	s_and_saveexec_b32 s3, vcc_lo
	s_delay_alu instid0(SALU_CYCLE_1)
	s_xor_b32 s3, exec_lo, s3
	s_cbranch_execz .LBB408_2074
; %bb.1960:
	v_bfe_u32 v5, v2, 21, 1
	s_mov_b32 s2, exec_lo
	s_delay_alu instid0(VALU_DEP_1) | instskip(NEXT) | instid1(VALU_DEP_1)
	v_add3_u32 v5, v2, v5, 0x88fffff
	v_lshrrev_b32_e32 v5, 21, v5
	s_or_saveexec_b32 s3, s3
                                        ; implicit-def: $sgpr4
	s_delay_alu instid0(SALU_CYCLE_1)
	s_xor_b32 exec_lo, exec_lo, s3
	s_cbranch_execnz .LBB408_2075
.LBB408_1961:
	s_or_b32 exec_lo, exec_lo, s3
	v_mov_b32_e32 v6, s4
	s_and_saveexec_b32 s3, s2
.LBB408_1962:
	v_lshrrev_b32_e32 v2, 24, v2
	s_delay_alu instid0(VALU_DEP_1)
	v_and_or_b32 v6, 0x80, v2, v5
.LBB408_1963:
	s_or_b32 exec_lo, exec_lo, s3
.LBB408_1964:
	s_delay_alu instid0(SALU_CYCLE_1)
	s_or_b32 exec_lo, exec_lo, s1
	s_mov_b32 s1, 0
	global_store_b8 v[0:1], v6, off
.LBB408_1965:
	s_and_b32 vcc_lo, exec_lo, s1
	s_cbranch_vccz .LBB408_1975
; %bb.1966:
	v_cvt_f32_f16_e32 v2, v4
	s_mov_b32 s1, exec_lo
                                        ; implicit-def: $vgpr5
	s_delay_alu instid0(VALU_DEP_1) | instskip(NEXT) | instid1(VALU_DEP_1)
	v_and_b32_e32 v6, 0x7fffffff, v2
	v_cmpx_gt_u32_e32 0x43f00000, v6
	s_xor_b32 s1, exec_lo, s1
	s_cbranch_execz .LBB408_1972
; %bb.1967:
	s_mov_b32 s2, exec_lo
                                        ; implicit-def: $vgpr5
	v_cmpx_lt_u32_e32 0x3c7fffff, v6
	s_xor_b32 s2, exec_lo, s2
; %bb.1968:
	v_bfe_u32 v5, v2, 20, 1
	s_delay_alu instid0(VALU_DEP_1) | instskip(NEXT) | instid1(VALU_DEP_1)
	v_add3_u32 v5, v2, v5, 0x407ffff
	v_and_b32_e32 v6, 0xff00000, v5
	v_lshrrev_b32_e32 v5, 20, v5
	s_delay_alu instid0(VALU_DEP_2) | instskip(NEXT) | instid1(VALU_DEP_2)
	v_cmp_ne_u32_e32 vcc_lo, 0x7f00000, v6
	v_cndmask_b32_e32 v5, 0x7e, v5, vcc_lo
; %bb.1969:
	s_and_not1_saveexec_b32 s2, s2
; %bb.1970:
	v_add_f32_e64 v5, 0x46800000, |v2|
; %bb.1971:
	s_or_b32 exec_lo, exec_lo, s2
                                        ; implicit-def: $vgpr6
.LBB408_1972:
	s_and_not1_saveexec_b32 s1, s1
; %bb.1973:
	v_mov_b32_e32 v5, 0x7f
	v_cmp_lt_u32_e32 vcc_lo, 0x7f800000, v6
	s_delay_alu instid0(VALU_DEP_2)
	v_cndmask_b32_e32 v5, 0x7e, v5, vcc_lo
; %bb.1974:
	s_or_b32 exec_lo, exec_lo, s1
	v_lshrrev_b32_e32 v2, 24, v2
	s_delay_alu instid0(VALU_DEP_1)
	v_and_or_b32 v2, 0x80, v2, v5
	global_store_b8 v[0:1], v2, off
.LBB408_1975:
	s_mov_b32 s1, 0
.LBB408_1976:
	s_delay_alu instid0(SALU_CYCLE_1)
	s_and_not1_b32 vcc_lo, exec_lo, s1
	s_cbranch_vccnz .LBB408_1986
; %bb.1977:
	v_cvt_f32_f16_e32 v2, v4
	s_mov_b32 s1, exec_lo
                                        ; implicit-def: $vgpr5
	s_delay_alu instid0(VALU_DEP_1) | instskip(NEXT) | instid1(VALU_DEP_1)
	v_and_b32_e32 v6, 0x7fffffff, v2
	v_cmpx_gt_u32_e32 0x47800000, v6
	s_xor_b32 s1, exec_lo, s1
	s_cbranch_execz .LBB408_1983
; %bb.1978:
	s_mov_b32 s2, exec_lo
                                        ; implicit-def: $vgpr5
	v_cmpx_lt_u32_e32 0x387fffff, v6
	s_xor_b32 s2, exec_lo, s2
; %bb.1979:
	v_bfe_u32 v5, v2, 21, 1
	s_delay_alu instid0(VALU_DEP_1) | instskip(NEXT) | instid1(VALU_DEP_1)
	v_add3_u32 v5, v2, v5, 0x80fffff
	v_lshrrev_b32_e32 v5, 21, v5
; %bb.1980:
	s_and_not1_saveexec_b32 s2, s2
; %bb.1981:
	v_add_f32_e64 v5, 0x43000000, |v2|
; %bb.1982:
	s_or_b32 exec_lo, exec_lo, s2
                                        ; implicit-def: $vgpr6
.LBB408_1983:
	s_and_not1_saveexec_b32 s1, s1
; %bb.1984:
	v_mov_b32_e32 v5, 0x7f
	v_cmp_lt_u32_e32 vcc_lo, 0x7f800000, v6
	s_delay_alu instid0(VALU_DEP_2)
	v_cndmask_b32_e32 v5, 0x7c, v5, vcc_lo
; %bb.1985:
	s_or_b32 exec_lo, exec_lo, s1
	v_lshrrev_b32_e32 v2, 24, v2
	s_delay_alu instid0(VALU_DEP_1)
	v_and_or_b32 v2, 0x80, v2, v5
	global_store_b8 v[0:1], v2, off
.LBB408_1986:
	s_mov_b32 s1, 0
.LBB408_1987:
	s_delay_alu instid0(SALU_CYCLE_1)
	s_and_not1_b32 vcc_lo, exec_lo, s1
	s_mov_b32 s1, 0
	s_cbranch_vccnz .LBB408_1994
; %bb.1988:
	v_cmp_lt_i16_e32 vcc_lo, 14, v3
	s_mov_b32 s1, -1
	s_cbranch_vccz .LBB408_1992
; %bb.1989:
	v_cmp_eq_u16_e32 vcc_lo, 15, v3
	s_mov_b32 s0, -1
	s_cbranch_vccz .LBB408_1991
; %bb.1990:
	v_cvt_f32_f16_e32 v2, v4
	v_cmp_o_f16_e32 vcc_lo, v4, v4
	s_mov_b32 s0, 0
	s_delay_alu instid0(VALU_DEP_2) | instskip(NEXT) | instid1(VALU_DEP_1)
	v_bfe_u32 v5, v2, 16, 1
	v_add3_u32 v2, v2, v5, 0x7fff
	s_delay_alu instid0(VALU_DEP_1) | instskip(NEXT) | instid1(VALU_DEP_1)
	v_lshrrev_b32_e32 v2, 16, v2
	v_cndmask_b32_e32 v2, 0x7fc0, v2, vcc_lo
	global_store_b16 v[0:1], v2, off
.LBB408_1991:
	s_mov_b32 s1, 0
.LBB408_1992:
	s_delay_alu instid0(SALU_CYCLE_1)
	s_and_b32 vcc_lo, exec_lo, s1
	s_mov_b32 s1, 0
	s_cbranch_vccz .LBB408_1994
; %bb.1993:
	v_cmp_ne_u16_e64 s0, 11, v3
	s_mov_b32 s1, -1
.LBB408_1994:
	s_delay_alu instid0(VALU_DEP_1)
	s_and_b32 vcc_lo, exec_lo, s0
	s_cbranch_vccnz .LBB408_2072
.LBB408_1995:
	s_mov_b32 s0, 0
	s_branch .LBB408_1997
.LBB408_1996:
	s_mov_b32 s0, 0
	s_mov_b32 s1, 0
                                        ; implicit-def: $vgpr3
                                        ; implicit-def: $vgpr0_vgpr1
                                        ; implicit-def: $vgpr4
.LBB408_1997:
	s_and_not1_b32 s2, s12, exec_lo
	s_and_b32 s3, s10, exec_lo
	s_and_b32 s0, s0, exec_lo
	;; [unrolled: 1-line block ×3, first 2 shown]
	s_or_b32 s12, s2, s3
.LBB408_1998:
	s_or_b32 exec_lo, exec_lo, s11
	s_and_saveexec_b32 s1, s12
	s_cbranch_execz .LBB408_2001
; %bb.1999:
	; divergent unreachable
	s_or_b32 exec_lo, exec_lo, s1
	s_and_saveexec_b32 s1, s10
	s_delay_alu instid0(SALU_CYCLE_1)
	s_xor_b32 s1, exec_lo, s1
	s_cbranch_execnz .LBB408_2002
.LBB408_2000:
	s_or_b32 exec_lo, exec_lo, s1
	s_and_saveexec_b32 s1, s0
	s_cbranch_execnz .LBB408_2003
	s_branch .LBB408_2040
.LBB408_2001:
	s_or_b32 exec_lo, exec_lo, s1
	s_and_saveexec_b32 s1, s10
	s_delay_alu instid0(SALU_CYCLE_1)
	s_xor_b32 s1, exec_lo, s1
	s_cbranch_execz .LBB408_2000
.LBB408_2002:
	s_waitcnt vmcnt(0)
	v_and_b32_e32 v2, 0x7fff, v4
	s_delay_alu instid0(VALU_DEP_1)
	v_cmp_ne_u16_e32 vcc_lo, 0, v2
	v_cndmask_b32_e64 v2, 0, 1, vcc_lo
	global_store_b8 v[0:1], v2, off
	s_or_b32 exec_lo, exec_lo, s1
	s_and_saveexec_b32 s1, s0
	s_cbranch_execz .LBB408_2040
.LBB408_2003:
	s_waitcnt vmcnt(0)
	v_cmp_gt_i16_e32 vcc_lo, 5, v3
	s_mov_b32 s0, -1
	s_cbranch_vccnz .LBB408_2024
; %bb.2004:
	v_cmp_gt_i16_e32 vcc_lo, 8, v3
	s_cbranch_vccnz .LBB408_2014
; %bb.2005:
	v_cmp_gt_i16_e32 vcc_lo, 9, v3
	s_cbranch_vccnz .LBB408_2011
; %bb.2006:
	v_cmp_lt_i16_e32 vcc_lo, 9, v3
	s_cbranch_vccz .LBB408_2008
; %bb.2007:
	v_cvt_f32_f16_e32 v2, v4
	v_mov_b32_e32 v7, 0
	s_mov_b32 s0, 0
	s_delay_alu instid0(VALU_DEP_2) | instskip(NEXT) | instid1(VALU_DEP_2)
	v_cvt_f64_f32_e32 v[5:6], v2
	v_mov_b32_e32 v8, v7
	global_store_b128 v[0:1], v[5:8], off
.LBB408_2008:
	s_and_not1_b32 vcc_lo, exec_lo, s0
	s_cbranch_vccnz .LBB408_2010
; %bb.2009:
	v_cvt_f32_f16_e32 v5, v4
	v_mov_b32_e32 v6, 0
	global_store_b64 v[0:1], v[5:6], off
.LBB408_2010:
	s_mov_b32 s0, 0
.LBB408_2011:
	s_delay_alu instid0(SALU_CYCLE_1)
	s_and_not1_b32 vcc_lo, exec_lo, s0
	s_cbranch_vccnz .LBB408_2013
; %bb.2012:
	v_and_b32_e32 v2, 0xffff, v4
	global_store_b32 v[0:1], v2, off
.LBB408_2013:
	s_mov_b32 s0, 0
.LBB408_2014:
	s_delay_alu instid0(SALU_CYCLE_1)
	s_and_not1_b32 vcc_lo, exec_lo, s0
	s_cbranch_vccnz .LBB408_2023
; %bb.2015:
	v_cmp_gt_i16_e32 vcc_lo, 6, v3
	s_mov_b32 s0, -1
	s_cbranch_vccnz .LBB408_2021
; %bb.2016:
	v_cmp_lt_i16_e32 vcc_lo, 6, v3
	s_cbranch_vccz .LBB408_2018
; %bb.2017:
	v_cvt_f32_f16_e32 v2, v4
	s_mov_b32 s0, 0
	s_delay_alu instid0(VALU_DEP_1)
	v_cvt_f64_f32_e32 v[5:6], v2
	global_store_b64 v[0:1], v[5:6], off
.LBB408_2018:
	s_and_not1_b32 vcc_lo, exec_lo, s0
	s_cbranch_vccnz .LBB408_2020
; %bb.2019:
	v_cvt_f32_f16_e32 v2, v4
	global_store_b32 v[0:1], v2, off
.LBB408_2020:
	s_mov_b32 s0, 0
.LBB408_2021:
	s_delay_alu instid0(SALU_CYCLE_1)
	s_and_not1_b32 vcc_lo, exec_lo, s0
	s_cbranch_vccnz .LBB408_2023
; %bb.2022:
	global_store_b16 v[0:1], v4, off
.LBB408_2023:
	s_mov_b32 s0, 0
.LBB408_2024:
	s_delay_alu instid0(SALU_CYCLE_1)
	s_and_not1_b32 vcc_lo, exec_lo, s0
	s_cbranch_vccnz .LBB408_2040
; %bb.2025:
	v_cmp_gt_i16_e32 vcc_lo, 2, v3
	s_mov_b32 s0, -1
	s_cbranch_vccnz .LBB408_2035
; %bb.2026:
	v_cmp_gt_i16_e32 vcc_lo, 3, v3
	s_cbranch_vccnz .LBB408_2032
; %bb.2027:
	v_cmp_lt_i16_e32 vcc_lo, 3, v3
	s_cbranch_vccz .LBB408_2029
; %bb.2028:
	v_cvt_f32_f16_e32 v2, v4
	s_mov_b32 s0, 0
	s_delay_alu instid0(VALU_DEP_1) | instskip(NEXT) | instid1(VALU_DEP_1)
	v_cvt_i32_f32_e32 v5, v2
	v_ashrrev_i32_e32 v6, 31, v5
	global_store_b64 v[0:1], v[5:6], off
.LBB408_2029:
	s_and_not1_b32 vcc_lo, exec_lo, s0
	s_cbranch_vccnz .LBB408_2031
; %bb.2030:
	v_cvt_f32_f16_e32 v2, v4
	s_delay_alu instid0(VALU_DEP_1)
	v_cvt_i32_f32_e32 v2, v2
	global_store_b32 v[0:1], v2, off
.LBB408_2031:
	s_mov_b32 s0, 0
.LBB408_2032:
	s_delay_alu instid0(SALU_CYCLE_1)
	s_and_not1_b32 vcc_lo, exec_lo, s0
	s_cbranch_vccnz .LBB408_2034
; %bb.2033:
	v_cvt_i16_f16_e32 v2, v4
	global_store_b16 v[0:1], v2, off
.LBB408_2034:
	s_mov_b32 s0, 0
.LBB408_2035:
	s_delay_alu instid0(SALU_CYCLE_1)
	s_and_not1_b32 vcc_lo, exec_lo, s0
	s_cbranch_vccnz .LBB408_2040
; %bb.2036:
	v_cmp_lt_i16_e32 vcc_lo, 0, v3
	s_mov_b32 s0, -1
	s_cbranch_vccz .LBB408_2038
; %bb.2037:
	v_cvt_i16_f16_e32 v2, v4
	s_mov_b32 s0, 0
	global_store_b8 v[0:1], v2, off
.LBB408_2038:
	s_and_not1_b32 vcc_lo, exec_lo, s0
	s_cbranch_vccnz .LBB408_2040
; %bb.2039:
	v_cvt_f32_f16_e32 v2, v4
	s_delay_alu instid0(VALU_DEP_1)
	v_cvt_i32_f32_e32 v2, v2
	global_store_b8 v[0:1], v2, off
	s_nop 0
	s_sendmsg sendmsg(MSG_DEALLOC_VGPRS)
	s_endpgm
.LBB408_2040:
	s_nop 0
	s_sendmsg sendmsg(MSG_DEALLOC_VGPRS)
	s_endpgm
.LBB408_2041:
	s_mov_b32 s1, 0
	s_mov_b32 s0, -1
	s_branch .LBB408_1997
.LBB408_2042:
	s_cbranch_execnz .LBB408_2046
; %bb.2043:
	s_or_b32 s10, s10, exec_lo
                                        ; implicit-def: $vgpr7
	s_cbranch_execz .LBB408_1511
	s_branch .LBB408_1512
.LBB408_2044:
	s_or_saveexec_b32 s7, s7
                                        ; implicit-def: $sgpr9
	s_delay_alu instid0(SALU_CYCLE_1)
	s_xor_b32 exec_lo, exec_lo, s7
	s_cbranch_execz .LBB408_1591
.LBB408_2045:
	v_add_f32_e64 v9, 0x46000000, |v8|
	s_and_not1_b32 s6, s6, exec_lo
	s_mov_b32 s9, 0
	s_delay_alu instid0(VALU_DEP_1) | instskip(NEXT) | instid1(VALU_DEP_1)
	v_and_b32_e32 v9, 0xff, v9
	v_cmp_ne_u32_e32 vcc_lo, 0, v9
	s_and_b32 s13, vcc_lo, exec_lo
	s_delay_alu instid0(SALU_CYCLE_1)
	s_or_b32 s6, s6, s13
	s_or_b32 exec_lo, exec_lo, s7
	v_mov_b32_e32 v10, s9
	s_and_saveexec_b32 s7, s6
	s_cbranch_execnz .LBB408_1592
	s_branch .LBB408_1593
.LBB408_2046:
	s_trap 2
	s_sendmsg_rtn_b32 s0, sendmsg(MSG_RTN_GET_DOORBELL)
	s_mov_b32 ttmp2, m0
	s_waitcnt lgkmcnt(0)
	s_and_b32 s0, s0, 0x3ff
	s_delay_alu instid0(SALU_CYCLE_1) | instskip(NEXT) | instid1(SALU_CYCLE_1)
	s_bitset1_b32 s0, 10
	s_mov_b32 m0, s0
	s_sendmsg sendmsg(MSG_INTERRUPT)
	s_mov_b32 m0, ttmp2
.LBB408_2047:                           ; =>This Inner Loop Header: Depth=1
	s_sethalt 5
	s_branch .LBB408_2047
.LBB408_2048:
	s_cbranch_execnz .LBB408_2054
; %bb.2049:
	s_or_b32 s10, s10, exec_lo
	s_cbranch_execz .LBB408_1639
	s_branch .LBB408_1640
.LBB408_2050:
	s_or_saveexec_b32 s6, s6
                                        ; implicit-def: $sgpr7
	s_delay_alu instid0(SALU_CYCLE_1)
	s_xor_b32 exec_lo, exec_lo, s6
	s_cbranch_execz .LBB408_1604
.LBB408_2051:
	v_add_f32_e64 v9, 0x42800000, |v8|
	s_and_not1_b32 s3, s3, exec_lo
	s_mov_b32 s7, 0
	s_delay_alu instid0(VALU_DEP_1) | instskip(NEXT) | instid1(VALU_DEP_1)
	v_and_b32_e32 v9, 0xff, v9
	v_cmp_ne_u32_e32 vcc_lo, 0, v9
	s_and_b32 s9, vcc_lo, exec_lo
	s_delay_alu instid0(SALU_CYCLE_1)
	s_or_b32 s3, s3, s9
	s_or_b32 exec_lo, exec_lo, s6
	v_mov_b32_e32 v10, s7
	s_and_saveexec_b32 s6, s3
	s_cbranch_execnz .LBB408_1605
	s_branch .LBB408_1606
.LBB408_2052:
	s_or_saveexec_b32 s7, s7
                                        ; implicit-def: $sgpr9
	s_delay_alu instid0(SALU_CYCLE_1)
	s_xor_b32 exec_lo, exec_lo, s7
	s_cbranch_execz .LBB408_1710
.LBB408_2053:
	v_add_f32_e64 v8, 0x46000000, |v5|
	s_and_not1_b32 s6, s6, exec_lo
	s_mov_b32 s9, 0
	s_delay_alu instid0(VALU_DEP_1) | instskip(NEXT) | instid1(VALU_DEP_1)
	v_and_b32_e32 v8, 0xff, v8
	v_cmp_ne_u32_e32 vcc_lo, 0, v8
	s_and_b32 s13, vcc_lo, exec_lo
	s_delay_alu instid0(SALU_CYCLE_1)
	s_or_b32 s6, s6, s13
	s_or_b32 exec_lo, exec_lo, s7
	v_mov_b32_e32 v9, s9
	s_and_saveexec_b32 s7, s6
	s_cbranch_execnz .LBB408_1711
	s_branch .LBB408_1712
.LBB408_2054:
	s_trap 2
	s_sendmsg_rtn_b32 s0, sendmsg(MSG_RTN_GET_DOORBELL)
	s_mov_b32 ttmp2, m0
	s_waitcnt lgkmcnt(0)
	s_and_b32 s0, s0, 0x3ff
	s_delay_alu instid0(SALU_CYCLE_1) | instskip(NEXT) | instid1(SALU_CYCLE_1)
	s_bitset1_b32 s0, 10
	s_mov_b32 m0, s0
	s_sendmsg sendmsg(MSG_INTERRUPT)
	s_mov_b32 m0, ttmp2
.LBB408_2055:                           ; =>This Inner Loop Header: Depth=1
	s_sethalt 5
	s_branch .LBB408_2055
.LBB408_2056:
	s_cbranch_execnz .LBB408_2062
; %bb.2057:
	s_or_b32 s10, s10, exec_lo
	s_cbranch_execz .LBB408_1758
	s_branch .LBB408_1759
.LBB408_2058:
	s_or_saveexec_b32 s6, s6
                                        ; implicit-def: $sgpr7
	s_delay_alu instid0(SALU_CYCLE_1)
	s_xor_b32 exec_lo, exec_lo, s6
	s_cbranch_execz .LBB408_1723
.LBB408_2059:
	v_add_f32_e64 v8, 0x42800000, |v5|
	s_and_not1_b32 s3, s3, exec_lo
	s_mov_b32 s7, 0
	s_delay_alu instid0(VALU_DEP_1) | instskip(NEXT) | instid1(VALU_DEP_1)
	v_and_b32_e32 v8, 0xff, v8
	v_cmp_ne_u32_e32 vcc_lo, 0, v8
	s_and_b32 s9, vcc_lo, exec_lo
	s_delay_alu instid0(SALU_CYCLE_1)
	s_or_b32 s3, s3, s9
	s_or_b32 exec_lo, exec_lo, s6
	v_mov_b32_e32 v9, s7
	s_and_saveexec_b32 s6, s3
	s_cbranch_execnz .LBB408_1724
	s_branch .LBB408_1725
.LBB408_2060:
	s_or_saveexec_b32 s7, s7
                                        ; implicit-def: $sgpr9
	s_delay_alu instid0(SALU_CYCLE_1)
	s_xor_b32 exec_lo, exec_lo, s7
	s_cbranch_execz .LBB408_1829
.LBB408_2061:
	v_add_f32_e64 v6, 0x46000000, |v5|
	s_and_not1_b32 s6, s6, exec_lo
	s_mov_b32 s9, 0
	s_delay_alu instid0(VALU_DEP_1) | instskip(NEXT) | instid1(VALU_DEP_1)
	v_and_b32_e32 v6, 0xff, v6
	v_cmp_ne_u32_e32 vcc_lo, 0, v6
	s_and_b32 s13, vcc_lo, exec_lo
	s_delay_alu instid0(SALU_CYCLE_1)
	s_or_b32 s6, s6, s13
	s_or_b32 exec_lo, exec_lo, s7
	v_mov_b32_e32 v8, s9
	s_and_saveexec_b32 s7, s6
	s_cbranch_execnz .LBB408_1830
	s_branch .LBB408_1831
.LBB408_2062:
	s_trap 2
	s_sendmsg_rtn_b32 s0, sendmsg(MSG_RTN_GET_DOORBELL)
	s_mov_b32 ttmp2, m0
	s_waitcnt lgkmcnt(0)
	s_and_b32 s0, s0, 0x3ff
	s_delay_alu instid0(SALU_CYCLE_1) | instskip(NEXT) | instid1(SALU_CYCLE_1)
	s_bitset1_b32 s0, 10
	s_mov_b32 m0, s0
	s_sendmsg sendmsg(MSG_INTERRUPT)
	s_mov_b32 m0, ttmp2
.LBB408_2063:                           ; =>This Inner Loop Header: Depth=1
	s_sethalt 5
	s_branch .LBB408_2063
.LBB408_2064:
	s_cbranch_execnz .LBB408_2070
; %bb.2065:
	s_or_b32 s10, s10, exec_lo
	s_cbranch_execz .LBB408_1877
	s_branch .LBB408_1878
.LBB408_2066:
	s_or_saveexec_b32 s6, s6
                                        ; implicit-def: $sgpr7
	s_delay_alu instid0(SALU_CYCLE_1)
	s_xor_b32 exec_lo, exec_lo, s6
	s_cbranch_execz .LBB408_1842
.LBB408_2067:
	v_add_f32_e64 v6, 0x42800000, |v5|
	s_and_not1_b32 s3, s3, exec_lo
	s_mov_b32 s7, 0
	s_delay_alu instid0(VALU_DEP_1) | instskip(NEXT) | instid1(VALU_DEP_1)
	v_and_b32_e32 v6, 0xff, v6
	v_cmp_ne_u32_e32 vcc_lo, 0, v6
	s_and_b32 s9, vcc_lo, exec_lo
	s_delay_alu instid0(SALU_CYCLE_1)
	s_or_b32 s3, s3, s9
	s_or_b32 exec_lo, exec_lo, s6
	v_mov_b32_e32 v8, s7
	s_and_saveexec_b32 s6, s3
	s_cbranch_execnz .LBB408_1843
	s_branch .LBB408_1844
.LBB408_2068:
	s_or_saveexec_b32 s4, s4
                                        ; implicit-def: $sgpr5
	s_delay_alu instid0(SALU_CYCLE_1)
	s_xor_b32 exec_lo, exec_lo, s4
	s_cbranch_execz .LBB408_1949
.LBB408_2069:
	v_add_f32_e64 v5, 0x46000000, |v2|
	s_and_not1_b32 s3, s3, exec_lo
	s_mov_b32 s5, 0
	s_delay_alu instid0(VALU_DEP_1) | instskip(NEXT) | instid1(VALU_DEP_1)
	v_and_b32_e32 v5, 0xff, v5
	v_cmp_ne_u32_e32 vcc_lo, 0, v5
	s_and_b32 s6, vcc_lo, exec_lo
	s_delay_alu instid0(SALU_CYCLE_1)
	s_or_b32 s3, s3, s6
	s_or_b32 exec_lo, exec_lo, s4
	v_mov_b32_e32 v6, s5
	s_and_saveexec_b32 s4, s3
	s_cbranch_execnz .LBB408_1950
	s_branch .LBB408_1951
.LBB408_2070:
	s_trap 2
	s_sendmsg_rtn_b32 s0, sendmsg(MSG_RTN_GET_DOORBELL)
	s_mov_b32 ttmp2, m0
	s_waitcnt lgkmcnt(0)
	s_and_b32 s0, s0, 0x3ff
	s_delay_alu instid0(SALU_CYCLE_1) | instskip(NEXT) | instid1(SALU_CYCLE_1)
	s_bitset1_b32 s0, 10
	s_mov_b32 m0, s0
	s_sendmsg sendmsg(MSG_INTERRUPT)
	s_mov_b32 m0, ttmp2
.LBB408_2071:                           ; =>This Inner Loop Header: Depth=1
	s_sethalt 5
	s_branch .LBB408_2071
.LBB408_2072:
	s_cbranch_execnz .LBB408_2076
; %bb.2073:
	s_mov_b32 s1, 0
	s_or_b32 s10, s10, exec_lo
	s_branch .LBB408_1995
.LBB408_2074:
	s_or_saveexec_b32 s3, s3
                                        ; implicit-def: $sgpr4
	s_delay_alu instid0(SALU_CYCLE_1)
	s_xor_b32 exec_lo, exec_lo, s3
	s_cbranch_execz .LBB408_1961
.LBB408_2075:
	v_add_f32_e64 v5, 0x42800000, |v2|
	s_and_not1_b32 s2, s2, exec_lo
	s_mov_b32 s4, 0
	s_delay_alu instid0(VALU_DEP_1) | instskip(NEXT) | instid1(VALU_DEP_1)
	v_and_b32_e32 v5, 0xff, v5
	v_cmp_ne_u32_e32 vcc_lo, 0, v5
	s_and_b32 s5, vcc_lo, exec_lo
	s_delay_alu instid0(SALU_CYCLE_1)
	s_or_b32 s2, s2, s5
	s_or_b32 exec_lo, exec_lo, s3
	v_mov_b32_e32 v6, s4
	s_and_saveexec_b32 s3, s2
	s_cbranch_execnz .LBB408_1962
	s_branch .LBB408_1963
.LBB408_2076:
	s_trap 2
	s_sendmsg_rtn_b32 s0, sendmsg(MSG_RTN_GET_DOORBELL)
	s_mov_b32 ttmp2, m0
	s_waitcnt lgkmcnt(0)
	s_and_b32 s0, s0, 0x3ff
	s_delay_alu instid0(SALU_CYCLE_1) | instskip(NEXT) | instid1(SALU_CYCLE_1)
	s_bitset1_b32 s0, 10
	s_mov_b32 m0, s0
	s_sendmsg sendmsg(MSG_INTERRUPT)
	s_mov_b32 m0, ttmp2
.LBB408_2077:                           ; =>This Inner Loop Header: Depth=1
	s_sethalt 5
	s_branch .LBB408_2077
	.section	.rodata,"a",@progbits
	.p2align	6, 0x0
	.amdhsa_kernel _ZN2at6native32elementwise_kernel_manual_unrollILi128ELi4EZNS0_15gpu_kernel_implIZZZNS0_21clamp_min_kernel_cudaERNS_18TensorIteratorBaseERKN3c106ScalarEENKUlvE_clEvENKUlvE6_clEvEUlNS5_4HalfEE_EEvS4_RKT_EUlibE_EEviT1_
		.amdhsa_group_segment_fixed_size 0
		.amdhsa_private_segment_fixed_size 0
		.amdhsa_kernarg_size 40
		.amdhsa_user_sgpr_count 15
		.amdhsa_user_sgpr_dispatch_ptr 0
		.amdhsa_user_sgpr_queue_ptr 0
		.amdhsa_user_sgpr_kernarg_segment_ptr 1
		.amdhsa_user_sgpr_dispatch_id 0
		.amdhsa_user_sgpr_private_segment_size 0
		.amdhsa_wavefront_size32 1
		.amdhsa_uses_dynamic_stack 0
		.amdhsa_enable_private_segment 0
		.amdhsa_system_sgpr_workgroup_id_x 1
		.amdhsa_system_sgpr_workgroup_id_y 0
		.amdhsa_system_sgpr_workgroup_id_z 0
		.amdhsa_system_sgpr_workgroup_info 0
		.amdhsa_system_vgpr_workitem_id 0
		.amdhsa_next_free_vgpr 12
		.amdhsa_next_free_sgpr 27
		.amdhsa_reserve_vcc 1
		.amdhsa_float_round_mode_32 0
		.amdhsa_float_round_mode_16_64 0
		.amdhsa_float_denorm_mode_32 3
		.amdhsa_float_denorm_mode_16_64 3
		.amdhsa_dx10_clamp 1
		.amdhsa_ieee_mode 1
		.amdhsa_fp16_overflow 0
		.amdhsa_workgroup_processor_mode 1
		.amdhsa_memory_ordered 1
		.amdhsa_forward_progress 0
		.amdhsa_shared_vgpr_count 0
		.amdhsa_exception_fp_ieee_invalid_op 0
		.amdhsa_exception_fp_denorm_src 0
		.amdhsa_exception_fp_ieee_div_zero 0
		.amdhsa_exception_fp_ieee_overflow 0
		.amdhsa_exception_fp_ieee_underflow 0
		.amdhsa_exception_fp_ieee_inexact 0
		.amdhsa_exception_int_div_zero 0
	.end_amdhsa_kernel
	.section	.text._ZN2at6native32elementwise_kernel_manual_unrollILi128ELi4EZNS0_15gpu_kernel_implIZZZNS0_21clamp_min_kernel_cudaERNS_18TensorIteratorBaseERKN3c106ScalarEENKUlvE_clEvENKUlvE6_clEvEUlNS5_4HalfEE_EEvS4_RKT_EUlibE_EEviT1_,"axG",@progbits,_ZN2at6native32elementwise_kernel_manual_unrollILi128ELi4EZNS0_15gpu_kernel_implIZZZNS0_21clamp_min_kernel_cudaERNS_18TensorIteratorBaseERKN3c106ScalarEENKUlvE_clEvENKUlvE6_clEvEUlNS5_4HalfEE_EEvS4_RKT_EUlibE_EEviT1_,comdat
.Lfunc_end408:
	.size	_ZN2at6native32elementwise_kernel_manual_unrollILi128ELi4EZNS0_15gpu_kernel_implIZZZNS0_21clamp_min_kernel_cudaERNS_18TensorIteratorBaseERKN3c106ScalarEENKUlvE_clEvENKUlvE6_clEvEUlNS5_4HalfEE_EEvS4_RKT_EUlibE_EEviT1_, .Lfunc_end408-_ZN2at6native32elementwise_kernel_manual_unrollILi128ELi4EZNS0_15gpu_kernel_implIZZZNS0_21clamp_min_kernel_cudaERNS_18TensorIteratorBaseERKN3c106ScalarEENKUlvE_clEvENKUlvE6_clEvEUlNS5_4HalfEE_EEvS4_RKT_EUlibE_EEviT1_
                                        ; -- End function
	.section	.AMDGPU.csdata,"",@progbits
; Kernel info:
; codeLenInByte = 38156
; NumSgprs: 29
; NumVgprs: 12
; ScratchSize: 0
; MemoryBound: 0
; FloatMode: 240
; IeeeMode: 1
; LDSByteSize: 0 bytes/workgroup (compile time only)
; SGPRBlocks: 3
; VGPRBlocks: 1
; NumSGPRsForWavesPerEU: 29
; NumVGPRsForWavesPerEU: 12
; Occupancy: 16
; WaveLimiterHint : 0
; COMPUTE_PGM_RSRC2:SCRATCH_EN: 0
; COMPUTE_PGM_RSRC2:USER_SGPR: 15
; COMPUTE_PGM_RSRC2:TRAP_HANDLER: 0
; COMPUTE_PGM_RSRC2:TGID_X_EN: 1
; COMPUTE_PGM_RSRC2:TGID_Y_EN: 0
; COMPUTE_PGM_RSRC2:TGID_Z_EN: 0
; COMPUTE_PGM_RSRC2:TIDIG_COMP_CNT: 0
	.section	.text._ZN2at6native32elementwise_kernel_manual_unrollILi128ELi4EZNS0_15gpu_kernel_implIZZZNS0_21clamp_min_kernel_cudaERNS_18TensorIteratorBaseERKN3c106ScalarEENKUlvE_clEvENKUlvE6_clEvEUlNS5_4HalfEE_EEvS4_RKT_EUlibE0_EEviT1_,"axG",@progbits,_ZN2at6native32elementwise_kernel_manual_unrollILi128ELi4EZNS0_15gpu_kernel_implIZZZNS0_21clamp_min_kernel_cudaERNS_18TensorIteratorBaseERKN3c106ScalarEENKUlvE_clEvENKUlvE6_clEvEUlNS5_4HalfEE_EEvS4_RKT_EUlibE0_EEviT1_,comdat
	.globl	_ZN2at6native32elementwise_kernel_manual_unrollILi128ELi4EZNS0_15gpu_kernel_implIZZZNS0_21clamp_min_kernel_cudaERNS_18TensorIteratorBaseERKN3c106ScalarEENKUlvE_clEvENKUlvE6_clEvEUlNS5_4HalfEE_EEvS4_RKT_EUlibE0_EEviT1_ ; -- Begin function _ZN2at6native32elementwise_kernel_manual_unrollILi128ELi4EZNS0_15gpu_kernel_implIZZZNS0_21clamp_min_kernel_cudaERNS_18TensorIteratorBaseERKN3c106ScalarEENKUlvE_clEvENKUlvE6_clEvEUlNS5_4HalfEE_EEvS4_RKT_EUlibE0_EEviT1_
	.p2align	8
	.type	_ZN2at6native32elementwise_kernel_manual_unrollILi128ELi4EZNS0_15gpu_kernel_implIZZZNS0_21clamp_min_kernel_cudaERNS_18TensorIteratorBaseERKN3c106ScalarEENKUlvE_clEvENKUlvE6_clEvEUlNS5_4HalfEE_EEvS4_RKT_EUlibE0_EEviT1_,@function
_ZN2at6native32elementwise_kernel_manual_unrollILi128ELi4EZNS0_15gpu_kernel_implIZZZNS0_21clamp_min_kernel_cudaERNS_18TensorIteratorBaseERKN3c106ScalarEENKUlvE_clEvENKUlvE6_clEvEUlNS5_4HalfEE_EEvS4_RKT_EUlibE0_EEviT1_: ; @_ZN2at6native32elementwise_kernel_manual_unrollILi128ELi4EZNS0_15gpu_kernel_implIZZZNS0_21clamp_min_kernel_cudaERNS_18TensorIteratorBaseERKN3c106ScalarEENKUlvE_clEvENKUlvE6_clEvEUlNS5_4HalfEE_EEvS4_RKT_EUlibE0_EEviT1_
; %bb.0:
	s_clause 0x1
	s_load_b32 s24, s[0:1], 0x8
	s_load_b32 s34, s[0:1], 0x0
	v_lshl_or_b32 v4, s15, 9, v0
	s_or_b32 s16, s0, 8
	s_mov_b32 s3, -1
	s_mov_b32 s26, 0
	s_mov_b32 s17, s1
	v_or_b32_e32 v8, 0x180, v4
	s_mov_b32 s8, 0
	s_mov_b32 s2, exec_lo
	s_waitcnt lgkmcnt(0)
	s_add_i32 s25, s24, -1
	s_delay_alu instid0(SALU_CYCLE_1)
	s_cmp_gt_u32 s25, 1
	s_cselect_b32 s27, -1, 0
	v_cmpx_le_i32_e64 s34, v8
	s_xor_b32 s28, exec_lo, s2
	s_cbranch_execz .LBB409_1076
; %bb.1:
	s_clause 0x5
	s_load_b128 s[8:11], s[16:17], 0x4
	s_load_b32 s2, s[0:1], 0x160
	s_load_b64 s[18:19], s[16:17], 0x14
	s_load_b128 s[12:15], s[16:17], 0xc4
	s_load_b128 s[4:7], s[16:17], 0x148
	s_load_b32 s29, s[16:17], 0x158
	s_cmp_lg_u32 s24, 0
	s_mov_b32 s40, 0
	s_cselect_b32 s36, -1, 0
	s_add_u32 s20, s16, 0xc4
	s_addc_u32 s21, s17, 0
	s_min_u32 s35, s25, 15
	s_cmp_gt_u32 s24, 1
	s_mov_b32 s38, 0
	s_cselect_b32 s33, -1, 0
	s_mov_b32 s37, 0
	s_mov_b32 s39, exec_lo
	s_waitcnt lgkmcnt(0)
	s_lshr_b32 s30, s2, 16
	s_lshr_b32 s31, s2, 24
	v_cmpx_gt_i32_e64 s34, v4
	s_cbranch_execz .LBB409_263
; %bb.2:
	s_and_not1_b32 vcc_lo, exec_lo, s27
	s_cbranch_vccnz .LBB409_7
; %bb.3:
	v_dual_mov_b32 v0, 0 :: v_dual_mov_b32 v1, 0
	s_and_not1_b32 vcc_lo, exec_lo, s36
	s_cbranch_vccnz .LBB409_12
; %bb.4:
	v_mov_b32_e32 v0, 0
	s_add_i32 s41, s35, 1
	s_cmp_eq_u32 s25, 2
	s_cbranch_scc1 .LBB409_8
; %bb.5:
	v_dual_mov_b32 v1, 0 :: v_dual_mov_b32 v0, 0
	v_mov_b32_e32 v2, v4
	s_and_b32 s38, s41, 28
	s_mov_b32 s42, 0
	s_mov_b64 s[2:3], s[20:21]
	s_mov_b64 s[22:23], s[16:17]
.LBB409_6:                              ; =>This Inner Loop Header: Depth=1
	s_clause 0x1
	s_load_b256 s[44:51], s[22:23], 0x4
	s_load_b128 s[60:63], s[22:23], 0x24
	s_load_b256 s[52:59], s[2:3], 0x0
	s_add_u32 s22, s22, 48
	s_addc_u32 s23, s23, 0
	s_add_i32 s42, s42, 4
	s_add_u32 s2, s2, 32
	s_addc_u32 s3, s3, 0
	s_cmp_lg_u32 s38, s42
	s_waitcnt lgkmcnt(0)
	v_mul_hi_u32 v3, s45, v2
	s_delay_alu instid0(VALU_DEP_1) | instskip(NEXT) | instid1(VALU_DEP_1)
	v_add_nc_u32_e32 v3, v2, v3
	v_lshrrev_b32_e32 v3, s46, v3
	s_delay_alu instid0(VALU_DEP_1) | instskip(SKIP_1) | instid1(VALU_DEP_2)
	v_mul_hi_u32 v5, s48, v3
	v_mul_lo_u32 v7, v3, s44
	v_add_nc_u32_e32 v5, v3, v5
	s_delay_alu instid0(VALU_DEP_2) | instskip(NEXT) | instid1(VALU_DEP_2)
	v_sub_nc_u32_e32 v2, v2, v7
	v_lshrrev_b32_e32 v5, s49, v5
	s_delay_alu instid0(VALU_DEP_2) | instskip(SKIP_1) | instid1(VALU_DEP_3)
	v_mul_lo_u32 v7, v2, s52
	v_mul_lo_u32 v9, v2, s53
	v_mul_hi_u32 v6, s51, v5
	s_delay_alu instid0(VALU_DEP_1) | instskip(NEXT) | instid1(VALU_DEP_1)
	v_add_nc_u32_e32 v6, v5, v6
	v_lshrrev_b32_e32 v6, s60, v6
	s_delay_alu instid0(VALU_DEP_1) | instskip(SKIP_1) | instid1(VALU_DEP_2)
	v_mul_hi_u32 v8, s62, v6
	v_mul_lo_u32 v10, v6, s50
	v_add_nc_u32_e32 v2, v6, v8
	v_mul_lo_u32 v8, v5, s47
	s_delay_alu instid0(VALU_DEP_3) | instskip(NEXT) | instid1(VALU_DEP_3)
	v_sub_nc_u32_e32 v5, v5, v10
	v_lshrrev_b32_e32 v2, s63, v2
	s_delay_alu instid0(VALU_DEP_2) | instskip(SKIP_2) | instid1(VALU_DEP_4)
	v_mul_lo_u32 v10, v5, s56
	v_mul_lo_u32 v5, v5, s57
	v_sub_nc_u32_e32 v3, v3, v8
	v_mul_lo_u32 v11, v2, s61
	s_delay_alu instid0(VALU_DEP_2) | instskip(SKIP_1) | instid1(VALU_DEP_3)
	v_mul_lo_u32 v8, v3, s54
	v_mul_lo_u32 v3, v3, s55
	v_sub_nc_u32_e32 v6, v6, v11
	s_delay_alu instid0(VALU_DEP_3) | instskip(NEXT) | instid1(VALU_DEP_2)
	v_add3_u32 v0, v7, v0, v8
	v_mul_lo_u32 v11, v6, s58
	v_mul_lo_u32 v6, v6, s59
	v_add3_u32 v1, v9, v1, v3
	s_delay_alu instid0(VALU_DEP_3) | instskip(NEXT) | instid1(VALU_DEP_2)
	v_add3_u32 v0, v10, v0, v11
	v_add3_u32 v1, v5, v1, v6
	s_cbranch_scc1 .LBB409_6
	s_branch .LBB409_9
.LBB409_7:
	s_mov_b32 s37, -1
                                        ; implicit-def: $vgpr0
                                        ; implicit-def: $vgpr1
	s_branch .LBB409_12
.LBB409_8:
	v_dual_mov_b32 v2, v4 :: v_dual_mov_b32 v1, 0
.LBB409_9:
	s_and_b32 s41, s41, 3
	s_delay_alu instid0(SALU_CYCLE_1)
	s_cmp_eq_u32 s41, 0
	s_cbranch_scc1 .LBB409_12
; %bb.10:
	s_lshl_b32 s2, s38, 3
	s_mul_i32 s22, s38, 12
	s_add_u32 s2, s2, s16
	s_addc_u32 s3, s17, 0
	s_add_u32 s2, s2, 0xc4
	s_addc_u32 s3, s3, 0
	;; [unrolled: 2-line block ×3, first 2 shown]
	.p2align	6
.LBB409_11:                             ; =>This Inner Loop Header: Depth=1
	s_clause 0x1
	s_load_b64 s[42:43], s[22:23], 0x4
	s_load_b32 s38, s[22:23], 0xc
	s_load_b64 s[44:45], s[2:3], 0x0
	s_add_u32 s22, s22, 12
	s_addc_u32 s23, s23, 0
	s_add_u32 s2, s2, 8
	s_addc_u32 s3, s3, 0
	s_add_i32 s41, s41, -1
	s_delay_alu instid0(SALU_CYCLE_1) | instskip(SKIP_2) | instid1(VALU_DEP_1)
	s_cmp_lg_u32 s41, 0
	s_waitcnt lgkmcnt(0)
	v_mul_hi_u32 v3, s43, v2
	v_add_nc_u32_e32 v3, v2, v3
	s_delay_alu instid0(VALU_DEP_1) | instskip(NEXT) | instid1(VALU_DEP_1)
	v_lshrrev_b32_e32 v3, s38, v3
	v_mul_lo_u32 v5, v3, s42
	s_delay_alu instid0(VALU_DEP_1) | instskip(NEXT) | instid1(VALU_DEP_1)
	v_sub_nc_u32_e32 v2, v2, v5
	v_mad_u64_u32 v[5:6], null, v2, s44, v[0:1]
	v_mad_u64_u32 v[6:7], null, v2, s45, v[1:2]
	v_mov_b32_e32 v2, v3
	s_delay_alu instid0(VALU_DEP_2)
	v_dual_mov_b32 v0, v5 :: v_dual_mov_b32 v1, v6
	s_cbranch_scc1 .LBB409_11
.LBB409_12:
	s_and_not1_b32 vcc_lo, exec_lo, s37
	s_cbranch_vccnz .LBB409_15
; %bb.13:
	v_mul_hi_u32 v0, s9, v4
	s_and_not1_b32 vcc_lo, exec_lo, s33
	s_delay_alu instid0(VALU_DEP_1) | instskip(NEXT) | instid1(VALU_DEP_1)
	v_add_nc_u32_e32 v0, v4, v0
	v_lshrrev_b32_e32 v2, s10, v0
	s_delay_alu instid0(VALU_DEP_1) | instskip(NEXT) | instid1(VALU_DEP_1)
	v_mul_lo_u32 v0, v2, s8
	v_sub_nc_u32_e32 v1, v4, v0
	s_delay_alu instid0(VALU_DEP_1)
	v_mul_lo_u32 v0, v1, s12
	v_mul_lo_u32 v1, v1, s13
	s_cbranch_vccnz .LBB409_15
; %bb.14:
	v_mul_hi_u32 v3, s18, v2
	s_delay_alu instid0(VALU_DEP_1) | instskip(NEXT) | instid1(VALU_DEP_1)
	v_add_nc_u32_e32 v3, v2, v3
	v_lshrrev_b32_e32 v3, s19, v3
	s_delay_alu instid0(VALU_DEP_1) | instskip(NEXT) | instid1(VALU_DEP_1)
	v_mul_lo_u32 v3, v3, s11
	v_sub_nc_u32_e32 v7, v2, v3
	s_delay_alu instid0(VALU_DEP_1) | instskip(NEXT) | instid1(VALU_DEP_1)
	v_mad_u64_u32 v[2:3], null, v7, s14, v[0:1]
	v_mad_u64_u32 v[5:6], null, v7, s15, v[1:2]
	s_delay_alu instid0(VALU_DEP_1)
	v_dual_mov_b32 v0, v2 :: v_dual_mov_b32 v1, v5
.LBB409_15:
	v_cmp_lt_i16_e64 s2, s31, 11
	s_delay_alu instid0(VALU_DEP_2) | instskip(NEXT) | instid1(VALU_DEP_1)
	v_add_co_u32 v1, s3, s6, v1
	v_add_co_ci_u32_e64 v2, null, s7, 0, s3
	s_delay_alu instid0(VALU_DEP_3)
	s_and_b32 vcc_lo, exec_lo, s2
	s_mov_b32 s3, 0
	s_cbranch_vccnz .LBB409_22
; %bb.16:
	v_cmp_gt_i16_e64 s2, s31, 25
	s_delay_alu instid0(VALU_DEP_1)
	s_and_b32 vcc_lo, exec_lo, s2
	s_cbranch_vccz .LBB409_141
; %bb.17:
	v_cmp_gt_i16_e64 s2, s31, 28
	s_delay_alu instid0(VALU_DEP_1)
	s_and_b32 vcc_lo, exec_lo, s2
	s_cbranch_vccz .LBB409_142
; %bb.18:
	v_cmp_gt_i16_e64 s2, s31, 43
	s_delay_alu instid0(VALU_DEP_1)
	s_and_b32 vcc_lo, exec_lo, s2
	s_cbranch_vccz .LBB409_143
; %bb.19:
	v_cmp_gt_i16_e64 s2, s31, 45
	s_delay_alu instid0(VALU_DEP_1)
	s_and_b32 vcc_lo, exec_lo, s2
	s_cbranch_vccz .LBB409_144
; %bb.20:
	v_cmp_eq_u16_e64 s2, s31, 46
	s_mov_b32 s22, 0
	s_delay_alu instid0(VALU_DEP_1)
	s_and_b32 vcc_lo, exec_lo, s2
	s_cbranch_vccz .LBB409_145
; %bb.21:
	global_load_b32 v3, v[1:2], off
	s_mov_b32 s2, -1
	s_waitcnt vmcnt(0)
	v_lshlrev_b32_e32 v3, 16, v3
	s_delay_alu instid0(VALU_DEP_1)
	v_cvt_f16_f32_e32 v5, v3
	s_branch .LBB409_147
.LBB409_22:
	s_mov_b32 s2, 0
                                        ; implicit-def: $vgpr5
	s_cbranch_execnz .LBB409_213
.LBB409_23:
	s_and_not1_b32 vcc_lo, exec_lo, s2
	s_cbranch_vccnz .LBB409_260
.LBB409_24:
	s_waitcnt vmcnt(0)
	s_delay_alu instid0(VALU_DEP_1) | instskip(SKIP_4) | instid1(VALU_DEP_2)
	v_cmp_u_f16_e32 vcc_lo, v5, v5
	v_cmp_lt_f16_e64 s2, s29, v5
	v_and_b32_e64 v3, 0xff, s30
	s_mov_b32 s22, 0
	s_mov_b32 s23, -1
	s_or_b32 vcc_lo, vcc_lo, s2
	v_add_co_u32 v0, s2, s4, v0
	v_cndmask_b32_e32 v2, s29, v5, vcc_lo
	v_cmp_gt_i16_e32 vcc_lo, 11, v3
	v_add_co_ci_u32_e64 v1, null, s5, 0, s2
	s_mov_b32 s2, 0
	s_cbranch_vccnz .LBB409_101
; %bb.25:
	v_cmp_lt_i16_e32 vcc_lo, 25, v3
	s_cbranch_vccz .LBB409_58
; %bb.26:
	v_cmp_lt_i16_e32 vcc_lo, 28, v3
	s_cbranch_vccz .LBB409_41
	;; [unrolled: 3-line block ×4, first 2 shown]
; %bb.29:
	v_cmp_eq_u16_e32 vcc_lo, 46, v3
	s_mov_b32 s23, 0
	s_mov_b32 s22, -1
	s_cbranch_vccz .LBB409_31
; %bb.30:
	v_cvt_f32_f16_e32 v5, v2
	v_cmp_o_f16_e32 vcc_lo, v2, v2
	s_mov_b32 s2, -1
	s_mov_b32 s22, 0
	s_delay_alu instid0(VALU_DEP_2) | instskip(NEXT) | instid1(VALU_DEP_1)
	v_bfe_u32 v6, v5, 16, 1
	v_add3_u32 v5, v5, v6, 0x7fff
	s_delay_alu instid0(VALU_DEP_1) | instskip(NEXT) | instid1(VALU_DEP_1)
	v_lshrrev_b32_e32 v5, 16, v5
	v_cndmask_b32_e32 v5, 0x7fc0, v5, vcc_lo
	global_store_b32 v[0:1], v5, off
.LBB409_31:
	s_and_b32 vcc_lo, exec_lo, s23
	s_cbranch_vccz .LBB409_36
; %bb.32:
	v_cmp_eq_u16_e32 vcc_lo, 44, v3
	s_mov_b32 s22, -1
	s_cbranch_vccz .LBB409_36
; %bb.33:
	v_cvt_f32_f16_e32 v5, v2
	v_mov_b32_e32 v6, 0xff
	s_mov_b32 s22, exec_lo
	s_delay_alu instid0(VALU_DEP_2) | instskip(NEXT) | instid1(VALU_DEP_1)
	v_bfe_u32 v7, v5, 23, 8
	v_cmpx_ne_u32_e32 0xff, v7
; %bb.34:
	v_and_b32_e32 v6, 0x400000, v5
	v_and_or_b32 v7, 0x3fffff, v5, v7
	v_lshrrev_b32_e32 v5, 23, v5
	s_delay_alu instid0(VALU_DEP_3) | instskip(NEXT) | instid1(VALU_DEP_3)
	v_cmp_ne_u32_e32 vcc_lo, 0, v6
	v_cmp_ne_u32_e64 s2, 0, v7
	s_delay_alu instid0(VALU_DEP_1) | instskip(NEXT) | instid1(SALU_CYCLE_1)
	s_and_b32 s2, vcc_lo, s2
	v_cndmask_b32_e64 v6, 0, 1, s2
	s_delay_alu instid0(VALU_DEP_1)
	v_add_nc_u32_e32 v6, v5, v6
; %bb.35:
	s_or_b32 exec_lo, exec_lo, s22
	s_mov_b32 s2, -1
	s_mov_b32 s22, 0
	global_store_b8 v[0:1], v6, off
.LBB409_36:
	s_mov_b32 s23, 0
.LBB409_37:
	s_delay_alu instid0(SALU_CYCLE_1)
	s_and_b32 vcc_lo, exec_lo, s23
	s_cbranch_vccz .LBB409_40
; %bb.38:
	v_cmp_eq_u16_e32 vcc_lo, 29, v3
	s_mov_b32 s22, -1
	s_cbranch_vccz .LBB409_40
; %bb.39:
	v_cvt_f32_f16_e32 v5, v2
	v_mov_b32_e32 v6, 0
	s_mov_b32 s22, 0
	s_mov_b32 s2, -1
	s_delay_alu instid0(VALU_DEP_2)
	v_cvt_u32_f32_e32 v5, v5
	global_store_b64 v[0:1], v[5:6], off
.LBB409_40:
	s_mov_b32 s23, 0
.LBB409_41:
	s_delay_alu instid0(SALU_CYCLE_1)
	s_and_b32 vcc_lo, exec_lo, s23
	s_cbranch_vccz .LBB409_57
; %bb.42:
	v_cmp_gt_i16_e32 vcc_lo, 27, v3
	s_mov_b32 s2, -1
	s_cbranch_vccnz .LBB409_48
; %bb.43:
	v_cmp_lt_i16_e32 vcc_lo, 27, v3
	s_cbranch_vccz .LBB409_45
; %bb.44:
	v_cvt_f32_f16_e32 v5, v2
	s_mov_b32 s2, 0
	s_delay_alu instid0(VALU_DEP_1)
	v_cvt_u32_f32_e32 v5, v5
	global_store_b32 v[0:1], v5, off
.LBB409_45:
	s_and_not1_b32 vcc_lo, exec_lo, s2
	s_cbranch_vccnz .LBB409_47
; %bb.46:
	v_cvt_u16_f16_e32 v5, v2
	global_store_b16 v[0:1], v5, off
.LBB409_47:
	s_mov_b32 s2, 0
.LBB409_48:
	s_delay_alu instid0(SALU_CYCLE_1)
	s_and_not1_b32 vcc_lo, exec_lo, s2
	s_cbranch_vccnz .LBB409_56
; %bb.49:
	v_cvt_f32_f16_e32 v5, v2
	v_mov_b32_e32 v7, 0x80
	s_mov_b32 s2, exec_lo
	s_delay_alu instid0(VALU_DEP_2) | instskip(NEXT) | instid1(VALU_DEP_1)
	v_and_b32_e32 v6, 0x7fffffff, v5
	v_cmpx_gt_u32_e32 0x43800000, v6
	s_cbranch_execz .LBB409_55
; %bb.50:
	v_cmp_lt_u32_e32 vcc_lo, 0x3bffffff, v6
	s_mov_b32 s23, 0
                                        ; implicit-def: $vgpr6
	s_and_saveexec_b32 s37, vcc_lo
	s_delay_alu instid0(SALU_CYCLE_1)
	s_xor_b32 s37, exec_lo, s37
	s_cbranch_execz .LBB409_150
; %bb.51:
	v_bfe_u32 v6, v5, 20, 1
	s_mov_b32 s23, exec_lo
	s_delay_alu instid0(VALU_DEP_1) | instskip(NEXT) | instid1(VALU_DEP_1)
	v_add3_u32 v6, v5, v6, 0x487ffff
	v_lshrrev_b32_e32 v6, 20, v6
	s_or_saveexec_b32 s37, s37
                                        ; implicit-def: $sgpr38
	s_delay_alu instid0(SALU_CYCLE_1)
	s_xor_b32 exec_lo, exec_lo, s37
	s_cbranch_execnz .LBB409_151
.LBB409_52:
	s_or_b32 exec_lo, exec_lo, s37
	v_mov_b32_e32 v7, s38
	s_and_saveexec_b32 s37, s23
.LBB409_53:
	v_lshrrev_b32_e32 v5, 24, v5
	s_delay_alu instid0(VALU_DEP_1)
	v_and_or_b32 v7, 0x80, v5, v6
.LBB409_54:
	s_or_b32 exec_lo, exec_lo, s37
.LBB409_55:
	s_delay_alu instid0(SALU_CYCLE_1)
	s_or_b32 exec_lo, exec_lo, s2
	global_store_b8 v[0:1], v7, off
.LBB409_56:
	s_mov_b32 s2, -1
.LBB409_57:
	s_mov_b32 s23, 0
.LBB409_58:
	s_delay_alu instid0(SALU_CYCLE_1)
	s_and_b32 vcc_lo, exec_lo, s23
	s_cbranch_vccz .LBB409_99
; %bb.59:
	v_cmp_lt_i16_e32 vcc_lo, 22, v3
	s_mov_b32 s23, -1
	s_cbranch_vccz .LBB409_91
; %bb.60:
	v_cmp_gt_i16_e32 vcc_lo, 24, v3
	s_mov_b32 s2, -1
	s_cbranch_vccnz .LBB409_80
; %bb.61:
	v_cmp_lt_i16_e32 vcc_lo, 24, v3
	s_cbranch_vccz .LBB409_69
; %bb.62:
	v_cvt_f32_f16_e32 v5, v2
	v_mov_b32_e32 v7, 0x80
	s_mov_b32 s2, exec_lo
	s_delay_alu instid0(VALU_DEP_2) | instskip(NEXT) | instid1(VALU_DEP_1)
	v_and_b32_e32 v6, 0x7fffffff, v5
	v_cmpx_gt_u32_e32 0x47800000, v6
	s_cbranch_execz .LBB409_68
; %bb.63:
	v_cmp_lt_u32_e32 vcc_lo, 0x37ffffff, v6
	s_mov_b32 s23, 0
                                        ; implicit-def: $vgpr6
	s_and_saveexec_b32 s37, vcc_lo
	s_delay_alu instid0(SALU_CYCLE_1)
	s_xor_b32 s37, exec_lo, s37
	s_cbranch_execz .LBB409_341
; %bb.64:
	v_bfe_u32 v6, v5, 21, 1
	s_mov_b32 s23, exec_lo
	s_delay_alu instid0(VALU_DEP_1) | instskip(NEXT) | instid1(VALU_DEP_1)
	v_add3_u32 v6, v5, v6, 0x88fffff
	v_lshrrev_b32_e32 v6, 21, v6
	s_or_saveexec_b32 s37, s37
                                        ; implicit-def: $sgpr38
	s_delay_alu instid0(SALU_CYCLE_1)
	s_xor_b32 exec_lo, exec_lo, s37
	s_cbranch_execnz .LBB409_342
.LBB409_65:
	s_or_b32 exec_lo, exec_lo, s37
	v_mov_b32_e32 v7, s38
	s_and_saveexec_b32 s37, s23
.LBB409_66:
	v_lshrrev_b32_e32 v5, 24, v5
	s_delay_alu instid0(VALU_DEP_1)
	v_and_or_b32 v7, 0x80, v5, v6
.LBB409_67:
	s_or_b32 exec_lo, exec_lo, s37
.LBB409_68:
	s_delay_alu instid0(SALU_CYCLE_1)
	s_or_b32 exec_lo, exec_lo, s2
	s_mov_b32 s2, 0
	global_store_b8 v[0:1], v7, off
.LBB409_69:
	s_and_b32 vcc_lo, exec_lo, s2
	s_cbranch_vccz .LBB409_79
; %bb.70:
	v_cvt_f32_f16_e32 v5, v2
	s_mov_b32 s2, exec_lo
                                        ; implicit-def: $vgpr6
	s_delay_alu instid0(VALU_DEP_1) | instskip(NEXT) | instid1(VALU_DEP_1)
	v_and_b32_e32 v7, 0x7fffffff, v5
	v_cmpx_gt_u32_e32 0x43f00000, v7
	s_xor_b32 s2, exec_lo, s2
	s_cbranch_execz .LBB409_76
; %bb.71:
	s_mov_b32 s23, exec_lo
                                        ; implicit-def: $vgpr6
	v_cmpx_lt_u32_e32 0x3c7fffff, v7
	s_xor_b32 s23, exec_lo, s23
; %bb.72:
	v_bfe_u32 v6, v5, 20, 1
	s_delay_alu instid0(VALU_DEP_1) | instskip(NEXT) | instid1(VALU_DEP_1)
	v_add3_u32 v6, v5, v6, 0x407ffff
	v_and_b32_e32 v7, 0xff00000, v6
	v_lshrrev_b32_e32 v6, 20, v6
	s_delay_alu instid0(VALU_DEP_2) | instskip(NEXT) | instid1(VALU_DEP_2)
	v_cmp_ne_u32_e32 vcc_lo, 0x7f00000, v7
	v_cndmask_b32_e32 v6, 0x7e, v6, vcc_lo
; %bb.73:
	s_and_not1_saveexec_b32 s23, s23
; %bb.74:
	v_add_f32_e64 v6, 0x46800000, |v5|
; %bb.75:
	s_or_b32 exec_lo, exec_lo, s23
                                        ; implicit-def: $vgpr7
.LBB409_76:
	s_and_not1_saveexec_b32 s2, s2
; %bb.77:
	v_mov_b32_e32 v6, 0x7f
	v_cmp_lt_u32_e32 vcc_lo, 0x7f800000, v7
	s_delay_alu instid0(VALU_DEP_2)
	v_cndmask_b32_e32 v6, 0x7e, v6, vcc_lo
; %bb.78:
	s_or_b32 exec_lo, exec_lo, s2
	v_lshrrev_b32_e32 v5, 24, v5
	s_delay_alu instid0(VALU_DEP_1)
	v_and_or_b32 v5, 0x80, v5, v6
	global_store_b8 v[0:1], v5, off
.LBB409_79:
	s_mov_b32 s2, 0
.LBB409_80:
	s_delay_alu instid0(SALU_CYCLE_1)
	s_and_not1_b32 vcc_lo, exec_lo, s2
	s_cbranch_vccnz .LBB409_90
; %bb.81:
	v_cvt_f32_f16_e32 v5, v2
	s_mov_b32 s2, exec_lo
                                        ; implicit-def: $vgpr6
	s_delay_alu instid0(VALU_DEP_1) | instskip(NEXT) | instid1(VALU_DEP_1)
	v_and_b32_e32 v7, 0x7fffffff, v5
	v_cmpx_gt_u32_e32 0x47800000, v7
	s_xor_b32 s2, exec_lo, s2
	s_cbranch_execz .LBB409_87
; %bb.82:
	s_mov_b32 s23, exec_lo
                                        ; implicit-def: $vgpr6
	v_cmpx_lt_u32_e32 0x387fffff, v7
	s_xor_b32 s23, exec_lo, s23
; %bb.83:
	v_bfe_u32 v6, v5, 21, 1
	s_delay_alu instid0(VALU_DEP_1) | instskip(NEXT) | instid1(VALU_DEP_1)
	v_add3_u32 v6, v5, v6, 0x80fffff
	v_lshrrev_b32_e32 v6, 21, v6
; %bb.84:
	s_and_not1_saveexec_b32 s23, s23
; %bb.85:
	v_add_f32_e64 v6, 0x43000000, |v5|
; %bb.86:
	s_or_b32 exec_lo, exec_lo, s23
                                        ; implicit-def: $vgpr7
.LBB409_87:
	s_and_not1_saveexec_b32 s2, s2
; %bb.88:
	v_mov_b32_e32 v6, 0x7f
	v_cmp_lt_u32_e32 vcc_lo, 0x7f800000, v7
	s_delay_alu instid0(VALU_DEP_2)
	v_cndmask_b32_e32 v6, 0x7c, v6, vcc_lo
; %bb.89:
	s_or_b32 exec_lo, exec_lo, s2
	v_lshrrev_b32_e32 v5, 24, v5
	s_delay_alu instid0(VALU_DEP_1)
	v_and_or_b32 v5, 0x80, v5, v6
	global_store_b8 v[0:1], v5, off
.LBB409_90:
	s_mov_b32 s23, 0
	s_mov_b32 s2, -1
.LBB409_91:
	s_and_not1_b32 vcc_lo, exec_lo, s23
	s_cbranch_vccnz .LBB409_99
; %bb.92:
	v_cmp_lt_i16_e32 vcc_lo, 14, v3
	s_mov_b32 s23, -1
	s_cbranch_vccz .LBB409_96
; %bb.93:
	v_cmp_eq_u16_e32 vcc_lo, 15, v3
	s_mov_b32 s22, -1
	s_cbranch_vccz .LBB409_95
; %bb.94:
	v_cvt_f32_f16_e32 v5, v2
	v_cmp_o_f16_e32 vcc_lo, v2, v2
	s_mov_b32 s2, -1
	s_mov_b32 s22, 0
	s_delay_alu instid0(VALU_DEP_2) | instskip(NEXT) | instid1(VALU_DEP_1)
	v_bfe_u32 v6, v5, 16, 1
	v_add3_u32 v5, v5, v6, 0x7fff
	s_delay_alu instid0(VALU_DEP_1) | instskip(NEXT) | instid1(VALU_DEP_1)
	v_lshrrev_b32_e32 v5, 16, v5
	v_cndmask_b32_e32 v5, 0x7fc0, v5, vcc_lo
	global_store_b16 v[0:1], v5, off
.LBB409_95:
	s_mov_b32 s23, 0
.LBB409_96:
	s_delay_alu instid0(SALU_CYCLE_1)
	s_and_b32 vcc_lo, exec_lo, s23
	s_cbranch_vccz .LBB409_99
; %bb.97:
	v_cmp_eq_u16_e32 vcc_lo, 11, v3
	s_mov_b32 s22, -1
	s_cbranch_vccz .LBB409_99
; %bb.98:
	v_and_b32_e32 v5, 0x7fff, v2
	s_mov_b32 s22, 0
	s_mov_b32 s2, -1
	s_delay_alu instid0(VALU_DEP_1)
	v_cmp_ne_u16_e32 vcc_lo, 0, v5
	v_cndmask_b32_e64 v5, 0, 1, vcc_lo
	global_store_b8 v[0:1], v5, off
.LBB409_99:
.LBB409_100:
	s_and_not1_b32 vcc_lo, exec_lo, s2
	s_cbranch_vccz .LBB409_140
	s_branch .LBB409_261
.LBB409_101:
	s_and_b32 vcc_lo, exec_lo, s23
	s_cbranch_vccz .LBB409_100
; %bb.102:
	v_cmp_gt_i16_e32 vcc_lo, 5, v3
	s_mov_b32 s2, -1
	s_cbranch_vccnz .LBB409_123
; %bb.103:
	v_cmp_gt_i16_e32 vcc_lo, 8, v3
	s_cbranch_vccnz .LBB409_113
; %bb.104:
	v_cmp_gt_i16_e32 vcc_lo, 9, v3
	s_cbranch_vccnz .LBB409_110
; %bb.105:
	v_cmp_lt_i16_e32 vcc_lo, 9, v3
	s_cbranch_vccz .LBB409_107
; %bb.106:
	v_cvt_f32_f16_e32 v5, v2
	v_mov_b32_e32 v7, 0
	s_mov_b32 s2, 0
	s_delay_alu instid0(VALU_DEP_2) | instskip(NEXT) | instid1(VALU_DEP_2)
	v_cvt_f64_f32_e32 v[5:6], v5
	v_mov_b32_e32 v8, v7
	global_store_b128 v[0:1], v[5:8], off
.LBB409_107:
	s_and_not1_b32 vcc_lo, exec_lo, s2
	s_cbranch_vccnz .LBB409_109
; %bb.108:
	v_cvt_f32_f16_e32 v5, v2
	v_mov_b32_e32 v6, 0
	global_store_b64 v[0:1], v[5:6], off
.LBB409_109:
	s_mov_b32 s2, 0
.LBB409_110:
	s_delay_alu instid0(SALU_CYCLE_1)
	s_and_not1_b32 vcc_lo, exec_lo, s2
	s_cbranch_vccnz .LBB409_112
; %bb.111:
	v_and_b32_e32 v5, 0xffff, v2
	global_store_b32 v[0:1], v5, off
.LBB409_112:
	s_mov_b32 s2, 0
.LBB409_113:
	s_delay_alu instid0(SALU_CYCLE_1)
	s_and_not1_b32 vcc_lo, exec_lo, s2
	s_cbranch_vccnz .LBB409_122
; %bb.114:
	v_cmp_gt_i16_e32 vcc_lo, 6, v3
	s_mov_b32 s2, -1
	s_cbranch_vccnz .LBB409_120
; %bb.115:
	v_cmp_lt_i16_e32 vcc_lo, 6, v3
	s_cbranch_vccz .LBB409_117
; %bb.116:
	v_cvt_f32_f16_e32 v5, v2
	s_mov_b32 s2, 0
	s_delay_alu instid0(VALU_DEP_1)
	v_cvt_f64_f32_e32 v[5:6], v5
	global_store_b64 v[0:1], v[5:6], off
.LBB409_117:
	s_and_not1_b32 vcc_lo, exec_lo, s2
	s_cbranch_vccnz .LBB409_119
; %bb.118:
	v_cvt_f32_f16_e32 v5, v2
	global_store_b32 v[0:1], v5, off
.LBB409_119:
	s_mov_b32 s2, 0
.LBB409_120:
	s_delay_alu instid0(SALU_CYCLE_1)
	s_and_not1_b32 vcc_lo, exec_lo, s2
	s_cbranch_vccnz .LBB409_122
; %bb.121:
	global_store_b16 v[0:1], v2, off
.LBB409_122:
	s_mov_b32 s2, 0
.LBB409_123:
	s_delay_alu instid0(SALU_CYCLE_1)
	s_and_not1_b32 vcc_lo, exec_lo, s2
	s_cbranch_vccnz .LBB409_139
; %bb.124:
	v_cmp_gt_i16_e32 vcc_lo, 2, v3
	s_mov_b32 s2, -1
	s_cbranch_vccnz .LBB409_134
; %bb.125:
	v_cmp_gt_i16_e32 vcc_lo, 3, v3
	s_cbranch_vccnz .LBB409_131
; %bb.126:
	v_cmp_lt_i16_e32 vcc_lo, 3, v3
	s_cbranch_vccz .LBB409_128
; %bb.127:
	v_cvt_f32_f16_e32 v5, v2
	s_mov_b32 s2, 0
	s_delay_alu instid0(VALU_DEP_1) | instskip(NEXT) | instid1(VALU_DEP_1)
	v_cvt_i32_f32_e32 v5, v5
	v_ashrrev_i32_e32 v6, 31, v5
	global_store_b64 v[0:1], v[5:6], off
.LBB409_128:
	s_and_not1_b32 vcc_lo, exec_lo, s2
	s_cbranch_vccnz .LBB409_130
; %bb.129:
	v_cvt_f32_f16_e32 v5, v2
	s_delay_alu instid0(VALU_DEP_1)
	v_cvt_i32_f32_e32 v5, v5
	global_store_b32 v[0:1], v5, off
.LBB409_130:
	s_mov_b32 s2, 0
.LBB409_131:
	s_delay_alu instid0(SALU_CYCLE_1)
	s_and_not1_b32 vcc_lo, exec_lo, s2
	s_cbranch_vccnz .LBB409_133
; %bb.132:
	v_cvt_i16_f16_e32 v5, v2
	global_store_b16 v[0:1], v5, off
.LBB409_133:
	s_mov_b32 s2, 0
.LBB409_134:
	s_delay_alu instid0(SALU_CYCLE_1)
	s_and_not1_b32 vcc_lo, exec_lo, s2
	s_cbranch_vccnz .LBB409_139
; %bb.135:
	v_cmp_lt_i16_e32 vcc_lo, 0, v3
	s_mov_b32 s2, -1
	s_cbranch_vccz .LBB409_137
; %bb.136:
	v_cvt_i16_f16_e32 v3, v2
	s_mov_b32 s2, 0
	global_store_b8 v[0:1], v3, off
.LBB409_137:
	s_and_not1_b32 vcc_lo, exec_lo, s2
	s_cbranch_vccnz .LBB409_139
; %bb.138:
	v_cvt_f32_f16_e32 v2, v2
	s_delay_alu instid0(VALU_DEP_1)
	v_cvt_i32_f32_e32 v2, v2
	global_store_b8 v[0:1], v2, off
.LBB409_139:
.LBB409_140:
	v_add_nc_u32_e32 v4, 0x80, v4
	s_mov_b32 s2, -1
	s_branch .LBB409_262
.LBB409_141:
	s_mov_b32 s2, 0
                                        ; implicit-def: $vgpr5
	s_cbranch_execnz .LBB409_178
	s_branch .LBB409_212
.LBB409_142:
	s_mov_b32 s22, -1
	s_mov_b32 s2, 0
                                        ; implicit-def: $vgpr5
	s_branch .LBB409_159
.LBB409_143:
	s_mov_b32 s22, -1
	s_mov_b32 s2, 0
                                        ; implicit-def: $vgpr5
	s_branch .LBB409_154
.LBB409_144:
	s_mov_b32 s22, -1
	s_branch .LBB409_146
.LBB409_145:
	s_mov_b32 s3, -1
.LBB409_146:
	s_mov_b32 s2, 0
                                        ; implicit-def: $vgpr5
.LBB409_147:
	s_and_b32 vcc_lo, exec_lo, s22
	s_cbranch_vccz .LBB409_153
; %bb.148:
	v_cmp_eq_u16_e64 s3, s31, 44
	s_delay_alu instid0(VALU_DEP_1)
	s_and_b32 vcc_lo, exec_lo, s3
	s_cbranch_vccz .LBB409_152
; %bb.149:
	global_load_u8 v3, v[1:2], off
	s_mov_b32 s3, 0
	s_mov_b32 s2, -1
	s_waitcnt vmcnt(0)
	v_lshlrev_b32_e32 v5, 23, v3
	v_cmp_ne_u32_e32 vcc_lo, 0xff, v3
	s_delay_alu instid0(VALU_DEP_2) | instskip(NEXT) | instid1(VALU_DEP_1)
	v_cvt_f16_f32_e32 v5, v5
	v_cndmask_b32_e32 v5, 0x7e00, v5, vcc_lo
	v_cmp_ne_u32_e32 vcc_lo, 0, v3
	s_delay_alu instid0(VALU_DEP_2)
	v_cndmask_b32_e32 v5, 0, v5, vcc_lo
	s_branch .LBB409_153
.LBB409_150:
	s_or_saveexec_b32 s37, s37
                                        ; implicit-def: $sgpr38
	s_delay_alu instid0(SALU_CYCLE_1)
	s_xor_b32 exec_lo, exec_lo, s37
	s_cbranch_execz .LBB409_52
.LBB409_151:
	v_add_f32_e64 v6, 0x46000000, |v5|
	s_and_not1_b32 s23, s23, exec_lo
	s_mov_b32 s38, 0
	s_delay_alu instid0(VALU_DEP_1) | instskip(NEXT) | instid1(VALU_DEP_1)
	v_and_b32_e32 v6, 0xff, v6
	v_cmp_ne_u32_e32 vcc_lo, 0, v6
	s_and_b32 s41, vcc_lo, exec_lo
	s_delay_alu instid0(SALU_CYCLE_1)
	s_or_b32 s23, s23, s41
	s_or_b32 exec_lo, exec_lo, s37
	v_mov_b32_e32 v7, s38
	s_and_saveexec_b32 s37, s23
	s_cbranch_execnz .LBB409_53
	s_branch .LBB409_54
.LBB409_152:
	s_mov_b32 s3, -1
                                        ; implicit-def: $vgpr5
.LBB409_153:
	s_mov_b32 s22, 0
.LBB409_154:
	s_delay_alu instid0(SALU_CYCLE_1)
	s_and_b32 vcc_lo, exec_lo, s22
	s_cbranch_vccz .LBB409_158
; %bb.155:
	v_cmp_eq_u16_e64 s3, s31, 29
	s_delay_alu instid0(VALU_DEP_1)
	s_and_b32 vcc_lo, exec_lo, s3
	s_cbranch_vccz .LBB409_157
; %bb.156:
	global_load_b64 v[5:6], v[1:2], off
	s_mov_b32 s2, -1
	s_mov_b32 s3, 0
	s_mov_b32 s22, 0
	s_waitcnt vmcnt(0)
	v_clz_i32_u32_e32 v3, v6
	s_delay_alu instid0(VALU_DEP_1) | instskip(NEXT) | instid1(VALU_DEP_1)
	v_min_u32_e32 v3, 32, v3
	v_lshlrev_b64 v[5:6], v3, v[5:6]
	v_sub_nc_u32_e32 v3, 32, v3
	s_delay_alu instid0(VALU_DEP_2) | instskip(NEXT) | instid1(VALU_DEP_1)
	v_min_u32_e32 v5, 1, v5
	v_or_b32_e32 v5, v6, v5
	s_delay_alu instid0(VALU_DEP_1) | instskip(NEXT) | instid1(VALU_DEP_1)
	v_cvt_f32_u32_e32 v5, v5
	v_ldexp_f32 v3, v5, v3
	s_delay_alu instid0(VALU_DEP_1)
	v_cvt_f16_f32_e32 v5, v3
	s_branch .LBB409_159
.LBB409_157:
	s_mov_b32 s3, -1
                                        ; implicit-def: $vgpr5
.LBB409_158:
	s_mov_b32 s22, 0
.LBB409_159:
	s_delay_alu instid0(SALU_CYCLE_1)
	s_and_b32 vcc_lo, exec_lo, s22
	s_cbranch_vccz .LBB409_177
; %bb.160:
	v_cmp_lt_i16_e64 s2, s31, 27
	s_delay_alu instid0(VALU_DEP_1)
	s_and_b32 vcc_lo, exec_lo, s2
	s_cbranch_vccnz .LBB409_163
; %bb.161:
	v_cmp_gt_i16_e64 s2, s31, 27
	s_delay_alu instid0(VALU_DEP_1)
	s_and_b32 vcc_lo, exec_lo, s2
	s_cbranch_vccz .LBB409_164
; %bb.162:
	global_load_b32 v3, v[1:2], off
	s_mov_b32 s2, 0
	s_waitcnt vmcnt(0)
	v_cvt_f32_u32_e32 v3, v3
	s_delay_alu instid0(VALU_DEP_1)
	v_cvt_f16_f32_e32 v5, v3
	s_branch .LBB409_165
.LBB409_163:
	s_mov_b32 s2, -1
                                        ; implicit-def: $vgpr5
	s_branch .LBB409_168
.LBB409_164:
	s_mov_b32 s2, -1
                                        ; implicit-def: $vgpr5
.LBB409_165:
	s_delay_alu instid0(SALU_CYCLE_1)
	s_and_not1_b32 vcc_lo, exec_lo, s2
	s_cbranch_vccnz .LBB409_167
; %bb.166:
	global_load_u16 v3, v[1:2], off
	s_waitcnt vmcnt(0)
	v_cvt_f16_u16_e32 v5, v3
.LBB409_167:
	s_mov_b32 s2, 0
.LBB409_168:
	s_delay_alu instid0(SALU_CYCLE_1)
	s_and_not1_b32 vcc_lo, exec_lo, s2
	s_cbranch_vccnz .LBB409_176
; %bb.169:
	global_load_u8 v3, v[1:2], off
	s_mov_b32 s2, 0
	s_mov_b32 s23, exec_lo
                                        ; implicit-def: $sgpr22
	s_waitcnt vmcnt(0)
	v_cmpx_lt_i16_e32 0x7f, v3
	s_xor_b32 s23, exec_lo, s23
	s_cbranch_execz .LBB409_189
; %bb.170:
	s_mov_b32 s2, -1
	s_mov_b32 s37, exec_lo
                                        ; implicit-def: $sgpr22
	v_cmpx_eq_u16_e32 0x80, v3
; %bb.171:
	s_movk_i32 s22, 0x7e00
	s_xor_b32 s2, exec_lo, -1
; %bb.172:
	s_or_b32 exec_lo, exec_lo, s37
	s_delay_alu instid0(SALU_CYCLE_1)
	s_and_b32 s2, s2, exec_lo
	s_or_saveexec_b32 s23, s23
	v_mov_b32_e32 v5, s22
	s_xor_b32 exec_lo, exec_lo, s23
	s_cbranch_execnz .LBB409_190
.LBB409_173:
	s_or_b32 exec_lo, exec_lo, s23
	s_and_saveexec_b32 s22, s2
	s_cbranch_execz .LBB409_175
.LBB409_174:
	v_and_b32_e32 v5, 0xffff, v3
	v_lshlrev_b32_e32 v3, 24, v3
	s_delay_alu instid0(VALU_DEP_2) | instskip(NEXT) | instid1(VALU_DEP_2)
	v_and_b32_e32 v6, 7, v5
	v_and_b32_e32 v3, 0x80000000, v3
	s_delay_alu instid0(VALU_DEP_2) | instskip(NEXT) | instid1(VALU_DEP_1)
	v_clz_i32_u32_e32 v7, v6
	v_min_u32_e32 v7, 32, v7
	s_delay_alu instid0(VALU_DEP_1) | instskip(SKIP_1) | instid1(VALU_DEP_2)
	v_subrev_nc_u32_e32 v8, 28, v7
	v_sub_nc_u32_e32 v7, 29, v7
	v_lshlrev_b32_e32 v8, v8, v5
	v_bfe_u32 v5, v5, 3, 4
	s_delay_alu instid0(VALU_DEP_2) | instskip(NEXT) | instid1(VALU_DEP_2)
	v_and_b32_e32 v8, 7, v8
	v_cmp_eq_u32_e32 vcc_lo, 0, v5
	s_delay_alu instid0(VALU_DEP_2) | instskip(NEXT) | instid1(VALU_DEP_1)
	v_dual_cndmask_b32 v5, v5, v7 :: v_dual_cndmask_b32 v6, v6, v8
	v_lshl_add_u32 v5, v5, 23, 0x3b800000
	s_delay_alu instid0(VALU_DEP_2) | instskip(NEXT) | instid1(VALU_DEP_1)
	v_lshlrev_b32_e32 v6, 20, v6
	v_or3_b32 v3, v3, v5, v6
	s_delay_alu instid0(VALU_DEP_1)
	v_cvt_f16_f32_e32 v5, v3
.LBB409_175:
	s_or_b32 exec_lo, exec_lo, s22
.LBB409_176:
	s_mov_b32 s2, -1
.LBB409_177:
	s_branch .LBB409_212
.LBB409_178:
	v_cmp_gt_i16_e64 s22, s31, 22
	s_delay_alu instid0(VALU_DEP_1)
	s_and_b32 vcc_lo, exec_lo, s22
	s_cbranch_vccz .LBB409_188
; %bb.179:
	v_cmp_lt_i16_e64 s2, s31, 24
	s_delay_alu instid0(VALU_DEP_1)
	s_and_b32 vcc_lo, exec_lo, s2
	s_cbranch_vccnz .LBB409_191
; %bb.180:
	v_cmp_gt_i16_e64 s2, s31, 24
	s_delay_alu instid0(VALU_DEP_1)
	s_and_b32 vcc_lo, exec_lo, s2
	s_cbranch_vccz .LBB409_192
; %bb.181:
	global_load_u8 v3, v[1:2], off
	s_mov_b32 s2, 0
	s_mov_b32 s23, exec_lo
                                        ; implicit-def: $sgpr22
	s_waitcnt vmcnt(0)
	v_cmpx_lt_i16_e32 0x7f, v3
	s_xor_b32 s23, exec_lo, s23
	s_cbranch_execz .LBB409_204
; %bb.182:
	s_mov_b32 s2, -1
	s_mov_b32 s37, exec_lo
                                        ; implicit-def: $sgpr22
	v_cmpx_eq_u16_e32 0x80, v3
; %bb.183:
	s_movk_i32 s22, 0x7e00
	s_xor_b32 s2, exec_lo, -1
; %bb.184:
	s_or_b32 exec_lo, exec_lo, s37
	s_delay_alu instid0(SALU_CYCLE_1)
	s_and_b32 s2, s2, exec_lo
	s_or_saveexec_b32 s23, s23
	v_mov_b32_e32 v5, s22
	s_xor_b32 exec_lo, exec_lo, s23
	s_cbranch_execnz .LBB409_205
.LBB409_185:
	s_or_b32 exec_lo, exec_lo, s23
	s_and_saveexec_b32 s22, s2
	s_cbranch_execz .LBB409_187
.LBB409_186:
	v_and_b32_e32 v5, 0xffff, v3
	v_lshlrev_b32_e32 v3, 24, v3
	s_delay_alu instid0(VALU_DEP_2) | instskip(NEXT) | instid1(VALU_DEP_2)
	v_and_b32_e32 v6, 3, v5
	v_and_b32_e32 v3, 0x80000000, v3
	s_delay_alu instid0(VALU_DEP_2) | instskip(NEXT) | instid1(VALU_DEP_1)
	v_clz_i32_u32_e32 v7, v6
	v_min_u32_e32 v7, 32, v7
	s_delay_alu instid0(VALU_DEP_1) | instskip(SKIP_1) | instid1(VALU_DEP_2)
	v_subrev_nc_u32_e32 v8, 29, v7
	v_sub_nc_u32_e32 v7, 30, v7
	v_lshlrev_b32_e32 v8, v8, v5
	v_bfe_u32 v5, v5, 2, 5
	s_delay_alu instid0(VALU_DEP_2) | instskip(NEXT) | instid1(VALU_DEP_2)
	v_and_b32_e32 v8, 3, v8
	v_cmp_eq_u32_e32 vcc_lo, 0, v5
	s_delay_alu instid0(VALU_DEP_2) | instskip(NEXT) | instid1(VALU_DEP_1)
	v_dual_cndmask_b32 v5, v5, v7 :: v_dual_cndmask_b32 v6, v6, v8
	v_lshl_add_u32 v5, v5, 23, 0x37800000
	s_delay_alu instid0(VALU_DEP_2) | instskip(NEXT) | instid1(VALU_DEP_1)
	v_lshlrev_b32_e32 v6, 21, v6
	v_or3_b32 v3, v3, v5, v6
	s_delay_alu instid0(VALU_DEP_1)
	v_cvt_f16_f32_e32 v5, v3
.LBB409_187:
	s_or_b32 exec_lo, exec_lo, s22
	s_mov_b32 s2, 0
	s_branch .LBB409_193
.LBB409_188:
	s_mov_b32 s22, -1
                                        ; implicit-def: $vgpr5
	s_branch .LBB409_199
.LBB409_189:
	s_or_saveexec_b32 s23, s23
	v_mov_b32_e32 v5, s22
	s_xor_b32 exec_lo, exec_lo, s23
	s_cbranch_execz .LBB409_173
.LBB409_190:
	v_cmp_ne_u16_e32 vcc_lo, 0, v3
	v_mov_b32_e32 v5, v3
	s_and_not1_b32 s2, s2, exec_lo
	s_and_b32 s22, vcc_lo, exec_lo
	s_delay_alu instid0(SALU_CYCLE_1)
	s_or_b32 s2, s2, s22
	s_or_b32 exec_lo, exec_lo, s23
	s_and_saveexec_b32 s22, s2
	s_cbranch_execnz .LBB409_174
	s_branch .LBB409_175
.LBB409_191:
	s_mov_b32 s2, -1
                                        ; implicit-def: $vgpr5
	s_branch .LBB409_196
.LBB409_192:
	s_mov_b32 s2, -1
                                        ; implicit-def: $vgpr5
.LBB409_193:
	s_delay_alu instid0(SALU_CYCLE_1)
	s_and_b32 vcc_lo, exec_lo, s2
	s_cbranch_vccz .LBB409_195
; %bb.194:
	global_load_u8 v3, v[1:2], off
	s_waitcnt vmcnt(0)
	v_lshlrev_b32_e32 v3, 24, v3
	s_delay_alu instid0(VALU_DEP_1) | instskip(NEXT) | instid1(VALU_DEP_1)
	v_and_b32_e32 v5, 0x7f000000, v3
	v_clz_i32_u32_e32 v6, v5
	v_cmp_ne_u32_e32 vcc_lo, 0, v5
	v_add_nc_u32_e32 v8, 0x1000000, v5
	s_delay_alu instid0(VALU_DEP_3) | instskip(NEXT) | instid1(VALU_DEP_1)
	v_min_u32_e32 v6, 32, v6
	v_sub_nc_u32_e64 v6, v6, 4 clamp
	s_delay_alu instid0(VALU_DEP_1) | instskip(SKIP_1) | instid1(VALU_DEP_2)
	v_lshlrev_b32_e32 v7, v6, v5
	v_lshlrev_b32_e32 v6, 23, v6
	v_lshrrev_b32_e32 v7, 4, v7
	s_delay_alu instid0(VALU_DEP_1) | instskip(SKIP_1) | instid1(VALU_DEP_2)
	v_sub_nc_u32_e32 v6, v7, v6
	v_ashrrev_i32_e32 v7, 8, v8
	v_add_nc_u32_e32 v6, 0x3c000000, v6
	s_delay_alu instid0(VALU_DEP_1) | instskip(NEXT) | instid1(VALU_DEP_1)
	v_and_or_b32 v6, 0x7f800000, v7, v6
	v_cndmask_b32_e32 v5, 0, v6, vcc_lo
	s_delay_alu instid0(VALU_DEP_1) | instskip(NEXT) | instid1(VALU_DEP_1)
	v_and_or_b32 v3, 0x80000000, v3, v5
	v_cvt_f16_f32_e32 v5, v3
.LBB409_195:
	s_mov_b32 s2, 0
.LBB409_196:
	s_delay_alu instid0(SALU_CYCLE_1)
	s_and_not1_b32 vcc_lo, exec_lo, s2
	s_cbranch_vccnz .LBB409_198
; %bb.197:
	global_load_u8 v3, v[1:2], off
	s_waitcnt vmcnt(0)
	v_lshlrev_b32_e32 v5, 25, v3
	v_lshlrev_b16 v3, 8, v3
	s_delay_alu instid0(VALU_DEP_2) | instskip(NEXT) | instid1(VALU_DEP_2)
	v_lshrrev_b32_e32 v6, 4, v5
	v_and_or_b32 v7, 0x7f00, v3, 0.5
	v_bfe_i32 v3, v3, 0, 16
	s_delay_alu instid0(VALU_DEP_3) | instskip(NEXT) | instid1(VALU_DEP_1)
	v_or_b32_e32 v6, 0x70000000, v6
	v_dual_add_f32 v7, -0.5, v7 :: v_dual_mul_f32 v6, 0x7800000, v6
	v_cmp_gt_u32_e32 vcc_lo, 0x8000000, v5
	s_delay_alu instid0(VALU_DEP_2) | instskip(NEXT) | instid1(VALU_DEP_1)
	v_cndmask_b32_e32 v5, v6, v7, vcc_lo
	v_and_or_b32 v3, 0x80000000, v3, v5
	s_delay_alu instid0(VALU_DEP_1)
	v_cvt_f16_f32_e32 v5, v3
.LBB409_198:
	s_mov_b32 s22, 0
	s_mov_b32 s2, -1
.LBB409_199:
	s_and_not1_b32 vcc_lo, exec_lo, s22
	s_cbranch_vccnz .LBB409_212
; %bb.200:
	v_cmp_gt_i16_e64 s22, s31, 14
	s_delay_alu instid0(VALU_DEP_1)
	s_and_b32 vcc_lo, exec_lo, s22
	s_cbranch_vccz .LBB409_203
; %bb.201:
	v_cmp_eq_u16_e64 s3, s31, 15
	s_delay_alu instid0(VALU_DEP_1)
	s_and_b32 vcc_lo, exec_lo, s3
	s_cbranch_vccz .LBB409_206
; %bb.202:
	global_load_u16 v3, v[1:2], off
	s_mov_b32 s2, -1
	s_mov_b32 s3, 0
	s_waitcnt vmcnt(0)
	v_lshlrev_b32_e32 v3, 16, v3
	s_delay_alu instid0(VALU_DEP_1)
	v_cvt_f16_f32_e32 v5, v3
	s_branch .LBB409_207
.LBB409_203:
	s_mov_b32 s22, -1
                                        ; implicit-def: $vgpr5
	s_branch .LBB409_208
.LBB409_204:
	s_or_saveexec_b32 s23, s23
	v_mov_b32_e32 v5, s22
	s_xor_b32 exec_lo, exec_lo, s23
	s_cbranch_execz .LBB409_185
.LBB409_205:
	v_cmp_ne_u16_e32 vcc_lo, 0, v3
	v_mov_b32_e32 v5, v3
	s_and_not1_b32 s2, s2, exec_lo
	s_and_b32 s22, vcc_lo, exec_lo
	s_delay_alu instid0(SALU_CYCLE_1)
	s_or_b32 s2, s2, s22
	s_or_b32 exec_lo, exec_lo, s23
	s_and_saveexec_b32 s22, s2
	s_cbranch_execnz .LBB409_186
	s_branch .LBB409_187
.LBB409_206:
	s_mov_b32 s3, -1
                                        ; implicit-def: $vgpr5
.LBB409_207:
	s_mov_b32 s22, 0
.LBB409_208:
	s_delay_alu instid0(SALU_CYCLE_1)
	s_and_b32 vcc_lo, exec_lo, s22
	s_cbranch_vccz .LBB409_212
; %bb.209:
	v_cmp_eq_u16_e64 s3, s31, 11
	s_delay_alu instid0(VALU_DEP_1)
	s_and_b32 vcc_lo, exec_lo, s3
	s_cbranch_vccz .LBB409_211
; %bb.210:
	global_load_u8 v3, v[1:2], off
	s_mov_b32 s3, 0
	s_mov_b32 s2, -1
	s_waitcnt vmcnt(0)
	v_cmp_ne_u16_e32 vcc_lo, 0, v3
	v_cndmask_b32_e64 v5, 0, 0x3c00, vcc_lo
	s_branch .LBB409_212
.LBB409_211:
	s_mov_b32 s3, -1
                                        ; implicit-def: $vgpr5
.LBB409_212:
	s_branch .LBB409_23
.LBB409_213:
	v_cmp_lt_i16_e64 s2, s31, 5
	s_delay_alu instid0(VALU_DEP_1)
	s_and_b32 vcc_lo, exec_lo, s2
	s_cbranch_vccnz .LBB409_218
; %bb.214:
	v_cmp_lt_i16_e64 s2, s31, 8
	s_delay_alu instid0(VALU_DEP_1)
	s_and_b32 vcc_lo, exec_lo, s2
	s_cbranch_vccnz .LBB409_219
; %bb.215:
	;; [unrolled: 5-line block ×3, first 2 shown]
	v_cmp_gt_i16_e64 s2, s31, 9
	s_delay_alu instid0(VALU_DEP_1)
	s_and_b32 vcc_lo, exec_lo, s2
	s_cbranch_vccz .LBB409_221
; %bb.217:
	global_load_b64 v[5:6], v[1:2], off
	s_mov_b32 s2, 0
	s_waitcnt vmcnt(0)
	v_cvt_f32_f64_e32 v3, v[5:6]
	s_delay_alu instid0(VALU_DEP_1)
	v_cvt_f16_f32_e32 v5, v3
	s_branch .LBB409_222
.LBB409_218:
                                        ; implicit-def: $vgpr5
	s_branch .LBB409_240
.LBB409_219:
	s_mov_b32 s2, -1
                                        ; implicit-def: $vgpr5
	s_branch .LBB409_228
.LBB409_220:
	s_mov_b32 s2, -1
                                        ; implicit-def: $vgpr5
	s_branch .LBB409_225
.LBB409_221:
	s_mov_b32 s2, -1
                                        ; implicit-def: $vgpr5
.LBB409_222:
	s_delay_alu instid0(SALU_CYCLE_1)
	s_and_not1_b32 vcc_lo, exec_lo, s2
	s_cbranch_vccnz .LBB409_224
; %bb.223:
	global_load_b32 v3, v[1:2], off
	s_waitcnt vmcnt(0)
	v_cvt_f16_f32_e32 v5, v3
.LBB409_224:
	s_mov_b32 s2, 0
.LBB409_225:
	s_delay_alu instid0(SALU_CYCLE_1)
	s_and_not1_b32 vcc_lo, exec_lo, s2
	s_cbranch_vccnz .LBB409_227
; %bb.226:
	global_load_b32 v5, v[1:2], off
.LBB409_227:
	s_mov_b32 s2, 0
.LBB409_228:
	s_delay_alu instid0(SALU_CYCLE_1)
	s_and_not1_b32 vcc_lo, exec_lo, s2
	s_cbranch_vccnz .LBB409_239
; %bb.229:
	v_cmp_lt_i16_e64 s2, s31, 6
	s_delay_alu instid0(VALU_DEP_1)
	s_and_b32 vcc_lo, exec_lo, s2
	s_cbranch_vccnz .LBB409_232
; %bb.230:
	v_cmp_gt_i16_e64 s2, s31, 6
	s_delay_alu instid0(VALU_DEP_1)
	s_and_b32 vcc_lo, exec_lo, s2
	s_cbranch_vccz .LBB409_233
; %bb.231:
	global_load_b64 v[5:6], v[1:2], off
	s_mov_b32 s2, 0
	s_waitcnt vmcnt(0)
	v_cvt_f32_f64_e32 v3, v[5:6]
	s_delay_alu instid0(VALU_DEP_1)
	v_cvt_f16_f32_e32 v5, v3
	s_branch .LBB409_234
.LBB409_232:
	s_mov_b32 s2, -1
                                        ; implicit-def: $vgpr5
	s_branch .LBB409_237
.LBB409_233:
	s_mov_b32 s2, -1
                                        ; implicit-def: $vgpr5
.LBB409_234:
	s_delay_alu instid0(SALU_CYCLE_1)
	s_and_not1_b32 vcc_lo, exec_lo, s2
	s_cbranch_vccnz .LBB409_236
; %bb.235:
	global_load_b32 v3, v[1:2], off
	s_waitcnt vmcnt(0)
	v_cvt_f16_f32_e32 v5, v3
.LBB409_236:
	s_mov_b32 s2, 0
.LBB409_237:
	s_delay_alu instid0(SALU_CYCLE_1)
	s_and_not1_b32 vcc_lo, exec_lo, s2
	s_cbranch_vccnz .LBB409_239
; %bb.238:
	global_load_u16 v5, v[1:2], off
.LBB409_239:
	s_cbranch_execnz .LBB409_259
.LBB409_240:
	v_cmp_lt_i16_e64 s2, s31, 2
	s_delay_alu instid0(VALU_DEP_1)
	s_and_b32 vcc_lo, exec_lo, s2
	s_cbranch_vccnz .LBB409_244
; %bb.241:
	v_cmp_lt_i16_e64 s2, s31, 3
	s_delay_alu instid0(VALU_DEP_1)
	s_and_b32 vcc_lo, exec_lo, s2
	s_cbranch_vccnz .LBB409_245
; %bb.242:
	v_cmp_gt_i16_e64 s2, s31, 3
	s_delay_alu instid0(VALU_DEP_1)
	s_and_b32 vcc_lo, exec_lo, s2
	s_cbranch_vccz .LBB409_246
; %bb.243:
	global_load_b64 v[5:6], v[1:2], off
	s_mov_b32 s2, 0
	s_waitcnt vmcnt(0)
	v_xor_b32_e32 v3, v5, v6
	v_cls_i32_e32 v7, v6
	s_delay_alu instid0(VALU_DEP_2) | instskip(NEXT) | instid1(VALU_DEP_2)
	v_ashrrev_i32_e32 v3, 31, v3
	v_add_nc_u32_e32 v7, -1, v7
	s_delay_alu instid0(VALU_DEP_2) | instskip(NEXT) | instid1(VALU_DEP_1)
	v_add_nc_u32_e32 v3, 32, v3
	v_min_u32_e32 v3, v7, v3
	s_delay_alu instid0(VALU_DEP_1) | instskip(SKIP_1) | instid1(VALU_DEP_2)
	v_lshlrev_b64 v[5:6], v3, v[5:6]
	v_sub_nc_u32_e32 v3, 32, v3
	v_min_u32_e32 v5, 1, v5
	s_delay_alu instid0(VALU_DEP_1) | instskip(NEXT) | instid1(VALU_DEP_1)
	v_or_b32_e32 v5, v6, v5
	v_cvt_f32_i32_e32 v5, v5
	s_delay_alu instid0(VALU_DEP_1) | instskip(NEXT) | instid1(VALU_DEP_1)
	v_ldexp_f32 v3, v5, v3
	v_cvt_f16_f32_e32 v5, v3
	s_branch .LBB409_247
.LBB409_244:
	s_mov_b32 s2, -1
                                        ; implicit-def: $vgpr5
	s_branch .LBB409_253
.LBB409_245:
	s_mov_b32 s2, -1
                                        ; implicit-def: $vgpr5
	s_branch .LBB409_250
.LBB409_246:
	s_mov_b32 s2, -1
                                        ; implicit-def: $vgpr5
.LBB409_247:
	s_delay_alu instid0(SALU_CYCLE_1)
	s_and_not1_b32 vcc_lo, exec_lo, s2
	s_cbranch_vccnz .LBB409_249
; %bb.248:
	global_load_b32 v3, v[1:2], off
	s_waitcnt vmcnt(0)
	v_cvt_f32_i32_e32 v3, v3
	s_delay_alu instid0(VALU_DEP_1)
	v_cvt_f16_f32_e32 v5, v3
.LBB409_249:
	s_mov_b32 s2, 0
.LBB409_250:
	s_delay_alu instid0(SALU_CYCLE_1)
	s_and_not1_b32 vcc_lo, exec_lo, s2
	s_cbranch_vccnz .LBB409_252
; %bb.251:
	global_load_u16 v3, v[1:2], off
	s_waitcnt vmcnt(0)
	v_cvt_f16_i16_e32 v5, v3
.LBB409_252:
	s_mov_b32 s2, 0
.LBB409_253:
	s_delay_alu instid0(SALU_CYCLE_1)
	s_and_not1_b32 vcc_lo, exec_lo, s2
	s_cbranch_vccnz .LBB409_259
; %bb.254:
	v_cmp_gt_i16_e64 s2, s31, 0
	s_delay_alu instid0(VALU_DEP_1)
	s_and_b32 vcc_lo, exec_lo, s2
	s_mov_b32 s2, 0
	s_cbranch_vccz .LBB409_256
; %bb.255:
	global_load_i8 v3, v[1:2], off
	s_waitcnt vmcnt(0)
	v_cvt_f16_i16_e32 v5, v3
	s_branch .LBB409_257
.LBB409_256:
	s_mov_b32 s2, -1
                                        ; implicit-def: $vgpr5
.LBB409_257:
	s_delay_alu instid0(SALU_CYCLE_1)
	s_and_not1_b32 vcc_lo, exec_lo, s2
	s_cbranch_vccnz .LBB409_259
; %bb.258:
	global_load_u8 v1, v[1:2], off
	s_waitcnt vmcnt(0)
	v_cvt_f16_u16_e32 v5, v1
.LBB409_259:
	s_branch .LBB409_24
.LBB409_260:
	s_mov_b32 s22, 0
.LBB409_261:
	s_mov_b32 s2, 0
                                        ; implicit-def: $vgpr4
.LBB409_262:
	s_and_b32 s37, s22, exec_lo
	s_and_b32 s38, s3, exec_lo
	s_or_not1_b32 s3, s2, exec_lo
.LBB409_263:
	s_or_b32 exec_lo, exec_lo, s39
	s_mov_b32 s22, 0
	s_mov_b32 s2, 0
                                        ; implicit-def: $vgpr1_vgpr2
                                        ; implicit-def: $vgpr0
                                        ; implicit-def: $vgpr5
	s_and_saveexec_b32 s39, s3
	s_cbranch_execz .LBB409_906
; %bb.264:
	s_mov_b32 s2, -1
	s_mov_b32 s40, s38
	s_mov_b32 s41, s37
	s_mov_b32 s42, exec_lo
	v_cmpx_gt_i32_e64 s34, v4
	s_cbranch_execz .LBB409_533
; %bb.265:
	s_and_not1_b32 vcc_lo, exec_lo, s27
	s_cbranch_vccnz .LBB409_270
; %bb.266:
	v_dual_mov_b32 v0, 0 :: v_dual_mov_b32 v1, 0
	s_and_not1_b32 vcc_lo, exec_lo, s36
	s_mov_b32 s40, 0
	s_cbranch_vccnz .LBB409_275
; %bb.267:
	v_mov_b32_e32 v0, 0
	s_add_i32 s43, s35, 1
	s_cmp_eq_u32 s25, 2
	s_mov_b32 s41, 0
	s_cbranch_scc1 .LBB409_271
; %bb.268:
	v_dual_mov_b32 v1, 0 :: v_dual_mov_b32 v0, 0
	v_mov_b32_e32 v2, v4
	s_and_b32 s41, s43, 28
	s_mov_b32 s44, 0
	s_mov_b64 s[2:3], s[20:21]
	s_mov_b64 s[22:23], s[16:17]
.LBB409_269:                            ; =>This Inner Loop Header: Depth=1
	s_clause 0x1
	s_load_b256 s[48:55], s[22:23], 0x4
	s_load_b128 s[64:67], s[22:23], 0x24
	s_load_b256 s[56:63], s[2:3], 0x0
	s_add_u32 s22, s22, 48
	s_addc_u32 s23, s23, 0
	s_add_i32 s44, s44, 4
	s_add_u32 s2, s2, 32
	s_addc_u32 s3, s3, 0
	s_cmp_eq_u32 s41, s44
	s_waitcnt lgkmcnt(0)
	v_mul_hi_u32 v3, s49, v2
	s_delay_alu instid0(VALU_DEP_1) | instskip(NEXT) | instid1(VALU_DEP_1)
	v_add_nc_u32_e32 v3, v2, v3
	v_lshrrev_b32_e32 v3, s50, v3
	s_waitcnt vmcnt(0)
	s_delay_alu instid0(VALU_DEP_1) | instskip(SKIP_1) | instid1(VALU_DEP_2)
	v_mul_hi_u32 v5, s52, v3
	v_mul_lo_u32 v7, v3, s48
	v_add_nc_u32_e32 v5, v3, v5
	s_delay_alu instid0(VALU_DEP_2) | instskip(NEXT) | instid1(VALU_DEP_2)
	v_sub_nc_u32_e32 v2, v2, v7
	v_lshrrev_b32_e32 v5, s53, v5
	s_delay_alu instid0(VALU_DEP_2) | instskip(SKIP_1) | instid1(VALU_DEP_3)
	v_mul_lo_u32 v7, v2, s56
	v_mul_lo_u32 v9, v2, s57
	v_mul_hi_u32 v6, s55, v5
	s_delay_alu instid0(VALU_DEP_1) | instskip(NEXT) | instid1(VALU_DEP_1)
	v_add_nc_u32_e32 v6, v5, v6
	v_lshrrev_b32_e32 v6, s64, v6
	s_delay_alu instid0(VALU_DEP_1) | instskip(SKIP_1) | instid1(VALU_DEP_2)
	v_mul_hi_u32 v8, s66, v6
	v_mul_lo_u32 v10, v6, s54
	v_add_nc_u32_e32 v2, v6, v8
	v_mul_lo_u32 v8, v5, s51
	s_delay_alu instid0(VALU_DEP_3) | instskip(NEXT) | instid1(VALU_DEP_3)
	v_sub_nc_u32_e32 v5, v5, v10
	v_lshrrev_b32_e32 v2, s67, v2
	s_delay_alu instid0(VALU_DEP_2) | instskip(SKIP_2) | instid1(VALU_DEP_4)
	v_mul_lo_u32 v10, v5, s60
	v_mul_lo_u32 v5, v5, s61
	v_sub_nc_u32_e32 v3, v3, v8
	v_mul_lo_u32 v11, v2, s65
	s_delay_alu instid0(VALU_DEP_2) | instskip(SKIP_1) | instid1(VALU_DEP_3)
	v_mul_lo_u32 v8, v3, s58
	v_mul_lo_u32 v3, v3, s59
	v_sub_nc_u32_e32 v6, v6, v11
	s_delay_alu instid0(VALU_DEP_3) | instskip(NEXT) | instid1(VALU_DEP_2)
	v_add3_u32 v0, v7, v0, v8
	v_mul_lo_u32 v11, v6, s62
	v_mul_lo_u32 v6, v6, s63
	v_add3_u32 v1, v9, v1, v3
	s_delay_alu instid0(VALU_DEP_3) | instskip(NEXT) | instid1(VALU_DEP_2)
	v_add3_u32 v0, v10, v0, v11
	v_add3_u32 v1, v5, v1, v6
	s_cbranch_scc0 .LBB409_269
	s_branch .LBB409_272
.LBB409_270:
	s_mov_b32 s40, -1
                                        ; implicit-def: $vgpr0
                                        ; implicit-def: $vgpr1
	s_branch .LBB409_275
.LBB409_271:
	v_dual_mov_b32 v2, v4 :: v_dual_mov_b32 v1, 0
.LBB409_272:
	s_and_b32 s43, s43, 3
	s_delay_alu instid0(SALU_CYCLE_1)
	s_cmp_eq_u32 s43, 0
	s_cbranch_scc1 .LBB409_275
; %bb.273:
	s_lshl_b32 s2, s41, 3
	s_mul_i32 s22, s41, 12
	s_add_u32 s2, s2, s16
	s_addc_u32 s3, s17, 0
	s_add_u32 s2, s2, 0xc4
	s_addc_u32 s3, s3, 0
	;; [unrolled: 2-line block ×3, first 2 shown]
	.p2align	6
.LBB409_274:                            ; =>This Inner Loop Header: Depth=1
	s_clause 0x1
	s_load_b64 s[44:45], s[22:23], 0x4
	s_load_b32 s41, s[22:23], 0xc
	s_load_b64 s[46:47], s[2:3], 0x0
	s_add_u32 s22, s22, 12
	s_addc_u32 s23, s23, 0
	s_add_u32 s2, s2, 8
	s_addc_u32 s3, s3, 0
	s_add_i32 s43, s43, -1
	s_delay_alu instid0(SALU_CYCLE_1) | instskip(SKIP_2) | instid1(VALU_DEP_1)
	s_cmp_lg_u32 s43, 0
	s_waitcnt lgkmcnt(0)
	v_mul_hi_u32 v3, s45, v2
	v_add_nc_u32_e32 v3, v2, v3
	s_delay_alu instid0(VALU_DEP_1) | instskip(SKIP_1) | instid1(VALU_DEP_1)
	v_lshrrev_b32_e32 v3, s41, v3
	s_waitcnt vmcnt(0)
	v_mul_lo_u32 v5, v3, s44
	s_delay_alu instid0(VALU_DEP_1) | instskip(NEXT) | instid1(VALU_DEP_1)
	v_sub_nc_u32_e32 v2, v2, v5
	v_mad_u64_u32 v[5:6], null, v2, s46, v[0:1]
	v_mad_u64_u32 v[6:7], null, v2, s47, v[1:2]
	v_mov_b32_e32 v2, v3
	s_delay_alu instid0(VALU_DEP_2)
	v_dual_mov_b32 v0, v5 :: v_dual_mov_b32 v1, v6
	s_cbranch_scc1 .LBB409_274
.LBB409_275:
	s_and_not1_b32 vcc_lo, exec_lo, s40
	s_cbranch_vccnz .LBB409_278
; %bb.276:
	v_mul_hi_u32 v0, s9, v4
	s_and_not1_b32 vcc_lo, exec_lo, s33
	s_delay_alu instid0(VALU_DEP_1) | instskip(NEXT) | instid1(VALU_DEP_1)
	v_add_nc_u32_e32 v0, v4, v0
	v_lshrrev_b32_e32 v2, s10, v0
	s_delay_alu instid0(VALU_DEP_1) | instskip(NEXT) | instid1(VALU_DEP_1)
	v_mul_lo_u32 v0, v2, s8
	v_sub_nc_u32_e32 v1, v4, v0
	s_delay_alu instid0(VALU_DEP_1)
	v_mul_lo_u32 v0, v1, s12
	v_mul_lo_u32 v1, v1, s13
	s_cbranch_vccnz .LBB409_278
; %bb.277:
	v_mul_hi_u32 v3, s18, v2
	s_delay_alu instid0(VALU_DEP_1) | instskip(NEXT) | instid1(VALU_DEP_1)
	v_add_nc_u32_e32 v3, v2, v3
	v_lshrrev_b32_e32 v3, s19, v3
	s_delay_alu instid0(VALU_DEP_1) | instskip(NEXT) | instid1(VALU_DEP_1)
	v_mul_lo_u32 v3, v3, s11
	v_sub_nc_u32_e32 v7, v2, v3
	s_delay_alu instid0(VALU_DEP_1) | instskip(SKIP_1) | instid1(VALU_DEP_1)
	v_mad_u64_u32 v[2:3], null, v7, s14, v[0:1]
	s_waitcnt vmcnt(0)
	v_mad_u64_u32 v[5:6], null, v7, s15, v[1:2]
	s_delay_alu instid0(VALU_DEP_1)
	v_dual_mov_b32 v0, v2 :: v_dual_mov_b32 v1, v5
.LBB409_278:
	v_cmp_lt_i16_e64 s2, s31, 11
	s_delay_alu instid0(VALU_DEP_2) | instskip(NEXT) | instid1(VALU_DEP_1)
	v_add_co_u32 v1, s3, s6, v1
	v_add_co_ci_u32_e64 v2, null, s7, 0, s3
	s_delay_alu instid0(VALU_DEP_3)
	s_and_b32 vcc_lo, exec_lo, s2
	s_mov_b32 s2, 0
	s_cbranch_vccnz .LBB409_285
; %bb.279:
	v_cmp_gt_i16_e64 s2, s31, 25
	s_delay_alu instid0(VALU_DEP_1)
	s_and_b32 vcc_lo, exec_lo, s2
	s_cbranch_vccz .LBB409_334
; %bb.280:
	v_cmp_gt_i16_e64 s2, s31, 28
	s_delay_alu instid0(VALU_DEP_1)
	s_and_b32 vcc_lo, exec_lo, s2
	s_cbranch_vccz .LBB409_335
	;; [unrolled: 5-line block ×4, first 2 shown]
; %bb.283:
	v_cmp_eq_u16_e64 s2, s31, 46
	s_mov_b32 s22, 0
	s_delay_alu instid0(VALU_DEP_1)
	s_and_b32 vcc_lo, exec_lo, s2
	s_cbranch_vccz .LBB409_343
; %bb.284:
	global_load_b32 v3, v[1:2], off
	s_mov_b32 s2, -1
	s_mov_b32 s3, 0
	s_waitcnt vmcnt(0)
	v_lshlrev_b32_e32 v3, 16, v3
	s_delay_alu instid0(VALU_DEP_1)
	v_cvt_f16_f32_e32 v5, v3
	s_branch .LBB409_345
.LBB409_285:
	s_mov_b32 s3, s38
                                        ; implicit-def: $vgpr5
	s_cbranch_execnz .LBB409_482
.LBB409_286:
	s_and_not1_b32 vcc_lo, exec_lo, s2
	s_cbranch_vccnz .LBB409_530
.LBB409_287:
	s_waitcnt vmcnt(0)
	s_delay_alu instid0(VALU_DEP_1) | instskip(SKIP_4) | instid1(VALU_DEP_2)
	v_cmp_u_f16_e32 vcc_lo, v5, v5
	v_cmp_lt_f16_e64 s2, s29, v5
	v_and_b32_e64 v3, 0xff, s30
	s_mov_b32 s22, 0
	s_mov_b32 s23, -1
	s_or_b32 vcc_lo, vcc_lo, s2
	v_add_co_u32 v0, s2, s4, v0
	v_cndmask_b32_e32 v2, s29, v5, vcc_lo
	v_cmp_gt_i16_e32 vcc_lo, 11, v3
	v_add_co_ci_u32_e64 v1, null, s5, 0, s2
	s_mov_b32 s2, s37
	s_cbranch_vccnz .LBB409_294
; %bb.288:
	v_cmp_lt_i16_e32 vcc_lo, 25, v3
	s_cbranch_vccz .LBB409_336
; %bb.289:
	v_cmp_lt_i16_e32 vcc_lo, 28, v3
	s_cbranch_vccz .LBB409_338
; %bb.290:
	v_cmp_lt_i16_e32 vcc_lo, 43, v3
	s_cbranch_vccz .LBB409_340
; %bb.291:
	v_cmp_lt_i16_e32 vcc_lo, 45, v3
	s_cbranch_vccz .LBB409_348
; %bb.292:
	v_cmp_eq_u16_e32 vcc_lo, 46, v3
	s_mov_b32 s23, 0
	s_mov_b32 s2, -1
	s_cbranch_vccz .LBB409_349
; %bb.293:
	v_cvt_f32_f16_e32 v5, v2
	v_cmp_o_f16_e32 vcc_lo, v2, v2
	s_mov_b32 s22, -1
	s_mov_b32 s2, 0
	s_delay_alu instid0(VALU_DEP_2) | instskip(NEXT) | instid1(VALU_DEP_1)
	v_bfe_u32 v6, v5, 16, 1
	v_add3_u32 v5, v5, v6, 0x7fff
	s_delay_alu instid0(VALU_DEP_1) | instskip(NEXT) | instid1(VALU_DEP_1)
	v_lshrrev_b32_e32 v5, 16, v5
	v_cndmask_b32_e32 v5, 0x7fc0, v5, vcc_lo
	global_store_b32 v[0:1], v5, off
	s_branch .LBB409_349
.LBB409_294:
	s_and_b32 vcc_lo, exec_lo, s23
	s_cbranch_vccz .LBB409_418
; %bb.295:
	v_cmp_gt_i16_e32 vcc_lo, 5, v3
	s_mov_b32 s22, -1
	s_cbranch_vccnz .LBB409_316
; %bb.296:
	v_cmp_gt_i16_e32 vcc_lo, 8, v3
	s_cbranch_vccnz .LBB409_306
; %bb.297:
	v_cmp_gt_i16_e32 vcc_lo, 9, v3
	s_cbranch_vccnz .LBB409_303
; %bb.298:
	v_cmp_lt_i16_e32 vcc_lo, 9, v3
	s_cbranch_vccz .LBB409_300
; %bb.299:
	v_cvt_f32_f16_e32 v5, v2
	v_mov_b32_e32 v7, 0
	s_mov_b32 s22, 0
	s_delay_alu instid0(VALU_DEP_2) | instskip(NEXT) | instid1(VALU_DEP_2)
	v_cvt_f64_f32_e32 v[5:6], v5
	v_mov_b32_e32 v8, v7
	global_store_b128 v[0:1], v[5:8], off
.LBB409_300:
	s_and_not1_b32 vcc_lo, exec_lo, s22
	s_cbranch_vccnz .LBB409_302
; %bb.301:
	v_cvt_f32_f16_e32 v5, v2
	v_mov_b32_e32 v6, 0
	global_store_b64 v[0:1], v[5:6], off
.LBB409_302:
	s_mov_b32 s22, 0
.LBB409_303:
	s_delay_alu instid0(SALU_CYCLE_1)
	s_and_not1_b32 vcc_lo, exec_lo, s22
	s_cbranch_vccnz .LBB409_305
; %bb.304:
	v_and_b32_e32 v5, 0xffff, v2
	global_store_b32 v[0:1], v5, off
.LBB409_305:
	s_mov_b32 s22, 0
.LBB409_306:
	s_delay_alu instid0(SALU_CYCLE_1)
	s_and_not1_b32 vcc_lo, exec_lo, s22
	s_cbranch_vccnz .LBB409_315
; %bb.307:
	v_cmp_gt_i16_e32 vcc_lo, 6, v3
	s_mov_b32 s22, -1
	s_cbranch_vccnz .LBB409_313
; %bb.308:
	v_cmp_lt_i16_e32 vcc_lo, 6, v3
	s_cbranch_vccz .LBB409_310
; %bb.309:
	v_cvt_f32_f16_e32 v5, v2
	s_mov_b32 s22, 0
	s_delay_alu instid0(VALU_DEP_1)
	v_cvt_f64_f32_e32 v[5:6], v5
	global_store_b64 v[0:1], v[5:6], off
.LBB409_310:
	s_and_not1_b32 vcc_lo, exec_lo, s22
	s_cbranch_vccnz .LBB409_312
; %bb.311:
	v_cvt_f32_f16_e32 v5, v2
	global_store_b32 v[0:1], v5, off
.LBB409_312:
	s_mov_b32 s22, 0
.LBB409_313:
	s_delay_alu instid0(SALU_CYCLE_1)
	s_and_not1_b32 vcc_lo, exec_lo, s22
	s_cbranch_vccnz .LBB409_315
; %bb.314:
	global_store_b16 v[0:1], v2, off
.LBB409_315:
	s_mov_b32 s22, 0
.LBB409_316:
	s_delay_alu instid0(SALU_CYCLE_1)
	s_and_not1_b32 vcc_lo, exec_lo, s22
	s_cbranch_vccnz .LBB409_332
; %bb.317:
	v_cmp_gt_i16_e32 vcc_lo, 2, v3
	s_mov_b32 s22, -1
	s_cbranch_vccnz .LBB409_327
; %bb.318:
	v_cmp_gt_i16_e32 vcc_lo, 3, v3
	s_cbranch_vccnz .LBB409_324
; %bb.319:
	v_cmp_lt_i16_e32 vcc_lo, 3, v3
	s_cbranch_vccz .LBB409_321
; %bb.320:
	v_cvt_f32_f16_e32 v5, v2
	s_mov_b32 s22, 0
	s_delay_alu instid0(VALU_DEP_1) | instskip(NEXT) | instid1(VALU_DEP_1)
	v_cvt_i32_f32_e32 v5, v5
	v_ashrrev_i32_e32 v6, 31, v5
	global_store_b64 v[0:1], v[5:6], off
.LBB409_321:
	s_and_not1_b32 vcc_lo, exec_lo, s22
	s_cbranch_vccnz .LBB409_323
; %bb.322:
	v_cvt_f32_f16_e32 v5, v2
	s_delay_alu instid0(VALU_DEP_1)
	v_cvt_i32_f32_e32 v5, v5
	global_store_b32 v[0:1], v5, off
.LBB409_323:
	s_mov_b32 s22, 0
.LBB409_324:
	s_delay_alu instid0(SALU_CYCLE_1)
	s_and_not1_b32 vcc_lo, exec_lo, s22
	s_cbranch_vccnz .LBB409_326
; %bb.325:
	v_cvt_i16_f16_e32 v5, v2
	global_store_b16 v[0:1], v5, off
.LBB409_326:
	s_mov_b32 s22, 0
.LBB409_327:
	s_delay_alu instid0(SALU_CYCLE_1)
	s_and_not1_b32 vcc_lo, exec_lo, s22
	s_cbranch_vccnz .LBB409_332
; %bb.328:
	v_cmp_lt_i16_e32 vcc_lo, 0, v3
	s_mov_b32 s22, -1
	s_cbranch_vccz .LBB409_330
; %bb.329:
	v_cvt_i16_f16_e32 v3, v2
	s_mov_b32 s22, 0
	global_store_b8 v[0:1], v3, off
.LBB409_330:
	s_and_not1_b32 vcc_lo, exec_lo, s22
	s_cbranch_vccnz .LBB409_332
; %bb.331:
	v_cvt_f32_f16_e32 v2, v2
	s_delay_alu instid0(VALU_DEP_1)
	v_cvt_i32_f32_e32 v2, v2
	global_store_b8 v[0:1], v2, off
.LBB409_332:
	s_branch .LBB409_419
.LBB409_333:
	s_mov_b32 s22, 0
	s_branch .LBB409_531
.LBB409_334:
	s_mov_b32 s22, -1
	s_mov_b32 s2, 0
	s_mov_b32 s3, s38
                                        ; implicit-def: $vgpr5
	s_branch .LBB409_446
.LBB409_335:
	s_mov_b32 s22, -1
	s_mov_b32 s2, 0
	s_mov_b32 s3, s38
                                        ; implicit-def: $vgpr5
	s_branch .LBB409_427
.LBB409_336:
	s_mov_b32 s2, s37
	s_branch .LBB409_376
.LBB409_337:
	s_mov_b32 s22, -1
	s_mov_b32 s2, 0
	s_mov_b32 s3, s38
                                        ; implicit-def: $vgpr5
	s_branch .LBB409_422
.LBB409_338:
	s_mov_b32 s2, s37
	s_branch .LBB409_359
.LBB409_339:
	s_mov_b32 s22, -1
	s_mov_b32 s2, 0
	s_mov_b32 s3, s38
	s_branch .LBB409_344
.LBB409_340:
	s_mov_b32 s2, s37
	s_branch .LBB409_355
.LBB409_341:
	s_or_saveexec_b32 s37, s37
                                        ; implicit-def: $sgpr38
	s_delay_alu instid0(SALU_CYCLE_1)
	s_xor_b32 exec_lo, exec_lo, s37
	s_cbranch_execz .LBB409_65
.LBB409_342:
	v_add_f32_e64 v6, 0x42800000, |v5|
	s_and_not1_b32 s23, s23, exec_lo
	s_mov_b32 s38, 0
	s_delay_alu instid0(VALU_DEP_1) | instskip(NEXT) | instid1(VALU_DEP_1)
	v_and_b32_e32 v6, 0xff, v6
	v_cmp_ne_u32_e32 vcc_lo, 0, v6
	s_and_b32 s41, vcc_lo, exec_lo
	s_delay_alu instid0(SALU_CYCLE_1)
	s_or_b32 s23, s23, s41
	s_or_b32 exec_lo, exec_lo, s37
	v_mov_b32_e32 v7, s38
	s_and_saveexec_b32 s37, s23
	s_cbranch_execnz .LBB409_66
	s_branch .LBB409_67
.LBB409_343:
	s_mov_b32 s3, -1
	s_mov_b32 s2, 0
.LBB409_344:
                                        ; implicit-def: $vgpr5
.LBB409_345:
	s_and_b32 vcc_lo, exec_lo, s22
	s_cbranch_vccz .LBB409_421
; %bb.346:
	v_cmp_eq_u16_e64 s3, s31, 44
	s_delay_alu instid0(VALU_DEP_1)
	s_and_b32 vcc_lo, exec_lo, s3
	s_cbranch_vccz .LBB409_420
; %bb.347:
	global_load_u8 v3, v[1:2], off
	s_mov_b32 s3, 0
	s_mov_b32 s2, -1
	s_waitcnt vmcnt(0)
	v_lshlrev_b32_e32 v5, 23, v3
	v_cmp_ne_u32_e32 vcc_lo, 0xff, v3
	s_delay_alu instid0(VALU_DEP_2) | instskip(NEXT) | instid1(VALU_DEP_1)
	v_cvt_f16_f32_e32 v5, v5
	v_cndmask_b32_e32 v5, 0x7e00, v5, vcc_lo
	v_cmp_ne_u32_e32 vcc_lo, 0, v3
	s_delay_alu instid0(VALU_DEP_2)
	v_cndmask_b32_e32 v5, 0, v5, vcc_lo
	s_branch .LBB409_421
.LBB409_348:
	s_mov_b32 s2, s37
.LBB409_349:
	s_and_b32 vcc_lo, exec_lo, s23
	s_cbranch_vccz .LBB409_354
; %bb.350:
	v_cmp_eq_u16_e32 vcc_lo, 44, v3
	s_mov_b32 s2, -1
	s_cbranch_vccz .LBB409_354
; %bb.351:
	v_cvt_f32_f16_e32 v5, v2
	v_mov_b32_e32 v6, 0xff
	s_mov_b32 s22, exec_lo
	s_delay_alu instid0(VALU_DEP_2) | instskip(NEXT) | instid1(VALU_DEP_1)
	v_bfe_u32 v7, v5, 23, 8
	v_cmpx_ne_u32_e32 0xff, v7
; %bb.352:
	v_and_b32_e32 v6, 0x400000, v5
	v_and_or_b32 v7, 0x3fffff, v5, v7
	v_lshrrev_b32_e32 v5, 23, v5
	s_delay_alu instid0(VALU_DEP_3) | instskip(NEXT) | instid1(VALU_DEP_3)
	v_cmp_ne_u32_e32 vcc_lo, 0, v6
	v_cmp_ne_u32_e64 s2, 0, v7
	s_delay_alu instid0(VALU_DEP_1) | instskip(NEXT) | instid1(SALU_CYCLE_1)
	s_and_b32 s2, vcc_lo, s2
	v_cndmask_b32_e64 v6, 0, 1, s2
	s_delay_alu instid0(VALU_DEP_1)
	v_add_nc_u32_e32 v6, v5, v6
; %bb.353:
	s_or_b32 exec_lo, exec_lo, s22
	s_mov_b32 s22, -1
	s_mov_b32 s2, 0
	global_store_b8 v[0:1], v6, off
.LBB409_354:
	s_mov_b32 s23, 0
.LBB409_355:
	s_delay_alu instid0(SALU_CYCLE_1)
	s_and_b32 vcc_lo, exec_lo, s23
	s_cbranch_vccz .LBB409_358
; %bb.356:
	v_cmp_eq_u16_e32 vcc_lo, 29, v3
	s_mov_b32 s2, -1
	s_cbranch_vccz .LBB409_358
; %bb.357:
	v_cvt_f32_f16_e32 v5, v2
	v_mov_b32_e32 v6, 0
	s_mov_b32 s2, 0
	s_mov_b32 s22, -1
	s_mov_b32 s23, 0
	v_cvt_u32_f32_e32 v5, v5
	global_store_b64 v[0:1], v[5:6], off
	s_branch .LBB409_359
.LBB409_358:
	s_mov_b32 s23, 0
.LBB409_359:
	s_delay_alu instid0(SALU_CYCLE_1)
	s_and_b32 vcc_lo, exec_lo, s23
	s_cbranch_vccz .LBB409_375
; %bb.360:
	v_cmp_gt_i16_e32 vcc_lo, 27, v3
	s_mov_b32 s22, -1
	s_cbranch_vccnz .LBB409_366
; %bb.361:
	v_cmp_lt_i16_e32 vcc_lo, 27, v3
	s_cbranch_vccz .LBB409_363
; %bb.362:
	v_cvt_f32_f16_e32 v5, v2
	s_mov_b32 s22, 0
	s_delay_alu instid0(VALU_DEP_1)
	v_cvt_u32_f32_e32 v5, v5
	global_store_b32 v[0:1], v5, off
.LBB409_363:
	s_and_not1_b32 vcc_lo, exec_lo, s22
	s_cbranch_vccnz .LBB409_365
; %bb.364:
	v_cvt_u16_f16_e32 v5, v2
	global_store_b16 v[0:1], v5, off
.LBB409_365:
	s_mov_b32 s22, 0
.LBB409_366:
	s_delay_alu instid0(SALU_CYCLE_1)
	s_and_not1_b32 vcc_lo, exec_lo, s22
	s_cbranch_vccnz .LBB409_374
; %bb.367:
	v_cvt_f32_f16_e32 v5, v2
	v_mov_b32_e32 v7, 0x80
	s_mov_b32 s22, exec_lo
	s_delay_alu instid0(VALU_DEP_2) | instskip(NEXT) | instid1(VALU_DEP_1)
	v_and_b32_e32 v6, 0x7fffffff, v5
	v_cmpx_gt_u32_e32 0x43800000, v6
	s_cbranch_execz .LBB409_373
; %bb.368:
	v_cmp_lt_u32_e32 vcc_lo, 0x3bffffff, v6
	s_mov_b32 s23, 0
                                        ; implicit-def: $vgpr6
	s_and_saveexec_b32 s40, vcc_lo
	s_delay_alu instid0(SALU_CYCLE_1)
	s_xor_b32 s40, exec_lo, s40
	s_cbranch_execz .LBB409_559
; %bb.369:
	v_bfe_u32 v6, v5, 20, 1
	s_mov_b32 s23, exec_lo
	s_delay_alu instid0(VALU_DEP_1) | instskip(NEXT) | instid1(VALU_DEP_1)
	v_add3_u32 v6, v5, v6, 0x487ffff
	v_lshrrev_b32_e32 v6, 20, v6
	s_or_saveexec_b32 s40, s40
                                        ; implicit-def: $sgpr41
	s_delay_alu instid0(SALU_CYCLE_1)
	s_xor_b32 exec_lo, exec_lo, s40
	s_cbranch_execnz .LBB409_560
.LBB409_370:
	s_or_b32 exec_lo, exec_lo, s40
	v_mov_b32_e32 v7, s41
	s_and_saveexec_b32 s40, s23
.LBB409_371:
	v_lshrrev_b32_e32 v5, 24, v5
	s_delay_alu instid0(VALU_DEP_1)
	v_and_or_b32 v7, 0x80, v5, v6
.LBB409_372:
	s_or_b32 exec_lo, exec_lo, s40
.LBB409_373:
	s_delay_alu instid0(SALU_CYCLE_1)
	s_or_b32 exec_lo, exec_lo, s22
	global_store_b8 v[0:1], v7, off
.LBB409_374:
	s_mov_b32 s22, -1
.LBB409_375:
	s_mov_b32 s23, 0
.LBB409_376:
	s_delay_alu instid0(SALU_CYCLE_1)
	s_and_b32 vcc_lo, exec_lo, s23
	s_cbranch_vccz .LBB409_417
; %bb.377:
	v_cmp_lt_i16_e32 vcc_lo, 22, v3
	s_mov_b32 s23, -1
	s_cbranch_vccz .LBB409_409
; %bb.378:
	v_cmp_gt_i16_e32 vcc_lo, 24, v3
	s_mov_b32 s22, -1
	s_cbranch_vccnz .LBB409_398
; %bb.379:
	v_cmp_lt_i16_e32 vcc_lo, 24, v3
	s_cbranch_vccz .LBB409_387
; %bb.380:
	v_cvt_f32_f16_e32 v5, v2
	v_mov_b32_e32 v7, 0x80
	s_mov_b32 s22, exec_lo
	s_delay_alu instid0(VALU_DEP_2) | instskip(NEXT) | instid1(VALU_DEP_1)
	v_and_b32_e32 v6, 0x7fffffff, v5
	v_cmpx_gt_u32_e32 0x47800000, v6
	s_cbranch_execz .LBB409_386
; %bb.381:
	v_cmp_lt_u32_e32 vcc_lo, 0x37ffffff, v6
	s_mov_b32 s23, 0
                                        ; implicit-def: $vgpr6
	s_and_saveexec_b32 s40, vcc_lo
	s_delay_alu instid0(SALU_CYCLE_1)
	s_xor_b32 s40, exec_lo, s40
	s_cbranch_execz .LBB409_562
; %bb.382:
	v_bfe_u32 v6, v5, 21, 1
	s_mov_b32 s23, exec_lo
	s_delay_alu instid0(VALU_DEP_1) | instskip(NEXT) | instid1(VALU_DEP_1)
	v_add3_u32 v6, v5, v6, 0x88fffff
	v_lshrrev_b32_e32 v6, 21, v6
	s_or_saveexec_b32 s40, s40
                                        ; implicit-def: $sgpr41
	s_delay_alu instid0(SALU_CYCLE_1)
	s_xor_b32 exec_lo, exec_lo, s40
	s_cbranch_execnz .LBB409_563
.LBB409_383:
	s_or_b32 exec_lo, exec_lo, s40
	v_mov_b32_e32 v7, s41
	s_and_saveexec_b32 s40, s23
.LBB409_384:
	v_lshrrev_b32_e32 v5, 24, v5
	s_delay_alu instid0(VALU_DEP_1)
	v_and_or_b32 v7, 0x80, v5, v6
.LBB409_385:
	s_or_b32 exec_lo, exec_lo, s40
.LBB409_386:
	s_delay_alu instid0(SALU_CYCLE_1)
	s_or_b32 exec_lo, exec_lo, s22
	s_mov_b32 s22, 0
	global_store_b8 v[0:1], v7, off
.LBB409_387:
	s_and_b32 vcc_lo, exec_lo, s22
	s_cbranch_vccz .LBB409_397
; %bb.388:
	v_cvt_f32_f16_e32 v5, v2
	s_mov_b32 s22, exec_lo
                                        ; implicit-def: $vgpr6
	s_delay_alu instid0(VALU_DEP_1) | instskip(NEXT) | instid1(VALU_DEP_1)
	v_and_b32_e32 v7, 0x7fffffff, v5
	v_cmpx_gt_u32_e32 0x43f00000, v7
	s_xor_b32 s22, exec_lo, s22
	s_cbranch_execz .LBB409_394
; %bb.389:
	s_mov_b32 s23, exec_lo
                                        ; implicit-def: $vgpr6
	v_cmpx_lt_u32_e32 0x3c7fffff, v7
	s_xor_b32 s23, exec_lo, s23
; %bb.390:
	v_bfe_u32 v6, v5, 20, 1
	s_delay_alu instid0(VALU_DEP_1) | instskip(NEXT) | instid1(VALU_DEP_1)
	v_add3_u32 v6, v5, v6, 0x407ffff
	v_and_b32_e32 v7, 0xff00000, v6
	v_lshrrev_b32_e32 v6, 20, v6
	s_delay_alu instid0(VALU_DEP_2) | instskip(NEXT) | instid1(VALU_DEP_2)
	v_cmp_ne_u32_e32 vcc_lo, 0x7f00000, v7
	v_cndmask_b32_e32 v6, 0x7e, v6, vcc_lo
; %bb.391:
	s_and_not1_saveexec_b32 s23, s23
; %bb.392:
	v_add_f32_e64 v6, 0x46800000, |v5|
; %bb.393:
	s_or_b32 exec_lo, exec_lo, s23
                                        ; implicit-def: $vgpr7
.LBB409_394:
	s_and_not1_saveexec_b32 s22, s22
; %bb.395:
	v_mov_b32_e32 v6, 0x7f
	v_cmp_lt_u32_e32 vcc_lo, 0x7f800000, v7
	s_delay_alu instid0(VALU_DEP_2)
	v_cndmask_b32_e32 v6, 0x7e, v6, vcc_lo
; %bb.396:
	s_or_b32 exec_lo, exec_lo, s22
	v_lshrrev_b32_e32 v5, 24, v5
	s_delay_alu instid0(VALU_DEP_1)
	v_and_or_b32 v5, 0x80, v5, v6
	global_store_b8 v[0:1], v5, off
.LBB409_397:
	s_mov_b32 s22, 0
.LBB409_398:
	s_delay_alu instid0(SALU_CYCLE_1)
	s_and_not1_b32 vcc_lo, exec_lo, s22
	s_cbranch_vccnz .LBB409_408
; %bb.399:
	v_cvt_f32_f16_e32 v5, v2
	s_mov_b32 s22, exec_lo
                                        ; implicit-def: $vgpr6
	s_delay_alu instid0(VALU_DEP_1) | instskip(NEXT) | instid1(VALU_DEP_1)
	v_and_b32_e32 v7, 0x7fffffff, v5
	v_cmpx_gt_u32_e32 0x47800000, v7
	s_xor_b32 s22, exec_lo, s22
	s_cbranch_execz .LBB409_405
; %bb.400:
	s_mov_b32 s23, exec_lo
                                        ; implicit-def: $vgpr6
	v_cmpx_lt_u32_e32 0x387fffff, v7
	s_xor_b32 s23, exec_lo, s23
; %bb.401:
	v_bfe_u32 v6, v5, 21, 1
	s_delay_alu instid0(VALU_DEP_1) | instskip(NEXT) | instid1(VALU_DEP_1)
	v_add3_u32 v6, v5, v6, 0x80fffff
	v_lshrrev_b32_e32 v6, 21, v6
; %bb.402:
	s_and_not1_saveexec_b32 s23, s23
; %bb.403:
	v_add_f32_e64 v6, 0x43000000, |v5|
; %bb.404:
	s_or_b32 exec_lo, exec_lo, s23
                                        ; implicit-def: $vgpr7
.LBB409_405:
	s_and_not1_saveexec_b32 s22, s22
; %bb.406:
	v_mov_b32_e32 v6, 0x7f
	v_cmp_lt_u32_e32 vcc_lo, 0x7f800000, v7
	s_delay_alu instid0(VALU_DEP_2)
	v_cndmask_b32_e32 v6, 0x7c, v6, vcc_lo
; %bb.407:
	s_or_b32 exec_lo, exec_lo, s22
	v_lshrrev_b32_e32 v5, 24, v5
	s_delay_alu instid0(VALU_DEP_1)
	v_and_or_b32 v5, 0x80, v5, v6
	global_store_b8 v[0:1], v5, off
.LBB409_408:
	s_mov_b32 s23, 0
	s_mov_b32 s22, -1
.LBB409_409:
	s_and_not1_b32 vcc_lo, exec_lo, s23
	s_cbranch_vccnz .LBB409_417
; %bb.410:
	v_cmp_lt_i16_e32 vcc_lo, 14, v3
	s_mov_b32 s23, -1
	s_cbranch_vccz .LBB409_414
; %bb.411:
	v_cmp_eq_u16_e32 vcc_lo, 15, v3
	s_mov_b32 s2, -1
	s_cbranch_vccz .LBB409_413
; %bb.412:
	v_cvt_f32_f16_e32 v5, v2
	v_cmp_o_f16_e32 vcc_lo, v2, v2
	s_mov_b32 s22, -1
	s_mov_b32 s2, 0
	s_delay_alu instid0(VALU_DEP_2) | instskip(NEXT) | instid1(VALU_DEP_1)
	v_bfe_u32 v6, v5, 16, 1
	v_add3_u32 v5, v5, v6, 0x7fff
	s_delay_alu instid0(VALU_DEP_1) | instskip(NEXT) | instid1(VALU_DEP_1)
	v_lshrrev_b32_e32 v5, 16, v5
	v_cndmask_b32_e32 v5, 0x7fc0, v5, vcc_lo
	global_store_b16 v[0:1], v5, off
.LBB409_413:
	s_mov_b32 s23, 0
.LBB409_414:
	s_delay_alu instid0(SALU_CYCLE_1)
	s_and_b32 vcc_lo, exec_lo, s23
	s_cbranch_vccz .LBB409_417
; %bb.415:
	v_cmp_eq_u16_e32 vcc_lo, 11, v3
	s_mov_b32 s2, -1
	s_cbranch_vccz .LBB409_417
; %bb.416:
	v_and_b32_e32 v5, 0x7fff, v2
	s_mov_b32 s2, 0
	s_mov_b32 s22, -1
	s_delay_alu instid0(VALU_DEP_1)
	v_cmp_ne_u16_e32 vcc_lo, 0, v5
	v_cndmask_b32_e64 v5, 0, 1, vcc_lo
	global_store_b8 v[0:1], v5, off
.LBB409_417:
.LBB409_418:
	s_and_not1_b32 vcc_lo, exec_lo, s22
	s_cbranch_vccnz .LBB409_333
.LBB409_419:
	v_add_nc_u32_e32 v4, 0x80, v4
	s_mov_b32 s22, -1
	s_branch .LBB409_532
.LBB409_420:
	s_mov_b32 s3, -1
                                        ; implicit-def: $vgpr5
.LBB409_421:
	s_mov_b32 s22, 0
.LBB409_422:
	s_delay_alu instid0(SALU_CYCLE_1)
	s_and_b32 vcc_lo, exec_lo, s22
	s_cbranch_vccz .LBB409_426
; %bb.423:
	v_cmp_eq_u16_e64 s3, s31, 29
	s_delay_alu instid0(VALU_DEP_1)
	s_and_b32 vcc_lo, exec_lo, s3
	s_cbranch_vccz .LBB409_425
; %bb.424:
	global_load_b64 v[5:6], v[1:2], off
	s_mov_b32 s2, -1
	s_mov_b32 s3, 0
	s_mov_b32 s22, 0
	s_waitcnt vmcnt(0)
	v_clz_i32_u32_e32 v3, v6
	s_delay_alu instid0(VALU_DEP_1) | instskip(NEXT) | instid1(VALU_DEP_1)
	v_min_u32_e32 v3, 32, v3
	v_lshlrev_b64 v[5:6], v3, v[5:6]
	v_sub_nc_u32_e32 v3, 32, v3
	s_delay_alu instid0(VALU_DEP_2) | instskip(NEXT) | instid1(VALU_DEP_1)
	v_min_u32_e32 v5, 1, v5
	v_or_b32_e32 v5, v6, v5
	s_delay_alu instid0(VALU_DEP_1) | instskip(NEXT) | instid1(VALU_DEP_1)
	v_cvt_f32_u32_e32 v5, v5
	v_ldexp_f32 v3, v5, v3
	s_delay_alu instid0(VALU_DEP_1)
	v_cvt_f16_f32_e32 v5, v3
	s_branch .LBB409_427
.LBB409_425:
	s_mov_b32 s3, -1
                                        ; implicit-def: $vgpr5
.LBB409_426:
	s_mov_b32 s22, 0
.LBB409_427:
	s_delay_alu instid0(SALU_CYCLE_1)
	s_and_b32 vcc_lo, exec_lo, s22
	s_cbranch_vccz .LBB409_445
; %bb.428:
	v_cmp_lt_i16_e64 s2, s31, 27
	s_delay_alu instid0(VALU_DEP_1)
	s_and_b32 vcc_lo, exec_lo, s2
	s_cbranch_vccnz .LBB409_431
; %bb.429:
	v_cmp_gt_i16_e64 s2, s31, 27
	s_delay_alu instid0(VALU_DEP_1)
	s_and_b32 vcc_lo, exec_lo, s2
	s_cbranch_vccz .LBB409_432
; %bb.430:
	global_load_b32 v3, v[1:2], off
	s_mov_b32 s2, 0
	s_waitcnt vmcnt(0)
	v_cvt_f32_u32_e32 v3, v3
	s_delay_alu instid0(VALU_DEP_1)
	v_cvt_f16_f32_e32 v5, v3
	s_branch .LBB409_433
.LBB409_431:
	s_mov_b32 s2, -1
                                        ; implicit-def: $vgpr5
	s_branch .LBB409_436
.LBB409_432:
	s_mov_b32 s2, -1
                                        ; implicit-def: $vgpr5
.LBB409_433:
	s_delay_alu instid0(SALU_CYCLE_1)
	s_and_not1_b32 vcc_lo, exec_lo, s2
	s_cbranch_vccnz .LBB409_435
; %bb.434:
	global_load_u16 v3, v[1:2], off
	s_waitcnt vmcnt(0)
	v_cvt_f16_u16_e32 v5, v3
.LBB409_435:
	s_mov_b32 s2, 0
.LBB409_436:
	s_delay_alu instid0(SALU_CYCLE_1)
	s_and_not1_b32 vcc_lo, exec_lo, s2
	s_cbranch_vccnz .LBB409_444
; %bb.437:
	global_load_u8 v3, v[1:2], off
	s_mov_b32 s2, 0
	s_mov_b32 s23, exec_lo
                                        ; implicit-def: $sgpr22
	s_waitcnt vmcnt(0)
	v_cmpx_lt_i16_e32 0x7f, v3
	s_xor_b32 s23, exec_lo, s23
	s_cbranch_execz .LBB409_458
; %bb.438:
	s_mov_b32 s2, -1
	s_mov_b32 s40, exec_lo
                                        ; implicit-def: $sgpr22
	v_cmpx_eq_u16_e32 0x80, v3
; %bb.439:
	s_movk_i32 s22, 0x7e00
	s_xor_b32 s2, exec_lo, -1
; %bb.440:
	s_or_b32 exec_lo, exec_lo, s40
	s_delay_alu instid0(SALU_CYCLE_1)
	s_and_b32 s2, s2, exec_lo
	s_or_saveexec_b32 s23, s23
	v_mov_b32_e32 v5, s22
	s_xor_b32 exec_lo, exec_lo, s23
	s_cbranch_execnz .LBB409_459
.LBB409_441:
	s_or_b32 exec_lo, exec_lo, s23
	s_and_saveexec_b32 s22, s2
	s_cbranch_execz .LBB409_443
.LBB409_442:
	v_and_b32_e32 v5, 0xffff, v3
	v_lshlrev_b32_e32 v3, 24, v3
	s_delay_alu instid0(VALU_DEP_2) | instskip(NEXT) | instid1(VALU_DEP_2)
	v_and_b32_e32 v6, 7, v5
	v_and_b32_e32 v3, 0x80000000, v3
	s_delay_alu instid0(VALU_DEP_2) | instskip(NEXT) | instid1(VALU_DEP_1)
	v_clz_i32_u32_e32 v7, v6
	v_min_u32_e32 v7, 32, v7
	s_delay_alu instid0(VALU_DEP_1) | instskip(SKIP_1) | instid1(VALU_DEP_2)
	v_subrev_nc_u32_e32 v8, 28, v7
	v_sub_nc_u32_e32 v7, 29, v7
	v_lshlrev_b32_e32 v8, v8, v5
	v_bfe_u32 v5, v5, 3, 4
	s_delay_alu instid0(VALU_DEP_2) | instskip(NEXT) | instid1(VALU_DEP_2)
	v_and_b32_e32 v8, 7, v8
	v_cmp_eq_u32_e32 vcc_lo, 0, v5
	s_delay_alu instid0(VALU_DEP_2) | instskip(NEXT) | instid1(VALU_DEP_1)
	v_dual_cndmask_b32 v5, v5, v7 :: v_dual_cndmask_b32 v6, v6, v8
	v_lshl_add_u32 v5, v5, 23, 0x3b800000
	s_delay_alu instid0(VALU_DEP_2) | instskip(NEXT) | instid1(VALU_DEP_1)
	v_lshlrev_b32_e32 v6, 20, v6
	v_or3_b32 v3, v3, v5, v6
	s_delay_alu instid0(VALU_DEP_1)
	v_cvt_f16_f32_e32 v5, v3
.LBB409_443:
	s_or_b32 exec_lo, exec_lo, s22
.LBB409_444:
	s_mov_b32 s2, -1
.LBB409_445:
	s_mov_b32 s22, 0
.LBB409_446:
	s_delay_alu instid0(SALU_CYCLE_1)
	s_and_b32 vcc_lo, exec_lo, s22
	s_cbranch_vccz .LBB409_481
; %bb.447:
	v_cmp_gt_i16_e64 s22, s31, 22
	s_delay_alu instid0(VALU_DEP_1)
	s_and_b32 vcc_lo, exec_lo, s22
	s_cbranch_vccz .LBB409_457
; %bb.448:
	v_cmp_lt_i16_e64 s2, s31, 24
	s_delay_alu instid0(VALU_DEP_1)
	s_and_b32 vcc_lo, exec_lo, s2
	s_cbranch_vccnz .LBB409_460
; %bb.449:
	v_cmp_gt_i16_e64 s2, s31, 24
	s_delay_alu instid0(VALU_DEP_1)
	s_and_b32 vcc_lo, exec_lo, s2
	s_cbranch_vccz .LBB409_461
; %bb.450:
	global_load_u8 v3, v[1:2], off
	s_mov_b32 s2, 0
	s_mov_b32 s23, exec_lo
                                        ; implicit-def: $sgpr22
	s_waitcnt vmcnt(0)
	v_cmpx_lt_i16_e32 0x7f, v3
	s_xor_b32 s23, exec_lo, s23
	s_cbranch_execz .LBB409_473
; %bb.451:
	s_mov_b32 s2, -1
	s_mov_b32 s40, exec_lo
                                        ; implicit-def: $sgpr22
	v_cmpx_eq_u16_e32 0x80, v3
; %bb.452:
	s_movk_i32 s22, 0x7e00
	s_xor_b32 s2, exec_lo, -1
; %bb.453:
	s_or_b32 exec_lo, exec_lo, s40
	s_delay_alu instid0(SALU_CYCLE_1)
	s_and_b32 s2, s2, exec_lo
	s_or_saveexec_b32 s23, s23
	v_mov_b32_e32 v5, s22
	s_xor_b32 exec_lo, exec_lo, s23
	s_cbranch_execnz .LBB409_474
.LBB409_454:
	s_or_b32 exec_lo, exec_lo, s23
	s_and_saveexec_b32 s22, s2
	s_cbranch_execz .LBB409_456
.LBB409_455:
	v_and_b32_e32 v5, 0xffff, v3
	v_lshlrev_b32_e32 v3, 24, v3
	s_delay_alu instid0(VALU_DEP_2) | instskip(NEXT) | instid1(VALU_DEP_2)
	v_and_b32_e32 v6, 3, v5
	v_and_b32_e32 v3, 0x80000000, v3
	s_delay_alu instid0(VALU_DEP_2) | instskip(NEXT) | instid1(VALU_DEP_1)
	v_clz_i32_u32_e32 v7, v6
	v_min_u32_e32 v7, 32, v7
	s_delay_alu instid0(VALU_DEP_1) | instskip(SKIP_1) | instid1(VALU_DEP_2)
	v_subrev_nc_u32_e32 v8, 29, v7
	v_sub_nc_u32_e32 v7, 30, v7
	v_lshlrev_b32_e32 v8, v8, v5
	v_bfe_u32 v5, v5, 2, 5
	s_delay_alu instid0(VALU_DEP_2) | instskip(NEXT) | instid1(VALU_DEP_2)
	v_and_b32_e32 v8, 3, v8
	v_cmp_eq_u32_e32 vcc_lo, 0, v5
	s_delay_alu instid0(VALU_DEP_2) | instskip(NEXT) | instid1(VALU_DEP_1)
	v_dual_cndmask_b32 v5, v5, v7 :: v_dual_cndmask_b32 v6, v6, v8
	v_lshl_add_u32 v5, v5, 23, 0x37800000
	s_delay_alu instid0(VALU_DEP_2) | instskip(NEXT) | instid1(VALU_DEP_1)
	v_lshlrev_b32_e32 v6, 21, v6
	v_or3_b32 v3, v3, v5, v6
	s_delay_alu instid0(VALU_DEP_1)
	v_cvt_f16_f32_e32 v5, v3
.LBB409_456:
	s_or_b32 exec_lo, exec_lo, s22
	s_mov_b32 s2, 0
	s_branch .LBB409_462
.LBB409_457:
	s_mov_b32 s22, -1
                                        ; implicit-def: $vgpr5
	s_branch .LBB409_468
.LBB409_458:
	s_or_saveexec_b32 s23, s23
	v_mov_b32_e32 v5, s22
	s_xor_b32 exec_lo, exec_lo, s23
	s_cbranch_execz .LBB409_441
.LBB409_459:
	v_cmp_ne_u16_e32 vcc_lo, 0, v3
	v_mov_b32_e32 v5, v3
	s_and_not1_b32 s2, s2, exec_lo
	s_and_b32 s22, vcc_lo, exec_lo
	s_delay_alu instid0(SALU_CYCLE_1)
	s_or_b32 s2, s2, s22
	s_or_b32 exec_lo, exec_lo, s23
	s_and_saveexec_b32 s22, s2
	s_cbranch_execnz .LBB409_442
	s_branch .LBB409_443
.LBB409_460:
	s_mov_b32 s2, -1
                                        ; implicit-def: $vgpr5
	s_branch .LBB409_465
.LBB409_461:
	s_mov_b32 s2, -1
                                        ; implicit-def: $vgpr5
.LBB409_462:
	s_delay_alu instid0(SALU_CYCLE_1)
	s_and_b32 vcc_lo, exec_lo, s2
	s_cbranch_vccz .LBB409_464
; %bb.463:
	global_load_u8 v3, v[1:2], off
	s_waitcnt vmcnt(0)
	v_lshlrev_b32_e32 v3, 24, v3
	s_delay_alu instid0(VALU_DEP_1) | instskip(NEXT) | instid1(VALU_DEP_1)
	v_and_b32_e32 v5, 0x7f000000, v3
	v_clz_i32_u32_e32 v6, v5
	v_cmp_ne_u32_e32 vcc_lo, 0, v5
	v_add_nc_u32_e32 v8, 0x1000000, v5
	s_delay_alu instid0(VALU_DEP_3) | instskip(NEXT) | instid1(VALU_DEP_1)
	v_min_u32_e32 v6, 32, v6
	v_sub_nc_u32_e64 v6, v6, 4 clamp
	s_delay_alu instid0(VALU_DEP_1) | instskip(SKIP_1) | instid1(VALU_DEP_2)
	v_lshlrev_b32_e32 v7, v6, v5
	v_lshlrev_b32_e32 v6, 23, v6
	v_lshrrev_b32_e32 v7, 4, v7
	s_delay_alu instid0(VALU_DEP_1) | instskip(SKIP_1) | instid1(VALU_DEP_2)
	v_sub_nc_u32_e32 v6, v7, v6
	v_ashrrev_i32_e32 v7, 8, v8
	v_add_nc_u32_e32 v6, 0x3c000000, v6
	s_delay_alu instid0(VALU_DEP_1) | instskip(NEXT) | instid1(VALU_DEP_1)
	v_and_or_b32 v6, 0x7f800000, v7, v6
	v_cndmask_b32_e32 v5, 0, v6, vcc_lo
	s_delay_alu instid0(VALU_DEP_1) | instskip(NEXT) | instid1(VALU_DEP_1)
	v_and_or_b32 v3, 0x80000000, v3, v5
	v_cvt_f16_f32_e32 v5, v3
.LBB409_464:
	s_mov_b32 s2, 0
.LBB409_465:
	s_delay_alu instid0(SALU_CYCLE_1)
	s_and_not1_b32 vcc_lo, exec_lo, s2
	s_cbranch_vccnz .LBB409_467
; %bb.466:
	global_load_u8 v3, v[1:2], off
	s_waitcnt vmcnt(0)
	v_lshlrev_b32_e32 v5, 25, v3
	v_lshlrev_b16 v3, 8, v3
	s_delay_alu instid0(VALU_DEP_2) | instskip(NEXT) | instid1(VALU_DEP_2)
	v_lshrrev_b32_e32 v6, 4, v5
	v_and_or_b32 v7, 0x7f00, v3, 0.5
	v_bfe_i32 v3, v3, 0, 16
	s_delay_alu instid0(VALU_DEP_3) | instskip(NEXT) | instid1(VALU_DEP_1)
	v_or_b32_e32 v6, 0x70000000, v6
	v_dual_add_f32 v7, -0.5, v7 :: v_dual_mul_f32 v6, 0x7800000, v6
	v_cmp_gt_u32_e32 vcc_lo, 0x8000000, v5
	s_delay_alu instid0(VALU_DEP_2) | instskip(NEXT) | instid1(VALU_DEP_1)
	v_cndmask_b32_e32 v5, v6, v7, vcc_lo
	v_and_or_b32 v3, 0x80000000, v3, v5
	s_delay_alu instid0(VALU_DEP_1)
	v_cvt_f16_f32_e32 v5, v3
.LBB409_467:
	s_mov_b32 s22, 0
	s_mov_b32 s2, -1
.LBB409_468:
	s_and_not1_b32 vcc_lo, exec_lo, s22
	s_cbranch_vccnz .LBB409_481
; %bb.469:
	v_cmp_gt_i16_e64 s22, s31, 14
	s_delay_alu instid0(VALU_DEP_1)
	s_and_b32 vcc_lo, exec_lo, s22
	s_cbranch_vccz .LBB409_472
; %bb.470:
	v_cmp_eq_u16_e64 s3, s31, 15
	s_delay_alu instid0(VALU_DEP_1)
	s_and_b32 vcc_lo, exec_lo, s3
	s_cbranch_vccz .LBB409_475
; %bb.471:
	global_load_u16 v3, v[1:2], off
	s_mov_b32 s2, -1
	s_mov_b32 s3, 0
	s_waitcnt vmcnt(0)
	v_lshlrev_b32_e32 v3, 16, v3
	s_delay_alu instid0(VALU_DEP_1)
	v_cvt_f16_f32_e32 v5, v3
	s_branch .LBB409_476
.LBB409_472:
	s_mov_b32 s22, -1
                                        ; implicit-def: $vgpr5
	s_branch .LBB409_477
.LBB409_473:
	s_or_saveexec_b32 s23, s23
	v_mov_b32_e32 v5, s22
	s_xor_b32 exec_lo, exec_lo, s23
	s_cbranch_execz .LBB409_454
.LBB409_474:
	v_cmp_ne_u16_e32 vcc_lo, 0, v3
	v_mov_b32_e32 v5, v3
	s_and_not1_b32 s2, s2, exec_lo
	s_and_b32 s22, vcc_lo, exec_lo
	s_delay_alu instid0(SALU_CYCLE_1)
	s_or_b32 s2, s2, s22
	s_or_b32 exec_lo, exec_lo, s23
	s_and_saveexec_b32 s22, s2
	s_cbranch_execnz .LBB409_455
	s_branch .LBB409_456
.LBB409_475:
	s_mov_b32 s3, -1
                                        ; implicit-def: $vgpr5
.LBB409_476:
	s_mov_b32 s22, 0
.LBB409_477:
	s_delay_alu instid0(SALU_CYCLE_1)
	s_and_b32 vcc_lo, exec_lo, s22
	s_cbranch_vccz .LBB409_481
; %bb.478:
	v_cmp_eq_u16_e64 s3, s31, 11
	s_delay_alu instid0(VALU_DEP_1)
	s_and_b32 vcc_lo, exec_lo, s3
	s_cbranch_vccz .LBB409_480
; %bb.479:
	global_load_u8 v3, v[1:2], off
	s_mov_b32 s3, 0
	s_mov_b32 s2, -1
	s_waitcnt vmcnt(0)
	v_cmp_ne_u16_e32 vcc_lo, 0, v3
	v_cndmask_b32_e64 v5, 0, 0x3c00, vcc_lo
	s_branch .LBB409_481
.LBB409_480:
	s_mov_b32 s3, -1
                                        ; implicit-def: $vgpr5
.LBB409_481:
	s_branch .LBB409_286
.LBB409_482:
	v_cmp_lt_i16_e64 s2, s31, 5
	s_delay_alu instid0(VALU_DEP_1)
	s_and_b32 vcc_lo, exec_lo, s2
	s_cbranch_vccnz .LBB409_487
; %bb.483:
	v_cmp_lt_i16_e64 s2, s31, 8
	s_delay_alu instid0(VALU_DEP_1)
	s_and_b32 vcc_lo, exec_lo, s2
	s_cbranch_vccnz .LBB409_488
; %bb.484:
	;; [unrolled: 5-line block ×3, first 2 shown]
	v_cmp_gt_i16_e64 s2, s31, 9
	s_delay_alu instid0(VALU_DEP_1)
	s_and_b32 vcc_lo, exec_lo, s2
	s_cbranch_vccz .LBB409_490
; %bb.486:
	global_load_b64 v[5:6], v[1:2], off
	s_mov_b32 s2, 0
	s_waitcnt vmcnt(0)
	v_cvt_f32_f64_e32 v3, v[5:6]
	s_delay_alu instid0(VALU_DEP_1)
	v_cvt_f16_f32_e32 v5, v3
	s_branch .LBB409_491
.LBB409_487:
	s_mov_b32 s2, -1
                                        ; implicit-def: $vgpr5
	s_branch .LBB409_509
.LBB409_488:
	s_mov_b32 s2, -1
                                        ; implicit-def: $vgpr5
	s_branch .LBB409_497
.LBB409_489:
	s_mov_b32 s2, -1
                                        ; implicit-def: $vgpr5
	s_branch .LBB409_494
.LBB409_490:
	s_mov_b32 s2, -1
                                        ; implicit-def: $vgpr5
.LBB409_491:
	s_delay_alu instid0(SALU_CYCLE_1)
	s_and_not1_b32 vcc_lo, exec_lo, s2
	s_cbranch_vccnz .LBB409_493
; %bb.492:
	global_load_b32 v3, v[1:2], off
	s_waitcnt vmcnt(0)
	v_cvt_f16_f32_e32 v5, v3
.LBB409_493:
	s_mov_b32 s2, 0
.LBB409_494:
	s_delay_alu instid0(SALU_CYCLE_1)
	s_and_not1_b32 vcc_lo, exec_lo, s2
	s_cbranch_vccnz .LBB409_496
; %bb.495:
	global_load_b32 v5, v[1:2], off
.LBB409_496:
	s_mov_b32 s2, 0
.LBB409_497:
	s_delay_alu instid0(SALU_CYCLE_1)
	s_and_not1_b32 vcc_lo, exec_lo, s2
	s_cbranch_vccnz .LBB409_508
; %bb.498:
	v_cmp_lt_i16_e64 s2, s31, 6
	s_delay_alu instid0(VALU_DEP_1)
	s_and_b32 vcc_lo, exec_lo, s2
	s_cbranch_vccnz .LBB409_501
; %bb.499:
	v_cmp_gt_i16_e64 s2, s31, 6
	s_delay_alu instid0(VALU_DEP_1)
	s_and_b32 vcc_lo, exec_lo, s2
	s_cbranch_vccz .LBB409_502
; %bb.500:
	global_load_b64 v[5:6], v[1:2], off
	s_mov_b32 s2, 0
	s_waitcnt vmcnt(0)
	v_cvt_f32_f64_e32 v3, v[5:6]
	s_delay_alu instid0(VALU_DEP_1)
	v_cvt_f16_f32_e32 v5, v3
	s_branch .LBB409_503
.LBB409_501:
	s_mov_b32 s2, -1
                                        ; implicit-def: $vgpr5
	s_branch .LBB409_506
.LBB409_502:
	s_mov_b32 s2, -1
                                        ; implicit-def: $vgpr5
.LBB409_503:
	s_delay_alu instid0(SALU_CYCLE_1)
	s_and_not1_b32 vcc_lo, exec_lo, s2
	s_cbranch_vccnz .LBB409_505
; %bb.504:
	global_load_b32 v3, v[1:2], off
	s_waitcnt vmcnt(0)
	v_cvt_f16_f32_e32 v5, v3
.LBB409_505:
	s_mov_b32 s2, 0
.LBB409_506:
	s_delay_alu instid0(SALU_CYCLE_1)
	s_and_not1_b32 vcc_lo, exec_lo, s2
	s_cbranch_vccnz .LBB409_508
; %bb.507:
	global_load_u16 v5, v[1:2], off
.LBB409_508:
	s_mov_b32 s2, 0
.LBB409_509:
	s_delay_alu instid0(SALU_CYCLE_1)
	s_and_not1_b32 vcc_lo, exec_lo, s2
	s_cbranch_vccnz .LBB409_529
; %bb.510:
	v_cmp_lt_i16_e64 s2, s31, 2
	s_delay_alu instid0(VALU_DEP_1)
	s_and_b32 vcc_lo, exec_lo, s2
	s_cbranch_vccnz .LBB409_514
; %bb.511:
	v_cmp_lt_i16_e64 s2, s31, 3
	s_delay_alu instid0(VALU_DEP_1)
	s_and_b32 vcc_lo, exec_lo, s2
	s_cbranch_vccnz .LBB409_515
; %bb.512:
	v_cmp_gt_i16_e64 s2, s31, 3
	s_delay_alu instid0(VALU_DEP_1)
	s_and_b32 vcc_lo, exec_lo, s2
	s_cbranch_vccz .LBB409_516
; %bb.513:
	global_load_b64 v[5:6], v[1:2], off
	s_mov_b32 s2, 0
	s_waitcnt vmcnt(0)
	v_xor_b32_e32 v3, v5, v6
	v_cls_i32_e32 v7, v6
	s_delay_alu instid0(VALU_DEP_2) | instskip(NEXT) | instid1(VALU_DEP_2)
	v_ashrrev_i32_e32 v3, 31, v3
	v_add_nc_u32_e32 v7, -1, v7
	s_delay_alu instid0(VALU_DEP_2) | instskip(NEXT) | instid1(VALU_DEP_1)
	v_add_nc_u32_e32 v3, 32, v3
	v_min_u32_e32 v3, v7, v3
	s_delay_alu instid0(VALU_DEP_1) | instskip(SKIP_1) | instid1(VALU_DEP_2)
	v_lshlrev_b64 v[5:6], v3, v[5:6]
	v_sub_nc_u32_e32 v3, 32, v3
	v_min_u32_e32 v5, 1, v5
	s_delay_alu instid0(VALU_DEP_1) | instskip(NEXT) | instid1(VALU_DEP_1)
	v_or_b32_e32 v5, v6, v5
	v_cvt_f32_i32_e32 v5, v5
	s_delay_alu instid0(VALU_DEP_1) | instskip(NEXT) | instid1(VALU_DEP_1)
	v_ldexp_f32 v3, v5, v3
	v_cvt_f16_f32_e32 v5, v3
	s_branch .LBB409_517
.LBB409_514:
	s_mov_b32 s2, -1
                                        ; implicit-def: $vgpr5
	s_branch .LBB409_523
.LBB409_515:
	s_mov_b32 s2, -1
                                        ; implicit-def: $vgpr5
	s_branch .LBB409_520
.LBB409_516:
	s_mov_b32 s2, -1
                                        ; implicit-def: $vgpr5
.LBB409_517:
	s_delay_alu instid0(SALU_CYCLE_1)
	s_and_not1_b32 vcc_lo, exec_lo, s2
	s_cbranch_vccnz .LBB409_519
; %bb.518:
	global_load_b32 v3, v[1:2], off
	s_waitcnt vmcnt(0)
	v_cvt_f32_i32_e32 v3, v3
	s_delay_alu instid0(VALU_DEP_1)
	v_cvt_f16_f32_e32 v5, v3
.LBB409_519:
	s_mov_b32 s2, 0
.LBB409_520:
	s_delay_alu instid0(SALU_CYCLE_1)
	s_and_not1_b32 vcc_lo, exec_lo, s2
	s_cbranch_vccnz .LBB409_522
; %bb.521:
	global_load_u16 v3, v[1:2], off
	s_waitcnt vmcnt(0)
	v_cvt_f16_i16_e32 v5, v3
.LBB409_522:
	s_mov_b32 s2, 0
.LBB409_523:
	s_delay_alu instid0(SALU_CYCLE_1)
	s_and_not1_b32 vcc_lo, exec_lo, s2
	s_cbranch_vccnz .LBB409_529
; %bb.524:
	v_cmp_gt_i16_e64 s2, s31, 0
	s_delay_alu instid0(VALU_DEP_1)
	s_and_b32 vcc_lo, exec_lo, s2
	s_mov_b32 s2, 0
	s_cbranch_vccz .LBB409_526
; %bb.525:
	global_load_i8 v3, v[1:2], off
	s_waitcnt vmcnt(0)
	v_cvt_f16_i16_e32 v5, v3
	s_branch .LBB409_527
.LBB409_526:
	s_mov_b32 s2, -1
                                        ; implicit-def: $vgpr5
.LBB409_527:
	s_delay_alu instid0(SALU_CYCLE_1)
	s_and_not1_b32 vcc_lo, exec_lo, s2
	s_cbranch_vccnz .LBB409_529
; %bb.528:
	global_load_u8 v1, v[1:2], off
	s_waitcnt vmcnt(0)
	v_cvt_f16_u16_e32 v5, v1
.LBB409_529:
	s_branch .LBB409_287
.LBB409_530:
	s_mov_b32 s22, 0
	s_mov_b32 s2, s37
.LBB409_531:
                                        ; implicit-def: $vgpr4
.LBB409_532:
	s_and_not1_b32 s23, s37, exec_lo
	s_and_b32 s2, s2, exec_lo
	s_and_not1_b32 s40, s38, exec_lo
	s_and_b32 s3, s3, exec_lo
	s_or_b32 s41, s23, s2
	s_or_b32 s40, s40, s3
	s_or_not1_b32 s2, s22, exec_lo
.LBB409_533:
	s_or_b32 exec_lo, exec_lo, s42
	s_mov_b32 s3, 0
	s_mov_b32 s23, 0
	;; [unrolled: 1-line block ×3, first 2 shown]
                                        ; implicit-def: $vgpr1_vgpr2
                                        ; implicit-def: $vgpr0
                                        ; implicit-def: $vgpr5
	s_and_saveexec_b32 s42, s2
	s_cbranch_execz .LBB409_905
; %bb.534:
	s_mov_b32 s45, -1
	s_mov_b32 s22, s40
	s_mov_b32 s23, s41
	s_mov_b32 s43, exec_lo
	v_cmpx_gt_i32_e64 s34, v4
	s_cbranch_execz .LBB409_806
; %bb.535:
	s_and_not1_b32 vcc_lo, exec_lo, s27
	s_cbranch_vccnz .LBB409_540
; %bb.536:
	v_dual_mov_b32 v0, 0 :: v_dual_mov_b32 v1, 0
	s_and_not1_b32 vcc_lo, exec_lo, s36
	s_mov_b32 s44, 0
	s_cbranch_vccnz .LBB409_545
; %bb.537:
	v_mov_b32_e32 v0, 0
	s_add_i32 s46, s35, 1
	s_cmp_eq_u32 s25, 2
	s_mov_b32 s45, 0
	s_cbranch_scc1 .LBB409_541
; %bb.538:
	v_dual_mov_b32 v1, 0 :: v_dual_mov_b32 v0, 0
	v_mov_b32_e32 v2, v4
	s_and_b32 s45, s46, 28
	s_mov_b32 s47, 0
	s_mov_b64 s[2:3], s[20:21]
	s_mov_b64 s[22:23], s[16:17]
.LBB409_539:                            ; =>This Inner Loop Header: Depth=1
	s_clause 0x1
	s_load_b256 s[48:55], s[22:23], 0x4
	s_load_b128 s[64:67], s[22:23], 0x24
	s_load_b256 s[56:63], s[2:3], 0x0
	s_add_u32 s22, s22, 48
	s_addc_u32 s23, s23, 0
	s_add_i32 s47, s47, 4
	s_add_u32 s2, s2, 32
	s_addc_u32 s3, s3, 0
	s_cmp_eq_u32 s45, s47
	s_waitcnt lgkmcnt(0)
	v_mul_hi_u32 v3, s49, v2
	s_delay_alu instid0(VALU_DEP_1) | instskip(NEXT) | instid1(VALU_DEP_1)
	v_add_nc_u32_e32 v3, v2, v3
	v_lshrrev_b32_e32 v3, s50, v3
	s_waitcnt vmcnt(0)
	s_delay_alu instid0(VALU_DEP_1) | instskip(SKIP_1) | instid1(VALU_DEP_2)
	v_mul_hi_u32 v5, s52, v3
	v_mul_lo_u32 v7, v3, s48
	v_add_nc_u32_e32 v5, v3, v5
	s_delay_alu instid0(VALU_DEP_2) | instskip(NEXT) | instid1(VALU_DEP_2)
	v_sub_nc_u32_e32 v2, v2, v7
	v_lshrrev_b32_e32 v5, s53, v5
	s_delay_alu instid0(VALU_DEP_2) | instskip(SKIP_1) | instid1(VALU_DEP_3)
	v_mul_lo_u32 v7, v2, s56
	v_mul_lo_u32 v9, v2, s57
	v_mul_hi_u32 v6, s55, v5
	s_delay_alu instid0(VALU_DEP_1) | instskip(NEXT) | instid1(VALU_DEP_1)
	v_add_nc_u32_e32 v6, v5, v6
	v_lshrrev_b32_e32 v6, s64, v6
	s_delay_alu instid0(VALU_DEP_1) | instskip(SKIP_1) | instid1(VALU_DEP_2)
	v_mul_hi_u32 v8, s66, v6
	v_mul_lo_u32 v10, v6, s54
	v_add_nc_u32_e32 v2, v6, v8
	v_mul_lo_u32 v8, v5, s51
	s_delay_alu instid0(VALU_DEP_3) | instskip(NEXT) | instid1(VALU_DEP_3)
	v_sub_nc_u32_e32 v5, v5, v10
	v_lshrrev_b32_e32 v2, s67, v2
	s_delay_alu instid0(VALU_DEP_2) | instskip(SKIP_2) | instid1(VALU_DEP_4)
	v_mul_lo_u32 v10, v5, s60
	v_mul_lo_u32 v5, v5, s61
	v_sub_nc_u32_e32 v3, v3, v8
	v_mul_lo_u32 v11, v2, s65
	s_delay_alu instid0(VALU_DEP_2) | instskip(SKIP_1) | instid1(VALU_DEP_3)
	v_mul_lo_u32 v8, v3, s58
	v_mul_lo_u32 v3, v3, s59
	v_sub_nc_u32_e32 v6, v6, v11
	s_delay_alu instid0(VALU_DEP_3) | instskip(NEXT) | instid1(VALU_DEP_2)
	v_add3_u32 v0, v7, v0, v8
	v_mul_lo_u32 v11, v6, s62
	v_mul_lo_u32 v6, v6, s63
	v_add3_u32 v1, v9, v1, v3
	s_delay_alu instid0(VALU_DEP_3) | instskip(NEXT) | instid1(VALU_DEP_2)
	v_add3_u32 v0, v10, v0, v11
	v_add3_u32 v1, v5, v1, v6
	s_cbranch_scc0 .LBB409_539
	s_branch .LBB409_542
.LBB409_540:
	s_mov_b32 s44, -1
                                        ; implicit-def: $vgpr0
                                        ; implicit-def: $vgpr1
	s_branch .LBB409_545
.LBB409_541:
	v_dual_mov_b32 v2, v4 :: v_dual_mov_b32 v1, 0
.LBB409_542:
	s_and_b32 s46, s46, 3
	s_delay_alu instid0(SALU_CYCLE_1)
	s_cmp_eq_u32 s46, 0
	s_cbranch_scc1 .LBB409_545
; %bb.543:
	s_lshl_b32 s2, s45, 3
	s_mul_i32 s22, s45, 12
	s_add_u32 s2, s2, s16
	s_addc_u32 s3, s17, 0
	s_add_u32 s2, s2, 0xc4
	s_addc_u32 s3, s3, 0
	;; [unrolled: 2-line block ×3, first 2 shown]
	.p2align	6
.LBB409_544:                            ; =>This Inner Loop Header: Depth=1
	s_clause 0x1
	s_load_b64 s[48:49], s[22:23], 0x4
	s_load_b32 s45, s[22:23], 0xc
	s_load_b64 s[50:51], s[2:3], 0x0
	s_add_u32 s22, s22, 12
	s_addc_u32 s23, s23, 0
	s_add_u32 s2, s2, 8
	s_addc_u32 s3, s3, 0
	s_add_i32 s46, s46, -1
	s_delay_alu instid0(SALU_CYCLE_1) | instskip(SKIP_2) | instid1(VALU_DEP_1)
	s_cmp_lg_u32 s46, 0
	s_waitcnt lgkmcnt(0)
	v_mul_hi_u32 v3, s49, v2
	v_add_nc_u32_e32 v3, v2, v3
	s_delay_alu instid0(VALU_DEP_1) | instskip(SKIP_1) | instid1(VALU_DEP_1)
	v_lshrrev_b32_e32 v3, s45, v3
	s_waitcnt vmcnt(0)
	v_mul_lo_u32 v5, v3, s48
	s_delay_alu instid0(VALU_DEP_1) | instskip(NEXT) | instid1(VALU_DEP_1)
	v_sub_nc_u32_e32 v2, v2, v5
	v_mad_u64_u32 v[5:6], null, v2, s50, v[0:1]
	v_mad_u64_u32 v[6:7], null, v2, s51, v[1:2]
	v_mov_b32_e32 v2, v3
	s_delay_alu instid0(VALU_DEP_2)
	v_dual_mov_b32 v0, v5 :: v_dual_mov_b32 v1, v6
	s_cbranch_scc1 .LBB409_544
.LBB409_545:
	s_and_not1_b32 vcc_lo, exec_lo, s44
	s_cbranch_vccnz .LBB409_548
; %bb.546:
	v_mul_hi_u32 v0, s9, v4
	s_and_not1_b32 vcc_lo, exec_lo, s33
	s_delay_alu instid0(VALU_DEP_1) | instskip(NEXT) | instid1(VALU_DEP_1)
	v_add_nc_u32_e32 v0, v4, v0
	v_lshrrev_b32_e32 v2, s10, v0
	s_delay_alu instid0(VALU_DEP_1) | instskip(NEXT) | instid1(VALU_DEP_1)
	v_mul_lo_u32 v0, v2, s8
	v_sub_nc_u32_e32 v1, v4, v0
	s_delay_alu instid0(VALU_DEP_1)
	v_mul_lo_u32 v0, v1, s12
	v_mul_lo_u32 v1, v1, s13
	s_cbranch_vccnz .LBB409_548
; %bb.547:
	v_mul_hi_u32 v3, s18, v2
	s_delay_alu instid0(VALU_DEP_1) | instskip(NEXT) | instid1(VALU_DEP_1)
	v_add_nc_u32_e32 v3, v2, v3
	v_lshrrev_b32_e32 v3, s19, v3
	s_delay_alu instid0(VALU_DEP_1) | instskip(NEXT) | instid1(VALU_DEP_1)
	v_mul_lo_u32 v3, v3, s11
	v_sub_nc_u32_e32 v7, v2, v3
	s_delay_alu instid0(VALU_DEP_1) | instskip(SKIP_1) | instid1(VALU_DEP_1)
	v_mad_u64_u32 v[2:3], null, v7, s14, v[0:1]
	s_waitcnt vmcnt(0)
	v_mad_u64_u32 v[5:6], null, v7, s15, v[1:2]
	s_delay_alu instid0(VALU_DEP_1)
	v_dual_mov_b32 v0, v2 :: v_dual_mov_b32 v1, v5
.LBB409_548:
	v_cmp_lt_i16_e64 s2, s31, 11
	s_delay_alu instid0(VALU_DEP_2) | instskip(NEXT) | instid1(VALU_DEP_1)
	v_add_co_u32 v1, s3, s6, v1
	v_add_co_ci_u32_e64 v2, null, s7, 0, s3
	s_delay_alu instid0(VALU_DEP_3)
	s_and_b32 vcc_lo, exec_lo, s2
	s_mov_b32 s2, 0
	s_cbranch_vccnz .LBB409_555
; %bb.549:
	v_cmp_gt_i16_e64 s2, s31, 25
	s_delay_alu instid0(VALU_DEP_1)
	s_and_b32 vcc_lo, exec_lo, s2
	s_cbranch_vccz .LBB409_556
; %bb.550:
	v_cmp_gt_i16_e64 s2, s31, 28
	s_delay_alu instid0(VALU_DEP_1)
	s_and_b32 vcc_lo, exec_lo, s2
	s_cbranch_vccz .LBB409_557
	;; [unrolled: 5-line block ×4, first 2 shown]
; %bb.553:
	v_cmp_eq_u16_e64 s2, s31, 46
	s_mov_b32 s22, 0
	s_delay_alu instid0(VALU_DEP_1)
	s_and_b32 vcc_lo, exec_lo, s2
	s_cbranch_vccz .LBB409_564
; %bb.554:
	global_load_b32 v3, v[1:2], off
	s_mov_b32 s2, -1
	s_mov_b32 s3, 0
	s_waitcnt vmcnt(0)
	v_lshlrev_b32_e32 v3, 16, v3
	s_delay_alu instid0(VALU_DEP_1)
	v_cvt_f16_f32_e32 v5, v3
	s_branch .LBB409_566
.LBB409_555:
	s_mov_b32 s22, -1
	s_mov_b32 s3, s40
                                        ; implicit-def: $vgpr5
	s_branch .LBB409_631
.LBB409_556:
	s_mov_b32 s22, -1
	s_mov_b32 s2, 0
	s_mov_b32 s3, s40
                                        ; implicit-def: $vgpr5
	s_branch .LBB409_595
.LBB409_557:
	s_mov_b32 s22, -1
	s_mov_b32 s2, 0
	s_mov_b32 s3, s40
                                        ; implicit-def: $vgpr5
	s_branch .LBB409_576
.LBB409_558:
	s_mov_b32 s22, -1
	s_mov_b32 s2, 0
	s_mov_b32 s3, s40
                                        ; implicit-def: $vgpr5
	s_branch .LBB409_571
.LBB409_559:
	s_or_saveexec_b32 s40, s40
                                        ; implicit-def: $sgpr41
	s_delay_alu instid0(SALU_CYCLE_1)
	s_xor_b32 exec_lo, exec_lo, s40
	s_cbranch_execz .LBB409_370
.LBB409_560:
	v_add_f32_e64 v6, 0x46000000, |v5|
	s_and_not1_b32 s23, s23, exec_lo
	s_mov_b32 s41, 0
	s_delay_alu instid0(VALU_DEP_1) | instskip(NEXT) | instid1(VALU_DEP_1)
	v_and_b32_e32 v6, 0xff, v6
	v_cmp_ne_u32_e32 vcc_lo, 0, v6
	s_and_b32 s43, vcc_lo, exec_lo
	s_delay_alu instid0(SALU_CYCLE_1)
	s_or_b32 s23, s23, s43
	s_or_b32 exec_lo, exec_lo, s40
	v_mov_b32_e32 v7, s41
	s_and_saveexec_b32 s40, s23
	s_cbranch_execnz .LBB409_371
	s_branch .LBB409_372
.LBB409_561:
	s_mov_b32 s22, -1
	s_mov_b32 s2, 0
	s_mov_b32 s3, s40
	s_branch .LBB409_565
.LBB409_562:
	s_or_saveexec_b32 s40, s40
                                        ; implicit-def: $sgpr41
	s_delay_alu instid0(SALU_CYCLE_1)
	s_xor_b32 exec_lo, exec_lo, s40
	s_cbranch_execz .LBB409_383
.LBB409_563:
	v_add_f32_e64 v6, 0x42800000, |v5|
	s_and_not1_b32 s23, s23, exec_lo
	s_mov_b32 s41, 0
	s_delay_alu instid0(VALU_DEP_1) | instskip(NEXT) | instid1(VALU_DEP_1)
	v_and_b32_e32 v6, 0xff, v6
	v_cmp_ne_u32_e32 vcc_lo, 0, v6
	s_and_b32 s43, vcc_lo, exec_lo
	s_delay_alu instid0(SALU_CYCLE_1)
	s_or_b32 s23, s23, s43
	s_or_b32 exec_lo, exec_lo, s40
	v_mov_b32_e32 v7, s41
	s_and_saveexec_b32 s40, s23
	s_cbranch_execnz .LBB409_384
	s_branch .LBB409_385
.LBB409_564:
	s_mov_b32 s3, -1
	s_mov_b32 s2, 0
.LBB409_565:
                                        ; implicit-def: $vgpr5
.LBB409_566:
	s_and_b32 vcc_lo, exec_lo, s22
	s_cbranch_vccz .LBB409_570
; %bb.567:
	v_cmp_eq_u16_e64 s3, s31, 44
	s_delay_alu instid0(VALU_DEP_1)
	s_and_b32 vcc_lo, exec_lo, s3
	s_cbranch_vccz .LBB409_569
; %bb.568:
	global_load_u8 v3, v[1:2], off
	s_mov_b32 s3, 0
	s_mov_b32 s2, -1
	s_waitcnt vmcnt(0)
	v_lshlrev_b32_e32 v5, 23, v3
	v_cmp_ne_u32_e32 vcc_lo, 0xff, v3
	s_delay_alu instid0(VALU_DEP_2) | instskip(NEXT) | instid1(VALU_DEP_1)
	v_cvt_f16_f32_e32 v5, v5
	v_cndmask_b32_e32 v5, 0x7e00, v5, vcc_lo
	v_cmp_ne_u32_e32 vcc_lo, 0, v3
	s_delay_alu instid0(VALU_DEP_2)
	v_cndmask_b32_e32 v5, 0, v5, vcc_lo
	s_branch .LBB409_570
.LBB409_569:
	s_mov_b32 s3, -1
                                        ; implicit-def: $vgpr5
.LBB409_570:
	s_mov_b32 s22, 0
.LBB409_571:
	s_delay_alu instid0(SALU_CYCLE_1)
	s_and_b32 vcc_lo, exec_lo, s22
	s_cbranch_vccz .LBB409_575
; %bb.572:
	v_cmp_eq_u16_e64 s3, s31, 29
	s_delay_alu instid0(VALU_DEP_1)
	s_and_b32 vcc_lo, exec_lo, s3
	s_cbranch_vccz .LBB409_574
; %bb.573:
	global_load_b64 v[5:6], v[1:2], off
	s_mov_b32 s2, -1
	s_mov_b32 s3, 0
	s_mov_b32 s22, 0
	s_waitcnt vmcnt(0)
	v_clz_i32_u32_e32 v3, v6
	s_delay_alu instid0(VALU_DEP_1) | instskip(NEXT) | instid1(VALU_DEP_1)
	v_min_u32_e32 v3, 32, v3
	v_lshlrev_b64 v[5:6], v3, v[5:6]
	v_sub_nc_u32_e32 v3, 32, v3
	s_delay_alu instid0(VALU_DEP_2) | instskip(NEXT) | instid1(VALU_DEP_1)
	v_min_u32_e32 v5, 1, v5
	v_or_b32_e32 v5, v6, v5
	s_delay_alu instid0(VALU_DEP_1) | instskip(NEXT) | instid1(VALU_DEP_1)
	v_cvt_f32_u32_e32 v5, v5
	v_ldexp_f32 v3, v5, v3
	s_delay_alu instid0(VALU_DEP_1)
	v_cvt_f16_f32_e32 v5, v3
	s_branch .LBB409_576
.LBB409_574:
	s_mov_b32 s3, -1
                                        ; implicit-def: $vgpr5
.LBB409_575:
	s_mov_b32 s22, 0
.LBB409_576:
	s_delay_alu instid0(SALU_CYCLE_1)
	s_and_b32 vcc_lo, exec_lo, s22
	s_cbranch_vccz .LBB409_594
; %bb.577:
	v_cmp_lt_i16_e64 s2, s31, 27
	s_delay_alu instid0(VALU_DEP_1)
	s_and_b32 vcc_lo, exec_lo, s2
	s_cbranch_vccnz .LBB409_580
; %bb.578:
	v_cmp_gt_i16_e64 s2, s31, 27
	s_delay_alu instid0(VALU_DEP_1)
	s_and_b32 vcc_lo, exec_lo, s2
	s_cbranch_vccz .LBB409_581
; %bb.579:
	global_load_b32 v3, v[1:2], off
	s_mov_b32 s2, 0
	s_waitcnt vmcnt(0)
	v_cvt_f32_u32_e32 v3, v3
	s_delay_alu instid0(VALU_DEP_1)
	v_cvt_f16_f32_e32 v5, v3
	s_branch .LBB409_582
.LBB409_580:
	s_mov_b32 s2, -1
                                        ; implicit-def: $vgpr5
	s_branch .LBB409_585
.LBB409_581:
	s_mov_b32 s2, -1
                                        ; implicit-def: $vgpr5
.LBB409_582:
	s_delay_alu instid0(SALU_CYCLE_1)
	s_and_not1_b32 vcc_lo, exec_lo, s2
	s_cbranch_vccnz .LBB409_584
; %bb.583:
	global_load_u16 v3, v[1:2], off
	s_waitcnt vmcnt(0)
	v_cvt_f16_u16_e32 v5, v3
.LBB409_584:
	s_mov_b32 s2, 0
.LBB409_585:
	s_delay_alu instid0(SALU_CYCLE_1)
	s_and_not1_b32 vcc_lo, exec_lo, s2
	s_cbranch_vccnz .LBB409_593
; %bb.586:
	global_load_u8 v3, v[1:2], off
	s_mov_b32 s2, 0
	s_mov_b32 s23, exec_lo
                                        ; implicit-def: $sgpr22
	s_waitcnt vmcnt(0)
	v_cmpx_lt_i16_e32 0x7f, v3
	s_xor_b32 s23, exec_lo, s23
	s_cbranch_execz .LBB409_607
; %bb.587:
	s_mov_b32 s2, -1
	s_mov_b32 s44, exec_lo
                                        ; implicit-def: $sgpr22
	v_cmpx_eq_u16_e32 0x80, v3
; %bb.588:
	s_movk_i32 s22, 0x7e00
	s_xor_b32 s2, exec_lo, -1
; %bb.589:
	s_or_b32 exec_lo, exec_lo, s44
	s_delay_alu instid0(SALU_CYCLE_1)
	s_and_b32 s2, s2, exec_lo
	s_or_saveexec_b32 s23, s23
	v_mov_b32_e32 v5, s22
	s_xor_b32 exec_lo, exec_lo, s23
	s_cbranch_execnz .LBB409_608
.LBB409_590:
	s_or_b32 exec_lo, exec_lo, s23
	s_and_saveexec_b32 s22, s2
	s_cbranch_execz .LBB409_592
.LBB409_591:
	v_and_b32_e32 v5, 0xffff, v3
	v_lshlrev_b32_e32 v3, 24, v3
	s_delay_alu instid0(VALU_DEP_2) | instskip(NEXT) | instid1(VALU_DEP_2)
	v_and_b32_e32 v6, 7, v5
	v_and_b32_e32 v3, 0x80000000, v3
	s_delay_alu instid0(VALU_DEP_2) | instskip(NEXT) | instid1(VALU_DEP_1)
	v_clz_i32_u32_e32 v7, v6
	v_min_u32_e32 v7, 32, v7
	s_delay_alu instid0(VALU_DEP_1) | instskip(SKIP_1) | instid1(VALU_DEP_2)
	v_subrev_nc_u32_e32 v8, 28, v7
	v_sub_nc_u32_e32 v7, 29, v7
	v_lshlrev_b32_e32 v8, v8, v5
	v_bfe_u32 v5, v5, 3, 4
	s_delay_alu instid0(VALU_DEP_2) | instskip(NEXT) | instid1(VALU_DEP_2)
	v_and_b32_e32 v8, 7, v8
	v_cmp_eq_u32_e32 vcc_lo, 0, v5
	s_delay_alu instid0(VALU_DEP_2) | instskip(NEXT) | instid1(VALU_DEP_1)
	v_dual_cndmask_b32 v5, v5, v7 :: v_dual_cndmask_b32 v6, v6, v8
	v_lshl_add_u32 v5, v5, 23, 0x3b800000
	s_delay_alu instid0(VALU_DEP_2) | instskip(NEXT) | instid1(VALU_DEP_1)
	v_lshlrev_b32_e32 v6, 20, v6
	v_or3_b32 v3, v3, v5, v6
	s_delay_alu instid0(VALU_DEP_1)
	v_cvt_f16_f32_e32 v5, v3
.LBB409_592:
	s_or_b32 exec_lo, exec_lo, s22
.LBB409_593:
	s_mov_b32 s2, -1
.LBB409_594:
	s_mov_b32 s22, 0
.LBB409_595:
	s_delay_alu instid0(SALU_CYCLE_1)
	s_and_b32 vcc_lo, exec_lo, s22
	s_cbranch_vccz .LBB409_630
; %bb.596:
	v_cmp_gt_i16_e64 s22, s31, 22
	s_delay_alu instid0(VALU_DEP_1)
	s_and_b32 vcc_lo, exec_lo, s22
	s_cbranch_vccz .LBB409_606
; %bb.597:
	v_cmp_lt_i16_e64 s2, s31, 24
	s_delay_alu instid0(VALU_DEP_1)
	s_and_b32 vcc_lo, exec_lo, s2
	s_cbranch_vccnz .LBB409_609
; %bb.598:
	v_cmp_gt_i16_e64 s2, s31, 24
	s_delay_alu instid0(VALU_DEP_1)
	s_and_b32 vcc_lo, exec_lo, s2
	s_cbranch_vccz .LBB409_610
; %bb.599:
	global_load_u8 v3, v[1:2], off
	s_mov_b32 s2, 0
	s_mov_b32 s23, exec_lo
                                        ; implicit-def: $sgpr22
	s_waitcnt vmcnt(0)
	v_cmpx_lt_i16_e32 0x7f, v3
	s_xor_b32 s23, exec_lo, s23
	s_cbranch_execz .LBB409_622
; %bb.600:
	s_mov_b32 s2, -1
	s_mov_b32 s44, exec_lo
                                        ; implicit-def: $sgpr22
	v_cmpx_eq_u16_e32 0x80, v3
; %bb.601:
	s_movk_i32 s22, 0x7e00
	s_xor_b32 s2, exec_lo, -1
; %bb.602:
	s_or_b32 exec_lo, exec_lo, s44
	s_delay_alu instid0(SALU_CYCLE_1)
	s_and_b32 s2, s2, exec_lo
	s_or_saveexec_b32 s23, s23
	v_mov_b32_e32 v5, s22
	s_xor_b32 exec_lo, exec_lo, s23
	s_cbranch_execnz .LBB409_623
.LBB409_603:
	s_or_b32 exec_lo, exec_lo, s23
	s_and_saveexec_b32 s22, s2
	s_cbranch_execz .LBB409_605
.LBB409_604:
	v_and_b32_e32 v5, 0xffff, v3
	v_lshlrev_b32_e32 v3, 24, v3
	s_delay_alu instid0(VALU_DEP_2) | instskip(NEXT) | instid1(VALU_DEP_2)
	v_and_b32_e32 v6, 3, v5
	v_and_b32_e32 v3, 0x80000000, v3
	s_delay_alu instid0(VALU_DEP_2) | instskip(NEXT) | instid1(VALU_DEP_1)
	v_clz_i32_u32_e32 v7, v6
	v_min_u32_e32 v7, 32, v7
	s_delay_alu instid0(VALU_DEP_1) | instskip(SKIP_1) | instid1(VALU_DEP_2)
	v_subrev_nc_u32_e32 v8, 29, v7
	v_sub_nc_u32_e32 v7, 30, v7
	v_lshlrev_b32_e32 v8, v8, v5
	v_bfe_u32 v5, v5, 2, 5
	s_delay_alu instid0(VALU_DEP_2) | instskip(NEXT) | instid1(VALU_DEP_2)
	v_and_b32_e32 v8, 3, v8
	v_cmp_eq_u32_e32 vcc_lo, 0, v5
	s_delay_alu instid0(VALU_DEP_2) | instskip(NEXT) | instid1(VALU_DEP_1)
	v_dual_cndmask_b32 v5, v5, v7 :: v_dual_cndmask_b32 v6, v6, v8
	v_lshl_add_u32 v5, v5, 23, 0x37800000
	s_delay_alu instid0(VALU_DEP_2) | instskip(NEXT) | instid1(VALU_DEP_1)
	v_lshlrev_b32_e32 v6, 21, v6
	v_or3_b32 v3, v3, v5, v6
	s_delay_alu instid0(VALU_DEP_1)
	v_cvt_f16_f32_e32 v5, v3
.LBB409_605:
	s_or_b32 exec_lo, exec_lo, s22
	s_mov_b32 s2, 0
	s_branch .LBB409_611
.LBB409_606:
	s_mov_b32 s22, -1
                                        ; implicit-def: $vgpr5
	s_branch .LBB409_617
.LBB409_607:
	s_or_saveexec_b32 s23, s23
	v_mov_b32_e32 v5, s22
	s_xor_b32 exec_lo, exec_lo, s23
	s_cbranch_execz .LBB409_590
.LBB409_608:
	v_cmp_ne_u16_e32 vcc_lo, 0, v3
	v_mov_b32_e32 v5, v3
	s_and_not1_b32 s2, s2, exec_lo
	s_and_b32 s22, vcc_lo, exec_lo
	s_delay_alu instid0(SALU_CYCLE_1)
	s_or_b32 s2, s2, s22
	s_or_b32 exec_lo, exec_lo, s23
	s_and_saveexec_b32 s22, s2
	s_cbranch_execnz .LBB409_591
	s_branch .LBB409_592
.LBB409_609:
	s_mov_b32 s2, -1
                                        ; implicit-def: $vgpr5
	s_branch .LBB409_614
.LBB409_610:
	s_mov_b32 s2, -1
                                        ; implicit-def: $vgpr5
.LBB409_611:
	s_delay_alu instid0(SALU_CYCLE_1)
	s_and_b32 vcc_lo, exec_lo, s2
	s_cbranch_vccz .LBB409_613
; %bb.612:
	global_load_u8 v3, v[1:2], off
	s_waitcnt vmcnt(0)
	v_lshlrev_b32_e32 v3, 24, v3
	s_delay_alu instid0(VALU_DEP_1) | instskip(NEXT) | instid1(VALU_DEP_1)
	v_and_b32_e32 v5, 0x7f000000, v3
	v_clz_i32_u32_e32 v6, v5
	v_cmp_ne_u32_e32 vcc_lo, 0, v5
	v_add_nc_u32_e32 v8, 0x1000000, v5
	s_delay_alu instid0(VALU_DEP_3) | instskip(NEXT) | instid1(VALU_DEP_1)
	v_min_u32_e32 v6, 32, v6
	v_sub_nc_u32_e64 v6, v6, 4 clamp
	s_delay_alu instid0(VALU_DEP_1) | instskip(SKIP_1) | instid1(VALU_DEP_2)
	v_lshlrev_b32_e32 v7, v6, v5
	v_lshlrev_b32_e32 v6, 23, v6
	v_lshrrev_b32_e32 v7, 4, v7
	s_delay_alu instid0(VALU_DEP_1) | instskip(SKIP_1) | instid1(VALU_DEP_2)
	v_sub_nc_u32_e32 v6, v7, v6
	v_ashrrev_i32_e32 v7, 8, v8
	v_add_nc_u32_e32 v6, 0x3c000000, v6
	s_delay_alu instid0(VALU_DEP_1) | instskip(NEXT) | instid1(VALU_DEP_1)
	v_and_or_b32 v6, 0x7f800000, v7, v6
	v_cndmask_b32_e32 v5, 0, v6, vcc_lo
	s_delay_alu instid0(VALU_DEP_1) | instskip(NEXT) | instid1(VALU_DEP_1)
	v_and_or_b32 v3, 0x80000000, v3, v5
	v_cvt_f16_f32_e32 v5, v3
.LBB409_613:
	s_mov_b32 s2, 0
.LBB409_614:
	s_delay_alu instid0(SALU_CYCLE_1)
	s_and_not1_b32 vcc_lo, exec_lo, s2
	s_cbranch_vccnz .LBB409_616
; %bb.615:
	global_load_u8 v3, v[1:2], off
	s_waitcnt vmcnt(0)
	v_lshlrev_b32_e32 v5, 25, v3
	v_lshlrev_b16 v3, 8, v3
	s_delay_alu instid0(VALU_DEP_2) | instskip(NEXT) | instid1(VALU_DEP_2)
	v_lshrrev_b32_e32 v6, 4, v5
	v_and_or_b32 v7, 0x7f00, v3, 0.5
	v_bfe_i32 v3, v3, 0, 16
	s_delay_alu instid0(VALU_DEP_3) | instskip(NEXT) | instid1(VALU_DEP_1)
	v_or_b32_e32 v6, 0x70000000, v6
	v_dual_add_f32 v7, -0.5, v7 :: v_dual_mul_f32 v6, 0x7800000, v6
	v_cmp_gt_u32_e32 vcc_lo, 0x8000000, v5
	s_delay_alu instid0(VALU_DEP_2) | instskip(NEXT) | instid1(VALU_DEP_1)
	v_cndmask_b32_e32 v5, v6, v7, vcc_lo
	v_and_or_b32 v3, 0x80000000, v3, v5
	s_delay_alu instid0(VALU_DEP_1)
	v_cvt_f16_f32_e32 v5, v3
.LBB409_616:
	s_mov_b32 s22, 0
	s_mov_b32 s2, -1
.LBB409_617:
	s_and_not1_b32 vcc_lo, exec_lo, s22
	s_cbranch_vccnz .LBB409_630
; %bb.618:
	v_cmp_gt_i16_e64 s22, s31, 14
	s_delay_alu instid0(VALU_DEP_1)
	s_and_b32 vcc_lo, exec_lo, s22
	s_cbranch_vccz .LBB409_621
; %bb.619:
	v_cmp_eq_u16_e64 s3, s31, 15
	s_delay_alu instid0(VALU_DEP_1)
	s_and_b32 vcc_lo, exec_lo, s3
	s_cbranch_vccz .LBB409_624
; %bb.620:
	global_load_u16 v3, v[1:2], off
	s_mov_b32 s2, -1
	s_mov_b32 s3, 0
	s_waitcnt vmcnt(0)
	v_lshlrev_b32_e32 v3, 16, v3
	s_delay_alu instid0(VALU_DEP_1)
	v_cvt_f16_f32_e32 v5, v3
	s_branch .LBB409_625
.LBB409_621:
	s_mov_b32 s22, -1
                                        ; implicit-def: $vgpr5
	s_branch .LBB409_626
.LBB409_622:
	s_or_saveexec_b32 s23, s23
	v_mov_b32_e32 v5, s22
	s_xor_b32 exec_lo, exec_lo, s23
	s_cbranch_execz .LBB409_603
.LBB409_623:
	v_cmp_ne_u16_e32 vcc_lo, 0, v3
	v_mov_b32_e32 v5, v3
	s_and_not1_b32 s2, s2, exec_lo
	s_and_b32 s22, vcc_lo, exec_lo
	s_delay_alu instid0(SALU_CYCLE_1)
	s_or_b32 s2, s2, s22
	s_or_b32 exec_lo, exec_lo, s23
	s_and_saveexec_b32 s22, s2
	s_cbranch_execnz .LBB409_604
	s_branch .LBB409_605
.LBB409_624:
	s_mov_b32 s3, -1
                                        ; implicit-def: $vgpr5
.LBB409_625:
	s_mov_b32 s22, 0
.LBB409_626:
	s_delay_alu instid0(SALU_CYCLE_1)
	s_and_b32 vcc_lo, exec_lo, s22
	s_cbranch_vccz .LBB409_630
; %bb.627:
	v_cmp_eq_u16_e64 s3, s31, 11
	s_delay_alu instid0(VALU_DEP_1)
	s_and_b32 vcc_lo, exec_lo, s3
	s_cbranch_vccz .LBB409_629
; %bb.628:
	global_load_u8 v3, v[1:2], off
	s_mov_b32 s3, 0
	s_mov_b32 s2, -1
	s_waitcnt vmcnt(0)
	v_cmp_ne_u16_e32 vcc_lo, 0, v3
	v_cndmask_b32_e64 v5, 0, 0x3c00, vcc_lo
	s_branch .LBB409_630
.LBB409_629:
	s_mov_b32 s3, -1
                                        ; implicit-def: $vgpr5
.LBB409_630:
	s_mov_b32 s22, 0
.LBB409_631:
	s_delay_alu instid0(SALU_CYCLE_1)
	s_and_b32 vcc_lo, exec_lo, s22
	s_cbranch_vccz .LBB409_680
; %bb.632:
	v_cmp_lt_i16_e64 s2, s31, 5
	s_delay_alu instid0(VALU_DEP_1)
	s_and_b32 vcc_lo, exec_lo, s2
	s_cbranch_vccnz .LBB409_637
; %bb.633:
	v_cmp_lt_i16_e64 s2, s31, 8
	s_delay_alu instid0(VALU_DEP_1)
	s_and_b32 vcc_lo, exec_lo, s2
	s_cbranch_vccnz .LBB409_638
	;; [unrolled: 5-line block ×3, first 2 shown]
; %bb.635:
	v_cmp_gt_i16_e64 s2, s31, 9
	s_delay_alu instid0(VALU_DEP_1)
	s_and_b32 vcc_lo, exec_lo, s2
	s_cbranch_vccz .LBB409_640
; %bb.636:
	global_load_b64 v[5:6], v[1:2], off
	s_mov_b32 s2, 0
	s_waitcnt vmcnt(0)
	v_cvt_f32_f64_e32 v3, v[5:6]
	s_delay_alu instid0(VALU_DEP_1)
	v_cvt_f16_f32_e32 v5, v3
	s_branch .LBB409_641
.LBB409_637:
	s_mov_b32 s2, -1
                                        ; implicit-def: $vgpr5
	s_branch .LBB409_659
.LBB409_638:
	s_mov_b32 s2, -1
                                        ; implicit-def: $vgpr5
	s_branch .LBB409_647
.LBB409_639:
	s_mov_b32 s2, -1
                                        ; implicit-def: $vgpr5
	s_branch .LBB409_644
.LBB409_640:
	s_mov_b32 s2, -1
                                        ; implicit-def: $vgpr5
.LBB409_641:
	s_delay_alu instid0(SALU_CYCLE_1)
	s_and_not1_b32 vcc_lo, exec_lo, s2
	s_cbranch_vccnz .LBB409_643
; %bb.642:
	global_load_b32 v3, v[1:2], off
	s_waitcnt vmcnt(0)
	v_cvt_f16_f32_e32 v5, v3
.LBB409_643:
	s_mov_b32 s2, 0
.LBB409_644:
	s_delay_alu instid0(SALU_CYCLE_1)
	s_and_not1_b32 vcc_lo, exec_lo, s2
	s_cbranch_vccnz .LBB409_646
; %bb.645:
	global_load_b32 v5, v[1:2], off
.LBB409_646:
	s_mov_b32 s2, 0
.LBB409_647:
	s_delay_alu instid0(SALU_CYCLE_1)
	s_and_not1_b32 vcc_lo, exec_lo, s2
	s_cbranch_vccnz .LBB409_658
; %bb.648:
	v_cmp_lt_i16_e64 s2, s31, 6
	s_delay_alu instid0(VALU_DEP_1)
	s_and_b32 vcc_lo, exec_lo, s2
	s_cbranch_vccnz .LBB409_651
; %bb.649:
	v_cmp_gt_i16_e64 s2, s31, 6
	s_delay_alu instid0(VALU_DEP_1)
	s_and_b32 vcc_lo, exec_lo, s2
	s_cbranch_vccz .LBB409_652
; %bb.650:
	global_load_b64 v[5:6], v[1:2], off
	s_mov_b32 s2, 0
	s_waitcnt vmcnt(0)
	v_cvt_f32_f64_e32 v3, v[5:6]
	s_delay_alu instid0(VALU_DEP_1)
	v_cvt_f16_f32_e32 v5, v3
	s_branch .LBB409_653
.LBB409_651:
	s_mov_b32 s2, -1
                                        ; implicit-def: $vgpr5
	s_branch .LBB409_656
.LBB409_652:
	s_mov_b32 s2, -1
                                        ; implicit-def: $vgpr5
.LBB409_653:
	s_delay_alu instid0(SALU_CYCLE_1)
	s_and_not1_b32 vcc_lo, exec_lo, s2
	s_cbranch_vccnz .LBB409_655
; %bb.654:
	global_load_b32 v3, v[1:2], off
	s_waitcnt vmcnt(0)
	v_cvt_f16_f32_e32 v5, v3
.LBB409_655:
	s_mov_b32 s2, 0
.LBB409_656:
	s_delay_alu instid0(SALU_CYCLE_1)
	s_and_not1_b32 vcc_lo, exec_lo, s2
	s_cbranch_vccnz .LBB409_658
; %bb.657:
	global_load_u16 v5, v[1:2], off
.LBB409_658:
	s_mov_b32 s2, 0
.LBB409_659:
	s_delay_alu instid0(SALU_CYCLE_1)
	s_and_not1_b32 vcc_lo, exec_lo, s2
	s_cbranch_vccnz .LBB409_679
; %bb.660:
	v_cmp_lt_i16_e64 s2, s31, 2
	s_delay_alu instid0(VALU_DEP_1)
	s_and_b32 vcc_lo, exec_lo, s2
	s_cbranch_vccnz .LBB409_664
; %bb.661:
	v_cmp_lt_i16_e64 s2, s31, 3
	s_delay_alu instid0(VALU_DEP_1)
	s_and_b32 vcc_lo, exec_lo, s2
	s_cbranch_vccnz .LBB409_665
; %bb.662:
	v_cmp_gt_i16_e64 s2, s31, 3
	s_delay_alu instid0(VALU_DEP_1)
	s_and_b32 vcc_lo, exec_lo, s2
	s_cbranch_vccz .LBB409_666
; %bb.663:
	global_load_b64 v[5:6], v[1:2], off
	s_mov_b32 s2, 0
	s_waitcnt vmcnt(0)
	v_xor_b32_e32 v3, v5, v6
	v_cls_i32_e32 v7, v6
	s_delay_alu instid0(VALU_DEP_2) | instskip(NEXT) | instid1(VALU_DEP_2)
	v_ashrrev_i32_e32 v3, 31, v3
	v_add_nc_u32_e32 v7, -1, v7
	s_delay_alu instid0(VALU_DEP_2) | instskip(NEXT) | instid1(VALU_DEP_1)
	v_add_nc_u32_e32 v3, 32, v3
	v_min_u32_e32 v3, v7, v3
	s_delay_alu instid0(VALU_DEP_1) | instskip(SKIP_1) | instid1(VALU_DEP_2)
	v_lshlrev_b64 v[5:6], v3, v[5:6]
	v_sub_nc_u32_e32 v3, 32, v3
	v_min_u32_e32 v5, 1, v5
	s_delay_alu instid0(VALU_DEP_1) | instskip(NEXT) | instid1(VALU_DEP_1)
	v_or_b32_e32 v5, v6, v5
	v_cvt_f32_i32_e32 v5, v5
	s_delay_alu instid0(VALU_DEP_1) | instskip(NEXT) | instid1(VALU_DEP_1)
	v_ldexp_f32 v3, v5, v3
	v_cvt_f16_f32_e32 v5, v3
	s_branch .LBB409_667
.LBB409_664:
	s_mov_b32 s2, -1
                                        ; implicit-def: $vgpr5
	s_branch .LBB409_673
.LBB409_665:
	s_mov_b32 s2, -1
                                        ; implicit-def: $vgpr5
	s_branch .LBB409_670
.LBB409_666:
	s_mov_b32 s2, -1
                                        ; implicit-def: $vgpr5
.LBB409_667:
	s_delay_alu instid0(SALU_CYCLE_1)
	s_and_not1_b32 vcc_lo, exec_lo, s2
	s_cbranch_vccnz .LBB409_669
; %bb.668:
	global_load_b32 v3, v[1:2], off
	s_waitcnt vmcnt(0)
	v_cvt_f32_i32_e32 v3, v3
	s_delay_alu instid0(VALU_DEP_1)
	v_cvt_f16_f32_e32 v5, v3
.LBB409_669:
	s_mov_b32 s2, 0
.LBB409_670:
	s_delay_alu instid0(SALU_CYCLE_1)
	s_and_not1_b32 vcc_lo, exec_lo, s2
	s_cbranch_vccnz .LBB409_672
; %bb.671:
	global_load_u16 v3, v[1:2], off
	s_waitcnt vmcnt(0)
	v_cvt_f16_i16_e32 v5, v3
.LBB409_672:
	s_mov_b32 s2, 0
.LBB409_673:
	s_delay_alu instid0(SALU_CYCLE_1)
	s_and_not1_b32 vcc_lo, exec_lo, s2
	s_cbranch_vccnz .LBB409_679
; %bb.674:
	v_cmp_gt_i16_e64 s2, s31, 0
	s_delay_alu instid0(VALU_DEP_1)
	s_and_b32 vcc_lo, exec_lo, s2
	s_mov_b32 s2, 0
	s_cbranch_vccz .LBB409_676
; %bb.675:
	global_load_i8 v3, v[1:2], off
	s_waitcnt vmcnt(0)
	v_cvt_f16_i16_e32 v5, v3
	s_branch .LBB409_677
.LBB409_676:
	s_mov_b32 s2, -1
                                        ; implicit-def: $vgpr5
.LBB409_677:
	s_delay_alu instid0(SALU_CYCLE_1)
	s_and_not1_b32 vcc_lo, exec_lo, s2
	s_cbranch_vccnz .LBB409_679
; %bb.678:
	global_load_u8 v1, v[1:2], off
	s_waitcnt vmcnt(0)
	v_cvt_f16_u16_e32 v5, v1
.LBB409_679:
	s_mov_b32 s2, -1
.LBB409_680:
	s_delay_alu instid0(SALU_CYCLE_1)
	s_and_not1_b32 vcc_lo, exec_lo, s2
	s_cbranch_vccnz .LBB409_688
; %bb.681:
	s_waitcnt vmcnt(0)
	v_cmp_u_f16_e32 vcc_lo, v5, v5
	v_cmp_lt_f16_e64 s2, s29, v5
	v_and_b32_e64 v3, 0xff, s30
	s_mov_b32 s22, 0
	s_mov_b32 s23, -1
	s_delay_alu instid0(VALU_DEP_2)
	s_or_b32 vcc_lo, vcc_lo, s2
	v_add_co_u32 v0, s2, s4, v0
	v_cndmask_b32_e32 v2, s29, v5, vcc_lo
	v_cmp_gt_i16_e32 vcc_lo, 11, v3
	v_add_co_ci_u32_e64 v1, null, s5, 0, s2
	s_mov_b32 s2, s41
	s_cbranch_vccnz .LBB409_689
; %bb.682:
	v_cmp_lt_i16_e32 vcc_lo, 25, v3
	s_cbranch_vccz .LBB409_730
; %bb.683:
	v_cmp_lt_i16_e32 vcc_lo, 28, v3
	s_cbranch_vccz .LBB409_731
	;; [unrolled: 3-line block ×4, first 2 shown]
; %bb.686:
	v_cmp_eq_u16_e32 vcc_lo, 46, v3
	s_mov_b32 s23, 0
	s_mov_b32 s2, -1
	s_cbranch_vccz .LBB409_734
; %bb.687:
	v_cvt_f32_f16_e32 v5, v2
	v_cmp_o_f16_e32 vcc_lo, v2, v2
	s_mov_b32 s22, -1
	s_mov_b32 s2, 0
	s_delay_alu instid0(VALU_DEP_2) | instskip(NEXT) | instid1(VALU_DEP_1)
	v_bfe_u32 v6, v5, 16, 1
	v_add3_u32 v5, v5, v6, 0x7fff
	s_delay_alu instid0(VALU_DEP_1) | instskip(NEXT) | instid1(VALU_DEP_1)
	v_lshrrev_b32_e32 v5, 16, v5
	v_cndmask_b32_e32 v5, 0x7fc0, v5, vcc_lo
	global_store_b32 v[0:1], v5, off
	s_branch .LBB409_734
.LBB409_688:
	s_mov_b32 s44, 0
	s_mov_b32 s2, s41
	s_branch .LBB409_729
.LBB409_689:
	s_and_b32 vcc_lo, exec_lo, s23
	s_cbranch_vccz .LBB409_803
; %bb.690:
	v_cmp_gt_i16_e32 vcc_lo, 5, v3
	s_mov_b32 s22, -1
	s_cbranch_vccnz .LBB409_711
; %bb.691:
	v_cmp_gt_i16_e32 vcc_lo, 8, v3
	s_cbranch_vccnz .LBB409_701
; %bb.692:
	v_cmp_gt_i16_e32 vcc_lo, 9, v3
	s_cbranch_vccnz .LBB409_698
; %bb.693:
	v_cmp_lt_i16_e32 vcc_lo, 9, v3
	s_cbranch_vccz .LBB409_695
; %bb.694:
	v_cvt_f32_f16_e32 v5, v2
	v_mov_b32_e32 v7, 0
	s_mov_b32 s22, 0
	s_delay_alu instid0(VALU_DEP_2) | instskip(NEXT) | instid1(VALU_DEP_2)
	v_cvt_f64_f32_e32 v[5:6], v5
	v_mov_b32_e32 v8, v7
	global_store_b128 v[0:1], v[5:8], off
.LBB409_695:
	s_and_not1_b32 vcc_lo, exec_lo, s22
	s_cbranch_vccnz .LBB409_697
; %bb.696:
	v_cvt_f32_f16_e32 v5, v2
	v_mov_b32_e32 v6, 0
	global_store_b64 v[0:1], v[5:6], off
.LBB409_697:
	s_mov_b32 s22, 0
.LBB409_698:
	s_delay_alu instid0(SALU_CYCLE_1)
	s_and_not1_b32 vcc_lo, exec_lo, s22
	s_cbranch_vccnz .LBB409_700
; %bb.699:
	v_and_b32_e32 v5, 0xffff, v2
	global_store_b32 v[0:1], v5, off
.LBB409_700:
	s_mov_b32 s22, 0
.LBB409_701:
	s_delay_alu instid0(SALU_CYCLE_1)
	s_and_not1_b32 vcc_lo, exec_lo, s22
	s_cbranch_vccnz .LBB409_710
; %bb.702:
	v_cmp_gt_i16_e32 vcc_lo, 6, v3
	s_mov_b32 s22, -1
	s_cbranch_vccnz .LBB409_708
; %bb.703:
	v_cmp_lt_i16_e32 vcc_lo, 6, v3
	s_cbranch_vccz .LBB409_705
; %bb.704:
	v_cvt_f32_f16_e32 v5, v2
	s_mov_b32 s22, 0
	s_delay_alu instid0(VALU_DEP_1)
	v_cvt_f64_f32_e32 v[5:6], v5
	global_store_b64 v[0:1], v[5:6], off
.LBB409_705:
	s_and_not1_b32 vcc_lo, exec_lo, s22
	s_cbranch_vccnz .LBB409_707
; %bb.706:
	v_cvt_f32_f16_e32 v5, v2
	global_store_b32 v[0:1], v5, off
.LBB409_707:
	s_mov_b32 s22, 0
.LBB409_708:
	s_delay_alu instid0(SALU_CYCLE_1)
	s_and_not1_b32 vcc_lo, exec_lo, s22
	s_cbranch_vccnz .LBB409_710
; %bb.709:
	global_store_b16 v[0:1], v2, off
.LBB409_710:
	s_mov_b32 s22, 0
.LBB409_711:
	s_delay_alu instid0(SALU_CYCLE_1)
	s_and_not1_b32 vcc_lo, exec_lo, s22
	s_cbranch_vccnz .LBB409_727
; %bb.712:
	v_cmp_gt_i16_e32 vcc_lo, 2, v3
	s_mov_b32 s22, -1
	s_cbranch_vccnz .LBB409_722
; %bb.713:
	v_cmp_gt_i16_e32 vcc_lo, 3, v3
	s_cbranch_vccnz .LBB409_719
; %bb.714:
	v_cmp_lt_i16_e32 vcc_lo, 3, v3
	s_cbranch_vccz .LBB409_716
; %bb.715:
	v_cvt_f32_f16_e32 v5, v2
	s_mov_b32 s22, 0
	s_delay_alu instid0(VALU_DEP_1) | instskip(NEXT) | instid1(VALU_DEP_1)
	v_cvt_i32_f32_e32 v5, v5
	v_ashrrev_i32_e32 v6, 31, v5
	global_store_b64 v[0:1], v[5:6], off
.LBB409_716:
	s_and_not1_b32 vcc_lo, exec_lo, s22
	s_cbranch_vccnz .LBB409_718
; %bb.717:
	v_cvt_f32_f16_e32 v5, v2
	s_delay_alu instid0(VALU_DEP_1)
	v_cvt_i32_f32_e32 v5, v5
	global_store_b32 v[0:1], v5, off
.LBB409_718:
	s_mov_b32 s22, 0
.LBB409_719:
	s_delay_alu instid0(SALU_CYCLE_1)
	s_and_not1_b32 vcc_lo, exec_lo, s22
	s_cbranch_vccnz .LBB409_721
; %bb.720:
	v_cvt_i16_f16_e32 v5, v2
	global_store_b16 v[0:1], v5, off
.LBB409_721:
	s_mov_b32 s22, 0
.LBB409_722:
	s_delay_alu instid0(SALU_CYCLE_1)
	s_and_not1_b32 vcc_lo, exec_lo, s22
	s_cbranch_vccnz .LBB409_727
; %bb.723:
	v_cmp_lt_i16_e32 vcc_lo, 0, v3
	s_mov_b32 s22, -1
	s_cbranch_vccz .LBB409_725
; %bb.724:
	v_cvt_i16_f16_e32 v3, v2
	s_mov_b32 s22, 0
	global_store_b8 v[0:1], v3, off
.LBB409_725:
	s_and_not1_b32 vcc_lo, exec_lo, s22
	s_cbranch_vccnz .LBB409_727
; %bb.726:
	v_cvt_f32_f16_e32 v2, v2
	s_delay_alu instid0(VALU_DEP_1)
	v_cvt_i32_f32_e32 v2, v2
	global_store_b8 v[0:1], v2, off
.LBB409_727:
	s_branch .LBB409_804
.LBB409_728:
	s_mov_b32 s44, 0
.LBB409_729:
                                        ; implicit-def: $vgpr4
	s_branch .LBB409_805
.LBB409_730:
	s_mov_b32 s2, s41
	s_branch .LBB409_761
.LBB409_731:
	s_mov_b32 s2, s41
	s_branch .LBB409_744
.LBB409_732:
	s_mov_b32 s2, s41
	s_branch .LBB409_740
.LBB409_733:
	s_mov_b32 s2, s41
.LBB409_734:
	s_and_b32 vcc_lo, exec_lo, s23
	s_cbranch_vccz .LBB409_739
; %bb.735:
	v_cmp_eq_u16_e32 vcc_lo, 44, v3
	s_mov_b32 s2, -1
	s_cbranch_vccz .LBB409_739
; %bb.736:
	v_cvt_f32_f16_e32 v5, v2
	v_mov_b32_e32 v6, 0xff
	s_mov_b32 s22, exec_lo
	s_delay_alu instid0(VALU_DEP_2) | instskip(NEXT) | instid1(VALU_DEP_1)
	v_bfe_u32 v7, v5, 23, 8
	v_cmpx_ne_u32_e32 0xff, v7
; %bb.737:
	v_and_b32_e32 v6, 0x400000, v5
	v_and_or_b32 v7, 0x3fffff, v5, v7
	v_lshrrev_b32_e32 v5, 23, v5
	s_delay_alu instid0(VALU_DEP_3) | instskip(NEXT) | instid1(VALU_DEP_3)
	v_cmp_ne_u32_e32 vcc_lo, 0, v6
	v_cmp_ne_u32_e64 s2, 0, v7
	s_delay_alu instid0(VALU_DEP_1) | instskip(NEXT) | instid1(SALU_CYCLE_1)
	s_and_b32 s2, vcc_lo, s2
	v_cndmask_b32_e64 v6, 0, 1, s2
	s_delay_alu instid0(VALU_DEP_1)
	v_add_nc_u32_e32 v6, v5, v6
; %bb.738:
	s_or_b32 exec_lo, exec_lo, s22
	s_mov_b32 s22, -1
	s_mov_b32 s2, 0
	global_store_b8 v[0:1], v6, off
.LBB409_739:
	s_mov_b32 s23, 0
.LBB409_740:
	s_delay_alu instid0(SALU_CYCLE_1)
	s_and_b32 vcc_lo, exec_lo, s23
	s_cbranch_vccz .LBB409_743
; %bb.741:
	v_cmp_eq_u16_e32 vcc_lo, 29, v3
	s_mov_b32 s2, -1
	s_cbranch_vccz .LBB409_743
; %bb.742:
	v_cvt_f32_f16_e32 v5, v2
	v_mov_b32_e32 v6, 0
	s_mov_b32 s2, 0
	s_mov_b32 s22, -1
	s_mov_b32 s23, 0
	v_cvt_u32_f32_e32 v5, v5
	global_store_b64 v[0:1], v[5:6], off
	s_branch .LBB409_744
.LBB409_743:
	s_mov_b32 s23, 0
.LBB409_744:
	s_delay_alu instid0(SALU_CYCLE_1)
	s_and_b32 vcc_lo, exec_lo, s23
	s_cbranch_vccz .LBB409_760
; %bb.745:
	v_cmp_gt_i16_e32 vcc_lo, 27, v3
	s_mov_b32 s22, -1
	s_cbranch_vccnz .LBB409_751
; %bb.746:
	v_cmp_lt_i16_e32 vcc_lo, 27, v3
	s_cbranch_vccz .LBB409_748
; %bb.747:
	v_cvt_f32_f16_e32 v5, v2
	s_mov_b32 s22, 0
	s_delay_alu instid0(VALU_DEP_1)
	v_cvt_u32_f32_e32 v5, v5
	global_store_b32 v[0:1], v5, off
.LBB409_748:
	s_and_not1_b32 vcc_lo, exec_lo, s22
	s_cbranch_vccnz .LBB409_750
; %bb.749:
	v_cvt_u16_f16_e32 v5, v2
	global_store_b16 v[0:1], v5, off
.LBB409_750:
	s_mov_b32 s22, 0
.LBB409_751:
	s_delay_alu instid0(SALU_CYCLE_1)
	s_and_not1_b32 vcc_lo, exec_lo, s22
	s_cbranch_vccnz .LBB409_759
; %bb.752:
	v_cvt_f32_f16_e32 v5, v2
	v_mov_b32_e32 v7, 0x80
	s_mov_b32 s22, exec_lo
	s_delay_alu instid0(VALU_DEP_2) | instskip(NEXT) | instid1(VALU_DEP_1)
	v_and_b32_e32 v6, 0x7fffffff, v5
	v_cmpx_gt_u32_e32 0x43800000, v6
	s_cbranch_execz .LBB409_758
; %bb.753:
	v_cmp_lt_u32_e32 vcc_lo, 0x3bffffff, v6
	s_mov_b32 s23, 0
                                        ; implicit-def: $vgpr6
	s_and_saveexec_b32 s44, vcc_lo
	s_delay_alu instid0(SALU_CYCLE_1)
	s_xor_b32 s44, exec_lo, s44
	s_cbranch_execz .LBB409_832
; %bb.754:
	v_bfe_u32 v6, v5, 20, 1
	s_mov_b32 s23, exec_lo
	s_delay_alu instid0(VALU_DEP_1) | instskip(NEXT) | instid1(VALU_DEP_1)
	v_add3_u32 v6, v5, v6, 0x487ffff
	v_lshrrev_b32_e32 v6, 20, v6
	s_or_saveexec_b32 s44, s44
                                        ; implicit-def: $sgpr45
	s_delay_alu instid0(SALU_CYCLE_1)
	s_xor_b32 exec_lo, exec_lo, s44
	s_cbranch_execnz .LBB409_833
.LBB409_755:
	s_or_b32 exec_lo, exec_lo, s44
	v_mov_b32_e32 v7, s45
	s_and_saveexec_b32 s44, s23
.LBB409_756:
	v_lshrrev_b32_e32 v5, 24, v5
	s_delay_alu instid0(VALU_DEP_1)
	v_and_or_b32 v7, 0x80, v5, v6
.LBB409_757:
	s_or_b32 exec_lo, exec_lo, s44
.LBB409_758:
	s_delay_alu instid0(SALU_CYCLE_1)
	s_or_b32 exec_lo, exec_lo, s22
	global_store_b8 v[0:1], v7, off
.LBB409_759:
	s_mov_b32 s22, -1
.LBB409_760:
	s_mov_b32 s23, 0
.LBB409_761:
	s_delay_alu instid0(SALU_CYCLE_1)
	s_and_b32 vcc_lo, exec_lo, s23
	s_cbranch_vccz .LBB409_802
; %bb.762:
	v_cmp_lt_i16_e32 vcc_lo, 22, v3
	s_mov_b32 s23, -1
	s_cbranch_vccz .LBB409_794
; %bb.763:
	v_cmp_gt_i16_e32 vcc_lo, 24, v3
	s_mov_b32 s22, -1
	s_cbranch_vccnz .LBB409_783
; %bb.764:
	v_cmp_lt_i16_e32 vcc_lo, 24, v3
	s_cbranch_vccz .LBB409_772
; %bb.765:
	v_cvt_f32_f16_e32 v5, v2
	v_mov_b32_e32 v7, 0x80
	s_mov_b32 s22, exec_lo
	s_delay_alu instid0(VALU_DEP_2) | instskip(NEXT) | instid1(VALU_DEP_1)
	v_and_b32_e32 v6, 0x7fffffff, v5
	v_cmpx_gt_u32_e32 0x47800000, v6
	s_cbranch_execz .LBB409_771
; %bb.766:
	v_cmp_lt_u32_e32 vcc_lo, 0x37ffffff, v6
	s_mov_b32 s23, 0
                                        ; implicit-def: $vgpr6
	s_and_saveexec_b32 s44, vcc_lo
	s_delay_alu instid0(SALU_CYCLE_1)
	s_xor_b32 s44, exec_lo, s44
	s_cbranch_execz .LBB409_835
; %bb.767:
	v_bfe_u32 v6, v5, 21, 1
	s_mov_b32 s23, exec_lo
	s_delay_alu instid0(VALU_DEP_1) | instskip(NEXT) | instid1(VALU_DEP_1)
	v_add3_u32 v6, v5, v6, 0x88fffff
	v_lshrrev_b32_e32 v6, 21, v6
	s_or_saveexec_b32 s44, s44
                                        ; implicit-def: $sgpr45
	s_delay_alu instid0(SALU_CYCLE_1)
	s_xor_b32 exec_lo, exec_lo, s44
	s_cbranch_execnz .LBB409_836
.LBB409_768:
	s_or_b32 exec_lo, exec_lo, s44
	v_mov_b32_e32 v7, s45
	s_and_saveexec_b32 s44, s23
.LBB409_769:
	v_lshrrev_b32_e32 v5, 24, v5
	s_delay_alu instid0(VALU_DEP_1)
	v_and_or_b32 v7, 0x80, v5, v6
.LBB409_770:
	s_or_b32 exec_lo, exec_lo, s44
.LBB409_771:
	s_delay_alu instid0(SALU_CYCLE_1)
	s_or_b32 exec_lo, exec_lo, s22
	s_mov_b32 s22, 0
	global_store_b8 v[0:1], v7, off
.LBB409_772:
	s_and_b32 vcc_lo, exec_lo, s22
	s_cbranch_vccz .LBB409_782
; %bb.773:
	v_cvt_f32_f16_e32 v5, v2
	s_mov_b32 s22, exec_lo
                                        ; implicit-def: $vgpr6
	s_delay_alu instid0(VALU_DEP_1) | instskip(NEXT) | instid1(VALU_DEP_1)
	v_and_b32_e32 v7, 0x7fffffff, v5
	v_cmpx_gt_u32_e32 0x43f00000, v7
	s_xor_b32 s22, exec_lo, s22
	s_cbranch_execz .LBB409_779
; %bb.774:
	s_mov_b32 s23, exec_lo
                                        ; implicit-def: $vgpr6
	v_cmpx_lt_u32_e32 0x3c7fffff, v7
	s_xor_b32 s23, exec_lo, s23
; %bb.775:
	v_bfe_u32 v6, v5, 20, 1
	s_delay_alu instid0(VALU_DEP_1) | instskip(NEXT) | instid1(VALU_DEP_1)
	v_add3_u32 v6, v5, v6, 0x407ffff
	v_and_b32_e32 v7, 0xff00000, v6
	v_lshrrev_b32_e32 v6, 20, v6
	s_delay_alu instid0(VALU_DEP_2) | instskip(NEXT) | instid1(VALU_DEP_2)
	v_cmp_ne_u32_e32 vcc_lo, 0x7f00000, v7
	v_cndmask_b32_e32 v6, 0x7e, v6, vcc_lo
; %bb.776:
	s_and_not1_saveexec_b32 s23, s23
; %bb.777:
	v_add_f32_e64 v6, 0x46800000, |v5|
; %bb.778:
	s_or_b32 exec_lo, exec_lo, s23
                                        ; implicit-def: $vgpr7
.LBB409_779:
	s_and_not1_saveexec_b32 s22, s22
; %bb.780:
	v_mov_b32_e32 v6, 0x7f
	v_cmp_lt_u32_e32 vcc_lo, 0x7f800000, v7
	s_delay_alu instid0(VALU_DEP_2)
	v_cndmask_b32_e32 v6, 0x7e, v6, vcc_lo
; %bb.781:
	s_or_b32 exec_lo, exec_lo, s22
	v_lshrrev_b32_e32 v5, 24, v5
	s_delay_alu instid0(VALU_DEP_1)
	v_and_or_b32 v5, 0x80, v5, v6
	global_store_b8 v[0:1], v5, off
.LBB409_782:
	s_mov_b32 s22, 0
.LBB409_783:
	s_delay_alu instid0(SALU_CYCLE_1)
	s_and_not1_b32 vcc_lo, exec_lo, s22
	s_cbranch_vccnz .LBB409_793
; %bb.784:
	v_cvt_f32_f16_e32 v5, v2
	s_mov_b32 s22, exec_lo
                                        ; implicit-def: $vgpr6
	s_delay_alu instid0(VALU_DEP_1) | instskip(NEXT) | instid1(VALU_DEP_1)
	v_and_b32_e32 v7, 0x7fffffff, v5
	v_cmpx_gt_u32_e32 0x47800000, v7
	s_xor_b32 s22, exec_lo, s22
	s_cbranch_execz .LBB409_790
; %bb.785:
	s_mov_b32 s23, exec_lo
                                        ; implicit-def: $vgpr6
	v_cmpx_lt_u32_e32 0x387fffff, v7
	s_xor_b32 s23, exec_lo, s23
; %bb.786:
	v_bfe_u32 v6, v5, 21, 1
	s_delay_alu instid0(VALU_DEP_1) | instskip(NEXT) | instid1(VALU_DEP_1)
	v_add3_u32 v6, v5, v6, 0x80fffff
	v_lshrrev_b32_e32 v6, 21, v6
; %bb.787:
	s_and_not1_saveexec_b32 s23, s23
; %bb.788:
	v_add_f32_e64 v6, 0x43000000, |v5|
; %bb.789:
	s_or_b32 exec_lo, exec_lo, s23
                                        ; implicit-def: $vgpr7
.LBB409_790:
	s_and_not1_saveexec_b32 s22, s22
; %bb.791:
	v_mov_b32_e32 v6, 0x7f
	v_cmp_lt_u32_e32 vcc_lo, 0x7f800000, v7
	s_delay_alu instid0(VALU_DEP_2)
	v_cndmask_b32_e32 v6, 0x7c, v6, vcc_lo
; %bb.792:
	s_or_b32 exec_lo, exec_lo, s22
	v_lshrrev_b32_e32 v5, 24, v5
	s_delay_alu instid0(VALU_DEP_1)
	v_and_or_b32 v5, 0x80, v5, v6
	global_store_b8 v[0:1], v5, off
.LBB409_793:
	s_mov_b32 s23, 0
	s_mov_b32 s22, -1
.LBB409_794:
	s_and_not1_b32 vcc_lo, exec_lo, s23
	s_cbranch_vccnz .LBB409_802
; %bb.795:
	v_cmp_lt_i16_e32 vcc_lo, 14, v3
	s_mov_b32 s23, -1
	s_cbranch_vccz .LBB409_799
; %bb.796:
	v_cmp_eq_u16_e32 vcc_lo, 15, v3
	s_mov_b32 s2, -1
	s_cbranch_vccz .LBB409_798
; %bb.797:
	v_cvt_f32_f16_e32 v5, v2
	v_cmp_o_f16_e32 vcc_lo, v2, v2
	s_mov_b32 s22, -1
	s_mov_b32 s2, 0
	s_delay_alu instid0(VALU_DEP_2) | instskip(NEXT) | instid1(VALU_DEP_1)
	v_bfe_u32 v6, v5, 16, 1
	v_add3_u32 v5, v5, v6, 0x7fff
	s_delay_alu instid0(VALU_DEP_1) | instskip(NEXT) | instid1(VALU_DEP_1)
	v_lshrrev_b32_e32 v5, 16, v5
	v_cndmask_b32_e32 v5, 0x7fc0, v5, vcc_lo
	global_store_b16 v[0:1], v5, off
.LBB409_798:
	s_mov_b32 s23, 0
.LBB409_799:
	s_delay_alu instid0(SALU_CYCLE_1)
	s_and_b32 vcc_lo, exec_lo, s23
	s_cbranch_vccz .LBB409_802
; %bb.800:
	v_cmp_eq_u16_e32 vcc_lo, 11, v3
	s_mov_b32 s2, -1
	s_cbranch_vccz .LBB409_802
; %bb.801:
	v_and_b32_e32 v5, 0x7fff, v2
	s_mov_b32 s2, 0
	s_mov_b32 s22, -1
	s_delay_alu instid0(VALU_DEP_1)
	v_cmp_ne_u16_e32 vcc_lo, 0, v5
	v_cndmask_b32_e64 v5, 0, 1, vcc_lo
	global_store_b8 v[0:1], v5, off
.LBB409_802:
.LBB409_803:
	s_and_not1_b32 vcc_lo, exec_lo, s22
	s_cbranch_vccnz .LBB409_728
.LBB409_804:
	v_add_nc_u32_e32 v4, 0x80, v4
	s_mov_b32 s44, -1
.LBB409_805:
	s_and_not1_b32 s22, s41, exec_lo
	s_and_b32 s2, s2, exec_lo
	s_and_not1_b32 s45, s40, exec_lo
	s_and_b32 s3, s3, exec_lo
	s_or_b32 s23, s22, s2
	s_or_b32 s22, s45, s3
	s_or_not1_b32 s45, s44, exec_lo
.LBB409_806:
	s_or_b32 exec_lo, exec_lo, s43
	s_mov_b32 s2, 0
	s_mov_b32 s3, 0
	;; [unrolled: 1-line block ×3, first 2 shown]
                                        ; implicit-def: $vgpr1_vgpr2
                                        ; implicit-def: $vgpr0
                                        ; implicit-def: $vgpr5
	s_and_saveexec_b32 s43, s45
	s_cbranch_execz .LBB409_904
; %bb.807:
	v_cmp_gt_i32_e32 vcc_lo, s34, v4
	s_mov_b32 s46, s22
	s_mov_b32 s45, 0
                                        ; implicit-def: $vgpr1_vgpr2
                                        ; implicit-def: $vgpr0
                                        ; implicit-def: $vgpr5
	s_and_saveexec_b32 s34, vcc_lo
	s_cbranch_execz .LBB409_903
; %bb.808:
	s_and_not1_b32 vcc_lo, exec_lo, s27
	s_cbranch_vccnz .LBB409_813
; %bb.809:
	v_dual_mov_b32 v0, 0 :: v_dual_mov_b32 v1, 0
	s_and_not1_b32 vcc_lo, exec_lo, s36
	s_mov_b32 s36, 0
	s_cbranch_vccnz .LBB409_818
; %bb.810:
	v_mov_b32_e32 v0, 0
	s_add_i32 s44, s35, 1
	s_cmp_eq_u32 s25, 2
	s_mov_b32 s35, 0
	s_cbranch_scc1 .LBB409_814
; %bb.811:
	v_dual_mov_b32 v1, 0 :: v_dual_mov_b32 v0, 0
	v_mov_b32_e32 v2, v4
	s_and_b32 s35, s44, 28
	s_mov_b64 s[2:3], s[16:17]
.LBB409_812:                            ; =>This Inner Loop Header: Depth=1
	s_clause 0x1
	s_load_b256 s[48:55], s[2:3], 0x4
	s_load_b128 s[64:67], s[2:3], 0x24
	s_load_b256 s[56:63], s[20:21], 0x0
	s_add_u32 s2, s2, 48
	s_addc_u32 s3, s3, 0
	s_add_i32 s45, s45, 4
	s_add_u32 s20, s20, 32
	s_addc_u32 s21, s21, 0
	s_cmp_eq_u32 s35, s45
	s_waitcnt lgkmcnt(0)
	v_mul_hi_u32 v3, s49, v2
	s_delay_alu instid0(VALU_DEP_1) | instskip(NEXT) | instid1(VALU_DEP_1)
	v_add_nc_u32_e32 v3, v2, v3
	v_lshrrev_b32_e32 v3, s50, v3
	s_waitcnt vmcnt(0)
	s_delay_alu instid0(VALU_DEP_1) | instskip(SKIP_1) | instid1(VALU_DEP_2)
	v_mul_hi_u32 v5, s52, v3
	v_mul_lo_u32 v7, v3, s48
	v_add_nc_u32_e32 v5, v3, v5
	s_delay_alu instid0(VALU_DEP_2) | instskip(NEXT) | instid1(VALU_DEP_2)
	v_sub_nc_u32_e32 v2, v2, v7
	v_lshrrev_b32_e32 v5, s53, v5
	s_delay_alu instid0(VALU_DEP_2) | instskip(SKIP_1) | instid1(VALU_DEP_3)
	v_mul_lo_u32 v7, v2, s56
	v_mul_lo_u32 v9, v2, s57
	v_mul_hi_u32 v6, s55, v5
	s_delay_alu instid0(VALU_DEP_1) | instskip(NEXT) | instid1(VALU_DEP_1)
	v_add_nc_u32_e32 v6, v5, v6
	v_lshrrev_b32_e32 v6, s64, v6
	s_delay_alu instid0(VALU_DEP_1) | instskip(SKIP_1) | instid1(VALU_DEP_2)
	v_mul_hi_u32 v8, s66, v6
	v_mul_lo_u32 v10, v6, s54
	v_add_nc_u32_e32 v2, v6, v8
	v_mul_lo_u32 v8, v5, s51
	s_delay_alu instid0(VALU_DEP_3) | instskip(NEXT) | instid1(VALU_DEP_3)
	v_sub_nc_u32_e32 v5, v5, v10
	v_lshrrev_b32_e32 v2, s67, v2
	s_delay_alu instid0(VALU_DEP_2) | instskip(SKIP_2) | instid1(VALU_DEP_4)
	v_mul_lo_u32 v10, v5, s60
	v_mul_lo_u32 v5, v5, s61
	v_sub_nc_u32_e32 v3, v3, v8
	v_mul_lo_u32 v11, v2, s65
	s_delay_alu instid0(VALU_DEP_2) | instskip(SKIP_1) | instid1(VALU_DEP_3)
	v_mul_lo_u32 v8, v3, s58
	v_mul_lo_u32 v3, v3, s59
	v_sub_nc_u32_e32 v6, v6, v11
	s_delay_alu instid0(VALU_DEP_3) | instskip(NEXT) | instid1(VALU_DEP_2)
	v_add3_u32 v0, v7, v0, v8
	v_mul_lo_u32 v11, v6, s62
	v_mul_lo_u32 v6, v6, s63
	v_add3_u32 v1, v9, v1, v3
	s_delay_alu instid0(VALU_DEP_3) | instskip(NEXT) | instid1(VALU_DEP_2)
	v_add3_u32 v0, v10, v0, v11
	v_add3_u32 v1, v5, v1, v6
	s_cbranch_scc0 .LBB409_812
	s_branch .LBB409_815
.LBB409_813:
	s_mov_b32 s36, -1
                                        ; implicit-def: $vgpr0
                                        ; implicit-def: $vgpr1
	s_branch .LBB409_818
.LBB409_814:
	v_dual_mov_b32 v2, v4 :: v_dual_mov_b32 v1, 0
.LBB409_815:
	s_and_b32 s44, s44, 3
	s_delay_alu instid0(SALU_CYCLE_1)
	s_cmp_eq_u32 s44, 0
	s_cbranch_scc1 .LBB409_818
; %bb.816:
	s_lshl_b32 s2, s35, 3
	s_mul_i32 s20, s35, 12
	s_add_u32 s2, s2, s16
	s_addc_u32 s3, s17, 0
	s_add_u32 s2, s2, 0xc4
	s_addc_u32 s3, s3, 0
	s_add_u32 s20, s16, s20
	s_addc_u32 s21, s17, 0
.LBB409_817:                            ; =>This Inner Loop Header: Depth=1
	s_clause 0x1
	s_load_b64 s[46:47], s[20:21], 0x4
	s_load_b32 s35, s[20:21], 0xc
	s_load_b64 s[48:49], s[2:3], 0x0
	s_add_u32 s20, s20, 12
	s_addc_u32 s21, s21, 0
	s_add_u32 s2, s2, 8
	s_addc_u32 s3, s3, 0
	s_add_i32 s44, s44, -1
	s_delay_alu instid0(SALU_CYCLE_1) | instskip(SKIP_2) | instid1(VALU_DEP_1)
	s_cmp_lg_u32 s44, 0
	s_waitcnt lgkmcnt(0)
	v_mul_hi_u32 v3, s47, v2
	v_add_nc_u32_e32 v3, v2, v3
	s_delay_alu instid0(VALU_DEP_1) | instskip(SKIP_1) | instid1(VALU_DEP_1)
	v_lshrrev_b32_e32 v3, s35, v3
	s_waitcnt vmcnt(0)
	v_mul_lo_u32 v5, v3, s46
	s_delay_alu instid0(VALU_DEP_1) | instskip(NEXT) | instid1(VALU_DEP_1)
	v_sub_nc_u32_e32 v2, v2, v5
	v_mad_u64_u32 v[5:6], null, v2, s48, v[0:1]
	v_mad_u64_u32 v[6:7], null, v2, s49, v[1:2]
	v_mov_b32_e32 v2, v3
	s_delay_alu instid0(VALU_DEP_2)
	v_dual_mov_b32 v0, v5 :: v_dual_mov_b32 v1, v6
	s_cbranch_scc1 .LBB409_817
.LBB409_818:
	s_and_not1_b32 vcc_lo, exec_lo, s36
	s_cbranch_vccnz .LBB409_821
; %bb.819:
	v_mul_hi_u32 v0, s9, v4
	s_and_not1_b32 vcc_lo, exec_lo, s33
	s_delay_alu instid0(VALU_DEP_1) | instskip(NEXT) | instid1(VALU_DEP_1)
	v_add_nc_u32_e32 v0, v4, v0
	v_lshrrev_b32_e32 v2, s10, v0
	s_delay_alu instid0(VALU_DEP_1) | instskip(NEXT) | instid1(VALU_DEP_1)
	v_mul_lo_u32 v0, v2, s8
	v_sub_nc_u32_e32 v1, v4, v0
	s_delay_alu instid0(VALU_DEP_1)
	v_mul_lo_u32 v0, v1, s12
	v_mul_lo_u32 v1, v1, s13
	s_cbranch_vccnz .LBB409_821
; %bb.820:
	v_mul_hi_u32 v3, s18, v2
	s_delay_alu instid0(VALU_DEP_1) | instskip(NEXT) | instid1(VALU_DEP_1)
	v_add_nc_u32_e32 v3, v2, v3
	v_lshrrev_b32_e32 v3, s19, v3
	s_delay_alu instid0(VALU_DEP_1) | instskip(SKIP_1) | instid1(VALU_DEP_1)
	v_mul_lo_u32 v3, v3, s11
	s_waitcnt vmcnt(0)
	v_sub_nc_u32_e32 v5, v2, v3
	s_delay_alu instid0(VALU_DEP_1) | instskip(NEXT) | instid1(VALU_DEP_1)
	v_mad_u64_u32 v[2:3], null, v5, s14, v[0:1]
	v_mad_u64_u32 v[3:4], null, v5, s15, v[1:2]
	s_delay_alu instid0(VALU_DEP_1)
	v_dual_mov_b32 v0, v2 :: v_dual_mov_b32 v1, v3
.LBB409_821:
	v_cmp_lt_i16_e64 s2, s31, 11
	s_delay_alu instid0(VALU_DEP_2) | instskip(NEXT) | instid1(VALU_DEP_1)
	v_add_co_u32 v1, s3, s6, v1
	v_add_co_ci_u32_e64 v2, null, s7, 0, s3
	s_delay_alu instid0(VALU_DEP_3)
	s_and_b32 vcc_lo, exec_lo, s2
	s_mov_b32 s6, 0
	s_cbranch_vccnz .LBB409_828
; %bb.822:
	v_cmp_gt_i16_e64 s2, s31, 25
	s_mov_b32 s3, 0
	s_delay_alu instid0(VALU_DEP_1)
	s_and_b32 vcc_lo, exec_lo, s2
	s_cbranch_vccz .LBB409_829
; %bb.823:
	v_cmp_gt_i16_e64 s2, s31, 28
	s_delay_alu instid0(VALU_DEP_1)
	s_and_b32 vcc_lo, exec_lo, s2
	s_cbranch_vccz .LBB409_830
; %bb.824:
	v_cmp_gt_i16_e64 s2, s31, 43
	;; [unrolled: 5-line block ×3, first 2 shown]
	s_delay_alu instid0(VALU_DEP_1)
	s_and_b32 vcc_lo, exec_lo, s2
	s_cbranch_vccz .LBB409_834
; %bb.826:
	v_cmp_eq_u16_e64 s2, s31, 46
	s_mov_b32 s7, 0
	s_delay_alu instid0(VALU_DEP_1)
	s_and_b32 vcc_lo, exec_lo, s2
	s_cbranch_vccz .LBB409_837
; %bb.827:
	global_load_b32 v3, v[1:2], off
	s_mov_b32 s2, 0
	s_mov_b32 s6, -1
	s_waitcnt vmcnt(0)
	v_lshlrev_b32_e32 v3, 16, v3
	s_delay_alu instid0(VALU_DEP_1)
	v_cvt_f16_f32_e32 v5, v3
	s_branch .LBB409_839
.LBB409_828:
	s_mov_b32 s7, -1
	s_mov_b32 s3, 0
	s_mov_b32 s2, s22
                                        ; implicit-def: $vgpr5
	s_branch .LBB409_902
.LBB409_829:
	s_mov_b32 s7, -1
	s_mov_b32 s2, s22
                                        ; implicit-def: $vgpr5
	s_branch .LBB409_868
.LBB409_830:
	s_mov_b32 s7, -1
	s_mov_b32 s2, s22
                                        ; implicit-def: $vgpr5
	s_branch .LBB409_849
.LBB409_831:
	s_mov_b32 s7, -1
	s_mov_b32 s2, s22
                                        ; implicit-def: $vgpr5
	s_branch .LBB409_844
.LBB409_832:
	s_or_saveexec_b32 s44, s44
                                        ; implicit-def: $sgpr45
	s_delay_alu instid0(SALU_CYCLE_1)
	s_xor_b32 exec_lo, exec_lo, s44
	s_cbranch_execz .LBB409_755
.LBB409_833:
	v_add_f32_e64 v6, 0x46000000, |v5|
	s_and_not1_b32 s23, s23, exec_lo
	s_mov_b32 s45, 0
	s_delay_alu instid0(VALU_DEP_1) | instskip(NEXT) | instid1(VALU_DEP_1)
	v_and_b32_e32 v6, 0xff, v6
	v_cmp_ne_u32_e32 vcc_lo, 0, v6
	s_and_b32 s46, vcc_lo, exec_lo
	s_delay_alu instid0(SALU_CYCLE_1)
	s_or_b32 s23, s23, s46
	s_or_b32 exec_lo, exec_lo, s44
	v_mov_b32_e32 v7, s45
	s_and_saveexec_b32 s44, s23
	s_cbranch_execnz .LBB409_756
	s_branch .LBB409_757
.LBB409_834:
	s_mov_b32 s7, -1
	s_mov_b32 s2, s22
	s_branch .LBB409_838
.LBB409_835:
	s_or_saveexec_b32 s44, s44
                                        ; implicit-def: $sgpr45
	s_delay_alu instid0(SALU_CYCLE_1)
	s_xor_b32 exec_lo, exec_lo, s44
	s_cbranch_execz .LBB409_768
.LBB409_836:
	v_add_f32_e64 v6, 0x42800000, |v5|
	s_and_not1_b32 s23, s23, exec_lo
	s_mov_b32 s45, 0
	s_delay_alu instid0(VALU_DEP_1) | instskip(NEXT) | instid1(VALU_DEP_1)
	v_and_b32_e32 v6, 0xff, v6
	v_cmp_ne_u32_e32 vcc_lo, 0, v6
	s_and_b32 s46, vcc_lo, exec_lo
	s_delay_alu instid0(SALU_CYCLE_1)
	s_or_b32 s23, s23, s46
	s_or_b32 exec_lo, exec_lo, s44
	v_mov_b32_e32 v7, s45
	s_and_saveexec_b32 s44, s23
	s_cbranch_execnz .LBB409_769
	s_branch .LBB409_770
.LBB409_837:
	s_mov_b32 s2, -1
.LBB409_838:
                                        ; implicit-def: $vgpr5
.LBB409_839:
	s_and_b32 vcc_lo, exec_lo, s7
	s_cbranch_vccz .LBB409_843
; %bb.840:
	v_cmp_eq_u16_e64 s2, s31, 44
	s_delay_alu instid0(VALU_DEP_1)
	s_and_b32 vcc_lo, exec_lo, s2
	s_cbranch_vccz .LBB409_842
; %bb.841:
	global_load_u8 v3, v[1:2], off
	s_mov_b32 s2, 0
	s_mov_b32 s6, -1
	s_waitcnt vmcnt(0)
	v_lshlrev_b32_e32 v4, 23, v3
	v_cmp_ne_u32_e32 vcc_lo, 0xff, v3
	s_delay_alu instid0(VALU_DEP_2) | instskip(NEXT) | instid1(VALU_DEP_1)
	v_cvt_f16_f32_e32 v4, v4
	v_cndmask_b32_e32 v4, 0x7e00, v4, vcc_lo
	v_cmp_ne_u32_e32 vcc_lo, 0, v3
	s_delay_alu instid0(VALU_DEP_2)
	v_cndmask_b32_e32 v5, 0, v4, vcc_lo
	s_branch .LBB409_843
.LBB409_842:
	s_mov_b32 s2, -1
                                        ; implicit-def: $vgpr5
.LBB409_843:
	s_mov_b32 s7, 0
.LBB409_844:
	s_delay_alu instid0(SALU_CYCLE_1)
	s_and_b32 vcc_lo, exec_lo, s7
	s_cbranch_vccz .LBB409_848
; %bb.845:
	v_cmp_eq_u16_e64 s2, s31, 29
	s_delay_alu instid0(VALU_DEP_1)
	s_and_b32 vcc_lo, exec_lo, s2
	s_cbranch_vccz .LBB409_847
; %bb.846:
	global_load_b64 v[3:4], v[1:2], off
	s_mov_b32 s2, 0
	s_mov_b32 s6, -1
	s_mov_b32 s7, 0
	s_waitcnt vmcnt(0)
	v_clz_i32_u32_e32 v5, v4
	s_delay_alu instid0(VALU_DEP_1) | instskip(NEXT) | instid1(VALU_DEP_1)
	v_min_u32_e32 v5, 32, v5
	v_lshlrev_b64 v[3:4], v5, v[3:4]
	s_delay_alu instid0(VALU_DEP_1) | instskip(NEXT) | instid1(VALU_DEP_1)
	v_min_u32_e32 v3, 1, v3
	v_or_b32_e32 v3, v4, v3
	v_sub_nc_u32_e32 v4, 32, v5
	s_delay_alu instid0(VALU_DEP_2) | instskip(NEXT) | instid1(VALU_DEP_1)
	v_cvt_f32_u32_e32 v3, v3
	v_ldexp_f32 v3, v3, v4
	s_delay_alu instid0(VALU_DEP_1)
	v_cvt_f16_f32_e32 v5, v3
	s_branch .LBB409_849
.LBB409_847:
	s_mov_b32 s2, -1
                                        ; implicit-def: $vgpr5
.LBB409_848:
	s_mov_b32 s7, 0
.LBB409_849:
	s_delay_alu instid0(SALU_CYCLE_1)
	s_and_b32 vcc_lo, exec_lo, s7
	s_cbranch_vccz .LBB409_867
; %bb.850:
	v_cmp_lt_i16_e64 s6, s31, 27
	s_delay_alu instid0(VALU_DEP_1)
	s_and_b32 vcc_lo, exec_lo, s6
	s_cbranch_vccnz .LBB409_853
; %bb.851:
	v_cmp_gt_i16_e64 s6, s31, 27
	s_delay_alu instid0(VALU_DEP_1)
	s_and_b32 vcc_lo, exec_lo, s6
	s_cbranch_vccz .LBB409_854
; %bb.852:
	global_load_b32 v3, v[1:2], off
	s_mov_b32 s6, 0
	s_waitcnt vmcnt(0)
	v_cvt_f32_u32_e32 v3, v3
	s_delay_alu instid0(VALU_DEP_1)
	v_cvt_f16_f32_e32 v5, v3
	s_branch .LBB409_855
.LBB409_853:
	s_mov_b32 s6, -1
                                        ; implicit-def: $vgpr5
	s_branch .LBB409_858
.LBB409_854:
	s_mov_b32 s6, -1
                                        ; implicit-def: $vgpr5
.LBB409_855:
	s_delay_alu instid0(SALU_CYCLE_1)
	s_and_not1_b32 vcc_lo, exec_lo, s6
	s_cbranch_vccnz .LBB409_857
; %bb.856:
	global_load_u16 v3, v[1:2], off
	s_waitcnt vmcnt(0)
	v_cvt_f16_u16_e32 v5, v3
.LBB409_857:
	s_mov_b32 s6, 0
.LBB409_858:
	s_delay_alu instid0(SALU_CYCLE_1)
	s_and_not1_b32 vcc_lo, exec_lo, s6
	s_cbranch_vccnz .LBB409_866
; %bb.859:
	global_load_u8 v3, v[1:2], off
	s_mov_b32 s6, 0
	s_mov_b32 s8, exec_lo
                                        ; implicit-def: $sgpr7
	s_waitcnt vmcnt(0)
	v_cmpx_lt_i16_e32 0x7f, v3
	s_xor_b32 s8, exec_lo, s8
	s_cbranch_execz .LBB409_880
; %bb.860:
	s_mov_b32 s6, -1
	s_mov_b32 s9, exec_lo
                                        ; implicit-def: $sgpr7
	v_cmpx_eq_u16_e32 0x80, v3
; %bb.861:
	s_movk_i32 s7, 0x7e00
	s_xor_b32 s6, exec_lo, -1
; %bb.862:
	s_or_b32 exec_lo, exec_lo, s9
	s_delay_alu instid0(SALU_CYCLE_1)
	s_and_b32 s6, s6, exec_lo
	s_or_saveexec_b32 s8, s8
	v_mov_b32_e32 v5, s7
	s_xor_b32 exec_lo, exec_lo, s8
	s_cbranch_execnz .LBB409_881
.LBB409_863:
	s_or_b32 exec_lo, exec_lo, s8
	s_and_saveexec_b32 s7, s6
	s_cbranch_execz .LBB409_865
.LBB409_864:
	v_and_b32_e32 v4, 0xffff, v3
	v_lshlrev_b32_e32 v3, 24, v3
	s_delay_alu instid0(VALU_DEP_2) | instskip(NEXT) | instid1(VALU_DEP_2)
	v_and_b32_e32 v5, 7, v4
	v_and_b32_e32 v3, 0x80000000, v3
	s_delay_alu instid0(VALU_DEP_2) | instskip(NEXT) | instid1(VALU_DEP_1)
	v_clz_i32_u32_e32 v6, v5
	v_min_u32_e32 v6, 32, v6
	s_delay_alu instid0(VALU_DEP_1) | instskip(SKIP_1) | instid1(VALU_DEP_2)
	v_subrev_nc_u32_e32 v7, 28, v6
	v_sub_nc_u32_e32 v6, 29, v6
	v_lshlrev_b32_e32 v7, v7, v4
	v_bfe_u32 v4, v4, 3, 4
	s_delay_alu instid0(VALU_DEP_2) | instskip(NEXT) | instid1(VALU_DEP_2)
	v_and_b32_e32 v7, 7, v7
	v_cmp_eq_u32_e32 vcc_lo, 0, v4
	s_delay_alu instid0(VALU_DEP_2) | instskip(NEXT) | instid1(VALU_DEP_1)
	v_dual_cndmask_b32 v4, v4, v6 :: v_dual_cndmask_b32 v5, v5, v7
	v_lshl_add_u32 v4, v4, 23, 0x3b800000
	s_delay_alu instid0(VALU_DEP_2) | instskip(NEXT) | instid1(VALU_DEP_1)
	v_lshlrev_b32_e32 v5, 20, v5
	v_or3_b32 v3, v3, v4, v5
	s_delay_alu instid0(VALU_DEP_1)
	v_cvt_f16_f32_e32 v5, v3
.LBB409_865:
	s_or_b32 exec_lo, exec_lo, s7
.LBB409_866:
	s_mov_b32 s6, -1
.LBB409_867:
	s_mov_b32 s7, 0
.LBB409_868:
	s_delay_alu instid0(SALU_CYCLE_1)
	s_and_b32 vcc_lo, exec_lo, s7
	s_cbranch_vccz .LBB409_901
; %bb.869:
	v_cmp_gt_i16_e64 s3, s31, 22
	s_delay_alu instid0(VALU_DEP_1)
	s_and_b32 vcc_lo, exec_lo, s3
	s_cbranch_vccz .LBB409_879
; %bb.870:
	v_cmp_lt_i16_e64 s3, s31, 24
	s_delay_alu instid0(VALU_DEP_1)
	s_and_b32 vcc_lo, exec_lo, s3
	s_cbranch_vccnz .LBB409_882
; %bb.871:
	v_cmp_gt_i16_e64 s3, s31, 24
	s_delay_alu instid0(VALU_DEP_1)
	s_and_b32 vcc_lo, exec_lo, s3
	s_cbranch_vccz .LBB409_883
; %bb.872:
	global_load_u8 v3, v[1:2], off
	s_mov_b32 s3, 0
	s_mov_b32 s7, exec_lo
                                        ; implicit-def: $sgpr6
	s_waitcnt vmcnt(0)
	v_cmpx_lt_i16_e32 0x7f, v3
	s_xor_b32 s7, exec_lo, s7
	s_cbranch_execz .LBB409_895
; %bb.873:
	s_mov_b32 s3, -1
	s_mov_b32 s8, exec_lo
                                        ; implicit-def: $sgpr6
	v_cmpx_eq_u16_e32 0x80, v3
; %bb.874:
	s_movk_i32 s6, 0x7e00
	s_xor_b32 s3, exec_lo, -1
; %bb.875:
	s_or_b32 exec_lo, exec_lo, s8
	s_delay_alu instid0(SALU_CYCLE_1)
	s_and_b32 s3, s3, exec_lo
	s_or_saveexec_b32 s7, s7
	v_mov_b32_e32 v5, s6
	s_xor_b32 exec_lo, exec_lo, s7
	s_cbranch_execnz .LBB409_896
.LBB409_876:
	s_or_b32 exec_lo, exec_lo, s7
	s_and_saveexec_b32 s6, s3
	s_cbranch_execz .LBB409_878
.LBB409_877:
	v_and_b32_e32 v4, 0xffff, v3
	v_lshlrev_b32_e32 v3, 24, v3
	s_delay_alu instid0(VALU_DEP_2) | instskip(NEXT) | instid1(VALU_DEP_2)
	v_and_b32_e32 v5, 3, v4
	v_and_b32_e32 v3, 0x80000000, v3
	s_delay_alu instid0(VALU_DEP_2) | instskip(NEXT) | instid1(VALU_DEP_1)
	v_clz_i32_u32_e32 v6, v5
	v_min_u32_e32 v6, 32, v6
	s_delay_alu instid0(VALU_DEP_1) | instskip(SKIP_1) | instid1(VALU_DEP_2)
	v_subrev_nc_u32_e32 v7, 29, v6
	v_sub_nc_u32_e32 v6, 30, v6
	v_lshlrev_b32_e32 v7, v7, v4
	v_bfe_u32 v4, v4, 2, 5
	s_delay_alu instid0(VALU_DEP_2) | instskip(NEXT) | instid1(VALU_DEP_2)
	v_and_b32_e32 v7, 3, v7
	v_cmp_eq_u32_e32 vcc_lo, 0, v4
	s_delay_alu instid0(VALU_DEP_2) | instskip(NEXT) | instid1(VALU_DEP_1)
	v_dual_cndmask_b32 v4, v4, v6 :: v_dual_cndmask_b32 v5, v5, v7
	v_lshl_add_u32 v4, v4, 23, 0x37800000
	s_delay_alu instid0(VALU_DEP_2) | instskip(NEXT) | instid1(VALU_DEP_1)
	v_lshlrev_b32_e32 v5, 21, v5
	v_or3_b32 v3, v3, v4, v5
	s_delay_alu instid0(VALU_DEP_1)
	v_cvt_f16_f32_e32 v5, v3
.LBB409_878:
	s_or_b32 exec_lo, exec_lo, s6
	s_mov_b32 s3, 0
	s_branch .LBB409_884
.LBB409_879:
	s_mov_b32 s3, -1
                                        ; implicit-def: $vgpr5
	s_branch .LBB409_890
.LBB409_880:
	s_or_saveexec_b32 s8, s8
	v_mov_b32_e32 v5, s7
	s_xor_b32 exec_lo, exec_lo, s8
	s_cbranch_execz .LBB409_863
.LBB409_881:
	v_cmp_ne_u16_e32 vcc_lo, 0, v3
	v_mov_b32_e32 v5, v3
	s_and_not1_b32 s6, s6, exec_lo
	s_and_b32 s7, vcc_lo, exec_lo
	s_delay_alu instid0(SALU_CYCLE_1)
	s_or_b32 s6, s6, s7
	s_or_b32 exec_lo, exec_lo, s8
	s_and_saveexec_b32 s7, s6
	s_cbranch_execnz .LBB409_864
	s_branch .LBB409_865
.LBB409_882:
	s_mov_b32 s3, -1
                                        ; implicit-def: $vgpr5
	s_branch .LBB409_887
.LBB409_883:
	s_mov_b32 s3, -1
                                        ; implicit-def: $vgpr5
.LBB409_884:
	s_delay_alu instid0(SALU_CYCLE_1)
	s_and_b32 vcc_lo, exec_lo, s3
	s_cbranch_vccz .LBB409_886
; %bb.885:
	global_load_u8 v3, v[1:2], off
	s_waitcnt vmcnt(0)
	v_lshlrev_b32_e32 v3, 24, v3
	s_delay_alu instid0(VALU_DEP_1) | instskip(NEXT) | instid1(VALU_DEP_1)
	v_and_b32_e32 v4, 0x7f000000, v3
	v_clz_i32_u32_e32 v5, v4
	v_add_nc_u32_e32 v7, 0x1000000, v4
	v_cmp_ne_u32_e32 vcc_lo, 0, v4
	s_delay_alu instid0(VALU_DEP_3) | instskip(NEXT) | instid1(VALU_DEP_1)
	v_min_u32_e32 v5, 32, v5
	v_sub_nc_u32_e64 v5, v5, 4 clamp
	s_delay_alu instid0(VALU_DEP_1) | instskip(SKIP_1) | instid1(VALU_DEP_2)
	v_lshlrev_b32_e32 v6, v5, v4
	v_lshlrev_b32_e32 v5, 23, v5
	v_lshrrev_b32_e32 v6, 4, v6
	s_delay_alu instid0(VALU_DEP_1) | instskip(SKIP_1) | instid1(VALU_DEP_2)
	v_sub_nc_u32_e32 v5, v6, v5
	v_ashrrev_i32_e32 v6, 8, v7
	v_add_nc_u32_e32 v5, 0x3c000000, v5
	s_delay_alu instid0(VALU_DEP_1) | instskip(NEXT) | instid1(VALU_DEP_1)
	v_and_or_b32 v5, 0x7f800000, v6, v5
	v_cndmask_b32_e32 v4, 0, v5, vcc_lo
	s_delay_alu instid0(VALU_DEP_1) | instskip(NEXT) | instid1(VALU_DEP_1)
	v_and_or_b32 v3, 0x80000000, v3, v4
	v_cvt_f16_f32_e32 v5, v3
.LBB409_886:
	s_mov_b32 s3, 0
.LBB409_887:
	s_delay_alu instid0(SALU_CYCLE_1)
	s_and_not1_b32 vcc_lo, exec_lo, s3
	s_cbranch_vccnz .LBB409_889
; %bb.888:
	global_load_u8 v3, v[1:2], off
	s_waitcnt vmcnt(0)
	v_lshlrev_b32_e32 v4, 25, v3
	v_lshlrev_b16 v3, 8, v3
	s_delay_alu instid0(VALU_DEP_2) | instskip(NEXT) | instid1(VALU_DEP_2)
	v_lshrrev_b32_e32 v5, 4, v4
	v_and_or_b32 v6, 0x7f00, v3, 0.5
	v_bfe_i32 v3, v3, 0, 16
	s_delay_alu instid0(VALU_DEP_3) | instskip(NEXT) | instid1(VALU_DEP_1)
	v_or_b32_e32 v5, 0x70000000, v5
	v_dual_add_f32 v6, -0.5, v6 :: v_dual_mul_f32 v5, 0x7800000, v5
	v_cmp_gt_u32_e32 vcc_lo, 0x8000000, v4
	s_delay_alu instid0(VALU_DEP_2) | instskip(NEXT) | instid1(VALU_DEP_1)
	v_cndmask_b32_e32 v4, v5, v6, vcc_lo
	v_and_or_b32 v3, 0x80000000, v3, v4
	s_delay_alu instid0(VALU_DEP_1)
	v_cvt_f16_f32_e32 v5, v3
.LBB409_889:
	s_mov_b32 s3, 0
	s_mov_b32 s6, -1
.LBB409_890:
	s_and_not1_b32 vcc_lo, exec_lo, s3
	s_mov_b32 s3, 0
	s_cbranch_vccnz .LBB409_901
; %bb.891:
	v_cmp_gt_i16_e64 s3, s31, 14
	s_delay_alu instid0(VALU_DEP_1)
	s_and_b32 vcc_lo, exec_lo, s3
	s_cbranch_vccz .LBB409_894
; %bb.892:
	v_cmp_eq_u16_e64 s2, s31, 15
	s_delay_alu instid0(VALU_DEP_1)
	s_and_b32 vcc_lo, exec_lo, s2
	s_cbranch_vccz .LBB409_897
; %bb.893:
	global_load_u16 v3, v[1:2], off
	s_mov_b32 s2, 0
	s_mov_b32 s6, -1
	s_waitcnt vmcnt(0)
	v_lshlrev_b32_e32 v3, 16, v3
	s_delay_alu instid0(VALU_DEP_1)
	v_cvt_f16_f32_e32 v5, v3
	s_branch .LBB409_898
.LBB409_894:
	s_mov_b32 s3, -1
                                        ; implicit-def: $vgpr5
	s_branch .LBB409_899
.LBB409_895:
	s_or_saveexec_b32 s7, s7
	v_mov_b32_e32 v5, s6
	s_xor_b32 exec_lo, exec_lo, s7
	s_cbranch_execz .LBB409_876
.LBB409_896:
	v_cmp_ne_u16_e32 vcc_lo, 0, v3
	v_mov_b32_e32 v5, v3
	s_and_not1_b32 s3, s3, exec_lo
	s_and_b32 s6, vcc_lo, exec_lo
	s_delay_alu instid0(SALU_CYCLE_1)
	s_or_b32 s3, s3, s6
	s_or_b32 exec_lo, exec_lo, s7
	s_and_saveexec_b32 s6, s3
	s_cbranch_execnz .LBB409_877
	s_branch .LBB409_878
.LBB409_897:
	s_mov_b32 s2, -1
                                        ; implicit-def: $vgpr5
.LBB409_898:
	s_mov_b32 s3, 0
.LBB409_899:
	s_delay_alu instid0(SALU_CYCLE_1)
	s_and_b32 vcc_lo, exec_lo, s3
	s_mov_b32 s3, 0
	s_cbranch_vccz .LBB409_901
; %bb.900:
	v_cmp_ne_u16_e64 s3, s31, 11
	s_and_not1_b32 s2, s2, exec_lo
                                        ; implicit-def: $vgpr5
	s_delay_alu instid0(VALU_DEP_1)
	s_and_b32 s7, s3, exec_lo
	s_mov_b32 s3, -1
	s_or_b32 s2, s2, s7
.LBB409_901:
	s_mov_b32 s7, 0
.LBB409_902:
	s_and_b32 s44, s6, exec_lo
	s_and_b32 s45, s7, exec_lo
	s_and_not1_b32 s6, s22, exec_lo
	s_and_b32 s7, s2, exec_lo
	s_and_b32 s2, s3, exec_lo
	s_or_b32 s46, s6, s7
.LBB409_903:
	s_or_b32 exec_lo, exec_lo, s34
	s_delay_alu instid0(SALU_CYCLE_1)
	s_and_not1_b32 s6, s22, exec_lo
	s_and_b32 s7, s46, exec_lo
	s_and_b32 s44, s44, exec_lo
	;; [unrolled: 1-line block ×4, first 2 shown]
	s_or_b32 s22, s6, s7
.LBB409_904:
	s_or_b32 exec_lo, exec_lo, s43
	s_delay_alu instid0(SALU_CYCLE_1)
	s_and_not1_b32 s6, s41, exec_lo
	s_and_b32 s7, s23, exec_lo
	s_and_b32 s43, s44, exec_lo
	s_or_b32 s41, s6, s7
	s_and_not1_b32 s6, s40, exec_lo
	s_and_b32 s7, s22, exec_lo
	s_and_b32 s23, s3, exec_lo
	;; [unrolled: 1-line block ×3, first 2 shown]
	s_or_b32 s40, s6, s7
.LBB409_905:
	s_or_b32 exec_lo, exec_lo, s42
	s_delay_alu instid0(SALU_CYCLE_1)
	s_and_not1_b32 s2, s37, exec_lo
	s_and_b32 s6, s41, exec_lo
	s_and_b32 s7, s40, exec_lo
	s_or_b32 s37, s2, s6
	s_and_not1_b32 s6, s38, exec_lo
	s_and_b32 s2, s43, exec_lo
	s_and_b32 s22, s23, exec_lo
	;; [unrolled: 1-line block ×3, first 2 shown]
	s_or_b32 s38, s6, s7
.LBB409_906:
	s_or_b32 exec_lo, exec_lo, s39
	s_mov_b32 s3, 0
	s_and_saveexec_b32 s6, s38
	s_cbranch_execnz .LBB409_918
; %bb.907:
	s_or_b32 exec_lo, exec_lo, s6
	s_and_saveexec_b32 s6, s40
	s_delay_alu instid0(SALU_CYCLE_1)
	s_xor_b32 s6, exec_lo, s6
	s_cbranch_execz .LBB409_909
.LBB409_908:
	global_load_u8 v3, v[1:2], off
	s_or_b32 s2, s2, exec_lo
	s_waitcnt vmcnt(0)
	v_cmp_ne_u16_e32 vcc_lo, 0, v3
	v_cndmask_b32_e64 v5, 0, 0x3c00, vcc_lo
.LBB409_909:
	s_or_b32 exec_lo, exec_lo, s6
	s_and_saveexec_b32 s6, s22
	s_cbranch_execz .LBB409_957
; %bb.910:
	v_cmp_lt_i16_e64 s7, s31, 5
	s_delay_alu instid0(VALU_DEP_1)
	s_and_b32 vcc_lo, exec_lo, s7
	s_cbranch_vccnz .LBB409_915
; %bb.911:
	v_cmp_lt_i16_e64 s7, s31, 8
	s_delay_alu instid0(VALU_DEP_1)
	s_and_b32 vcc_lo, exec_lo, s7
	s_cbranch_vccnz .LBB409_916
; %bb.912:
	v_cmp_lt_i16_e64 s7, s31, 9
	s_delay_alu instid0(VALU_DEP_1)
	s_and_b32 vcc_lo, exec_lo, s7
	s_cbranch_vccnz .LBB409_917
; %bb.913:
	v_cmp_gt_i16_e64 s7, s31, 9
	s_delay_alu instid0(VALU_DEP_1)
	s_and_b32 vcc_lo, exec_lo, s7
	s_cbranch_vccz .LBB409_920
; %bb.914:
	global_load_b64 v[3:4], v[1:2], off
	s_mov_b32 s7, 0
	s_waitcnt vmcnt(0)
	v_cvt_f32_f64_e32 v3, v[3:4]
	s_delay_alu instid0(VALU_DEP_1)
	v_cvt_f16_f32_e32 v5, v3
	s_branch .LBB409_921
.LBB409_915:
                                        ; implicit-def: $vgpr5
	s_branch .LBB409_938
.LBB409_916:
                                        ; implicit-def: $vgpr5
	s_branch .LBB409_927
.LBB409_917:
	s_mov_b32 s7, -1
                                        ; implicit-def: $vgpr5
	s_branch .LBB409_924
.LBB409_918:
	s_cbranch_execnz .LBB409_1188
; %bb.919:
	s_mov_b32 s3, exec_lo
	s_and_not1_b32 s40, s40, exec_lo
                                        ; implicit-def: $vgpr5
	s_or_b32 exec_lo, exec_lo, s6
	s_and_saveexec_b32 s6, s40
	s_delay_alu instid0(SALU_CYCLE_1)
	s_xor_b32 s6, exec_lo, s6
	s_cbranch_execnz .LBB409_908
	s_branch .LBB409_909
.LBB409_920:
	s_mov_b32 s7, -1
                                        ; implicit-def: $vgpr5
.LBB409_921:
	s_delay_alu instid0(SALU_CYCLE_1)
	s_and_not1_b32 vcc_lo, exec_lo, s7
	s_cbranch_vccnz .LBB409_923
; %bb.922:
	global_load_b32 v3, v[1:2], off
	s_waitcnt vmcnt(0)
	v_cvt_f16_f32_e32 v5, v3
.LBB409_923:
	s_mov_b32 s7, 0
.LBB409_924:
	s_delay_alu instid0(SALU_CYCLE_1)
	s_and_not1_b32 vcc_lo, exec_lo, s7
	s_cbranch_vccnz .LBB409_926
; %bb.925:
	global_load_b32 v5, v[1:2], off
.LBB409_926:
	s_cbranch_execnz .LBB409_937
.LBB409_927:
	v_cmp_lt_i16_e64 s7, s31, 6
	s_delay_alu instid0(VALU_DEP_1)
	s_and_b32 vcc_lo, exec_lo, s7
	s_cbranch_vccnz .LBB409_930
; %bb.928:
	v_cmp_gt_i16_e64 s7, s31, 6
	s_delay_alu instid0(VALU_DEP_1)
	s_and_b32 vcc_lo, exec_lo, s7
	s_cbranch_vccz .LBB409_931
; %bb.929:
	global_load_b64 v[3:4], v[1:2], off
	s_mov_b32 s7, 0
	s_waitcnt vmcnt(0)
	v_cvt_f32_f64_e32 v3, v[3:4]
	s_delay_alu instid0(VALU_DEP_1)
	v_cvt_f16_f32_e32 v5, v3
	s_branch .LBB409_932
.LBB409_930:
	s_mov_b32 s7, -1
                                        ; implicit-def: $vgpr5
	s_branch .LBB409_935
.LBB409_931:
	s_mov_b32 s7, -1
                                        ; implicit-def: $vgpr5
.LBB409_932:
	s_delay_alu instid0(SALU_CYCLE_1)
	s_and_not1_b32 vcc_lo, exec_lo, s7
	s_cbranch_vccnz .LBB409_934
; %bb.933:
	global_load_b32 v3, v[1:2], off
	s_waitcnt vmcnt(0)
	v_cvt_f16_f32_e32 v5, v3
.LBB409_934:
	s_mov_b32 s7, 0
.LBB409_935:
	s_delay_alu instid0(SALU_CYCLE_1)
	s_and_not1_b32 vcc_lo, exec_lo, s7
	s_cbranch_vccnz .LBB409_937
; %bb.936:
	global_load_u16 v5, v[1:2], off
.LBB409_937:
	s_cbranch_execnz .LBB409_956
.LBB409_938:
	v_cmp_lt_i16_e64 s7, s31, 2
	s_delay_alu instid0(VALU_DEP_1)
	s_and_b32 vcc_lo, exec_lo, s7
	s_cbranch_vccnz .LBB409_942
; %bb.939:
	v_cmp_lt_i16_e64 s7, s31, 3
	s_delay_alu instid0(VALU_DEP_1)
	s_and_b32 vcc_lo, exec_lo, s7
	s_cbranch_vccnz .LBB409_943
; %bb.940:
	v_cmp_gt_i16_e64 s7, s31, 3
	s_delay_alu instid0(VALU_DEP_1)
	s_and_b32 vcc_lo, exec_lo, s7
	s_cbranch_vccz .LBB409_944
; %bb.941:
	global_load_b64 v[3:4], v[1:2], off
	s_mov_b32 s7, 0
	s_waitcnt vmcnt(0)
	v_xor_b32_e32 v5, v3, v4
	v_cls_i32_e32 v6, v4
	s_delay_alu instid0(VALU_DEP_2) | instskip(NEXT) | instid1(VALU_DEP_2)
	v_ashrrev_i32_e32 v5, 31, v5
	v_add_nc_u32_e32 v6, -1, v6
	s_delay_alu instid0(VALU_DEP_2) | instskip(NEXT) | instid1(VALU_DEP_1)
	v_add_nc_u32_e32 v5, 32, v5
	v_min_u32_e32 v5, v6, v5
	s_delay_alu instid0(VALU_DEP_1) | instskip(NEXT) | instid1(VALU_DEP_1)
	v_lshlrev_b64 v[3:4], v5, v[3:4]
	v_min_u32_e32 v3, 1, v3
	s_delay_alu instid0(VALU_DEP_1) | instskip(SKIP_1) | instid1(VALU_DEP_2)
	v_or_b32_e32 v3, v4, v3
	v_sub_nc_u32_e32 v4, 32, v5
	v_cvt_f32_i32_e32 v3, v3
	s_delay_alu instid0(VALU_DEP_1) | instskip(NEXT) | instid1(VALU_DEP_1)
	v_ldexp_f32 v3, v3, v4
	v_cvt_f16_f32_e32 v5, v3
	s_branch .LBB409_945
.LBB409_942:
                                        ; implicit-def: $vgpr5
	s_branch .LBB409_951
.LBB409_943:
	s_mov_b32 s7, -1
                                        ; implicit-def: $vgpr5
	s_branch .LBB409_948
.LBB409_944:
	s_mov_b32 s7, -1
                                        ; implicit-def: $vgpr5
.LBB409_945:
	s_delay_alu instid0(SALU_CYCLE_1)
	s_and_not1_b32 vcc_lo, exec_lo, s7
	s_cbranch_vccnz .LBB409_947
; %bb.946:
	global_load_b32 v3, v[1:2], off
	s_waitcnt vmcnt(0)
	v_cvt_f32_i32_e32 v3, v3
	s_delay_alu instid0(VALU_DEP_1)
	v_cvt_f16_f32_e32 v5, v3
.LBB409_947:
	s_mov_b32 s7, 0
.LBB409_948:
	s_delay_alu instid0(SALU_CYCLE_1)
	s_and_not1_b32 vcc_lo, exec_lo, s7
	s_cbranch_vccnz .LBB409_950
; %bb.949:
	global_load_u16 v3, v[1:2], off
	s_waitcnt vmcnt(0)
	v_cvt_f16_i16_e32 v5, v3
.LBB409_950:
	s_cbranch_execnz .LBB409_956
.LBB409_951:
	v_cmp_gt_i16_e64 s7, s31, 0
	s_delay_alu instid0(VALU_DEP_1)
	s_and_b32 vcc_lo, exec_lo, s7
	s_mov_b32 s7, 0
	s_cbranch_vccz .LBB409_953
; %bb.952:
	global_load_i8 v3, v[1:2], off
	s_waitcnt vmcnt(0)
	v_cvt_f16_i16_e32 v5, v3
	s_branch .LBB409_954
.LBB409_953:
	s_mov_b32 s7, -1
                                        ; implicit-def: $vgpr5
.LBB409_954:
	s_delay_alu instid0(SALU_CYCLE_1)
	s_and_not1_b32 vcc_lo, exec_lo, s7
	s_cbranch_vccnz .LBB409_956
; %bb.955:
	global_load_u8 v1, v[1:2], off
	s_waitcnt vmcnt(0)
	v_cvt_f16_u16_e32 v5, v1
.LBB409_956:
	s_or_b32 s2, s2, exec_lo
.LBB409_957:
	s_or_b32 exec_lo, exec_lo, s6
	s_mov_b32 s8, 0
	s_mov_b32 s7, 0
                                        ; implicit-def: $vgpr4
                                        ; implicit-def: $vgpr1_vgpr2
                                        ; implicit-def: $vgpr3
	s_and_saveexec_b32 s6, s2
	s_cbranch_execz .LBB409_1034
; %bb.958:
	s_waitcnt vmcnt(0)
	v_cmp_u_f16_e32 vcc_lo, v5, v5
	v_cmp_lt_f16_e64 s2, s29, v5
	v_and_b32_e64 v4, 0xff, s30
	s_delay_alu instid0(VALU_DEP_2) | instskip(SKIP_2) | instid1(VALU_DEP_3)
	s_or_b32 vcc_lo, vcc_lo, s2
	v_add_co_u32 v1, s2, s4, v0
	v_cndmask_b32_e32 v3, s29, v5, vcc_lo
	v_cmp_gt_i16_e32 vcc_lo, 11, v4
	v_add_co_ci_u32_e64 v2, null, s5, 0, s2
	s_mov_b32 s4, -1
	s_mov_b32 s2, s37
	s_cbranch_vccnz .LBB409_1033
; %bb.959:
	v_cmp_lt_i16_e32 vcc_lo, 25, v4
	s_mov_b32 s2, s37
	s_cbranch_vccz .LBB409_992
; %bb.960:
	v_cmp_lt_i16_e32 vcc_lo, 28, v4
	s_mov_b32 s2, s37
	s_cbranch_vccz .LBB409_976
	;; [unrolled: 4-line block ×4, first 2 shown]
; %bb.963:
	v_cmp_eq_u16_e32 vcc_lo, 46, v4
	s_mov_b32 s2, -1
	s_cbranch_vccz .LBB409_965
; %bb.964:
	v_cvt_f32_f16_e32 v0, v3
	v_cmp_o_f16_e32 vcc_lo, v3, v3
	s_mov_b32 s2, 0
	s_delay_alu instid0(VALU_DEP_2) | instskip(NEXT) | instid1(VALU_DEP_1)
	v_bfe_u32 v5, v0, 16, 1
	v_add3_u32 v0, v0, v5, 0x7fff
	s_delay_alu instid0(VALU_DEP_1) | instskip(NEXT) | instid1(VALU_DEP_1)
	v_lshrrev_b32_e32 v0, 16, v0
	v_cndmask_b32_e32 v0, 0x7fc0, v0, vcc_lo
	global_store_b32 v[1:2], v0, off
.LBB409_965:
	s_mov_b32 s4, 0
.LBB409_966:
	s_delay_alu instid0(SALU_CYCLE_1)
	s_and_b32 vcc_lo, exec_lo, s4
	s_cbranch_vccz .LBB409_971
; %bb.967:
	v_cmp_eq_u16_e32 vcc_lo, 44, v4
	s_mov_b32 s2, -1
	s_cbranch_vccz .LBB409_971
; %bb.968:
	v_cvt_f32_f16_e32 v0, v3
	v_mov_b32_e32 v5, 0xff
	s_mov_b32 s4, exec_lo
	s_delay_alu instid0(VALU_DEP_2) | instskip(NEXT) | instid1(VALU_DEP_1)
	v_bfe_u32 v6, v0, 23, 8
	v_cmpx_ne_u32_e32 0xff, v6
; %bb.969:
	v_and_b32_e32 v5, 0x400000, v0
	v_and_or_b32 v6, 0x3fffff, v0, v6
	v_lshrrev_b32_e32 v0, 23, v0
	s_delay_alu instid0(VALU_DEP_3) | instskip(NEXT) | instid1(VALU_DEP_3)
	v_cmp_ne_u32_e32 vcc_lo, 0, v5
	v_cmp_ne_u32_e64 s2, 0, v6
	s_delay_alu instid0(VALU_DEP_1) | instskip(NEXT) | instid1(SALU_CYCLE_1)
	s_and_b32 s2, vcc_lo, s2
	v_cndmask_b32_e64 v5, 0, 1, s2
	s_delay_alu instid0(VALU_DEP_1)
	v_add_nc_u32_e32 v5, v0, v5
; %bb.970:
	s_or_b32 exec_lo, exec_lo, s4
	s_mov_b32 s2, 0
	global_store_b8 v[1:2], v5, off
.LBB409_971:
	s_mov_b32 s4, 0
.LBB409_972:
	s_delay_alu instid0(SALU_CYCLE_1)
	s_and_b32 vcc_lo, exec_lo, s4
	s_cbranch_vccz .LBB409_975
; %bb.973:
	v_cmp_eq_u16_e32 vcc_lo, 29, v4
	s_mov_b32 s2, -1
	s_cbranch_vccz .LBB409_975
; %bb.974:
	v_cvt_f32_f16_e32 v0, v3
	v_mov_b32_e32 v6, 0
	s_mov_b32 s2, 0
	s_delay_alu instid0(VALU_DEP_2)
	v_cvt_u32_f32_e32 v5, v0
	global_store_b64 v[1:2], v[5:6], off
.LBB409_975:
	s_mov_b32 s4, 0
.LBB409_976:
	s_delay_alu instid0(SALU_CYCLE_1)
	s_and_b32 vcc_lo, exec_lo, s4
	s_cbranch_vccz .LBB409_991
; %bb.977:
	v_cmp_gt_i16_e32 vcc_lo, 27, v4
	s_mov_b32 s4, -1
	s_cbranch_vccnz .LBB409_983
; %bb.978:
	v_cmp_lt_i16_e32 vcc_lo, 27, v4
	s_cbranch_vccz .LBB409_980
; %bb.979:
	v_cvt_f32_f16_e32 v0, v3
	s_mov_b32 s4, 0
	s_delay_alu instid0(VALU_DEP_1)
	v_cvt_u32_f32_e32 v0, v0
	global_store_b32 v[1:2], v0, off
.LBB409_980:
	s_and_not1_b32 vcc_lo, exec_lo, s4
	s_cbranch_vccnz .LBB409_982
; %bb.981:
	v_cvt_u16_f16_e32 v0, v3
	global_store_b16 v[1:2], v0, off
.LBB409_982:
	s_mov_b32 s4, 0
.LBB409_983:
	s_delay_alu instid0(SALU_CYCLE_1)
	s_and_not1_b32 vcc_lo, exec_lo, s4
	s_cbranch_vccnz .LBB409_991
; %bb.984:
	v_cvt_f32_f16_e32 v0, v3
	v_mov_b32_e32 v6, 0x80
	s_mov_b32 s4, exec_lo
	s_delay_alu instid0(VALU_DEP_2) | instskip(NEXT) | instid1(VALU_DEP_1)
	v_and_b32_e32 v5, 0x7fffffff, v0
	v_cmpx_gt_u32_e32 0x43800000, v5
	s_cbranch_execz .LBB409_990
; %bb.985:
	v_cmp_lt_u32_e32 vcc_lo, 0x3bffffff, v5
	s_mov_b32 s5, 0
                                        ; implicit-def: $vgpr5
	s_and_saveexec_b32 s7, vcc_lo
	s_delay_alu instid0(SALU_CYCLE_1)
	s_xor_b32 s7, exec_lo, s7
	s_cbranch_execz .LBB409_1279
; %bb.986:
	v_bfe_u32 v5, v0, 20, 1
	s_mov_b32 s5, exec_lo
	s_delay_alu instid0(VALU_DEP_1) | instskip(NEXT) | instid1(VALU_DEP_1)
	v_add3_u32 v5, v0, v5, 0x487ffff
	v_lshrrev_b32_e32 v5, 20, v5
	s_or_saveexec_b32 s7, s7
                                        ; implicit-def: $sgpr8
	s_delay_alu instid0(SALU_CYCLE_1)
	s_xor_b32 exec_lo, exec_lo, s7
	s_cbranch_execnz .LBB409_1280
.LBB409_987:
	s_or_b32 exec_lo, exec_lo, s7
	v_mov_b32_e32 v6, s8
	s_and_saveexec_b32 s7, s5
.LBB409_988:
	v_lshrrev_b32_e32 v0, 24, v0
	s_delay_alu instid0(VALU_DEP_1)
	v_and_or_b32 v6, 0x80, v0, v5
.LBB409_989:
	s_or_b32 exec_lo, exec_lo, s7
.LBB409_990:
	s_delay_alu instid0(SALU_CYCLE_1)
	s_or_b32 exec_lo, exec_lo, s4
	global_store_b8 v[1:2], v6, off
.LBB409_991:
	s_mov_b32 s4, 0
.LBB409_992:
	s_delay_alu instid0(SALU_CYCLE_1)
	s_and_b32 vcc_lo, exec_lo, s4
	s_mov_b32 s4, 0
	s_cbranch_vccz .LBB409_1032
; %bb.993:
	v_cmp_lt_i16_e32 vcc_lo, 22, v4
	s_mov_b32 s5, -1
	s_cbranch_vccz .LBB409_1025
; %bb.994:
	v_cmp_gt_i16_e32 vcc_lo, 24, v4
	s_cbranch_vccnz .LBB409_1014
; %bb.995:
	v_cmp_lt_i16_e32 vcc_lo, 24, v4
	s_cbranch_vccz .LBB409_1003
; %bb.996:
	v_cvt_f32_f16_e32 v0, v3
	v_mov_b32_e32 v6, 0x80
	s_mov_b32 s5, exec_lo
	s_delay_alu instid0(VALU_DEP_2) | instskip(NEXT) | instid1(VALU_DEP_1)
	v_and_b32_e32 v5, 0x7fffffff, v0
	v_cmpx_gt_u32_e32 0x47800000, v5
	s_cbranch_execz .LBB409_1002
; %bb.997:
	v_cmp_lt_u32_e32 vcc_lo, 0x37ffffff, v5
	s_mov_b32 s7, 0
                                        ; implicit-def: $vgpr5
	s_and_saveexec_b32 s8, vcc_lo
	s_delay_alu instid0(SALU_CYCLE_1)
	s_xor_b32 s8, exec_lo, s8
	s_cbranch_execz .LBB409_1323
; %bb.998:
	v_bfe_u32 v5, v0, 21, 1
	s_mov_b32 s7, exec_lo
	s_delay_alu instid0(VALU_DEP_1) | instskip(NEXT) | instid1(VALU_DEP_1)
	v_add3_u32 v5, v0, v5, 0x88fffff
	v_lshrrev_b32_e32 v5, 21, v5
	s_or_saveexec_b32 s8, s8
                                        ; implicit-def: $sgpr9
	s_delay_alu instid0(SALU_CYCLE_1)
	s_xor_b32 exec_lo, exec_lo, s8
	s_cbranch_execnz .LBB409_1324
.LBB409_999:
	s_or_b32 exec_lo, exec_lo, s8
	v_mov_b32_e32 v6, s9
	s_and_saveexec_b32 s8, s7
.LBB409_1000:
	v_lshrrev_b32_e32 v0, 24, v0
	s_delay_alu instid0(VALU_DEP_1)
	v_and_or_b32 v6, 0x80, v0, v5
.LBB409_1001:
	s_or_b32 exec_lo, exec_lo, s8
.LBB409_1002:
	s_delay_alu instid0(SALU_CYCLE_1)
	s_or_b32 exec_lo, exec_lo, s5
	s_mov_b32 s5, 0
	global_store_b8 v[1:2], v6, off
.LBB409_1003:
	s_and_b32 vcc_lo, exec_lo, s5
	s_cbranch_vccz .LBB409_1013
; %bb.1004:
	v_cvt_f32_f16_e32 v0, v3
	s_mov_b32 s5, exec_lo
                                        ; implicit-def: $vgpr5
	s_delay_alu instid0(VALU_DEP_1) | instskip(NEXT) | instid1(VALU_DEP_1)
	v_and_b32_e32 v6, 0x7fffffff, v0
	v_cmpx_gt_u32_e32 0x43f00000, v6
	s_xor_b32 s5, exec_lo, s5
	s_cbranch_execz .LBB409_1010
; %bb.1005:
	s_mov_b32 s7, exec_lo
                                        ; implicit-def: $vgpr5
	v_cmpx_lt_u32_e32 0x3c7fffff, v6
	s_xor_b32 s7, exec_lo, s7
; %bb.1006:
	v_bfe_u32 v5, v0, 20, 1
	s_delay_alu instid0(VALU_DEP_1) | instskip(NEXT) | instid1(VALU_DEP_1)
	v_add3_u32 v5, v0, v5, 0x407ffff
	v_and_b32_e32 v6, 0xff00000, v5
	v_lshrrev_b32_e32 v5, 20, v5
	s_delay_alu instid0(VALU_DEP_2) | instskip(NEXT) | instid1(VALU_DEP_2)
	v_cmp_ne_u32_e32 vcc_lo, 0x7f00000, v6
	v_cndmask_b32_e32 v5, 0x7e, v5, vcc_lo
; %bb.1007:
	s_and_not1_saveexec_b32 s7, s7
; %bb.1008:
	v_add_f32_e64 v5, 0x46800000, |v0|
; %bb.1009:
	s_or_b32 exec_lo, exec_lo, s7
                                        ; implicit-def: $vgpr6
.LBB409_1010:
	s_and_not1_saveexec_b32 s5, s5
; %bb.1011:
	v_mov_b32_e32 v5, 0x7f
	v_cmp_lt_u32_e32 vcc_lo, 0x7f800000, v6
	s_delay_alu instid0(VALU_DEP_2)
	v_cndmask_b32_e32 v5, 0x7e, v5, vcc_lo
; %bb.1012:
	s_or_b32 exec_lo, exec_lo, s5
	v_lshrrev_b32_e32 v0, 24, v0
	s_delay_alu instid0(VALU_DEP_1)
	v_and_or_b32 v0, 0x80, v0, v5
	global_store_b8 v[1:2], v0, off
.LBB409_1013:
	s_mov_b32 s5, 0
.LBB409_1014:
	s_delay_alu instid0(SALU_CYCLE_1)
	s_and_not1_b32 vcc_lo, exec_lo, s5
	s_cbranch_vccnz .LBB409_1024
; %bb.1015:
	v_cvt_f32_f16_e32 v0, v3
	s_mov_b32 s5, exec_lo
                                        ; implicit-def: $vgpr5
	s_delay_alu instid0(VALU_DEP_1) | instskip(NEXT) | instid1(VALU_DEP_1)
	v_and_b32_e32 v6, 0x7fffffff, v0
	v_cmpx_gt_u32_e32 0x47800000, v6
	s_xor_b32 s5, exec_lo, s5
	s_cbranch_execz .LBB409_1021
; %bb.1016:
	s_mov_b32 s7, exec_lo
                                        ; implicit-def: $vgpr5
	v_cmpx_lt_u32_e32 0x387fffff, v6
	s_xor_b32 s7, exec_lo, s7
; %bb.1017:
	v_bfe_u32 v5, v0, 21, 1
	s_delay_alu instid0(VALU_DEP_1) | instskip(NEXT) | instid1(VALU_DEP_1)
	v_add3_u32 v5, v0, v5, 0x80fffff
	v_lshrrev_b32_e32 v5, 21, v5
; %bb.1018:
	s_and_not1_saveexec_b32 s7, s7
; %bb.1019:
	v_add_f32_e64 v5, 0x43000000, |v0|
; %bb.1020:
	s_or_b32 exec_lo, exec_lo, s7
                                        ; implicit-def: $vgpr6
.LBB409_1021:
	s_and_not1_saveexec_b32 s5, s5
; %bb.1022:
	v_mov_b32_e32 v5, 0x7f
	v_cmp_lt_u32_e32 vcc_lo, 0x7f800000, v6
	s_delay_alu instid0(VALU_DEP_2)
	v_cndmask_b32_e32 v5, 0x7c, v5, vcc_lo
; %bb.1023:
	s_or_b32 exec_lo, exec_lo, s5
	v_lshrrev_b32_e32 v0, 24, v0
	s_delay_alu instid0(VALU_DEP_1)
	v_and_or_b32 v0, 0x80, v0, v5
	global_store_b8 v[1:2], v0, off
.LBB409_1024:
	s_mov_b32 s5, 0
.LBB409_1025:
	s_delay_alu instid0(SALU_CYCLE_1)
	s_and_not1_b32 vcc_lo, exec_lo, s5
	s_mov_b32 s8, 0
	s_cbranch_vccnz .LBB409_1033
; %bb.1026:
	v_cmp_lt_i16_e32 vcc_lo, 14, v4
	s_mov_b32 s5, -1
	s_cbranch_vccz .LBB409_1030
; %bb.1027:
	v_cmp_eq_u16_e32 vcc_lo, 15, v4
	s_mov_b32 s2, -1
	s_cbranch_vccz .LBB409_1029
; %bb.1028:
	v_cvt_f32_f16_e32 v0, v3
	v_cmp_o_f16_e32 vcc_lo, v3, v3
	s_mov_b32 s2, 0
	s_delay_alu instid0(VALU_DEP_2) | instskip(NEXT) | instid1(VALU_DEP_1)
	v_bfe_u32 v5, v0, 16, 1
	v_add3_u32 v0, v0, v5, 0x7fff
	s_delay_alu instid0(VALU_DEP_1) | instskip(NEXT) | instid1(VALU_DEP_1)
	v_lshrrev_b32_e32 v0, 16, v0
	v_cndmask_b32_e32 v0, 0x7fc0, v0, vcc_lo
	global_store_b16 v[1:2], v0, off
.LBB409_1029:
	s_mov_b32 s5, 0
.LBB409_1030:
	s_delay_alu instid0(SALU_CYCLE_1)
	s_and_b32 vcc_lo, exec_lo, s5
	s_cbranch_vccz .LBB409_1033
; %bb.1031:
	v_cmp_ne_u16_e32 vcc_lo, 11, v4
	s_and_not1_b32 s2, s2, exec_lo
	s_mov_b32 s8, -1
	s_and_b32 s5, vcc_lo, exec_lo
	s_delay_alu instid0(SALU_CYCLE_1)
	s_or_b32 s2, s2, s5
	s_branch .LBB409_1033
.LBB409_1032:
	s_mov_b32 s8, 0
.LBB409_1033:
	s_and_b32 s7, s4, exec_lo
	s_and_not1_b32 s4, s37, exec_lo
	s_and_b32 s2, s2, exec_lo
	s_and_b32 s8, s8, exec_lo
	s_or_b32 s37, s4, s2
.LBB409_1034:
	s_or_b32 exec_lo, exec_lo, s6
	s_and_saveexec_b32 s2, s37
	s_cbranch_execnz .LBB409_1148
; %bb.1035:
	s_or_b32 exec_lo, exec_lo, s2
	s_and_saveexec_b32 s2, s8
	s_delay_alu instid0(SALU_CYCLE_1)
	s_xor_b32 s2, exec_lo, s2
	s_cbranch_execz .LBB409_1037
.LBB409_1036:
	v_and_b32_e32 v0, 0x7fff, v3
	s_delay_alu instid0(VALU_DEP_1)
	v_cmp_ne_u16_e32 vcc_lo, 0, v0
	v_cndmask_b32_e64 v0, 0, 1, vcc_lo
	global_store_b8 v[1:2], v0, off
.LBB409_1037:
	s_or_b32 exec_lo, exec_lo, s2
	s_and_saveexec_b32 s2, s7
	s_delay_alu instid0(SALU_CYCLE_1)
	s_xor_b32 s2, exec_lo, s2
	s_cbranch_execz .LBB409_1075
; %bb.1038:
	v_cmp_gt_i16_e32 vcc_lo, 5, v4
	s_mov_b32 s4, -1
	s_cbranch_vccnz .LBB409_1059
; %bb.1039:
	v_cmp_gt_i16_e32 vcc_lo, 8, v4
	s_cbranch_vccnz .LBB409_1049
; %bb.1040:
	v_cmp_gt_i16_e32 vcc_lo, 9, v4
	s_cbranch_vccnz .LBB409_1046
; %bb.1041:
	v_cmp_lt_i16_e32 vcc_lo, 9, v4
	s_cbranch_vccz .LBB409_1043
; %bb.1042:
	v_cvt_f32_f16_e32 v0, v3
	v_mov_b32_e32 v7, 0
	s_mov_b32 s4, 0
	s_waitcnt vmcnt(0)
	s_delay_alu instid0(VALU_DEP_2) | instskip(NEXT) | instid1(VALU_DEP_2)
	v_cvt_f64_f32_e32 v[5:6], v0
	v_mov_b32_e32 v8, v7
	global_store_b128 v[1:2], v[5:8], off
.LBB409_1043:
	s_and_not1_b32 vcc_lo, exec_lo, s4
	s_cbranch_vccnz .LBB409_1045
; %bb.1044:
	s_waitcnt vmcnt(0)
	v_cvt_f32_f16_e32 v5, v3
	v_mov_b32_e32 v6, 0
	global_store_b64 v[1:2], v[5:6], off
.LBB409_1045:
	s_mov_b32 s4, 0
.LBB409_1046:
	s_delay_alu instid0(SALU_CYCLE_1)
	s_and_not1_b32 vcc_lo, exec_lo, s4
	s_cbranch_vccnz .LBB409_1048
; %bb.1047:
	v_and_b32_e32 v0, 0xffff, v3
	global_store_b32 v[1:2], v0, off
.LBB409_1048:
	s_mov_b32 s4, 0
.LBB409_1049:
	s_delay_alu instid0(SALU_CYCLE_1)
	s_and_not1_b32 vcc_lo, exec_lo, s4
	s_cbranch_vccnz .LBB409_1058
; %bb.1050:
	v_cmp_gt_i16_e32 vcc_lo, 6, v4
	s_mov_b32 s4, -1
	s_cbranch_vccnz .LBB409_1056
; %bb.1051:
	v_cmp_lt_i16_e32 vcc_lo, 6, v4
	s_cbranch_vccz .LBB409_1053
; %bb.1052:
	v_cvt_f32_f16_e32 v0, v3
	s_mov_b32 s4, 0
	s_waitcnt vmcnt(0)
	s_delay_alu instid0(VALU_DEP_1)
	v_cvt_f64_f32_e32 v[5:6], v0
	global_store_b64 v[1:2], v[5:6], off
.LBB409_1053:
	s_and_not1_b32 vcc_lo, exec_lo, s4
	s_cbranch_vccnz .LBB409_1055
; %bb.1054:
	v_cvt_f32_f16_e32 v0, v3
	global_store_b32 v[1:2], v0, off
.LBB409_1055:
	s_mov_b32 s4, 0
.LBB409_1056:
	s_delay_alu instid0(SALU_CYCLE_1)
	s_and_not1_b32 vcc_lo, exec_lo, s4
	s_cbranch_vccnz .LBB409_1058
; %bb.1057:
	global_store_b16 v[1:2], v3, off
.LBB409_1058:
	s_mov_b32 s4, 0
.LBB409_1059:
	s_delay_alu instid0(SALU_CYCLE_1)
	s_and_not1_b32 vcc_lo, exec_lo, s4
	s_cbranch_vccnz .LBB409_1075
; %bb.1060:
	v_cmp_gt_i16_e32 vcc_lo, 2, v4
	s_mov_b32 s4, -1
	s_cbranch_vccnz .LBB409_1070
; %bb.1061:
	v_cmp_gt_i16_e32 vcc_lo, 3, v4
	s_cbranch_vccnz .LBB409_1067
; %bb.1062:
	v_cmp_lt_i16_e32 vcc_lo, 3, v4
	s_cbranch_vccz .LBB409_1064
; %bb.1063:
	v_cvt_f32_f16_e32 v0, v3
	s_mov_b32 s4, 0
	s_waitcnt vmcnt(0)
	s_delay_alu instid0(VALU_DEP_1) | instskip(NEXT) | instid1(VALU_DEP_1)
	v_cvt_i32_f32_e32 v5, v0
	v_ashrrev_i32_e32 v6, 31, v5
	global_store_b64 v[1:2], v[5:6], off
.LBB409_1064:
	s_and_not1_b32 vcc_lo, exec_lo, s4
	s_cbranch_vccnz .LBB409_1066
; %bb.1065:
	v_cvt_f32_f16_e32 v0, v3
	s_delay_alu instid0(VALU_DEP_1)
	v_cvt_i32_f32_e32 v0, v0
	global_store_b32 v[1:2], v0, off
.LBB409_1066:
	s_mov_b32 s4, 0
.LBB409_1067:
	s_delay_alu instid0(SALU_CYCLE_1)
	s_and_not1_b32 vcc_lo, exec_lo, s4
	s_cbranch_vccnz .LBB409_1069
; %bb.1068:
	v_cvt_i16_f16_e32 v0, v3
	global_store_b16 v[1:2], v0, off
.LBB409_1069:
	s_mov_b32 s4, 0
.LBB409_1070:
	s_delay_alu instid0(SALU_CYCLE_1)
	s_and_not1_b32 vcc_lo, exec_lo, s4
	s_cbranch_vccnz .LBB409_1075
; %bb.1071:
	v_cmp_lt_i16_e32 vcc_lo, 0, v4
	s_mov_b32 s4, -1
	s_cbranch_vccz .LBB409_1073
; %bb.1072:
	v_cvt_i16_f16_e32 v0, v3
	s_mov_b32 s4, 0
	global_store_b8 v[1:2], v0, off
.LBB409_1073:
	s_and_not1_b32 vcc_lo, exec_lo, s4
	s_cbranch_vccnz .LBB409_1075
; %bb.1074:
	v_cvt_f32_f16_e32 v0, v3
	s_delay_alu instid0(VALU_DEP_1)
	v_cvt_i32_f32_e32 v0, v0
	global_store_b8 v[1:2], v0, off
.LBB409_1075:
	s_or_b32 exec_lo, exec_lo, s2
	s_delay_alu instid0(SALU_CYCLE_1)
	s_and_b32 s8, s3, exec_lo
                                        ; implicit-def: $vgpr8
                                        ; implicit-def: $vgpr4
.LBB409_1076:
	s_or_saveexec_b32 s9, s28
	s_mov_b32 s3, 0
                                        ; implicit-def: $vgpr0_vgpr1
                                        ; implicit-def: $vgpr5
                                        ; implicit-def: $vgpr2
	s_xor_b32 exec_lo, exec_lo, s9
	s_cbranch_execz .LBB409_2092
; %bb.1077:
	v_cndmask_b32_e64 v0, 0, 1, s27
	s_and_not1_b32 vcc_lo, exec_lo, s27
	s_cbranch_vccnz .LBB409_1083
; %bb.1078:
	v_mov_b32_e32 v3, 0
	v_mov_b32_e32 v7, 0
	s_cmp_lg_u32 s24, 0
	s_mov_b32 s6, 0
	s_cbranch_scc0 .LBB409_1087
; %bb.1079:
	s_min_u32 s7, s25, 15
	v_mov_b32_e32 v3, 0
	s_add_i32 s7, s7, 1
	s_cmp_eq_u32 s25, 2
	s_mov_b32 s10, 0
	s_cbranch_scc1 .LBB409_1084
; %bb.1080:
	v_mov_b32_e32 v7, 0
	v_mov_b32_e32 v3, 0
	;; [unrolled: 1-line block ×3, first 2 shown]
	s_add_u32 s2, s16, 0xc4
	s_addc_u32 s3, s17, 0
	s_and_b32 s10, s7, 28
	s_mov_b32 s11, 0
	s_mov_b64 s[4:5], s[16:17]
.LBB409_1081:                           ; =>This Inner Loop Header: Depth=1
	s_clause 0x1
	s_load_b256 s[36:43], s[4:5], 0x4
	s_load_b128 s[12:15], s[4:5], 0x24
	s_load_b256 s[44:51], s[2:3], 0x0
	s_add_u32 s4, s4, 48
	s_addc_u32 s5, s5, 0
	s_add_i32 s11, s11, 4
	s_add_u32 s2, s2, 32
	s_addc_u32 s3, s3, 0
	s_cmp_lg_u32 s10, s11
	s_waitcnt lgkmcnt(0)
	v_mul_hi_u32 v2, s37, v1
	s_delay_alu instid0(VALU_DEP_1) | instskip(NEXT) | instid1(VALU_DEP_1)
	v_add_nc_u32_e32 v2, v1, v2
	v_lshrrev_b32_e32 v2, s38, v2
	s_waitcnt vmcnt(0)
	s_delay_alu instid0(VALU_DEP_1) | instskip(SKIP_1) | instid1(VALU_DEP_2)
	v_mul_hi_u32 v5, s40, v2
	v_mul_lo_u32 v9, v2, s36
	v_add_nc_u32_e32 v5, v2, v5
	s_delay_alu instid0(VALU_DEP_2) | instskip(NEXT) | instid1(VALU_DEP_2)
	v_sub_nc_u32_e32 v1, v1, v9
	v_lshrrev_b32_e32 v5, s41, v5
	s_delay_alu instid0(VALU_DEP_2) | instskip(SKIP_1) | instid1(VALU_DEP_3)
	v_mul_lo_u32 v9, v1, s44
	v_mul_lo_u32 v11, v1, s45
	v_mul_hi_u32 v6, s43, v5
	s_delay_alu instid0(VALU_DEP_1) | instskip(NEXT) | instid1(VALU_DEP_1)
	v_add_nc_u32_e32 v6, v5, v6
	v_lshrrev_b32_e32 v6, s12, v6
	s_delay_alu instid0(VALU_DEP_1) | instskip(SKIP_1) | instid1(VALU_DEP_2)
	v_mul_hi_u32 v10, s14, v6
	v_mul_lo_u32 v12, v6, s42
	v_add_nc_u32_e32 v1, v6, v10
	v_mul_lo_u32 v10, v5, s39
	s_delay_alu instid0(VALU_DEP_3) | instskip(NEXT) | instid1(VALU_DEP_3)
	v_sub_nc_u32_e32 v5, v5, v12
	v_lshrrev_b32_e32 v1, s15, v1
	s_delay_alu instid0(VALU_DEP_2) | instskip(SKIP_2) | instid1(VALU_DEP_4)
	v_mul_lo_u32 v12, v5, s48
	v_mul_lo_u32 v5, v5, s49
	v_sub_nc_u32_e32 v2, v2, v10
	v_mul_lo_u32 v13, v1, s13
	s_delay_alu instid0(VALU_DEP_2) | instskip(SKIP_1) | instid1(VALU_DEP_3)
	v_mul_lo_u32 v10, v2, s46
	v_mul_lo_u32 v2, v2, s47
	v_sub_nc_u32_e32 v6, v6, v13
	s_delay_alu instid0(VALU_DEP_3) | instskip(NEXT) | instid1(VALU_DEP_2)
	v_add3_u32 v3, v9, v3, v10
	v_mul_lo_u32 v13, v6, s50
	v_mul_lo_u32 v6, v6, s51
	v_add3_u32 v2, v11, v7, v2
	s_delay_alu instid0(VALU_DEP_3) | instskip(NEXT) | instid1(VALU_DEP_2)
	v_add3_u32 v3, v12, v3, v13
	v_add3_u32 v7, v5, v2, v6
	s_cbranch_scc1 .LBB409_1081
; %bb.1082:
	s_and_b32 s7, s7, 3
	s_delay_alu instid0(SALU_CYCLE_1)
	s_cmp_eq_u32 s7, 0
	s_cbranch_scc0 .LBB409_1085
	s_branch .LBB409_1087
.LBB409_1083:
	s_mov_b32 s6, -1
                                        ; implicit-def: $vgpr3
                                        ; implicit-def: $vgpr7
	s_branch .LBB409_1087
.LBB409_1084:
	v_mov_b32_e32 v1, v4
	v_mov_b32_e32 v7, 0
	s_and_b32 s7, s7, 3
	s_delay_alu instid0(SALU_CYCLE_1)
	s_cmp_eq_u32 s7, 0
	s_cbranch_scc1 .LBB409_1087
.LBB409_1085:
	s_lshl_b32 s2, s10, 3
	s_mul_i32 s4, s10, 12
	s_add_u32 s2, s2, s16
	s_addc_u32 s3, 0, s17
	s_add_u32 s2, s2, 0xc4
	s_addc_u32 s3, s3, 0
	;; [unrolled: 2-line block ×3, first 2 shown]
	.p2align	6
.LBB409_1086:                           ; =>This Inner Loop Header: Depth=1
	s_clause 0x1
	s_load_b64 s[10:11], s[4:5], 0x4
	s_load_b32 s14, s[4:5], 0xc
	s_load_b64 s[12:13], s[2:3], 0x0
	s_add_u32 s4, s4, 12
	s_addc_u32 s5, s5, 0
	s_add_u32 s2, s2, 8
	s_addc_u32 s3, s3, 0
	s_add_i32 s7, s7, -1
	s_delay_alu instid0(SALU_CYCLE_1) | instskip(SKIP_2) | instid1(VALU_DEP_1)
	s_cmp_lg_u32 s7, 0
	s_waitcnt lgkmcnt(0)
	v_mul_hi_u32 v2, s11, v1
	v_add_nc_u32_e32 v2, v1, v2
	s_delay_alu instid0(VALU_DEP_1) | instskip(NEXT) | instid1(VALU_DEP_1)
	v_lshrrev_b32_e32 v9, s14, v2
	v_mul_lo_u32 v2, v9, s10
	s_delay_alu instid0(VALU_DEP_1) | instskip(SKIP_1) | instid1(VALU_DEP_1)
	v_sub_nc_u32_e32 v1, v1, v2
	s_waitcnt vmcnt(0)
	v_mad_u64_u32 v[5:6], null, v1, s12, v[3:4]
	v_mad_u64_u32 v[2:3], null, v1, s13, v[7:8]
	v_mov_b32_e32 v1, v9
	s_delay_alu instid0(VALU_DEP_3) | instskip(NEXT) | instid1(VALU_DEP_3)
	v_mov_b32_e32 v3, v5
	v_mov_b32_e32 v7, v2
	s_cbranch_scc1 .LBB409_1086
.LBB409_1087:
	s_and_not1_b32 vcc_lo, exec_lo, s6
	s_cbranch_vccnz .LBB409_1090
; %bb.1088:
	s_clause 0x1
	s_load_b128 s[4:7], s[16:17], 0x4
	s_load_b64 s[2:3], s[16:17], 0xc4
	s_cmp_lt_u32 s24, 2
	s_waitcnt lgkmcnt(0)
	v_mul_hi_u32 v1, s5, v4
	s_delay_alu instid0(VALU_DEP_1) | instskip(NEXT) | instid1(VALU_DEP_1)
	v_add_nc_u32_e32 v1, v4, v1
	v_lshrrev_b32_e32 v1, s6, v1
	s_delay_alu instid0(VALU_DEP_1) | instskip(NEXT) | instid1(VALU_DEP_1)
	v_mul_lo_u32 v2, v1, s4
	v_sub_nc_u32_e32 v2, v4, v2
	s_delay_alu instid0(VALU_DEP_1)
	v_mul_lo_u32 v3, v2, s2
	v_mul_lo_u32 v7, v2, s3
	s_cbranch_scc1 .LBB409_1090
; %bb.1089:
	s_clause 0x1
	s_load_b128 s[4:7], s[16:17], 0x10
	s_load_b64 s[2:3], s[16:17], 0xcc
	s_waitcnt lgkmcnt(0)
	v_mul_hi_u32 v2, s5, v1
	s_delay_alu instid0(VALU_DEP_1) | instskip(NEXT) | instid1(VALU_DEP_1)
	v_add_nc_u32_e32 v2, v1, v2
	v_lshrrev_b32_e32 v2, s6, v2
	s_delay_alu instid0(VALU_DEP_1) | instskip(SKIP_1) | instid1(VALU_DEP_1)
	v_mul_lo_u32 v2, v2, s4
	s_waitcnt vmcnt(0)
	v_sub_nc_u32_e32 v5, v1, v2
	s_delay_alu instid0(VALU_DEP_1) | instskip(SKIP_1) | instid1(VALU_DEP_2)
	v_mad_u64_u32 v[1:2], null, v5, s2, v[3:4]
	v_mad_u64_u32 v[2:3], null, v5, s3, v[7:8]
	v_mov_b32_e32 v3, v1
	s_delay_alu instid0(VALU_DEP_2)
	v_mov_b32_e32 v7, v2
.LBB409_1090:
	v_cmp_ne_u32_e32 vcc_lo, 1, v0
	v_add_nc_u32_e32 v1, 0x80, v4
	s_cbranch_vccnz .LBB409_1096
; %bb.1091:
	v_mov_b32_e32 v2, 0
	v_mov_b32_e32 v6, 0
	s_cmp_lg_u32 s24, 0
	s_mov_b32 s6, 0
	s_cbranch_scc0 .LBB409_1100
; %bb.1092:
	s_min_u32 s7, s25, 15
	v_mov_b32_e32 v2, 0
	s_add_i32 s7, s7, 1
	s_cmp_eq_u32 s25, 2
	s_mov_b32 s10, 0
	s_cbranch_scc1 .LBB409_1097
; %bb.1093:
	s_waitcnt vmcnt(0)
	v_dual_mov_b32 v6, 0 :: v_dual_mov_b32 v5, v1
	v_mov_b32_e32 v2, 0
	s_add_u32 s2, s16, 0xc4
	s_addc_u32 s3, s17, 0
	s_and_b32 s10, s7, 28
	s_mov_b32 s11, 0
	s_mov_b64 s[4:5], s[16:17]
.LBB409_1094:                           ; =>This Inner Loop Header: Depth=1
	s_clause 0x1
	s_load_b256 s[36:43], s[4:5], 0x4
	s_load_b128 s[12:15], s[4:5], 0x24
	s_load_b256 s[44:51], s[2:3], 0x0
	s_add_u32 s4, s4, 48
	s_addc_u32 s5, s5, 0
	s_add_i32 s11, s11, 4
	s_add_u32 s2, s2, 32
	s_addc_u32 s3, s3, 0
	s_cmp_lg_u32 s10, s11
	s_waitcnt lgkmcnt(0)
	v_mul_hi_u32 v9, s37, v5
	s_delay_alu instid0(VALU_DEP_1) | instskip(NEXT) | instid1(VALU_DEP_1)
	v_add_nc_u32_e32 v9, v5, v9
	v_lshrrev_b32_e32 v9, s38, v9
	s_delay_alu instid0(VALU_DEP_1) | instskip(SKIP_1) | instid1(VALU_DEP_2)
	v_mul_hi_u32 v10, s40, v9
	v_mul_lo_u32 v12, v9, s36
	v_add_nc_u32_e32 v10, v9, v10
	s_delay_alu instid0(VALU_DEP_2) | instskip(NEXT) | instid1(VALU_DEP_2)
	v_sub_nc_u32_e32 v5, v5, v12
	v_lshrrev_b32_e32 v10, s41, v10
	s_delay_alu instid0(VALU_DEP_2) | instskip(SKIP_1) | instid1(VALU_DEP_3)
	v_mul_lo_u32 v12, v5, s44
	v_mul_lo_u32 v14, v5, s45
	v_mul_hi_u32 v11, s43, v10
	s_delay_alu instid0(VALU_DEP_1) | instskip(NEXT) | instid1(VALU_DEP_1)
	v_add_nc_u32_e32 v11, v10, v11
	v_lshrrev_b32_e32 v11, s12, v11
	s_delay_alu instid0(VALU_DEP_1) | instskip(SKIP_1) | instid1(VALU_DEP_2)
	v_mul_hi_u32 v13, s14, v11
	v_mul_lo_u32 v15, v11, s42
	v_add_nc_u32_e32 v5, v11, v13
	v_mul_lo_u32 v13, v10, s39
	s_delay_alu instid0(VALU_DEP_3) | instskip(NEXT) | instid1(VALU_DEP_3)
	v_sub_nc_u32_e32 v10, v10, v15
	v_lshrrev_b32_e32 v5, s15, v5
	s_delay_alu instid0(VALU_DEP_2) | instskip(SKIP_2) | instid1(VALU_DEP_4)
	v_mul_lo_u32 v15, v10, s48
	v_mul_lo_u32 v10, v10, s49
	v_sub_nc_u32_e32 v9, v9, v13
	v_mul_lo_u32 v16, v5, s13
	s_delay_alu instid0(VALU_DEP_2) | instskip(SKIP_1) | instid1(VALU_DEP_3)
	v_mul_lo_u32 v13, v9, s46
	v_mul_lo_u32 v9, v9, s47
	v_sub_nc_u32_e32 v11, v11, v16
	s_delay_alu instid0(VALU_DEP_3) | instskip(NEXT) | instid1(VALU_DEP_2)
	v_add3_u32 v2, v12, v2, v13
	v_mul_lo_u32 v16, v11, s50
	v_mul_lo_u32 v11, v11, s51
	v_add3_u32 v6, v14, v6, v9
	s_delay_alu instid0(VALU_DEP_3) | instskip(NEXT) | instid1(VALU_DEP_2)
	v_add3_u32 v2, v15, v2, v16
	v_add3_u32 v6, v10, v6, v11
	s_cbranch_scc1 .LBB409_1094
; %bb.1095:
	s_and_b32 s7, s7, 3
	s_delay_alu instid0(SALU_CYCLE_1)
	s_cmp_eq_u32 s7, 0
	s_cbranch_scc0 .LBB409_1098
	s_branch .LBB409_1100
.LBB409_1096:
	s_mov_b32 s6, -1
                                        ; implicit-def: $vgpr2
                                        ; implicit-def: $vgpr6
	s_branch .LBB409_1100
.LBB409_1097:
	s_waitcnt vmcnt(0)
	v_dual_mov_b32 v5, v1 :: v_dual_mov_b32 v6, 0
	s_and_b32 s7, s7, 3
	s_delay_alu instid0(SALU_CYCLE_1)
	s_cmp_eq_u32 s7, 0
	s_cbranch_scc1 .LBB409_1100
.LBB409_1098:
	s_lshl_b32 s2, s10, 3
	s_mul_i32 s4, s10, 12
	s_add_u32 s2, s2, s16
	s_addc_u32 s3, 0, s17
	s_add_u32 s2, s2, 0xc4
	s_addc_u32 s3, s3, 0
	;; [unrolled: 2-line block ×3, first 2 shown]
	.p2align	6
.LBB409_1099:                           ; =>This Inner Loop Header: Depth=1
	s_clause 0x1
	s_load_b64 s[10:11], s[4:5], 0x4
	s_load_b32 s14, s[4:5], 0xc
	s_load_b64 s[12:13], s[2:3], 0x0
	s_add_u32 s4, s4, 12
	s_addc_u32 s5, s5, 0
	s_add_u32 s2, s2, 8
	s_addc_u32 s3, s3, 0
	s_add_i32 s7, s7, -1
	s_delay_alu instid0(SALU_CYCLE_1) | instskip(SKIP_2) | instid1(VALU_DEP_1)
	s_cmp_lg_u32 s7, 0
	s_waitcnt lgkmcnt(0)
	v_mul_hi_u32 v9, s11, v5
	v_add_nc_u32_e32 v9, v5, v9
	s_delay_alu instid0(VALU_DEP_1) | instskip(NEXT) | instid1(VALU_DEP_1)
	v_lshrrev_b32_e32 v12, s14, v9
	v_mul_lo_u32 v9, v12, s10
	s_delay_alu instid0(VALU_DEP_1) | instskip(NEXT) | instid1(VALU_DEP_1)
	v_sub_nc_u32_e32 v5, v5, v9
	v_mad_u64_u32 v[9:10], null, v5, s12, v[2:3]
	v_mad_u64_u32 v[10:11], null, v5, s13, v[6:7]
	s_delay_alu instid0(VALU_DEP_2) | instskip(NEXT) | instid1(VALU_DEP_2)
	v_dual_mov_b32 v5, v12 :: v_dual_mov_b32 v2, v9
	v_mov_b32_e32 v6, v10
	s_cbranch_scc1 .LBB409_1099
.LBB409_1100:
	s_and_not1_b32 vcc_lo, exec_lo, s6
	s_cbranch_vccnz .LBB409_1103
; %bb.1101:
	s_clause 0x1
	s_load_b128 s[4:7], s[16:17], 0x4
	s_load_b64 s[2:3], s[16:17], 0xc4
	s_cmp_lt_u32 s24, 2
	s_waitcnt lgkmcnt(0)
	v_mul_hi_u32 v2, s5, v1
	s_delay_alu instid0(VALU_DEP_1) | instskip(SKIP_1) | instid1(VALU_DEP_1)
	v_add_nc_u32_e32 v2, v1, v2
	s_waitcnt vmcnt(0)
	v_lshrrev_b32_e32 v5, s6, v2
	s_delay_alu instid0(VALU_DEP_1) | instskip(NEXT) | instid1(VALU_DEP_1)
	v_mul_lo_u32 v2, v5, s4
	v_sub_nc_u32_e32 v1, v1, v2
	s_delay_alu instid0(VALU_DEP_1)
	v_mul_lo_u32 v2, v1, s2
	v_mul_lo_u32 v6, v1, s3
	s_cbranch_scc1 .LBB409_1103
; %bb.1102:
	s_clause 0x1
	s_load_b128 s[4:7], s[16:17], 0x10
	s_load_b64 s[2:3], s[16:17], 0xcc
	s_waitcnt lgkmcnt(0)
	v_mul_hi_u32 v1, s5, v5
	s_delay_alu instid0(VALU_DEP_1) | instskip(NEXT) | instid1(VALU_DEP_1)
	v_add_nc_u32_e32 v1, v5, v1
	v_lshrrev_b32_e32 v1, s6, v1
	s_delay_alu instid0(VALU_DEP_1) | instskip(NEXT) | instid1(VALU_DEP_1)
	v_mul_lo_u32 v1, v1, s4
	v_sub_nc_u32_e32 v5, v5, v1
	s_delay_alu instid0(VALU_DEP_1) | instskip(SKIP_1) | instid1(VALU_DEP_2)
	v_mad_u64_u32 v[9:10], null, v5, s2, v[2:3]
	v_mad_u64_u32 v[1:2], null, v5, s3, v[6:7]
	v_mov_b32_e32 v2, v9
	s_delay_alu instid0(VALU_DEP_2)
	v_mov_b32_e32 v6, v1
.LBB409_1103:
	v_cmp_ne_u32_e32 vcc_lo, 1, v0
	v_add_nc_u32_e32 v4, 0x100, v4
	s_cbranch_vccnz .LBB409_1109
; %bb.1104:
	v_mov_b32_e32 v1, 0
	s_waitcnt vmcnt(0)
	v_mov_b32_e32 v5, 0
	s_cmp_lg_u32 s24, 0
	s_mov_b32 s6, 0
	s_cbranch_scc0 .LBB409_1113
; %bb.1105:
	s_min_u32 s7, s25, 15
	v_mov_b32_e32 v1, 0
	s_add_i32 s7, s7, 1
	s_cmp_eq_u32 s25, 2
	s_mov_b32 s10, 0
	s_cbranch_scc1 .LBB409_1110
; %bb.1106:
	v_mov_b32_e32 v5, 0
	v_mov_b32_e32 v1, 0
	;; [unrolled: 1-line block ×3, first 2 shown]
	s_add_u32 s2, s16, 0xc4
	s_addc_u32 s3, s17, 0
	s_and_b32 s10, s7, 28
	s_mov_b32 s11, 0
	s_mov_b64 s[4:5], s[16:17]
.LBB409_1107:                           ; =>This Inner Loop Header: Depth=1
	s_clause 0x1
	s_load_b256 s[36:43], s[4:5], 0x4
	s_load_b128 s[12:15], s[4:5], 0x24
	s_load_b256 s[44:51], s[2:3], 0x0
	s_add_u32 s4, s4, 48
	s_addc_u32 s5, s5, 0
	s_add_i32 s11, s11, 4
	s_add_u32 s2, s2, 32
	s_addc_u32 s3, s3, 0
	s_cmp_lg_u32 s10, s11
	s_waitcnt lgkmcnt(0)
	v_mul_hi_u32 v10, s37, v9
	s_delay_alu instid0(VALU_DEP_1) | instskip(NEXT) | instid1(VALU_DEP_1)
	v_add_nc_u32_e32 v10, v9, v10
	v_lshrrev_b32_e32 v10, s38, v10
	s_delay_alu instid0(VALU_DEP_1) | instskip(SKIP_1) | instid1(VALU_DEP_2)
	v_mul_hi_u32 v11, s40, v10
	v_mul_lo_u32 v13, v10, s36
	v_add_nc_u32_e32 v11, v10, v11
	s_delay_alu instid0(VALU_DEP_2) | instskip(NEXT) | instid1(VALU_DEP_2)
	v_sub_nc_u32_e32 v9, v9, v13
	v_lshrrev_b32_e32 v11, s41, v11
	s_delay_alu instid0(VALU_DEP_2) | instskip(SKIP_1) | instid1(VALU_DEP_3)
	v_mul_lo_u32 v13, v9, s44
	v_mul_lo_u32 v15, v9, s45
	v_mul_hi_u32 v12, s43, v11
	s_delay_alu instid0(VALU_DEP_1) | instskip(NEXT) | instid1(VALU_DEP_1)
	v_add_nc_u32_e32 v12, v11, v12
	v_lshrrev_b32_e32 v12, s12, v12
	s_delay_alu instid0(VALU_DEP_1) | instskip(SKIP_1) | instid1(VALU_DEP_2)
	v_mul_hi_u32 v14, s14, v12
	v_mul_lo_u32 v16, v12, s42
	v_add_nc_u32_e32 v9, v12, v14
	v_mul_lo_u32 v14, v11, s39
	s_delay_alu instid0(VALU_DEP_3) | instskip(NEXT) | instid1(VALU_DEP_3)
	v_sub_nc_u32_e32 v11, v11, v16
	v_lshrrev_b32_e32 v9, s15, v9
	s_delay_alu instid0(VALU_DEP_2) | instskip(SKIP_2) | instid1(VALU_DEP_4)
	v_mul_lo_u32 v16, v11, s48
	v_mul_lo_u32 v11, v11, s49
	v_sub_nc_u32_e32 v10, v10, v14
	v_mul_lo_u32 v17, v9, s13
	s_delay_alu instid0(VALU_DEP_2) | instskip(SKIP_1) | instid1(VALU_DEP_3)
	v_mul_lo_u32 v14, v10, s46
	v_mul_lo_u32 v10, v10, s47
	v_sub_nc_u32_e32 v12, v12, v17
	s_delay_alu instid0(VALU_DEP_3) | instskip(NEXT) | instid1(VALU_DEP_2)
	v_add3_u32 v1, v13, v1, v14
	v_mul_lo_u32 v17, v12, s50
	v_mul_lo_u32 v12, v12, s51
	v_add3_u32 v5, v15, v5, v10
	s_delay_alu instid0(VALU_DEP_3) | instskip(NEXT) | instid1(VALU_DEP_2)
	v_add3_u32 v1, v16, v1, v17
	v_add3_u32 v5, v11, v5, v12
	s_cbranch_scc1 .LBB409_1107
; %bb.1108:
	s_and_b32 s7, s7, 3
	s_delay_alu instid0(SALU_CYCLE_1)
	s_cmp_eq_u32 s7, 0
	s_cbranch_scc0 .LBB409_1111
	s_branch .LBB409_1113
.LBB409_1109:
	s_mov_b32 s6, -1
                                        ; implicit-def: $vgpr1
                                        ; implicit-def: $vgpr5
	s_branch .LBB409_1113
.LBB409_1110:
	v_mov_b32_e32 v9, v4
	v_mov_b32_e32 v5, 0
	s_and_b32 s7, s7, 3
	s_delay_alu instid0(SALU_CYCLE_1)
	s_cmp_eq_u32 s7, 0
	s_cbranch_scc1 .LBB409_1113
.LBB409_1111:
	s_lshl_b32 s2, s10, 3
	s_mul_i32 s4, s10, 12
	s_add_u32 s2, s2, s16
	s_addc_u32 s3, 0, s17
	s_add_u32 s2, s2, 0xc4
	s_addc_u32 s3, s3, 0
	;; [unrolled: 2-line block ×3, first 2 shown]
	.p2align	6
.LBB409_1112:                           ; =>This Inner Loop Header: Depth=1
	s_clause 0x1
	s_load_b64 s[10:11], s[4:5], 0x4
	s_load_b32 s14, s[4:5], 0xc
	s_load_b64 s[12:13], s[2:3], 0x0
	s_add_u32 s4, s4, 12
	s_addc_u32 s5, s5, 0
	s_add_u32 s2, s2, 8
	s_addc_u32 s3, s3, 0
	s_add_i32 s7, s7, -1
	s_delay_alu instid0(SALU_CYCLE_1) | instskip(SKIP_2) | instid1(VALU_DEP_1)
	s_cmp_lg_u32 s7, 0
	s_waitcnt lgkmcnt(0)
	v_mul_hi_u32 v10, s11, v9
	v_add_nc_u32_e32 v10, v9, v10
	s_delay_alu instid0(VALU_DEP_1) | instskip(NEXT) | instid1(VALU_DEP_1)
	v_lshrrev_b32_e32 v13, s14, v10
	v_mul_lo_u32 v10, v13, s10
	s_delay_alu instid0(VALU_DEP_1) | instskip(NEXT) | instid1(VALU_DEP_1)
	v_sub_nc_u32_e32 v9, v9, v10
	v_mad_u64_u32 v[10:11], null, v9, s12, v[1:2]
	v_mad_u64_u32 v[11:12], null, v9, s13, v[5:6]
	v_mov_b32_e32 v9, v13
	s_delay_alu instid0(VALU_DEP_3) | instskip(NEXT) | instid1(VALU_DEP_3)
	v_mov_b32_e32 v1, v10
	v_mov_b32_e32 v5, v11
	s_cbranch_scc1 .LBB409_1112
.LBB409_1113:
	s_and_not1_b32 vcc_lo, exec_lo, s6
	s_cbranch_vccnz .LBB409_1116
; %bb.1114:
	s_clause 0x1
	s_load_b128 s[4:7], s[16:17], 0x4
	s_load_b64 s[2:3], s[16:17], 0xc4
	s_cmp_lt_u32 s24, 2
	s_waitcnt lgkmcnt(0)
	v_mul_hi_u32 v1, s5, v4
	s_delay_alu instid0(VALU_DEP_1) | instskip(NEXT) | instid1(VALU_DEP_1)
	v_add_nc_u32_e32 v1, v4, v1
	v_lshrrev_b32_e32 v9, s6, v1
	s_delay_alu instid0(VALU_DEP_1) | instskip(NEXT) | instid1(VALU_DEP_1)
	v_mul_lo_u32 v1, v9, s4
	v_sub_nc_u32_e32 v4, v4, v1
	s_delay_alu instid0(VALU_DEP_1)
	v_mul_lo_u32 v1, v4, s2
	s_waitcnt vmcnt(0)
	v_mul_lo_u32 v5, v4, s3
	s_cbranch_scc1 .LBB409_1116
; %bb.1115:
	s_clause 0x1
	s_load_b128 s[4:7], s[16:17], 0x10
	s_load_b64 s[2:3], s[16:17], 0xcc
	s_waitcnt lgkmcnt(0)
	v_mul_hi_u32 v4, s5, v9
	s_delay_alu instid0(VALU_DEP_1) | instskip(NEXT) | instid1(VALU_DEP_1)
	v_add_nc_u32_e32 v4, v9, v4
	v_lshrrev_b32_e32 v4, s6, v4
	s_delay_alu instid0(VALU_DEP_1) | instskip(NEXT) | instid1(VALU_DEP_1)
	v_mul_lo_u32 v4, v4, s4
	v_sub_nc_u32_e32 v4, v9, v4
	s_delay_alu instid0(VALU_DEP_1) | instskip(SKIP_1) | instid1(VALU_DEP_2)
	v_mad_u64_u32 v[9:10], null, v4, s2, v[1:2]
	v_mad_u64_u32 v[10:11], null, v4, s3, v[5:6]
	v_mov_b32_e32 v1, v9
	s_delay_alu instid0(VALU_DEP_2)
	v_mov_b32_e32 v5, v10
.LBB409_1116:
	v_cmp_ne_u32_e32 vcc_lo, 1, v0
	s_cbranch_vccnz .LBB409_1122
; %bb.1117:
	v_mov_b32_e32 v0, 0
	v_mov_b32_e32 v4, 0
	s_cmp_lg_u32 s24, 0
	s_mov_b32 s6, 0
	s_cbranch_scc0 .LBB409_1126
; %bb.1118:
	s_min_u32 s7, s25, 15
	v_mov_b32_e32 v0, 0
	s_add_i32 s7, s7, 1
	s_cmp_eq_u32 s25, 2
	s_mov_b32 s10, 0
	s_cbranch_scc1 .LBB409_1123
; %bb.1119:
	v_dual_mov_b32 v4, 0 :: v_dual_mov_b32 v9, v8
	v_mov_b32_e32 v0, 0
	s_add_u32 s2, s16, 0xc4
	s_addc_u32 s3, s17, 0
	s_and_b32 s10, s7, 28
	s_mov_b32 s11, 0
	s_mov_b64 s[4:5], s[16:17]
.LBB409_1120:                           ; =>This Inner Loop Header: Depth=1
	s_clause 0x1
	s_load_b256 s[36:43], s[4:5], 0x4
	s_load_b128 s[12:15], s[4:5], 0x24
	s_load_b256 s[44:51], s[2:3], 0x0
	s_add_u32 s4, s4, 48
	s_addc_u32 s5, s5, 0
	s_add_i32 s11, s11, 4
	s_add_u32 s2, s2, 32
	s_addc_u32 s3, s3, 0
	s_cmp_lg_u32 s10, s11
	s_waitcnt lgkmcnt(0)
	v_mul_hi_u32 v10, s37, v9
	s_delay_alu instid0(VALU_DEP_1) | instskip(NEXT) | instid1(VALU_DEP_1)
	v_add_nc_u32_e32 v10, v9, v10
	v_lshrrev_b32_e32 v10, s38, v10
	s_delay_alu instid0(VALU_DEP_1) | instskip(SKIP_1) | instid1(VALU_DEP_2)
	v_mul_hi_u32 v11, s40, v10
	v_mul_lo_u32 v13, v10, s36
	v_add_nc_u32_e32 v11, v10, v11
	s_delay_alu instid0(VALU_DEP_2) | instskip(NEXT) | instid1(VALU_DEP_2)
	v_sub_nc_u32_e32 v9, v9, v13
	v_lshrrev_b32_e32 v11, s41, v11
	s_delay_alu instid0(VALU_DEP_2) | instskip(SKIP_1) | instid1(VALU_DEP_3)
	v_mul_lo_u32 v13, v9, s44
	v_mul_lo_u32 v15, v9, s45
	v_mul_hi_u32 v12, s43, v11
	s_delay_alu instid0(VALU_DEP_1) | instskip(NEXT) | instid1(VALU_DEP_1)
	v_add_nc_u32_e32 v12, v11, v12
	v_lshrrev_b32_e32 v12, s12, v12
	s_delay_alu instid0(VALU_DEP_1) | instskip(SKIP_1) | instid1(VALU_DEP_2)
	v_mul_hi_u32 v14, s14, v12
	v_mul_lo_u32 v16, v12, s42
	v_add_nc_u32_e32 v9, v12, v14
	v_mul_lo_u32 v14, v11, s39
	s_delay_alu instid0(VALU_DEP_3) | instskip(NEXT) | instid1(VALU_DEP_3)
	v_sub_nc_u32_e32 v11, v11, v16
	v_lshrrev_b32_e32 v9, s15, v9
	s_delay_alu instid0(VALU_DEP_2) | instskip(SKIP_2) | instid1(VALU_DEP_4)
	v_mul_lo_u32 v16, v11, s48
	v_mul_lo_u32 v11, v11, s49
	v_sub_nc_u32_e32 v10, v10, v14
	v_mul_lo_u32 v17, v9, s13
	s_delay_alu instid0(VALU_DEP_2) | instskip(SKIP_1) | instid1(VALU_DEP_3)
	v_mul_lo_u32 v14, v10, s46
	v_mul_lo_u32 v10, v10, s47
	v_sub_nc_u32_e32 v12, v12, v17
	s_delay_alu instid0(VALU_DEP_3) | instskip(NEXT) | instid1(VALU_DEP_2)
	v_add3_u32 v0, v13, v0, v14
	v_mul_lo_u32 v17, v12, s50
	v_mul_lo_u32 v12, v12, s51
	v_add3_u32 v4, v15, v4, v10
	s_delay_alu instid0(VALU_DEP_3) | instskip(NEXT) | instid1(VALU_DEP_2)
	v_add3_u32 v0, v16, v0, v17
	v_add3_u32 v4, v11, v4, v12
	s_cbranch_scc1 .LBB409_1120
; %bb.1121:
	s_and_b32 s7, s7, 3
	s_delay_alu instid0(SALU_CYCLE_1)
	s_cmp_eq_u32 s7, 0
	s_cbranch_scc0 .LBB409_1124
	s_branch .LBB409_1126
.LBB409_1122:
	s_mov_b32 s6, -1
                                        ; implicit-def: $vgpr0
                                        ; implicit-def: $vgpr4
	s_branch .LBB409_1126
.LBB409_1123:
	v_dual_mov_b32 v9, v8 :: v_dual_mov_b32 v4, 0
	s_and_b32 s7, s7, 3
	s_delay_alu instid0(SALU_CYCLE_1)
	s_cmp_eq_u32 s7, 0
	s_cbranch_scc1 .LBB409_1126
.LBB409_1124:
	s_lshl_b32 s2, s10, 3
	s_mul_i32 s4, s10, 12
	s_add_u32 s2, s2, s16
	s_addc_u32 s3, 0, s17
	s_add_u32 s2, s2, 0xc4
	s_addc_u32 s3, s3, 0
	;; [unrolled: 2-line block ×3, first 2 shown]
	.p2align	6
.LBB409_1125:                           ; =>This Inner Loop Header: Depth=1
	s_clause 0x1
	s_load_b64 s[10:11], s[4:5], 0x4
	s_load_b32 s14, s[4:5], 0xc
	s_load_b64 s[12:13], s[2:3], 0x0
	s_add_u32 s4, s4, 12
	s_addc_u32 s5, s5, 0
	s_add_u32 s2, s2, 8
	s_addc_u32 s3, s3, 0
	s_add_i32 s7, s7, -1
	s_delay_alu instid0(SALU_CYCLE_1) | instskip(SKIP_2) | instid1(VALU_DEP_1)
	s_cmp_lg_u32 s7, 0
	s_waitcnt lgkmcnt(0)
	v_mul_hi_u32 v10, s11, v9
	v_add_nc_u32_e32 v10, v9, v10
	s_delay_alu instid0(VALU_DEP_1) | instskip(NEXT) | instid1(VALU_DEP_1)
	v_lshrrev_b32_e32 v13, s14, v10
	v_mul_lo_u32 v10, v13, s10
	s_delay_alu instid0(VALU_DEP_1) | instskip(NEXT) | instid1(VALU_DEP_1)
	v_sub_nc_u32_e32 v9, v9, v10
	v_mad_u64_u32 v[10:11], null, v9, s12, v[0:1]
	s_waitcnt vmcnt(0)
	v_mad_u64_u32 v[11:12], null, v9, s13, v[4:5]
	s_delay_alu instid0(VALU_DEP_2) | instskip(NEXT) | instid1(VALU_DEP_2)
	v_dual_mov_b32 v9, v13 :: v_dual_mov_b32 v0, v10
	v_mov_b32_e32 v4, v11
	s_cbranch_scc1 .LBB409_1125
.LBB409_1126:
	s_and_not1_b32 vcc_lo, exec_lo, s6
	s_cbranch_vccnz .LBB409_1129
; %bb.1127:
	s_clause 0x1
	s_load_b128 s[4:7], s[16:17], 0x4
	s_load_b64 s[2:3], s[16:17], 0xc4
	s_cmp_lt_u32 s24, 2
	s_waitcnt lgkmcnt(0)
	v_mul_hi_u32 v0, s5, v8
	s_delay_alu instid0(VALU_DEP_1) | instskip(NEXT) | instid1(VALU_DEP_1)
	v_add_nc_u32_e32 v0, v8, v0
	v_lshrrev_b32_e32 v9, s6, v0
	s_delay_alu instid0(VALU_DEP_1) | instskip(NEXT) | instid1(VALU_DEP_1)
	v_mul_lo_u32 v0, v9, s4
	v_sub_nc_u32_e32 v4, v8, v0
	s_delay_alu instid0(VALU_DEP_1)
	v_mul_lo_u32 v0, v4, s2
	v_mul_lo_u32 v4, v4, s3
	s_cbranch_scc1 .LBB409_1129
; %bb.1128:
	s_clause 0x1
	s_load_b128 s[4:7], s[16:17], 0x10
	s_load_b64 s[2:3], s[16:17], 0xcc
	s_waitcnt lgkmcnt(0)
	v_mul_hi_u32 v8, s5, v9
	s_delay_alu instid0(VALU_DEP_1) | instskip(NEXT) | instid1(VALU_DEP_1)
	v_add_nc_u32_e32 v8, v9, v8
	v_lshrrev_b32_e32 v8, s6, v8
	s_delay_alu instid0(VALU_DEP_1) | instskip(NEXT) | instid1(VALU_DEP_1)
	v_mul_lo_u32 v8, v8, s4
	v_sub_nc_u32_e32 v11, v9, v8
	s_delay_alu instid0(VALU_DEP_1) | instskip(SKIP_2) | instid1(VALU_DEP_2)
	v_mad_u64_u32 v[8:9], null, v11, s2, v[0:1]
	s_waitcnt vmcnt(0)
	v_mad_u64_u32 v[9:10], null, v11, s3, v[4:5]
	v_mov_b32_e32 v0, v8
	s_delay_alu instid0(VALU_DEP_2)
	v_mov_b32_e32 v4, v9
.LBB409_1129:
	s_clause 0x1
	s_load_b32 s0, s[0:1], 0x160
	s_load_b128 s[4:7], s[16:17], 0x148
	s_mov_b32 s10, 0
	s_waitcnt lgkmcnt(0)
	s_lshr_b32 s1, s0, 24
	v_add_co_u32 v7, s3, s6, v7
	v_cmp_lt_i16_e64 s2, s1, 11
	v_add_co_ci_u32_e64 v8, null, s7, 0, s3
	s_delay_alu instid0(VALU_DEP_2)
	s_and_b32 vcc_lo, exec_lo, s2
	s_cbranch_vccnz .LBB409_1136
; %bb.1130:
	v_cmp_gt_i16_e64 s2, s1, 25
	s_mov_b32 s3, 0
	s_delay_alu instid0(VALU_DEP_1)
	s_and_b32 vcc_lo, exec_lo, s2
	s_cbranch_vccz .LBB409_1142
; %bb.1131:
	v_cmp_gt_i16_e64 s2, s1, 28
	s_delay_alu instid0(VALU_DEP_1)
	s_and_b32 vcc_lo, exec_lo, s2
	s_cbranch_vccz .LBB409_1144
; %bb.1132:
	v_cmp_gt_i16_e64 s2, s1, 43
	;; [unrolled: 5-line block ×3, first 2 shown]
	s_delay_alu instid0(VALU_DEP_1)
	s_and_b32 vcc_lo, exec_lo, s2
	s_cbranch_vccz .LBB409_1150
; %bb.1134:
	v_cmp_eq_u16_e64 s2, s1, 46
	s_mov_b32 s11, 0
	s_delay_alu instid0(VALU_DEP_1)
	s_and_b32 vcc_lo, exec_lo, s2
	s_cbranch_vccz .LBB409_1192
; %bb.1135:
	global_load_b32 v9, v[7:8], off
	s_mov_b32 s2, 0
	s_mov_b32 s10, -1
	s_waitcnt vmcnt(0)
	v_lshlrev_b32_e32 v9, 16, v9
	s_delay_alu instid0(VALU_DEP_1)
	v_cvt_f16_f32_e32 v9, v9
	s_branch .LBB409_1194
.LBB409_1136:
	s_mov_b32 s2, s8
                                        ; implicit-def: $vgpr9
	s_cbranch_execz .LBB409_1257
; %bb.1137:
	v_cmp_lt_i16_e64 s3, s1, 5
	s_delay_alu instid0(VALU_DEP_1)
	s_and_b32 vcc_lo, exec_lo, s3
	s_cbranch_vccnz .LBB409_1143
; %bb.1138:
	v_cmp_lt_i16_e64 s3, s1, 8
	s_delay_alu instid0(VALU_DEP_1)
	s_and_b32 vcc_lo, exec_lo, s3
	s_cbranch_vccnz .LBB409_1145
	;; [unrolled: 5-line block ×3, first 2 shown]
; %bb.1140:
	v_cmp_gt_i16_e64 s3, s1, 9
	s_delay_alu instid0(VALU_DEP_1)
	s_and_b32 vcc_lo, exec_lo, s3
	s_cbranch_vccz .LBB409_1151
; %bb.1141:
	global_load_b64 v[9:10], v[7:8], off
	s_mov_b32 s3, 0
	s_waitcnt vmcnt(0)
	v_cvt_f32_f64_e32 v9, v[9:10]
	s_delay_alu instid0(VALU_DEP_1)
	v_cvt_f16_f32_e32 v9, v9
	s_branch .LBB409_1152
.LBB409_1142:
	s_mov_b32 s2, 0
                                        ; implicit-def: $vgpr9
	s_cbranch_execnz .LBB409_1222
	s_branch .LBB409_1253
.LBB409_1143:
                                        ; implicit-def: $vgpr9
	s_branch .LBB409_1169
.LBB409_1144:
	s_mov_b32 s11, -1
	s_mov_b32 s2, 0
                                        ; implicit-def: $vgpr9
	s_branch .LBB409_1203
.LBB409_1145:
                                        ; implicit-def: $vgpr9
	s_branch .LBB409_1158
.LBB409_1146:
	s_mov_b32 s2, 0
                                        ; implicit-def: $vgpr9
	s_cbranch_execnz .LBB409_1199
	s_branch .LBB409_1202
.LBB409_1147:
	s_mov_b32 s3, -1
                                        ; implicit-def: $vgpr9
	s_branch .LBB409_1155
.LBB409_1148:
	s_cbranch_execnz .LBB409_1190
; %bb.1149:
	s_or_b32 s3, s3, exec_lo
	s_and_not1_b32 s8, s8, exec_lo
	s_or_b32 exec_lo, exec_lo, s2
	s_and_saveexec_b32 s2, s8
	s_delay_alu instid0(SALU_CYCLE_1)
	s_xor_b32 s2, exec_lo, s2
	s_cbranch_execnz .LBB409_1036
	s_branch .LBB409_1037
.LBB409_1150:
	s_mov_b32 s11, -1
	s_mov_b32 s2, 0
	s_branch .LBB409_1193
.LBB409_1151:
	s_mov_b32 s3, -1
                                        ; implicit-def: $vgpr9
.LBB409_1152:
	s_delay_alu instid0(SALU_CYCLE_1)
	s_and_not1_b32 vcc_lo, exec_lo, s3
	s_cbranch_vccnz .LBB409_1154
; %bb.1153:
	global_load_b32 v9, v[7:8], off
	s_waitcnt vmcnt(0)
	v_cvt_f16_f32_e32 v9, v9
.LBB409_1154:
	s_mov_b32 s3, 0
.LBB409_1155:
	s_delay_alu instid0(SALU_CYCLE_1)
	s_and_not1_b32 vcc_lo, exec_lo, s3
	s_cbranch_vccnz .LBB409_1157
; %bb.1156:
	global_load_b32 v9, v[7:8], off
.LBB409_1157:
	s_cbranch_execnz .LBB409_1168
.LBB409_1158:
	v_cmp_lt_i16_e64 s3, s1, 6
	s_delay_alu instid0(VALU_DEP_1)
	s_and_b32 vcc_lo, exec_lo, s3
	s_cbranch_vccnz .LBB409_1161
; %bb.1159:
	v_cmp_gt_i16_e64 s3, s1, 6
	s_delay_alu instid0(VALU_DEP_1)
	s_and_b32 vcc_lo, exec_lo, s3
	s_cbranch_vccz .LBB409_1162
; %bb.1160:
	global_load_b64 v[9:10], v[7:8], off
	s_mov_b32 s3, 0
	s_waitcnt vmcnt(0)
	v_cvt_f32_f64_e32 v9, v[9:10]
	s_delay_alu instid0(VALU_DEP_1)
	v_cvt_f16_f32_e32 v9, v9
	s_branch .LBB409_1163
.LBB409_1161:
	s_mov_b32 s3, -1
                                        ; implicit-def: $vgpr9
	s_branch .LBB409_1166
.LBB409_1162:
	s_mov_b32 s3, -1
                                        ; implicit-def: $vgpr9
.LBB409_1163:
	s_delay_alu instid0(SALU_CYCLE_1)
	s_and_not1_b32 vcc_lo, exec_lo, s3
	s_cbranch_vccnz .LBB409_1165
; %bb.1164:
	global_load_b32 v9, v[7:8], off
	s_waitcnt vmcnt(0)
	v_cvt_f16_f32_e32 v9, v9
.LBB409_1165:
	s_mov_b32 s3, 0
.LBB409_1166:
	s_delay_alu instid0(SALU_CYCLE_1)
	s_and_not1_b32 vcc_lo, exec_lo, s3
	s_cbranch_vccnz .LBB409_1168
; %bb.1167:
	global_load_u16 v9, v[7:8], off
.LBB409_1168:
	s_cbranch_execnz .LBB409_1187
.LBB409_1169:
	v_cmp_lt_i16_e64 s3, s1, 2
	s_delay_alu instid0(VALU_DEP_1)
	s_and_b32 vcc_lo, exec_lo, s3
	s_cbranch_vccnz .LBB409_1173
; %bb.1170:
	v_cmp_lt_i16_e64 s3, s1, 3
	s_delay_alu instid0(VALU_DEP_1)
	s_and_b32 vcc_lo, exec_lo, s3
	s_cbranch_vccnz .LBB409_1174
; %bb.1171:
	v_cmp_gt_i16_e64 s3, s1, 3
	s_delay_alu instid0(VALU_DEP_1)
	s_and_b32 vcc_lo, exec_lo, s3
	s_cbranch_vccz .LBB409_1175
; %bb.1172:
	global_load_b64 v[9:10], v[7:8], off
	s_mov_b32 s3, 0
	s_waitcnt vmcnt(0)
	v_xor_b32_e32 v11, v9, v10
	v_cls_i32_e32 v12, v10
	s_delay_alu instid0(VALU_DEP_2) | instskip(NEXT) | instid1(VALU_DEP_2)
	v_ashrrev_i32_e32 v11, 31, v11
	v_add_nc_u32_e32 v12, -1, v12
	s_delay_alu instid0(VALU_DEP_2) | instskip(NEXT) | instid1(VALU_DEP_1)
	v_add_nc_u32_e32 v11, 32, v11
	v_min_u32_e32 v11, v12, v11
	s_delay_alu instid0(VALU_DEP_1) | instskip(NEXT) | instid1(VALU_DEP_1)
	v_lshlrev_b64 v[9:10], v11, v[9:10]
	v_min_u32_e32 v9, 1, v9
	s_delay_alu instid0(VALU_DEP_1) | instskip(SKIP_1) | instid1(VALU_DEP_2)
	v_or_b32_e32 v9, v10, v9
	v_sub_nc_u32_e32 v10, 32, v11
	v_cvt_f32_i32_e32 v9, v9
	s_delay_alu instid0(VALU_DEP_1) | instskip(NEXT) | instid1(VALU_DEP_1)
	v_ldexp_f32 v9, v9, v10
	v_cvt_f16_f32_e32 v9, v9
	s_branch .LBB409_1176
.LBB409_1173:
                                        ; implicit-def: $vgpr9
	s_branch .LBB409_1182
.LBB409_1174:
	s_mov_b32 s3, -1
                                        ; implicit-def: $vgpr9
	s_branch .LBB409_1179
.LBB409_1175:
	s_mov_b32 s3, -1
                                        ; implicit-def: $vgpr9
.LBB409_1176:
	s_delay_alu instid0(SALU_CYCLE_1)
	s_and_not1_b32 vcc_lo, exec_lo, s3
	s_cbranch_vccnz .LBB409_1178
; %bb.1177:
	global_load_b32 v9, v[7:8], off
	s_waitcnt vmcnt(0)
	v_cvt_f32_i32_e32 v9, v9
	s_delay_alu instid0(VALU_DEP_1)
	v_cvt_f16_f32_e32 v9, v9
.LBB409_1178:
	s_mov_b32 s3, 0
.LBB409_1179:
	s_delay_alu instid0(SALU_CYCLE_1)
	s_and_not1_b32 vcc_lo, exec_lo, s3
	s_cbranch_vccnz .LBB409_1181
; %bb.1180:
	global_load_u16 v9, v[7:8], off
	s_waitcnt vmcnt(0)
	v_cvt_f16_i16_e32 v9, v9
.LBB409_1181:
	s_cbranch_execnz .LBB409_1187
.LBB409_1182:
	v_cmp_gt_i16_e64 s3, s1, 0
	s_delay_alu instid0(VALU_DEP_1)
	s_and_b32 vcc_lo, exec_lo, s3
	s_mov_b32 s3, 0
	s_cbranch_vccz .LBB409_1184
; %bb.1183:
	global_load_i8 v9, v[7:8], off
	s_waitcnt vmcnt(0)
	v_cvt_f16_i16_e32 v9, v9
	s_branch .LBB409_1185
.LBB409_1184:
	s_mov_b32 s3, -1
                                        ; implicit-def: $vgpr9
.LBB409_1185:
	s_delay_alu instid0(SALU_CYCLE_1)
	s_and_not1_b32 vcc_lo, exec_lo, s3
	s_cbranch_vccnz .LBB409_1187
; %bb.1186:
	global_load_u8 v7, v[7:8], off
	s_waitcnt vmcnt(0)
	v_cvt_f16_u16_e32 v9, v7
.LBB409_1187:
	s_branch .LBB409_1258
.LBB409_1188:
	s_trap 2
	s_sendmsg_rtn_b32 s0, sendmsg(MSG_RTN_GET_DOORBELL)
	s_mov_b32 ttmp2, m0
	s_waitcnt lgkmcnt(0)
	s_and_b32 s0, s0, 0x3ff
	s_delay_alu instid0(SALU_CYCLE_1) | instskip(NEXT) | instid1(SALU_CYCLE_1)
	s_bitset1_b32 s0, 10
	s_mov_b32 m0, s0
	s_sendmsg sendmsg(MSG_INTERRUPT)
	s_mov_b32 m0, ttmp2
.LBB409_1189:                           ; =>This Inner Loop Header: Depth=1
	s_sethalt 5
	s_branch .LBB409_1189
.LBB409_1190:
	s_trap 2
	s_sendmsg_rtn_b32 s0, sendmsg(MSG_RTN_GET_DOORBELL)
	s_mov_b32 ttmp2, m0
	s_waitcnt lgkmcnt(0)
	s_and_b32 s0, s0, 0x3ff
	s_delay_alu instid0(SALU_CYCLE_1) | instskip(NEXT) | instid1(SALU_CYCLE_1)
	s_bitset1_b32 s0, 10
	s_mov_b32 m0, s0
	s_sendmsg sendmsg(MSG_INTERRUPT)
	s_mov_b32 m0, ttmp2
.LBB409_1191:                           ; =>This Inner Loop Header: Depth=1
	s_sethalt 5
	s_branch .LBB409_1191
.LBB409_1192:
	s_mov_b32 s2, -1
.LBB409_1193:
                                        ; implicit-def: $vgpr9
.LBB409_1194:
	s_and_b32 vcc_lo, exec_lo, s11
	s_cbranch_vccz .LBB409_1197
; %bb.1195:
	v_cmp_eq_u16_e64 s2, s1, 44
	s_delay_alu instid0(VALU_DEP_1)
	s_and_b32 vcc_lo, exec_lo, s2
	s_cbranch_vccz .LBB409_1198
; %bb.1196:
	global_load_u8 v9, v[7:8], off
	s_mov_b32 s2, 0
	s_mov_b32 s10, -1
	s_waitcnt vmcnt(0)
	v_lshlrev_b32_e32 v10, 23, v9
	v_cmp_ne_u32_e32 vcc_lo, 0xff, v9
	s_delay_alu instid0(VALU_DEP_2) | instskip(NEXT) | instid1(VALU_DEP_1)
	v_cvt_f16_f32_e32 v10, v10
	v_cndmask_b32_e32 v10, 0x7e00, v10, vcc_lo
	v_cmp_ne_u32_e32 vcc_lo, 0, v9
	s_delay_alu instid0(VALU_DEP_2)
	v_cndmask_b32_e32 v9, 0, v10, vcc_lo
.LBB409_1197:
	s_branch .LBB409_1202
.LBB409_1198:
	s_mov_b32 s2, -1
                                        ; implicit-def: $vgpr9
	s_branch .LBB409_1202
.LBB409_1199:
	v_cmp_eq_u16_e64 s2, s1, 29
	s_delay_alu instid0(VALU_DEP_1)
	s_and_b32 vcc_lo, exec_lo, s2
	s_cbranch_vccz .LBB409_1201
; %bb.1200:
	global_load_b64 v[9:10], v[7:8], off
	s_mov_b32 s2, 0
	s_mov_b32 s10, -1
	s_mov_b32 s11, 0
	s_waitcnt vmcnt(0)
	v_clz_i32_u32_e32 v11, v10
	s_delay_alu instid0(VALU_DEP_1) | instskip(NEXT) | instid1(VALU_DEP_1)
	v_min_u32_e32 v11, 32, v11
	v_lshlrev_b64 v[9:10], v11, v[9:10]
	s_delay_alu instid0(VALU_DEP_1) | instskip(NEXT) | instid1(VALU_DEP_1)
	v_min_u32_e32 v9, 1, v9
	v_or_b32_e32 v9, v10, v9
	v_sub_nc_u32_e32 v10, 32, v11
	s_delay_alu instid0(VALU_DEP_2) | instskip(NEXT) | instid1(VALU_DEP_1)
	v_cvt_f32_u32_e32 v9, v9
	v_ldexp_f32 v9, v9, v10
	s_delay_alu instid0(VALU_DEP_1)
	v_cvt_f16_f32_e32 v9, v9
	s_branch .LBB409_1203
.LBB409_1201:
	s_mov_b32 s2, -1
                                        ; implicit-def: $vgpr9
.LBB409_1202:
	s_mov_b32 s11, 0
.LBB409_1203:
	s_delay_alu instid0(SALU_CYCLE_1)
	s_and_b32 vcc_lo, exec_lo, s11
	s_cbranch_vccz .LBB409_1221
; %bb.1204:
	v_cmp_lt_i16_e64 s10, s1, 27
	s_delay_alu instid0(VALU_DEP_1)
	s_and_b32 vcc_lo, exec_lo, s10
	s_cbranch_vccnz .LBB409_1207
; %bb.1205:
	v_cmp_gt_i16_e64 s10, s1, 27
	s_delay_alu instid0(VALU_DEP_1)
	s_and_b32 vcc_lo, exec_lo, s10
	s_cbranch_vccz .LBB409_1208
; %bb.1206:
	global_load_b32 v9, v[7:8], off
	s_mov_b32 s10, 0
	s_waitcnt vmcnt(0)
	v_cvt_f32_u32_e32 v9, v9
	s_delay_alu instid0(VALU_DEP_1)
	v_cvt_f16_f32_e32 v9, v9
	s_branch .LBB409_1209
.LBB409_1207:
	s_mov_b32 s10, -1
                                        ; implicit-def: $vgpr9
	s_branch .LBB409_1212
.LBB409_1208:
	s_mov_b32 s10, -1
                                        ; implicit-def: $vgpr9
.LBB409_1209:
	s_delay_alu instid0(SALU_CYCLE_1)
	s_and_not1_b32 vcc_lo, exec_lo, s10
	s_cbranch_vccnz .LBB409_1211
; %bb.1210:
	global_load_u16 v9, v[7:8], off
	s_waitcnt vmcnt(0)
	v_cvt_f16_u16_e32 v9, v9
.LBB409_1211:
	s_mov_b32 s10, 0
.LBB409_1212:
	s_delay_alu instid0(SALU_CYCLE_1)
	s_and_not1_b32 vcc_lo, exec_lo, s10
	s_cbranch_vccnz .LBB409_1220
; %bb.1213:
	global_load_u8 v10, v[7:8], off
	s_mov_b32 s10, 0
	s_mov_b32 s12, exec_lo
                                        ; implicit-def: $sgpr11
	s_waitcnt vmcnt(0)
	v_cmpx_lt_i16_e32 0x7f, v10
	s_xor_b32 s12, exec_lo, s12
	s_cbranch_execz .LBB409_1233
; %bb.1214:
	s_mov_b32 s10, -1
	s_mov_b32 s13, exec_lo
                                        ; implicit-def: $sgpr11
	v_cmpx_eq_u16_e32 0x80, v10
; %bb.1215:
	s_movk_i32 s11, 0x7e00
	s_xor_b32 s10, exec_lo, -1
; %bb.1216:
	s_or_b32 exec_lo, exec_lo, s13
	s_delay_alu instid0(SALU_CYCLE_1)
	s_and_b32 s10, s10, exec_lo
	s_or_saveexec_b32 s12, s12
	v_mov_b32_e32 v9, s11
	s_xor_b32 exec_lo, exec_lo, s12
	s_cbranch_execnz .LBB409_1234
.LBB409_1217:
	s_or_b32 exec_lo, exec_lo, s12
	s_and_saveexec_b32 s11, s10
	s_cbranch_execz .LBB409_1219
.LBB409_1218:
	v_and_b32_e32 v9, 0xffff, v10
	s_delay_alu instid0(VALU_DEP_1) | instskip(NEXT) | instid1(VALU_DEP_1)
	v_and_b32_e32 v11, 7, v9
	v_clz_i32_u32_e32 v12, v11
	s_delay_alu instid0(VALU_DEP_1) | instskip(NEXT) | instid1(VALU_DEP_1)
	v_min_u32_e32 v12, 32, v12
	v_subrev_nc_u32_e32 v13, 28, v12
	v_sub_nc_u32_e32 v12, 29, v12
	s_delay_alu instid0(VALU_DEP_2) | instskip(SKIP_1) | instid1(VALU_DEP_2)
	v_lshlrev_b32_e32 v13, v13, v9
	v_bfe_u32 v9, v9, 3, 4
	v_and_b32_e32 v13, 7, v13
	s_delay_alu instid0(VALU_DEP_2) | instskip(SKIP_1) | instid1(VALU_DEP_1)
	v_cmp_eq_u32_e32 vcc_lo, 0, v9
	v_dual_cndmask_b32 v9, v9, v12 :: v_dual_lshlrev_b32 v10, 24, v10
	v_dual_cndmask_b32 v11, v11, v13 :: v_dual_and_b32 v10, 0x80000000, v10
	s_delay_alu instid0(VALU_DEP_2) | instskip(NEXT) | instid1(VALU_DEP_2)
	v_lshl_add_u32 v9, v9, 23, 0x3b800000
	v_lshlrev_b32_e32 v11, 20, v11
	s_delay_alu instid0(VALU_DEP_1) | instskip(NEXT) | instid1(VALU_DEP_1)
	v_or3_b32 v9, v10, v9, v11
	v_cvt_f16_f32_e32 v9, v9
.LBB409_1219:
	s_or_b32 exec_lo, exec_lo, s11
.LBB409_1220:
	s_mov_b32 s10, -1
.LBB409_1221:
	s_branch .LBB409_1253
.LBB409_1222:
	v_cmp_gt_i16_e64 s3, s1, 22
	s_delay_alu instid0(VALU_DEP_1)
	s_and_b32 vcc_lo, exec_lo, s3
	s_cbranch_vccz .LBB409_1232
; %bb.1223:
	v_cmp_lt_i16_e64 s3, s1, 24
	s_delay_alu instid0(VALU_DEP_1)
	s_and_b32 vcc_lo, exec_lo, s3
	s_cbranch_vccnz .LBB409_1235
; %bb.1224:
	v_cmp_gt_i16_e64 s3, s1, 24
	s_delay_alu instid0(VALU_DEP_1)
	s_and_b32 vcc_lo, exec_lo, s3
	s_cbranch_vccz .LBB409_1236
; %bb.1225:
	global_load_u8 v10, v[7:8], off
	s_mov_b32 s3, 0
	s_mov_b32 s11, exec_lo
                                        ; implicit-def: $sgpr10
	s_waitcnt vmcnt(0)
	v_cmpx_lt_i16_e32 0x7f, v10
	s_xor_b32 s11, exec_lo, s11
	s_cbranch_execz .LBB409_1247
; %bb.1226:
	s_mov_b32 s3, -1
	s_mov_b32 s12, exec_lo
                                        ; implicit-def: $sgpr10
	v_cmpx_eq_u16_e32 0x80, v10
; %bb.1227:
	s_movk_i32 s10, 0x7e00
	s_xor_b32 s3, exec_lo, -1
; %bb.1228:
	s_or_b32 exec_lo, exec_lo, s12
	s_delay_alu instid0(SALU_CYCLE_1)
	s_and_b32 s3, s3, exec_lo
	s_or_saveexec_b32 s11, s11
	v_mov_b32_e32 v9, s10
	s_xor_b32 exec_lo, exec_lo, s11
	s_cbranch_execnz .LBB409_1248
.LBB409_1229:
	s_or_b32 exec_lo, exec_lo, s11
	s_and_saveexec_b32 s10, s3
	s_cbranch_execz .LBB409_1231
.LBB409_1230:
	v_and_b32_e32 v9, 0xffff, v10
	s_delay_alu instid0(VALU_DEP_1) | instskip(NEXT) | instid1(VALU_DEP_1)
	v_and_b32_e32 v11, 3, v9
	v_clz_i32_u32_e32 v12, v11
	s_delay_alu instid0(VALU_DEP_1) | instskip(NEXT) | instid1(VALU_DEP_1)
	v_min_u32_e32 v12, 32, v12
	v_subrev_nc_u32_e32 v13, 29, v12
	v_sub_nc_u32_e32 v12, 30, v12
	s_delay_alu instid0(VALU_DEP_2) | instskip(SKIP_1) | instid1(VALU_DEP_2)
	v_lshlrev_b32_e32 v13, v13, v9
	v_bfe_u32 v9, v9, 2, 5
	v_and_b32_e32 v13, 3, v13
	s_delay_alu instid0(VALU_DEP_2) | instskip(SKIP_1) | instid1(VALU_DEP_1)
	v_cmp_eq_u32_e32 vcc_lo, 0, v9
	v_dual_cndmask_b32 v9, v9, v12 :: v_dual_lshlrev_b32 v10, 24, v10
	v_dual_cndmask_b32 v11, v11, v13 :: v_dual_and_b32 v10, 0x80000000, v10
	s_delay_alu instid0(VALU_DEP_2) | instskip(NEXT) | instid1(VALU_DEP_2)
	v_lshl_add_u32 v9, v9, 23, 0x37800000
	v_lshlrev_b32_e32 v11, 21, v11
	s_delay_alu instid0(VALU_DEP_1) | instskip(NEXT) | instid1(VALU_DEP_1)
	v_or3_b32 v9, v10, v9, v11
	v_cvt_f16_f32_e32 v9, v9
.LBB409_1231:
	s_or_b32 exec_lo, exec_lo, s10
	s_mov_b32 s3, 0
	s_branch .LBB409_1237
.LBB409_1232:
                                        ; implicit-def: $vgpr9
	s_mov_b32 s3, 0
	s_branch .LBB409_1243
.LBB409_1233:
	s_or_saveexec_b32 s12, s12
	v_mov_b32_e32 v9, s11
	s_xor_b32 exec_lo, exec_lo, s12
	s_cbranch_execz .LBB409_1217
.LBB409_1234:
	v_cmp_ne_u16_e32 vcc_lo, 0, v10
	v_mov_b32_e32 v9, v10
	s_and_not1_b32 s10, s10, exec_lo
	s_and_b32 s11, vcc_lo, exec_lo
	s_delay_alu instid0(SALU_CYCLE_1)
	s_or_b32 s10, s10, s11
	s_or_b32 exec_lo, exec_lo, s12
	s_and_saveexec_b32 s11, s10
	s_cbranch_execnz .LBB409_1218
	s_branch .LBB409_1219
.LBB409_1235:
	s_mov_b32 s3, -1
                                        ; implicit-def: $vgpr9
	s_branch .LBB409_1240
.LBB409_1236:
	s_mov_b32 s3, -1
                                        ; implicit-def: $vgpr9
.LBB409_1237:
	s_delay_alu instid0(SALU_CYCLE_1)
	s_and_b32 vcc_lo, exec_lo, s3
	s_cbranch_vccz .LBB409_1239
; %bb.1238:
	global_load_u8 v9, v[7:8], off
	s_waitcnt vmcnt(0)
	v_lshlrev_b32_e32 v9, 24, v9
	s_delay_alu instid0(VALU_DEP_1) | instskip(NEXT) | instid1(VALU_DEP_1)
	v_and_b32_e32 v10, 0x7f000000, v9
	v_clz_i32_u32_e32 v11, v10
	v_add_nc_u32_e32 v13, 0x1000000, v10
	v_cmp_ne_u32_e32 vcc_lo, 0, v10
	s_delay_alu instid0(VALU_DEP_3) | instskip(NEXT) | instid1(VALU_DEP_1)
	v_min_u32_e32 v11, 32, v11
	v_sub_nc_u32_e64 v11, v11, 4 clamp
	s_delay_alu instid0(VALU_DEP_1) | instskip(SKIP_1) | instid1(VALU_DEP_2)
	v_lshlrev_b32_e32 v12, v11, v10
	v_lshlrev_b32_e32 v11, 23, v11
	v_lshrrev_b32_e32 v12, 4, v12
	s_delay_alu instid0(VALU_DEP_1) | instskip(SKIP_1) | instid1(VALU_DEP_2)
	v_sub_nc_u32_e32 v11, v12, v11
	v_ashrrev_i32_e32 v12, 8, v13
	v_add_nc_u32_e32 v11, 0x3c000000, v11
	s_delay_alu instid0(VALU_DEP_1) | instskip(NEXT) | instid1(VALU_DEP_1)
	v_and_or_b32 v11, 0x7f800000, v12, v11
	v_cndmask_b32_e32 v10, 0, v11, vcc_lo
	s_delay_alu instid0(VALU_DEP_1) | instskip(NEXT) | instid1(VALU_DEP_1)
	v_and_or_b32 v9, 0x80000000, v9, v10
	v_cvt_f16_f32_e32 v9, v9
.LBB409_1239:
	s_mov_b32 s3, 0
.LBB409_1240:
	s_delay_alu instid0(SALU_CYCLE_1)
	s_and_not1_b32 vcc_lo, exec_lo, s3
	s_cbranch_vccnz .LBB409_1242
; %bb.1241:
	global_load_u8 v9, v[7:8], off
	s_waitcnt vmcnt(0)
	v_lshlrev_b32_e32 v10, 25, v9
	v_lshlrev_b16 v9, 8, v9
	s_delay_alu instid0(VALU_DEP_2) | instskip(NEXT) | instid1(VALU_DEP_2)
	v_lshrrev_b32_e32 v11, 4, v10
	v_and_or_b32 v12, 0x7f00, v9, 0.5
	v_bfe_i32 v9, v9, 0, 16
	s_delay_alu instid0(VALU_DEP_3) | instskip(NEXT) | instid1(VALU_DEP_1)
	v_or_b32_e32 v11, 0x70000000, v11
	v_dual_add_f32 v12, -0.5, v12 :: v_dual_mul_f32 v11, 0x7800000, v11
	v_cmp_gt_u32_e32 vcc_lo, 0x8000000, v10
	s_delay_alu instid0(VALU_DEP_2) | instskip(NEXT) | instid1(VALU_DEP_1)
	v_cndmask_b32_e32 v10, v11, v12, vcc_lo
	v_and_or_b32 v9, 0x80000000, v9, v10
	s_delay_alu instid0(VALU_DEP_1)
	v_cvt_f16_f32_e32 v9, v9
.LBB409_1242:
	s_mov_b32 s10, -1
	s_mov_b32 s3, 0
	s_cbranch_execnz .LBB409_1253
.LBB409_1243:
	v_cmp_gt_i16_e64 s3, s1, 14
	s_delay_alu instid0(VALU_DEP_1)
	s_and_b32 vcc_lo, exec_lo, s3
	s_cbranch_vccz .LBB409_1246
; %bb.1244:
	v_cmp_eq_u16_e64 s2, s1, 15
	s_delay_alu instid0(VALU_DEP_1)
	s_and_b32 vcc_lo, exec_lo, s2
	s_cbranch_vccz .LBB409_1249
; %bb.1245:
	global_load_u16 v9, v[7:8], off
	s_mov_b32 s2, 0
	s_mov_b32 s10, -1
	s_waitcnt vmcnt(0)
	v_lshlrev_b32_e32 v9, 16, v9
	s_delay_alu instid0(VALU_DEP_1)
	v_cvt_f16_f32_e32 v9, v9
	s_branch .LBB409_1250
.LBB409_1246:
	s_mov_b32 s3, -1
                                        ; implicit-def: $vgpr9
	s_branch .LBB409_1251
.LBB409_1247:
	s_or_saveexec_b32 s11, s11
	v_mov_b32_e32 v9, s10
	s_xor_b32 exec_lo, exec_lo, s11
	s_cbranch_execz .LBB409_1229
.LBB409_1248:
	v_cmp_ne_u16_e32 vcc_lo, 0, v10
	v_mov_b32_e32 v9, v10
	s_and_not1_b32 s3, s3, exec_lo
	s_and_b32 s10, vcc_lo, exec_lo
	s_delay_alu instid0(SALU_CYCLE_1)
	s_or_b32 s3, s3, s10
	s_or_b32 exec_lo, exec_lo, s11
	s_and_saveexec_b32 s10, s3
	s_cbranch_execnz .LBB409_1230
	s_branch .LBB409_1231
.LBB409_1249:
	s_mov_b32 s2, -1
                                        ; implicit-def: $vgpr9
.LBB409_1250:
	s_mov_b32 s3, 0
.LBB409_1251:
	s_delay_alu instid0(SALU_CYCLE_1)
	s_and_b32 vcc_lo, exec_lo, s3
	s_mov_b32 s3, 0
	s_cbranch_vccz .LBB409_1253
; %bb.1252:
	v_cmp_ne_u16_e64 s2, s1, 11
	s_mov_b32 s3, -1
                                        ; implicit-def: $vgpr9
.LBB409_1253:
	s_delay_alu instid0(VALU_DEP_1)
	s_and_b32 vcc_lo, exec_lo, s2
	s_mov_b32 s2, s8
	s_cbranch_vccnz .LBB409_1277
; %bb.1254:
	s_and_not1_b32 vcc_lo, exec_lo, s3
	s_cbranch_vccnz .LBB409_1256
.LBB409_1255:
	global_load_u8 v9, v[7:8], off
	s_mov_b32 s10, -1
	s_waitcnt vmcnt(0)
	v_cmp_ne_u16_e32 vcc_lo, 0, v9
	v_cndmask_b32_e64 v9, 0, 0x3c00, vcc_lo
.LBB409_1256:
.LBB409_1257:
	s_and_not1_b32 vcc_lo, exec_lo, s10
	s_cbranch_vccnz .LBB409_2090
.LBB409_1258:
	v_cmp_lt_i16_e64 s3, s1, 11
	v_add_co_u32 v6, s10, s6, v6
	s_delay_alu instid0(VALU_DEP_1) | instskip(NEXT) | instid1(VALU_DEP_3)
	v_add_co_ci_u32_e64 v7, null, s7, 0, s10
	s_and_b32 vcc_lo, exec_lo, s3
	s_mov_b32 s11, 0
	s_cbranch_vccnz .LBB409_1265
; %bb.1259:
	v_cmp_gt_i16_e64 s3, s1, 25
	s_mov_b32 s10, 0
	s_delay_alu instid0(VALU_DEP_1)
	s_and_b32 vcc_lo, exec_lo, s3
	s_cbranch_vccz .LBB409_1271
; %bb.1260:
	v_cmp_gt_i16_e64 s3, s1, 28
	s_delay_alu instid0(VALU_DEP_1)
	s_and_b32 vcc_lo, exec_lo, s3
	s_cbranch_vccz .LBB409_1273
; %bb.1261:
	v_cmp_gt_i16_e64 s3, s1, 43
	s_delay_alu instid0(VALU_DEP_1)
	s_and_b32 vcc_lo, exec_lo, s3
	s_cbranch_vccz .LBB409_1275
; %bb.1262:
	v_cmp_gt_i16_e64 s3, s1, 45
	s_delay_alu instid0(VALU_DEP_1)
	s_and_b32 vcc_lo, exec_lo, s3
	s_cbranch_vccz .LBB409_1281
; %bb.1263:
	v_cmp_eq_u16_e64 s3, s1, 46
	s_mov_b32 s12, 0
	s_delay_alu instid0(VALU_DEP_1)
	s_and_b32 vcc_lo, exec_lo, s3
	s_cbranch_vccz .LBB409_1325
; %bb.1264:
	global_load_b32 v8, v[6:7], off
	s_mov_b32 s3, 0
	s_mov_b32 s11, -1
	s_waitcnt vmcnt(0)
	v_lshlrev_b32_e32 v8, 16, v8
	s_delay_alu instid0(VALU_DEP_1)
	v_cvt_f16_f32_e32 v8, v8
	s_branch .LBB409_1327
.LBB409_1265:
                                        ; implicit-def: $vgpr8
	s_cbranch_execz .LBB409_1392
; %bb.1266:
	v_cmp_lt_i16_e64 s3, s1, 5
	s_delay_alu instid0(VALU_DEP_1)
	s_and_b32 vcc_lo, exec_lo, s3
	s_cbranch_vccnz .LBB409_1272
; %bb.1267:
	v_cmp_lt_i16_e64 s3, s1, 8
	s_delay_alu instid0(VALU_DEP_1)
	s_and_b32 vcc_lo, exec_lo, s3
	s_cbranch_vccnz .LBB409_1274
	;; [unrolled: 5-line block ×3, first 2 shown]
; %bb.1269:
	v_cmp_gt_i16_e64 s3, s1, 9
	s_delay_alu instid0(VALU_DEP_1)
	s_and_b32 vcc_lo, exec_lo, s3
	s_cbranch_vccz .LBB409_1282
; %bb.1270:
	global_load_b64 v[10:11], v[6:7], off
	s_mov_b32 s3, 0
	s_waitcnt vmcnt(0)
	v_cvt_f32_f64_e32 v8, v[10:11]
	s_delay_alu instid0(VALU_DEP_1)
	v_cvt_f16_f32_e32 v8, v8
	s_branch .LBB409_1283
.LBB409_1271:
	s_mov_b32 s3, 0
                                        ; implicit-def: $vgpr8
	s_cbranch_execnz .LBB409_1356
	s_branch .LBB409_1388
.LBB409_1272:
                                        ; implicit-def: $vgpr8
	s_branch .LBB409_1301
.LBB409_1273:
	s_mov_b32 s12, -1
	s_mov_b32 s3, 0
                                        ; implicit-def: $vgpr8
	s_branch .LBB409_1337
.LBB409_1274:
	s_mov_b32 s3, -1
                                        ; implicit-def: $vgpr8
	s_branch .LBB409_1289
.LBB409_1275:
	s_mov_b32 s12, -1
	s_mov_b32 s3, 0
                                        ; implicit-def: $vgpr8
	s_branch .LBB409_1332
.LBB409_1276:
	s_mov_b32 s3, -1
                                        ; implicit-def: $vgpr8
	s_branch .LBB409_1286
.LBB409_1277:
	s_cbranch_execnz .LBB409_1321
; %bb.1278:
	s_or_b32 s2, s8, exec_lo
                                        ; implicit-def: $vgpr9
	s_cbranch_execz .LBB409_1255
	s_branch .LBB409_1256
.LBB409_1279:
	s_or_saveexec_b32 s7, s7
                                        ; implicit-def: $sgpr8
	s_delay_alu instid0(SALU_CYCLE_1)
	s_xor_b32 exec_lo, exec_lo, s7
	s_cbranch_execz .LBB409_987
.LBB409_1280:
	v_add_f32_e64 v5, 0x46000000, |v0|
	s_and_not1_b32 s5, s5, exec_lo
	s_mov_b32 s8, 0
	s_delay_alu instid0(VALU_DEP_1) | instskip(NEXT) | instid1(VALU_DEP_1)
	v_and_b32_e32 v5, 0xff, v5
	v_cmp_ne_u32_e32 vcc_lo, 0, v5
	s_and_b32 s9, vcc_lo, exec_lo
	s_delay_alu instid0(SALU_CYCLE_1)
	s_or_b32 s5, s5, s9
	s_or_b32 exec_lo, exec_lo, s7
	v_mov_b32_e32 v6, s8
	s_and_saveexec_b32 s7, s5
	s_cbranch_execnz .LBB409_988
	s_branch .LBB409_989
.LBB409_1281:
	s_mov_b32 s12, -1
	s_mov_b32 s3, 0
	s_branch .LBB409_1326
.LBB409_1282:
	s_mov_b32 s3, -1
                                        ; implicit-def: $vgpr8
.LBB409_1283:
	s_delay_alu instid0(SALU_CYCLE_1)
	s_and_not1_b32 vcc_lo, exec_lo, s3
	s_cbranch_vccnz .LBB409_1285
; %bb.1284:
	global_load_b32 v8, v[6:7], off
	s_waitcnt vmcnt(0)
	v_cvt_f16_f32_e32 v8, v8
.LBB409_1285:
	s_mov_b32 s3, 0
.LBB409_1286:
	s_delay_alu instid0(SALU_CYCLE_1)
	s_and_not1_b32 vcc_lo, exec_lo, s3
	s_cbranch_vccnz .LBB409_1288
; %bb.1287:
	global_load_b32 v8, v[6:7], off
.LBB409_1288:
	s_mov_b32 s3, 0
.LBB409_1289:
	s_delay_alu instid0(SALU_CYCLE_1)
	s_and_not1_b32 vcc_lo, exec_lo, s3
	s_cbranch_vccnz .LBB409_1300
; %bb.1290:
	v_cmp_lt_i16_e64 s3, s1, 6
	s_delay_alu instid0(VALU_DEP_1)
	s_and_b32 vcc_lo, exec_lo, s3
	s_cbranch_vccnz .LBB409_1293
; %bb.1291:
	v_cmp_gt_i16_e64 s3, s1, 6
	s_delay_alu instid0(VALU_DEP_1)
	s_and_b32 vcc_lo, exec_lo, s3
	s_cbranch_vccz .LBB409_1294
; %bb.1292:
	global_load_b64 v[10:11], v[6:7], off
	s_mov_b32 s3, 0
	s_waitcnt vmcnt(0)
	v_cvt_f32_f64_e32 v8, v[10:11]
	s_delay_alu instid0(VALU_DEP_1)
	v_cvt_f16_f32_e32 v8, v8
	s_branch .LBB409_1295
.LBB409_1293:
	s_mov_b32 s3, -1
                                        ; implicit-def: $vgpr8
	s_branch .LBB409_1298
.LBB409_1294:
	s_mov_b32 s3, -1
                                        ; implicit-def: $vgpr8
.LBB409_1295:
	s_delay_alu instid0(SALU_CYCLE_1)
	s_and_not1_b32 vcc_lo, exec_lo, s3
	s_cbranch_vccnz .LBB409_1297
; %bb.1296:
	global_load_b32 v8, v[6:7], off
	s_waitcnt vmcnt(0)
	v_cvt_f16_f32_e32 v8, v8
.LBB409_1297:
	s_mov_b32 s3, 0
.LBB409_1298:
	s_delay_alu instid0(SALU_CYCLE_1)
	s_and_not1_b32 vcc_lo, exec_lo, s3
	s_cbranch_vccnz .LBB409_1300
; %bb.1299:
	global_load_u16 v8, v[6:7], off
.LBB409_1300:
	s_cbranch_execnz .LBB409_1320
.LBB409_1301:
	v_cmp_lt_i16_e64 s3, s1, 2
	s_delay_alu instid0(VALU_DEP_1)
	s_and_b32 vcc_lo, exec_lo, s3
	s_cbranch_vccnz .LBB409_1305
; %bb.1302:
	v_cmp_lt_i16_e64 s3, s1, 3
	s_delay_alu instid0(VALU_DEP_1)
	s_and_b32 vcc_lo, exec_lo, s3
	s_cbranch_vccnz .LBB409_1306
; %bb.1303:
	v_cmp_gt_i16_e64 s3, s1, 3
	s_delay_alu instid0(VALU_DEP_1)
	s_and_b32 vcc_lo, exec_lo, s3
	s_cbranch_vccz .LBB409_1307
; %bb.1304:
	global_load_b64 v[10:11], v[6:7], off
	s_mov_b32 s3, 0
	s_waitcnt vmcnt(0)
	v_xor_b32_e32 v8, v10, v11
	v_cls_i32_e32 v12, v11
	s_delay_alu instid0(VALU_DEP_2) | instskip(NEXT) | instid1(VALU_DEP_2)
	v_ashrrev_i32_e32 v8, 31, v8
	v_add_nc_u32_e32 v12, -1, v12
	s_delay_alu instid0(VALU_DEP_2) | instskip(NEXT) | instid1(VALU_DEP_1)
	v_add_nc_u32_e32 v8, 32, v8
	v_min_u32_e32 v8, v12, v8
	s_delay_alu instid0(VALU_DEP_1) | instskip(SKIP_1) | instid1(VALU_DEP_2)
	v_lshlrev_b64 v[10:11], v8, v[10:11]
	v_sub_nc_u32_e32 v8, 32, v8
	v_min_u32_e32 v10, 1, v10
	s_delay_alu instid0(VALU_DEP_1) | instskip(NEXT) | instid1(VALU_DEP_1)
	v_or_b32_e32 v10, v11, v10
	v_cvt_f32_i32_e32 v10, v10
	s_delay_alu instid0(VALU_DEP_1) | instskip(NEXT) | instid1(VALU_DEP_1)
	v_ldexp_f32 v8, v10, v8
	v_cvt_f16_f32_e32 v8, v8
	s_branch .LBB409_1308
.LBB409_1305:
	s_mov_b32 s3, -1
                                        ; implicit-def: $vgpr8
	s_branch .LBB409_1314
.LBB409_1306:
	s_mov_b32 s3, -1
                                        ; implicit-def: $vgpr8
	s_branch .LBB409_1311
.LBB409_1307:
	s_mov_b32 s3, -1
                                        ; implicit-def: $vgpr8
.LBB409_1308:
	s_delay_alu instid0(SALU_CYCLE_1)
	s_and_not1_b32 vcc_lo, exec_lo, s3
	s_cbranch_vccnz .LBB409_1310
; %bb.1309:
	global_load_b32 v8, v[6:7], off
	s_waitcnt vmcnt(0)
	v_cvt_f32_i32_e32 v8, v8
	s_delay_alu instid0(VALU_DEP_1)
	v_cvt_f16_f32_e32 v8, v8
.LBB409_1310:
	s_mov_b32 s3, 0
.LBB409_1311:
	s_delay_alu instid0(SALU_CYCLE_1)
	s_and_not1_b32 vcc_lo, exec_lo, s3
	s_cbranch_vccnz .LBB409_1313
; %bb.1312:
	global_load_u16 v8, v[6:7], off
	s_waitcnt vmcnt(0)
	v_cvt_f16_i16_e32 v8, v8
.LBB409_1313:
	s_mov_b32 s3, 0
.LBB409_1314:
	s_delay_alu instid0(SALU_CYCLE_1)
	s_and_not1_b32 vcc_lo, exec_lo, s3
	s_cbranch_vccnz .LBB409_1320
; %bb.1315:
	v_cmp_gt_i16_e64 s3, s1, 0
	s_delay_alu instid0(VALU_DEP_1)
	s_and_b32 vcc_lo, exec_lo, s3
	s_mov_b32 s3, 0
	s_cbranch_vccz .LBB409_1317
; %bb.1316:
	global_load_i8 v8, v[6:7], off
	s_waitcnt vmcnt(0)
	v_cvt_f16_i16_e32 v8, v8
	s_branch .LBB409_1318
.LBB409_1317:
	s_mov_b32 s3, -1
                                        ; implicit-def: $vgpr8
.LBB409_1318:
	s_delay_alu instid0(SALU_CYCLE_1)
	s_and_not1_b32 vcc_lo, exec_lo, s3
	s_cbranch_vccnz .LBB409_1320
; %bb.1319:
	global_load_u8 v6, v[6:7], off
	s_waitcnt vmcnt(0)
	v_cvt_f16_u16_e32 v8, v6
.LBB409_1320:
	s_branch .LBB409_1393
.LBB409_1321:
	s_trap 2
	s_sendmsg_rtn_b32 s0, sendmsg(MSG_RTN_GET_DOORBELL)
	s_mov_b32 ttmp2, m0
	s_waitcnt lgkmcnt(0)
	s_and_b32 s0, s0, 0x3ff
	s_delay_alu instid0(SALU_CYCLE_1) | instskip(NEXT) | instid1(SALU_CYCLE_1)
	s_bitset1_b32 s0, 10
	s_mov_b32 m0, s0
	s_sendmsg sendmsg(MSG_INTERRUPT)
	s_mov_b32 m0, ttmp2
.LBB409_1322:                           ; =>This Inner Loop Header: Depth=1
	s_sethalt 5
	s_branch .LBB409_1322
.LBB409_1323:
	s_or_saveexec_b32 s8, s8
                                        ; implicit-def: $sgpr9
	s_delay_alu instid0(SALU_CYCLE_1)
	s_xor_b32 exec_lo, exec_lo, s8
	s_cbranch_execz .LBB409_999
.LBB409_1324:
	v_add_f32_e64 v5, 0x42800000, |v0|
	s_and_not1_b32 s7, s7, exec_lo
	s_mov_b32 s9, 0
	s_delay_alu instid0(VALU_DEP_1) | instskip(NEXT) | instid1(VALU_DEP_1)
	v_and_b32_e32 v5, 0xff, v5
	v_cmp_ne_u32_e32 vcc_lo, 0, v5
	s_and_b32 s10, vcc_lo, exec_lo
	s_delay_alu instid0(SALU_CYCLE_1)
	s_or_b32 s7, s7, s10
	s_or_b32 exec_lo, exec_lo, s8
	v_mov_b32_e32 v6, s9
	s_and_saveexec_b32 s8, s7
	s_cbranch_execnz .LBB409_1000
	s_branch .LBB409_1001
.LBB409_1325:
	s_mov_b32 s3, -1
.LBB409_1326:
                                        ; implicit-def: $vgpr8
.LBB409_1327:
	s_and_b32 vcc_lo, exec_lo, s12
	s_cbranch_vccz .LBB409_1331
; %bb.1328:
	v_cmp_eq_u16_e64 s3, s1, 44
	s_delay_alu instid0(VALU_DEP_1)
	s_and_b32 vcc_lo, exec_lo, s3
	s_cbranch_vccz .LBB409_1330
; %bb.1329:
	global_load_u8 v8, v[6:7], off
	s_mov_b32 s3, 0
	s_mov_b32 s11, -1
	s_waitcnt vmcnt(0)
	v_lshlrev_b32_e32 v10, 23, v8
	v_cmp_ne_u32_e32 vcc_lo, 0xff, v8
	s_delay_alu instid0(VALU_DEP_2) | instskip(NEXT) | instid1(VALU_DEP_1)
	v_cvt_f16_f32_e32 v10, v10
	v_cndmask_b32_e32 v10, 0x7e00, v10, vcc_lo
	v_cmp_ne_u32_e32 vcc_lo, 0, v8
	s_delay_alu instid0(VALU_DEP_2)
	v_cndmask_b32_e32 v8, 0, v10, vcc_lo
	s_branch .LBB409_1331
.LBB409_1330:
	s_mov_b32 s3, -1
                                        ; implicit-def: $vgpr8
.LBB409_1331:
	s_mov_b32 s12, 0
.LBB409_1332:
	s_delay_alu instid0(SALU_CYCLE_1)
	s_and_b32 vcc_lo, exec_lo, s12
	s_cbranch_vccz .LBB409_1336
; %bb.1333:
	v_cmp_eq_u16_e64 s3, s1, 29
	s_delay_alu instid0(VALU_DEP_1)
	s_and_b32 vcc_lo, exec_lo, s3
	s_cbranch_vccz .LBB409_1335
; %bb.1334:
	global_load_b64 v[10:11], v[6:7], off
	s_mov_b32 s3, 0
	s_mov_b32 s11, -1
	s_mov_b32 s12, 0
	s_waitcnt vmcnt(0)
	v_clz_i32_u32_e32 v8, v11
	s_delay_alu instid0(VALU_DEP_1) | instskip(NEXT) | instid1(VALU_DEP_1)
	v_min_u32_e32 v8, 32, v8
	v_lshlrev_b64 v[10:11], v8, v[10:11]
	v_sub_nc_u32_e32 v8, 32, v8
	s_delay_alu instid0(VALU_DEP_2) | instskip(NEXT) | instid1(VALU_DEP_1)
	v_min_u32_e32 v10, 1, v10
	v_or_b32_e32 v10, v11, v10
	s_delay_alu instid0(VALU_DEP_1) | instskip(NEXT) | instid1(VALU_DEP_1)
	v_cvt_f32_u32_e32 v10, v10
	v_ldexp_f32 v8, v10, v8
	s_delay_alu instid0(VALU_DEP_1)
	v_cvt_f16_f32_e32 v8, v8
	s_branch .LBB409_1337
.LBB409_1335:
	s_mov_b32 s3, -1
                                        ; implicit-def: $vgpr8
.LBB409_1336:
	s_mov_b32 s12, 0
.LBB409_1337:
	s_delay_alu instid0(SALU_CYCLE_1)
	s_and_b32 vcc_lo, exec_lo, s12
	s_cbranch_vccz .LBB409_1355
; %bb.1338:
	v_cmp_lt_i16_e64 s11, s1, 27
	s_delay_alu instid0(VALU_DEP_1)
	s_and_b32 vcc_lo, exec_lo, s11
	s_cbranch_vccnz .LBB409_1341
; %bb.1339:
	v_cmp_gt_i16_e64 s11, s1, 27
	s_delay_alu instid0(VALU_DEP_1)
	s_and_b32 vcc_lo, exec_lo, s11
	s_cbranch_vccz .LBB409_1342
; %bb.1340:
	global_load_b32 v8, v[6:7], off
	s_mov_b32 s11, 0
	s_waitcnt vmcnt(0)
	v_cvt_f32_u32_e32 v8, v8
	s_delay_alu instid0(VALU_DEP_1)
	v_cvt_f16_f32_e32 v8, v8
	s_branch .LBB409_1343
.LBB409_1341:
	s_mov_b32 s11, -1
                                        ; implicit-def: $vgpr8
	s_branch .LBB409_1346
.LBB409_1342:
	s_mov_b32 s11, -1
                                        ; implicit-def: $vgpr8
.LBB409_1343:
	s_delay_alu instid0(SALU_CYCLE_1)
	s_and_not1_b32 vcc_lo, exec_lo, s11
	s_cbranch_vccnz .LBB409_1345
; %bb.1344:
	global_load_u16 v8, v[6:7], off
	s_waitcnt vmcnt(0)
	v_cvt_f16_u16_e32 v8, v8
.LBB409_1345:
	s_mov_b32 s11, 0
.LBB409_1346:
	s_delay_alu instid0(SALU_CYCLE_1)
	s_and_not1_b32 vcc_lo, exec_lo, s11
	s_cbranch_vccnz .LBB409_1354
; %bb.1347:
	global_load_u8 v10, v[6:7], off
	s_mov_b32 s11, 0
	s_mov_b32 s13, exec_lo
                                        ; implicit-def: $sgpr12
	s_waitcnt vmcnt(0)
	v_cmpx_lt_i16_e32 0x7f, v10
	s_xor_b32 s13, exec_lo, s13
	s_cbranch_execz .LBB409_1367
; %bb.1348:
	s_mov_b32 s11, -1
	s_mov_b32 s14, exec_lo
                                        ; implicit-def: $sgpr12
	v_cmpx_eq_u16_e32 0x80, v10
; %bb.1349:
	s_movk_i32 s12, 0x7e00
	s_xor_b32 s11, exec_lo, -1
; %bb.1350:
	s_or_b32 exec_lo, exec_lo, s14
	s_delay_alu instid0(SALU_CYCLE_1)
	s_and_b32 s11, s11, exec_lo
	s_or_saveexec_b32 s13, s13
	v_mov_b32_e32 v8, s12
	s_xor_b32 exec_lo, exec_lo, s13
	s_cbranch_execnz .LBB409_1368
.LBB409_1351:
	s_or_b32 exec_lo, exec_lo, s13
	s_and_saveexec_b32 s12, s11
	s_cbranch_execz .LBB409_1353
.LBB409_1352:
	v_and_b32_e32 v8, 0xffff, v10
	v_lshlrev_b32_e32 v10, 24, v10
	s_delay_alu instid0(VALU_DEP_2) | instskip(NEXT) | instid1(VALU_DEP_2)
	v_and_b32_e32 v11, 7, v8
	v_and_b32_e32 v10, 0x80000000, v10
	s_delay_alu instid0(VALU_DEP_2) | instskip(NEXT) | instid1(VALU_DEP_1)
	v_clz_i32_u32_e32 v12, v11
	v_min_u32_e32 v12, 32, v12
	s_delay_alu instid0(VALU_DEP_1) | instskip(SKIP_1) | instid1(VALU_DEP_2)
	v_subrev_nc_u32_e32 v13, 28, v12
	v_sub_nc_u32_e32 v12, 29, v12
	v_lshlrev_b32_e32 v13, v13, v8
	v_bfe_u32 v8, v8, 3, 4
	s_delay_alu instid0(VALU_DEP_1) | instskip(NEXT) | instid1(VALU_DEP_3)
	v_cmp_eq_u32_e32 vcc_lo, 0, v8
	v_dual_cndmask_b32 v8, v8, v12 :: v_dual_and_b32 v13, 7, v13
	s_delay_alu instid0(VALU_DEP_1) | instskip(NEXT) | instid1(VALU_DEP_2)
	v_cndmask_b32_e32 v11, v11, v13, vcc_lo
	v_lshl_add_u32 v8, v8, 23, 0x3b800000
	s_delay_alu instid0(VALU_DEP_2) | instskip(NEXT) | instid1(VALU_DEP_1)
	v_lshlrev_b32_e32 v11, 20, v11
	v_or3_b32 v8, v10, v8, v11
	s_delay_alu instid0(VALU_DEP_1)
	v_cvt_f16_f32_e32 v8, v8
.LBB409_1353:
	s_or_b32 exec_lo, exec_lo, s12
.LBB409_1354:
	s_mov_b32 s11, -1
.LBB409_1355:
	s_branch .LBB409_1388
.LBB409_1356:
	v_cmp_gt_i16_e64 s10, s1, 22
	s_delay_alu instid0(VALU_DEP_1)
	s_and_b32 vcc_lo, exec_lo, s10
	s_cbranch_vccz .LBB409_1366
; %bb.1357:
	v_cmp_lt_i16_e64 s10, s1, 24
	s_delay_alu instid0(VALU_DEP_1)
	s_and_b32 vcc_lo, exec_lo, s10
	s_cbranch_vccnz .LBB409_1369
; %bb.1358:
	v_cmp_gt_i16_e64 s10, s1, 24
	s_delay_alu instid0(VALU_DEP_1)
	s_and_b32 vcc_lo, exec_lo, s10
	s_cbranch_vccz .LBB409_1370
; %bb.1359:
	global_load_u8 v10, v[6:7], off
	s_mov_b32 s10, 0
	s_mov_b32 s12, exec_lo
                                        ; implicit-def: $sgpr11
	s_waitcnt vmcnt(0)
	v_cmpx_lt_i16_e32 0x7f, v10
	s_xor_b32 s12, exec_lo, s12
	s_cbranch_execz .LBB409_1382
; %bb.1360:
	s_mov_b32 s10, -1
	s_mov_b32 s13, exec_lo
                                        ; implicit-def: $sgpr11
	v_cmpx_eq_u16_e32 0x80, v10
; %bb.1361:
	s_movk_i32 s11, 0x7e00
	s_xor_b32 s10, exec_lo, -1
; %bb.1362:
	s_or_b32 exec_lo, exec_lo, s13
	s_delay_alu instid0(SALU_CYCLE_1)
	s_and_b32 s10, s10, exec_lo
	s_or_saveexec_b32 s12, s12
	v_mov_b32_e32 v8, s11
	s_xor_b32 exec_lo, exec_lo, s12
	s_cbranch_execnz .LBB409_1383
.LBB409_1363:
	s_or_b32 exec_lo, exec_lo, s12
	s_and_saveexec_b32 s11, s10
	s_cbranch_execz .LBB409_1365
.LBB409_1364:
	v_and_b32_e32 v8, 0xffff, v10
	v_lshlrev_b32_e32 v10, 24, v10
	s_delay_alu instid0(VALU_DEP_2) | instskip(NEXT) | instid1(VALU_DEP_2)
	v_and_b32_e32 v11, 3, v8
	v_and_b32_e32 v10, 0x80000000, v10
	s_delay_alu instid0(VALU_DEP_2) | instskip(NEXT) | instid1(VALU_DEP_1)
	v_clz_i32_u32_e32 v12, v11
	v_min_u32_e32 v12, 32, v12
	s_delay_alu instid0(VALU_DEP_1) | instskip(SKIP_1) | instid1(VALU_DEP_2)
	v_subrev_nc_u32_e32 v13, 29, v12
	v_sub_nc_u32_e32 v12, 30, v12
	v_lshlrev_b32_e32 v13, v13, v8
	v_bfe_u32 v8, v8, 2, 5
	s_delay_alu instid0(VALU_DEP_1) | instskip(NEXT) | instid1(VALU_DEP_3)
	v_cmp_eq_u32_e32 vcc_lo, 0, v8
	v_dual_cndmask_b32 v8, v8, v12 :: v_dual_and_b32 v13, 3, v13
	s_delay_alu instid0(VALU_DEP_1) | instskip(NEXT) | instid1(VALU_DEP_2)
	v_cndmask_b32_e32 v11, v11, v13, vcc_lo
	v_lshl_add_u32 v8, v8, 23, 0x37800000
	s_delay_alu instid0(VALU_DEP_2) | instskip(NEXT) | instid1(VALU_DEP_1)
	v_lshlrev_b32_e32 v11, 21, v11
	v_or3_b32 v8, v10, v8, v11
	s_delay_alu instid0(VALU_DEP_1)
	v_cvt_f16_f32_e32 v8, v8
.LBB409_1365:
	s_or_b32 exec_lo, exec_lo, s11
	s_mov_b32 s10, 0
	s_branch .LBB409_1371
.LBB409_1366:
	s_mov_b32 s10, -1
                                        ; implicit-def: $vgpr8
	s_branch .LBB409_1377
.LBB409_1367:
	s_or_saveexec_b32 s13, s13
	v_mov_b32_e32 v8, s12
	s_xor_b32 exec_lo, exec_lo, s13
	s_cbranch_execz .LBB409_1351
.LBB409_1368:
	v_cmp_ne_u16_e32 vcc_lo, 0, v10
	v_mov_b32_e32 v8, v10
	s_and_not1_b32 s11, s11, exec_lo
	s_and_b32 s12, vcc_lo, exec_lo
	s_delay_alu instid0(SALU_CYCLE_1)
	s_or_b32 s11, s11, s12
	s_or_b32 exec_lo, exec_lo, s13
	s_and_saveexec_b32 s12, s11
	s_cbranch_execnz .LBB409_1352
	s_branch .LBB409_1353
.LBB409_1369:
	s_mov_b32 s10, -1
                                        ; implicit-def: $vgpr8
	s_branch .LBB409_1374
.LBB409_1370:
	s_mov_b32 s10, -1
                                        ; implicit-def: $vgpr8
.LBB409_1371:
	s_delay_alu instid0(SALU_CYCLE_1)
	s_and_b32 vcc_lo, exec_lo, s10
	s_cbranch_vccz .LBB409_1373
; %bb.1372:
	global_load_u8 v8, v[6:7], off
	s_waitcnt vmcnt(0)
	v_lshlrev_b32_e32 v8, 24, v8
	s_delay_alu instid0(VALU_DEP_1) | instskip(NEXT) | instid1(VALU_DEP_1)
	v_and_b32_e32 v10, 0x7f000000, v8
	v_clz_i32_u32_e32 v11, v10
	v_cmp_ne_u32_e32 vcc_lo, 0, v10
	v_add_nc_u32_e32 v13, 0x1000000, v10
	s_delay_alu instid0(VALU_DEP_3) | instskip(NEXT) | instid1(VALU_DEP_1)
	v_min_u32_e32 v11, 32, v11
	v_sub_nc_u32_e64 v11, v11, 4 clamp
	s_delay_alu instid0(VALU_DEP_1) | instskip(SKIP_1) | instid1(VALU_DEP_2)
	v_lshlrev_b32_e32 v12, v11, v10
	v_lshlrev_b32_e32 v11, 23, v11
	v_lshrrev_b32_e32 v12, 4, v12
	s_delay_alu instid0(VALU_DEP_1) | instskip(SKIP_1) | instid1(VALU_DEP_2)
	v_sub_nc_u32_e32 v11, v12, v11
	v_ashrrev_i32_e32 v12, 8, v13
	v_add_nc_u32_e32 v11, 0x3c000000, v11
	s_delay_alu instid0(VALU_DEP_1) | instskip(NEXT) | instid1(VALU_DEP_1)
	v_and_or_b32 v11, 0x7f800000, v12, v11
	v_cndmask_b32_e32 v10, 0, v11, vcc_lo
	s_delay_alu instid0(VALU_DEP_1) | instskip(NEXT) | instid1(VALU_DEP_1)
	v_and_or_b32 v8, 0x80000000, v8, v10
	v_cvt_f16_f32_e32 v8, v8
.LBB409_1373:
	s_mov_b32 s10, 0
.LBB409_1374:
	s_delay_alu instid0(SALU_CYCLE_1)
	s_and_not1_b32 vcc_lo, exec_lo, s10
	s_cbranch_vccnz .LBB409_1376
; %bb.1375:
	global_load_u8 v8, v[6:7], off
	s_waitcnt vmcnt(0)
	v_lshlrev_b32_e32 v10, 25, v8
	v_lshlrev_b16 v8, 8, v8
	s_delay_alu instid0(VALU_DEP_2) | instskip(NEXT) | instid1(VALU_DEP_2)
	v_lshrrev_b32_e32 v11, 4, v10
	v_and_or_b32 v12, 0x7f00, v8, 0.5
	v_bfe_i32 v8, v8, 0, 16
	s_delay_alu instid0(VALU_DEP_3) | instskip(NEXT) | instid1(VALU_DEP_1)
	v_or_b32_e32 v11, 0x70000000, v11
	v_dual_add_f32 v12, -0.5, v12 :: v_dual_mul_f32 v11, 0x7800000, v11
	v_cmp_gt_u32_e32 vcc_lo, 0x8000000, v10
	s_delay_alu instid0(VALU_DEP_2) | instskip(NEXT) | instid1(VALU_DEP_1)
	v_cndmask_b32_e32 v10, v11, v12, vcc_lo
	v_and_or_b32 v8, 0x80000000, v8, v10
	s_delay_alu instid0(VALU_DEP_1)
	v_cvt_f16_f32_e32 v8, v8
.LBB409_1376:
	s_mov_b32 s10, 0
	s_mov_b32 s11, -1
.LBB409_1377:
	s_and_not1_b32 vcc_lo, exec_lo, s10
	s_mov_b32 s10, 0
	s_cbranch_vccnz .LBB409_1388
; %bb.1378:
	v_cmp_gt_i16_e64 s10, s1, 14
	s_delay_alu instid0(VALU_DEP_1)
	s_and_b32 vcc_lo, exec_lo, s10
	s_cbranch_vccz .LBB409_1381
; %bb.1379:
	v_cmp_eq_u16_e64 s3, s1, 15
	s_delay_alu instid0(VALU_DEP_1)
	s_and_b32 vcc_lo, exec_lo, s3
	s_cbranch_vccz .LBB409_1384
; %bb.1380:
	global_load_u16 v8, v[6:7], off
	s_mov_b32 s3, 0
	s_mov_b32 s11, -1
	s_waitcnt vmcnt(0)
	v_lshlrev_b32_e32 v8, 16, v8
	s_delay_alu instid0(VALU_DEP_1)
	v_cvt_f16_f32_e32 v8, v8
	s_branch .LBB409_1385
.LBB409_1381:
	s_mov_b32 s10, -1
                                        ; implicit-def: $vgpr8
	s_branch .LBB409_1386
.LBB409_1382:
	s_or_saveexec_b32 s12, s12
	v_mov_b32_e32 v8, s11
	s_xor_b32 exec_lo, exec_lo, s12
	s_cbranch_execz .LBB409_1363
.LBB409_1383:
	v_cmp_ne_u16_e32 vcc_lo, 0, v10
	v_mov_b32_e32 v8, v10
	s_and_not1_b32 s10, s10, exec_lo
	s_and_b32 s11, vcc_lo, exec_lo
	s_delay_alu instid0(SALU_CYCLE_1)
	s_or_b32 s10, s10, s11
	s_or_b32 exec_lo, exec_lo, s12
	s_and_saveexec_b32 s11, s10
	s_cbranch_execnz .LBB409_1364
	s_branch .LBB409_1365
.LBB409_1384:
	s_mov_b32 s3, -1
                                        ; implicit-def: $vgpr8
.LBB409_1385:
	s_mov_b32 s10, 0
.LBB409_1386:
	s_delay_alu instid0(SALU_CYCLE_1)
	s_and_b32 vcc_lo, exec_lo, s10
	s_mov_b32 s10, 0
	s_cbranch_vccz .LBB409_1388
; %bb.1387:
	v_cmp_ne_u16_e64 s3, s1, 11
	s_mov_b32 s10, -1
                                        ; implicit-def: $vgpr8
.LBB409_1388:
	s_delay_alu instid0(VALU_DEP_1)
	s_and_b32 vcc_lo, exec_lo, s3
	s_cbranch_vccnz .LBB409_1412
; %bb.1389:
	s_and_not1_b32 vcc_lo, exec_lo, s10
	s_cbranch_vccnz .LBB409_1391
.LBB409_1390:
	global_load_u8 v8, v[6:7], off
	s_mov_b32 s11, -1
	s_waitcnt vmcnt(0)
	v_cmp_ne_u16_e32 vcc_lo, 0, v8
	v_cndmask_b32_e64 v8, 0, 0x3c00, vcc_lo
.LBB409_1391:
.LBB409_1392:
	s_and_not1_b32 vcc_lo, exec_lo, s11
	s_cbranch_vccnz .LBB409_2090
.LBB409_1393:
	v_cmp_lt_i16_e64 s3, s1, 11
	s_waitcnt vmcnt(0)
	v_add_co_u32 v5, s10, s6, v5
	s_delay_alu instid0(VALU_DEP_1) | instskip(NEXT) | instid1(VALU_DEP_3)
	v_add_co_ci_u32_e64 v6, null, s7, 0, s10
	s_and_b32 vcc_lo, exec_lo, s3
	s_mov_b32 s11, 0
	s_cbranch_vccnz .LBB409_1400
; %bb.1394:
	v_cmp_gt_i16_e64 s3, s1, 25
	s_mov_b32 s10, 0
	s_delay_alu instid0(VALU_DEP_1)
	s_and_b32 vcc_lo, exec_lo, s3
	s_cbranch_vccz .LBB409_1406
; %bb.1395:
	v_cmp_gt_i16_e64 s3, s1, 28
	s_delay_alu instid0(VALU_DEP_1)
	s_and_b32 vcc_lo, exec_lo, s3
	s_cbranch_vccz .LBB409_1408
; %bb.1396:
	v_cmp_gt_i16_e64 s3, s1, 43
	;; [unrolled: 5-line block ×3, first 2 shown]
	s_delay_alu instid0(VALU_DEP_1)
	s_and_b32 vcc_lo, exec_lo, s3
	s_cbranch_vccz .LBB409_1414
; %bb.1398:
	v_cmp_eq_u16_e64 s3, s1, 46
	s_mov_b32 s12, 0
	s_delay_alu instid0(VALU_DEP_1)
	s_and_b32 vcc_lo, exec_lo, s3
	s_cbranch_vccz .LBB409_1457
; %bb.1399:
	global_load_b32 v7, v[5:6], off
	s_mov_b32 s3, 0
	s_mov_b32 s11, -1
	s_waitcnt vmcnt(0)
	v_lshlrev_b32_e32 v7, 16, v7
	s_delay_alu instid0(VALU_DEP_1)
	v_cvt_f16_f32_e32 v7, v7
	s_branch .LBB409_1459
.LBB409_1400:
                                        ; implicit-def: $vgpr7
	s_cbranch_execz .LBB409_1525
; %bb.1401:
	v_cmp_lt_i16_e64 s3, s1, 5
	s_delay_alu instid0(VALU_DEP_1)
	s_and_b32 vcc_lo, exec_lo, s3
	s_cbranch_vccnz .LBB409_1407
; %bb.1402:
	v_cmp_lt_i16_e64 s3, s1, 8
	s_delay_alu instid0(VALU_DEP_1)
	s_and_b32 vcc_lo, exec_lo, s3
	s_cbranch_vccnz .LBB409_1409
	;; [unrolled: 5-line block ×3, first 2 shown]
; %bb.1404:
	v_cmp_gt_i16_e64 s3, s1, 9
	s_delay_alu instid0(VALU_DEP_1)
	s_and_b32 vcc_lo, exec_lo, s3
	s_cbranch_vccz .LBB409_1415
; %bb.1405:
	global_load_b64 v[10:11], v[5:6], off
	s_mov_b32 s3, 0
	s_waitcnt vmcnt(0)
	v_cvt_f32_f64_e32 v7, v[10:11]
	s_delay_alu instid0(VALU_DEP_1)
	v_cvt_f16_f32_e32 v7, v7
	s_branch .LBB409_1416
.LBB409_1406:
	s_mov_b32 s12, -1
	s_mov_b32 s3, 0
                                        ; implicit-def: $vgpr7
	s_branch .LBB409_1488
.LBB409_1407:
	s_mov_b32 s3, -1
                                        ; implicit-def: $vgpr7
	s_branch .LBB409_1434
.LBB409_1408:
	s_mov_b32 s12, -1
	s_mov_b32 s3, 0
                                        ; implicit-def: $vgpr7
	s_branch .LBB409_1469
.LBB409_1409:
	s_mov_b32 s3, -1
                                        ; implicit-def: $vgpr7
	s_branch .LBB409_1422
.LBB409_1410:
	s_mov_b32 s12, -1
	s_mov_b32 s3, 0
                                        ; implicit-def: $vgpr7
	s_branch .LBB409_1464
.LBB409_1411:
	s_mov_b32 s3, -1
                                        ; implicit-def: $vgpr7
	s_branch .LBB409_1419
.LBB409_1412:
	s_cbranch_execnz .LBB409_1455
; %bb.1413:
	s_or_b32 s2, s2, exec_lo
                                        ; implicit-def: $vgpr8
	s_cbranch_execz .LBB409_1390
	s_branch .LBB409_1391
.LBB409_1414:
	s_mov_b32 s12, -1
	s_mov_b32 s3, 0
	s_branch .LBB409_1458
.LBB409_1415:
	s_mov_b32 s3, -1
                                        ; implicit-def: $vgpr7
.LBB409_1416:
	s_delay_alu instid0(SALU_CYCLE_1)
	s_and_not1_b32 vcc_lo, exec_lo, s3
	s_cbranch_vccnz .LBB409_1418
; %bb.1417:
	global_load_b32 v7, v[5:6], off
	s_waitcnt vmcnt(0)
	v_cvt_f16_f32_e32 v7, v7
.LBB409_1418:
	s_mov_b32 s3, 0
.LBB409_1419:
	s_delay_alu instid0(SALU_CYCLE_1)
	s_and_not1_b32 vcc_lo, exec_lo, s3
	s_cbranch_vccnz .LBB409_1421
; %bb.1420:
	global_load_b32 v7, v[5:6], off
.LBB409_1421:
	s_mov_b32 s3, 0
.LBB409_1422:
	s_delay_alu instid0(SALU_CYCLE_1)
	s_and_not1_b32 vcc_lo, exec_lo, s3
	s_cbranch_vccnz .LBB409_1433
; %bb.1423:
	v_cmp_lt_i16_e64 s3, s1, 6
	s_delay_alu instid0(VALU_DEP_1)
	s_and_b32 vcc_lo, exec_lo, s3
	s_cbranch_vccnz .LBB409_1426
; %bb.1424:
	v_cmp_gt_i16_e64 s3, s1, 6
	s_delay_alu instid0(VALU_DEP_1)
	s_and_b32 vcc_lo, exec_lo, s3
	s_cbranch_vccz .LBB409_1427
; %bb.1425:
	global_load_b64 v[10:11], v[5:6], off
	s_mov_b32 s3, 0
	s_waitcnt vmcnt(0)
	v_cvt_f32_f64_e32 v7, v[10:11]
	s_delay_alu instid0(VALU_DEP_1)
	v_cvt_f16_f32_e32 v7, v7
	s_branch .LBB409_1428
.LBB409_1426:
	s_mov_b32 s3, -1
                                        ; implicit-def: $vgpr7
	s_branch .LBB409_1431
.LBB409_1427:
	s_mov_b32 s3, -1
                                        ; implicit-def: $vgpr7
.LBB409_1428:
	s_delay_alu instid0(SALU_CYCLE_1)
	s_and_not1_b32 vcc_lo, exec_lo, s3
	s_cbranch_vccnz .LBB409_1430
; %bb.1429:
	global_load_b32 v7, v[5:6], off
	s_waitcnt vmcnt(0)
	v_cvt_f16_f32_e32 v7, v7
.LBB409_1430:
	s_mov_b32 s3, 0
.LBB409_1431:
	s_delay_alu instid0(SALU_CYCLE_1)
	s_and_not1_b32 vcc_lo, exec_lo, s3
	s_cbranch_vccnz .LBB409_1433
; %bb.1432:
	global_load_u16 v7, v[5:6], off
.LBB409_1433:
	s_mov_b32 s3, 0
.LBB409_1434:
	s_delay_alu instid0(SALU_CYCLE_1)
	s_and_not1_b32 vcc_lo, exec_lo, s3
	s_cbranch_vccnz .LBB409_1454
; %bb.1435:
	v_cmp_lt_i16_e64 s3, s1, 2
	s_delay_alu instid0(VALU_DEP_1)
	s_and_b32 vcc_lo, exec_lo, s3
	s_cbranch_vccnz .LBB409_1439
; %bb.1436:
	v_cmp_lt_i16_e64 s3, s1, 3
	s_delay_alu instid0(VALU_DEP_1)
	s_and_b32 vcc_lo, exec_lo, s3
	s_cbranch_vccnz .LBB409_1440
; %bb.1437:
	v_cmp_gt_i16_e64 s3, s1, 3
	s_delay_alu instid0(VALU_DEP_1)
	s_and_b32 vcc_lo, exec_lo, s3
	s_cbranch_vccz .LBB409_1441
; %bb.1438:
	global_load_b64 v[10:11], v[5:6], off
	s_mov_b32 s3, 0
	s_waitcnt vmcnt(0)
	v_xor_b32_e32 v7, v10, v11
	v_cls_i32_e32 v12, v11
	s_delay_alu instid0(VALU_DEP_2) | instskip(NEXT) | instid1(VALU_DEP_2)
	v_ashrrev_i32_e32 v7, 31, v7
	v_add_nc_u32_e32 v12, -1, v12
	s_delay_alu instid0(VALU_DEP_2) | instskip(NEXT) | instid1(VALU_DEP_1)
	v_add_nc_u32_e32 v7, 32, v7
	v_min_u32_e32 v7, v12, v7
	s_delay_alu instid0(VALU_DEP_1) | instskip(SKIP_1) | instid1(VALU_DEP_2)
	v_lshlrev_b64 v[10:11], v7, v[10:11]
	v_sub_nc_u32_e32 v7, 32, v7
	v_min_u32_e32 v10, 1, v10
	s_delay_alu instid0(VALU_DEP_1) | instskip(NEXT) | instid1(VALU_DEP_1)
	v_or_b32_e32 v10, v11, v10
	v_cvt_f32_i32_e32 v10, v10
	s_delay_alu instid0(VALU_DEP_1) | instskip(NEXT) | instid1(VALU_DEP_1)
	v_ldexp_f32 v7, v10, v7
	v_cvt_f16_f32_e32 v7, v7
	s_branch .LBB409_1442
.LBB409_1439:
	s_mov_b32 s3, -1
                                        ; implicit-def: $vgpr7
	s_branch .LBB409_1448
.LBB409_1440:
	s_mov_b32 s3, -1
                                        ; implicit-def: $vgpr7
	s_branch .LBB409_1445
.LBB409_1441:
	s_mov_b32 s3, -1
                                        ; implicit-def: $vgpr7
.LBB409_1442:
	s_delay_alu instid0(SALU_CYCLE_1)
	s_and_not1_b32 vcc_lo, exec_lo, s3
	s_cbranch_vccnz .LBB409_1444
; %bb.1443:
	global_load_b32 v7, v[5:6], off
	s_waitcnt vmcnt(0)
	v_cvt_f32_i32_e32 v7, v7
	s_delay_alu instid0(VALU_DEP_1)
	v_cvt_f16_f32_e32 v7, v7
.LBB409_1444:
	s_mov_b32 s3, 0
.LBB409_1445:
	s_delay_alu instid0(SALU_CYCLE_1)
	s_and_not1_b32 vcc_lo, exec_lo, s3
	s_cbranch_vccnz .LBB409_1447
; %bb.1446:
	global_load_u16 v7, v[5:6], off
	s_waitcnt vmcnt(0)
	v_cvt_f16_i16_e32 v7, v7
.LBB409_1447:
	s_mov_b32 s3, 0
.LBB409_1448:
	s_delay_alu instid0(SALU_CYCLE_1)
	s_and_not1_b32 vcc_lo, exec_lo, s3
	s_cbranch_vccnz .LBB409_1454
; %bb.1449:
	v_cmp_gt_i16_e64 s3, s1, 0
	s_delay_alu instid0(VALU_DEP_1)
	s_and_b32 vcc_lo, exec_lo, s3
	s_mov_b32 s3, 0
	s_cbranch_vccz .LBB409_1451
; %bb.1450:
	global_load_i8 v7, v[5:6], off
	s_waitcnt vmcnt(0)
	v_cvt_f16_i16_e32 v7, v7
	s_branch .LBB409_1452
.LBB409_1451:
	s_mov_b32 s3, -1
                                        ; implicit-def: $vgpr7
.LBB409_1452:
	s_delay_alu instid0(SALU_CYCLE_1)
	s_and_not1_b32 vcc_lo, exec_lo, s3
	s_cbranch_vccnz .LBB409_1454
; %bb.1453:
	global_load_u8 v5, v[5:6], off
	s_waitcnt vmcnt(0)
	v_cvt_f16_u16_e32 v7, v5
.LBB409_1454:
	s_branch .LBB409_1526
.LBB409_1455:
	s_trap 2
	s_sendmsg_rtn_b32 s0, sendmsg(MSG_RTN_GET_DOORBELL)
	s_mov_b32 ttmp2, m0
	s_waitcnt lgkmcnt(0)
	s_and_b32 s0, s0, 0x3ff
	s_delay_alu instid0(SALU_CYCLE_1) | instskip(NEXT) | instid1(SALU_CYCLE_1)
	s_bitset1_b32 s0, 10
	s_mov_b32 m0, s0
	s_sendmsg sendmsg(MSG_INTERRUPT)
	s_mov_b32 m0, ttmp2
.LBB409_1456:                           ; =>This Inner Loop Header: Depth=1
	s_sethalt 5
	s_branch .LBB409_1456
.LBB409_1457:
	s_mov_b32 s3, -1
.LBB409_1458:
                                        ; implicit-def: $vgpr7
.LBB409_1459:
	s_and_b32 vcc_lo, exec_lo, s12
	s_cbranch_vccz .LBB409_1463
; %bb.1460:
	v_cmp_eq_u16_e64 s3, s1, 44
	s_delay_alu instid0(VALU_DEP_1)
	s_and_b32 vcc_lo, exec_lo, s3
	s_cbranch_vccz .LBB409_1462
; %bb.1461:
	global_load_u8 v7, v[5:6], off
	s_mov_b32 s3, 0
	s_mov_b32 s11, -1
	s_waitcnt vmcnt(0)
	v_lshlrev_b32_e32 v10, 23, v7
	v_cmp_ne_u32_e32 vcc_lo, 0xff, v7
	s_delay_alu instid0(VALU_DEP_2) | instskip(NEXT) | instid1(VALU_DEP_1)
	v_cvt_f16_f32_e32 v10, v10
	v_cndmask_b32_e32 v10, 0x7e00, v10, vcc_lo
	v_cmp_ne_u32_e32 vcc_lo, 0, v7
	s_delay_alu instid0(VALU_DEP_2)
	v_cndmask_b32_e32 v7, 0, v10, vcc_lo
	s_branch .LBB409_1463
.LBB409_1462:
	s_mov_b32 s3, -1
                                        ; implicit-def: $vgpr7
.LBB409_1463:
	s_mov_b32 s12, 0
.LBB409_1464:
	s_delay_alu instid0(SALU_CYCLE_1)
	s_and_b32 vcc_lo, exec_lo, s12
	s_cbranch_vccz .LBB409_1468
; %bb.1465:
	v_cmp_eq_u16_e64 s3, s1, 29
	s_delay_alu instid0(VALU_DEP_1)
	s_and_b32 vcc_lo, exec_lo, s3
	s_cbranch_vccz .LBB409_1467
; %bb.1466:
	global_load_b64 v[10:11], v[5:6], off
	s_mov_b32 s3, 0
	s_mov_b32 s11, -1
	s_mov_b32 s12, 0
	s_waitcnt vmcnt(0)
	v_clz_i32_u32_e32 v7, v11
	s_delay_alu instid0(VALU_DEP_1) | instskip(NEXT) | instid1(VALU_DEP_1)
	v_min_u32_e32 v7, 32, v7
	v_lshlrev_b64 v[10:11], v7, v[10:11]
	v_sub_nc_u32_e32 v7, 32, v7
	s_delay_alu instid0(VALU_DEP_2) | instskip(NEXT) | instid1(VALU_DEP_1)
	v_min_u32_e32 v10, 1, v10
	v_or_b32_e32 v10, v11, v10
	s_delay_alu instid0(VALU_DEP_1) | instskip(NEXT) | instid1(VALU_DEP_1)
	v_cvt_f32_u32_e32 v10, v10
	v_ldexp_f32 v7, v10, v7
	s_delay_alu instid0(VALU_DEP_1)
	v_cvt_f16_f32_e32 v7, v7
	s_branch .LBB409_1469
.LBB409_1467:
	s_mov_b32 s3, -1
                                        ; implicit-def: $vgpr7
.LBB409_1468:
	s_mov_b32 s12, 0
.LBB409_1469:
	s_delay_alu instid0(SALU_CYCLE_1)
	s_and_b32 vcc_lo, exec_lo, s12
	s_cbranch_vccz .LBB409_1487
; %bb.1470:
	v_cmp_lt_i16_e64 s11, s1, 27
	s_delay_alu instid0(VALU_DEP_1)
	s_and_b32 vcc_lo, exec_lo, s11
	s_cbranch_vccnz .LBB409_1473
; %bb.1471:
	v_cmp_gt_i16_e64 s11, s1, 27
	s_delay_alu instid0(VALU_DEP_1)
	s_and_b32 vcc_lo, exec_lo, s11
	s_cbranch_vccz .LBB409_1474
; %bb.1472:
	global_load_b32 v7, v[5:6], off
	s_mov_b32 s11, 0
	s_waitcnt vmcnt(0)
	v_cvt_f32_u32_e32 v7, v7
	s_delay_alu instid0(VALU_DEP_1)
	v_cvt_f16_f32_e32 v7, v7
	s_branch .LBB409_1475
.LBB409_1473:
	s_mov_b32 s11, -1
                                        ; implicit-def: $vgpr7
	s_branch .LBB409_1478
.LBB409_1474:
	s_mov_b32 s11, -1
                                        ; implicit-def: $vgpr7
.LBB409_1475:
	s_delay_alu instid0(SALU_CYCLE_1)
	s_and_not1_b32 vcc_lo, exec_lo, s11
	s_cbranch_vccnz .LBB409_1477
; %bb.1476:
	global_load_u16 v7, v[5:6], off
	s_waitcnt vmcnt(0)
	v_cvt_f16_u16_e32 v7, v7
.LBB409_1477:
	s_mov_b32 s11, 0
.LBB409_1478:
	s_delay_alu instid0(SALU_CYCLE_1)
	s_and_not1_b32 vcc_lo, exec_lo, s11
	s_cbranch_vccnz .LBB409_1486
; %bb.1479:
	global_load_u8 v10, v[5:6], off
	s_mov_b32 s11, 0
	s_mov_b32 s13, exec_lo
                                        ; implicit-def: $sgpr12
	s_waitcnt vmcnt(0)
	v_cmpx_lt_i16_e32 0x7f, v10
	s_xor_b32 s13, exec_lo, s13
	s_cbranch_execz .LBB409_1500
; %bb.1480:
	s_mov_b32 s11, -1
	s_mov_b32 s14, exec_lo
                                        ; implicit-def: $sgpr12
	v_cmpx_eq_u16_e32 0x80, v10
; %bb.1481:
	s_movk_i32 s12, 0x7e00
	s_xor_b32 s11, exec_lo, -1
; %bb.1482:
	s_or_b32 exec_lo, exec_lo, s14
	s_delay_alu instid0(SALU_CYCLE_1)
	s_and_b32 s11, s11, exec_lo
	s_or_saveexec_b32 s13, s13
	v_mov_b32_e32 v7, s12
	s_xor_b32 exec_lo, exec_lo, s13
	s_cbranch_execnz .LBB409_1501
.LBB409_1483:
	s_or_b32 exec_lo, exec_lo, s13
	s_and_saveexec_b32 s12, s11
	s_cbranch_execz .LBB409_1485
.LBB409_1484:
	v_and_b32_e32 v7, 0xffff, v10
	s_delay_alu instid0(VALU_DEP_1) | instskip(NEXT) | instid1(VALU_DEP_1)
	v_and_b32_e32 v11, 7, v7
	v_clz_i32_u32_e32 v12, v11
	s_delay_alu instid0(VALU_DEP_1) | instskip(NEXT) | instid1(VALU_DEP_1)
	v_min_u32_e32 v12, 32, v12
	v_subrev_nc_u32_e32 v13, 28, v12
	v_sub_nc_u32_e32 v12, 29, v12
	s_delay_alu instid0(VALU_DEP_2) | instskip(SKIP_1) | instid1(VALU_DEP_2)
	v_lshlrev_b32_e32 v13, v13, v7
	v_bfe_u32 v7, v7, 3, 4
	v_and_b32_e32 v13, 7, v13
	s_delay_alu instid0(VALU_DEP_2) | instskip(SKIP_1) | instid1(VALU_DEP_1)
	v_cmp_eq_u32_e32 vcc_lo, 0, v7
	v_dual_cndmask_b32 v7, v7, v12 :: v_dual_lshlrev_b32 v10, 24, v10
	v_dual_cndmask_b32 v11, v11, v13 :: v_dual_and_b32 v10, 0x80000000, v10
	s_delay_alu instid0(VALU_DEP_2) | instskip(NEXT) | instid1(VALU_DEP_2)
	v_lshl_add_u32 v7, v7, 23, 0x3b800000
	v_lshlrev_b32_e32 v11, 20, v11
	s_delay_alu instid0(VALU_DEP_1) | instskip(NEXT) | instid1(VALU_DEP_1)
	v_or3_b32 v7, v10, v7, v11
	v_cvt_f16_f32_e32 v7, v7
.LBB409_1485:
	s_or_b32 exec_lo, exec_lo, s12
.LBB409_1486:
	s_mov_b32 s11, -1
.LBB409_1487:
	s_mov_b32 s12, 0
.LBB409_1488:
	s_delay_alu instid0(SALU_CYCLE_1)
	s_and_b32 vcc_lo, exec_lo, s12
	s_cbranch_vccz .LBB409_1521
; %bb.1489:
	v_cmp_gt_i16_e64 s10, s1, 22
	s_delay_alu instid0(VALU_DEP_1)
	s_and_b32 vcc_lo, exec_lo, s10
	s_cbranch_vccz .LBB409_1499
; %bb.1490:
	v_cmp_lt_i16_e64 s10, s1, 24
	s_delay_alu instid0(VALU_DEP_1)
	s_and_b32 vcc_lo, exec_lo, s10
	s_cbranch_vccnz .LBB409_1502
; %bb.1491:
	v_cmp_gt_i16_e64 s10, s1, 24
	s_delay_alu instid0(VALU_DEP_1)
	s_and_b32 vcc_lo, exec_lo, s10
	s_cbranch_vccz .LBB409_1503
; %bb.1492:
	global_load_u8 v10, v[5:6], off
	s_mov_b32 s10, 0
	s_mov_b32 s12, exec_lo
                                        ; implicit-def: $sgpr11
	s_waitcnt vmcnt(0)
	v_cmpx_lt_i16_e32 0x7f, v10
	s_xor_b32 s12, exec_lo, s12
	s_cbranch_execz .LBB409_1515
; %bb.1493:
	s_mov_b32 s10, -1
	s_mov_b32 s13, exec_lo
                                        ; implicit-def: $sgpr11
	v_cmpx_eq_u16_e32 0x80, v10
; %bb.1494:
	s_movk_i32 s11, 0x7e00
	s_xor_b32 s10, exec_lo, -1
; %bb.1495:
	s_or_b32 exec_lo, exec_lo, s13
	s_delay_alu instid0(SALU_CYCLE_1)
	s_and_b32 s10, s10, exec_lo
	s_or_saveexec_b32 s12, s12
	v_mov_b32_e32 v7, s11
	s_xor_b32 exec_lo, exec_lo, s12
	s_cbranch_execnz .LBB409_1516
.LBB409_1496:
	s_or_b32 exec_lo, exec_lo, s12
	s_and_saveexec_b32 s11, s10
	s_cbranch_execz .LBB409_1498
.LBB409_1497:
	v_and_b32_e32 v7, 0xffff, v10
	s_delay_alu instid0(VALU_DEP_1) | instskip(NEXT) | instid1(VALU_DEP_1)
	v_and_b32_e32 v11, 3, v7
	v_clz_i32_u32_e32 v12, v11
	s_delay_alu instid0(VALU_DEP_1) | instskip(NEXT) | instid1(VALU_DEP_1)
	v_min_u32_e32 v12, 32, v12
	v_subrev_nc_u32_e32 v13, 29, v12
	v_sub_nc_u32_e32 v12, 30, v12
	s_delay_alu instid0(VALU_DEP_2) | instskip(SKIP_1) | instid1(VALU_DEP_2)
	v_lshlrev_b32_e32 v13, v13, v7
	v_bfe_u32 v7, v7, 2, 5
	v_and_b32_e32 v13, 3, v13
	s_delay_alu instid0(VALU_DEP_2) | instskip(SKIP_1) | instid1(VALU_DEP_1)
	v_cmp_eq_u32_e32 vcc_lo, 0, v7
	v_dual_cndmask_b32 v7, v7, v12 :: v_dual_lshlrev_b32 v10, 24, v10
	v_dual_cndmask_b32 v11, v11, v13 :: v_dual_and_b32 v10, 0x80000000, v10
	s_delay_alu instid0(VALU_DEP_2) | instskip(NEXT) | instid1(VALU_DEP_2)
	v_lshl_add_u32 v7, v7, 23, 0x37800000
	v_lshlrev_b32_e32 v11, 21, v11
	s_delay_alu instid0(VALU_DEP_1) | instskip(NEXT) | instid1(VALU_DEP_1)
	v_or3_b32 v7, v10, v7, v11
	v_cvt_f16_f32_e32 v7, v7
.LBB409_1498:
	s_or_b32 exec_lo, exec_lo, s11
	s_mov_b32 s10, 0
	s_branch .LBB409_1504
.LBB409_1499:
	s_mov_b32 s10, -1
                                        ; implicit-def: $vgpr7
	s_branch .LBB409_1510
.LBB409_1500:
	s_or_saveexec_b32 s13, s13
	v_mov_b32_e32 v7, s12
	s_xor_b32 exec_lo, exec_lo, s13
	s_cbranch_execz .LBB409_1483
.LBB409_1501:
	v_cmp_ne_u16_e32 vcc_lo, 0, v10
	v_mov_b32_e32 v7, v10
	s_and_not1_b32 s11, s11, exec_lo
	s_and_b32 s12, vcc_lo, exec_lo
	s_delay_alu instid0(SALU_CYCLE_1)
	s_or_b32 s11, s11, s12
	s_or_b32 exec_lo, exec_lo, s13
	s_and_saveexec_b32 s12, s11
	s_cbranch_execnz .LBB409_1484
	s_branch .LBB409_1485
.LBB409_1502:
	s_mov_b32 s10, -1
                                        ; implicit-def: $vgpr7
	s_branch .LBB409_1507
.LBB409_1503:
	s_mov_b32 s10, -1
                                        ; implicit-def: $vgpr7
.LBB409_1504:
	s_delay_alu instid0(SALU_CYCLE_1)
	s_and_b32 vcc_lo, exec_lo, s10
	s_cbranch_vccz .LBB409_1506
; %bb.1505:
	global_load_u8 v7, v[5:6], off
	s_waitcnt vmcnt(0)
	v_lshlrev_b32_e32 v7, 24, v7
	s_delay_alu instid0(VALU_DEP_1) | instskip(NEXT) | instid1(VALU_DEP_1)
	v_and_b32_e32 v10, 0x7f000000, v7
	v_clz_i32_u32_e32 v11, v10
	v_cmp_ne_u32_e32 vcc_lo, 0, v10
	v_add_nc_u32_e32 v13, 0x1000000, v10
	s_delay_alu instid0(VALU_DEP_3) | instskip(NEXT) | instid1(VALU_DEP_1)
	v_min_u32_e32 v11, 32, v11
	v_sub_nc_u32_e64 v11, v11, 4 clamp
	s_delay_alu instid0(VALU_DEP_1) | instskip(SKIP_1) | instid1(VALU_DEP_2)
	v_lshlrev_b32_e32 v12, v11, v10
	v_lshlrev_b32_e32 v11, 23, v11
	v_lshrrev_b32_e32 v12, 4, v12
	s_delay_alu instid0(VALU_DEP_1) | instskip(SKIP_1) | instid1(VALU_DEP_2)
	v_sub_nc_u32_e32 v11, v12, v11
	v_ashrrev_i32_e32 v12, 8, v13
	v_add_nc_u32_e32 v11, 0x3c000000, v11
	s_delay_alu instid0(VALU_DEP_1) | instskip(NEXT) | instid1(VALU_DEP_1)
	v_and_or_b32 v11, 0x7f800000, v12, v11
	v_cndmask_b32_e32 v10, 0, v11, vcc_lo
	s_delay_alu instid0(VALU_DEP_1) | instskip(NEXT) | instid1(VALU_DEP_1)
	v_and_or_b32 v7, 0x80000000, v7, v10
	v_cvt_f16_f32_e32 v7, v7
.LBB409_1506:
	s_mov_b32 s10, 0
.LBB409_1507:
	s_delay_alu instid0(SALU_CYCLE_1)
	s_and_not1_b32 vcc_lo, exec_lo, s10
	s_cbranch_vccnz .LBB409_1509
; %bb.1508:
	global_load_u8 v7, v[5:6], off
	s_waitcnt vmcnt(0)
	v_lshlrev_b32_e32 v10, 25, v7
	v_lshlrev_b16 v7, 8, v7
	s_delay_alu instid0(VALU_DEP_2) | instskip(NEXT) | instid1(VALU_DEP_2)
	v_lshrrev_b32_e32 v11, 4, v10
	v_and_or_b32 v12, 0x7f00, v7, 0.5
	v_cmp_gt_u32_e32 vcc_lo, 0x8000000, v10
	v_bfe_i32 v7, v7, 0, 16
	s_delay_alu instid0(VALU_DEP_4) | instskip(NEXT) | instid1(VALU_DEP_1)
	v_or_b32_e32 v11, 0x70000000, v11
	v_dual_add_f32 v12, -0.5, v12 :: v_dual_mul_f32 v11, 0x7800000, v11
	s_delay_alu instid0(VALU_DEP_1) | instskip(NEXT) | instid1(VALU_DEP_1)
	v_cndmask_b32_e32 v10, v11, v12, vcc_lo
	v_and_or_b32 v7, 0x80000000, v7, v10
	s_delay_alu instid0(VALU_DEP_1)
	v_cvt_f16_f32_e32 v7, v7
.LBB409_1509:
	s_mov_b32 s10, 0
	s_mov_b32 s11, -1
.LBB409_1510:
	s_and_not1_b32 vcc_lo, exec_lo, s10
	s_mov_b32 s10, 0
	s_cbranch_vccnz .LBB409_1521
; %bb.1511:
	v_cmp_gt_i16_e64 s10, s1, 14
	s_delay_alu instid0(VALU_DEP_1)
	s_and_b32 vcc_lo, exec_lo, s10
	s_cbranch_vccz .LBB409_1514
; %bb.1512:
	v_cmp_eq_u16_e64 s3, s1, 15
	s_delay_alu instid0(VALU_DEP_1)
	s_and_b32 vcc_lo, exec_lo, s3
	s_cbranch_vccz .LBB409_1517
; %bb.1513:
	global_load_u16 v7, v[5:6], off
	s_mov_b32 s3, 0
	s_mov_b32 s11, -1
	s_waitcnt vmcnt(0)
	v_lshlrev_b32_e32 v7, 16, v7
	s_delay_alu instid0(VALU_DEP_1)
	v_cvt_f16_f32_e32 v7, v7
	s_branch .LBB409_1518
.LBB409_1514:
	s_mov_b32 s10, -1
                                        ; implicit-def: $vgpr7
	s_branch .LBB409_1519
.LBB409_1515:
	s_or_saveexec_b32 s12, s12
	v_mov_b32_e32 v7, s11
	s_xor_b32 exec_lo, exec_lo, s12
	s_cbranch_execz .LBB409_1496
.LBB409_1516:
	v_cmp_ne_u16_e32 vcc_lo, 0, v10
	v_mov_b32_e32 v7, v10
	s_and_not1_b32 s10, s10, exec_lo
	s_and_b32 s11, vcc_lo, exec_lo
	s_delay_alu instid0(SALU_CYCLE_1)
	s_or_b32 s10, s10, s11
	s_or_b32 exec_lo, exec_lo, s12
	s_and_saveexec_b32 s11, s10
	s_cbranch_execnz .LBB409_1497
	s_branch .LBB409_1498
.LBB409_1517:
	s_mov_b32 s3, -1
                                        ; implicit-def: $vgpr7
.LBB409_1518:
	s_mov_b32 s10, 0
.LBB409_1519:
	s_delay_alu instid0(SALU_CYCLE_1)
	s_and_b32 vcc_lo, exec_lo, s10
	s_mov_b32 s10, 0
	s_cbranch_vccz .LBB409_1521
; %bb.1520:
	v_cmp_ne_u16_e64 s3, s1, 11
	s_mov_b32 s10, -1
                                        ; implicit-def: $vgpr7
.LBB409_1521:
	s_delay_alu instid0(VALU_DEP_1)
	s_and_b32 vcc_lo, exec_lo, s3
	s_cbranch_vccnz .LBB409_1537
; %bb.1522:
	s_and_not1_b32 vcc_lo, exec_lo, s10
	s_cbranch_vccnz .LBB409_1524
.LBB409_1523:
	global_load_u8 v7, v[5:6], off
	s_mov_b32 s11, -1
	s_waitcnt vmcnt(0)
	v_cmp_ne_u16_e32 vcc_lo, 0, v7
	v_cndmask_b32_e64 v7, 0, 0x3c00, vcc_lo
.LBB409_1524:
.LBB409_1525:
	s_and_not1_b32 vcc_lo, exec_lo, s11
	s_cbranch_vccnz .LBB409_2090
.LBB409_1526:
	v_cmp_lt_i16_e64 s3, s1, 11
	v_add_co_u32 v4, s6, s6, v4
	s_delay_alu instid0(VALU_DEP_1) | instskip(NEXT) | instid1(VALU_DEP_3)
	v_add_co_ci_u32_e64 v5, null, s7, 0, s6
	s_and_b32 vcc_lo, exec_lo, s3
	s_mov_b32 s7, 0
	s_cbranch_vccnz .LBB409_1533
; %bb.1527:
	v_cmp_gt_i16_e64 s3, s1, 25
	s_mov_b32 s6, 0
	s_delay_alu instid0(VALU_DEP_1)
	s_and_b32 vcc_lo, exec_lo, s3
	s_cbranch_vccz .LBB409_1534
; %bb.1528:
	v_cmp_gt_i16_e64 s3, s1, 28
	s_delay_alu instid0(VALU_DEP_1)
	s_and_b32 vcc_lo, exec_lo, s3
	s_cbranch_vccz .LBB409_1535
; %bb.1529:
	v_cmp_gt_i16_e64 s3, s1, 43
	;; [unrolled: 5-line block ×3, first 2 shown]
	s_delay_alu instid0(VALU_DEP_1)
	s_and_b32 vcc_lo, exec_lo, s3
	s_cbranch_vccz .LBB409_1539
; %bb.1531:
	v_cmp_eq_u16_e64 s3, s1, 46
	s_mov_b32 s10, 0
	s_delay_alu instid0(VALU_DEP_1)
	s_and_b32 vcc_lo, exec_lo, s3
	s_cbranch_vccz .LBB409_1542
; %bb.1532:
	global_load_b32 v6, v[4:5], off
	s_mov_b32 s3, 0
	s_mov_b32 s7, -1
	s_waitcnt vmcnt(0)
	v_lshlrev_b32_e32 v6, 16, v6
	s_delay_alu instid0(VALU_DEP_1)
	v_cvt_f16_f32_e32 v6, v6
	s_branch .LBB409_1544
.LBB409_1533:
	s_mov_b32 s3, -1
                                        ; implicit-def: $vgpr6
	s_branch .LBB409_1610
.LBB409_1534:
	s_mov_b32 s10, -1
	s_mov_b32 s3, 0
                                        ; implicit-def: $vgpr6
	s_branch .LBB409_1573
.LBB409_1535:
	s_mov_b32 s10, -1
	s_mov_b32 s3, 0
                                        ; implicit-def: $vgpr6
	s_branch .LBB409_1554
.LBB409_1536:
	s_mov_b32 s10, -1
	s_mov_b32 s3, 0
                                        ; implicit-def: $vgpr6
	s_branch .LBB409_1549
.LBB409_1537:
	s_cbranch_execnz .LBB409_1540
; %bb.1538:
	s_or_b32 s2, s2, exec_lo
                                        ; implicit-def: $vgpr7
	s_cbranch_execz .LBB409_1523
	s_branch .LBB409_1524
.LBB409_1539:
	s_mov_b32 s10, -1
	s_mov_b32 s3, 0
	s_branch .LBB409_1543
.LBB409_1540:
	s_trap 2
	s_sendmsg_rtn_b32 s0, sendmsg(MSG_RTN_GET_DOORBELL)
	s_mov_b32 ttmp2, m0
	s_waitcnt lgkmcnt(0)
	s_and_b32 s0, s0, 0x3ff
	s_delay_alu instid0(SALU_CYCLE_1) | instskip(NEXT) | instid1(SALU_CYCLE_1)
	s_bitset1_b32 s0, 10
	s_mov_b32 m0, s0
	s_sendmsg sendmsg(MSG_INTERRUPT)
	s_mov_b32 m0, ttmp2
.LBB409_1541:                           ; =>This Inner Loop Header: Depth=1
	s_sethalt 5
	s_branch .LBB409_1541
.LBB409_1542:
	s_mov_b32 s3, -1
.LBB409_1543:
                                        ; implicit-def: $vgpr6
.LBB409_1544:
	s_and_b32 vcc_lo, exec_lo, s10
	s_cbranch_vccz .LBB409_1548
; %bb.1545:
	v_cmp_eq_u16_e64 s3, s1, 44
	s_delay_alu instid0(VALU_DEP_1)
	s_and_b32 vcc_lo, exec_lo, s3
	s_cbranch_vccz .LBB409_1547
; %bb.1546:
	global_load_u8 v6, v[4:5], off
	s_mov_b32 s3, 0
	s_mov_b32 s7, -1
	s_waitcnt vmcnt(0)
	v_lshlrev_b32_e32 v10, 23, v6
	v_cmp_ne_u32_e32 vcc_lo, 0xff, v6
	s_delay_alu instid0(VALU_DEP_2) | instskip(NEXT) | instid1(VALU_DEP_1)
	v_cvt_f16_f32_e32 v10, v10
	v_cndmask_b32_e32 v10, 0x7e00, v10, vcc_lo
	v_cmp_ne_u32_e32 vcc_lo, 0, v6
	s_delay_alu instid0(VALU_DEP_2)
	v_cndmask_b32_e32 v6, 0, v10, vcc_lo
	s_branch .LBB409_1548
.LBB409_1547:
	s_mov_b32 s3, -1
                                        ; implicit-def: $vgpr6
.LBB409_1548:
	s_mov_b32 s10, 0
.LBB409_1549:
	s_delay_alu instid0(SALU_CYCLE_1)
	s_and_b32 vcc_lo, exec_lo, s10
	s_cbranch_vccz .LBB409_1553
; %bb.1550:
	v_cmp_eq_u16_e64 s3, s1, 29
	s_delay_alu instid0(VALU_DEP_1)
	s_and_b32 vcc_lo, exec_lo, s3
	s_cbranch_vccz .LBB409_1552
; %bb.1551:
	global_load_b64 v[10:11], v[4:5], off
	s_mov_b32 s3, 0
	s_mov_b32 s7, -1
	s_mov_b32 s10, 0
	s_waitcnt vmcnt(0)
	v_clz_i32_u32_e32 v6, v11
	s_delay_alu instid0(VALU_DEP_1) | instskip(NEXT) | instid1(VALU_DEP_1)
	v_min_u32_e32 v6, 32, v6
	v_lshlrev_b64 v[10:11], v6, v[10:11]
	v_sub_nc_u32_e32 v6, 32, v6
	s_delay_alu instid0(VALU_DEP_2) | instskip(NEXT) | instid1(VALU_DEP_1)
	v_min_u32_e32 v10, 1, v10
	v_or_b32_e32 v10, v11, v10
	s_delay_alu instid0(VALU_DEP_1) | instskip(NEXT) | instid1(VALU_DEP_1)
	v_cvt_f32_u32_e32 v10, v10
	v_ldexp_f32 v6, v10, v6
	s_delay_alu instid0(VALU_DEP_1)
	v_cvt_f16_f32_e32 v6, v6
	s_branch .LBB409_1554
.LBB409_1552:
	s_mov_b32 s3, -1
                                        ; implicit-def: $vgpr6
.LBB409_1553:
	s_mov_b32 s10, 0
.LBB409_1554:
	s_delay_alu instid0(SALU_CYCLE_1)
	s_and_b32 vcc_lo, exec_lo, s10
	s_cbranch_vccz .LBB409_1572
; %bb.1555:
	v_cmp_lt_i16_e64 s7, s1, 27
	s_delay_alu instid0(VALU_DEP_1)
	s_and_b32 vcc_lo, exec_lo, s7
	s_cbranch_vccnz .LBB409_1558
; %bb.1556:
	v_cmp_gt_i16_e64 s7, s1, 27
	s_delay_alu instid0(VALU_DEP_1)
	s_and_b32 vcc_lo, exec_lo, s7
	s_cbranch_vccz .LBB409_1559
; %bb.1557:
	global_load_b32 v6, v[4:5], off
	s_mov_b32 s7, 0
	s_waitcnt vmcnt(0)
	v_cvt_f32_u32_e32 v6, v6
	s_delay_alu instid0(VALU_DEP_1)
	v_cvt_f16_f32_e32 v6, v6
	s_branch .LBB409_1560
.LBB409_1558:
	s_mov_b32 s7, -1
                                        ; implicit-def: $vgpr6
	s_branch .LBB409_1563
.LBB409_1559:
	s_mov_b32 s7, -1
                                        ; implicit-def: $vgpr6
.LBB409_1560:
	s_delay_alu instid0(SALU_CYCLE_1)
	s_and_not1_b32 vcc_lo, exec_lo, s7
	s_cbranch_vccnz .LBB409_1562
; %bb.1561:
	global_load_u16 v6, v[4:5], off
	s_waitcnt vmcnt(0)
	v_cvt_f16_u16_e32 v6, v6
.LBB409_1562:
	s_mov_b32 s7, 0
.LBB409_1563:
	s_delay_alu instid0(SALU_CYCLE_1)
	s_and_not1_b32 vcc_lo, exec_lo, s7
	s_cbranch_vccnz .LBB409_1571
; %bb.1564:
	global_load_u8 v10, v[4:5], off
	s_mov_b32 s7, 0
	s_mov_b32 s11, exec_lo
                                        ; implicit-def: $sgpr10
	s_waitcnt vmcnt(0)
	v_cmpx_lt_i16_e32 0x7f, v10
	s_xor_b32 s11, exec_lo, s11
	s_cbranch_execz .LBB409_1585
; %bb.1565:
	s_mov_b32 s7, -1
	s_mov_b32 s12, exec_lo
                                        ; implicit-def: $sgpr10
	v_cmpx_eq_u16_e32 0x80, v10
; %bb.1566:
	s_movk_i32 s10, 0x7e00
	s_xor_b32 s7, exec_lo, -1
; %bb.1567:
	s_or_b32 exec_lo, exec_lo, s12
	s_delay_alu instid0(SALU_CYCLE_1)
	s_and_b32 s7, s7, exec_lo
	s_or_saveexec_b32 s11, s11
	v_mov_b32_e32 v6, s10
	s_xor_b32 exec_lo, exec_lo, s11
	s_cbranch_execnz .LBB409_1586
.LBB409_1568:
	s_or_b32 exec_lo, exec_lo, s11
	s_and_saveexec_b32 s10, s7
	s_cbranch_execz .LBB409_1570
.LBB409_1569:
	v_and_b32_e32 v6, 0xffff, v10
	v_lshlrev_b32_e32 v10, 24, v10
	s_delay_alu instid0(VALU_DEP_2) | instskip(NEXT) | instid1(VALU_DEP_2)
	v_and_b32_e32 v11, 7, v6
	v_and_b32_e32 v10, 0x80000000, v10
	s_delay_alu instid0(VALU_DEP_2) | instskip(NEXT) | instid1(VALU_DEP_1)
	v_clz_i32_u32_e32 v12, v11
	v_min_u32_e32 v12, 32, v12
	s_delay_alu instid0(VALU_DEP_1) | instskip(SKIP_1) | instid1(VALU_DEP_2)
	v_subrev_nc_u32_e32 v13, 28, v12
	v_sub_nc_u32_e32 v12, 29, v12
	v_lshlrev_b32_e32 v13, v13, v6
	v_bfe_u32 v6, v6, 3, 4
	s_delay_alu instid0(VALU_DEP_2) | instskip(NEXT) | instid1(VALU_DEP_2)
	v_and_b32_e32 v13, 7, v13
	v_cmp_eq_u32_e32 vcc_lo, 0, v6
	s_delay_alu instid0(VALU_DEP_2) | instskip(NEXT) | instid1(VALU_DEP_1)
	v_dual_cndmask_b32 v6, v6, v12 :: v_dual_cndmask_b32 v11, v11, v13
	v_lshl_add_u32 v6, v6, 23, 0x3b800000
	s_delay_alu instid0(VALU_DEP_2) | instskip(NEXT) | instid1(VALU_DEP_1)
	v_lshlrev_b32_e32 v11, 20, v11
	v_or3_b32 v6, v10, v6, v11
	s_delay_alu instid0(VALU_DEP_1)
	v_cvt_f16_f32_e32 v6, v6
.LBB409_1570:
	s_or_b32 exec_lo, exec_lo, s10
.LBB409_1571:
	s_mov_b32 s7, -1
.LBB409_1572:
	s_mov_b32 s10, 0
.LBB409_1573:
	s_delay_alu instid0(SALU_CYCLE_1)
	s_and_b32 vcc_lo, exec_lo, s10
	s_cbranch_vccz .LBB409_1606
; %bb.1574:
	v_cmp_gt_i16_e64 s6, s1, 22
	s_delay_alu instid0(VALU_DEP_1)
	s_and_b32 vcc_lo, exec_lo, s6
	s_cbranch_vccz .LBB409_1584
; %bb.1575:
	v_cmp_lt_i16_e64 s6, s1, 24
	s_delay_alu instid0(VALU_DEP_1)
	s_and_b32 vcc_lo, exec_lo, s6
	s_cbranch_vccnz .LBB409_1587
; %bb.1576:
	v_cmp_gt_i16_e64 s6, s1, 24
	s_delay_alu instid0(VALU_DEP_1)
	s_and_b32 vcc_lo, exec_lo, s6
	s_cbranch_vccz .LBB409_1588
; %bb.1577:
	global_load_u8 v10, v[4:5], off
	s_mov_b32 s6, 0
	s_mov_b32 s10, exec_lo
                                        ; implicit-def: $sgpr7
	s_waitcnt vmcnt(0)
	v_cmpx_lt_i16_e32 0x7f, v10
	s_xor_b32 s10, exec_lo, s10
	s_cbranch_execz .LBB409_1600
; %bb.1578:
	s_mov_b32 s6, -1
	s_mov_b32 s11, exec_lo
                                        ; implicit-def: $sgpr7
	v_cmpx_eq_u16_e32 0x80, v10
; %bb.1579:
	s_movk_i32 s7, 0x7e00
	s_xor_b32 s6, exec_lo, -1
; %bb.1580:
	s_or_b32 exec_lo, exec_lo, s11
	s_delay_alu instid0(SALU_CYCLE_1)
	s_and_b32 s6, s6, exec_lo
	s_or_saveexec_b32 s10, s10
	v_mov_b32_e32 v6, s7
	s_xor_b32 exec_lo, exec_lo, s10
	s_cbranch_execnz .LBB409_1601
.LBB409_1581:
	s_or_b32 exec_lo, exec_lo, s10
	s_and_saveexec_b32 s7, s6
	s_cbranch_execz .LBB409_1583
.LBB409_1582:
	v_and_b32_e32 v6, 0xffff, v10
	v_lshlrev_b32_e32 v10, 24, v10
	s_delay_alu instid0(VALU_DEP_2) | instskip(NEXT) | instid1(VALU_DEP_2)
	v_and_b32_e32 v11, 3, v6
	v_and_b32_e32 v10, 0x80000000, v10
	s_delay_alu instid0(VALU_DEP_2) | instskip(NEXT) | instid1(VALU_DEP_1)
	v_clz_i32_u32_e32 v12, v11
	v_min_u32_e32 v12, 32, v12
	s_delay_alu instid0(VALU_DEP_1) | instskip(SKIP_1) | instid1(VALU_DEP_2)
	v_subrev_nc_u32_e32 v13, 29, v12
	v_sub_nc_u32_e32 v12, 30, v12
	v_lshlrev_b32_e32 v13, v13, v6
	v_bfe_u32 v6, v6, 2, 5
	s_delay_alu instid0(VALU_DEP_2) | instskip(NEXT) | instid1(VALU_DEP_2)
	v_and_b32_e32 v13, 3, v13
	v_cmp_eq_u32_e32 vcc_lo, 0, v6
	s_delay_alu instid0(VALU_DEP_2) | instskip(NEXT) | instid1(VALU_DEP_1)
	v_dual_cndmask_b32 v6, v6, v12 :: v_dual_cndmask_b32 v11, v11, v13
	v_lshl_add_u32 v6, v6, 23, 0x37800000
	s_delay_alu instid0(VALU_DEP_2) | instskip(NEXT) | instid1(VALU_DEP_1)
	v_lshlrev_b32_e32 v11, 21, v11
	v_or3_b32 v6, v10, v6, v11
	s_delay_alu instid0(VALU_DEP_1)
	v_cvt_f16_f32_e32 v6, v6
.LBB409_1583:
	s_or_b32 exec_lo, exec_lo, s7
	s_mov_b32 s6, 0
	s_branch .LBB409_1589
.LBB409_1584:
	s_mov_b32 s6, -1
                                        ; implicit-def: $vgpr6
	s_branch .LBB409_1595
.LBB409_1585:
	s_or_saveexec_b32 s11, s11
	v_mov_b32_e32 v6, s10
	s_xor_b32 exec_lo, exec_lo, s11
	s_cbranch_execz .LBB409_1568
.LBB409_1586:
	v_cmp_ne_u16_e32 vcc_lo, 0, v10
	v_mov_b32_e32 v6, v10
	s_and_not1_b32 s7, s7, exec_lo
	s_and_b32 s10, vcc_lo, exec_lo
	s_delay_alu instid0(SALU_CYCLE_1)
	s_or_b32 s7, s7, s10
	s_or_b32 exec_lo, exec_lo, s11
	s_and_saveexec_b32 s10, s7
	s_cbranch_execnz .LBB409_1569
	s_branch .LBB409_1570
.LBB409_1587:
	s_mov_b32 s6, -1
                                        ; implicit-def: $vgpr6
	s_branch .LBB409_1592
.LBB409_1588:
	s_mov_b32 s6, -1
                                        ; implicit-def: $vgpr6
.LBB409_1589:
	s_delay_alu instid0(SALU_CYCLE_1)
	s_and_b32 vcc_lo, exec_lo, s6
	s_cbranch_vccz .LBB409_1591
; %bb.1590:
	global_load_u8 v6, v[4:5], off
	s_waitcnt vmcnt(0)
	v_lshlrev_b32_e32 v6, 24, v6
	s_delay_alu instid0(VALU_DEP_1) | instskip(NEXT) | instid1(VALU_DEP_1)
	v_and_b32_e32 v10, 0x7f000000, v6
	v_clz_i32_u32_e32 v11, v10
	v_cmp_ne_u32_e32 vcc_lo, 0, v10
	v_add_nc_u32_e32 v13, 0x1000000, v10
	s_delay_alu instid0(VALU_DEP_3) | instskip(NEXT) | instid1(VALU_DEP_1)
	v_min_u32_e32 v11, 32, v11
	v_sub_nc_u32_e64 v11, v11, 4 clamp
	s_delay_alu instid0(VALU_DEP_1) | instskip(SKIP_1) | instid1(VALU_DEP_2)
	v_lshlrev_b32_e32 v12, v11, v10
	v_lshlrev_b32_e32 v11, 23, v11
	v_lshrrev_b32_e32 v12, 4, v12
	s_delay_alu instid0(VALU_DEP_1) | instskip(SKIP_1) | instid1(VALU_DEP_2)
	v_sub_nc_u32_e32 v11, v12, v11
	v_ashrrev_i32_e32 v12, 8, v13
	v_add_nc_u32_e32 v11, 0x3c000000, v11
	s_delay_alu instid0(VALU_DEP_1) | instskip(NEXT) | instid1(VALU_DEP_1)
	v_and_or_b32 v11, 0x7f800000, v12, v11
	v_cndmask_b32_e32 v10, 0, v11, vcc_lo
	s_delay_alu instid0(VALU_DEP_1) | instskip(NEXT) | instid1(VALU_DEP_1)
	v_and_or_b32 v6, 0x80000000, v6, v10
	v_cvt_f16_f32_e32 v6, v6
.LBB409_1591:
	s_mov_b32 s6, 0
.LBB409_1592:
	s_delay_alu instid0(SALU_CYCLE_1)
	s_and_not1_b32 vcc_lo, exec_lo, s6
	s_cbranch_vccnz .LBB409_1594
; %bb.1593:
	global_load_u8 v6, v[4:5], off
	s_waitcnt vmcnt(0)
	v_lshlrev_b32_e32 v10, 25, v6
	v_lshlrev_b16 v6, 8, v6
	s_delay_alu instid0(VALU_DEP_2) | instskip(NEXT) | instid1(VALU_DEP_2)
	v_lshrrev_b32_e32 v11, 4, v10
	v_and_or_b32 v12, 0x7f00, v6, 0.5
	v_bfe_i32 v6, v6, 0, 16
	s_delay_alu instid0(VALU_DEP_3) | instskip(NEXT) | instid1(VALU_DEP_1)
	v_or_b32_e32 v11, 0x70000000, v11
	v_dual_add_f32 v12, -0.5, v12 :: v_dual_mul_f32 v11, 0x7800000, v11
	v_cmp_gt_u32_e32 vcc_lo, 0x8000000, v10
	s_delay_alu instid0(VALU_DEP_2) | instskip(NEXT) | instid1(VALU_DEP_1)
	v_cndmask_b32_e32 v10, v11, v12, vcc_lo
	v_and_or_b32 v6, 0x80000000, v6, v10
	s_delay_alu instid0(VALU_DEP_1)
	v_cvt_f16_f32_e32 v6, v6
.LBB409_1594:
	s_mov_b32 s6, 0
	s_mov_b32 s7, -1
.LBB409_1595:
	s_and_not1_b32 vcc_lo, exec_lo, s6
	s_mov_b32 s6, 0
	s_cbranch_vccnz .LBB409_1606
; %bb.1596:
	v_cmp_gt_i16_e64 s6, s1, 14
	s_delay_alu instid0(VALU_DEP_1)
	s_and_b32 vcc_lo, exec_lo, s6
	s_cbranch_vccz .LBB409_1599
; %bb.1597:
	v_cmp_eq_u16_e64 s3, s1, 15
	s_delay_alu instid0(VALU_DEP_1)
	s_and_b32 vcc_lo, exec_lo, s3
	s_cbranch_vccz .LBB409_1602
; %bb.1598:
	global_load_u16 v6, v[4:5], off
	s_mov_b32 s3, 0
	s_mov_b32 s7, -1
	s_waitcnt vmcnt(0)
	v_lshlrev_b32_e32 v6, 16, v6
	s_delay_alu instid0(VALU_DEP_1)
	v_cvt_f16_f32_e32 v6, v6
	s_branch .LBB409_1603
.LBB409_1599:
	s_mov_b32 s6, -1
                                        ; implicit-def: $vgpr6
	s_branch .LBB409_1604
.LBB409_1600:
	s_or_saveexec_b32 s10, s10
	v_mov_b32_e32 v6, s7
	s_xor_b32 exec_lo, exec_lo, s10
	s_cbranch_execz .LBB409_1581
.LBB409_1601:
	v_cmp_ne_u16_e32 vcc_lo, 0, v10
	v_mov_b32_e32 v6, v10
	s_and_not1_b32 s6, s6, exec_lo
	s_and_b32 s7, vcc_lo, exec_lo
	s_delay_alu instid0(SALU_CYCLE_1)
	s_or_b32 s6, s6, s7
	s_or_b32 exec_lo, exec_lo, s10
	s_and_saveexec_b32 s7, s6
	s_cbranch_execnz .LBB409_1582
	s_branch .LBB409_1583
.LBB409_1602:
	s_mov_b32 s3, -1
                                        ; implicit-def: $vgpr6
.LBB409_1603:
	s_mov_b32 s6, 0
.LBB409_1604:
	s_delay_alu instid0(SALU_CYCLE_1)
	s_and_b32 vcc_lo, exec_lo, s6
	s_mov_b32 s6, 0
	s_cbranch_vccz .LBB409_1606
; %bb.1605:
	v_cmp_ne_u16_e64 s3, s1, 11
	s_mov_b32 s6, -1
                                        ; implicit-def: $vgpr6
.LBB409_1606:
	s_delay_alu instid0(VALU_DEP_1)
	s_and_b32 vcc_lo, exec_lo, s3
	s_cbranch_vccnz .LBB409_2135
; %bb.1607:
	s_and_not1_b32 vcc_lo, exec_lo, s6
	s_cbranch_vccnz .LBB409_1609
.LBB409_1608:
	global_load_u8 v6, v[4:5], off
	s_mov_b32 s7, -1
	s_waitcnt vmcnt(0)
	v_cmp_ne_u16_e32 vcc_lo, 0, v6
	v_cndmask_b32_e64 v6, 0, 0x3c00, vcc_lo
.LBB409_1609:
	s_mov_b32 s3, 0
.LBB409_1610:
	s_delay_alu instid0(SALU_CYCLE_1)
	s_and_b32 vcc_lo, exec_lo, s3
	s_cbranch_vccz .LBB409_1659
; %bb.1611:
	v_cmp_lt_i16_e64 s3, s1, 5
	s_delay_alu instid0(VALU_DEP_1)
	s_and_b32 vcc_lo, exec_lo, s3
	s_cbranch_vccnz .LBB409_1616
; %bb.1612:
	v_cmp_lt_i16_e64 s3, s1, 8
	s_delay_alu instid0(VALU_DEP_1)
	s_and_b32 vcc_lo, exec_lo, s3
	s_cbranch_vccnz .LBB409_1617
	;; [unrolled: 5-line block ×3, first 2 shown]
; %bb.1614:
	v_cmp_gt_i16_e64 s3, s1, 9
	s_delay_alu instid0(VALU_DEP_1)
	s_and_b32 vcc_lo, exec_lo, s3
	s_cbranch_vccz .LBB409_1619
; %bb.1615:
	global_load_b64 v[10:11], v[4:5], off
	s_mov_b32 s3, 0
	s_waitcnt vmcnt(0)
	v_cvt_f32_f64_e32 v6, v[10:11]
	s_delay_alu instid0(VALU_DEP_1)
	v_cvt_f16_f32_e32 v6, v6
	s_branch .LBB409_1620
.LBB409_1616:
	s_mov_b32 s3, -1
                                        ; implicit-def: $vgpr6
	s_branch .LBB409_1638
.LBB409_1617:
	s_mov_b32 s3, -1
                                        ; implicit-def: $vgpr6
	s_branch .LBB409_1626
.LBB409_1618:
	s_mov_b32 s3, -1
                                        ; implicit-def: $vgpr6
	s_branch .LBB409_1623
.LBB409_1619:
	s_mov_b32 s3, -1
                                        ; implicit-def: $vgpr6
.LBB409_1620:
	s_delay_alu instid0(SALU_CYCLE_1)
	s_and_not1_b32 vcc_lo, exec_lo, s3
	s_cbranch_vccnz .LBB409_1622
; %bb.1621:
	global_load_b32 v6, v[4:5], off
	s_waitcnt vmcnt(0)
	v_cvt_f16_f32_e32 v6, v6
.LBB409_1622:
	s_mov_b32 s3, 0
.LBB409_1623:
	s_delay_alu instid0(SALU_CYCLE_1)
	s_and_not1_b32 vcc_lo, exec_lo, s3
	s_cbranch_vccnz .LBB409_1625
; %bb.1624:
	global_load_b32 v6, v[4:5], off
.LBB409_1625:
	s_mov_b32 s3, 0
.LBB409_1626:
	s_delay_alu instid0(SALU_CYCLE_1)
	s_and_not1_b32 vcc_lo, exec_lo, s3
	s_cbranch_vccnz .LBB409_1637
; %bb.1627:
	v_cmp_lt_i16_e64 s3, s1, 6
	s_delay_alu instid0(VALU_DEP_1)
	s_and_b32 vcc_lo, exec_lo, s3
	s_cbranch_vccnz .LBB409_1630
; %bb.1628:
	v_cmp_gt_i16_e64 s3, s1, 6
	s_delay_alu instid0(VALU_DEP_1)
	s_and_b32 vcc_lo, exec_lo, s3
	s_cbranch_vccz .LBB409_1631
; %bb.1629:
	global_load_b64 v[10:11], v[4:5], off
	s_mov_b32 s3, 0
	s_waitcnt vmcnt(0)
	v_cvt_f32_f64_e32 v6, v[10:11]
	s_delay_alu instid0(VALU_DEP_1)
	v_cvt_f16_f32_e32 v6, v6
	s_branch .LBB409_1632
.LBB409_1630:
	s_mov_b32 s3, -1
                                        ; implicit-def: $vgpr6
	s_branch .LBB409_1635
.LBB409_1631:
	s_mov_b32 s3, -1
                                        ; implicit-def: $vgpr6
.LBB409_1632:
	s_delay_alu instid0(SALU_CYCLE_1)
	s_and_not1_b32 vcc_lo, exec_lo, s3
	s_cbranch_vccnz .LBB409_1634
; %bb.1633:
	global_load_b32 v6, v[4:5], off
	s_waitcnt vmcnt(0)
	v_cvt_f16_f32_e32 v6, v6
.LBB409_1634:
	s_mov_b32 s3, 0
.LBB409_1635:
	s_delay_alu instid0(SALU_CYCLE_1)
	s_and_not1_b32 vcc_lo, exec_lo, s3
	s_cbranch_vccnz .LBB409_1637
; %bb.1636:
	global_load_u16 v6, v[4:5], off
.LBB409_1637:
	s_mov_b32 s3, 0
.LBB409_1638:
	s_delay_alu instid0(SALU_CYCLE_1)
	s_and_not1_b32 vcc_lo, exec_lo, s3
	s_cbranch_vccnz .LBB409_1658
; %bb.1639:
	v_cmp_lt_i16_e64 s3, s1, 2
	s_delay_alu instid0(VALU_DEP_1)
	s_and_b32 vcc_lo, exec_lo, s3
	s_cbranch_vccnz .LBB409_1643
; %bb.1640:
	v_cmp_lt_i16_e64 s3, s1, 3
	s_delay_alu instid0(VALU_DEP_1)
	s_and_b32 vcc_lo, exec_lo, s3
	s_cbranch_vccnz .LBB409_1644
; %bb.1641:
	v_cmp_gt_i16_e64 s3, s1, 3
	s_delay_alu instid0(VALU_DEP_1)
	s_and_b32 vcc_lo, exec_lo, s3
	s_cbranch_vccz .LBB409_1645
; %bb.1642:
	global_load_b64 v[10:11], v[4:5], off
	s_mov_b32 s3, 0
	s_waitcnt vmcnt(0)
	v_xor_b32_e32 v6, v10, v11
	v_cls_i32_e32 v12, v11
	s_delay_alu instid0(VALU_DEP_2) | instskip(NEXT) | instid1(VALU_DEP_2)
	v_ashrrev_i32_e32 v6, 31, v6
	v_add_nc_u32_e32 v12, -1, v12
	s_delay_alu instid0(VALU_DEP_2) | instskip(NEXT) | instid1(VALU_DEP_1)
	v_add_nc_u32_e32 v6, 32, v6
	v_min_u32_e32 v6, v12, v6
	s_delay_alu instid0(VALU_DEP_1) | instskip(SKIP_1) | instid1(VALU_DEP_2)
	v_lshlrev_b64 v[10:11], v6, v[10:11]
	v_sub_nc_u32_e32 v6, 32, v6
	v_min_u32_e32 v10, 1, v10
	s_delay_alu instid0(VALU_DEP_1) | instskip(NEXT) | instid1(VALU_DEP_1)
	v_or_b32_e32 v10, v11, v10
	v_cvt_f32_i32_e32 v10, v10
	s_delay_alu instid0(VALU_DEP_1) | instskip(NEXT) | instid1(VALU_DEP_1)
	v_ldexp_f32 v6, v10, v6
	v_cvt_f16_f32_e32 v6, v6
	s_branch .LBB409_1646
.LBB409_1643:
	s_mov_b32 s3, -1
                                        ; implicit-def: $vgpr6
	s_branch .LBB409_1652
.LBB409_1644:
	s_mov_b32 s3, -1
                                        ; implicit-def: $vgpr6
	s_branch .LBB409_1649
.LBB409_1645:
	s_mov_b32 s3, -1
                                        ; implicit-def: $vgpr6
.LBB409_1646:
	s_delay_alu instid0(SALU_CYCLE_1)
	s_and_not1_b32 vcc_lo, exec_lo, s3
	s_cbranch_vccnz .LBB409_1648
; %bb.1647:
	global_load_b32 v6, v[4:5], off
	s_waitcnt vmcnt(0)
	v_cvt_f32_i32_e32 v6, v6
	s_delay_alu instid0(VALU_DEP_1)
	v_cvt_f16_f32_e32 v6, v6
.LBB409_1648:
	s_mov_b32 s3, 0
.LBB409_1649:
	s_delay_alu instid0(SALU_CYCLE_1)
	s_and_not1_b32 vcc_lo, exec_lo, s3
	s_cbranch_vccnz .LBB409_1651
; %bb.1650:
	global_load_u16 v6, v[4:5], off
	s_waitcnt vmcnt(0)
	v_cvt_f16_i16_e32 v6, v6
.LBB409_1651:
	s_mov_b32 s3, 0
.LBB409_1652:
	s_delay_alu instid0(SALU_CYCLE_1)
	s_and_not1_b32 vcc_lo, exec_lo, s3
	s_cbranch_vccnz .LBB409_1658
; %bb.1653:
	v_cmp_gt_i16_e64 s1, s1, 0
	s_delay_alu instid0(VALU_DEP_1)
	s_and_b32 vcc_lo, exec_lo, s1
	s_mov_b32 s1, 0
	s_cbranch_vccz .LBB409_1655
; %bb.1654:
	global_load_i8 v6, v[4:5], off
	s_waitcnt vmcnt(0)
	v_cvt_f16_i16_e32 v6, v6
	s_branch .LBB409_1656
.LBB409_1655:
	s_mov_b32 s1, -1
                                        ; implicit-def: $vgpr6
.LBB409_1656:
	s_delay_alu instid0(SALU_CYCLE_1)
	s_and_not1_b32 vcc_lo, exec_lo, s1
	s_cbranch_vccnz .LBB409_1658
; %bb.1657:
	global_load_u8 v4, v[4:5], off
	s_waitcnt vmcnt(0)
	v_cvt_f16_u16_e32 v6, v4
.LBB409_1658:
	s_mov_b32 s7, -1
.LBB409_1659:
	s_delay_alu instid0(SALU_CYCLE_1)
	s_and_not1_b32 vcc_lo, exec_lo, s7
	s_cbranch_vccnz .LBB409_2090
; %bb.1660:
	s_load_b32 s3, s[16:17], 0x158
	s_lshr_b32 s0, s0, 16
	v_cmp_u_f16_e32 vcc_lo, v9, v9
	v_and_b32_e64 v5, 0xff, s0
	v_add_co_u32 v3, s7, s4, v3
	s_delay_alu instid0(VALU_DEP_1) | instskip(NEXT) | instid1(VALU_DEP_3)
	v_add_co_ci_u32_e64 v4, null, s5, 0, s7
	v_cmp_gt_i16_e64 s0, 11, v5
	s_mov_b32 s6, 0
	s_waitcnt lgkmcnt(0)
	v_cmp_lt_f16_e64 s1, s3, v9
	s_delay_alu instid0(VALU_DEP_1)
	s_or_b32 vcc_lo, vcc_lo, s1
	v_cndmask_b32_e32 v9, s3, v9, vcc_lo
	s_and_b32 vcc_lo, exec_lo, s0
	s_mov_b32 s0, -1
	s_cbranch_vccnz .LBB409_1738
; %bb.1661:
	v_cmp_lt_i16_e32 vcc_lo, 25, v5
	s_mov_b32 s7, -1
	s_mov_b32 s1, 0
	s_mov_b32 s0, 0
	s_cbranch_vccz .LBB409_1694
; %bb.1662:
	v_cmp_lt_i16_e32 vcc_lo, 28, v5
	s_cbranch_vccz .LBB409_1677
; %bb.1663:
	v_cmp_lt_i16_e32 vcc_lo, 43, v5
	;; [unrolled: 3-line block ×3, first 2 shown]
	s_cbranch_vccz .LBB409_1667
; %bb.1665:
	v_cmp_eq_u16_e32 vcc_lo, 46, v5
	s_mov_b32 s0, -1
	s_mov_b32 s7, 0
	s_cbranch_vccz .LBB409_1667
; %bb.1666:
	v_cvt_f32_f16_e32 v10, v9
	v_cmp_o_f16_e32 vcc_lo, v9, v9
	s_mov_b32 s0, 0
	s_mov_b32 s6, -1
	s_delay_alu instid0(VALU_DEP_2) | instskip(NEXT) | instid1(VALU_DEP_1)
	v_bfe_u32 v11, v10, 16, 1
	v_add3_u32 v10, v10, v11, 0x7fff
	s_delay_alu instid0(VALU_DEP_1) | instskip(NEXT) | instid1(VALU_DEP_1)
	v_lshrrev_b32_e32 v10, 16, v10
	v_cndmask_b32_e32 v10, 0x7fc0, v10, vcc_lo
	global_store_b32 v[3:4], v10, off
.LBB409_1667:
	s_and_b32 vcc_lo, exec_lo, s7
	s_cbranch_vccz .LBB409_1672
; %bb.1668:
	v_cmp_eq_u16_e32 vcc_lo, 44, v5
	s_mov_b32 s0, -1
	s_cbranch_vccz .LBB409_1672
; %bb.1669:
	v_cvt_f32_f16_e32 v10, v9
	v_mov_b32_e32 v11, 0xff
	s_mov_b32 s6, exec_lo
	s_delay_alu instid0(VALU_DEP_2) | instskip(NEXT) | instid1(VALU_DEP_1)
	v_bfe_u32 v12, v10, 23, 8
	v_cmpx_ne_u32_e32 0xff, v12
; %bb.1670:
	v_and_b32_e32 v11, 0x400000, v10
	v_and_or_b32 v12, 0x3fffff, v10, v12
	v_lshrrev_b32_e32 v10, 23, v10
	s_delay_alu instid0(VALU_DEP_3) | instskip(NEXT) | instid1(VALU_DEP_3)
	v_cmp_ne_u32_e32 vcc_lo, 0, v11
	v_cmp_ne_u32_e64 s0, 0, v12
	s_delay_alu instid0(VALU_DEP_1) | instskip(NEXT) | instid1(SALU_CYCLE_1)
	s_and_b32 s0, vcc_lo, s0
	v_cndmask_b32_e64 v11, 0, 1, s0
	s_delay_alu instid0(VALU_DEP_1)
	v_add_nc_u32_e32 v11, v10, v11
; %bb.1671:
	s_or_b32 exec_lo, exec_lo, s6
	s_mov_b32 s0, 0
	s_mov_b32 s6, -1
	global_store_b8 v[3:4], v11, off
.LBB409_1672:
	s_mov_b32 s7, 0
.LBB409_1673:
	s_delay_alu instid0(SALU_CYCLE_1)
	s_and_b32 vcc_lo, exec_lo, s7
	s_cbranch_vccz .LBB409_1676
; %bb.1674:
	v_cmp_eq_u16_e32 vcc_lo, 29, v5
	s_mov_b32 s0, -1
	s_cbranch_vccz .LBB409_1676
; %bb.1675:
	v_cvt_f32_f16_e32 v10, v9
	v_mov_b32_e32 v11, 0
	s_mov_b32 s0, 0
	s_mov_b32 s6, -1
	s_delay_alu instid0(VALU_DEP_2)
	v_cvt_u32_f32_e32 v10, v10
	global_store_b64 v[3:4], v[10:11], off
.LBB409_1676:
	s_mov_b32 s7, 0
.LBB409_1677:
	s_delay_alu instid0(SALU_CYCLE_1)
	s_and_b32 vcc_lo, exec_lo, s7
	s_cbranch_vccz .LBB409_1693
; %bb.1678:
	v_cmp_gt_i16_e32 vcc_lo, 27, v5
	s_mov_b32 s6, -1
	s_cbranch_vccnz .LBB409_1684
; %bb.1679:
	v_cmp_lt_i16_e32 vcc_lo, 27, v5
	s_cbranch_vccz .LBB409_1681
; %bb.1680:
	v_cvt_f32_f16_e32 v10, v9
	s_mov_b32 s6, 0
	s_delay_alu instid0(VALU_DEP_1)
	v_cvt_u32_f32_e32 v10, v10
	global_store_b32 v[3:4], v10, off
.LBB409_1681:
	s_and_not1_b32 vcc_lo, exec_lo, s6
	s_cbranch_vccnz .LBB409_1683
; %bb.1682:
	v_cvt_u16_f16_e32 v10, v9
	global_store_b16 v[3:4], v10, off
.LBB409_1683:
	s_mov_b32 s6, 0
.LBB409_1684:
	s_delay_alu instid0(SALU_CYCLE_1)
	s_and_not1_b32 vcc_lo, exec_lo, s6
	s_cbranch_vccnz .LBB409_1692
; %bb.1685:
	v_cvt_f32_f16_e32 v10, v9
	v_mov_b32_e32 v12, 0x80
	s_mov_b32 s6, exec_lo
	s_delay_alu instid0(VALU_DEP_2) | instskip(NEXT) | instid1(VALU_DEP_1)
	v_and_b32_e32 v11, 0x7fffffff, v10
	v_cmpx_gt_u32_e32 0x43800000, v11
	s_cbranch_execz .LBB409_1691
; %bb.1686:
	v_cmp_lt_u32_e32 vcc_lo, 0x3bffffff, v11
	s_mov_b32 s7, 0
                                        ; implicit-def: $vgpr11
	s_and_saveexec_b32 s10, vcc_lo
	s_delay_alu instid0(SALU_CYCLE_1)
	s_xor_b32 s10, exec_lo, s10
	s_cbranch_execz .LBB409_2137
; %bb.1687:
	v_bfe_u32 v11, v10, 20, 1
	s_mov_b32 s7, exec_lo
	s_delay_alu instid0(VALU_DEP_1) | instskip(NEXT) | instid1(VALU_DEP_1)
	v_add3_u32 v11, v10, v11, 0x487ffff
	v_lshrrev_b32_e32 v11, 20, v11
	s_or_saveexec_b32 s10, s10
                                        ; implicit-def: $sgpr11
	s_delay_alu instid0(SALU_CYCLE_1)
	s_xor_b32 exec_lo, exec_lo, s10
	s_cbranch_execnz .LBB409_2138
.LBB409_1688:
	s_or_b32 exec_lo, exec_lo, s10
	v_mov_b32_e32 v12, s11
	s_and_saveexec_b32 s10, s7
.LBB409_1689:
	v_lshrrev_b32_e32 v10, 24, v10
	s_delay_alu instid0(VALU_DEP_1)
	v_and_or_b32 v12, 0x80, v10, v11
.LBB409_1690:
	s_or_b32 exec_lo, exec_lo, s10
.LBB409_1691:
	s_delay_alu instid0(SALU_CYCLE_1)
	s_or_b32 exec_lo, exec_lo, s6
	global_store_b8 v[3:4], v12, off
.LBB409_1692:
	s_mov_b32 s6, -1
.LBB409_1693:
	s_mov_b32 s7, 0
.LBB409_1694:
	s_delay_alu instid0(SALU_CYCLE_1)
	s_and_b32 vcc_lo, exec_lo, s7
	s_cbranch_vccz .LBB409_1734
; %bb.1695:
	v_cmp_lt_i16_e32 vcc_lo, 22, v5
	s_mov_b32 s1, -1
	s_cbranch_vccz .LBB409_1727
; %bb.1696:
	v_cmp_gt_i16_e32 vcc_lo, 24, v5
	s_cbranch_vccnz .LBB409_1716
; %bb.1697:
	v_cmp_lt_i16_e32 vcc_lo, 24, v5
	s_cbranch_vccz .LBB409_1705
; %bb.1698:
	v_cvt_f32_f16_e32 v10, v9
	v_mov_b32_e32 v12, 0x80
	s_mov_b32 s1, exec_lo
	s_delay_alu instid0(VALU_DEP_2) | instskip(NEXT) | instid1(VALU_DEP_1)
	v_and_b32_e32 v11, 0x7fffffff, v10
	v_cmpx_gt_u32_e32 0x47800000, v11
	s_cbranch_execz .LBB409_1704
; %bb.1699:
	v_cmp_lt_u32_e32 vcc_lo, 0x37ffffff, v11
	s_mov_b32 s6, 0
                                        ; implicit-def: $vgpr11
	s_and_saveexec_b32 s7, vcc_lo
	s_delay_alu instid0(SALU_CYCLE_1)
	s_xor_b32 s7, exec_lo, s7
	s_cbranch_execz .LBB409_2143
; %bb.1700:
	v_bfe_u32 v11, v10, 21, 1
	s_mov_b32 s6, exec_lo
	s_delay_alu instid0(VALU_DEP_1) | instskip(NEXT) | instid1(VALU_DEP_1)
	v_add3_u32 v11, v10, v11, 0x88fffff
	v_lshrrev_b32_e32 v11, 21, v11
	s_or_saveexec_b32 s7, s7
                                        ; implicit-def: $sgpr10
	s_delay_alu instid0(SALU_CYCLE_1)
	s_xor_b32 exec_lo, exec_lo, s7
	s_cbranch_execnz .LBB409_2144
.LBB409_1701:
	s_or_b32 exec_lo, exec_lo, s7
	v_mov_b32_e32 v12, s10
	s_and_saveexec_b32 s7, s6
.LBB409_1702:
	v_lshrrev_b32_e32 v10, 24, v10
	s_delay_alu instid0(VALU_DEP_1)
	v_and_or_b32 v12, 0x80, v10, v11
.LBB409_1703:
	s_or_b32 exec_lo, exec_lo, s7
.LBB409_1704:
	s_delay_alu instid0(SALU_CYCLE_1)
	s_or_b32 exec_lo, exec_lo, s1
	s_mov_b32 s1, 0
	global_store_b8 v[3:4], v12, off
.LBB409_1705:
	s_and_b32 vcc_lo, exec_lo, s1
	s_cbranch_vccz .LBB409_1715
; %bb.1706:
	v_cvt_f32_f16_e32 v10, v9
	s_mov_b32 s1, exec_lo
                                        ; implicit-def: $vgpr11
	s_delay_alu instid0(VALU_DEP_1) | instskip(NEXT) | instid1(VALU_DEP_1)
	v_and_b32_e32 v12, 0x7fffffff, v10
	v_cmpx_gt_u32_e32 0x43f00000, v12
	s_xor_b32 s1, exec_lo, s1
	s_cbranch_execz .LBB409_1712
; %bb.1707:
	s_mov_b32 s6, exec_lo
                                        ; implicit-def: $vgpr11
	v_cmpx_lt_u32_e32 0x3c7fffff, v12
	s_xor_b32 s6, exec_lo, s6
; %bb.1708:
	v_bfe_u32 v11, v10, 20, 1
	s_delay_alu instid0(VALU_DEP_1) | instskip(NEXT) | instid1(VALU_DEP_1)
	v_add3_u32 v11, v10, v11, 0x407ffff
	v_and_b32_e32 v12, 0xff00000, v11
	v_lshrrev_b32_e32 v11, 20, v11
	s_delay_alu instid0(VALU_DEP_2) | instskip(NEXT) | instid1(VALU_DEP_2)
	v_cmp_ne_u32_e32 vcc_lo, 0x7f00000, v12
	v_cndmask_b32_e32 v11, 0x7e, v11, vcc_lo
; %bb.1709:
	s_and_not1_saveexec_b32 s6, s6
; %bb.1710:
	v_add_f32_e64 v11, 0x46800000, |v10|
; %bb.1711:
	s_or_b32 exec_lo, exec_lo, s6
                                        ; implicit-def: $vgpr12
.LBB409_1712:
	s_and_not1_saveexec_b32 s1, s1
; %bb.1713:
	v_mov_b32_e32 v11, 0x7f
	v_cmp_lt_u32_e32 vcc_lo, 0x7f800000, v12
	s_delay_alu instid0(VALU_DEP_2)
	v_cndmask_b32_e32 v11, 0x7e, v11, vcc_lo
; %bb.1714:
	s_or_b32 exec_lo, exec_lo, s1
	v_lshrrev_b32_e32 v10, 24, v10
	s_delay_alu instid0(VALU_DEP_1)
	v_and_or_b32 v10, 0x80, v10, v11
	global_store_b8 v[3:4], v10, off
.LBB409_1715:
	s_mov_b32 s1, 0
.LBB409_1716:
	s_delay_alu instid0(SALU_CYCLE_1)
	s_and_not1_b32 vcc_lo, exec_lo, s1
	s_cbranch_vccnz .LBB409_1726
; %bb.1717:
	v_cvt_f32_f16_e32 v10, v9
	s_mov_b32 s1, exec_lo
                                        ; implicit-def: $vgpr11
	s_delay_alu instid0(VALU_DEP_1) | instskip(NEXT) | instid1(VALU_DEP_1)
	v_and_b32_e32 v12, 0x7fffffff, v10
	v_cmpx_gt_u32_e32 0x47800000, v12
	s_xor_b32 s1, exec_lo, s1
	s_cbranch_execz .LBB409_1723
; %bb.1718:
	s_mov_b32 s6, exec_lo
                                        ; implicit-def: $vgpr11
	v_cmpx_lt_u32_e32 0x387fffff, v12
	s_xor_b32 s6, exec_lo, s6
; %bb.1719:
	v_bfe_u32 v11, v10, 21, 1
	s_delay_alu instid0(VALU_DEP_1) | instskip(NEXT) | instid1(VALU_DEP_1)
	v_add3_u32 v11, v10, v11, 0x80fffff
	v_lshrrev_b32_e32 v11, 21, v11
; %bb.1720:
	s_and_not1_saveexec_b32 s6, s6
; %bb.1721:
	v_add_f32_e64 v11, 0x43000000, |v10|
; %bb.1722:
	s_or_b32 exec_lo, exec_lo, s6
                                        ; implicit-def: $vgpr12
.LBB409_1723:
	s_and_not1_saveexec_b32 s1, s1
; %bb.1724:
	v_mov_b32_e32 v11, 0x7f
	v_cmp_lt_u32_e32 vcc_lo, 0x7f800000, v12
	s_delay_alu instid0(VALU_DEP_2)
	v_cndmask_b32_e32 v11, 0x7c, v11, vcc_lo
; %bb.1725:
	s_or_b32 exec_lo, exec_lo, s1
	v_lshrrev_b32_e32 v10, 24, v10
	s_delay_alu instid0(VALU_DEP_1)
	v_and_or_b32 v10, 0x80, v10, v11
	global_store_b8 v[3:4], v10, off
.LBB409_1726:
	s_mov_b32 s1, 0
	s_mov_b32 s6, -1
.LBB409_1727:
	s_and_not1_b32 vcc_lo, exec_lo, s1
	s_mov_b32 s1, 0
	s_cbranch_vccnz .LBB409_1734
; %bb.1728:
	v_cmp_lt_i16_e32 vcc_lo, 14, v5
	s_mov_b32 s1, -1
	s_cbranch_vccz .LBB409_1732
; %bb.1729:
	v_cmp_eq_u16_e32 vcc_lo, 15, v5
	s_mov_b32 s0, -1
	s_cbranch_vccz .LBB409_1731
; %bb.1730:
	v_cvt_f32_f16_e32 v10, v9
	v_cmp_o_f16_e32 vcc_lo, v9, v9
	s_mov_b32 s0, 0
	s_mov_b32 s6, -1
	s_delay_alu instid0(VALU_DEP_2) | instskip(NEXT) | instid1(VALU_DEP_1)
	v_bfe_u32 v11, v10, 16, 1
	v_add3_u32 v10, v10, v11, 0x7fff
	s_delay_alu instid0(VALU_DEP_1) | instskip(NEXT) | instid1(VALU_DEP_1)
	v_lshrrev_b32_e32 v10, 16, v10
	v_cndmask_b32_e32 v10, 0x7fc0, v10, vcc_lo
	global_store_b16 v[3:4], v10, off
.LBB409_1731:
	s_mov_b32 s1, 0
.LBB409_1732:
	s_delay_alu instid0(SALU_CYCLE_1)
	s_and_b32 vcc_lo, exec_lo, s1
	s_mov_b32 s1, 0
	s_cbranch_vccz .LBB409_1734
; %bb.1733:
	v_cmp_ne_u16_e64 s0, 11, v5
	s_mov_b32 s1, -1
.LBB409_1734:
	s_delay_alu instid0(VALU_DEP_1)
	s_and_b32 vcc_lo, exec_lo, s0
	s_cbranch_vccnz .LBB409_2141
; %bb.1735:
	s_and_not1_b32 vcc_lo, exec_lo, s1
	s_cbranch_vccnz .LBB409_1737
.LBB409_1736:
	v_and_b32_e32 v10, 0x7fff, v9
	s_mov_b32 s6, -1
	s_delay_alu instid0(VALU_DEP_1)
	v_cmp_ne_u16_e32 vcc_lo, 0, v10
	v_cndmask_b32_e64 v10, 0, 1, vcc_lo
	global_store_b8 v[3:4], v10, off
.LBB409_1737:
	s_mov_b32 s0, 0
.LBB409_1738:
	s_delay_alu instid0(SALU_CYCLE_1)
	s_and_b32 vcc_lo, exec_lo, s0
	s_cbranch_vccz .LBB409_1777
; %bb.1739:
	v_cmp_gt_i16_e32 vcc_lo, 5, v5
	s_mov_b32 s0, -1
	s_cbranch_vccnz .LBB409_1760
; %bb.1740:
	v_cmp_gt_i16_e32 vcc_lo, 8, v5
	s_cbranch_vccnz .LBB409_1750
; %bb.1741:
	v_cmp_gt_i16_e32 vcc_lo, 9, v5
	s_cbranch_vccnz .LBB409_1747
; %bb.1742:
	v_cmp_lt_i16_e32 vcc_lo, 9, v5
	s_cbranch_vccz .LBB409_1744
; %bb.1743:
	v_cvt_f32_f16_e32 v10, v9
	v_mov_b32_e32 v12, 0
	s_mov_b32 s0, 0
	s_delay_alu instid0(VALU_DEP_2) | instskip(NEXT) | instid1(VALU_DEP_2)
	v_cvt_f64_f32_e32 v[10:11], v10
	v_mov_b32_e32 v13, v12
	global_store_b128 v[3:4], v[10:13], off
.LBB409_1744:
	s_and_not1_b32 vcc_lo, exec_lo, s0
	s_cbranch_vccnz .LBB409_1746
; %bb.1745:
	v_cvt_f32_f16_e32 v10, v9
	v_mov_b32_e32 v11, 0
	global_store_b64 v[3:4], v[10:11], off
.LBB409_1746:
	s_mov_b32 s0, 0
.LBB409_1747:
	s_delay_alu instid0(SALU_CYCLE_1)
	s_and_not1_b32 vcc_lo, exec_lo, s0
	s_cbranch_vccnz .LBB409_1749
; %bb.1748:
	v_and_b32_e32 v10, 0xffff, v9
	global_store_b32 v[3:4], v10, off
.LBB409_1749:
	s_mov_b32 s0, 0
.LBB409_1750:
	s_delay_alu instid0(SALU_CYCLE_1)
	s_and_not1_b32 vcc_lo, exec_lo, s0
	s_cbranch_vccnz .LBB409_1759
; %bb.1751:
	v_cmp_gt_i16_e32 vcc_lo, 6, v5
	s_mov_b32 s0, -1
	s_cbranch_vccnz .LBB409_1757
; %bb.1752:
	v_cmp_lt_i16_e32 vcc_lo, 6, v5
	s_cbranch_vccz .LBB409_1754
; %bb.1753:
	v_cvt_f32_f16_e32 v10, v9
	s_mov_b32 s0, 0
	s_delay_alu instid0(VALU_DEP_1)
	v_cvt_f64_f32_e32 v[10:11], v10
	global_store_b64 v[3:4], v[10:11], off
.LBB409_1754:
	s_and_not1_b32 vcc_lo, exec_lo, s0
	s_cbranch_vccnz .LBB409_1756
; %bb.1755:
	v_cvt_f32_f16_e32 v10, v9
	global_store_b32 v[3:4], v10, off
.LBB409_1756:
	s_mov_b32 s0, 0
.LBB409_1757:
	s_delay_alu instid0(SALU_CYCLE_1)
	s_and_not1_b32 vcc_lo, exec_lo, s0
	s_cbranch_vccnz .LBB409_1759
; %bb.1758:
	global_store_b16 v[3:4], v9, off
.LBB409_1759:
	s_mov_b32 s0, 0
.LBB409_1760:
	s_delay_alu instid0(SALU_CYCLE_1)
	s_and_not1_b32 vcc_lo, exec_lo, s0
	s_cbranch_vccnz .LBB409_1776
; %bb.1761:
	v_cmp_gt_i16_e32 vcc_lo, 2, v5
	s_mov_b32 s0, -1
	s_cbranch_vccnz .LBB409_1771
; %bb.1762:
	v_cmp_gt_i16_e32 vcc_lo, 3, v5
	s_cbranch_vccnz .LBB409_1768
; %bb.1763:
	v_cmp_lt_i16_e32 vcc_lo, 3, v5
	s_cbranch_vccz .LBB409_1765
; %bb.1764:
	v_cvt_f32_f16_e32 v10, v9
	s_mov_b32 s0, 0
	s_delay_alu instid0(VALU_DEP_1) | instskip(NEXT) | instid1(VALU_DEP_1)
	v_cvt_i32_f32_e32 v10, v10
	v_ashrrev_i32_e32 v11, 31, v10
	global_store_b64 v[3:4], v[10:11], off
.LBB409_1765:
	s_and_not1_b32 vcc_lo, exec_lo, s0
	s_cbranch_vccnz .LBB409_1767
; %bb.1766:
	v_cvt_f32_f16_e32 v10, v9
	s_delay_alu instid0(VALU_DEP_1)
	v_cvt_i32_f32_e32 v10, v10
	global_store_b32 v[3:4], v10, off
.LBB409_1767:
	s_mov_b32 s0, 0
.LBB409_1768:
	s_delay_alu instid0(SALU_CYCLE_1)
	s_and_not1_b32 vcc_lo, exec_lo, s0
	s_cbranch_vccnz .LBB409_1770
; %bb.1769:
	v_cvt_i16_f16_e32 v10, v9
	global_store_b16 v[3:4], v10, off
.LBB409_1770:
	s_mov_b32 s0, 0
.LBB409_1771:
	s_delay_alu instid0(SALU_CYCLE_1)
	s_and_not1_b32 vcc_lo, exec_lo, s0
	s_cbranch_vccnz .LBB409_1776
; %bb.1772:
	v_cmp_lt_i16_e32 vcc_lo, 0, v5
	s_mov_b32 s0, -1
	s_cbranch_vccz .LBB409_1774
; %bb.1773:
	v_cvt_i16_f16_e32 v10, v9
	s_mov_b32 s0, 0
	global_store_b8 v[3:4], v10, off
.LBB409_1774:
	s_and_not1_b32 vcc_lo, exec_lo, s0
	s_cbranch_vccnz .LBB409_1776
; %bb.1775:
	v_cvt_f32_f16_e32 v9, v9
	s_delay_alu instid0(VALU_DEP_1)
	v_cvt_i32_f32_e32 v9, v9
	global_store_b8 v[3:4], v9, off
.LBB409_1776:
	s_mov_b32 s6, -1
.LBB409_1777:
	s_delay_alu instid0(SALU_CYCLE_1)
	s_and_not1_b32 vcc_lo, exec_lo, s6
	s_cbranch_vccnz .LBB409_2090
; %bb.1778:
	v_cmp_u_f16_e32 vcc_lo, v8, v8
	v_cmp_lt_f16_e64 s0, s3, v8
	v_cmp_gt_i16_e64 s1, 11, v5
	s_mov_b32 s6, 0
	s_delay_alu instid0(VALU_DEP_2)
	s_or_b32 vcc_lo, vcc_lo, s0
	v_add_co_u32 v2, s0, s4, v2
	v_cndmask_b32_e32 v4, s3, v8, vcc_lo
	v_add_co_ci_u32_e64 v3, null, s5, 0, s0
	s_and_b32 vcc_lo, exec_lo, s1
	s_mov_b32 s0, -1
	s_cbranch_vccnz .LBB409_1856
; %bb.1779:
	v_cmp_lt_i16_e32 vcc_lo, 25, v5
	s_mov_b32 s7, -1
	s_mov_b32 s1, 0
	s_mov_b32 s0, 0
	s_cbranch_vccz .LBB409_1812
; %bb.1780:
	v_cmp_lt_i16_e32 vcc_lo, 28, v5
	s_cbranch_vccz .LBB409_1795
; %bb.1781:
	v_cmp_lt_i16_e32 vcc_lo, 43, v5
	s_cbranch_vccz .LBB409_1791
; %bb.1782:
	v_cmp_lt_i16_e32 vcc_lo, 45, v5
	s_cbranch_vccz .LBB409_1785
; %bb.1783:
	v_cmp_eq_u16_e32 vcc_lo, 46, v5
	s_mov_b32 s0, -1
	s_mov_b32 s7, 0
	s_cbranch_vccz .LBB409_1785
; %bb.1784:
	v_cvt_f32_f16_e32 v8, v4
	v_cmp_o_f16_e32 vcc_lo, v4, v4
	s_mov_b32 s0, 0
	s_mov_b32 s6, -1
	s_delay_alu instid0(VALU_DEP_2) | instskip(NEXT) | instid1(VALU_DEP_1)
	v_bfe_u32 v9, v8, 16, 1
	v_add3_u32 v8, v8, v9, 0x7fff
	s_delay_alu instid0(VALU_DEP_1) | instskip(NEXT) | instid1(VALU_DEP_1)
	v_lshrrev_b32_e32 v8, 16, v8
	v_cndmask_b32_e32 v8, 0x7fc0, v8, vcc_lo
	global_store_b32 v[2:3], v8, off
.LBB409_1785:
	s_and_b32 vcc_lo, exec_lo, s7
	s_cbranch_vccz .LBB409_1790
; %bb.1786:
	v_cmp_eq_u16_e32 vcc_lo, 44, v5
	s_mov_b32 s0, -1
	s_cbranch_vccz .LBB409_1790
; %bb.1787:
	v_cvt_f32_f16_e32 v8, v4
	v_mov_b32_e32 v9, 0xff
	s_mov_b32 s6, exec_lo
	s_delay_alu instid0(VALU_DEP_2) | instskip(NEXT) | instid1(VALU_DEP_1)
	v_bfe_u32 v10, v8, 23, 8
	v_cmpx_ne_u32_e32 0xff, v10
; %bb.1788:
	v_and_b32_e32 v9, 0x400000, v8
	v_and_or_b32 v10, 0x3fffff, v8, v10
	v_lshrrev_b32_e32 v8, 23, v8
	s_delay_alu instid0(VALU_DEP_3) | instskip(NEXT) | instid1(VALU_DEP_3)
	v_cmp_ne_u32_e32 vcc_lo, 0, v9
	v_cmp_ne_u32_e64 s0, 0, v10
	s_delay_alu instid0(VALU_DEP_1) | instskip(NEXT) | instid1(SALU_CYCLE_1)
	s_and_b32 s0, vcc_lo, s0
	v_cndmask_b32_e64 v9, 0, 1, s0
	s_delay_alu instid0(VALU_DEP_1)
	v_add_nc_u32_e32 v9, v8, v9
; %bb.1789:
	s_or_b32 exec_lo, exec_lo, s6
	s_mov_b32 s0, 0
	s_mov_b32 s6, -1
	global_store_b8 v[2:3], v9, off
.LBB409_1790:
	s_mov_b32 s7, 0
.LBB409_1791:
	s_delay_alu instid0(SALU_CYCLE_1)
	s_and_b32 vcc_lo, exec_lo, s7
	s_cbranch_vccz .LBB409_1794
; %bb.1792:
	v_cmp_eq_u16_e32 vcc_lo, 29, v5
	s_mov_b32 s0, -1
	s_cbranch_vccz .LBB409_1794
; %bb.1793:
	v_cvt_f32_f16_e32 v8, v4
	v_mov_b32_e32 v9, 0
	s_mov_b32 s0, 0
	s_mov_b32 s6, -1
	s_delay_alu instid0(VALU_DEP_2)
	v_cvt_u32_f32_e32 v8, v8
	global_store_b64 v[2:3], v[8:9], off
.LBB409_1794:
	s_mov_b32 s7, 0
.LBB409_1795:
	s_delay_alu instid0(SALU_CYCLE_1)
	s_and_b32 vcc_lo, exec_lo, s7
	s_cbranch_vccz .LBB409_1811
; %bb.1796:
	v_cmp_gt_i16_e32 vcc_lo, 27, v5
	s_mov_b32 s6, -1
	s_cbranch_vccnz .LBB409_1802
; %bb.1797:
	v_cmp_lt_i16_e32 vcc_lo, 27, v5
	s_cbranch_vccz .LBB409_1799
; %bb.1798:
	v_cvt_f32_f16_e32 v8, v4
	s_mov_b32 s6, 0
	s_delay_alu instid0(VALU_DEP_1)
	v_cvt_u32_f32_e32 v8, v8
	global_store_b32 v[2:3], v8, off
.LBB409_1799:
	s_and_not1_b32 vcc_lo, exec_lo, s6
	s_cbranch_vccnz .LBB409_1801
; %bb.1800:
	v_cvt_u16_f16_e32 v8, v4
	global_store_b16 v[2:3], v8, off
.LBB409_1801:
	s_mov_b32 s6, 0
.LBB409_1802:
	s_delay_alu instid0(SALU_CYCLE_1)
	s_and_not1_b32 vcc_lo, exec_lo, s6
	s_cbranch_vccnz .LBB409_1810
; %bb.1803:
	v_cvt_f32_f16_e32 v8, v4
	v_mov_b32_e32 v10, 0x80
	s_mov_b32 s6, exec_lo
	s_delay_alu instid0(VALU_DEP_2) | instskip(NEXT) | instid1(VALU_DEP_1)
	v_and_b32_e32 v9, 0x7fffffff, v8
	v_cmpx_gt_u32_e32 0x43800000, v9
	s_cbranch_execz .LBB409_1809
; %bb.1804:
	v_cmp_lt_u32_e32 vcc_lo, 0x3bffffff, v9
	s_mov_b32 s7, 0
                                        ; implicit-def: $vgpr9
	s_and_saveexec_b32 s10, vcc_lo
	s_delay_alu instid0(SALU_CYCLE_1)
	s_xor_b32 s10, exec_lo, s10
	s_cbranch_execz .LBB409_2145
; %bb.1805:
	v_bfe_u32 v9, v8, 20, 1
	s_mov_b32 s7, exec_lo
	s_delay_alu instid0(VALU_DEP_1) | instskip(NEXT) | instid1(VALU_DEP_1)
	v_add3_u32 v9, v8, v9, 0x487ffff
	v_lshrrev_b32_e32 v9, 20, v9
	s_or_saveexec_b32 s10, s10
                                        ; implicit-def: $sgpr11
	s_delay_alu instid0(SALU_CYCLE_1)
	s_xor_b32 exec_lo, exec_lo, s10
	s_cbranch_execnz .LBB409_2146
.LBB409_1806:
	s_or_b32 exec_lo, exec_lo, s10
	v_mov_b32_e32 v10, s11
	s_and_saveexec_b32 s10, s7
.LBB409_1807:
	v_lshrrev_b32_e32 v8, 24, v8
	s_delay_alu instid0(VALU_DEP_1)
	v_and_or_b32 v10, 0x80, v8, v9
.LBB409_1808:
	s_or_b32 exec_lo, exec_lo, s10
.LBB409_1809:
	s_delay_alu instid0(SALU_CYCLE_1)
	s_or_b32 exec_lo, exec_lo, s6
	global_store_b8 v[2:3], v10, off
.LBB409_1810:
	s_mov_b32 s6, -1
.LBB409_1811:
	s_mov_b32 s7, 0
.LBB409_1812:
	s_delay_alu instid0(SALU_CYCLE_1)
	s_and_b32 vcc_lo, exec_lo, s7
	s_cbranch_vccz .LBB409_1852
; %bb.1813:
	v_cmp_lt_i16_e32 vcc_lo, 22, v5
	s_mov_b32 s1, -1
	s_cbranch_vccz .LBB409_1845
; %bb.1814:
	v_cmp_gt_i16_e32 vcc_lo, 24, v5
	s_cbranch_vccnz .LBB409_1834
; %bb.1815:
	v_cmp_lt_i16_e32 vcc_lo, 24, v5
	s_cbranch_vccz .LBB409_1823
; %bb.1816:
	v_cvt_f32_f16_e32 v8, v4
	v_mov_b32_e32 v10, 0x80
	s_mov_b32 s1, exec_lo
	s_delay_alu instid0(VALU_DEP_2) | instskip(NEXT) | instid1(VALU_DEP_1)
	v_and_b32_e32 v9, 0x7fffffff, v8
	v_cmpx_gt_u32_e32 0x47800000, v9
	s_cbranch_execz .LBB409_1822
; %bb.1817:
	v_cmp_lt_u32_e32 vcc_lo, 0x37ffffff, v9
	s_mov_b32 s6, 0
                                        ; implicit-def: $vgpr9
	s_and_saveexec_b32 s7, vcc_lo
	s_delay_alu instid0(SALU_CYCLE_1)
	s_xor_b32 s7, exec_lo, s7
	s_cbranch_execz .LBB409_2151
; %bb.1818:
	v_bfe_u32 v9, v8, 21, 1
	s_mov_b32 s6, exec_lo
	s_delay_alu instid0(VALU_DEP_1) | instskip(NEXT) | instid1(VALU_DEP_1)
	v_add3_u32 v9, v8, v9, 0x88fffff
	v_lshrrev_b32_e32 v9, 21, v9
	s_or_saveexec_b32 s7, s7
                                        ; implicit-def: $sgpr10
	s_delay_alu instid0(SALU_CYCLE_1)
	s_xor_b32 exec_lo, exec_lo, s7
	s_cbranch_execnz .LBB409_2152
.LBB409_1819:
	s_or_b32 exec_lo, exec_lo, s7
	v_mov_b32_e32 v10, s10
	s_and_saveexec_b32 s7, s6
.LBB409_1820:
	v_lshrrev_b32_e32 v8, 24, v8
	s_delay_alu instid0(VALU_DEP_1)
	v_and_or_b32 v10, 0x80, v8, v9
.LBB409_1821:
	s_or_b32 exec_lo, exec_lo, s7
.LBB409_1822:
	s_delay_alu instid0(SALU_CYCLE_1)
	s_or_b32 exec_lo, exec_lo, s1
	s_mov_b32 s1, 0
	global_store_b8 v[2:3], v10, off
.LBB409_1823:
	s_and_b32 vcc_lo, exec_lo, s1
	s_cbranch_vccz .LBB409_1833
; %bb.1824:
	v_cvt_f32_f16_e32 v8, v4
	s_mov_b32 s1, exec_lo
                                        ; implicit-def: $vgpr9
	s_delay_alu instid0(VALU_DEP_1) | instskip(NEXT) | instid1(VALU_DEP_1)
	v_and_b32_e32 v10, 0x7fffffff, v8
	v_cmpx_gt_u32_e32 0x43f00000, v10
	s_xor_b32 s1, exec_lo, s1
	s_cbranch_execz .LBB409_1830
; %bb.1825:
	s_mov_b32 s6, exec_lo
                                        ; implicit-def: $vgpr9
	v_cmpx_lt_u32_e32 0x3c7fffff, v10
	s_xor_b32 s6, exec_lo, s6
; %bb.1826:
	v_bfe_u32 v9, v8, 20, 1
	s_delay_alu instid0(VALU_DEP_1) | instskip(NEXT) | instid1(VALU_DEP_1)
	v_add3_u32 v9, v8, v9, 0x407ffff
	v_and_b32_e32 v10, 0xff00000, v9
	v_lshrrev_b32_e32 v9, 20, v9
	s_delay_alu instid0(VALU_DEP_2) | instskip(NEXT) | instid1(VALU_DEP_2)
	v_cmp_ne_u32_e32 vcc_lo, 0x7f00000, v10
	v_cndmask_b32_e32 v9, 0x7e, v9, vcc_lo
; %bb.1827:
	s_and_not1_saveexec_b32 s6, s6
; %bb.1828:
	v_add_f32_e64 v9, 0x46800000, |v8|
; %bb.1829:
	s_or_b32 exec_lo, exec_lo, s6
                                        ; implicit-def: $vgpr10
.LBB409_1830:
	s_and_not1_saveexec_b32 s1, s1
; %bb.1831:
	v_mov_b32_e32 v9, 0x7f
	v_cmp_lt_u32_e32 vcc_lo, 0x7f800000, v10
	s_delay_alu instid0(VALU_DEP_2)
	v_cndmask_b32_e32 v9, 0x7e, v9, vcc_lo
; %bb.1832:
	s_or_b32 exec_lo, exec_lo, s1
	v_lshrrev_b32_e32 v8, 24, v8
	s_delay_alu instid0(VALU_DEP_1)
	v_and_or_b32 v8, 0x80, v8, v9
	global_store_b8 v[2:3], v8, off
.LBB409_1833:
	s_mov_b32 s1, 0
.LBB409_1834:
	s_delay_alu instid0(SALU_CYCLE_1)
	s_and_not1_b32 vcc_lo, exec_lo, s1
	s_cbranch_vccnz .LBB409_1844
; %bb.1835:
	v_cvt_f32_f16_e32 v8, v4
	s_mov_b32 s1, exec_lo
                                        ; implicit-def: $vgpr9
	s_delay_alu instid0(VALU_DEP_1) | instskip(NEXT) | instid1(VALU_DEP_1)
	v_and_b32_e32 v10, 0x7fffffff, v8
	v_cmpx_gt_u32_e32 0x47800000, v10
	s_xor_b32 s1, exec_lo, s1
	s_cbranch_execz .LBB409_1841
; %bb.1836:
	s_mov_b32 s6, exec_lo
                                        ; implicit-def: $vgpr9
	v_cmpx_lt_u32_e32 0x387fffff, v10
	s_xor_b32 s6, exec_lo, s6
; %bb.1837:
	v_bfe_u32 v9, v8, 21, 1
	s_delay_alu instid0(VALU_DEP_1) | instskip(NEXT) | instid1(VALU_DEP_1)
	v_add3_u32 v9, v8, v9, 0x80fffff
	v_lshrrev_b32_e32 v9, 21, v9
; %bb.1838:
	s_and_not1_saveexec_b32 s6, s6
; %bb.1839:
	v_add_f32_e64 v9, 0x43000000, |v8|
; %bb.1840:
	s_or_b32 exec_lo, exec_lo, s6
                                        ; implicit-def: $vgpr10
.LBB409_1841:
	s_and_not1_saveexec_b32 s1, s1
; %bb.1842:
	v_mov_b32_e32 v9, 0x7f
	v_cmp_lt_u32_e32 vcc_lo, 0x7f800000, v10
	s_delay_alu instid0(VALU_DEP_2)
	v_cndmask_b32_e32 v9, 0x7c, v9, vcc_lo
; %bb.1843:
	s_or_b32 exec_lo, exec_lo, s1
	v_lshrrev_b32_e32 v8, 24, v8
	s_delay_alu instid0(VALU_DEP_1)
	v_and_or_b32 v8, 0x80, v8, v9
	global_store_b8 v[2:3], v8, off
.LBB409_1844:
	s_mov_b32 s1, 0
	s_mov_b32 s6, -1
.LBB409_1845:
	s_and_not1_b32 vcc_lo, exec_lo, s1
	s_mov_b32 s1, 0
	s_cbranch_vccnz .LBB409_1852
; %bb.1846:
	v_cmp_lt_i16_e32 vcc_lo, 14, v5
	s_mov_b32 s1, -1
	s_cbranch_vccz .LBB409_1850
; %bb.1847:
	v_cmp_eq_u16_e32 vcc_lo, 15, v5
	s_mov_b32 s0, -1
	s_cbranch_vccz .LBB409_1849
; %bb.1848:
	v_cvt_f32_f16_e32 v8, v4
	v_cmp_o_f16_e32 vcc_lo, v4, v4
	s_mov_b32 s0, 0
	s_mov_b32 s6, -1
	s_delay_alu instid0(VALU_DEP_2) | instskip(NEXT) | instid1(VALU_DEP_1)
	v_bfe_u32 v9, v8, 16, 1
	v_add3_u32 v8, v8, v9, 0x7fff
	s_delay_alu instid0(VALU_DEP_1) | instskip(NEXT) | instid1(VALU_DEP_1)
	v_lshrrev_b32_e32 v8, 16, v8
	v_cndmask_b32_e32 v8, 0x7fc0, v8, vcc_lo
	global_store_b16 v[2:3], v8, off
.LBB409_1849:
	s_mov_b32 s1, 0
.LBB409_1850:
	s_delay_alu instid0(SALU_CYCLE_1)
	s_and_b32 vcc_lo, exec_lo, s1
	s_mov_b32 s1, 0
	s_cbranch_vccz .LBB409_1852
; %bb.1851:
	v_cmp_ne_u16_e64 s0, 11, v5
	s_mov_b32 s1, -1
.LBB409_1852:
	s_delay_alu instid0(VALU_DEP_1)
	s_and_b32 vcc_lo, exec_lo, s0
	s_cbranch_vccnz .LBB409_2149
; %bb.1853:
	s_and_not1_b32 vcc_lo, exec_lo, s1
	s_cbranch_vccnz .LBB409_1855
.LBB409_1854:
	v_and_b32_e32 v8, 0x7fff, v4
	s_mov_b32 s6, -1
	s_delay_alu instid0(VALU_DEP_1)
	v_cmp_ne_u16_e32 vcc_lo, 0, v8
	v_cndmask_b32_e64 v8, 0, 1, vcc_lo
	global_store_b8 v[2:3], v8, off
.LBB409_1855:
	s_mov_b32 s0, 0
.LBB409_1856:
	s_delay_alu instid0(SALU_CYCLE_1)
	s_and_b32 vcc_lo, exec_lo, s0
	s_cbranch_vccz .LBB409_1895
; %bb.1857:
	v_cmp_gt_i16_e32 vcc_lo, 5, v5
	s_mov_b32 s0, -1
	s_cbranch_vccnz .LBB409_1878
; %bb.1858:
	v_cmp_gt_i16_e32 vcc_lo, 8, v5
	s_cbranch_vccnz .LBB409_1868
; %bb.1859:
	v_cmp_gt_i16_e32 vcc_lo, 9, v5
	s_cbranch_vccnz .LBB409_1865
; %bb.1860:
	v_cmp_lt_i16_e32 vcc_lo, 9, v5
	s_cbranch_vccz .LBB409_1862
; %bb.1861:
	v_cvt_f32_f16_e32 v8, v4
	v_mov_b32_e32 v10, 0
	s_mov_b32 s0, 0
	s_delay_alu instid0(VALU_DEP_2) | instskip(NEXT) | instid1(VALU_DEP_2)
	v_cvt_f64_f32_e32 v[8:9], v8
	v_mov_b32_e32 v11, v10
	global_store_b128 v[2:3], v[8:11], off
.LBB409_1862:
	s_and_not1_b32 vcc_lo, exec_lo, s0
	s_cbranch_vccnz .LBB409_1864
; %bb.1863:
	v_cvt_f32_f16_e32 v8, v4
	v_mov_b32_e32 v9, 0
	global_store_b64 v[2:3], v[8:9], off
.LBB409_1864:
	s_mov_b32 s0, 0
.LBB409_1865:
	s_delay_alu instid0(SALU_CYCLE_1)
	s_and_not1_b32 vcc_lo, exec_lo, s0
	s_cbranch_vccnz .LBB409_1867
; %bb.1866:
	v_and_b32_e32 v8, 0xffff, v4
	global_store_b32 v[2:3], v8, off
.LBB409_1867:
	s_mov_b32 s0, 0
.LBB409_1868:
	s_delay_alu instid0(SALU_CYCLE_1)
	s_and_not1_b32 vcc_lo, exec_lo, s0
	s_cbranch_vccnz .LBB409_1877
; %bb.1869:
	v_cmp_gt_i16_e32 vcc_lo, 6, v5
	s_mov_b32 s0, -1
	s_cbranch_vccnz .LBB409_1875
; %bb.1870:
	v_cmp_lt_i16_e32 vcc_lo, 6, v5
	s_cbranch_vccz .LBB409_1872
; %bb.1871:
	v_cvt_f32_f16_e32 v8, v4
	s_mov_b32 s0, 0
	s_delay_alu instid0(VALU_DEP_1)
	v_cvt_f64_f32_e32 v[8:9], v8
	global_store_b64 v[2:3], v[8:9], off
.LBB409_1872:
	s_and_not1_b32 vcc_lo, exec_lo, s0
	s_cbranch_vccnz .LBB409_1874
; %bb.1873:
	v_cvt_f32_f16_e32 v8, v4
	global_store_b32 v[2:3], v8, off
.LBB409_1874:
	s_mov_b32 s0, 0
.LBB409_1875:
	s_delay_alu instid0(SALU_CYCLE_1)
	s_and_not1_b32 vcc_lo, exec_lo, s0
	s_cbranch_vccnz .LBB409_1877
; %bb.1876:
	global_store_b16 v[2:3], v4, off
.LBB409_1877:
	s_mov_b32 s0, 0
.LBB409_1878:
	s_delay_alu instid0(SALU_CYCLE_1)
	s_and_not1_b32 vcc_lo, exec_lo, s0
	s_cbranch_vccnz .LBB409_1894
; %bb.1879:
	v_cmp_gt_i16_e32 vcc_lo, 2, v5
	s_mov_b32 s0, -1
	s_cbranch_vccnz .LBB409_1889
; %bb.1880:
	v_cmp_gt_i16_e32 vcc_lo, 3, v5
	s_cbranch_vccnz .LBB409_1886
; %bb.1881:
	v_cmp_lt_i16_e32 vcc_lo, 3, v5
	s_cbranch_vccz .LBB409_1883
; %bb.1882:
	v_cvt_f32_f16_e32 v8, v4
	s_mov_b32 s0, 0
	s_delay_alu instid0(VALU_DEP_1) | instskip(NEXT) | instid1(VALU_DEP_1)
	v_cvt_i32_f32_e32 v8, v8
	v_ashrrev_i32_e32 v9, 31, v8
	global_store_b64 v[2:3], v[8:9], off
.LBB409_1883:
	s_and_not1_b32 vcc_lo, exec_lo, s0
	s_cbranch_vccnz .LBB409_1885
; %bb.1884:
	v_cvt_f32_f16_e32 v8, v4
	s_delay_alu instid0(VALU_DEP_1)
	v_cvt_i32_f32_e32 v8, v8
	global_store_b32 v[2:3], v8, off
.LBB409_1885:
	s_mov_b32 s0, 0
.LBB409_1886:
	s_delay_alu instid0(SALU_CYCLE_1)
	s_and_not1_b32 vcc_lo, exec_lo, s0
	s_cbranch_vccnz .LBB409_1888
; %bb.1887:
	v_cvt_i16_f16_e32 v8, v4
	global_store_b16 v[2:3], v8, off
.LBB409_1888:
	s_mov_b32 s0, 0
.LBB409_1889:
	s_delay_alu instid0(SALU_CYCLE_1)
	s_and_not1_b32 vcc_lo, exec_lo, s0
	s_cbranch_vccnz .LBB409_1894
; %bb.1890:
	v_cmp_lt_i16_e32 vcc_lo, 0, v5
	s_mov_b32 s0, -1
	s_cbranch_vccz .LBB409_1892
; %bb.1891:
	v_cvt_i16_f16_e32 v8, v4
	s_mov_b32 s0, 0
	global_store_b8 v[2:3], v8, off
.LBB409_1892:
	s_and_not1_b32 vcc_lo, exec_lo, s0
	s_cbranch_vccnz .LBB409_1894
; %bb.1893:
	v_cvt_f32_f16_e32 v4, v4
	s_delay_alu instid0(VALU_DEP_1)
	v_cvt_i32_f32_e32 v4, v4
	global_store_b8 v[2:3], v4, off
.LBB409_1894:
	s_mov_b32 s6, -1
.LBB409_1895:
	s_delay_alu instid0(SALU_CYCLE_1)
	s_and_not1_b32 vcc_lo, exec_lo, s6
	s_cbranch_vccnz .LBB409_2090
; %bb.1896:
	s_waitcnt vmcnt(0)
	v_cmp_u_f16_e32 vcc_lo, v7, v7
	v_cmp_lt_f16_e64 s0, s3, v7
	v_cmp_gt_i16_e64 s1, 11, v5
	s_mov_b32 s6, 0
	s_delay_alu instid0(VALU_DEP_2)
	s_or_b32 vcc_lo, vcc_lo, s0
	v_add_co_u32 v1, s0, s4, v1
	v_cndmask_b32_e32 v3, s3, v7, vcc_lo
	v_add_co_ci_u32_e64 v2, null, s5, 0, s0
	s_and_b32 vcc_lo, exec_lo, s1
	s_mov_b32 s0, -1
	s_cbranch_vccnz .LBB409_1974
; %bb.1897:
	v_cmp_lt_i16_e32 vcc_lo, 25, v5
	s_mov_b32 s7, -1
	s_mov_b32 s1, 0
	s_mov_b32 s0, 0
	s_cbranch_vccz .LBB409_1930
; %bb.1898:
	v_cmp_lt_i16_e32 vcc_lo, 28, v5
	s_cbranch_vccz .LBB409_1913
; %bb.1899:
	v_cmp_lt_i16_e32 vcc_lo, 43, v5
	;; [unrolled: 3-line block ×3, first 2 shown]
	s_cbranch_vccz .LBB409_1903
; %bb.1901:
	v_cmp_eq_u16_e32 vcc_lo, 46, v5
	s_mov_b32 s0, -1
	s_mov_b32 s7, 0
	s_cbranch_vccz .LBB409_1903
; %bb.1902:
	v_cvt_f32_f16_e32 v4, v3
	v_cmp_o_f16_e32 vcc_lo, v3, v3
	s_mov_b32 s0, 0
	s_mov_b32 s6, -1
	s_delay_alu instid0(VALU_DEP_2) | instskip(NEXT) | instid1(VALU_DEP_1)
	v_bfe_u32 v7, v4, 16, 1
	v_add3_u32 v4, v4, v7, 0x7fff
	s_delay_alu instid0(VALU_DEP_1) | instskip(NEXT) | instid1(VALU_DEP_1)
	v_lshrrev_b32_e32 v4, 16, v4
	v_cndmask_b32_e32 v4, 0x7fc0, v4, vcc_lo
	global_store_b32 v[1:2], v4, off
.LBB409_1903:
	s_and_b32 vcc_lo, exec_lo, s7
	s_cbranch_vccz .LBB409_1908
; %bb.1904:
	v_cmp_eq_u16_e32 vcc_lo, 44, v5
	s_mov_b32 s0, -1
	s_cbranch_vccz .LBB409_1908
; %bb.1905:
	v_cvt_f32_f16_e32 v4, v3
	v_mov_b32_e32 v7, 0xff
	s_mov_b32 s6, exec_lo
	s_delay_alu instid0(VALU_DEP_2) | instskip(NEXT) | instid1(VALU_DEP_1)
	v_bfe_u32 v8, v4, 23, 8
	v_cmpx_ne_u32_e32 0xff, v8
; %bb.1906:
	v_and_b32_e32 v7, 0x400000, v4
	v_and_or_b32 v8, 0x3fffff, v4, v8
	v_lshrrev_b32_e32 v4, 23, v4
	s_delay_alu instid0(VALU_DEP_3) | instskip(NEXT) | instid1(VALU_DEP_3)
	v_cmp_ne_u32_e32 vcc_lo, 0, v7
	v_cmp_ne_u32_e64 s0, 0, v8
	s_delay_alu instid0(VALU_DEP_1) | instskip(NEXT) | instid1(SALU_CYCLE_1)
	s_and_b32 s0, vcc_lo, s0
	v_cndmask_b32_e64 v7, 0, 1, s0
	s_delay_alu instid0(VALU_DEP_1)
	v_add_nc_u32_e32 v7, v4, v7
; %bb.1907:
	s_or_b32 exec_lo, exec_lo, s6
	s_mov_b32 s0, 0
	s_mov_b32 s6, -1
	global_store_b8 v[1:2], v7, off
.LBB409_1908:
	s_mov_b32 s7, 0
.LBB409_1909:
	s_delay_alu instid0(SALU_CYCLE_1)
	s_and_b32 vcc_lo, exec_lo, s7
	s_cbranch_vccz .LBB409_1912
; %bb.1910:
	v_cmp_eq_u16_e32 vcc_lo, 29, v5
	s_mov_b32 s0, -1
	s_cbranch_vccz .LBB409_1912
; %bb.1911:
	v_cvt_f32_f16_e32 v4, v3
	v_mov_b32_e32 v8, 0
	s_mov_b32 s0, 0
	s_mov_b32 s6, -1
	s_delay_alu instid0(VALU_DEP_2)
	v_cvt_u32_f32_e32 v7, v4
	global_store_b64 v[1:2], v[7:8], off
.LBB409_1912:
	s_mov_b32 s7, 0
.LBB409_1913:
	s_delay_alu instid0(SALU_CYCLE_1)
	s_and_b32 vcc_lo, exec_lo, s7
	s_cbranch_vccz .LBB409_1929
; %bb.1914:
	v_cmp_gt_i16_e32 vcc_lo, 27, v5
	s_mov_b32 s6, -1
	s_cbranch_vccnz .LBB409_1920
; %bb.1915:
	v_cmp_lt_i16_e32 vcc_lo, 27, v5
	s_cbranch_vccz .LBB409_1917
; %bb.1916:
	v_cvt_f32_f16_e32 v4, v3
	s_mov_b32 s6, 0
	s_delay_alu instid0(VALU_DEP_1)
	v_cvt_u32_f32_e32 v4, v4
	global_store_b32 v[1:2], v4, off
.LBB409_1917:
	s_and_not1_b32 vcc_lo, exec_lo, s6
	s_cbranch_vccnz .LBB409_1919
; %bb.1918:
	v_cvt_u16_f16_e32 v4, v3
	global_store_b16 v[1:2], v4, off
.LBB409_1919:
	s_mov_b32 s6, 0
.LBB409_1920:
	s_delay_alu instid0(SALU_CYCLE_1)
	s_and_not1_b32 vcc_lo, exec_lo, s6
	s_cbranch_vccnz .LBB409_1928
; %bb.1921:
	v_cvt_f32_f16_e32 v4, v3
	v_mov_b32_e32 v8, 0x80
	s_mov_b32 s6, exec_lo
	s_delay_alu instid0(VALU_DEP_2) | instskip(NEXT) | instid1(VALU_DEP_1)
	v_and_b32_e32 v7, 0x7fffffff, v4
	v_cmpx_gt_u32_e32 0x43800000, v7
	s_cbranch_execz .LBB409_1927
; %bb.1922:
	v_cmp_lt_u32_e32 vcc_lo, 0x3bffffff, v7
	s_mov_b32 s7, 0
                                        ; implicit-def: $vgpr7
	s_and_saveexec_b32 s10, vcc_lo
	s_delay_alu instid0(SALU_CYCLE_1)
	s_xor_b32 s10, exec_lo, s10
	s_cbranch_execz .LBB409_2153
; %bb.1923:
	v_bfe_u32 v7, v4, 20, 1
	s_mov_b32 s7, exec_lo
	s_delay_alu instid0(VALU_DEP_1) | instskip(NEXT) | instid1(VALU_DEP_1)
	v_add3_u32 v7, v4, v7, 0x487ffff
	v_lshrrev_b32_e32 v7, 20, v7
	s_or_saveexec_b32 s10, s10
                                        ; implicit-def: $sgpr11
	s_delay_alu instid0(SALU_CYCLE_1)
	s_xor_b32 exec_lo, exec_lo, s10
	s_cbranch_execnz .LBB409_2154
.LBB409_1924:
	s_or_b32 exec_lo, exec_lo, s10
	v_mov_b32_e32 v8, s11
	s_and_saveexec_b32 s10, s7
.LBB409_1925:
	v_lshrrev_b32_e32 v4, 24, v4
	s_delay_alu instid0(VALU_DEP_1)
	v_and_or_b32 v8, 0x80, v4, v7
.LBB409_1926:
	s_or_b32 exec_lo, exec_lo, s10
.LBB409_1927:
	s_delay_alu instid0(SALU_CYCLE_1)
	s_or_b32 exec_lo, exec_lo, s6
	global_store_b8 v[1:2], v8, off
.LBB409_1928:
	s_mov_b32 s6, -1
.LBB409_1929:
	s_mov_b32 s7, 0
.LBB409_1930:
	s_delay_alu instid0(SALU_CYCLE_1)
	s_and_b32 vcc_lo, exec_lo, s7
	s_cbranch_vccz .LBB409_1970
; %bb.1931:
	v_cmp_lt_i16_e32 vcc_lo, 22, v5
	s_mov_b32 s1, -1
	s_cbranch_vccz .LBB409_1963
; %bb.1932:
	v_cmp_gt_i16_e32 vcc_lo, 24, v5
	s_cbranch_vccnz .LBB409_1952
; %bb.1933:
	v_cmp_lt_i16_e32 vcc_lo, 24, v5
	s_cbranch_vccz .LBB409_1941
; %bb.1934:
	v_cvt_f32_f16_e32 v4, v3
	v_mov_b32_e32 v8, 0x80
	s_mov_b32 s1, exec_lo
	s_delay_alu instid0(VALU_DEP_2) | instskip(NEXT) | instid1(VALU_DEP_1)
	v_and_b32_e32 v7, 0x7fffffff, v4
	v_cmpx_gt_u32_e32 0x47800000, v7
	s_cbranch_execz .LBB409_1940
; %bb.1935:
	v_cmp_lt_u32_e32 vcc_lo, 0x37ffffff, v7
	s_mov_b32 s6, 0
                                        ; implicit-def: $vgpr7
	s_and_saveexec_b32 s7, vcc_lo
	s_delay_alu instid0(SALU_CYCLE_1)
	s_xor_b32 s7, exec_lo, s7
	s_cbranch_execz .LBB409_2159
; %bb.1936:
	v_bfe_u32 v7, v4, 21, 1
	s_mov_b32 s6, exec_lo
	s_delay_alu instid0(VALU_DEP_1) | instskip(NEXT) | instid1(VALU_DEP_1)
	v_add3_u32 v7, v4, v7, 0x88fffff
	v_lshrrev_b32_e32 v7, 21, v7
	s_or_saveexec_b32 s7, s7
                                        ; implicit-def: $sgpr10
	s_delay_alu instid0(SALU_CYCLE_1)
	s_xor_b32 exec_lo, exec_lo, s7
	s_cbranch_execnz .LBB409_2160
.LBB409_1937:
	s_or_b32 exec_lo, exec_lo, s7
	v_mov_b32_e32 v8, s10
	s_and_saveexec_b32 s7, s6
.LBB409_1938:
	v_lshrrev_b32_e32 v4, 24, v4
	s_delay_alu instid0(VALU_DEP_1)
	v_and_or_b32 v8, 0x80, v4, v7
.LBB409_1939:
	s_or_b32 exec_lo, exec_lo, s7
.LBB409_1940:
	s_delay_alu instid0(SALU_CYCLE_1)
	s_or_b32 exec_lo, exec_lo, s1
	s_mov_b32 s1, 0
	global_store_b8 v[1:2], v8, off
.LBB409_1941:
	s_and_b32 vcc_lo, exec_lo, s1
	s_cbranch_vccz .LBB409_1951
; %bb.1942:
	v_cvt_f32_f16_e32 v4, v3
	s_mov_b32 s1, exec_lo
                                        ; implicit-def: $vgpr7
	s_delay_alu instid0(VALU_DEP_1) | instskip(NEXT) | instid1(VALU_DEP_1)
	v_and_b32_e32 v8, 0x7fffffff, v4
	v_cmpx_gt_u32_e32 0x43f00000, v8
	s_xor_b32 s1, exec_lo, s1
	s_cbranch_execz .LBB409_1948
; %bb.1943:
	s_mov_b32 s6, exec_lo
                                        ; implicit-def: $vgpr7
	v_cmpx_lt_u32_e32 0x3c7fffff, v8
	s_xor_b32 s6, exec_lo, s6
; %bb.1944:
	v_bfe_u32 v7, v4, 20, 1
	s_delay_alu instid0(VALU_DEP_1) | instskip(NEXT) | instid1(VALU_DEP_1)
	v_add3_u32 v7, v4, v7, 0x407ffff
	v_and_b32_e32 v8, 0xff00000, v7
	v_lshrrev_b32_e32 v7, 20, v7
	s_delay_alu instid0(VALU_DEP_2) | instskip(NEXT) | instid1(VALU_DEP_2)
	v_cmp_ne_u32_e32 vcc_lo, 0x7f00000, v8
	v_cndmask_b32_e32 v7, 0x7e, v7, vcc_lo
; %bb.1945:
	s_and_not1_saveexec_b32 s6, s6
; %bb.1946:
	v_add_f32_e64 v7, 0x46800000, |v4|
; %bb.1947:
	s_or_b32 exec_lo, exec_lo, s6
                                        ; implicit-def: $vgpr8
.LBB409_1948:
	s_and_not1_saveexec_b32 s1, s1
; %bb.1949:
	v_mov_b32_e32 v7, 0x7f
	v_cmp_lt_u32_e32 vcc_lo, 0x7f800000, v8
	s_delay_alu instid0(VALU_DEP_2)
	v_cndmask_b32_e32 v7, 0x7e, v7, vcc_lo
; %bb.1950:
	s_or_b32 exec_lo, exec_lo, s1
	v_lshrrev_b32_e32 v4, 24, v4
	s_delay_alu instid0(VALU_DEP_1)
	v_and_or_b32 v4, 0x80, v4, v7
	global_store_b8 v[1:2], v4, off
.LBB409_1951:
	s_mov_b32 s1, 0
.LBB409_1952:
	s_delay_alu instid0(SALU_CYCLE_1)
	s_and_not1_b32 vcc_lo, exec_lo, s1
	s_cbranch_vccnz .LBB409_1962
; %bb.1953:
	v_cvt_f32_f16_e32 v4, v3
	s_mov_b32 s1, exec_lo
                                        ; implicit-def: $vgpr7
	s_delay_alu instid0(VALU_DEP_1) | instskip(NEXT) | instid1(VALU_DEP_1)
	v_and_b32_e32 v8, 0x7fffffff, v4
	v_cmpx_gt_u32_e32 0x47800000, v8
	s_xor_b32 s1, exec_lo, s1
	s_cbranch_execz .LBB409_1959
; %bb.1954:
	s_mov_b32 s6, exec_lo
                                        ; implicit-def: $vgpr7
	v_cmpx_lt_u32_e32 0x387fffff, v8
	s_xor_b32 s6, exec_lo, s6
; %bb.1955:
	v_bfe_u32 v7, v4, 21, 1
	s_delay_alu instid0(VALU_DEP_1) | instskip(NEXT) | instid1(VALU_DEP_1)
	v_add3_u32 v7, v4, v7, 0x80fffff
	v_lshrrev_b32_e32 v7, 21, v7
; %bb.1956:
	s_and_not1_saveexec_b32 s6, s6
; %bb.1957:
	v_add_f32_e64 v7, 0x43000000, |v4|
; %bb.1958:
	s_or_b32 exec_lo, exec_lo, s6
                                        ; implicit-def: $vgpr8
.LBB409_1959:
	s_and_not1_saveexec_b32 s1, s1
; %bb.1960:
	v_mov_b32_e32 v7, 0x7f
	v_cmp_lt_u32_e32 vcc_lo, 0x7f800000, v8
	s_delay_alu instid0(VALU_DEP_2)
	v_cndmask_b32_e32 v7, 0x7c, v7, vcc_lo
; %bb.1961:
	s_or_b32 exec_lo, exec_lo, s1
	v_lshrrev_b32_e32 v4, 24, v4
	s_delay_alu instid0(VALU_DEP_1)
	v_and_or_b32 v4, 0x80, v4, v7
	global_store_b8 v[1:2], v4, off
.LBB409_1962:
	s_mov_b32 s1, 0
	s_mov_b32 s6, -1
.LBB409_1963:
	s_and_not1_b32 vcc_lo, exec_lo, s1
	s_mov_b32 s1, 0
	s_cbranch_vccnz .LBB409_1970
; %bb.1964:
	v_cmp_lt_i16_e32 vcc_lo, 14, v5
	s_mov_b32 s1, -1
	s_cbranch_vccz .LBB409_1968
; %bb.1965:
	v_cmp_eq_u16_e32 vcc_lo, 15, v5
	s_mov_b32 s0, -1
	s_cbranch_vccz .LBB409_1967
; %bb.1966:
	v_cvt_f32_f16_e32 v4, v3
	v_cmp_o_f16_e32 vcc_lo, v3, v3
	s_mov_b32 s0, 0
	s_mov_b32 s6, -1
	s_delay_alu instid0(VALU_DEP_2) | instskip(NEXT) | instid1(VALU_DEP_1)
	v_bfe_u32 v7, v4, 16, 1
	v_add3_u32 v4, v4, v7, 0x7fff
	s_delay_alu instid0(VALU_DEP_1) | instskip(NEXT) | instid1(VALU_DEP_1)
	v_lshrrev_b32_e32 v4, 16, v4
	v_cndmask_b32_e32 v4, 0x7fc0, v4, vcc_lo
	global_store_b16 v[1:2], v4, off
.LBB409_1967:
	s_mov_b32 s1, 0
.LBB409_1968:
	s_delay_alu instid0(SALU_CYCLE_1)
	s_and_b32 vcc_lo, exec_lo, s1
	s_mov_b32 s1, 0
	s_cbranch_vccz .LBB409_1970
; %bb.1969:
	v_cmp_ne_u16_e64 s0, 11, v5
	s_mov_b32 s1, -1
.LBB409_1970:
	s_delay_alu instid0(VALU_DEP_1)
	s_and_b32 vcc_lo, exec_lo, s0
	s_cbranch_vccnz .LBB409_2157
; %bb.1971:
	s_and_not1_b32 vcc_lo, exec_lo, s1
	s_cbranch_vccnz .LBB409_1973
.LBB409_1972:
	v_and_b32_e32 v4, 0x7fff, v3
	s_mov_b32 s6, -1
	s_delay_alu instid0(VALU_DEP_1)
	v_cmp_ne_u16_e32 vcc_lo, 0, v4
	v_cndmask_b32_e64 v4, 0, 1, vcc_lo
	global_store_b8 v[1:2], v4, off
.LBB409_1973:
	s_mov_b32 s0, 0
.LBB409_1974:
	s_delay_alu instid0(SALU_CYCLE_1)
	s_and_b32 vcc_lo, exec_lo, s0
	s_cbranch_vccz .LBB409_2013
; %bb.1975:
	v_cmp_gt_i16_e32 vcc_lo, 5, v5
	s_mov_b32 s0, -1
	s_cbranch_vccnz .LBB409_1996
; %bb.1976:
	v_cmp_gt_i16_e32 vcc_lo, 8, v5
	s_cbranch_vccnz .LBB409_1986
; %bb.1977:
	v_cmp_gt_i16_e32 vcc_lo, 9, v5
	s_cbranch_vccnz .LBB409_1983
; %bb.1978:
	v_cmp_lt_i16_e32 vcc_lo, 9, v5
	s_cbranch_vccz .LBB409_1980
; %bb.1979:
	v_cvt_f32_f16_e32 v4, v3
	v_mov_b32_e32 v9, 0
	s_mov_b32 s0, 0
	s_delay_alu instid0(VALU_DEP_2) | instskip(NEXT) | instid1(VALU_DEP_2)
	v_cvt_f64_f32_e32 v[7:8], v4
	v_mov_b32_e32 v10, v9
	global_store_b128 v[1:2], v[7:10], off
.LBB409_1980:
	s_and_not1_b32 vcc_lo, exec_lo, s0
	s_cbranch_vccnz .LBB409_1982
; %bb.1981:
	v_cvt_f32_f16_e32 v7, v3
	v_mov_b32_e32 v8, 0
	global_store_b64 v[1:2], v[7:8], off
.LBB409_1982:
	s_mov_b32 s0, 0
.LBB409_1983:
	s_delay_alu instid0(SALU_CYCLE_1)
	s_and_not1_b32 vcc_lo, exec_lo, s0
	s_cbranch_vccnz .LBB409_1985
; %bb.1984:
	v_and_b32_e32 v4, 0xffff, v3
	global_store_b32 v[1:2], v4, off
.LBB409_1985:
	s_mov_b32 s0, 0
.LBB409_1986:
	s_delay_alu instid0(SALU_CYCLE_1)
	s_and_not1_b32 vcc_lo, exec_lo, s0
	s_cbranch_vccnz .LBB409_1995
; %bb.1987:
	v_cmp_gt_i16_e32 vcc_lo, 6, v5
	s_mov_b32 s0, -1
	s_cbranch_vccnz .LBB409_1993
; %bb.1988:
	v_cmp_lt_i16_e32 vcc_lo, 6, v5
	s_cbranch_vccz .LBB409_1990
; %bb.1989:
	v_cvt_f32_f16_e32 v4, v3
	s_mov_b32 s0, 0
	s_delay_alu instid0(VALU_DEP_1)
	v_cvt_f64_f32_e32 v[7:8], v4
	global_store_b64 v[1:2], v[7:8], off
.LBB409_1990:
	s_and_not1_b32 vcc_lo, exec_lo, s0
	s_cbranch_vccnz .LBB409_1992
; %bb.1991:
	v_cvt_f32_f16_e32 v4, v3
	global_store_b32 v[1:2], v4, off
.LBB409_1992:
	s_mov_b32 s0, 0
.LBB409_1993:
	s_delay_alu instid0(SALU_CYCLE_1)
	s_and_not1_b32 vcc_lo, exec_lo, s0
	s_cbranch_vccnz .LBB409_1995
; %bb.1994:
	global_store_b16 v[1:2], v3, off
.LBB409_1995:
	s_mov_b32 s0, 0
.LBB409_1996:
	s_delay_alu instid0(SALU_CYCLE_1)
	s_and_not1_b32 vcc_lo, exec_lo, s0
	s_cbranch_vccnz .LBB409_2012
; %bb.1997:
	v_cmp_gt_i16_e32 vcc_lo, 2, v5
	s_mov_b32 s0, -1
	s_cbranch_vccnz .LBB409_2007
; %bb.1998:
	v_cmp_gt_i16_e32 vcc_lo, 3, v5
	s_cbranch_vccnz .LBB409_2004
; %bb.1999:
	v_cmp_lt_i16_e32 vcc_lo, 3, v5
	s_cbranch_vccz .LBB409_2001
; %bb.2000:
	v_cvt_f32_f16_e32 v4, v3
	s_mov_b32 s0, 0
	s_delay_alu instid0(VALU_DEP_1) | instskip(NEXT) | instid1(VALU_DEP_1)
	v_cvt_i32_f32_e32 v7, v4
	v_ashrrev_i32_e32 v8, 31, v7
	global_store_b64 v[1:2], v[7:8], off
.LBB409_2001:
	s_and_not1_b32 vcc_lo, exec_lo, s0
	s_cbranch_vccnz .LBB409_2003
; %bb.2002:
	v_cvt_f32_f16_e32 v4, v3
	s_delay_alu instid0(VALU_DEP_1)
	v_cvt_i32_f32_e32 v4, v4
	global_store_b32 v[1:2], v4, off
.LBB409_2003:
	s_mov_b32 s0, 0
.LBB409_2004:
	s_delay_alu instid0(SALU_CYCLE_1)
	s_and_not1_b32 vcc_lo, exec_lo, s0
	s_cbranch_vccnz .LBB409_2006
; %bb.2005:
	v_cvt_i16_f16_e32 v4, v3
	global_store_b16 v[1:2], v4, off
.LBB409_2006:
	s_mov_b32 s0, 0
.LBB409_2007:
	s_delay_alu instid0(SALU_CYCLE_1)
	s_and_not1_b32 vcc_lo, exec_lo, s0
	s_cbranch_vccnz .LBB409_2012
; %bb.2008:
	v_cmp_lt_i16_e32 vcc_lo, 0, v5
	s_mov_b32 s0, -1
	s_cbranch_vccz .LBB409_2010
; %bb.2009:
	v_cvt_i16_f16_e32 v4, v3
	s_mov_b32 s0, 0
	global_store_b8 v[1:2], v4, off
.LBB409_2010:
	s_and_not1_b32 vcc_lo, exec_lo, s0
	s_cbranch_vccnz .LBB409_2012
; %bb.2011:
	v_cvt_f32_f16_e32 v3, v3
	s_delay_alu instid0(VALU_DEP_1)
	v_cvt_i32_f32_e32 v3, v3
	global_store_b8 v[1:2], v3, off
.LBB409_2012:
	s_mov_b32 s6, -1
.LBB409_2013:
	s_delay_alu instid0(SALU_CYCLE_1)
	s_and_not1_b32 vcc_lo, exec_lo, s6
	s_cbranch_vccnz .LBB409_2090
; %bb.2014:
	v_cmp_u_f16_e32 vcc_lo, v6, v6
	v_cmp_lt_f16_e64 s0, s3, v6
	v_cmp_gt_i16_e64 s1, 11, v5
	s_mov_b32 s6, 0
	s_delay_alu instid0(VALU_DEP_2)
	s_or_b32 vcc_lo, vcc_lo, s0
	v_add_co_u32 v0, s0, s4, v0
	v_cndmask_b32_e32 v2, s3, v6, vcc_lo
	v_add_co_ci_u32_e64 v1, null, s5, 0, s0
	s_and_b32 vcc_lo, exec_lo, s1
	s_mov_b32 s0, -1
	s_cbranch_vccnz .LBB409_2091
; %bb.2015:
	v_cmp_lt_i16_e32 vcc_lo, 25, v5
	s_mov_b32 s1, -1
	s_mov_b32 s0, 0
	s_cbranch_vccz .LBB409_2048
; %bb.2016:
	v_cmp_lt_i16_e32 vcc_lo, 28, v5
	s_cbranch_vccz .LBB409_2032
; %bb.2017:
	v_cmp_lt_i16_e32 vcc_lo, 43, v5
	;; [unrolled: 3-line block ×3, first 2 shown]
	s_cbranch_vccz .LBB409_2022
; %bb.2019:
	v_cmp_eq_u16_e32 vcc_lo, 46, v5
	s_mov_b32 s0, -1
	s_cbranch_vccz .LBB409_2021
; %bb.2020:
	v_cvt_f32_f16_e32 v3, v2
	v_cmp_o_f16_e32 vcc_lo, v2, v2
	s_mov_b32 s0, 0
	s_delay_alu instid0(VALU_DEP_2) | instskip(NEXT) | instid1(VALU_DEP_1)
	v_bfe_u32 v4, v3, 16, 1
	v_add3_u32 v3, v3, v4, 0x7fff
	s_delay_alu instid0(VALU_DEP_1) | instskip(NEXT) | instid1(VALU_DEP_1)
	v_lshrrev_b32_e32 v3, 16, v3
	v_cndmask_b32_e32 v3, 0x7fc0, v3, vcc_lo
	global_store_b32 v[0:1], v3, off
.LBB409_2021:
	s_mov_b32 s1, 0
.LBB409_2022:
	s_delay_alu instid0(SALU_CYCLE_1)
	s_and_b32 vcc_lo, exec_lo, s1
	s_cbranch_vccz .LBB409_2027
; %bb.2023:
	v_cmp_eq_u16_e32 vcc_lo, 44, v5
	s_mov_b32 s0, -1
	s_cbranch_vccz .LBB409_2027
; %bb.2024:
	v_cvt_f32_f16_e32 v3, v2
	v_mov_b32_e32 v4, 0xff
	s_mov_b32 s1, exec_lo
	s_delay_alu instid0(VALU_DEP_2) | instskip(NEXT) | instid1(VALU_DEP_1)
	v_bfe_u32 v6, v3, 23, 8
	v_cmpx_ne_u32_e32 0xff, v6
; %bb.2025:
	v_and_b32_e32 v4, 0x400000, v3
	v_and_or_b32 v6, 0x3fffff, v3, v6
	v_lshrrev_b32_e32 v3, 23, v3
	s_delay_alu instid0(VALU_DEP_3) | instskip(NEXT) | instid1(VALU_DEP_3)
	v_cmp_ne_u32_e32 vcc_lo, 0, v4
	v_cmp_ne_u32_e64 s0, 0, v6
	s_delay_alu instid0(VALU_DEP_1) | instskip(NEXT) | instid1(SALU_CYCLE_1)
	s_and_b32 s0, vcc_lo, s0
	v_cndmask_b32_e64 v4, 0, 1, s0
	s_delay_alu instid0(VALU_DEP_1)
	v_add_nc_u32_e32 v4, v3, v4
; %bb.2026:
	s_or_b32 exec_lo, exec_lo, s1
	s_mov_b32 s0, 0
	global_store_b8 v[0:1], v4, off
.LBB409_2027:
	s_mov_b32 s1, 0
.LBB409_2028:
	s_delay_alu instid0(SALU_CYCLE_1)
	s_and_b32 vcc_lo, exec_lo, s1
	s_cbranch_vccz .LBB409_2031
; %bb.2029:
	v_cmp_eq_u16_e32 vcc_lo, 29, v5
	s_mov_b32 s0, -1
	s_cbranch_vccz .LBB409_2031
; %bb.2030:
	v_cvt_f32_f16_e32 v3, v2
	v_mov_b32_e32 v4, 0
	s_mov_b32 s0, 0
	s_delay_alu instid0(VALU_DEP_2)
	v_cvt_u32_f32_e32 v3, v3
	global_store_b64 v[0:1], v[3:4], off
.LBB409_2031:
	s_mov_b32 s1, 0
.LBB409_2032:
	s_delay_alu instid0(SALU_CYCLE_1)
	s_and_b32 vcc_lo, exec_lo, s1
	s_cbranch_vccz .LBB409_2047
; %bb.2033:
	v_cmp_gt_i16_e32 vcc_lo, 27, v5
	s_mov_b32 s1, -1
	s_cbranch_vccnz .LBB409_2039
; %bb.2034:
	v_cmp_lt_i16_e32 vcc_lo, 27, v5
	s_cbranch_vccz .LBB409_2036
; %bb.2035:
	v_cvt_f32_f16_e32 v3, v2
	s_mov_b32 s1, 0
	s_delay_alu instid0(VALU_DEP_1)
	v_cvt_u32_f32_e32 v3, v3
	global_store_b32 v[0:1], v3, off
.LBB409_2036:
	s_and_not1_b32 vcc_lo, exec_lo, s1
	s_cbranch_vccnz .LBB409_2038
; %bb.2037:
	v_cvt_u16_f16_e32 v3, v2
	global_store_b16 v[0:1], v3, off
.LBB409_2038:
	s_mov_b32 s1, 0
.LBB409_2039:
	s_delay_alu instid0(SALU_CYCLE_1)
	s_and_not1_b32 vcc_lo, exec_lo, s1
	s_cbranch_vccnz .LBB409_2047
; %bb.2040:
	v_cvt_f32_f16_e32 v3, v2
	v_mov_b32_e32 v6, 0x80
	s_mov_b32 s1, exec_lo
	s_delay_alu instid0(VALU_DEP_2) | instskip(NEXT) | instid1(VALU_DEP_1)
	v_and_b32_e32 v4, 0x7fffffff, v3
	v_cmpx_gt_u32_e32 0x43800000, v4
	s_cbranch_execz .LBB409_2046
; %bb.2041:
	v_cmp_lt_u32_e32 vcc_lo, 0x3bffffff, v4
	s_mov_b32 s3, 0
                                        ; implicit-def: $vgpr4
	s_and_saveexec_b32 s4, vcc_lo
	s_delay_alu instid0(SALU_CYCLE_1)
	s_xor_b32 s4, exec_lo, s4
	s_cbranch_execz .LBB409_2161
; %bb.2042:
	v_bfe_u32 v4, v3, 20, 1
	s_mov_b32 s3, exec_lo
	s_delay_alu instid0(VALU_DEP_1) | instskip(NEXT) | instid1(VALU_DEP_1)
	v_add3_u32 v4, v3, v4, 0x487ffff
	v_lshrrev_b32_e32 v4, 20, v4
	s_or_saveexec_b32 s4, s4
                                        ; implicit-def: $sgpr5
	s_delay_alu instid0(SALU_CYCLE_1)
	s_xor_b32 exec_lo, exec_lo, s4
	s_cbranch_execnz .LBB409_2162
.LBB409_2043:
	s_or_b32 exec_lo, exec_lo, s4
	v_mov_b32_e32 v6, s5
	s_and_saveexec_b32 s4, s3
.LBB409_2044:
	v_lshrrev_b32_e32 v3, 24, v3
	s_delay_alu instid0(VALU_DEP_1)
	v_and_or_b32 v6, 0x80, v3, v4
.LBB409_2045:
	s_or_b32 exec_lo, exec_lo, s4
.LBB409_2046:
	s_delay_alu instid0(SALU_CYCLE_1)
	s_or_b32 exec_lo, exec_lo, s1
	global_store_b8 v[0:1], v6, off
.LBB409_2047:
	s_mov_b32 s1, 0
.LBB409_2048:
	s_delay_alu instid0(SALU_CYCLE_1)
	s_and_b32 vcc_lo, exec_lo, s1
	s_cbranch_vccz .LBB409_2088
; %bb.2049:
	v_cmp_lt_i16_e32 vcc_lo, 22, v5
	s_mov_b32 s1, -1
	s_cbranch_vccz .LBB409_2081
; %bb.2050:
	v_cmp_gt_i16_e32 vcc_lo, 24, v5
	s_cbranch_vccnz .LBB409_2070
; %bb.2051:
	v_cmp_lt_i16_e32 vcc_lo, 24, v5
	s_cbranch_vccz .LBB409_2059
; %bb.2052:
	v_cvt_f32_f16_e32 v3, v2
	v_mov_b32_e32 v6, 0x80
	s_mov_b32 s1, exec_lo
	s_delay_alu instid0(VALU_DEP_2) | instskip(NEXT) | instid1(VALU_DEP_1)
	v_and_b32_e32 v4, 0x7fffffff, v3
	v_cmpx_gt_u32_e32 0x47800000, v4
	s_cbranch_execz .LBB409_2058
; %bb.2053:
	v_cmp_lt_u32_e32 vcc_lo, 0x37ffffff, v4
	s_mov_b32 s3, 0
                                        ; implicit-def: $vgpr4
	s_and_saveexec_b32 s4, vcc_lo
	s_delay_alu instid0(SALU_CYCLE_1)
	s_xor_b32 s4, exec_lo, s4
	s_cbranch_execz .LBB409_2167
; %bb.2054:
	v_bfe_u32 v4, v3, 21, 1
	s_mov_b32 s3, exec_lo
	s_delay_alu instid0(VALU_DEP_1) | instskip(NEXT) | instid1(VALU_DEP_1)
	v_add3_u32 v4, v3, v4, 0x88fffff
	v_lshrrev_b32_e32 v4, 21, v4
	s_or_saveexec_b32 s4, s4
                                        ; implicit-def: $sgpr5
	s_delay_alu instid0(SALU_CYCLE_1)
	s_xor_b32 exec_lo, exec_lo, s4
	s_cbranch_execnz .LBB409_2168
.LBB409_2055:
	s_or_b32 exec_lo, exec_lo, s4
	v_mov_b32_e32 v6, s5
	s_and_saveexec_b32 s4, s3
.LBB409_2056:
	v_lshrrev_b32_e32 v3, 24, v3
	s_delay_alu instid0(VALU_DEP_1)
	v_and_or_b32 v6, 0x80, v3, v4
.LBB409_2057:
	s_or_b32 exec_lo, exec_lo, s4
.LBB409_2058:
	s_delay_alu instid0(SALU_CYCLE_1)
	s_or_b32 exec_lo, exec_lo, s1
	s_mov_b32 s1, 0
	global_store_b8 v[0:1], v6, off
.LBB409_2059:
	s_and_b32 vcc_lo, exec_lo, s1
	s_cbranch_vccz .LBB409_2069
; %bb.2060:
	v_cvt_f32_f16_e32 v3, v2
	s_mov_b32 s1, exec_lo
                                        ; implicit-def: $vgpr4
	s_delay_alu instid0(VALU_DEP_1) | instskip(NEXT) | instid1(VALU_DEP_1)
	v_and_b32_e32 v6, 0x7fffffff, v3
	v_cmpx_gt_u32_e32 0x43f00000, v6
	s_xor_b32 s1, exec_lo, s1
	s_cbranch_execz .LBB409_2066
; %bb.2061:
	s_mov_b32 s3, exec_lo
                                        ; implicit-def: $vgpr4
	v_cmpx_lt_u32_e32 0x3c7fffff, v6
	s_xor_b32 s3, exec_lo, s3
; %bb.2062:
	v_bfe_u32 v4, v3, 20, 1
	s_delay_alu instid0(VALU_DEP_1) | instskip(NEXT) | instid1(VALU_DEP_1)
	v_add3_u32 v4, v3, v4, 0x407ffff
	v_and_b32_e32 v6, 0xff00000, v4
	v_lshrrev_b32_e32 v4, 20, v4
	s_delay_alu instid0(VALU_DEP_2) | instskip(NEXT) | instid1(VALU_DEP_2)
	v_cmp_ne_u32_e32 vcc_lo, 0x7f00000, v6
	v_cndmask_b32_e32 v4, 0x7e, v4, vcc_lo
; %bb.2063:
	s_and_not1_saveexec_b32 s3, s3
; %bb.2064:
	v_add_f32_e64 v4, 0x46800000, |v3|
; %bb.2065:
	s_or_b32 exec_lo, exec_lo, s3
                                        ; implicit-def: $vgpr6
.LBB409_2066:
	s_and_not1_saveexec_b32 s1, s1
; %bb.2067:
	v_mov_b32_e32 v4, 0x7f
	v_cmp_lt_u32_e32 vcc_lo, 0x7f800000, v6
	s_delay_alu instid0(VALU_DEP_2)
	v_cndmask_b32_e32 v4, 0x7e, v4, vcc_lo
; %bb.2068:
	s_or_b32 exec_lo, exec_lo, s1
	v_lshrrev_b32_e32 v3, 24, v3
	s_delay_alu instid0(VALU_DEP_1)
	v_and_or_b32 v3, 0x80, v3, v4
	global_store_b8 v[0:1], v3, off
.LBB409_2069:
	s_mov_b32 s1, 0
.LBB409_2070:
	s_delay_alu instid0(SALU_CYCLE_1)
	s_and_not1_b32 vcc_lo, exec_lo, s1
	s_cbranch_vccnz .LBB409_2080
; %bb.2071:
	v_cvt_f32_f16_e32 v3, v2
	s_mov_b32 s1, exec_lo
                                        ; implicit-def: $vgpr4
	s_delay_alu instid0(VALU_DEP_1) | instskip(NEXT) | instid1(VALU_DEP_1)
	v_and_b32_e32 v6, 0x7fffffff, v3
	v_cmpx_gt_u32_e32 0x47800000, v6
	s_xor_b32 s1, exec_lo, s1
	s_cbranch_execz .LBB409_2077
; %bb.2072:
	s_mov_b32 s3, exec_lo
                                        ; implicit-def: $vgpr4
	v_cmpx_lt_u32_e32 0x387fffff, v6
	s_xor_b32 s3, exec_lo, s3
; %bb.2073:
	v_bfe_u32 v4, v3, 21, 1
	s_delay_alu instid0(VALU_DEP_1) | instskip(NEXT) | instid1(VALU_DEP_1)
	v_add3_u32 v4, v3, v4, 0x80fffff
	v_lshrrev_b32_e32 v4, 21, v4
; %bb.2074:
	s_and_not1_saveexec_b32 s3, s3
; %bb.2075:
	v_add_f32_e64 v4, 0x43000000, |v3|
; %bb.2076:
	s_or_b32 exec_lo, exec_lo, s3
                                        ; implicit-def: $vgpr6
.LBB409_2077:
	s_and_not1_saveexec_b32 s1, s1
; %bb.2078:
	v_mov_b32_e32 v4, 0x7f
	v_cmp_lt_u32_e32 vcc_lo, 0x7f800000, v6
	s_delay_alu instid0(VALU_DEP_2)
	v_cndmask_b32_e32 v4, 0x7c, v4, vcc_lo
; %bb.2079:
	s_or_b32 exec_lo, exec_lo, s1
	v_lshrrev_b32_e32 v3, 24, v3
	s_delay_alu instid0(VALU_DEP_1)
	v_and_or_b32 v3, 0x80, v3, v4
	global_store_b8 v[0:1], v3, off
.LBB409_2080:
	s_mov_b32 s1, 0
.LBB409_2081:
	s_delay_alu instid0(SALU_CYCLE_1)
	s_and_not1_b32 vcc_lo, exec_lo, s1
	s_mov_b32 s6, 0
	s_cbranch_vccnz .LBB409_2088
; %bb.2082:
	v_cmp_lt_i16_e32 vcc_lo, 14, v5
	s_mov_b32 s1, -1
	s_cbranch_vccz .LBB409_2086
; %bb.2083:
	v_cmp_eq_u16_e32 vcc_lo, 15, v5
	s_mov_b32 s0, -1
	s_cbranch_vccz .LBB409_2085
; %bb.2084:
	v_cvt_f32_f16_e32 v3, v2
	v_cmp_o_f16_e32 vcc_lo, v2, v2
	s_mov_b32 s0, 0
	s_delay_alu instid0(VALU_DEP_2) | instskip(NEXT) | instid1(VALU_DEP_1)
	v_bfe_u32 v4, v3, 16, 1
	v_add3_u32 v3, v3, v4, 0x7fff
	s_delay_alu instid0(VALU_DEP_1) | instskip(NEXT) | instid1(VALU_DEP_1)
	v_lshrrev_b32_e32 v3, 16, v3
	v_cndmask_b32_e32 v3, 0x7fc0, v3, vcc_lo
	global_store_b16 v[0:1], v3, off
.LBB409_2085:
	s_mov_b32 s1, 0
.LBB409_2086:
	s_delay_alu instid0(SALU_CYCLE_1)
	s_and_b32 vcc_lo, exec_lo, s1
	s_cbranch_vccz .LBB409_2088
; %bb.2087:
	v_cmp_ne_u16_e64 s0, 11, v5
	s_mov_b32 s6, -1
.LBB409_2088:
	s_delay_alu instid0(VALU_DEP_1)
	s_and_b32 vcc_lo, exec_lo, s0
	s_cbranch_vccnz .LBB409_2165
.LBB409_2089:
	s_mov_b32 s0, 0
	s_branch .LBB409_2091
.LBB409_2090:
	s_mov_b32 s0, 0
	s_mov_b32 s6, 0
                                        ; implicit-def: $vgpr0_vgpr1
                                        ; implicit-def: $vgpr5
                                        ; implicit-def: $vgpr2
.LBB409_2091:
	s_and_b32 s3, s0, exec_lo
	s_and_not1_b32 s0, s8, exec_lo
	s_and_b32 s1, s2, exec_lo
	s_and_b32 s26, s6, exec_lo
	s_or_b32 s8, s0, s1
.LBB409_2092:
	s_or_b32 exec_lo, exec_lo, s9
	s_and_saveexec_b32 s0, s8
	s_cbranch_execz .LBB409_2095
; %bb.2093:
	; divergent unreachable
	s_or_b32 exec_lo, exec_lo, s0
	s_and_saveexec_b32 s0, s26
	s_delay_alu instid0(SALU_CYCLE_1)
	s_xor_b32 s0, exec_lo, s0
	s_cbranch_execnz .LBB409_2096
.LBB409_2094:
	s_or_b32 exec_lo, exec_lo, s0
	s_and_saveexec_b32 s0, s3
	s_cbranch_execnz .LBB409_2097
	s_branch .LBB409_2134
.LBB409_2095:
	s_or_b32 exec_lo, exec_lo, s0
	s_and_saveexec_b32 s0, s26
	s_delay_alu instid0(SALU_CYCLE_1)
	s_xor_b32 s0, exec_lo, s0
	s_cbranch_execz .LBB409_2094
.LBB409_2096:
	v_and_b32_e32 v3, 0x7fff, v2
	s_delay_alu instid0(VALU_DEP_1)
	v_cmp_ne_u16_e32 vcc_lo, 0, v3
	v_cndmask_b32_e64 v3, 0, 1, vcc_lo
	global_store_b8 v[0:1], v3, off
	s_or_b32 exec_lo, exec_lo, s0
	s_and_saveexec_b32 s0, s3
	s_cbranch_execz .LBB409_2134
.LBB409_2097:
	s_waitcnt vmcnt(0)
	v_cmp_gt_i16_e32 vcc_lo, 5, v5
	s_mov_b32 s0, -1
	s_cbranch_vccnz .LBB409_2118
; %bb.2098:
	v_cmp_gt_i16_e32 vcc_lo, 8, v5
	s_cbranch_vccnz .LBB409_2108
; %bb.2099:
	v_cmp_gt_i16_e32 vcc_lo, 9, v5
	s_cbranch_vccnz .LBB409_2105
; %bb.2100:
	v_cmp_lt_i16_e32 vcc_lo, 9, v5
	s_cbranch_vccz .LBB409_2102
; %bb.2101:
	v_cvt_f32_f16_e32 v3, v2
	v_mov_b32_e32 v8, 0
	s_mov_b32 s0, 0
	s_delay_alu instid0(VALU_DEP_2) | instskip(NEXT) | instid1(VALU_DEP_2)
	v_cvt_f64_f32_e32 v[6:7], v3
	v_mov_b32_e32 v9, v8
	global_store_b128 v[0:1], v[6:9], off
.LBB409_2102:
	s_and_not1_b32 vcc_lo, exec_lo, s0
	s_cbranch_vccnz .LBB409_2104
; %bb.2103:
	v_cvt_f32_f16_e32 v3, v2
	v_mov_b32_e32 v4, 0
	global_store_b64 v[0:1], v[3:4], off
.LBB409_2104:
	s_mov_b32 s0, 0
.LBB409_2105:
	s_delay_alu instid0(SALU_CYCLE_1)
	s_and_not1_b32 vcc_lo, exec_lo, s0
	s_cbranch_vccnz .LBB409_2107
; %bb.2106:
	v_and_b32_e32 v3, 0xffff, v2
	global_store_b32 v[0:1], v3, off
.LBB409_2107:
	s_mov_b32 s0, 0
.LBB409_2108:
	s_delay_alu instid0(SALU_CYCLE_1)
	s_and_not1_b32 vcc_lo, exec_lo, s0
	s_cbranch_vccnz .LBB409_2117
; %bb.2109:
	v_cmp_gt_i16_e32 vcc_lo, 6, v5
	s_mov_b32 s0, -1
	s_cbranch_vccnz .LBB409_2115
; %bb.2110:
	v_cmp_lt_i16_e32 vcc_lo, 6, v5
	s_cbranch_vccz .LBB409_2112
; %bb.2111:
	v_cvt_f32_f16_e32 v3, v2
	s_mov_b32 s0, 0
	s_delay_alu instid0(VALU_DEP_1)
	v_cvt_f64_f32_e32 v[3:4], v3
	global_store_b64 v[0:1], v[3:4], off
.LBB409_2112:
	s_and_not1_b32 vcc_lo, exec_lo, s0
	s_cbranch_vccnz .LBB409_2114
; %bb.2113:
	v_cvt_f32_f16_e32 v3, v2
	global_store_b32 v[0:1], v3, off
.LBB409_2114:
	s_mov_b32 s0, 0
.LBB409_2115:
	s_delay_alu instid0(SALU_CYCLE_1)
	s_and_not1_b32 vcc_lo, exec_lo, s0
	s_cbranch_vccnz .LBB409_2117
; %bb.2116:
	global_store_b16 v[0:1], v2, off
.LBB409_2117:
	s_mov_b32 s0, 0
.LBB409_2118:
	s_delay_alu instid0(SALU_CYCLE_1)
	s_and_not1_b32 vcc_lo, exec_lo, s0
	s_cbranch_vccnz .LBB409_2134
; %bb.2119:
	v_cmp_gt_i16_e32 vcc_lo, 2, v5
	s_mov_b32 s0, -1
	s_cbranch_vccnz .LBB409_2129
; %bb.2120:
	v_cmp_gt_i16_e32 vcc_lo, 3, v5
	s_cbranch_vccnz .LBB409_2126
; %bb.2121:
	v_cmp_lt_i16_e32 vcc_lo, 3, v5
	s_cbranch_vccz .LBB409_2123
; %bb.2122:
	v_cvt_f32_f16_e32 v3, v2
	s_mov_b32 s0, 0
	s_delay_alu instid0(VALU_DEP_1) | instskip(NEXT) | instid1(VALU_DEP_1)
	v_cvt_i32_f32_e32 v3, v3
	v_ashrrev_i32_e32 v4, 31, v3
	global_store_b64 v[0:1], v[3:4], off
.LBB409_2123:
	s_and_not1_b32 vcc_lo, exec_lo, s0
	s_cbranch_vccnz .LBB409_2125
; %bb.2124:
	v_cvt_f32_f16_e32 v3, v2
	s_delay_alu instid0(VALU_DEP_1)
	v_cvt_i32_f32_e32 v3, v3
	global_store_b32 v[0:1], v3, off
.LBB409_2125:
	s_mov_b32 s0, 0
.LBB409_2126:
	s_delay_alu instid0(SALU_CYCLE_1)
	s_and_not1_b32 vcc_lo, exec_lo, s0
	s_cbranch_vccnz .LBB409_2128
; %bb.2127:
	v_cvt_i16_f16_e32 v3, v2
	global_store_b16 v[0:1], v3, off
.LBB409_2128:
	s_mov_b32 s0, 0
.LBB409_2129:
	s_delay_alu instid0(SALU_CYCLE_1)
	s_and_not1_b32 vcc_lo, exec_lo, s0
	s_cbranch_vccnz .LBB409_2134
; %bb.2130:
	v_cmp_lt_i16_e32 vcc_lo, 0, v5
	s_mov_b32 s0, -1
	s_cbranch_vccz .LBB409_2132
; %bb.2131:
	v_cvt_i16_f16_e32 v3, v2
	s_mov_b32 s0, 0
	global_store_b8 v[0:1], v3, off
.LBB409_2132:
	s_and_not1_b32 vcc_lo, exec_lo, s0
	s_cbranch_vccnz .LBB409_2134
; %bb.2133:
	v_cvt_f32_f16_e32 v2, v2
	s_delay_alu instid0(VALU_DEP_1)
	v_cvt_i32_f32_e32 v2, v2
	global_store_b8 v[0:1], v2, off
	s_nop 0
	s_sendmsg sendmsg(MSG_DEALLOC_VGPRS)
	s_endpgm
.LBB409_2134:
	s_nop 0
	s_sendmsg sendmsg(MSG_DEALLOC_VGPRS)
	s_endpgm
.LBB409_2135:
	s_cbranch_execnz .LBB409_2139
; %bb.2136:
	s_or_b32 s2, s2, exec_lo
                                        ; implicit-def: $vgpr6
	s_cbranch_execz .LBB409_1608
	s_branch .LBB409_1609
.LBB409_2137:
	s_or_saveexec_b32 s10, s10
                                        ; implicit-def: $sgpr11
	s_delay_alu instid0(SALU_CYCLE_1)
	s_xor_b32 exec_lo, exec_lo, s10
	s_cbranch_execz .LBB409_1688
.LBB409_2138:
	v_add_f32_e64 v11, 0x46000000, |v10|
	s_and_not1_b32 s7, s7, exec_lo
	s_mov_b32 s11, 0
	s_delay_alu instid0(VALU_DEP_1) | instskip(NEXT) | instid1(VALU_DEP_1)
	v_and_b32_e32 v11, 0xff, v11
	v_cmp_ne_u32_e32 vcc_lo, 0, v11
	s_and_b32 s12, vcc_lo, exec_lo
	s_delay_alu instid0(SALU_CYCLE_1)
	s_or_b32 s7, s7, s12
	s_or_b32 exec_lo, exec_lo, s10
	v_mov_b32_e32 v12, s11
	s_and_saveexec_b32 s10, s7
	s_cbranch_execnz .LBB409_1689
	s_branch .LBB409_1690
.LBB409_2139:
	s_trap 2
	s_sendmsg_rtn_b32 s0, sendmsg(MSG_RTN_GET_DOORBELL)
	s_mov_b32 ttmp2, m0
	s_waitcnt lgkmcnt(0)
	s_and_b32 s0, s0, 0x3ff
	s_delay_alu instid0(SALU_CYCLE_1) | instskip(NEXT) | instid1(SALU_CYCLE_1)
	s_bitset1_b32 s0, 10
	s_mov_b32 m0, s0
	s_sendmsg sendmsg(MSG_INTERRUPT)
	s_mov_b32 m0, ttmp2
.LBB409_2140:                           ; =>This Inner Loop Header: Depth=1
	s_sethalt 5
	s_branch .LBB409_2140
.LBB409_2141:
	s_cbranch_execnz .LBB409_2147
; %bb.2142:
	s_or_b32 s2, s2, exec_lo
	s_cbranch_execz .LBB409_1736
	s_branch .LBB409_1737
.LBB409_2143:
	s_or_saveexec_b32 s7, s7
                                        ; implicit-def: $sgpr10
	s_delay_alu instid0(SALU_CYCLE_1)
	s_xor_b32 exec_lo, exec_lo, s7
	s_cbranch_execz .LBB409_1701
.LBB409_2144:
	v_add_f32_e64 v11, 0x42800000, |v10|
	s_and_not1_b32 s6, s6, exec_lo
	s_mov_b32 s10, 0
	s_delay_alu instid0(VALU_DEP_1) | instskip(NEXT) | instid1(VALU_DEP_1)
	v_and_b32_e32 v11, 0xff, v11
	v_cmp_ne_u32_e32 vcc_lo, 0, v11
	s_and_b32 s11, vcc_lo, exec_lo
	s_delay_alu instid0(SALU_CYCLE_1)
	s_or_b32 s6, s6, s11
	s_or_b32 exec_lo, exec_lo, s7
	v_mov_b32_e32 v12, s10
	s_and_saveexec_b32 s7, s6
	s_cbranch_execnz .LBB409_1702
	s_branch .LBB409_1703
.LBB409_2145:
	s_or_saveexec_b32 s10, s10
                                        ; implicit-def: $sgpr11
	s_delay_alu instid0(SALU_CYCLE_1)
	s_xor_b32 exec_lo, exec_lo, s10
	s_cbranch_execz .LBB409_1806
.LBB409_2146:
	v_add_f32_e64 v9, 0x46000000, |v8|
	s_and_not1_b32 s7, s7, exec_lo
	s_mov_b32 s11, 0
	s_delay_alu instid0(VALU_DEP_1) | instskip(NEXT) | instid1(VALU_DEP_1)
	v_and_b32_e32 v9, 0xff, v9
	v_cmp_ne_u32_e32 vcc_lo, 0, v9
	s_and_b32 s12, vcc_lo, exec_lo
	s_delay_alu instid0(SALU_CYCLE_1)
	s_or_b32 s7, s7, s12
	s_or_b32 exec_lo, exec_lo, s10
	v_mov_b32_e32 v10, s11
	s_and_saveexec_b32 s10, s7
	s_cbranch_execnz .LBB409_1807
	s_branch .LBB409_1808
.LBB409_2147:
	s_trap 2
	s_sendmsg_rtn_b32 s0, sendmsg(MSG_RTN_GET_DOORBELL)
	s_mov_b32 ttmp2, m0
	s_waitcnt lgkmcnt(0)
	s_and_b32 s0, s0, 0x3ff
	s_delay_alu instid0(SALU_CYCLE_1) | instskip(NEXT) | instid1(SALU_CYCLE_1)
	s_bitset1_b32 s0, 10
	s_mov_b32 m0, s0
	s_sendmsg sendmsg(MSG_INTERRUPT)
	s_mov_b32 m0, ttmp2
.LBB409_2148:                           ; =>This Inner Loop Header: Depth=1
	s_sethalt 5
	s_branch .LBB409_2148
.LBB409_2149:
	s_cbranch_execnz .LBB409_2155
; %bb.2150:
	s_or_b32 s2, s2, exec_lo
	s_cbranch_execz .LBB409_1854
	s_branch .LBB409_1855
.LBB409_2151:
	s_or_saveexec_b32 s7, s7
                                        ; implicit-def: $sgpr10
	s_delay_alu instid0(SALU_CYCLE_1)
	s_xor_b32 exec_lo, exec_lo, s7
	s_cbranch_execz .LBB409_1819
.LBB409_2152:
	v_add_f32_e64 v9, 0x42800000, |v8|
	s_and_not1_b32 s6, s6, exec_lo
	s_mov_b32 s10, 0
	s_delay_alu instid0(VALU_DEP_1) | instskip(NEXT) | instid1(VALU_DEP_1)
	v_and_b32_e32 v9, 0xff, v9
	v_cmp_ne_u32_e32 vcc_lo, 0, v9
	s_and_b32 s11, vcc_lo, exec_lo
	s_delay_alu instid0(SALU_CYCLE_1)
	s_or_b32 s6, s6, s11
	s_or_b32 exec_lo, exec_lo, s7
	v_mov_b32_e32 v10, s10
	s_and_saveexec_b32 s7, s6
	s_cbranch_execnz .LBB409_1820
	s_branch .LBB409_1821
.LBB409_2153:
	s_or_saveexec_b32 s10, s10
                                        ; implicit-def: $sgpr11
	s_delay_alu instid0(SALU_CYCLE_1)
	s_xor_b32 exec_lo, exec_lo, s10
	s_cbranch_execz .LBB409_1924
.LBB409_2154:
	v_add_f32_e64 v7, 0x46000000, |v4|
	s_and_not1_b32 s7, s7, exec_lo
	s_mov_b32 s11, 0
	s_delay_alu instid0(VALU_DEP_1) | instskip(NEXT) | instid1(VALU_DEP_1)
	v_and_b32_e32 v7, 0xff, v7
	v_cmp_ne_u32_e32 vcc_lo, 0, v7
	s_and_b32 s12, vcc_lo, exec_lo
	s_delay_alu instid0(SALU_CYCLE_1)
	s_or_b32 s7, s7, s12
	s_or_b32 exec_lo, exec_lo, s10
	v_mov_b32_e32 v8, s11
	s_and_saveexec_b32 s10, s7
	s_cbranch_execnz .LBB409_1925
	s_branch .LBB409_1926
.LBB409_2155:
	s_trap 2
	s_sendmsg_rtn_b32 s0, sendmsg(MSG_RTN_GET_DOORBELL)
	s_mov_b32 ttmp2, m0
	s_waitcnt lgkmcnt(0)
	s_and_b32 s0, s0, 0x3ff
	s_delay_alu instid0(SALU_CYCLE_1) | instskip(NEXT) | instid1(SALU_CYCLE_1)
	s_bitset1_b32 s0, 10
	s_mov_b32 m0, s0
	s_sendmsg sendmsg(MSG_INTERRUPT)
	s_mov_b32 m0, ttmp2
.LBB409_2156:                           ; =>This Inner Loop Header: Depth=1
	s_sethalt 5
	s_branch .LBB409_2156
.LBB409_2157:
	s_cbranch_execnz .LBB409_2163
; %bb.2158:
	s_or_b32 s2, s2, exec_lo
	s_cbranch_execz .LBB409_1972
	s_branch .LBB409_1973
.LBB409_2159:
	s_or_saveexec_b32 s7, s7
                                        ; implicit-def: $sgpr10
	s_delay_alu instid0(SALU_CYCLE_1)
	s_xor_b32 exec_lo, exec_lo, s7
	s_cbranch_execz .LBB409_1937
.LBB409_2160:
	v_add_f32_e64 v7, 0x42800000, |v4|
	s_and_not1_b32 s6, s6, exec_lo
	s_mov_b32 s10, 0
	s_delay_alu instid0(VALU_DEP_1) | instskip(NEXT) | instid1(VALU_DEP_1)
	v_and_b32_e32 v7, 0xff, v7
	v_cmp_ne_u32_e32 vcc_lo, 0, v7
	s_and_b32 s11, vcc_lo, exec_lo
	s_delay_alu instid0(SALU_CYCLE_1)
	s_or_b32 s6, s6, s11
	s_or_b32 exec_lo, exec_lo, s7
	v_mov_b32_e32 v8, s10
	s_and_saveexec_b32 s7, s6
	s_cbranch_execnz .LBB409_1938
	s_branch .LBB409_1939
.LBB409_2161:
	s_or_saveexec_b32 s4, s4
                                        ; implicit-def: $sgpr5
	s_delay_alu instid0(SALU_CYCLE_1)
	s_xor_b32 exec_lo, exec_lo, s4
	s_cbranch_execz .LBB409_2043
.LBB409_2162:
	v_add_f32_e64 v4, 0x46000000, |v3|
	s_and_not1_b32 s3, s3, exec_lo
	s_mov_b32 s5, 0
	s_delay_alu instid0(VALU_DEP_1) | instskip(NEXT) | instid1(VALU_DEP_1)
	v_and_b32_e32 v4, 0xff, v4
	v_cmp_ne_u32_e32 vcc_lo, 0, v4
	s_and_b32 s7, vcc_lo, exec_lo
	s_delay_alu instid0(SALU_CYCLE_1)
	s_or_b32 s3, s3, s7
	s_or_b32 exec_lo, exec_lo, s4
	v_mov_b32_e32 v6, s5
	s_and_saveexec_b32 s4, s3
	s_cbranch_execnz .LBB409_2044
	s_branch .LBB409_2045
.LBB409_2163:
	s_trap 2
	s_sendmsg_rtn_b32 s0, sendmsg(MSG_RTN_GET_DOORBELL)
	s_mov_b32 ttmp2, m0
	s_waitcnt lgkmcnt(0)
	s_and_b32 s0, s0, 0x3ff
	s_delay_alu instid0(SALU_CYCLE_1) | instskip(NEXT) | instid1(SALU_CYCLE_1)
	s_bitset1_b32 s0, 10
	s_mov_b32 m0, s0
	s_sendmsg sendmsg(MSG_INTERRUPT)
	s_mov_b32 m0, ttmp2
.LBB409_2164:                           ; =>This Inner Loop Header: Depth=1
	s_sethalt 5
	s_branch .LBB409_2164
.LBB409_2165:
	s_cbranch_execnz .LBB409_2169
; %bb.2166:
	s_mov_b32 s6, 0
	s_or_b32 s2, s2, exec_lo
	s_branch .LBB409_2089
.LBB409_2167:
	s_or_saveexec_b32 s4, s4
                                        ; implicit-def: $sgpr5
	s_delay_alu instid0(SALU_CYCLE_1)
	s_xor_b32 exec_lo, exec_lo, s4
	s_cbranch_execz .LBB409_2055
.LBB409_2168:
	v_add_f32_e64 v4, 0x42800000, |v3|
	s_and_not1_b32 s3, s3, exec_lo
	s_mov_b32 s5, 0
	s_delay_alu instid0(VALU_DEP_1) | instskip(NEXT) | instid1(VALU_DEP_1)
	v_and_b32_e32 v4, 0xff, v4
	v_cmp_ne_u32_e32 vcc_lo, 0, v4
	s_and_b32 s6, vcc_lo, exec_lo
	s_delay_alu instid0(SALU_CYCLE_1)
	s_or_b32 s3, s3, s6
	s_or_b32 exec_lo, exec_lo, s4
	v_mov_b32_e32 v6, s5
	s_and_saveexec_b32 s4, s3
	s_cbranch_execnz .LBB409_2056
	s_branch .LBB409_2057
.LBB409_2169:
	s_trap 2
	s_sendmsg_rtn_b32 s0, sendmsg(MSG_RTN_GET_DOORBELL)
	s_mov_b32 ttmp2, m0
	s_waitcnt lgkmcnt(0)
	s_and_b32 s0, s0, 0x3ff
	s_delay_alu instid0(SALU_CYCLE_1) | instskip(NEXT) | instid1(SALU_CYCLE_1)
	s_bitset1_b32 s0, 10
	s_mov_b32 m0, s0
	s_sendmsg sendmsg(MSG_INTERRUPT)
	s_mov_b32 m0, ttmp2
.LBB409_2170:                           ; =>This Inner Loop Header: Depth=1
	s_sethalt 5
	s_branch .LBB409_2170
	.section	.rodata,"a",@progbits
	.p2align	6, 0x0
	.amdhsa_kernel _ZN2at6native32elementwise_kernel_manual_unrollILi128ELi4EZNS0_15gpu_kernel_implIZZZNS0_21clamp_min_kernel_cudaERNS_18TensorIteratorBaseERKN3c106ScalarEENKUlvE_clEvENKUlvE6_clEvEUlNS5_4HalfEE_EEvS4_RKT_EUlibE0_EEviT1_
		.amdhsa_group_segment_fixed_size 0
		.amdhsa_private_segment_fixed_size 0
		.amdhsa_kernarg_size 360
		.amdhsa_user_sgpr_count 15
		.amdhsa_user_sgpr_dispatch_ptr 0
		.amdhsa_user_sgpr_queue_ptr 0
		.amdhsa_user_sgpr_kernarg_segment_ptr 1
		.amdhsa_user_sgpr_dispatch_id 0
		.amdhsa_user_sgpr_private_segment_size 0
		.amdhsa_wavefront_size32 1
		.amdhsa_uses_dynamic_stack 0
		.amdhsa_enable_private_segment 0
		.amdhsa_system_sgpr_workgroup_id_x 1
		.amdhsa_system_sgpr_workgroup_id_y 0
		.amdhsa_system_sgpr_workgroup_id_z 0
		.amdhsa_system_sgpr_workgroup_info 0
		.amdhsa_system_vgpr_workitem_id 0
		.amdhsa_next_free_vgpr 18
		.amdhsa_next_free_sgpr 68
		.amdhsa_reserve_vcc 1
		.amdhsa_float_round_mode_32 0
		.amdhsa_float_round_mode_16_64 0
		.amdhsa_float_denorm_mode_32 3
		.amdhsa_float_denorm_mode_16_64 3
		.amdhsa_dx10_clamp 1
		.amdhsa_ieee_mode 1
		.amdhsa_fp16_overflow 0
		.amdhsa_workgroup_processor_mode 1
		.amdhsa_memory_ordered 1
		.amdhsa_forward_progress 0
		.amdhsa_shared_vgpr_count 0
		.amdhsa_exception_fp_ieee_invalid_op 0
		.amdhsa_exception_fp_denorm_src 0
		.amdhsa_exception_fp_ieee_div_zero 0
		.amdhsa_exception_fp_ieee_overflow 0
		.amdhsa_exception_fp_ieee_underflow 0
		.amdhsa_exception_fp_ieee_inexact 0
		.amdhsa_exception_int_div_zero 0
	.end_amdhsa_kernel
	.section	.text._ZN2at6native32elementwise_kernel_manual_unrollILi128ELi4EZNS0_15gpu_kernel_implIZZZNS0_21clamp_min_kernel_cudaERNS_18TensorIteratorBaseERKN3c106ScalarEENKUlvE_clEvENKUlvE6_clEvEUlNS5_4HalfEE_EEvS4_RKT_EUlibE0_EEviT1_,"axG",@progbits,_ZN2at6native32elementwise_kernel_manual_unrollILi128ELi4EZNS0_15gpu_kernel_implIZZZNS0_21clamp_min_kernel_cudaERNS_18TensorIteratorBaseERKN3c106ScalarEENKUlvE_clEvENKUlvE6_clEvEUlNS5_4HalfEE_EEvS4_RKT_EUlibE0_EEviT1_,comdat
.Lfunc_end409:
	.size	_ZN2at6native32elementwise_kernel_manual_unrollILi128ELi4EZNS0_15gpu_kernel_implIZZZNS0_21clamp_min_kernel_cudaERNS_18TensorIteratorBaseERKN3c106ScalarEENKUlvE_clEvENKUlvE6_clEvEUlNS5_4HalfEE_EEvS4_RKT_EUlibE0_EEviT1_, .Lfunc_end409-_ZN2at6native32elementwise_kernel_manual_unrollILi128ELi4EZNS0_15gpu_kernel_implIZZZNS0_21clamp_min_kernel_cudaERNS_18TensorIteratorBaseERKN3c106ScalarEENKUlvE_clEvENKUlvE6_clEvEUlNS5_4HalfEE_EEvS4_RKT_EUlibE0_EEviT1_
                                        ; -- End function
	.section	.AMDGPU.csdata,"",@progbits
; Kernel info:
; codeLenInByte = 44108
; NumSgprs: 70
; NumVgprs: 18
; ScratchSize: 0
; MemoryBound: 0
; FloatMode: 240
; IeeeMode: 1
; LDSByteSize: 0 bytes/workgroup (compile time only)
; SGPRBlocks: 8
; VGPRBlocks: 2
; NumSGPRsForWavesPerEU: 70
; NumVGPRsForWavesPerEU: 18
; Occupancy: 16
; WaveLimiterHint : 1
; COMPUTE_PGM_RSRC2:SCRATCH_EN: 0
; COMPUTE_PGM_RSRC2:USER_SGPR: 15
; COMPUTE_PGM_RSRC2:TRAP_HANDLER: 0
; COMPUTE_PGM_RSRC2:TGID_X_EN: 1
; COMPUTE_PGM_RSRC2:TGID_Y_EN: 0
; COMPUTE_PGM_RSRC2:TGID_Z_EN: 0
; COMPUTE_PGM_RSRC2:TIDIG_COMP_CNT: 0
	.section	.text._ZN2at6native29vectorized_elementwise_kernelILi16EZZZNS0_21clamp_min_kernel_cudaERNS_18TensorIteratorBaseERKN3c106ScalarEENKUlvE_clEvENKUlvE7_clEvEUlNS4_8BFloat16EE_St5arrayIPcLm2EEEEviT0_T1_,"axG",@progbits,_ZN2at6native29vectorized_elementwise_kernelILi16EZZZNS0_21clamp_min_kernel_cudaERNS_18TensorIteratorBaseERKN3c106ScalarEENKUlvE_clEvENKUlvE7_clEvEUlNS4_8BFloat16EE_St5arrayIPcLm2EEEEviT0_T1_,comdat
	.globl	_ZN2at6native29vectorized_elementwise_kernelILi16EZZZNS0_21clamp_min_kernel_cudaERNS_18TensorIteratorBaseERKN3c106ScalarEENKUlvE_clEvENKUlvE7_clEvEUlNS4_8BFloat16EE_St5arrayIPcLm2EEEEviT0_T1_ ; -- Begin function _ZN2at6native29vectorized_elementwise_kernelILi16EZZZNS0_21clamp_min_kernel_cudaERNS_18TensorIteratorBaseERKN3c106ScalarEENKUlvE_clEvENKUlvE7_clEvEUlNS4_8BFloat16EE_St5arrayIPcLm2EEEEviT0_T1_
	.p2align	8
	.type	_ZN2at6native29vectorized_elementwise_kernelILi16EZZZNS0_21clamp_min_kernel_cudaERNS_18TensorIteratorBaseERKN3c106ScalarEENKUlvE_clEvENKUlvE7_clEvEUlNS4_8BFloat16EE_St5arrayIPcLm2EEEEviT0_T1_,@function
_ZN2at6native29vectorized_elementwise_kernelILi16EZZZNS0_21clamp_min_kernel_cudaERNS_18TensorIteratorBaseERKN3c106ScalarEENKUlvE_clEvENKUlvE7_clEvEUlNS4_8BFloat16EE_St5arrayIPcLm2EEEEviT0_T1_: ; @_ZN2at6native29vectorized_elementwise_kernelILi16EZZZNS0_21clamp_min_kernel_cudaERNS_18TensorIteratorBaseERKN3c106ScalarEENKUlvE_clEvENKUlvE7_clEvEUlNS4_8BFloat16EE_St5arrayIPcLm2EEEEviT0_T1_
; %bb.0:
	s_clause 0x1
	s_load_b64 s[20:21], s[0:1], 0x0
	s_load_b128 s[16:19], s[0:1], 0x8
	s_lshl_b32 s22, s15, 11
	s_mov_b32 s0, -1
	s_waitcnt lgkmcnt(0)
	s_sub_i32 s15, s20, s22
	s_delay_alu instid0(SALU_CYCLE_1)
	s_cmpk_gt_i32 s15, 0x7ff
	s_cbranch_scc0 .LBB410_2
; %bb.1:
	s_ashr_i32 s23, s22, 31
	v_lshlrev_b32_e32 v5, 4, v0
	s_lshl_b64 s[0:1], s[22:23], 1
	s_delay_alu instid0(SALU_CYCLE_1)
	s_add_u32 s2, s18, s0
	s_addc_u32 s3, s19, s1
	s_lshl_b32 s14, s21, 16
	global_load_b128 v[1:4], v5, s[2:3]
	s_add_u32 s24, s16, s0
	s_addc_u32 s25, s17, s1
	s_waitcnt vmcnt(0)
	v_and_b32_e32 v7, 0xffff0000, v1
	v_and_b32_e32 v10, 0xffff0000, v2
	v_lshrrev_b32_e32 v8, 16, v1
	v_lshrrev_b32_e32 v11, 16, v2
	v_lshlrev_b32_e32 v6, 16, v1
	v_cmp_u_f32_e32 vcc_lo, v7, v7
	v_cmp_lt_f32_e64 s1, s14, v7
	v_and_b32_e32 v13, 0xffff0000, v3
	v_cmp_u_f32_e64 s3, v10, v10
	v_cmp_lt_f32_e64 s5, s14, v10
	v_and_b32_e32 v16, 0xffff0000, v4
	s_or_b32 vcc_lo, vcc_lo, s1
	v_lshlrev_b32_e32 v9, 16, v2
	v_cmp_u_f32_e64 s0, v6, v6
	v_cmp_lt_f32_e64 s2, s14, v6
	v_cndmask_b32_e32 v6, s21, v8, vcc_lo
	v_cmp_u_f32_e64 s7, v13, v13
	v_cmp_u_f32_e64 s4, v9, v9
	v_cmp_lt_f32_e64 s6, s14, v9
	v_cmp_lt_f32_e64 s9, s14, v13
	s_or_b32 vcc_lo, s3, s5
	v_lshrrev_b32_e32 v14, 16, v3
	v_cmp_u_f32_e64 s11, v16, v16
	v_cmp_lt_f32_e64 s13, s14, v16
	v_cndmask_b32_e32 v7, s21, v11, vcc_lo
	s_or_b32 vcc_lo, s4, s6
	v_lshrrev_b32_e32 v17, 16, v4
	v_cndmask_b32_e32 v2, s21, v2, vcc_lo
	s_or_b32 vcc_lo, s7, s9
	v_dual_cndmask_b32 v8, s21, v14 :: v_dual_lshlrev_b32 v15, 16, v4
	s_or_b32 vcc_lo, s11, s13
	v_dual_cndmask_b32 v9, s21, v17 :: v_dual_lshlrev_b32 v12, 16, v3
	s_delay_alu instid0(VALU_DEP_2) | instskip(SKIP_1) | instid1(VALU_DEP_3)
	v_cmp_u_f32_e64 s12, v15, v15
	v_perm_b32 v2, v7, v2, 0x5040100
	v_cmp_lt_f32_e64 s10, s14, v12
	v_cmp_lt_f32_e64 s14, s14, v15
	v_cmp_u_f32_e64 s8, v12, v12
	s_delay_alu instid0(VALU_DEP_2) | instskip(SKIP_1) | instid1(VALU_DEP_2)
	s_or_b32 vcc_lo, s12, s14
	v_cndmask_b32_e32 v4, s21, v4, vcc_lo
	s_or_b32 vcc_lo, s8, s10
	v_cndmask_b32_e32 v3, s21, v3, vcc_lo
	s_or_b32 vcc_lo, s0, s2
	s_delay_alu instid0(VALU_DEP_2) | instskip(SKIP_3) | instid1(VALU_DEP_2)
	v_perm_b32 v4, v9, v4, 0x5040100
	v_cndmask_b32_e32 v1, s21, v1, vcc_lo
	s_mov_b32 s0, 0
	v_perm_b32 v3, v8, v3, 0x5040100
	v_perm_b32 v1, v6, v1, 0x5040100
	global_store_b128 v5, v[1:4], s[24:25]
.LBB410_2:
	s_and_not1_b32 vcc_lo, exec_lo, s0
	s_cbranch_vccnz .LBB410_28
; %bb.3:
	v_cmp_gt_i32_e32 vcc_lo, s15, v0
	v_mov_b32_e32 v6, 0
	v_or_b32_e32 v1, s22, v0
	v_or_b32_e32 v8, 0x100, v0
	v_mov_b32_e32 v12, 0
	v_mov_b32_e32 v2, v0
	s_and_saveexec_b32 s1, vcc_lo
	s_cbranch_execz .LBB410_5
; %bb.4:
	v_mov_b32_e32 v2, 0
	s_delay_alu instid0(VALU_DEP_1) | instskip(NEXT) | instid1(VALU_DEP_1)
	v_lshlrev_b64 v[2:3], 1, v[1:2]
	v_add_co_u32 v2, s0, s18, v2
	s_delay_alu instid0(VALU_DEP_1)
	v_add_co_ci_u32_e64 v3, s0, s19, v3, s0
	global_load_u16 v12, v[2:3], off
	v_or_b32_e32 v2, 0x100, v0
.LBB410_5:
	s_or_b32 exec_lo, exec_lo, s1
	s_delay_alu instid0(SALU_CYCLE_1) | instskip(NEXT) | instid1(VALU_DEP_1)
	s_mov_b32 s1, exec_lo
	v_cmpx_gt_i32_e64 s15, v2
	s_cbranch_execz .LBB410_7
; %bb.6:
	v_dual_mov_b32 v4, 0 :: v_dual_add_nc_u32 v3, s22, v2
	v_add_nc_u32_e32 v2, 0x100, v2
	s_delay_alu instid0(VALU_DEP_2) | instskip(NEXT) | instid1(VALU_DEP_1)
	v_lshlrev_b64 v[3:4], 1, v[3:4]
	v_add_co_u32 v3, s0, s18, v3
	s_delay_alu instid0(VALU_DEP_1)
	v_add_co_ci_u32_e64 v4, s0, s19, v4, s0
	global_load_u16 v6, v[3:4], off
.LBB410_7:
	s_or_b32 exec_lo, exec_lo, s1
	v_mov_b32_e32 v5, 0
	v_mov_b32_e32 v11, 0
	s_mov_b32 s1, exec_lo
	v_cmpx_gt_i32_e64 s15, v2
	s_cbranch_execz .LBB410_9
; %bb.8:
	v_dual_mov_b32 v4, 0 :: v_dual_add_nc_u32 v3, s22, v2
	v_add_nc_u32_e32 v2, 0x100, v2
	s_delay_alu instid0(VALU_DEP_2) | instskip(NEXT) | instid1(VALU_DEP_1)
	v_lshlrev_b64 v[3:4], 1, v[3:4]
	v_add_co_u32 v3, s0, s18, v3
	s_delay_alu instid0(VALU_DEP_1)
	v_add_co_ci_u32_e64 v4, s0, s19, v4, s0
	global_load_u16 v11, v[3:4], off
.LBB410_9:
	s_or_b32 exec_lo, exec_lo, s1
	s_delay_alu instid0(SALU_CYCLE_1)
	s_mov_b32 s1, exec_lo
	v_cmpx_gt_i32_e64 s15, v2
	s_cbranch_execz .LBB410_11
; %bb.10:
	v_dual_mov_b32 v4, 0 :: v_dual_add_nc_u32 v3, s22, v2
	v_add_nc_u32_e32 v2, 0x100, v2
	s_delay_alu instid0(VALU_DEP_2) | instskip(NEXT) | instid1(VALU_DEP_1)
	v_lshlrev_b64 v[3:4], 1, v[3:4]
	v_add_co_u32 v3, s0, s18, v3
	s_delay_alu instid0(VALU_DEP_1)
	v_add_co_ci_u32_e64 v4, s0, s19, v4, s0
	global_load_u16 v5, v[3:4], off
.LBB410_11:
	s_or_b32 exec_lo, exec_lo, s1
	v_dual_mov_b32 v4, 0 :: v_dual_mov_b32 v9, 0
	s_mov_b32 s1, exec_lo
	v_cmpx_gt_i32_e64 s15, v2
	s_cbranch_execz .LBB410_13
; %bb.12:
	v_dual_mov_b32 v10, 0 :: v_dual_add_nc_u32 v9, s22, v2
	v_add_nc_u32_e32 v2, 0x100, v2
	s_delay_alu instid0(VALU_DEP_2) | instskip(NEXT) | instid1(VALU_DEP_1)
	v_lshlrev_b64 v[9:10], 1, v[9:10]
	v_add_co_u32 v9, s0, s18, v9
	s_delay_alu instid0(VALU_DEP_1)
	v_add_co_ci_u32_e64 v10, s0, s19, v10, s0
	global_load_u16 v9, v[9:10], off
.LBB410_13:
	s_or_b32 exec_lo, exec_lo, s1
	s_delay_alu instid0(SALU_CYCLE_1)
	s_mov_b32 s1, exec_lo
	v_cmpx_gt_i32_e64 s15, v2
	s_cbranch_execz .LBB410_15
; %bb.14:
	v_dual_mov_b32 v4, 0 :: v_dual_add_nc_u32 v3, s22, v2
	v_add_nc_u32_e32 v2, 0x100, v2
	s_delay_alu instid0(VALU_DEP_2) | instskip(NEXT) | instid1(VALU_DEP_1)
	v_lshlrev_b64 v[3:4], 1, v[3:4]
	v_add_co_u32 v3, s0, s18, v3
	s_delay_alu instid0(VALU_DEP_1)
	v_add_co_ci_u32_e64 v4, s0, s19, v4, s0
	global_load_u16 v4, v[3:4], off
.LBB410_15:
	s_or_b32 exec_lo, exec_lo, s1
	v_mov_b32_e32 v3, 0
	v_mov_b32_e32 v7, 0
	s_mov_b32 s1, exec_lo
	v_cmpx_gt_i32_e64 s15, v2
	s_cbranch_execz .LBB410_17
; %bb.16:
	v_dual_mov_b32 v14, 0 :: v_dual_add_nc_u32 v13, s22, v2
	v_add_nc_u32_e32 v2, 0x100, v2
	s_delay_alu instid0(VALU_DEP_2) | instskip(NEXT) | instid1(VALU_DEP_1)
	v_lshlrev_b64 v[13:14], 1, v[13:14]
	v_add_co_u32 v13, s0, s18, v13
	s_delay_alu instid0(VALU_DEP_1)
	v_add_co_ci_u32_e64 v14, s0, s19, v14, s0
	global_load_u16 v7, v[13:14], off
.LBB410_17:
	s_or_b32 exec_lo, exec_lo, s1
	s_delay_alu instid0(SALU_CYCLE_1)
	s_mov_b32 s1, exec_lo
	v_cmpx_gt_i32_e64 s15, v2
	s_cbranch_execz .LBB410_19
; %bb.18:
	v_dual_mov_b32 v3, 0 :: v_dual_add_nc_u32 v2, s22, v2
	s_delay_alu instid0(VALU_DEP_1) | instskip(NEXT) | instid1(VALU_DEP_1)
	v_lshlrev_b64 v[2:3], 1, v[2:3]
	v_add_co_u32 v2, s0, s18, v2
	s_delay_alu instid0(VALU_DEP_1)
	v_add_co_ci_u32_e64 v3, s0, s19, v3, s0
	global_load_u16 v3, v[2:3], off
.LBB410_19:
	s_or_b32 exec_lo, exec_lo, s1
	s_lshl_b32 s0, s21, 16
	s_delay_alu instid0(SALU_CYCLE_1)
	v_mov_b32_e32 v10, s0
	s_and_saveexec_b32 s2, vcc_lo
	s_cbranch_execnz .LBB410_29
; %bb.20:
	s_or_b32 exec_lo, exec_lo, s2
	s_delay_alu instid0(SALU_CYCLE_1)
	s_mov_b32 s1, exec_lo
	v_cmpx_gt_i32_e64 s15, v0
	s_cbranch_execnz .LBB410_30
.LBB410_21:
	s_or_b32 exec_lo, exec_lo, s1
	s_delay_alu instid0(SALU_CYCLE_1)
	s_mov_b32 s1, exec_lo
	v_cmpx_gt_i32_e64 s15, v0
	s_cbranch_execnz .LBB410_31
.LBB410_22:
	s_or_b32 exec_lo, exec_lo, s1
	s_delay_alu instid0(SALU_CYCLE_1)
	s_mov_b32 s1, exec_lo
	v_cmpx_gt_i32_e64 s15, v0
	s_cbranch_execnz .LBB410_32
.LBB410_23:
	s_or_b32 exec_lo, exec_lo, s1
	s_delay_alu instid0(SALU_CYCLE_1)
	s_mov_b32 s1, exec_lo
	v_cmpx_gt_i32_e64 s15, v0
	s_cbranch_execnz .LBB410_33
.LBB410_24:
	s_or_b32 exec_lo, exec_lo, s1
	s_delay_alu instid0(SALU_CYCLE_1)
	s_mov_b32 s1, exec_lo
	v_cmpx_gt_i32_e64 s15, v0
	s_cbranch_execnz .LBB410_34
.LBB410_25:
	s_or_b32 exec_lo, exec_lo, s1
	s_delay_alu instid0(SALU_CYCLE_1)
	s_mov_b32 s1, exec_lo
	v_cmpx_gt_i32_e64 s15, v0
	s_cbranch_execnz .LBB410_35
.LBB410_26:
	s_or_b32 exec_lo, exec_lo, s1
	s_delay_alu instid0(SALU_CYCLE_1)
	s_mov_b32 s0, exec_lo
	v_cmpx_gt_i32_e64 s15, v0
	s_cbranch_execz .LBB410_28
.LBB410_27:
	s_waitcnt vmcnt(0)
	v_dual_mov_b32 v1, 0 :: v_dual_lshlrev_b32 v2, 16, v3
	v_add_nc_u32_e32 v0, s22, v0
	s_delay_alu instid0(VALU_DEP_2) | instskip(SKIP_1) | instid1(VALU_DEP_3)
	v_cmp_u_f32_e32 vcc_lo, v2, v2
	v_cmp_gt_f32_e64 s0, v2, v10
	v_lshlrev_b64 v[0:1], 1, v[0:1]
	s_delay_alu instid0(VALU_DEP_2) | instskip(SKIP_1) | instid1(VALU_DEP_2)
	s_or_b32 vcc_lo, vcc_lo, s0
	v_cndmask_b32_e32 v2, s21, v3, vcc_lo
	v_add_co_u32 v0, vcc_lo, s16, v0
	s_delay_alu instid0(VALU_DEP_3)
	v_add_co_ci_u32_e32 v1, vcc_lo, s17, v1, vcc_lo
	global_store_b16 v[0:1], v2, off
.LBB410_28:
	s_nop 0
	s_sendmsg sendmsg(MSG_DEALLOC_VGPRS)
	s_endpgm
.LBB410_29:
	s_waitcnt vmcnt(0)
	v_dual_mov_b32 v2, 0 :: v_dual_lshlrev_b32 v13, 16, v12
	s_delay_alu instid0(VALU_DEP_1) | instskip(NEXT) | instid1(VALU_DEP_2)
	v_lshlrev_b64 v[0:1], 1, v[1:2]
	v_cmp_u_f32_e32 vcc_lo, v13, v13
	v_cmp_lt_f32_e64 s0, v10, v13
	s_delay_alu instid0(VALU_DEP_3) | instskip(NEXT) | instid1(VALU_DEP_2)
	v_add_co_u32 v13, s1, s16, v0
	s_or_b32 vcc_lo, vcc_lo, s0
	s_delay_alu instid0(VALU_DEP_4) | instskip(SKIP_3) | instid1(SALU_CYCLE_1)
	v_add_co_ci_u32_e64 v14, s1, s17, v1, s1
	v_dual_cndmask_b32 v1, s21, v12 :: v_dual_mov_b32 v0, v8
	global_store_b16 v[13:14], v1, off
	s_or_b32 exec_lo, exec_lo, s2
	s_mov_b32 s1, exec_lo
	v_cmpx_gt_i32_e64 s15, v0
	s_cbranch_execz .LBB410_21
.LBB410_30:
	s_waitcnt vmcnt(0)
	v_lshlrev_b32_e32 v8, 16, v6
	v_dual_mov_b32 v2, 0 :: v_dual_add_nc_u32 v1, s22, v0
	v_add_nc_u32_e32 v0, 0x100, v0
	s_delay_alu instid0(VALU_DEP_3) | instskip(SKIP_1) | instid1(VALU_DEP_4)
	v_cmp_u_f32_e32 vcc_lo, v8, v8
	v_cmp_lt_f32_e64 s0, v10, v8
	v_lshlrev_b64 v[1:2], 1, v[1:2]
	s_delay_alu instid0(VALU_DEP_2) | instskip(SKIP_1) | instid1(VALU_DEP_2)
	s_or_b32 vcc_lo, vcc_lo, s0
	v_cndmask_b32_e32 v6, s21, v6, vcc_lo
	v_add_co_u32 v1, vcc_lo, s16, v1
	s_delay_alu instid0(VALU_DEP_3) | instskip(SKIP_2) | instid1(SALU_CYCLE_1)
	v_add_co_ci_u32_e32 v2, vcc_lo, s17, v2, vcc_lo
	global_store_b16 v[1:2], v6, off
	s_or_b32 exec_lo, exec_lo, s1
	s_mov_b32 s1, exec_lo
	v_cmpx_gt_i32_e64 s15, v0
	s_cbranch_execz .LBB410_22
.LBB410_31:
	s_waitcnt vmcnt(0)
	v_lshlrev_b32_e32 v6, 16, v11
	v_dual_mov_b32 v2, 0 :: v_dual_add_nc_u32 v1, s22, v0
	v_add_nc_u32_e32 v0, 0x100, v0
	s_delay_alu instid0(VALU_DEP_3) | instskip(SKIP_1) | instid1(VALU_DEP_4)
	v_cmp_u_f32_e32 vcc_lo, v6, v6
	v_cmp_lt_f32_e64 s0, v10, v6
	v_lshlrev_b64 v[1:2], 1, v[1:2]
	s_delay_alu instid0(VALU_DEP_2) | instskip(SKIP_1) | instid1(VALU_DEP_2)
	s_or_b32 vcc_lo, vcc_lo, s0
	v_cndmask_b32_e32 v6, s21, v11, vcc_lo
	v_add_co_u32 v1, vcc_lo, s16, v1
	s_delay_alu instid0(VALU_DEP_3) | instskip(SKIP_2) | instid1(SALU_CYCLE_1)
	v_add_co_ci_u32_e32 v2, vcc_lo, s17, v2, vcc_lo
	global_store_b16 v[1:2], v6, off
	s_or_b32 exec_lo, exec_lo, s1
	s_mov_b32 s1, exec_lo
	v_cmpx_gt_i32_e64 s15, v0
	s_cbranch_execz .LBB410_23
.LBB410_32:
	s_waitcnt vmcnt(0)
	v_lshlrev_b32_e32 v6, 16, v5
	v_dual_mov_b32 v2, 0 :: v_dual_add_nc_u32 v1, s22, v0
	v_add_nc_u32_e32 v0, 0x100, v0
	s_delay_alu instid0(VALU_DEP_3) | instskip(SKIP_1) | instid1(VALU_DEP_4)
	v_cmp_u_f32_e32 vcc_lo, v6, v6
	v_cmp_lt_f32_e64 s0, v10, v6
	v_lshlrev_b64 v[1:2], 1, v[1:2]
	s_delay_alu instid0(VALU_DEP_2) | instskip(SKIP_1) | instid1(VALU_DEP_2)
	s_or_b32 vcc_lo, vcc_lo, s0
	v_cndmask_b32_e32 v5, s21, v5, vcc_lo
	v_add_co_u32 v1, vcc_lo, s16, v1
	s_delay_alu instid0(VALU_DEP_3) | instskip(SKIP_2) | instid1(SALU_CYCLE_1)
	v_add_co_ci_u32_e32 v2, vcc_lo, s17, v2, vcc_lo
	global_store_b16 v[1:2], v5, off
	s_or_b32 exec_lo, exec_lo, s1
	s_mov_b32 s1, exec_lo
	v_cmpx_gt_i32_e64 s15, v0
	s_cbranch_execz .LBB410_24
.LBB410_33:
	s_waitcnt vmcnt(0)
	v_dual_mov_b32 v2, 0 :: v_dual_lshlrev_b32 v5, 16, v9
	v_add_nc_u32_e32 v1, s22, v0
	v_add_nc_u32_e32 v0, 0x100, v0
	s_delay_alu instid0(VALU_DEP_3) | instskip(SKIP_1) | instid1(VALU_DEP_4)
	v_cmp_u_f32_e32 vcc_lo, v5, v5
	v_cmp_lt_f32_e64 s0, v10, v5
	v_lshlrev_b64 v[1:2], 1, v[1:2]
	s_delay_alu instid0(VALU_DEP_2) | instskip(SKIP_1) | instid1(VALU_DEP_2)
	s_or_b32 vcc_lo, vcc_lo, s0
	v_cndmask_b32_e32 v5, s21, v9, vcc_lo
	v_add_co_u32 v1, vcc_lo, s16, v1
	s_delay_alu instid0(VALU_DEP_3) | instskip(SKIP_2) | instid1(SALU_CYCLE_1)
	v_add_co_ci_u32_e32 v2, vcc_lo, s17, v2, vcc_lo
	global_store_b16 v[1:2], v5, off
	s_or_b32 exec_lo, exec_lo, s1
	s_mov_b32 s1, exec_lo
	v_cmpx_gt_i32_e64 s15, v0
	s_cbranch_execz .LBB410_25
.LBB410_34:
	s_waitcnt vmcnt(0)
	v_dual_mov_b32 v2, 0 :: v_dual_lshlrev_b32 v5, 16, v4
	v_add_nc_u32_e32 v1, s22, v0
	v_add_nc_u32_e32 v0, 0x100, v0
	s_delay_alu instid0(VALU_DEP_3) | instskip(SKIP_1) | instid1(VALU_DEP_4)
	v_cmp_u_f32_e32 vcc_lo, v5, v5
	v_cmp_lt_f32_e64 s0, v10, v5
	v_lshlrev_b64 v[1:2], 1, v[1:2]
	s_delay_alu instid0(VALU_DEP_2) | instskip(SKIP_1) | instid1(VALU_DEP_2)
	s_or_b32 vcc_lo, vcc_lo, s0
	v_cndmask_b32_e32 v4, s21, v4, vcc_lo
	v_add_co_u32 v1, vcc_lo, s16, v1
	s_delay_alu instid0(VALU_DEP_3) | instskip(SKIP_2) | instid1(SALU_CYCLE_1)
	v_add_co_ci_u32_e32 v2, vcc_lo, s17, v2, vcc_lo
	global_store_b16 v[1:2], v4, off
	s_or_b32 exec_lo, exec_lo, s1
	s_mov_b32 s1, exec_lo
	v_cmpx_gt_i32_e64 s15, v0
	s_cbranch_execz .LBB410_26
.LBB410_35:
	s_waitcnt vmcnt(0)
	v_lshlrev_b32_e32 v4, 16, v7
	v_dual_mov_b32 v2, 0 :: v_dual_add_nc_u32 v1, s22, v0
	v_add_nc_u32_e32 v0, 0x100, v0
	s_delay_alu instid0(VALU_DEP_3) | instskip(SKIP_1) | instid1(VALU_DEP_4)
	v_cmp_u_f32_e32 vcc_lo, v4, v4
	v_cmp_lt_f32_e64 s0, v10, v4
	v_lshlrev_b64 v[1:2], 1, v[1:2]
	s_delay_alu instid0(VALU_DEP_2) | instskip(SKIP_1) | instid1(VALU_DEP_2)
	s_or_b32 vcc_lo, vcc_lo, s0
	v_cndmask_b32_e32 v4, s21, v7, vcc_lo
	v_add_co_u32 v1, vcc_lo, s16, v1
	s_delay_alu instid0(VALU_DEP_3) | instskip(SKIP_2) | instid1(SALU_CYCLE_1)
	v_add_co_ci_u32_e32 v2, vcc_lo, s17, v2, vcc_lo
	global_store_b16 v[1:2], v4, off
	s_or_b32 exec_lo, exec_lo, s1
	s_mov_b32 s0, exec_lo
	v_cmpx_gt_i32_e64 s15, v0
	s_cbranch_execnz .LBB410_27
	s_branch .LBB410_28
	.section	.rodata,"a",@progbits
	.p2align	6, 0x0
	.amdhsa_kernel _ZN2at6native29vectorized_elementwise_kernelILi16EZZZNS0_21clamp_min_kernel_cudaERNS_18TensorIteratorBaseERKN3c106ScalarEENKUlvE_clEvENKUlvE7_clEvEUlNS4_8BFloat16EE_St5arrayIPcLm2EEEEviT0_T1_
		.amdhsa_group_segment_fixed_size 0
		.amdhsa_private_segment_fixed_size 0
		.amdhsa_kernarg_size 24
		.amdhsa_user_sgpr_count 15
		.amdhsa_user_sgpr_dispatch_ptr 0
		.amdhsa_user_sgpr_queue_ptr 0
		.amdhsa_user_sgpr_kernarg_segment_ptr 1
		.amdhsa_user_sgpr_dispatch_id 0
		.amdhsa_user_sgpr_private_segment_size 0
		.amdhsa_wavefront_size32 1
		.amdhsa_uses_dynamic_stack 0
		.amdhsa_enable_private_segment 0
		.amdhsa_system_sgpr_workgroup_id_x 1
		.amdhsa_system_sgpr_workgroup_id_y 0
		.amdhsa_system_sgpr_workgroup_id_z 0
		.amdhsa_system_sgpr_workgroup_info 0
		.amdhsa_system_vgpr_workitem_id 0
		.amdhsa_next_free_vgpr 18
		.amdhsa_next_free_sgpr 26
		.amdhsa_reserve_vcc 1
		.amdhsa_float_round_mode_32 0
		.amdhsa_float_round_mode_16_64 0
		.amdhsa_float_denorm_mode_32 3
		.amdhsa_float_denorm_mode_16_64 3
		.amdhsa_dx10_clamp 1
		.amdhsa_ieee_mode 1
		.amdhsa_fp16_overflow 0
		.amdhsa_workgroup_processor_mode 1
		.amdhsa_memory_ordered 1
		.amdhsa_forward_progress 0
		.amdhsa_shared_vgpr_count 0
		.amdhsa_exception_fp_ieee_invalid_op 0
		.amdhsa_exception_fp_denorm_src 0
		.amdhsa_exception_fp_ieee_div_zero 0
		.amdhsa_exception_fp_ieee_overflow 0
		.amdhsa_exception_fp_ieee_underflow 0
		.amdhsa_exception_fp_ieee_inexact 0
		.amdhsa_exception_int_div_zero 0
	.end_amdhsa_kernel
	.section	.text._ZN2at6native29vectorized_elementwise_kernelILi16EZZZNS0_21clamp_min_kernel_cudaERNS_18TensorIteratorBaseERKN3c106ScalarEENKUlvE_clEvENKUlvE7_clEvEUlNS4_8BFloat16EE_St5arrayIPcLm2EEEEviT0_T1_,"axG",@progbits,_ZN2at6native29vectorized_elementwise_kernelILi16EZZZNS0_21clamp_min_kernel_cudaERNS_18TensorIteratorBaseERKN3c106ScalarEENKUlvE_clEvENKUlvE7_clEvEUlNS4_8BFloat16EE_St5arrayIPcLm2EEEEviT0_T1_,comdat
.Lfunc_end410:
	.size	_ZN2at6native29vectorized_elementwise_kernelILi16EZZZNS0_21clamp_min_kernel_cudaERNS_18TensorIteratorBaseERKN3c106ScalarEENKUlvE_clEvENKUlvE7_clEvEUlNS4_8BFloat16EE_St5arrayIPcLm2EEEEviT0_T1_, .Lfunc_end410-_ZN2at6native29vectorized_elementwise_kernelILi16EZZZNS0_21clamp_min_kernel_cudaERNS_18TensorIteratorBaseERKN3c106ScalarEENKUlvE_clEvENKUlvE7_clEvEUlNS4_8BFloat16EE_St5arrayIPcLm2EEEEviT0_T1_
                                        ; -- End function
	.section	.AMDGPU.csdata,"",@progbits
; Kernel info:
; codeLenInByte = 2088
; NumSgprs: 28
; NumVgprs: 18
; ScratchSize: 0
; MemoryBound: 0
; FloatMode: 240
; IeeeMode: 1
; LDSByteSize: 0 bytes/workgroup (compile time only)
; SGPRBlocks: 3
; VGPRBlocks: 2
; NumSGPRsForWavesPerEU: 28
; NumVGPRsForWavesPerEU: 18
; Occupancy: 16
; WaveLimiterHint : 0
; COMPUTE_PGM_RSRC2:SCRATCH_EN: 0
; COMPUTE_PGM_RSRC2:USER_SGPR: 15
; COMPUTE_PGM_RSRC2:TRAP_HANDLER: 0
; COMPUTE_PGM_RSRC2:TGID_X_EN: 1
; COMPUTE_PGM_RSRC2:TGID_Y_EN: 0
; COMPUTE_PGM_RSRC2:TGID_Z_EN: 0
; COMPUTE_PGM_RSRC2:TIDIG_COMP_CNT: 0
	.section	.text._ZN2at6native29vectorized_elementwise_kernelILi8EZZZNS0_21clamp_min_kernel_cudaERNS_18TensorIteratorBaseERKN3c106ScalarEENKUlvE_clEvENKUlvE7_clEvEUlNS4_8BFloat16EE_St5arrayIPcLm2EEEEviT0_T1_,"axG",@progbits,_ZN2at6native29vectorized_elementwise_kernelILi8EZZZNS0_21clamp_min_kernel_cudaERNS_18TensorIteratorBaseERKN3c106ScalarEENKUlvE_clEvENKUlvE7_clEvEUlNS4_8BFloat16EE_St5arrayIPcLm2EEEEviT0_T1_,comdat
	.globl	_ZN2at6native29vectorized_elementwise_kernelILi8EZZZNS0_21clamp_min_kernel_cudaERNS_18TensorIteratorBaseERKN3c106ScalarEENKUlvE_clEvENKUlvE7_clEvEUlNS4_8BFloat16EE_St5arrayIPcLm2EEEEviT0_T1_ ; -- Begin function _ZN2at6native29vectorized_elementwise_kernelILi8EZZZNS0_21clamp_min_kernel_cudaERNS_18TensorIteratorBaseERKN3c106ScalarEENKUlvE_clEvENKUlvE7_clEvEUlNS4_8BFloat16EE_St5arrayIPcLm2EEEEviT0_T1_
	.p2align	8
	.type	_ZN2at6native29vectorized_elementwise_kernelILi8EZZZNS0_21clamp_min_kernel_cudaERNS_18TensorIteratorBaseERKN3c106ScalarEENKUlvE_clEvENKUlvE7_clEvEUlNS4_8BFloat16EE_St5arrayIPcLm2EEEEviT0_T1_,@function
_ZN2at6native29vectorized_elementwise_kernelILi8EZZZNS0_21clamp_min_kernel_cudaERNS_18TensorIteratorBaseERKN3c106ScalarEENKUlvE_clEvENKUlvE7_clEvEUlNS4_8BFloat16EE_St5arrayIPcLm2EEEEviT0_T1_: ; @_ZN2at6native29vectorized_elementwise_kernelILi8EZZZNS0_21clamp_min_kernel_cudaERNS_18TensorIteratorBaseERKN3c106ScalarEENKUlvE_clEvENKUlvE7_clEvEUlNS4_8BFloat16EE_St5arrayIPcLm2EEEEviT0_T1_
; %bb.0:
	s_clause 0x1
	s_load_b64 s[20:21], s[0:1], 0x0
	s_load_b128 s[16:19], s[0:1], 0x8
	s_lshl_b32 s22, s15, 11
	s_mov_b32 s0, -1
	s_waitcnt lgkmcnt(0)
	s_sub_i32 s15, s20, s22
	s_delay_alu instid0(SALU_CYCLE_1)
	s_cmpk_gt_i32 s15, 0x7ff
	s_cbranch_scc0 .LBB411_2
; %bb.1:
	s_ashr_i32 s23, s22, 31
	v_lshlrev_b32_e32 v5, 4, v0
	s_lshl_b64 s[0:1], s[22:23], 1
	s_delay_alu instid0(SALU_CYCLE_1)
	s_add_u32 s2, s18, s0
	s_addc_u32 s3, s19, s1
	s_lshl_b32 s14, s21, 16
	global_load_b128 v[1:4], v5, s[2:3]
	s_add_u32 s24, s16, s0
	s_addc_u32 s25, s17, s1
	s_waitcnt vmcnt(0)
	v_and_b32_e32 v7, 0xffff0000, v1
	v_and_b32_e32 v10, 0xffff0000, v2
	v_lshrrev_b32_e32 v8, 16, v1
	v_lshrrev_b32_e32 v11, 16, v2
	v_lshlrev_b32_e32 v6, 16, v1
	v_cmp_u_f32_e32 vcc_lo, v7, v7
	v_cmp_lt_f32_e64 s1, s14, v7
	v_and_b32_e32 v13, 0xffff0000, v3
	v_cmp_u_f32_e64 s3, v10, v10
	v_cmp_lt_f32_e64 s5, s14, v10
	v_and_b32_e32 v16, 0xffff0000, v4
	s_or_b32 vcc_lo, vcc_lo, s1
	v_lshlrev_b32_e32 v9, 16, v2
	v_cmp_u_f32_e64 s0, v6, v6
	v_cmp_lt_f32_e64 s2, s14, v6
	v_cndmask_b32_e32 v6, s21, v8, vcc_lo
	v_cmp_u_f32_e64 s7, v13, v13
	v_cmp_u_f32_e64 s4, v9, v9
	v_cmp_lt_f32_e64 s6, s14, v9
	v_cmp_lt_f32_e64 s9, s14, v13
	s_or_b32 vcc_lo, s3, s5
	v_lshrrev_b32_e32 v14, 16, v3
	v_cmp_u_f32_e64 s11, v16, v16
	v_cmp_lt_f32_e64 s13, s14, v16
	v_cndmask_b32_e32 v7, s21, v11, vcc_lo
	s_or_b32 vcc_lo, s4, s6
	v_lshrrev_b32_e32 v17, 16, v4
	v_cndmask_b32_e32 v2, s21, v2, vcc_lo
	s_or_b32 vcc_lo, s7, s9
	v_dual_cndmask_b32 v8, s21, v14 :: v_dual_lshlrev_b32 v15, 16, v4
	s_or_b32 vcc_lo, s11, s13
	v_dual_cndmask_b32 v9, s21, v17 :: v_dual_lshlrev_b32 v12, 16, v3
	s_delay_alu instid0(VALU_DEP_2) | instskip(SKIP_1) | instid1(VALU_DEP_3)
	v_cmp_u_f32_e64 s12, v15, v15
	v_perm_b32 v2, v7, v2, 0x5040100
	v_cmp_lt_f32_e64 s10, s14, v12
	v_cmp_lt_f32_e64 s14, s14, v15
	v_cmp_u_f32_e64 s8, v12, v12
	s_delay_alu instid0(VALU_DEP_2) | instskip(SKIP_1) | instid1(VALU_DEP_2)
	s_or_b32 vcc_lo, s12, s14
	v_cndmask_b32_e32 v4, s21, v4, vcc_lo
	s_or_b32 vcc_lo, s8, s10
	v_cndmask_b32_e32 v3, s21, v3, vcc_lo
	s_or_b32 vcc_lo, s0, s2
	s_delay_alu instid0(VALU_DEP_2) | instskip(SKIP_3) | instid1(VALU_DEP_2)
	v_perm_b32 v4, v9, v4, 0x5040100
	v_cndmask_b32_e32 v1, s21, v1, vcc_lo
	s_mov_b32 s0, 0
	v_perm_b32 v3, v8, v3, 0x5040100
	v_perm_b32 v1, v6, v1, 0x5040100
	global_store_b128 v5, v[1:4], s[24:25]
.LBB411_2:
	s_and_not1_b32 vcc_lo, exec_lo, s0
	s_cbranch_vccnz .LBB411_28
; %bb.3:
	v_cmp_gt_i32_e32 vcc_lo, s15, v0
	v_mov_b32_e32 v6, 0
	v_or_b32_e32 v1, s22, v0
	v_or_b32_e32 v8, 0x100, v0
	v_mov_b32_e32 v12, 0
	v_mov_b32_e32 v2, v0
	s_and_saveexec_b32 s1, vcc_lo
	s_cbranch_execz .LBB411_5
; %bb.4:
	v_mov_b32_e32 v2, 0
	s_delay_alu instid0(VALU_DEP_1) | instskip(NEXT) | instid1(VALU_DEP_1)
	v_lshlrev_b64 v[2:3], 1, v[1:2]
	v_add_co_u32 v2, s0, s18, v2
	s_delay_alu instid0(VALU_DEP_1)
	v_add_co_ci_u32_e64 v3, s0, s19, v3, s0
	global_load_u16 v12, v[2:3], off
	v_or_b32_e32 v2, 0x100, v0
.LBB411_5:
	s_or_b32 exec_lo, exec_lo, s1
	s_delay_alu instid0(SALU_CYCLE_1) | instskip(NEXT) | instid1(VALU_DEP_1)
	s_mov_b32 s1, exec_lo
	v_cmpx_gt_i32_e64 s15, v2
	s_cbranch_execz .LBB411_7
; %bb.6:
	v_dual_mov_b32 v4, 0 :: v_dual_add_nc_u32 v3, s22, v2
	v_add_nc_u32_e32 v2, 0x100, v2
	s_delay_alu instid0(VALU_DEP_2) | instskip(NEXT) | instid1(VALU_DEP_1)
	v_lshlrev_b64 v[3:4], 1, v[3:4]
	v_add_co_u32 v3, s0, s18, v3
	s_delay_alu instid0(VALU_DEP_1)
	v_add_co_ci_u32_e64 v4, s0, s19, v4, s0
	global_load_u16 v6, v[3:4], off
.LBB411_7:
	s_or_b32 exec_lo, exec_lo, s1
	v_mov_b32_e32 v5, 0
	v_mov_b32_e32 v11, 0
	s_mov_b32 s1, exec_lo
	v_cmpx_gt_i32_e64 s15, v2
	s_cbranch_execz .LBB411_9
; %bb.8:
	v_dual_mov_b32 v4, 0 :: v_dual_add_nc_u32 v3, s22, v2
	v_add_nc_u32_e32 v2, 0x100, v2
	s_delay_alu instid0(VALU_DEP_2) | instskip(NEXT) | instid1(VALU_DEP_1)
	v_lshlrev_b64 v[3:4], 1, v[3:4]
	v_add_co_u32 v3, s0, s18, v3
	s_delay_alu instid0(VALU_DEP_1)
	v_add_co_ci_u32_e64 v4, s0, s19, v4, s0
	global_load_u16 v11, v[3:4], off
.LBB411_9:
	s_or_b32 exec_lo, exec_lo, s1
	s_delay_alu instid0(SALU_CYCLE_1)
	s_mov_b32 s1, exec_lo
	v_cmpx_gt_i32_e64 s15, v2
	s_cbranch_execz .LBB411_11
; %bb.10:
	v_dual_mov_b32 v4, 0 :: v_dual_add_nc_u32 v3, s22, v2
	v_add_nc_u32_e32 v2, 0x100, v2
	s_delay_alu instid0(VALU_DEP_2) | instskip(NEXT) | instid1(VALU_DEP_1)
	v_lshlrev_b64 v[3:4], 1, v[3:4]
	v_add_co_u32 v3, s0, s18, v3
	s_delay_alu instid0(VALU_DEP_1)
	v_add_co_ci_u32_e64 v4, s0, s19, v4, s0
	global_load_u16 v5, v[3:4], off
.LBB411_11:
	s_or_b32 exec_lo, exec_lo, s1
	v_dual_mov_b32 v4, 0 :: v_dual_mov_b32 v9, 0
	s_mov_b32 s1, exec_lo
	v_cmpx_gt_i32_e64 s15, v2
	s_cbranch_execz .LBB411_13
; %bb.12:
	v_dual_mov_b32 v10, 0 :: v_dual_add_nc_u32 v9, s22, v2
	v_add_nc_u32_e32 v2, 0x100, v2
	s_delay_alu instid0(VALU_DEP_2) | instskip(NEXT) | instid1(VALU_DEP_1)
	v_lshlrev_b64 v[9:10], 1, v[9:10]
	v_add_co_u32 v9, s0, s18, v9
	s_delay_alu instid0(VALU_DEP_1)
	v_add_co_ci_u32_e64 v10, s0, s19, v10, s0
	global_load_u16 v9, v[9:10], off
.LBB411_13:
	s_or_b32 exec_lo, exec_lo, s1
	s_delay_alu instid0(SALU_CYCLE_1)
	s_mov_b32 s1, exec_lo
	v_cmpx_gt_i32_e64 s15, v2
	s_cbranch_execz .LBB411_15
; %bb.14:
	v_dual_mov_b32 v4, 0 :: v_dual_add_nc_u32 v3, s22, v2
	v_add_nc_u32_e32 v2, 0x100, v2
	s_delay_alu instid0(VALU_DEP_2) | instskip(NEXT) | instid1(VALU_DEP_1)
	v_lshlrev_b64 v[3:4], 1, v[3:4]
	v_add_co_u32 v3, s0, s18, v3
	s_delay_alu instid0(VALU_DEP_1)
	v_add_co_ci_u32_e64 v4, s0, s19, v4, s0
	global_load_u16 v4, v[3:4], off
.LBB411_15:
	s_or_b32 exec_lo, exec_lo, s1
	v_mov_b32_e32 v3, 0
	v_mov_b32_e32 v7, 0
	s_mov_b32 s1, exec_lo
	v_cmpx_gt_i32_e64 s15, v2
	s_cbranch_execz .LBB411_17
; %bb.16:
	v_dual_mov_b32 v14, 0 :: v_dual_add_nc_u32 v13, s22, v2
	v_add_nc_u32_e32 v2, 0x100, v2
	s_delay_alu instid0(VALU_DEP_2) | instskip(NEXT) | instid1(VALU_DEP_1)
	v_lshlrev_b64 v[13:14], 1, v[13:14]
	v_add_co_u32 v13, s0, s18, v13
	s_delay_alu instid0(VALU_DEP_1)
	v_add_co_ci_u32_e64 v14, s0, s19, v14, s0
	global_load_u16 v7, v[13:14], off
.LBB411_17:
	s_or_b32 exec_lo, exec_lo, s1
	s_delay_alu instid0(SALU_CYCLE_1)
	s_mov_b32 s1, exec_lo
	v_cmpx_gt_i32_e64 s15, v2
	s_cbranch_execz .LBB411_19
; %bb.18:
	v_dual_mov_b32 v3, 0 :: v_dual_add_nc_u32 v2, s22, v2
	s_delay_alu instid0(VALU_DEP_1) | instskip(NEXT) | instid1(VALU_DEP_1)
	v_lshlrev_b64 v[2:3], 1, v[2:3]
	v_add_co_u32 v2, s0, s18, v2
	s_delay_alu instid0(VALU_DEP_1)
	v_add_co_ci_u32_e64 v3, s0, s19, v3, s0
	global_load_u16 v3, v[2:3], off
.LBB411_19:
	s_or_b32 exec_lo, exec_lo, s1
	s_lshl_b32 s0, s21, 16
	s_delay_alu instid0(SALU_CYCLE_1)
	v_mov_b32_e32 v10, s0
	s_and_saveexec_b32 s2, vcc_lo
	s_cbranch_execnz .LBB411_29
; %bb.20:
	s_or_b32 exec_lo, exec_lo, s2
	s_delay_alu instid0(SALU_CYCLE_1)
	s_mov_b32 s1, exec_lo
	v_cmpx_gt_i32_e64 s15, v0
	s_cbranch_execnz .LBB411_30
.LBB411_21:
	s_or_b32 exec_lo, exec_lo, s1
	s_delay_alu instid0(SALU_CYCLE_1)
	s_mov_b32 s1, exec_lo
	v_cmpx_gt_i32_e64 s15, v0
	s_cbranch_execnz .LBB411_31
.LBB411_22:
	s_or_b32 exec_lo, exec_lo, s1
	s_delay_alu instid0(SALU_CYCLE_1)
	s_mov_b32 s1, exec_lo
	v_cmpx_gt_i32_e64 s15, v0
	s_cbranch_execnz .LBB411_32
.LBB411_23:
	s_or_b32 exec_lo, exec_lo, s1
	s_delay_alu instid0(SALU_CYCLE_1)
	s_mov_b32 s1, exec_lo
	v_cmpx_gt_i32_e64 s15, v0
	s_cbranch_execnz .LBB411_33
.LBB411_24:
	s_or_b32 exec_lo, exec_lo, s1
	s_delay_alu instid0(SALU_CYCLE_1)
	s_mov_b32 s1, exec_lo
	v_cmpx_gt_i32_e64 s15, v0
	s_cbranch_execnz .LBB411_34
.LBB411_25:
	s_or_b32 exec_lo, exec_lo, s1
	s_delay_alu instid0(SALU_CYCLE_1)
	s_mov_b32 s1, exec_lo
	v_cmpx_gt_i32_e64 s15, v0
	s_cbranch_execnz .LBB411_35
.LBB411_26:
	s_or_b32 exec_lo, exec_lo, s1
	s_delay_alu instid0(SALU_CYCLE_1)
	s_mov_b32 s0, exec_lo
	v_cmpx_gt_i32_e64 s15, v0
	s_cbranch_execz .LBB411_28
.LBB411_27:
	s_waitcnt vmcnt(0)
	v_dual_mov_b32 v1, 0 :: v_dual_lshlrev_b32 v2, 16, v3
	v_add_nc_u32_e32 v0, s22, v0
	s_delay_alu instid0(VALU_DEP_2) | instskip(SKIP_1) | instid1(VALU_DEP_3)
	v_cmp_u_f32_e32 vcc_lo, v2, v2
	v_cmp_gt_f32_e64 s0, v2, v10
	v_lshlrev_b64 v[0:1], 1, v[0:1]
	s_delay_alu instid0(VALU_DEP_2) | instskip(SKIP_1) | instid1(VALU_DEP_2)
	s_or_b32 vcc_lo, vcc_lo, s0
	v_cndmask_b32_e32 v2, s21, v3, vcc_lo
	v_add_co_u32 v0, vcc_lo, s16, v0
	s_delay_alu instid0(VALU_DEP_3)
	v_add_co_ci_u32_e32 v1, vcc_lo, s17, v1, vcc_lo
	global_store_b16 v[0:1], v2, off
.LBB411_28:
	s_nop 0
	s_sendmsg sendmsg(MSG_DEALLOC_VGPRS)
	s_endpgm
.LBB411_29:
	s_waitcnt vmcnt(0)
	v_dual_mov_b32 v2, 0 :: v_dual_lshlrev_b32 v13, 16, v12
	s_delay_alu instid0(VALU_DEP_1) | instskip(NEXT) | instid1(VALU_DEP_2)
	v_lshlrev_b64 v[0:1], 1, v[1:2]
	v_cmp_u_f32_e32 vcc_lo, v13, v13
	v_cmp_lt_f32_e64 s0, v10, v13
	s_delay_alu instid0(VALU_DEP_3) | instskip(NEXT) | instid1(VALU_DEP_2)
	v_add_co_u32 v13, s1, s16, v0
	s_or_b32 vcc_lo, vcc_lo, s0
	s_delay_alu instid0(VALU_DEP_4) | instskip(SKIP_3) | instid1(SALU_CYCLE_1)
	v_add_co_ci_u32_e64 v14, s1, s17, v1, s1
	v_dual_cndmask_b32 v1, s21, v12 :: v_dual_mov_b32 v0, v8
	global_store_b16 v[13:14], v1, off
	s_or_b32 exec_lo, exec_lo, s2
	s_mov_b32 s1, exec_lo
	v_cmpx_gt_i32_e64 s15, v0
	s_cbranch_execz .LBB411_21
.LBB411_30:
	s_waitcnt vmcnt(0)
	v_lshlrev_b32_e32 v8, 16, v6
	v_dual_mov_b32 v2, 0 :: v_dual_add_nc_u32 v1, s22, v0
	v_add_nc_u32_e32 v0, 0x100, v0
	s_delay_alu instid0(VALU_DEP_3) | instskip(SKIP_1) | instid1(VALU_DEP_4)
	v_cmp_u_f32_e32 vcc_lo, v8, v8
	v_cmp_lt_f32_e64 s0, v10, v8
	v_lshlrev_b64 v[1:2], 1, v[1:2]
	s_delay_alu instid0(VALU_DEP_2) | instskip(SKIP_1) | instid1(VALU_DEP_2)
	s_or_b32 vcc_lo, vcc_lo, s0
	v_cndmask_b32_e32 v6, s21, v6, vcc_lo
	v_add_co_u32 v1, vcc_lo, s16, v1
	s_delay_alu instid0(VALU_DEP_3) | instskip(SKIP_2) | instid1(SALU_CYCLE_1)
	v_add_co_ci_u32_e32 v2, vcc_lo, s17, v2, vcc_lo
	global_store_b16 v[1:2], v6, off
	s_or_b32 exec_lo, exec_lo, s1
	s_mov_b32 s1, exec_lo
	v_cmpx_gt_i32_e64 s15, v0
	s_cbranch_execz .LBB411_22
.LBB411_31:
	s_waitcnt vmcnt(0)
	v_lshlrev_b32_e32 v6, 16, v11
	v_dual_mov_b32 v2, 0 :: v_dual_add_nc_u32 v1, s22, v0
	v_add_nc_u32_e32 v0, 0x100, v0
	s_delay_alu instid0(VALU_DEP_3) | instskip(SKIP_1) | instid1(VALU_DEP_4)
	v_cmp_u_f32_e32 vcc_lo, v6, v6
	v_cmp_lt_f32_e64 s0, v10, v6
	v_lshlrev_b64 v[1:2], 1, v[1:2]
	s_delay_alu instid0(VALU_DEP_2) | instskip(SKIP_1) | instid1(VALU_DEP_2)
	s_or_b32 vcc_lo, vcc_lo, s0
	v_cndmask_b32_e32 v6, s21, v11, vcc_lo
	v_add_co_u32 v1, vcc_lo, s16, v1
	s_delay_alu instid0(VALU_DEP_3) | instskip(SKIP_2) | instid1(SALU_CYCLE_1)
	v_add_co_ci_u32_e32 v2, vcc_lo, s17, v2, vcc_lo
	global_store_b16 v[1:2], v6, off
	s_or_b32 exec_lo, exec_lo, s1
	s_mov_b32 s1, exec_lo
	v_cmpx_gt_i32_e64 s15, v0
	s_cbranch_execz .LBB411_23
.LBB411_32:
	s_waitcnt vmcnt(0)
	v_lshlrev_b32_e32 v6, 16, v5
	v_dual_mov_b32 v2, 0 :: v_dual_add_nc_u32 v1, s22, v0
	v_add_nc_u32_e32 v0, 0x100, v0
	s_delay_alu instid0(VALU_DEP_3) | instskip(SKIP_1) | instid1(VALU_DEP_4)
	v_cmp_u_f32_e32 vcc_lo, v6, v6
	v_cmp_lt_f32_e64 s0, v10, v6
	v_lshlrev_b64 v[1:2], 1, v[1:2]
	s_delay_alu instid0(VALU_DEP_2) | instskip(SKIP_1) | instid1(VALU_DEP_2)
	s_or_b32 vcc_lo, vcc_lo, s0
	v_cndmask_b32_e32 v5, s21, v5, vcc_lo
	v_add_co_u32 v1, vcc_lo, s16, v1
	s_delay_alu instid0(VALU_DEP_3) | instskip(SKIP_2) | instid1(SALU_CYCLE_1)
	v_add_co_ci_u32_e32 v2, vcc_lo, s17, v2, vcc_lo
	global_store_b16 v[1:2], v5, off
	s_or_b32 exec_lo, exec_lo, s1
	s_mov_b32 s1, exec_lo
	v_cmpx_gt_i32_e64 s15, v0
	s_cbranch_execz .LBB411_24
.LBB411_33:
	s_waitcnt vmcnt(0)
	v_dual_mov_b32 v2, 0 :: v_dual_lshlrev_b32 v5, 16, v9
	v_add_nc_u32_e32 v1, s22, v0
	v_add_nc_u32_e32 v0, 0x100, v0
	s_delay_alu instid0(VALU_DEP_3) | instskip(SKIP_1) | instid1(VALU_DEP_4)
	v_cmp_u_f32_e32 vcc_lo, v5, v5
	v_cmp_lt_f32_e64 s0, v10, v5
	v_lshlrev_b64 v[1:2], 1, v[1:2]
	s_delay_alu instid0(VALU_DEP_2) | instskip(SKIP_1) | instid1(VALU_DEP_2)
	s_or_b32 vcc_lo, vcc_lo, s0
	v_cndmask_b32_e32 v5, s21, v9, vcc_lo
	v_add_co_u32 v1, vcc_lo, s16, v1
	s_delay_alu instid0(VALU_DEP_3) | instskip(SKIP_2) | instid1(SALU_CYCLE_1)
	v_add_co_ci_u32_e32 v2, vcc_lo, s17, v2, vcc_lo
	global_store_b16 v[1:2], v5, off
	s_or_b32 exec_lo, exec_lo, s1
	s_mov_b32 s1, exec_lo
	v_cmpx_gt_i32_e64 s15, v0
	s_cbranch_execz .LBB411_25
.LBB411_34:
	s_waitcnt vmcnt(0)
	v_dual_mov_b32 v2, 0 :: v_dual_lshlrev_b32 v5, 16, v4
	v_add_nc_u32_e32 v1, s22, v0
	v_add_nc_u32_e32 v0, 0x100, v0
	s_delay_alu instid0(VALU_DEP_3) | instskip(SKIP_1) | instid1(VALU_DEP_4)
	v_cmp_u_f32_e32 vcc_lo, v5, v5
	v_cmp_lt_f32_e64 s0, v10, v5
	v_lshlrev_b64 v[1:2], 1, v[1:2]
	s_delay_alu instid0(VALU_DEP_2) | instskip(SKIP_1) | instid1(VALU_DEP_2)
	s_or_b32 vcc_lo, vcc_lo, s0
	v_cndmask_b32_e32 v4, s21, v4, vcc_lo
	v_add_co_u32 v1, vcc_lo, s16, v1
	s_delay_alu instid0(VALU_DEP_3) | instskip(SKIP_2) | instid1(SALU_CYCLE_1)
	v_add_co_ci_u32_e32 v2, vcc_lo, s17, v2, vcc_lo
	global_store_b16 v[1:2], v4, off
	s_or_b32 exec_lo, exec_lo, s1
	s_mov_b32 s1, exec_lo
	v_cmpx_gt_i32_e64 s15, v0
	s_cbranch_execz .LBB411_26
.LBB411_35:
	s_waitcnt vmcnt(0)
	v_lshlrev_b32_e32 v4, 16, v7
	v_dual_mov_b32 v2, 0 :: v_dual_add_nc_u32 v1, s22, v0
	v_add_nc_u32_e32 v0, 0x100, v0
	s_delay_alu instid0(VALU_DEP_3) | instskip(SKIP_1) | instid1(VALU_DEP_4)
	v_cmp_u_f32_e32 vcc_lo, v4, v4
	v_cmp_lt_f32_e64 s0, v10, v4
	v_lshlrev_b64 v[1:2], 1, v[1:2]
	s_delay_alu instid0(VALU_DEP_2) | instskip(SKIP_1) | instid1(VALU_DEP_2)
	s_or_b32 vcc_lo, vcc_lo, s0
	v_cndmask_b32_e32 v4, s21, v7, vcc_lo
	v_add_co_u32 v1, vcc_lo, s16, v1
	s_delay_alu instid0(VALU_DEP_3) | instskip(SKIP_2) | instid1(SALU_CYCLE_1)
	v_add_co_ci_u32_e32 v2, vcc_lo, s17, v2, vcc_lo
	global_store_b16 v[1:2], v4, off
	s_or_b32 exec_lo, exec_lo, s1
	s_mov_b32 s0, exec_lo
	v_cmpx_gt_i32_e64 s15, v0
	s_cbranch_execnz .LBB411_27
	s_branch .LBB411_28
	.section	.rodata,"a",@progbits
	.p2align	6, 0x0
	.amdhsa_kernel _ZN2at6native29vectorized_elementwise_kernelILi8EZZZNS0_21clamp_min_kernel_cudaERNS_18TensorIteratorBaseERKN3c106ScalarEENKUlvE_clEvENKUlvE7_clEvEUlNS4_8BFloat16EE_St5arrayIPcLm2EEEEviT0_T1_
		.amdhsa_group_segment_fixed_size 0
		.amdhsa_private_segment_fixed_size 0
		.amdhsa_kernarg_size 24
		.amdhsa_user_sgpr_count 15
		.amdhsa_user_sgpr_dispatch_ptr 0
		.amdhsa_user_sgpr_queue_ptr 0
		.amdhsa_user_sgpr_kernarg_segment_ptr 1
		.amdhsa_user_sgpr_dispatch_id 0
		.amdhsa_user_sgpr_private_segment_size 0
		.amdhsa_wavefront_size32 1
		.amdhsa_uses_dynamic_stack 0
		.amdhsa_enable_private_segment 0
		.amdhsa_system_sgpr_workgroup_id_x 1
		.amdhsa_system_sgpr_workgroup_id_y 0
		.amdhsa_system_sgpr_workgroup_id_z 0
		.amdhsa_system_sgpr_workgroup_info 0
		.amdhsa_system_vgpr_workitem_id 0
		.amdhsa_next_free_vgpr 18
		.amdhsa_next_free_sgpr 26
		.amdhsa_reserve_vcc 1
		.amdhsa_float_round_mode_32 0
		.amdhsa_float_round_mode_16_64 0
		.amdhsa_float_denorm_mode_32 3
		.amdhsa_float_denorm_mode_16_64 3
		.amdhsa_dx10_clamp 1
		.amdhsa_ieee_mode 1
		.amdhsa_fp16_overflow 0
		.amdhsa_workgroup_processor_mode 1
		.amdhsa_memory_ordered 1
		.amdhsa_forward_progress 0
		.amdhsa_shared_vgpr_count 0
		.amdhsa_exception_fp_ieee_invalid_op 0
		.amdhsa_exception_fp_denorm_src 0
		.amdhsa_exception_fp_ieee_div_zero 0
		.amdhsa_exception_fp_ieee_overflow 0
		.amdhsa_exception_fp_ieee_underflow 0
		.amdhsa_exception_fp_ieee_inexact 0
		.amdhsa_exception_int_div_zero 0
	.end_amdhsa_kernel
	.section	.text._ZN2at6native29vectorized_elementwise_kernelILi8EZZZNS0_21clamp_min_kernel_cudaERNS_18TensorIteratorBaseERKN3c106ScalarEENKUlvE_clEvENKUlvE7_clEvEUlNS4_8BFloat16EE_St5arrayIPcLm2EEEEviT0_T1_,"axG",@progbits,_ZN2at6native29vectorized_elementwise_kernelILi8EZZZNS0_21clamp_min_kernel_cudaERNS_18TensorIteratorBaseERKN3c106ScalarEENKUlvE_clEvENKUlvE7_clEvEUlNS4_8BFloat16EE_St5arrayIPcLm2EEEEviT0_T1_,comdat
.Lfunc_end411:
	.size	_ZN2at6native29vectorized_elementwise_kernelILi8EZZZNS0_21clamp_min_kernel_cudaERNS_18TensorIteratorBaseERKN3c106ScalarEENKUlvE_clEvENKUlvE7_clEvEUlNS4_8BFloat16EE_St5arrayIPcLm2EEEEviT0_T1_, .Lfunc_end411-_ZN2at6native29vectorized_elementwise_kernelILi8EZZZNS0_21clamp_min_kernel_cudaERNS_18TensorIteratorBaseERKN3c106ScalarEENKUlvE_clEvENKUlvE7_clEvEUlNS4_8BFloat16EE_St5arrayIPcLm2EEEEviT0_T1_
                                        ; -- End function
	.section	.AMDGPU.csdata,"",@progbits
; Kernel info:
; codeLenInByte = 2088
; NumSgprs: 28
; NumVgprs: 18
; ScratchSize: 0
; MemoryBound: 0
; FloatMode: 240
; IeeeMode: 1
; LDSByteSize: 0 bytes/workgroup (compile time only)
; SGPRBlocks: 3
; VGPRBlocks: 2
; NumSGPRsForWavesPerEU: 28
; NumVGPRsForWavesPerEU: 18
; Occupancy: 16
; WaveLimiterHint : 0
; COMPUTE_PGM_RSRC2:SCRATCH_EN: 0
; COMPUTE_PGM_RSRC2:USER_SGPR: 15
; COMPUTE_PGM_RSRC2:TRAP_HANDLER: 0
; COMPUTE_PGM_RSRC2:TGID_X_EN: 1
; COMPUTE_PGM_RSRC2:TGID_Y_EN: 0
; COMPUTE_PGM_RSRC2:TGID_Z_EN: 0
; COMPUTE_PGM_RSRC2:TIDIG_COMP_CNT: 0
	.section	.text._ZN2at6native29vectorized_elementwise_kernelILi4EZZZNS0_21clamp_min_kernel_cudaERNS_18TensorIteratorBaseERKN3c106ScalarEENKUlvE_clEvENKUlvE7_clEvEUlNS4_8BFloat16EE_St5arrayIPcLm2EEEEviT0_T1_,"axG",@progbits,_ZN2at6native29vectorized_elementwise_kernelILi4EZZZNS0_21clamp_min_kernel_cudaERNS_18TensorIteratorBaseERKN3c106ScalarEENKUlvE_clEvENKUlvE7_clEvEUlNS4_8BFloat16EE_St5arrayIPcLm2EEEEviT0_T1_,comdat
	.globl	_ZN2at6native29vectorized_elementwise_kernelILi4EZZZNS0_21clamp_min_kernel_cudaERNS_18TensorIteratorBaseERKN3c106ScalarEENKUlvE_clEvENKUlvE7_clEvEUlNS4_8BFloat16EE_St5arrayIPcLm2EEEEviT0_T1_ ; -- Begin function _ZN2at6native29vectorized_elementwise_kernelILi4EZZZNS0_21clamp_min_kernel_cudaERNS_18TensorIteratorBaseERKN3c106ScalarEENKUlvE_clEvENKUlvE7_clEvEUlNS4_8BFloat16EE_St5arrayIPcLm2EEEEviT0_T1_
	.p2align	8
	.type	_ZN2at6native29vectorized_elementwise_kernelILi4EZZZNS0_21clamp_min_kernel_cudaERNS_18TensorIteratorBaseERKN3c106ScalarEENKUlvE_clEvENKUlvE7_clEvEUlNS4_8BFloat16EE_St5arrayIPcLm2EEEEviT0_T1_,@function
_ZN2at6native29vectorized_elementwise_kernelILi4EZZZNS0_21clamp_min_kernel_cudaERNS_18TensorIteratorBaseERKN3c106ScalarEENKUlvE_clEvENKUlvE7_clEvEUlNS4_8BFloat16EE_St5arrayIPcLm2EEEEviT0_T1_: ; @_ZN2at6native29vectorized_elementwise_kernelILi4EZZZNS0_21clamp_min_kernel_cudaERNS_18TensorIteratorBaseERKN3c106ScalarEENKUlvE_clEvENKUlvE7_clEvEUlNS4_8BFloat16EE_St5arrayIPcLm2EEEEviT0_T1_
; %bb.0:
	s_clause 0x1
	s_load_b64 s[20:21], s[0:1], 0x0
	s_load_b128 s[16:19], s[0:1], 0x8
	s_lshl_b32 s22, s15, 11
	s_mov_b32 s0, -1
	s_waitcnt lgkmcnt(0)
	s_sub_i32 s15, s20, s22
	s_delay_alu instid0(SALU_CYCLE_1)
	s_cmpk_gt_i32 s15, 0x7ff
	s_cbranch_scc0 .LBB412_2
; %bb.1:
	s_ashr_i32 s23, s22, 31
	v_lshlrev_b32_e32 v5, 3, v0
	s_lshl_b64 s[24:25], s[22:23], 1
	s_delay_alu instid0(SALU_CYCLE_1)
	s_add_u32 s0, s18, s24
	s_addc_u32 s1, s19, s25
	s_lshl_b32 s14, s21, 16
	s_clause 0x1
	global_load_b64 v[1:2], v5, s[0:1]
	global_load_b64 v[3:4], v5, s[0:1] offset:2048
	s_waitcnt vmcnt(1)
	v_lshrrev_b32_e32 v7, 16, v2
	v_lshlrev_b32_e32 v10, 16, v1
	v_and_b32_e32 v11, 0xffff0000, v1
	v_and_b32_e32 v13, 0xffff0000, v2
	s_waitcnt vmcnt(0)
	v_lshrrev_b32_e32 v9, 16, v4
	v_lshlrev_b32_e32 v14, 16, v3
	v_cmp_u_f32_e32 vcc_lo, v10, v10
	v_cmp_lt_f32_e64 s0, s14, v10
	v_cmp_u_f32_e64 s1, v11, v11
	v_cmp_lt_f32_e64 s2, s14, v11
	v_lshrrev_b32_e32 v6, 16, v1
	v_cmp_u_f32_e64 s5, v13, v13
	s_or_b32 vcc_lo, vcc_lo, s0
	v_dual_cndmask_b32 v1, s21, v1 :: v_dual_lshlrev_b32 v12, 16, v2
	v_cmp_lt_f32_e64 s6, s14, v13
	s_or_b32 vcc_lo, s1, s2
	v_cmp_u_f32_e64 s7, v14, v14
	s_delay_alu instid0(VALU_DEP_3)
	v_cmp_u_f32_e64 s3, v12, v12
	v_cmp_lt_f32_e64 s4, s14, v12
	v_cmp_lt_f32_e64 s8, s14, v14
	v_cndmask_b32_e32 v6, s21, v6, vcc_lo
	v_and_b32_e32 v15, 0xffff0000, v3
	v_and_b32_e32 v17, 0xffff0000, v4
	s_or_b32 vcc_lo, s3, s4
	v_lshrrev_b32_e32 v8, 16, v3
	v_cndmask_b32_e32 v2, s21, v2, vcc_lo
	s_or_b32 vcc_lo, s5, s6
	v_cmp_u_f32_e64 s9, v15, v15
	v_cndmask_b32_e32 v7, s21, v7, vcc_lo
	s_or_b32 vcc_lo, s7, s8
	v_dual_cndmask_b32 v3, s21, v3 :: v_dual_lshlrev_b32 v16, 16, v4
	v_cmp_lt_f32_e64 s10, s14, v15
	v_cmp_u_f32_e64 s13, v17, v17
	v_lshlrev_b32_e32 v6, 16, v6
	s_delay_alu instid0(VALU_DEP_4)
	v_cmp_u_f32_e64 s11, v16, v16
	v_cmp_lt_f32_e64 s12, s14, v16
	v_cmp_lt_f32_e64 s14, s14, v17
	s_or_b32 vcc_lo, s9, s10
	v_and_b32_e32 v1, 0xffff, v1
	v_cndmask_b32_e32 v8, s21, v8, vcc_lo
	s_or_b32 vcc_lo, s11, s12
	v_and_b32_e32 v3, 0xffff, v3
	v_cndmask_b32_e32 v4, s21, v4, vcc_lo
	s_or_b32 vcc_lo, s13, s14
	v_lshlrev_b32_e32 v7, 16, v7
	v_cndmask_b32_e32 v9, s21, v9, vcc_lo
	v_and_b32_e32 v2, 0xffff, v2
	v_or_b32_e32 v1, v6, v1
	v_and_b32_e32 v4, 0xffff, v4
	s_add_u32 s2, s16, s24
	v_lshlrev_b32_e32 v9, 16, v9
	v_lshlrev_b32_e32 v8, 16, v8
	v_or3_b32 v2, 0, v2, v7
	v_or3_b32 v1, v1, 0, 0
	s_addc_u32 s3, s17, s25
	v_or3_b32 v4, 0, v4, v9
	v_or_b32_e32 v3, v8, v3
	s_mov_b32 s0, 0
	s_delay_alu instid0(VALU_DEP_1)
	v_or3_b32 v3, v3, 0, 0
	s_clause 0x1
	global_store_b64 v5, v[1:2], s[2:3]
	global_store_b64 v5, v[3:4], s[2:3] offset:2048
.LBB412_2:
	s_and_not1_b32 vcc_lo, exec_lo, s0
	s_cbranch_vccnz .LBB412_28
; %bb.3:
	v_cmp_gt_i32_e32 vcc_lo, s15, v0
	v_mov_b32_e32 v6, 0
	v_or_b32_e32 v1, s22, v0
	v_or_b32_e32 v8, 0x100, v0
	v_mov_b32_e32 v12, 0
	v_mov_b32_e32 v2, v0
	s_and_saveexec_b32 s1, vcc_lo
	s_cbranch_execz .LBB412_5
; %bb.4:
	v_mov_b32_e32 v2, 0
	s_delay_alu instid0(VALU_DEP_1) | instskip(NEXT) | instid1(VALU_DEP_1)
	v_lshlrev_b64 v[2:3], 1, v[1:2]
	v_add_co_u32 v2, s0, s18, v2
	s_delay_alu instid0(VALU_DEP_1)
	v_add_co_ci_u32_e64 v3, s0, s19, v3, s0
	global_load_u16 v12, v[2:3], off
	v_or_b32_e32 v2, 0x100, v0
.LBB412_5:
	s_or_b32 exec_lo, exec_lo, s1
	s_delay_alu instid0(SALU_CYCLE_1) | instskip(NEXT) | instid1(VALU_DEP_1)
	s_mov_b32 s1, exec_lo
	v_cmpx_gt_i32_e64 s15, v2
	s_cbranch_execz .LBB412_7
; %bb.6:
	v_dual_mov_b32 v4, 0 :: v_dual_add_nc_u32 v3, s22, v2
	v_add_nc_u32_e32 v2, 0x100, v2
	s_delay_alu instid0(VALU_DEP_2) | instskip(NEXT) | instid1(VALU_DEP_1)
	v_lshlrev_b64 v[3:4], 1, v[3:4]
	v_add_co_u32 v3, s0, s18, v3
	s_delay_alu instid0(VALU_DEP_1)
	v_add_co_ci_u32_e64 v4, s0, s19, v4, s0
	global_load_u16 v6, v[3:4], off
.LBB412_7:
	s_or_b32 exec_lo, exec_lo, s1
	v_mov_b32_e32 v5, 0
	v_mov_b32_e32 v11, 0
	s_mov_b32 s1, exec_lo
	v_cmpx_gt_i32_e64 s15, v2
	s_cbranch_execz .LBB412_9
; %bb.8:
	v_dual_mov_b32 v4, 0 :: v_dual_add_nc_u32 v3, s22, v2
	v_add_nc_u32_e32 v2, 0x100, v2
	s_delay_alu instid0(VALU_DEP_2) | instskip(NEXT) | instid1(VALU_DEP_1)
	v_lshlrev_b64 v[3:4], 1, v[3:4]
	v_add_co_u32 v3, s0, s18, v3
	s_delay_alu instid0(VALU_DEP_1)
	v_add_co_ci_u32_e64 v4, s0, s19, v4, s0
	global_load_u16 v11, v[3:4], off
.LBB412_9:
	s_or_b32 exec_lo, exec_lo, s1
	s_delay_alu instid0(SALU_CYCLE_1)
	s_mov_b32 s1, exec_lo
	v_cmpx_gt_i32_e64 s15, v2
	s_cbranch_execz .LBB412_11
; %bb.10:
	v_dual_mov_b32 v4, 0 :: v_dual_add_nc_u32 v3, s22, v2
	v_add_nc_u32_e32 v2, 0x100, v2
	s_delay_alu instid0(VALU_DEP_2) | instskip(NEXT) | instid1(VALU_DEP_1)
	v_lshlrev_b64 v[3:4], 1, v[3:4]
	v_add_co_u32 v3, s0, s18, v3
	s_delay_alu instid0(VALU_DEP_1)
	v_add_co_ci_u32_e64 v4, s0, s19, v4, s0
	global_load_u16 v5, v[3:4], off
.LBB412_11:
	s_or_b32 exec_lo, exec_lo, s1
	v_dual_mov_b32 v4, 0 :: v_dual_mov_b32 v9, 0
	s_mov_b32 s1, exec_lo
	v_cmpx_gt_i32_e64 s15, v2
	s_cbranch_execz .LBB412_13
; %bb.12:
	v_dual_mov_b32 v10, 0 :: v_dual_add_nc_u32 v9, s22, v2
	v_add_nc_u32_e32 v2, 0x100, v2
	s_delay_alu instid0(VALU_DEP_2) | instskip(NEXT) | instid1(VALU_DEP_1)
	v_lshlrev_b64 v[9:10], 1, v[9:10]
	v_add_co_u32 v9, s0, s18, v9
	s_delay_alu instid0(VALU_DEP_1)
	v_add_co_ci_u32_e64 v10, s0, s19, v10, s0
	global_load_u16 v9, v[9:10], off
.LBB412_13:
	s_or_b32 exec_lo, exec_lo, s1
	s_delay_alu instid0(SALU_CYCLE_1)
	s_mov_b32 s1, exec_lo
	v_cmpx_gt_i32_e64 s15, v2
	s_cbranch_execz .LBB412_15
; %bb.14:
	v_dual_mov_b32 v4, 0 :: v_dual_add_nc_u32 v3, s22, v2
	v_add_nc_u32_e32 v2, 0x100, v2
	s_delay_alu instid0(VALU_DEP_2) | instskip(NEXT) | instid1(VALU_DEP_1)
	v_lshlrev_b64 v[3:4], 1, v[3:4]
	v_add_co_u32 v3, s0, s18, v3
	s_delay_alu instid0(VALU_DEP_1)
	v_add_co_ci_u32_e64 v4, s0, s19, v4, s0
	global_load_u16 v4, v[3:4], off
.LBB412_15:
	s_or_b32 exec_lo, exec_lo, s1
	v_mov_b32_e32 v3, 0
	v_mov_b32_e32 v7, 0
	s_mov_b32 s1, exec_lo
	v_cmpx_gt_i32_e64 s15, v2
	s_cbranch_execz .LBB412_17
; %bb.16:
	v_dual_mov_b32 v14, 0 :: v_dual_add_nc_u32 v13, s22, v2
	v_add_nc_u32_e32 v2, 0x100, v2
	s_delay_alu instid0(VALU_DEP_2) | instskip(NEXT) | instid1(VALU_DEP_1)
	v_lshlrev_b64 v[13:14], 1, v[13:14]
	v_add_co_u32 v13, s0, s18, v13
	s_delay_alu instid0(VALU_DEP_1)
	v_add_co_ci_u32_e64 v14, s0, s19, v14, s0
	global_load_u16 v7, v[13:14], off
.LBB412_17:
	s_or_b32 exec_lo, exec_lo, s1
	s_delay_alu instid0(SALU_CYCLE_1)
	s_mov_b32 s1, exec_lo
	v_cmpx_gt_i32_e64 s15, v2
	s_cbranch_execz .LBB412_19
; %bb.18:
	v_dual_mov_b32 v3, 0 :: v_dual_add_nc_u32 v2, s22, v2
	s_delay_alu instid0(VALU_DEP_1) | instskip(NEXT) | instid1(VALU_DEP_1)
	v_lshlrev_b64 v[2:3], 1, v[2:3]
	v_add_co_u32 v2, s0, s18, v2
	s_delay_alu instid0(VALU_DEP_1)
	v_add_co_ci_u32_e64 v3, s0, s19, v3, s0
	global_load_u16 v3, v[2:3], off
.LBB412_19:
	s_or_b32 exec_lo, exec_lo, s1
	s_lshl_b32 s0, s21, 16
	s_delay_alu instid0(SALU_CYCLE_1)
	v_mov_b32_e32 v10, s0
	s_and_saveexec_b32 s2, vcc_lo
	s_cbranch_execnz .LBB412_29
; %bb.20:
	s_or_b32 exec_lo, exec_lo, s2
	s_delay_alu instid0(SALU_CYCLE_1)
	s_mov_b32 s1, exec_lo
	v_cmpx_gt_i32_e64 s15, v0
	s_cbranch_execnz .LBB412_30
.LBB412_21:
	s_or_b32 exec_lo, exec_lo, s1
	s_delay_alu instid0(SALU_CYCLE_1)
	s_mov_b32 s1, exec_lo
	v_cmpx_gt_i32_e64 s15, v0
	s_cbranch_execnz .LBB412_31
.LBB412_22:
	s_or_b32 exec_lo, exec_lo, s1
	s_delay_alu instid0(SALU_CYCLE_1)
	s_mov_b32 s1, exec_lo
	v_cmpx_gt_i32_e64 s15, v0
	s_cbranch_execnz .LBB412_32
.LBB412_23:
	s_or_b32 exec_lo, exec_lo, s1
	s_delay_alu instid0(SALU_CYCLE_1)
	s_mov_b32 s1, exec_lo
	v_cmpx_gt_i32_e64 s15, v0
	s_cbranch_execnz .LBB412_33
.LBB412_24:
	s_or_b32 exec_lo, exec_lo, s1
	s_delay_alu instid0(SALU_CYCLE_1)
	s_mov_b32 s1, exec_lo
	v_cmpx_gt_i32_e64 s15, v0
	s_cbranch_execnz .LBB412_34
.LBB412_25:
	s_or_b32 exec_lo, exec_lo, s1
	s_delay_alu instid0(SALU_CYCLE_1)
	s_mov_b32 s1, exec_lo
	v_cmpx_gt_i32_e64 s15, v0
	s_cbranch_execnz .LBB412_35
.LBB412_26:
	s_or_b32 exec_lo, exec_lo, s1
	s_delay_alu instid0(SALU_CYCLE_1)
	s_mov_b32 s0, exec_lo
	v_cmpx_gt_i32_e64 s15, v0
	s_cbranch_execz .LBB412_28
.LBB412_27:
	s_waitcnt vmcnt(0)
	v_dual_mov_b32 v1, 0 :: v_dual_lshlrev_b32 v2, 16, v3
	v_add_nc_u32_e32 v0, s22, v0
	s_delay_alu instid0(VALU_DEP_2) | instskip(SKIP_1) | instid1(VALU_DEP_3)
	v_cmp_u_f32_e32 vcc_lo, v2, v2
	v_cmp_gt_f32_e64 s0, v2, v10
	v_lshlrev_b64 v[0:1], 1, v[0:1]
	s_delay_alu instid0(VALU_DEP_2) | instskip(SKIP_1) | instid1(VALU_DEP_2)
	s_or_b32 vcc_lo, vcc_lo, s0
	v_cndmask_b32_e32 v2, s21, v3, vcc_lo
	v_add_co_u32 v0, vcc_lo, s16, v0
	s_delay_alu instid0(VALU_DEP_3)
	v_add_co_ci_u32_e32 v1, vcc_lo, s17, v1, vcc_lo
	global_store_b16 v[0:1], v2, off
.LBB412_28:
	s_nop 0
	s_sendmsg sendmsg(MSG_DEALLOC_VGPRS)
	s_endpgm
.LBB412_29:
	s_waitcnt vmcnt(0)
	v_dual_mov_b32 v2, 0 :: v_dual_lshlrev_b32 v13, 16, v12
	s_delay_alu instid0(VALU_DEP_1) | instskip(NEXT) | instid1(VALU_DEP_2)
	v_lshlrev_b64 v[0:1], 1, v[1:2]
	v_cmp_u_f32_e32 vcc_lo, v13, v13
	v_cmp_lt_f32_e64 s0, v10, v13
	s_delay_alu instid0(VALU_DEP_3) | instskip(NEXT) | instid1(VALU_DEP_2)
	v_add_co_u32 v13, s1, s16, v0
	s_or_b32 vcc_lo, vcc_lo, s0
	s_delay_alu instid0(VALU_DEP_4) | instskip(SKIP_3) | instid1(SALU_CYCLE_1)
	v_add_co_ci_u32_e64 v14, s1, s17, v1, s1
	v_dual_cndmask_b32 v1, s21, v12 :: v_dual_mov_b32 v0, v8
	global_store_b16 v[13:14], v1, off
	s_or_b32 exec_lo, exec_lo, s2
	s_mov_b32 s1, exec_lo
	v_cmpx_gt_i32_e64 s15, v0
	s_cbranch_execz .LBB412_21
.LBB412_30:
	s_waitcnt vmcnt(0)
	v_lshlrev_b32_e32 v8, 16, v6
	v_dual_mov_b32 v2, 0 :: v_dual_add_nc_u32 v1, s22, v0
	v_add_nc_u32_e32 v0, 0x100, v0
	s_delay_alu instid0(VALU_DEP_3) | instskip(SKIP_1) | instid1(VALU_DEP_4)
	v_cmp_u_f32_e32 vcc_lo, v8, v8
	v_cmp_lt_f32_e64 s0, v10, v8
	v_lshlrev_b64 v[1:2], 1, v[1:2]
	s_delay_alu instid0(VALU_DEP_2) | instskip(SKIP_1) | instid1(VALU_DEP_2)
	s_or_b32 vcc_lo, vcc_lo, s0
	v_cndmask_b32_e32 v6, s21, v6, vcc_lo
	v_add_co_u32 v1, vcc_lo, s16, v1
	s_delay_alu instid0(VALU_DEP_3) | instskip(SKIP_2) | instid1(SALU_CYCLE_1)
	v_add_co_ci_u32_e32 v2, vcc_lo, s17, v2, vcc_lo
	global_store_b16 v[1:2], v6, off
	s_or_b32 exec_lo, exec_lo, s1
	s_mov_b32 s1, exec_lo
	v_cmpx_gt_i32_e64 s15, v0
	s_cbranch_execz .LBB412_22
.LBB412_31:
	s_waitcnt vmcnt(0)
	v_lshlrev_b32_e32 v6, 16, v11
	v_dual_mov_b32 v2, 0 :: v_dual_add_nc_u32 v1, s22, v0
	v_add_nc_u32_e32 v0, 0x100, v0
	s_delay_alu instid0(VALU_DEP_3) | instskip(SKIP_1) | instid1(VALU_DEP_4)
	v_cmp_u_f32_e32 vcc_lo, v6, v6
	v_cmp_lt_f32_e64 s0, v10, v6
	v_lshlrev_b64 v[1:2], 1, v[1:2]
	s_delay_alu instid0(VALU_DEP_2) | instskip(SKIP_1) | instid1(VALU_DEP_2)
	s_or_b32 vcc_lo, vcc_lo, s0
	v_cndmask_b32_e32 v6, s21, v11, vcc_lo
	v_add_co_u32 v1, vcc_lo, s16, v1
	s_delay_alu instid0(VALU_DEP_3) | instskip(SKIP_2) | instid1(SALU_CYCLE_1)
	v_add_co_ci_u32_e32 v2, vcc_lo, s17, v2, vcc_lo
	global_store_b16 v[1:2], v6, off
	s_or_b32 exec_lo, exec_lo, s1
	s_mov_b32 s1, exec_lo
	v_cmpx_gt_i32_e64 s15, v0
	s_cbranch_execz .LBB412_23
.LBB412_32:
	s_waitcnt vmcnt(0)
	v_lshlrev_b32_e32 v6, 16, v5
	v_dual_mov_b32 v2, 0 :: v_dual_add_nc_u32 v1, s22, v0
	v_add_nc_u32_e32 v0, 0x100, v0
	s_delay_alu instid0(VALU_DEP_3) | instskip(SKIP_1) | instid1(VALU_DEP_4)
	v_cmp_u_f32_e32 vcc_lo, v6, v6
	v_cmp_lt_f32_e64 s0, v10, v6
	v_lshlrev_b64 v[1:2], 1, v[1:2]
	s_delay_alu instid0(VALU_DEP_2) | instskip(SKIP_1) | instid1(VALU_DEP_2)
	s_or_b32 vcc_lo, vcc_lo, s0
	v_cndmask_b32_e32 v5, s21, v5, vcc_lo
	v_add_co_u32 v1, vcc_lo, s16, v1
	s_delay_alu instid0(VALU_DEP_3) | instskip(SKIP_2) | instid1(SALU_CYCLE_1)
	v_add_co_ci_u32_e32 v2, vcc_lo, s17, v2, vcc_lo
	global_store_b16 v[1:2], v5, off
	s_or_b32 exec_lo, exec_lo, s1
	s_mov_b32 s1, exec_lo
	v_cmpx_gt_i32_e64 s15, v0
	s_cbranch_execz .LBB412_24
.LBB412_33:
	s_waitcnt vmcnt(0)
	v_dual_mov_b32 v2, 0 :: v_dual_lshlrev_b32 v5, 16, v9
	v_add_nc_u32_e32 v1, s22, v0
	v_add_nc_u32_e32 v0, 0x100, v0
	s_delay_alu instid0(VALU_DEP_3) | instskip(SKIP_1) | instid1(VALU_DEP_4)
	v_cmp_u_f32_e32 vcc_lo, v5, v5
	v_cmp_lt_f32_e64 s0, v10, v5
	v_lshlrev_b64 v[1:2], 1, v[1:2]
	s_delay_alu instid0(VALU_DEP_2) | instskip(SKIP_1) | instid1(VALU_DEP_2)
	s_or_b32 vcc_lo, vcc_lo, s0
	v_cndmask_b32_e32 v5, s21, v9, vcc_lo
	v_add_co_u32 v1, vcc_lo, s16, v1
	s_delay_alu instid0(VALU_DEP_3) | instskip(SKIP_2) | instid1(SALU_CYCLE_1)
	v_add_co_ci_u32_e32 v2, vcc_lo, s17, v2, vcc_lo
	global_store_b16 v[1:2], v5, off
	s_or_b32 exec_lo, exec_lo, s1
	s_mov_b32 s1, exec_lo
	v_cmpx_gt_i32_e64 s15, v0
	s_cbranch_execz .LBB412_25
.LBB412_34:
	s_waitcnt vmcnt(0)
	v_dual_mov_b32 v2, 0 :: v_dual_lshlrev_b32 v5, 16, v4
	v_add_nc_u32_e32 v1, s22, v0
	v_add_nc_u32_e32 v0, 0x100, v0
	s_delay_alu instid0(VALU_DEP_3) | instskip(SKIP_1) | instid1(VALU_DEP_4)
	v_cmp_u_f32_e32 vcc_lo, v5, v5
	v_cmp_lt_f32_e64 s0, v10, v5
	v_lshlrev_b64 v[1:2], 1, v[1:2]
	s_delay_alu instid0(VALU_DEP_2) | instskip(SKIP_1) | instid1(VALU_DEP_2)
	s_or_b32 vcc_lo, vcc_lo, s0
	v_cndmask_b32_e32 v4, s21, v4, vcc_lo
	v_add_co_u32 v1, vcc_lo, s16, v1
	s_delay_alu instid0(VALU_DEP_3) | instskip(SKIP_2) | instid1(SALU_CYCLE_1)
	v_add_co_ci_u32_e32 v2, vcc_lo, s17, v2, vcc_lo
	global_store_b16 v[1:2], v4, off
	s_or_b32 exec_lo, exec_lo, s1
	s_mov_b32 s1, exec_lo
	v_cmpx_gt_i32_e64 s15, v0
	s_cbranch_execz .LBB412_26
.LBB412_35:
	s_waitcnt vmcnt(0)
	v_lshlrev_b32_e32 v4, 16, v7
	v_dual_mov_b32 v2, 0 :: v_dual_add_nc_u32 v1, s22, v0
	v_add_nc_u32_e32 v0, 0x100, v0
	s_delay_alu instid0(VALU_DEP_3) | instskip(SKIP_1) | instid1(VALU_DEP_4)
	v_cmp_u_f32_e32 vcc_lo, v4, v4
	v_cmp_lt_f32_e64 s0, v10, v4
	v_lshlrev_b64 v[1:2], 1, v[1:2]
	s_delay_alu instid0(VALU_DEP_2) | instskip(SKIP_1) | instid1(VALU_DEP_2)
	s_or_b32 vcc_lo, vcc_lo, s0
	v_cndmask_b32_e32 v4, s21, v7, vcc_lo
	v_add_co_u32 v1, vcc_lo, s16, v1
	s_delay_alu instid0(VALU_DEP_3) | instskip(SKIP_2) | instid1(SALU_CYCLE_1)
	v_add_co_ci_u32_e32 v2, vcc_lo, s17, v2, vcc_lo
	global_store_b16 v[1:2], v4, off
	s_or_b32 exec_lo, exec_lo, s1
	s_mov_b32 s0, exec_lo
	v_cmpx_gt_i32_e64 s15, v0
	s_cbranch_execnz .LBB412_27
	s_branch .LBB412_28
	.section	.rodata,"a",@progbits
	.p2align	6, 0x0
	.amdhsa_kernel _ZN2at6native29vectorized_elementwise_kernelILi4EZZZNS0_21clamp_min_kernel_cudaERNS_18TensorIteratorBaseERKN3c106ScalarEENKUlvE_clEvENKUlvE7_clEvEUlNS4_8BFloat16EE_St5arrayIPcLm2EEEEviT0_T1_
		.amdhsa_group_segment_fixed_size 0
		.amdhsa_private_segment_fixed_size 0
		.amdhsa_kernarg_size 24
		.amdhsa_user_sgpr_count 15
		.amdhsa_user_sgpr_dispatch_ptr 0
		.amdhsa_user_sgpr_queue_ptr 0
		.amdhsa_user_sgpr_kernarg_segment_ptr 1
		.amdhsa_user_sgpr_dispatch_id 0
		.amdhsa_user_sgpr_private_segment_size 0
		.amdhsa_wavefront_size32 1
		.amdhsa_uses_dynamic_stack 0
		.amdhsa_enable_private_segment 0
		.amdhsa_system_sgpr_workgroup_id_x 1
		.amdhsa_system_sgpr_workgroup_id_y 0
		.amdhsa_system_sgpr_workgroup_id_z 0
		.amdhsa_system_sgpr_workgroup_info 0
		.amdhsa_system_vgpr_workitem_id 0
		.amdhsa_next_free_vgpr 18
		.amdhsa_next_free_sgpr 26
		.amdhsa_reserve_vcc 1
		.amdhsa_float_round_mode_32 0
		.amdhsa_float_round_mode_16_64 0
		.amdhsa_float_denorm_mode_32 3
		.amdhsa_float_denorm_mode_16_64 3
		.amdhsa_dx10_clamp 1
		.amdhsa_ieee_mode 1
		.amdhsa_fp16_overflow 0
		.amdhsa_workgroup_processor_mode 1
		.amdhsa_memory_ordered 1
		.amdhsa_forward_progress 0
		.amdhsa_shared_vgpr_count 0
		.amdhsa_exception_fp_ieee_invalid_op 0
		.amdhsa_exception_fp_denorm_src 0
		.amdhsa_exception_fp_ieee_div_zero 0
		.amdhsa_exception_fp_ieee_overflow 0
		.amdhsa_exception_fp_ieee_underflow 0
		.amdhsa_exception_fp_ieee_inexact 0
		.amdhsa_exception_int_div_zero 0
	.end_amdhsa_kernel
	.section	.text._ZN2at6native29vectorized_elementwise_kernelILi4EZZZNS0_21clamp_min_kernel_cudaERNS_18TensorIteratorBaseERKN3c106ScalarEENKUlvE_clEvENKUlvE7_clEvEUlNS4_8BFloat16EE_St5arrayIPcLm2EEEEviT0_T1_,"axG",@progbits,_ZN2at6native29vectorized_elementwise_kernelILi4EZZZNS0_21clamp_min_kernel_cudaERNS_18TensorIteratorBaseERKN3c106ScalarEENKUlvE_clEvENKUlvE7_clEvEUlNS4_8BFloat16EE_St5arrayIPcLm2EEEEviT0_T1_,comdat
.Lfunc_end412:
	.size	_ZN2at6native29vectorized_elementwise_kernelILi4EZZZNS0_21clamp_min_kernel_cudaERNS_18TensorIteratorBaseERKN3c106ScalarEENKUlvE_clEvENKUlvE7_clEvEUlNS4_8BFloat16EE_St5arrayIPcLm2EEEEviT0_T1_, .Lfunc_end412-_ZN2at6native29vectorized_elementwise_kernelILi4EZZZNS0_21clamp_min_kernel_cudaERNS_18TensorIteratorBaseERKN3c106ScalarEENKUlvE_clEvENKUlvE7_clEvEUlNS4_8BFloat16EE_St5arrayIPcLm2EEEEviT0_T1_
                                        ; -- End function
	.section	.AMDGPU.csdata,"",@progbits
; Kernel info:
; codeLenInByte = 2156
; NumSgprs: 28
; NumVgprs: 18
; ScratchSize: 0
; MemoryBound: 0
; FloatMode: 240
; IeeeMode: 1
; LDSByteSize: 0 bytes/workgroup (compile time only)
; SGPRBlocks: 3
; VGPRBlocks: 2
; NumSGPRsForWavesPerEU: 28
; NumVGPRsForWavesPerEU: 18
; Occupancy: 16
; WaveLimiterHint : 1
; COMPUTE_PGM_RSRC2:SCRATCH_EN: 0
; COMPUTE_PGM_RSRC2:USER_SGPR: 15
; COMPUTE_PGM_RSRC2:TRAP_HANDLER: 0
; COMPUTE_PGM_RSRC2:TGID_X_EN: 1
; COMPUTE_PGM_RSRC2:TGID_Y_EN: 0
; COMPUTE_PGM_RSRC2:TGID_Z_EN: 0
; COMPUTE_PGM_RSRC2:TIDIG_COMP_CNT: 0
	.section	.text._ZN2at6native29vectorized_elementwise_kernelILi2EZZZNS0_21clamp_min_kernel_cudaERNS_18TensorIteratorBaseERKN3c106ScalarEENKUlvE_clEvENKUlvE7_clEvEUlNS4_8BFloat16EE_St5arrayIPcLm2EEEEviT0_T1_,"axG",@progbits,_ZN2at6native29vectorized_elementwise_kernelILi2EZZZNS0_21clamp_min_kernel_cudaERNS_18TensorIteratorBaseERKN3c106ScalarEENKUlvE_clEvENKUlvE7_clEvEUlNS4_8BFloat16EE_St5arrayIPcLm2EEEEviT0_T1_,comdat
	.globl	_ZN2at6native29vectorized_elementwise_kernelILi2EZZZNS0_21clamp_min_kernel_cudaERNS_18TensorIteratorBaseERKN3c106ScalarEENKUlvE_clEvENKUlvE7_clEvEUlNS4_8BFloat16EE_St5arrayIPcLm2EEEEviT0_T1_ ; -- Begin function _ZN2at6native29vectorized_elementwise_kernelILi2EZZZNS0_21clamp_min_kernel_cudaERNS_18TensorIteratorBaseERKN3c106ScalarEENKUlvE_clEvENKUlvE7_clEvEUlNS4_8BFloat16EE_St5arrayIPcLm2EEEEviT0_T1_
	.p2align	8
	.type	_ZN2at6native29vectorized_elementwise_kernelILi2EZZZNS0_21clamp_min_kernel_cudaERNS_18TensorIteratorBaseERKN3c106ScalarEENKUlvE_clEvENKUlvE7_clEvEUlNS4_8BFloat16EE_St5arrayIPcLm2EEEEviT0_T1_,@function
_ZN2at6native29vectorized_elementwise_kernelILi2EZZZNS0_21clamp_min_kernel_cudaERNS_18TensorIteratorBaseERKN3c106ScalarEENKUlvE_clEvENKUlvE7_clEvEUlNS4_8BFloat16EE_St5arrayIPcLm2EEEEviT0_T1_: ; @_ZN2at6native29vectorized_elementwise_kernelILi2EZZZNS0_21clamp_min_kernel_cudaERNS_18TensorIteratorBaseERKN3c106ScalarEENKUlvE_clEvENKUlvE7_clEvEUlNS4_8BFloat16EE_St5arrayIPcLm2EEEEviT0_T1_
; %bb.0:
	s_clause 0x1
	s_load_b64 s[20:21], s[0:1], 0x0
	s_load_b128 s[16:19], s[0:1], 0x8
	s_lshl_b32 s22, s15, 11
	s_mov_b32 s0, -1
	s_waitcnt lgkmcnt(0)
	s_sub_i32 s15, s20, s22
	s_delay_alu instid0(SALU_CYCLE_1)
	s_cmpk_gt_i32 s15, 0x7ff
	s_cbranch_scc0 .LBB413_2
; %bb.1:
	s_ashr_i32 s23, s22, 31
	v_lshlrev_b32_e32 v1, 2, v0
	s_lshl_b64 s[24:25], s[22:23], 1
	s_delay_alu instid0(SALU_CYCLE_1)
	s_add_u32 s0, s18, s24
	s_addc_u32 s1, s19, s25
	s_lshl_b32 s14, s21, 16
	s_clause 0x3
	global_load_b32 v2, v1, s[0:1]
	global_load_b32 v3, v1, s[0:1] offset:1024
	global_load_b32 v4, v1, s[0:1] offset:2048
	;; [unrolled: 1-line block ×3, first 2 shown]
	s_waitcnt vmcnt(3)
	v_lshlrev_b32_e32 v10, 16, v2
	v_and_b32_e32 v11, 0xffff0000, v2
	s_waitcnt vmcnt(2)
	v_lshlrev_b32_e32 v12, 16, v3
	v_and_b32_e32 v13, 0xffff0000, v3
	v_lshrrev_b32_e32 v6, 16, v2
	v_cmp_u_f32_e32 vcc_lo, v10, v10
	v_cmp_lt_f32_e64 s0, s14, v10
	v_cmp_u_f32_e64 s1, v11, v11
	v_cmp_lt_f32_e64 s2, s14, v11
	v_cmp_u_f32_e64 s3, v12, v12
	v_cmp_lt_f32_e64 s4, s14, v12
	s_or_b32 vcc_lo, vcc_lo, s0
	v_cmp_u_f32_e64 s5, v13, v13
	v_cmp_lt_f32_e64 s6, s14, v13
	v_cndmask_b32_e32 v2, s21, v2, vcc_lo
	s_or_b32 vcc_lo, s1, s2
	v_lshrrev_b32_e32 v7, 16, v3
	v_cndmask_b32_e32 v6, s21, v6, vcc_lo
	s_or_b32 vcc_lo, s3, s4
	s_waitcnt vmcnt(1)
	v_and_b32_e32 v15, 0xffff0000, v4
	v_cndmask_b32_e32 v3, s21, v3, vcc_lo
	s_or_b32 vcc_lo, s5, s6
	v_dual_cndmask_b32 v7, s21, v7 :: v_dual_lshlrev_b32 v14, 16, v4
	s_waitcnt vmcnt(0)
	v_lshlrev_b32_e32 v16, 16, v5
	v_and_b32_e32 v17, 0xffff0000, v5
	v_cmp_u_f32_e64 s9, v15, v15
	v_cmp_u_f32_e64 s7, v14, v14
	v_cmp_lt_f32_e64 s8, s14, v14
	v_cmp_lt_f32_e64 s10, s14, v15
	v_lshrrev_b32_e32 v8, 16, v4
	v_cmp_u_f32_e64 s11, v16, v16
	v_cmp_lt_f32_e64 s12, s14, v16
	s_or_b32 vcc_lo, s7, s8
	v_cmp_u_f32_e64 s13, v17, v17
	v_cmp_lt_f32_e64 s14, s14, v17
	v_cndmask_b32_e32 v4, s21, v4, vcc_lo
	s_or_b32 vcc_lo, s9, s10
	v_lshrrev_b32_e32 v9, 16, v5
	v_cndmask_b32_e32 v8, s21, v8, vcc_lo
	s_or_b32 vcc_lo, s11, s12
	v_lshlrev_b32_e32 v7, 16, v7
	v_cndmask_b32_e32 v5, s21, v5, vcc_lo
	s_or_b32 vcc_lo, s13, s14
	v_dual_cndmask_b32 v9, s21, v9 :: v_dual_lshlrev_b32 v6, 16, v6
	v_and_b32_e32 v2, 0xffff, v2
	v_and_b32_e32 v3, 0xffff, v3
	v_lshlrev_b32_e32 v8, 16, v8
	v_and_b32_e32 v5, 0xffff, v5
	v_lshlrev_b32_e32 v9, 16, v9
	v_and_b32_e32 v4, 0xffff, v4
	v_or_b32_e32 v2, v6, v2
	v_or_b32_e32 v3, v7, v3
	s_add_u32 s2, s16, s24
	s_addc_u32 s3, s17, s25
	v_or_b32_e32 v4, v8, v4
	v_or_b32_e32 v5, v9, v5
	s_mov_b32 s0, 0
	s_clause 0x3
	global_store_b32 v1, v2, s[2:3]
	global_store_b32 v1, v3, s[2:3] offset:1024
	global_store_b32 v1, v4, s[2:3] offset:2048
	;; [unrolled: 1-line block ×3, first 2 shown]
.LBB413_2:
	s_and_not1_b32 vcc_lo, exec_lo, s0
	s_cbranch_vccnz .LBB413_28
; %bb.3:
	v_cmp_gt_i32_e32 vcc_lo, s15, v0
	v_mov_b32_e32 v6, 0
	v_or_b32_e32 v1, s22, v0
	v_or_b32_e32 v8, 0x100, v0
	v_mov_b32_e32 v12, 0
	v_mov_b32_e32 v2, v0
	s_and_saveexec_b32 s1, vcc_lo
	s_cbranch_execz .LBB413_5
; %bb.4:
	v_mov_b32_e32 v2, 0
	s_delay_alu instid0(VALU_DEP_1) | instskip(NEXT) | instid1(VALU_DEP_1)
	v_lshlrev_b64 v[2:3], 1, v[1:2]
	v_add_co_u32 v2, s0, s18, v2
	s_delay_alu instid0(VALU_DEP_1)
	v_add_co_ci_u32_e64 v3, s0, s19, v3, s0
	global_load_u16 v12, v[2:3], off
	v_or_b32_e32 v2, 0x100, v0
.LBB413_5:
	s_or_b32 exec_lo, exec_lo, s1
	s_delay_alu instid0(SALU_CYCLE_1) | instskip(NEXT) | instid1(VALU_DEP_1)
	s_mov_b32 s1, exec_lo
	v_cmpx_gt_i32_e64 s15, v2
	s_cbranch_execz .LBB413_7
; %bb.6:
	v_dual_mov_b32 v4, 0 :: v_dual_add_nc_u32 v3, s22, v2
	v_add_nc_u32_e32 v2, 0x100, v2
	s_delay_alu instid0(VALU_DEP_2) | instskip(NEXT) | instid1(VALU_DEP_1)
	v_lshlrev_b64 v[3:4], 1, v[3:4]
	v_add_co_u32 v3, s0, s18, v3
	s_delay_alu instid0(VALU_DEP_1)
	v_add_co_ci_u32_e64 v4, s0, s19, v4, s0
	global_load_u16 v6, v[3:4], off
.LBB413_7:
	s_or_b32 exec_lo, exec_lo, s1
	v_mov_b32_e32 v5, 0
	v_mov_b32_e32 v11, 0
	s_mov_b32 s1, exec_lo
	v_cmpx_gt_i32_e64 s15, v2
	s_cbranch_execz .LBB413_9
; %bb.8:
	v_dual_mov_b32 v4, 0 :: v_dual_add_nc_u32 v3, s22, v2
	v_add_nc_u32_e32 v2, 0x100, v2
	s_delay_alu instid0(VALU_DEP_2) | instskip(NEXT) | instid1(VALU_DEP_1)
	v_lshlrev_b64 v[3:4], 1, v[3:4]
	v_add_co_u32 v3, s0, s18, v3
	s_delay_alu instid0(VALU_DEP_1)
	v_add_co_ci_u32_e64 v4, s0, s19, v4, s0
	global_load_u16 v11, v[3:4], off
.LBB413_9:
	s_or_b32 exec_lo, exec_lo, s1
	s_delay_alu instid0(SALU_CYCLE_1)
	s_mov_b32 s1, exec_lo
	v_cmpx_gt_i32_e64 s15, v2
	s_cbranch_execz .LBB413_11
; %bb.10:
	v_dual_mov_b32 v4, 0 :: v_dual_add_nc_u32 v3, s22, v2
	v_add_nc_u32_e32 v2, 0x100, v2
	s_delay_alu instid0(VALU_DEP_2) | instskip(NEXT) | instid1(VALU_DEP_1)
	v_lshlrev_b64 v[3:4], 1, v[3:4]
	v_add_co_u32 v3, s0, s18, v3
	s_delay_alu instid0(VALU_DEP_1)
	v_add_co_ci_u32_e64 v4, s0, s19, v4, s0
	global_load_u16 v5, v[3:4], off
.LBB413_11:
	s_or_b32 exec_lo, exec_lo, s1
	v_dual_mov_b32 v4, 0 :: v_dual_mov_b32 v9, 0
	s_mov_b32 s1, exec_lo
	v_cmpx_gt_i32_e64 s15, v2
	s_cbranch_execz .LBB413_13
; %bb.12:
	v_dual_mov_b32 v10, 0 :: v_dual_add_nc_u32 v9, s22, v2
	v_add_nc_u32_e32 v2, 0x100, v2
	s_delay_alu instid0(VALU_DEP_2) | instskip(NEXT) | instid1(VALU_DEP_1)
	v_lshlrev_b64 v[9:10], 1, v[9:10]
	v_add_co_u32 v9, s0, s18, v9
	s_delay_alu instid0(VALU_DEP_1)
	v_add_co_ci_u32_e64 v10, s0, s19, v10, s0
	global_load_u16 v9, v[9:10], off
.LBB413_13:
	s_or_b32 exec_lo, exec_lo, s1
	s_delay_alu instid0(SALU_CYCLE_1)
	s_mov_b32 s1, exec_lo
	v_cmpx_gt_i32_e64 s15, v2
	s_cbranch_execz .LBB413_15
; %bb.14:
	v_dual_mov_b32 v4, 0 :: v_dual_add_nc_u32 v3, s22, v2
	v_add_nc_u32_e32 v2, 0x100, v2
	s_delay_alu instid0(VALU_DEP_2) | instskip(NEXT) | instid1(VALU_DEP_1)
	v_lshlrev_b64 v[3:4], 1, v[3:4]
	v_add_co_u32 v3, s0, s18, v3
	s_delay_alu instid0(VALU_DEP_1)
	v_add_co_ci_u32_e64 v4, s0, s19, v4, s0
	global_load_u16 v4, v[3:4], off
.LBB413_15:
	s_or_b32 exec_lo, exec_lo, s1
	v_mov_b32_e32 v3, 0
	v_mov_b32_e32 v7, 0
	s_mov_b32 s1, exec_lo
	v_cmpx_gt_i32_e64 s15, v2
	s_cbranch_execz .LBB413_17
; %bb.16:
	v_dual_mov_b32 v14, 0 :: v_dual_add_nc_u32 v13, s22, v2
	v_add_nc_u32_e32 v2, 0x100, v2
	s_delay_alu instid0(VALU_DEP_2) | instskip(NEXT) | instid1(VALU_DEP_1)
	v_lshlrev_b64 v[13:14], 1, v[13:14]
	v_add_co_u32 v13, s0, s18, v13
	s_delay_alu instid0(VALU_DEP_1)
	v_add_co_ci_u32_e64 v14, s0, s19, v14, s0
	global_load_u16 v7, v[13:14], off
.LBB413_17:
	s_or_b32 exec_lo, exec_lo, s1
	s_delay_alu instid0(SALU_CYCLE_1)
	s_mov_b32 s1, exec_lo
	v_cmpx_gt_i32_e64 s15, v2
	s_cbranch_execz .LBB413_19
; %bb.18:
	v_dual_mov_b32 v3, 0 :: v_dual_add_nc_u32 v2, s22, v2
	s_delay_alu instid0(VALU_DEP_1) | instskip(NEXT) | instid1(VALU_DEP_1)
	v_lshlrev_b64 v[2:3], 1, v[2:3]
	v_add_co_u32 v2, s0, s18, v2
	s_delay_alu instid0(VALU_DEP_1)
	v_add_co_ci_u32_e64 v3, s0, s19, v3, s0
	global_load_u16 v3, v[2:3], off
.LBB413_19:
	s_or_b32 exec_lo, exec_lo, s1
	s_lshl_b32 s0, s21, 16
	s_delay_alu instid0(SALU_CYCLE_1)
	v_mov_b32_e32 v10, s0
	s_and_saveexec_b32 s2, vcc_lo
	s_cbranch_execnz .LBB413_29
; %bb.20:
	s_or_b32 exec_lo, exec_lo, s2
	s_delay_alu instid0(SALU_CYCLE_1)
	s_mov_b32 s1, exec_lo
	v_cmpx_gt_i32_e64 s15, v0
	s_cbranch_execnz .LBB413_30
.LBB413_21:
	s_or_b32 exec_lo, exec_lo, s1
	s_delay_alu instid0(SALU_CYCLE_1)
	s_mov_b32 s1, exec_lo
	v_cmpx_gt_i32_e64 s15, v0
	s_cbranch_execnz .LBB413_31
.LBB413_22:
	s_or_b32 exec_lo, exec_lo, s1
	s_delay_alu instid0(SALU_CYCLE_1)
	s_mov_b32 s1, exec_lo
	v_cmpx_gt_i32_e64 s15, v0
	s_cbranch_execnz .LBB413_32
.LBB413_23:
	s_or_b32 exec_lo, exec_lo, s1
	s_delay_alu instid0(SALU_CYCLE_1)
	s_mov_b32 s1, exec_lo
	v_cmpx_gt_i32_e64 s15, v0
	s_cbranch_execnz .LBB413_33
.LBB413_24:
	s_or_b32 exec_lo, exec_lo, s1
	s_delay_alu instid0(SALU_CYCLE_1)
	s_mov_b32 s1, exec_lo
	v_cmpx_gt_i32_e64 s15, v0
	s_cbranch_execnz .LBB413_34
.LBB413_25:
	s_or_b32 exec_lo, exec_lo, s1
	s_delay_alu instid0(SALU_CYCLE_1)
	s_mov_b32 s1, exec_lo
	v_cmpx_gt_i32_e64 s15, v0
	s_cbranch_execnz .LBB413_35
.LBB413_26:
	s_or_b32 exec_lo, exec_lo, s1
	s_delay_alu instid0(SALU_CYCLE_1)
	s_mov_b32 s0, exec_lo
	v_cmpx_gt_i32_e64 s15, v0
	s_cbranch_execz .LBB413_28
.LBB413_27:
	s_waitcnt vmcnt(0)
	v_dual_mov_b32 v1, 0 :: v_dual_lshlrev_b32 v2, 16, v3
	v_add_nc_u32_e32 v0, s22, v0
	s_delay_alu instid0(VALU_DEP_2) | instskip(SKIP_1) | instid1(VALU_DEP_3)
	v_cmp_u_f32_e32 vcc_lo, v2, v2
	v_cmp_gt_f32_e64 s0, v2, v10
	v_lshlrev_b64 v[0:1], 1, v[0:1]
	s_delay_alu instid0(VALU_DEP_2) | instskip(SKIP_1) | instid1(VALU_DEP_2)
	s_or_b32 vcc_lo, vcc_lo, s0
	v_cndmask_b32_e32 v2, s21, v3, vcc_lo
	v_add_co_u32 v0, vcc_lo, s16, v0
	s_delay_alu instid0(VALU_DEP_3)
	v_add_co_ci_u32_e32 v1, vcc_lo, s17, v1, vcc_lo
	global_store_b16 v[0:1], v2, off
.LBB413_28:
	s_nop 0
	s_sendmsg sendmsg(MSG_DEALLOC_VGPRS)
	s_endpgm
.LBB413_29:
	s_waitcnt vmcnt(0)
	v_dual_mov_b32 v2, 0 :: v_dual_lshlrev_b32 v13, 16, v12
	s_delay_alu instid0(VALU_DEP_1) | instskip(NEXT) | instid1(VALU_DEP_2)
	v_lshlrev_b64 v[0:1], 1, v[1:2]
	v_cmp_u_f32_e32 vcc_lo, v13, v13
	v_cmp_lt_f32_e64 s0, v10, v13
	s_delay_alu instid0(VALU_DEP_3) | instskip(NEXT) | instid1(VALU_DEP_2)
	v_add_co_u32 v13, s1, s16, v0
	s_or_b32 vcc_lo, vcc_lo, s0
	s_delay_alu instid0(VALU_DEP_4) | instskip(SKIP_3) | instid1(SALU_CYCLE_1)
	v_add_co_ci_u32_e64 v14, s1, s17, v1, s1
	v_dual_cndmask_b32 v1, s21, v12 :: v_dual_mov_b32 v0, v8
	global_store_b16 v[13:14], v1, off
	s_or_b32 exec_lo, exec_lo, s2
	s_mov_b32 s1, exec_lo
	v_cmpx_gt_i32_e64 s15, v0
	s_cbranch_execz .LBB413_21
.LBB413_30:
	s_waitcnt vmcnt(0)
	v_lshlrev_b32_e32 v8, 16, v6
	v_dual_mov_b32 v2, 0 :: v_dual_add_nc_u32 v1, s22, v0
	v_add_nc_u32_e32 v0, 0x100, v0
	s_delay_alu instid0(VALU_DEP_3) | instskip(SKIP_1) | instid1(VALU_DEP_4)
	v_cmp_u_f32_e32 vcc_lo, v8, v8
	v_cmp_lt_f32_e64 s0, v10, v8
	v_lshlrev_b64 v[1:2], 1, v[1:2]
	s_delay_alu instid0(VALU_DEP_2) | instskip(SKIP_1) | instid1(VALU_DEP_2)
	s_or_b32 vcc_lo, vcc_lo, s0
	v_cndmask_b32_e32 v6, s21, v6, vcc_lo
	v_add_co_u32 v1, vcc_lo, s16, v1
	s_delay_alu instid0(VALU_DEP_3) | instskip(SKIP_2) | instid1(SALU_CYCLE_1)
	v_add_co_ci_u32_e32 v2, vcc_lo, s17, v2, vcc_lo
	global_store_b16 v[1:2], v6, off
	s_or_b32 exec_lo, exec_lo, s1
	s_mov_b32 s1, exec_lo
	v_cmpx_gt_i32_e64 s15, v0
	s_cbranch_execz .LBB413_22
.LBB413_31:
	s_waitcnt vmcnt(0)
	v_lshlrev_b32_e32 v6, 16, v11
	v_dual_mov_b32 v2, 0 :: v_dual_add_nc_u32 v1, s22, v0
	v_add_nc_u32_e32 v0, 0x100, v0
	s_delay_alu instid0(VALU_DEP_3) | instskip(SKIP_1) | instid1(VALU_DEP_4)
	v_cmp_u_f32_e32 vcc_lo, v6, v6
	v_cmp_lt_f32_e64 s0, v10, v6
	v_lshlrev_b64 v[1:2], 1, v[1:2]
	s_delay_alu instid0(VALU_DEP_2) | instskip(SKIP_1) | instid1(VALU_DEP_2)
	s_or_b32 vcc_lo, vcc_lo, s0
	v_cndmask_b32_e32 v6, s21, v11, vcc_lo
	v_add_co_u32 v1, vcc_lo, s16, v1
	s_delay_alu instid0(VALU_DEP_3) | instskip(SKIP_2) | instid1(SALU_CYCLE_1)
	v_add_co_ci_u32_e32 v2, vcc_lo, s17, v2, vcc_lo
	global_store_b16 v[1:2], v6, off
	s_or_b32 exec_lo, exec_lo, s1
	s_mov_b32 s1, exec_lo
	v_cmpx_gt_i32_e64 s15, v0
	s_cbranch_execz .LBB413_23
.LBB413_32:
	s_waitcnt vmcnt(0)
	v_lshlrev_b32_e32 v6, 16, v5
	v_dual_mov_b32 v2, 0 :: v_dual_add_nc_u32 v1, s22, v0
	v_add_nc_u32_e32 v0, 0x100, v0
	s_delay_alu instid0(VALU_DEP_3) | instskip(SKIP_1) | instid1(VALU_DEP_4)
	v_cmp_u_f32_e32 vcc_lo, v6, v6
	v_cmp_lt_f32_e64 s0, v10, v6
	v_lshlrev_b64 v[1:2], 1, v[1:2]
	s_delay_alu instid0(VALU_DEP_2) | instskip(SKIP_1) | instid1(VALU_DEP_2)
	s_or_b32 vcc_lo, vcc_lo, s0
	v_cndmask_b32_e32 v5, s21, v5, vcc_lo
	v_add_co_u32 v1, vcc_lo, s16, v1
	s_delay_alu instid0(VALU_DEP_3) | instskip(SKIP_2) | instid1(SALU_CYCLE_1)
	v_add_co_ci_u32_e32 v2, vcc_lo, s17, v2, vcc_lo
	global_store_b16 v[1:2], v5, off
	s_or_b32 exec_lo, exec_lo, s1
	s_mov_b32 s1, exec_lo
	v_cmpx_gt_i32_e64 s15, v0
	s_cbranch_execz .LBB413_24
.LBB413_33:
	s_waitcnt vmcnt(0)
	v_dual_mov_b32 v2, 0 :: v_dual_lshlrev_b32 v5, 16, v9
	v_add_nc_u32_e32 v1, s22, v0
	v_add_nc_u32_e32 v0, 0x100, v0
	s_delay_alu instid0(VALU_DEP_3) | instskip(SKIP_1) | instid1(VALU_DEP_4)
	v_cmp_u_f32_e32 vcc_lo, v5, v5
	v_cmp_lt_f32_e64 s0, v10, v5
	v_lshlrev_b64 v[1:2], 1, v[1:2]
	s_delay_alu instid0(VALU_DEP_2) | instskip(SKIP_1) | instid1(VALU_DEP_2)
	s_or_b32 vcc_lo, vcc_lo, s0
	v_cndmask_b32_e32 v5, s21, v9, vcc_lo
	v_add_co_u32 v1, vcc_lo, s16, v1
	s_delay_alu instid0(VALU_DEP_3) | instskip(SKIP_2) | instid1(SALU_CYCLE_1)
	v_add_co_ci_u32_e32 v2, vcc_lo, s17, v2, vcc_lo
	global_store_b16 v[1:2], v5, off
	s_or_b32 exec_lo, exec_lo, s1
	s_mov_b32 s1, exec_lo
	v_cmpx_gt_i32_e64 s15, v0
	s_cbranch_execz .LBB413_25
.LBB413_34:
	s_waitcnt vmcnt(0)
	v_dual_mov_b32 v2, 0 :: v_dual_lshlrev_b32 v5, 16, v4
	v_add_nc_u32_e32 v1, s22, v0
	v_add_nc_u32_e32 v0, 0x100, v0
	s_delay_alu instid0(VALU_DEP_3) | instskip(SKIP_1) | instid1(VALU_DEP_4)
	v_cmp_u_f32_e32 vcc_lo, v5, v5
	v_cmp_lt_f32_e64 s0, v10, v5
	v_lshlrev_b64 v[1:2], 1, v[1:2]
	s_delay_alu instid0(VALU_DEP_2) | instskip(SKIP_1) | instid1(VALU_DEP_2)
	s_or_b32 vcc_lo, vcc_lo, s0
	v_cndmask_b32_e32 v4, s21, v4, vcc_lo
	v_add_co_u32 v1, vcc_lo, s16, v1
	s_delay_alu instid0(VALU_DEP_3) | instskip(SKIP_2) | instid1(SALU_CYCLE_1)
	v_add_co_ci_u32_e32 v2, vcc_lo, s17, v2, vcc_lo
	global_store_b16 v[1:2], v4, off
	s_or_b32 exec_lo, exec_lo, s1
	s_mov_b32 s1, exec_lo
	v_cmpx_gt_i32_e64 s15, v0
	s_cbranch_execz .LBB413_26
.LBB413_35:
	s_waitcnt vmcnt(0)
	v_lshlrev_b32_e32 v4, 16, v7
	v_dual_mov_b32 v2, 0 :: v_dual_add_nc_u32 v1, s22, v0
	v_add_nc_u32_e32 v0, 0x100, v0
	s_delay_alu instid0(VALU_DEP_3) | instskip(SKIP_1) | instid1(VALU_DEP_4)
	v_cmp_u_f32_e32 vcc_lo, v4, v4
	v_cmp_lt_f32_e64 s0, v10, v4
	v_lshlrev_b64 v[1:2], 1, v[1:2]
	s_delay_alu instid0(VALU_DEP_2) | instskip(SKIP_1) | instid1(VALU_DEP_2)
	s_or_b32 vcc_lo, vcc_lo, s0
	v_cndmask_b32_e32 v4, s21, v7, vcc_lo
	v_add_co_u32 v1, vcc_lo, s16, v1
	s_delay_alu instid0(VALU_DEP_3) | instskip(SKIP_2) | instid1(SALU_CYCLE_1)
	v_add_co_ci_u32_e32 v2, vcc_lo, s17, v2, vcc_lo
	global_store_b16 v[1:2], v4, off
	s_or_b32 exec_lo, exec_lo, s1
	s_mov_b32 s0, exec_lo
	v_cmpx_gt_i32_e64 s15, v0
	s_cbranch_execnz .LBB413_27
	s_branch .LBB413_28
	.section	.rodata,"a",@progbits
	.p2align	6, 0x0
	.amdhsa_kernel _ZN2at6native29vectorized_elementwise_kernelILi2EZZZNS0_21clamp_min_kernel_cudaERNS_18TensorIteratorBaseERKN3c106ScalarEENKUlvE_clEvENKUlvE7_clEvEUlNS4_8BFloat16EE_St5arrayIPcLm2EEEEviT0_T1_
		.amdhsa_group_segment_fixed_size 0
		.amdhsa_private_segment_fixed_size 0
		.amdhsa_kernarg_size 24
		.amdhsa_user_sgpr_count 15
		.amdhsa_user_sgpr_dispatch_ptr 0
		.amdhsa_user_sgpr_queue_ptr 0
		.amdhsa_user_sgpr_kernarg_segment_ptr 1
		.amdhsa_user_sgpr_dispatch_id 0
		.amdhsa_user_sgpr_private_segment_size 0
		.amdhsa_wavefront_size32 1
		.amdhsa_uses_dynamic_stack 0
		.amdhsa_enable_private_segment 0
		.amdhsa_system_sgpr_workgroup_id_x 1
		.amdhsa_system_sgpr_workgroup_id_y 0
		.amdhsa_system_sgpr_workgroup_id_z 0
		.amdhsa_system_sgpr_workgroup_info 0
		.amdhsa_system_vgpr_workitem_id 0
		.amdhsa_next_free_vgpr 18
		.amdhsa_next_free_sgpr 26
		.amdhsa_reserve_vcc 1
		.amdhsa_float_round_mode_32 0
		.amdhsa_float_round_mode_16_64 0
		.amdhsa_float_denorm_mode_32 3
		.amdhsa_float_denorm_mode_16_64 3
		.amdhsa_dx10_clamp 1
		.amdhsa_ieee_mode 1
		.amdhsa_fp16_overflow 0
		.amdhsa_workgroup_processor_mode 1
		.amdhsa_memory_ordered 1
		.amdhsa_forward_progress 0
		.amdhsa_shared_vgpr_count 0
		.amdhsa_exception_fp_ieee_invalid_op 0
		.amdhsa_exception_fp_denorm_src 0
		.amdhsa_exception_fp_ieee_div_zero 0
		.amdhsa_exception_fp_ieee_overflow 0
		.amdhsa_exception_fp_ieee_underflow 0
		.amdhsa_exception_fp_ieee_inexact 0
		.amdhsa_exception_int_div_zero 0
	.end_amdhsa_kernel
	.section	.text._ZN2at6native29vectorized_elementwise_kernelILi2EZZZNS0_21clamp_min_kernel_cudaERNS_18TensorIteratorBaseERKN3c106ScalarEENKUlvE_clEvENKUlvE7_clEvEUlNS4_8BFloat16EE_St5arrayIPcLm2EEEEviT0_T1_,"axG",@progbits,_ZN2at6native29vectorized_elementwise_kernelILi2EZZZNS0_21clamp_min_kernel_cudaERNS_18TensorIteratorBaseERKN3c106ScalarEENKUlvE_clEvENKUlvE7_clEvEUlNS4_8BFloat16EE_St5arrayIPcLm2EEEEviT0_T1_,comdat
.Lfunc_end413:
	.size	_ZN2at6native29vectorized_elementwise_kernelILi2EZZZNS0_21clamp_min_kernel_cudaERNS_18TensorIteratorBaseERKN3c106ScalarEENKUlvE_clEvENKUlvE7_clEvEUlNS4_8BFloat16EE_St5arrayIPcLm2EEEEviT0_T1_, .Lfunc_end413-_ZN2at6native29vectorized_elementwise_kernelILi2EZZZNS0_21clamp_min_kernel_cudaERNS_18TensorIteratorBaseERKN3c106ScalarEENKUlvE_clEvENKUlvE7_clEvEUlNS4_8BFloat16EE_St5arrayIPcLm2EEEEviT0_T1_
                                        ; -- End function
	.section	.AMDGPU.csdata,"",@progbits
; Kernel info:
; codeLenInByte = 2160
; NumSgprs: 28
; NumVgprs: 18
; ScratchSize: 0
; MemoryBound: 0
; FloatMode: 240
; IeeeMode: 1
; LDSByteSize: 0 bytes/workgroup (compile time only)
; SGPRBlocks: 3
; VGPRBlocks: 2
; NumSGPRsForWavesPerEU: 28
; NumVGPRsForWavesPerEU: 18
; Occupancy: 16
; WaveLimiterHint : 1
; COMPUTE_PGM_RSRC2:SCRATCH_EN: 0
; COMPUTE_PGM_RSRC2:USER_SGPR: 15
; COMPUTE_PGM_RSRC2:TRAP_HANDLER: 0
; COMPUTE_PGM_RSRC2:TGID_X_EN: 1
; COMPUTE_PGM_RSRC2:TGID_Y_EN: 0
; COMPUTE_PGM_RSRC2:TGID_Z_EN: 0
; COMPUTE_PGM_RSRC2:TIDIG_COMP_CNT: 0
	.section	.text._ZN2at6native27unrolled_elementwise_kernelIZZZNS0_21clamp_min_kernel_cudaERNS_18TensorIteratorBaseERKN3c106ScalarEENKUlvE_clEvENKUlvE7_clEvEUlNS4_8BFloat16EE_St5arrayIPcLm2EELi4E23TrivialOffsetCalculatorILi1EjESG_NS0_6memory15LoadWithoutCastENSH_16StoreWithoutCastEEEviT_T0_T2_T3_T4_T5_,"axG",@progbits,_ZN2at6native27unrolled_elementwise_kernelIZZZNS0_21clamp_min_kernel_cudaERNS_18TensorIteratorBaseERKN3c106ScalarEENKUlvE_clEvENKUlvE7_clEvEUlNS4_8BFloat16EE_St5arrayIPcLm2EELi4E23TrivialOffsetCalculatorILi1EjESG_NS0_6memory15LoadWithoutCastENSH_16StoreWithoutCastEEEviT_T0_T2_T3_T4_T5_,comdat
	.globl	_ZN2at6native27unrolled_elementwise_kernelIZZZNS0_21clamp_min_kernel_cudaERNS_18TensorIteratorBaseERKN3c106ScalarEENKUlvE_clEvENKUlvE7_clEvEUlNS4_8BFloat16EE_St5arrayIPcLm2EELi4E23TrivialOffsetCalculatorILi1EjESG_NS0_6memory15LoadWithoutCastENSH_16StoreWithoutCastEEEviT_T0_T2_T3_T4_T5_ ; -- Begin function _ZN2at6native27unrolled_elementwise_kernelIZZZNS0_21clamp_min_kernel_cudaERNS_18TensorIteratorBaseERKN3c106ScalarEENKUlvE_clEvENKUlvE7_clEvEUlNS4_8BFloat16EE_St5arrayIPcLm2EELi4E23TrivialOffsetCalculatorILi1EjESG_NS0_6memory15LoadWithoutCastENSH_16StoreWithoutCastEEEviT_T0_T2_T3_T4_T5_
	.p2align	8
	.type	_ZN2at6native27unrolled_elementwise_kernelIZZZNS0_21clamp_min_kernel_cudaERNS_18TensorIteratorBaseERKN3c106ScalarEENKUlvE_clEvENKUlvE7_clEvEUlNS4_8BFloat16EE_St5arrayIPcLm2EELi4E23TrivialOffsetCalculatorILi1EjESG_NS0_6memory15LoadWithoutCastENSH_16StoreWithoutCastEEEviT_T0_T2_T3_T4_T5_,@function
_ZN2at6native27unrolled_elementwise_kernelIZZZNS0_21clamp_min_kernel_cudaERNS_18TensorIteratorBaseERKN3c106ScalarEENKUlvE_clEvENKUlvE7_clEvEUlNS4_8BFloat16EE_St5arrayIPcLm2EELi4E23TrivialOffsetCalculatorILi1EjESG_NS0_6memory15LoadWithoutCastENSH_16StoreWithoutCastEEEviT_T0_T2_T3_T4_T5_: ; @_ZN2at6native27unrolled_elementwise_kernelIZZZNS0_21clamp_min_kernel_cudaERNS_18TensorIteratorBaseERKN3c106ScalarEENKUlvE_clEvENKUlvE7_clEvEUlNS4_8BFloat16EE_St5arrayIPcLm2EELi4E23TrivialOffsetCalculatorILi1EjESG_NS0_6memory15LoadWithoutCastENSH_16StoreWithoutCastEEEviT_T0_T2_T3_T4_T5_
; %bb.0:
	s_clause 0x1
	s_load_b64 s[2:3], s[0:1], 0x0
	s_load_b128 s[4:7], s[0:1], 0x8
	s_lshl_b32 s8, s15, 10
	v_dual_mov_b32 v4, 0 :: v_dual_mov_b32 v7, 0
	v_or_b32_e32 v1, s8, v0
	v_or_b32_e32 v5, 0x100, v0
	v_mov_b32_e32 v2, v0
	s_waitcnt lgkmcnt(0)
	s_sub_i32 s2, s2, s8
	s_delay_alu instid0(SALU_CYCLE_1)
	v_cmp_gt_i32_e32 vcc_lo, s2, v0
	s_and_saveexec_b32 s1, vcc_lo
	s_cbranch_execz .LBB414_2
; %bb.1:
	v_mov_b32_e32 v2, 0
	s_delay_alu instid0(VALU_DEP_1) | instskip(NEXT) | instid1(VALU_DEP_1)
	v_lshlrev_b64 v[2:3], 1, v[1:2]
	v_add_co_u32 v2, s0, s6, v2
	s_delay_alu instid0(VALU_DEP_1)
	v_add_co_ci_u32_e64 v3, s0, s7, v3, s0
	global_load_u16 v7, v[2:3], off
	v_or_b32_e32 v2, 0x100, v0
.LBB414_2:
	s_or_b32 exec_lo, exec_lo, s1
	s_delay_alu instid0(SALU_CYCLE_1) | instskip(NEXT) | instid1(VALU_DEP_1)
	s_mov_b32 s1, exec_lo
	v_cmpx_gt_i32_e64 s2, v2
	s_cbranch_execz .LBB414_4
; %bb.3:
	v_dual_mov_b32 v4, 0 :: v_dual_add_nc_u32 v3, s8, v2
	v_add_nc_u32_e32 v2, 0x100, v2
	s_delay_alu instid0(VALU_DEP_2) | instskip(NEXT) | instid1(VALU_DEP_1)
	v_lshlrev_b64 v[3:4], 1, v[3:4]
	v_add_co_u32 v3, s0, s6, v3
	s_delay_alu instid0(VALU_DEP_1)
	v_add_co_ci_u32_e64 v4, s0, s7, v4, s0
	global_load_u16 v4, v[3:4], off
.LBB414_4:
	s_or_b32 exec_lo, exec_lo, s1
	v_dual_mov_b32 v3, 0 :: v_dual_mov_b32 v6, 0
	s_mov_b32 s1, exec_lo
	v_cmpx_gt_i32_e64 s2, v2
	s_cbranch_execz .LBB414_6
; %bb.5:
	v_dual_mov_b32 v9, 0 :: v_dual_add_nc_u32 v8, s8, v2
	v_add_nc_u32_e32 v2, 0x100, v2
	s_delay_alu instid0(VALU_DEP_2) | instskip(NEXT) | instid1(VALU_DEP_1)
	v_lshlrev_b64 v[8:9], 1, v[8:9]
	v_add_co_u32 v8, s0, s6, v8
	s_delay_alu instid0(VALU_DEP_1)
	v_add_co_ci_u32_e64 v9, s0, s7, v9, s0
	global_load_u16 v6, v[8:9], off
.LBB414_6:
	s_or_b32 exec_lo, exec_lo, s1
	s_delay_alu instid0(SALU_CYCLE_1)
	s_mov_b32 s1, exec_lo
	v_cmpx_gt_i32_e64 s2, v2
	s_cbranch_execz .LBB414_8
; %bb.7:
	v_dual_mov_b32 v3, 0 :: v_dual_add_nc_u32 v2, s8, v2
	s_delay_alu instid0(VALU_DEP_1) | instskip(NEXT) | instid1(VALU_DEP_1)
	v_lshlrev_b64 v[2:3], 1, v[2:3]
	v_add_co_u32 v2, s0, s6, v2
	s_delay_alu instid0(VALU_DEP_1)
	v_add_co_ci_u32_e64 v3, s0, s7, v3, s0
	global_load_u16 v3, v[2:3], off
.LBB414_8:
	s_or_b32 exec_lo, exec_lo, s1
	s_lshl_b32 s0, s3, 16
	s_delay_alu instid0(SALU_CYCLE_1)
	v_mov_b32_e32 v8, s0
	s_and_saveexec_b32 s6, vcc_lo
	s_cbranch_execnz .LBB414_13
; %bb.9:
	s_or_b32 exec_lo, exec_lo, s6
	s_delay_alu instid0(SALU_CYCLE_1)
	s_mov_b32 s1, exec_lo
	v_cmpx_gt_i32_e64 s2, v0
	s_cbranch_execnz .LBB414_14
.LBB414_10:
	s_or_b32 exec_lo, exec_lo, s1
	s_delay_alu instid0(SALU_CYCLE_1)
	s_mov_b32 s1, exec_lo
	v_cmpx_gt_i32_e64 s2, v0
	s_cbranch_execnz .LBB414_15
.LBB414_11:
	s_or_b32 exec_lo, exec_lo, s1
	s_delay_alu instid0(SALU_CYCLE_1)
	s_mov_b32 s0, exec_lo
	v_cmpx_gt_i32_e64 s2, v0
	s_cbranch_execnz .LBB414_16
.LBB414_12:
	s_nop 0
	s_sendmsg sendmsg(MSG_DEALLOC_VGPRS)
	s_endpgm
.LBB414_13:
	s_waitcnt vmcnt(0)
	v_dual_mov_b32 v2, 0 :: v_dual_lshlrev_b32 v9, 16, v7
	s_delay_alu instid0(VALU_DEP_1) | instskip(NEXT) | instid1(VALU_DEP_2)
	v_lshlrev_b64 v[0:1], 1, v[1:2]
	v_cmp_u_f32_e32 vcc_lo, v9, v9
	v_cmp_lt_f32_e64 s0, v8, v9
	s_delay_alu instid0(VALU_DEP_3) | instskip(NEXT) | instid1(VALU_DEP_2)
	v_add_co_u32 v9, s1, s4, v0
	s_or_b32 vcc_lo, vcc_lo, s0
	s_delay_alu instid0(VALU_DEP_4) | instskip(SKIP_3) | instid1(SALU_CYCLE_1)
	v_add_co_ci_u32_e64 v10, s1, s5, v1, s1
	v_dual_cndmask_b32 v1, s3, v7 :: v_dual_mov_b32 v0, v5
	global_store_b16 v[9:10], v1, off
	s_or_b32 exec_lo, exec_lo, s6
	s_mov_b32 s1, exec_lo
	v_cmpx_gt_i32_e64 s2, v0
	s_cbranch_execz .LBB414_10
.LBB414_14:
	s_waitcnt vmcnt(0)
	v_dual_mov_b32 v2, 0 :: v_dual_lshlrev_b32 v5, 16, v4
	v_add_nc_u32_e32 v1, s8, v0
	v_add_nc_u32_e32 v0, 0x100, v0
	s_delay_alu instid0(VALU_DEP_3) | instskip(SKIP_1) | instid1(VALU_DEP_4)
	v_cmp_u_f32_e32 vcc_lo, v5, v5
	v_cmp_lt_f32_e64 s0, v8, v5
	v_lshlrev_b64 v[1:2], 1, v[1:2]
	s_delay_alu instid0(VALU_DEP_2) | instskip(SKIP_1) | instid1(VALU_DEP_2)
	s_or_b32 vcc_lo, vcc_lo, s0
	v_cndmask_b32_e32 v4, s3, v4, vcc_lo
	v_add_co_u32 v1, vcc_lo, s4, v1
	s_delay_alu instid0(VALU_DEP_3) | instskip(SKIP_2) | instid1(SALU_CYCLE_1)
	v_add_co_ci_u32_e32 v2, vcc_lo, s5, v2, vcc_lo
	global_store_b16 v[1:2], v4, off
	s_or_b32 exec_lo, exec_lo, s1
	s_mov_b32 s1, exec_lo
	v_cmpx_gt_i32_e64 s2, v0
	s_cbranch_execz .LBB414_11
.LBB414_15:
	s_waitcnt vmcnt(0)
	v_lshlrev_b32_e32 v4, 16, v6
	v_dual_mov_b32 v2, 0 :: v_dual_add_nc_u32 v1, s8, v0
	v_add_nc_u32_e32 v0, 0x100, v0
	s_delay_alu instid0(VALU_DEP_3) | instskip(SKIP_1) | instid1(VALU_DEP_4)
	v_cmp_u_f32_e32 vcc_lo, v4, v4
	v_cmp_lt_f32_e64 s0, v8, v4
	v_lshlrev_b64 v[1:2], 1, v[1:2]
	s_delay_alu instid0(VALU_DEP_2) | instskip(SKIP_1) | instid1(VALU_DEP_2)
	s_or_b32 vcc_lo, vcc_lo, s0
	v_cndmask_b32_e32 v4, s3, v6, vcc_lo
	v_add_co_u32 v1, vcc_lo, s4, v1
	s_delay_alu instid0(VALU_DEP_3) | instskip(SKIP_2) | instid1(SALU_CYCLE_1)
	v_add_co_ci_u32_e32 v2, vcc_lo, s5, v2, vcc_lo
	global_store_b16 v[1:2], v4, off
	s_or_b32 exec_lo, exec_lo, s1
	s_mov_b32 s0, exec_lo
	v_cmpx_gt_i32_e64 s2, v0
	s_cbranch_execz .LBB414_12
.LBB414_16:
	s_waitcnt vmcnt(0)
	v_dual_mov_b32 v1, 0 :: v_dual_lshlrev_b32 v2, 16, v3
	v_add_nc_u32_e32 v0, s8, v0
	s_delay_alu instid0(VALU_DEP_2) | instskip(SKIP_1) | instid1(VALU_DEP_3)
	v_cmp_u_f32_e32 vcc_lo, v2, v2
	v_cmp_gt_f32_e64 s0, v2, v8
	v_lshlrev_b64 v[0:1], 1, v[0:1]
	s_delay_alu instid0(VALU_DEP_2) | instskip(SKIP_1) | instid1(VALU_DEP_2)
	s_or_b32 vcc_lo, vcc_lo, s0
	v_cndmask_b32_e32 v2, s3, v3, vcc_lo
	v_add_co_u32 v0, vcc_lo, s4, v0
	s_delay_alu instid0(VALU_DEP_3)
	v_add_co_ci_u32_e32 v1, vcc_lo, s5, v1, vcc_lo
	global_store_b16 v[0:1], v2, off
	s_nop 0
	s_sendmsg sendmsg(MSG_DEALLOC_VGPRS)
	s_endpgm
	.section	.rodata,"a",@progbits
	.p2align	6, 0x0
	.amdhsa_kernel _ZN2at6native27unrolled_elementwise_kernelIZZZNS0_21clamp_min_kernel_cudaERNS_18TensorIteratorBaseERKN3c106ScalarEENKUlvE_clEvENKUlvE7_clEvEUlNS4_8BFloat16EE_St5arrayIPcLm2EELi4E23TrivialOffsetCalculatorILi1EjESG_NS0_6memory15LoadWithoutCastENSH_16StoreWithoutCastEEEviT_T0_T2_T3_T4_T5_
		.amdhsa_group_segment_fixed_size 0
		.amdhsa_private_segment_fixed_size 0
		.amdhsa_kernarg_size 28
		.amdhsa_user_sgpr_count 15
		.amdhsa_user_sgpr_dispatch_ptr 0
		.amdhsa_user_sgpr_queue_ptr 0
		.amdhsa_user_sgpr_kernarg_segment_ptr 1
		.amdhsa_user_sgpr_dispatch_id 0
		.amdhsa_user_sgpr_private_segment_size 0
		.amdhsa_wavefront_size32 1
		.amdhsa_uses_dynamic_stack 0
		.amdhsa_enable_private_segment 0
		.amdhsa_system_sgpr_workgroup_id_x 1
		.amdhsa_system_sgpr_workgroup_id_y 0
		.amdhsa_system_sgpr_workgroup_id_z 0
		.amdhsa_system_sgpr_workgroup_info 0
		.amdhsa_system_vgpr_workitem_id 0
		.amdhsa_next_free_vgpr 11
		.amdhsa_next_free_sgpr 16
		.amdhsa_reserve_vcc 1
		.amdhsa_float_round_mode_32 0
		.amdhsa_float_round_mode_16_64 0
		.amdhsa_float_denorm_mode_32 3
		.amdhsa_float_denorm_mode_16_64 3
		.amdhsa_dx10_clamp 1
		.amdhsa_ieee_mode 1
		.amdhsa_fp16_overflow 0
		.amdhsa_workgroup_processor_mode 1
		.amdhsa_memory_ordered 1
		.amdhsa_forward_progress 0
		.amdhsa_shared_vgpr_count 0
		.amdhsa_exception_fp_ieee_invalid_op 0
		.amdhsa_exception_fp_denorm_src 0
		.amdhsa_exception_fp_ieee_div_zero 0
		.amdhsa_exception_fp_ieee_overflow 0
		.amdhsa_exception_fp_ieee_underflow 0
		.amdhsa_exception_fp_ieee_inexact 0
		.amdhsa_exception_int_div_zero 0
	.end_amdhsa_kernel
	.section	.text._ZN2at6native27unrolled_elementwise_kernelIZZZNS0_21clamp_min_kernel_cudaERNS_18TensorIteratorBaseERKN3c106ScalarEENKUlvE_clEvENKUlvE7_clEvEUlNS4_8BFloat16EE_St5arrayIPcLm2EELi4E23TrivialOffsetCalculatorILi1EjESG_NS0_6memory15LoadWithoutCastENSH_16StoreWithoutCastEEEviT_T0_T2_T3_T4_T5_,"axG",@progbits,_ZN2at6native27unrolled_elementwise_kernelIZZZNS0_21clamp_min_kernel_cudaERNS_18TensorIteratorBaseERKN3c106ScalarEENKUlvE_clEvENKUlvE7_clEvEUlNS4_8BFloat16EE_St5arrayIPcLm2EELi4E23TrivialOffsetCalculatorILi1EjESG_NS0_6memory15LoadWithoutCastENSH_16StoreWithoutCastEEEviT_T0_T2_T3_T4_T5_,comdat
.Lfunc_end414:
	.size	_ZN2at6native27unrolled_elementwise_kernelIZZZNS0_21clamp_min_kernel_cudaERNS_18TensorIteratorBaseERKN3c106ScalarEENKUlvE_clEvENKUlvE7_clEvEUlNS4_8BFloat16EE_St5arrayIPcLm2EELi4E23TrivialOffsetCalculatorILi1EjESG_NS0_6memory15LoadWithoutCastENSH_16StoreWithoutCastEEEviT_T0_T2_T3_T4_T5_, .Lfunc_end414-_ZN2at6native27unrolled_elementwise_kernelIZZZNS0_21clamp_min_kernel_cudaERNS_18TensorIteratorBaseERKN3c106ScalarEENKUlvE_clEvENKUlvE7_clEvEUlNS4_8BFloat16EE_St5arrayIPcLm2EELi4E23TrivialOffsetCalculatorILi1EjESG_NS0_6memory15LoadWithoutCastENSH_16StoreWithoutCastEEEviT_T0_T2_T3_T4_T5_
                                        ; -- End function
	.section	.AMDGPU.csdata,"",@progbits
; Kernel info:
; codeLenInByte = 864
; NumSgprs: 18
; NumVgprs: 11
; ScratchSize: 0
; MemoryBound: 0
; FloatMode: 240
; IeeeMode: 1
; LDSByteSize: 0 bytes/workgroup (compile time only)
; SGPRBlocks: 2
; VGPRBlocks: 1
; NumSGPRsForWavesPerEU: 18
; NumVGPRsForWavesPerEU: 11
; Occupancy: 16
; WaveLimiterHint : 0
; COMPUTE_PGM_RSRC2:SCRATCH_EN: 0
; COMPUTE_PGM_RSRC2:USER_SGPR: 15
; COMPUTE_PGM_RSRC2:TRAP_HANDLER: 0
; COMPUTE_PGM_RSRC2:TGID_X_EN: 1
; COMPUTE_PGM_RSRC2:TGID_Y_EN: 0
; COMPUTE_PGM_RSRC2:TGID_Z_EN: 0
; COMPUTE_PGM_RSRC2:TIDIG_COMP_CNT: 0
	.section	.text._ZN2at6native32elementwise_kernel_manual_unrollILi128ELi8EZNS0_22gpu_kernel_impl_nocastIZZZNS0_21clamp_min_kernel_cudaERNS_18TensorIteratorBaseERKN3c106ScalarEENKUlvE_clEvENKUlvE7_clEvEUlNS5_8BFloat16EE_EEvS4_RKT_EUlibE_EEviT1_,"axG",@progbits,_ZN2at6native32elementwise_kernel_manual_unrollILi128ELi8EZNS0_22gpu_kernel_impl_nocastIZZZNS0_21clamp_min_kernel_cudaERNS_18TensorIteratorBaseERKN3c106ScalarEENKUlvE_clEvENKUlvE7_clEvEUlNS5_8BFloat16EE_EEvS4_RKT_EUlibE_EEviT1_,comdat
	.globl	_ZN2at6native32elementwise_kernel_manual_unrollILi128ELi8EZNS0_22gpu_kernel_impl_nocastIZZZNS0_21clamp_min_kernel_cudaERNS_18TensorIteratorBaseERKN3c106ScalarEENKUlvE_clEvENKUlvE7_clEvEUlNS5_8BFloat16EE_EEvS4_RKT_EUlibE_EEviT1_ ; -- Begin function _ZN2at6native32elementwise_kernel_manual_unrollILi128ELi8EZNS0_22gpu_kernel_impl_nocastIZZZNS0_21clamp_min_kernel_cudaERNS_18TensorIteratorBaseERKN3c106ScalarEENKUlvE_clEvENKUlvE7_clEvEUlNS5_8BFloat16EE_EEvS4_RKT_EUlibE_EEviT1_
	.p2align	8
	.type	_ZN2at6native32elementwise_kernel_manual_unrollILi128ELi8EZNS0_22gpu_kernel_impl_nocastIZZZNS0_21clamp_min_kernel_cudaERNS_18TensorIteratorBaseERKN3c106ScalarEENKUlvE_clEvENKUlvE7_clEvEUlNS5_8BFloat16EE_EEvS4_RKT_EUlibE_EEviT1_,@function
_ZN2at6native32elementwise_kernel_manual_unrollILi128ELi8EZNS0_22gpu_kernel_impl_nocastIZZZNS0_21clamp_min_kernel_cudaERNS_18TensorIteratorBaseERKN3c106ScalarEENKUlvE_clEvENKUlvE7_clEvEUlNS5_8BFloat16EE_EEvS4_RKT_EUlibE_EEviT1_: ; @_ZN2at6native32elementwise_kernel_manual_unrollILi128ELi8EZNS0_22gpu_kernel_impl_nocastIZZZNS0_21clamp_min_kernel_cudaERNS_18TensorIteratorBaseERKN3c106ScalarEENKUlvE_clEvENKUlvE7_clEvEUlNS5_8BFloat16EE_EEvS4_RKT_EUlibE_EEviT1_
; %bb.0:
	s_clause 0x1
	s_load_b32 s22, s[0:1], 0x8
	s_load_b32 s29, s[0:1], 0x0
	v_lshl_or_b32 v12, s15, 10, v0
	s_or_b32 s0, s0, 8
	s_mov_b32 s2, exec_lo
	s_delay_alu instid0(VALU_DEP_1) | instskip(SKIP_2) | instid1(SALU_CYCLE_1)
	v_or_b32_e32 v16, 0x380, v12
	s_waitcnt lgkmcnt(0)
	s_add_i32 s23, s22, -1
	s_cmp_gt_u32 s23, 1
	s_cselect_b32 s24, -1, 0
	v_cmpx_le_i32_e64 s29, v16
	s_xor_b32 s25, exec_lo, s2
	s_cbranch_execz .LBB415_7
; %bb.1:
	s_clause 0x4
	s_load_b128 s[8:11], s[0:1], 0x4
	s_load_b64 s[16:17], s[0:1], 0x14
	s_load_b32 s26, s[0:1], 0x158
	s_load_b128 s[12:15], s[0:1], 0xc4
	s_load_b128 s[4:7], s[0:1], 0x148
	s_cmp_lg_u32 s22, 0
	s_mov_b32 s33, exec_lo
	s_cselect_b32 s31, -1, 0
	s_add_u32 s18, s0, 0xc4
	s_addc_u32 s19, s1, 0
	s_min_u32 s30, s23, 15
	s_cmp_gt_u32 s22, 1
	s_cselect_b32 s28, -1, 0
	s_waitcnt lgkmcnt(0)
	s_lshl_b32 s27, s26, 16
	v_cmpx_gt_i32_e64 s29, v12
	s_cbranch_execz .LBB415_14
; %bb.2:
	s_and_not1_b32 vcc_lo, exec_lo, s24
	s_cbranch_vccnz .LBB415_21
; %bb.3:
	v_dual_mov_b32 v0, 0 :: v_dual_mov_b32 v1, 0
	s_and_not1_b32 vcc_lo, exec_lo, s31
	s_mov_b32 s34, 0
	s_cbranch_vccnz .LBB415_125
; %bb.4:
	v_mov_b32_e32 v0, 0
	s_add_i32 s36, s30, 1
	s_cmp_eq_u32 s23, 2
	s_mov_b32 s35, 0
	s_cbranch_scc1 .LBB415_121
; %bb.5:
	v_dual_mov_b32 v1, 0 :: v_dual_mov_b32 v0, 0
	v_mov_b32_e32 v2, v12
	s_and_b32 s35, s36, 28
	s_mov_b32 s37, 0
	s_mov_b64 s[2:3], s[18:19]
	s_mov_b64 s[20:21], s[0:1]
.LBB415_6:                              ; =>This Inner Loop Header: Depth=1
	s_clause 0x1
	s_load_b256 s[40:47], s[20:21], 0x4
	s_load_b128 s[56:59], s[20:21], 0x24
	s_load_b256 s[48:55], s[2:3], 0x0
	s_add_u32 s20, s20, 48
	s_addc_u32 s21, s21, 0
	s_add_i32 s37, s37, 4
	s_add_u32 s2, s2, 32
	s_addc_u32 s3, s3, 0
	s_cmp_lg_u32 s35, s37
	s_waitcnt lgkmcnt(0)
	v_mul_hi_u32 v3, s41, v2
	s_delay_alu instid0(VALU_DEP_1) | instskip(NEXT) | instid1(VALU_DEP_1)
	v_add_nc_u32_e32 v3, v2, v3
	v_lshrrev_b32_e32 v3, s42, v3
	s_delay_alu instid0(VALU_DEP_1) | instskip(SKIP_1) | instid1(VALU_DEP_2)
	v_mul_hi_u32 v4, s44, v3
	v_mul_lo_u32 v6, v3, s40
	v_add_nc_u32_e32 v4, v3, v4
	s_delay_alu instid0(VALU_DEP_2) | instskip(NEXT) | instid1(VALU_DEP_2)
	v_sub_nc_u32_e32 v2, v2, v6
	v_lshrrev_b32_e32 v4, s45, v4
	s_delay_alu instid0(VALU_DEP_2) | instskip(SKIP_1) | instid1(VALU_DEP_3)
	v_mul_lo_u32 v6, v2, s48
	v_mul_lo_u32 v8, v2, s49
	v_mul_hi_u32 v5, s47, v4
	s_delay_alu instid0(VALU_DEP_1) | instskip(NEXT) | instid1(VALU_DEP_1)
	v_add_nc_u32_e32 v5, v4, v5
	v_lshrrev_b32_e32 v5, s56, v5
	s_delay_alu instid0(VALU_DEP_1) | instskip(SKIP_1) | instid1(VALU_DEP_2)
	v_mul_hi_u32 v7, s58, v5
	v_mul_lo_u32 v9, v5, s46
	v_add_nc_u32_e32 v2, v5, v7
	v_mul_lo_u32 v7, v4, s43
	s_delay_alu instid0(VALU_DEP_3) | instskip(NEXT) | instid1(VALU_DEP_3)
	v_sub_nc_u32_e32 v4, v4, v9
	v_lshrrev_b32_e32 v2, s59, v2
	s_delay_alu instid0(VALU_DEP_2) | instskip(SKIP_2) | instid1(VALU_DEP_4)
	v_mul_lo_u32 v9, v4, s52
	v_mul_lo_u32 v4, v4, s53
	v_sub_nc_u32_e32 v3, v3, v7
	v_mul_lo_u32 v10, v2, s57
	s_delay_alu instid0(VALU_DEP_2) | instskip(SKIP_1) | instid1(VALU_DEP_3)
	v_mul_lo_u32 v7, v3, s50
	v_mul_lo_u32 v3, v3, s51
	v_sub_nc_u32_e32 v5, v5, v10
	s_delay_alu instid0(VALU_DEP_3) | instskip(NEXT) | instid1(VALU_DEP_2)
	v_add3_u32 v0, v6, v0, v7
	v_mul_lo_u32 v10, v5, s54
	v_mul_lo_u32 v5, v5, s55
	v_add3_u32 v1, v8, v1, v3
	s_delay_alu instid0(VALU_DEP_3) | instskip(NEXT) | instid1(VALU_DEP_2)
	v_add3_u32 v0, v9, v0, v10
	v_add3_u32 v1, v4, v1, v5
	s_cbranch_scc1 .LBB415_6
	s_branch .LBB415_122
.LBB415_7:
	s_and_not1_saveexec_b32 s2, s25
	s_cbranch_execz .LBB415_206
.LBB415_8:
	v_cndmask_b32_e64 v14, 0, 1, s24
	s_and_not1_b32 vcc_lo, exec_lo, s24
	s_cbranch_vccnz .LBB415_20
; %bb.9:
	v_dual_mov_b32 v0, 0 :: v_dual_mov_b32 v1, 0
	s_cmp_lg_u32 s22, 0
	s_mov_b32 s6, 0
	s_cbranch_scc0 .LBB415_26
; %bb.10:
	s_min_u32 s7, s23, 15
	v_mov_b32_e32 v0, 0
	s_add_i32 s7, s7, 1
	s_cmp_eq_u32 s23, 2
	s_mov_b32 s8, 0
	s_cbranch_scc1 .LBB415_23
; %bb.11:
	v_dual_mov_b32 v1, 0 :: v_dual_mov_b32 v0, 0
	v_mov_b32_e32 v2, v12
	s_add_u32 s2, s0, 0xc4
	s_addc_u32 s3, s1, 0
	s_and_b32 s8, s7, 28
	s_mov_b32 s9, 0
	s_mov_b64 s[4:5], s[0:1]
.LBB415_12:                             ; =>This Inner Loop Header: Depth=1
	s_clause 0x1
	s_load_b256 s[12:19], s[4:5], 0x4
	s_load_b128 s[36:39], s[4:5], 0x24
	s_load_b256 s[24:31], s[2:3], 0x0
	s_add_u32 s4, s4, 48
	s_addc_u32 s5, s5, 0
	s_add_i32 s9, s9, 4
	s_add_u32 s2, s2, 32
	s_addc_u32 s3, s3, 0
	s_cmp_lg_u32 s8, s9
	s_waitcnt lgkmcnt(0)
	v_mul_hi_u32 v3, s13, v2
	s_delay_alu instid0(VALU_DEP_1) | instskip(NEXT) | instid1(VALU_DEP_1)
	v_add_nc_u32_e32 v3, v2, v3
	v_lshrrev_b32_e32 v3, s14, v3
	s_delay_alu instid0(VALU_DEP_1) | instskip(SKIP_1) | instid1(VALU_DEP_2)
	v_mul_hi_u32 v4, s16, v3
	v_mul_lo_u32 v6, v3, s12
	v_add_nc_u32_e32 v4, v3, v4
	s_delay_alu instid0(VALU_DEP_2) | instskip(NEXT) | instid1(VALU_DEP_2)
	v_sub_nc_u32_e32 v2, v2, v6
	v_lshrrev_b32_e32 v4, s17, v4
	s_delay_alu instid0(VALU_DEP_2) | instskip(SKIP_1) | instid1(VALU_DEP_3)
	v_mul_lo_u32 v6, v2, s24
	v_mul_lo_u32 v8, v2, s25
	v_mul_hi_u32 v5, s19, v4
	s_delay_alu instid0(VALU_DEP_1) | instskip(NEXT) | instid1(VALU_DEP_1)
	v_add_nc_u32_e32 v5, v4, v5
	v_lshrrev_b32_e32 v5, s36, v5
	s_delay_alu instid0(VALU_DEP_1) | instskip(SKIP_1) | instid1(VALU_DEP_2)
	v_mul_hi_u32 v7, s38, v5
	v_mul_lo_u32 v9, v5, s18
	v_add_nc_u32_e32 v2, v5, v7
	v_mul_lo_u32 v7, v4, s15
	s_delay_alu instid0(VALU_DEP_3) | instskip(NEXT) | instid1(VALU_DEP_3)
	v_sub_nc_u32_e32 v4, v4, v9
	v_lshrrev_b32_e32 v2, s39, v2
	s_delay_alu instid0(VALU_DEP_2) | instskip(SKIP_2) | instid1(VALU_DEP_4)
	v_mul_lo_u32 v9, v4, s28
	v_mul_lo_u32 v4, v4, s29
	v_sub_nc_u32_e32 v3, v3, v7
	v_mul_lo_u32 v10, v2, s37
	s_delay_alu instid0(VALU_DEP_2) | instskip(SKIP_1) | instid1(VALU_DEP_3)
	v_mul_lo_u32 v7, v3, s26
	v_mul_lo_u32 v3, v3, s27
	v_sub_nc_u32_e32 v5, v5, v10
	s_delay_alu instid0(VALU_DEP_3) | instskip(NEXT) | instid1(VALU_DEP_2)
	v_add3_u32 v0, v6, v0, v7
	v_mul_lo_u32 v10, v5, s30
	v_mul_lo_u32 v5, v5, s31
	v_add3_u32 v1, v8, v1, v3
	s_delay_alu instid0(VALU_DEP_3) | instskip(NEXT) | instid1(VALU_DEP_2)
	v_add3_u32 v0, v9, v0, v10
	v_add3_u32 v1, v4, v1, v5
	s_cbranch_scc1 .LBB415_12
; %bb.13:
	s_and_b32 s7, s7, 3
	s_delay_alu instid0(SALU_CYCLE_1)
	s_cmp_eq_u32 s7, 0
	s_cbranch_scc0 .LBB415_24
	s_branch .LBB415_26
.LBB415_14:
	s_or_b32 exec_lo, exec_lo, s33
	s_delay_alu instid0(SALU_CYCLE_1)
	s_mov_b32 s33, exec_lo
	v_cmpx_gt_i32_e64 s29, v12
	s_cbranch_execz .LBB415_129
.LBB415_15:
	s_and_not1_b32 vcc_lo, exec_lo, s24
	s_cbranch_vccnz .LBB415_22
; %bb.16:
	v_dual_mov_b32 v0, 0 :: v_dual_mov_b32 v1, 0
	s_and_not1_b32 vcc_lo, exec_lo, s31
	s_mov_b32 s34, 0
	s_cbranch_vccnz .LBB415_140
; %bb.17:
	v_mov_b32_e32 v0, 0
	s_add_i32 s36, s30, 1
	s_cmp_eq_u32 s23, 2
	s_mov_b32 s35, 0
	s_cbranch_scc1 .LBB415_136
; %bb.18:
	v_dual_mov_b32 v1, 0 :: v_dual_mov_b32 v0, 0
	v_mov_b32_e32 v2, v12
	s_and_b32 s35, s36, 28
	s_mov_b32 s37, 0
	s_mov_b64 s[2:3], s[18:19]
	s_mov_b64 s[20:21], s[0:1]
.LBB415_19:                             ; =>This Inner Loop Header: Depth=1
	s_clause 0x1
	s_load_b256 s[40:47], s[20:21], 0x4
	s_load_b128 s[56:59], s[20:21], 0x24
	s_load_b256 s[48:55], s[2:3], 0x0
	s_add_u32 s20, s20, 48
	s_addc_u32 s21, s21, 0
	s_add_i32 s37, s37, 4
	s_add_u32 s2, s2, 32
	s_addc_u32 s3, s3, 0
	s_cmp_eq_u32 s35, s37
	s_waitcnt lgkmcnt(0)
	v_mul_hi_u32 v3, s41, v2
	s_delay_alu instid0(VALU_DEP_1) | instskip(NEXT) | instid1(VALU_DEP_1)
	v_add_nc_u32_e32 v3, v2, v3
	v_lshrrev_b32_e32 v3, s42, v3
	s_delay_alu instid0(VALU_DEP_1) | instskip(SKIP_1) | instid1(VALU_DEP_2)
	v_mul_hi_u32 v4, s44, v3
	v_mul_lo_u32 v6, v3, s40
	v_add_nc_u32_e32 v4, v3, v4
	s_delay_alu instid0(VALU_DEP_2) | instskip(NEXT) | instid1(VALU_DEP_2)
	v_sub_nc_u32_e32 v2, v2, v6
	v_lshrrev_b32_e32 v4, s45, v4
	s_delay_alu instid0(VALU_DEP_2) | instskip(SKIP_1) | instid1(VALU_DEP_3)
	v_mul_lo_u32 v6, v2, s48
	v_mul_lo_u32 v8, v2, s49
	v_mul_hi_u32 v5, s47, v4
	s_delay_alu instid0(VALU_DEP_1) | instskip(NEXT) | instid1(VALU_DEP_1)
	v_add_nc_u32_e32 v5, v4, v5
	v_lshrrev_b32_e32 v5, s56, v5
	s_delay_alu instid0(VALU_DEP_1) | instskip(SKIP_1) | instid1(VALU_DEP_2)
	v_mul_hi_u32 v7, s58, v5
	v_mul_lo_u32 v9, v5, s46
	v_add_nc_u32_e32 v2, v5, v7
	v_mul_lo_u32 v7, v4, s43
	s_delay_alu instid0(VALU_DEP_3) | instskip(NEXT) | instid1(VALU_DEP_3)
	v_sub_nc_u32_e32 v4, v4, v9
	v_lshrrev_b32_e32 v2, s59, v2
	s_delay_alu instid0(VALU_DEP_2) | instskip(SKIP_2) | instid1(VALU_DEP_4)
	v_mul_lo_u32 v9, v4, s52
	v_mul_lo_u32 v4, v4, s53
	v_sub_nc_u32_e32 v3, v3, v7
	v_mul_lo_u32 v10, v2, s57
	s_delay_alu instid0(VALU_DEP_2) | instskip(SKIP_1) | instid1(VALU_DEP_3)
	v_mul_lo_u32 v7, v3, s50
	v_mul_lo_u32 v3, v3, s51
	v_sub_nc_u32_e32 v5, v5, v10
	s_delay_alu instid0(VALU_DEP_3) | instskip(NEXT) | instid1(VALU_DEP_2)
	v_add3_u32 v0, v6, v0, v7
	v_mul_lo_u32 v10, v5, s54
	v_mul_lo_u32 v5, v5, s55
	v_add3_u32 v1, v8, v1, v3
	s_delay_alu instid0(VALU_DEP_3) | instskip(NEXT) | instid1(VALU_DEP_2)
	v_add3_u32 v0, v9, v0, v10
	v_add3_u32 v1, v4, v1, v5
	s_cbranch_scc0 .LBB415_19
	s_branch .LBB415_137
.LBB415_20:
	s_mov_b32 s6, -1
                                        ; implicit-def: $vgpr0
                                        ; implicit-def: $vgpr1
	s_branch .LBB415_26
.LBB415_21:
	s_mov_b32 s34, -1
                                        ; implicit-def: $vgpr0
                                        ; implicit-def: $vgpr1
	s_branch .LBB415_125
.LBB415_22:
	s_mov_b32 s34, -1
                                        ; implicit-def: $vgpr0
                                        ; implicit-def: $vgpr1
	s_branch .LBB415_140
.LBB415_23:
	v_dual_mov_b32 v2, v12 :: v_dual_mov_b32 v1, 0
	s_and_b32 s7, s7, 3
	s_delay_alu instid0(SALU_CYCLE_1)
	s_cmp_eq_u32 s7, 0
	s_cbranch_scc1 .LBB415_26
.LBB415_24:
	s_lshl_b32 s2, s8, 3
	s_mul_i32 s4, s8, 12
	s_add_u32 s2, s2, s0
	s_addc_u32 s3, 0, s1
	s_add_u32 s2, s2, 0xc4
	s_addc_u32 s3, s3, 0
	;; [unrolled: 2-line block ×3, first 2 shown]
	.p2align	6
.LBB415_25:                             ; =>This Inner Loop Header: Depth=1
	s_clause 0x1
	s_load_b64 s[8:9], s[4:5], 0x4
	s_load_b32 s12, s[4:5], 0xc
	s_load_b64 s[10:11], s[2:3], 0x0
	s_add_u32 s4, s4, 12
	s_addc_u32 s5, s5, 0
	s_add_u32 s2, s2, 8
	s_addc_u32 s3, s3, 0
	s_add_i32 s7, s7, -1
	s_delay_alu instid0(SALU_CYCLE_1) | instskip(SKIP_2) | instid1(VALU_DEP_1)
	s_cmp_lg_u32 s7, 0
	s_waitcnt lgkmcnt(0)
	v_mul_hi_u32 v3, s9, v2
	v_add_nc_u32_e32 v3, v2, v3
	s_delay_alu instid0(VALU_DEP_1) | instskip(NEXT) | instid1(VALU_DEP_1)
	v_lshrrev_b32_e32 v6, s12, v3
	v_mul_lo_u32 v3, v6, s8
	s_delay_alu instid0(VALU_DEP_1) | instskip(NEXT) | instid1(VALU_DEP_1)
	v_sub_nc_u32_e32 v2, v2, v3
	v_mad_u64_u32 v[3:4], null, v2, s10, v[0:1]
	v_mad_u64_u32 v[4:5], null, v2, s11, v[1:2]
	v_mov_b32_e32 v2, v6
	s_delay_alu instid0(VALU_DEP_2)
	v_dual_mov_b32 v0, v3 :: v_dual_mov_b32 v1, v4
	s_cbranch_scc1 .LBB415_25
.LBB415_26:
	s_and_not1_b32 vcc_lo, exec_lo, s6
	s_cbranch_vccnz .LBB415_29
; %bb.27:
	s_clause 0x1
	s_load_b128 s[4:7], s[0:1], 0x4
	s_load_b64 s[2:3], s[0:1], 0xc4
	s_cmp_lt_u32 s22, 2
	s_waitcnt lgkmcnt(0)
	v_mul_hi_u32 v0, s5, v12
	s_delay_alu instid0(VALU_DEP_1) | instskip(NEXT) | instid1(VALU_DEP_1)
	v_add_nc_u32_e32 v0, v12, v0
	v_lshrrev_b32_e32 v2, s6, v0
	s_delay_alu instid0(VALU_DEP_1) | instskip(NEXT) | instid1(VALU_DEP_1)
	v_mul_lo_u32 v0, v2, s4
	v_sub_nc_u32_e32 v1, v12, v0
	s_delay_alu instid0(VALU_DEP_1)
	v_mul_lo_u32 v0, v1, s2
	v_mul_lo_u32 v1, v1, s3
	s_cbranch_scc1 .LBB415_29
; %bb.28:
	s_clause 0x1
	s_load_b128 s[4:7], s[0:1], 0x10
	s_load_b64 s[2:3], s[0:1], 0xcc
	s_waitcnt lgkmcnt(0)
	v_mul_hi_u32 v3, s5, v2
	s_delay_alu instid0(VALU_DEP_1) | instskip(NEXT) | instid1(VALU_DEP_1)
	v_add_nc_u32_e32 v3, v2, v3
	v_lshrrev_b32_e32 v3, s6, v3
	s_delay_alu instid0(VALU_DEP_1) | instskip(NEXT) | instid1(VALU_DEP_1)
	v_mul_lo_u32 v3, v3, s4
	v_sub_nc_u32_e32 v5, v2, v3
	s_delay_alu instid0(VALU_DEP_1) | instskip(NEXT) | instid1(VALU_DEP_1)
	v_mad_u64_u32 v[2:3], null, v5, s2, v[0:1]
	v_mad_u64_u32 v[3:4], null, v5, s3, v[1:2]
	s_delay_alu instid0(VALU_DEP_1)
	v_dual_mov_b32 v0, v2 :: v_dual_mov_b32 v1, v3
.LBB415_29:
	v_cmp_ne_u32_e32 vcc_lo, 1, v14
	v_add_nc_u32_e32 v4, 0x80, v12
	s_cbranch_vccnz .LBB415_35
; %bb.30:
	v_dual_mov_b32 v2, 0 :: v_dual_mov_b32 v3, 0
	s_cmp_lg_u32 s22, 0
	s_mov_b32 s6, 0
	s_cbranch_scc0 .LBB415_39
; %bb.31:
	s_min_u32 s7, s23, 15
	v_mov_b32_e32 v2, 0
	s_add_i32 s7, s7, 1
	s_cmp_eq_u32 s23, 2
	s_mov_b32 s8, 0
	s_cbranch_scc1 .LBB415_36
; %bb.32:
	v_dual_mov_b32 v3, 0 :: v_dual_mov_b32 v2, 0
	v_mov_b32_e32 v5, v4
	s_add_u32 s2, s0, 0xc4
	s_addc_u32 s3, s1, 0
	s_and_b32 s8, s7, 28
	s_mov_b32 s9, 0
	s_mov_b64 s[4:5], s[0:1]
.LBB415_33:                             ; =>This Inner Loop Header: Depth=1
	s_clause 0x1
	s_load_b256 s[12:19], s[4:5], 0x4
	s_load_b128 s[36:39], s[4:5], 0x24
	s_load_b256 s[24:31], s[2:3], 0x0
	s_add_u32 s4, s4, 48
	s_addc_u32 s5, s5, 0
	s_add_i32 s9, s9, 4
	s_add_u32 s2, s2, 32
	s_addc_u32 s3, s3, 0
	s_cmp_lg_u32 s8, s9
	s_waitcnt lgkmcnt(0)
	v_mul_hi_u32 v6, s13, v5
	s_delay_alu instid0(VALU_DEP_1) | instskip(NEXT) | instid1(VALU_DEP_1)
	v_add_nc_u32_e32 v6, v5, v6
	v_lshrrev_b32_e32 v6, s14, v6
	s_delay_alu instid0(VALU_DEP_1) | instskip(SKIP_1) | instid1(VALU_DEP_2)
	v_mul_hi_u32 v7, s16, v6
	v_mul_lo_u32 v9, v6, s12
	v_add_nc_u32_e32 v7, v6, v7
	s_delay_alu instid0(VALU_DEP_2) | instskip(NEXT) | instid1(VALU_DEP_2)
	v_sub_nc_u32_e32 v5, v5, v9
	v_lshrrev_b32_e32 v7, s17, v7
	s_delay_alu instid0(VALU_DEP_2) | instskip(SKIP_1) | instid1(VALU_DEP_3)
	v_mul_lo_u32 v9, v5, s24
	v_mul_lo_u32 v11, v5, s25
	v_mul_hi_u32 v8, s19, v7
	s_delay_alu instid0(VALU_DEP_1) | instskip(NEXT) | instid1(VALU_DEP_1)
	v_add_nc_u32_e32 v8, v7, v8
	v_lshrrev_b32_e32 v8, s36, v8
	s_delay_alu instid0(VALU_DEP_1) | instskip(SKIP_1) | instid1(VALU_DEP_2)
	v_mul_hi_u32 v10, s38, v8
	v_mul_lo_u32 v13, v8, s18
	v_add_nc_u32_e32 v5, v8, v10
	v_mul_lo_u32 v10, v7, s15
	s_delay_alu instid0(VALU_DEP_3) | instskip(NEXT) | instid1(VALU_DEP_3)
	v_sub_nc_u32_e32 v7, v7, v13
	v_lshrrev_b32_e32 v5, s39, v5
	s_delay_alu instid0(VALU_DEP_2) | instskip(SKIP_2) | instid1(VALU_DEP_4)
	v_mul_lo_u32 v13, v7, s28
	v_mul_lo_u32 v7, v7, s29
	v_sub_nc_u32_e32 v6, v6, v10
	v_mul_lo_u32 v15, v5, s37
	s_delay_alu instid0(VALU_DEP_2) | instskip(SKIP_1) | instid1(VALU_DEP_3)
	v_mul_lo_u32 v10, v6, s26
	v_mul_lo_u32 v6, v6, s27
	v_sub_nc_u32_e32 v8, v8, v15
	s_delay_alu instid0(VALU_DEP_3) | instskip(NEXT) | instid1(VALU_DEP_2)
	v_add3_u32 v2, v9, v2, v10
	v_mul_lo_u32 v15, v8, s30
	v_mul_lo_u32 v8, v8, s31
	v_add3_u32 v3, v11, v3, v6
	s_delay_alu instid0(VALU_DEP_3) | instskip(NEXT) | instid1(VALU_DEP_2)
	v_add3_u32 v2, v13, v2, v15
	v_add3_u32 v3, v7, v3, v8
	s_cbranch_scc1 .LBB415_33
; %bb.34:
	s_and_b32 s7, s7, 3
	s_delay_alu instid0(SALU_CYCLE_1)
	s_cmp_eq_u32 s7, 0
	s_cbranch_scc0 .LBB415_37
	s_branch .LBB415_39
.LBB415_35:
	s_mov_b32 s6, -1
                                        ; implicit-def: $vgpr2
                                        ; implicit-def: $vgpr3
	s_branch .LBB415_39
.LBB415_36:
	v_mov_b32_e32 v5, v4
	v_mov_b32_e32 v3, 0
	s_and_b32 s7, s7, 3
	s_delay_alu instid0(SALU_CYCLE_1)
	s_cmp_eq_u32 s7, 0
	s_cbranch_scc1 .LBB415_39
.LBB415_37:
	s_lshl_b32 s2, s8, 3
	s_mul_i32 s4, s8, 12
	s_add_u32 s2, s2, s0
	s_addc_u32 s3, 0, s1
	s_add_u32 s2, s2, 0xc4
	s_addc_u32 s3, s3, 0
	;; [unrolled: 2-line block ×3, first 2 shown]
	.p2align	6
.LBB415_38:                             ; =>This Inner Loop Header: Depth=1
	s_clause 0x1
	s_load_b64 s[8:9], s[4:5], 0x4
	s_load_b32 s12, s[4:5], 0xc
	s_load_b64 s[10:11], s[2:3], 0x0
	s_add_u32 s4, s4, 12
	s_addc_u32 s5, s5, 0
	s_add_u32 s2, s2, 8
	s_addc_u32 s3, s3, 0
	s_add_i32 s7, s7, -1
	s_delay_alu instid0(SALU_CYCLE_1) | instskip(SKIP_2) | instid1(VALU_DEP_1)
	s_cmp_lg_u32 s7, 0
	s_waitcnt lgkmcnt(0)
	v_mul_hi_u32 v6, s9, v5
	v_add_nc_u32_e32 v6, v5, v6
	s_delay_alu instid0(VALU_DEP_1) | instskip(NEXT) | instid1(VALU_DEP_1)
	v_lshrrev_b32_e32 v9, s12, v6
	v_mul_lo_u32 v6, v9, s8
	s_delay_alu instid0(VALU_DEP_1) | instskip(NEXT) | instid1(VALU_DEP_1)
	v_sub_nc_u32_e32 v5, v5, v6
	v_mad_u64_u32 v[6:7], null, v5, s10, v[2:3]
	v_mad_u64_u32 v[7:8], null, v5, s11, v[3:4]
	s_delay_alu instid0(VALU_DEP_2) | instskip(NEXT) | instid1(VALU_DEP_2)
	v_dual_mov_b32 v5, v9 :: v_dual_mov_b32 v2, v6
	v_mov_b32_e32 v3, v7
	s_cbranch_scc1 .LBB415_38
.LBB415_39:
	s_and_not1_b32 vcc_lo, exec_lo, s6
	s_cbranch_vccnz .LBB415_42
; %bb.40:
	s_clause 0x1
	s_load_b128 s[4:7], s[0:1], 0x4
	s_load_b64 s[2:3], s[0:1], 0xc4
	s_cmp_lt_u32 s22, 2
	s_waitcnt lgkmcnt(0)
	v_mul_hi_u32 v2, s5, v4
	s_delay_alu instid0(VALU_DEP_1) | instskip(NEXT) | instid1(VALU_DEP_1)
	v_add_nc_u32_e32 v2, v4, v2
	v_lshrrev_b32_e32 v5, s6, v2
	s_delay_alu instid0(VALU_DEP_1) | instskip(NEXT) | instid1(VALU_DEP_1)
	v_mul_lo_u32 v2, v5, s4
	v_sub_nc_u32_e32 v3, v4, v2
	s_delay_alu instid0(VALU_DEP_1)
	v_mul_lo_u32 v2, v3, s2
	v_mul_lo_u32 v3, v3, s3
	s_cbranch_scc1 .LBB415_42
; %bb.41:
	s_clause 0x1
	s_load_b128 s[4:7], s[0:1], 0x10
	s_load_b64 s[2:3], s[0:1], 0xcc
	s_waitcnt lgkmcnt(0)
	v_mul_hi_u32 v4, s5, v5
	s_delay_alu instid0(VALU_DEP_1) | instskip(NEXT) | instid1(VALU_DEP_1)
	v_add_nc_u32_e32 v4, v5, v4
	v_lshrrev_b32_e32 v4, s6, v4
	s_delay_alu instid0(VALU_DEP_1) | instskip(NEXT) | instid1(VALU_DEP_1)
	v_mul_lo_u32 v4, v4, s4
	v_sub_nc_u32_e32 v7, v5, v4
	s_delay_alu instid0(VALU_DEP_1) | instskip(NEXT) | instid1(VALU_DEP_1)
	v_mad_u64_u32 v[4:5], null, v7, s2, v[2:3]
	v_mad_u64_u32 v[5:6], null, v7, s3, v[3:4]
	s_delay_alu instid0(VALU_DEP_1)
	v_dual_mov_b32 v2, v4 :: v_dual_mov_b32 v3, v5
.LBB415_42:
	v_cmp_ne_u32_e32 vcc_lo, 1, v14
	v_add_nc_u32_e32 v6, 0x100, v12
	s_cbranch_vccnz .LBB415_48
; %bb.43:
	v_dual_mov_b32 v4, 0 :: v_dual_mov_b32 v5, 0
	s_cmp_lg_u32 s22, 0
	s_mov_b32 s6, 0
	s_cbranch_scc0 .LBB415_52
; %bb.44:
	s_min_u32 s7, s23, 15
	v_mov_b32_e32 v4, 0
	s_add_i32 s7, s7, 1
	s_cmp_eq_u32 s23, 2
	s_mov_b32 s8, 0
	s_cbranch_scc1 .LBB415_49
; %bb.45:
	v_dual_mov_b32 v5, 0 :: v_dual_mov_b32 v4, 0
	v_mov_b32_e32 v7, v6
	s_add_u32 s2, s0, 0xc4
	s_addc_u32 s3, s1, 0
	s_and_b32 s8, s7, 28
	s_mov_b32 s9, 0
	s_mov_b64 s[4:5], s[0:1]
.LBB415_46:                             ; =>This Inner Loop Header: Depth=1
	s_clause 0x1
	s_load_b256 s[12:19], s[4:5], 0x4
	s_load_b128 s[36:39], s[4:5], 0x24
	s_load_b256 s[24:31], s[2:3], 0x0
	s_add_u32 s4, s4, 48
	s_addc_u32 s5, s5, 0
	s_add_i32 s9, s9, 4
	s_add_u32 s2, s2, 32
	s_addc_u32 s3, s3, 0
	s_cmp_lg_u32 s8, s9
	s_waitcnt lgkmcnt(0)
	v_mul_hi_u32 v8, s13, v7
	s_delay_alu instid0(VALU_DEP_1) | instskip(NEXT) | instid1(VALU_DEP_1)
	v_add_nc_u32_e32 v8, v7, v8
	v_lshrrev_b32_e32 v8, s14, v8
	s_delay_alu instid0(VALU_DEP_1) | instskip(SKIP_1) | instid1(VALU_DEP_2)
	v_mul_hi_u32 v9, s16, v8
	v_mul_lo_u32 v11, v8, s12
	v_add_nc_u32_e32 v9, v8, v9
	s_delay_alu instid0(VALU_DEP_2) | instskip(NEXT) | instid1(VALU_DEP_2)
	v_sub_nc_u32_e32 v7, v7, v11
	v_lshrrev_b32_e32 v9, s17, v9
	s_delay_alu instid0(VALU_DEP_2) | instskip(SKIP_1) | instid1(VALU_DEP_3)
	v_mul_lo_u32 v11, v7, s24
	v_mul_lo_u32 v15, v7, s25
	v_mul_hi_u32 v10, s19, v9
	s_delay_alu instid0(VALU_DEP_1) | instskip(NEXT) | instid1(VALU_DEP_1)
	v_add_nc_u32_e32 v10, v9, v10
	v_lshrrev_b32_e32 v10, s36, v10
	s_delay_alu instid0(VALU_DEP_1) | instskip(SKIP_1) | instid1(VALU_DEP_2)
	v_mul_hi_u32 v13, s38, v10
	v_mul_lo_u32 v17, v10, s18
	v_add_nc_u32_e32 v7, v10, v13
	v_mul_lo_u32 v13, v9, s15
	s_delay_alu instid0(VALU_DEP_3) | instskip(NEXT) | instid1(VALU_DEP_3)
	v_sub_nc_u32_e32 v9, v9, v17
	v_lshrrev_b32_e32 v7, s39, v7
	s_delay_alu instid0(VALU_DEP_2) | instskip(SKIP_2) | instid1(VALU_DEP_4)
	v_mul_lo_u32 v17, v9, s28
	v_mul_lo_u32 v9, v9, s29
	v_sub_nc_u32_e32 v8, v8, v13
	v_mul_lo_u32 v18, v7, s37
	s_delay_alu instid0(VALU_DEP_2) | instskip(SKIP_1) | instid1(VALU_DEP_3)
	v_mul_lo_u32 v13, v8, s26
	v_mul_lo_u32 v8, v8, s27
	v_sub_nc_u32_e32 v10, v10, v18
	s_delay_alu instid0(VALU_DEP_3) | instskip(NEXT) | instid1(VALU_DEP_2)
	v_add3_u32 v4, v11, v4, v13
	v_mul_lo_u32 v18, v10, s30
	v_mul_lo_u32 v10, v10, s31
	v_add3_u32 v5, v15, v5, v8
	s_delay_alu instid0(VALU_DEP_3) | instskip(NEXT) | instid1(VALU_DEP_2)
	v_add3_u32 v4, v17, v4, v18
	v_add3_u32 v5, v9, v5, v10
	s_cbranch_scc1 .LBB415_46
; %bb.47:
	s_and_b32 s7, s7, 3
	s_delay_alu instid0(SALU_CYCLE_1)
	s_cmp_eq_u32 s7, 0
	s_cbranch_scc0 .LBB415_50
	s_branch .LBB415_52
.LBB415_48:
	s_mov_b32 s6, -1
                                        ; implicit-def: $vgpr4
                                        ; implicit-def: $vgpr5
	s_branch .LBB415_52
.LBB415_49:
	v_mov_b32_e32 v7, v6
	v_mov_b32_e32 v5, 0
	s_and_b32 s7, s7, 3
	s_delay_alu instid0(SALU_CYCLE_1)
	s_cmp_eq_u32 s7, 0
	s_cbranch_scc1 .LBB415_52
.LBB415_50:
	s_lshl_b32 s2, s8, 3
	s_mul_i32 s4, s8, 12
	s_add_u32 s2, s2, s0
	s_addc_u32 s3, 0, s1
	s_add_u32 s2, s2, 0xc4
	s_addc_u32 s3, s3, 0
	;; [unrolled: 2-line block ×3, first 2 shown]
	.p2align	6
.LBB415_51:                             ; =>This Inner Loop Header: Depth=1
	s_clause 0x1
	s_load_b64 s[8:9], s[4:5], 0x4
	s_load_b32 s12, s[4:5], 0xc
	s_load_b64 s[10:11], s[2:3], 0x0
	s_add_u32 s4, s4, 12
	s_addc_u32 s5, s5, 0
	s_add_u32 s2, s2, 8
	s_addc_u32 s3, s3, 0
	s_add_i32 s7, s7, -1
	s_delay_alu instid0(SALU_CYCLE_1) | instskip(SKIP_2) | instid1(VALU_DEP_1)
	s_cmp_lg_u32 s7, 0
	s_waitcnt lgkmcnt(0)
	v_mul_hi_u32 v8, s9, v7
	v_add_nc_u32_e32 v8, v7, v8
	s_delay_alu instid0(VALU_DEP_1) | instskip(NEXT) | instid1(VALU_DEP_1)
	v_lshrrev_b32_e32 v11, s12, v8
	v_mul_lo_u32 v8, v11, s8
	s_delay_alu instid0(VALU_DEP_1) | instskip(NEXT) | instid1(VALU_DEP_1)
	v_sub_nc_u32_e32 v7, v7, v8
	v_mad_u64_u32 v[8:9], null, v7, s10, v[4:5]
	v_mad_u64_u32 v[9:10], null, v7, s11, v[5:6]
	s_delay_alu instid0(VALU_DEP_2) | instskip(NEXT) | instid1(VALU_DEP_2)
	v_dual_mov_b32 v7, v11 :: v_dual_mov_b32 v4, v8
	v_mov_b32_e32 v5, v9
	s_cbranch_scc1 .LBB415_51
.LBB415_52:
	s_and_not1_b32 vcc_lo, exec_lo, s6
	s_cbranch_vccnz .LBB415_55
; %bb.53:
	s_clause 0x1
	s_load_b128 s[4:7], s[0:1], 0x4
	s_load_b64 s[2:3], s[0:1], 0xc4
	s_cmp_lt_u32 s22, 2
	s_waitcnt lgkmcnt(0)
	v_mul_hi_u32 v4, s5, v6
	s_delay_alu instid0(VALU_DEP_1) | instskip(NEXT) | instid1(VALU_DEP_1)
	v_add_nc_u32_e32 v4, v6, v4
	v_lshrrev_b32_e32 v7, s6, v4
	s_delay_alu instid0(VALU_DEP_1) | instskip(NEXT) | instid1(VALU_DEP_1)
	v_mul_lo_u32 v4, v7, s4
	v_sub_nc_u32_e32 v5, v6, v4
	s_delay_alu instid0(VALU_DEP_1)
	v_mul_lo_u32 v4, v5, s2
	v_mul_lo_u32 v5, v5, s3
	s_cbranch_scc1 .LBB415_55
; %bb.54:
	s_clause 0x1
	s_load_b128 s[4:7], s[0:1], 0x10
	s_load_b64 s[2:3], s[0:1], 0xcc
	s_waitcnt lgkmcnt(0)
	v_mul_hi_u32 v6, s5, v7
	s_delay_alu instid0(VALU_DEP_1) | instskip(NEXT) | instid1(VALU_DEP_1)
	v_add_nc_u32_e32 v6, v7, v6
	v_lshrrev_b32_e32 v6, s6, v6
	s_delay_alu instid0(VALU_DEP_1) | instskip(NEXT) | instid1(VALU_DEP_1)
	v_mul_lo_u32 v6, v6, s4
	v_sub_nc_u32_e32 v9, v7, v6
	s_delay_alu instid0(VALU_DEP_1) | instskip(NEXT) | instid1(VALU_DEP_1)
	v_mad_u64_u32 v[6:7], null, v9, s2, v[4:5]
	v_mad_u64_u32 v[7:8], null, v9, s3, v[5:6]
	s_delay_alu instid0(VALU_DEP_1)
	v_dual_mov_b32 v4, v6 :: v_dual_mov_b32 v5, v7
.LBB415_55:
	v_cmp_ne_u32_e32 vcc_lo, 1, v14
	v_add_nc_u32_e32 v8, 0x180, v12
	s_cbranch_vccnz .LBB415_61
; %bb.56:
	v_dual_mov_b32 v6, 0 :: v_dual_mov_b32 v7, 0
	s_cmp_lg_u32 s22, 0
	s_mov_b32 s6, 0
	s_cbranch_scc0 .LBB415_65
; %bb.57:
	s_min_u32 s7, s23, 15
	v_mov_b32_e32 v6, 0
	s_add_i32 s7, s7, 1
	s_cmp_eq_u32 s23, 2
	s_mov_b32 s8, 0
	s_cbranch_scc1 .LBB415_62
; %bb.58:
	v_dual_mov_b32 v7, 0 :: v_dual_mov_b32 v6, 0
	v_mov_b32_e32 v9, v8
	s_add_u32 s2, s0, 0xc4
	s_addc_u32 s3, s1, 0
	s_and_b32 s8, s7, 28
	s_mov_b32 s9, 0
	s_mov_b64 s[4:5], s[0:1]
.LBB415_59:                             ; =>This Inner Loop Header: Depth=1
	s_clause 0x1
	s_load_b256 s[12:19], s[4:5], 0x4
	s_load_b128 s[36:39], s[4:5], 0x24
	s_load_b256 s[24:31], s[2:3], 0x0
	s_add_u32 s4, s4, 48
	s_addc_u32 s5, s5, 0
	s_add_i32 s9, s9, 4
	s_add_u32 s2, s2, 32
	s_addc_u32 s3, s3, 0
	s_cmp_lg_u32 s8, s9
	s_waitcnt lgkmcnt(0)
	v_mul_hi_u32 v10, s13, v9
	s_delay_alu instid0(VALU_DEP_1) | instskip(NEXT) | instid1(VALU_DEP_1)
	v_add_nc_u32_e32 v10, v9, v10
	v_lshrrev_b32_e32 v10, s14, v10
	s_delay_alu instid0(VALU_DEP_1) | instskip(SKIP_1) | instid1(VALU_DEP_2)
	v_mul_hi_u32 v11, s16, v10
	v_mul_lo_u32 v15, v10, s12
	v_add_nc_u32_e32 v11, v10, v11
	s_delay_alu instid0(VALU_DEP_2) | instskip(NEXT) | instid1(VALU_DEP_2)
	v_sub_nc_u32_e32 v9, v9, v15
	v_lshrrev_b32_e32 v11, s17, v11
	s_delay_alu instid0(VALU_DEP_2) | instskip(SKIP_1) | instid1(VALU_DEP_3)
	v_mul_lo_u32 v15, v9, s24
	v_mul_lo_u32 v18, v9, s25
	v_mul_hi_u32 v13, s19, v11
	s_delay_alu instid0(VALU_DEP_1) | instskip(NEXT) | instid1(VALU_DEP_1)
	v_add_nc_u32_e32 v13, v11, v13
	v_lshrrev_b32_e32 v13, s36, v13
	s_delay_alu instid0(VALU_DEP_1) | instskip(SKIP_1) | instid1(VALU_DEP_2)
	v_mul_hi_u32 v17, s38, v13
	v_mul_lo_u32 v19, v13, s18
	v_add_nc_u32_e32 v9, v13, v17
	v_mul_lo_u32 v17, v11, s15
	s_delay_alu instid0(VALU_DEP_3) | instskip(NEXT) | instid1(VALU_DEP_3)
	v_sub_nc_u32_e32 v11, v11, v19
	v_lshrrev_b32_e32 v9, s39, v9
	s_delay_alu instid0(VALU_DEP_2) | instskip(SKIP_2) | instid1(VALU_DEP_4)
	v_mul_lo_u32 v19, v11, s28
	v_mul_lo_u32 v11, v11, s29
	v_sub_nc_u32_e32 v10, v10, v17
	v_mul_lo_u32 v20, v9, s37
	s_delay_alu instid0(VALU_DEP_2) | instskip(SKIP_1) | instid1(VALU_DEP_3)
	v_mul_lo_u32 v17, v10, s26
	v_mul_lo_u32 v10, v10, s27
	v_sub_nc_u32_e32 v13, v13, v20
	s_delay_alu instid0(VALU_DEP_3) | instskip(NEXT) | instid1(VALU_DEP_2)
	v_add3_u32 v6, v15, v6, v17
	v_mul_lo_u32 v20, v13, s30
	v_mul_lo_u32 v13, v13, s31
	v_add3_u32 v7, v18, v7, v10
	s_delay_alu instid0(VALU_DEP_3) | instskip(NEXT) | instid1(VALU_DEP_2)
	v_add3_u32 v6, v19, v6, v20
	v_add3_u32 v7, v11, v7, v13
	s_cbranch_scc1 .LBB415_59
; %bb.60:
	s_and_b32 s7, s7, 3
	s_delay_alu instid0(SALU_CYCLE_1)
	s_cmp_eq_u32 s7, 0
	s_cbranch_scc0 .LBB415_63
	s_branch .LBB415_65
.LBB415_61:
	s_mov_b32 s6, -1
                                        ; implicit-def: $vgpr6
                                        ; implicit-def: $vgpr7
	s_branch .LBB415_65
.LBB415_62:
	v_mov_b32_e32 v9, v8
	v_mov_b32_e32 v7, 0
	s_and_b32 s7, s7, 3
	s_delay_alu instid0(SALU_CYCLE_1)
	s_cmp_eq_u32 s7, 0
	s_cbranch_scc1 .LBB415_65
.LBB415_63:
	s_lshl_b32 s2, s8, 3
	s_mul_i32 s4, s8, 12
	s_add_u32 s2, s2, s0
	s_addc_u32 s3, 0, s1
	s_add_u32 s2, s2, 0xc4
	s_addc_u32 s3, s3, 0
	;; [unrolled: 2-line block ×3, first 2 shown]
	.p2align	6
.LBB415_64:                             ; =>This Inner Loop Header: Depth=1
	s_clause 0x1
	s_load_b64 s[8:9], s[4:5], 0x4
	s_load_b32 s12, s[4:5], 0xc
	s_load_b64 s[10:11], s[2:3], 0x0
	s_add_u32 s4, s4, 12
	s_addc_u32 s5, s5, 0
	s_add_u32 s2, s2, 8
	s_addc_u32 s3, s3, 0
	s_add_i32 s7, s7, -1
	s_delay_alu instid0(SALU_CYCLE_1) | instskip(SKIP_2) | instid1(VALU_DEP_1)
	s_cmp_lg_u32 s7, 0
	s_waitcnt lgkmcnt(0)
	v_mul_hi_u32 v10, s9, v9
	v_add_nc_u32_e32 v10, v9, v10
	s_delay_alu instid0(VALU_DEP_1) | instskip(NEXT) | instid1(VALU_DEP_1)
	v_lshrrev_b32_e32 v13, s12, v10
	v_mul_lo_u32 v10, v13, s8
	s_delay_alu instid0(VALU_DEP_1) | instskip(NEXT) | instid1(VALU_DEP_1)
	v_sub_nc_u32_e32 v9, v9, v10
	v_mad_u64_u32 v[10:11], null, v9, s10, v[6:7]
	v_mad_u64_u32 v[17:18], null, v9, s11, v[7:8]
	s_delay_alu instid0(VALU_DEP_2) | instskip(NEXT) | instid1(VALU_DEP_2)
	v_dual_mov_b32 v9, v13 :: v_dual_mov_b32 v6, v10
	v_mov_b32_e32 v7, v17
	s_cbranch_scc1 .LBB415_64
.LBB415_65:
	s_and_not1_b32 vcc_lo, exec_lo, s6
	s_cbranch_vccnz .LBB415_68
; %bb.66:
	s_clause 0x1
	s_load_b128 s[4:7], s[0:1], 0x4
	s_load_b64 s[2:3], s[0:1], 0xc4
	s_cmp_lt_u32 s22, 2
	s_waitcnt lgkmcnt(0)
	v_mul_hi_u32 v6, s5, v8
	s_delay_alu instid0(VALU_DEP_1) | instskip(NEXT) | instid1(VALU_DEP_1)
	v_add_nc_u32_e32 v6, v8, v6
	v_lshrrev_b32_e32 v9, s6, v6
	s_delay_alu instid0(VALU_DEP_1) | instskip(NEXT) | instid1(VALU_DEP_1)
	v_mul_lo_u32 v6, v9, s4
	v_sub_nc_u32_e32 v7, v8, v6
	s_delay_alu instid0(VALU_DEP_1)
	v_mul_lo_u32 v6, v7, s2
	v_mul_lo_u32 v7, v7, s3
	s_cbranch_scc1 .LBB415_68
; %bb.67:
	s_clause 0x1
	s_load_b128 s[4:7], s[0:1], 0x10
	s_load_b64 s[2:3], s[0:1], 0xcc
	s_waitcnt lgkmcnt(0)
	v_mul_hi_u32 v8, s5, v9
	s_delay_alu instid0(VALU_DEP_1) | instskip(NEXT) | instid1(VALU_DEP_1)
	v_add_nc_u32_e32 v8, v9, v8
	v_lshrrev_b32_e32 v8, s6, v8
	s_delay_alu instid0(VALU_DEP_1) | instskip(NEXT) | instid1(VALU_DEP_1)
	v_mul_lo_u32 v8, v8, s4
	v_sub_nc_u32_e32 v11, v9, v8
	s_delay_alu instid0(VALU_DEP_1) | instskip(NEXT) | instid1(VALU_DEP_1)
	v_mad_u64_u32 v[8:9], null, v11, s2, v[6:7]
	v_mad_u64_u32 v[9:10], null, v11, s3, v[7:8]
	s_delay_alu instid0(VALU_DEP_1)
	v_dual_mov_b32 v6, v8 :: v_dual_mov_b32 v7, v9
.LBB415_68:
	v_cmp_ne_u32_e32 vcc_lo, 1, v14
	v_add_nc_u32_e32 v10, 0x200, v12
	s_cbranch_vccnz .LBB415_74
; %bb.69:
	v_dual_mov_b32 v8, 0 :: v_dual_mov_b32 v9, 0
	s_cmp_lg_u32 s22, 0
	s_mov_b32 s6, 0
	s_cbranch_scc0 .LBB415_78
; %bb.70:
	s_min_u32 s7, s23, 15
	v_mov_b32_e32 v8, 0
	s_add_i32 s7, s7, 1
	s_cmp_eq_u32 s23, 2
	s_mov_b32 s8, 0
	s_cbranch_scc1 .LBB415_75
; %bb.71:
	v_dual_mov_b32 v9, 0 :: v_dual_mov_b32 v8, 0
	v_mov_b32_e32 v11, v10
	s_add_u32 s2, s0, 0xc4
	s_addc_u32 s3, s1, 0
	s_and_b32 s8, s7, 28
	s_mov_b32 s9, 0
	s_mov_b64 s[4:5], s[0:1]
.LBB415_72:                             ; =>This Inner Loop Header: Depth=1
	s_clause 0x1
	s_load_b256 s[12:19], s[4:5], 0x4
	s_load_b128 s[36:39], s[4:5], 0x24
	s_load_b256 s[24:31], s[2:3], 0x0
	s_add_u32 s4, s4, 48
	s_addc_u32 s5, s5, 0
	s_add_i32 s9, s9, 4
	s_add_u32 s2, s2, 32
	s_addc_u32 s3, s3, 0
	s_cmp_lg_u32 s8, s9
	s_waitcnt lgkmcnt(0)
	v_mul_hi_u32 v13, s13, v11
	s_delay_alu instid0(VALU_DEP_1) | instskip(NEXT) | instid1(VALU_DEP_1)
	v_add_nc_u32_e32 v13, v11, v13
	v_lshrrev_b32_e32 v13, s14, v13
	s_delay_alu instid0(VALU_DEP_1) | instskip(SKIP_1) | instid1(VALU_DEP_2)
	v_mul_hi_u32 v15, s16, v13
	v_mul_lo_u32 v18, v13, s12
	v_add_nc_u32_e32 v15, v13, v15
	s_delay_alu instid0(VALU_DEP_2) | instskip(NEXT) | instid1(VALU_DEP_2)
	v_sub_nc_u32_e32 v11, v11, v18
	v_lshrrev_b32_e32 v15, s17, v15
	s_delay_alu instid0(VALU_DEP_2) | instskip(SKIP_1) | instid1(VALU_DEP_3)
	v_mul_lo_u32 v18, v11, s24
	v_mul_lo_u32 v20, v11, s25
	v_mul_hi_u32 v17, s19, v15
	s_delay_alu instid0(VALU_DEP_1) | instskip(NEXT) | instid1(VALU_DEP_1)
	v_add_nc_u32_e32 v17, v15, v17
	v_lshrrev_b32_e32 v17, s36, v17
	s_delay_alu instid0(VALU_DEP_1) | instskip(SKIP_1) | instid1(VALU_DEP_2)
	v_mul_hi_u32 v19, s38, v17
	v_mul_lo_u32 v21, v17, s18
	v_add_nc_u32_e32 v11, v17, v19
	v_mul_lo_u32 v19, v15, s15
	s_delay_alu instid0(VALU_DEP_3) | instskip(NEXT) | instid1(VALU_DEP_3)
	v_sub_nc_u32_e32 v15, v15, v21
	v_lshrrev_b32_e32 v11, s39, v11
	s_delay_alu instid0(VALU_DEP_2) | instskip(SKIP_2) | instid1(VALU_DEP_4)
	v_mul_lo_u32 v21, v15, s28
	v_mul_lo_u32 v15, v15, s29
	v_sub_nc_u32_e32 v13, v13, v19
	v_mul_lo_u32 v22, v11, s37
	s_delay_alu instid0(VALU_DEP_2) | instskip(SKIP_1) | instid1(VALU_DEP_3)
	v_mul_lo_u32 v19, v13, s26
	v_mul_lo_u32 v13, v13, s27
	v_sub_nc_u32_e32 v17, v17, v22
	s_delay_alu instid0(VALU_DEP_3) | instskip(NEXT) | instid1(VALU_DEP_2)
	v_add3_u32 v8, v18, v8, v19
	v_mul_lo_u32 v22, v17, s30
	v_mul_lo_u32 v17, v17, s31
	v_add3_u32 v9, v20, v9, v13
	s_delay_alu instid0(VALU_DEP_3) | instskip(NEXT) | instid1(VALU_DEP_2)
	v_add3_u32 v8, v21, v8, v22
	v_add3_u32 v9, v15, v9, v17
	s_cbranch_scc1 .LBB415_72
; %bb.73:
	s_and_b32 s7, s7, 3
	s_delay_alu instid0(SALU_CYCLE_1)
	s_cmp_eq_u32 s7, 0
	s_cbranch_scc0 .LBB415_76
	s_branch .LBB415_78
.LBB415_74:
	s_mov_b32 s6, -1
                                        ; implicit-def: $vgpr8
                                        ; implicit-def: $vgpr9
	s_branch .LBB415_78
.LBB415_75:
	v_mov_b32_e32 v11, v10
	v_mov_b32_e32 v9, 0
	s_and_b32 s7, s7, 3
	s_delay_alu instid0(SALU_CYCLE_1)
	s_cmp_eq_u32 s7, 0
	s_cbranch_scc1 .LBB415_78
.LBB415_76:
	s_lshl_b32 s2, s8, 3
	s_mul_i32 s4, s8, 12
	s_add_u32 s2, s2, s0
	s_addc_u32 s3, 0, s1
	s_add_u32 s2, s2, 0xc4
	s_addc_u32 s3, s3, 0
	;; [unrolled: 2-line block ×3, first 2 shown]
	.p2align	6
.LBB415_77:                             ; =>This Inner Loop Header: Depth=1
	s_clause 0x1
	s_load_b64 s[8:9], s[4:5], 0x4
	s_load_b32 s12, s[4:5], 0xc
	s_load_b64 s[10:11], s[2:3], 0x0
	s_add_u32 s4, s4, 12
	s_addc_u32 s5, s5, 0
	s_add_u32 s2, s2, 8
	s_addc_u32 s3, s3, 0
	s_add_i32 s7, s7, -1
	s_delay_alu instid0(SALU_CYCLE_1) | instskip(SKIP_2) | instid1(VALU_DEP_1)
	s_cmp_lg_u32 s7, 0
	s_waitcnt lgkmcnt(0)
	v_mul_hi_u32 v13, s9, v11
	v_add_nc_u32_e32 v13, v11, v13
	s_delay_alu instid0(VALU_DEP_1) | instskip(NEXT) | instid1(VALU_DEP_1)
	v_lshrrev_b32_e32 v13, s12, v13
	v_mul_lo_u32 v15, v13, s8
	s_delay_alu instid0(VALU_DEP_1) | instskip(NEXT) | instid1(VALU_DEP_1)
	v_sub_nc_u32_e32 v11, v11, v15
	v_mad_u64_u32 v[17:18], null, v11, s10, v[8:9]
	v_mad_u64_u32 v[18:19], null, v11, s11, v[9:10]
	v_mov_b32_e32 v11, v13
	s_delay_alu instid0(VALU_DEP_2)
	v_dual_mov_b32 v8, v17 :: v_dual_mov_b32 v9, v18
	s_cbranch_scc1 .LBB415_77
.LBB415_78:
	s_and_not1_b32 vcc_lo, exec_lo, s6
	s_cbranch_vccnz .LBB415_81
; %bb.79:
	s_clause 0x1
	s_load_b128 s[4:7], s[0:1], 0x4
	s_load_b64 s[2:3], s[0:1], 0xc4
	s_cmp_lt_u32 s22, 2
	s_waitcnt lgkmcnt(0)
	v_mul_hi_u32 v8, s5, v10
	s_delay_alu instid0(VALU_DEP_1) | instskip(NEXT) | instid1(VALU_DEP_1)
	v_add_nc_u32_e32 v8, v10, v8
	v_lshrrev_b32_e32 v11, s6, v8
	s_delay_alu instid0(VALU_DEP_1) | instskip(NEXT) | instid1(VALU_DEP_1)
	v_mul_lo_u32 v8, v11, s4
	v_sub_nc_u32_e32 v9, v10, v8
	s_delay_alu instid0(VALU_DEP_1)
	v_mul_lo_u32 v8, v9, s2
	v_mul_lo_u32 v9, v9, s3
	s_cbranch_scc1 .LBB415_81
; %bb.80:
	s_clause 0x1
	s_load_b128 s[4:7], s[0:1], 0x10
	s_load_b64 s[2:3], s[0:1], 0xcc
	s_waitcnt lgkmcnt(0)
	v_mul_hi_u32 v10, s5, v11
	s_delay_alu instid0(VALU_DEP_1) | instskip(NEXT) | instid1(VALU_DEP_1)
	v_add_nc_u32_e32 v10, v11, v10
	v_lshrrev_b32_e32 v10, s6, v10
	s_delay_alu instid0(VALU_DEP_1) | instskip(NEXT) | instid1(VALU_DEP_1)
	v_mul_lo_u32 v10, v10, s4
	v_sub_nc_u32_e32 v13, v11, v10
	s_delay_alu instid0(VALU_DEP_1) | instskip(NEXT) | instid1(VALU_DEP_1)
	v_mad_u64_u32 v[10:11], null, v13, s2, v[8:9]
	v_mad_u64_u32 v[17:18], null, v13, s3, v[9:10]
	s_delay_alu instid0(VALU_DEP_1)
	v_dual_mov_b32 v8, v10 :: v_dual_mov_b32 v9, v17
.LBB415_81:
	v_cmp_ne_u32_e32 vcc_lo, 1, v14
	v_add_nc_u32_e32 v13, 0x280, v12
	s_cbranch_vccnz .LBB415_87
; %bb.82:
	v_dual_mov_b32 v10, 0 :: v_dual_mov_b32 v11, 0
	s_cmp_lg_u32 s22, 0
	s_mov_b32 s6, 0
	s_cbranch_scc0 .LBB415_91
; %bb.83:
	s_min_u32 s7, s23, 15
	v_mov_b32_e32 v10, 0
	s_add_i32 s7, s7, 1
	s_cmp_eq_u32 s23, 2
	s_mov_b32 s8, 0
	s_cbranch_scc1 .LBB415_88
; %bb.84:
	v_dual_mov_b32 v11, 0 :: v_dual_mov_b32 v10, 0
	v_mov_b32_e32 v15, v13
	s_add_u32 s2, s0, 0xc4
	s_addc_u32 s3, s1, 0
	s_and_b32 s8, s7, 28
	s_mov_b32 s9, 0
	s_mov_b64 s[4:5], s[0:1]
.LBB415_85:                             ; =>This Inner Loop Header: Depth=1
	s_clause 0x1
	s_load_b256 s[12:19], s[4:5], 0x4
	s_load_b128 s[36:39], s[4:5], 0x24
	s_load_b256 s[24:31], s[2:3], 0x0
	s_add_u32 s4, s4, 48
	s_addc_u32 s5, s5, 0
	s_add_i32 s9, s9, 4
	s_add_u32 s2, s2, 32
	s_addc_u32 s3, s3, 0
	s_cmp_lg_u32 s8, s9
	s_waitcnt lgkmcnt(0)
	v_mul_hi_u32 v17, s13, v15
	s_delay_alu instid0(VALU_DEP_1) | instskip(NEXT) | instid1(VALU_DEP_1)
	v_add_nc_u32_e32 v17, v15, v17
	v_lshrrev_b32_e32 v17, s14, v17
	s_delay_alu instid0(VALU_DEP_1) | instskip(SKIP_1) | instid1(VALU_DEP_2)
	v_mul_hi_u32 v18, s16, v17
	v_mul_lo_u32 v20, v17, s12
	v_add_nc_u32_e32 v18, v17, v18
	s_delay_alu instid0(VALU_DEP_2) | instskip(NEXT) | instid1(VALU_DEP_2)
	v_sub_nc_u32_e32 v15, v15, v20
	v_lshrrev_b32_e32 v18, s17, v18
	s_delay_alu instid0(VALU_DEP_2) | instskip(SKIP_1) | instid1(VALU_DEP_3)
	v_mul_lo_u32 v20, v15, s24
	v_mul_lo_u32 v22, v15, s25
	v_mul_hi_u32 v19, s19, v18
	s_delay_alu instid0(VALU_DEP_1) | instskip(NEXT) | instid1(VALU_DEP_1)
	v_add_nc_u32_e32 v19, v18, v19
	v_lshrrev_b32_e32 v19, s36, v19
	s_delay_alu instid0(VALU_DEP_1) | instskip(SKIP_1) | instid1(VALU_DEP_2)
	v_mul_hi_u32 v21, s38, v19
	v_mul_lo_u32 v23, v19, s18
	v_add_nc_u32_e32 v15, v19, v21
	v_mul_lo_u32 v21, v18, s15
	s_delay_alu instid0(VALU_DEP_3) | instskip(NEXT) | instid1(VALU_DEP_3)
	v_sub_nc_u32_e32 v18, v18, v23
	v_lshrrev_b32_e32 v15, s39, v15
	s_delay_alu instid0(VALU_DEP_2) | instskip(SKIP_2) | instid1(VALU_DEP_4)
	v_mul_lo_u32 v23, v18, s28
	v_mul_lo_u32 v18, v18, s29
	v_sub_nc_u32_e32 v17, v17, v21
	v_mul_lo_u32 v24, v15, s37
	s_delay_alu instid0(VALU_DEP_2) | instskip(SKIP_1) | instid1(VALU_DEP_3)
	v_mul_lo_u32 v21, v17, s26
	v_mul_lo_u32 v17, v17, s27
	v_sub_nc_u32_e32 v19, v19, v24
	s_delay_alu instid0(VALU_DEP_3) | instskip(NEXT) | instid1(VALU_DEP_2)
	v_add3_u32 v10, v20, v10, v21
	v_mul_lo_u32 v24, v19, s30
	v_mul_lo_u32 v19, v19, s31
	v_add3_u32 v11, v22, v11, v17
	s_delay_alu instid0(VALU_DEP_3) | instskip(NEXT) | instid1(VALU_DEP_2)
	v_add3_u32 v10, v23, v10, v24
	v_add3_u32 v11, v18, v11, v19
	s_cbranch_scc1 .LBB415_85
; %bb.86:
	s_and_b32 s7, s7, 3
	s_delay_alu instid0(SALU_CYCLE_1)
	s_cmp_eq_u32 s7, 0
	s_cbranch_scc0 .LBB415_89
	s_branch .LBB415_91
.LBB415_87:
	s_mov_b32 s6, -1
                                        ; implicit-def: $vgpr10
                                        ; implicit-def: $vgpr11
	s_branch .LBB415_91
.LBB415_88:
	v_mov_b32_e32 v15, v13
	v_mov_b32_e32 v11, 0
	s_and_b32 s7, s7, 3
	s_delay_alu instid0(SALU_CYCLE_1)
	s_cmp_eq_u32 s7, 0
	s_cbranch_scc1 .LBB415_91
.LBB415_89:
	s_lshl_b32 s2, s8, 3
	s_mul_i32 s4, s8, 12
	s_add_u32 s2, s2, s0
	s_addc_u32 s3, 0, s1
	s_add_u32 s2, s2, 0xc4
	s_addc_u32 s3, s3, 0
	;; [unrolled: 2-line block ×3, first 2 shown]
	.p2align	6
.LBB415_90:                             ; =>This Inner Loop Header: Depth=1
	s_clause 0x1
	s_load_b64 s[8:9], s[4:5], 0x4
	s_load_b32 s12, s[4:5], 0xc
	s_load_b64 s[10:11], s[2:3], 0x0
	s_add_u32 s4, s4, 12
	s_addc_u32 s5, s5, 0
	s_add_u32 s2, s2, 8
	s_addc_u32 s3, s3, 0
	s_add_i32 s7, s7, -1
	s_delay_alu instid0(SALU_CYCLE_1) | instskip(SKIP_2) | instid1(VALU_DEP_1)
	s_cmp_lg_u32 s7, 0
	s_waitcnt lgkmcnt(0)
	v_mul_hi_u32 v17, s9, v15
	v_add_nc_u32_e32 v17, v15, v17
	s_delay_alu instid0(VALU_DEP_1) | instskip(NEXT) | instid1(VALU_DEP_1)
	v_lshrrev_b32_e32 v20, s12, v17
	v_mul_lo_u32 v17, v20, s8
	s_delay_alu instid0(VALU_DEP_1) | instskip(NEXT) | instid1(VALU_DEP_1)
	v_sub_nc_u32_e32 v15, v15, v17
	v_mad_u64_u32 v[17:18], null, v15, s10, v[10:11]
	v_mad_u64_u32 v[18:19], null, v15, s11, v[11:12]
	s_delay_alu instid0(VALU_DEP_2) | instskip(NEXT) | instid1(VALU_DEP_2)
	v_dual_mov_b32 v15, v20 :: v_dual_mov_b32 v10, v17
	v_mov_b32_e32 v11, v18
	s_cbranch_scc1 .LBB415_90
.LBB415_91:
	s_and_not1_b32 vcc_lo, exec_lo, s6
	s_cbranch_vccnz .LBB415_94
; %bb.92:
	s_clause 0x1
	s_load_b128 s[4:7], s[0:1], 0x4
	s_load_b64 s[2:3], s[0:1], 0xc4
	s_cmp_lt_u32 s22, 2
	s_waitcnt lgkmcnt(0)
	v_mul_hi_u32 v10, s5, v13
	s_delay_alu instid0(VALU_DEP_1) | instskip(NEXT) | instid1(VALU_DEP_1)
	v_add_nc_u32_e32 v10, v13, v10
	v_lshrrev_b32_e32 v15, s6, v10
	s_delay_alu instid0(VALU_DEP_1) | instskip(NEXT) | instid1(VALU_DEP_1)
	v_mul_lo_u32 v10, v15, s4
	v_sub_nc_u32_e32 v11, v13, v10
	s_delay_alu instid0(VALU_DEP_1)
	v_mul_lo_u32 v10, v11, s2
	v_mul_lo_u32 v11, v11, s3
	s_cbranch_scc1 .LBB415_94
; %bb.93:
	s_clause 0x1
	s_load_b128 s[4:7], s[0:1], 0x10
	s_load_b64 s[2:3], s[0:1], 0xcc
	s_waitcnt lgkmcnt(0)
	v_mul_hi_u32 v13, s5, v15
	s_delay_alu instid0(VALU_DEP_1) | instskip(NEXT) | instid1(VALU_DEP_1)
	v_add_nc_u32_e32 v13, v15, v13
	v_lshrrev_b32_e32 v13, s6, v13
	s_delay_alu instid0(VALU_DEP_1) | instskip(NEXT) | instid1(VALU_DEP_1)
	v_mul_lo_u32 v13, v13, s4
	v_sub_nc_u32_e32 v13, v15, v13
	s_delay_alu instid0(VALU_DEP_1) | instskip(SKIP_1) | instid1(VALU_DEP_1)
	v_mad_u64_u32 v[17:18], null, v13, s2, v[10:11]
	v_mad_u64_u32 v[18:19], null, v13, s3, v[11:12]
	v_dual_mov_b32 v10, v17 :: v_dual_mov_b32 v11, v18
.LBB415_94:
	v_cmp_ne_u32_e32 vcc_lo, 1, v14
	v_add_nc_u32_e32 v15, 0x300, v12
	s_cbranch_vccnz .LBB415_100
; %bb.95:
	v_dual_mov_b32 v12, 0 :: v_dual_mov_b32 v13, 0
	s_cmp_lg_u32 s22, 0
	s_mov_b32 s6, 0
	s_cbranch_scc0 .LBB415_104
; %bb.96:
	s_min_u32 s7, s23, 15
	v_mov_b32_e32 v12, 0
	s_add_i32 s7, s7, 1
	s_cmp_eq_u32 s23, 2
	s_mov_b32 s8, 0
	s_cbranch_scc1 .LBB415_101
; %bb.97:
	v_dual_mov_b32 v13, 0 :: v_dual_mov_b32 v12, 0
	v_mov_b32_e32 v17, v15
	s_add_u32 s2, s0, 0xc4
	s_addc_u32 s3, s1, 0
	s_and_b32 s8, s7, 28
	s_mov_b32 s9, 0
	s_mov_b64 s[4:5], s[0:1]
.LBB415_98:                             ; =>This Inner Loop Header: Depth=1
	s_clause 0x1
	s_load_b256 s[12:19], s[4:5], 0x4
	s_load_b128 s[36:39], s[4:5], 0x24
	s_load_b256 s[24:31], s[2:3], 0x0
	s_add_u32 s4, s4, 48
	s_addc_u32 s5, s5, 0
	s_add_i32 s9, s9, 4
	s_add_u32 s2, s2, 32
	s_addc_u32 s3, s3, 0
	s_cmp_lg_u32 s8, s9
	s_waitcnt lgkmcnt(0)
	v_mul_hi_u32 v18, s13, v17
	s_delay_alu instid0(VALU_DEP_1) | instskip(NEXT) | instid1(VALU_DEP_1)
	v_add_nc_u32_e32 v18, v17, v18
	v_lshrrev_b32_e32 v18, s14, v18
	s_delay_alu instid0(VALU_DEP_1) | instskip(SKIP_1) | instid1(VALU_DEP_2)
	v_mul_hi_u32 v19, s16, v18
	v_mul_lo_u32 v21, v18, s12
	v_add_nc_u32_e32 v19, v18, v19
	s_delay_alu instid0(VALU_DEP_2) | instskip(NEXT) | instid1(VALU_DEP_2)
	v_sub_nc_u32_e32 v17, v17, v21
	v_lshrrev_b32_e32 v19, s17, v19
	s_delay_alu instid0(VALU_DEP_2) | instskip(SKIP_1) | instid1(VALU_DEP_3)
	v_mul_lo_u32 v21, v17, s24
	v_mul_lo_u32 v23, v17, s25
	v_mul_hi_u32 v20, s19, v19
	s_delay_alu instid0(VALU_DEP_1) | instskip(NEXT) | instid1(VALU_DEP_1)
	v_add_nc_u32_e32 v20, v19, v20
	v_lshrrev_b32_e32 v20, s36, v20
	s_delay_alu instid0(VALU_DEP_1) | instskip(SKIP_1) | instid1(VALU_DEP_2)
	v_mul_hi_u32 v22, s38, v20
	v_mul_lo_u32 v24, v20, s18
	v_add_nc_u32_e32 v17, v20, v22
	v_mul_lo_u32 v22, v19, s15
	s_delay_alu instid0(VALU_DEP_3) | instskip(NEXT) | instid1(VALU_DEP_3)
	v_sub_nc_u32_e32 v19, v19, v24
	v_lshrrev_b32_e32 v17, s39, v17
	s_delay_alu instid0(VALU_DEP_2) | instskip(SKIP_2) | instid1(VALU_DEP_4)
	v_mul_lo_u32 v24, v19, s28
	v_mul_lo_u32 v19, v19, s29
	v_sub_nc_u32_e32 v18, v18, v22
	v_mul_lo_u32 v25, v17, s37
	s_delay_alu instid0(VALU_DEP_2) | instskip(SKIP_1) | instid1(VALU_DEP_3)
	v_mul_lo_u32 v22, v18, s26
	v_mul_lo_u32 v18, v18, s27
	v_sub_nc_u32_e32 v20, v20, v25
	s_delay_alu instid0(VALU_DEP_3) | instskip(NEXT) | instid1(VALU_DEP_2)
	v_add3_u32 v12, v21, v12, v22
	v_mul_lo_u32 v25, v20, s30
	v_mul_lo_u32 v20, v20, s31
	v_add3_u32 v13, v23, v13, v18
	s_delay_alu instid0(VALU_DEP_3) | instskip(NEXT) | instid1(VALU_DEP_2)
	v_add3_u32 v12, v24, v12, v25
	v_add3_u32 v13, v19, v13, v20
	s_cbranch_scc1 .LBB415_98
; %bb.99:
	s_and_b32 s7, s7, 3
	s_delay_alu instid0(SALU_CYCLE_1)
	s_cmp_eq_u32 s7, 0
	s_cbranch_scc0 .LBB415_102
	s_branch .LBB415_104
.LBB415_100:
	s_mov_b32 s6, -1
                                        ; implicit-def: $vgpr12
                                        ; implicit-def: $vgpr13
	s_branch .LBB415_104
.LBB415_101:
	v_mov_b32_e32 v17, v15
	v_mov_b32_e32 v13, 0
	s_and_b32 s7, s7, 3
	s_delay_alu instid0(SALU_CYCLE_1)
	s_cmp_eq_u32 s7, 0
	s_cbranch_scc1 .LBB415_104
.LBB415_102:
	s_lshl_b32 s2, s8, 3
	s_mul_i32 s4, s8, 12
	s_add_u32 s2, s2, s0
	s_addc_u32 s3, 0, s1
	s_add_u32 s2, s2, 0xc4
	s_addc_u32 s3, s3, 0
	;; [unrolled: 2-line block ×3, first 2 shown]
	.p2align	6
.LBB415_103:                            ; =>This Inner Loop Header: Depth=1
	s_clause 0x1
	s_load_b64 s[8:9], s[4:5], 0x4
	s_load_b32 s12, s[4:5], 0xc
	s_load_b64 s[10:11], s[2:3], 0x0
	s_add_u32 s4, s4, 12
	s_addc_u32 s5, s5, 0
	s_add_u32 s2, s2, 8
	s_addc_u32 s3, s3, 0
	s_add_i32 s7, s7, -1
	s_delay_alu instid0(SALU_CYCLE_1) | instskip(SKIP_2) | instid1(VALU_DEP_1)
	s_cmp_lg_u32 s7, 0
	s_waitcnt lgkmcnt(0)
	v_mul_hi_u32 v18, s9, v17
	v_add_nc_u32_e32 v18, v17, v18
	s_delay_alu instid0(VALU_DEP_1) | instskip(NEXT) | instid1(VALU_DEP_1)
	v_lshrrev_b32_e32 v21, s12, v18
	v_mul_lo_u32 v18, v21, s8
	s_delay_alu instid0(VALU_DEP_1) | instskip(NEXT) | instid1(VALU_DEP_1)
	v_sub_nc_u32_e32 v17, v17, v18
	v_mad_u64_u32 v[18:19], null, v17, s10, v[12:13]
	v_mad_u64_u32 v[19:20], null, v17, s11, v[13:14]
	s_delay_alu instid0(VALU_DEP_2) | instskip(NEXT) | instid1(VALU_DEP_2)
	v_dual_mov_b32 v17, v21 :: v_dual_mov_b32 v12, v18
	v_mov_b32_e32 v13, v19
	s_cbranch_scc1 .LBB415_103
.LBB415_104:
	s_and_not1_b32 vcc_lo, exec_lo, s6
	s_cbranch_vccnz .LBB415_107
; %bb.105:
	s_clause 0x1
	s_load_b128 s[4:7], s[0:1], 0x4
	s_load_b64 s[2:3], s[0:1], 0xc4
	s_cmp_lt_u32 s22, 2
	s_waitcnt lgkmcnt(0)
	v_mul_hi_u32 v12, s5, v15
	s_delay_alu instid0(VALU_DEP_1) | instskip(NEXT) | instid1(VALU_DEP_1)
	v_add_nc_u32_e32 v12, v15, v12
	v_lshrrev_b32_e32 v17, s6, v12
	s_delay_alu instid0(VALU_DEP_1) | instskip(NEXT) | instid1(VALU_DEP_1)
	v_mul_lo_u32 v12, v17, s4
	v_sub_nc_u32_e32 v13, v15, v12
	s_delay_alu instid0(VALU_DEP_1)
	v_mul_lo_u32 v12, v13, s2
	v_mul_lo_u32 v13, v13, s3
	s_cbranch_scc1 .LBB415_107
; %bb.106:
	s_clause 0x1
	s_load_b128 s[4:7], s[0:1], 0x10
	s_load_b64 s[2:3], s[0:1], 0xcc
	s_waitcnt lgkmcnt(0)
	v_mul_hi_u32 v15, s5, v17
	s_delay_alu instid0(VALU_DEP_1) | instskip(NEXT) | instid1(VALU_DEP_1)
	v_add_nc_u32_e32 v15, v17, v15
	v_lshrrev_b32_e32 v15, s6, v15
	s_delay_alu instid0(VALU_DEP_1) | instskip(NEXT) | instid1(VALU_DEP_1)
	v_mul_lo_u32 v15, v15, s4
	v_sub_nc_u32_e32 v15, v17, v15
	s_delay_alu instid0(VALU_DEP_1) | instskip(SKIP_1) | instid1(VALU_DEP_1)
	v_mad_u64_u32 v[17:18], null, v15, s2, v[12:13]
	v_mad_u64_u32 v[18:19], null, v15, s3, v[13:14]
	v_dual_mov_b32 v12, v17 :: v_dual_mov_b32 v13, v18
.LBB415_107:
	v_cmp_ne_u32_e32 vcc_lo, 1, v14
	s_cbranch_vccnz .LBB415_113
; %bb.108:
	v_dual_mov_b32 v14, 0 :: v_dual_mov_b32 v15, 0
	s_cmp_lg_u32 s22, 0
	s_mov_b32 s6, 0
	s_cbranch_scc0 .LBB415_117
; %bb.109:
	s_min_u32 s7, s23, 15
	v_mov_b32_e32 v14, 0
	s_add_i32 s7, s7, 1
	s_cmp_eq_u32 s23, 2
	s_mov_b32 s8, 0
	s_cbranch_scc1 .LBB415_114
; %bb.110:
	v_dual_mov_b32 v15, 0 :: v_dual_mov_b32 v14, 0
	v_mov_b32_e32 v17, v16
	s_add_u32 s2, s0, 0xc4
	s_addc_u32 s3, s1, 0
	s_and_b32 s8, s7, 28
	s_mov_b32 s9, 0
	s_mov_b64 s[4:5], s[0:1]
.LBB415_111:                            ; =>This Inner Loop Header: Depth=1
	s_clause 0x1
	s_load_b256 s[12:19], s[4:5], 0x4
	s_load_b128 s[36:39], s[4:5], 0x24
	s_load_b256 s[24:31], s[2:3], 0x0
	s_add_u32 s4, s4, 48
	s_addc_u32 s5, s5, 0
	s_add_i32 s9, s9, 4
	s_add_u32 s2, s2, 32
	s_addc_u32 s3, s3, 0
	s_cmp_lg_u32 s8, s9
	s_waitcnt lgkmcnt(0)
	v_mul_hi_u32 v18, s13, v17
	s_delay_alu instid0(VALU_DEP_1) | instskip(NEXT) | instid1(VALU_DEP_1)
	v_add_nc_u32_e32 v18, v17, v18
	v_lshrrev_b32_e32 v18, s14, v18
	s_delay_alu instid0(VALU_DEP_1) | instskip(SKIP_1) | instid1(VALU_DEP_2)
	v_mul_hi_u32 v19, s16, v18
	v_mul_lo_u32 v21, v18, s12
	v_add_nc_u32_e32 v19, v18, v19
	s_delay_alu instid0(VALU_DEP_2) | instskip(NEXT) | instid1(VALU_DEP_2)
	v_sub_nc_u32_e32 v17, v17, v21
	v_lshrrev_b32_e32 v19, s17, v19
	s_delay_alu instid0(VALU_DEP_2) | instskip(SKIP_1) | instid1(VALU_DEP_3)
	v_mul_lo_u32 v21, v17, s24
	v_mul_lo_u32 v23, v17, s25
	v_mul_hi_u32 v20, s19, v19
	s_delay_alu instid0(VALU_DEP_1) | instskip(NEXT) | instid1(VALU_DEP_1)
	v_add_nc_u32_e32 v20, v19, v20
	v_lshrrev_b32_e32 v20, s36, v20
	s_delay_alu instid0(VALU_DEP_1) | instskip(SKIP_1) | instid1(VALU_DEP_2)
	v_mul_hi_u32 v22, s38, v20
	v_mul_lo_u32 v24, v20, s18
	v_add_nc_u32_e32 v17, v20, v22
	v_mul_lo_u32 v22, v19, s15
	s_delay_alu instid0(VALU_DEP_3) | instskip(NEXT) | instid1(VALU_DEP_3)
	v_sub_nc_u32_e32 v19, v19, v24
	v_lshrrev_b32_e32 v17, s39, v17
	s_delay_alu instid0(VALU_DEP_2) | instskip(SKIP_2) | instid1(VALU_DEP_4)
	v_mul_lo_u32 v24, v19, s28
	v_mul_lo_u32 v19, v19, s29
	v_sub_nc_u32_e32 v18, v18, v22
	v_mul_lo_u32 v25, v17, s37
	s_delay_alu instid0(VALU_DEP_2) | instskip(SKIP_1) | instid1(VALU_DEP_3)
	v_mul_lo_u32 v22, v18, s26
	v_mul_lo_u32 v18, v18, s27
	v_sub_nc_u32_e32 v20, v20, v25
	s_delay_alu instid0(VALU_DEP_3) | instskip(NEXT) | instid1(VALU_DEP_2)
	v_add3_u32 v14, v21, v14, v22
	v_mul_lo_u32 v25, v20, s30
	v_mul_lo_u32 v20, v20, s31
	v_add3_u32 v15, v23, v15, v18
	s_delay_alu instid0(VALU_DEP_3) | instskip(NEXT) | instid1(VALU_DEP_2)
	v_add3_u32 v14, v24, v14, v25
	v_add3_u32 v15, v19, v15, v20
	s_cbranch_scc1 .LBB415_111
; %bb.112:
	s_and_b32 s7, s7, 3
	s_delay_alu instid0(SALU_CYCLE_1)
	s_cmp_eq_u32 s7, 0
	s_cbranch_scc0 .LBB415_115
	s_branch .LBB415_117
.LBB415_113:
	s_mov_b32 s6, -1
                                        ; implicit-def: $vgpr14
                                        ; implicit-def: $vgpr15
	s_branch .LBB415_117
.LBB415_114:
	v_mov_b32_e32 v17, v16
	v_mov_b32_e32 v15, 0
	s_and_b32 s7, s7, 3
	s_delay_alu instid0(SALU_CYCLE_1)
	s_cmp_eq_u32 s7, 0
	s_cbranch_scc1 .LBB415_117
.LBB415_115:
	s_lshl_b32 s2, s8, 3
	s_mul_i32 s4, s8, 12
	s_add_u32 s2, s2, s0
	s_addc_u32 s3, 0, s1
	s_add_u32 s2, s2, 0xc4
	s_addc_u32 s3, s3, 0
	;; [unrolled: 2-line block ×3, first 2 shown]
	.p2align	6
.LBB415_116:                            ; =>This Inner Loop Header: Depth=1
	s_clause 0x1
	s_load_b64 s[8:9], s[4:5], 0x4
	s_load_b32 s12, s[4:5], 0xc
	s_load_b64 s[10:11], s[2:3], 0x0
	s_add_u32 s4, s4, 12
	s_addc_u32 s5, s5, 0
	s_add_u32 s2, s2, 8
	s_addc_u32 s3, s3, 0
	s_add_i32 s7, s7, -1
	s_delay_alu instid0(SALU_CYCLE_1) | instskip(SKIP_2) | instid1(VALU_DEP_1)
	s_cmp_lg_u32 s7, 0
	s_waitcnt lgkmcnt(0)
	v_mul_hi_u32 v18, s9, v17
	v_add_nc_u32_e32 v18, v17, v18
	s_delay_alu instid0(VALU_DEP_1) | instskip(NEXT) | instid1(VALU_DEP_1)
	v_lshrrev_b32_e32 v21, s12, v18
	v_mul_lo_u32 v18, v21, s8
	s_delay_alu instid0(VALU_DEP_1) | instskip(NEXT) | instid1(VALU_DEP_1)
	v_sub_nc_u32_e32 v17, v17, v18
	v_mad_u64_u32 v[18:19], null, v17, s10, v[14:15]
	v_mad_u64_u32 v[19:20], null, v17, s11, v[15:16]
	s_delay_alu instid0(VALU_DEP_2) | instskip(NEXT) | instid1(VALU_DEP_2)
	v_dual_mov_b32 v17, v21 :: v_dual_mov_b32 v14, v18
	v_mov_b32_e32 v15, v19
	s_cbranch_scc1 .LBB415_116
.LBB415_117:
	s_and_not1_b32 vcc_lo, exec_lo, s6
	s_cbranch_vccnz .LBB415_120
; %bb.118:
	s_clause 0x1
	s_load_b128 s[4:7], s[0:1], 0x4
	s_load_b64 s[2:3], s[0:1], 0xc4
	s_cmp_lt_u32 s22, 2
	s_waitcnt lgkmcnt(0)
	v_mul_hi_u32 v14, s5, v16
	s_delay_alu instid0(VALU_DEP_1) | instskip(NEXT) | instid1(VALU_DEP_1)
	v_add_nc_u32_e32 v14, v16, v14
	v_lshrrev_b32_e32 v17, s6, v14
	s_delay_alu instid0(VALU_DEP_1) | instskip(NEXT) | instid1(VALU_DEP_1)
	v_mul_lo_u32 v14, v17, s4
	v_sub_nc_u32_e32 v15, v16, v14
	s_delay_alu instid0(VALU_DEP_1)
	v_mul_lo_u32 v14, v15, s2
	v_mul_lo_u32 v15, v15, s3
	s_cbranch_scc1 .LBB415_120
; %bb.119:
	s_clause 0x1
	s_load_b128 s[4:7], s[0:1], 0x10
	s_load_b64 s[2:3], s[0:1], 0xcc
	s_waitcnt lgkmcnt(0)
	v_mul_hi_u32 v16, s5, v17
	s_delay_alu instid0(VALU_DEP_1) | instskip(NEXT) | instid1(VALU_DEP_1)
	v_add_nc_u32_e32 v16, v17, v16
	v_lshrrev_b32_e32 v16, s6, v16
	s_delay_alu instid0(VALU_DEP_1) | instskip(NEXT) | instid1(VALU_DEP_1)
	v_mul_lo_u32 v16, v16, s4
	v_sub_nc_u32_e32 v19, v17, v16
	s_delay_alu instid0(VALU_DEP_1) | instskip(NEXT) | instid1(VALU_DEP_1)
	v_mad_u64_u32 v[16:17], null, v19, s2, v[14:15]
	v_mad_u64_u32 v[17:18], null, v19, s3, v[15:16]
	s_delay_alu instid0(VALU_DEP_1)
	v_dual_mov_b32 v14, v16 :: v_dual_mov_b32 v15, v17
.LBB415_120:
	s_clause 0x1
	s_load_b128 s[16:19], s[0:1], 0x148
	s_load_b32 s15, s[0:1], 0x158
	s_waitcnt lgkmcnt(0)
	s_clause 0x7
	global_load_u16 v1, v1, s[18:19]
	global_load_u16 v3, v3, s[18:19]
	;; [unrolled: 1-line block ×8, first 2 shown]
	s_lshl_b32 s14, s15, 16
	s_waitcnt vmcnt(7)
	v_lshlrev_b32_e32 v16, 16, v1
	s_waitcnt vmcnt(6)
	v_lshlrev_b32_e32 v17, 16, v3
	;; [unrolled: 2-line block ×5, first 2 shown]
	v_cmp_u_f32_e32 vcc_lo, v16, v16
	v_cmp_lt_f32_e64 s6, s14, v16
	v_cmp_u_f32_e64 s0, v17, v17
	v_cmp_lt_f32_e64 s7, s14, v17
	v_cmp_u_f32_e64 s1, v18, v18
	v_cmp_lt_f32_e64 s8, s14, v18
	s_waitcnt vmcnt(2)
	v_lshlrev_b32_e32 v21, 16, v11
	s_or_b32 vcc_lo, vcc_lo, s6
	v_cmp_u_f32_e64 s2, v19, v19
	v_cmp_lt_f32_e64 s9, s14, v19
	s_waitcnt vmcnt(1)
	v_lshlrev_b32_e32 v22, 16, v13
	v_cndmask_b32_e32 v1, s15, v1, vcc_lo
	s_or_b32 vcc_lo, s0, s7
	v_cmp_u_f32_e64 s3, v20, v20
	v_cmp_lt_f32_e64 s10, s14, v20
	s_waitcnt vmcnt(0)
	v_lshlrev_b32_e32 v23, 16, v15
	v_cndmask_b32_e32 v3, s15, v3, vcc_lo
	s_or_b32 vcc_lo, s1, s8
	v_cmp_u_f32_e64 s4, v21, v21
	v_cmp_lt_f32_e64 s11, s14, v21
	v_cndmask_b32_e32 v5, s15, v5, vcc_lo
	s_or_b32 vcc_lo, s2, s9
	v_cmp_u_f32_e64 s5, v22, v22
	v_cmp_lt_f32_e64 s12, s14, v22
	;; [unrolled: 4-line block ×3, first 2 shown]
	v_cndmask_b32_e32 v9, s15, v9, vcc_lo
	s_or_b32 vcc_lo, s4, s11
	v_cndmask_b32_e32 v11, s15, v11, vcc_lo
	s_or_b32 vcc_lo, s5, s12
	;; [unrolled: 2-line block ×3, first 2 shown]
	v_cndmask_b32_e32 v15, s15, v15, vcc_lo
	s_clause 0x7
	global_store_b16 v0, v1, s[16:17]
	global_store_b16 v2, v3, s[16:17]
	;; [unrolled: 1-line block ×8, first 2 shown]
	s_nop 0
	s_sendmsg sendmsg(MSG_DEALLOC_VGPRS)
	s_endpgm
.LBB415_121:
	v_dual_mov_b32 v2, v12 :: v_dual_mov_b32 v1, 0
.LBB415_122:
	s_and_b32 s36, s36, 3
	s_delay_alu instid0(SALU_CYCLE_1)
	s_cmp_eq_u32 s36, 0
	s_cbranch_scc1 .LBB415_125
; %bb.123:
	s_lshl_b32 s2, s35, 3
	s_mul_i32 s20, s35, 12
	s_add_u32 s2, s2, s0
	s_addc_u32 s3, s1, 0
	s_add_u32 s2, s2, 0xc4
	s_addc_u32 s3, s3, 0
	;; [unrolled: 2-line block ×3, first 2 shown]
	.p2align	6
.LBB415_124:                            ; =>This Inner Loop Header: Depth=1
	s_clause 0x1
	s_load_b64 s[38:39], s[20:21], 0x4
	s_load_b32 s35, s[20:21], 0xc
	s_load_b64 s[40:41], s[2:3], 0x0
	s_add_u32 s20, s20, 12
	s_addc_u32 s21, s21, 0
	s_add_u32 s2, s2, 8
	s_addc_u32 s3, s3, 0
	s_add_i32 s36, s36, -1
	s_delay_alu instid0(SALU_CYCLE_1) | instskip(SKIP_2) | instid1(VALU_DEP_1)
	s_cmp_lg_u32 s36, 0
	s_waitcnt lgkmcnt(0)
	v_mul_hi_u32 v3, s39, v2
	v_add_nc_u32_e32 v3, v2, v3
	s_delay_alu instid0(VALU_DEP_1) | instskip(NEXT) | instid1(VALU_DEP_1)
	v_lshrrev_b32_e32 v6, s35, v3
	v_mul_lo_u32 v3, v6, s38
	s_delay_alu instid0(VALU_DEP_1) | instskip(NEXT) | instid1(VALU_DEP_1)
	v_sub_nc_u32_e32 v2, v2, v3
	v_mad_u64_u32 v[3:4], null, v2, s40, v[0:1]
	v_mad_u64_u32 v[4:5], null, v2, s41, v[1:2]
	v_mov_b32_e32 v2, v6
	s_delay_alu instid0(VALU_DEP_2)
	v_dual_mov_b32 v0, v3 :: v_dual_mov_b32 v1, v4
	s_cbranch_scc1 .LBB415_124
.LBB415_125:
	s_and_not1_b32 vcc_lo, exec_lo, s34
	s_cbranch_vccnz .LBB415_128
; %bb.126:
	v_mul_hi_u32 v0, s9, v12
	s_and_not1_b32 vcc_lo, exec_lo, s28
	s_delay_alu instid0(VALU_DEP_1) | instskip(NEXT) | instid1(VALU_DEP_1)
	v_add_nc_u32_e32 v0, v12, v0
	v_lshrrev_b32_e32 v2, s10, v0
	s_delay_alu instid0(VALU_DEP_1) | instskip(NEXT) | instid1(VALU_DEP_1)
	v_mul_lo_u32 v0, v2, s8
	v_sub_nc_u32_e32 v1, v12, v0
	s_delay_alu instid0(VALU_DEP_1)
	v_mul_lo_u32 v0, v1, s12
	v_mul_lo_u32 v1, v1, s13
	s_cbranch_vccnz .LBB415_128
; %bb.127:
	v_mul_hi_u32 v3, s16, v2
	s_delay_alu instid0(VALU_DEP_1) | instskip(NEXT) | instid1(VALU_DEP_1)
	v_add_nc_u32_e32 v3, v2, v3
	v_lshrrev_b32_e32 v3, s17, v3
	s_delay_alu instid0(VALU_DEP_1) | instskip(NEXT) | instid1(VALU_DEP_1)
	v_mul_lo_u32 v3, v3, s11
	v_sub_nc_u32_e32 v5, v2, v3
	s_delay_alu instid0(VALU_DEP_1) | instskip(NEXT) | instid1(VALU_DEP_1)
	v_mad_u64_u32 v[2:3], null, v5, s14, v[0:1]
	v_mad_u64_u32 v[3:4], null, v5, s15, v[1:2]
	s_delay_alu instid0(VALU_DEP_1)
	v_dual_mov_b32 v0, v2 :: v_dual_mov_b32 v1, v3
.LBB415_128:
	global_load_u16 v1, v1, s[6:7]
	v_add_nc_u32_e32 v12, 0x80, v12
	s_waitcnt vmcnt(0)
	v_lshlrev_b32_e32 v2, 16, v1
	s_delay_alu instid0(VALU_DEP_1) | instskip(SKIP_1) | instid1(VALU_DEP_1)
	v_cmp_u_f32_e32 vcc_lo, v2, v2
	v_cmp_lt_f32_e64 s2, s27, v2
	s_or_b32 vcc_lo, vcc_lo, s2
	v_cndmask_b32_e32 v1, s26, v1, vcc_lo
	global_store_b16 v0, v1, s[4:5]
	s_or_b32 exec_lo, exec_lo, s33
	s_delay_alu instid0(SALU_CYCLE_1)
	s_mov_b32 s33, exec_lo
	v_cmpx_gt_i32_e64 s29, v12
	s_cbranch_execnz .LBB415_15
.LBB415_129:
	s_or_b32 exec_lo, exec_lo, s33
	s_delay_alu instid0(SALU_CYCLE_1)
	s_mov_b32 s33, exec_lo
	v_cmpx_gt_i32_e64 s29, v12
	s_cbranch_execz .LBB415_144
.LBB415_130:
	s_and_not1_b32 vcc_lo, exec_lo, s24
	s_cbranch_vccnz .LBB415_135
; %bb.131:
	v_dual_mov_b32 v0, 0 :: v_dual_mov_b32 v1, 0
	s_and_not1_b32 vcc_lo, exec_lo, s31
	s_mov_b32 s34, 0
	s_cbranch_vccnz .LBB415_155
; %bb.132:
	v_mov_b32_e32 v0, 0
	s_add_i32 s36, s30, 1
	s_cmp_eq_u32 s23, 2
	s_mov_b32 s35, 0
	s_cbranch_scc1 .LBB415_151
; %bb.133:
	v_dual_mov_b32 v1, 0 :: v_dual_mov_b32 v0, 0
	v_mov_b32_e32 v2, v12
	s_and_b32 s35, s36, 28
	s_mov_b32 s37, 0
	s_mov_b64 s[2:3], s[18:19]
	s_mov_b64 s[20:21], s[0:1]
.LBB415_134:                            ; =>This Inner Loop Header: Depth=1
	s_clause 0x1
	s_load_b256 s[40:47], s[20:21], 0x4
	s_load_b128 s[56:59], s[20:21], 0x24
	s_load_b256 s[48:55], s[2:3], 0x0
	s_add_u32 s20, s20, 48
	s_addc_u32 s21, s21, 0
	s_add_i32 s37, s37, 4
	s_add_u32 s2, s2, 32
	s_addc_u32 s3, s3, 0
	s_cmp_eq_u32 s35, s37
	s_waitcnt lgkmcnt(0)
	v_mul_hi_u32 v3, s41, v2
	s_delay_alu instid0(VALU_DEP_1) | instskip(NEXT) | instid1(VALU_DEP_1)
	v_add_nc_u32_e32 v3, v2, v3
	v_lshrrev_b32_e32 v3, s42, v3
	s_delay_alu instid0(VALU_DEP_1) | instskip(SKIP_1) | instid1(VALU_DEP_2)
	v_mul_hi_u32 v4, s44, v3
	v_mul_lo_u32 v6, v3, s40
	v_add_nc_u32_e32 v4, v3, v4
	s_delay_alu instid0(VALU_DEP_2) | instskip(NEXT) | instid1(VALU_DEP_2)
	v_sub_nc_u32_e32 v2, v2, v6
	v_lshrrev_b32_e32 v4, s45, v4
	s_delay_alu instid0(VALU_DEP_2) | instskip(SKIP_1) | instid1(VALU_DEP_3)
	v_mul_lo_u32 v6, v2, s48
	v_mul_lo_u32 v8, v2, s49
	v_mul_hi_u32 v5, s47, v4
	s_delay_alu instid0(VALU_DEP_1) | instskip(NEXT) | instid1(VALU_DEP_1)
	v_add_nc_u32_e32 v5, v4, v5
	v_lshrrev_b32_e32 v5, s56, v5
	s_delay_alu instid0(VALU_DEP_1) | instskip(SKIP_1) | instid1(VALU_DEP_2)
	v_mul_hi_u32 v7, s58, v5
	v_mul_lo_u32 v9, v5, s46
	v_add_nc_u32_e32 v2, v5, v7
	v_mul_lo_u32 v7, v4, s43
	s_delay_alu instid0(VALU_DEP_3) | instskip(NEXT) | instid1(VALU_DEP_3)
	v_sub_nc_u32_e32 v4, v4, v9
	v_lshrrev_b32_e32 v2, s59, v2
	s_delay_alu instid0(VALU_DEP_2) | instskip(SKIP_2) | instid1(VALU_DEP_4)
	v_mul_lo_u32 v9, v4, s52
	v_mul_lo_u32 v4, v4, s53
	v_sub_nc_u32_e32 v3, v3, v7
	v_mul_lo_u32 v10, v2, s57
	s_delay_alu instid0(VALU_DEP_2) | instskip(SKIP_1) | instid1(VALU_DEP_3)
	v_mul_lo_u32 v7, v3, s50
	v_mul_lo_u32 v3, v3, s51
	v_sub_nc_u32_e32 v5, v5, v10
	s_delay_alu instid0(VALU_DEP_3) | instskip(NEXT) | instid1(VALU_DEP_2)
	v_add3_u32 v0, v6, v0, v7
	v_mul_lo_u32 v10, v5, s54
	v_mul_lo_u32 v5, v5, s55
	v_add3_u32 v1, v8, v1, v3
	s_delay_alu instid0(VALU_DEP_3) | instskip(NEXT) | instid1(VALU_DEP_2)
	v_add3_u32 v0, v9, v0, v10
	v_add3_u32 v1, v4, v1, v5
	s_cbranch_scc0 .LBB415_134
	s_branch .LBB415_152
.LBB415_135:
	s_mov_b32 s34, -1
                                        ; implicit-def: $vgpr0
                                        ; implicit-def: $vgpr1
	s_branch .LBB415_155
.LBB415_136:
	v_dual_mov_b32 v2, v12 :: v_dual_mov_b32 v1, 0
.LBB415_137:
	s_and_b32 s36, s36, 3
	s_delay_alu instid0(SALU_CYCLE_1)
	s_cmp_eq_u32 s36, 0
	s_cbranch_scc1 .LBB415_140
; %bb.138:
	s_lshl_b32 s2, s35, 3
	s_mul_i32 s20, s35, 12
	s_add_u32 s2, s2, s0
	s_addc_u32 s3, s1, 0
	s_add_u32 s2, s2, 0xc4
	s_addc_u32 s3, s3, 0
	;; [unrolled: 2-line block ×3, first 2 shown]
	.p2align	6
.LBB415_139:                            ; =>This Inner Loop Header: Depth=1
	s_clause 0x1
	s_load_b64 s[38:39], s[20:21], 0x4
	s_load_b32 s35, s[20:21], 0xc
	s_load_b64 s[40:41], s[2:3], 0x0
	s_add_u32 s20, s20, 12
	s_addc_u32 s21, s21, 0
	s_add_u32 s2, s2, 8
	s_addc_u32 s3, s3, 0
	s_add_i32 s36, s36, -1
	s_delay_alu instid0(SALU_CYCLE_1) | instskip(SKIP_2) | instid1(VALU_DEP_1)
	s_cmp_lg_u32 s36, 0
	s_waitcnt lgkmcnt(0)
	v_mul_hi_u32 v3, s39, v2
	v_add_nc_u32_e32 v3, v2, v3
	s_delay_alu instid0(VALU_DEP_1) | instskip(NEXT) | instid1(VALU_DEP_1)
	v_lshrrev_b32_e32 v6, s35, v3
	v_mul_lo_u32 v3, v6, s38
	s_delay_alu instid0(VALU_DEP_1) | instskip(NEXT) | instid1(VALU_DEP_1)
	v_sub_nc_u32_e32 v2, v2, v3
	v_mad_u64_u32 v[3:4], null, v2, s40, v[0:1]
	v_mad_u64_u32 v[4:5], null, v2, s41, v[1:2]
	v_mov_b32_e32 v2, v6
	s_delay_alu instid0(VALU_DEP_2)
	v_dual_mov_b32 v0, v3 :: v_dual_mov_b32 v1, v4
	s_cbranch_scc1 .LBB415_139
.LBB415_140:
	s_and_not1_b32 vcc_lo, exec_lo, s34
	s_cbranch_vccnz .LBB415_143
; %bb.141:
	v_mul_hi_u32 v0, s9, v12
	s_and_not1_b32 vcc_lo, exec_lo, s28
	s_delay_alu instid0(VALU_DEP_1) | instskip(NEXT) | instid1(VALU_DEP_1)
	v_add_nc_u32_e32 v0, v12, v0
	v_lshrrev_b32_e32 v2, s10, v0
	s_delay_alu instid0(VALU_DEP_1) | instskip(NEXT) | instid1(VALU_DEP_1)
	v_mul_lo_u32 v0, v2, s8
	v_sub_nc_u32_e32 v1, v12, v0
	s_delay_alu instid0(VALU_DEP_1)
	v_mul_lo_u32 v0, v1, s12
	v_mul_lo_u32 v1, v1, s13
	s_cbranch_vccnz .LBB415_143
; %bb.142:
	v_mul_hi_u32 v3, s16, v2
	s_delay_alu instid0(VALU_DEP_1) | instskip(NEXT) | instid1(VALU_DEP_1)
	v_add_nc_u32_e32 v3, v2, v3
	v_lshrrev_b32_e32 v3, s17, v3
	s_delay_alu instid0(VALU_DEP_1) | instskip(NEXT) | instid1(VALU_DEP_1)
	v_mul_lo_u32 v3, v3, s11
	v_sub_nc_u32_e32 v5, v2, v3
	s_delay_alu instid0(VALU_DEP_1) | instskip(NEXT) | instid1(VALU_DEP_1)
	v_mad_u64_u32 v[2:3], null, v5, s14, v[0:1]
	v_mad_u64_u32 v[3:4], null, v5, s15, v[1:2]
	s_delay_alu instid0(VALU_DEP_1)
	v_dual_mov_b32 v0, v2 :: v_dual_mov_b32 v1, v3
.LBB415_143:
	global_load_u16 v1, v1, s[6:7]
	v_add_nc_u32_e32 v12, 0x80, v12
	s_waitcnt vmcnt(0)
	v_lshlrev_b32_e32 v2, 16, v1
	s_delay_alu instid0(VALU_DEP_1) | instskip(SKIP_1) | instid1(VALU_DEP_1)
	v_cmp_u_f32_e32 vcc_lo, v2, v2
	v_cmp_lt_f32_e64 s2, s27, v2
	s_or_b32 vcc_lo, vcc_lo, s2
	v_cndmask_b32_e32 v1, s26, v1, vcc_lo
	global_store_b16 v0, v1, s[4:5]
	s_or_b32 exec_lo, exec_lo, s33
	s_delay_alu instid0(SALU_CYCLE_1)
	s_mov_b32 s33, exec_lo
	v_cmpx_gt_i32_e64 s29, v12
	s_cbranch_execnz .LBB415_130
.LBB415_144:
	s_or_b32 exec_lo, exec_lo, s33
	s_delay_alu instid0(SALU_CYCLE_1)
	s_mov_b32 s33, exec_lo
	v_cmpx_gt_i32_e64 s29, v12
	s_cbranch_execz .LBB415_159
.LBB415_145:
	s_and_not1_b32 vcc_lo, exec_lo, s24
	s_cbranch_vccnz .LBB415_150
; %bb.146:
	v_dual_mov_b32 v0, 0 :: v_dual_mov_b32 v1, 0
	s_and_not1_b32 vcc_lo, exec_lo, s31
	s_mov_b32 s34, 0
	s_cbranch_vccnz .LBB415_170
; %bb.147:
	v_mov_b32_e32 v0, 0
	s_add_i32 s36, s30, 1
	s_cmp_eq_u32 s23, 2
	s_mov_b32 s35, 0
	s_cbranch_scc1 .LBB415_166
; %bb.148:
	v_dual_mov_b32 v1, 0 :: v_dual_mov_b32 v0, 0
	v_mov_b32_e32 v2, v12
	s_and_b32 s35, s36, 28
	s_mov_b32 s37, 0
	s_mov_b64 s[2:3], s[18:19]
	s_mov_b64 s[20:21], s[0:1]
.LBB415_149:                            ; =>This Inner Loop Header: Depth=1
	s_clause 0x1
	s_load_b256 s[40:47], s[20:21], 0x4
	s_load_b128 s[56:59], s[20:21], 0x24
	s_load_b256 s[48:55], s[2:3], 0x0
	s_add_u32 s20, s20, 48
	s_addc_u32 s21, s21, 0
	s_add_i32 s37, s37, 4
	s_add_u32 s2, s2, 32
	s_addc_u32 s3, s3, 0
	s_cmp_eq_u32 s35, s37
	s_waitcnt lgkmcnt(0)
	v_mul_hi_u32 v3, s41, v2
	s_delay_alu instid0(VALU_DEP_1) | instskip(NEXT) | instid1(VALU_DEP_1)
	v_add_nc_u32_e32 v3, v2, v3
	v_lshrrev_b32_e32 v3, s42, v3
	s_delay_alu instid0(VALU_DEP_1) | instskip(SKIP_1) | instid1(VALU_DEP_2)
	v_mul_hi_u32 v4, s44, v3
	v_mul_lo_u32 v6, v3, s40
	v_add_nc_u32_e32 v4, v3, v4
	s_delay_alu instid0(VALU_DEP_2) | instskip(NEXT) | instid1(VALU_DEP_2)
	v_sub_nc_u32_e32 v2, v2, v6
	v_lshrrev_b32_e32 v4, s45, v4
	s_delay_alu instid0(VALU_DEP_2) | instskip(SKIP_1) | instid1(VALU_DEP_3)
	v_mul_lo_u32 v6, v2, s48
	v_mul_lo_u32 v8, v2, s49
	v_mul_hi_u32 v5, s47, v4
	s_delay_alu instid0(VALU_DEP_1) | instskip(NEXT) | instid1(VALU_DEP_1)
	v_add_nc_u32_e32 v5, v4, v5
	v_lshrrev_b32_e32 v5, s56, v5
	s_delay_alu instid0(VALU_DEP_1) | instskip(SKIP_1) | instid1(VALU_DEP_2)
	v_mul_hi_u32 v7, s58, v5
	v_mul_lo_u32 v9, v5, s46
	v_add_nc_u32_e32 v2, v5, v7
	v_mul_lo_u32 v7, v4, s43
	s_delay_alu instid0(VALU_DEP_3) | instskip(NEXT) | instid1(VALU_DEP_3)
	v_sub_nc_u32_e32 v4, v4, v9
	v_lshrrev_b32_e32 v2, s59, v2
	s_delay_alu instid0(VALU_DEP_2) | instskip(SKIP_2) | instid1(VALU_DEP_4)
	v_mul_lo_u32 v9, v4, s52
	v_mul_lo_u32 v4, v4, s53
	v_sub_nc_u32_e32 v3, v3, v7
	v_mul_lo_u32 v10, v2, s57
	s_delay_alu instid0(VALU_DEP_2) | instskip(SKIP_1) | instid1(VALU_DEP_3)
	v_mul_lo_u32 v7, v3, s50
	v_mul_lo_u32 v3, v3, s51
	v_sub_nc_u32_e32 v5, v5, v10
	s_delay_alu instid0(VALU_DEP_3) | instskip(NEXT) | instid1(VALU_DEP_2)
	v_add3_u32 v0, v6, v0, v7
	v_mul_lo_u32 v10, v5, s54
	v_mul_lo_u32 v5, v5, s55
	v_add3_u32 v1, v8, v1, v3
	s_delay_alu instid0(VALU_DEP_3) | instskip(NEXT) | instid1(VALU_DEP_2)
	v_add3_u32 v0, v9, v0, v10
	v_add3_u32 v1, v4, v1, v5
	s_cbranch_scc0 .LBB415_149
	s_branch .LBB415_167
.LBB415_150:
	s_mov_b32 s34, -1
                                        ; implicit-def: $vgpr0
                                        ; implicit-def: $vgpr1
	s_branch .LBB415_170
.LBB415_151:
	v_dual_mov_b32 v2, v12 :: v_dual_mov_b32 v1, 0
.LBB415_152:
	s_and_b32 s36, s36, 3
	s_delay_alu instid0(SALU_CYCLE_1)
	s_cmp_eq_u32 s36, 0
	s_cbranch_scc1 .LBB415_155
; %bb.153:
	s_lshl_b32 s2, s35, 3
	s_mul_i32 s20, s35, 12
	s_add_u32 s2, s2, s0
	s_addc_u32 s3, s1, 0
	s_add_u32 s2, s2, 0xc4
	s_addc_u32 s3, s3, 0
	;; [unrolled: 2-line block ×3, first 2 shown]
	.p2align	6
.LBB415_154:                            ; =>This Inner Loop Header: Depth=1
	s_clause 0x1
	s_load_b64 s[38:39], s[20:21], 0x4
	s_load_b32 s35, s[20:21], 0xc
	s_load_b64 s[40:41], s[2:3], 0x0
	s_add_u32 s20, s20, 12
	s_addc_u32 s21, s21, 0
	s_add_u32 s2, s2, 8
	s_addc_u32 s3, s3, 0
	s_add_i32 s36, s36, -1
	s_delay_alu instid0(SALU_CYCLE_1) | instskip(SKIP_2) | instid1(VALU_DEP_1)
	s_cmp_lg_u32 s36, 0
	s_waitcnt lgkmcnt(0)
	v_mul_hi_u32 v3, s39, v2
	v_add_nc_u32_e32 v3, v2, v3
	s_delay_alu instid0(VALU_DEP_1) | instskip(NEXT) | instid1(VALU_DEP_1)
	v_lshrrev_b32_e32 v6, s35, v3
	v_mul_lo_u32 v3, v6, s38
	s_delay_alu instid0(VALU_DEP_1) | instskip(NEXT) | instid1(VALU_DEP_1)
	v_sub_nc_u32_e32 v2, v2, v3
	v_mad_u64_u32 v[3:4], null, v2, s40, v[0:1]
	v_mad_u64_u32 v[4:5], null, v2, s41, v[1:2]
	v_mov_b32_e32 v2, v6
	s_delay_alu instid0(VALU_DEP_2)
	v_dual_mov_b32 v0, v3 :: v_dual_mov_b32 v1, v4
	s_cbranch_scc1 .LBB415_154
.LBB415_155:
	s_and_not1_b32 vcc_lo, exec_lo, s34
	s_cbranch_vccnz .LBB415_158
; %bb.156:
	v_mul_hi_u32 v0, s9, v12
	s_and_not1_b32 vcc_lo, exec_lo, s28
	s_delay_alu instid0(VALU_DEP_1) | instskip(NEXT) | instid1(VALU_DEP_1)
	v_add_nc_u32_e32 v0, v12, v0
	v_lshrrev_b32_e32 v2, s10, v0
	s_delay_alu instid0(VALU_DEP_1) | instskip(NEXT) | instid1(VALU_DEP_1)
	v_mul_lo_u32 v0, v2, s8
	v_sub_nc_u32_e32 v1, v12, v0
	s_delay_alu instid0(VALU_DEP_1)
	v_mul_lo_u32 v0, v1, s12
	v_mul_lo_u32 v1, v1, s13
	s_cbranch_vccnz .LBB415_158
; %bb.157:
	v_mul_hi_u32 v3, s16, v2
	s_delay_alu instid0(VALU_DEP_1) | instskip(NEXT) | instid1(VALU_DEP_1)
	v_add_nc_u32_e32 v3, v2, v3
	v_lshrrev_b32_e32 v3, s17, v3
	s_delay_alu instid0(VALU_DEP_1) | instskip(NEXT) | instid1(VALU_DEP_1)
	v_mul_lo_u32 v3, v3, s11
	v_sub_nc_u32_e32 v5, v2, v3
	s_delay_alu instid0(VALU_DEP_1) | instskip(NEXT) | instid1(VALU_DEP_1)
	v_mad_u64_u32 v[2:3], null, v5, s14, v[0:1]
	v_mad_u64_u32 v[3:4], null, v5, s15, v[1:2]
	s_delay_alu instid0(VALU_DEP_1)
	v_dual_mov_b32 v0, v2 :: v_dual_mov_b32 v1, v3
.LBB415_158:
	global_load_u16 v1, v1, s[6:7]
	v_add_nc_u32_e32 v12, 0x80, v12
	s_waitcnt vmcnt(0)
	v_lshlrev_b32_e32 v2, 16, v1
	s_delay_alu instid0(VALU_DEP_1) | instskip(SKIP_1) | instid1(VALU_DEP_1)
	v_cmp_u_f32_e32 vcc_lo, v2, v2
	v_cmp_lt_f32_e64 s2, s27, v2
	s_or_b32 vcc_lo, vcc_lo, s2
	v_cndmask_b32_e32 v1, s26, v1, vcc_lo
	global_store_b16 v0, v1, s[4:5]
	s_or_b32 exec_lo, exec_lo, s33
	s_delay_alu instid0(SALU_CYCLE_1)
	s_mov_b32 s33, exec_lo
	v_cmpx_gt_i32_e64 s29, v12
	s_cbranch_execnz .LBB415_145
.LBB415_159:
	s_or_b32 exec_lo, exec_lo, s33
	s_delay_alu instid0(SALU_CYCLE_1)
	s_mov_b32 s33, exec_lo
	v_cmpx_gt_i32_e64 s29, v12
	s_cbranch_execz .LBB415_174
.LBB415_160:
	s_and_not1_b32 vcc_lo, exec_lo, s24
	s_cbranch_vccnz .LBB415_165
; %bb.161:
	v_dual_mov_b32 v0, 0 :: v_dual_mov_b32 v1, 0
	s_and_not1_b32 vcc_lo, exec_lo, s31
	s_mov_b32 s34, 0
	s_cbranch_vccnz .LBB415_185
; %bb.162:
	v_mov_b32_e32 v0, 0
	s_add_i32 s36, s30, 1
	s_cmp_eq_u32 s23, 2
	s_mov_b32 s35, 0
	s_cbranch_scc1 .LBB415_181
; %bb.163:
	v_dual_mov_b32 v1, 0 :: v_dual_mov_b32 v0, 0
	v_mov_b32_e32 v2, v12
	s_and_b32 s35, s36, 28
	s_mov_b32 s37, 0
	s_mov_b64 s[2:3], s[18:19]
	s_mov_b64 s[20:21], s[0:1]
.LBB415_164:                            ; =>This Inner Loop Header: Depth=1
	s_clause 0x1
	s_load_b256 s[40:47], s[20:21], 0x4
	s_load_b128 s[56:59], s[20:21], 0x24
	s_load_b256 s[48:55], s[2:3], 0x0
	s_add_u32 s20, s20, 48
	s_addc_u32 s21, s21, 0
	s_add_i32 s37, s37, 4
	s_add_u32 s2, s2, 32
	s_addc_u32 s3, s3, 0
	s_cmp_eq_u32 s35, s37
	s_waitcnt lgkmcnt(0)
	v_mul_hi_u32 v3, s41, v2
	s_delay_alu instid0(VALU_DEP_1) | instskip(NEXT) | instid1(VALU_DEP_1)
	v_add_nc_u32_e32 v3, v2, v3
	v_lshrrev_b32_e32 v3, s42, v3
	s_delay_alu instid0(VALU_DEP_1) | instskip(SKIP_1) | instid1(VALU_DEP_2)
	v_mul_hi_u32 v4, s44, v3
	v_mul_lo_u32 v6, v3, s40
	v_add_nc_u32_e32 v4, v3, v4
	s_delay_alu instid0(VALU_DEP_2) | instskip(NEXT) | instid1(VALU_DEP_2)
	v_sub_nc_u32_e32 v2, v2, v6
	v_lshrrev_b32_e32 v4, s45, v4
	s_delay_alu instid0(VALU_DEP_2) | instskip(SKIP_1) | instid1(VALU_DEP_3)
	v_mul_lo_u32 v6, v2, s48
	v_mul_lo_u32 v8, v2, s49
	v_mul_hi_u32 v5, s47, v4
	s_delay_alu instid0(VALU_DEP_1) | instskip(NEXT) | instid1(VALU_DEP_1)
	v_add_nc_u32_e32 v5, v4, v5
	v_lshrrev_b32_e32 v5, s56, v5
	s_delay_alu instid0(VALU_DEP_1) | instskip(SKIP_1) | instid1(VALU_DEP_2)
	v_mul_hi_u32 v7, s58, v5
	v_mul_lo_u32 v9, v5, s46
	v_add_nc_u32_e32 v2, v5, v7
	v_mul_lo_u32 v7, v4, s43
	s_delay_alu instid0(VALU_DEP_3) | instskip(NEXT) | instid1(VALU_DEP_3)
	v_sub_nc_u32_e32 v4, v4, v9
	v_lshrrev_b32_e32 v2, s59, v2
	s_delay_alu instid0(VALU_DEP_2) | instskip(SKIP_2) | instid1(VALU_DEP_4)
	v_mul_lo_u32 v9, v4, s52
	v_mul_lo_u32 v4, v4, s53
	v_sub_nc_u32_e32 v3, v3, v7
	v_mul_lo_u32 v10, v2, s57
	s_delay_alu instid0(VALU_DEP_2) | instskip(SKIP_1) | instid1(VALU_DEP_3)
	v_mul_lo_u32 v7, v3, s50
	v_mul_lo_u32 v3, v3, s51
	v_sub_nc_u32_e32 v5, v5, v10
	s_delay_alu instid0(VALU_DEP_3) | instskip(NEXT) | instid1(VALU_DEP_2)
	v_add3_u32 v0, v6, v0, v7
	v_mul_lo_u32 v10, v5, s54
	v_mul_lo_u32 v5, v5, s55
	v_add3_u32 v1, v8, v1, v3
	s_delay_alu instid0(VALU_DEP_3) | instskip(NEXT) | instid1(VALU_DEP_2)
	v_add3_u32 v0, v9, v0, v10
	v_add3_u32 v1, v4, v1, v5
	s_cbranch_scc0 .LBB415_164
	s_branch .LBB415_182
.LBB415_165:
	s_mov_b32 s34, -1
                                        ; implicit-def: $vgpr0
                                        ; implicit-def: $vgpr1
	s_branch .LBB415_185
.LBB415_166:
	v_dual_mov_b32 v2, v12 :: v_dual_mov_b32 v1, 0
.LBB415_167:
	s_and_b32 s36, s36, 3
	s_delay_alu instid0(SALU_CYCLE_1)
	s_cmp_eq_u32 s36, 0
	s_cbranch_scc1 .LBB415_170
; %bb.168:
	s_lshl_b32 s2, s35, 3
	s_mul_i32 s20, s35, 12
	s_add_u32 s2, s2, s0
	s_addc_u32 s3, s1, 0
	s_add_u32 s2, s2, 0xc4
	s_addc_u32 s3, s3, 0
	;; [unrolled: 2-line block ×3, first 2 shown]
	.p2align	6
.LBB415_169:                            ; =>This Inner Loop Header: Depth=1
	s_clause 0x1
	s_load_b64 s[38:39], s[20:21], 0x4
	s_load_b32 s35, s[20:21], 0xc
	s_load_b64 s[40:41], s[2:3], 0x0
	s_add_u32 s20, s20, 12
	s_addc_u32 s21, s21, 0
	s_add_u32 s2, s2, 8
	s_addc_u32 s3, s3, 0
	s_add_i32 s36, s36, -1
	s_delay_alu instid0(SALU_CYCLE_1) | instskip(SKIP_2) | instid1(VALU_DEP_1)
	s_cmp_lg_u32 s36, 0
	s_waitcnt lgkmcnt(0)
	v_mul_hi_u32 v3, s39, v2
	v_add_nc_u32_e32 v3, v2, v3
	s_delay_alu instid0(VALU_DEP_1) | instskip(NEXT) | instid1(VALU_DEP_1)
	v_lshrrev_b32_e32 v6, s35, v3
	v_mul_lo_u32 v3, v6, s38
	s_delay_alu instid0(VALU_DEP_1) | instskip(NEXT) | instid1(VALU_DEP_1)
	v_sub_nc_u32_e32 v2, v2, v3
	v_mad_u64_u32 v[3:4], null, v2, s40, v[0:1]
	v_mad_u64_u32 v[4:5], null, v2, s41, v[1:2]
	v_mov_b32_e32 v2, v6
	s_delay_alu instid0(VALU_DEP_2)
	v_dual_mov_b32 v0, v3 :: v_dual_mov_b32 v1, v4
	s_cbranch_scc1 .LBB415_169
.LBB415_170:
	s_and_not1_b32 vcc_lo, exec_lo, s34
	s_cbranch_vccnz .LBB415_173
; %bb.171:
	v_mul_hi_u32 v0, s9, v12
	s_and_not1_b32 vcc_lo, exec_lo, s28
	s_delay_alu instid0(VALU_DEP_1) | instskip(NEXT) | instid1(VALU_DEP_1)
	v_add_nc_u32_e32 v0, v12, v0
	v_lshrrev_b32_e32 v2, s10, v0
	s_delay_alu instid0(VALU_DEP_1) | instskip(NEXT) | instid1(VALU_DEP_1)
	v_mul_lo_u32 v0, v2, s8
	v_sub_nc_u32_e32 v1, v12, v0
	s_delay_alu instid0(VALU_DEP_1)
	v_mul_lo_u32 v0, v1, s12
	v_mul_lo_u32 v1, v1, s13
	s_cbranch_vccnz .LBB415_173
; %bb.172:
	v_mul_hi_u32 v3, s16, v2
	s_delay_alu instid0(VALU_DEP_1) | instskip(NEXT) | instid1(VALU_DEP_1)
	v_add_nc_u32_e32 v3, v2, v3
	v_lshrrev_b32_e32 v3, s17, v3
	s_delay_alu instid0(VALU_DEP_1) | instskip(NEXT) | instid1(VALU_DEP_1)
	v_mul_lo_u32 v3, v3, s11
	v_sub_nc_u32_e32 v5, v2, v3
	s_delay_alu instid0(VALU_DEP_1) | instskip(NEXT) | instid1(VALU_DEP_1)
	v_mad_u64_u32 v[2:3], null, v5, s14, v[0:1]
	v_mad_u64_u32 v[3:4], null, v5, s15, v[1:2]
	s_delay_alu instid0(VALU_DEP_1)
	v_dual_mov_b32 v0, v2 :: v_dual_mov_b32 v1, v3
.LBB415_173:
	global_load_u16 v1, v1, s[6:7]
	v_add_nc_u32_e32 v12, 0x80, v12
	s_waitcnt vmcnt(0)
	v_lshlrev_b32_e32 v2, 16, v1
	s_delay_alu instid0(VALU_DEP_1) | instskip(SKIP_1) | instid1(VALU_DEP_1)
	v_cmp_u_f32_e32 vcc_lo, v2, v2
	v_cmp_lt_f32_e64 s2, s27, v2
	s_or_b32 vcc_lo, vcc_lo, s2
	v_cndmask_b32_e32 v1, s26, v1, vcc_lo
	global_store_b16 v0, v1, s[4:5]
	s_or_b32 exec_lo, exec_lo, s33
	s_delay_alu instid0(SALU_CYCLE_1)
	s_mov_b32 s33, exec_lo
	v_cmpx_gt_i32_e64 s29, v12
	s_cbranch_execnz .LBB415_160
.LBB415_174:
	s_or_b32 exec_lo, exec_lo, s33
	s_delay_alu instid0(SALU_CYCLE_1)
	s_mov_b32 s33, exec_lo
	v_cmpx_gt_i32_e64 s29, v12
	s_cbranch_execz .LBB415_189
.LBB415_175:
	s_and_not1_b32 vcc_lo, exec_lo, s24
	s_cbranch_vccnz .LBB415_180
; %bb.176:
	v_dual_mov_b32 v0, 0 :: v_dual_mov_b32 v1, 0
	s_and_not1_b32 vcc_lo, exec_lo, s31
	s_mov_b32 s34, 0
	s_cbranch_vccnz .LBB415_200
; %bb.177:
	v_mov_b32_e32 v0, 0
	s_add_i32 s36, s30, 1
	s_cmp_eq_u32 s23, 2
	s_mov_b32 s35, 0
	s_cbranch_scc1 .LBB415_196
; %bb.178:
	v_dual_mov_b32 v1, 0 :: v_dual_mov_b32 v0, 0
	v_mov_b32_e32 v2, v12
	s_and_b32 s35, s36, 28
	s_mov_b32 s37, 0
	s_mov_b64 s[2:3], s[18:19]
	s_mov_b64 s[20:21], s[0:1]
.LBB415_179:                            ; =>This Inner Loop Header: Depth=1
	s_clause 0x1
	s_load_b256 s[40:47], s[20:21], 0x4
	s_load_b128 s[56:59], s[20:21], 0x24
	s_load_b256 s[48:55], s[2:3], 0x0
	s_add_u32 s20, s20, 48
	s_addc_u32 s21, s21, 0
	s_add_i32 s37, s37, 4
	s_add_u32 s2, s2, 32
	s_addc_u32 s3, s3, 0
	s_cmp_eq_u32 s35, s37
	s_waitcnt lgkmcnt(0)
	v_mul_hi_u32 v3, s41, v2
	s_delay_alu instid0(VALU_DEP_1) | instskip(NEXT) | instid1(VALU_DEP_1)
	v_add_nc_u32_e32 v3, v2, v3
	v_lshrrev_b32_e32 v3, s42, v3
	s_delay_alu instid0(VALU_DEP_1) | instskip(SKIP_1) | instid1(VALU_DEP_2)
	v_mul_hi_u32 v4, s44, v3
	v_mul_lo_u32 v6, v3, s40
	v_add_nc_u32_e32 v4, v3, v4
	s_delay_alu instid0(VALU_DEP_2) | instskip(NEXT) | instid1(VALU_DEP_2)
	v_sub_nc_u32_e32 v2, v2, v6
	v_lshrrev_b32_e32 v4, s45, v4
	s_delay_alu instid0(VALU_DEP_2) | instskip(SKIP_1) | instid1(VALU_DEP_3)
	v_mul_lo_u32 v6, v2, s48
	v_mul_lo_u32 v8, v2, s49
	v_mul_hi_u32 v5, s47, v4
	s_delay_alu instid0(VALU_DEP_1) | instskip(NEXT) | instid1(VALU_DEP_1)
	v_add_nc_u32_e32 v5, v4, v5
	v_lshrrev_b32_e32 v5, s56, v5
	s_delay_alu instid0(VALU_DEP_1) | instskip(SKIP_1) | instid1(VALU_DEP_2)
	v_mul_hi_u32 v7, s58, v5
	v_mul_lo_u32 v9, v5, s46
	v_add_nc_u32_e32 v2, v5, v7
	v_mul_lo_u32 v7, v4, s43
	s_delay_alu instid0(VALU_DEP_3) | instskip(NEXT) | instid1(VALU_DEP_3)
	v_sub_nc_u32_e32 v4, v4, v9
	v_lshrrev_b32_e32 v2, s59, v2
	s_delay_alu instid0(VALU_DEP_2) | instskip(SKIP_2) | instid1(VALU_DEP_4)
	v_mul_lo_u32 v9, v4, s52
	v_mul_lo_u32 v4, v4, s53
	v_sub_nc_u32_e32 v3, v3, v7
	v_mul_lo_u32 v10, v2, s57
	s_delay_alu instid0(VALU_DEP_2) | instskip(SKIP_1) | instid1(VALU_DEP_3)
	v_mul_lo_u32 v7, v3, s50
	v_mul_lo_u32 v3, v3, s51
	v_sub_nc_u32_e32 v5, v5, v10
	s_delay_alu instid0(VALU_DEP_3) | instskip(NEXT) | instid1(VALU_DEP_2)
	v_add3_u32 v0, v6, v0, v7
	v_mul_lo_u32 v10, v5, s54
	v_mul_lo_u32 v5, v5, s55
	v_add3_u32 v1, v8, v1, v3
	s_delay_alu instid0(VALU_DEP_3) | instskip(NEXT) | instid1(VALU_DEP_2)
	v_add3_u32 v0, v9, v0, v10
	v_add3_u32 v1, v4, v1, v5
	s_cbranch_scc0 .LBB415_179
	s_branch .LBB415_197
.LBB415_180:
	s_mov_b32 s34, -1
                                        ; implicit-def: $vgpr0
                                        ; implicit-def: $vgpr1
	s_branch .LBB415_200
.LBB415_181:
	v_dual_mov_b32 v2, v12 :: v_dual_mov_b32 v1, 0
.LBB415_182:
	s_and_b32 s36, s36, 3
	s_delay_alu instid0(SALU_CYCLE_1)
	s_cmp_eq_u32 s36, 0
	s_cbranch_scc1 .LBB415_185
; %bb.183:
	s_lshl_b32 s2, s35, 3
	s_mul_i32 s20, s35, 12
	s_add_u32 s2, s2, s0
	s_addc_u32 s3, s1, 0
	s_add_u32 s2, s2, 0xc4
	s_addc_u32 s3, s3, 0
	;; [unrolled: 2-line block ×3, first 2 shown]
	.p2align	6
.LBB415_184:                            ; =>This Inner Loop Header: Depth=1
	s_clause 0x1
	s_load_b64 s[38:39], s[20:21], 0x4
	s_load_b32 s35, s[20:21], 0xc
	s_load_b64 s[40:41], s[2:3], 0x0
	s_add_u32 s20, s20, 12
	s_addc_u32 s21, s21, 0
	s_add_u32 s2, s2, 8
	s_addc_u32 s3, s3, 0
	s_add_i32 s36, s36, -1
	s_delay_alu instid0(SALU_CYCLE_1) | instskip(SKIP_2) | instid1(VALU_DEP_1)
	s_cmp_lg_u32 s36, 0
	s_waitcnt lgkmcnt(0)
	v_mul_hi_u32 v3, s39, v2
	v_add_nc_u32_e32 v3, v2, v3
	s_delay_alu instid0(VALU_DEP_1) | instskip(NEXT) | instid1(VALU_DEP_1)
	v_lshrrev_b32_e32 v6, s35, v3
	v_mul_lo_u32 v3, v6, s38
	s_delay_alu instid0(VALU_DEP_1) | instskip(NEXT) | instid1(VALU_DEP_1)
	v_sub_nc_u32_e32 v2, v2, v3
	v_mad_u64_u32 v[3:4], null, v2, s40, v[0:1]
	v_mad_u64_u32 v[4:5], null, v2, s41, v[1:2]
	v_mov_b32_e32 v2, v6
	s_delay_alu instid0(VALU_DEP_2)
	v_dual_mov_b32 v0, v3 :: v_dual_mov_b32 v1, v4
	s_cbranch_scc1 .LBB415_184
.LBB415_185:
	s_and_not1_b32 vcc_lo, exec_lo, s34
	s_cbranch_vccnz .LBB415_188
; %bb.186:
	v_mul_hi_u32 v0, s9, v12
	s_and_not1_b32 vcc_lo, exec_lo, s28
	s_delay_alu instid0(VALU_DEP_1) | instskip(NEXT) | instid1(VALU_DEP_1)
	v_add_nc_u32_e32 v0, v12, v0
	v_lshrrev_b32_e32 v2, s10, v0
	s_delay_alu instid0(VALU_DEP_1) | instskip(NEXT) | instid1(VALU_DEP_1)
	v_mul_lo_u32 v0, v2, s8
	v_sub_nc_u32_e32 v1, v12, v0
	s_delay_alu instid0(VALU_DEP_1)
	v_mul_lo_u32 v0, v1, s12
	v_mul_lo_u32 v1, v1, s13
	s_cbranch_vccnz .LBB415_188
; %bb.187:
	v_mul_hi_u32 v3, s16, v2
	s_delay_alu instid0(VALU_DEP_1) | instskip(NEXT) | instid1(VALU_DEP_1)
	v_add_nc_u32_e32 v3, v2, v3
	v_lshrrev_b32_e32 v3, s17, v3
	s_delay_alu instid0(VALU_DEP_1) | instskip(NEXT) | instid1(VALU_DEP_1)
	v_mul_lo_u32 v3, v3, s11
	v_sub_nc_u32_e32 v5, v2, v3
	s_delay_alu instid0(VALU_DEP_1) | instskip(NEXT) | instid1(VALU_DEP_1)
	v_mad_u64_u32 v[2:3], null, v5, s14, v[0:1]
	v_mad_u64_u32 v[3:4], null, v5, s15, v[1:2]
	s_delay_alu instid0(VALU_DEP_1)
	v_dual_mov_b32 v0, v2 :: v_dual_mov_b32 v1, v3
.LBB415_188:
	global_load_u16 v1, v1, s[6:7]
	v_add_nc_u32_e32 v12, 0x80, v12
	s_waitcnt vmcnt(0)
	v_lshlrev_b32_e32 v2, 16, v1
	s_delay_alu instid0(VALU_DEP_1) | instskip(SKIP_1) | instid1(VALU_DEP_1)
	v_cmp_u_f32_e32 vcc_lo, v2, v2
	v_cmp_lt_f32_e64 s2, s27, v2
	s_or_b32 vcc_lo, vcc_lo, s2
	v_cndmask_b32_e32 v1, s26, v1, vcc_lo
	global_store_b16 v0, v1, s[4:5]
	s_or_b32 exec_lo, exec_lo, s33
	s_delay_alu instid0(SALU_CYCLE_1)
	s_mov_b32 s33, exec_lo
	v_cmpx_gt_i32_e64 s29, v12
	s_cbranch_execnz .LBB415_175
.LBB415_189:
	s_or_b32 exec_lo, exec_lo, s33
	s_delay_alu instid0(SALU_CYCLE_1)
	s_mov_b32 s33, exec_lo
	v_cmpx_gt_i32_e64 s29, v12
	s_cbranch_execz .LBB415_204
.LBB415_190:
	s_and_not1_b32 vcc_lo, exec_lo, s24
	s_cbranch_vccnz .LBB415_195
; %bb.191:
	v_dual_mov_b32 v0, 0 :: v_dual_mov_b32 v1, 0
	s_and_not1_b32 vcc_lo, exec_lo, s31
	s_mov_b32 s34, 0
	s_cbranch_vccnz .LBB415_211
; %bb.192:
	v_mov_b32_e32 v0, 0
	s_add_i32 s36, s30, 1
	s_cmp_eq_u32 s23, 2
	s_mov_b32 s35, 0
	s_cbranch_scc1 .LBB415_207
; %bb.193:
	v_dual_mov_b32 v1, 0 :: v_dual_mov_b32 v0, 0
	v_mov_b32_e32 v2, v12
	s_and_b32 s35, s36, 28
	s_mov_b32 s37, 0
	s_mov_b64 s[2:3], s[18:19]
	s_mov_b64 s[20:21], s[0:1]
.LBB415_194:                            ; =>This Inner Loop Header: Depth=1
	s_clause 0x1
	s_load_b256 s[40:47], s[20:21], 0x4
	s_load_b128 s[56:59], s[20:21], 0x24
	s_load_b256 s[48:55], s[2:3], 0x0
	s_add_u32 s20, s20, 48
	s_addc_u32 s21, s21, 0
	s_add_i32 s37, s37, 4
	s_add_u32 s2, s2, 32
	s_addc_u32 s3, s3, 0
	s_cmp_eq_u32 s35, s37
	s_waitcnt lgkmcnt(0)
	v_mul_hi_u32 v3, s41, v2
	s_delay_alu instid0(VALU_DEP_1) | instskip(NEXT) | instid1(VALU_DEP_1)
	v_add_nc_u32_e32 v3, v2, v3
	v_lshrrev_b32_e32 v3, s42, v3
	s_delay_alu instid0(VALU_DEP_1) | instskip(SKIP_1) | instid1(VALU_DEP_2)
	v_mul_hi_u32 v4, s44, v3
	v_mul_lo_u32 v6, v3, s40
	v_add_nc_u32_e32 v4, v3, v4
	s_delay_alu instid0(VALU_DEP_2) | instskip(NEXT) | instid1(VALU_DEP_2)
	v_sub_nc_u32_e32 v2, v2, v6
	v_lshrrev_b32_e32 v4, s45, v4
	s_delay_alu instid0(VALU_DEP_2) | instskip(SKIP_1) | instid1(VALU_DEP_3)
	v_mul_lo_u32 v6, v2, s48
	v_mul_lo_u32 v8, v2, s49
	v_mul_hi_u32 v5, s47, v4
	s_delay_alu instid0(VALU_DEP_1) | instskip(NEXT) | instid1(VALU_DEP_1)
	v_add_nc_u32_e32 v5, v4, v5
	v_lshrrev_b32_e32 v5, s56, v5
	s_delay_alu instid0(VALU_DEP_1) | instskip(SKIP_1) | instid1(VALU_DEP_2)
	v_mul_hi_u32 v7, s58, v5
	v_mul_lo_u32 v9, v5, s46
	v_add_nc_u32_e32 v2, v5, v7
	v_mul_lo_u32 v7, v4, s43
	s_delay_alu instid0(VALU_DEP_3) | instskip(NEXT) | instid1(VALU_DEP_3)
	v_sub_nc_u32_e32 v4, v4, v9
	v_lshrrev_b32_e32 v2, s59, v2
	s_delay_alu instid0(VALU_DEP_2) | instskip(SKIP_2) | instid1(VALU_DEP_4)
	v_mul_lo_u32 v9, v4, s52
	v_mul_lo_u32 v4, v4, s53
	v_sub_nc_u32_e32 v3, v3, v7
	v_mul_lo_u32 v10, v2, s57
	s_delay_alu instid0(VALU_DEP_2) | instskip(SKIP_1) | instid1(VALU_DEP_3)
	v_mul_lo_u32 v7, v3, s50
	v_mul_lo_u32 v3, v3, s51
	v_sub_nc_u32_e32 v5, v5, v10
	s_delay_alu instid0(VALU_DEP_3) | instskip(NEXT) | instid1(VALU_DEP_2)
	v_add3_u32 v0, v6, v0, v7
	v_mul_lo_u32 v10, v5, s54
	v_mul_lo_u32 v5, v5, s55
	v_add3_u32 v1, v8, v1, v3
	s_delay_alu instid0(VALU_DEP_3) | instskip(NEXT) | instid1(VALU_DEP_2)
	v_add3_u32 v0, v9, v0, v10
	v_add3_u32 v1, v4, v1, v5
	s_cbranch_scc0 .LBB415_194
	s_branch .LBB415_208
.LBB415_195:
	s_mov_b32 s34, -1
                                        ; implicit-def: $vgpr0
                                        ; implicit-def: $vgpr1
	s_branch .LBB415_211
.LBB415_196:
	v_dual_mov_b32 v2, v12 :: v_dual_mov_b32 v1, 0
.LBB415_197:
	s_and_b32 s36, s36, 3
	s_delay_alu instid0(SALU_CYCLE_1)
	s_cmp_eq_u32 s36, 0
	s_cbranch_scc1 .LBB415_200
; %bb.198:
	s_lshl_b32 s2, s35, 3
	s_mul_i32 s20, s35, 12
	s_add_u32 s2, s2, s0
	s_addc_u32 s3, s1, 0
	s_add_u32 s2, s2, 0xc4
	s_addc_u32 s3, s3, 0
	;; [unrolled: 2-line block ×3, first 2 shown]
	.p2align	6
.LBB415_199:                            ; =>This Inner Loop Header: Depth=1
	s_clause 0x1
	s_load_b64 s[38:39], s[20:21], 0x4
	s_load_b32 s35, s[20:21], 0xc
	s_load_b64 s[40:41], s[2:3], 0x0
	s_add_u32 s20, s20, 12
	s_addc_u32 s21, s21, 0
	s_add_u32 s2, s2, 8
	s_addc_u32 s3, s3, 0
	s_add_i32 s36, s36, -1
	s_delay_alu instid0(SALU_CYCLE_1) | instskip(SKIP_2) | instid1(VALU_DEP_1)
	s_cmp_lg_u32 s36, 0
	s_waitcnt lgkmcnt(0)
	v_mul_hi_u32 v3, s39, v2
	v_add_nc_u32_e32 v3, v2, v3
	s_delay_alu instid0(VALU_DEP_1) | instskip(NEXT) | instid1(VALU_DEP_1)
	v_lshrrev_b32_e32 v6, s35, v3
	v_mul_lo_u32 v3, v6, s38
	s_delay_alu instid0(VALU_DEP_1) | instskip(NEXT) | instid1(VALU_DEP_1)
	v_sub_nc_u32_e32 v2, v2, v3
	v_mad_u64_u32 v[3:4], null, v2, s40, v[0:1]
	v_mad_u64_u32 v[4:5], null, v2, s41, v[1:2]
	v_mov_b32_e32 v2, v6
	s_delay_alu instid0(VALU_DEP_2)
	v_dual_mov_b32 v0, v3 :: v_dual_mov_b32 v1, v4
	s_cbranch_scc1 .LBB415_199
.LBB415_200:
	s_and_not1_b32 vcc_lo, exec_lo, s34
	s_cbranch_vccnz .LBB415_203
; %bb.201:
	v_mul_hi_u32 v0, s9, v12
	s_and_not1_b32 vcc_lo, exec_lo, s28
	s_delay_alu instid0(VALU_DEP_1) | instskip(NEXT) | instid1(VALU_DEP_1)
	v_add_nc_u32_e32 v0, v12, v0
	v_lshrrev_b32_e32 v2, s10, v0
	s_delay_alu instid0(VALU_DEP_1) | instskip(NEXT) | instid1(VALU_DEP_1)
	v_mul_lo_u32 v0, v2, s8
	v_sub_nc_u32_e32 v1, v12, v0
	s_delay_alu instid0(VALU_DEP_1)
	v_mul_lo_u32 v0, v1, s12
	v_mul_lo_u32 v1, v1, s13
	s_cbranch_vccnz .LBB415_203
; %bb.202:
	v_mul_hi_u32 v3, s16, v2
	s_delay_alu instid0(VALU_DEP_1) | instskip(NEXT) | instid1(VALU_DEP_1)
	v_add_nc_u32_e32 v3, v2, v3
	v_lshrrev_b32_e32 v3, s17, v3
	s_delay_alu instid0(VALU_DEP_1) | instskip(NEXT) | instid1(VALU_DEP_1)
	v_mul_lo_u32 v3, v3, s11
	v_sub_nc_u32_e32 v5, v2, v3
	s_delay_alu instid0(VALU_DEP_1) | instskip(NEXT) | instid1(VALU_DEP_1)
	v_mad_u64_u32 v[2:3], null, v5, s14, v[0:1]
	v_mad_u64_u32 v[3:4], null, v5, s15, v[1:2]
	s_delay_alu instid0(VALU_DEP_1)
	v_dual_mov_b32 v0, v2 :: v_dual_mov_b32 v1, v3
.LBB415_203:
	global_load_u16 v1, v1, s[6:7]
	v_add_nc_u32_e32 v12, 0x80, v12
	s_waitcnt vmcnt(0)
	v_lshlrev_b32_e32 v2, 16, v1
	s_delay_alu instid0(VALU_DEP_1) | instskip(SKIP_1) | instid1(VALU_DEP_1)
	v_cmp_u_f32_e32 vcc_lo, v2, v2
	v_cmp_lt_f32_e64 s2, s27, v2
	s_or_b32 vcc_lo, vcc_lo, s2
	v_cndmask_b32_e32 v1, s26, v1, vcc_lo
	global_store_b16 v0, v1, s[4:5]
	s_or_b32 exec_lo, exec_lo, s33
	s_delay_alu instid0(SALU_CYCLE_1)
	s_mov_b32 s33, exec_lo
	v_cmpx_gt_i32_e64 s29, v12
	s_cbranch_execnz .LBB415_190
.LBB415_204:
	s_or_b32 exec_lo, exec_lo, s33
	s_delay_alu instid0(SALU_CYCLE_1)
	s_mov_b32 s20, exec_lo
	v_cmpx_gt_i32_e64 s29, v12
	s_cbranch_execnz .LBB415_215
.LBB415_205:
	s_or_b32 exec_lo, exec_lo, s20
                                        ; implicit-def: $vgpr16
                                        ; implicit-def: $vgpr12
	s_and_not1_saveexec_b32 s2, s25
	s_cbranch_execnz .LBB415_8
.LBB415_206:
	s_nop 0
	s_sendmsg sendmsg(MSG_DEALLOC_VGPRS)
	s_endpgm
.LBB415_207:
	v_dual_mov_b32 v2, v12 :: v_dual_mov_b32 v1, 0
.LBB415_208:
	s_and_b32 s36, s36, 3
	s_delay_alu instid0(SALU_CYCLE_1)
	s_cmp_eq_u32 s36, 0
	s_cbranch_scc1 .LBB415_211
; %bb.209:
	s_lshl_b32 s2, s35, 3
	s_mul_i32 s20, s35, 12
	s_add_u32 s2, s2, s0
	s_addc_u32 s3, s1, 0
	s_add_u32 s2, s2, 0xc4
	s_addc_u32 s3, s3, 0
	;; [unrolled: 2-line block ×3, first 2 shown]
	.p2align	6
.LBB415_210:                            ; =>This Inner Loop Header: Depth=1
	s_clause 0x1
	s_load_b64 s[38:39], s[20:21], 0x4
	s_load_b32 s35, s[20:21], 0xc
	s_load_b64 s[40:41], s[2:3], 0x0
	s_add_u32 s20, s20, 12
	s_addc_u32 s21, s21, 0
	s_add_u32 s2, s2, 8
	s_addc_u32 s3, s3, 0
	s_add_i32 s36, s36, -1
	s_delay_alu instid0(SALU_CYCLE_1) | instskip(SKIP_2) | instid1(VALU_DEP_1)
	s_cmp_lg_u32 s36, 0
	s_waitcnt lgkmcnt(0)
	v_mul_hi_u32 v3, s39, v2
	v_add_nc_u32_e32 v3, v2, v3
	s_delay_alu instid0(VALU_DEP_1) | instskip(NEXT) | instid1(VALU_DEP_1)
	v_lshrrev_b32_e32 v6, s35, v3
	v_mul_lo_u32 v3, v6, s38
	s_delay_alu instid0(VALU_DEP_1) | instskip(NEXT) | instid1(VALU_DEP_1)
	v_sub_nc_u32_e32 v2, v2, v3
	v_mad_u64_u32 v[3:4], null, v2, s40, v[0:1]
	v_mad_u64_u32 v[4:5], null, v2, s41, v[1:2]
	v_mov_b32_e32 v2, v6
	s_delay_alu instid0(VALU_DEP_2)
	v_dual_mov_b32 v0, v3 :: v_dual_mov_b32 v1, v4
	s_cbranch_scc1 .LBB415_210
.LBB415_211:
	s_and_not1_b32 vcc_lo, exec_lo, s34
	s_cbranch_vccnz .LBB415_214
; %bb.212:
	v_mul_hi_u32 v0, s9, v12
	s_and_not1_b32 vcc_lo, exec_lo, s28
	s_delay_alu instid0(VALU_DEP_1) | instskip(NEXT) | instid1(VALU_DEP_1)
	v_add_nc_u32_e32 v0, v12, v0
	v_lshrrev_b32_e32 v2, s10, v0
	s_delay_alu instid0(VALU_DEP_1) | instskip(NEXT) | instid1(VALU_DEP_1)
	v_mul_lo_u32 v0, v2, s8
	v_sub_nc_u32_e32 v1, v12, v0
	s_delay_alu instid0(VALU_DEP_1)
	v_mul_lo_u32 v0, v1, s12
	v_mul_lo_u32 v1, v1, s13
	s_cbranch_vccnz .LBB415_214
; %bb.213:
	v_mul_hi_u32 v3, s16, v2
	s_delay_alu instid0(VALU_DEP_1) | instskip(NEXT) | instid1(VALU_DEP_1)
	v_add_nc_u32_e32 v3, v2, v3
	v_lshrrev_b32_e32 v3, s17, v3
	s_delay_alu instid0(VALU_DEP_1) | instskip(NEXT) | instid1(VALU_DEP_1)
	v_mul_lo_u32 v3, v3, s11
	v_sub_nc_u32_e32 v5, v2, v3
	s_delay_alu instid0(VALU_DEP_1) | instskip(NEXT) | instid1(VALU_DEP_1)
	v_mad_u64_u32 v[2:3], null, v5, s14, v[0:1]
	v_mad_u64_u32 v[3:4], null, v5, s15, v[1:2]
	s_delay_alu instid0(VALU_DEP_1)
	v_dual_mov_b32 v0, v2 :: v_dual_mov_b32 v1, v3
.LBB415_214:
	global_load_u16 v1, v1, s[6:7]
	v_add_nc_u32_e32 v12, 0x80, v12
	s_waitcnt vmcnt(0)
	v_lshlrev_b32_e32 v2, 16, v1
	s_delay_alu instid0(VALU_DEP_1) | instskip(SKIP_1) | instid1(VALU_DEP_1)
	v_cmp_u_f32_e32 vcc_lo, v2, v2
	v_cmp_lt_f32_e64 s2, s27, v2
	s_or_b32 vcc_lo, vcc_lo, s2
	v_cndmask_b32_e32 v1, s26, v1, vcc_lo
	global_store_b16 v0, v1, s[4:5]
	s_or_b32 exec_lo, exec_lo, s33
	s_delay_alu instid0(SALU_CYCLE_1)
	s_mov_b32 s20, exec_lo
	v_cmpx_gt_i32_e64 s29, v12
	s_cbranch_execz .LBB415_205
.LBB415_215:
	s_and_not1_b32 vcc_lo, exec_lo, s24
	s_cbranch_vccnz .LBB415_220
; %bb.216:
	v_dual_mov_b32 v0, 0 :: v_dual_mov_b32 v1, 0
	s_and_not1_b32 vcc_lo, exec_lo, s31
	s_mov_b32 s21, 0
	s_cbranch_vccnz .LBB415_225
; %bb.217:
	v_mov_b32_e32 v0, 0
	s_add_i32 s30, s30, 1
	s_cmp_eq_u32 s23, 2
	s_mov_b32 s29, 0
	s_cbranch_scc1 .LBB415_221
; %bb.218:
	v_dual_mov_b32 v1, 0 :: v_dual_mov_b32 v0, 0
	v_mov_b32_e32 v2, v12
	s_and_b32 s29, s30, 28
	s_mov_b32 s31, 0
	s_mov_b64 s[2:3], s[0:1]
.LBB415_219:                            ; =>This Inner Loop Header: Depth=1
	s_clause 0x1
	s_load_b256 s[36:43], s[2:3], 0x4
	s_load_b128 s[52:55], s[2:3], 0x24
	s_load_b256 s[44:51], s[18:19], 0x0
	s_add_u32 s2, s2, 48
	s_addc_u32 s3, s3, 0
	s_add_i32 s31, s31, 4
	s_add_u32 s18, s18, 32
	s_addc_u32 s19, s19, 0
	s_cmp_eq_u32 s29, s31
	s_waitcnt lgkmcnt(0)
	v_mul_hi_u32 v3, s37, v2
	s_delay_alu instid0(VALU_DEP_1) | instskip(NEXT) | instid1(VALU_DEP_1)
	v_add_nc_u32_e32 v3, v2, v3
	v_lshrrev_b32_e32 v3, s38, v3
	s_delay_alu instid0(VALU_DEP_1) | instskip(SKIP_1) | instid1(VALU_DEP_2)
	v_mul_hi_u32 v4, s40, v3
	v_mul_lo_u32 v6, v3, s36
	v_add_nc_u32_e32 v4, v3, v4
	s_delay_alu instid0(VALU_DEP_2) | instskip(NEXT) | instid1(VALU_DEP_2)
	v_sub_nc_u32_e32 v2, v2, v6
	v_lshrrev_b32_e32 v4, s41, v4
	s_delay_alu instid0(VALU_DEP_2) | instskip(SKIP_1) | instid1(VALU_DEP_3)
	v_mul_lo_u32 v6, v2, s44
	v_mul_lo_u32 v8, v2, s45
	v_mul_hi_u32 v5, s43, v4
	s_delay_alu instid0(VALU_DEP_1) | instskip(NEXT) | instid1(VALU_DEP_1)
	v_add_nc_u32_e32 v5, v4, v5
	v_lshrrev_b32_e32 v5, s52, v5
	s_delay_alu instid0(VALU_DEP_1) | instskip(SKIP_1) | instid1(VALU_DEP_2)
	v_mul_hi_u32 v7, s54, v5
	v_mul_lo_u32 v9, v5, s42
	v_add_nc_u32_e32 v2, v5, v7
	v_mul_lo_u32 v7, v4, s39
	s_delay_alu instid0(VALU_DEP_3) | instskip(NEXT) | instid1(VALU_DEP_3)
	v_sub_nc_u32_e32 v4, v4, v9
	v_lshrrev_b32_e32 v2, s55, v2
	s_delay_alu instid0(VALU_DEP_2) | instskip(SKIP_2) | instid1(VALU_DEP_4)
	v_mul_lo_u32 v9, v4, s48
	v_mul_lo_u32 v4, v4, s49
	v_sub_nc_u32_e32 v3, v3, v7
	v_mul_lo_u32 v10, v2, s53
	s_delay_alu instid0(VALU_DEP_2) | instskip(SKIP_1) | instid1(VALU_DEP_3)
	v_mul_lo_u32 v7, v3, s46
	v_mul_lo_u32 v3, v3, s47
	v_sub_nc_u32_e32 v5, v5, v10
	s_delay_alu instid0(VALU_DEP_3) | instskip(NEXT) | instid1(VALU_DEP_2)
	v_add3_u32 v0, v6, v0, v7
	v_mul_lo_u32 v10, v5, s50
	v_mul_lo_u32 v5, v5, s51
	v_add3_u32 v1, v8, v1, v3
	s_delay_alu instid0(VALU_DEP_3) | instskip(NEXT) | instid1(VALU_DEP_2)
	v_add3_u32 v0, v9, v0, v10
	v_add3_u32 v1, v4, v1, v5
	s_cbranch_scc0 .LBB415_219
	s_branch .LBB415_222
.LBB415_220:
	s_mov_b32 s21, -1
                                        ; implicit-def: $vgpr0
                                        ; implicit-def: $vgpr1
	s_branch .LBB415_225
.LBB415_221:
	v_dual_mov_b32 v2, v12 :: v_dual_mov_b32 v1, 0
.LBB415_222:
	s_and_b32 s30, s30, 3
	s_delay_alu instid0(SALU_CYCLE_1)
	s_cmp_eq_u32 s30, 0
	s_cbranch_scc1 .LBB415_225
; %bb.223:
	s_lshl_b32 s2, s29, 3
	s_mul_i32 s18, s29, 12
	s_add_u32 s2, s2, s0
	s_addc_u32 s3, s1, 0
	s_add_u32 s2, s2, 0xc4
	s_addc_u32 s3, s3, 0
	;; [unrolled: 2-line block ×3, first 2 shown]
	.p2align	6
.LBB415_224:                            ; =>This Inner Loop Header: Depth=1
	s_clause 0x1
	s_load_b64 s[34:35], s[18:19], 0x4
	s_load_b32 s29, s[18:19], 0xc
	s_load_b64 s[36:37], s[2:3], 0x0
	s_add_u32 s18, s18, 12
	s_addc_u32 s19, s19, 0
	s_add_u32 s2, s2, 8
	s_addc_u32 s3, s3, 0
	s_add_i32 s30, s30, -1
	s_delay_alu instid0(SALU_CYCLE_1) | instskip(SKIP_2) | instid1(VALU_DEP_1)
	s_cmp_lg_u32 s30, 0
	s_waitcnt lgkmcnt(0)
	v_mul_hi_u32 v3, s35, v2
	v_add_nc_u32_e32 v3, v2, v3
	s_delay_alu instid0(VALU_DEP_1) | instskip(NEXT) | instid1(VALU_DEP_1)
	v_lshrrev_b32_e32 v6, s29, v3
	v_mul_lo_u32 v3, v6, s34
	s_delay_alu instid0(VALU_DEP_1) | instskip(NEXT) | instid1(VALU_DEP_1)
	v_sub_nc_u32_e32 v2, v2, v3
	v_mad_u64_u32 v[3:4], null, v2, s36, v[0:1]
	v_mad_u64_u32 v[4:5], null, v2, s37, v[1:2]
	v_mov_b32_e32 v2, v6
	s_delay_alu instid0(VALU_DEP_2)
	v_dual_mov_b32 v0, v3 :: v_dual_mov_b32 v1, v4
	s_cbranch_scc1 .LBB415_224
.LBB415_225:
	s_and_not1_b32 vcc_lo, exec_lo, s21
	s_cbranch_vccnz .LBB415_228
; %bb.226:
	v_mul_hi_u32 v0, s9, v12
	s_and_not1_b32 vcc_lo, exec_lo, s28
	s_delay_alu instid0(VALU_DEP_1) | instskip(NEXT) | instid1(VALU_DEP_1)
	v_add_nc_u32_e32 v0, v12, v0
	v_lshrrev_b32_e32 v2, s10, v0
	s_delay_alu instid0(VALU_DEP_1) | instskip(NEXT) | instid1(VALU_DEP_1)
	v_mul_lo_u32 v0, v2, s8
	v_sub_nc_u32_e32 v1, v12, v0
	s_delay_alu instid0(VALU_DEP_1)
	v_mul_lo_u32 v0, v1, s12
	v_mul_lo_u32 v1, v1, s13
	s_cbranch_vccnz .LBB415_228
; %bb.227:
	v_mul_hi_u32 v3, s16, v2
	s_delay_alu instid0(VALU_DEP_1) | instskip(NEXT) | instid1(VALU_DEP_1)
	v_add_nc_u32_e32 v3, v2, v3
	v_lshrrev_b32_e32 v3, s17, v3
	s_delay_alu instid0(VALU_DEP_1) | instskip(NEXT) | instid1(VALU_DEP_1)
	v_mul_lo_u32 v3, v3, s11
	v_sub_nc_u32_e32 v5, v2, v3
	s_delay_alu instid0(VALU_DEP_1) | instskip(NEXT) | instid1(VALU_DEP_1)
	v_mad_u64_u32 v[2:3], null, v5, s14, v[0:1]
	v_mad_u64_u32 v[3:4], null, v5, s15, v[1:2]
	s_delay_alu instid0(VALU_DEP_1)
	v_dual_mov_b32 v0, v2 :: v_dual_mov_b32 v1, v3
.LBB415_228:
	global_load_u16 v1, v1, s[6:7]
	s_waitcnt vmcnt(0)
	v_lshlrev_b32_e32 v2, 16, v1
	s_delay_alu instid0(VALU_DEP_1) | instskip(SKIP_1) | instid1(VALU_DEP_1)
	v_cmp_u_f32_e32 vcc_lo, v2, v2
	v_cmp_lt_f32_e64 s2, s27, v2
	s_or_b32 vcc_lo, vcc_lo, s2
	v_cndmask_b32_e32 v1, s26, v1, vcc_lo
	global_store_b16 v0, v1, s[4:5]
	s_or_b32 exec_lo, exec_lo, s20
                                        ; implicit-def: $vgpr16
                                        ; implicit-def: $vgpr12
	s_and_not1_saveexec_b32 s2, s25
	s_cbranch_execz .LBB415_206
	s_branch .LBB415_8
	.section	.rodata,"a",@progbits
	.p2align	6, 0x0
	.amdhsa_kernel _ZN2at6native32elementwise_kernel_manual_unrollILi128ELi8EZNS0_22gpu_kernel_impl_nocastIZZZNS0_21clamp_min_kernel_cudaERNS_18TensorIteratorBaseERKN3c106ScalarEENKUlvE_clEvENKUlvE7_clEvEUlNS5_8BFloat16EE_EEvS4_RKT_EUlibE_EEviT1_
		.amdhsa_group_segment_fixed_size 0
		.amdhsa_private_segment_fixed_size 0
		.amdhsa_kernarg_size 360
		.amdhsa_user_sgpr_count 15
		.amdhsa_user_sgpr_dispatch_ptr 0
		.amdhsa_user_sgpr_queue_ptr 0
		.amdhsa_user_sgpr_kernarg_segment_ptr 1
		.amdhsa_user_sgpr_dispatch_id 0
		.amdhsa_user_sgpr_private_segment_size 0
		.amdhsa_wavefront_size32 1
		.amdhsa_uses_dynamic_stack 0
		.amdhsa_enable_private_segment 0
		.amdhsa_system_sgpr_workgroup_id_x 1
		.amdhsa_system_sgpr_workgroup_id_y 0
		.amdhsa_system_sgpr_workgroup_id_z 0
		.amdhsa_system_sgpr_workgroup_info 0
		.amdhsa_system_vgpr_workitem_id 0
		.amdhsa_next_free_vgpr 26
		.amdhsa_next_free_sgpr 60
		.amdhsa_reserve_vcc 1
		.amdhsa_float_round_mode_32 0
		.amdhsa_float_round_mode_16_64 0
		.amdhsa_float_denorm_mode_32 3
		.amdhsa_float_denorm_mode_16_64 3
		.amdhsa_dx10_clamp 1
		.amdhsa_ieee_mode 1
		.amdhsa_fp16_overflow 0
		.amdhsa_workgroup_processor_mode 1
		.amdhsa_memory_ordered 1
		.amdhsa_forward_progress 0
		.amdhsa_shared_vgpr_count 0
		.amdhsa_exception_fp_ieee_invalid_op 0
		.amdhsa_exception_fp_denorm_src 0
		.amdhsa_exception_fp_ieee_div_zero 0
		.amdhsa_exception_fp_ieee_overflow 0
		.amdhsa_exception_fp_ieee_underflow 0
		.amdhsa_exception_fp_ieee_inexact 0
		.amdhsa_exception_int_div_zero 0
	.end_amdhsa_kernel
	.section	.text._ZN2at6native32elementwise_kernel_manual_unrollILi128ELi8EZNS0_22gpu_kernel_impl_nocastIZZZNS0_21clamp_min_kernel_cudaERNS_18TensorIteratorBaseERKN3c106ScalarEENKUlvE_clEvENKUlvE7_clEvEUlNS5_8BFloat16EE_EEvS4_RKT_EUlibE_EEviT1_,"axG",@progbits,_ZN2at6native32elementwise_kernel_manual_unrollILi128ELi8EZNS0_22gpu_kernel_impl_nocastIZZZNS0_21clamp_min_kernel_cudaERNS_18TensorIteratorBaseERKN3c106ScalarEENKUlvE_clEvENKUlvE7_clEvEUlNS5_8BFloat16EE_EEvS4_RKT_EUlibE_EEviT1_,comdat
.Lfunc_end415:
	.size	_ZN2at6native32elementwise_kernel_manual_unrollILi128ELi8EZNS0_22gpu_kernel_impl_nocastIZZZNS0_21clamp_min_kernel_cudaERNS_18TensorIteratorBaseERKN3c106ScalarEENKUlvE_clEvENKUlvE7_clEvEUlNS5_8BFloat16EE_EEvS4_RKT_EUlibE_EEviT1_, .Lfunc_end415-_ZN2at6native32elementwise_kernel_manual_unrollILi128ELi8EZNS0_22gpu_kernel_impl_nocastIZZZNS0_21clamp_min_kernel_cudaERNS_18TensorIteratorBaseERKN3c106ScalarEENKUlvE_clEvENKUlvE7_clEvEUlNS5_8BFloat16EE_EEvS4_RKT_EUlibE_EEviT1_
                                        ; -- End function
	.section	.AMDGPU.csdata,"",@progbits
; Kernel info:
; codeLenInByte = 13796
; NumSgprs: 62
; NumVgprs: 26
; ScratchSize: 0
; MemoryBound: 0
; FloatMode: 240
; IeeeMode: 1
; LDSByteSize: 0 bytes/workgroup (compile time only)
; SGPRBlocks: 7
; VGPRBlocks: 3
; NumSGPRsForWavesPerEU: 62
; NumVGPRsForWavesPerEU: 26
; Occupancy: 16
; WaveLimiterHint : 1
; COMPUTE_PGM_RSRC2:SCRATCH_EN: 0
; COMPUTE_PGM_RSRC2:USER_SGPR: 15
; COMPUTE_PGM_RSRC2:TRAP_HANDLER: 0
; COMPUTE_PGM_RSRC2:TGID_X_EN: 1
; COMPUTE_PGM_RSRC2:TGID_Y_EN: 0
; COMPUTE_PGM_RSRC2:TGID_Z_EN: 0
; COMPUTE_PGM_RSRC2:TIDIG_COMP_CNT: 0
	.section	.text._ZN2at6native32elementwise_kernel_manual_unrollILi128ELi4EZNS0_15gpu_kernel_implIZZZNS0_21clamp_min_kernel_cudaERNS_18TensorIteratorBaseERKN3c106ScalarEENKUlvE_clEvENKUlvE7_clEvEUlNS5_8BFloat16EE_EEvS4_RKT_EUlibE_EEviT1_,"axG",@progbits,_ZN2at6native32elementwise_kernel_manual_unrollILi128ELi4EZNS0_15gpu_kernel_implIZZZNS0_21clamp_min_kernel_cudaERNS_18TensorIteratorBaseERKN3c106ScalarEENKUlvE_clEvENKUlvE7_clEvEUlNS5_8BFloat16EE_EEvS4_RKT_EUlibE_EEviT1_,comdat
	.globl	_ZN2at6native32elementwise_kernel_manual_unrollILi128ELi4EZNS0_15gpu_kernel_implIZZZNS0_21clamp_min_kernel_cudaERNS_18TensorIteratorBaseERKN3c106ScalarEENKUlvE_clEvENKUlvE7_clEvEUlNS5_8BFloat16EE_EEvS4_RKT_EUlibE_EEviT1_ ; -- Begin function _ZN2at6native32elementwise_kernel_manual_unrollILi128ELi4EZNS0_15gpu_kernel_implIZZZNS0_21clamp_min_kernel_cudaERNS_18TensorIteratorBaseERKN3c106ScalarEENKUlvE_clEvENKUlvE7_clEvEUlNS5_8BFloat16EE_EEvS4_RKT_EUlibE_EEviT1_
	.p2align	8
	.type	_ZN2at6native32elementwise_kernel_manual_unrollILi128ELi4EZNS0_15gpu_kernel_implIZZZNS0_21clamp_min_kernel_cudaERNS_18TensorIteratorBaseERKN3c106ScalarEENKUlvE_clEvENKUlvE7_clEvEUlNS5_8BFloat16EE_EEvS4_RKT_EUlibE_EEviT1_,@function
_ZN2at6native32elementwise_kernel_manual_unrollILi128ELi4EZNS0_15gpu_kernel_implIZZZNS0_21clamp_min_kernel_cudaERNS_18TensorIteratorBaseERKN3c106ScalarEENKUlvE_clEvENKUlvE7_clEvEUlNS5_8BFloat16EE_EEvS4_RKT_EUlibE_EEviT1_: ; @_ZN2at6native32elementwise_kernel_manual_unrollILi128ELi4EZNS0_15gpu_kernel_implIZZZNS0_21clamp_min_kernel_cudaERNS_18TensorIteratorBaseERKN3c106ScalarEENKUlvE_clEvENKUlvE7_clEvEUlNS5_8BFloat16EE_EEvS4_RKT_EUlibE_EEviT1_
; %bb.0:
	s_clause 0x3
	s_load_b32 s10, s[0:1], 0x20
	s_load_b32 s14, s[0:1], 0x0
	s_load_b64 s[2:3], s[0:1], 0x18
	s_load_b128 s[4:7], s[0:1], 0x8
	v_lshl_or_b32 v2, s15, 9, v0
	s_mov_b32 s11, 0
	s_mov_b32 s13, 0
	s_mov_b32 s0, exec_lo
	s_delay_alu instid0(VALU_DEP_1)
	v_or_b32_e32 v0, 0x180, v2
	s_waitcnt lgkmcnt(0)
	s_and_b32 s8, s10, 0xffff
	s_lshr_b32 s9, s10, 16
	s_lshr_b32 s10, s10, 24
	v_cmpx_le_i32_e64 s14, v0
	s_xor_b32 s12, exec_lo, s0
	s_cbranch_execz .LBB416_1032
; %bb.1:
	s_lshl_b32 s13, s8, 16
	s_mov_b32 s1, -1
	s_mov_b32 s18, 0
	s_mov_b32 s16, 0
	;; [unrolled: 1-line block ×3, first 2 shown]
	s_mov_b32 s17, exec_lo
	v_cmpx_gt_i32_e64 s14, v2
	s_cbranch_execz .LBB416_251
; %bb.2:
	v_mul_lo_u32 v0, v2, s3
	v_cmp_lt_i16_e64 s0, s10, 11
	s_delay_alu instid0(VALU_DEP_2) | instskip(SKIP_1) | instid1(VALU_DEP_2)
	v_ashrrev_i32_e32 v1, 31, v0
	v_add_co_u32 v0, vcc_lo, s6, v0
	v_add_co_ci_u32_e32 v1, vcc_lo, s7, v1, vcc_lo
	s_delay_alu instid0(VALU_DEP_4)
	s_and_b32 vcc_lo, exec_lo, s0
	s_cbranch_vccnz .LBB416_9
; %bb.3:
	v_cmp_gt_i16_e64 s0, s10, 25
	s_delay_alu instid0(VALU_DEP_1)
	s_and_b32 vcc_lo, exec_lo, s0
	s_cbranch_vccz .LBB416_18
; %bb.4:
	v_cmp_gt_i16_e64 s0, s10, 28
	s_delay_alu instid0(VALU_DEP_1)
	s_and_b32 vcc_lo, exec_lo, s0
	s_cbranch_vccz .LBB416_21
	;; [unrolled: 5-line block ×4, first 2 shown]
; %bb.7:
	v_cmp_eq_u16_e64 s0, s10, 46
	s_mov_b32 s1, 0
	s_delay_alu instid0(VALU_DEP_1)
	s_and_b32 vcc_lo, exec_lo, s0
	s_cbranch_vccz .LBB416_26
; %bb.8:
	global_load_b32 v4, v[0:1], off
	s_mov_b32 s0, -1
	s_branch .LBB416_28
.LBB416_9:
	s_mov_b32 s0, 0
                                        ; implicit-def: $vgpr4
	s_and_b32 vcc_lo, exec_lo, s1
	s_cbranch_vccnz .LBB416_201
.LBB416_10:
	s_and_not1_b32 vcc_lo, exec_lo, s0
	s_cbranch_vccnz .LBB416_248
.LBB416_11:
	s_waitcnt vmcnt(0)
	s_delay_alu instid0(VALU_DEP_1) | instskip(SKIP_2) | instid1(VALU_DEP_3)
	v_lshlrev_b32_e32 v0, 16, v4
	v_mul_lo_u32 v1, v2, s2
	v_and_b32_e64 v3, 0xff, s9
	v_cmp_u_f32_e32 vcc_lo, v0, v0
	v_cmp_lt_f32_e64 s0, s13, v0
	s_delay_alu instid0(VALU_DEP_3) | instskip(SKIP_1) | instid1(VALU_DEP_3)
	v_cmp_gt_i16_e64 s1, 11, v3
	v_ashrrev_i32_e32 v5, 31, v1
	s_or_b32 vcc_lo, vcc_lo, s0
	v_cndmask_b32_e32 v4, s8, v4, vcc_lo
	v_add_co_u32 v0, vcc_lo, s4, v1
	s_delay_alu instid0(VALU_DEP_3)
	v_add_co_ci_u32_e32 v1, vcc_lo, s5, v5, vcc_lo
	s_and_b32 vcc_lo, exec_lo, s1
	s_cbranch_vccnz .LBB416_19
; %bb.12:
	v_cmp_lt_i16_e32 vcc_lo, 25, v3
	s_cbranch_vccz .LBB416_22
; %bb.13:
	v_cmp_lt_i16_e32 vcc_lo, 28, v3
	s_cbranch_vccz .LBB416_24
	;; [unrolled: 3-line block ×4, first 2 shown]
; %bb.16:
	v_cmp_eq_u16_e32 vcc_lo, 46, v3
	s_mov_b32 s15, 0
	s_mov_b32 s0, -1
	s_mov_b32 s1, 0
	s_cbranch_vccz .LBB416_32
; %bb.17:
	v_and_b32_e32 v5, 0xffff, v4
	s_mov_b32 s1, -1
	s_mov_b32 s0, 0
	global_store_b32 v[0:1], v5, off
	s_branch .LBB416_32
.LBB416_18:
	s_mov_b32 s0, 0
                                        ; implicit-def: $vgpr4
	s_and_b32 vcc_lo, exec_lo, s1
	s_cbranch_vccnz .LBB416_166
	s_branch .LBB416_200
.LBB416_19:
	s_mov_b32 s0, 0
	s_mov_b32 s1, 0
	s_cbranch_execnz .LBB416_101
.LBB416_20:
	s_and_not1_b32 vcc_lo, exec_lo, s1
	s_cbranch_vccnz .LBB416_249
	s_branch .LBB416_139
.LBB416_21:
	s_mov_b32 s0, 0
                                        ; implicit-def: $vgpr4
	s_branch .LBB416_147
.LBB416_22:
	s_mov_b32 s15, -1
	s_mov_b32 s0, 0
	s_mov_b32 s1, 0
	s_branch .LBB416_59
.LBB416_23:
	s_mov_b32 s0, 0
                                        ; implicit-def: $vgpr4
	s_branch .LBB416_142
.LBB416_24:
	s_mov_b32 s15, -1
	s_mov_b32 s0, 0
	s_mov_b32 s1, 0
	s_branch .LBB416_42
.LBB416_25:
	s_mov_b32 s15, -1
	s_mov_b32 s0, 0
	s_mov_b32 s1, 0
	s_branch .LBB416_38
.LBB416_26:
	s_mov_b32 s16, -1
.LBB416_27:
	s_mov_b32 s0, 0
                                        ; implicit-def: $vgpr4
.LBB416_28:
	s_and_b32 vcc_lo, exec_lo, s1
	s_cbranch_vccz .LBB416_141
; %bb.29:
	v_cmp_eq_u16_e64 s1, s10, 44
	s_delay_alu instid0(VALU_DEP_1)
	s_and_b32 vcc_lo, exec_lo, s1
	s_cbranch_vccz .LBB416_140
; %bb.30:
	global_load_u8 v3, v[0:1], off
	s_mov_b32 s16, 0
	s_mov_b32 s0, -1
	s_waitcnt vmcnt(0)
	v_lshlrev_b32_e32 v4, 23, v3
	v_cmp_ne_u32_e32 vcc_lo, 0xff, v3
	s_delay_alu instid0(VALU_DEP_2) | instskip(SKIP_1) | instid1(VALU_DEP_2)
	v_cndmask_b32_e32 v4, 0x7f800001, v4, vcc_lo
	v_cmp_ne_u32_e32 vcc_lo, 0, v3
	v_cndmask_b32_e32 v3, 0x400000, v4, vcc_lo
	s_delay_alu instid0(VALU_DEP_1) | instskip(SKIP_1) | instid1(VALU_DEP_2)
	v_add_nc_u32_e32 v4, 0x7fff, v3
	v_cmp_o_f32_e32 vcc_lo, v3, v3
	v_lshrrev_b32_e32 v4, 16, v4
	s_delay_alu instid0(VALU_DEP_1)
	v_cndmask_b32_e32 v4, 0x7fc0, v4, vcc_lo
	s_branch .LBB416_141
.LBB416_31:
	s_mov_b32 s15, -1
	s_mov_b32 s0, 0
	s_mov_b32 s1, 0
.LBB416_32:
	s_and_b32 vcc_lo, exec_lo, s15
	s_cbranch_vccz .LBB416_37
; %bb.33:
	v_cmp_eq_u16_e32 vcc_lo, 44, v3
	s_mov_b32 s0, -1
	s_cbranch_vccz .LBB416_37
; %bb.34:
	v_and_b32_e32 v5, 0xffff, v4
	v_mov_b32_e32 v6, 0xff
	s_mov_b32 s1, exec_lo
	s_delay_alu instid0(VALU_DEP_2) | instskip(NEXT) | instid1(VALU_DEP_1)
	v_bfe_u32 v7, v5, 7, 8
	v_cmpx_ne_u32_e32 0xff, v7
; %bb.35:
	v_lshlrev_b32_e32 v6, 16, v5
	v_and_b32_e32 v8, 64, v5
	v_lshrrev_b32_e32 v5, 7, v5
	s_delay_alu instid0(VALU_DEP_3) | instskip(NEXT) | instid1(VALU_DEP_3)
	v_and_or_b32 v6, 0x3f0000, v6, v7
	v_cmp_ne_u32_e32 vcc_lo, 0, v8
	s_delay_alu instid0(VALU_DEP_2) | instskip(NEXT) | instid1(VALU_DEP_1)
	v_cmp_ne_u32_e64 s0, 0, v6
	s_and_b32 s0, vcc_lo, s0
	s_delay_alu instid0(SALU_CYCLE_1) | instskip(NEXT) | instid1(VALU_DEP_1)
	v_cndmask_b32_e64 v6, 0, 1, s0
	v_add_nc_u32_e32 v6, v5, v6
; %bb.36:
	s_or_b32 exec_lo, exec_lo, s1
	s_mov_b32 s1, -1
	s_mov_b32 s0, 0
	global_store_b8 v[0:1], v6, off
.LBB416_37:
	s_mov_b32 s15, 0
.LBB416_38:
	s_delay_alu instid0(SALU_CYCLE_1)
	s_and_b32 vcc_lo, exec_lo, s15
	s_cbranch_vccz .LBB416_41
; %bb.39:
	v_cmp_eq_u16_e32 vcc_lo, 29, v3
	s_mov_b32 s0, -1
	s_cbranch_vccz .LBB416_41
; %bb.40:
	v_lshlrev_b32_e32 v5, 16, v4
	s_mov_b32 s1, -1
	s_mov_b32 s0, 0
	s_mov_b32 s15, 0
	s_delay_alu instid0(VALU_DEP_1) | instskip(NEXT) | instid1(VALU_DEP_1)
	v_trunc_f32_e32 v5, v5
	v_mul_f32_e32 v6, 0x2f800000, v5
	s_delay_alu instid0(VALU_DEP_1) | instskip(NEXT) | instid1(VALU_DEP_1)
	v_floor_f32_e32 v6, v6
	v_fmamk_f32 v5, v6, 0xcf800000, v5
	v_cvt_u32_f32_e32 v6, v6
	s_delay_alu instid0(VALU_DEP_2)
	v_cvt_u32_f32_e32 v5, v5
	global_store_b64 v[0:1], v[5:6], off
	s_branch .LBB416_42
.LBB416_41:
	s_mov_b32 s15, 0
.LBB416_42:
	s_delay_alu instid0(SALU_CYCLE_1)
	s_and_b32 vcc_lo, exec_lo, s15
	s_cbranch_vccz .LBB416_58
; %bb.43:
	v_cmp_gt_i16_e32 vcc_lo, 27, v3
	s_mov_b32 s1, -1
	s_cbranch_vccnz .LBB416_49
; %bb.44:
	v_cmp_lt_i16_e32 vcc_lo, 27, v3
	s_cbranch_vccz .LBB416_46
; %bb.45:
	v_lshlrev_b32_e32 v5, 16, v4
	s_mov_b32 s1, 0
	s_delay_alu instid0(VALU_DEP_1)
	v_cvt_u32_f32_e32 v5, v5
	global_store_b32 v[0:1], v5, off
.LBB416_46:
	s_and_not1_b32 vcc_lo, exec_lo, s1
	s_cbranch_vccnz .LBB416_48
; %bb.47:
	v_lshlrev_b32_e32 v5, 16, v4
	s_delay_alu instid0(VALU_DEP_1)
	v_cvt_u32_f32_e32 v5, v5
	global_store_b16 v[0:1], v5, off
.LBB416_48:
	s_mov_b32 s1, 0
.LBB416_49:
	s_delay_alu instid0(SALU_CYCLE_1)
	s_and_not1_b32 vcc_lo, exec_lo, s1
	s_cbranch_vccnz .LBB416_57
; %bb.50:
	v_dual_mov_b32 v8, 0x80 :: v_dual_lshlrev_b32 v7, 16, v4
	s_mov_b32 s1, exec_lo
	s_delay_alu instid0(VALU_DEP_1) | instskip(NEXT) | instid1(VALU_DEP_1)
	v_and_b32_e32 v6, 0x7fffffff, v7
	v_cmpx_gt_u32_e32 0x43800000, v6
	s_cbranch_execz .LBB416_56
; %bb.51:
	v_and_b32_e32 v5, 0xffff, v4
	v_cmp_lt_u32_e32 vcc_lo, 0x3bffffff, v6
	s_mov_b32 s15, 0
                                        ; implicit-def: $vgpr6
	s_and_saveexec_b32 s19, vcc_lo
	s_delay_alu instid0(SALU_CYCLE_1)
	s_xor_b32 s19, exec_lo, s19
	s_cbranch_execz .LBB416_275
; %bb.52:
	v_bfe_u32 v6, v5, 4, 1
	s_mov_b32 s15, exec_lo
	s_delay_alu instid0(VALU_DEP_1) | instskip(NEXT) | instid1(VALU_DEP_1)
	v_add3_u32 v6, v7, v6, 0x487ffff
                                        ; implicit-def: $vgpr7
	v_lshrrev_b32_e32 v6, 20, v6
	s_or_saveexec_b32 s19, s19
                                        ; implicit-def: $sgpr20
	s_delay_alu instid0(SALU_CYCLE_1)
	s_xor_b32 exec_lo, exec_lo, s19
	s_cbranch_execnz .LBB416_276
.LBB416_53:
	s_or_b32 exec_lo, exec_lo, s19
	v_mov_b32_e32 v8, s20
	s_and_saveexec_b32 s19, s15
.LBB416_54:
	v_lshrrev_b32_e32 v5, 8, v5
	s_delay_alu instid0(VALU_DEP_1)
	v_and_or_b32 v8, 0x80, v5, v6
.LBB416_55:
	s_or_b32 exec_lo, exec_lo, s19
.LBB416_56:
	s_delay_alu instid0(SALU_CYCLE_1)
	s_or_b32 exec_lo, exec_lo, s1
	global_store_b8 v[0:1], v8, off
.LBB416_57:
	s_mov_b32 s1, -1
.LBB416_58:
	s_mov_b32 s15, 0
.LBB416_59:
	s_delay_alu instid0(SALU_CYCLE_1)
	s_and_b32 vcc_lo, exec_lo, s15
	s_cbranch_vccz .LBB416_100
; %bb.60:
	v_cmp_lt_i16_e32 vcc_lo, 22, v3
	s_mov_b32 s15, -1
	s_cbranch_vccz .LBB416_92
; %bb.61:
	v_cmp_gt_i16_e32 vcc_lo, 24, v3
	s_mov_b32 s1, -1
	s_cbranch_vccnz .LBB416_81
; %bb.62:
	v_cmp_lt_i16_e32 vcc_lo, 24, v3
	s_cbranch_vccz .LBB416_70
; %bb.63:
	v_dual_mov_b32 v8, 0x80 :: v_dual_lshlrev_b32 v7, 16, v4
	s_mov_b32 s1, exec_lo
	s_delay_alu instid0(VALU_DEP_1) | instskip(NEXT) | instid1(VALU_DEP_1)
	v_and_b32_e32 v6, 0x7fffffff, v7
	v_cmpx_gt_u32_e32 0x47800000, v6
	s_cbranch_execz .LBB416_69
; %bb.64:
	v_and_b32_e32 v5, 0xffff, v4
	v_cmp_lt_u32_e32 vcc_lo, 0x37ffffff, v6
	s_mov_b32 s15, 0
                                        ; implicit-def: $vgpr6
	s_and_saveexec_b32 s19, vcc_lo
	s_delay_alu instid0(SALU_CYCLE_1)
	s_xor_b32 s19, exec_lo, s19
	s_cbranch_execz .LBB416_279
; %bb.65:
	v_bfe_u32 v6, v5, 5, 1
	s_mov_b32 s15, exec_lo
	s_delay_alu instid0(VALU_DEP_1) | instskip(NEXT) | instid1(VALU_DEP_1)
	v_add3_u32 v6, v7, v6, 0x88fffff
                                        ; implicit-def: $vgpr7
	v_lshrrev_b32_e32 v6, 21, v6
	s_or_saveexec_b32 s19, s19
                                        ; implicit-def: $sgpr20
	s_delay_alu instid0(SALU_CYCLE_1)
	s_xor_b32 exec_lo, exec_lo, s19
	s_cbranch_execnz .LBB416_280
.LBB416_66:
	s_or_b32 exec_lo, exec_lo, s19
	v_mov_b32_e32 v8, s20
	s_and_saveexec_b32 s19, s15
.LBB416_67:
	v_lshrrev_b32_e32 v5, 8, v5
	s_delay_alu instid0(VALU_DEP_1)
	v_and_or_b32 v8, 0x80, v5, v6
.LBB416_68:
	s_or_b32 exec_lo, exec_lo, s19
.LBB416_69:
	s_delay_alu instid0(SALU_CYCLE_1)
	s_or_b32 exec_lo, exec_lo, s1
	s_mov_b32 s1, 0
	global_store_b8 v[0:1], v8, off
.LBB416_70:
	s_and_b32 vcc_lo, exec_lo, s1
	s_cbranch_vccz .LBB416_80
; %bb.71:
	v_lshlrev_b32_e32 v7, 16, v4
	v_and_b32_e32 v5, 0xffff, v4
	s_mov_b32 s1, exec_lo
                                        ; implicit-def: $vgpr6
	s_delay_alu instid0(VALU_DEP_2) | instskip(NEXT) | instid1(VALU_DEP_1)
	v_and_b32_e32 v8, 0x7fffffff, v7
	v_cmpx_gt_u32_e32 0x43f00000, v8
	s_xor_b32 s1, exec_lo, s1
	s_cbranch_execz .LBB416_77
; %bb.72:
	s_mov_b32 s15, exec_lo
                                        ; implicit-def: $vgpr6
	v_cmpx_lt_u32_e32 0x3c7fffff, v8
	s_xor_b32 s15, exec_lo, s15
; %bb.73:
	v_bfe_u32 v6, v5, 4, 1
	s_delay_alu instid0(VALU_DEP_1) | instskip(NEXT) | instid1(VALU_DEP_1)
	v_add3_u32 v6, v7, v6, 0x407ffff
	v_and_b32_e32 v7, 0xff00000, v6
	v_lshrrev_b32_e32 v6, 20, v6
	s_delay_alu instid0(VALU_DEP_2) | instskip(NEXT) | instid1(VALU_DEP_2)
	v_cmp_ne_u32_e32 vcc_lo, 0x7f00000, v7
                                        ; implicit-def: $vgpr7
	v_cndmask_b32_e32 v6, 0x7e, v6, vcc_lo
; %bb.74:
	s_and_not1_saveexec_b32 s15, s15
; %bb.75:
	v_add_f32_e64 v6, 0x46800000, |v7|
; %bb.76:
	s_or_b32 exec_lo, exec_lo, s15
                                        ; implicit-def: $vgpr8
.LBB416_77:
	s_and_not1_saveexec_b32 s1, s1
; %bb.78:
	v_mov_b32_e32 v6, 0x7f
	v_cmp_lt_u32_e32 vcc_lo, 0x7f800000, v8
	s_delay_alu instid0(VALU_DEP_2)
	v_cndmask_b32_e32 v6, 0x7e, v6, vcc_lo
; %bb.79:
	s_or_b32 exec_lo, exec_lo, s1
	v_lshrrev_b32_e32 v5, 8, v5
	s_delay_alu instid0(VALU_DEP_1)
	v_and_or_b32 v5, 0x80, v5, v6
	global_store_b8 v[0:1], v5, off
.LBB416_80:
	s_mov_b32 s1, 0
.LBB416_81:
	s_delay_alu instid0(SALU_CYCLE_1)
	s_and_not1_b32 vcc_lo, exec_lo, s1
	s_cbranch_vccnz .LBB416_91
; %bb.82:
	v_lshlrev_b32_e32 v7, 16, v4
	v_and_b32_e32 v5, 0xffff, v4
	s_mov_b32 s1, exec_lo
                                        ; implicit-def: $vgpr6
	s_delay_alu instid0(VALU_DEP_2) | instskip(NEXT) | instid1(VALU_DEP_1)
	v_and_b32_e32 v8, 0x7fffffff, v7
	v_cmpx_gt_u32_e32 0x47800000, v8
	s_xor_b32 s1, exec_lo, s1
	s_cbranch_execz .LBB416_88
; %bb.83:
	s_mov_b32 s15, exec_lo
                                        ; implicit-def: $vgpr6
	v_cmpx_lt_u32_e32 0x387fffff, v8
	s_xor_b32 s15, exec_lo, s15
; %bb.84:
	v_bfe_u32 v6, v5, 5, 1
	s_delay_alu instid0(VALU_DEP_1) | instskip(NEXT) | instid1(VALU_DEP_1)
	v_add3_u32 v6, v7, v6, 0x80fffff
                                        ; implicit-def: $vgpr7
	v_lshrrev_b32_e32 v6, 21, v6
; %bb.85:
	s_and_not1_saveexec_b32 s15, s15
; %bb.86:
	v_add_f32_e64 v6, 0x43000000, |v7|
; %bb.87:
	s_or_b32 exec_lo, exec_lo, s15
                                        ; implicit-def: $vgpr8
.LBB416_88:
	s_and_not1_saveexec_b32 s1, s1
; %bb.89:
	v_mov_b32_e32 v6, 0x7f
	v_cmp_lt_u32_e32 vcc_lo, 0x7f800000, v8
	s_delay_alu instid0(VALU_DEP_2)
	v_cndmask_b32_e32 v6, 0x7c, v6, vcc_lo
; %bb.90:
	s_or_b32 exec_lo, exec_lo, s1
	v_lshrrev_b32_e32 v5, 8, v5
	s_delay_alu instid0(VALU_DEP_1)
	v_and_or_b32 v5, 0x80, v5, v6
	global_store_b8 v[0:1], v5, off
.LBB416_91:
	s_mov_b32 s15, 0
	s_mov_b32 s1, -1
.LBB416_92:
	s_and_not1_b32 vcc_lo, exec_lo, s15
	s_cbranch_vccnz .LBB416_100
; %bb.93:
	v_cmp_lt_i16_e32 vcc_lo, 14, v3
	s_mov_b32 s15, -1
	s_cbranch_vccz .LBB416_97
; %bb.94:
	v_cmp_eq_u16_e32 vcc_lo, 15, v3
	s_mov_b32 s0, -1
	s_cbranch_vccz .LBB416_96
; %bb.95:
	s_mov_b32 s1, -1
	s_mov_b32 s0, 0
	global_store_b16 v[0:1], v4, off
.LBB416_96:
	s_mov_b32 s15, 0
.LBB416_97:
	s_delay_alu instid0(SALU_CYCLE_1)
	s_and_b32 vcc_lo, exec_lo, s15
	s_cbranch_vccz .LBB416_100
; %bb.98:
	v_cmp_eq_u16_e32 vcc_lo, 11, v3
	s_mov_b32 s0, -1
	s_cbranch_vccz .LBB416_100
; %bb.99:
	v_and_b32_e32 v5, 0x7fff, v4
	s_mov_b32 s0, 0
	s_mov_b32 s1, -1
	s_delay_alu instid0(VALU_DEP_1)
	v_cmp_ne_u16_e32 vcc_lo, 0, v5
	v_cndmask_b32_e64 v5, 0, 1, vcc_lo
	global_store_b8 v[0:1], v5, off
.LBB416_100:
	s_branch .LBB416_20
.LBB416_101:
	v_cmp_gt_i16_e32 vcc_lo, 5, v3
	s_mov_b32 s1, -1
	s_cbranch_vccnz .LBB416_122
; %bb.102:
	v_cmp_gt_i16_e32 vcc_lo, 8, v3
	s_cbranch_vccnz .LBB416_112
; %bb.103:
	v_cmp_gt_i16_e32 vcc_lo, 9, v3
	s_cbranch_vccnz .LBB416_109
; %bb.104:
	v_cmp_lt_i16_e32 vcc_lo, 9, v3
	s_cbranch_vccz .LBB416_106
; %bb.105:
	v_mov_b32_e32 v7, 0
	v_lshlrev_b32_e32 v5, 16, v4
	s_mov_b32 s1, 0
	s_delay_alu instid0(VALU_DEP_2) | instskip(NEXT) | instid1(VALU_DEP_2)
	v_mov_b32_e32 v8, v7
	v_cvt_f64_f32_e32 v[5:6], v5
	global_store_b128 v[0:1], v[5:8], off
.LBB416_106:
	s_and_not1_b32 vcc_lo, exec_lo, s1
	s_cbranch_vccnz .LBB416_108
; %bb.107:
	v_dual_mov_b32 v6, 0 :: v_dual_lshlrev_b32 v5, 16, v4
	global_store_b64 v[0:1], v[5:6], off
.LBB416_108:
	s_mov_b32 s1, 0
.LBB416_109:
	s_delay_alu instid0(SALU_CYCLE_1)
	s_and_not1_b32 vcc_lo, exec_lo, s1
	s_cbranch_vccnz .LBB416_111
; %bb.110:
	v_lshlrev_b32_e32 v5, 16, v4
	s_delay_alu instid0(VALU_DEP_1) | instskip(NEXT) | instid1(VALU_DEP_1)
	v_cvt_f16_f32_e32 v5, v5
	v_and_b32_e32 v5, 0xffff, v5
	global_store_b32 v[0:1], v5, off
.LBB416_111:
	s_mov_b32 s1, 0
.LBB416_112:
	s_delay_alu instid0(SALU_CYCLE_1)
	s_and_not1_b32 vcc_lo, exec_lo, s1
	s_cbranch_vccnz .LBB416_121
; %bb.113:
	v_cmp_gt_i16_e32 vcc_lo, 6, v3
	s_mov_b32 s1, -1
	s_cbranch_vccnz .LBB416_119
; %bb.114:
	v_cmp_lt_i16_e32 vcc_lo, 6, v3
	s_cbranch_vccz .LBB416_116
; %bb.115:
	v_lshlrev_b32_e32 v5, 16, v4
	s_mov_b32 s1, 0
	s_delay_alu instid0(VALU_DEP_1)
	v_cvt_f64_f32_e32 v[5:6], v5
	global_store_b64 v[0:1], v[5:6], off
.LBB416_116:
	s_and_not1_b32 vcc_lo, exec_lo, s1
	s_cbranch_vccnz .LBB416_118
; %bb.117:
	v_lshlrev_b32_e32 v5, 16, v4
	global_store_b32 v[0:1], v5, off
.LBB416_118:
	s_mov_b32 s1, 0
.LBB416_119:
	s_delay_alu instid0(SALU_CYCLE_1)
	s_and_not1_b32 vcc_lo, exec_lo, s1
	s_cbranch_vccnz .LBB416_121
; %bb.120:
	v_lshlrev_b32_e32 v5, 16, v4
	s_delay_alu instid0(VALU_DEP_1)
	v_cvt_f16_f32_e32 v5, v5
	global_store_b16 v[0:1], v5, off
.LBB416_121:
	s_mov_b32 s1, 0
.LBB416_122:
	s_delay_alu instid0(SALU_CYCLE_1)
	s_and_not1_b32 vcc_lo, exec_lo, s1
	s_cbranch_vccnz .LBB416_138
; %bb.123:
	v_cmp_gt_i16_e32 vcc_lo, 2, v3
	s_mov_b32 s1, -1
	s_cbranch_vccnz .LBB416_133
; %bb.124:
	v_cmp_gt_i16_e32 vcc_lo, 3, v3
	s_cbranch_vccnz .LBB416_130
; %bb.125:
	v_cmp_lt_i16_e32 vcc_lo, 3, v3
	s_cbranch_vccz .LBB416_127
; %bb.126:
	v_lshlrev_b32_e32 v5, 16, v4
	s_mov_b32 s1, 0
	s_delay_alu instid0(VALU_DEP_1) | instskip(NEXT) | instid1(VALU_DEP_1)
	v_trunc_f32_e32 v5, v5
	v_mul_f32_e64 v6, 0x2f800000, |v5|
	v_ashrrev_i32_e32 v8, 31, v5
	s_delay_alu instid0(VALU_DEP_2) | instskip(NEXT) | instid1(VALU_DEP_1)
	v_floor_f32_e32 v6, v6
	v_fma_f32 v7, 0xcf800000, v6, |v5|
	v_cvt_u32_f32_e32 v6, v6
	s_delay_alu instid0(VALU_DEP_2) | instskip(NEXT) | instid1(VALU_DEP_2)
	v_cvt_u32_f32_e32 v5, v7
	v_xor_b32_e32 v6, v6, v8
	s_delay_alu instid0(VALU_DEP_2) | instskip(NEXT) | instid1(VALU_DEP_1)
	v_xor_b32_e32 v5, v5, v8
	v_sub_co_u32 v5, vcc_lo, v5, v8
	s_delay_alu instid0(VALU_DEP_3)
	v_sub_co_ci_u32_e32 v6, vcc_lo, v6, v8, vcc_lo
	global_store_b64 v[0:1], v[5:6], off
.LBB416_127:
	s_and_not1_b32 vcc_lo, exec_lo, s1
	s_cbranch_vccnz .LBB416_129
; %bb.128:
	v_lshlrev_b32_e32 v5, 16, v4
	s_delay_alu instid0(VALU_DEP_1)
	v_cvt_i32_f32_e32 v5, v5
	global_store_b32 v[0:1], v5, off
.LBB416_129:
	s_mov_b32 s1, 0
.LBB416_130:
	s_delay_alu instid0(SALU_CYCLE_1)
	s_and_not1_b32 vcc_lo, exec_lo, s1
	s_cbranch_vccnz .LBB416_132
; %bb.131:
	v_lshlrev_b32_e32 v5, 16, v4
	s_delay_alu instid0(VALU_DEP_1)
	v_cvt_i32_f32_e32 v5, v5
	global_store_b16 v[0:1], v5, off
.LBB416_132:
	s_mov_b32 s1, 0
.LBB416_133:
	s_delay_alu instid0(SALU_CYCLE_1)
	s_and_not1_b32 vcc_lo, exec_lo, s1
	s_cbranch_vccnz .LBB416_138
; %bb.134:
	v_cmp_lt_i16_e32 vcc_lo, 0, v3
	v_lshlrev_b32_e32 v3, 16, v4
	s_mov_b32 s1, -1
	s_cbranch_vccz .LBB416_136
; %bb.135:
	s_delay_alu instid0(VALU_DEP_1)
	v_cvt_i32_f32_e32 v4, v3
	s_mov_b32 s1, 0
	global_store_b8 v[0:1], v4, off
.LBB416_136:
	s_and_not1_b32 vcc_lo, exec_lo, s1
	s_cbranch_vccnz .LBB416_138
; %bb.137:
	v_trunc_f32_e32 v3, v3
	s_delay_alu instid0(VALU_DEP_1) | instskip(NEXT) | instid1(VALU_DEP_1)
	v_mul_f32_e64 v4, 0x2f800000, |v3|
	v_floor_f32_e32 v4, v4
	s_delay_alu instid0(VALU_DEP_1) | instskip(SKIP_1) | instid1(VALU_DEP_2)
	v_fma_f32 v4, 0xcf800000, v4, |v3|
	v_ashrrev_i32_e32 v3, 31, v3
	v_cvt_u32_f32_e32 v4, v4
	s_delay_alu instid0(VALU_DEP_1) | instskip(NEXT) | instid1(VALU_DEP_1)
	v_xor_b32_e32 v4, v4, v3
	v_sub_nc_u32_e32 v3, v4, v3
	global_store_b8 v[0:1], v3, off
.LBB416_138:
.LBB416_139:
	v_add_nc_u32_e32 v2, 0x80, v2
	s_mov_b32 s1, -1
	s_branch .LBB416_250
.LBB416_140:
	s_mov_b32 s16, -1
                                        ; implicit-def: $vgpr4
.LBB416_141:
	s_mov_b32 s1, 0
.LBB416_142:
	s_delay_alu instid0(SALU_CYCLE_1)
	s_and_b32 vcc_lo, exec_lo, s1
	s_cbranch_vccz .LBB416_146
; %bb.143:
	v_cmp_eq_u16_e64 s1, s10, 29
	s_delay_alu instid0(VALU_DEP_1)
	s_and_b32 vcc_lo, exec_lo, s1
	s_cbranch_vccz .LBB416_145
; %bb.144:
	global_load_b64 v[3:4], v[0:1], off
	s_mov_b32 s0, -1
	s_mov_b32 s16, 0
	s_mov_b32 s1, 0
	s_waitcnt vmcnt(0)
	v_clz_i32_u32_e32 v5, v4
	s_delay_alu instid0(VALU_DEP_1) | instskip(NEXT) | instid1(VALU_DEP_1)
	v_min_u32_e32 v5, 32, v5
	v_lshlrev_b64 v[3:4], v5, v[3:4]
	s_delay_alu instid0(VALU_DEP_1) | instskip(NEXT) | instid1(VALU_DEP_1)
	v_min_u32_e32 v3, 1, v3
	v_or_b32_e32 v3, v4, v3
	v_sub_nc_u32_e32 v4, 32, v5
	s_delay_alu instid0(VALU_DEP_2) | instskip(NEXT) | instid1(VALU_DEP_1)
	v_cvt_f32_u32_e32 v3, v3
	v_ldexp_f32 v3, v3, v4
	s_delay_alu instid0(VALU_DEP_1) | instskip(NEXT) | instid1(VALU_DEP_1)
	v_bfe_u32 v4, v3, 16, 1
	v_add3_u32 v3, v3, v4, 0x7fff
	s_delay_alu instid0(VALU_DEP_1)
	v_lshrrev_b32_e32 v4, 16, v3
	s_branch .LBB416_147
.LBB416_145:
	s_mov_b32 s16, -1
                                        ; implicit-def: $vgpr4
.LBB416_146:
	s_mov_b32 s1, 0
.LBB416_147:
	s_delay_alu instid0(SALU_CYCLE_1)
	s_and_b32 vcc_lo, exec_lo, s1
	s_cbranch_vccz .LBB416_165
; %bb.148:
	v_cmp_lt_i16_e64 s0, s10, 27
	s_delay_alu instid0(VALU_DEP_1)
	s_and_b32 vcc_lo, exec_lo, s0
	s_cbranch_vccnz .LBB416_151
; %bb.149:
	v_cmp_gt_i16_e64 s0, s10, 27
	s_delay_alu instid0(VALU_DEP_1)
	s_and_b32 vcc_lo, exec_lo, s0
	s_cbranch_vccz .LBB416_152
; %bb.150:
	global_load_b32 v3, v[0:1], off
	s_mov_b32 s0, 0
	s_waitcnt vmcnt(0)
	v_cvt_f32_u32_e32 v3, v3
	s_delay_alu instid0(VALU_DEP_1) | instskip(NEXT) | instid1(VALU_DEP_1)
	v_bfe_u32 v4, v3, 16, 1
	v_add3_u32 v3, v3, v4, 0x7fff
	s_delay_alu instid0(VALU_DEP_1)
	v_lshrrev_b32_e32 v4, 16, v3
	s_branch .LBB416_153
.LBB416_151:
	s_mov_b32 s0, -1
                                        ; implicit-def: $vgpr4
	s_branch .LBB416_156
.LBB416_152:
	s_mov_b32 s0, -1
                                        ; implicit-def: $vgpr4
.LBB416_153:
	s_delay_alu instid0(SALU_CYCLE_1)
	s_and_not1_b32 vcc_lo, exec_lo, s0
	s_cbranch_vccnz .LBB416_155
; %bb.154:
	global_load_u16 v3, v[0:1], off
	s_waitcnt vmcnt(0)
	v_cvt_f32_u32_e32 v3, v3
	s_delay_alu instid0(VALU_DEP_1) | instskip(NEXT) | instid1(VALU_DEP_1)
	v_bfe_u32 v4, v3, 16, 1
	v_add3_u32 v3, v3, v4, 0x7fff
	s_delay_alu instid0(VALU_DEP_1)
	v_lshrrev_b32_e32 v4, 16, v3
.LBB416_155:
	s_mov_b32 s0, 0
.LBB416_156:
	s_delay_alu instid0(SALU_CYCLE_1)
	s_and_not1_b32 vcc_lo, exec_lo, s0
	s_cbranch_vccnz .LBB416_164
; %bb.157:
	global_load_u8 v3, v[0:1], off
	s_mov_b32 s0, 0
	s_mov_b32 s15, exec_lo
                                        ; implicit-def: $sgpr1
	s_waitcnt vmcnt(0)
	v_cmpx_lt_i16_e32 0x7f, v3
	s_xor_b32 s15, exec_lo, s15
	s_cbranch_execz .LBB416_177
; %bb.158:
	s_mov_b32 s0, -1
	s_mov_b32 s19, exec_lo
                                        ; implicit-def: $sgpr1
	v_cmpx_eq_u16_e32 0x80, v3
; %bb.159:
	s_mov_b32 s1, 0x7f800001
	s_xor_b32 s0, exec_lo, -1
; %bb.160:
	s_or_b32 exec_lo, exec_lo, s19
	s_delay_alu instid0(SALU_CYCLE_1)
	s_and_b32 s0, s0, exec_lo
	s_or_saveexec_b32 s15, s15
	v_mov_b32_e32 v4, s1
	s_xor_b32 exec_lo, exec_lo, s15
	s_cbranch_execnz .LBB416_178
.LBB416_161:
	s_or_b32 exec_lo, exec_lo, s15
	s_and_saveexec_b32 s1, s0
	s_cbranch_execz .LBB416_163
.LBB416_162:
	v_and_b32_e32 v4, 0xffff, v3
	v_lshlrev_b32_e32 v3, 24, v3
	s_delay_alu instid0(VALU_DEP_2) | instskip(NEXT) | instid1(VALU_DEP_2)
	v_and_b32_e32 v5, 7, v4
	v_and_b32_e32 v3, 0x80000000, v3
	s_delay_alu instid0(VALU_DEP_2) | instskip(NEXT) | instid1(VALU_DEP_1)
	v_clz_i32_u32_e32 v6, v5
	v_min_u32_e32 v6, 32, v6
	s_delay_alu instid0(VALU_DEP_1) | instskip(SKIP_1) | instid1(VALU_DEP_2)
	v_subrev_nc_u32_e32 v7, 28, v6
	v_sub_nc_u32_e32 v6, 29, v6
	v_lshlrev_b32_e32 v7, v7, v4
	v_bfe_u32 v4, v4, 3, 4
	s_delay_alu instid0(VALU_DEP_2) | instskip(NEXT) | instid1(VALU_DEP_2)
	v_and_b32_e32 v7, 7, v7
	v_cmp_eq_u32_e32 vcc_lo, 0, v4
	s_delay_alu instid0(VALU_DEP_2) | instskip(NEXT) | instid1(VALU_DEP_1)
	v_dual_cndmask_b32 v4, v4, v6 :: v_dual_cndmask_b32 v5, v5, v7
	v_lshl_add_u32 v4, v4, 23, 0x3b800000
	s_delay_alu instid0(VALU_DEP_2) | instskip(NEXT) | instid1(VALU_DEP_1)
	v_lshlrev_b32_e32 v5, 20, v5
	v_or3_b32 v4, v3, v4, v5
.LBB416_163:
	s_or_b32 exec_lo, exec_lo, s1
	s_delay_alu instid0(VALU_DEP_1) | instskip(SKIP_1) | instid1(VALU_DEP_2)
	v_bfe_u32 v3, v4, 16, 1
	v_cmp_o_f32_e32 vcc_lo, v4, v4
	v_add3_u32 v3, v4, v3, 0x7fff
	s_delay_alu instid0(VALU_DEP_1) | instskip(NEXT) | instid1(VALU_DEP_1)
	v_lshrrev_b32_e32 v3, 16, v3
	v_cndmask_b32_e32 v4, 0x7fc0, v3, vcc_lo
.LBB416_164:
	s_mov_b32 s0, -1
.LBB416_165:
	s_branch .LBB416_200
.LBB416_166:
	v_cmp_gt_i16_e64 s1, s10, 22
	s_delay_alu instid0(VALU_DEP_1)
	s_and_b32 vcc_lo, exec_lo, s1
	s_cbranch_vccz .LBB416_176
; %bb.167:
	v_cmp_lt_i16_e64 s0, s10, 24
	s_delay_alu instid0(VALU_DEP_1)
	s_and_b32 vcc_lo, exec_lo, s0
	s_cbranch_vccnz .LBB416_179
; %bb.168:
	v_cmp_gt_i16_e64 s0, s10, 24
	s_delay_alu instid0(VALU_DEP_1)
	s_and_b32 vcc_lo, exec_lo, s0
	s_cbranch_vccz .LBB416_180
; %bb.169:
	global_load_u8 v3, v[0:1], off
	s_mov_b32 s0, 0
	s_mov_b32 s15, exec_lo
                                        ; implicit-def: $sgpr1
	s_waitcnt vmcnt(0)
	v_cmpx_lt_i16_e32 0x7f, v3
	s_xor_b32 s15, exec_lo, s15
	s_cbranch_execz .LBB416_192
; %bb.170:
	s_mov_b32 s0, -1
	s_mov_b32 s19, exec_lo
                                        ; implicit-def: $sgpr1
	v_cmpx_eq_u16_e32 0x80, v3
; %bb.171:
	s_mov_b32 s1, 0x7f800001
	s_xor_b32 s0, exec_lo, -1
; %bb.172:
	s_or_b32 exec_lo, exec_lo, s19
	s_delay_alu instid0(SALU_CYCLE_1)
	s_and_b32 s0, s0, exec_lo
	s_or_saveexec_b32 s15, s15
	v_mov_b32_e32 v4, s1
	s_xor_b32 exec_lo, exec_lo, s15
	s_cbranch_execnz .LBB416_193
.LBB416_173:
	s_or_b32 exec_lo, exec_lo, s15
	s_and_saveexec_b32 s1, s0
	s_cbranch_execz .LBB416_175
.LBB416_174:
	v_and_b32_e32 v4, 0xffff, v3
	v_lshlrev_b32_e32 v3, 24, v3
	s_delay_alu instid0(VALU_DEP_2) | instskip(NEXT) | instid1(VALU_DEP_2)
	v_and_b32_e32 v5, 3, v4
	v_and_b32_e32 v3, 0x80000000, v3
	s_delay_alu instid0(VALU_DEP_2) | instskip(NEXT) | instid1(VALU_DEP_1)
	v_clz_i32_u32_e32 v6, v5
	v_min_u32_e32 v6, 32, v6
	s_delay_alu instid0(VALU_DEP_1) | instskip(SKIP_1) | instid1(VALU_DEP_2)
	v_subrev_nc_u32_e32 v7, 29, v6
	v_sub_nc_u32_e32 v6, 30, v6
	v_lshlrev_b32_e32 v7, v7, v4
	v_bfe_u32 v4, v4, 2, 5
	s_delay_alu instid0(VALU_DEP_2) | instskip(NEXT) | instid1(VALU_DEP_2)
	v_and_b32_e32 v7, 3, v7
	v_cmp_eq_u32_e32 vcc_lo, 0, v4
	s_delay_alu instid0(VALU_DEP_2) | instskip(NEXT) | instid1(VALU_DEP_1)
	v_dual_cndmask_b32 v4, v4, v6 :: v_dual_cndmask_b32 v5, v5, v7
	v_lshl_add_u32 v4, v4, 23, 0x37800000
	s_delay_alu instid0(VALU_DEP_2) | instskip(NEXT) | instid1(VALU_DEP_1)
	v_lshlrev_b32_e32 v5, 21, v5
	v_or3_b32 v4, v3, v4, v5
.LBB416_175:
	s_or_b32 exec_lo, exec_lo, s1
	s_delay_alu instid0(VALU_DEP_1) | instskip(SKIP_2) | instid1(VALU_DEP_2)
	v_bfe_u32 v3, v4, 16, 1
	v_cmp_o_f32_e32 vcc_lo, v4, v4
	s_mov_b32 s0, 0
	v_add3_u32 v3, v4, v3, 0x7fff
	s_delay_alu instid0(VALU_DEP_1) | instskip(NEXT) | instid1(VALU_DEP_1)
	v_lshrrev_b32_e32 v3, 16, v3
	v_cndmask_b32_e32 v4, 0x7fc0, v3, vcc_lo
	s_branch .LBB416_181
.LBB416_176:
	s_mov_b32 s1, -1
                                        ; implicit-def: $vgpr4
	s_branch .LBB416_187
.LBB416_177:
	s_or_saveexec_b32 s15, s15
	v_mov_b32_e32 v4, s1
	s_xor_b32 exec_lo, exec_lo, s15
	s_cbranch_execz .LBB416_161
.LBB416_178:
	v_cmp_ne_u16_e32 vcc_lo, 0, v3
	v_mov_b32_e32 v4, 0
	s_and_not1_b32 s0, s0, exec_lo
	s_and_b32 s1, vcc_lo, exec_lo
	s_delay_alu instid0(SALU_CYCLE_1)
	s_or_b32 s0, s0, s1
	s_or_b32 exec_lo, exec_lo, s15
	s_and_saveexec_b32 s1, s0
	s_cbranch_execnz .LBB416_162
	s_branch .LBB416_163
.LBB416_179:
	s_mov_b32 s0, -1
                                        ; implicit-def: $vgpr4
	s_branch .LBB416_184
.LBB416_180:
	s_mov_b32 s0, -1
                                        ; implicit-def: $vgpr4
.LBB416_181:
	s_delay_alu instid0(SALU_CYCLE_1)
	s_and_b32 vcc_lo, exec_lo, s0
	s_cbranch_vccz .LBB416_183
; %bb.182:
	global_load_u8 v3, v[0:1], off
	s_waitcnt vmcnt(0)
	v_lshlrev_b32_e32 v3, 24, v3
	s_delay_alu instid0(VALU_DEP_1) | instskip(NEXT) | instid1(VALU_DEP_1)
	v_and_b32_e32 v4, 0x7f000000, v3
	v_clz_i32_u32_e32 v5, v4
	v_add_nc_u32_e32 v7, 0x1000000, v4
	v_cmp_ne_u32_e32 vcc_lo, 0, v4
	s_delay_alu instid0(VALU_DEP_3) | instskip(NEXT) | instid1(VALU_DEP_1)
	v_min_u32_e32 v5, 32, v5
	v_sub_nc_u32_e64 v5, v5, 4 clamp
	s_delay_alu instid0(VALU_DEP_1) | instskip(SKIP_1) | instid1(VALU_DEP_2)
	v_lshlrev_b32_e32 v6, v5, v4
	v_lshlrev_b32_e32 v5, 23, v5
	v_lshrrev_b32_e32 v6, 4, v6
	s_delay_alu instid0(VALU_DEP_1) | instskip(SKIP_1) | instid1(VALU_DEP_2)
	v_sub_nc_u32_e32 v5, v6, v5
	v_ashrrev_i32_e32 v6, 8, v7
	v_add_nc_u32_e32 v5, 0x3c000000, v5
	s_delay_alu instid0(VALU_DEP_1) | instskip(NEXT) | instid1(VALU_DEP_1)
	v_and_or_b32 v5, 0x7f800000, v6, v5
	v_cndmask_b32_e32 v4, 0, v5, vcc_lo
	s_delay_alu instid0(VALU_DEP_1) | instskip(SKIP_1) | instid1(VALU_DEP_2)
	v_and_or_b32 v3, 0x80000000, v3, v4
	v_bfe_u32 v4, v4, 16, 1
	v_cmp_o_f32_e32 vcc_lo, v3, v3
	s_delay_alu instid0(VALU_DEP_2) | instskip(NEXT) | instid1(VALU_DEP_1)
	v_add3_u32 v4, v3, v4, 0x7fff
	v_lshrrev_b32_e32 v4, 16, v4
	s_delay_alu instid0(VALU_DEP_1)
	v_cndmask_b32_e32 v4, 0x7fc0, v4, vcc_lo
.LBB416_183:
	s_mov_b32 s0, 0
.LBB416_184:
	s_delay_alu instid0(SALU_CYCLE_1)
	s_and_not1_b32 vcc_lo, exec_lo, s0
	s_cbranch_vccnz .LBB416_186
; %bb.185:
	global_load_u8 v3, v[0:1], off
	s_waitcnt vmcnt(0)
	v_lshlrev_b32_e32 v4, 25, v3
	v_lshlrev_b16 v3, 8, v3
	s_delay_alu instid0(VALU_DEP_2) | instskip(NEXT) | instid1(VALU_DEP_2)
	v_lshrrev_b32_e32 v5, 4, v4
	v_and_or_b32 v6, 0x7f00, v3, 0.5
	v_bfe_i32 v3, v3, 0, 16
	s_delay_alu instid0(VALU_DEP_3) | instskip(NEXT) | instid1(VALU_DEP_1)
	v_or_b32_e32 v5, 0x70000000, v5
	v_dual_add_f32 v6, -0.5, v6 :: v_dual_mul_f32 v5, 0x7800000, v5
	v_cmp_gt_u32_e32 vcc_lo, 0x8000000, v4
	s_delay_alu instid0(VALU_DEP_2) | instskip(NEXT) | instid1(VALU_DEP_1)
	v_cndmask_b32_e32 v4, v5, v6, vcc_lo
	v_and_or_b32 v3, 0x80000000, v3, v4
	v_bfe_u32 v4, v4, 16, 1
	s_delay_alu instid0(VALU_DEP_2) | instskip(NEXT) | instid1(VALU_DEP_2)
	v_cmp_o_f32_e32 vcc_lo, v3, v3
	v_add3_u32 v4, v3, v4, 0x7fff
	s_delay_alu instid0(VALU_DEP_1) | instskip(NEXT) | instid1(VALU_DEP_1)
	v_lshrrev_b32_e32 v4, 16, v4
	v_cndmask_b32_e32 v4, 0x7fc0, v4, vcc_lo
.LBB416_186:
	s_mov_b32 s1, 0
	s_mov_b32 s0, -1
.LBB416_187:
	s_and_not1_b32 vcc_lo, exec_lo, s1
	s_cbranch_vccnz .LBB416_200
; %bb.188:
	v_cmp_gt_i16_e64 s1, s10, 14
	s_delay_alu instid0(VALU_DEP_1)
	s_and_b32 vcc_lo, exec_lo, s1
	s_cbranch_vccz .LBB416_191
; %bb.189:
	v_cmp_eq_u16_e64 s1, s10, 15
	s_delay_alu instid0(VALU_DEP_1)
	s_and_b32 vcc_lo, exec_lo, s1
	s_cbranch_vccz .LBB416_194
; %bb.190:
	global_load_u16 v4, v[0:1], off
	s_mov_b32 s0, -1
	s_mov_b32 s16, 0
	s_branch .LBB416_195
.LBB416_191:
	s_mov_b32 s1, -1
                                        ; implicit-def: $vgpr4
	s_branch .LBB416_196
.LBB416_192:
	s_or_saveexec_b32 s15, s15
	v_mov_b32_e32 v4, s1
	s_xor_b32 exec_lo, exec_lo, s15
	s_cbranch_execz .LBB416_173
.LBB416_193:
	v_cmp_ne_u16_e32 vcc_lo, 0, v3
	v_mov_b32_e32 v4, 0
	s_and_not1_b32 s0, s0, exec_lo
	s_and_b32 s1, vcc_lo, exec_lo
	s_delay_alu instid0(SALU_CYCLE_1)
	s_or_b32 s0, s0, s1
	s_or_b32 exec_lo, exec_lo, s15
	s_and_saveexec_b32 s1, s0
	s_cbranch_execnz .LBB416_174
	s_branch .LBB416_175
.LBB416_194:
	s_mov_b32 s16, -1
                                        ; implicit-def: $vgpr4
.LBB416_195:
	s_mov_b32 s1, 0
.LBB416_196:
	s_delay_alu instid0(SALU_CYCLE_1)
	s_and_b32 vcc_lo, exec_lo, s1
	s_cbranch_vccz .LBB416_200
; %bb.197:
	v_cmp_eq_u16_e64 s1, s10, 11
	s_delay_alu instid0(VALU_DEP_1)
	s_and_b32 vcc_lo, exec_lo, s1
	s_cbranch_vccz .LBB416_199
; %bb.198:
	global_load_u8 v3, v[0:1], off
	s_mov_b32 s16, 0
	s_mov_b32 s0, -1
	s_waitcnt vmcnt(0)
	v_cmp_ne_u16_e32 vcc_lo, 0, v3
	v_cndmask_b32_e64 v3, 0, 1.0, vcc_lo
	s_delay_alu instid0(VALU_DEP_1)
	v_lshrrev_b32_e32 v4, 16, v3
	s_branch .LBB416_200
.LBB416_199:
	s_mov_b32 s16, -1
                                        ; implicit-def: $vgpr4
.LBB416_200:
	s_branch .LBB416_10
.LBB416_201:
	v_cmp_lt_i16_e64 s0, s10, 5
	s_delay_alu instid0(VALU_DEP_1)
	s_and_b32 vcc_lo, exec_lo, s0
	s_cbranch_vccnz .LBB416_206
; %bb.202:
	v_cmp_lt_i16_e64 s0, s10, 8
	s_delay_alu instid0(VALU_DEP_1)
	s_and_b32 vcc_lo, exec_lo, s0
	s_cbranch_vccnz .LBB416_207
; %bb.203:
	;; [unrolled: 5-line block ×3, first 2 shown]
	v_cmp_gt_i16_e64 s0, s10, 9
	s_delay_alu instid0(VALU_DEP_1)
	s_and_b32 vcc_lo, exec_lo, s0
	s_cbranch_vccz .LBB416_209
; %bb.205:
	global_load_b64 v[3:4], v[0:1], off
	s_mov_b32 s0, 0
	s_waitcnt vmcnt(0)
	v_cvt_f32_f64_e32 v3, v[3:4]
	s_delay_alu instid0(VALU_DEP_1) | instskip(SKIP_1) | instid1(VALU_DEP_2)
	v_bfe_u32 v4, v3, 16, 1
	v_cmp_o_f32_e32 vcc_lo, v3, v3
	v_add3_u32 v4, v3, v4, 0x7fff
	s_delay_alu instid0(VALU_DEP_1) | instskip(NEXT) | instid1(VALU_DEP_1)
	v_lshrrev_b32_e32 v4, 16, v4
	v_cndmask_b32_e32 v4, 0x7fc0, v4, vcc_lo
	s_branch .LBB416_210
.LBB416_206:
                                        ; implicit-def: $vgpr4
	s_branch .LBB416_228
.LBB416_207:
	s_mov_b32 s0, -1
                                        ; implicit-def: $vgpr4
	s_branch .LBB416_216
.LBB416_208:
	s_mov_b32 s0, -1
                                        ; implicit-def: $vgpr4
	s_branch .LBB416_213
.LBB416_209:
	s_mov_b32 s0, -1
                                        ; implicit-def: $vgpr4
.LBB416_210:
	s_delay_alu instid0(SALU_CYCLE_1)
	s_and_not1_b32 vcc_lo, exec_lo, s0
	s_cbranch_vccnz .LBB416_212
; %bb.211:
	global_load_b32 v3, v[0:1], off
	s_waitcnt vmcnt(0)
	v_bfe_u32 v4, v3, 16, 1
	v_cmp_o_f32_e32 vcc_lo, v3, v3
	s_delay_alu instid0(VALU_DEP_2) | instskip(NEXT) | instid1(VALU_DEP_1)
	v_add3_u32 v4, v3, v4, 0x7fff
	v_lshrrev_b32_e32 v4, 16, v4
	s_delay_alu instid0(VALU_DEP_1)
	v_cndmask_b32_e32 v4, 0x7fc0, v4, vcc_lo
.LBB416_212:
	s_mov_b32 s0, 0
.LBB416_213:
	s_delay_alu instid0(SALU_CYCLE_1)
	s_and_not1_b32 vcc_lo, exec_lo, s0
	s_cbranch_vccnz .LBB416_215
; %bb.214:
	global_load_b32 v3, v[0:1], off
	s_waitcnt vmcnt(0)
	v_cvt_f32_f16_e32 v4, v3
	v_cmp_o_f16_e32 vcc_lo, v3, v3
	s_delay_alu instid0(VALU_DEP_2) | instskip(NEXT) | instid1(VALU_DEP_1)
	v_bfe_u32 v5, v4, 16, 1
	v_add3_u32 v4, v4, v5, 0x7fff
	s_delay_alu instid0(VALU_DEP_1) | instskip(NEXT) | instid1(VALU_DEP_1)
	v_lshrrev_b32_e32 v4, 16, v4
	v_cndmask_b32_e32 v4, 0x7fc0, v4, vcc_lo
.LBB416_215:
	s_mov_b32 s0, 0
.LBB416_216:
	s_delay_alu instid0(SALU_CYCLE_1)
	s_and_not1_b32 vcc_lo, exec_lo, s0
	s_cbranch_vccnz .LBB416_227
; %bb.217:
	v_cmp_lt_i16_e64 s0, s10, 6
	s_delay_alu instid0(VALU_DEP_1)
	s_and_b32 vcc_lo, exec_lo, s0
	s_cbranch_vccnz .LBB416_220
; %bb.218:
	v_cmp_gt_i16_e64 s0, s10, 6
	s_delay_alu instid0(VALU_DEP_1)
	s_and_b32 vcc_lo, exec_lo, s0
	s_cbranch_vccz .LBB416_221
; %bb.219:
	global_load_b64 v[3:4], v[0:1], off
	s_mov_b32 s0, 0
	s_waitcnt vmcnt(0)
	v_cvt_f32_f64_e32 v3, v[3:4]
	s_delay_alu instid0(VALU_DEP_1) | instskip(SKIP_1) | instid1(VALU_DEP_2)
	v_bfe_u32 v4, v3, 16, 1
	v_cmp_o_f32_e32 vcc_lo, v3, v3
	v_add3_u32 v4, v3, v4, 0x7fff
	s_delay_alu instid0(VALU_DEP_1) | instskip(NEXT) | instid1(VALU_DEP_1)
	v_lshrrev_b32_e32 v4, 16, v4
	v_cndmask_b32_e32 v4, 0x7fc0, v4, vcc_lo
	s_branch .LBB416_222
.LBB416_220:
	s_mov_b32 s0, -1
                                        ; implicit-def: $vgpr4
	s_branch .LBB416_225
.LBB416_221:
	s_mov_b32 s0, -1
                                        ; implicit-def: $vgpr4
.LBB416_222:
	s_delay_alu instid0(SALU_CYCLE_1)
	s_and_not1_b32 vcc_lo, exec_lo, s0
	s_cbranch_vccnz .LBB416_224
; %bb.223:
	global_load_b32 v3, v[0:1], off
	s_waitcnt vmcnt(0)
	v_bfe_u32 v4, v3, 16, 1
	v_cmp_o_f32_e32 vcc_lo, v3, v3
	s_delay_alu instid0(VALU_DEP_2) | instskip(NEXT) | instid1(VALU_DEP_1)
	v_add3_u32 v4, v3, v4, 0x7fff
	v_lshrrev_b32_e32 v4, 16, v4
	s_delay_alu instid0(VALU_DEP_1)
	v_cndmask_b32_e32 v4, 0x7fc0, v4, vcc_lo
.LBB416_224:
	s_mov_b32 s0, 0
.LBB416_225:
	s_delay_alu instid0(SALU_CYCLE_1)
	s_and_not1_b32 vcc_lo, exec_lo, s0
	s_cbranch_vccnz .LBB416_227
; %bb.226:
	global_load_u16 v3, v[0:1], off
	s_waitcnt vmcnt(0)
	v_cvt_f32_f16_e32 v4, v3
	v_cmp_o_f16_e32 vcc_lo, v3, v3
	s_delay_alu instid0(VALU_DEP_2) | instskip(NEXT) | instid1(VALU_DEP_1)
	v_bfe_u32 v5, v4, 16, 1
	v_add3_u32 v4, v4, v5, 0x7fff
	s_delay_alu instid0(VALU_DEP_1) | instskip(NEXT) | instid1(VALU_DEP_1)
	v_lshrrev_b32_e32 v4, 16, v4
	v_cndmask_b32_e32 v4, 0x7fc0, v4, vcc_lo
.LBB416_227:
	s_cbranch_execnz .LBB416_247
.LBB416_228:
	v_cmp_lt_i16_e64 s0, s10, 2
	s_delay_alu instid0(VALU_DEP_1)
	s_and_b32 vcc_lo, exec_lo, s0
	s_cbranch_vccnz .LBB416_232
; %bb.229:
	v_cmp_lt_i16_e64 s0, s10, 3
	s_delay_alu instid0(VALU_DEP_1)
	s_and_b32 vcc_lo, exec_lo, s0
	s_cbranch_vccnz .LBB416_233
; %bb.230:
	v_cmp_gt_i16_e64 s0, s10, 3
	s_delay_alu instid0(VALU_DEP_1)
	s_and_b32 vcc_lo, exec_lo, s0
	s_cbranch_vccz .LBB416_234
; %bb.231:
	global_load_b64 v[3:4], v[0:1], off
	s_mov_b32 s0, 0
	s_waitcnt vmcnt(0)
	v_xor_b32_e32 v5, v3, v4
	v_cls_i32_e32 v6, v4
	s_delay_alu instid0(VALU_DEP_2) | instskip(NEXT) | instid1(VALU_DEP_2)
	v_ashrrev_i32_e32 v5, 31, v5
	v_add_nc_u32_e32 v6, -1, v6
	s_delay_alu instid0(VALU_DEP_2) | instskip(NEXT) | instid1(VALU_DEP_1)
	v_add_nc_u32_e32 v5, 32, v5
	v_min_u32_e32 v5, v6, v5
	s_delay_alu instid0(VALU_DEP_1) | instskip(NEXT) | instid1(VALU_DEP_1)
	v_lshlrev_b64 v[3:4], v5, v[3:4]
	v_min_u32_e32 v3, 1, v3
	s_delay_alu instid0(VALU_DEP_1) | instskip(SKIP_1) | instid1(VALU_DEP_2)
	v_or_b32_e32 v3, v4, v3
	v_sub_nc_u32_e32 v4, 32, v5
	v_cvt_f32_i32_e32 v3, v3
	s_delay_alu instid0(VALU_DEP_1) | instskip(NEXT) | instid1(VALU_DEP_1)
	v_ldexp_f32 v3, v3, v4
	v_bfe_u32 v4, v3, 16, 1
	s_delay_alu instid0(VALU_DEP_1) | instskip(NEXT) | instid1(VALU_DEP_1)
	v_add3_u32 v3, v3, v4, 0x7fff
	v_lshrrev_b32_e32 v4, 16, v3
	s_branch .LBB416_235
.LBB416_232:
	s_mov_b32 s0, -1
                                        ; implicit-def: $vgpr4
	s_branch .LBB416_241
.LBB416_233:
	s_mov_b32 s0, -1
                                        ; implicit-def: $vgpr4
	s_branch .LBB416_238
.LBB416_234:
	s_mov_b32 s0, -1
                                        ; implicit-def: $vgpr4
.LBB416_235:
	s_delay_alu instid0(SALU_CYCLE_1)
	s_and_not1_b32 vcc_lo, exec_lo, s0
	s_cbranch_vccnz .LBB416_237
; %bb.236:
	global_load_b32 v3, v[0:1], off
	s_waitcnt vmcnt(0)
	v_cvt_f32_i32_e32 v3, v3
	s_delay_alu instid0(VALU_DEP_1) | instskip(NEXT) | instid1(VALU_DEP_1)
	v_bfe_u32 v4, v3, 16, 1
	v_add3_u32 v3, v3, v4, 0x7fff
	s_delay_alu instid0(VALU_DEP_1)
	v_lshrrev_b32_e32 v4, 16, v3
.LBB416_237:
	s_mov_b32 s0, 0
.LBB416_238:
	s_delay_alu instid0(SALU_CYCLE_1)
	s_and_not1_b32 vcc_lo, exec_lo, s0
	s_cbranch_vccnz .LBB416_240
; %bb.239:
	global_load_i16 v3, v[0:1], off
	s_waitcnt vmcnt(0)
	v_cvt_f32_i32_e32 v3, v3
	s_delay_alu instid0(VALU_DEP_1) | instskip(NEXT) | instid1(VALU_DEP_1)
	v_bfe_u32 v4, v3, 16, 1
	v_add3_u32 v3, v3, v4, 0x7fff
	s_delay_alu instid0(VALU_DEP_1)
	v_lshrrev_b32_e32 v4, 16, v3
.LBB416_240:
	s_mov_b32 s0, 0
.LBB416_241:
	s_delay_alu instid0(SALU_CYCLE_1)
	s_and_not1_b32 vcc_lo, exec_lo, s0
	s_cbranch_vccnz .LBB416_247
; %bb.242:
	v_cmp_gt_i16_e64 s0, s10, 0
	s_delay_alu instid0(VALU_DEP_1)
	s_and_b32 vcc_lo, exec_lo, s0
	s_mov_b32 s0, 0
	s_cbranch_vccz .LBB416_244
; %bb.243:
	global_load_i8 v3, v[0:1], off
	s_waitcnt vmcnt(0)
	v_cvt_f32_i32_e32 v3, v3
	s_delay_alu instid0(VALU_DEP_1) | instskip(NEXT) | instid1(VALU_DEP_1)
	v_bfe_u32 v4, v3, 16, 1
	v_add3_u32 v3, v3, v4, 0x7fff
	s_delay_alu instid0(VALU_DEP_1)
	v_lshrrev_b32_e32 v4, 16, v3
	s_branch .LBB416_245
.LBB416_244:
	s_mov_b32 s0, -1
                                        ; implicit-def: $vgpr4
.LBB416_245:
	s_delay_alu instid0(SALU_CYCLE_1)
	s_and_not1_b32 vcc_lo, exec_lo, s0
	s_cbranch_vccnz .LBB416_247
; %bb.246:
	global_load_u8 v0, v[0:1], off
	s_waitcnt vmcnt(0)
	v_cvt_f32_ubyte0_e32 v0, v0
	s_delay_alu instid0(VALU_DEP_1) | instskip(NEXT) | instid1(VALU_DEP_1)
	v_bfe_u32 v1, v0, 16, 1
	v_add3_u32 v0, v0, v1, 0x7fff
	s_delay_alu instid0(VALU_DEP_1)
	v_lshrrev_b32_e32 v4, 16, v0
.LBB416_247:
	s_branch .LBB416_11
.LBB416_248:
	s_mov_b32 s0, 0
.LBB416_249:
	s_mov_b32 s1, 0
                                        ; implicit-def: $vgpr2
.LBB416_250:
	s_and_b32 s15, s0, exec_lo
	s_and_b32 s16, s16, exec_lo
	s_or_not1_b32 s1, s1, exec_lo
.LBB416_251:
	s_or_b32 exec_lo, exec_lo, s17
	s_mov_b32 s19, 0
	s_mov_b32 s0, 0
                                        ; implicit-def: $vgpr0_vgpr1
                                        ; implicit-def: $vgpr5
	s_and_saveexec_b32 s17, s1
	s_cbranch_execz .LBB416_859
; %bb.252:
	s_mov_b32 s0, -1
	s_mov_b32 s18, s16
	s_mov_b32 s19, s15
	s_mov_b32 s20, exec_lo
	v_cmpx_gt_i32_e64 s14, v2
	s_cbranch_execz .LBB416_511
; %bb.253:
	v_mul_lo_u32 v0, v2, s3
	v_cmp_lt_i16_e64 s0, s10, 11
	s_delay_alu instid0(VALU_DEP_2) | instskip(SKIP_1) | instid1(VALU_DEP_2)
	v_ashrrev_i32_e32 v1, 31, v0
	v_add_co_u32 v0, vcc_lo, s6, v0
	v_add_co_ci_u32_e32 v1, vcc_lo, s7, v1, vcc_lo
	s_delay_alu instid0(VALU_DEP_4)
	s_and_b32 vcc_lo, exec_lo, s0
	s_cbranch_vccnz .LBB416_260
; %bb.254:
	v_cmp_gt_i16_e64 s0, s10, 25
	s_delay_alu instid0(VALU_DEP_1)
	s_and_b32 vcc_lo, exec_lo, s0
	s_cbranch_vccz .LBB416_269
; %bb.255:
	v_cmp_gt_i16_e64 s0, s10, 28
	s_delay_alu instid0(VALU_DEP_1)
	s_and_b32 vcc_lo, exec_lo, s0
	s_cbranch_vccz .LBB416_271
	;; [unrolled: 5-line block ×4, first 2 shown]
; %bb.258:
	v_cmp_eq_u16_e64 s0, s10, 46
	s_mov_b32 s1, 0
	s_delay_alu instid0(VALU_DEP_1)
	s_and_b32 vcc_lo, exec_lo, s0
	s_cbranch_vccz .LBB416_281
; %bb.259:
	global_load_b32 v3, v[0:1], off
	s_mov_b32 s0, -1
	s_mov_b32 s18, 0
	s_branch .LBB416_283
.LBB416_260:
	s_mov_b32 s0, 0
	s_mov_b32 s18, s16
                                        ; implicit-def: $vgpr3
	s_cbranch_execnz .LBB416_460
.LBB416_261:
	s_and_not1_b32 vcc_lo, exec_lo, s0
	s_cbranch_vccnz .LBB416_508
.LBB416_262:
	s_waitcnt vmcnt(0)
	s_delay_alu instid0(VALU_DEP_1) | instskip(SKIP_2) | instid1(VALU_DEP_3)
	v_lshlrev_b32_e32 v0, 16, v3
	v_mul_lo_u32 v1, v2, s2
	v_and_b32_e64 v4, 0xff, s9
	v_cmp_u_f32_e32 vcc_lo, v0, v0
	v_cmp_lt_f32_e64 s0, s13, v0
	s_delay_alu instid0(VALU_DEP_3) | instskip(SKIP_1) | instid1(VALU_DEP_3)
	v_cmp_gt_i16_e64 s1, 11, v4
	v_ashrrev_i32_e32 v5, 31, v1
	s_or_b32 vcc_lo, vcc_lo, s0
	v_cndmask_b32_e32 v3, s8, v3, vcc_lo
	v_add_co_u32 v0, vcc_lo, s4, v1
	s_delay_alu instid0(VALU_DEP_3)
	v_add_co_ci_u32_e32 v1, vcc_lo, s5, v5, vcc_lo
	s_and_b32 vcc_lo, exec_lo, s1
	s_cbranch_vccnz .LBB416_270
; %bb.263:
	v_cmp_lt_i16_e32 vcc_lo, 25, v4
	s_cbranch_vccz .LBB416_272
; %bb.264:
	v_cmp_lt_i16_e32 vcc_lo, 28, v4
	s_cbranch_vccz .LBB416_274
	;; [unrolled: 3-line block ×4, first 2 shown]
; %bb.267:
	v_cmp_eq_u16_e32 vcc_lo, 46, v4
	s_mov_b32 s19, 0
	s_mov_b32 s0, -1
	s_mov_b32 s1, 0
	s_cbranch_vccz .LBB416_287
; %bb.268:
	v_and_b32_e32 v5, 0xffff, v3
	s_mov_b32 s1, -1
	s_mov_b32 s0, 0
	global_store_b32 v[0:1], v5, off
	s_branch .LBB416_287
.LBB416_269:
	s_mov_b32 s1, -1
	s_mov_b32 s0, 0
	s_mov_b32 s18, s16
                                        ; implicit-def: $vgpr3
	s_branch .LBB416_424
.LBB416_270:
	s_mov_b32 s19, -1
	s_mov_b32 s1, 0
	s_mov_b32 s0, s15
	s_branch .LBB416_356
.LBB416_271:
	s_mov_b32 s1, -1
	s_mov_b32 s0, 0
	s_mov_b32 s18, s16
                                        ; implicit-def: $vgpr3
	s_branch .LBB416_405
.LBB416_272:
	s_mov_b32 s19, -1
	s_mov_b32 s1, 0
	s_mov_b32 s0, s15
	s_branch .LBB416_314
.LBB416_273:
	s_mov_b32 s1, -1
	s_mov_b32 s0, 0
	s_mov_b32 s18, s16
                                        ; implicit-def: $vgpr3
	s_branch .LBB416_400
.LBB416_274:
	s_mov_b32 s19, -1
	s_mov_b32 s1, 0
	s_mov_b32 s0, s15
	s_branch .LBB416_297
.LBB416_275:
	s_or_saveexec_b32 s19, s19
                                        ; implicit-def: $sgpr20
	s_delay_alu instid0(SALU_CYCLE_1)
	s_xor_b32 exec_lo, exec_lo, s19
	s_cbranch_execz .LBB416_53
.LBB416_276:
	v_add_f32_e64 v6, 0x46000000, |v7|
	s_and_not1_b32 s15, s15, exec_lo
	s_mov_b32 s20, 0
	s_delay_alu instid0(VALU_DEP_1) | instskip(NEXT) | instid1(VALU_DEP_1)
	v_and_b32_e32 v6, 0xff, v6
	v_cmp_ne_u32_e32 vcc_lo, 0, v6
	s_and_b32 s21, vcc_lo, exec_lo
	s_delay_alu instid0(SALU_CYCLE_1)
	s_or_b32 s15, s15, s21
	s_or_b32 exec_lo, exec_lo, s19
	v_mov_b32_e32 v8, s20
	s_and_saveexec_b32 s19, s15
	s_cbranch_execnz .LBB416_54
	s_branch .LBB416_55
.LBB416_277:
	s_mov_b32 s1, -1
	s_mov_b32 s0, 0
	s_mov_b32 s18, s16
	s_branch .LBB416_282
.LBB416_278:
	s_mov_b32 s19, -1
	s_mov_b32 s1, 0
	s_mov_b32 s0, s15
	s_branch .LBB416_293
.LBB416_279:
	s_or_saveexec_b32 s19, s19
                                        ; implicit-def: $sgpr20
	s_delay_alu instid0(SALU_CYCLE_1)
	s_xor_b32 exec_lo, exec_lo, s19
	s_cbranch_execz .LBB416_66
.LBB416_280:
	v_add_f32_e64 v6, 0x42800000, |v7|
	s_and_not1_b32 s15, s15, exec_lo
	s_mov_b32 s20, 0
	s_delay_alu instid0(VALU_DEP_1) | instskip(NEXT) | instid1(VALU_DEP_1)
	v_and_b32_e32 v6, 0xff, v6
	v_cmp_ne_u32_e32 vcc_lo, 0, v6
	s_and_b32 s21, vcc_lo, exec_lo
	s_delay_alu instid0(SALU_CYCLE_1)
	s_or_b32 s15, s15, s21
	s_or_b32 exec_lo, exec_lo, s19
	v_mov_b32_e32 v8, s20
	s_and_saveexec_b32 s19, s15
	s_cbranch_execnz .LBB416_67
	s_branch .LBB416_68
.LBB416_281:
	s_mov_b32 s18, -1
	s_mov_b32 s0, 0
.LBB416_282:
                                        ; implicit-def: $vgpr3
.LBB416_283:
	s_and_b32 vcc_lo, exec_lo, s1
	s_cbranch_vccz .LBB416_399
; %bb.284:
	v_cmp_eq_u16_e64 s1, s10, 44
	s_delay_alu instid0(VALU_DEP_1)
	s_and_b32 vcc_lo, exec_lo, s1
	s_cbranch_vccz .LBB416_398
; %bb.285:
	global_load_u8 v3, v[0:1], off
	s_mov_b32 s18, 0
	s_mov_b32 s0, -1
	s_waitcnt vmcnt(0)
	v_lshlrev_b32_e32 v4, 23, v3
	v_cmp_ne_u32_e32 vcc_lo, 0xff, v3
	s_delay_alu instid0(VALU_DEP_2) | instskip(SKIP_1) | instid1(VALU_DEP_2)
	v_cndmask_b32_e32 v4, 0x7f800001, v4, vcc_lo
	v_cmp_ne_u32_e32 vcc_lo, 0, v3
	v_cndmask_b32_e32 v3, 0x400000, v4, vcc_lo
	s_delay_alu instid0(VALU_DEP_1) | instskip(SKIP_1) | instid1(VALU_DEP_2)
	v_add_nc_u32_e32 v4, 0x7fff, v3
	v_cmp_o_f32_e32 vcc_lo, v3, v3
	v_lshrrev_b32_e32 v4, 16, v4
	s_delay_alu instid0(VALU_DEP_1)
	v_cndmask_b32_e32 v3, 0x7fc0, v4, vcc_lo
	s_branch .LBB416_399
.LBB416_286:
	s_mov_b32 s19, -1
	s_mov_b32 s1, 0
	s_mov_b32 s0, s15
.LBB416_287:
	s_and_b32 vcc_lo, exec_lo, s19
	s_cbranch_vccz .LBB416_292
; %bb.288:
	v_cmp_eq_u16_e32 vcc_lo, 44, v4
	s_mov_b32 s0, -1
	s_cbranch_vccz .LBB416_292
; %bb.289:
	v_and_b32_e32 v5, 0xffff, v3
	v_mov_b32_e32 v6, 0xff
	s_mov_b32 s1, exec_lo
	s_delay_alu instid0(VALU_DEP_2) | instskip(NEXT) | instid1(VALU_DEP_1)
	v_bfe_u32 v7, v5, 7, 8
	v_cmpx_ne_u32_e32 0xff, v7
; %bb.290:
	v_lshlrev_b32_e32 v6, 16, v5
	v_and_b32_e32 v8, 64, v5
	v_lshrrev_b32_e32 v5, 7, v5
	s_delay_alu instid0(VALU_DEP_3) | instskip(NEXT) | instid1(VALU_DEP_3)
	v_and_or_b32 v6, 0x3f0000, v6, v7
	v_cmp_ne_u32_e32 vcc_lo, 0, v8
	s_delay_alu instid0(VALU_DEP_2) | instskip(NEXT) | instid1(VALU_DEP_1)
	v_cmp_ne_u32_e64 s0, 0, v6
	s_and_b32 s0, vcc_lo, s0
	s_delay_alu instid0(SALU_CYCLE_1) | instskip(NEXT) | instid1(VALU_DEP_1)
	v_cndmask_b32_e64 v6, 0, 1, s0
	v_add_nc_u32_e32 v6, v5, v6
; %bb.291:
	s_or_b32 exec_lo, exec_lo, s1
	s_mov_b32 s1, -1
	s_mov_b32 s0, 0
	global_store_b8 v[0:1], v6, off
.LBB416_292:
	s_mov_b32 s19, 0
.LBB416_293:
	s_delay_alu instid0(SALU_CYCLE_1)
	s_and_b32 vcc_lo, exec_lo, s19
	s_cbranch_vccz .LBB416_296
; %bb.294:
	v_cmp_eq_u16_e32 vcc_lo, 29, v4
	s_mov_b32 s0, -1
	s_cbranch_vccz .LBB416_296
; %bb.295:
	v_lshlrev_b32_e32 v5, 16, v3
	s_mov_b32 s1, -1
	s_mov_b32 s0, 0
	s_mov_b32 s19, 0
	s_delay_alu instid0(VALU_DEP_1) | instskip(NEXT) | instid1(VALU_DEP_1)
	v_trunc_f32_e32 v5, v5
	v_mul_f32_e32 v6, 0x2f800000, v5
	s_delay_alu instid0(VALU_DEP_1) | instskip(NEXT) | instid1(VALU_DEP_1)
	v_floor_f32_e32 v6, v6
	v_fmamk_f32 v5, v6, 0xcf800000, v5
	v_cvt_u32_f32_e32 v6, v6
	s_delay_alu instid0(VALU_DEP_2)
	v_cvt_u32_f32_e32 v5, v5
	global_store_b64 v[0:1], v[5:6], off
	s_branch .LBB416_297
.LBB416_296:
	s_mov_b32 s19, 0
.LBB416_297:
	s_delay_alu instid0(SALU_CYCLE_1)
	s_and_b32 vcc_lo, exec_lo, s19
	s_cbranch_vccz .LBB416_313
; %bb.298:
	v_cmp_gt_i16_e32 vcc_lo, 27, v4
	s_mov_b32 s1, -1
	s_cbranch_vccnz .LBB416_304
; %bb.299:
	v_cmp_lt_i16_e32 vcc_lo, 27, v4
	s_cbranch_vccz .LBB416_301
; %bb.300:
	v_lshlrev_b32_e32 v5, 16, v3
	s_mov_b32 s1, 0
	s_delay_alu instid0(VALU_DEP_1)
	v_cvt_u32_f32_e32 v5, v5
	global_store_b32 v[0:1], v5, off
.LBB416_301:
	s_and_not1_b32 vcc_lo, exec_lo, s1
	s_cbranch_vccnz .LBB416_303
; %bb.302:
	v_lshlrev_b32_e32 v5, 16, v3
	s_delay_alu instid0(VALU_DEP_1)
	v_cvt_u32_f32_e32 v5, v5
	global_store_b16 v[0:1], v5, off
.LBB416_303:
	s_mov_b32 s1, 0
.LBB416_304:
	s_delay_alu instid0(SALU_CYCLE_1)
	s_and_not1_b32 vcc_lo, exec_lo, s1
	s_cbranch_vccnz .LBB416_312
; %bb.305:
	v_dual_mov_b32 v8, 0x80 :: v_dual_lshlrev_b32 v7, 16, v3
	s_mov_b32 s1, exec_lo
	s_delay_alu instid0(VALU_DEP_1) | instskip(NEXT) | instid1(VALU_DEP_1)
	v_and_b32_e32 v6, 0x7fffffff, v7
	v_cmpx_gt_u32_e32 0x43800000, v6
	s_cbranch_execz .LBB416_311
; %bb.306:
	v_and_b32_e32 v5, 0xffff, v3
	v_cmp_lt_u32_e32 vcc_lo, 0x3bffffff, v6
	s_mov_b32 s19, 0
                                        ; implicit-def: $vgpr6
	s_and_saveexec_b32 s21, vcc_lo
	s_delay_alu instid0(SALU_CYCLE_1)
	s_xor_b32 s21, exec_lo, s21
	s_cbranch_execz .LBB416_524
; %bb.307:
	v_bfe_u32 v6, v5, 4, 1
	s_mov_b32 s19, exec_lo
	s_delay_alu instid0(VALU_DEP_1) | instskip(NEXT) | instid1(VALU_DEP_1)
	v_add3_u32 v6, v7, v6, 0x487ffff
                                        ; implicit-def: $vgpr7
	v_lshrrev_b32_e32 v6, 20, v6
	s_or_saveexec_b32 s21, s21
                                        ; implicit-def: $sgpr22
	s_delay_alu instid0(SALU_CYCLE_1)
	s_xor_b32 exec_lo, exec_lo, s21
	s_cbranch_execnz .LBB416_525
.LBB416_308:
	s_or_b32 exec_lo, exec_lo, s21
	v_mov_b32_e32 v8, s22
	s_and_saveexec_b32 s21, s19
.LBB416_309:
	v_lshrrev_b32_e32 v5, 8, v5
	s_delay_alu instid0(VALU_DEP_1)
	v_and_or_b32 v8, 0x80, v5, v6
.LBB416_310:
	s_or_b32 exec_lo, exec_lo, s21
.LBB416_311:
	s_delay_alu instid0(SALU_CYCLE_1)
	s_or_b32 exec_lo, exec_lo, s1
	global_store_b8 v[0:1], v8, off
.LBB416_312:
	s_mov_b32 s1, -1
.LBB416_313:
	s_mov_b32 s19, 0
.LBB416_314:
	s_delay_alu instid0(SALU_CYCLE_1)
	s_and_b32 vcc_lo, exec_lo, s19
	s_cbranch_vccz .LBB416_355
; %bb.315:
	v_cmp_lt_i16_e32 vcc_lo, 22, v4
	s_mov_b32 s19, -1
	s_cbranch_vccz .LBB416_347
; %bb.316:
	v_cmp_gt_i16_e32 vcc_lo, 24, v4
	s_mov_b32 s1, -1
	s_cbranch_vccnz .LBB416_336
; %bb.317:
	v_cmp_lt_i16_e32 vcc_lo, 24, v4
	s_cbranch_vccz .LBB416_325
; %bb.318:
	v_dual_mov_b32 v8, 0x80 :: v_dual_lshlrev_b32 v7, 16, v3
	s_mov_b32 s1, exec_lo
	s_delay_alu instid0(VALU_DEP_1) | instskip(NEXT) | instid1(VALU_DEP_1)
	v_and_b32_e32 v6, 0x7fffffff, v7
	v_cmpx_gt_u32_e32 0x47800000, v6
	s_cbranch_execz .LBB416_324
; %bb.319:
	v_and_b32_e32 v5, 0xffff, v3
	v_cmp_lt_u32_e32 vcc_lo, 0x37ffffff, v6
	s_mov_b32 s19, 0
                                        ; implicit-def: $vgpr6
	s_and_saveexec_b32 s21, vcc_lo
	s_delay_alu instid0(SALU_CYCLE_1)
	s_xor_b32 s21, exec_lo, s21
	s_cbranch_execz .LBB416_527
; %bb.320:
	v_bfe_u32 v6, v5, 5, 1
	s_mov_b32 s19, exec_lo
	s_delay_alu instid0(VALU_DEP_1) | instskip(NEXT) | instid1(VALU_DEP_1)
	v_add3_u32 v6, v7, v6, 0x88fffff
                                        ; implicit-def: $vgpr7
	v_lshrrev_b32_e32 v6, 21, v6
	s_or_saveexec_b32 s21, s21
                                        ; implicit-def: $sgpr22
	s_delay_alu instid0(SALU_CYCLE_1)
	s_xor_b32 exec_lo, exec_lo, s21
	s_cbranch_execnz .LBB416_528
.LBB416_321:
	s_or_b32 exec_lo, exec_lo, s21
	v_mov_b32_e32 v8, s22
	s_and_saveexec_b32 s21, s19
.LBB416_322:
	v_lshrrev_b32_e32 v5, 8, v5
	s_delay_alu instid0(VALU_DEP_1)
	v_and_or_b32 v8, 0x80, v5, v6
.LBB416_323:
	s_or_b32 exec_lo, exec_lo, s21
.LBB416_324:
	s_delay_alu instid0(SALU_CYCLE_1)
	s_or_b32 exec_lo, exec_lo, s1
	s_mov_b32 s1, 0
	global_store_b8 v[0:1], v8, off
.LBB416_325:
	s_and_b32 vcc_lo, exec_lo, s1
	s_cbranch_vccz .LBB416_335
; %bb.326:
	v_lshlrev_b32_e32 v7, 16, v3
	v_and_b32_e32 v5, 0xffff, v3
	s_mov_b32 s1, exec_lo
                                        ; implicit-def: $vgpr6
	s_delay_alu instid0(VALU_DEP_2) | instskip(NEXT) | instid1(VALU_DEP_1)
	v_and_b32_e32 v8, 0x7fffffff, v7
	v_cmpx_gt_u32_e32 0x43f00000, v8
	s_xor_b32 s1, exec_lo, s1
	s_cbranch_execz .LBB416_332
; %bb.327:
	s_mov_b32 s19, exec_lo
                                        ; implicit-def: $vgpr6
	v_cmpx_lt_u32_e32 0x3c7fffff, v8
	s_xor_b32 s19, exec_lo, s19
; %bb.328:
	v_bfe_u32 v6, v5, 4, 1
	s_delay_alu instid0(VALU_DEP_1) | instskip(NEXT) | instid1(VALU_DEP_1)
	v_add3_u32 v6, v7, v6, 0x407ffff
	v_and_b32_e32 v7, 0xff00000, v6
	v_lshrrev_b32_e32 v6, 20, v6
	s_delay_alu instid0(VALU_DEP_2) | instskip(NEXT) | instid1(VALU_DEP_2)
	v_cmp_ne_u32_e32 vcc_lo, 0x7f00000, v7
                                        ; implicit-def: $vgpr7
	v_cndmask_b32_e32 v6, 0x7e, v6, vcc_lo
; %bb.329:
	s_and_not1_saveexec_b32 s19, s19
; %bb.330:
	v_add_f32_e64 v6, 0x46800000, |v7|
; %bb.331:
	s_or_b32 exec_lo, exec_lo, s19
                                        ; implicit-def: $vgpr8
.LBB416_332:
	s_and_not1_saveexec_b32 s1, s1
; %bb.333:
	v_mov_b32_e32 v6, 0x7f
	v_cmp_lt_u32_e32 vcc_lo, 0x7f800000, v8
	s_delay_alu instid0(VALU_DEP_2)
	v_cndmask_b32_e32 v6, 0x7e, v6, vcc_lo
; %bb.334:
	s_or_b32 exec_lo, exec_lo, s1
	v_lshrrev_b32_e32 v5, 8, v5
	s_delay_alu instid0(VALU_DEP_1)
	v_and_or_b32 v5, 0x80, v5, v6
	global_store_b8 v[0:1], v5, off
.LBB416_335:
	s_mov_b32 s1, 0
.LBB416_336:
	s_delay_alu instid0(SALU_CYCLE_1)
	s_and_not1_b32 vcc_lo, exec_lo, s1
	s_cbranch_vccnz .LBB416_346
; %bb.337:
	v_lshlrev_b32_e32 v7, 16, v3
	v_and_b32_e32 v5, 0xffff, v3
	s_mov_b32 s1, exec_lo
                                        ; implicit-def: $vgpr6
	s_delay_alu instid0(VALU_DEP_2) | instskip(NEXT) | instid1(VALU_DEP_1)
	v_and_b32_e32 v8, 0x7fffffff, v7
	v_cmpx_gt_u32_e32 0x47800000, v8
	s_xor_b32 s1, exec_lo, s1
	s_cbranch_execz .LBB416_343
; %bb.338:
	s_mov_b32 s19, exec_lo
                                        ; implicit-def: $vgpr6
	v_cmpx_lt_u32_e32 0x387fffff, v8
	s_xor_b32 s19, exec_lo, s19
; %bb.339:
	v_bfe_u32 v6, v5, 5, 1
	s_delay_alu instid0(VALU_DEP_1) | instskip(NEXT) | instid1(VALU_DEP_1)
	v_add3_u32 v6, v7, v6, 0x80fffff
                                        ; implicit-def: $vgpr7
	v_lshrrev_b32_e32 v6, 21, v6
; %bb.340:
	s_and_not1_saveexec_b32 s19, s19
; %bb.341:
	v_add_f32_e64 v6, 0x43000000, |v7|
; %bb.342:
	s_or_b32 exec_lo, exec_lo, s19
                                        ; implicit-def: $vgpr8
.LBB416_343:
	s_and_not1_saveexec_b32 s1, s1
; %bb.344:
	v_mov_b32_e32 v6, 0x7f
	v_cmp_lt_u32_e32 vcc_lo, 0x7f800000, v8
	s_delay_alu instid0(VALU_DEP_2)
	v_cndmask_b32_e32 v6, 0x7c, v6, vcc_lo
; %bb.345:
	s_or_b32 exec_lo, exec_lo, s1
	v_lshrrev_b32_e32 v5, 8, v5
	s_delay_alu instid0(VALU_DEP_1)
	v_and_or_b32 v5, 0x80, v5, v6
	global_store_b8 v[0:1], v5, off
.LBB416_346:
	s_mov_b32 s19, 0
	s_mov_b32 s1, -1
.LBB416_347:
	s_and_not1_b32 vcc_lo, exec_lo, s19
	s_cbranch_vccnz .LBB416_355
; %bb.348:
	v_cmp_lt_i16_e32 vcc_lo, 14, v4
	s_mov_b32 s19, -1
	s_cbranch_vccz .LBB416_352
; %bb.349:
	v_cmp_eq_u16_e32 vcc_lo, 15, v4
	s_mov_b32 s0, -1
	s_cbranch_vccz .LBB416_351
; %bb.350:
	s_mov_b32 s1, -1
	s_mov_b32 s0, 0
	global_store_b16 v[0:1], v3, off
.LBB416_351:
	s_mov_b32 s19, 0
.LBB416_352:
	s_delay_alu instid0(SALU_CYCLE_1)
	s_and_b32 vcc_lo, exec_lo, s19
	s_cbranch_vccz .LBB416_355
; %bb.353:
	v_cmp_eq_u16_e32 vcc_lo, 11, v4
	s_mov_b32 s0, -1
	s_cbranch_vccz .LBB416_355
; %bb.354:
	v_and_b32_e32 v5, 0x7fff, v3
	s_mov_b32 s0, 0
	s_mov_b32 s1, -1
	s_delay_alu instid0(VALU_DEP_1)
	v_cmp_ne_u16_e32 vcc_lo, 0, v5
	v_cndmask_b32_e64 v5, 0, 1, vcc_lo
	global_store_b8 v[0:1], v5, off
.LBB416_355:
	s_mov_b32 s19, 0
.LBB416_356:
	s_delay_alu instid0(SALU_CYCLE_1)
	s_and_b32 vcc_lo, exec_lo, s19
	s_cbranch_vccz .LBB416_395
; %bb.357:
	v_cmp_gt_i16_e32 vcc_lo, 5, v4
	s_mov_b32 s1, -1
	s_cbranch_vccnz .LBB416_378
; %bb.358:
	v_cmp_gt_i16_e32 vcc_lo, 8, v4
	s_cbranch_vccnz .LBB416_368
; %bb.359:
	v_cmp_gt_i16_e32 vcc_lo, 9, v4
	s_cbranch_vccnz .LBB416_365
; %bb.360:
	v_cmp_lt_i16_e32 vcc_lo, 9, v4
	s_cbranch_vccz .LBB416_362
; %bb.361:
	v_mov_b32_e32 v7, 0
	v_lshlrev_b32_e32 v5, 16, v3
	s_mov_b32 s1, 0
	s_delay_alu instid0(VALU_DEP_2) | instskip(NEXT) | instid1(VALU_DEP_2)
	v_mov_b32_e32 v8, v7
	v_cvt_f64_f32_e32 v[5:6], v5
	global_store_b128 v[0:1], v[5:8], off
.LBB416_362:
	s_and_not1_b32 vcc_lo, exec_lo, s1
	s_cbranch_vccnz .LBB416_364
; %bb.363:
	v_dual_mov_b32 v6, 0 :: v_dual_lshlrev_b32 v5, 16, v3
	global_store_b64 v[0:1], v[5:6], off
.LBB416_364:
	s_mov_b32 s1, 0
.LBB416_365:
	s_delay_alu instid0(SALU_CYCLE_1)
	s_and_not1_b32 vcc_lo, exec_lo, s1
	s_cbranch_vccnz .LBB416_367
; %bb.366:
	v_lshlrev_b32_e32 v5, 16, v3
	s_delay_alu instid0(VALU_DEP_1) | instskip(NEXT) | instid1(VALU_DEP_1)
	v_cvt_f16_f32_e32 v5, v5
	v_and_b32_e32 v5, 0xffff, v5
	global_store_b32 v[0:1], v5, off
.LBB416_367:
	s_mov_b32 s1, 0
.LBB416_368:
	s_delay_alu instid0(SALU_CYCLE_1)
	s_and_not1_b32 vcc_lo, exec_lo, s1
	s_cbranch_vccnz .LBB416_377
; %bb.369:
	v_cmp_gt_i16_e32 vcc_lo, 6, v4
	s_mov_b32 s1, -1
	s_cbranch_vccnz .LBB416_375
; %bb.370:
	v_cmp_lt_i16_e32 vcc_lo, 6, v4
	s_cbranch_vccz .LBB416_372
; %bb.371:
	v_lshlrev_b32_e32 v5, 16, v3
	s_mov_b32 s1, 0
	s_delay_alu instid0(VALU_DEP_1)
	v_cvt_f64_f32_e32 v[5:6], v5
	global_store_b64 v[0:1], v[5:6], off
.LBB416_372:
	s_and_not1_b32 vcc_lo, exec_lo, s1
	s_cbranch_vccnz .LBB416_374
; %bb.373:
	v_lshlrev_b32_e32 v5, 16, v3
	global_store_b32 v[0:1], v5, off
.LBB416_374:
	s_mov_b32 s1, 0
.LBB416_375:
	s_delay_alu instid0(SALU_CYCLE_1)
	s_and_not1_b32 vcc_lo, exec_lo, s1
	s_cbranch_vccnz .LBB416_377
; %bb.376:
	v_lshlrev_b32_e32 v5, 16, v3
	s_delay_alu instid0(VALU_DEP_1)
	v_cvt_f16_f32_e32 v5, v5
	global_store_b16 v[0:1], v5, off
.LBB416_377:
	s_mov_b32 s1, 0
.LBB416_378:
	s_delay_alu instid0(SALU_CYCLE_1)
	s_and_not1_b32 vcc_lo, exec_lo, s1
	s_cbranch_vccnz .LBB416_394
; %bb.379:
	v_cmp_gt_i16_e32 vcc_lo, 2, v4
	s_mov_b32 s1, -1
	s_cbranch_vccnz .LBB416_389
; %bb.380:
	v_cmp_gt_i16_e32 vcc_lo, 3, v4
	s_cbranch_vccnz .LBB416_386
; %bb.381:
	v_cmp_lt_i16_e32 vcc_lo, 3, v4
	s_cbranch_vccz .LBB416_383
; %bb.382:
	v_lshlrev_b32_e32 v5, 16, v3
	s_mov_b32 s1, 0
	s_delay_alu instid0(VALU_DEP_1) | instskip(NEXT) | instid1(VALU_DEP_1)
	v_trunc_f32_e32 v5, v5
	v_mul_f32_e64 v6, 0x2f800000, |v5|
	v_ashrrev_i32_e32 v8, 31, v5
	s_delay_alu instid0(VALU_DEP_2) | instskip(NEXT) | instid1(VALU_DEP_1)
	v_floor_f32_e32 v6, v6
	v_fma_f32 v7, 0xcf800000, v6, |v5|
	v_cvt_u32_f32_e32 v6, v6
	s_delay_alu instid0(VALU_DEP_2) | instskip(NEXT) | instid1(VALU_DEP_2)
	v_cvt_u32_f32_e32 v5, v7
	v_xor_b32_e32 v6, v6, v8
	s_delay_alu instid0(VALU_DEP_2) | instskip(NEXT) | instid1(VALU_DEP_1)
	v_xor_b32_e32 v5, v5, v8
	v_sub_co_u32 v5, vcc_lo, v5, v8
	s_delay_alu instid0(VALU_DEP_3)
	v_sub_co_ci_u32_e32 v6, vcc_lo, v6, v8, vcc_lo
	global_store_b64 v[0:1], v[5:6], off
.LBB416_383:
	s_and_not1_b32 vcc_lo, exec_lo, s1
	s_cbranch_vccnz .LBB416_385
; %bb.384:
	v_lshlrev_b32_e32 v5, 16, v3
	s_delay_alu instid0(VALU_DEP_1)
	v_cvt_i32_f32_e32 v5, v5
	global_store_b32 v[0:1], v5, off
.LBB416_385:
	s_mov_b32 s1, 0
.LBB416_386:
	s_delay_alu instid0(SALU_CYCLE_1)
	s_and_not1_b32 vcc_lo, exec_lo, s1
	s_cbranch_vccnz .LBB416_388
; %bb.387:
	v_lshlrev_b32_e32 v5, 16, v3
	s_delay_alu instid0(VALU_DEP_1)
	v_cvt_i32_f32_e32 v5, v5
	global_store_b16 v[0:1], v5, off
.LBB416_388:
	s_mov_b32 s1, 0
.LBB416_389:
	s_delay_alu instid0(SALU_CYCLE_1)
	s_and_not1_b32 vcc_lo, exec_lo, s1
	s_cbranch_vccnz .LBB416_394
; %bb.390:
	v_cmp_lt_i16_e32 vcc_lo, 0, v4
	s_mov_b32 s1, -1
	s_cbranch_vccz .LBB416_392
; %bb.391:
	v_lshlrev_b32_e32 v4, 16, v3
	s_mov_b32 s1, 0
	s_delay_alu instid0(VALU_DEP_1)
	v_cvt_i32_f32_e32 v4, v4
	global_store_b8 v[0:1], v4, off
.LBB416_392:
	s_and_not1_b32 vcc_lo, exec_lo, s1
	s_cbranch_vccnz .LBB416_394
; %bb.393:
	v_lshlrev_b32_e32 v3, 16, v3
	s_delay_alu instid0(VALU_DEP_1) | instskip(NEXT) | instid1(VALU_DEP_1)
	v_trunc_f32_e32 v3, v3
	v_mul_f32_e64 v4, 0x2f800000, |v3|
	s_delay_alu instid0(VALU_DEP_1) | instskip(NEXT) | instid1(VALU_DEP_1)
	v_floor_f32_e32 v4, v4
	v_fma_f32 v4, 0xcf800000, v4, |v3|
	v_ashrrev_i32_e32 v3, 31, v3
	s_delay_alu instid0(VALU_DEP_2) | instskip(NEXT) | instid1(VALU_DEP_1)
	v_cvt_u32_f32_e32 v4, v4
	v_xor_b32_e32 v4, v4, v3
	s_delay_alu instid0(VALU_DEP_1)
	v_sub_nc_u32_e32 v3, v4, v3
	global_store_b8 v[0:1], v3, off
.LBB416_394:
	s_mov_b32 s1, -1
.LBB416_395:
	s_delay_alu instid0(SALU_CYCLE_1)
	s_and_not1_b32 vcc_lo, exec_lo, s1
	s_cbranch_vccnz .LBB416_397
; %bb.396:
	v_add_nc_u32_e32 v2, 0x80, v2
	s_mov_b32 s1, -1
	s_branch .LBB416_510
.LBB416_397:
	s_mov_b32 s1, 0
	s_branch .LBB416_509
.LBB416_398:
	s_mov_b32 s18, -1
                                        ; implicit-def: $vgpr3
.LBB416_399:
	s_mov_b32 s1, 0
.LBB416_400:
	s_delay_alu instid0(SALU_CYCLE_1)
	s_and_b32 vcc_lo, exec_lo, s1
	s_cbranch_vccz .LBB416_404
; %bb.401:
	v_cmp_eq_u16_e64 s1, s10, 29
	s_delay_alu instid0(VALU_DEP_1)
	s_and_b32 vcc_lo, exec_lo, s1
	s_cbranch_vccz .LBB416_403
; %bb.402:
	global_load_b64 v[3:4], v[0:1], off
	s_mov_b32 s0, -1
	s_mov_b32 s18, 0
	s_mov_b32 s1, 0
	s_waitcnt vmcnt(0)
	v_clz_i32_u32_e32 v5, v4
	s_delay_alu instid0(VALU_DEP_1) | instskip(NEXT) | instid1(VALU_DEP_1)
	v_min_u32_e32 v5, 32, v5
	v_lshlrev_b64 v[3:4], v5, v[3:4]
	s_delay_alu instid0(VALU_DEP_1) | instskip(NEXT) | instid1(VALU_DEP_1)
	v_min_u32_e32 v3, 1, v3
	v_or_b32_e32 v3, v4, v3
	v_sub_nc_u32_e32 v4, 32, v5
	s_delay_alu instid0(VALU_DEP_2) | instskip(NEXT) | instid1(VALU_DEP_1)
	v_cvt_f32_u32_e32 v3, v3
	v_ldexp_f32 v3, v3, v4
	s_delay_alu instid0(VALU_DEP_1) | instskip(NEXT) | instid1(VALU_DEP_1)
	v_bfe_u32 v4, v3, 16, 1
	v_add3_u32 v3, v3, v4, 0x7fff
	s_delay_alu instid0(VALU_DEP_1)
	v_lshrrev_b32_e32 v3, 16, v3
	s_branch .LBB416_405
.LBB416_403:
	s_mov_b32 s18, -1
                                        ; implicit-def: $vgpr3
.LBB416_404:
	s_mov_b32 s1, 0
.LBB416_405:
	s_delay_alu instid0(SALU_CYCLE_1)
	s_and_b32 vcc_lo, exec_lo, s1
	s_cbranch_vccz .LBB416_423
; %bb.406:
	v_cmp_lt_i16_e64 s0, s10, 27
	s_delay_alu instid0(VALU_DEP_1)
	s_and_b32 vcc_lo, exec_lo, s0
	s_cbranch_vccnz .LBB416_409
; %bb.407:
	v_cmp_gt_i16_e64 s0, s10, 27
	s_delay_alu instid0(VALU_DEP_1)
	s_and_b32 vcc_lo, exec_lo, s0
	s_cbranch_vccz .LBB416_410
; %bb.408:
	global_load_b32 v3, v[0:1], off
	s_mov_b32 s0, 0
	s_waitcnt vmcnt(0)
	v_cvt_f32_u32_e32 v3, v3
	s_delay_alu instid0(VALU_DEP_1) | instskip(NEXT) | instid1(VALU_DEP_1)
	v_bfe_u32 v4, v3, 16, 1
	v_add3_u32 v3, v3, v4, 0x7fff
	s_delay_alu instid0(VALU_DEP_1)
	v_lshrrev_b32_e32 v3, 16, v3
	s_branch .LBB416_411
.LBB416_409:
	s_mov_b32 s0, -1
                                        ; implicit-def: $vgpr3
	s_branch .LBB416_414
.LBB416_410:
	s_mov_b32 s0, -1
                                        ; implicit-def: $vgpr3
.LBB416_411:
	s_delay_alu instid0(SALU_CYCLE_1)
	s_and_not1_b32 vcc_lo, exec_lo, s0
	s_cbranch_vccnz .LBB416_413
; %bb.412:
	global_load_u16 v3, v[0:1], off
	s_waitcnt vmcnt(0)
	v_cvt_f32_u32_e32 v3, v3
	s_delay_alu instid0(VALU_DEP_1) | instskip(NEXT) | instid1(VALU_DEP_1)
	v_bfe_u32 v4, v3, 16, 1
	v_add3_u32 v3, v3, v4, 0x7fff
	s_delay_alu instid0(VALU_DEP_1)
	v_lshrrev_b32_e32 v3, 16, v3
.LBB416_413:
	s_mov_b32 s0, 0
.LBB416_414:
	s_delay_alu instid0(SALU_CYCLE_1)
	s_and_not1_b32 vcc_lo, exec_lo, s0
	s_cbranch_vccnz .LBB416_422
; %bb.415:
	global_load_u8 v3, v[0:1], off
	s_mov_b32 s0, 0
	s_mov_b32 s19, exec_lo
                                        ; implicit-def: $sgpr1
	s_waitcnt vmcnt(0)
	v_cmpx_lt_i16_e32 0x7f, v3
	s_xor_b32 s19, exec_lo, s19
	s_cbranch_execz .LBB416_436
; %bb.416:
	s_mov_b32 s0, -1
	s_mov_b32 s21, exec_lo
                                        ; implicit-def: $sgpr1
	v_cmpx_eq_u16_e32 0x80, v3
; %bb.417:
	s_mov_b32 s1, 0x7f800001
	s_xor_b32 s0, exec_lo, -1
; %bb.418:
	s_or_b32 exec_lo, exec_lo, s21
	s_delay_alu instid0(SALU_CYCLE_1)
	s_and_b32 s0, s0, exec_lo
	s_or_saveexec_b32 s19, s19
	v_mov_b32_e32 v4, s1
	s_xor_b32 exec_lo, exec_lo, s19
	s_cbranch_execnz .LBB416_437
.LBB416_419:
	s_or_b32 exec_lo, exec_lo, s19
	s_and_saveexec_b32 s1, s0
	s_cbranch_execz .LBB416_421
.LBB416_420:
	v_and_b32_e32 v4, 0xffff, v3
	v_lshlrev_b32_e32 v3, 24, v3
	s_delay_alu instid0(VALU_DEP_2) | instskip(NEXT) | instid1(VALU_DEP_2)
	v_and_b32_e32 v5, 7, v4
	v_and_b32_e32 v3, 0x80000000, v3
	s_delay_alu instid0(VALU_DEP_2) | instskip(NEXT) | instid1(VALU_DEP_1)
	v_clz_i32_u32_e32 v6, v5
	v_min_u32_e32 v6, 32, v6
	s_delay_alu instid0(VALU_DEP_1) | instskip(SKIP_1) | instid1(VALU_DEP_2)
	v_subrev_nc_u32_e32 v7, 28, v6
	v_sub_nc_u32_e32 v6, 29, v6
	v_lshlrev_b32_e32 v7, v7, v4
	v_bfe_u32 v4, v4, 3, 4
	s_delay_alu instid0(VALU_DEP_2) | instskip(NEXT) | instid1(VALU_DEP_2)
	v_and_b32_e32 v7, 7, v7
	v_cmp_eq_u32_e32 vcc_lo, 0, v4
	s_delay_alu instid0(VALU_DEP_2) | instskip(NEXT) | instid1(VALU_DEP_1)
	v_dual_cndmask_b32 v4, v4, v6 :: v_dual_cndmask_b32 v5, v5, v7
	v_lshl_add_u32 v4, v4, 23, 0x3b800000
	s_delay_alu instid0(VALU_DEP_2) | instskip(NEXT) | instid1(VALU_DEP_1)
	v_lshlrev_b32_e32 v5, 20, v5
	v_or3_b32 v4, v3, v4, v5
.LBB416_421:
	s_or_b32 exec_lo, exec_lo, s1
	s_delay_alu instid0(VALU_DEP_1) | instskip(SKIP_1) | instid1(VALU_DEP_2)
	v_bfe_u32 v3, v4, 16, 1
	v_cmp_o_f32_e32 vcc_lo, v4, v4
	v_add3_u32 v3, v4, v3, 0x7fff
	s_delay_alu instid0(VALU_DEP_1) | instskip(NEXT) | instid1(VALU_DEP_1)
	v_lshrrev_b32_e32 v3, 16, v3
	v_cndmask_b32_e32 v3, 0x7fc0, v3, vcc_lo
.LBB416_422:
	s_mov_b32 s0, -1
.LBB416_423:
	s_mov_b32 s1, 0
.LBB416_424:
	s_delay_alu instid0(SALU_CYCLE_1)
	s_and_b32 vcc_lo, exec_lo, s1
	s_cbranch_vccz .LBB416_459
; %bb.425:
	v_cmp_gt_i16_e64 s1, s10, 22
	s_delay_alu instid0(VALU_DEP_1)
	s_and_b32 vcc_lo, exec_lo, s1
	s_cbranch_vccz .LBB416_435
; %bb.426:
	v_cmp_lt_i16_e64 s0, s10, 24
	s_delay_alu instid0(VALU_DEP_1)
	s_and_b32 vcc_lo, exec_lo, s0
	s_cbranch_vccnz .LBB416_438
; %bb.427:
	v_cmp_gt_i16_e64 s0, s10, 24
	s_delay_alu instid0(VALU_DEP_1)
	s_and_b32 vcc_lo, exec_lo, s0
	s_cbranch_vccz .LBB416_439
; %bb.428:
	global_load_u8 v3, v[0:1], off
	s_mov_b32 s0, 0
	s_mov_b32 s19, exec_lo
                                        ; implicit-def: $sgpr1
	s_waitcnt vmcnt(0)
	v_cmpx_lt_i16_e32 0x7f, v3
	s_xor_b32 s19, exec_lo, s19
	s_cbranch_execz .LBB416_451
; %bb.429:
	s_mov_b32 s0, -1
	s_mov_b32 s21, exec_lo
                                        ; implicit-def: $sgpr1
	v_cmpx_eq_u16_e32 0x80, v3
; %bb.430:
	s_mov_b32 s1, 0x7f800001
	s_xor_b32 s0, exec_lo, -1
; %bb.431:
	s_or_b32 exec_lo, exec_lo, s21
	s_delay_alu instid0(SALU_CYCLE_1)
	s_and_b32 s0, s0, exec_lo
	s_or_saveexec_b32 s19, s19
	v_mov_b32_e32 v4, s1
	s_xor_b32 exec_lo, exec_lo, s19
	s_cbranch_execnz .LBB416_452
.LBB416_432:
	s_or_b32 exec_lo, exec_lo, s19
	s_and_saveexec_b32 s1, s0
	s_cbranch_execz .LBB416_434
.LBB416_433:
	v_and_b32_e32 v4, 0xffff, v3
	v_lshlrev_b32_e32 v3, 24, v3
	s_delay_alu instid0(VALU_DEP_2) | instskip(NEXT) | instid1(VALU_DEP_2)
	v_and_b32_e32 v5, 3, v4
	v_and_b32_e32 v3, 0x80000000, v3
	s_delay_alu instid0(VALU_DEP_2) | instskip(NEXT) | instid1(VALU_DEP_1)
	v_clz_i32_u32_e32 v6, v5
	v_min_u32_e32 v6, 32, v6
	s_delay_alu instid0(VALU_DEP_1) | instskip(SKIP_1) | instid1(VALU_DEP_2)
	v_subrev_nc_u32_e32 v7, 29, v6
	v_sub_nc_u32_e32 v6, 30, v6
	v_lshlrev_b32_e32 v7, v7, v4
	v_bfe_u32 v4, v4, 2, 5
	s_delay_alu instid0(VALU_DEP_2) | instskip(NEXT) | instid1(VALU_DEP_2)
	v_and_b32_e32 v7, 3, v7
	v_cmp_eq_u32_e32 vcc_lo, 0, v4
	s_delay_alu instid0(VALU_DEP_2) | instskip(NEXT) | instid1(VALU_DEP_1)
	v_dual_cndmask_b32 v4, v4, v6 :: v_dual_cndmask_b32 v5, v5, v7
	v_lshl_add_u32 v4, v4, 23, 0x37800000
	s_delay_alu instid0(VALU_DEP_2) | instskip(NEXT) | instid1(VALU_DEP_1)
	v_lshlrev_b32_e32 v5, 21, v5
	v_or3_b32 v4, v3, v4, v5
.LBB416_434:
	s_or_b32 exec_lo, exec_lo, s1
	s_delay_alu instid0(VALU_DEP_1) | instskip(SKIP_2) | instid1(VALU_DEP_2)
	v_bfe_u32 v3, v4, 16, 1
	v_cmp_o_f32_e32 vcc_lo, v4, v4
	s_mov_b32 s0, 0
	v_add3_u32 v3, v4, v3, 0x7fff
	s_delay_alu instid0(VALU_DEP_1) | instskip(NEXT) | instid1(VALU_DEP_1)
	v_lshrrev_b32_e32 v3, 16, v3
	v_cndmask_b32_e32 v3, 0x7fc0, v3, vcc_lo
	s_branch .LBB416_440
.LBB416_435:
	s_mov_b32 s1, -1
                                        ; implicit-def: $vgpr3
	s_branch .LBB416_446
.LBB416_436:
	s_or_saveexec_b32 s19, s19
	v_mov_b32_e32 v4, s1
	s_xor_b32 exec_lo, exec_lo, s19
	s_cbranch_execz .LBB416_419
.LBB416_437:
	v_cmp_ne_u16_e32 vcc_lo, 0, v3
	v_mov_b32_e32 v4, 0
	s_and_not1_b32 s0, s0, exec_lo
	s_and_b32 s1, vcc_lo, exec_lo
	s_delay_alu instid0(SALU_CYCLE_1)
	s_or_b32 s0, s0, s1
	s_or_b32 exec_lo, exec_lo, s19
	s_and_saveexec_b32 s1, s0
	s_cbranch_execnz .LBB416_420
	s_branch .LBB416_421
.LBB416_438:
	s_mov_b32 s0, -1
                                        ; implicit-def: $vgpr3
	s_branch .LBB416_443
.LBB416_439:
	s_mov_b32 s0, -1
                                        ; implicit-def: $vgpr3
.LBB416_440:
	s_delay_alu instid0(SALU_CYCLE_1)
	s_and_b32 vcc_lo, exec_lo, s0
	s_cbranch_vccz .LBB416_442
; %bb.441:
	global_load_u8 v3, v[0:1], off
	s_waitcnt vmcnt(0)
	v_lshlrev_b32_e32 v3, 24, v3
	s_delay_alu instid0(VALU_DEP_1) | instskip(NEXT) | instid1(VALU_DEP_1)
	v_and_b32_e32 v4, 0x7f000000, v3
	v_clz_i32_u32_e32 v5, v4
	v_add_nc_u32_e32 v7, 0x1000000, v4
	v_cmp_ne_u32_e32 vcc_lo, 0, v4
	s_delay_alu instid0(VALU_DEP_3) | instskip(NEXT) | instid1(VALU_DEP_1)
	v_min_u32_e32 v5, 32, v5
	v_sub_nc_u32_e64 v5, v5, 4 clamp
	s_delay_alu instid0(VALU_DEP_1) | instskip(SKIP_1) | instid1(VALU_DEP_2)
	v_lshlrev_b32_e32 v6, v5, v4
	v_lshlrev_b32_e32 v5, 23, v5
	v_lshrrev_b32_e32 v6, 4, v6
	s_delay_alu instid0(VALU_DEP_1) | instskip(SKIP_1) | instid1(VALU_DEP_2)
	v_sub_nc_u32_e32 v5, v6, v5
	v_ashrrev_i32_e32 v6, 8, v7
	v_add_nc_u32_e32 v5, 0x3c000000, v5
	s_delay_alu instid0(VALU_DEP_1) | instskip(NEXT) | instid1(VALU_DEP_1)
	v_and_or_b32 v5, 0x7f800000, v6, v5
	v_cndmask_b32_e32 v4, 0, v5, vcc_lo
	s_delay_alu instid0(VALU_DEP_1) | instskip(SKIP_1) | instid1(VALU_DEP_2)
	v_and_or_b32 v3, 0x80000000, v3, v4
	v_bfe_u32 v4, v4, 16, 1
	v_cmp_o_f32_e32 vcc_lo, v3, v3
	s_delay_alu instid0(VALU_DEP_2) | instskip(NEXT) | instid1(VALU_DEP_1)
	v_add3_u32 v4, v3, v4, 0x7fff
	v_lshrrev_b32_e32 v4, 16, v4
	s_delay_alu instid0(VALU_DEP_1)
	v_cndmask_b32_e32 v3, 0x7fc0, v4, vcc_lo
.LBB416_442:
	s_mov_b32 s0, 0
.LBB416_443:
	s_delay_alu instid0(SALU_CYCLE_1)
	s_and_not1_b32 vcc_lo, exec_lo, s0
	s_cbranch_vccnz .LBB416_445
; %bb.444:
	global_load_u8 v3, v[0:1], off
	s_waitcnt vmcnt(0)
	v_lshlrev_b32_e32 v4, 25, v3
	v_lshlrev_b16 v3, 8, v3
	s_delay_alu instid0(VALU_DEP_2) | instskip(NEXT) | instid1(VALU_DEP_2)
	v_lshrrev_b32_e32 v5, 4, v4
	v_and_or_b32 v6, 0x7f00, v3, 0.5
	v_bfe_i32 v3, v3, 0, 16
	s_delay_alu instid0(VALU_DEP_3) | instskip(NEXT) | instid1(VALU_DEP_1)
	v_or_b32_e32 v5, 0x70000000, v5
	v_dual_add_f32 v6, -0.5, v6 :: v_dual_mul_f32 v5, 0x7800000, v5
	v_cmp_gt_u32_e32 vcc_lo, 0x8000000, v4
	s_delay_alu instid0(VALU_DEP_2) | instskip(NEXT) | instid1(VALU_DEP_1)
	v_cndmask_b32_e32 v4, v5, v6, vcc_lo
	v_and_or_b32 v3, 0x80000000, v3, v4
	v_bfe_u32 v4, v4, 16, 1
	s_delay_alu instid0(VALU_DEP_2) | instskip(NEXT) | instid1(VALU_DEP_2)
	v_cmp_o_f32_e32 vcc_lo, v3, v3
	v_add3_u32 v4, v3, v4, 0x7fff
	s_delay_alu instid0(VALU_DEP_1) | instskip(NEXT) | instid1(VALU_DEP_1)
	v_lshrrev_b32_e32 v4, 16, v4
	v_cndmask_b32_e32 v3, 0x7fc0, v4, vcc_lo
.LBB416_445:
	s_mov_b32 s1, 0
	s_mov_b32 s0, -1
.LBB416_446:
	s_and_not1_b32 vcc_lo, exec_lo, s1
	s_cbranch_vccnz .LBB416_459
; %bb.447:
	v_cmp_gt_i16_e64 s1, s10, 14
	s_delay_alu instid0(VALU_DEP_1)
	s_and_b32 vcc_lo, exec_lo, s1
	s_cbranch_vccz .LBB416_450
; %bb.448:
	v_cmp_eq_u16_e64 s1, s10, 15
	s_delay_alu instid0(VALU_DEP_1)
	s_and_b32 vcc_lo, exec_lo, s1
	s_cbranch_vccz .LBB416_453
; %bb.449:
	global_load_u16 v3, v[0:1], off
	s_mov_b32 s0, -1
	s_mov_b32 s18, 0
	s_branch .LBB416_454
.LBB416_450:
	s_mov_b32 s1, -1
                                        ; implicit-def: $vgpr3
	s_branch .LBB416_455
.LBB416_451:
	s_or_saveexec_b32 s19, s19
	v_mov_b32_e32 v4, s1
	s_xor_b32 exec_lo, exec_lo, s19
	s_cbranch_execz .LBB416_432
.LBB416_452:
	v_cmp_ne_u16_e32 vcc_lo, 0, v3
	v_mov_b32_e32 v4, 0
	s_and_not1_b32 s0, s0, exec_lo
	s_and_b32 s1, vcc_lo, exec_lo
	s_delay_alu instid0(SALU_CYCLE_1)
	s_or_b32 s0, s0, s1
	s_or_b32 exec_lo, exec_lo, s19
	s_and_saveexec_b32 s1, s0
	s_cbranch_execnz .LBB416_433
	s_branch .LBB416_434
.LBB416_453:
	s_mov_b32 s18, -1
                                        ; implicit-def: $vgpr3
.LBB416_454:
	s_mov_b32 s1, 0
.LBB416_455:
	s_delay_alu instid0(SALU_CYCLE_1)
	s_and_b32 vcc_lo, exec_lo, s1
	s_cbranch_vccz .LBB416_459
; %bb.456:
	v_cmp_eq_u16_e64 s1, s10, 11
	s_delay_alu instid0(VALU_DEP_1)
	s_and_b32 vcc_lo, exec_lo, s1
	s_cbranch_vccz .LBB416_458
; %bb.457:
	global_load_u8 v3, v[0:1], off
	s_mov_b32 s18, 0
	s_mov_b32 s0, -1
	s_waitcnt vmcnt(0)
	v_cmp_ne_u16_e32 vcc_lo, 0, v3
	v_cndmask_b32_e64 v3, 0, 1.0, vcc_lo
	s_delay_alu instid0(VALU_DEP_1)
	v_lshrrev_b32_e32 v3, 16, v3
	s_branch .LBB416_459
.LBB416_458:
	s_mov_b32 s18, -1
                                        ; implicit-def: $vgpr3
.LBB416_459:
	s_branch .LBB416_261
.LBB416_460:
	v_cmp_lt_i16_e64 s0, s10, 5
	s_delay_alu instid0(VALU_DEP_1)
	s_and_b32 vcc_lo, exec_lo, s0
	s_cbranch_vccnz .LBB416_465
; %bb.461:
	v_cmp_lt_i16_e64 s0, s10, 8
	s_delay_alu instid0(VALU_DEP_1)
	s_and_b32 vcc_lo, exec_lo, s0
	s_cbranch_vccnz .LBB416_466
; %bb.462:
	;; [unrolled: 5-line block ×3, first 2 shown]
	v_cmp_gt_i16_e64 s0, s10, 9
	s_delay_alu instid0(VALU_DEP_1)
	s_and_b32 vcc_lo, exec_lo, s0
	s_cbranch_vccz .LBB416_468
; %bb.464:
	global_load_b64 v[3:4], v[0:1], off
	s_mov_b32 s0, 0
	s_waitcnt vmcnt(0)
	v_cvt_f32_f64_e32 v3, v[3:4]
	s_delay_alu instid0(VALU_DEP_1) | instskip(SKIP_1) | instid1(VALU_DEP_2)
	v_bfe_u32 v4, v3, 16, 1
	v_cmp_o_f32_e32 vcc_lo, v3, v3
	v_add3_u32 v4, v3, v4, 0x7fff
	s_delay_alu instid0(VALU_DEP_1) | instskip(NEXT) | instid1(VALU_DEP_1)
	v_lshrrev_b32_e32 v4, 16, v4
	v_cndmask_b32_e32 v3, 0x7fc0, v4, vcc_lo
	s_branch .LBB416_469
.LBB416_465:
	s_mov_b32 s0, -1
                                        ; implicit-def: $vgpr3
	s_branch .LBB416_487
.LBB416_466:
	s_mov_b32 s0, -1
                                        ; implicit-def: $vgpr3
	s_branch .LBB416_475
.LBB416_467:
	s_mov_b32 s0, -1
                                        ; implicit-def: $vgpr3
	s_branch .LBB416_472
.LBB416_468:
	s_mov_b32 s0, -1
                                        ; implicit-def: $vgpr3
.LBB416_469:
	s_delay_alu instid0(SALU_CYCLE_1)
	s_and_not1_b32 vcc_lo, exec_lo, s0
	s_cbranch_vccnz .LBB416_471
; %bb.470:
	global_load_b32 v3, v[0:1], off
	s_waitcnt vmcnt(0)
	v_bfe_u32 v4, v3, 16, 1
	v_cmp_o_f32_e32 vcc_lo, v3, v3
	s_delay_alu instid0(VALU_DEP_2) | instskip(NEXT) | instid1(VALU_DEP_1)
	v_add3_u32 v4, v3, v4, 0x7fff
	v_lshrrev_b32_e32 v4, 16, v4
	s_delay_alu instid0(VALU_DEP_1)
	v_cndmask_b32_e32 v3, 0x7fc0, v4, vcc_lo
.LBB416_471:
	s_mov_b32 s0, 0
.LBB416_472:
	s_delay_alu instid0(SALU_CYCLE_1)
	s_and_not1_b32 vcc_lo, exec_lo, s0
	s_cbranch_vccnz .LBB416_474
; %bb.473:
	global_load_b32 v3, v[0:1], off
	s_waitcnt vmcnt(0)
	v_cvt_f32_f16_e32 v4, v3
	v_cmp_o_f16_e32 vcc_lo, v3, v3
	s_delay_alu instid0(VALU_DEP_2) | instskip(NEXT) | instid1(VALU_DEP_1)
	v_bfe_u32 v5, v4, 16, 1
	v_add3_u32 v4, v4, v5, 0x7fff
	s_delay_alu instid0(VALU_DEP_1) | instskip(NEXT) | instid1(VALU_DEP_1)
	v_lshrrev_b32_e32 v4, 16, v4
	v_cndmask_b32_e32 v3, 0x7fc0, v4, vcc_lo
.LBB416_474:
	s_mov_b32 s0, 0
.LBB416_475:
	s_delay_alu instid0(SALU_CYCLE_1)
	s_and_not1_b32 vcc_lo, exec_lo, s0
	s_cbranch_vccnz .LBB416_486
; %bb.476:
	v_cmp_lt_i16_e64 s0, s10, 6
	s_delay_alu instid0(VALU_DEP_1)
	s_and_b32 vcc_lo, exec_lo, s0
	s_cbranch_vccnz .LBB416_479
; %bb.477:
	v_cmp_gt_i16_e64 s0, s10, 6
	s_delay_alu instid0(VALU_DEP_1)
	s_and_b32 vcc_lo, exec_lo, s0
	s_cbranch_vccz .LBB416_480
; %bb.478:
	global_load_b64 v[3:4], v[0:1], off
	s_mov_b32 s0, 0
	s_waitcnt vmcnt(0)
	v_cvt_f32_f64_e32 v3, v[3:4]
	s_delay_alu instid0(VALU_DEP_1) | instskip(SKIP_1) | instid1(VALU_DEP_2)
	v_bfe_u32 v4, v3, 16, 1
	v_cmp_o_f32_e32 vcc_lo, v3, v3
	v_add3_u32 v4, v3, v4, 0x7fff
	s_delay_alu instid0(VALU_DEP_1) | instskip(NEXT) | instid1(VALU_DEP_1)
	v_lshrrev_b32_e32 v4, 16, v4
	v_cndmask_b32_e32 v3, 0x7fc0, v4, vcc_lo
	s_branch .LBB416_481
.LBB416_479:
	s_mov_b32 s0, -1
                                        ; implicit-def: $vgpr3
	s_branch .LBB416_484
.LBB416_480:
	s_mov_b32 s0, -1
                                        ; implicit-def: $vgpr3
.LBB416_481:
	s_delay_alu instid0(SALU_CYCLE_1)
	s_and_not1_b32 vcc_lo, exec_lo, s0
	s_cbranch_vccnz .LBB416_483
; %bb.482:
	global_load_b32 v3, v[0:1], off
	s_waitcnt vmcnt(0)
	v_bfe_u32 v4, v3, 16, 1
	v_cmp_o_f32_e32 vcc_lo, v3, v3
	s_delay_alu instid0(VALU_DEP_2) | instskip(NEXT) | instid1(VALU_DEP_1)
	v_add3_u32 v4, v3, v4, 0x7fff
	v_lshrrev_b32_e32 v4, 16, v4
	s_delay_alu instid0(VALU_DEP_1)
	v_cndmask_b32_e32 v3, 0x7fc0, v4, vcc_lo
.LBB416_483:
	s_mov_b32 s0, 0
.LBB416_484:
	s_delay_alu instid0(SALU_CYCLE_1)
	s_and_not1_b32 vcc_lo, exec_lo, s0
	s_cbranch_vccnz .LBB416_486
; %bb.485:
	global_load_u16 v3, v[0:1], off
	s_waitcnt vmcnt(0)
	v_cvt_f32_f16_e32 v4, v3
	v_cmp_o_f16_e32 vcc_lo, v3, v3
	s_delay_alu instid0(VALU_DEP_2) | instskip(NEXT) | instid1(VALU_DEP_1)
	v_bfe_u32 v5, v4, 16, 1
	v_add3_u32 v4, v4, v5, 0x7fff
	s_delay_alu instid0(VALU_DEP_1) | instskip(NEXT) | instid1(VALU_DEP_1)
	v_lshrrev_b32_e32 v4, 16, v4
	v_cndmask_b32_e32 v3, 0x7fc0, v4, vcc_lo
.LBB416_486:
	s_mov_b32 s0, 0
.LBB416_487:
	s_delay_alu instid0(SALU_CYCLE_1)
	s_and_not1_b32 vcc_lo, exec_lo, s0
	s_cbranch_vccnz .LBB416_507
; %bb.488:
	v_cmp_lt_i16_e64 s0, s10, 2
	s_delay_alu instid0(VALU_DEP_1)
	s_and_b32 vcc_lo, exec_lo, s0
	s_cbranch_vccnz .LBB416_492
; %bb.489:
	v_cmp_lt_i16_e64 s0, s10, 3
	s_delay_alu instid0(VALU_DEP_1)
	s_and_b32 vcc_lo, exec_lo, s0
	s_cbranch_vccnz .LBB416_493
; %bb.490:
	v_cmp_gt_i16_e64 s0, s10, 3
	s_delay_alu instid0(VALU_DEP_1)
	s_and_b32 vcc_lo, exec_lo, s0
	s_cbranch_vccz .LBB416_494
; %bb.491:
	global_load_b64 v[3:4], v[0:1], off
	s_mov_b32 s0, 0
	s_waitcnt vmcnt(0)
	v_xor_b32_e32 v5, v3, v4
	v_cls_i32_e32 v6, v4
	s_delay_alu instid0(VALU_DEP_2) | instskip(NEXT) | instid1(VALU_DEP_2)
	v_ashrrev_i32_e32 v5, 31, v5
	v_add_nc_u32_e32 v6, -1, v6
	s_delay_alu instid0(VALU_DEP_2) | instskip(NEXT) | instid1(VALU_DEP_1)
	v_add_nc_u32_e32 v5, 32, v5
	v_min_u32_e32 v5, v6, v5
	s_delay_alu instid0(VALU_DEP_1) | instskip(NEXT) | instid1(VALU_DEP_1)
	v_lshlrev_b64 v[3:4], v5, v[3:4]
	v_min_u32_e32 v3, 1, v3
	s_delay_alu instid0(VALU_DEP_1) | instskip(SKIP_1) | instid1(VALU_DEP_2)
	v_or_b32_e32 v3, v4, v3
	v_sub_nc_u32_e32 v4, 32, v5
	v_cvt_f32_i32_e32 v3, v3
	s_delay_alu instid0(VALU_DEP_1) | instskip(NEXT) | instid1(VALU_DEP_1)
	v_ldexp_f32 v3, v3, v4
	v_bfe_u32 v4, v3, 16, 1
	s_delay_alu instid0(VALU_DEP_1) | instskip(NEXT) | instid1(VALU_DEP_1)
	v_add3_u32 v3, v3, v4, 0x7fff
	v_lshrrev_b32_e32 v3, 16, v3
	s_branch .LBB416_495
.LBB416_492:
	s_mov_b32 s0, -1
                                        ; implicit-def: $vgpr3
	s_branch .LBB416_501
.LBB416_493:
	s_mov_b32 s0, -1
                                        ; implicit-def: $vgpr3
	s_branch .LBB416_498
.LBB416_494:
	s_mov_b32 s0, -1
                                        ; implicit-def: $vgpr3
.LBB416_495:
	s_delay_alu instid0(SALU_CYCLE_1)
	s_and_not1_b32 vcc_lo, exec_lo, s0
	s_cbranch_vccnz .LBB416_497
; %bb.496:
	global_load_b32 v3, v[0:1], off
	s_waitcnt vmcnt(0)
	v_cvt_f32_i32_e32 v3, v3
	s_delay_alu instid0(VALU_DEP_1) | instskip(NEXT) | instid1(VALU_DEP_1)
	v_bfe_u32 v4, v3, 16, 1
	v_add3_u32 v3, v3, v4, 0x7fff
	s_delay_alu instid0(VALU_DEP_1)
	v_lshrrev_b32_e32 v3, 16, v3
.LBB416_497:
	s_mov_b32 s0, 0
.LBB416_498:
	s_delay_alu instid0(SALU_CYCLE_1)
	s_and_not1_b32 vcc_lo, exec_lo, s0
	s_cbranch_vccnz .LBB416_500
; %bb.499:
	global_load_i16 v3, v[0:1], off
	s_waitcnt vmcnt(0)
	v_cvt_f32_i32_e32 v3, v3
	s_delay_alu instid0(VALU_DEP_1) | instskip(NEXT) | instid1(VALU_DEP_1)
	v_bfe_u32 v4, v3, 16, 1
	v_add3_u32 v3, v3, v4, 0x7fff
	s_delay_alu instid0(VALU_DEP_1)
	v_lshrrev_b32_e32 v3, 16, v3
.LBB416_500:
	s_mov_b32 s0, 0
.LBB416_501:
	s_delay_alu instid0(SALU_CYCLE_1)
	s_and_not1_b32 vcc_lo, exec_lo, s0
	s_cbranch_vccnz .LBB416_507
; %bb.502:
	v_cmp_gt_i16_e64 s0, s10, 0
	s_delay_alu instid0(VALU_DEP_1)
	s_and_b32 vcc_lo, exec_lo, s0
	s_mov_b32 s0, 0
	s_cbranch_vccz .LBB416_504
; %bb.503:
	global_load_i8 v3, v[0:1], off
	s_waitcnt vmcnt(0)
	v_cvt_f32_i32_e32 v3, v3
	s_delay_alu instid0(VALU_DEP_1) | instskip(NEXT) | instid1(VALU_DEP_1)
	v_bfe_u32 v4, v3, 16, 1
	v_add3_u32 v3, v3, v4, 0x7fff
	s_delay_alu instid0(VALU_DEP_1)
	v_lshrrev_b32_e32 v3, 16, v3
	s_branch .LBB416_505
.LBB416_504:
	s_mov_b32 s0, -1
                                        ; implicit-def: $vgpr3
.LBB416_505:
	s_delay_alu instid0(SALU_CYCLE_1)
	s_and_not1_b32 vcc_lo, exec_lo, s0
	s_cbranch_vccnz .LBB416_507
; %bb.506:
	global_load_u8 v0, v[0:1], off
	s_waitcnt vmcnt(0)
	v_cvt_f32_ubyte0_e32 v0, v0
	s_delay_alu instid0(VALU_DEP_1) | instskip(NEXT) | instid1(VALU_DEP_1)
	v_bfe_u32 v1, v0, 16, 1
	v_add3_u32 v0, v0, v1, 0x7fff
	s_delay_alu instid0(VALU_DEP_1)
	v_lshrrev_b32_e32 v3, 16, v0
.LBB416_507:
	s_branch .LBB416_262
.LBB416_508:
	s_mov_b32 s1, 0
	s_mov_b32 s0, s15
.LBB416_509:
                                        ; implicit-def: $vgpr2
.LBB416_510:
	s_and_not1_b32 s19, s15, exec_lo
	s_and_b32 s0, s0, exec_lo
	s_and_not1_b32 s21, s16, exec_lo
	s_and_b32 s18, s18, exec_lo
	s_or_b32 s19, s19, s0
	s_or_b32 s18, s21, s18
	s_or_not1_b32 s0, s1, exec_lo
.LBB416_511:
	s_or_b32 exec_lo, exec_lo, s20
	s_mov_b32 s1, 0
	s_mov_b32 s21, 0
	s_mov_b32 s22, 0
                                        ; implicit-def: $vgpr0_vgpr1
                                        ; implicit-def: $vgpr5
	s_and_saveexec_b32 s20, s0
	s_cbranch_execz .LBB416_858
; %bb.512:
	s_mov_b32 s22, -1
	s_mov_b32 s0, s18
	s_mov_b32 s1, s19
	s_mov_b32 s21, exec_lo
	v_cmpx_gt_i32_e64 s14, v2
	s_cbranch_execz .LBB416_772
; %bb.513:
	v_mul_lo_u32 v0, v2, s3
	v_cmp_lt_i16_e64 s0, s10, 11
	s_delay_alu instid0(VALU_DEP_2) | instskip(SKIP_1) | instid1(VALU_DEP_2)
	v_ashrrev_i32_e32 v1, 31, v0
	v_add_co_u32 v0, vcc_lo, s6, v0
	v_add_co_ci_u32_e32 v1, vcc_lo, s7, v1, vcc_lo
	s_delay_alu instid0(VALU_DEP_4)
	s_and_b32 vcc_lo, exec_lo, s0
	s_cbranch_vccnz .LBB416_520
; %bb.514:
	v_cmp_gt_i16_e64 s0, s10, 25
	s_delay_alu instid0(VALU_DEP_1)
	s_and_b32 vcc_lo, exec_lo, s0
	s_cbranch_vccz .LBB416_521
; %bb.515:
	v_cmp_gt_i16_e64 s0, s10, 28
	s_delay_alu instid0(VALU_DEP_1)
	s_and_b32 vcc_lo, exec_lo, s0
	s_cbranch_vccz .LBB416_522
; %bb.516:
	v_cmp_gt_i16_e64 s0, s10, 43
	s_delay_alu instid0(VALU_DEP_1)
	s_and_b32 vcc_lo, exec_lo, s0
	s_cbranch_vccz .LBB416_523
; %bb.517:
	v_cmp_gt_i16_e64 s0, s10, 45
	s_delay_alu instid0(VALU_DEP_1)
	s_and_b32 vcc_lo, exec_lo, s0
	s_cbranch_vccz .LBB416_526
; %bb.518:
	v_cmp_eq_u16_e64 s0, s10, 46
	s_mov_b32 s1, 0
	s_delay_alu instid0(VALU_DEP_1)
	s_and_b32 vcc_lo, exec_lo, s0
	s_cbranch_vccz .LBB416_529
; %bb.519:
	global_load_b32 v3, v[0:1], off
	s_mov_b32 s0, -1
	s_mov_b32 s22, 0
	s_branch .LBB416_531
.LBB416_520:
	s_mov_b32 s1, -1
	s_mov_b32 s0, 0
	s_mov_b32 s22, s18
                                        ; implicit-def: $vgpr3
	s_branch .LBB416_596
.LBB416_521:
	s_mov_b32 s1, -1
	s_mov_b32 s0, 0
	s_mov_b32 s22, s18
                                        ; implicit-def: $vgpr3
	s_branch .LBB416_560
.LBB416_522:
	s_mov_b32 s1, -1
	s_mov_b32 s0, 0
	s_mov_b32 s22, s18
                                        ; implicit-def: $vgpr3
	s_branch .LBB416_541
.LBB416_523:
	s_mov_b32 s1, -1
	s_mov_b32 s0, 0
	s_mov_b32 s22, s18
                                        ; implicit-def: $vgpr3
	s_branch .LBB416_536
.LBB416_524:
	s_or_saveexec_b32 s21, s21
                                        ; implicit-def: $sgpr22
	s_delay_alu instid0(SALU_CYCLE_1)
	s_xor_b32 exec_lo, exec_lo, s21
	s_cbranch_execz .LBB416_308
.LBB416_525:
	v_add_f32_e64 v6, 0x46000000, |v7|
	s_and_not1_b32 s19, s19, exec_lo
	s_mov_b32 s22, 0
	s_delay_alu instid0(VALU_DEP_1) | instskip(NEXT) | instid1(VALU_DEP_1)
	v_and_b32_e32 v6, 0xff, v6
	v_cmp_ne_u32_e32 vcc_lo, 0, v6
	s_and_b32 s23, vcc_lo, exec_lo
	s_delay_alu instid0(SALU_CYCLE_1)
	s_or_b32 s19, s19, s23
	s_or_b32 exec_lo, exec_lo, s21
	v_mov_b32_e32 v8, s22
	s_and_saveexec_b32 s21, s19
	s_cbranch_execnz .LBB416_309
	s_branch .LBB416_310
.LBB416_526:
	s_mov_b32 s1, -1
	s_mov_b32 s0, 0
	s_mov_b32 s22, s18
	s_branch .LBB416_530
.LBB416_527:
	s_or_saveexec_b32 s21, s21
                                        ; implicit-def: $sgpr22
	s_delay_alu instid0(SALU_CYCLE_1)
	s_xor_b32 exec_lo, exec_lo, s21
	s_cbranch_execz .LBB416_321
.LBB416_528:
	v_add_f32_e64 v6, 0x42800000, |v7|
	s_and_not1_b32 s19, s19, exec_lo
	s_mov_b32 s22, 0
	s_delay_alu instid0(VALU_DEP_1) | instskip(NEXT) | instid1(VALU_DEP_1)
	v_and_b32_e32 v6, 0xff, v6
	v_cmp_ne_u32_e32 vcc_lo, 0, v6
	s_and_b32 s23, vcc_lo, exec_lo
	s_delay_alu instid0(SALU_CYCLE_1)
	s_or_b32 s19, s19, s23
	s_or_b32 exec_lo, exec_lo, s21
	v_mov_b32_e32 v8, s22
	s_and_saveexec_b32 s21, s19
	s_cbranch_execnz .LBB416_322
	s_branch .LBB416_323
.LBB416_529:
	s_mov_b32 s0, 0
.LBB416_530:
                                        ; implicit-def: $vgpr3
.LBB416_531:
	s_and_b32 vcc_lo, exec_lo, s1
	s_cbranch_vccz .LBB416_535
; %bb.532:
	v_cmp_eq_u16_e64 s1, s10, 44
	s_delay_alu instid0(VALU_DEP_1)
	s_and_b32 vcc_lo, exec_lo, s1
	s_cbranch_vccz .LBB416_534
; %bb.533:
	global_load_u8 v3, v[0:1], off
	s_mov_b32 s22, 0
	s_mov_b32 s0, -1
	s_waitcnt vmcnt(0)
	v_lshlrev_b32_e32 v4, 23, v3
	v_cmp_ne_u32_e32 vcc_lo, 0xff, v3
	s_delay_alu instid0(VALU_DEP_2) | instskip(SKIP_1) | instid1(VALU_DEP_2)
	v_cndmask_b32_e32 v4, 0x7f800001, v4, vcc_lo
	v_cmp_ne_u32_e32 vcc_lo, 0, v3
	v_cndmask_b32_e32 v3, 0x400000, v4, vcc_lo
	s_delay_alu instid0(VALU_DEP_1) | instskip(SKIP_1) | instid1(VALU_DEP_2)
	v_add_nc_u32_e32 v4, 0x7fff, v3
	v_cmp_o_f32_e32 vcc_lo, v3, v3
	v_lshrrev_b32_e32 v4, 16, v4
	s_delay_alu instid0(VALU_DEP_1)
	v_cndmask_b32_e32 v3, 0x7fc0, v4, vcc_lo
	s_branch .LBB416_535
.LBB416_534:
	s_mov_b32 s22, -1
                                        ; implicit-def: $vgpr3
.LBB416_535:
	s_mov_b32 s1, 0
.LBB416_536:
	s_delay_alu instid0(SALU_CYCLE_1)
	s_and_b32 vcc_lo, exec_lo, s1
	s_cbranch_vccz .LBB416_540
; %bb.537:
	v_cmp_eq_u16_e64 s1, s10, 29
	s_delay_alu instid0(VALU_DEP_1)
	s_and_b32 vcc_lo, exec_lo, s1
	s_cbranch_vccz .LBB416_539
; %bb.538:
	global_load_b64 v[3:4], v[0:1], off
	s_mov_b32 s0, -1
	s_mov_b32 s22, 0
	s_mov_b32 s1, 0
	s_waitcnt vmcnt(0)
	v_clz_i32_u32_e32 v5, v4
	s_delay_alu instid0(VALU_DEP_1) | instskip(NEXT) | instid1(VALU_DEP_1)
	v_min_u32_e32 v5, 32, v5
	v_lshlrev_b64 v[3:4], v5, v[3:4]
	s_delay_alu instid0(VALU_DEP_1) | instskip(NEXT) | instid1(VALU_DEP_1)
	v_min_u32_e32 v3, 1, v3
	v_or_b32_e32 v3, v4, v3
	v_sub_nc_u32_e32 v4, 32, v5
	s_delay_alu instid0(VALU_DEP_2) | instskip(NEXT) | instid1(VALU_DEP_1)
	v_cvt_f32_u32_e32 v3, v3
	v_ldexp_f32 v3, v3, v4
	s_delay_alu instid0(VALU_DEP_1) | instskip(NEXT) | instid1(VALU_DEP_1)
	v_bfe_u32 v4, v3, 16, 1
	v_add3_u32 v3, v3, v4, 0x7fff
	s_delay_alu instid0(VALU_DEP_1)
	v_lshrrev_b32_e32 v3, 16, v3
	s_branch .LBB416_541
.LBB416_539:
	s_mov_b32 s22, -1
                                        ; implicit-def: $vgpr3
.LBB416_540:
	s_mov_b32 s1, 0
.LBB416_541:
	s_delay_alu instid0(SALU_CYCLE_1)
	s_and_b32 vcc_lo, exec_lo, s1
	s_cbranch_vccz .LBB416_559
; %bb.542:
	v_cmp_lt_i16_e64 s0, s10, 27
	s_delay_alu instid0(VALU_DEP_1)
	s_and_b32 vcc_lo, exec_lo, s0
	s_cbranch_vccnz .LBB416_545
; %bb.543:
	v_cmp_gt_i16_e64 s0, s10, 27
	s_delay_alu instid0(VALU_DEP_1)
	s_and_b32 vcc_lo, exec_lo, s0
	s_cbranch_vccz .LBB416_546
; %bb.544:
	global_load_b32 v3, v[0:1], off
	s_mov_b32 s0, 0
	s_waitcnt vmcnt(0)
	v_cvt_f32_u32_e32 v3, v3
	s_delay_alu instid0(VALU_DEP_1) | instskip(NEXT) | instid1(VALU_DEP_1)
	v_bfe_u32 v4, v3, 16, 1
	v_add3_u32 v3, v3, v4, 0x7fff
	s_delay_alu instid0(VALU_DEP_1)
	v_lshrrev_b32_e32 v3, 16, v3
	s_branch .LBB416_547
.LBB416_545:
	s_mov_b32 s0, -1
                                        ; implicit-def: $vgpr3
	s_branch .LBB416_550
.LBB416_546:
	s_mov_b32 s0, -1
                                        ; implicit-def: $vgpr3
.LBB416_547:
	s_delay_alu instid0(SALU_CYCLE_1)
	s_and_not1_b32 vcc_lo, exec_lo, s0
	s_cbranch_vccnz .LBB416_549
; %bb.548:
	global_load_u16 v3, v[0:1], off
	s_waitcnt vmcnt(0)
	v_cvt_f32_u32_e32 v3, v3
	s_delay_alu instid0(VALU_DEP_1) | instskip(NEXT) | instid1(VALU_DEP_1)
	v_bfe_u32 v4, v3, 16, 1
	v_add3_u32 v3, v3, v4, 0x7fff
	s_delay_alu instid0(VALU_DEP_1)
	v_lshrrev_b32_e32 v3, 16, v3
.LBB416_549:
	s_mov_b32 s0, 0
.LBB416_550:
	s_delay_alu instid0(SALU_CYCLE_1)
	s_and_not1_b32 vcc_lo, exec_lo, s0
	s_cbranch_vccnz .LBB416_558
; %bb.551:
	global_load_u8 v3, v[0:1], off
	s_mov_b32 s0, 0
	s_mov_b32 s23, exec_lo
                                        ; implicit-def: $sgpr1
	s_waitcnt vmcnt(0)
	v_cmpx_lt_i16_e32 0x7f, v3
	s_xor_b32 s23, exec_lo, s23
	s_cbranch_execz .LBB416_572
; %bb.552:
	s_mov_b32 s0, -1
	s_mov_b32 s24, exec_lo
                                        ; implicit-def: $sgpr1
	v_cmpx_eq_u16_e32 0x80, v3
; %bb.553:
	s_mov_b32 s1, 0x7f800001
	s_xor_b32 s0, exec_lo, -1
; %bb.554:
	s_or_b32 exec_lo, exec_lo, s24
	s_delay_alu instid0(SALU_CYCLE_1)
	s_and_b32 s0, s0, exec_lo
	s_or_saveexec_b32 s23, s23
	v_mov_b32_e32 v4, s1
	s_xor_b32 exec_lo, exec_lo, s23
	s_cbranch_execnz .LBB416_573
.LBB416_555:
	s_or_b32 exec_lo, exec_lo, s23
	s_and_saveexec_b32 s1, s0
	s_cbranch_execz .LBB416_557
.LBB416_556:
	v_and_b32_e32 v4, 0xffff, v3
	v_lshlrev_b32_e32 v3, 24, v3
	s_delay_alu instid0(VALU_DEP_2) | instskip(NEXT) | instid1(VALU_DEP_2)
	v_and_b32_e32 v5, 7, v4
	v_and_b32_e32 v3, 0x80000000, v3
	s_delay_alu instid0(VALU_DEP_2) | instskip(NEXT) | instid1(VALU_DEP_1)
	v_clz_i32_u32_e32 v6, v5
	v_min_u32_e32 v6, 32, v6
	s_delay_alu instid0(VALU_DEP_1) | instskip(SKIP_1) | instid1(VALU_DEP_2)
	v_subrev_nc_u32_e32 v7, 28, v6
	v_sub_nc_u32_e32 v6, 29, v6
	v_lshlrev_b32_e32 v7, v7, v4
	v_bfe_u32 v4, v4, 3, 4
	s_delay_alu instid0(VALU_DEP_2) | instskip(NEXT) | instid1(VALU_DEP_2)
	v_and_b32_e32 v7, 7, v7
	v_cmp_eq_u32_e32 vcc_lo, 0, v4
	s_delay_alu instid0(VALU_DEP_2) | instskip(NEXT) | instid1(VALU_DEP_1)
	v_dual_cndmask_b32 v4, v4, v6 :: v_dual_cndmask_b32 v5, v5, v7
	v_lshl_add_u32 v4, v4, 23, 0x3b800000
	s_delay_alu instid0(VALU_DEP_2) | instskip(NEXT) | instid1(VALU_DEP_1)
	v_lshlrev_b32_e32 v5, 20, v5
	v_or3_b32 v4, v3, v4, v5
.LBB416_557:
	s_or_b32 exec_lo, exec_lo, s1
	s_delay_alu instid0(VALU_DEP_1) | instskip(SKIP_1) | instid1(VALU_DEP_2)
	v_bfe_u32 v3, v4, 16, 1
	v_cmp_o_f32_e32 vcc_lo, v4, v4
	v_add3_u32 v3, v4, v3, 0x7fff
	s_delay_alu instid0(VALU_DEP_1) | instskip(NEXT) | instid1(VALU_DEP_1)
	v_lshrrev_b32_e32 v3, 16, v3
	v_cndmask_b32_e32 v3, 0x7fc0, v3, vcc_lo
.LBB416_558:
	s_mov_b32 s0, -1
.LBB416_559:
	s_mov_b32 s1, 0
.LBB416_560:
	s_delay_alu instid0(SALU_CYCLE_1)
	s_and_b32 vcc_lo, exec_lo, s1
	s_cbranch_vccz .LBB416_595
; %bb.561:
	v_cmp_gt_i16_e64 s1, s10, 22
	s_delay_alu instid0(VALU_DEP_1)
	s_and_b32 vcc_lo, exec_lo, s1
	s_cbranch_vccz .LBB416_571
; %bb.562:
	v_cmp_lt_i16_e64 s0, s10, 24
	s_delay_alu instid0(VALU_DEP_1)
	s_and_b32 vcc_lo, exec_lo, s0
	s_cbranch_vccnz .LBB416_574
; %bb.563:
	v_cmp_gt_i16_e64 s0, s10, 24
	s_delay_alu instid0(VALU_DEP_1)
	s_and_b32 vcc_lo, exec_lo, s0
	s_cbranch_vccz .LBB416_575
; %bb.564:
	global_load_u8 v3, v[0:1], off
	s_mov_b32 s0, 0
	s_mov_b32 s23, exec_lo
                                        ; implicit-def: $sgpr1
	s_waitcnt vmcnt(0)
	v_cmpx_lt_i16_e32 0x7f, v3
	s_xor_b32 s23, exec_lo, s23
	s_cbranch_execz .LBB416_587
; %bb.565:
	s_mov_b32 s0, -1
	s_mov_b32 s24, exec_lo
                                        ; implicit-def: $sgpr1
	v_cmpx_eq_u16_e32 0x80, v3
; %bb.566:
	s_mov_b32 s1, 0x7f800001
	s_xor_b32 s0, exec_lo, -1
; %bb.567:
	s_or_b32 exec_lo, exec_lo, s24
	s_delay_alu instid0(SALU_CYCLE_1)
	s_and_b32 s0, s0, exec_lo
	s_or_saveexec_b32 s23, s23
	v_mov_b32_e32 v4, s1
	s_xor_b32 exec_lo, exec_lo, s23
	s_cbranch_execnz .LBB416_588
.LBB416_568:
	s_or_b32 exec_lo, exec_lo, s23
	s_and_saveexec_b32 s1, s0
	s_cbranch_execz .LBB416_570
.LBB416_569:
	v_and_b32_e32 v4, 0xffff, v3
	v_lshlrev_b32_e32 v3, 24, v3
	s_delay_alu instid0(VALU_DEP_2) | instskip(NEXT) | instid1(VALU_DEP_2)
	v_and_b32_e32 v5, 3, v4
	v_and_b32_e32 v3, 0x80000000, v3
	s_delay_alu instid0(VALU_DEP_2) | instskip(NEXT) | instid1(VALU_DEP_1)
	v_clz_i32_u32_e32 v6, v5
	v_min_u32_e32 v6, 32, v6
	s_delay_alu instid0(VALU_DEP_1) | instskip(SKIP_1) | instid1(VALU_DEP_2)
	v_subrev_nc_u32_e32 v7, 29, v6
	v_sub_nc_u32_e32 v6, 30, v6
	v_lshlrev_b32_e32 v7, v7, v4
	v_bfe_u32 v4, v4, 2, 5
	s_delay_alu instid0(VALU_DEP_2) | instskip(NEXT) | instid1(VALU_DEP_2)
	v_and_b32_e32 v7, 3, v7
	v_cmp_eq_u32_e32 vcc_lo, 0, v4
	s_delay_alu instid0(VALU_DEP_2) | instskip(NEXT) | instid1(VALU_DEP_1)
	v_dual_cndmask_b32 v4, v4, v6 :: v_dual_cndmask_b32 v5, v5, v7
	v_lshl_add_u32 v4, v4, 23, 0x37800000
	s_delay_alu instid0(VALU_DEP_2) | instskip(NEXT) | instid1(VALU_DEP_1)
	v_lshlrev_b32_e32 v5, 21, v5
	v_or3_b32 v4, v3, v4, v5
.LBB416_570:
	s_or_b32 exec_lo, exec_lo, s1
	s_delay_alu instid0(VALU_DEP_1) | instskip(SKIP_2) | instid1(VALU_DEP_2)
	v_bfe_u32 v3, v4, 16, 1
	v_cmp_o_f32_e32 vcc_lo, v4, v4
	s_mov_b32 s0, 0
	v_add3_u32 v3, v4, v3, 0x7fff
	s_delay_alu instid0(VALU_DEP_1) | instskip(NEXT) | instid1(VALU_DEP_1)
	v_lshrrev_b32_e32 v3, 16, v3
	v_cndmask_b32_e32 v3, 0x7fc0, v3, vcc_lo
	s_branch .LBB416_576
.LBB416_571:
	s_mov_b32 s1, -1
                                        ; implicit-def: $vgpr3
	s_branch .LBB416_582
.LBB416_572:
	s_or_saveexec_b32 s23, s23
	v_mov_b32_e32 v4, s1
	s_xor_b32 exec_lo, exec_lo, s23
	s_cbranch_execz .LBB416_555
.LBB416_573:
	v_cmp_ne_u16_e32 vcc_lo, 0, v3
	v_mov_b32_e32 v4, 0
	s_and_not1_b32 s0, s0, exec_lo
	s_and_b32 s1, vcc_lo, exec_lo
	s_delay_alu instid0(SALU_CYCLE_1)
	s_or_b32 s0, s0, s1
	s_or_b32 exec_lo, exec_lo, s23
	s_and_saveexec_b32 s1, s0
	s_cbranch_execnz .LBB416_556
	s_branch .LBB416_557
.LBB416_574:
	s_mov_b32 s0, -1
                                        ; implicit-def: $vgpr3
	s_branch .LBB416_579
.LBB416_575:
	s_mov_b32 s0, -1
                                        ; implicit-def: $vgpr3
.LBB416_576:
	s_delay_alu instid0(SALU_CYCLE_1)
	s_and_b32 vcc_lo, exec_lo, s0
	s_cbranch_vccz .LBB416_578
; %bb.577:
	global_load_u8 v3, v[0:1], off
	s_waitcnt vmcnt(0)
	v_lshlrev_b32_e32 v3, 24, v3
	s_delay_alu instid0(VALU_DEP_1) | instskip(NEXT) | instid1(VALU_DEP_1)
	v_and_b32_e32 v4, 0x7f000000, v3
	v_clz_i32_u32_e32 v5, v4
	v_add_nc_u32_e32 v7, 0x1000000, v4
	v_cmp_ne_u32_e32 vcc_lo, 0, v4
	s_delay_alu instid0(VALU_DEP_3) | instskip(NEXT) | instid1(VALU_DEP_1)
	v_min_u32_e32 v5, 32, v5
	v_sub_nc_u32_e64 v5, v5, 4 clamp
	s_delay_alu instid0(VALU_DEP_1) | instskip(SKIP_1) | instid1(VALU_DEP_2)
	v_lshlrev_b32_e32 v6, v5, v4
	v_lshlrev_b32_e32 v5, 23, v5
	v_lshrrev_b32_e32 v6, 4, v6
	s_delay_alu instid0(VALU_DEP_1) | instskip(SKIP_1) | instid1(VALU_DEP_2)
	v_sub_nc_u32_e32 v5, v6, v5
	v_ashrrev_i32_e32 v6, 8, v7
	v_add_nc_u32_e32 v5, 0x3c000000, v5
	s_delay_alu instid0(VALU_DEP_1) | instskip(NEXT) | instid1(VALU_DEP_1)
	v_and_or_b32 v5, 0x7f800000, v6, v5
	v_cndmask_b32_e32 v4, 0, v5, vcc_lo
	s_delay_alu instid0(VALU_DEP_1) | instskip(SKIP_1) | instid1(VALU_DEP_2)
	v_and_or_b32 v3, 0x80000000, v3, v4
	v_bfe_u32 v4, v4, 16, 1
	v_cmp_o_f32_e32 vcc_lo, v3, v3
	s_delay_alu instid0(VALU_DEP_2) | instskip(NEXT) | instid1(VALU_DEP_1)
	v_add3_u32 v4, v3, v4, 0x7fff
	v_lshrrev_b32_e32 v4, 16, v4
	s_delay_alu instid0(VALU_DEP_1)
	v_cndmask_b32_e32 v3, 0x7fc0, v4, vcc_lo
.LBB416_578:
	s_mov_b32 s0, 0
.LBB416_579:
	s_delay_alu instid0(SALU_CYCLE_1)
	s_and_not1_b32 vcc_lo, exec_lo, s0
	s_cbranch_vccnz .LBB416_581
; %bb.580:
	global_load_u8 v3, v[0:1], off
	s_waitcnt vmcnt(0)
	v_lshlrev_b32_e32 v4, 25, v3
	v_lshlrev_b16 v3, 8, v3
	s_delay_alu instid0(VALU_DEP_2) | instskip(NEXT) | instid1(VALU_DEP_2)
	v_lshrrev_b32_e32 v5, 4, v4
	v_and_or_b32 v6, 0x7f00, v3, 0.5
	v_bfe_i32 v3, v3, 0, 16
	s_delay_alu instid0(VALU_DEP_3) | instskip(NEXT) | instid1(VALU_DEP_1)
	v_or_b32_e32 v5, 0x70000000, v5
	v_dual_add_f32 v6, -0.5, v6 :: v_dual_mul_f32 v5, 0x7800000, v5
	v_cmp_gt_u32_e32 vcc_lo, 0x8000000, v4
	s_delay_alu instid0(VALU_DEP_2) | instskip(NEXT) | instid1(VALU_DEP_1)
	v_cndmask_b32_e32 v4, v5, v6, vcc_lo
	v_and_or_b32 v3, 0x80000000, v3, v4
	v_bfe_u32 v4, v4, 16, 1
	s_delay_alu instid0(VALU_DEP_2) | instskip(NEXT) | instid1(VALU_DEP_2)
	v_cmp_o_f32_e32 vcc_lo, v3, v3
	v_add3_u32 v4, v3, v4, 0x7fff
	s_delay_alu instid0(VALU_DEP_1) | instskip(NEXT) | instid1(VALU_DEP_1)
	v_lshrrev_b32_e32 v4, 16, v4
	v_cndmask_b32_e32 v3, 0x7fc0, v4, vcc_lo
.LBB416_581:
	s_mov_b32 s1, 0
	s_mov_b32 s0, -1
.LBB416_582:
	s_and_not1_b32 vcc_lo, exec_lo, s1
	s_cbranch_vccnz .LBB416_595
; %bb.583:
	v_cmp_gt_i16_e64 s1, s10, 14
	s_delay_alu instid0(VALU_DEP_1)
	s_and_b32 vcc_lo, exec_lo, s1
	s_cbranch_vccz .LBB416_586
; %bb.584:
	v_cmp_eq_u16_e64 s1, s10, 15
	s_delay_alu instid0(VALU_DEP_1)
	s_and_b32 vcc_lo, exec_lo, s1
	s_cbranch_vccz .LBB416_589
; %bb.585:
	global_load_u16 v3, v[0:1], off
	s_mov_b32 s0, -1
	s_mov_b32 s22, 0
	s_branch .LBB416_590
.LBB416_586:
	s_mov_b32 s1, -1
                                        ; implicit-def: $vgpr3
	s_branch .LBB416_591
.LBB416_587:
	s_or_saveexec_b32 s23, s23
	v_mov_b32_e32 v4, s1
	s_xor_b32 exec_lo, exec_lo, s23
	s_cbranch_execz .LBB416_568
.LBB416_588:
	v_cmp_ne_u16_e32 vcc_lo, 0, v3
	v_mov_b32_e32 v4, 0
	s_and_not1_b32 s0, s0, exec_lo
	s_and_b32 s1, vcc_lo, exec_lo
	s_delay_alu instid0(SALU_CYCLE_1)
	s_or_b32 s0, s0, s1
	s_or_b32 exec_lo, exec_lo, s23
	s_and_saveexec_b32 s1, s0
	s_cbranch_execnz .LBB416_569
	s_branch .LBB416_570
.LBB416_589:
	s_mov_b32 s22, -1
                                        ; implicit-def: $vgpr3
.LBB416_590:
	s_mov_b32 s1, 0
.LBB416_591:
	s_delay_alu instid0(SALU_CYCLE_1)
	s_and_b32 vcc_lo, exec_lo, s1
	s_cbranch_vccz .LBB416_595
; %bb.592:
	v_cmp_eq_u16_e64 s1, s10, 11
	s_delay_alu instid0(VALU_DEP_1)
	s_and_b32 vcc_lo, exec_lo, s1
	s_cbranch_vccz .LBB416_594
; %bb.593:
	global_load_u8 v3, v[0:1], off
	s_mov_b32 s22, 0
	s_mov_b32 s0, -1
	s_waitcnt vmcnt(0)
	v_cmp_ne_u16_e32 vcc_lo, 0, v3
	v_cndmask_b32_e64 v3, 0, 1.0, vcc_lo
	s_delay_alu instid0(VALU_DEP_1)
	v_lshrrev_b32_e32 v3, 16, v3
	s_branch .LBB416_595
.LBB416_594:
	s_mov_b32 s22, -1
                                        ; implicit-def: $vgpr3
.LBB416_595:
	s_mov_b32 s1, 0
.LBB416_596:
	s_delay_alu instid0(SALU_CYCLE_1)
	s_and_b32 vcc_lo, exec_lo, s1
	s_cbranch_vccz .LBB416_645
; %bb.597:
	v_cmp_lt_i16_e64 s0, s10, 5
	s_delay_alu instid0(VALU_DEP_1)
	s_and_b32 vcc_lo, exec_lo, s0
	s_cbranch_vccnz .LBB416_602
; %bb.598:
	v_cmp_lt_i16_e64 s0, s10, 8
	s_delay_alu instid0(VALU_DEP_1)
	s_and_b32 vcc_lo, exec_lo, s0
	s_cbranch_vccnz .LBB416_603
	;; [unrolled: 5-line block ×3, first 2 shown]
; %bb.600:
	v_cmp_gt_i16_e64 s0, s10, 9
	s_delay_alu instid0(VALU_DEP_1)
	s_and_b32 vcc_lo, exec_lo, s0
	s_cbranch_vccz .LBB416_605
; %bb.601:
	global_load_b64 v[3:4], v[0:1], off
	s_mov_b32 s0, 0
	s_waitcnt vmcnt(0)
	v_cvt_f32_f64_e32 v3, v[3:4]
	s_delay_alu instid0(VALU_DEP_1) | instskip(SKIP_1) | instid1(VALU_DEP_2)
	v_bfe_u32 v4, v3, 16, 1
	v_cmp_o_f32_e32 vcc_lo, v3, v3
	v_add3_u32 v4, v3, v4, 0x7fff
	s_delay_alu instid0(VALU_DEP_1) | instskip(NEXT) | instid1(VALU_DEP_1)
	v_lshrrev_b32_e32 v4, 16, v4
	v_cndmask_b32_e32 v3, 0x7fc0, v4, vcc_lo
	s_branch .LBB416_606
.LBB416_602:
	s_mov_b32 s0, -1
                                        ; implicit-def: $vgpr3
	s_branch .LBB416_624
.LBB416_603:
	s_mov_b32 s0, -1
                                        ; implicit-def: $vgpr3
	s_branch .LBB416_612
.LBB416_604:
	s_mov_b32 s0, -1
                                        ; implicit-def: $vgpr3
	s_branch .LBB416_609
.LBB416_605:
	s_mov_b32 s0, -1
                                        ; implicit-def: $vgpr3
.LBB416_606:
	s_delay_alu instid0(SALU_CYCLE_1)
	s_and_not1_b32 vcc_lo, exec_lo, s0
	s_cbranch_vccnz .LBB416_608
; %bb.607:
	global_load_b32 v3, v[0:1], off
	s_waitcnt vmcnt(0)
	v_bfe_u32 v4, v3, 16, 1
	v_cmp_o_f32_e32 vcc_lo, v3, v3
	s_delay_alu instid0(VALU_DEP_2) | instskip(NEXT) | instid1(VALU_DEP_1)
	v_add3_u32 v4, v3, v4, 0x7fff
	v_lshrrev_b32_e32 v4, 16, v4
	s_delay_alu instid0(VALU_DEP_1)
	v_cndmask_b32_e32 v3, 0x7fc0, v4, vcc_lo
.LBB416_608:
	s_mov_b32 s0, 0
.LBB416_609:
	s_delay_alu instid0(SALU_CYCLE_1)
	s_and_not1_b32 vcc_lo, exec_lo, s0
	s_cbranch_vccnz .LBB416_611
; %bb.610:
	global_load_b32 v3, v[0:1], off
	s_waitcnt vmcnt(0)
	v_cvt_f32_f16_e32 v4, v3
	v_cmp_o_f16_e32 vcc_lo, v3, v3
	s_delay_alu instid0(VALU_DEP_2) | instskip(NEXT) | instid1(VALU_DEP_1)
	v_bfe_u32 v5, v4, 16, 1
	v_add3_u32 v4, v4, v5, 0x7fff
	s_delay_alu instid0(VALU_DEP_1) | instskip(NEXT) | instid1(VALU_DEP_1)
	v_lshrrev_b32_e32 v4, 16, v4
	v_cndmask_b32_e32 v3, 0x7fc0, v4, vcc_lo
.LBB416_611:
	s_mov_b32 s0, 0
.LBB416_612:
	s_delay_alu instid0(SALU_CYCLE_1)
	s_and_not1_b32 vcc_lo, exec_lo, s0
	s_cbranch_vccnz .LBB416_623
; %bb.613:
	v_cmp_lt_i16_e64 s0, s10, 6
	s_delay_alu instid0(VALU_DEP_1)
	s_and_b32 vcc_lo, exec_lo, s0
	s_cbranch_vccnz .LBB416_616
; %bb.614:
	v_cmp_gt_i16_e64 s0, s10, 6
	s_delay_alu instid0(VALU_DEP_1)
	s_and_b32 vcc_lo, exec_lo, s0
	s_cbranch_vccz .LBB416_617
; %bb.615:
	global_load_b64 v[3:4], v[0:1], off
	s_mov_b32 s0, 0
	s_waitcnt vmcnt(0)
	v_cvt_f32_f64_e32 v3, v[3:4]
	s_delay_alu instid0(VALU_DEP_1) | instskip(SKIP_1) | instid1(VALU_DEP_2)
	v_bfe_u32 v4, v3, 16, 1
	v_cmp_o_f32_e32 vcc_lo, v3, v3
	v_add3_u32 v4, v3, v4, 0x7fff
	s_delay_alu instid0(VALU_DEP_1) | instskip(NEXT) | instid1(VALU_DEP_1)
	v_lshrrev_b32_e32 v4, 16, v4
	v_cndmask_b32_e32 v3, 0x7fc0, v4, vcc_lo
	s_branch .LBB416_618
.LBB416_616:
	s_mov_b32 s0, -1
                                        ; implicit-def: $vgpr3
	s_branch .LBB416_621
.LBB416_617:
	s_mov_b32 s0, -1
                                        ; implicit-def: $vgpr3
.LBB416_618:
	s_delay_alu instid0(SALU_CYCLE_1)
	s_and_not1_b32 vcc_lo, exec_lo, s0
	s_cbranch_vccnz .LBB416_620
; %bb.619:
	global_load_b32 v3, v[0:1], off
	s_waitcnt vmcnt(0)
	v_bfe_u32 v4, v3, 16, 1
	v_cmp_o_f32_e32 vcc_lo, v3, v3
	s_delay_alu instid0(VALU_DEP_2) | instskip(NEXT) | instid1(VALU_DEP_1)
	v_add3_u32 v4, v3, v4, 0x7fff
	v_lshrrev_b32_e32 v4, 16, v4
	s_delay_alu instid0(VALU_DEP_1)
	v_cndmask_b32_e32 v3, 0x7fc0, v4, vcc_lo
.LBB416_620:
	s_mov_b32 s0, 0
.LBB416_621:
	s_delay_alu instid0(SALU_CYCLE_1)
	s_and_not1_b32 vcc_lo, exec_lo, s0
	s_cbranch_vccnz .LBB416_623
; %bb.622:
	global_load_u16 v3, v[0:1], off
	s_waitcnt vmcnt(0)
	v_cvt_f32_f16_e32 v4, v3
	v_cmp_o_f16_e32 vcc_lo, v3, v3
	s_delay_alu instid0(VALU_DEP_2) | instskip(NEXT) | instid1(VALU_DEP_1)
	v_bfe_u32 v5, v4, 16, 1
	v_add3_u32 v4, v4, v5, 0x7fff
	s_delay_alu instid0(VALU_DEP_1) | instskip(NEXT) | instid1(VALU_DEP_1)
	v_lshrrev_b32_e32 v4, 16, v4
	v_cndmask_b32_e32 v3, 0x7fc0, v4, vcc_lo
.LBB416_623:
	s_mov_b32 s0, 0
.LBB416_624:
	s_delay_alu instid0(SALU_CYCLE_1)
	s_and_not1_b32 vcc_lo, exec_lo, s0
	s_cbranch_vccnz .LBB416_644
; %bb.625:
	v_cmp_lt_i16_e64 s0, s10, 2
	s_delay_alu instid0(VALU_DEP_1)
	s_and_b32 vcc_lo, exec_lo, s0
	s_cbranch_vccnz .LBB416_629
; %bb.626:
	v_cmp_lt_i16_e64 s0, s10, 3
	s_delay_alu instid0(VALU_DEP_1)
	s_and_b32 vcc_lo, exec_lo, s0
	s_cbranch_vccnz .LBB416_630
; %bb.627:
	v_cmp_gt_i16_e64 s0, s10, 3
	s_delay_alu instid0(VALU_DEP_1)
	s_and_b32 vcc_lo, exec_lo, s0
	s_cbranch_vccz .LBB416_631
; %bb.628:
	global_load_b64 v[3:4], v[0:1], off
	s_mov_b32 s0, 0
	s_waitcnt vmcnt(0)
	v_xor_b32_e32 v5, v3, v4
	v_cls_i32_e32 v6, v4
	s_delay_alu instid0(VALU_DEP_2) | instskip(NEXT) | instid1(VALU_DEP_2)
	v_ashrrev_i32_e32 v5, 31, v5
	v_add_nc_u32_e32 v6, -1, v6
	s_delay_alu instid0(VALU_DEP_2) | instskip(NEXT) | instid1(VALU_DEP_1)
	v_add_nc_u32_e32 v5, 32, v5
	v_min_u32_e32 v5, v6, v5
	s_delay_alu instid0(VALU_DEP_1) | instskip(NEXT) | instid1(VALU_DEP_1)
	v_lshlrev_b64 v[3:4], v5, v[3:4]
	v_min_u32_e32 v3, 1, v3
	s_delay_alu instid0(VALU_DEP_1) | instskip(SKIP_1) | instid1(VALU_DEP_2)
	v_or_b32_e32 v3, v4, v3
	v_sub_nc_u32_e32 v4, 32, v5
	v_cvt_f32_i32_e32 v3, v3
	s_delay_alu instid0(VALU_DEP_1) | instskip(NEXT) | instid1(VALU_DEP_1)
	v_ldexp_f32 v3, v3, v4
	v_bfe_u32 v4, v3, 16, 1
	s_delay_alu instid0(VALU_DEP_1) | instskip(NEXT) | instid1(VALU_DEP_1)
	v_add3_u32 v3, v3, v4, 0x7fff
	v_lshrrev_b32_e32 v3, 16, v3
	s_branch .LBB416_632
.LBB416_629:
	s_mov_b32 s0, -1
                                        ; implicit-def: $vgpr3
	s_branch .LBB416_638
.LBB416_630:
	s_mov_b32 s0, -1
                                        ; implicit-def: $vgpr3
	s_branch .LBB416_635
.LBB416_631:
	s_mov_b32 s0, -1
                                        ; implicit-def: $vgpr3
.LBB416_632:
	s_delay_alu instid0(SALU_CYCLE_1)
	s_and_not1_b32 vcc_lo, exec_lo, s0
	s_cbranch_vccnz .LBB416_634
; %bb.633:
	global_load_b32 v3, v[0:1], off
	s_waitcnt vmcnt(0)
	v_cvt_f32_i32_e32 v3, v3
	s_delay_alu instid0(VALU_DEP_1) | instskip(NEXT) | instid1(VALU_DEP_1)
	v_bfe_u32 v4, v3, 16, 1
	v_add3_u32 v3, v3, v4, 0x7fff
	s_delay_alu instid0(VALU_DEP_1)
	v_lshrrev_b32_e32 v3, 16, v3
.LBB416_634:
	s_mov_b32 s0, 0
.LBB416_635:
	s_delay_alu instid0(SALU_CYCLE_1)
	s_and_not1_b32 vcc_lo, exec_lo, s0
	s_cbranch_vccnz .LBB416_637
; %bb.636:
	global_load_i16 v3, v[0:1], off
	s_waitcnt vmcnt(0)
	v_cvt_f32_i32_e32 v3, v3
	s_delay_alu instid0(VALU_DEP_1) | instskip(NEXT) | instid1(VALU_DEP_1)
	v_bfe_u32 v4, v3, 16, 1
	v_add3_u32 v3, v3, v4, 0x7fff
	s_delay_alu instid0(VALU_DEP_1)
	v_lshrrev_b32_e32 v3, 16, v3
.LBB416_637:
	s_mov_b32 s0, 0
.LBB416_638:
	s_delay_alu instid0(SALU_CYCLE_1)
	s_and_not1_b32 vcc_lo, exec_lo, s0
	s_cbranch_vccnz .LBB416_644
; %bb.639:
	v_cmp_gt_i16_e64 s0, s10, 0
	s_delay_alu instid0(VALU_DEP_1)
	s_and_b32 vcc_lo, exec_lo, s0
	s_mov_b32 s0, 0
	s_cbranch_vccz .LBB416_641
; %bb.640:
	global_load_i8 v3, v[0:1], off
	s_waitcnt vmcnt(0)
	v_cvt_f32_i32_e32 v3, v3
	s_delay_alu instid0(VALU_DEP_1) | instskip(NEXT) | instid1(VALU_DEP_1)
	v_bfe_u32 v4, v3, 16, 1
	v_add3_u32 v3, v3, v4, 0x7fff
	s_delay_alu instid0(VALU_DEP_1)
	v_lshrrev_b32_e32 v3, 16, v3
	s_branch .LBB416_642
.LBB416_641:
	s_mov_b32 s0, -1
                                        ; implicit-def: $vgpr3
.LBB416_642:
	s_delay_alu instid0(SALU_CYCLE_1)
	s_and_not1_b32 vcc_lo, exec_lo, s0
	s_cbranch_vccnz .LBB416_644
; %bb.643:
	global_load_u8 v0, v[0:1], off
	s_waitcnt vmcnt(0)
	v_cvt_f32_ubyte0_e32 v0, v0
	s_delay_alu instid0(VALU_DEP_1) | instskip(NEXT) | instid1(VALU_DEP_1)
	v_bfe_u32 v1, v0, 16, 1
	v_add3_u32 v0, v0, v1, 0x7fff
	s_delay_alu instid0(VALU_DEP_1)
	v_lshrrev_b32_e32 v3, 16, v0
.LBB416_644:
	s_mov_b32 s0, -1
.LBB416_645:
	s_delay_alu instid0(SALU_CYCLE_1)
	s_and_not1_b32 vcc_lo, exec_lo, s0
	s_cbranch_vccnz .LBB416_653
; %bb.646:
	s_waitcnt vmcnt(0)
	v_lshlrev_b32_e32 v0, 16, v3
	v_mul_lo_u32 v1, v2, s2
	v_and_b32_e64 v4, 0xff, s9
	s_delay_alu instid0(VALU_DEP_3) | instskip(SKIP_1) | instid1(VALU_DEP_3)
	v_cmp_u_f32_e32 vcc_lo, v0, v0
	v_cmp_lt_f32_e64 s0, s13, v0
	v_cmp_gt_i16_e64 s1, 11, v4
	v_ashrrev_i32_e32 v5, 31, v1
	s_delay_alu instid0(VALU_DEP_3) | instskip(SKIP_2) | instid1(VALU_DEP_3)
	s_or_b32 vcc_lo, vcc_lo, s0
	v_cndmask_b32_e32 v3, s8, v3, vcc_lo
	v_add_co_u32 v0, vcc_lo, s4, v1
	v_add_co_ci_u32_e32 v1, vcc_lo, s5, v5, vcc_lo
	s_and_b32 vcc_lo, exec_lo, s1
	s_cbranch_vccnz .LBB416_654
; %bb.647:
	v_cmp_lt_i16_e32 vcc_lo, 25, v4
	s_cbranch_vccz .LBB416_655
; %bb.648:
	v_cmp_lt_i16_e32 vcc_lo, 28, v4
	s_cbranch_vccz .LBB416_656
	;; [unrolled: 3-line block ×4, first 2 shown]
; %bb.651:
	v_cmp_eq_u16_e32 vcc_lo, 46, v4
	s_mov_b32 s23, 0
	s_mov_b32 s0, -1
	s_mov_b32 s1, 0
	s_cbranch_vccz .LBB416_659
; %bb.652:
	v_and_b32_e32 v5, 0xffff, v3
	s_mov_b32 s1, -1
	s_mov_b32 s0, 0
	global_store_b32 v[0:1], v5, off
	s_branch .LBB416_659
.LBB416_653:
	s_mov_b32 s23, 0
	s_mov_b32 s0, s19
	s_branch .LBB416_770
.LBB416_654:
	s_mov_b32 s23, -1
	s_mov_b32 s1, 0
	s_mov_b32 s0, s19
	s_branch .LBB416_728
.LBB416_655:
	s_mov_b32 s23, -1
	s_mov_b32 s1, 0
	s_mov_b32 s0, s19
	s_branch .LBB416_686
.LBB416_656:
	s_mov_b32 s23, -1
	s_mov_b32 s1, 0
	s_mov_b32 s0, s19
	s_branch .LBB416_669
.LBB416_657:
	s_mov_b32 s23, -1
	s_mov_b32 s1, 0
	s_mov_b32 s0, s19
	s_branch .LBB416_665
.LBB416_658:
	s_mov_b32 s23, -1
	s_mov_b32 s1, 0
	s_mov_b32 s0, s19
.LBB416_659:
	s_and_b32 vcc_lo, exec_lo, s23
	s_cbranch_vccz .LBB416_664
; %bb.660:
	v_cmp_eq_u16_e32 vcc_lo, 44, v4
	s_mov_b32 s0, -1
	s_cbranch_vccz .LBB416_664
; %bb.661:
	v_and_b32_e32 v5, 0xffff, v3
	v_mov_b32_e32 v6, 0xff
	s_mov_b32 s1, exec_lo
	s_delay_alu instid0(VALU_DEP_2) | instskip(NEXT) | instid1(VALU_DEP_1)
	v_bfe_u32 v7, v5, 7, 8
	v_cmpx_ne_u32_e32 0xff, v7
; %bb.662:
	v_lshlrev_b32_e32 v6, 16, v5
	v_and_b32_e32 v8, 64, v5
	v_lshrrev_b32_e32 v5, 7, v5
	s_delay_alu instid0(VALU_DEP_3) | instskip(NEXT) | instid1(VALU_DEP_3)
	v_and_or_b32 v6, 0x3f0000, v6, v7
	v_cmp_ne_u32_e32 vcc_lo, 0, v8
	s_delay_alu instid0(VALU_DEP_2) | instskip(NEXT) | instid1(VALU_DEP_1)
	v_cmp_ne_u32_e64 s0, 0, v6
	s_and_b32 s0, vcc_lo, s0
	s_delay_alu instid0(SALU_CYCLE_1) | instskip(NEXT) | instid1(VALU_DEP_1)
	v_cndmask_b32_e64 v6, 0, 1, s0
	v_add_nc_u32_e32 v6, v5, v6
; %bb.663:
	s_or_b32 exec_lo, exec_lo, s1
	s_mov_b32 s1, -1
	s_mov_b32 s0, 0
	global_store_b8 v[0:1], v6, off
.LBB416_664:
	s_mov_b32 s23, 0
.LBB416_665:
	s_delay_alu instid0(SALU_CYCLE_1)
	s_and_b32 vcc_lo, exec_lo, s23
	s_cbranch_vccz .LBB416_668
; %bb.666:
	v_cmp_eq_u16_e32 vcc_lo, 29, v4
	s_mov_b32 s0, -1
	s_cbranch_vccz .LBB416_668
; %bb.667:
	v_lshlrev_b32_e32 v5, 16, v3
	s_mov_b32 s1, -1
	s_mov_b32 s0, 0
	s_mov_b32 s23, 0
	s_delay_alu instid0(VALU_DEP_1) | instskip(NEXT) | instid1(VALU_DEP_1)
	v_trunc_f32_e32 v5, v5
	v_mul_f32_e32 v6, 0x2f800000, v5
	s_delay_alu instid0(VALU_DEP_1) | instskip(NEXT) | instid1(VALU_DEP_1)
	v_floor_f32_e32 v6, v6
	v_fmamk_f32 v5, v6, 0xcf800000, v5
	v_cvt_u32_f32_e32 v6, v6
	s_delay_alu instid0(VALU_DEP_2)
	v_cvt_u32_f32_e32 v5, v5
	global_store_b64 v[0:1], v[5:6], off
	s_branch .LBB416_669
.LBB416_668:
	s_mov_b32 s23, 0
.LBB416_669:
	s_delay_alu instid0(SALU_CYCLE_1)
	s_and_b32 vcc_lo, exec_lo, s23
	s_cbranch_vccz .LBB416_685
; %bb.670:
	v_cmp_gt_i16_e32 vcc_lo, 27, v4
	s_mov_b32 s1, -1
	s_cbranch_vccnz .LBB416_676
; %bb.671:
	v_cmp_lt_i16_e32 vcc_lo, 27, v4
	s_cbranch_vccz .LBB416_673
; %bb.672:
	v_lshlrev_b32_e32 v5, 16, v3
	s_mov_b32 s1, 0
	s_delay_alu instid0(VALU_DEP_1)
	v_cvt_u32_f32_e32 v5, v5
	global_store_b32 v[0:1], v5, off
.LBB416_673:
	s_and_not1_b32 vcc_lo, exec_lo, s1
	s_cbranch_vccnz .LBB416_675
; %bb.674:
	v_lshlrev_b32_e32 v5, 16, v3
	s_delay_alu instid0(VALU_DEP_1)
	v_cvt_u32_f32_e32 v5, v5
	global_store_b16 v[0:1], v5, off
.LBB416_675:
	s_mov_b32 s1, 0
.LBB416_676:
	s_delay_alu instid0(SALU_CYCLE_1)
	s_and_not1_b32 vcc_lo, exec_lo, s1
	s_cbranch_vccnz .LBB416_684
; %bb.677:
	v_dual_mov_b32 v8, 0x80 :: v_dual_lshlrev_b32 v7, 16, v3
	s_mov_b32 s1, exec_lo
	s_delay_alu instid0(VALU_DEP_1) | instskip(NEXT) | instid1(VALU_DEP_1)
	v_and_b32_e32 v6, 0x7fffffff, v7
	v_cmpx_gt_u32_e32 0x43800000, v6
	s_cbranch_execz .LBB416_683
; %bb.678:
	v_and_b32_e32 v5, 0xffff, v3
	v_cmp_lt_u32_e32 vcc_lo, 0x3bffffff, v6
	s_mov_b32 s23, 0
                                        ; implicit-def: $vgpr6
	s_and_saveexec_b32 s24, vcc_lo
	s_delay_alu instid0(SALU_CYCLE_1)
	s_xor_b32 s24, exec_lo, s24
	s_cbranch_execz .LBB416_785
; %bb.679:
	v_bfe_u32 v6, v5, 4, 1
	s_mov_b32 s23, exec_lo
	s_delay_alu instid0(VALU_DEP_1) | instskip(NEXT) | instid1(VALU_DEP_1)
	v_add3_u32 v6, v7, v6, 0x487ffff
                                        ; implicit-def: $vgpr7
	v_lshrrev_b32_e32 v6, 20, v6
	s_or_saveexec_b32 s24, s24
                                        ; implicit-def: $sgpr25
	s_delay_alu instid0(SALU_CYCLE_1)
	s_xor_b32 exec_lo, exec_lo, s24
	s_cbranch_execnz .LBB416_786
.LBB416_680:
	s_or_b32 exec_lo, exec_lo, s24
	v_mov_b32_e32 v8, s25
	s_and_saveexec_b32 s24, s23
.LBB416_681:
	v_lshrrev_b32_e32 v5, 8, v5
	s_delay_alu instid0(VALU_DEP_1)
	v_and_or_b32 v8, 0x80, v5, v6
.LBB416_682:
	s_or_b32 exec_lo, exec_lo, s24
.LBB416_683:
	s_delay_alu instid0(SALU_CYCLE_1)
	s_or_b32 exec_lo, exec_lo, s1
	global_store_b8 v[0:1], v8, off
.LBB416_684:
	s_mov_b32 s1, -1
.LBB416_685:
	s_mov_b32 s23, 0
.LBB416_686:
	s_delay_alu instid0(SALU_CYCLE_1)
	s_and_b32 vcc_lo, exec_lo, s23
	s_cbranch_vccz .LBB416_727
; %bb.687:
	v_cmp_lt_i16_e32 vcc_lo, 22, v4
	s_mov_b32 s23, -1
	s_cbranch_vccz .LBB416_719
; %bb.688:
	v_cmp_gt_i16_e32 vcc_lo, 24, v4
	s_mov_b32 s1, -1
	s_cbranch_vccnz .LBB416_708
; %bb.689:
	v_cmp_lt_i16_e32 vcc_lo, 24, v4
	s_cbranch_vccz .LBB416_697
; %bb.690:
	v_dual_mov_b32 v8, 0x80 :: v_dual_lshlrev_b32 v7, 16, v3
	s_mov_b32 s1, exec_lo
	s_delay_alu instid0(VALU_DEP_1) | instskip(NEXT) | instid1(VALU_DEP_1)
	v_and_b32_e32 v6, 0x7fffffff, v7
	v_cmpx_gt_u32_e32 0x47800000, v6
	s_cbranch_execz .LBB416_696
; %bb.691:
	v_and_b32_e32 v5, 0xffff, v3
	v_cmp_lt_u32_e32 vcc_lo, 0x37ffffff, v6
	s_mov_b32 s23, 0
                                        ; implicit-def: $vgpr6
	s_and_saveexec_b32 s24, vcc_lo
	s_delay_alu instid0(SALU_CYCLE_1)
	s_xor_b32 s24, exec_lo, s24
	s_cbranch_execz .LBB416_788
; %bb.692:
	v_bfe_u32 v6, v5, 5, 1
	s_mov_b32 s23, exec_lo
	s_delay_alu instid0(VALU_DEP_1) | instskip(NEXT) | instid1(VALU_DEP_1)
	v_add3_u32 v6, v7, v6, 0x88fffff
                                        ; implicit-def: $vgpr7
	v_lshrrev_b32_e32 v6, 21, v6
	s_or_saveexec_b32 s24, s24
                                        ; implicit-def: $sgpr25
	s_delay_alu instid0(SALU_CYCLE_1)
	s_xor_b32 exec_lo, exec_lo, s24
	s_cbranch_execnz .LBB416_789
.LBB416_693:
	s_or_b32 exec_lo, exec_lo, s24
	v_mov_b32_e32 v8, s25
	s_and_saveexec_b32 s24, s23
.LBB416_694:
	v_lshrrev_b32_e32 v5, 8, v5
	s_delay_alu instid0(VALU_DEP_1)
	v_and_or_b32 v8, 0x80, v5, v6
.LBB416_695:
	s_or_b32 exec_lo, exec_lo, s24
.LBB416_696:
	s_delay_alu instid0(SALU_CYCLE_1)
	s_or_b32 exec_lo, exec_lo, s1
	s_mov_b32 s1, 0
	global_store_b8 v[0:1], v8, off
.LBB416_697:
	s_and_b32 vcc_lo, exec_lo, s1
	s_cbranch_vccz .LBB416_707
; %bb.698:
	v_lshlrev_b32_e32 v7, 16, v3
	v_and_b32_e32 v5, 0xffff, v3
	s_mov_b32 s1, exec_lo
                                        ; implicit-def: $vgpr6
	s_delay_alu instid0(VALU_DEP_2) | instskip(NEXT) | instid1(VALU_DEP_1)
	v_and_b32_e32 v8, 0x7fffffff, v7
	v_cmpx_gt_u32_e32 0x43f00000, v8
	s_xor_b32 s1, exec_lo, s1
	s_cbranch_execz .LBB416_704
; %bb.699:
	s_mov_b32 s23, exec_lo
                                        ; implicit-def: $vgpr6
	v_cmpx_lt_u32_e32 0x3c7fffff, v8
	s_xor_b32 s23, exec_lo, s23
; %bb.700:
	v_bfe_u32 v6, v5, 4, 1
	s_delay_alu instid0(VALU_DEP_1) | instskip(NEXT) | instid1(VALU_DEP_1)
	v_add3_u32 v6, v7, v6, 0x407ffff
	v_and_b32_e32 v7, 0xff00000, v6
	v_lshrrev_b32_e32 v6, 20, v6
	s_delay_alu instid0(VALU_DEP_2) | instskip(NEXT) | instid1(VALU_DEP_2)
	v_cmp_ne_u32_e32 vcc_lo, 0x7f00000, v7
                                        ; implicit-def: $vgpr7
	v_cndmask_b32_e32 v6, 0x7e, v6, vcc_lo
; %bb.701:
	s_and_not1_saveexec_b32 s23, s23
; %bb.702:
	v_add_f32_e64 v6, 0x46800000, |v7|
; %bb.703:
	s_or_b32 exec_lo, exec_lo, s23
                                        ; implicit-def: $vgpr8
.LBB416_704:
	s_and_not1_saveexec_b32 s1, s1
; %bb.705:
	v_mov_b32_e32 v6, 0x7f
	v_cmp_lt_u32_e32 vcc_lo, 0x7f800000, v8
	s_delay_alu instid0(VALU_DEP_2)
	v_cndmask_b32_e32 v6, 0x7e, v6, vcc_lo
; %bb.706:
	s_or_b32 exec_lo, exec_lo, s1
	v_lshrrev_b32_e32 v5, 8, v5
	s_delay_alu instid0(VALU_DEP_1)
	v_and_or_b32 v5, 0x80, v5, v6
	global_store_b8 v[0:1], v5, off
.LBB416_707:
	s_mov_b32 s1, 0
.LBB416_708:
	s_delay_alu instid0(SALU_CYCLE_1)
	s_and_not1_b32 vcc_lo, exec_lo, s1
	s_cbranch_vccnz .LBB416_718
; %bb.709:
	v_lshlrev_b32_e32 v7, 16, v3
	v_and_b32_e32 v5, 0xffff, v3
	s_mov_b32 s1, exec_lo
                                        ; implicit-def: $vgpr6
	s_delay_alu instid0(VALU_DEP_2) | instskip(NEXT) | instid1(VALU_DEP_1)
	v_and_b32_e32 v8, 0x7fffffff, v7
	v_cmpx_gt_u32_e32 0x47800000, v8
	s_xor_b32 s1, exec_lo, s1
	s_cbranch_execz .LBB416_715
; %bb.710:
	s_mov_b32 s23, exec_lo
                                        ; implicit-def: $vgpr6
	v_cmpx_lt_u32_e32 0x387fffff, v8
	s_xor_b32 s23, exec_lo, s23
; %bb.711:
	v_bfe_u32 v6, v5, 5, 1
	s_delay_alu instid0(VALU_DEP_1) | instskip(NEXT) | instid1(VALU_DEP_1)
	v_add3_u32 v6, v7, v6, 0x80fffff
                                        ; implicit-def: $vgpr7
	v_lshrrev_b32_e32 v6, 21, v6
; %bb.712:
	s_and_not1_saveexec_b32 s23, s23
; %bb.713:
	v_add_f32_e64 v6, 0x43000000, |v7|
; %bb.714:
	s_or_b32 exec_lo, exec_lo, s23
                                        ; implicit-def: $vgpr8
.LBB416_715:
	s_and_not1_saveexec_b32 s1, s1
; %bb.716:
	v_mov_b32_e32 v6, 0x7f
	v_cmp_lt_u32_e32 vcc_lo, 0x7f800000, v8
	s_delay_alu instid0(VALU_DEP_2)
	v_cndmask_b32_e32 v6, 0x7c, v6, vcc_lo
; %bb.717:
	s_or_b32 exec_lo, exec_lo, s1
	v_lshrrev_b32_e32 v5, 8, v5
	s_delay_alu instid0(VALU_DEP_1)
	v_and_or_b32 v5, 0x80, v5, v6
	global_store_b8 v[0:1], v5, off
.LBB416_718:
	s_mov_b32 s23, 0
	s_mov_b32 s1, -1
.LBB416_719:
	s_and_not1_b32 vcc_lo, exec_lo, s23
	s_cbranch_vccnz .LBB416_727
; %bb.720:
	v_cmp_lt_i16_e32 vcc_lo, 14, v4
	s_mov_b32 s23, -1
	s_cbranch_vccz .LBB416_724
; %bb.721:
	v_cmp_eq_u16_e32 vcc_lo, 15, v4
	s_mov_b32 s0, -1
	s_cbranch_vccz .LBB416_723
; %bb.722:
	s_mov_b32 s1, -1
	s_mov_b32 s0, 0
	global_store_b16 v[0:1], v3, off
.LBB416_723:
	s_mov_b32 s23, 0
.LBB416_724:
	s_delay_alu instid0(SALU_CYCLE_1)
	s_and_b32 vcc_lo, exec_lo, s23
	s_cbranch_vccz .LBB416_727
; %bb.725:
	v_cmp_eq_u16_e32 vcc_lo, 11, v4
	s_mov_b32 s0, -1
	s_cbranch_vccz .LBB416_727
; %bb.726:
	v_and_b32_e32 v5, 0x7fff, v3
	s_mov_b32 s0, 0
	s_mov_b32 s1, -1
	s_delay_alu instid0(VALU_DEP_1)
	v_cmp_ne_u16_e32 vcc_lo, 0, v5
	v_cndmask_b32_e64 v5, 0, 1, vcc_lo
	global_store_b8 v[0:1], v5, off
.LBB416_727:
	s_mov_b32 s23, 0
.LBB416_728:
	s_delay_alu instid0(SALU_CYCLE_1)
	s_and_b32 vcc_lo, exec_lo, s23
	s_cbranch_vccz .LBB416_767
; %bb.729:
	v_cmp_gt_i16_e32 vcc_lo, 5, v4
	s_mov_b32 s1, -1
	s_cbranch_vccnz .LBB416_750
; %bb.730:
	v_cmp_gt_i16_e32 vcc_lo, 8, v4
	s_cbranch_vccnz .LBB416_740
; %bb.731:
	v_cmp_gt_i16_e32 vcc_lo, 9, v4
	s_cbranch_vccnz .LBB416_737
; %bb.732:
	v_cmp_lt_i16_e32 vcc_lo, 9, v4
	s_cbranch_vccz .LBB416_734
; %bb.733:
	v_mov_b32_e32 v7, 0
	v_lshlrev_b32_e32 v5, 16, v3
	s_mov_b32 s1, 0
	s_delay_alu instid0(VALU_DEP_2) | instskip(NEXT) | instid1(VALU_DEP_2)
	v_mov_b32_e32 v8, v7
	v_cvt_f64_f32_e32 v[5:6], v5
	global_store_b128 v[0:1], v[5:8], off
.LBB416_734:
	s_and_not1_b32 vcc_lo, exec_lo, s1
	s_cbranch_vccnz .LBB416_736
; %bb.735:
	v_dual_mov_b32 v6, 0 :: v_dual_lshlrev_b32 v5, 16, v3
	global_store_b64 v[0:1], v[5:6], off
.LBB416_736:
	s_mov_b32 s1, 0
.LBB416_737:
	s_delay_alu instid0(SALU_CYCLE_1)
	s_and_not1_b32 vcc_lo, exec_lo, s1
	s_cbranch_vccnz .LBB416_739
; %bb.738:
	v_lshlrev_b32_e32 v5, 16, v3
	s_delay_alu instid0(VALU_DEP_1) | instskip(NEXT) | instid1(VALU_DEP_1)
	v_cvt_f16_f32_e32 v5, v5
	v_and_b32_e32 v5, 0xffff, v5
	global_store_b32 v[0:1], v5, off
.LBB416_739:
	s_mov_b32 s1, 0
.LBB416_740:
	s_delay_alu instid0(SALU_CYCLE_1)
	s_and_not1_b32 vcc_lo, exec_lo, s1
	s_cbranch_vccnz .LBB416_749
; %bb.741:
	v_cmp_gt_i16_e32 vcc_lo, 6, v4
	s_mov_b32 s1, -1
	s_cbranch_vccnz .LBB416_747
; %bb.742:
	v_cmp_lt_i16_e32 vcc_lo, 6, v4
	s_cbranch_vccz .LBB416_744
; %bb.743:
	v_lshlrev_b32_e32 v5, 16, v3
	s_mov_b32 s1, 0
	s_delay_alu instid0(VALU_DEP_1)
	v_cvt_f64_f32_e32 v[5:6], v5
	global_store_b64 v[0:1], v[5:6], off
.LBB416_744:
	s_and_not1_b32 vcc_lo, exec_lo, s1
	s_cbranch_vccnz .LBB416_746
; %bb.745:
	v_lshlrev_b32_e32 v5, 16, v3
	global_store_b32 v[0:1], v5, off
.LBB416_746:
	s_mov_b32 s1, 0
.LBB416_747:
	s_delay_alu instid0(SALU_CYCLE_1)
	s_and_not1_b32 vcc_lo, exec_lo, s1
	s_cbranch_vccnz .LBB416_749
; %bb.748:
	v_lshlrev_b32_e32 v5, 16, v3
	s_delay_alu instid0(VALU_DEP_1)
	v_cvt_f16_f32_e32 v5, v5
	global_store_b16 v[0:1], v5, off
.LBB416_749:
	s_mov_b32 s1, 0
.LBB416_750:
	s_delay_alu instid0(SALU_CYCLE_1)
	s_and_not1_b32 vcc_lo, exec_lo, s1
	s_cbranch_vccnz .LBB416_766
; %bb.751:
	v_cmp_gt_i16_e32 vcc_lo, 2, v4
	s_mov_b32 s1, -1
	s_cbranch_vccnz .LBB416_761
; %bb.752:
	v_cmp_gt_i16_e32 vcc_lo, 3, v4
	s_cbranch_vccnz .LBB416_758
; %bb.753:
	v_cmp_lt_i16_e32 vcc_lo, 3, v4
	s_cbranch_vccz .LBB416_755
; %bb.754:
	v_lshlrev_b32_e32 v5, 16, v3
	s_mov_b32 s1, 0
	s_delay_alu instid0(VALU_DEP_1) | instskip(NEXT) | instid1(VALU_DEP_1)
	v_trunc_f32_e32 v5, v5
	v_mul_f32_e64 v6, 0x2f800000, |v5|
	v_ashrrev_i32_e32 v8, 31, v5
	s_delay_alu instid0(VALU_DEP_2) | instskip(NEXT) | instid1(VALU_DEP_1)
	v_floor_f32_e32 v6, v6
	v_fma_f32 v7, 0xcf800000, v6, |v5|
	v_cvt_u32_f32_e32 v6, v6
	s_delay_alu instid0(VALU_DEP_2) | instskip(NEXT) | instid1(VALU_DEP_2)
	v_cvt_u32_f32_e32 v5, v7
	v_xor_b32_e32 v6, v6, v8
	s_delay_alu instid0(VALU_DEP_2) | instskip(NEXT) | instid1(VALU_DEP_1)
	v_xor_b32_e32 v5, v5, v8
	v_sub_co_u32 v5, vcc_lo, v5, v8
	s_delay_alu instid0(VALU_DEP_3)
	v_sub_co_ci_u32_e32 v6, vcc_lo, v6, v8, vcc_lo
	global_store_b64 v[0:1], v[5:6], off
.LBB416_755:
	s_and_not1_b32 vcc_lo, exec_lo, s1
	s_cbranch_vccnz .LBB416_757
; %bb.756:
	v_lshlrev_b32_e32 v5, 16, v3
	s_delay_alu instid0(VALU_DEP_1)
	v_cvt_i32_f32_e32 v5, v5
	global_store_b32 v[0:1], v5, off
.LBB416_757:
	s_mov_b32 s1, 0
.LBB416_758:
	s_delay_alu instid0(SALU_CYCLE_1)
	s_and_not1_b32 vcc_lo, exec_lo, s1
	s_cbranch_vccnz .LBB416_760
; %bb.759:
	v_lshlrev_b32_e32 v5, 16, v3
	s_delay_alu instid0(VALU_DEP_1)
	v_cvt_i32_f32_e32 v5, v5
	global_store_b16 v[0:1], v5, off
.LBB416_760:
	s_mov_b32 s1, 0
.LBB416_761:
	s_delay_alu instid0(SALU_CYCLE_1)
	s_and_not1_b32 vcc_lo, exec_lo, s1
	s_cbranch_vccnz .LBB416_766
; %bb.762:
	v_cmp_lt_i16_e32 vcc_lo, 0, v4
	s_mov_b32 s1, -1
	s_cbranch_vccz .LBB416_764
; %bb.763:
	v_lshlrev_b32_e32 v4, 16, v3
	s_mov_b32 s1, 0
	s_delay_alu instid0(VALU_DEP_1)
	v_cvt_i32_f32_e32 v4, v4
	global_store_b8 v[0:1], v4, off
.LBB416_764:
	s_and_not1_b32 vcc_lo, exec_lo, s1
	s_cbranch_vccnz .LBB416_766
; %bb.765:
	v_lshlrev_b32_e32 v3, 16, v3
	s_delay_alu instid0(VALU_DEP_1) | instskip(NEXT) | instid1(VALU_DEP_1)
	v_trunc_f32_e32 v3, v3
	v_mul_f32_e64 v4, 0x2f800000, |v3|
	s_delay_alu instid0(VALU_DEP_1) | instskip(NEXT) | instid1(VALU_DEP_1)
	v_floor_f32_e32 v4, v4
	v_fma_f32 v4, 0xcf800000, v4, |v3|
	v_ashrrev_i32_e32 v3, 31, v3
	s_delay_alu instid0(VALU_DEP_2) | instskip(NEXT) | instid1(VALU_DEP_1)
	v_cvt_u32_f32_e32 v4, v4
	v_xor_b32_e32 v4, v4, v3
	s_delay_alu instid0(VALU_DEP_1)
	v_sub_nc_u32_e32 v3, v4, v3
	global_store_b8 v[0:1], v3, off
.LBB416_766:
	s_mov_b32 s1, -1
.LBB416_767:
	s_delay_alu instid0(SALU_CYCLE_1)
	s_and_not1_b32 vcc_lo, exec_lo, s1
	s_cbranch_vccnz .LBB416_769
; %bb.768:
	v_add_nc_u32_e32 v2, 0x80, v2
	s_mov_b32 s23, -1
	s_branch .LBB416_771
.LBB416_769:
	s_mov_b32 s23, 0
.LBB416_770:
                                        ; implicit-def: $vgpr2
.LBB416_771:
	s_and_not1_b32 s1, s19, exec_lo
	s_and_b32 s0, s0, exec_lo
	s_and_not1_b32 s24, s18, exec_lo
	s_and_b32 s22, s22, exec_lo
	s_or_b32 s1, s1, s0
	s_or_b32 s0, s24, s22
	s_or_not1_b32 s22, s23, exec_lo
.LBB416_772:
	s_or_b32 exec_lo, exec_lo, s21
	s_mov_b32 s23, 0
	s_mov_b32 s24, 0
	;; [unrolled: 1-line block ×3, first 2 shown]
                                        ; implicit-def: $vgpr0_vgpr1
                                        ; implicit-def: $vgpr5
	s_and_saveexec_b32 s21, s22
	s_cbranch_execz .LBB416_857
; %bb.773:
	v_cmp_gt_i32_e32 vcc_lo, s14, v2
	s_mov_b32 s22, 0
	s_mov_b32 s23, s0
                                        ; implicit-def: $vgpr0_vgpr1
                                        ; implicit-def: $vgpr5
	s_and_saveexec_b32 s14, vcc_lo
	s_cbranch_execz .LBB416_856
; %bb.774:
	v_mul_lo_u32 v0, v2, s3
	v_cmp_lt_i16_e64 s22, s10, 11
	s_delay_alu instid0(VALU_DEP_2) | instskip(SKIP_1) | instid1(VALU_DEP_2)
	v_ashrrev_i32_e32 v1, 31, v0
	v_add_co_u32 v0, vcc_lo, s6, v0
	v_add_co_ci_u32_e32 v1, vcc_lo, s7, v1, vcc_lo
	s_delay_alu instid0(VALU_DEP_4)
	s_and_b32 vcc_lo, exec_lo, s22
	s_cbranch_vccnz .LBB416_781
; %bb.775:
	v_cmp_gt_i16_e64 s22, s10, 25
	s_mov_b32 s23, 0
	s_delay_alu instid0(VALU_DEP_1)
	s_and_b32 vcc_lo, exec_lo, s22
	s_cbranch_vccz .LBB416_782
; %bb.776:
	v_cmp_gt_i16_e64 s22, s10, 28
	s_delay_alu instid0(VALU_DEP_1)
	s_and_b32 vcc_lo, exec_lo, s22
	s_cbranch_vccz .LBB416_783
; %bb.777:
	v_cmp_gt_i16_e64 s22, s10, 43
	;; [unrolled: 5-line block ×3, first 2 shown]
	s_delay_alu instid0(VALU_DEP_1)
	s_and_b32 vcc_lo, exec_lo, s22
	s_cbranch_vccz .LBB416_787
; %bb.779:
	v_cmp_eq_u16_e64 s22, s10, 46
	s_delay_alu instid0(VALU_DEP_1)
	s_and_b32 vcc_lo, exec_lo, s22
	s_cbranch_vccz .LBB416_790
; %bb.780:
	global_load_b32 v5, v[0:1], off
	s_mov_b32 s22, 0
	s_mov_b32 s24, -1
	s_branch .LBB416_792
.LBB416_781:
	s_mov_b32 s26, -1
	s_mov_b32 s23, 0
	s_mov_b32 s22, s0
                                        ; implicit-def: $vgpr5
	s_branch .LBB416_855
.LBB416_782:
	s_mov_b32 s25, -1
	s_mov_b32 s22, s0
                                        ; implicit-def: $vgpr5
	s_branch .LBB416_821
.LBB416_783:
	s_mov_b32 s25, -1
	s_mov_b32 s22, s0
                                        ; implicit-def: $vgpr5
	s_branch .LBB416_802
.LBB416_784:
	s_mov_b32 s25, -1
	s_mov_b32 s22, s0
                                        ; implicit-def: $vgpr5
	s_branch .LBB416_797
.LBB416_785:
	s_or_saveexec_b32 s24, s24
                                        ; implicit-def: $sgpr25
	s_delay_alu instid0(SALU_CYCLE_1)
	s_xor_b32 exec_lo, exec_lo, s24
	s_cbranch_execz .LBB416_680
.LBB416_786:
	v_add_f32_e64 v6, 0x46000000, |v7|
	s_and_not1_b32 s23, s23, exec_lo
	s_mov_b32 s25, 0
	s_delay_alu instid0(VALU_DEP_1) | instskip(NEXT) | instid1(VALU_DEP_1)
	v_and_b32_e32 v6, 0xff, v6
	v_cmp_ne_u32_e32 vcc_lo, 0, v6
	s_and_b32 s26, vcc_lo, exec_lo
	s_delay_alu instid0(SALU_CYCLE_1)
	s_or_b32 s23, s23, s26
	s_or_b32 exec_lo, exec_lo, s24
	v_mov_b32_e32 v8, s25
	s_and_saveexec_b32 s24, s23
	s_cbranch_execnz .LBB416_681
	s_branch .LBB416_682
.LBB416_787:
	s_mov_b32 s25, -1
	s_mov_b32 s22, s0
	s_branch .LBB416_791
.LBB416_788:
	s_or_saveexec_b32 s24, s24
                                        ; implicit-def: $sgpr25
	s_delay_alu instid0(SALU_CYCLE_1)
	s_xor_b32 exec_lo, exec_lo, s24
	s_cbranch_execz .LBB416_693
.LBB416_789:
	v_add_f32_e64 v6, 0x42800000, |v7|
	s_and_not1_b32 s23, s23, exec_lo
	s_mov_b32 s25, 0
	s_delay_alu instid0(VALU_DEP_1) | instskip(NEXT) | instid1(VALU_DEP_1)
	v_and_b32_e32 v6, 0xff, v6
	v_cmp_ne_u32_e32 vcc_lo, 0, v6
	s_and_b32 s26, vcc_lo, exec_lo
	s_delay_alu instid0(SALU_CYCLE_1)
	s_or_b32 s23, s23, s26
	s_or_b32 exec_lo, exec_lo, s24
	v_mov_b32_e32 v8, s25
	s_and_saveexec_b32 s24, s23
	s_cbranch_execnz .LBB416_694
	s_branch .LBB416_695
.LBB416_790:
	s_mov_b32 s22, -1
.LBB416_791:
                                        ; implicit-def: $vgpr5
.LBB416_792:
	s_and_b32 vcc_lo, exec_lo, s25
	s_cbranch_vccz .LBB416_796
; %bb.793:
	v_cmp_eq_u16_e64 s22, s10, 44
	s_delay_alu instid0(VALU_DEP_1)
	s_and_b32 vcc_lo, exec_lo, s22
	s_cbranch_vccz .LBB416_795
; %bb.794:
	global_load_u8 v3, v[0:1], off
	s_mov_b32 s22, 0
	s_mov_b32 s24, -1
	s_waitcnt vmcnt(0)
	v_lshlrev_b32_e32 v4, 23, v3
	v_cmp_ne_u32_e32 vcc_lo, 0xff, v3
	s_delay_alu instid0(VALU_DEP_2) | instskip(SKIP_1) | instid1(VALU_DEP_2)
	v_cndmask_b32_e32 v4, 0x7f800001, v4, vcc_lo
	v_cmp_ne_u32_e32 vcc_lo, 0, v3
	v_cndmask_b32_e32 v3, 0x400000, v4, vcc_lo
	s_delay_alu instid0(VALU_DEP_1) | instskip(SKIP_1) | instid1(VALU_DEP_2)
	v_add_nc_u32_e32 v4, 0x7fff, v3
	v_cmp_o_f32_e32 vcc_lo, v3, v3
	v_lshrrev_b32_e32 v4, 16, v4
	s_delay_alu instid0(VALU_DEP_1)
	v_cndmask_b32_e32 v5, 0x7fc0, v4, vcc_lo
	s_branch .LBB416_796
.LBB416_795:
	s_mov_b32 s22, -1
                                        ; implicit-def: $vgpr5
.LBB416_796:
	s_mov_b32 s25, 0
.LBB416_797:
	s_delay_alu instid0(SALU_CYCLE_1)
	s_and_b32 vcc_lo, exec_lo, s25
	s_cbranch_vccz .LBB416_801
; %bb.798:
	v_cmp_eq_u16_e64 s22, s10, 29
	s_delay_alu instid0(VALU_DEP_1)
	s_and_b32 vcc_lo, exec_lo, s22
	s_cbranch_vccz .LBB416_800
; %bb.799:
	global_load_b64 v[3:4], v[0:1], off
	s_mov_b32 s22, 0
	s_mov_b32 s24, -1
	s_mov_b32 s25, 0
	s_waitcnt vmcnt(0)
	v_clz_i32_u32_e32 v5, v4
	s_delay_alu instid0(VALU_DEP_1) | instskip(NEXT) | instid1(VALU_DEP_1)
	v_min_u32_e32 v5, 32, v5
	v_lshlrev_b64 v[3:4], v5, v[3:4]
	s_delay_alu instid0(VALU_DEP_1) | instskip(NEXT) | instid1(VALU_DEP_1)
	v_min_u32_e32 v3, 1, v3
	v_or_b32_e32 v3, v4, v3
	v_sub_nc_u32_e32 v4, 32, v5
	s_delay_alu instid0(VALU_DEP_2) | instskip(NEXT) | instid1(VALU_DEP_1)
	v_cvt_f32_u32_e32 v3, v3
	v_ldexp_f32 v3, v3, v4
	s_delay_alu instid0(VALU_DEP_1) | instskip(NEXT) | instid1(VALU_DEP_1)
	v_bfe_u32 v4, v3, 16, 1
	v_add3_u32 v3, v3, v4, 0x7fff
	s_delay_alu instid0(VALU_DEP_1)
	v_lshrrev_b32_e32 v5, 16, v3
	s_branch .LBB416_802
.LBB416_800:
	s_mov_b32 s22, -1
                                        ; implicit-def: $vgpr5
.LBB416_801:
	s_mov_b32 s25, 0
.LBB416_802:
	s_delay_alu instid0(SALU_CYCLE_1)
	s_and_b32 vcc_lo, exec_lo, s25
	s_cbranch_vccz .LBB416_820
; %bb.803:
	v_cmp_lt_i16_e64 s24, s10, 27
	s_delay_alu instid0(VALU_DEP_1)
	s_and_b32 vcc_lo, exec_lo, s24
	s_cbranch_vccnz .LBB416_806
; %bb.804:
	v_cmp_gt_i16_e64 s24, s10, 27
	s_delay_alu instid0(VALU_DEP_1)
	s_and_b32 vcc_lo, exec_lo, s24
	s_cbranch_vccz .LBB416_807
; %bb.805:
	global_load_b32 v3, v[0:1], off
	s_mov_b32 s24, 0
	s_waitcnt vmcnt(0)
	v_cvt_f32_u32_e32 v3, v3
	s_delay_alu instid0(VALU_DEP_1) | instskip(NEXT) | instid1(VALU_DEP_1)
	v_bfe_u32 v4, v3, 16, 1
	v_add3_u32 v3, v3, v4, 0x7fff
	s_delay_alu instid0(VALU_DEP_1)
	v_lshrrev_b32_e32 v5, 16, v3
	s_branch .LBB416_808
.LBB416_806:
	s_mov_b32 s24, -1
                                        ; implicit-def: $vgpr5
	s_branch .LBB416_811
.LBB416_807:
	s_mov_b32 s24, -1
                                        ; implicit-def: $vgpr5
.LBB416_808:
	s_delay_alu instid0(SALU_CYCLE_1)
	s_and_not1_b32 vcc_lo, exec_lo, s24
	s_cbranch_vccnz .LBB416_810
; %bb.809:
	global_load_u16 v3, v[0:1], off
	s_waitcnt vmcnt(0)
	v_cvt_f32_u32_e32 v3, v3
	s_delay_alu instid0(VALU_DEP_1) | instskip(NEXT) | instid1(VALU_DEP_1)
	v_bfe_u32 v4, v3, 16, 1
	v_add3_u32 v3, v3, v4, 0x7fff
	s_delay_alu instid0(VALU_DEP_1)
	v_lshrrev_b32_e32 v5, 16, v3
.LBB416_810:
	s_mov_b32 s24, 0
.LBB416_811:
	s_delay_alu instid0(SALU_CYCLE_1)
	s_and_not1_b32 vcc_lo, exec_lo, s24
	s_cbranch_vccnz .LBB416_819
; %bb.812:
	global_load_u8 v3, v[0:1], off
	s_mov_b32 s24, 0
	s_mov_b32 s26, exec_lo
                                        ; implicit-def: $sgpr25
	s_waitcnt vmcnt(0)
	v_cmpx_lt_i16_e32 0x7f, v3
	s_xor_b32 s26, exec_lo, s26
	s_cbranch_execz .LBB416_833
; %bb.813:
	s_mov_b32 s24, -1
	s_mov_b32 s27, exec_lo
                                        ; implicit-def: $sgpr25
	v_cmpx_eq_u16_e32 0x80, v3
; %bb.814:
	s_mov_b32 s25, 0x7f800001
	s_xor_b32 s24, exec_lo, -1
; %bb.815:
	s_or_b32 exec_lo, exec_lo, s27
	s_delay_alu instid0(SALU_CYCLE_1)
	s_and_b32 s24, s24, exec_lo
	s_or_saveexec_b32 s26, s26
	v_mov_b32_e32 v4, s25
	s_xor_b32 exec_lo, exec_lo, s26
	s_cbranch_execnz .LBB416_834
.LBB416_816:
	s_or_b32 exec_lo, exec_lo, s26
	s_and_saveexec_b32 s25, s24
	s_cbranch_execz .LBB416_818
.LBB416_817:
	v_and_b32_e32 v4, 0xffff, v3
	v_lshlrev_b32_e32 v3, 24, v3
	s_delay_alu instid0(VALU_DEP_2) | instskip(NEXT) | instid1(VALU_DEP_2)
	v_and_b32_e32 v5, 7, v4
	v_and_b32_e32 v3, 0x80000000, v3
	s_delay_alu instid0(VALU_DEP_2) | instskip(NEXT) | instid1(VALU_DEP_1)
	v_clz_i32_u32_e32 v6, v5
	v_min_u32_e32 v6, 32, v6
	s_delay_alu instid0(VALU_DEP_1) | instskip(SKIP_1) | instid1(VALU_DEP_2)
	v_subrev_nc_u32_e32 v7, 28, v6
	v_sub_nc_u32_e32 v6, 29, v6
	v_lshlrev_b32_e32 v7, v7, v4
	v_bfe_u32 v4, v4, 3, 4
	s_delay_alu instid0(VALU_DEP_2) | instskip(NEXT) | instid1(VALU_DEP_2)
	v_and_b32_e32 v7, 7, v7
	v_cmp_eq_u32_e32 vcc_lo, 0, v4
	s_delay_alu instid0(VALU_DEP_2) | instskip(NEXT) | instid1(VALU_DEP_1)
	v_dual_cndmask_b32 v4, v4, v6 :: v_dual_cndmask_b32 v5, v5, v7
	v_lshl_add_u32 v4, v4, 23, 0x3b800000
	s_delay_alu instid0(VALU_DEP_2) | instskip(NEXT) | instid1(VALU_DEP_1)
	v_lshlrev_b32_e32 v5, 20, v5
	v_or3_b32 v4, v3, v4, v5
.LBB416_818:
	s_or_b32 exec_lo, exec_lo, s25
	s_delay_alu instid0(VALU_DEP_1) | instskip(SKIP_1) | instid1(VALU_DEP_2)
	v_bfe_u32 v3, v4, 16, 1
	v_cmp_o_f32_e32 vcc_lo, v4, v4
	v_add3_u32 v3, v4, v3, 0x7fff
	s_delay_alu instid0(VALU_DEP_1) | instskip(NEXT) | instid1(VALU_DEP_1)
	v_lshrrev_b32_e32 v3, 16, v3
	v_cndmask_b32_e32 v5, 0x7fc0, v3, vcc_lo
.LBB416_819:
	s_mov_b32 s24, -1
.LBB416_820:
	s_mov_b32 s25, 0
.LBB416_821:
	s_delay_alu instid0(SALU_CYCLE_1)
	s_and_b32 vcc_lo, exec_lo, s25
	s_cbranch_vccz .LBB416_854
; %bb.822:
	v_cmp_gt_i16_e64 s23, s10, 22
	s_delay_alu instid0(VALU_DEP_1)
	s_and_b32 vcc_lo, exec_lo, s23
	s_cbranch_vccz .LBB416_832
; %bb.823:
	v_cmp_lt_i16_e64 s23, s10, 24
	s_delay_alu instid0(VALU_DEP_1)
	s_and_b32 vcc_lo, exec_lo, s23
	s_cbranch_vccnz .LBB416_835
; %bb.824:
	v_cmp_gt_i16_e64 s23, s10, 24
	s_delay_alu instid0(VALU_DEP_1)
	s_and_b32 vcc_lo, exec_lo, s23
	s_cbranch_vccz .LBB416_836
; %bb.825:
	global_load_u8 v3, v[0:1], off
	s_mov_b32 s23, 0
	s_mov_b32 s25, exec_lo
                                        ; implicit-def: $sgpr24
	s_waitcnt vmcnt(0)
	v_cmpx_lt_i16_e32 0x7f, v3
	s_xor_b32 s25, exec_lo, s25
	s_cbranch_execz .LBB416_848
; %bb.826:
	s_mov_b32 s23, -1
	s_mov_b32 s26, exec_lo
                                        ; implicit-def: $sgpr24
	v_cmpx_eq_u16_e32 0x80, v3
; %bb.827:
	s_mov_b32 s24, 0x7f800001
	s_xor_b32 s23, exec_lo, -1
; %bb.828:
	s_or_b32 exec_lo, exec_lo, s26
	s_delay_alu instid0(SALU_CYCLE_1)
	s_and_b32 s23, s23, exec_lo
	s_or_saveexec_b32 s25, s25
	v_mov_b32_e32 v4, s24
	s_xor_b32 exec_lo, exec_lo, s25
	s_cbranch_execnz .LBB416_849
.LBB416_829:
	s_or_b32 exec_lo, exec_lo, s25
	s_and_saveexec_b32 s24, s23
	s_cbranch_execz .LBB416_831
.LBB416_830:
	v_and_b32_e32 v4, 0xffff, v3
	v_lshlrev_b32_e32 v3, 24, v3
	s_delay_alu instid0(VALU_DEP_2) | instskip(NEXT) | instid1(VALU_DEP_2)
	v_and_b32_e32 v5, 3, v4
	v_and_b32_e32 v3, 0x80000000, v3
	s_delay_alu instid0(VALU_DEP_2) | instskip(NEXT) | instid1(VALU_DEP_1)
	v_clz_i32_u32_e32 v6, v5
	v_min_u32_e32 v6, 32, v6
	s_delay_alu instid0(VALU_DEP_1) | instskip(SKIP_1) | instid1(VALU_DEP_2)
	v_subrev_nc_u32_e32 v7, 29, v6
	v_sub_nc_u32_e32 v6, 30, v6
	v_lshlrev_b32_e32 v7, v7, v4
	v_bfe_u32 v4, v4, 2, 5
	s_delay_alu instid0(VALU_DEP_2) | instskip(NEXT) | instid1(VALU_DEP_2)
	v_and_b32_e32 v7, 3, v7
	v_cmp_eq_u32_e32 vcc_lo, 0, v4
	s_delay_alu instid0(VALU_DEP_2) | instskip(NEXT) | instid1(VALU_DEP_1)
	v_dual_cndmask_b32 v4, v4, v6 :: v_dual_cndmask_b32 v5, v5, v7
	v_lshl_add_u32 v4, v4, 23, 0x37800000
	s_delay_alu instid0(VALU_DEP_2) | instskip(NEXT) | instid1(VALU_DEP_1)
	v_lshlrev_b32_e32 v5, 21, v5
	v_or3_b32 v4, v3, v4, v5
.LBB416_831:
	s_or_b32 exec_lo, exec_lo, s24
	s_delay_alu instid0(VALU_DEP_1) | instskip(SKIP_2) | instid1(VALU_DEP_2)
	v_bfe_u32 v3, v4, 16, 1
	v_cmp_o_f32_e32 vcc_lo, v4, v4
	s_mov_b32 s23, 0
	v_add3_u32 v3, v4, v3, 0x7fff
	s_delay_alu instid0(VALU_DEP_1) | instskip(NEXT) | instid1(VALU_DEP_1)
	v_lshrrev_b32_e32 v3, 16, v3
	v_cndmask_b32_e32 v5, 0x7fc0, v3, vcc_lo
	s_branch .LBB416_837
.LBB416_832:
	s_mov_b32 s23, -1
                                        ; implicit-def: $vgpr5
	s_branch .LBB416_843
.LBB416_833:
	s_or_saveexec_b32 s26, s26
	v_mov_b32_e32 v4, s25
	s_xor_b32 exec_lo, exec_lo, s26
	s_cbranch_execz .LBB416_816
.LBB416_834:
	v_cmp_ne_u16_e32 vcc_lo, 0, v3
	v_mov_b32_e32 v4, 0
	s_and_not1_b32 s24, s24, exec_lo
	s_and_b32 s25, vcc_lo, exec_lo
	s_delay_alu instid0(SALU_CYCLE_1)
	s_or_b32 s24, s24, s25
	s_or_b32 exec_lo, exec_lo, s26
	s_and_saveexec_b32 s25, s24
	s_cbranch_execnz .LBB416_817
	s_branch .LBB416_818
.LBB416_835:
	s_mov_b32 s23, -1
                                        ; implicit-def: $vgpr5
	s_branch .LBB416_840
.LBB416_836:
	s_mov_b32 s23, -1
                                        ; implicit-def: $vgpr5
.LBB416_837:
	s_delay_alu instid0(SALU_CYCLE_1)
	s_and_b32 vcc_lo, exec_lo, s23
	s_cbranch_vccz .LBB416_839
; %bb.838:
	global_load_u8 v3, v[0:1], off
	s_waitcnt vmcnt(0)
	v_lshlrev_b32_e32 v3, 24, v3
	s_delay_alu instid0(VALU_DEP_1) | instskip(NEXT) | instid1(VALU_DEP_1)
	v_and_b32_e32 v4, 0x7f000000, v3
	v_clz_i32_u32_e32 v5, v4
	v_add_nc_u32_e32 v7, 0x1000000, v4
	v_cmp_ne_u32_e32 vcc_lo, 0, v4
	s_delay_alu instid0(VALU_DEP_3) | instskip(NEXT) | instid1(VALU_DEP_1)
	v_min_u32_e32 v5, 32, v5
	v_sub_nc_u32_e64 v5, v5, 4 clamp
	s_delay_alu instid0(VALU_DEP_1) | instskip(SKIP_1) | instid1(VALU_DEP_2)
	v_lshlrev_b32_e32 v6, v5, v4
	v_lshlrev_b32_e32 v5, 23, v5
	v_lshrrev_b32_e32 v6, 4, v6
	s_delay_alu instid0(VALU_DEP_1) | instskip(SKIP_1) | instid1(VALU_DEP_2)
	v_sub_nc_u32_e32 v5, v6, v5
	v_ashrrev_i32_e32 v6, 8, v7
	v_add_nc_u32_e32 v5, 0x3c000000, v5
	s_delay_alu instid0(VALU_DEP_1) | instskip(NEXT) | instid1(VALU_DEP_1)
	v_and_or_b32 v5, 0x7f800000, v6, v5
	v_cndmask_b32_e32 v4, 0, v5, vcc_lo
	s_delay_alu instid0(VALU_DEP_1) | instskip(SKIP_1) | instid1(VALU_DEP_2)
	v_and_or_b32 v3, 0x80000000, v3, v4
	v_bfe_u32 v4, v4, 16, 1
	v_cmp_o_f32_e32 vcc_lo, v3, v3
	s_delay_alu instid0(VALU_DEP_2) | instskip(NEXT) | instid1(VALU_DEP_1)
	v_add3_u32 v4, v3, v4, 0x7fff
	v_lshrrev_b32_e32 v4, 16, v4
	s_delay_alu instid0(VALU_DEP_1)
	v_cndmask_b32_e32 v5, 0x7fc0, v4, vcc_lo
.LBB416_839:
	s_mov_b32 s23, 0
.LBB416_840:
	s_delay_alu instid0(SALU_CYCLE_1)
	s_and_not1_b32 vcc_lo, exec_lo, s23
	s_cbranch_vccnz .LBB416_842
; %bb.841:
	global_load_u8 v3, v[0:1], off
	s_waitcnt vmcnt(0)
	v_lshlrev_b32_e32 v4, 25, v3
	v_lshlrev_b16 v3, 8, v3
	s_delay_alu instid0(VALU_DEP_2) | instskip(NEXT) | instid1(VALU_DEP_2)
	v_lshrrev_b32_e32 v5, 4, v4
	v_and_or_b32 v6, 0x7f00, v3, 0.5
	v_bfe_i32 v3, v3, 0, 16
	s_delay_alu instid0(VALU_DEP_3) | instskip(NEXT) | instid1(VALU_DEP_1)
	v_or_b32_e32 v5, 0x70000000, v5
	v_dual_add_f32 v6, -0.5, v6 :: v_dual_mul_f32 v5, 0x7800000, v5
	v_cmp_gt_u32_e32 vcc_lo, 0x8000000, v4
	s_delay_alu instid0(VALU_DEP_2) | instskip(NEXT) | instid1(VALU_DEP_1)
	v_cndmask_b32_e32 v4, v5, v6, vcc_lo
	v_and_or_b32 v3, 0x80000000, v3, v4
	v_bfe_u32 v4, v4, 16, 1
	s_delay_alu instid0(VALU_DEP_2) | instskip(NEXT) | instid1(VALU_DEP_2)
	v_cmp_o_f32_e32 vcc_lo, v3, v3
	v_add3_u32 v4, v3, v4, 0x7fff
	s_delay_alu instid0(VALU_DEP_1) | instskip(NEXT) | instid1(VALU_DEP_1)
	v_lshrrev_b32_e32 v4, 16, v4
	v_cndmask_b32_e32 v5, 0x7fc0, v4, vcc_lo
.LBB416_842:
	s_mov_b32 s23, 0
	s_mov_b32 s24, -1
.LBB416_843:
	s_and_not1_b32 vcc_lo, exec_lo, s23
	s_mov_b32 s23, 0
	s_cbranch_vccnz .LBB416_854
; %bb.844:
	v_cmp_gt_i16_e64 s23, s10, 14
	s_delay_alu instid0(VALU_DEP_1)
	s_and_b32 vcc_lo, exec_lo, s23
	s_cbranch_vccz .LBB416_847
; %bb.845:
	v_cmp_eq_u16_e64 s22, s10, 15
	s_delay_alu instid0(VALU_DEP_1)
	s_and_b32 vcc_lo, exec_lo, s22
	s_cbranch_vccz .LBB416_850
; %bb.846:
	global_load_u16 v5, v[0:1], off
	s_mov_b32 s22, 0
	s_mov_b32 s24, -1
	s_branch .LBB416_851
.LBB416_847:
	s_mov_b32 s23, -1
                                        ; implicit-def: $vgpr5
	s_branch .LBB416_852
.LBB416_848:
	s_or_saveexec_b32 s25, s25
	v_mov_b32_e32 v4, s24
	s_xor_b32 exec_lo, exec_lo, s25
	s_cbranch_execz .LBB416_829
.LBB416_849:
	v_cmp_ne_u16_e32 vcc_lo, 0, v3
	v_mov_b32_e32 v4, 0
	s_and_not1_b32 s23, s23, exec_lo
	s_and_b32 s24, vcc_lo, exec_lo
	s_delay_alu instid0(SALU_CYCLE_1)
	s_or_b32 s23, s23, s24
	s_or_b32 exec_lo, exec_lo, s25
	s_and_saveexec_b32 s24, s23
	s_cbranch_execnz .LBB416_830
	s_branch .LBB416_831
.LBB416_850:
	s_mov_b32 s22, -1
                                        ; implicit-def: $vgpr5
.LBB416_851:
	s_mov_b32 s23, 0
.LBB416_852:
	s_delay_alu instid0(SALU_CYCLE_1)
	s_and_b32 vcc_lo, exec_lo, s23
	s_mov_b32 s23, 0
	s_cbranch_vccz .LBB416_854
; %bb.853:
	v_cmp_ne_u16_e64 s23, s10, 11
	s_and_not1_b32 s22, s22, exec_lo
                                        ; implicit-def: $vgpr5
	s_delay_alu instid0(VALU_DEP_1)
	s_and_b32 s25, s23, exec_lo
	s_mov_b32 s23, -1
	s_or_b32 s22, s22, s25
.LBB416_854:
	s_mov_b32 s26, 0
.LBB416_855:
	s_and_b32 s25, s24, exec_lo
	s_and_b32 s24, s26, exec_lo
	s_and_not1_b32 s26, s0, exec_lo
	s_and_b32 s27, s22, exec_lo
	s_and_b32 s22, s23, exec_lo
	s_or_b32 s23, s26, s27
.LBB416_856:
	s_or_b32 exec_lo, exec_lo, s14
	s_delay_alu instid0(SALU_CYCLE_1)
	s_and_not1_b32 s0, s0, exec_lo
	s_and_b32 s14, s23, exec_lo
	s_and_b32 s25, s25, exec_lo
	;; [unrolled: 1-line block ×4, first 2 shown]
	s_or_b32 s0, s0, s14
.LBB416_857:
	s_or_b32 exec_lo, exec_lo, s21
	s_delay_alu instid0(SALU_CYCLE_1)
	s_and_not1_b32 s14, s19, exec_lo
	s_and_b32 s1, s1, exec_lo
	s_and_b32 s0, s0, exec_lo
	s_or_b32 s19, s14, s1
	s_and_not1_b32 s14, s18, exec_lo
	s_and_b32 s22, s25, exec_lo
	s_and_b32 s21, s24, exec_lo
	;; [unrolled: 1-line block ×3, first 2 shown]
	s_or_b32 s18, s14, s0
.LBB416_858:
	s_or_b32 exec_lo, exec_lo, s20
	s_delay_alu instid0(SALU_CYCLE_1)
	s_and_not1_b32 s0, s15, exec_lo
	s_and_b32 s14, s19, exec_lo
	s_and_b32 s19, s21, exec_lo
	s_or_b32 s15, s0, s14
	s_and_not1_b32 s14, s16, exec_lo
	s_and_b32 s16, s18, exec_lo
	s_and_b32 s0, s22, exec_lo
	;; [unrolled: 1-line block ×3, first 2 shown]
	s_or_b32 s16, s14, s16
.LBB416_859:
	s_or_b32 exec_lo, exec_lo, s17
	s_mov_b32 s14, 0
	s_and_saveexec_b32 s1, s16
	s_cbranch_execnz .LBB416_871
; %bb.860:
	s_or_b32 exec_lo, exec_lo, s1
	s_and_saveexec_b32 s1, s18
	s_delay_alu instid0(SALU_CYCLE_1)
	s_xor_b32 s1, exec_lo, s1
	s_cbranch_execz .LBB416_862
.LBB416_861:
	global_load_u8 v3, v[0:1], off
	s_or_b32 s0, s0, exec_lo
	s_waitcnt vmcnt(0)
	v_cmp_ne_u16_e32 vcc_lo, 0, v3
	v_cndmask_b32_e64 v3, 0, 1.0, vcc_lo
	s_delay_alu instid0(VALU_DEP_1)
	v_lshrrev_b32_e32 v5, 16, v3
.LBB416_862:
	s_or_b32 exec_lo, exec_lo, s1
	s_and_saveexec_b32 s1, s19
	s_cbranch_execz .LBB416_910
; %bb.863:
	v_cmp_lt_i16_e64 s16, s10, 5
	s_delay_alu instid0(VALU_DEP_1)
	s_and_b32 vcc_lo, exec_lo, s16
	s_cbranch_vccnz .LBB416_868
; %bb.864:
	v_cmp_lt_i16_e64 s16, s10, 8
	s_delay_alu instid0(VALU_DEP_1)
	s_and_b32 vcc_lo, exec_lo, s16
	s_cbranch_vccnz .LBB416_869
	;; [unrolled: 5-line block ×3, first 2 shown]
; %bb.866:
	v_cmp_gt_i16_e64 s16, s10, 9
	s_delay_alu instid0(VALU_DEP_1)
	s_and_b32 vcc_lo, exec_lo, s16
	s_cbranch_vccz .LBB416_873
; %bb.867:
	global_load_b64 v[3:4], v[0:1], off
	s_mov_b32 s16, 0
	s_waitcnt vmcnt(0)
	v_cvt_f32_f64_e32 v3, v[3:4]
	s_delay_alu instid0(VALU_DEP_1) | instskip(SKIP_1) | instid1(VALU_DEP_2)
	v_bfe_u32 v4, v3, 16, 1
	v_cmp_o_f32_e32 vcc_lo, v3, v3
	v_add3_u32 v4, v3, v4, 0x7fff
	s_delay_alu instid0(VALU_DEP_1) | instskip(NEXT) | instid1(VALU_DEP_1)
	v_lshrrev_b32_e32 v4, 16, v4
	v_cndmask_b32_e32 v5, 0x7fc0, v4, vcc_lo
	s_branch .LBB416_874
.LBB416_868:
                                        ; implicit-def: $vgpr5
	s_branch .LBB416_891
.LBB416_869:
                                        ; implicit-def: $vgpr5
	s_branch .LBB416_880
.LBB416_870:
	s_mov_b32 s16, -1
                                        ; implicit-def: $vgpr5
	s_branch .LBB416_877
.LBB416_871:
	s_cbranch_execnz .LBB416_919
; %bb.872:
	s_mov_b32 s14, exec_lo
	s_and_not1_b32 s18, s18, exec_lo
                                        ; implicit-def: $vgpr5
	s_or_b32 exec_lo, exec_lo, s1
	s_and_saveexec_b32 s1, s18
	s_delay_alu instid0(SALU_CYCLE_1)
	s_xor_b32 s1, exec_lo, s1
	s_cbranch_execnz .LBB416_861
	s_branch .LBB416_862
.LBB416_873:
	s_mov_b32 s16, -1
                                        ; implicit-def: $vgpr5
.LBB416_874:
	s_delay_alu instid0(SALU_CYCLE_1)
	s_and_not1_b32 vcc_lo, exec_lo, s16
	s_cbranch_vccnz .LBB416_876
; %bb.875:
	global_load_b32 v3, v[0:1], off
	s_waitcnt vmcnt(0)
	v_bfe_u32 v4, v3, 16, 1
	v_cmp_o_f32_e32 vcc_lo, v3, v3
	s_delay_alu instid0(VALU_DEP_2) | instskip(NEXT) | instid1(VALU_DEP_1)
	v_add3_u32 v4, v3, v4, 0x7fff
	v_lshrrev_b32_e32 v4, 16, v4
	s_delay_alu instid0(VALU_DEP_1)
	v_cndmask_b32_e32 v5, 0x7fc0, v4, vcc_lo
.LBB416_876:
	s_mov_b32 s16, 0
.LBB416_877:
	s_delay_alu instid0(SALU_CYCLE_1)
	s_and_not1_b32 vcc_lo, exec_lo, s16
	s_cbranch_vccnz .LBB416_879
; %bb.878:
	global_load_b32 v3, v[0:1], off
	s_waitcnt vmcnt(0)
	v_cvt_f32_f16_e32 v4, v3
	v_cmp_o_f16_e32 vcc_lo, v3, v3
	s_delay_alu instid0(VALU_DEP_2) | instskip(NEXT) | instid1(VALU_DEP_1)
	v_bfe_u32 v5, v4, 16, 1
	v_add3_u32 v4, v4, v5, 0x7fff
	s_delay_alu instid0(VALU_DEP_1) | instskip(NEXT) | instid1(VALU_DEP_1)
	v_lshrrev_b32_e32 v4, 16, v4
	v_cndmask_b32_e32 v5, 0x7fc0, v4, vcc_lo
.LBB416_879:
	s_cbranch_execnz .LBB416_890
.LBB416_880:
	v_cmp_lt_i16_e64 s16, s10, 6
	s_delay_alu instid0(VALU_DEP_1)
	s_and_b32 vcc_lo, exec_lo, s16
	s_cbranch_vccnz .LBB416_883
; %bb.881:
	v_cmp_gt_i16_e64 s16, s10, 6
	s_delay_alu instid0(VALU_DEP_1)
	s_and_b32 vcc_lo, exec_lo, s16
	s_cbranch_vccz .LBB416_884
; %bb.882:
	global_load_b64 v[3:4], v[0:1], off
	s_mov_b32 s16, 0
	s_waitcnt vmcnt(0)
	v_cvt_f32_f64_e32 v3, v[3:4]
	s_delay_alu instid0(VALU_DEP_1) | instskip(SKIP_1) | instid1(VALU_DEP_2)
	v_bfe_u32 v4, v3, 16, 1
	v_cmp_o_f32_e32 vcc_lo, v3, v3
	v_add3_u32 v4, v3, v4, 0x7fff
	s_delay_alu instid0(VALU_DEP_1) | instskip(NEXT) | instid1(VALU_DEP_1)
	v_lshrrev_b32_e32 v4, 16, v4
	v_cndmask_b32_e32 v5, 0x7fc0, v4, vcc_lo
	s_branch .LBB416_885
.LBB416_883:
	s_mov_b32 s16, -1
                                        ; implicit-def: $vgpr5
	s_branch .LBB416_888
.LBB416_884:
	s_mov_b32 s16, -1
                                        ; implicit-def: $vgpr5
.LBB416_885:
	s_delay_alu instid0(SALU_CYCLE_1)
	s_and_not1_b32 vcc_lo, exec_lo, s16
	s_cbranch_vccnz .LBB416_887
; %bb.886:
	global_load_b32 v3, v[0:1], off
	s_waitcnt vmcnt(0)
	v_bfe_u32 v4, v3, 16, 1
	v_cmp_o_f32_e32 vcc_lo, v3, v3
	s_delay_alu instid0(VALU_DEP_2) | instskip(NEXT) | instid1(VALU_DEP_1)
	v_add3_u32 v4, v3, v4, 0x7fff
	v_lshrrev_b32_e32 v4, 16, v4
	s_delay_alu instid0(VALU_DEP_1)
	v_cndmask_b32_e32 v5, 0x7fc0, v4, vcc_lo
.LBB416_887:
	s_mov_b32 s16, 0
.LBB416_888:
	s_delay_alu instid0(SALU_CYCLE_1)
	s_and_not1_b32 vcc_lo, exec_lo, s16
	s_cbranch_vccnz .LBB416_890
; %bb.889:
	global_load_u16 v3, v[0:1], off
	s_waitcnt vmcnt(0)
	v_cvt_f32_f16_e32 v4, v3
	v_cmp_o_f16_e32 vcc_lo, v3, v3
	s_delay_alu instid0(VALU_DEP_2) | instskip(NEXT) | instid1(VALU_DEP_1)
	v_bfe_u32 v5, v4, 16, 1
	v_add3_u32 v4, v4, v5, 0x7fff
	s_delay_alu instid0(VALU_DEP_1) | instskip(NEXT) | instid1(VALU_DEP_1)
	v_lshrrev_b32_e32 v4, 16, v4
	v_cndmask_b32_e32 v5, 0x7fc0, v4, vcc_lo
.LBB416_890:
	s_cbranch_execnz .LBB416_909
.LBB416_891:
	v_cmp_lt_i16_e64 s16, s10, 2
	s_delay_alu instid0(VALU_DEP_1)
	s_and_b32 vcc_lo, exec_lo, s16
	s_cbranch_vccnz .LBB416_895
; %bb.892:
	v_cmp_lt_i16_e64 s16, s10, 3
	s_delay_alu instid0(VALU_DEP_1)
	s_and_b32 vcc_lo, exec_lo, s16
	s_cbranch_vccnz .LBB416_896
; %bb.893:
	v_cmp_gt_i16_e64 s16, s10, 3
	s_delay_alu instid0(VALU_DEP_1)
	s_and_b32 vcc_lo, exec_lo, s16
	s_cbranch_vccz .LBB416_897
; %bb.894:
	global_load_b64 v[3:4], v[0:1], off
	s_mov_b32 s16, 0
	s_waitcnt vmcnt(0)
	v_xor_b32_e32 v5, v3, v4
	v_cls_i32_e32 v6, v4
	s_delay_alu instid0(VALU_DEP_2) | instskip(NEXT) | instid1(VALU_DEP_2)
	v_ashrrev_i32_e32 v5, 31, v5
	v_add_nc_u32_e32 v6, -1, v6
	s_delay_alu instid0(VALU_DEP_2) | instskip(NEXT) | instid1(VALU_DEP_1)
	v_add_nc_u32_e32 v5, 32, v5
	v_min_u32_e32 v5, v6, v5
	s_delay_alu instid0(VALU_DEP_1) | instskip(NEXT) | instid1(VALU_DEP_1)
	v_lshlrev_b64 v[3:4], v5, v[3:4]
	v_min_u32_e32 v3, 1, v3
	s_delay_alu instid0(VALU_DEP_1) | instskip(SKIP_1) | instid1(VALU_DEP_2)
	v_or_b32_e32 v3, v4, v3
	v_sub_nc_u32_e32 v4, 32, v5
	v_cvt_f32_i32_e32 v3, v3
	s_delay_alu instid0(VALU_DEP_1) | instskip(NEXT) | instid1(VALU_DEP_1)
	v_ldexp_f32 v3, v3, v4
	v_bfe_u32 v4, v3, 16, 1
	s_delay_alu instid0(VALU_DEP_1) | instskip(NEXT) | instid1(VALU_DEP_1)
	v_add3_u32 v3, v3, v4, 0x7fff
	v_lshrrev_b32_e32 v5, 16, v3
	s_branch .LBB416_898
.LBB416_895:
                                        ; implicit-def: $vgpr5
	s_branch .LBB416_904
.LBB416_896:
	s_mov_b32 s16, -1
                                        ; implicit-def: $vgpr5
	s_branch .LBB416_901
.LBB416_897:
	s_mov_b32 s16, -1
                                        ; implicit-def: $vgpr5
.LBB416_898:
	s_delay_alu instid0(SALU_CYCLE_1)
	s_and_not1_b32 vcc_lo, exec_lo, s16
	s_cbranch_vccnz .LBB416_900
; %bb.899:
	global_load_b32 v3, v[0:1], off
	s_waitcnt vmcnt(0)
	v_cvt_f32_i32_e32 v3, v3
	s_delay_alu instid0(VALU_DEP_1) | instskip(NEXT) | instid1(VALU_DEP_1)
	v_bfe_u32 v4, v3, 16, 1
	v_add3_u32 v3, v3, v4, 0x7fff
	s_delay_alu instid0(VALU_DEP_1)
	v_lshrrev_b32_e32 v5, 16, v3
.LBB416_900:
	s_mov_b32 s16, 0
.LBB416_901:
	s_delay_alu instid0(SALU_CYCLE_1)
	s_and_not1_b32 vcc_lo, exec_lo, s16
	s_cbranch_vccnz .LBB416_903
; %bb.902:
	global_load_i16 v3, v[0:1], off
	s_waitcnt vmcnt(0)
	v_cvt_f32_i32_e32 v3, v3
	s_delay_alu instid0(VALU_DEP_1) | instskip(NEXT) | instid1(VALU_DEP_1)
	v_bfe_u32 v4, v3, 16, 1
	v_add3_u32 v3, v3, v4, 0x7fff
	s_delay_alu instid0(VALU_DEP_1)
	v_lshrrev_b32_e32 v5, 16, v3
.LBB416_903:
	s_cbranch_execnz .LBB416_909
.LBB416_904:
	v_cmp_gt_i16_e64 s16, s10, 0
	s_delay_alu instid0(VALU_DEP_1)
	s_and_b32 vcc_lo, exec_lo, s16
	s_mov_b32 s16, 0
	s_cbranch_vccz .LBB416_906
; %bb.905:
	global_load_i8 v3, v[0:1], off
	s_waitcnt vmcnt(0)
	v_cvt_f32_i32_e32 v3, v3
	s_delay_alu instid0(VALU_DEP_1) | instskip(NEXT) | instid1(VALU_DEP_1)
	v_bfe_u32 v4, v3, 16, 1
	v_add3_u32 v3, v3, v4, 0x7fff
	s_delay_alu instid0(VALU_DEP_1)
	v_lshrrev_b32_e32 v5, 16, v3
	s_branch .LBB416_907
.LBB416_906:
	s_mov_b32 s16, -1
                                        ; implicit-def: $vgpr5
.LBB416_907:
	s_delay_alu instid0(SALU_CYCLE_1)
	s_and_not1_b32 vcc_lo, exec_lo, s16
	s_cbranch_vccnz .LBB416_909
; %bb.908:
	global_load_u8 v0, v[0:1], off
	s_waitcnt vmcnt(0)
	v_cvt_f32_ubyte0_e32 v0, v0
	s_delay_alu instid0(VALU_DEP_1) | instskip(NEXT) | instid1(VALU_DEP_1)
	v_bfe_u32 v1, v0, 16, 1
	v_add3_u32 v0, v0, v1, 0x7fff
	s_delay_alu instid0(VALU_DEP_1)
	v_lshrrev_b32_e32 v5, 16, v0
.LBB416_909:
	s_or_b32 s0, s0, exec_lo
.LBB416_910:
	s_or_b32 exec_lo, exec_lo, s1
	s_mov_b32 s17, 0
	s_mov_b32 s1, 0
                                        ; implicit-def: $vgpr4
                                        ; implicit-def: $vgpr0_vgpr1
                                        ; implicit-def: $vgpr3
	s_and_saveexec_b32 s16, s0
	s_cbranch_execz .LBB416_990
; %bb.911:
	s_waitcnt vmcnt(0)
	v_lshlrev_b32_e32 v0, 16, v5
	v_mul_lo_u32 v1, v2, s2
	v_and_b32_e64 v4, 0xff, s9
	s_delay_alu instid0(VALU_DEP_3) | instskip(SKIP_1) | instid1(VALU_DEP_3)
	v_cmp_u_f32_e32 vcc_lo, v0, v0
	v_cmp_lt_f32_e64 s0, s13, v0
	v_cmp_gt_i16_e64 s1, 11, v4
	v_ashrrev_i32_e32 v2, 31, v1
	s_delay_alu instid0(VALU_DEP_3) | instskip(SKIP_2) | instid1(VALU_DEP_3)
	s_or_b32 vcc_lo, vcc_lo, s0
	v_cndmask_b32_e32 v3, s8, v5, vcc_lo
	v_add_co_u32 v0, vcc_lo, s4, v1
	v_add_co_ci_u32_e32 v1, vcc_lo, s5, v2, vcc_lo
	s_and_b32 vcc_lo, exec_lo, s1
	s_cbranch_vccnz .LBB416_918
; %bb.912:
	v_cmp_lt_i16_e32 vcc_lo, 25, v4
	s_mov_b32 s1, -1
	s_mov_b32 s0, s15
	s_cbranch_vccz .LBB416_948
; %bb.913:
	v_cmp_lt_i16_e32 vcc_lo, 28, v4
	s_mov_b32 s0, s15
	s_cbranch_vccz .LBB416_932
; %bb.914:
	v_cmp_lt_i16_e32 vcc_lo, 43, v4
	;; [unrolled: 4-line block ×3, first 2 shown]
	s_mov_b32 s0, s15
	s_cbranch_vccz .LBB416_922
; %bb.916:
	v_cmp_eq_u16_e32 vcc_lo, 46, v4
	s_mov_b32 s0, -1
	s_cbranch_vccz .LBB416_921
; %bb.917:
	v_and_b32_e32 v2, 0xffff, v3
	s_mov_b32 s0, 0
	s_mov_b32 s1, 0
	global_store_b32 v[0:1], v2, off
	s_branch .LBB416_922
.LBB416_918:
	s_mov_b32 s13, 0
	s_mov_b32 s1, -1
	s_mov_b32 s0, s15
	s_branch .LBB416_989
.LBB416_919:
	s_trap 2
	s_sendmsg_rtn_b32 s0, sendmsg(MSG_RTN_GET_DOORBELL)
	s_mov_b32 ttmp2, m0
	s_waitcnt lgkmcnt(0)
	s_and_b32 s0, s0, 0x3ff
	s_delay_alu instid0(SALU_CYCLE_1) | instskip(NEXT) | instid1(SALU_CYCLE_1)
	s_bitset1_b32 s0, 10
	s_mov_b32 m0, s0
	s_sendmsg sendmsg(MSG_INTERRUPT)
	s_mov_b32 m0, ttmp2
.LBB416_920:                            ; =>This Inner Loop Header: Depth=1
	s_sethalt 5
	s_branch .LBB416_920
.LBB416_921:
	s_mov_b32 s1, 0
.LBB416_922:
	s_delay_alu instid0(SALU_CYCLE_1)
	s_and_b32 vcc_lo, exec_lo, s1
	s_cbranch_vccz .LBB416_927
; %bb.923:
	v_cmp_eq_u16_e32 vcc_lo, 44, v4
	s_mov_b32 s0, -1
	s_cbranch_vccz .LBB416_927
; %bb.924:
	v_and_b32_e32 v2, 0xffff, v3
	v_mov_b32_e32 v5, 0xff
	s_mov_b32 s1, exec_lo
	s_delay_alu instid0(VALU_DEP_2) | instskip(NEXT) | instid1(VALU_DEP_1)
	v_bfe_u32 v6, v2, 7, 8
	v_cmpx_ne_u32_e32 0xff, v6
; %bb.925:
	v_lshlrev_b32_e32 v5, 16, v2
	v_and_b32_e32 v7, 64, v2
	v_lshrrev_b32_e32 v2, 7, v2
	s_delay_alu instid0(VALU_DEP_3) | instskip(NEXT) | instid1(VALU_DEP_3)
	v_and_or_b32 v5, 0x3f0000, v5, v6
	v_cmp_ne_u32_e32 vcc_lo, 0, v7
	s_delay_alu instid0(VALU_DEP_2) | instskip(NEXT) | instid1(VALU_DEP_1)
	v_cmp_ne_u32_e64 s0, 0, v5
	s_and_b32 s0, vcc_lo, s0
	s_delay_alu instid0(SALU_CYCLE_1) | instskip(NEXT) | instid1(VALU_DEP_1)
	v_cndmask_b32_e64 v5, 0, 1, s0
	v_add_nc_u32_e32 v5, v2, v5
; %bb.926:
	s_or_b32 exec_lo, exec_lo, s1
	s_mov_b32 s0, 0
	global_store_b8 v[0:1], v5, off
.LBB416_927:
	s_mov_b32 s1, 0
.LBB416_928:
	s_delay_alu instid0(SALU_CYCLE_1)
	s_and_b32 vcc_lo, exec_lo, s1
	s_cbranch_vccz .LBB416_931
; %bb.929:
	v_cmp_eq_u16_e32 vcc_lo, 29, v4
	s_mov_b32 s0, -1
	s_cbranch_vccz .LBB416_931
; %bb.930:
	v_lshlrev_b32_e32 v2, 16, v3
	s_mov_b32 s0, 0
	s_mov_b32 s1, 0
	s_delay_alu instid0(VALU_DEP_1) | instskip(NEXT) | instid1(VALU_DEP_1)
	v_trunc_f32_e32 v2, v2
	v_mul_f32_e32 v5, 0x2f800000, v2
	s_delay_alu instid0(VALU_DEP_1) | instskip(NEXT) | instid1(VALU_DEP_1)
	v_floor_f32_e32 v5, v5
	v_fmamk_f32 v2, v5, 0xcf800000, v2
	v_cvt_u32_f32_e32 v6, v5
	s_delay_alu instid0(VALU_DEP_2)
	v_cvt_u32_f32_e32 v5, v2
	global_store_b64 v[0:1], v[5:6], off
	s_branch .LBB416_932
.LBB416_931:
	s_mov_b32 s1, 0
.LBB416_932:
	s_delay_alu instid0(SALU_CYCLE_1)
	s_and_b32 vcc_lo, exec_lo, s1
	s_cbranch_vccz .LBB416_947
; %bb.933:
	v_cmp_gt_i16_e32 vcc_lo, 27, v4
	s_mov_b32 s1, -1
	s_cbranch_vccnz .LBB416_939
; %bb.934:
	v_cmp_lt_i16_e32 vcc_lo, 27, v4
	s_cbranch_vccz .LBB416_936
; %bb.935:
	v_lshlrev_b32_e32 v2, 16, v3
	s_mov_b32 s1, 0
	s_delay_alu instid0(VALU_DEP_1)
	v_cvt_u32_f32_e32 v2, v2
	global_store_b32 v[0:1], v2, off
.LBB416_936:
	s_and_not1_b32 vcc_lo, exec_lo, s1
	s_cbranch_vccnz .LBB416_938
; %bb.937:
	v_lshlrev_b32_e32 v2, 16, v3
	s_delay_alu instid0(VALU_DEP_1)
	v_cvt_u32_f32_e32 v2, v2
	global_store_b16 v[0:1], v2, off
.LBB416_938:
	s_mov_b32 s1, 0
.LBB416_939:
	s_delay_alu instid0(SALU_CYCLE_1)
	s_and_not1_b32 vcc_lo, exec_lo, s1
	s_cbranch_vccnz .LBB416_947
; %bb.940:
	v_dual_mov_b32 v7, 0x80 :: v_dual_lshlrev_b32 v6, 16, v3
	s_mov_b32 s1, exec_lo
	s_delay_alu instid0(VALU_DEP_1) | instskip(NEXT) | instid1(VALU_DEP_1)
	v_and_b32_e32 v5, 0x7fffffff, v6
	v_cmpx_gt_u32_e32 0x43800000, v5
	s_cbranch_execz .LBB416_946
; %bb.941:
	v_and_b32_e32 v2, 0xffff, v3
	v_cmp_lt_u32_e32 vcc_lo, 0x3bffffff, v5
	s_mov_b32 s13, 0
                                        ; implicit-def: $vgpr5
	s_and_saveexec_b32 s17, vcc_lo
	s_delay_alu instid0(SALU_CYCLE_1)
	s_xor_b32 s17, exec_lo, s17
	s_cbranch_execz .LBB416_1181
; %bb.942:
	v_bfe_u32 v5, v2, 4, 1
	s_mov_b32 s13, exec_lo
	s_delay_alu instid0(VALU_DEP_1) | instskip(NEXT) | instid1(VALU_DEP_1)
	v_add3_u32 v5, v6, v5, 0x487ffff
                                        ; implicit-def: $vgpr6
	v_lshrrev_b32_e32 v5, 20, v5
	s_or_saveexec_b32 s17, s17
                                        ; implicit-def: $sgpr18
	s_delay_alu instid0(SALU_CYCLE_1)
	s_xor_b32 exec_lo, exec_lo, s17
	s_cbranch_execnz .LBB416_1182
.LBB416_943:
	s_or_b32 exec_lo, exec_lo, s17
	v_mov_b32_e32 v7, s18
	s_and_saveexec_b32 s17, s13
.LBB416_944:
	v_lshrrev_b32_e32 v2, 8, v2
	s_delay_alu instid0(VALU_DEP_1)
	v_and_or_b32 v7, 0x80, v2, v5
.LBB416_945:
	s_or_b32 exec_lo, exec_lo, s17
.LBB416_946:
	s_delay_alu instid0(SALU_CYCLE_1)
	s_or_b32 exec_lo, exec_lo, s1
	global_store_b8 v[0:1], v7, off
.LBB416_947:
	s_mov_b32 s1, 0
.LBB416_948:
	s_delay_alu instid0(SALU_CYCLE_1)
	s_and_b32 vcc_lo, exec_lo, s1
	s_mov_b32 s1, 0
	s_cbranch_vccz .LBB416_988
; %bb.949:
	v_cmp_lt_i16_e32 vcc_lo, 22, v4
	s_mov_b32 s13, -1
	s_cbranch_vccz .LBB416_981
; %bb.950:
	v_cmp_gt_i16_e32 vcc_lo, 24, v4
	s_cbranch_vccnz .LBB416_970
; %bb.951:
	v_cmp_lt_i16_e32 vcc_lo, 24, v4
	s_cbranch_vccz .LBB416_959
; %bb.952:
	v_dual_mov_b32 v7, 0x80 :: v_dual_lshlrev_b32 v6, 16, v3
	s_mov_b32 s13, exec_lo
	s_delay_alu instid0(VALU_DEP_1) | instskip(NEXT) | instid1(VALU_DEP_1)
	v_and_b32_e32 v5, 0x7fffffff, v6
	v_cmpx_gt_u32_e32 0x47800000, v5
	s_cbranch_execz .LBB416_958
; %bb.953:
	v_and_b32_e32 v2, 0xffff, v3
	v_cmp_lt_u32_e32 vcc_lo, 0x37ffffff, v5
	s_mov_b32 s17, 0
                                        ; implicit-def: $vgpr5
	s_and_saveexec_b32 s18, vcc_lo
	s_delay_alu instid0(SALU_CYCLE_1)
	s_xor_b32 s18, exec_lo, s18
	s_cbranch_execz .LBB416_1225
; %bb.954:
	v_bfe_u32 v5, v2, 5, 1
	s_mov_b32 s17, exec_lo
	s_delay_alu instid0(VALU_DEP_1) | instskip(NEXT) | instid1(VALU_DEP_1)
	v_add3_u32 v5, v6, v5, 0x88fffff
                                        ; implicit-def: $vgpr6
	v_lshrrev_b32_e32 v5, 21, v5
	s_or_saveexec_b32 s18, s18
                                        ; implicit-def: $sgpr19
	s_delay_alu instid0(SALU_CYCLE_1)
	s_xor_b32 exec_lo, exec_lo, s18
	s_cbranch_execnz .LBB416_1226
.LBB416_955:
	s_or_b32 exec_lo, exec_lo, s18
	v_mov_b32_e32 v7, s19
	s_and_saveexec_b32 s18, s17
.LBB416_956:
	v_lshrrev_b32_e32 v2, 8, v2
	s_delay_alu instid0(VALU_DEP_1)
	v_and_or_b32 v7, 0x80, v2, v5
.LBB416_957:
	s_or_b32 exec_lo, exec_lo, s18
.LBB416_958:
	s_delay_alu instid0(SALU_CYCLE_1)
	s_or_b32 exec_lo, exec_lo, s13
	s_mov_b32 s13, 0
	global_store_b8 v[0:1], v7, off
.LBB416_959:
	s_and_b32 vcc_lo, exec_lo, s13
	s_cbranch_vccz .LBB416_969
; %bb.960:
	v_lshlrev_b32_e32 v6, 16, v3
	v_and_b32_e32 v2, 0xffff, v3
	s_mov_b32 s13, exec_lo
                                        ; implicit-def: $vgpr5
	s_delay_alu instid0(VALU_DEP_2) | instskip(NEXT) | instid1(VALU_DEP_1)
	v_and_b32_e32 v7, 0x7fffffff, v6
	v_cmpx_gt_u32_e32 0x43f00000, v7
	s_xor_b32 s13, exec_lo, s13
	s_cbranch_execz .LBB416_966
; %bb.961:
	s_mov_b32 s17, exec_lo
                                        ; implicit-def: $vgpr5
	v_cmpx_lt_u32_e32 0x3c7fffff, v7
	s_xor_b32 s17, exec_lo, s17
; %bb.962:
	v_bfe_u32 v5, v2, 4, 1
	s_delay_alu instid0(VALU_DEP_1) | instskip(NEXT) | instid1(VALU_DEP_1)
	v_add3_u32 v5, v6, v5, 0x407ffff
	v_and_b32_e32 v6, 0xff00000, v5
	v_lshrrev_b32_e32 v5, 20, v5
	s_delay_alu instid0(VALU_DEP_2) | instskip(NEXT) | instid1(VALU_DEP_2)
	v_cmp_ne_u32_e32 vcc_lo, 0x7f00000, v6
                                        ; implicit-def: $vgpr6
	v_cndmask_b32_e32 v5, 0x7e, v5, vcc_lo
; %bb.963:
	s_and_not1_saveexec_b32 s17, s17
; %bb.964:
	v_add_f32_e64 v5, 0x46800000, |v6|
; %bb.965:
	s_or_b32 exec_lo, exec_lo, s17
                                        ; implicit-def: $vgpr7
.LBB416_966:
	s_and_not1_saveexec_b32 s13, s13
; %bb.967:
	v_mov_b32_e32 v5, 0x7f
	v_cmp_lt_u32_e32 vcc_lo, 0x7f800000, v7
	s_delay_alu instid0(VALU_DEP_2)
	v_cndmask_b32_e32 v5, 0x7e, v5, vcc_lo
; %bb.968:
	s_or_b32 exec_lo, exec_lo, s13
	v_lshrrev_b32_e32 v2, 8, v2
	s_delay_alu instid0(VALU_DEP_1)
	v_and_or_b32 v2, 0x80, v2, v5
	global_store_b8 v[0:1], v2, off
.LBB416_969:
	s_mov_b32 s13, 0
.LBB416_970:
	s_delay_alu instid0(SALU_CYCLE_1)
	s_and_not1_b32 vcc_lo, exec_lo, s13
	s_cbranch_vccnz .LBB416_980
; %bb.971:
	v_lshlrev_b32_e32 v6, 16, v3
	v_and_b32_e32 v2, 0xffff, v3
	s_mov_b32 s13, exec_lo
                                        ; implicit-def: $vgpr5
	s_delay_alu instid0(VALU_DEP_2) | instskip(NEXT) | instid1(VALU_DEP_1)
	v_and_b32_e32 v7, 0x7fffffff, v6
	v_cmpx_gt_u32_e32 0x47800000, v7
	s_xor_b32 s13, exec_lo, s13
	s_cbranch_execz .LBB416_977
; %bb.972:
	s_mov_b32 s17, exec_lo
                                        ; implicit-def: $vgpr5
	v_cmpx_lt_u32_e32 0x387fffff, v7
	s_xor_b32 s17, exec_lo, s17
; %bb.973:
	v_bfe_u32 v5, v2, 5, 1
	s_delay_alu instid0(VALU_DEP_1) | instskip(NEXT) | instid1(VALU_DEP_1)
	v_add3_u32 v5, v6, v5, 0x80fffff
                                        ; implicit-def: $vgpr6
	v_lshrrev_b32_e32 v5, 21, v5
; %bb.974:
	s_and_not1_saveexec_b32 s17, s17
; %bb.975:
	v_add_f32_e64 v5, 0x43000000, |v6|
; %bb.976:
	s_or_b32 exec_lo, exec_lo, s17
                                        ; implicit-def: $vgpr7
.LBB416_977:
	s_and_not1_saveexec_b32 s13, s13
; %bb.978:
	v_mov_b32_e32 v5, 0x7f
	v_cmp_lt_u32_e32 vcc_lo, 0x7f800000, v7
	s_delay_alu instid0(VALU_DEP_2)
	v_cndmask_b32_e32 v5, 0x7c, v5, vcc_lo
; %bb.979:
	s_or_b32 exec_lo, exec_lo, s13
	v_lshrrev_b32_e32 v2, 8, v2
	s_delay_alu instid0(VALU_DEP_1)
	v_and_or_b32 v2, 0x80, v2, v5
	global_store_b8 v[0:1], v2, off
.LBB416_980:
	s_mov_b32 s13, 0
.LBB416_981:
	s_delay_alu instid0(SALU_CYCLE_1)
	s_and_not1_b32 vcc_lo, exec_lo, s13
	s_mov_b32 s13, 0
	s_cbranch_vccnz .LBB416_989
; %bb.982:
	v_cmp_lt_i16_e32 vcc_lo, 14, v4
	s_mov_b32 s13, -1
	s_cbranch_vccz .LBB416_986
; %bb.983:
	v_cmp_eq_u16_e32 vcc_lo, 15, v4
	s_mov_b32 s0, -1
	s_cbranch_vccz .LBB416_985
; %bb.984:
	s_mov_b32 s0, 0
	global_store_b16 v[0:1], v3, off
.LBB416_985:
	s_mov_b32 s13, 0
.LBB416_986:
	s_delay_alu instid0(SALU_CYCLE_1)
	s_and_b32 vcc_lo, exec_lo, s13
	s_mov_b32 s13, 0
	s_cbranch_vccz .LBB416_989
; %bb.987:
	v_cmp_ne_u16_e32 vcc_lo, 11, v4
	s_and_not1_b32 s0, s0, exec_lo
	s_mov_b32 s13, -1
	s_and_b32 s17, vcc_lo, exec_lo
	s_delay_alu instid0(SALU_CYCLE_1)
	s_or_b32 s0, s0, s17
	s_branch .LBB416_989
.LBB416_988:
	s_mov_b32 s13, 0
.LBB416_989:
	s_and_not1_b32 s15, s15, exec_lo
	s_and_b32 s0, s0, exec_lo
	s_and_b32 s1, s1, exec_lo
	;; [unrolled: 1-line block ×3, first 2 shown]
	s_or_b32 s15, s15, s0
.LBB416_990:
	s_or_b32 exec_lo, exec_lo, s16
	s_and_saveexec_b32 s0, s15
	s_cbranch_execnz .LBB416_1052
; %bb.991:
	s_or_b32 exec_lo, exec_lo, s0
	s_and_saveexec_b32 s0, s17
	s_delay_alu instid0(SALU_CYCLE_1)
	s_xor_b32 s0, exec_lo, s0
	s_cbranch_execz .LBB416_993
.LBB416_992:
	s_waitcnt vmcnt(0)
	v_and_b32_e32 v2, 0x7fff, v3
	s_delay_alu instid0(VALU_DEP_1)
	v_cmp_ne_u16_e32 vcc_lo, 0, v2
	v_cndmask_b32_e64 v2, 0, 1, vcc_lo
	global_store_b8 v[0:1], v2, off
.LBB416_993:
	s_or_b32 exec_lo, exec_lo, s0
	s_and_saveexec_b32 s0, s1
	s_delay_alu instid0(SALU_CYCLE_1)
	s_xor_b32 s0, exec_lo, s0
	s_cbranch_execz .LBB416_1031
; %bb.994:
	s_waitcnt vmcnt(0)
	v_cmp_gt_i16_e32 vcc_lo, 5, v4
	s_mov_b32 s1, -1
	s_cbranch_vccnz .LBB416_1015
; %bb.995:
	v_cmp_gt_i16_e32 vcc_lo, 8, v4
	s_cbranch_vccnz .LBB416_1005
; %bb.996:
	v_cmp_gt_i16_e32 vcc_lo, 9, v4
	s_cbranch_vccnz .LBB416_1002
; %bb.997:
	v_cmp_lt_i16_e32 vcc_lo, 9, v4
	s_cbranch_vccz .LBB416_999
; %bb.998:
	v_dual_mov_b32 v7, 0 :: v_dual_lshlrev_b32 v2, 16, v3
	s_mov_b32 s1, 0
	s_delay_alu instid0(VALU_DEP_1) | instskip(NEXT) | instid1(VALU_DEP_2)
	v_cvt_f64_f32_e32 v[5:6], v2
	v_mov_b32_e32 v8, v7
	global_store_b128 v[0:1], v[5:8], off
.LBB416_999:
	s_and_not1_b32 vcc_lo, exec_lo, s1
	s_cbranch_vccnz .LBB416_1001
; %bb.1000:
	v_dual_mov_b32 v6, 0 :: v_dual_lshlrev_b32 v5, 16, v3
	global_store_b64 v[0:1], v[5:6], off
.LBB416_1001:
	s_mov_b32 s1, 0
.LBB416_1002:
	s_delay_alu instid0(SALU_CYCLE_1)
	s_and_not1_b32 vcc_lo, exec_lo, s1
	s_cbranch_vccnz .LBB416_1004
; %bb.1003:
	v_lshlrev_b32_e32 v2, 16, v3
	s_delay_alu instid0(VALU_DEP_1) | instskip(NEXT) | instid1(VALU_DEP_1)
	v_cvt_f16_f32_e32 v2, v2
	v_and_b32_e32 v2, 0xffff, v2
	global_store_b32 v[0:1], v2, off
.LBB416_1004:
	s_mov_b32 s1, 0
.LBB416_1005:
	s_delay_alu instid0(SALU_CYCLE_1)
	s_and_not1_b32 vcc_lo, exec_lo, s1
	s_cbranch_vccnz .LBB416_1014
; %bb.1006:
	v_cmp_gt_i16_e32 vcc_lo, 6, v4
	s_mov_b32 s1, -1
	s_cbranch_vccnz .LBB416_1012
; %bb.1007:
	v_cmp_lt_i16_e32 vcc_lo, 6, v4
	s_cbranch_vccz .LBB416_1009
; %bb.1008:
	v_lshlrev_b32_e32 v2, 16, v3
	s_mov_b32 s1, 0
	s_delay_alu instid0(VALU_DEP_1)
	v_cvt_f64_f32_e32 v[5:6], v2
	global_store_b64 v[0:1], v[5:6], off
.LBB416_1009:
	s_and_not1_b32 vcc_lo, exec_lo, s1
	s_cbranch_vccnz .LBB416_1011
; %bb.1010:
	v_lshlrev_b32_e32 v2, 16, v3
	global_store_b32 v[0:1], v2, off
.LBB416_1011:
	s_mov_b32 s1, 0
.LBB416_1012:
	s_delay_alu instid0(SALU_CYCLE_1)
	s_and_not1_b32 vcc_lo, exec_lo, s1
	s_cbranch_vccnz .LBB416_1014
; %bb.1013:
	v_lshlrev_b32_e32 v2, 16, v3
	s_delay_alu instid0(VALU_DEP_1)
	v_cvt_f16_f32_e32 v2, v2
	global_store_b16 v[0:1], v2, off
.LBB416_1014:
	s_mov_b32 s1, 0
.LBB416_1015:
	s_delay_alu instid0(SALU_CYCLE_1)
	s_and_not1_b32 vcc_lo, exec_lo, s1
	s_cbranch_vccnz .LBB416_1031
; %bb.1016:
	v_cmp_gt_i16_e32 vcc_lo, 2, v4
	s_mov_b32 s1, -1
	s_cbranch_vccnz .LBB416_1026
; %bb.1017:
	v_cmp_gt_i16_e32 vcc_lo, 3, v4
	s_cbranch_vccnz .LBB416_1023
; %bb.1018:
	v_cmp_lt_i16_e32 vcc_lo, 3, v4
	s_cbranch_vccz .LBB416_1020
; %bb.1019:
	v_lshlrev_b32_e32 v2, 16, v3
	s_mov_b32 s1, 0
	s_delay_alu instid0(VALU_DEP_1) | instskip(NEXT) | instid1(VALU_DEP_1)
	v_trunc_f32_e32 v2, v2
	v_mul_f32_e64 v5, 0x2f800000, |v2|
	s_delay_alu instid0(VALU_DEP_1) | instskip(NEXT) | instid1(VALU_DEP_1)
	v_floor_f32_e32 v5, v5
	v_fma_f32 v6, 0xcf800000, v5, |v2|
	v_ashrrev_i32_e32 v2, 31, v2
	v_cvt_u32_f32_e32 v5, v5
	s_delay_alu instid0(VALU_DEP_3) | instskip(NEXT) | instid1(VALU_DEP_2)
	v_cvt_u32_f32_e32 v6, v6
	v_xor_b32_e32 v7, v5, v2
	s_delay_alu instid0(VALU_DEP_2) | instskip(NEXT) | instid1(VALU_DEP_1)
	v_xor_b32_e32 v6, v6, v2
	v_sub_co_u32 v5, vcc_lo, v6, v2
	s_delay_alu instid0(VALU_DEP_3)
	v_sub_co_ci_u32_e32 v6, vcc_lo, v7, v2, vcc_lo
	global_store_b64 v[0:1], v[5:6], off
.LBB416_1020:
	s_and_not1_b32 vcc_lo, exec_lo, s1
	s_cbranch_vccnz .LBB416_1022
; %bb.1021:
	v_lshlrev_b32_e32 v2, 16, v3
	s_delay_alu instid0(VALU_DEP_1)
	v_cvt_i32_f32_e32 v2, v2
	global_store_b32 v[0:1], v2, off
.LBB416_1022:
	s_mov_b32 s1, 0
.LBB416_1023:
	s_delay_alu instid0(SALU_CYCLE_1)
	s_and_not1_b32 vcc_lo, exec_lo, s1
	s_cbranch_vccnz .LBB416_1025
; %bb.1024:
	v_lshlrev_b32_e32 v2, 16, v3
	s_delay_alu instid0(VALU_DEP_1)
	v_cvt_i32_f32_e32 v2, v2
	global_store_b16 v[0:1], v2, off
.LBB416_1025:
	s_mov_b32 s1, 0
.LBB416_1026:
	s_delay_alu instid0(SALU_CYCLE_1)
	s_and_not1_b32 vcc_lo, exec_lo, s1
	s_cbranch_vccnz .LBB416_1031
; %bb.1027:
	v_cmp_lt_i16_e32 vcc_lo, 0, v4
	s_mov_b32 s1, -1
	s_cbranch_vccz .LBB416_1029
; %bb.1028:
	v_lshlrev_b32_e32 v2, 16, v3
	s_mov_b32 s1, 0
	s_delay_alu instid0(VALU_DEP_1)
	v_cvt_i32_f32_e32 v2, v2
	global_store_b8 v[0:1], v2, off
.LBB416_1029:
	s_and_not1_b32 vcc_lo, exec_lo, s1
	s_cbranch_vccnz .LBB416_1031
; %bb.1030:
	v_lshlrev_b32_e32 v2, 16, v3
	s_delay_alu instid0(VALU_DEP_1) | instskip(NEXT) | instid1(VALU_DEP_1)
	v_trunc_f32_e32 v2, v2
	v_mul_f32_e64 v3, 0x2f800000, |v2|
	s_delay_alu instid0(VALU_DEP_1) | instskip(NEXT) | instid1(VALU_DEP_1)
	v_floor_f32_e32 v3, v3
	v_fma_f32 v3, 0xcf800000, v3, |v2|
	v_ashrrev_i32_e32 v2, 31, v2
	s_delay_alu instid0(VALU_DEP_2) | instskip(NEXT) | instid1(VALU_DEP_1)
	v_cvt_u32_f32_e32 v3, v3
	v_xor_b32_e32 v3, v3, v2
	s_delay_alu instid0(VALU_DEP_1)
	v_sub_nc_u32_e32 v2, v3, v2
	global_store_b8 v[0:1], v2, off
.LBB416_1031:
	s_or_b32 exec_lo, exec_lo, s0
	s_delay_alu instid0(SALU_CYCLE_1)
	s_and_b32 s13, s14, exec_lo
                                        ; implicit-def: $vgpr2
.LBB416_1032:
	s_or_saveexec_b32 s12, s12
	s_mov_b32 s0, 0
                                        ; implicit-def: $vgpr3
                                        ; implicit-def: $vgpr0_vgpr1
                                        ; implicit-def: $vgpr4
	s_xor_b32 exec_lo, exec_lo, s12
	s_cbranch_execz .LBB416_1997
; %bb.1033:
	s_waitcnt vmcnt(0)
	v_mul_lo_u32 v3, s3, v2
	v_cmp_lt_i16_e64 s0, s10, 11
	s_delay_alu instid0(VALU_DEP_2) | instskip(SKIP_1) | instid1(VALU_DEP_2)
	v_ashrrev_i32_e32 v1, 31, v3
	v_add_co_u32 v0, vcc_lo, s6, v3
	v_add_co_ci_u32_e32 v1, vcc_lo, s7, v1, vcc_lo
	s_delay_alu instid0(VALU_DEP_4)
	s_and_b32 vcc_lo, exec_lo, s0
	s_cbranch_vccnz .LBB416_1040
; %bb.1034:
	v_cmp_gt_i16_e64 s0, s10, 25
	s_mov_b32 s1, 0
	s_delay_alu instid0(VALU_DEP_1)
	s_and_b32 vcc_lo, exec_lo, s0
	s_cbranch_vccz .LBB416_1046
; %bb.1035:
	v_cmp_gt_i16_e64 s0, s10, 28
	s_delay_alu instid0(VALU_DEP_1)
	s_and_b32 vcc_lo, exec_lo, s0
	s_cbranch_vccz .LBB416_1048
; %bb.1036:
	v_cmp_gt_i16_e64 s0, s10, 43
	;; [unrolled: 5-line block ×3, first 2 shown]
	s_delay_alu instid0(VALU_DEP_1)
	s_and_b32 vcc_lo, exec_lo, s0
	s_cbranch_vccz .LBB416_1054
; %bb.1038:
	v_cmp_eq_u16_e64 s0, s10, 46
	s_delay_alu instid0(VALU_DEP_1)
	s_and_b32 vcc_lo, exec_lo, s0
	s_cbranch_vccz .LBB416_1094
; %bb.1039:
	global_load_b32 v4, v[0:1], off
	s_mov_b32 s0, 0
	s_mov_b32 s14, -1
	s_branch .LBB416_1096
.LBB416_1040:
	s_mov_b32 s14, 0
	s_mov_b32 s11, s13
                                        ; implicit-def: $vgpr4
	s_cbranch_execz .LBB416_1159
; %bb.1041:
	v_cmp_lt_i16_e64 s0, s10, 5
	s_delay_alu instid0(VALU_DEP_1)
	s_and_b32 vcc_lo, exec_lo, s0
	s_cbranch_vccnz .LBB416_1047
; %bb.1042:
	v_cmp_lt_i16_e64 s0, s10, 8
	s_delay_alu instid0(VALU_DEP_1)
	s_and_b32 vcc_lo, exec_lo, s0
	s_cbranch_vccnz .LBB416_1049
	;; [unrolled: 5-line block ×3, first 2 shown]
; %bb.1044:
	v_cmp_gt_i16_e64 s0, s10, 9
	s_delay_alu instid0(VALU_DEP_1)
	s_and_b32 vcc_lo, exec_lo, s0
	s_cbranch_vccz .LBB416_1055
; %bb.1045:
	global_load_b64 v[4:5], v[0:1], off
	s_mov_b32 s0, 0
	s_waitcnt vmcnt(0)
	v_cvt_f32_f64_e32 v4, v[4:5]
	s_delay_alu instid0(VALU_DEP_1) | instskip(SKIP_1) | instid1(VALU_DEP_2)
	v_bfe_u32 v5, v4, 16, 1
	v_cmp_o_f32_e32 vcc_lo, v4, v4
	v_add3_u32 v5, v4, v5, 0x7fff
	s_delay_alu instid0(VALU_DEP_1) | instskip(NEXT) | instid1(VALU_DEP_1)
	v_lshrrev_b32_e32 v5, 16, v5
	v_cndmask_b32_e32 v4, 0x7fc0, v5, vcc_lo
	s_branch .LBB416_1056
.LBB416_1046:
	s_mov_b32 s14, 0
	s_mov_b32 s0, 0
                                        ; implicit-def: $vgpr4
	s_cbranch_execnz .LBB416_1124
	s_branch .LBB416_1155
.LBB416_1047:
                                        ; implicit-def: $vgpr4
	s_branch .LBB416_1073
.LBB416_1048:
	s_mov_b32 s11, -1
	s_mov_b32 s14, 0
	s_mov_b32 s0, 0
                                        ; implicit-def: $vgpr4
	s_branch .LBB416_1105
.LBB416_1049:
                                        ; implicit-def: $vgpr4
	s_branch .LBB416_1062
.LBB416_1050:
	s_mov_b32 s14, 0
	s_mov_b32 s0, 0
                                        ; implicit-def: $vgpr4
	s_cbranch_execnz .LBB416_1101
	s_branch .LBB416_1104
.LBB416_1051:
	s_mov_b32 s0, -1
                                        ; implicit-def: $vgpr4
	s_branch .LBB416_1059
.LBB416_1052:
	s_cbranch_execnz .LBB416_1092
; %bb.1053:
	s_or_b32 s14, s14, exec_lo
	s_and_not1_b32 s17, s17, exec_lo
	s_or_b32 exec_lo, exec_lo, s0
	s_and_saveexec_b32 s0, s17
	s_delay_alu instid0(SALU_CYCLE_1)
	s_xor_b32 s0, exec_lo, s0
	s_cbranch_execnz .LBB416_992
	s_branch .LBB416_993
.LBB416_1054:
	s_mov_b32 s11, -1
	s_mov_b32 s14, 0
	s_mov_b32 s0, 0
	s_branch .LBB416_1095
.LBB416_1055:
	s_mov_b32 s0, -1
                                        ; implicit-def: $vgpr4
.LBB416_1056:
	s_delay_alu instid0(SALU_CYCLE_1)
	s_and_not1_b32 vcc_lo, exec_lo, s0
	s_cbranch_vccnz .LBB416_1058
; %bb.1057:
	global_load_b32 v4, v[0:1], off
	s_waitcnt vmcnt(0)
	v_bfe_u32 v5, v4, 16, 1
	v_cmp_o_f32_e32 vcc_lo, v4, v4
	s_delay_alu instid0(VALU_DEP_2) | instskip(NEXT) | instid1(VALU_DEP_1)
	v_add3_u32 v5, v4, v5, 0x7fff
	v_lshrrev_b32_e32 v5, 16, v5
	s_delay_alu instid0(VALU_DEP_1)
	v_cndmask_b32_e32 v4, 0x7fc0, v5, vcc_lo
.LBB416_1058:
	s_mov_b32 s0, 0
.LBB416_1059:
	s_delay_alu instid0(SALU_CYCLE_1)
	s_and_not1_b32 vcc_lo, exec_lo, s0
	s_cbranch_vccnz .LBB416_1061
; %bb.1060:
	global_load_b32 v4, v[0:1], off
	s_waitcnt vmcnt(0)
	v_cvt_f32_f16_e32 v5, v4
	v_cmp_o_f16_e32 vcc_lo, v4, v4
	s_delay_alu instid0(VALU_DEP_2) | instskip(NEXT) | instid1(VALU_DEP_1)
	v_bfe_u32 v6, v5, 16, 1
	v_add3_u32 v5, v5, v6, 0x7fff
	s_delay_alu instid0(VALU_DEP_1) | instskip(NEXT) | instid1(VALU_DEP_1)
	v_lshrrev_b32_e32 v5, 16, v5
	v_cndmask_b32_e32 v4, 0x7fc0, v5, vcc_lo
.LBB416_1061:
	s_cbranch_execnz .LBB416_1072
.LBB416_1062:
	v_cmp_lt_i16_e64 s0, s10, 6
	s_delay_alu instid0(VALU_DEP_1)
	s_and_b32 vcc_lo, exec_lo, s0
	s_cbranch_vccnz .LBB416_1065
; %bb.1063:
	v_cmp_gt_i16_e64 s0, s10, 6
	s_delay_alu instid0(VALU_DEP_1)
	s_and_b32 vcc_lo, exec_lo, s0
	s_cbranch_vccz .LBB416_1066
; %bb.1064:
	global_load_b64 v[4:5], v[0:1], off
	s_mov_b32 s0, 0
	s_waitcnt vmcnt(0)
	v_cvt_f32_f64_e32 v4, v[4:5]
	s_delay_alu instid0(VALU_DEP_1) | instskip(SKIP_1) | instid1(VALU_DEP_2)
	v_bfe_u32 v5, v4, 16, 1
	v_cmp_o_f32_e32 vcc_lo, v4, v4
	v_add3_u32 v5, v4, v5, 0x7fff
	s_delay_alu instid0(VALU_DEP_1) | instskip(NEXT) | instid1(VALU_DEP_1)
	v_lshrrev_b32_e32 v5, 16, v5
	v_cndmask_b32_e32 v4, 0x7fc0, v5, vcc_lo
	s_branch .LBB416_1067
.LBB416_1065:
	s_mov_b32 s0, -1
                                        ; implicit-def: $vgpr4
	s_branch .LBB416_1070
.LBB416_1066:
	s_mov_b32 s0, -1
                                        ; implicit-def: $vgpr4
.LBB416_1067:
	s_delay_alu instid0(SALU_CYCLE_1)
	s_and_not1_b32 vcc_lo, exec_lo, s0
	s_cbranch_vccnz .LBB416_1069
; %bb.1068:
	global_load_b32 v4, v[0:1], off
	s_waitcnt vmcnt(0)
	v_bfe_u32 v5, v4, 16, 1
	v_cmp_o_f32_e32 vcc_lo, v4, v4
	s_delay_alu instid0(VALU_DEP_2) | instskip(NEXT) | instid1(VALU_DEP_1)
	v_add3_u32 v5, v4, v5, 0x7fff
	v_lshrrev_b32_e32 v5, 16, v5
	s_delay_alu instid0(VALU_DEP_1)
	v_cndmask_b32_e32 v4, 0x7fc0, v5, vcc_lo
.LBB416_1069:
	s_mov_b32 s0, 0
.LBB416_1070:
	s_delay_alu instid0(SALU_CYCLE_1)
	s_and_not1_b32 vcc_lo, exec_lo, s0
	s_cbranch_vccnz .LBB416_1072
; %bb.1071:
	global_load_u16 v4, v[0:1], off
	s_waitcnt vmcnt(0)
	v_cvt_f32_f16_e32 v5, v4
	v_cmp_o_f16_e32 vcc_lo, v4, v4
	s_delay_alu instid0(VALU_DEP_2) | instskip(NEXT) | instid1(VALU_DEP_1)
	v_bfe_u32 v6, v5, 16, 1
	v_add3_u32 v5, v5, v6, 0x7fff
	s_delay_alu instid0(VALU_DEP_1) | instskip(NEXT) | instid1(VALU_DEP_1)
	v_lshrrev_b32_e32 v5, 16, v5
	v_cndmask_b32_e32 v4, 0x7fc0, v5, vcc_lo
.LBB416_1072:
	s_cbranch_execnz .LBB416_1091
.LBB416_1073:
	v_cmp_lt_i16_e64 s0, s10, 2
	s_delay_alu instid0(VALU_DEP_1)
	s_and_b32 vcc_lo, exec_lo, s0
	s_cbranch_vccnz .LBB416_1077
; %bb.1074:
	v_cmp_lt_i16_e64 s0, s10, 3
	s_delay_alu instid0(VALU_DEP_1)
	s_and_b32 vcc_lo, exec_lo, s0
	s_cbranch_vccnz .LBB416_1078
; %bb.1075:
	v_cmp_gt_i16_e64 s0, s10, 3
	s_delay_alu instid0(VALU_DEP_1)
	s_and_b32 vcc_lo, exec_lo, s0
	s_cbranch_vccz .LBB416_1079
; %bb.1076:
	global_load_b64 v[4:5], v[0:1], off
	s_mov_b32 s0, 0
	s_waitcnt vmcnt(0)
	v_xor_b32_e32 v6, v4, v5
	v_cls_i32_e32 v7, v5
	s_delay_alu instid0(VALU_DEP_2) | instskip(NEXT) | instid1(VALU_DEP_2)
	v_ashrrev_i32_e32 v6, 31, v6
	v_add_nc_u32_e32 v7, -1, v7
	s_delay_alu instid0(VALU_DEP_2) | instskip(NEXT) | instid1(VALU_DEP_1)
	v_add_nc_u32_e32 v6, 32, v6
	v_min_u32_e32 v6, v7, v6
	s_delay_alu instid0(VALU_DEP_1) | instskip(NEXT) | instid1(VALU_DEP_1)
	v_lshlrev_b64 v[4:5], v6, v[4:5]
	v_min_u32_e32 v4, 1, v4
	s_delay_alu instid0(VALU_DEP_1) | instskip(SKIP_1) | instid1(VALU_DEP_2)
	v_or_b32_e32 v4, v5, v4
	v_sub_nc_u32_e32 v5, 32, v6
	v_cvt_f32_i32_e32 v4, v4
	s_delay_alu instid0(VALU_DEP_1) | instskip(NEXT) | instid1(VALU_DEP_1)
	v_ldexp_f32 v4, v4, v5
	v_bfe_u32 v5, v4, 16, 1
	s_delay_alu instid0(VALU_DEP_1) | instskip(NEXT) | instid1(VALU_DEP_1)
	v_add3_u32 v4, v4, v5, 0x7fff
	v_lshrrev_b32_e32 v4, 16, v4
	s_branch .LBB416_1080
.LBB416_1077:
                                        ; implicit-def: $vgpr4
	s_branch .LBB416_1086
.LBB416_1078:
	s_mov_b32 s0, -1
                                        ; implicit-def: $vgpr4
	s_branch .LBB416_1083
.LBB416_1079:
	s_mov_b32 s0, -1
                                        ; implicit-def: $vgpr4
.LBB416_1080:
	s_delay_alu instid0(SALU_CYCLE_1)
	s_and_not1_b32 vcc_lo, exec_lo, s0
	s_cbranch_vccnz .LBB416_1082
; %bb.1081:
	global_load_b32 v4, v[0:1], off
	s_waitcnt vmcnt(0)
	v_cvt_f32_i32_e32 v4, v4
	s_delay_alu instid0(VALU_DEP_1) | instskip(NEXT) | instid1(VALU_DEP_1)
	v_bfe_u32 v5, v4, 16, 1
	v_add3_u32 v4, v4, v5, 0x7fff
	s_delay_alu instid0(VALU_DEP_1)
	v_lshrrev_b32_e32 v4, 16, v4
.LBB416_1082:
	s_mov_b32 s0, 0
.LBB416_1083:
	s_delay_alu instid0(SALU_CYCLE_1)
	s_and_not1_b32 vcc_lo, exec_lo, s0
	s_cbranch_vccnz .LBB416_1085
; %bb.1084:
	global_load_i16 v4, v[0:1], off
	s_waitcnt vmcnt(0)
	v_cvt_f32_i32_e32 v4, v4
	s_delay_alu instid0(VALU_DEP_1) | instskip(NEXT) | instid1(VALU_DEP_1)
	v_bfe_u32 v5, v4, 16, 1
	v_add3_u32 v4, v4, v5, 0x7fff
	s_delay_alu instid0(VALU_DEP_1)
	v_lshrrev_b32_e32 v4, 16, v4
.LBB416_1085:
	s_cbranch_execnz .LBB416_1091
.LBB416_1086:
	v_cmp_gt_i16_e64 s0, s10, 0
	s_delay_alu instid0(VALU_DEP_1)
	s_and_b32 vcc_lo, exec_lo, s0
	s_mov_b32 s0, 0
	s_cbranch_vccz .LBB416_1088
; %bb.1087:
	global_load_i8 v4, v[0:1], off
	s_waitcnt vmcnt(0)
	v_cvt_f32_i32_e32 v4, v4
	s_delay_alu instid0(VALU_DEP_1) | instskip(NEXT) | instid1(VALU_DEP_1)
	v_bfe_u32 v5, v4, 16, 1
	v_add3_u32 v4, v4, v5, 0x7fff
	s_delay_alu instid0(VALU_DEP_1)
	v_lshrrev_b32_e32 v4, 16, v4
	s_branch .LBB416_1089
.LBB416_1088:
	s_mov_b32 s0, -1
                                        ; implicit-def: $vgpr4
.LBB416_1089:
	s_delay_alu instid0(SALU_CYCLE_1)
	s_and_not1_b32 vcc_lo, exec_lo, s0
	s_cbranch_vccnz .LBB416_1091
; %bb.1090:
	global_load_u8 v0, v[0:1], off
	s_waitcnt vmcnt(0)
	v_cvt_f32_ubyte0_e32 v0, v0
	s_delay_alu instid0(VALU_DEP_1) | instskip(NEXT) | instid1(VALU_DEP_1)
	v_bfe_u32 v1, v0, 16, 1
	v_add3_u32 v0, v0, v1, 0x7fff
	s_delay_alu instid0(VALU_DEP_1)
	v_lshrrev_b32_e32 v4, 16, v0
.LBB416_1091:
	s_branch .LBB416_1160
.LBB416_1092:
	s_trap 2
	s_sendmsg_rtn_b32 s0, sendmsg(MSG_RTN_GET_DOORBELL)
	s_mov_b32 ttmp2, m0
	s_waitcnt lgkmcnt(0)
	s_and_b32 s0, s0, 0x3ff
	s_delay_alu instid0(SALU_CYCLE_1) | instskip(NEXT) | instid1(SALU_CYCLE_1)
	s_bitset1_b32 s0, 10
	s_mov_b32 m0, s0
	s_sendmsg sendmsg(MSG_INTERRUPT)
	s_mov_b32 m0, ttmp2
.LBB416_1093:                           ; =>This Inner Loop Header: Depth=1
	s_sethalt 5
	s_branch .LBB416_1093
.LBB416_1094:
	s_mov_b32 s0, -1
	s_mov_b32 s14, 0
.LBB416_1095:
                                        ; implicit-def: $vgpr4
.LBB416_1096:
	s_and_b32 vcc_lo, exec_lo, s11
	s_cbranch_vccz .LBB416_1099
; %bb.1097:
	v_cmp_eq_u16_e64 s0, s10, 44
	s_delay_alu instid0(VALU_DEP_1)
	s_and_b32 vcc_lo, exec_lo, s0
	s_cbranch_vccz .LBB416_1100
; %bb.1098:
	global_load_u8 v4, v[0:1], off
	s_mov_b32 s0, 0
	s_mov_b32 s14, -1
	s_waitcnt vmcnt(0)
	v_lshlrev_b32_e32 v5, 23, v4
	v_cmp_ne_u32_e32 vcc_lo, 0xff, v4
	s_delay_alu instid0(VALU_DEP_2) | instskip(SKIP_1) | instid1(VALU_DEP_2)
	v_cndmask_b32_e32 v5, 0x7f800001, v5, vcc_lo
	v_cmp_ne_u32_e32 vcc_lo, 0, v4
	v_cndmask_b32_e32 v4, 0x400000, v5, vcc_lo
	s_delay_alu instid0(VALU_DEP_1) | instskip(SKIP_1) | instid1(VALU_DEP_2)
	v_add_nc_u32_e32 v5, 0x7fff, v4
	v_cmp_o_f32_e32 vcc_lo, v4, v4
	v_lshrrev_b32_e32 v5, 16, v5
	s_delay_alu instid0(VALU_DEP_1)
	v_cndmask_b32_e32 v4, 0x7fc0, v5, vcc_lo
.LBB416_1099:
	s_branch .LBB416_1104
.LBB416_1100:
	s_mov_b32 s0, -1
                                        ; implicit-def: $vgpr4
	s_branch .LBB416_1104
.LBB416_1101:
	v_cmp_eq_u16_e64 s0, s10, 29
	s_delay_alu instid0(VALU_DEP_1)
	s_and_b32 vcc_lo, exec_lo, s0
	s_cbranch_vccz .LBB416_1103
; %bb.1102:
	global_load_b64 v[4:5], v[0:1], off
	s_mov_b32 s0, 0
	s_mov_b32 s14, -1
	s_mov_b32 s11, 0
	s_waitcnt vmcnt(0)
	v_clz_i32_u32_e32 v6, v5
	s_delay_alu instid0(VALU_DEP_1) | instskip(NEXT) | instid1(VALU_DEP_1)
	v_min_u32_e32 v6, 32, v6
	v_lshlrev_b64 v[4:5], v6, v[4:5]
	s_delay_alu instid0(VALU_DEP_1) | instskip(NEXT) | instid1(VALU_DEP_1)
	v_min_u32_e32 v4, 1, v4
	v_or_b32_e32 v4, v5, v4
	v_sub_nc_u32_e32 v5, 32, v6
	s_delay_alu instid0(VALU_DEP_2) | instskip(NEXT) | instid1(VALU_DEP_1)
	v_cvt_f32_u32_e32 v4, v4
	v_ldexp_f32 v4, v4, v5
	s_delay_alu instid0(VALU_DEP_1) | instskip(NEXT) | instid1(VALU_DEP_1)
	v_bfe_u32 v5, v4, 16, 1
	v_add3_u32 v4, v4, v5, 0x7fff
	s_delay_alu instid0(VALU_DEP_1)
	v_lshrrev_b32_e32 v4, 16, v4
	s_branch .LBB416_1105
.LBB416_1103:
	s_mov_b32 s0, -1
                                        ; implicit-def: $vgpr4
.LBB416_1104:
	s_mov_b32 s11, 0
.LBB416_1105:
	s_delay_alu instid0(SALU_CYCLE_1)
	s_and_b32 vcc_lo, exec_lo, s11
	s_cbranch_vccz .LBB416_1123
; %bb.1106:
	v_cmp_lt_i16_e64 s11, s10, 27
	s_delay_alu instid0(VALU_DEP_1)
	s_and_b32 vcc_lo, exec_lo, s11
	s_cbranch_vccnz .LBB416_1109
; %bb.1107:
	v_cmp_gt_i16_e64 s11, s10, 27
	s_delay_alu instid0(VALU_DEP_1)
	s_and_b32 vcc_lo, exec_lo, s11
	s_cbranch_vccz .LBB416_1110
; %bb.1108:
	global_load_b32 v4, v[0:1], off
	s_mov_b32 s11, 0
	s_waitcnt vmcnt(0)
	v_cvt_f32_u32_e32 v4, v4
	s_delay_alu instid0(VALU_DEP_1) | instskip(NEXT) | instid1(VALU_DEP_1)
	v_bfe_u32 v5, v4, 16, 1
	v_add3_u32 v4, v4, v5, 0x7fff
	s_delay_alu instid0(VALU_DEP_1)
	v_lshrrev_b32_e32 v4, 16, v4
	s_branch .LBB416_1111
.LBB416_1109:
	s_mov_b32 s11, -1
                                        ; implicit-def: $vgpr4
	s_branch .LBB416_1114
.LBB416_1110:
	s_mov_b32 s11, -1
                                        ; implicit-def: $vgpr4
.LBB416_1111:
	s_delay_alu instid0(SALU_CYCLE_1)
	s_and_not1_b32 vcc_lo, exec_lo, s11
	s_cbranch_vccnz .LBB416_1113
; %bb.1112:
	global_load_u16 v4, v[0:1], off
	s_waitcnt vmcnt(0)
	v_cvt_f32_u32_e32 v4, v4
	s_delay_alu instid0(VALU_DEP_1) | instskip(NEXT) | instid1(VALU_DEP_1)
	v_bfe_u32 v5, v4, 16, 1
	v_add3_u32 v4, v4, v5, 0x7fff
	s_delay_alu instid0(VALU_DEP_1)
	v_lshrrev_b32_e32 v4, 16, v4
.LBB416_1113:
	s_mov_b32 s11, 0
.LBB416_1114:
	s_delay_alu instid0(SALU_CYCLE_1)
	s_and_not1_b32 vcc_lo, exec_lo, s11
	s_cbranch_vccnz .LBB416_1122
; %bb.1115:
	global_load_u8 v4, v[0:1], off
	s_mov_b32 s11, 0
	s_mov_b32 s15, exec_lo
                                        ; implicit-def: $sgpr14
	s_waitcnt vmcnt(0)
	v_cmpx_lt_i16_e32 0x7f, v4
	s_xor_b32 s15, exec_lo, s15
	s_cbranch_execz .LBB416_1135
; %bb.1116:
	s_mov_b32 s11, -1
	s_mov_b32 s16, exec_lo
                                        ; implicit-def: $sgpr14
	v_cmpx_eq_u16_e32 0x80, v4
; %bb.1117:
	s_mov_b32 s14, 0x7f800001
	s_xor_b32 s11, exec_lo, -1
; %bb.1118:
	s_or_b32 exec_lo, exec_lo, s16
	s_delay_alu instid0(SALU_CYCLE_1)
	s_and_b32 s11, s11, exec_lo
	s_or_saveexec_b32 s15, s15
	v_mov_b32_e32 v5, s14
	s_xor_b32 exec_lo, exec_lo, s15
	s_cbranch_execnz .LBB416_1136
.LBB416_1119:
	s_or_b32 exec_lo, exec_lo, s15
	s_and_saveexec_b32 s14, s11
	s_cbranch_execz .LBB416_1121
.LBB416_1120:
	v_and_b32_e32 v5, 0xffff, v4
	v_lshlrev_b32_e32 v4, 24, v4
	s_delay_alu instid0(VALU_DEP_2) | instskip(NEXT) | instid1(VALU_DEP_2)
	v_and_b32_e32 v6, 7, v5
	v_and_b32_e32 v4, 0x80000000, v4
	s_delay_alu instid0(VALU_DEP_2) | instskip(NEXT) | instid1(VALU_DEP_1)
	v_clz_i32_u32_e32 v7, v6
	v_min_u32_e32 v7, 32, v7
	s_delay_alu instid0(VALU_DEP_1) | instskip(SKIP_1) | instid1(VALU_DEP_2)
	v_subrev_nc_u32_e32 v8, 28, v7
	v_sub_nc_u32_e32 v7, 29, v7
	v_lshlrev_b32_e32 v8, v8, v5
	v_bfe_u32 v5, v5, 3, 4
	s_delay_alu instid0(VALU_DEP_2) | instskip(NEXT) | instid1(VALU_DEP_2)
	v_and_b32_e32 v8, 7, v8
	v_cmp_eq_u32_e32 vcc_lo, 0, v5
	s_delay_alu instid0(VALU_DEP_2) | instskip(NEXT) | instid1(VALU_DEP_1)
	v_dual_cndmask_b32 v5, v5, v7 :: v_dual_cndmask_b32 v6, v6, v8
	v_lshl_add_u32 v5, v5, 23, 0x3b800000
	s_delay_alu instid0(VALU_DEP_2) | instskip(NEXT) | instid1(VALU_DEP_1)
	v_lshlrev_b32_e32 v6, 20, v6
	v_or3_b32 v5, v4, v5, v6
.LBB416_1121:
	s_or_b32 exec_lo, exec_lo, s14
	s_delay_alu instid0(VALU_DEP_1) | instskip(SKIP_1) | instid1(VALU_DEP_2)
	v_bfe_u32 v4, v5, 16, 1
	v_cmp_o_f32_e32 vcc_lo, v5, v5
	v_add3_u32 v4, v5, v4, 0x7fff
	s_delay_alu instid0(VALU_DEP_1) | instskip(NEXT) | instid1(VALU_DEP_1)
	v_lshrrev_b32_e32 v4, 16, v4
	v_cndmask_b32_e32 v4, 0x7fc0, v4, vcc_lo
.LBB416_1122:
	s_mov_b32 s14, -1
.LBB416_1123:
	s_branch .LBB416_1155
.LBB416_1124:
	v_cmp_gt_i16_e64 s1, s10, 22
	s_delay_alu instid0(VALU_DEP_1)
	s_and_b32 vcc_lo, exec_lo, s1
	s_cbranch_vccz .LBB416_1134
; %bb.1125:
	v_cmp_lt_i16_e64 s1, s10, 24
	s_delay_alu instid0(VALU_DEP_1)
	s_and_b32 vcc_lo, exec_lo, s1
	s_cbranch_vccnz .LBB416_1137
; %bb.1126:
	v_cmp_gt_i16_e64 s1, s10, 24
	s_delay_alu instid0(VALU_DEP_1)
	s_and_b32 vcc_lo, exec_lo, s1
	s_cbranch_vccz .LBB416_1138
; %bb.1127:
	global_load_u8 v4, v[0:1], off
	s_mov_b32 s1, 0
	s_mov_b32 s14, exec_lo
                                        ; implicit-def: $sgpr11
	s_waitcnt vmcnt(0)
	v_cmpx_lt_i16_e32 0x7f, v4
	s_xor_b32 s14, exec_lo, s14
	s_cbranch_execz .LBB416_1149
; %bb.1128:
	s_mov_b32 s1, -1
	s_mov_b32 s15, exec_lo
                                        ; implicit-def: $sgpr11
	v_cmpx_eq_u16_e32 0x80, v4
; %bb.1129:
	s_mov_b32 s11, 0x7f800001
	s_xor_b32 s1, exec_lo, -1
; %bb.1130:
	s_or_b32 exec_lo, exec_lo, s15
	s_delay_alu instid0(SALU_CYCLE_1)
	s_and_b32 s1, s1, exec_lo
	s_or_saveexec_b32 s14, s14
	v_mov_b32_e32 v5, s11
	s_xor_b32 exec_lo, exec_lo, s14
	s_cbranch_execnz .LBB416_1150
.LBB416_1131:
	s_or_b32 exec_lo, exec_lo, s14
	s_and_saveexec_b32 s11, s1
	s_cbranch_execz .LBB416_1133
.LBB416_1132:
	v_and_b32_e32 v5, 0xffff, v4
	v_lshlrev_b32_e32 v4, 24, v4
	s_delay_alu instid0(VALU_DEP_2) | instskip(NEXT) | instid1(VALU_DEP_2)
	v_and_b32_e32 v6, 3, v5
	v_and_b32_e32 v4, 0x80000000, v4
	s_delay_alu instid0(VALU_DEP_2) | instskip(NEXT) | instid1(VALU_DEP_1)
	v_clz_i32_u32_e32 v7, v6
	v_min_u32_e32 v7, 32, v7
	s_delay_alu instid0(VALU_DEP_1) | instskip(SKIP_1) | instid1(VALU_DEP_2)
	v_subrev_nc_u32_e32 v8, 29, v7
	v_sub_nc_u32_e32 v7, 30, v7
	v_lshlrev_b32_e32 v8, v8, v5
	v_bfe_u32 v5, v5, 2, 5
	s_delay_alu instid0(VALU_DEP_2) | instskip(NEXT) | instid1(VALU_DEP_2)
	v_and_b32_e32 v8, 3, v8
	v_cmp_eq_u32_e32 vcc_lo, 0, v5
	s_delay_alu instid0(VALU_DEP_2) | instskip(NEXT) | instid1(VALU_DEP_1)
	v_dual_cndmask_b32 v5, v5, v7 :: v_dual_cndmask_b32 v6, v6, v8
	v_lshl_add_u32 v5, v5, 23, 0x37800000
	s_delay_alu instid0(VALU_DEP_2) | instskip(NEXT) | instid1(VALU_DEP_1)
	v_lshlrev_b32_e32 v6, 21, v6
	v_or3_b32 v5, v4, v5, v6
.LBB416_1133:
	s_or_b32 exec_lo, exec_lo, s11
	s_delay_alu instid0(VALU_DEP_1) | instskip(SKIP_2) | instid1(VALU_DEP_2)
	v_bfe_u32 v4, v5, 16, 1
	v_cmp_o_f32_e32 vcc_lo, v5, v5
	s_mov_b32 s1, 0
	v_add3_u32 v4, v5, v4, 0x7fff
	s_delay_alu instid0(VALU_DEP_1) | instskip(NEXT) | instid1(VALU_DEP_1)
	v_lshrrev_b32_e32 v4, 16, v4
	v_cndmask_b32_e32 v4, 0x7fc0, v4, vcc_lo
	s_branch .LBB416_1139
.LBB416_1134:
                                        ; implicit-def: $vgpr4
	s_mov_b32 s1, 0
	s_branch .LBB416_1145
.LBB416_1135:
	s_or_saveexec_b32 s15, s15
	v_mov_b32_e32 v5, s14
	s_xor_b32 exec_lo, exec_lo, s15
	s_cbranch_execz .LBB416_1119
.LBB416_1136:
	v_cmp_ne_u16_e32 vcc_lo, 0, v4
	v_mov_b32_e32 v5, 0
	s_and_not1_b32 s11, s11, exec_lo
	s_and_b32 s14, vcc_lo, exec_lo
	s_delay_alu instid0(SALU_CYCLE_1)
	s_or_b32 s11, s11, s14
	s_or_b32 exec_lo, exec_lo, s15
	s_and_saveexec_b32 s14, s11
	s_cbranch_execnz .LBB416_1120
	s_branch .LBB416_1121
.LBB416_1137:
	s_mov_b32 s1, -1
                                        ; implicit-def: $vgpr4
	s_branch .LBB416_1142
.LBB416_1138:
	s_mov_b32 s1, -1
                                        ; implicit-def: $vgpr4
.LBB416_1139:
	s_delay_alu instid0(SALU_CYCLE_1)
	s_and_b32 vcc_lo, exec_lo, s1
	s_cbranch_vccz .LBB416_1141
; %bb.1140:
	global_load_u8 v4, v[0:1], off
	s_waitcnt vmcnt(0)
	v_lshlrev_b32_e32 v4, 24, v4
	s_delay_alu instid0(VALU_DEP_1) | instskip(NEXT) | instid1(VALU_DEP_1)
	v_and_b32_e32 v5, 0x7f000000, v4
	v_clz_i32_u32_e32 v6, v5
	v_add_nc_u32_e32 v8, 0x1000000, v5
	v_cmp_ne_u32_e32 vcc_lo, 0, v5
	s_delay_alu instid0(VALU_DEP_3) | instskip(NEXT) | instid1(VALU_DEP_1)
	v_min_u32_e32 v6, 32, v6
	v_sub_nc_u32_e64 v6, v6, 4 clamp
	s_delay_alu instid0(VALU_DEP_1) | instskip(SKIP_1) | instid1(VALU_DEP_2)
	v_lshlrev_b32_e32 v7, v6, v5
	v_lshlrev_b32_e32 v6, 23, v6
	v_lshrrev_b32_e32 v7, 4, v7
	s_delay_alu instid0(VALU_DEP_1) | instskip(SKIP_1) | instid1(VALU_DEP_2)
	v_sub_nc_u32_e32 v6, v7, v6
	v_ashrrev_i32_e32 v7, 8, v8
	v_add_nc_u32_e32 v6, 0x3c000000, v6
	s_delay_alu instid0(VALU_DEP_1) | instskip(NEXT) | instid1(VALU_DEP_1)
	v_and_or_b32 v6, 0x7f800000, v7, v6
	v_cndmask_b32_e32 v5, 0, v6, vcc_lo
	s_delay_alu instid0(VALU_DEP_1) | instskip(SKIP_1) | instid1(VALU_DEP_2)
	v_and_or_b32 v4, 0x80000000, v4, v5
	v_bfe_u32 v5, v5, 16, 1
	v_cmp_o_f32_e32 vcc_lo, v4, v4
	s_delay_alu instid0(VALU_DEP_2) | instskip(NEXT) | instid1(VALU_DEP_1)
	v_add3_u32 v5, v4, v5, 0x7fff
	v_lshrrev_b32_e32 v5, 16, v5
	s_delay_alu instid0(VALU_DEP_1)
	v_cndmask_b32_e32 v4, 0x7fc0, v5, vcc_lo
.LBB416_1141:
	s_mov_b32 s1, 0
.LBB416_1142:
	s_delay_alu instid0(SALU_CYCLE_1)
	s_and_not1_b32 vcc_lo, exec_lo, s1
	s_cbranch_vccnz .LBB416_1144
; %bb.1143:
	global_load_u8 v4, v[0:1], off
	s_waitcnt vmcnt(0)
	v_lshlrev_b32_e32 v5, 25, v4
	v_lshlrev_b16 v4, 8, v4
	s_delay_alu instid0(VALU_DEP_2) | instskip(NEXT) | instid1(VALU_DEP_2)
	v_lshrrev_b32_e32 v6, 4, v5
	v_and_or_b32 v7, 0x7f00, v4, 0.5
	v_bfe_i32 v4, v4, 0, 16
	s_delay_alu instid0(VALU_DEP_3) | instskip(NEXT) | instid1(VALU_DEP_1)
	v_or_b32_e32 v6, 0x70000000, v6
	v_dual_add_f32 v7, -0.5, v7 :: v_dual_mul_f32 v6, 0x7800000, v6
	v_cmp_gt_u32_e32 vcc_lo, 0x8000000, v5
	s_delay_alu instid0(VALU_DEP_2) | instskip(NEXT) | instid1(VALU_DEP_1)
	v_cndmask_b32_e32 v5, v6, v7, vcc_lo
	v_and_or_b32 v4, 0x80000000, v4, v5
	v_bfe_u32 v5, v5, 16, 1
	s_delay_alu instid0(VALU_DEP_2) | instskip(NEXT) | instid1(VALU_DEP_2)
	v_cmp_o_f32_e32 vcc_lo, v4, v4
	v_add3_u32 v5, v4, v5, 0x7fff
	s_delay_alu instid0(VALU_DEP_1) | instskip(NEXT) | instid1(VALU_DEP_1)
	v_lshrrev_b32_e32 v5, 16, v5
	v_cndmask_b32_e32 v4, 0x7fc0, v5, vcc_lo
.LBB416_1144:
	s_mov_b32 s14, -1
	s_mov_b32 s1, 0
	s_cbranch_execnz .LBB416_1155
.LBB416_1145:
	v_cmp_gt_i16_e64 s1, s10, 14
	s_delay_alu instid0(VALU_DEP_1)
	s_and_b32 vcc_lo, exec_lo, s1
	s_cbranch_vccz .LBB416_1148
; %bb.1146:
	v_cmp_eq_u16_e64 s0, s10, 15
	s_delay_alu instid0(VALU_DEP_1)
	s_and_b32 vcc_lo, exec_lo, s0
	s_cbranch_vccz .LBB416_1151
; %bb.1147:
	global_load_u16 v4, v[0:1], off
	s_mov_b32 s0, 0
	s_mov_b32 s14, -1
	s_branch .LBB416_1152
.LBB416_1148:
	s_mov_b32 s1, -1
                                        ; implicit-def: $vgpr4
	s_branch .LBB416_1153
.LBB416_1149:
	s_or_saveexec_b32 s14, s14
	v_mov_b32_e32 v5, s11
	s_xor_b32 exec_lo, exec_lo, s14
	s_cbranch_execz .LBB416_1131
.LBB416_1150:
	v_cmp_ne_u16_e32 vcc_lo, 0, v4
	v_mov_b32_e32 v5, 0
	s_and_not1_b32 s1, s1, exec_lo
	s_and_b32 s11, vcc_lo, exec_lo
	s_delay_alu instid0(SALU_CYCLE_1)
	s_or_b32 s1, s1, s11
	s_or_b32 exec_lo, exec_lo, s14
	s_and_saveexec_b32 s11, s1
	s_cbranch_execnz .LBB416_1132
	s_branch .LBB416_1133
.LBB416_1151:
	s_mov_b32 s0, -1
                                        ; implicit-def: $vgpr4
.LBB416_1152:
	s_mov_b32 s1, 0
.LBB416_1153:
	s_delay_alu instid0(SALU_CYCLE_1)
	s_and_b32 vcc_lo, exec_lo, s1
	s_mov_b32 s1, 0
	s_cbranch_vccz .LBB416_1155
; %bb.1154:
	v_cmp_ne_u16_e64 s0, s10, 11
	s_mov_b32 s1, -1
                                        ; implicit-def: $vgpr4
.LBB416_1155:
	s_delay_alu instid0(VALU_DEP_1)
	s_and_b32 vcc_lo, exec_lo, s0
	s_mov_b32 s11, s13
	s_cbranch_vccnz .LBB416_1179
; %bb.1156:
	s_and_not1_b32 vcc_lo, exec_lo, s1
	s_cbranch_vccnz .LBB416_1158
.LBB416_1157:
	global_load_u8 v4, v[0:1], off
	s_mov_b32 s14, -1
	s_waitcnt vmcnt(0)
	v_cmp_ne_u16_e32 vcc_lo, 0, v4
	v_cndmask_b32_e64 v4, 0, 1.0, vcc_lo
	s_delay_alu instid0(VALU_DEP_1)
	v_lshrrev_b32_e32 v4, 16, v4
.LBB416_1158:
.LBB416_1159:
	s_and_not1_b32 vcc_lo, exec_lo, s14
	s_cbranch_vccnz .LBB416_1995
.LBB416_1160:
	s_lshl_b32 s0, s3, 7
	v_cmp_lt_i16_e64 s1, s10, 11
	v_add_nc_u32_e32 v3, s0, v3
	s_delay_alu instid0(VALU_DEP_1) | instskip(SKIP_1) | instid1(VALU_DEP_2)
	v_ashrrev_i32_e32 v1, 31, v3
	v_add_co_u32 v0, vcc_lo, s6, v3
	v_add_co_ci_u32_e32 v1, vcc_lo, s7, v1, vcc_lo
	s_and_b32 vcc_lo, exec_lo, s1
	s_cbranch_vccnz .LBB416_1167
; %bb.1161:
	v_cmp_gt_i16_e64 s1, s10, 25
	s_mov_b32 s3, 0
	s_delay_alu instid0(VALU_DEP_1)
	s_and_b32 vcc_lo, exec_lo, s1
	s_cbranch_vccz .LBB416_1173
; %bb.1162:
	v_cmp_gt_i16_e64 s1, s10, 28
	s_delay_alu instid0(VALU_DEP_1)
	s_and_b32 vcc_lo, exec_lo, s1
	s_cbranch_vccz .LBB416_1175
; %bb.1163:
	v_cmp_gt_i16_e64 s1, s10, 43
	;; [unrolled: 5-line block ×3, first 2 shown]
	s_delay_alu instid0(VALU_DEP_1)
	s_and_b32 vcc_lo, exec_lo, s1
	s_cbranch_vccz .LBB416_1183
; %bb.1165:
	v_cmp_eq_u16_e64 s1, s10, 46
	s_mov_b32 s15, 0
	s_delay_alu instid0(VALU_DEP_1)
	s_and_b32 vcc_lo, exec_lo, s1
	s_cbranch_vccz .LBB416_1227
; %bb.1166:
	global_load_b32 v5, v[0:1], off
	s_mov_b32 s1, 0
	s_mov_b32 s14, -1
	s_branch .LBB416_1229
.LBB416_1167:
	s_mov_b32 s14, 0
                                        ; implicit-def: $vgpr5
	s_cbranch_execz .LBB416_1294
; %bb.1168:
	v_cmp_lt_i16_e64 s1, s10, 5
	s_delay_alu instid0(VALU_DEP_1)
	s_and_b32 vcc_lo, exec_lo, s1
	s_cbranch_vccnz .LBB416_1174
; %bb.1169:
	v_cmp_lt_i16_e64 s1, s10, 8
	s_delay_alu instid0(VALU_DEP_1)
	s_and_b32 vcc_lo, exec_lo, s1
	s_cbranch_vccnz .LBB416_1176
	;; [unrolled: 5-line block ×3, first 2 shown]
; %bb.1171:
	v_cmp_gt_i16_e64 s1, s10, 9
	s_delay_alu instid0(VALU_DEP_1)
	s_and_b32 vcc_lo, exec_lo, s1
	s_cbranch_vccz .LBB416_1184
; %bb.1172:
	global_load_b64 v[5:6], v[0:1], off
	s_mov_b32 s1, 0
	s_waitcnt vmcnt(0)
	v_cvt_f32_f64_e32 v5, v[5:6]
	s_delay_alu instid0(VALU_DEP_1) | instskip(SKIP_1) | instid1(VALU_DEP_2)
	v_bfe_u32 v6, v5, 16, 1
	v_cmp_o_f32_e32 vcc_lo, v5, v5
	v_add3_u32 v6, v5, v6, 0x7fff
	s_delay_alu instid0(VALU_DEP_1) | instskip(NEXT) | instid1(VALU_DEP_1)
	v_lshrrev_b32_e32 v6, 16, v6
	v_cndmask_b32_e32 v5, 0x7fc0, v6, vcc_lo
	s_branch .LBB416_1185
.LBB416_1173:
	s_mov_b32 s14, 0
	s_mov_b32 s1, 0
                                        ; implicit-def: $vgpr5
	s_cbranch_execnz .LBB416_1258
	s_branch .LBB416_1290
.LBB416_1174:
                                        ; implicit-def: $vgpr5
	s_branch .LBB416_1203
.LBB416_1175:
	s_mov_b32 s15, -1
	s_mov_b32 s14, 0
	s_mov_b32 s1, 0
                                        ; implicit-def: $vgpr5
	s_branch .LBB416_1239
.LBB416_1176:
	s_mov_b32 s1, -1
                                        ; implicit-def: $vgpr5
	s_branch .LBB416_1191
.LBB416_1177:
	s_mov_b32 s15, -1
	s_mov_b32 s14, 0
	s_mov_b32 s1, 0
                                        ; implicit-def: $vgpr5
	s_branch .LBB416_1234
.LBB416_1178:
	s_mov_b32 s1, -1
                                        ; implicit-def: $vgpr5
	s_branch .LBB416_1188
.LBB416_1179:
	s_cbranch_execnz .LBB416_1223
; %bb.1180:
	s_or_b32 s11, s13, exec_lo
                                        ; implicit-def: $vgpr4
	s_cbranch_execz .LBB416_1157
	s_branch .LBB416_1158
.LBB416_1181:
	s_or_saveexec_b32 s17, s17
                                        ; implicit-def: $sgpr18
	s_delay_alu instid0(SALU_CYCLE_1)
	s_xor_b32 exec_lo, exec_lo, s17
	s_cbranch_execz .LBB416_943
.LBB416_1182:
	v_add_f32_e64 v5, 0x46000000, |v6|
	s_and_not1_b32 s13, s13, exec_lo
	s_mov_b32 s18, 0
	s_delay_alu instid0(VALU_DEP_1) | instskip(NEXT) | instid1(VALU_DEP_1)
	v_and_b32_e32 v5, 0xff, v5
	v_cmp_ne_u32_e32 vcc_lo, 0, v5
	s_and_b32 s19, vcc_lo, exec_lo
	s_delay_alu instid0(SALU_CYCLE_1)
	s_or_b32 s13, s13, s19
	s_or_b32 exec_lo, exec_lo, s17
	v_mov_b32_e32 v7, s18
	s_and_saveexec_b32 s17, s13
	s_cbranch_execnz .LBB416_944
	s_branch .LBB416_945
.LBB416_1183:
	s_mov_b32 s15, -1
	s_mov_b32 s14, 0
	s_mov_b32 s1, 0
	s_branch .LBB416_1228
.LBB416_1184:
	s_mov_b32 s1, -1
                                        ; implicit-def: $vgpr5
.LBB416_1185:
	s_delay_alu instid0(SALU_CYCLE_1)
	s_and_not1_b32 vcc_lo, exec_lo, s1
	s_cbranch_vccnz .LBB416_1187
; %bb.1186:
	global_load_b32 v5, v[0:1], off
	s_waitcnt vmcnt(0)
	v_bfe_u32 v6, v5, 16, 1
	v_cmp_o_f32_e32 vcc_lo, v5, v5
	s_delay_alu instid0(VALU_DEP_2) | instskip(NEXT) | instid1(VALU_DEP_1)
	v_add3_u32 v6, v5, v6, 0x7fff
	v_lshrrev_b32_e32 v6, 16, v6
	s_delay_alu instid0(VALU_DEP_1)
	v_cndmask_b32_e32 v5, 0x7fc0, v6, vcc_lo
.LBB416_1187:
	s_mov_b32 s1, 0
.LBB416_1188:
	s_delay_alu instid0(SALU_CYCLE_1)
	s_and_not1_b32 vcc_lo, exec_lo, s1
	s_cbranch_vccnz .LBB416_1190
; %bb.1189:
	global_load_b32 v5, v[0:1], off
	s_waitcnt vmcnt(0)
	v_cvt_f32_f16_e32 v6, v5
	v_cmp_o_f16_e32 vcc_lo, v5, v5
	s_delay_alu instid0(VALU_DEP_2) | instskip(NEXT) | instid1(VALU_DEP_1)
	v_bfe_u32 v7, v6, 16, 1
	v_add3_u32 v6, v6, v7, 0x7fff
	s_delay_alu instid0(VALU_DEP_1) | instskip(NEXT) | instid1(VALU_DEP_1)
	v_lshrrev_b32_e32 v6, 16, v6
	v_cndmask_b32_e32 v5, 0x7fc0, v6, vcc_lo
.LBB416_1190:
	s_mov_b32 s1, 0
.LBB416_1191:
	s_delay_alu instid0(SALU_CYCLE_1)
	s_and_not1_b32 vcc_lo, exec_lo, s1
	s_cbranch_vccnz .LBB416_1202
; %bb.1192:
	v_cmp_lt_i16_e64 s1, s10, 6
	s_delay_alu instid0(VALU_DEP_1)
	s_and_b32 vcc_lo, exec_lo, s1
	s_cbranch_vccnz .LBB416_1195
; %bb.1193:
	v_cmp_gt_i16_e64 s1, s10, 6
	s_delay_alu instid0(VALU_DEP_1)
	s_and_b32 vcc_lo, exec_lo, s1
	s_cbranch_vccz .LBB416_1196
; %bb.1194:
	global_load_b64 v[5:6], v[0:1], off
	s_mov_b32 s1, 0
	s_waitcnt vmcnt(0)
	v_cvt_f32_f64_e32 v5, v[5:6]
	s_delay_alu instid0(VALU_DEP_1) | instskip(SKIP_1) | instid1(VALU_DEP_2)
	v_bfe_u32 v6, v5, 16, 1
	v_cmp_o_f32_e32 vcc_lo, v5, v5
	v_add3_u32 v6, v5, v6, 0x7fff
	s_delay_alu instid0(VALU_DEP_1) | instskip(NEXT) | instid1(VALU_DEP_1)
	v_lshrrev_b32_e32 v6, 16, v6
	v_cndmask_b32_e32 v5, 0x7fc0, v6, vcc_lo
	s_branch .LBB416_1197
.LBB416_1195:
	s_mov_b32 s1, -1
                                        ; implicit-def: $vgpr5
	s_branch .LBB416_1200
.LBB416_1196:
	s_mov_b32 s1, -1
                                        ; implicit-def: $vgpr5
.LBB416_1197:
	s_delay_alu instid0(SALU_CYCLE_1)
	s_and_not1_b32 vcc_lo, exec_lo, s1
	s_cbranch_vccnz .LBB416_1199
; %bb.1198:
	global_load_b32 v5, v[0:1], off
	s_waitcnt vmcnt(0)
	v_bfe_u32 v6, v5, 16, 1
	v_cmp_o_f32_e32 vcc_lo, v5, v5
	s_delay_alu instid0(VALU_DEP_2) | instskip(NEXT) | instid1(VALU_DEP_1)
	v_add3_u32 v6, v5, v6, 0x7fff
	v_lshrrev_b32_e32 v6, 16, v6
	s_delay_alu instid0(VALU_DEP_1)
	v_cndmask_b32_e32 v5, 0x7fc0, v6, vcc_lo
.LBB416_1199:
	s_mov_b32 s1, 0
.LBB416_1200:
	s_delay_alu instid0(SALU_CYCLE_1)
	s_and_not1_b32 vcc_lo, exec_lo, s1
	s_cbranch_vccnz .LBB416_1202
; %bb.1201:
	global_load_u16 v5, v[0:1], off
	s_waitcnt vmcnt(0)
	v_cvt_f32_f16_e32 v6, v5
	v_cmp_o_f16_e32 vcc_lo, v5, v5
	s_delay_alu instid0(VALU_DEP_2) | instskip(NEXT) | instid1(VALU_DEP_1)
	v_bfe_u32 v7, v6, 16, 1
	v_add3_u32 v6, v6, v7, 0x7fff
	s_delay_alu instid0(VALU_DEP_1) | instskip(NEXT) | instid1(VALU_DEP_1)
	v_lshrrev_b32_e32 v6, 16, v6
	v_cndmask_b32_e32 v5, 0x7fc0, v6, vcc_lo
.LBB416_1202:
	s_cbranch_execnz .LBB416_1222
.LBB416_1203:
	v_cmp_lt_i16_e64 s1, s10, 2
	s_delay_alu instid0(VALU_DEP_1)
	s_and_b32 vcc_lo, exec_lo, s1
	s_cbranch_vccnz .LBB416_1207
; %bb.1204:
	v_cmp_lt_i16_e64 s1, s10, 3
	s_delay_alu instid0(VALU_DEP_1)
	s_and_b32 vcc_lo, exec_lo, s1
	s_cbranch_vccnz .LBB416_1208
; %bb.1205:
	v_cmp_gt_i16_e64 s1, s10, 3
	s_delay_alu instid0(VALU_DEP_1)
	s_and_b32 vcc_lo, exec_lo, s1
	s_cbranch_vccz .LBB416_1209
; %bb.1206:
	global_load_b64 v[5:6], v[0:1], off
	s_mov_b32 s1, 0
	s_waitcnt vmcnt(0)
	v_xor_b32_e32 v7, v5, v6
	v_cls_i32_e32 v8, v6
	s_delay_alu instid0(VALU_DEP_2) | instskip(NEXT) | instid1(VALU_DEP_2)
	v_ashrrev_i32_e32 v7, 31, v7
	v_add_nc_u32_e32 v8, -1, v8
	s_delay_alu instid0(VALU_DEP_2) | instskip(NEXT) | instid1(VALU_DEP_1)
	v_add_nc_u32_e32 v7, 32, v7
	v_min_u32_e32 v7, v8, v7
	s_delay_alu instid0(VALU_DEP_1) | instskip(NEXT) | instid1(VALU_DEP_1)
	v_lshlrev_b64 v[5:6], v7, v[5:6]
	v_min_u32_e32 v5, 1, v5
	s_delay_alu instid0(VALU_DEP_1) | instskip(SKIP_1) | instid1(VALU_DEP_2)
	v_or_b32_e32 v5, v6, v5
	v_sub_nc_u32_e32 v6, 32, v7
	v_cvt_f32_i32_e32 v5, v5
	s_delay_alu instid0(VALU_DEP_1) | instskip(NEXT) | instid1(VALU_DEP_1)
	v_ldexp_f32 v5, v5, v6
	v_bfe_u32 v6, v5, 16, 1
	s_delay_alu instid0(VALU_DEP_1) | instskip(NEXT) | instid1(VALU_DEP_1)
	v_add3_u32 v5, v5, v6, 0x7fff
	v_lshrrev_b32_e32 v5, 16, v5
	s_branch .LBB416_1210
.LBB416_1207:
	s_mov_b32 s1, -1
                                        ; implicit-def: $vgpr5
	s_branch .LBB416_1216
.LBB416_1208:
	s_mov_b32 s1, -1
                                        ; implicit-def: $vgpr5
	s_branch .LBB416_1213
.LBB416_1209:
	s_mov_b32 s1, -1
                                        ; implicit-def: $vgpr5
.LBB416_1210:
	s_delay_alu instid0(SALU_CYCLE_1)
	s_and_not1_b32 vcc_lo, exec_lo, s1
	s_cbranch_vccnz .LBB416_1212
; %bb.1211:
	global_load_b32 v5, v[0:1], off
	s_waitcnt vmcnt(0)
	v_cvt_f32_i32_e32 v5, v5
	s_delay_alu instid0(VALU_DEP_1) | instskip(NEXT) | instid1(VALU_DEP_1)
	v_bfe_u32 v6, v5, 16, 1
	v_add3_u32 v5, v5, v6, 0x7fff
	s_delay_alu instid0(VALU_DEP_1)
	v_lshrrev_b32_e32 v5, 16, v5
.LBB416_1212:
	s_mov_b32 s1, 0
.LBB416_1213:
	s_delay_alu instid0(SALU_CYCLE_1)
	s_and_not1_b32 vcc_lo, exec_lo, s1
	s_cbranch_vccnz .LBB416_1215
; %bb.1214:
	global_load_i16 v5, v[0:1], off
	s_waitcnt vmcnt(0)
	v_cvt_f32_i32_e32 v5, v5
	s_delay_alu instid0(VALU_DEP_1) | instskip(NEXT) | instid1(VALU_DEP_1)
	v_bfe_u32 v6, v5, 16, 1
	v_add3_u32 v5, v5, v6, 0x7fff
	s_delay_alu instid0(VALU_DEP_1)
	v_lshrrev_b32_e32 v5, 16, v5
.LBB416_1215:
	s_mov_b32 s1, 0
.LBB416_1216:
	s_delay_alu instid0(SALU_CYCLE_1)
	s_and_not1_b32 vcc_lo, exec_lo, s1
	s_cbranch_vccnz .LBB416_1222
; %bb.1217:
	v_cmp_gt_i16_e64 s1, s10, 0
	s_delay_alu instid0(VALU_DEP_1)
	s_and_b32 vcc_lo, exec_lo, s1
	s_mov_b32 s1, 0
	s_cbranch_vccz .LBB416_1219
; %bb.1218:
	global_load_i8 v5, v[0:1], off
	s_waitcnt vmcnt(0)
	v_cvt_f32_i32_e32 v5, v5
	s_delay_alu instid0(VALU_DEP_1) | instskip(NEXT) | instid1(VALU_DEP_1)
	v_bfe_u32 v6, v5, 16, 1
	v_add3_u32 v5, v5, v6, 0x7fff
	s_delay_alu instid0(VALU_DEP_1)
	v_lshrrev_b32_e32 v5, 16, v5
	s_branch .LBB416_1220
.LBB416_1219:
	s_mov_b32 s1, -1
                                        ; implicit-def: $vgpr5
.LBB416_1220:
	s_delay_alu instid0(SALU_CYCLE_1)
	s_and_not1_b32 vcc_lo, exec_lo, s1
	s_cbranch_vccnz .LBB416_1222
; %bb.1221:
	global_load_u8 v0, v[0:1], off
	s_waitcnt vmcnt(0)
	v_cvt_f32_ubyte0_e32 v0, v0
	s_delay_alu instid0(VALU_DEP_1) | instskip(NEXT) | instid1(VALU_DEP_1)
	v_bfe_u32 v1, v0, 16, 1
	v_add3_u32 v0, v0, v1, 0x7fff
	s_delay_alu instid0(VALU_DEP_1)
	v_lshrrev_b32_e32 v5, 16, v0
.LBB416_1222:
	s_branch .LBB416_1295
.LBB416_1223:
	s_trap 2
	s_sendmsg_rtn_b32 s0, sendmsg(MSG_RTN_GET_DOORBELL)
	s_mov_b32 ttmp2, m0
	s_waitcnt lgkmcnt(0)
	s_and_b32 s0, s0, 0x3ff
	s_delay_alu instid0(SALU_CYCLE_1) | instskip(NEXT) | instid1(SALU_CYCLE_1)
	s_bitset1_b32 s0, 10
	s_mov_b32 m0, s0
	s_sendmsg sendmsg(MSG_INTERRUPT)
	s_mov_b32 m0, ttmp2
.LBB416_1224:                           ; =>This Inner Loop Header: Depth=1
	s_sethalt 5
	s_branch .LBB416_1224
.LBB416_1225:
	s_or_saveexec_b32 s18, s18
                                        ; implicit-def: $sgpr19
	s_delay_alu instid0(SALU_CYCLE_1)
	s_xor_b32 exec_lo, exec_lo, s18
	s_cbranch_execz .LBB416_955
.LBB416_1226:
	v_add_f32_e64 v5, 0x42800000, |v6|
	s_and_not1_b32 s17, s17, exec_lo
	s_mov_b32 s19, 0
	s_delay_alu instid0(VALU_DEP_1) | instskip(NEXT) | instid1(VALU_DEP_1)
	v_and_b32_e32 v5, 0xff, v5
	v_cmp_ne_u32_e32 vcc_lo, 0, v5
	s_and_b32 s20, vcc_lo, exec_lo
	s_delay_alu instid0(SALU_CYCLE_1)
	s_or_b32 s17, s17, s20
	s_or_b32 exec_lo, exec_lo, s18
	v_mov_b32_e32 v7, s19
	s_and_saveexec_b32 s18, s17
	s_cbranch_execnz .LBB416_956
	s_branch .LBB416_957
.LBB416_1227:
	s_mov_b32 s1, -1
	s_mov_b32 s14, 0
.LBB416_1228:
                                        ; implicit-def: $vgpr5
.LBB416_1229:
	s_and_b32 vcc_lo, exec_lo, s15
	s_cbranch_vccz .LBB416_1233
; %bb.1230:
	v_cmp_eq_u16_e64 s1, s10, 44
	s_delay_alu instid0(VALU_DEP_1)
	s_and_b32 vcc_lo, exec_lo, s1
	s_cbranch_vccz .LBB416_1232
; %bb.1231:
	global_load_u8 v5, v[0:1], off
	s_mov_b32 s1, 0
	s_mov_b32 s14, -1
	s_waitcnt vmcnt(0)
	v_lshlrev_b32_e32 v6, 23, v5
	v_cmp_ne_u32_e32 vcc_lo, 0xff, v5
	s_delay_alu instid0(VALU_DEP_2) | instskip(SKIP_1) | instid1(VALU_DEP_2)
	v_cndmask_b32_e32 v6, 0x7f800001, v6, vcc_lo
	v_cmp_ne_u32_e32 vcc_lo, 0, v5
	v_cndmask_b32_e32 v5, 0x400000, v6, vcc_lo
	s_delay_alu instid0(VALU_DEP_1) | instskip(SKIP_1) | instid1(VALU_DEP_2)
	v_add_nc_u32_e32 v6, 0x7fff, v5
	v_cmp_o_f32_e32 vcc_lo, v5, v5
	v_lshrrev_b32_e32 v6, 16, v6
	s_delay_alu instid0(VALU_DEP_1)
	v_cndmask_b32_e32 v5, 0x7fc0, v6, vcc_lo
	s_branch .LBB416_1233
.LBB416_1232:
	s_mov_b32 s1, -1
                                        ; implicit-def: $vgpr5
.LBB416_1233:
	s_mov_b32 s15, 0
.LBB416_1234:
	s_delay_alu instid0(SALU_CYCLE_1)
	s_and_b32 vcc_lo, exec_lo, s15
	s_cbranch_vccz .LBB416_1238
; %bb.1235:
	v_cmp_eq_u16_e64 s1, s10, 29
	s_delay_alu instid0(VALU_DEP_1)
	s_and_b32 vcc_lo, exec_lo, s1
	s_cbranch_vccz .LBB416_1237
; %bb.1236:
	global_load_b64 v[5:6], v[0:1], off
	s_mov_b32 s1, 0
	s_mov_b32 s14, -1
	s_mov_b32 s15, 0
	s_waitcnt vmcnt(0)
	v_clz_i32_u32_e32 v7, v6
	s_delay_alu instid0(VALU_DEP_1) | instskip(NEXT) | instid1(VALU_DEP_1)
	v_min_u32_e32 v7, 32, v7
	v_lshlrev_b64 v[5:6], v7, v[5:6]
	s_delay_alu instid0(VALU_DEP_1) | instskip(NEXT) | instid1(VALU_DEP_1)
	v_min_u32_e32 v5, 1, v5
	v_or_b32_e32 v5, v6, v5
	v_sub_nc_u32_e32 v6, 32, v7
	s_delay_alu instid0(VALU_DEP_2) | instskip(NEXT) | instid1(VALU_DEP_1)
	v_cvt_f32_u32_e32 v5, v5
	v_ldexp_f32 v5, v5, v6
	s_delay_alu instid0(VALU_DEP_1) | instskip(NEXT) | instid1(VALU_DEP_1)
	v_bfe_u32 v6, v5, 16, 1
	v_add3_u32 v5, v5, v6, 0x7fff
	s_delay_alu instid0(VALU_DEP_1)
	v_lshrrev_b32_e32 v5, 16, v5
	s_branch .LBB416_1239
.LBB416_1237:
	s_mov_b32 s1, -1
                                        ; implicit-def: $vgpr5
.LBB416_1238:
	s_mov_b32 s15, 0
.LBB416_1239:
	s_delay_alu instid0(SALU_CYCLE_1)
	s_and_b32 vcc_lo, exec_lo, s15
	s_cbranch_vccz .LBB416_1257
; %bb.1240:
	v_cmp_lt_i16_e64 s14, s10, 27
	s_delay_alu instid0(VALU_DEP_1)
	s_and_b32 vcc_lo, exec_lo, s14
	s_cbranch_vccnz .LBB416_1243
; %bb.1241:
	v_cmp_gt_i16_e64 s14, s10, 27
	s_delay_alu instid0(VALU_DEP_1)
	s_and_b32 vcc_lo, exec_lo, s14
	s_cbranch_vccz .LBB416_1244
; %bb.1242:
	global_load_b32 v5, v[0:1], off
	s_mov_b32 s14, 0
	s_waitcnt vmcnt(0)
	v_cvt_f32_u32_e32 v5, v5
	s_delay_alu instid0(VALU_DEP_1) | instskip(NEXT) | instid1(VALU_DEP_1)
	v_bfe_u32 v6, v5, 16, 1
	v_add3_u32 v5, v5, v6, 0x7fff
	s_delay_alu instid0(VALU_DEP_1)
	v_lshrrev_b32_e32 v5, 16, v5
	s_branch .LBB416_1245
.LBB416_1243:
	s_mov_b32 s14, -1
                                        ; implicit-def: $vgpr5
	s_branch .LBB416_1248
.LBB416_1244:
	s_mov_b32 s14, -1
                                        ; implicit-def: $vgpr5
.LBB416_1245:
	s_delay_alu instid0(SALU_CYCLE_1)
	s_and_not1_b32 vcc_lo, exec_lo, s14
	s_cbranch_vccnz .LBB416_1247
; %bb.1246:
	global_load_u16 v5, v[0:1], off
	s_waitcnt vmcnt(0)
	v_cvt_f32_u32_e32 v5, v5
	s_delay_alu instid0(VALU_DEP_1) | instskip(NEXT) | instid1(VALU_DEP_1)
	v_bfe_u32 v6, v5, 16, 1
	v_add3_u32 v5, v5, v6, 0x7fff
	s_delay_alu instid0(VALU_DEP_1)
	v_lshrrev_b32_e32 v5, 16, v5
.LBB416_1247:
	s_mov_b32 s14, 0
.LBB416_1248:
	s_delay_alu instid0(SALU_CYCLE_1)
	s_and_not1_b32 vcc_lo, exec_lo, s14
	s_cbranch_vccnz .LBB416_1256
; %bb.1249:
	global_load_u8 v5, v[0:1], off
	s_mov_b32 s14, 0
	s_mov_b32 s16, exec_lo
                                        ; implicit-def: $sgpr15
	s_waitcnt vmcnt(0)
	v_cmpx_lt_i16_e32 0x7f, v5
	s_xor_b32 s16, exec_lo, s16
	s_cbranch_execz .LBB416_1269
; %bb.1250:
	s_mov_b32 s14, -1
	s_mov_b32 s17, exec_lo
                                        ; implicit-def: $sgpr15
	v_cmpx_eq_u16_e32 0x80, v5
; %bb.1251:
	s_mov_b32 s15, 0x7f800001
	s_xor_b32 s14, exec_lo, -1
; %bb.1252:
	s_or_b32 exec_lo, exec_lo, s17
	s_delay_alu instid0(SALU_CYCLE_1)
	s_and_b32 s14, s14, exec_lo
	s_or_saveexec_b32 s16, s16
	v_mov_b32_e32 v6, s15
	s_xor_b32 exec_lo, exec_lo, s16
	s_cbranch_execnz .LBB416_1270
.LBB416_1253:
	s_or_b32 exec_lo, exec_lo, s16
	s_and_saveexec_b32 s15, s14
	s_cbranch_execz .LBB416_1255
.LBB416_1254:
	v_and_b32_e32 v6, 0xffff, v5
	v_lshlrev_b32_e32 v5, 24, v5
	s_delay_alu instid0(VALU_DEP_2) | instskip(NEXT) | instid1(VALU_DEP_2)
	v_and_b32_e32 v7, 7, v6
	v_and_b32_e32 v5, 0x80000000, v5
	s_delay_alu instid0(VALU_DEP_2) | instskip(NEXT) | instid1(VALU_DEP_1)
	v_clz_i32_u32_e32 v8, v7
	v_min_u32_e32 v8, 32, v8
	s_delay_alu instid0(VALU_DEP_1) | instskip(SKIP_1) | instid1(VALU_DEP_2)
	v_subrev_nc_u32_e32 v9, 28, v8
	v_sub_nc_u32_e32 v8, 29, v8
	v_lshlrev_b32_e32 v9, v9, v6
	v_bfe_u32 v6, v6, 3, 4
	s_delay_alu instid0(VALU_DEP_2) | instskip(NEXT) | instid1(VALU_DEP_2)
	v_and_b32_e32 v9, 7, v9
	v_cmp_eq_u32_e32 vcc_lo, 0, v6
	s_delay_alu instid0(VALU_DEP_2) | instskip(NEXT) | instid1(VALU_DEP_1)
	v_dual_cndmask_b32 v6, v6, v8 :: v_dual_cndmask_b32 v7, v7, v9
	v_lshl_add_u32 v6, v6, 23, 0x3b800000
	s_delay_alu instid0(VALU_DEP_2) | instskip(NEXT) | instid1(VALU_DEP_1)
	v_lshlrev_b32_e32 v7, 20, v7
	v_or3_b32 v6, v5, v6, v7
.LBB416_1255:
	s_or_b32 exec_lo, exec_lo, s15
	s_delay_alu instid0(VALU_DEP_1) | instskip(SKIP_1) | instid1(VALU_DEP_2)
	v_bfe_u32 v5, v6, 16, 1
	v_cmp_o_f32_e32 vcc_lo, v6, v6
	v_add3_u32 v5, v6, v5, 0x7fff
	s_delay_alu instid0(VALU_DEP_1) | instskip(NEXT) | instid1(VALU_DEP_1)
	v_lshrrev_b32_e32 v5, 16, v5
	v_cndmask_b32_e32 v5, 0x7fc0, v5, vcc_lo
.LBB416_1256:
	s_mov_b32 s14, -1
.LBB416_1257:
	s_branch .LBB416_1290
.LBB416_1258:
	v_cmp_gt_i16_e64 s3, s10, 22
	s_delay_alu instid0(VALU_DEP_1)
	s_and_b32 vcc_lo, exec_lo, s3
	s_cbranch_vccz .LBB416_1268
; %bb.1259:
	v_cmp_lt_i16_e64 s3, s10, 24
	s_delay_alu instid0(VALU_DEP_1)
	s_and_b32 vcc_lo, exec_lo, s3
	s_cbranch_vccnz .LBB416_1271
; %bb.1260:
	v_cmp_gt_i16_e64 s3, s10, 24
	s_delay_alu instid0(VALU_DEP_1)
	s_and_b32 vcc_lo, exec_lo, s3
	s_cbranch_vccz .LBB416_1272
; %bb.1261:
	global_load_u8 v5, v[0:1], off
	s_mov_b32 s3, 0
	s_mov_b32 s15, exec_lo
                                        ; implicit-def: $sgpr14
	s_waitcnt vmcnt(0)
	v_cmpx_lt_i16_e32 0x7f, v5
	s_xor_b32 s15, exec_lo, s15
	s_cbranch_execz .LBB416_1284
; %bb.1262:
	s_mov_b32 s3, -1
	s_mov_b32 s16, exec_lo
                                        ; implicit-def: $sgpr14
	v_cmpx_eq_u16_e32 0x80, v5
; %bb.1263:
	s_mov_b32 s14, 0x7f800001
	s_xor_b32 s3, exec_lo, -1
; %bb.1264:
	s_or_b32 exec_lo, exec_lo, s16
	s_delay_alu instid0(SALU_CYCLE_1)
	s_and_b32 s3, s3, exec_lo
	s_or_saveexec_b32 s15, s15
	v_mov_b32_e32 v6, s14
	s_xor_b32 exec_lo, exec_lo, s15
	s_cbranch_execnz .LBB416_1285
.LBB416_1265:
	s_or_b32 exec_lo, exec_lo, s15
	s_and_saveexec_b32 s14, s3
	s_cbranch_execz .LBB416_1267
.LBB416_1266:
	v_and_b32_e32 v6, 0xffff, v5
	v_lshlrev_b32_e32 v5, 24, v5
	s_delay_alu instid0(VALU_DEP_2) | instskip(NEXT) | instid1(VALU_DEP_2)
	v_and_b32_e32 v7, 3, v6
	v_and_b32_e32 v5, 0x80000000, v5
	s_delay_alu instid0(VALU_DEP_2) | instskip(NEXT) | instid1(VALU_DEP_1)
	v_clz_i32_u32_e32 v8, v7
	v_min_u32_e32 v8, 32, v8
	s_delay_alu instid0(VALU_DEP_1) | instskip(SKIP_1) | instid1(VALU_DEP_2)
	v_subrev_nc_u32_e32 v9, 29, v8
	v_sub_nc_u32_e32 v8, 30, v8
	v_lshlrev_b32_e32 v9, v9, v6
	v_bfe_u32 v6, v6, 2, 5
	s_delay_alu instid0(VALU_DEP_2) | instskip(NEXT) | instid1(VALU_DEP_2)
	v_and_b32_e32 v9, 3, v9
	v_cmp_eq_u32_e32 vcc_lo, 0, v6
	s_delay_alu instid0(VALU_DEP_2) | instskip(NEXT) | instid1(VALU_DEP_1)
	v_dual_cndmask_b32 v6, v6, v8 :: v_dual_cndmask_b32 v7, v7, v9
	v_lshl_add_u32 v6, v6, 23, 0x37800000
	s_delay_alu instid0(VALU_DEP_2) | instskip(NEXT) | instid1(VALU_DEP_1)
	v_lshlrev_b32_e32 v7, 21, v7
	v_or3_b32 v6, v5, v6, v7
.LBB416_1267:
	s_or_b32 exec_lo, exec_lo, s14
	s_delay_alu instid0(VALU_DEP_1) | instskip(SKIP_2) | instid1(VALU_DEP_2)
	v_bfe_u32 v5, v6, 16, 1
	v_cmp_o_f32_e32 vcc_lo, v6, v6
	s_mov_b32 s3, 0
	v_add3_u32 v5, v6, v5, 0x7fff
	s_delay_alu instid0(VALU_DEP_1) | instskip(NEXT) | instid1(VALU_DEP_1)
	v_lshrrev_b32_e32 v5, 16, v5
	v_cndmask_b32_e32 v5, 0x7fc0, v5, vcc_lo
	s_branch .LBB416_1273
.LBB416_1268:
	s_mov_b32 s3, -1
                                        ; implicit-def: $vgpr5
	s_branch .LBB416_1279
.LBB416_1269:
	s_or_saveexec_b32 s16, s16
	v_mov_b32_e32 v6, s15
	s_xor_b32 exec_lo, exec_lo, s16
	s_cbranch_execz .LBB416_1253
.LBB416_1270:
	v_cmp_ne_u16_e32 vcc_lo, 0, v5
	v_mov_b32_e32 v6, 0
	s_and_not1_b32 s14, s14, exec_lo
	s_and_b32 s15, vcc_lo, exec_lo
	s_delay_alu instid0(SALU_CYCLE_1)
	s_or_b32 s14, s14, s15
	s_or_b32 exec_lo, exec_lo, s16
	s_and_saveexec_b32 s15, s14
	s_cbranch_execnz .LBB416_1254
	s_branch .LBB416_1255
.LBB416_1271:
	s_mov_b32 s3, -1
                                        ; implicit-def: $vgpr5
	s_branch .LBB416_1276
.LBB416_1272:
	s_mov_b32 s3, -1
                                        ; implicit-def: $vgpr5
.LBB416_1273:
	s_delay_alu instid0(SALU_CYCLE_1)
	s_and_b32 vcc_lo, exec_lo, s3
	s_cbranch_vccz .LBB416_1275
; %bb.1274:
	global_load_u8 v5, v[0:1], off
	s_waitcnt vmcnt(0)
	v_lshlrev_b32_e32 v5, 24, v5
	s_delay_alu instid0(VALU_DEP_1) | instskip(NEXT) | instid1(VALU_DEP_1)
	v_and_b32_e32 v6, 0x7f000000, v5
	v_clz_i32_u32_e32 v7, v6
	v_add_nc_u32_e32 v9, 0x1000000, v6
	v_cmp_ne_u32_e32 vcc_lo, 0, v6
	s_delay_alu instid0(VALU_DEP_3) | instskip(NEXT) | instid1(VALU_DEP_1)
	v_min_u32_e32 v7, 32, v7
	v_sub_nc_u32_e64 v7, v7, 4 clamp
	s_delay_alu instid0(VALU_DEP_1) | instskip(SKIP_1) | instid1(VALU_DEP_2)
	v_lshlrev_b32_e32 v8, v7, v6
	v_lshlrev_b32_e32 v7, 23, v7
	v_lshrrev_b32_e32 v8, 4, v8
	s_delay_alu instid0(VALU_DEP_1) | instskip(SKIP_1) | instid1(VALU_DEP_2)
	v_sub_nc_u32_e32 v7, v8, v7
	v_ashrrev_i32_e32 v8, 8, v9
	v_add_nc_u32_e32 v7, 0x3c000000, v7
	s_delay_alu instid0(VALU_DEP_1) | instskip(NEXT) | instid1(VALU_DEP_1)
	v_and_or_b32 v7, 0x7f800000, v8, v7
	v_cndmask_b32_e32 v6, 0, v7, vcc_lo
	s_delay_alu instid0(VALU_DEP_1) | instskip(SKIP_1) | instid1(VALU_DEP_2)
	v_and_or_b32 v5, 0x80000000, v5, v6
	v_bfe_u32 v6, v6, 16, 1
	v_cmp_o_f32_e32 vcc_lo, v5, v5
	s_delay_alu instid0(VALU_DEP_2) | instskip(NEXT) | instid1(VALU_DEP_1)
	v_add3_u32 v6, v5, v6, 0x7fff
	v_lshrrev_b32_e32 v6, 16, v6
	s_delay_alu instid0(VALU_DEP_1)
	v_cndmask_b32_e32 v5, 0x7fc0, v6, vcc_lo
.LBB416_1275:
	s_mov_b32 s3, 0
.LBB416_1276:
	s_delay_alu instid0(SALU_CYCLE_1)
	s_and_not1_b32 vcc_lo, exec_lo, s3
	s_cbranch_vccnz .LBB416_1278
; %bb.1277:
	global_load_u8 v5, v[0:1], off
	s_waitcnt vmcnt(0)
	v_lshlrev_b32_e32 v6, 25, v5
	v_lshlrev_b16 v5, 8, v5
	s_delay_alu instid0(VALU_DEP_2) | instskip(NEXT) | instid1(VALU_DEP_2)
	v_lshrrev_b32_e32 v7, 4, v6
	v_and_or_b32 v8, 0x7f00, v5, 0.5
	v_bfe_i32 v5, v5, 0, 16
	s_delay_alu instid0(VALU_DEP_3) | instskip(NEXT) | instid1(VALU_DEP_1)
	v_or_b32_e32 v7, 0x70000000, v7
	v_dual_add_f32 v8, -0.5, v8 :: v_dual_mul_f32 v7, 0x7800000, v7
	v_cmp_gt_u32_e32 vcc_lo, 0x8000000, v6
	s_delay_alu instid0(VALU_DEP_2) | instskip(NEXT) | instid1(VALU_DEP_1)
	v_cndmask_b32_e32 v6, v7, v8, vcc_lo
	v_and_or_b32 v5, 0x80000000, v5, v6
	v_bfe_u32 v6, v6, 16, 1
	s_delay_alu instid0(VALU_DEP_2) | instskip(NEXT) | instid1(VALU_DEP_2)
	v_cmp_o_f32_e32 vcc_lo, v5, v5
	v_add3_u32 v6, v5, v6, 0x7fff
	s_delay_alu instid0(VALU_DEP_1) | instskip(NEXT) | instid1(VALU_DEP_1)
	v_lshrrev_b32_e32 v6, 16, v6
	v_cndmask_b32_e32 v5, 0x7fc0, v6, vcc_lo
.LBB416_1278:
	s_mov_b32 s3, 0
	s_mov_b32 s14, -1
.LBB416_1279:
	s_and_not1_b32 vcc_lo, exec_lo, s3
	s_mov_b32 s3, 0
	s_cbranch_vccnz .LBB416_1290
; %bb.1280:
	v_cmp_gt_i16_e64 s3, s10, 14
	s_delay_alu instid0(VALU_DEP_1)
	s_and_b32 vcc_lo, exec_lo, s3
	s_cbranch_vccz .LBB416_1283
; %bb.1281:
	v_cmp_eq_u16_e64 s1, s10, 15
	s_delay_alu instid0(VALU_DEP_1)
	s_and_b32 vcc_lo, exec_lo, s1
	s_cbranch_vccz .LBB416_1286
; %bb.1282:
	global_load_u16 v5, v[0:1], off
	s_mov_b32 s1, 0
	s_mov_b32 s14, -1
	s_branch .LBB416_1287
.LBB416_1283:
	s_mov_b32 s3, -1
                                        ; implicit-def: $vgpr5
	s_branch .LBB416_1288
.LBB416_1284:
	s_or_saveexec_b32 s15, s15
	v_mov_b32_e32 v6, s14
	s_xor_b32 exec_lo, exec_lo, s15
	s_cbranch_execz .LBB416_1265
.LBB416_1285:
	v_cmp_ne_u16_e32 vcc_lo, 0, v5
	v_mov_b32_e32 v6, 0
	s_and_not1_b32 s3, s3, exec_lo
	s_and_b32 s14, vcc_lo, exec_lo
	s_delay_alu instid0(SALU_CYCLE_1)
	s_or_b32 s3, s3, s14
	s_or_b32 exec_lo, exec_lo, s15
	s_and_saveexec_b32 s14, s3
	s_cbranch_execnz .LBB416_1266
	s_branch .LBB416_1267
.LBB416_1286:
	s_mov_b32 s1, -1
                                        ; implicit-def: $vgpr5
.LBB416_1287:
	s_mov_b32 s3, 0
.LBB416_1288:
	s_delay_alu instid0(SALU_CYCLE_1)
	s_and_b32 vcc_lo, exec_lo, s3
	s_mov_b32 s3, 0
	s_cbranch_vccz .LBB416_1290
; %bb.1289:
	v_cmp_ne_u16_e64 s1, s10, 11
	s_mov_b32 s3, -1
                                        ; implicit-def: $vgpr5
.LBB416_1290:
	s_delay_alu instid0(VALU_DEP_1)
	s_and_b32 vcc_lo, exec_lo, s1
	s_cbranch_vccnz .LBB416_1314
; %bb.1291:
	s_and_not1_b32 vcc_lo, exec_lo, s3
	s_cbranch_vccnz .LBB416_1293
.LBB416_1292:
	global_load_u8 v5, v[0:1], off
	s_mov_b32 s14, -1
	s_waitcnt vmcnt(0)
	v_cmp_ne_u16_e32 vcc_lo, 0, v5
	v_cndmask_b32_e64 v5, 0, 1.0, vcc_lo
	s_delay_alu instid0(VALU_DEP_1)
	v_lshrrev_b32_e32 v5, 16, v5
.LBB416_1293:
.LBB416_1294:
	s_and_not1_b32 vcc_lo, exec_lo, s14
	s_cbranch_vccnz .LBB416_1995
.LBB416_1295:
	v_add_nc_u32_e32 v3, s0, v3
	v_cmp_lt_i16_e64 s1, s10, 11
	s_delay_alu instid0(VALU_DEP_2) | instskip(SKIP_1) | instid1(VALU_DEP_2)
	v_ashrrev_i32_e32 v1, 31, v3
	v_add_co_u32 v0, vcc_lo, s6, v3
	v_add_co_ci_u32_e32 v1, vcc_lo, s7, v1, vcc_lo
	s_delay_alu instid0(VALU_DEP_4)
	s_and_b32 vcc_lo, exec_lo, s1
	s_cbranch_vccnz .LBB416_1302
; %bb.1296:
	v_cmp_gt_i16_e64 s1, s10, 25
	s_mov_b32 s3, 0
	s_delay_alu instid0(VALU_DEP_1)
	s_and_b32 vcc_lo, exec_lo, s1
	s_cbranch_vccz .LBB416_1308
; %bb.1297:
	v_cmp_gt_i16_e64 s1, s10, 28
	s_delay_alu instid0(VALU_DEP_1)
	s_and_b32 vcc_lo, exec_lo, s1
	s_cbranch_vccz .LBB416_1310
; %bb.1298:
	v_cmp_gt_i16_e64 s1, s10, 43
	;; [unrolled: 5-line block ×3, first 2 shown]
	s_delay_alu instid0(VALU_DEP_1)
	s_and_b32 vcc_lo, exec_lo, s1
	s_cbranch_vccz .LBB416_1316
; %bb.1300:
	v_cmp_eq_u16_e64 s1, s10, 46
	s_mov_b32 s15, 0
	s_delay_alu instid0(VALU_DEP_1)
	s_and_b32 vcc_lo, exec_lo, s1
	s_cbranch_vccz .LBB416_1359
; %bb.1301:
	global_load_b32 v6, v[0:1], off
	s_mov_b32 s1, 0
	s_mov_b32 s14, -1
	s_branch .LBB416_1361
.LBB416_1302:
	s_mov_b32 s14, 0
                                        ; implicit-def: $vgpr6
	s_cbranch_execz .LBB416_1427
; %bb.1303:
	v_cmp_lt_i16_e64 s1, s10, 5
	s_delay_alu instid0(VALU_DEP_1)
	s_and_b32 vcc_lo, exec_lo, s1
	s_cbranch_vccnz .LBB416_1309
; %bb.1304:
	v_cmp_lt_i16_e64 s1, s10, 8
	s_delay_alu instid0(VALU_DEP_1)
	s_and_b32 vcc_lo, exec_lo, s1
	s_cbranch_vccnz .LBB416_1311
	;; [unrolled: 5-line block ×3, first 2 shown]
; %bb.1306:
	v_cmp_gt_i16_e64 s1, s10, 9
	s_delay_alu instid0(VALU_DEP_1)
	s_and_b32 vcc_lo, exec_lo, s1
	s_cbranch_vccz .LBB416_1317
; %bb.1307:
	global_load_b64 v[6:7], v[0:1], off
	s_mov_b32 s1, 0
	s_waitcnt vmcnt(0)
	v_cvt_f32_f64_e32 v6, v[6:7]
	s_delay_alu instid0(VALU_DEP_1) | instskip(SKIP_1) | instid1(VALU_DEP_2)
	v_bfe_u32 v7, v6, 16, 1
	v_cmp_o_f32_e32 vcc_lo, v6, v6
	v_add3_u32 v7, v6, v7, 0x7fff
	s_delay_alu instid0(VALU_DEP_1) | instskip(NEXT) | instid1(VALU_DEP_1)
	v_lshrrev_b32_e32 v7, 16, v7
	v_cndmask_b32_e32 v6, 0x7fc0, v7, vcc_lo
	s_branch .LBB416_1318
.LBB416_1308:
	s_mov_b32 s15, -1
	s_mov_b32 s14, 0
	s_mov_b32 s1, 0
                                        ; implicit-def: $vgpr6
	s_branch .LBB416_1390
.LBB416_1309:
	s_mov_b32 s1, -1
                                        ; implicit-def: $vgpr6
	s_branch .LBB416_1336
.LBB416_1310:
	s_mov_b32 s15, -1
	s_mov_b32 s14, 0
	s_mov_b32 s1, 0
                                        ; implicit-def: $vgpr6
	s_branch .LBB416_1371
.LBB416_1311:
	s_mov_b32 s1, -1
                                        ; implicit-def: $vgpr6
	s_branch .LBB416_1324
.LBB416_1312:
	s_mov_b32 s15, -1
	s_mov_b32 s14, 0
	s_mov_b32 s1, 0
                                        ; implicit-def: $vgpr6
	s_branch .LBB416_1366
.LBB416_1313:
	s_mov_b32 s1, -1
                                        ; implicit-def: $vgpr6
	s_branch .LBB416_1321
.LBB416_1314:
	s_cbranch_execnz .LBB416_1357
; %bb.1315:
	s_or_b32 s11, s11, exec_lo
                                        ; implicit-def: $vgpr5
	s_cbranch_execz .LBB416_1292
	s_branch .LBB416_1293
.LBB416_1316:
	s_mov_b32 s15, -1
	s_mov_b32 s14, 0
	s_mov_b32 s1, 0
	s_branch .LBB416_1360
.LBB416_1317:
	s_mov_b32 s1, -1
                                        ; implicit-def: $vgpr6
.LBB416_1318:
	s_delay_alu instid0(SALU_CYCLE_1)
	s_and_not1_b32 vcc_lo, exec_lo, s1
	s_cbranch_vccnz .LBB416_1320
; %bb.1319:
	global_load_b32 v6, v[0:1], off
	s_waitcnt vmcnt(0)
	v_bfe_u32 v7, v6, 16, 1
	v_cmp_o_f32_e32 vcc_lo, v6, v6
	s_delay_alu instid0(VALU_DEP_2) | instskip(NEXT) | instid1(VALU_DEP_1)
	v_add3_u32 v7, v6, v7, 0x7fff
	v_lshrrev_b32_e32 v7, 16, v7
	s_delay_alu instid0(VALU_DEP_1)
	v_cndmask_b32_e32 v6, 0x7fc0, v7, vcc_lo
.LBB416_1320:
	s_mov_b32 s1, 0
.LBB416_1321:
	s_delay_alu instid0(SALU_CYCLE_1)
	s_and_not1_b32 vcc_lo, exec_lo, s1
	s_cbranch_vccnz .LBB416_1323
; %bb.1322:
	global_load_b32 v6, v[0:1], off
	s_waitcnt vmcnt(0)
	v_cvt_f32_f16_e32 v7, v6
	v_cmp_o_f16_e32 vcc_lo, v6, v6
	s_delay_alu instid0(VALU_DEP_2) | instskip(NEXT) | instid1(VALU_DEP_1)
	v_bfe_u32 v8, v7, 16, 1
	v_add3_u32 v7, v7, v8, 0x7fff
	s_delay_alu instid0(VALU_DEP_1) | instskip(NEXT) | instid1(VALU_DEP_1)
	v_lshrrev_b32_e32 v7, 16, v7
	v_cndmask_b32_e32 v6, 0x7fc0, v7, vcc_lo
.LBB416_1323:
	s_mov_b32 s1, 0
.LBB416_1324:
	s_delay_alu instid0(SALU_CYCLE_1)
	s_and_not1_b32 vcc_lo, exec_lo, s1
	s_cbranch_vccnz .LBB416_1335
; %bb.1325:
	v_cmp_lt_i16_e64 s1, s10, 6
	s_delay_alu instid0(VALU_DEP_1)
	s_and_b32 vcc_lo, exec_lo, s1
	s_cbranch_vccnz .LBB416_1328
; %bb.1326:
	v_cmp_gt_i16_e64 s1, s10, 6
	s_delay_alu instid0(VALU_DEP_1)
	s_and_b32 vcc_lo, exec_lo, s1
	s_cbranch_vccz .LBB416_1329
; %bb.1327:
	global_load_b64 v[6:7], v[0:1], off
	s_mov_b32 s1, 0
	s_waitcnt vmcnt(0)
	v_cvt_f32_f64_e32 v6, v[6:7]
	s_delay_alu instid0(VALU_DEP_1) | instskip(SKIP_1) | instid1(VALU_DEP_2)
	v_bfe_u32 v7, v6, 16, 1
	v_cmp_o_f32_e32 vcc_lo, v6, v6
	v_add3_u32 v7, v6, v7, 0x7fff
	s_delay_alu instid0(VALU_DEP_1) | instskip(NEXT) | instid1(VALU_DEP_1)
	v_lshrrev_b32_e32 v7, 16, v7
	v_cndmask_b32_e32 v6, 0x7fc0, v7, vcc_lo
	s_branch .LBB416_1330
.LBB416_1328:
	s_mov_b32 s1, -1
                                        ; implicit-def: $vgpr6
	s_branch .LBB416_1333
.LBB416_1329:
	s_mov_b32 s1, -1
                                        ; implicit-def: $vgpr6
.LBB416_1330:
	s_delay_alu instid0(SALU_CYCLE_1)
	s_and_not1_b32 vcc_lo, exec_lo, s1
	s_cbranch_vccnz .LBB416_1332
; %bb.1331:
	global_load_b32 v6, v[0:1], off
	s_waitcnt vmcnt(0)
	v_bfe_u32 v7, v6, 16, 1
	v_cmp_o_f32_e32 vcc_lo, v6, v6
	s_delay_alu instid0(VALU_DEP_2) | instskip(NEXT) | instid1(VALU_DEP_1)
	v_add3_u32 v7, v6, v7, 0x7fff
	v_lshrrev_b32_e32 v7, 16, v7
	s_delay_alu instid0(VALU_DEP_1)
	v_cndmask_b32_e32 v6, 0x7fc0, v7, vcc_lo
.LBB416_1332:
	s_mov_b32 s1, 0
.LBB416_1333:
	s_delay_alu instid0(SALU_CYCLE_1)
	s_and_not1_b32 vcc_lo, exec_lo, s1
	s_cbranch_vccnz .LBB416_1335
; %bb.1334:
	global_load_u16 v6, v[0:1], off
	s_waitcnt vmcnt(0)
	v_cvt_f32_f16_e32 v7, v6
	v_cmp_o_f16_e32 vcc_lo, v6, v6
	s_delay_alu instid0(VALU_DEP_2) | instskip(NEXT) | instid1(VALU_DEP_1)
	v_bfe_u32 v8, v7, 16, 1
	v_add3_u32 v7, v7, v8, 0x7fff
	s_delay_alu instid0(VALU_DEP_1) | instskip(NEXT) | instid1(VALU_DEP_1)
	v_lshrrev_b32_e32 v7, 16, v7
	v_cndmask_b32_e32 v6, 0x7fc0, v7, vcc_lo
.LBB416_1335:
	s_mov_b32 s1, 0
.LBB416_1336:
	s_delay_alu instid0(SALU_CYCLE_1)
	s_and_not1_b32 vcc_lo, exec_lo, s1
	s_cbranch_vccnz .LBB416_1356
; %bb.1337:
	v_cmp_lt_i16_e64 s1, s10, 2
	s_delay_alu instid0(VALU_DEP_1)
	s_and_b32 vcc_lo, exec_lo, s1
	s_cbranch_vccnz .LBB416_1341
; %bb.1338:
	v_cmp_lt_i16_e64 s1, s10, 3
	s_delay_alu instid0(VALU_DEP_1)
	s_and_b32 vcc_lo, exec_lo, s1
	s_cbranch_vccnz .LBB416_1342
; %bb.1339:
	v_cmp_gt_i16_e64 s1, s10, 3
	s_delay_alu instid0(VALU_DEP_1)
	s_and_b32 vcc_lo, exec_lo, s1
	s_cbranch_vccz .LBB416_1343
; %bb.1340:
	global_load_b64 v[6:7], v[0:1], off
	s_mov_b32 s1, 0
	s_waitcnt vmcnt(0)
	v_xor_b32_e32 v8, v6, v7
	v_cls_i32_e32 v9, v7
	s_delay_alu instid0(VALU_DEP_2) | instskip(NEXT) | instid1(VALU_DEP_2)
	v_ashrrev_i32_e32 v8, 31, v8
	v_add_nc_u32_e32 v9, -1, v9
	s_delay_alu instid0(VALU_DEP_2) | instskip(NEXT) | instid1(VALU_DEP_1)
	v_add_nc_u32_e32 v8, 32, v8
	v_min_u32_e32 v8, v9, v8
	s_delay_alu instid0(VALU_DEP_1) | instskip(NEXT) | instid1(VALU_DEP_1)
	v_lshlrev_b64 v[6:7], v8, v[6:7]
	v_min_u32_e32 v6, 1, v6
	s_delay_alu instid0(VALU_DEP_1) | instskip(SKIP_1) | instid1(VALU_DEP_2)
	v_or_b32_e32 v6, v7, v6
	v_sub_nc_u32_e32 v7, 32, v8
	v_cvt_f32_i32_e32 v6, v6
	s_delay_alu instid0(VALU_DEP_1) | instskip(NEXT) | instid1(VALU_DEP_1)
	v_ldexp_f32 v6, v6, v7
	v_bfe_u32 v7, v6, 16, 1
	s_delay_alu instid0(VALU_DEP_1) | instskip(NEXT) | instid1(VALU_DEP_1)
	v_add3_u32 v6, v6, v7, 0x7fff
	v_lshrrev_b32_e32 v6, 16, v6
	s_branch .LBB416_1344
.LBB416_1341:
	s_mov_b32 s1, -1
                                        ; implicit-def: $vgpr6
	s_branch .LBB416_1350
.LBB416_1342:
	s_mov_b32 s1, -1
                                        ; implicit-def: $vgpr6
	s_branch .LBB416_1347
.LBB416_1343:
	s_mov_b32 s1, -1
                                        ; implicit-def: $vgpr6
.LBB416_1344:
	s_delay_alu instid0(SALU_CYCLE_1)
	s_and_not1_b32 vcc_lo, exec_lo, s1
	s_cbranch_vccnz .LBB416_1346
; %bb.1345:
	global_load_b32 v6, v[0:1], off
	s_waitcnt vmcnt(0)
	v_cvt_f32_i32_e32 v6, v6
	s_delay_alu instid0(VALU_DEP_1) | instskip(NEXT) | instid1(VALU_DEP_1)
	v_bfe_u32 v7, v6, 16, 1
	v_add3_u32 v6, v6, v7, 0x7fff
	s_delay_alu instid0(VALU_DEP_1)
	v_lshrrev_b32_e32 v6, 16, v6
.LBB416_1346:
	s_mov_b32 s1, 0
.LBB416_1347:
	s_delay_alu instid0(SALU_CYCLE_1)
	s_and_not1_b32 vcc_lo, exec_lo, s1
	s_cbranch_vccnz .LBB416_1349
; %bb.1348:
	global_load_i16 v6, v[0:1], off
	s_waitcnt vmcnt(0)
	v_cvt_f32_i32_e32 v6, v6
	s_delay_alu instid0(VALU_DEP_1) | instskip(NEXT) | instid1(VALU_DEP_1)
	v_bfe_u32 v7, v6, 16, 1
	v_add3_u32 v6, v6, v7, 0x7fff
	s_delay_alu instid0(VALU_DEP_1)
	v_lshrrev_b32_e32 v6, 16, v6
.LBB416_1349:
	s_mov_b32 s1, 0
.LBB416_1350:
	s_delay_alu instid0(SALU_CYCLE_1)
	s_and_not1_b32 vcc_lo, exec_lo, s1
	s_cbranch_vccnz .LBB416_1356
; %bb.1351:
	v_cmp_gt_i16_e64 s1, s10, 0
	s_delay_alu instid0(VALU_DEP_1)
	s_and_b32 vcc_lo, exec_lo, s1
	s_mov_b32 s1, 0
	s_cbranch_vccz .LBB416_1353
; %bb.1352:
	global_load_i8 v6, v[0:1], off
	s_waitcnt vmcnt(0)
	v_cvt_f32_i32_e32 v6, v6
	s_delay_alu instid0(VALU_DEP_1) | instskip(NEXT) | instid1(VALU_DEP_1)
	v_bfe_u32 v7, v6, 16, 1
	v_add3_u32 v6, v6, v7, 0x7fff
	s_delay_alu instid0(VALU_DEP_1)
	v_lshrrev_b32_e32 v6, 16, v6
	s_branch .LBB416_1354
.LBB416_1353:
	s_mov_b32 s1, -1
                                        ; implicit-def: $vgpr6
.LBB416_1354:
	s_delay_alu instid0(SALU_CYCLE_1)
	s_and_not1_b32 vcc_lo, exec_lo, s1
	s_cbranch_vccnz .LBB416_1356
; %bb.1355:
	global_load_u8 v0, v[0:1], off
	s_waitcnt vmcnt(0)
	v_cvt_f32_ubyte0_e32 v0, v0
	s_delay_alu instid0(VALU_DEP_1) | instskip(NEXT) | instid1(VALU_DEP_1)
	v_bfe_u32 v1, v0, 16, 1
	v_add3_u32 v0, v0, v1, 0x7fff
	s_delay_alu instid0(VALU_DEP_1)
	v_lshrrev_b32_e32 v6, 16, v0
.LBB416_1356:
	s_branch .LBB416_1428
.LBB416_1357:
	s_trap 2
	s_sendmsg_rtn_b32 s0, sendmsg(MSG_RTN_GET_DOORBELL)
	s_mov_b32 ttmp2, m0
	s_waitcnt lgkmcnt(0)
	s_and_b32 s0, s0, 0x3ff
	s_delay_alu instid0(SALU_CYCLE_1) | instskip(NEXT) | instid1(SALU_CYCLE_1)
	s_bitset1_b32 s0, 10
	s_mov_b32 m0, s0
	s_sendmsg sendmsg(MSG_INTERRUPT)
	s_mov_b32 m0, ttmp2
.LBB416_1358:                           ; =>This Inner Loop Header: Depth=1
	s_sethalt 5
	s_branch .LBB416_1358
.LBB416_1359:
	s_mov_b32 s1, -1
	s_mov_b32 s14, 0
.LBB416_1360:
                                        ; implicit-def: $vgpr6
.LBB416_1361:
	s_and_b32 vcc_lo, exec_lo, s15
	s_cbranch_vccz .LBB416_1365
; %bb.1362:
	v_cmp_eq_u16_e64 s1, s10, 44
	s_delay_alu instid0(VALU_DEP_1)
	s_and_b32 vcc_lo, exec_lo, s1
	s_cbranch_vccz .LBB416_1364
; %bb.1363:
	global_load_u8 v6, v[0:1], off
	s_mov_b32 s1, 0
	s_mov_b32 s14, -1
	s_waitcnt vmcnt(0)
	v_lshlrev_b32_e32 v7, 23, v6
	v_cmp_ne_u32_e32 vcc_lo, 0xff, v6
	s_delay_alu instid0(VALU_DEP_2) | instskip(SKIP_1) | instid1(VALU_DEP_2)
	v_cndmask_b32_e32 v7, 0x7f800001, v7, vcc_lo
	v_cmp_ne_u32_e32 vcc_lo, 0, v6
	v_cndmask_b32_e32 v6, 0x400000, v7, vcc_lo
	s_delay_alu instid0(VALU_DEP_1) | instskip(SKIP_1) | instid1(VALU_DEP_2)
	v_add_nc_u32_e32 v7, 0x7fff, v6
	v_cmp_o_f32_e32 vcc_lo, v6, v6
	v_lshrrev_b32_e32 v7, 16, v7
	s_delay_alu instid0(VALU_DEP_1)
	v_cndmask_b32_e32 v6, 0x7fc0, v7, vcc_lo
	s_branch .LBB416_1365
.LBB416_1364:
	s_mov_b32 s1, -1
                                        ; implicit-def: $vgpr6
.LBB416_1365:
	s_mov_b32 s15, 0
.LBB416_1366:
	s_delay_alu instid0(SALU_CYCLE_1)
	s_and_b32 vcc_lo, exec_lo, s15
	s_cbranch_vccz .LBB416_1370
; %bb.1367:
	v_cmp_eq_u16_e64 s1, s10, 29
	s_delay_alu instid0(VALU_DEP_1)
	s_and_b32 vcc_lo, exec_lo, s1
	s_cbranch_vccz .LBB416_1369
; %bb.1368:
	global_load_b64 v[6:7], v[0:1], off
	s_mov_b32 s1, 0
	s_mov_b32 s14, -1
	s_mov_b32 s15, 0
	s_waitcnt vmcnt(0)
	v_clz_i32_u32_e32 v8, v7
	s_delay_alu instid0(VALU_DEP_1) | instskip(NEXT) | instid1(VALU_DEP_1)
	v_min_u32_e32 v8, 32, v8
	v_lshlrev_b64 v[6:7], v8, v[6:7]
	s_delay_alu instid0(VALU_DEP_1) | instskip(NEXT) | instid1(VALU_DEP_1)
	v_min_u32_e32 v6, 1, v6
	v_or_b32_e32 v6, v7, v6
	v_sub_nc_u32_e32 v7, 32, v8
	s_delay_alu instid0(VALU_DEP_2) | instskip(NEXT) | instid1(VALU_DEP_1)
	v_cvt_f32_u32_e32 v6, v6
	v_ldexp_f32 v6, v6, v7
	s_delay_alu instid0(VALU_DEP_1) | instskip(NEXT) | instid1(VALU_DEP_1)
	v_bfe_u32 v7, v6, 16, 1
	v_add3_u32 v6, v6, v7, 0x7fff
	s_delay_alu instid0(VALU_DEP_1)
	v_lshrrev_b32_e32 v6, 16, v6
	s_branch .LBB416_1371
.LBB416_1369:
	s_mov_b32 s1, -1
                                        ; implicit-def: $vgpr6
.LBB416_1370:
	s_mov_b32 s15, 0
.LBB416_1371:
	s_delay_alu instid0(SALU_CYCLE_1)
	s_and_b32 vcc_lo, exec_lo, s15
	s_cbranch_vccz .LBB416_1389
; %bb.1372:
	v_cmp_lt_i16_e64 s14, s10, 27
	s_delay_alu instid0(VALU_DEP_1)
	s_and_b32 vcc_lo, exec_lo, s14
	s_cbranch_vccnz .LBB416_1375
; %bb.1373:
	v_cmp_gt_i16_e64 s14, s10, 27
	s_delay_alu instid0(VALU_DEP_1)
	s_and_b32 vcc_lo, exec_lo, s14
	s_cbranch_vccz .LBB416_1376
; %bb.1374:
	global_load_b32 v6, v[0:1], off
	s_mov_b32 s14, 0
	s_waitcnt vmcnt(0)
	v_cvt_f32_u32_e32 v6, v6
	s_delay_alu instid0(VALU_DEP_1) | instskip(NEXT) | instid1(VALU_DEP_1)
	v_bfe_u32 v7, v6, 16, 1
	v_add3_u32 v6, v6, v7, 0x7fff
	s_delay_alu instid0(VALU_DEP_1)
	v_lshrrev_b32_e32 v6, 16, v6
	s_branch .LBB416_1377
.LBB416_1375:
	s_mov_b32 s14, -1
                                        ; implicit-def: $vgpr6
	s_branch .LBB416_1380
.LBB416_1376:
	s_mov_b32 s14, -1
                                        ; implicit-def: $vgpr6
.LBB416_1377:
	s_delay_alu instid0(SALU_CYCLE_1)
	s_and_not1_b32 vcc_lo, exec_lo, s14
	s_cbranch_vccnz .LBB416_1379
; %bb.1378:
	global_load_u16 v6, v[0:1], off
	s_waitcnt vmcnt(0)
	v_cvt_f32_u32_e32 v6, v6
	s_delay_alu instid0(VALU_DEP_1) | instskip(NEXT) | instid1(VALU_DEP_1)
	v_bfe_u32 v7, v6, 16, 1
	v_add3_u32 v6, v6, v7, 0x7fff
	s_delay_alu instid0(VALU_DEP_1)
	v_lshrrev_b32_e32 v6, 16, v6
.LBB416_1379:
	s_mov_b32 s14, 0
.LBB416_1380:
	s_delay_alu instid0(SALU_CYCLE_1)
	s_and_not1_b32 vcc_lo, exec_lo, s14
	s_cbranch_vccnz .LBB416_1388
; %bb.1381:
	global_load_u8 v6, v[0:1], off
	s_mov_b32 s14, 0
	s_mov_b32 s16, exec_lo
                                        ; implicit-def: $sgpr15
	s_waitcnt vmcnt(0)
	v_cmpx_lt_i16_e32 0x7f, v6
	s_xor_b32 s16, exec_lo, s16
	s_cbranch_execz .LBB416_1402
; %bb.1382:
	s_mov_b32 s14, -1
	s_mov_b32 s17, exec_lo
                                        ; implicit-def: $sgpr15
	v_cmpx_eq_u16_e32 0x80, v6
; %bb.1383:
	s_mov_b32 s15, 0x7f800001
	s_xor_b32 s14, exec_lo, -1
; %bb.1384:
	s_or_b32 exec_lo, exec_lo, s17
	s_delay_alu instid0(SALU_CYCLE_1)
	s_and_b32 s14, s14, exec_lo
	s_or_saveexec_b32 s16, s16
	v_mov_b32_e32 v7, s15
	s_xor_b32 exec_lo, exec_lo, s16
	s_cbranch_execnz .LBB416_1403
.LBB416_1385:
	s_or_b32 exec_lo, exec_lo, s16
	s_and_saveexec_b32 s15, s14
	s_cbranch_execz .LBB416_1387
.LBB416_1386:
	v_and_b32_e32 v7, 0xffff, v6
	v_lshlrev_b32_e32 v6, 24, v6
	s_delay_alu instid0(VALU_DEP_2) | instskip(NEXT) | instid1(VALU_DEP_2)
	v_and_b32_e32 v8, 7, v7
	v_and_b32_e32 v6, 0x80000000, v6
	s_delay_alu instid0(VALU_DEP_2) | instskip(NEXT) | instid1(VALU_DEP_1)
	v_clz_i32_u32_e32 v9, v8
	v_min_u32_e32 v9, 32, v9
	s_delay_alu instid0(VALU_DEP_1) | instskip(SKIP_1) | instid1(VALU_DEP_2)
	v_subrev_nc_u32_e32 v10, 28, v9
	v_sub_nc_u32_e32 v9, 29, v9
	v_lshlrev_b32_e32 v10, v10, v7
	v_bfe_u32 v7, v7, 3, 4
	s_delay_alu instid0(VALU_DEP_2) | instskip(NEXT) | instid1(VALU_DEP_2)
	v_and_b32_e32 v10, 7, v10
	v_cmp_eq_u32_e32 vcc_lo, 0, v7
	s_delay_alu instid0(VALU_DEP_2) | instskip(NEXT) | instid1(VALU_DEP_1)
	v_dual_cndmask_b32 v7, v7, v9 :: v_dual_cndmask_b32 v8, v8, v10
	v_lshl_add_u32 v7, v7, 23, 0x3b800000
	s_delay_alu instid0(VALU_DEP_2) | instskip(NEXT) | instid1(VALU_DEP_1)
	v_lshlrev_b32_e32 v8, 20, v8
	v_or3_b32 v7, v6, v7, v8
.LBB416_1387:
	s_or_b32 exec_lo, exec_lo, s15
	s_delay_alu instid0(VALU_DEP_1) | instskip(SKIP_1) | instid1(VALU_DEP_2)
	v_bfe_u32 v6, v7, 16, 1
	v_cmp_o_f32_e32 vcc_lo, v7, v7
	v_add3_u32 v6, v7, v6, 0x7fff
	s_delay_alu instid0(VALU_DEP_1) | instskip(NEXT) | instid1(VALU_DEP_1)
	v_lshrrev_b32_e32 v6, 16, v6
	v_cndmask_b32_e32 v6, 0x7fc0, v6, vcc_lo
.LBB416_1388:
	s_mov_b32 s14, -1
.LBB416_1389:
	s_mov_b32 s15, 0
.LBB416_1390:
	s_delay_alu instid0(SALU_CYCLE_1)
	s_and_b32 vcc_lo, exec_lo, s15
	s_cbranch_vccz .LBB416_1423
; %bb.1391:
	v_cmp_gt_i16_e64 s3, s10, 22
	s_delay_alu instid0(VALU_DEP_1)
	s_and_b32 vcc_lo, exec_lo, s3
	s_cbranch_vccz .LBB416_1401
; %bb.1392:
	v_cmp_lt_i16_e64 s3, s10, 24
	s_delay_alu instid0(VALU_DEP_1)
	s_and_b32 vcc_lo, exec_lo, s3
	s_cbranch_vccnz .LBB416_1404
; %bb.1393:
	v_cmp_gt_i16_e64 s3, s10, 24
	s_delay_alu instid0(VALU_DEP_1)
	s_and_b32 vcc_lo, exec_lo, s3
	s_cbranch_vccz .LBB416_1405
; %bb.1394:
	global_load_u8 v6, v[0:1], off
	s_mov_b32 s3, 0
	s_mov_b32 s15, exec_lo
                                        ; implicit-def: $sgpr14
	s_waitcnt vmcnt(0)
	v_cmpx_lt_i16_e32 0x7f, v6
	s_xor_b32 s15, exec_lo, s15
	s_cbranch_execz .LBB416_1417
; %bb.1395:
	s_mov_b32 s3, -1
	s_mov_b32 s16, exec_lo
                                        ; implicit-def: $sgpr14
	v_cmpx_eq_u16_e32 0x80, v6
; %bb.1396:
	s_mov_b32 s14, 0x7f800001
	s_xor_b32 s3, exec_lo, -1
; %bb.1397:
	s_or_b32 exec_lo, exec_lo, s16
	s_delay_alu instid0(SALU_CYCLE_1)
	s_and_b32 s3, s3, exec_lo
	s_or_saveexec_b32 s15, s15
	v_mov_b32_e32 v7, s14
	s_xor_b32 exec_lo, exec_lo, s15
	s_cbranch_execnz .LBB416_1418
.LBB416_1398:
	s_or_b32 exec_lo, exec_lo, s15
	s_and_saveexec_b32 s14, s3
	s_cbranch_execz .LBB416_1400
.LBB416_1399:
	v_and_b32_e32 v7, 0xffff, v6
	v_lshlrev_b32_e32 v6, 24, v6
	s_delay_alu instid0(VALU_DEP_2) | instskip(NEXT) | instid1(VALU_DEP_2)
	v_and_b32_e32 v8, 3, v7
	v_and_b32_e32 v6, 0x80000000, v6
	s_delay_alu instid0(VALU_DEP_2) | instskip(NEXT) | instid1(VALU_DEP_1)
	v_clz_i32_u32_e32 v9, v8
	v_min_u32_e32 v9, 32, v9
	s_delay_alu instid0(VALU_DEP_1) | instskip(SKIP_1) | instid1(VALU_DEP_2)
	v_subrev_nc_u32_e32 v10, 29, v9
	v_sub_nc_u32_e32 v9, 30, v9
	v_lshlrev_b32_e32 v10, v10, v7
	v_bfe_u32 v7, v7, 2, 5
	s_delay_alu instid0(VALU_DEP_2) | instskip(NEXT) | instid1(VALU_DEP_2)
	v_and_b32_e32 v10, 3, v10
	v_cmp_eq_u32_e32 vcc_lo, 0, v7
	s_delay_alu instid0(VALU_DEP_2) | instskip(NEXT) | instid1(VALU_DEP_1)
	v_dual_cndmask_b32 v7, v7, v9 :: v_dual_cndmask_b32 v8, v8, v10
	v_lshl_add_u32 v7, v7, 23, 0x37800000
	s_delay_alu instid0(VALU_DEP_2) | instskip(NEXT) | instid1(VALU_DEP_1)
	v_lshlrev_b32_e32 v8, 21, v8
	v_or3_b32 v7, v6, v7, v8
.LBB416_1400:
	s_or_b32 exec_lo, exec_lo, s14
	s_delay_alu instid0(VALU_DEP_1) | instskip(SKIP_2) | instid1(VALU_DEP_2)
	v_bfe_u32 v6, v7, 16, 1
	v_cmp_o_f32_e32 vcc_lo, v7, v7
	s_mov_b32 s3, 0
	v_add3_u32 v6, v7, v6, 0x7fff
	s_delay_alu instid0(VALU_DEP_1) | instskip(NEXT) | instid1(VALU_DEP_1)
	v_lshrrev_b32_e32 v6, 16, v6
	v_cndmask_b32_e32 v6, 0x7fc0, v6, vcc_lo
	s_branch .LBB416_1406
.LBB416_1401:
	s_mov_b32 s3, -1
                                        ; implicit-def: $vgpr6
	s_branch .LBB416_1412
.LBB416_1402:
	s_or_saveexec_b32 s16, s16
	v_mov_b32_e32 v7, s15
	s_xor_b32 exec_lo, exec_lo, s16
	s_cbranch_execz .LBB416_1385
.LBB416_1403:
	v_cmp_ne_u16_e32 vcc_lo, 0, v6
	v_mov_b32_e32 v7, 0
	s_and_not1_b32 s14, s14, exec_lo
	s_and_b32 s15, vcc_lo, exec_lo
	s_delay_alu instid0(SALU_CYCLE_1)
	s_or_b32 s14, s14, s15
	s_or_b32 exec_lo, exec_lo, s16
	s_and_saveexec_b32 s15, s14
	s_cbranch_execnz .LBB416_1386
	s_branch .LBB416_1387
.LBB416_1404:
	s_mov_b32 s3, -1
                                        ; implicit-def: $vgpr6
	s_branch .LBB416_1409
.LBB416_1405:
	s_mov_b32 s3, -1
                                        ; implicit-def: $vgpr6
.LBB416_1406:
	s_delay_alu instid0(SALU_CYCLE_1)
	s_and_b32 vcc_lo, exec_lo, s3
	s_cbranch_vccz .LBB416_1408
; %bb.1407:
	global_load_u8 v6, v[0:1], off
	s_waitcnt vmcnt(0)
	v_lshlrev_b32_e32 v6, 24, v6
	s_delay_alu instid0(VALU_DEP_1) | instskip(NEXT) | instid1(VALU_DEP_1)
	v_and_b32_e32 v7, 0x7f000000, v6
	v_clz_i32_u32_e32 v8, v7
	v_add_nc_u32_e32 v10, 0x1000000, v7
	v_cmp_ne_u32_e32 vcc_lo, 0, v7
	s_delay_alu instid0(VALU_DEP_3) | instskip(NEXT) | instid1(VALU_DEP_1)
	v_min_u32_e32 v8, 32, v8
	v_sub_nc_u32_e64 v8, v8, 4 clamp
	s_delay_alu instid0(VALU_DEP_1) | instskip(SKIP_1) | instid1(VALU_DEP_2)
	v_lshlrev_b32_e32 v9, v8, v7
	v_lshlrev_b32_e32 v8, 23, v8
	v_lshrrev_b32_e32 v9, 4, v9
	s_delay_alu instid0(VALU_DEP_1) | instskip(SKIP_1) | instid1(VALU_DEP_2)
	v_sub_nc_u32_e32 v8, v9, v8
	v_ashrrev_i32_e32 v9, 8, v10
	v_add_nc_u32_e32 v8, 0x3c000000, v8
	s_delay_alu instid0(VALU_DEP_1) | instskip(NEXT) | instid1(VALU_DEP_1)
	v_and_or_b32 v8, 0x7f800000, v9, v8
	v_cndmask_b32_e32 v7, 0, v8, vcc_lo
	s_delay_alu instid0(VALU_DEP_1) | instskip(SKIP_1) | instid1(VALU_DEP_2)
	v_and_or_b32 v6, 0x80000000, v6, v7
	v_bfe_u32 v7, v7, 16, 1
	v_cmp_o_f32_e32 vcc_lo, v6, v6
	s_delay_alu instid0(VALU_DEP_2) | instskip(NEXT) | instid1(VALU_DEP_1)
	v_add3_u32 v7, v6, v7, 0x7fff
	v_lshrrev_b32_e32 v7, 16, v7
	s_delay_alu instid0(VALU_DEP_1)
	v_cndmask_b32_e32 v6, 0x7fc0, v7, vcc_lo
.LBB416_1408:
	s_mov_b32 s3, 0
.LBB416_1409:
	s_delay_alu instid0(SALU_CYCLE_1)
	s_and_not1_b32 vcc_lo, exec_lo, s3
	s_cbranch_vccnz .LBB416_1411
; %bb.1410:
	global_load_u8 v6, v[0:1], off
	s_waitcnt vmcnt(0)
	v_lshlrev_b32_e32 v7, 25, v6
	v_lshlrev_b16 v6, 8, v6
	s_delay_alu instid0(VALU_DEP_2) | instskip(NEXT) | instid1(VALU_DEP_2)
	v_lshrrev_b32_e32 v8, 4, v7
	v_and_or_b32 v9, 0x7f00, v6, 0.5
	v_bfe_i32 v6, v6, 0, 16
	s_delay_alu instid0(VALU_DEP_3) | instskip(NEXT) | instid1(VALU_DEP_1)
	v_or_b32_e32 v8, 0x70000000, v8
	v_dual_add_f32 v9, -0.5, v9 :: v_dual_mul_f32 v8, 0x7800000, v8
	v_cmp_gt_u32_e32 vcc_lo, 0x8000000, v7
	s_delay_alu instid0(VALU_DEP_2) | instskip(NEXT) | instid1(VALU_DEP_1)
	v_cndmask_b32_e32 v7, v8, v9, vcc_lo
	v_and_or_b32 v6, 0x80000000, v6, v7
	v_bfe_u32 v7, v7, 16, 1
	s_delay_alu instid0(VALU_DEP_2) | instskip(NEXT) | instid1(VALU_DEP_2)
	v_cmp_o_f32_e32 vcc_lo, v6, v6
	v_add3_u32 v7, v6, v7, 0x7fff
	s_delay_alu instid0(VALU_DEP_1) | instskip(NEXT) | instid1(VALU_DEP_1)
	v_lshrrev_b32_e32 v7, 16, v7
	v_cndmask_b32_e32 v6, 0x7fc0, v7, vcc_lo
.LBB416_1411:
	s_mov_b32 s3, 0
	s_mov_b32 s14, -1
.LBB416_1412:
	s_and_not1_b32 vcc_lo, exec_lo, s3
	s_mov_b32 s3, 0
	s_cbranch_vccnz .LBB416_1423
; %bb.1413:
	v_cmp_gt_i16_e64 s3, s10, 14
	s_delay_alu instid0(VALU_DEP_1)
	s_and_b32 vcc_lo, exec_lo, s3
	s_cbranch_vccz .LBB416_1416
; %bb.1414:
	v_cmp_eq_u16_e64 s1, s10, 15
	s_delay_alu instid0(VALU_DEP_1)
	s_and_b32 vcc_lo, exec_lo, s1
	s_cbranch_vccz .LBB416_1419
; %bb.1415:
	global_load_u16 v6, v[0:1], off
	s_mov_b32 s1, 0
	s_mov_b32 s14, -1
	s_branch .LBB416_1420
.LBB416_1416:
	s_mov_b32 s3, -1
                                        ; implicit-def: $vgpr6
	s_branch .LBB416_1421
.LBB416_1417:
	s_or_saveexec_b32 s15, s15
	v_mov_b32_e32 v7, s14
	s_xor_b32 exec_lo, exec_lo, s15
	s_cbranch_execz .LBB416_1398
.LBB416_1418:
	v_cmp_ne_u16_e32 vcc_lo, 0, v6
	v_mov_b32_e32 v7, 0
	s_and_not1_b32 s3, s3, exec_lo
	s_and_b32 s14, vcc_lo, exec_lo
	s_delay_alu instid0(SALU_CYCLE_1)
	s_or_b32 s3, s3, s14
	s_or_b32 exec_lo, exec_lo, s15
	s_and_saveexec_b32 s14, s3
	s_cbranch_execnz .LBB416_1399
	s_branch .LBB416_1400
.LBB416_1419:
	s_mov_b32 s1, -1
                                        ; implicit-def: $vgpr6
.LBB416_1420:
	s_mov_b32 s3, 0
.LBB416_1421:
	s_delay_alu instid0(SALU_CYCLE_1)
	s_and_b32 vcc_lo, exec_lo, s3
	s_mov_b32 s3, 0
	s_cbranch_vccz .LBB416_1423
; %bb.1422:
	v_cmp_ne_u16_e64 s1, s10, 11
	s_mov_b32 s3, -1
                                        ; implicit-def: $vgpr6
.LBB416_1423:
	s_delay_alu instid0(VALU_DEP_1)
	s_and_b32 vcc_lo, exec_lo, s1
	s_cbranch_vccnz .LBB416_1439
; %bb.1424:
	s_and_not1_b32 vcc_lo, exec_lo, s3
	s_cbranch_vccnz .LBB416_1426
.LBB416_1425:
	global_load_u8 v6, v[0:1], off
	s_mov_b32 s14, -1
	s_waitcnt vmcnt(0)
	v_cmp_ne_u16_e32 vcc_lo, 0, v6
	v_cndmask_b32_e64 v6, 0, 1.0, vcc_lo
	s_delay_alu instid0(VALU_DEP_1)
	v_lshrrev_b32_e32 v6, 16, v6
.LBB416_1426:
.LBB416_1427:
	s_and_not1_b32 vcc_lo, exec_lo, s14
	s_cbranch_vccnz .LBB416_1995
.LBB416_1428:
	v_add_nc_u32_e32 v0, s0, v3
	v_cmp_lt_i16_e64 s0, s10, 11
	s_delay_alu instid0(VALU_DEP_2) | instskip(SKIP_1) | instid1(VALU_DEP_2)
	v_ashrrev_i32_e32 v1, 31, v0
	v_add_co_u32 v0, vcc_lo, s6, v0
	v_add_co_ci_u32_e32 v1, vcc_lo, s7, v1, vcc_lo
	s_delay_alu instid0(VALU_DEP_4)
	s_and_b32 vcc_lo, exec_lo, s0
	s_cbranch_vccnz .LBB416_1435
; %bb.1429:
	v_cmp_gt_i16_e64 s0, s10, 25
	s_mov_b32 s1, 0
	s_delay_alu instid0(VALU_DEP_1)
	s_and_b32 vcc_lo, exec_lo, s0
	s_cbranch_vccz .LBB416_1436
; %bb.1430:
	v_cmp_gt_i16_e64 s0, s10, 28
	s_delay_alu instid0(VALU_DEP_1)
	s_and_b32 vcc_lo, exec_lo, s0
	s_cbranch_vccz .LBB416_1437
; %bb.1431:
	v_cmp_gt_i16_e64 s0, s10, 43
	s_delay_alu instid0(VALU_DEP_1)
	s_and_b32 vcc_lo, exec_lo, s0
	s_cbranch_vccz .LBB416_1438
; %bb.1432:
	v_cmp_gt_i16_e64 s0, s10, 45
	s_delay_alu instid0(VALU_DEP_1)
	s_and_b32 vcc_lo, exec_lo, s0
	s_cbranch_vccz .LBB416_1441
; %bb.1433:
	v_cmp_eq_u16_e64 s0, s10, 46
	s_mov_b32 s6, 0
	s_delay_alu instid0(VALU_DEP_1)
	s_and_b32 vcc_lo, exec_lo, s0
	s_cbranch_vccz .LBB416_1444
; %bb.1434:
	global_load_b32 v7, v[0:1], off
	s_mov_b32 s0, 0
	s_mov_b32 s3, -1
	s_branch .LBB416_1446
.LBB416_1435:
	s_mov_b32 s0, -1
	s_mov_b32 s3, 0
                                        ; implicit-def: $vgpr7
	s_branch .LBB416_1512
.LBB416_1436:
	s_mov_b32 s6, -1
	s_mov_b32 s3, 0
	s_mov_b32 s0, 0
                                        ; implicit-def: $vgpr7
	s_branch .LBB416_1475
.LBB416_1437:
	s_mov_b32 s6, -1
	s_mov_b32 s3, 0
	s_mov_b32 s0, 0
                                        ; implicit-def: $vgpr7
	s_branch .LBB416_1456
.LBB416_1438:
	s_mov_b32 s6, -1
	s_mov_b32 s3, 0
	s_mov_b32 s0, 0
                                        ; implicit-def: $vgpr7
	s_branch .LBB416_1451
.LBB416_1439:
	s_cbranch_execnz .LBB416_1442
; %bb.1440:
	s_or_b32 s11, s11, exec_lo
                                        ; implicit-def: $vgpr6
	s_cbranch_execz .LBB416_1425
	s_branch .LBB416_1426
.LBB416_1441:
	s_mov_b32 s6, -1
	s_mov_b32 s3, 0
	s_mov_b32 s0, 0
	s_branch .LBB416_1445
.LBB416_1442:
	s_trap 2
	s_sendmsg_rtn_b32 s0, sendmsg(MSG_RTN_GET_DOORBELL)
	s_mov_b32 ttmp2, m0
	s_waitcnt lgkmcnt(0)
	s_and_b32 s0, s0, 0x3ff
	s_delay_alu instid0(SALU_CYCLE_1) | instskip(NEXT) | instid1(SALU_CYCLE_1)
	s_bitset1_b32 s0, 10
	s_mov_b32 m0, s0
	s_sendmsg sendmsg(MSG_INTERRUPT)
	s_mov_b32 m0, ttmp2
.LBB416_1443:                           ; =>This Inner Loop Header: Depth=1
	s_sethalt 5
	s_branch .LBB416_1443
.LBB416_1444:
	s_mov_b32 s0, -1
	s_mov_b32 s3, 0
.LBB416_1445:
                                        ; implicit-def: $vgpr7
.LBB416_1446:
	s_and_b32 vcc_lo, exec_lo, s6
	s_cbranch_vccz .LBB416_1450
; %bb.1447:
	v_cmp_eq_u16_e64 s0, s10, 44
	s_delay_alu instid0(VALU_DEP_1)
	s_and_b32 vcc_lo, exec_lo, s0
	s_cbranch_vccz .LBB416_1449
; %bb.1448:
	global_load_u8 v3, v[0:1], off
	s_mov_b32 s0, 0
	s_mov_b32 s3, -1
	s_waitcnt vmcnt(0)
	v_lshlrev_b32_e32 v7, 23, v3
	v_cmp_ne_u32_e32 vcc_lo, 0xff, v3
	s_delay_alu instid0(VALU_DEP_2) | instskip(SKIP_1) | instid1(VALU_DEP_2)
	v_cndmask_b32_e32 v7, 0x7f800001, v7, vcc_lo
	v_cmp_ne_u32_e32 vcc_lo, 0, v3
	v_cndmask_b32_e32 v3, 0x400000, v7, vcc_lo
	s_delay_alu instid0(VALU_DEP_1) | instskip(SKIP_1) | instid1(VALU_DEP_2)
	v_add_nc_u32_e32 v7, 0x7fff, v3
	v_cmp_o_f32_e32 vcc_lo, v3, v3
	v_lshrrev_b32_e32 v7, 16, v7
	s_delay_alu instid0(VALU_DEP_1)
	v_cndmask_b32_e32 v7, 0x7fc0, v7, vcc_lo
	s_branch .LBB416_1450
.LBB416_1449:
	s_mov_b32 s0, -1
                                        ; implicit-def: $vgpr7
.LBB416_1450:
	s_mov_b32 s6, 0
.LBB416_1451:
	s_delay_alu instid0(SALU_CYCLE_1)
	s_and_b32 vcc_lo, exec_lo, s6
	s_cbranch_vccz .LBB416_1455
; %bb.1452:
	v_cmp_eq_u16_e64 s0, s10, 29
	s_delay_alu instid0(VALU_DEP_1)
	s_and_b32 vcc_lo, exec_lo, s0
	s_cbranch_vccz .LBB416_1454
; %bb.1453:
	global_load_b64 v[7:8], v[0:1], off
	s_mov_b32 s0, 0
	s_mov_b32 s3, -1
	s_mov_b32 s6, 0
	s_waitcnt vmcnt(0)
	v_clz_i32_u32_e32 v3, v8
	s_delay_alu instid0(VALU_DEP_1) | instskip(NEXT) | instid1(VALU_DEP_1)
	v_min_u32_e32 v3, 32, v3
	v_lshlrev_b64 v[7:8], v3, v[7:8]
	v_sub_nc_u32_e32 v3, 32, v3
	s_delay_alu instid0(VALU_DEP_2) | instskip(NEXT) | instid1(VALU_DEP_1)
	v_min_u32_e32 v7, 1, v7
	v_or_b32_e32 v7, v8, v7
	s_delay_alu instid0(VALU_DEP_1) | instskip(NEXT) | instid1(VALU_DEP_1)
	v_cvt_f32_u32_e32 v7, v7
	v_ldexp_f32 v3, v7, v3
	s_delay_alu instid0(VALU_DEP_1) | instskip(NEXT) | instid1(VALU_DEP_1)
	v_bfe_u32 v7, v3, 16, 1
	v_add3_u32 v3, v3, v7, 0x7fff
	s_delay_alu instid0(VALU_DEP_1)
	v_lshrrev_b32_e32 v7, 16, v3
	s_branch .LBB416_1456
.LBB416_1454:
	s_mov_b32 s0, -1
                                        ; implicit-def: $vgpr7
.LBB416_1455:
	s_mov_b32 s6, 0
.LBB416_1456:
	s_delay_alu instid0(SALU_CYCLE_1)
	s_and_b32 vcc_lo, exec_lo, s6
	s_cbranch_vccz .LBB416_1474
; %bb.1457:
	v_cmp_lt_i16_e64 s3, s10, 27
	s_delay_alu instid0(VALU_DEP_1)
	s_and_b32 vcc_lo, exec_lo, s3
	s_cbranch_vccnz .LBB416_1460
; %bb.1458:
	v_cmp_gt_i16_e64 s3, s10, 27
	s_delay_alu instid0(VALU_DEP_1)
	s_and_b32 vcc_lo, exec_lo, s3
	s_cbranch_vccz .LBB416_1461
; %bb.1459:
	global_load_b32 v3, v[0:1], off
	s_mov_b32 s3, 0
	s_waitcnt vmcnt(0)
	v_cvt_f32_u32_e32 v3, v3
	s_delay_alu instid0(VALU_DEP_1) | instskip(NEXT) | instid1(VALU_DEP_1)
	v_bfe_u32 v7, v3, 16, 1
	v_add3_u32 v3, v3, v7, 0x7fff
	s_delay_alu instid0(VALU_DEP_1)
	v_lshrrev_b32_e32 v7, 16, v3
	s_branch .LBB416_1462
.LBB416_1460:
	s_mov_b32 s3, -1
                                        ; implicit-def: $vgpr7
	s_branch .LBB416_1465
.LBB416_1461:
	s_mov_b32 s3, -1
                                        ; implicit-def: $vgpr7
.LBB416_1462:
	s_delay_alu instid0(SALU_CYCLE_1)
	s_and_not1_b32 vcc_lo, exec_lo, s3
	s_cbranch_vccnz .LBB416_1464
; %bb.1463:
	global_load_u16 v3, v[0:1], off
	s_waitcnt vmcnt(0)
	v_cvt_f32_u32_e32 v3, v3
	s_delay_alu instid0(VALU_DEP_1) | instskip(NEXT) | instid1(VALU_DEP_1)
	v_bfe_u32 v7, v3, 16, 1
	v_add3_u32 v3, v3, v7, 0x7fff
	s_delay_alu instid0(VALU_DEP_1)
	v_lshrrev_b32_e32 v7, 16, v3
.LBB416_1464:
	s_mov_b32 s3, 0
.LBB416_1465:
	s_delay_alu instid0(SALU_CYCLE_1)
	s_and_not1_b32 vcc_lo, exec_lo, s3
	s_cbranch_vccnz .LBB416_1473
; %bb.1466:
	global_load_u8 v3, v[0:1], off
	s_mov_b32 s3, 0
	s_mov_b32 s7, exec_lo
                                        ; implicit-def: $sgpr6
	s_waitcnt vmcnt(0)
	v_cmpx_lt_i16_e32 0x7f, v3
	s_xor_b32 s7, exec_lo, s7
	s_cbranch_execz .LBB416_1487
; %bb.1467:
	s_mov_b32 s3, -1
	s_mov_b32 s14, exec_lo
                                        ; implicit-def: $sgpr6
	v_cmpx_eq_u16_e32 0x80, v3
; %bb.1468:
	s_mov_b32 s6, 0x7f800001
	s_xor_b32 s3, exec_lo, -1
; %bb.1469:
	s_or_b32 exec_lo, exec_lo, s14
	s_delay_alu instid0(SALU_CYCLE_1)
	s_and_b32 s3, s3, exec_lo
	s_or_saveexec_b32 s7, s7
	v_mov_b32_e32 v7, s6
	s_xor_b32 exec_lo, exec_lo, s7
	s_cbranch_execnz .LBB416_1488
.LBB416_1470:
	s_or_b32 exec_lo, exec_lo, s7
	s_and_saveexec_b32 s6, s3
	s_cbranch_execz .LBB416_1472
.LBB416_1471:
	v_and_b32_e32 v7, 0xffff, v3
	v_lshlrev_b32_e32 v3, 24, v3
	s_delay_alu instid0(VALU_DEP_2) | instskip(NEXT) | instid1(VALU_DEP_2)
	v_and_b32_e32 v8, 7, v7
	v_and_b32_e32 v3, 0x80000000, v3
	s_delay_alu instid0(VALU_DEP_2) | instskip(NEXT) | instid1(VALU_DEP_1)
	v_clz_i32_u32_e32 v9, v8
	v_min_u32_e32 v9, 32, v9
	s_delay_alu instid0(VALU_DEP_1) | instskip(SKIP_1) | instid1(VALU_DEP_2)
	v_subrev_nc_u32_e32 v10, 28, v9
	v_sub_nc_u32_e32 v9, 29, v9
	v_lshlrev_b32_e32 v10, v10, v7
	v_bfe_u32 v7, v7, 3, 4
	s_delay_alu instid0(VALU_DEP_2) | instskip(NEXT) | instid1(VALU_DEP_2)
	v_and_b32_e32 v10, 7, v10
	v_cmp_eq_u32_e32 vcc_lo, 0, v7
	s_delay_alu instid0(VALU_DEP_2) | instskip(NEXT) | instid1(VALU_DEP_1)
	v_dual_cndmask_b32 v7, v7, v9 :: v_dual_cndmask_b32 v8, v8, v10
	v_lshl_add_u32 v7, v7, 23, 0x3b800000
	s_delay_alu instid0(VALU_DEP_2) | instskip(NEXT) | instid1(VALU_DEP_1)
	v_lshlrev_b32_e32 v8, 20, v8
	v_or3_b32 v7, v3, v7, v8
.LBB416_1472:
	s_or_b32 exec_lo, exec_lo, s6
	s_delay_alu instid0(VALU_DEP_1) | instskip(SKIP_1) | instid1(VALU_DEP_2)
	v_bfe_u32 v3, v7, 16, 1
	v_cmp_o_f32_e32 vcc_lo, v7, v7
	v_add3_u32 v3, v7, v3, 0x7fff
	s_delay_alu instid0(VALU_DEP_1) | instskip(NEXT) | instid1(VALU_DEP_1)
	v_lshrrev_b32_e32 v3, 16, v3
	v_cndmask_b32_e32 v7, 0x7fc0, v3, vcc_lo
.LBB416_1473:
	s_mov_b32 s3, -1
.LBB416_1474:
	s_mov_b32 s6, 0
.LBB416_1475:
	s_delay_alu instid0(SALU_CYCLE_1)
	s_and_b32 vcc_lo, exec_lo, s6
	s_cbranch_vccz .LBB416_1508
; %bb.1476:
	v_cmp_gt_i16_e64 s1, s10, 22
	s_delay_alu instid0(VALU_DEP_1)
	s_and_b32 vcc_lo, exec_lo, s1
	s_cbranch_vccz .LBB416_1486
; %bb.1477:
	v_cmp_lt_i16_e64 s1, s10, 24
	s_delay_alu instid0(VALU_DEP_1)
	s_and_b32 vcc_lo, exec_lo, s1
	s_cbranch_vccnz .LBB416_1489
; %bb.1478:
	v_cmp_gt_i16_e64 s1, s10, 24
	s_delay_alu instid0(VALU_DEP_1)
	s_and_b32 vcc_lo, exec_lo, s1
	s_cbranch_vccz .LBB416_1490
; %bb.1479:
	global_load_u8 v3, v[0:1], off
	s_mov_b32 s1, 0
	s_mov_b32 s6, exec_lo
                                        ; implicit-def: $sgpr3
	s_waitcnt vmcnt(0)
	v_cmpx_lt_i16_e32 0x7f, v3
	s_xor_b32 s6, exec_lo, s6
	s_cbranch_execz .LBB416_1502
; %bb.1480:
	s_mov_b32 s1, -1
	s_mov_b32 s7, exec_lo
                                        ; implicit-def: $sgpr3
	v_cmpx_eq_u16_e32 0x80, v3
; %bb.1481:
	s_mov_b32 s3, 0x7f800001
	s_xor_b32 s1, exec_lo, -1
; %bb.1482:
	s_or_b32 exec_lo, exec_lo, s7
	s_delay_alu instid0(SALU_CYCLE_1)
	s_and_b32 s1, s1, exec_lo
	s_or_saveexec_b32 s6, s6
	v_mov_b32_e32 v7, s3
	s_xor_b32 exec_lo, exec_lo, s6
	s_cbranch_execnz .LBB416_1503
.LBB416_1483:
	s_or_b32 exec_lo, exec_lo, s6
	s_and_saveexec_b32 s3, s1
	s_cbranch_execz .LBB416_1485
.LBB416_1484:
	v_and_b32_e32 v7, 0xffff, v3
	v_lshlrev_b32_e32 v3, 24, v3
	s_delay_alu instid0(VALU_DEP_2) | instskip(NEXT) | instid1(VALU_DEP_2)
	v_and_b32_e32 v8, 3, v7
	v_and_b32_e32 v3, 0x80000000, v3
	s_delay_alu instid0(VALU_DEP_2) | instskip(NEXT) | instid1(VALU_DEP_1)
	v_clz_i32_u32_e32 v9, v8
	v_min_u32_e32 v9, 32, v9
	s_delay_alu instid0(VALU_DEP_1) | instskip(SKIP_1) | instid1(VALU_DEP_2)
	v_subrev_nc_u32_e32 v10, 29, v9
	v_sub_nc_u32_e32 v9, 30, v9
	v_lshlrev_b32_e32 v10, v10, v7
	v_bfe_u32 v7, v7, 2, 5
	s_delay_alu instid0(VALU_DEP_2) | instskip(NEXT) | instid1(VALU_DEP_2)
	v_and_b32_e32 v10, 3, v10
	v_cmp_eq_u32_e32 vcc_lo, 0, v7
	s_delay_alu instid0(VALU_DEP_2) | instskip(NEXT) | instid1(VALU_DEP_1)
	v_dual_cndmask_b32 v7, v7, v9 :: v_dual_cndmask_b32 v8, v8, v10
	v_lshl_add_u32 v7, v7, 23, 0x37800000
	s_delay_alu instid0(VALU_DEP_2) | instskip(NEXT) | instid1(VALU_DEP_1)
	v_lshlrev_b32_e32 v8, 21, v8
	v_or3_b32 v7, v3, v7, v8
.LBB416_1485:
	s_or_b32 exec_lo, exec_lo, s3
	s_delay_alu instid0(VALU_DEP_1) | instskip(SKIP_2) | instid1(VALU_DEP_2)
	v_bfe_u32 v3, v7, 16, 1
	v_cmp_o_f32_e32 vcc_lo, v7, v7
	s_mov_b32 s1, 0
	v_add3_u32 v3, v7, v3, 0x7fff
	s_delay_alu instid0(VALU_DEP_1) | instskip(NEXT) | instid1(VALU_DEP_1)
	v_lshrrev_b32_e32 v3, 16, v3
	v_cndmask_b32_e32 v7, 0x7fc0, v3, vcc_lo
	s_branch .LBB416_1491
.LBB416_1486:
	s_mov_b32 s1, -1
                                        ; implicit-def: $vgpr7
	s_branch .LBB416_1497
.LBB416_1487:
	s_or_saveexec_b32 s7, s7
	v_mov_b32_e32 v7, s6
	s_xor_b32 exec_lo, exec_lo, s7
	s_cbranch_execz .LBB416_1470
.LBB416_1488:
	v_cmp_ne_u16_e32 vcc_lo, 0, v3
	v_mov_b32_e32 v7, 0
	s_and_not1_b32 s3, s3, exec_lo
	s_and_b32 s6, vcc_lo, exec_lo
	s_delay_alu instid0(SALU_CYCLE_1)
	s_or_b32 s3, s3, s6
	s_or_b32 exec_lo, exec_lo, s7
	s_and_saveexec_b32 s6, s3
	s_cbranch_execnz .LBB416_1471
	s_branch .LBB416_1472
.LBB416_1489:
	s_mov_b32 s1, -1
                                        ; implicit-def: $vgpr7
	s_branch .LBB416_1494
.LBB416_1490:
	s_mov_b32 s1, -1
                                        ; implicit-def: $vgpr7
.LBB416_1491:
	s_delay_alu instid0(SALU_CYCLE_1)
	s_and_b32 vcc_lo, exec_lo, s1
	s_cbranch_vccz .LBB416_1493
; %bb.1492:
	global_load_u8 v3, v[0:1], off
	s_waitcnt vmcnt(0)
	v_lshlrev_b32_e32 v3, 24, v3
	s_delay_alu instid0(VALU_DEP_1) | instskip(NEXT) | instid1(VALU_DEP_1)
	v_and_b32_e32 v7, 0x7f000000, v3
	v_clz_i32_u32_e32 v8, v7
	v_cmp_ne_u32_e32 vcc_lo, 0, v7
	v_add_nc_u32_e32 v10, 0x1000000, v7
	s_delay_alu instid0(VALU_DEP_3) | instskip(NEXT) | instid1(VALU_DEP_1)
	v_min_u32_e32 v8, 32, v8
	v_sub_nc_u32_e64 v8, v8, 4 clamp
	s_delay_alu instid0(VALU_DEP_1) | instskip(SKIP_1) | instid1(VALU_DEP_2)
	v_lshlrev_b32_e32 v9, v8, v7
	v_lshlrev_b32_e32 v8, 23, v8
	v_lshrrev_b32_e32 v9, 4, v9
	s_delay_alu instid0(VALU_DEP_1) | instskip(SKIP_1) | instid1(VALU_DEP_2)
	v_sub_nc_u32_e32 v8, v9, v8
	v_ashrrev_i32_e32 v9, 8, v10
	v_add_nc_u32_e32 v8, 0x3c000000, v8
	s_delay_alu instid0(VALU_DEP_1) | instskip(NEXT) | instid1(VALU_DEP_1)
	v_and_or_b32 v8, 0x7f800000, v9, v8
	v_cndmask_b32_e32 v7, 0, v8, vcc_lo
	s_delay_alu instid0(VALU_DEP_1) | instskip(SKIP_1) | instid1(VALU_DEP_2)
	v_and_or_b32 v3, 0x80000000, v3, v7
	v_bfe_u32 v7, v7, 16, 1
	v_cmp_o_f32_e32 vcc_lo, v3, v3
	s_delay_alu instid0(VALU_DEP_2) | instskip(NEXT) | instid1(VALU_DEP_1)
	v_add3_u32 v7, v3, v7, 0x7fff
	v_lshrrev_b32_e32 v7, 16, v7
	s_delay_alu instid0(VALU_DEP_1)
	v_cndmask_b32_e32 v7, 0x7fc0, v7, vcc_lo
.LBB416_1493:
	s_mov_b32 s1, 0
.LBB416_1494:
	s_delay_alu instid0(SALU_CYCLE_1)
	s_and_not1_b32 vcc_lo, exec_lo, s1
	s_cbranch_vccnz .LBB416_1496
; %bb.1495:
	global_load_u8 v3, v[0:1], off
	s_waitcnt vmcnt(0)
	v_lshlrev_b32_e32 v7, 25, v3
	v_lshlrev_b16 v3, 8, v3
	s_delay_alu instid0(VALU_DEP_2) | instskip(NEXT) | instid1(VALU_DEP_2)
	v_lshrrev_b32_e32 v8, 4, v7
	v_and_or_b32 v9, 0x7f00, v3, 0.5
	v_bfe_i32 v3, v3, 0, 16
	s_delay_alu instid0(VALU_DEP_3) | instskip(NEXT) | instid1(VALU_DEP_1)
	v_or_b32_e32 v8, 0x70000000, v8
	v_dual_add_f32 v9, -0.5, v9 :: v_dual_mul_f32 v8, 0x7800000, v8
	v_cmp_gt_u32_e32 vcc_lo, 0x8000000, v7
	s_delay_alu instid0(VALU_DEP_2) | instskip(NEXT) | instid1(VALU_DEP_1)
	v_cndmask_b32_e32 v7, v8, v9, vcc_lo
	v_and_or_b32 v3, 0x80000000, v3, v7
	v_bfe_u32 v7, v7, 16, 1
	s_delay_alu instid0(VALU_DEP_2) | instskip(NEXT) | instid1(VALU_DEP_2)
	v_cmp_o_f32_e32 vcc_lo, v3, v3
	v_add3_u32 v7, v3, v7, 0x7fff
	s_delay_alu instid0(VALU_DEP_1) | instskip(NEXT) | instid1(VALU_DEP_1)
	v_lshrrev_b32_e32 v7, 16, v7
	v_cndmask_b32_e32 v7, 0x7fc0, v7, vcc_lo
.LBB416_1496:
	s_mov_b32 s1, 0
	s_mov_b32 s3, -1
.LBB416_1497:
	s_and_not1_b32 vcc_lo, exec_lo, s1
	s_mov_b32 s1, 0
	s_cbranch_vccnz .LBB416_1508
; %bb.1498:
	v_cmp_gt_i16_e64 s1, s10, 14
	s_delay_alu instid0(VALU_DEP_1)
	s_and_b32 vcc_lo, exec_lo, s1
	s_cbranch_vccz .LBB416_1501
; %bb.1499:
	v_cmp_eq_u16_e64 s0, s10, 15
	s_delay_alu instid0(VALU_DEP_1)
	s_and_b32 vcc_lo, exec_lo, s0
	s_cbranch_vccz .LBB416_1504
; %bb.1500:
	global_load_u16 v7, v[0:1], off
	s_mov_b32 s0, 0
	s_mov_b32 s3, -1
	s_branch .LBB416_1505
.LBB416_1501:
	s_mov_b32 s1, -1
                                        ; implicit-def: $vgpr7
	s_branch .LBB416_1506
.LBB416_1502:
	s_or_saveexec_b32 s6, s6
	v_mov_b32_e32 v7, s3
	s_xor_b32 exec_lo, exec_lo, s6
	s_cbranch_execz .LBB416_1483
.LBB416_1503:
	v_cmp_ne_u16_e32 vcc_lo, 0, v3
	v_mov_b32_e32 v7, 0
	s_and_not1_b32 s1, s1, exec_lo
	s_and_b32 s3, vcc_lo, exec_lo
	s_delay_alu instid0(SALU_CYCLE_1)
	s_or_b32 s1, s1, s3
	s_or_b32 exec_lo, exec_lo, s6
	s_and_saveexec_b32 s3, s1
	s_cbranch_execnz .LBB416_1484
	s_branch .LBB416_1485
.LBB416_1504:
	s_mov_b32 s0, -1
                                        ; implicit-def: $vgpr7
.LBB416_1505:
	s_mov_b32 s1, 0
.LBB416_1506:
	s_delay_alu instid0(SALU_CYCLE_1)
	s_and_b32 vcc_lo, exec_lo, s1
	s_mov_b32 s1, 0
	s_cbranch_vccz .LBB416_1508
; %bb.1507:
	v_cmp_ne_u16_e64 s0, s10, 11
	s_mov_b32 s1, -1
                                        ; implicit-def: $vgpr7
.LBB416_1508:
	s_delay_alu instid0(VALU_DEP_1)
	s_and_b32 vcc_lo, exec_lo, s0
	s_cbranch_vccnz .LBB416_2041
; %bb.1509:
	s_and_not1_b32 vcc_lo, exec_lo, s1
	s_cbranch_vccnz .LBB416_1511
.LBB416_1510:
	global_load_u8 v3, v[0:1], off
	s_mov_b32 s3, -1
	s_waitcnt vmcnt(0)
	v_cmp_ne_u16_e32 vcc_lo, 0, v3
	v_cndmask_b32_e64 v3, 0, 1.0, vcc_lo
	s_delay_alu instid0(VALU_DEP_1)
	v_lshrrev_b32_e32 v7, 16, v3
.LBB416_1511:
	s_mov_b32 s0, 0
.LBB416_1512:
	s_delay_alu instid0(SALU_CYCLE_1)
	s_and_b32 vcc_lo, exec_lo, s0
	s_cbranch_vccz .LBB416_1561
; %bb.1513:
	v_cmp_lt_i16_e64 s0, s10, 5
	s_delay_alu instid0(VALU_DEP_1)
	s_and_b32 vcc_lo, exec_lo, s0
	s_cbranch_vccnz .LBB416_1518
; %bb.1514:
	v_cmp_lt_i16_e64 s0, s10, 8
	s_delay_alu instid0(VALU_DEP_1)
	s_and_b32 vcc_lo, exec_lo, s0
	s_cbranch_vccnz .LBB416_1519
	;; [unrolled: 5-line block ×3, first 2 shown]
; %bb.1516:
	v_cmp_gt_i16_e64 s0, s10, 9
	s_delay_alu instid0(VALU_DEP_1)
	s_and_b32 vcc_lo, exec_lo, s0
	s_cbranch_vccz .LBB416_1521
; %bb.1517:
	global_load_b64 v[7:8], v[0:1], off
	s_mov_b32 s0, 0
	s_waitcnt vmcnt(0)
	v_cvt_f32_f64_e32 v3, v[7:8]
	s_delay_alu instid0(VALU_DEP_1) | instskip(SKIP_1) | instid1(VALU_DEP_2)
	v_bfe_u32 v7, v3, 16, 1
	v_cmp_o_f32_e32 vcc_lo, v3, v3
	v_add3_u32 v7, v3, v7, 0x7fff
	s_delay_alu instid0(VALU_DEP_1) | instskip(NEXT) | instid1(VALU_DEP_1)
	v_lshrrev_b32_e32 v7, 16, v7
	v_cndmask_b32_e32 v7, 0x7fc0, v7, vcc_lo
	s_branch .LBB416_1522
.LBB416_1518:
	s_mov_b32 s0, -1
                                        ; implicit-def: $vgpr7
	s_branch .LBB416_1540
.LBB416_1519:
	s_mov_b32 s0, -1
                                        ; implicit-def: $vgpr7
	s_branch .LBB416_1528
.LBB416_1520:
	s_mov_b32 s0, -1
                                        ; implicit-def: $vgpr7
	s_branch .LBB416_1525
.LBB416_1521:
	s_mov_b32 s0, -1
                                        ; implicit-def: $vgpr7
.LBB416_1522:
	s_delay_alu instid0(SALU_CYCLE_1)
	s_and_not1_b32 vcc_lo, exec_lo, s0
	s_cbranch_vccnz .LBB416_1524
; %bb.1523:
	global_load_b32 v3, v[0:1], off
	s_waitcnt vmcnt(0)
	v_bfe_u32 v7, v3, 16, 1
	v_cmp_o_f32_e32 vcc_lo, v3, v3
	s_delay_alu instid0(VALU_DEP_2) | instskip(NEXT) | instid1(VALU_DEP_1)
	v_add3_u32 v7, v3, v7, 0x7fff
	v_lshrrev_b32_e32 v7, 16, v7
	s_delay_alu instid0(VALU_DEP_1)
	v_cndmask_b32_e32 v7, 0x7fc0, v7, vcc_lo
.LBB416_1524:
	s_mov_b32 s0, 0
.LBB416_1525:
	s_delay_alu instid0(SALU_CYCLE_1)
	s_and_not1_b32 vcc_lo, exec_lo, s0
	s_cbranch_vccnz .LBB416_1527
; %bb.1526:
	global_load_b32 v3, v[0:1], off
	s_waitcnt vmcnt(0)
	v_cvt_f32_f16_e32 v7, v3
	v_cmp_o_f16_e32 vcc_lo, v3, v3
	s_delay_alu instid0(VALU_DEP_2) | instskip(NEXT) | instid1(VALU_DEP_1)
	v_bfe_u32 v8, v7, 16, 1
	v_add3_u32 v7, v7, v8, 0x7fff
	s_delay_alu instid0(VALU_DEP_1) | instskip(NEXT) | instid1(VALU_DEP_1)
	v_lshrrev_b32_e32 v7, 16, v7
	v_cndmask_b32_e32 v7, 0x7fc0, v7, vcc_lo
.LBB416_1527:
	s_mov_b32 s0, 0
.LBB416_1528:
	s_delay_alu instid0(SALU_CYCLE_1)
	s_and_not1_b32 vcc_lo, exec_lo, s0
	s_cbranch_vccnz .LBB416_1539
; %bb.1529:
	v_cmp_lt_i16_e64 s0, s10, 6
	s_delay_alu instid0(VALU_DEP_1)
	s_and_b32 vcc_lo, exec_lo, s0
	s_cbranch_vccnz .LBB416_1532
; %bb.1530:
	v_cmp_gt_i16_e64 s0, s10, 6
	s_delay_alu instid0(VALU_DEP_1)
	s_and_b32 vcc_lo, exec_lo, s0
	s_cbranch_vccz .LBB416_1533
; %bb.1531:
	global_load_b64 v[7:8], v[0:1], off
	s_mov_b32 s0, 0
	s_waitcnt vmcnt(0)
	v_cvt_f32_f64_e32 v3, v[7:8]
	s_delay_alu instid0(VALU_DEP_1) | instskip(SKIP_1) | instid1(VALU_DEP_2)
	v_bfe_u32 v7, v3, 16, 1
	v_cmp_o_f32_e32 vcc_lo, v3, v3
	v_add3_u32 v7, v3, v7, 0x7fff
	s_delay_alu instid0(VALU_DEP_1) | instskip(NEXT) | instid1(VALU_DEP_1)
	v_lshrrev_b32_e32 v7, 16, v7
	v_cndmask_b32_e32 v7, 0x7fc0, v7, vcc_lo
	s_branch .LBB416_1534
.LBB416_1532:
	s_mov_b32 s0, -1
                                        ; implicit-def: $vgpr7
	s_branch .LBB416_1537
.LBB416_1533:
	s_mov_b32 s0, -1
                                        ; implicit-def: $vgpr7
.LBB416_1534:
	s_delay_alu instid0(SALU_CYCLE_1)
	s_and_not1_b32 vcc_lo, exec_lo, s0
	s_cbranch_vccnz .LBB416_1536
; %bb.1535:
	global_load_b32 v3, v[0:1], off
	s_waitcnt vmcnt(0)
	v_bfe_u32 v7, v3, 16, 1
	v_cmp_o_f32_e32 vcc_lo, v3, v3
	s_delay_alu instid0(VALU_DEP_2) | instskip(NEXT) | instid1(VALU_DEP_1)
	v_add3_u32 v7, v3, v7, 0x7fff
	v_lshrrev_b32_e32 v7, 16, v7
	s_delay_alu instid0(VALU_DEP_1)
	v_cndmask_b32_e32 v7, 0x7fc0, v7, vcc_lo
.LBB416_1536:
	s_mov_b32 s0, 0
.LBB416_1537:
	s_delay_alu instid0(SALU_CYCLE_1)
	s_and_not1_b32 vcc_lo, exec_lo, s0
	s_cbranch_vccnz .LBB416_1539
; %bb.1538:
	global_load_u16 v3, v[0:1], off
	s_waitcnt vmcnt(0)
	v_cvt_f32_f16_e32 v7, v3
	v_cmp_o_f16_e32 vcc_lo, v3, v3
	s_delay_alu instid0(VALU_DEP_2) | instskip(NEXT) | instid1(VALU_DEP_1)
	v_bfe_u32 v8, v7, 16, 1
	v_add3_u32 v7, v7, v8, 0x7fff
	s_delay_alu instid0(VALU_DEP_1) | instskip(NEXT) | instid1(VALU_DEP_1)
	v_lshrrev_b32_e32 v7, 16, v7
	v_cndmask_b32_e32 v7, 0x7fc0, v7, vcc_lo
.LBB416_1539:
	s_mov_b32 s0, 0
.LBB416_1540:
	s_delay_alu instid0(SALU_CYCLE_1)
	s_and_not1_b32 vcc_lo, exec_lo, s0
	s_cbranch_vccnz .LBB416_1560
; %bb.1541:
	v_cmp_lt_i16_e64 s0, s10, 2
	s_delay_alu instid0(VALU_DEP_1)
	s_and_b32 vcc_lo, exec_lo, s0
	s_cbranch_vccnz .LBB416_1545
; %bb.1542:
	v_cmp_lt_i16_e64 s0, s10, 3
	s_delay_alu instid0(VALU_DEP_1)
	s_and_b32 vcc_lo, exec_lo, s0
	s_cbranch_vccnz .LBB416_1546
; %bb.1543:
	v_cmp_gt_i16_e64 s0, s10, 3
	s_delay_alu instid0(VALU_DEP_1)
	s_and_b32 vcc_lo, exec_lo, s0
	s_cbranch_vccz .LBB416_1547
; %bb.1544:
	global_load_b64 v[7:8], v[0:1], off
	s_mov_b32 s0, 0
	s_waitcnt vmcnt(0)
	v_xor_b32_e32 v3, v7, v8
	v_cls_i32_e32 v9, v8
	s_delay_alu instid0(VALU_DEP_2) | instskip(NEXT) | instid1(VALU_DEP_2)
	v_ashrrev_i32_e32 v3, 31, v3
	v_add_nc_u32_e32 v9, -1, v9
	s_delay_alu instid0(VALU_DEP_2) | instskip(NEXT) | instid1(VALU_DEP_1)
	v_add_nc_u32_e32 v3, 32, v3
	v_min_u32_e32 v3, v9, v3
	s_delay_alu instid0(VALU_DEP_1) | instskip(SKIP_1) | instid1(VALU_DEP_2)
	v_lshlrev_b64 v[7:8], v3, v[7:8]
	v_sub_nc_u32_e32 v3, 32, v3
	v_min_u32_e32 v7, 1, v7
	s_delay_alu instid0(VALU_DEP_1) | instskip(NEXT) | instid1(VALU_DEP_1)
	v_or_b32_e32 v7, v8, v7
	v_cvt_f32_i32_e32 v7, v7
	s_delay_alu instid0(VALU_DEP_1) | instskip(NEXT) | instid1(VALU_DEP_1)
	v_ldexp_f32 v3, v7, v3
	v_bfe_u32 v7, v3, 16, 1
	s_delay_alu instid0(VALU_DEP_1) | instskip(NEXT) | instid1(VALU_DEP_1)
	v_add3_u32 v3, v3, v7, 0x7fff
	v_lshrrev_b32_e32 v7, 16, v3
	s_branch .LBB416_1548
.LBB416_1545:
	s_mov_b32 s0, -1
                                        ; implicit-def: $vgpr7
	s_branch .LBB416_1554
.LBB416_1546:
	s_mov_b32 s0, -1
                                        ; implicit-def: $vgpr7
	s_branch .LBB416_1551
.LBB416_1547:
	s_mov_b32 s0, -1
                                        ; implicit-def: $vgpr7
.LBB416_1548:
	s_delay_alu instid0(SALU_CYCLE_1)
	s_and_not1_b32 vcc_lo, exec_lo, s0
	s_cbranch_vccnz .LBB416_1550
; %bb.1549:
	global_load_b32 v3, v[0:1], off
	s_waitcnt vmcnt(0)
	v_cvt_f32_i32_e32 v3, v3
	s_delay_alu instid0(VALU_DEP_1) | instskip(NEXT) | instid1(VALU_DEP_1)
	v_bfe_u32 v7, v3, 16, 1
	v_add3_u32 v3, v3, v7, 0x7fff
	s_delay_alu instid0(VALU_DEP_1)
	v_lshrrev_b32_e32 v7, 16, v3
.LBB416_1550:
	s_mov_b32 s0, 0
.LBB416_1551:
	s_delay_alu instid0(SALU_CYCLE_1)
	s_and_not1_b32 vcc_lo, exec_lo, s0
	s_cbranch_vccnz .LBB416_1553
; %bb.1552:
	global_load_i16 v3, v[0:1], off
	s_waitcnt vmcnt(0)
	v_cvt_f32_i32_e32 v3, v3
	s_delay_alu instid0(VALU_DEP_1) | instskip(NEXT) | instid1(VALU_DEP_1)
	v_bfe_u32 v7, v3, 16, 1
	v_add3_u32 v3, v3, v7, 0x7fff
	s_delay_alu instid0(VALU_DEP_1)
	v_lshrrev_b32_e32 v7, 16, v3
.LBB416_1553:
	s_mov_b32 s0, 0
.LBB416_1554:
	s_delay_alu instid0(SALU_CYCLE_1)
	s_and_not1_b32 vcc_lo, exec_lo, s0
	s_cbranch_vccnz .LBB416_1560
; %bb.1555:
	v_cmp_gt_i16_e64 s0, s10, 0
	s_delay_alu instid0(VALU_DEP_1)
	s_and_b32 vcc_lo, exec_lo, s0
	s_mov_b32 s0, 0
	s_cbranch_vccz .LBB416_1557
; %bb.1556:
	global_load_i8 v3, v[0:1], off
	s_waitcnt vmcnt(0)
	v_cvt_f32_i32_e32 v3, v3
	s_delay_alu instid0(VALU_DEP_1) | instskip(NEXT) | instid1(VALU_DEP_1)
	v_bfe_u32 v7, v3, 16, 1
	v_add3_u32 v3, v3, v7, 0x7fff
	s_delay_alu instid0(VALU_DEP_1)
	v_lshrrev_b32_e32 v7, 16, v3
	s_branch .LBB416_1558
.LBB416_1557:
	s_mov_b32 s0, -1
                                        ; implicit-def: $vgpr7
.LBB416_1558:
	s_delay_alu instid0(SALU_CYCLE_1)
	s_and_not1_b32 vcc_lo, exec_lo, s0
	s_cbranch_vccnz .LBB416_1560
; %bb.1559:
	global_load_u8 v0, v[0:1], off
	s_waitcnt vmcnt(0)
	v_cvt_f32_ubyte0_e32 v0, v0
	s_delay_alu instid0(VALU_DEP_1) | instskip(NEXT) | instid1(VALU_DEP_1)
	v_bfe_u32 v1, v0, 16, 1
	v_add3_u32 v0, v0, v1, 0x7fff
	s_delay_alu instid0(VALU_DEP_1)
	v_lshrrev_b32_e32 v7, 16, v0
.LBB416_1560:
	s_mov_b32 s3, -1
.LBB416_1561:
	s_delay_alu instid0(SALU_CYCLE_1)
	s_and_not1_b32 vcc_lo, exec_lo, s3
	s_cbranch_vccnz .LBB416_1995
; %bb.1562:
	s_waitcnt vmcnt(0)
	v_lshlrev_b32_e32 v0, 16, v4
	v_mul_lo_u32 v2, s2, v2
	s_lshl_b32 s3, s8, 16
	v_and_b32_e64 v3, 0xff, s9
	s_delay_alu instid0(VALU_DEP_3) | instskip(SKIP_1) | instid1(VALU_DEP_3)
	v_cmp_u_f32_e32 vcc_lo, v0, v0
	v_cmp_lt_f32_e64 s0, s3, v0
	v_cmp_gt_i16_e64 s1, 11, v3
	v_ashrrev_i32_e32 v1, 31, v2
	s_delay_alu instid0(VALU_DEP_3) | instskip(SKIP_2) | instid1(VALU_DEP_3)
	s_or_b32 vcc_lo, vcc_lo, s0
	v_cndmask_b32_e32 v4, s8, v4, vcc_lo
	v_add_co_u32 v0, vcc_lo, s4, v2
	v_add_co_ci_u32_e32 v1, vcc_lo, s5, v1, vcc_lo
	s_and_b32 vcc_lo, exec_lo, s1
	s_cbranch_vccnz .LBB416_1640
; %bb.1563:
	v_cmp_lt_i16_e32 vcc_lo, 25, v3
	s_mov_b32 s7, -1
	s_mov_b32 s1, 0
	s_mov_b32 s6, 0
	;; [unrolled: 1-line block ×3, first 2 shown]
	s_cbranch_vccz .LBB416_1596
; %bb.1564:
	v_cmp_lt_i16_e32 vcc_lo, 28, v3
	s_cbranch_vccz .LBB416_1579
; %bb.1565:
	v_cmp_lt_i16_e32 vcc_lo, 43, v3
	;; [unrolled: 3-line block ×3, first 2 shown]
	s_cbranch_vccz .LBB416_1569
; %bb.1567:
	v_cmp_eq_u16_e32 vcc_lo, 46, v3
	s_mov_b32 s0, -1
	s_mov_b32 s7, 0
	s_cbranch_vccz .LBB416_1569
; %bb.1568:
	v_and_b32_e32 v8, 0xffff, v4
	s_mov_b32 s0, 0
	s_mov_b32 s6, -1
	global_store_b32 v[0:1], v8, off
.LBB416_1569:
	s_and_b32 vcc_lo, exec_lo, s7
	s_cbranch_vccz .LBB416_1574
; %bb.1570:
	v_cmp_eq_u16_e32 vcc_lo, 44, v3
	s_mov_b32 s0, -1
	s_cbranch_vccz .LBB416_1574
; %bb.1571:
	v_and_b32_e32 v8, 0xffff, v4
	v_mov_b32_e32 v9, 0xff
	s_mov_b32 s6, exec_lo
	s_delay_alu instid0(VALU_DEP_2) | instskip(NEXT) | instid1(VALU_DEP_1)
	v_bfe_u32 v10, v8, 7, 8
	v_cmpx_ne_u32_e32 0xff, v10
; %bb.1572:
	v_lshlrev_b32_e32 v9, 16, v8
	v_and_b32_e32 v11, 64, v8
	v_lshrrev_b32_e32 v8, 7, v8
	s_delay_alu instid0(VALU_DEP_3) | instskip(NEXT) | instid1(VALU_DEP_3)
	v_and_or_b32 v9, 0x3f0000, v9, v10
	v_cmp_ne_u32_e32 vcc_lo, 0, v11
	s_delay_alu instid0(VALU_DEP_2) | instskip(NEXT) | instid1(VALU_DEP_1)
	v_cmp_ne_u32_e64 s0, 0, v9
	s_and_b32 s0, vcc_lo, s0
	s_delay_alu instid0(SALU_CYCLE_1) | instskip(NEXT) | instid1(VALU_DEP_1)
	v_cndmask_b32_e64 v9, 0, 1, s0
	v_add_nc_u32_e32 v9, v8, v9
; %bb.1573:
	s_or_b32 exec_lo, exec_lo, s6
	s_mov_b32 s0, 0
	s_mov_b32 s6, -1
	global_store_b8 v[0:1], v9, off
.LBB416_1574:
	s_mov_b32 s7, 0
.LBB416_1575:
	s_delay_alu instid0(SALU_CYCLE_1)
	s_and_b32 vcc_lo, exec_lo, s7
	s_cbranch_vccz .LBB416_1578
; %bb.1576:
	v_cmp_eq_u16_e32 vcc_lo, 29, v3
	s_mov_b32 s0, -1
	s_cbranch_vccz .LBB416_1578
; %bb.1577:
	v_lshlrev_b32_e32 v8, 16, v4
	s_mov_b32 s0, 0
	s_mov_b32 s6, -1
	s_delay_alu instid0(VALU_DEP_1) | instskip(NEXT) | instid1(VALU_DEP_1)
	v_trunc_f32_e32 v8, v8
	v_mul_f32_e32 v9, 0x2f800000, v8
	s_delay_alu instid0(VALU_DEP_1) | instskip(NEXT) | instid1(VALU_DEP_1)
	v_floor_f32_e32 v9, v9
	v_fmamk_f32 v8, v9, 0xcf800000, v8
	v_cvt_u32_f32_e32 v9, v9
	s_delay_alu instid0(VALU_DEP_2)
	v_cvt_u32_f32_e32 v8, v8
	global_store_b64 v[0:1], v[8:9], off
.LBB416_1578:
	s_mov_b32 s7, 0
.LBB416_1579:
	s_delay_alu instid0(SALU_CYCLE_1)
	s_and_b32 vcc_lo, exec_lo, s7
	s_cbranch_vccz .LBB416_1595
; %bb.1580:
	v_cmp_gt_i16_e32 vcc_lo, 27, v3
	s_mov_b32 s6, -1
	s_cbranch_vccnz .LBB416_1586
; %bb.1581:
	v_cmp_lt_i16_e32 vcc_lo, 27, v3
	s_cbranch_vccz .LBB416_1583
; %bb.1582:
	v_lshlrev_b32_e32 v8, 16, v4
	s_mov_b32 s6, 0
	s_delay_alu instid0(VALU_DEP_1)
	v_cvt_u32_f32_e32 v8, v8
	global_store_b32 v[0:1], v8, off
.LBB416_1583:
	s_and_not1_b32 vcc_lo, exec_lo, s6
	s_cbranch_vccnz .LBB416_1585
; %bb.1584:
	v_lshlrev_b32_e32 v8, 16, v4
	s_delay_alu instid0(VALU_DEP_1)
	v_cvt_u32_f32_e32 v8, v8
	global_store_b16 v[0:1], v8, off
.LBB416_1585:
	s_mov_b32 s6, 0
.LBB416_1586:
	s_delay_alu instid0(SALU_CYCLE_1)
	s_and_not1_b32 vcc_lo, exec_lo, s6
	s_cbranch_vccnz .LBB416_1594
; %bb.1587:
	v_dual_mov_b32 v11, 0x80 :: v_dual_lshlrev_b32 v10, 16, v4
	s_mov_b32 s6, exec_lo
	s_delay_alu instid0(VALU_DEP_1) | instskip(NEXT) | instid1(VALU_DEP_1)
	v_and_b32_e32 v9, 0x7fffffff, v10
	v_cmpx_gt_u32_e32 0x43800000, v9
	s_cbranch_execz .LBB416_1593
; %bb.1588:
	v_and_b32_e32 v8, 0xffff, v4
	v_cmp_lt_u32_e32 vcc_lo, 0x3bffffff, v9
	s_mov_b32 s7, 0
                                        ; implicit-def: $vgpr9
	s_and_saveexec_b32 s9, vcc_lo
	s_delay_alu instid0(SALU_CYCLE_1)
	s_xor_b32 s9, exec_lo, s9
	s_cbranch_execz .LBB416_2043
; %bb.1589:
	v_bfe_u32 v9, v8, 4, 1
	s_mov_b32 s7, exec_lo
	s_delay_alu instid0(VALU_DEP_1) | instskip(NEXT) | instid1(VALU_DEP_1)
	v_add3_u32 v9, v10, v9, 0x487ffff
                                        ; implicit-def: $vgpr10
	v_lshrrev_b32_e32 v9, 20, v9
	s_or_saveexec_b32 s9, s9
                                        ; implicit-def: $sgpr10
	s_delay_alu instid0(SALU_CYCLE_1)
	s_xor_b32 exec_lo, exec_lo, s9
	s_cbranch_execnz .LBB416_2044
.LBB416_1590:
	s_or_b32 exec_lo, exec_lo, s9
	v_mov_b32_e32 v11, s10
	s_and_saveexec_b32 s9, s7
.LBB416_1591:
	v_lshrrev_b32_e32 v8, 8, v8
	s_delay_alu instid0(VALU_DEP_1)
	v_and_or_b32 v11, 0x80, v8, v9
.LBB416_1592:
	s_or_b32 exec_lo, exec_lo, s9
.LBB416_1593:
	s_delay_alu instid0(SALU_CYCLE_1)
	s_or_b32 exec_lo, exec_lo, s6
	global_store_b8 v[0:1], v11, off
.LBB416_1594:
	s_mov_b32 s6, -1
.LBB416_1595:
	s_mov_b32 s7, 0
.LBB416_1596:
	s_delay_alu instid0(SALU_CYCLE_1)
	s_and_b32 vcc_lo, exec_lo, s7
	s_cbranch_vccz .LBB416_1636
; %bb.1597:
	v_cmp_lt_i16_e32 vcc_lo, 22, v3
	s_mov_b32 s1, -1
	s_cbranch_vccz .LBB416_1629
; %bb.1598:
	v_cmp_gt_i16_e32 vcc_lo, 24, v3
	s_cbranch_vccnz .LBB416_1618
; %bb.1599:
	v_cmp_lt_i16_e32 vcc_lo, 24, v3
	s_cbranch_vccz .LBB416_1607
; %bb.1600:
	v_dual_mov_b32 v11, 0x80 :: v_dual_lshlrev_b32 v10, 16, v4
	s_mov_b32 s1, exec_lo
	s_delay_alu instid0(VALU_DEP_1) | instskip(NEXT) | instid1(VALU_DEP_1)
	v_and_b32_e32 v9, 0x7fffffff, v10
	v_cmpx_gt_u32_e32 0x47800000, v9
	s_cbranch_execz .LBB416_1606
; %bb.1601:
	v_and_b32_e32 v8, 0xffff, v4
	v_cmp_lt_u32_e32 vcc_lo, 0x37ffffff, v9
	s_mov_b32 s6, 0
                                        ; implicit-def: $vgpr9
	s_and_saveexec_b32 s7, vcc_lo
	s_delay_alu instid0(SALU_CYCLE_1)
	s_xor_b32 s7, exec_lo, s7
	s_cbranch_execz .LBB416_2049
; %bb.1602:
	v_bfe_u32 v9, v8, 5, 1
	s_mov_b32 s6, exec_lo
	s_delay_alu instid0(VALU_DEP_1) | instskip(NEXT) | instid1(VALU_DEP_1)
	v_add3_u32 v9, v10, v9, 0x88fffff
                                        ; implicit-def: $vgpr10
	v_lshrrev_b32_e32 v9, 21, v9
	s_or_saveexec_b32 s7, s7
                                        ; implicit-def: $sgpr9
	s_delay_alu instid0(SALU_CYCLE_1)
	s_xor_b32 exec_lo, exec_lo, s7
	s_cbranch_execnz .LBB416_2050
.LBB416_1603:
	s_or_b32 exec_lo, exec_lo, s7
	v_mov_b32_e32 v11, s9
	s_and_saveexec_b32 s7, s6
.LBB416_1604:
	v_lshrrev_b32_e32 v8, 8, v8
	s_delay_alu instid0(VALU_DEP_1)
	v_and_or_b32 v11, 0x80, v8, v9
.LBB416_1605:
	s_or_b32 exec_lo, exec_lo, s7
.LBB416_1606:
	s_delay_alu instid0(SALU_CYCLE_1)
	s_or_b32 exec_lo, exec_lo, s1
	s_mov_b32 s1, 0
	global_store_b8 v[0:1], v11, off
.LBB416_1607:
	s_and_b32 vcc_lo, exec_lo, s1
	s_cbranch_vccz .LBB416_1617
; %bb.1608:
	v_lshlrev_b32_e32 v10, 16, v4
	v_and_b32_e32 v8, 0xffff, v4
	s_mov_b32 s1, exec_lo
                                        ; implicit-def: $vgpr9
	s_delay_alu instid0(VALU_DEP_2) | instskip(NEXT) | instid1(VALU_DEP_1)
	v_and_b32_e32 v11, 0x7fffffff, v10
	v_cmpx_gt_u32_e32 0x43f00000, v11
	s_xor_b32 s1, exec_lo, s1
	s_cbranch_execz .LBB416_1614
; %bb.1609:
	s_mov_b32 s6, exec_lo
                                        ; implicit-def: $vgpr9
	v_cmpx_lt_u32_e32 0x3c7fffff, v11
	s_xor_b32 s6, exec_lo, s6
; %bb.1610:
	v_bfe_u32 v9, v8, 4, 1
	s_delay_alu instid0(VALU_DEP_1) | instskip(NEXT) | instid1(VALU_DEP_1)
	v_add3_u32 v9, v10, v9, 0x407ffff
	v_and_b32_e32 v10, 0xff00000, v9
	v_lshrrev_b32_e32 v9, 20, v9
	s_delay_alu instid0(VALU_DEP_2) | instskip(NEXT) | instid1(VALU_DEP_2)
	v_cmp_ne_u32_e32 vcc_lo, 0x7f00000, v10
                                        ; implicit-def: $vgpr10
	v_cndmask_b32_e32 v9, 0x7e, v9, vcc_lo
; %bb.1611:
	s_and_not1_saveexec_b32 s6, s6
; %bb.1612:
	v_add_f32_e64 v9, 0x46800000, |v10|
; %bb.1613:
	s_or_b32 exec_lo, exec_lo, s6
                                        ; implicit-def: $vgpr11
.LBB416_1614:
	s_and_not1_saveexec_b32 s1, s1
; %bb.1615:
	v_mov_b32_e32 v9, 0x7f
	v_cmp_lt_u32_e32 vcc_lo, 0x7f800000, v11
	s_delay_alu instid0(VALU_DEP_2)
	v_cndmask_b32_e32 v9, 0x7e, v9, vcc_lo
; %bb.1616:
	s_or_b32 exec_lo, exec_lo, s1
	v_lshrrev_b32_e32 v8, 8, v8
	s_delay_alu instid0(VALU_DEP_1)
	v_and_or_b32 v8, 0x80, v8, v9
	global_store_b8 v[0:1], v8, off
.LBB416_1617:
	s_mov_b32 s1, 0
.LBB416_1618:
	s_delay_alu instid0(SALU_CYCLE_1)
	s_and_not1_b32 vcc_lo, exec_lo, s1
	s_cbranch_vccnz .LBB416_1628
; %bb.1619:
	v_lshlrev_b32_e32 v10, 16, v4
	v_and_b32_e32 v8, 0xffff, v4
	s_mov_b32 s1, exec_lo
                                        ; implicit-def: $vgpr9
	s_delay_alu instid0(VALU_DEP_2) | instskip(NEXT) | instid1(VALU_DEP_1)
	v_and_b32_e32 v11, 0x7fffffff, v10
	v_cmpx_gt_u32_e32 0x47800000, v11
	s_xor_b32 s1, exec_lo, s1
	s_cbranch_execz .LBB416_1625
; %bb.1620:
	s_mov_b32 s6, exec_lo
                                        ; implicit-def: $vgpr9
	v_cmpx_lt_u32_e32 0x387fffff, v11
	s_xor_b32 s6, exec_lo, s6
; %bb.1621:
	v_bfe_u32 v9, v8, 5, 1
	s_delay_alu instid0(VALU_DEP_1) | instskip(NEXT) | instid1(VALU_DEP_1)
	v_add3_u32 v9, v10, v9, 0x80fffff
                                        ; implicit-def: $vgpr10
	v_lshrrev_b32_e32 v9, 21, v9
; %bb.1622:
	s_and_not1_saveexec_b32 s6, s6
; %bb.1623:
	v_add_f32_e64 v9, 0x43000000, |v10|
; %bb.1624:
	s_or_b32 exec_lo, exec_lo, s6
                                        ; implicit-def: $vgpr11
.LBB416_1625:
	s_and_not1_saveexec_b32 s1, s1
; %bb.1626:
	v_mov_b32_e32 v9, 0x7f
	v_cmp_lt_u32_e32 vcc_lo, 0x7f800000, v11
	s_delay_alu instid0(VALU_DEP_2)
	v_cndmask_b32_e32 v9, 0x7c, v9, vcc_lo
; %bb.1627:
	s_or_b32 exec_lo, exec_lo, s1
	v_lshrrev_b32_e32 v8, 8, v8
	s_delay_alu instid0(VALU_DEP_1)
	v_and_or_b32 v8, 0x80, v8, v9
	global_store_b8 v[0:1], v8, off
.LBB416_1628:
	s_mov_b32 s1, 0
	s_mov_b32 s6, -1
.LBB416_1629:
	s_and_not1_b32 vcc_lo, exec_lo, s1
	s_mov_b32 s1, 0
	s_cbranch_vccnz .LBB416_1636
; %bb.1630:
	v_cmp_lt_i16_e32 vcc_lo, 14, v3
	s_mov_b32 s1, -1
	s_cbranch_vccz .LBB416_1634
; %bb.1631:
	v_cmp_eq_u16_e32 vcc_lo, 15, v3
	s_mov_b32 s0, -1
	s_cbranch_vccz .LBB416_1633
; %bb.1632:
	s_mov_b32 s0, 0
	s_mov_b32 s6, -1
	global_store_b16 v[0:1], v4, off
.LBB416_1633:
	s_mov_b32 s1, 0
.LBB416_1634:
	s_delay_alu instid0(SALU_CYCLE_1)
	s_and_b32 vcc_lo, exec_lo, s1
	s_mov_b32 s1, 0
	s_cbranch_vccz .LBB416_1636
; %bb.1635:
	v_cmp_ne_u16_e64 s0, 11, v3
	s_mov_b32 s1, -1
.LBB416_1636:
	s_delay_alu instid0(VALU_DEP_1)
	s_and_b32 vcc_lo, exec_lo, s0
	s_cbranch_vccnz .LBB416_2047
; %bb.1637:
	s_and_not1_b32 vcc_lo, exec_lo, s1
	s_cbranch_vccnz .LBB416_1639
.LBB416_1638:
	v_and_b32_e32 v8, 0x7fff, v4
	s_mov_b32 s6, -1
	s_delay_alu instid0(VALU_DEP_1)
	v_cmp_ne_u16_e32 vcc_lo, 0, v8
	v_cndmask_b32_e64 v8, 0, 1, vcc_lo
	global_store_b8 v[0:1], v8, off
.LBB416_1639:
	s_mov_b32 s0, 0
	s_branch .LBB416_1641
.LBB416_1640:
	s_mov_b32 s0, -1
	s_mov_b32 s6, 0
.LBB416_1641:
	s_and_b32 vcc_lo, exec_lo, s0
	s_cbranch_vccz .LBB416_1680
; %bb.1642:
	v_cmp_gt_i16_e32 vcc_lo, 5, v3
	s_mov_b32 s0, -1
	s_cbranch_vccnz .LBB416_1663
; %bb.1643:
	v_cmp_gt_i16_e32 vcc_lo, 8, v3
	s_cbranch_vccnz .LBB416_1653
; %bb.1644:
	v_cmp_gt_i16_e32 vcc_lo, 9, v3
	s_cbranch_vccnz .LBB416_1650
; %bb.1645:
	v_cmp_lt_i16_e32 vcc_lo, 9, v3
	s_cbranch_vccz .LBB416_1647
; %bb.1646:
	v_mov_b32_e32 v10, 0
	v_lshlrev_b32_e32 v8, 16, v4
	s_mov_b32 s0, 0
	s_delay_alu instid0(VALU_DEP_2) | instskip(NEXT) | instid1(VALU_DEP_2)
	v_mov_b32_e32 v11, v10
	v_cvt_f64_f32_e32 v[8:9], v8
	global_store_b128 v[0:1], v[8:11], off
.LBB416_1647:
	s_and_not1_b32 vcc_lo, exec_lo, s0
	s_cbranch_vccnz .LBB416_1649
; %bb.1648:
	v_dual_mov_b32 v9, 0 :: v_dual_lshlrev_b32 v8, 16, v4
	global_store_b64 v[0:1], v[8:9], off
.LBB416_1649:
	s_mov_b32 s0, 0
.LBB416_1650:
	s_delay_alu instid0(SALU_CYCLE_1)
	s_and_not1_b32 vcc_lo, exec_lo, s0
	s_cbranch_vccnz .LBB416_1652
; %bb.1651:
	v_lshlrev_b32_e32 v8, 16, v4
	s_delay_alu instid0(VALU_DEP_1) | instskip(NEXT) | instid1(VALU_DEP_1)
	v_cvt_f16_f32_e32 v8, v8
	v_and_b32_e32 v8, 0xffff, v8
	global_store_b32 v[0:1], v8, off
.LBB416_1652:
	s_mov_b32 s0, 0
.LBB416_1653:
	s_delay_alu instid0(SALU_CYCLE_1)
	s_and_not1_b32 vcc_lo, exec_lo, s0
	s_cbranch_vccnz .LBB416_1662
; %bb.1654:
	v_cmp_gt_i16_e32 vcc_lo, 6, v3
	s_mov_b32 s0, -1
	s_cbranch_vccnz .LBB416_1660
; %bb.1655:
	v_cmp_lt_i16_e32 vcc_lo, 6, v3
	s_cbranch_vccz .LBB416_1657
; %bb.1656:
	v_lshlrev_b32_e32 v8, 16, v4
	s_mov_b32 s0, 0
	s_delay_alu instid0(VALU_DEP_1)
	v_cvt_f64_f32_e32 v[8:9], v8
	global_store_b64 v[0:1], v[8:9], off
.LBB416_1657:
	s_and_not1_b32 vcc_lo, exec_lo, s0
	s_cbranch_vccnz .LBB416_1659
; %bb.1658:
	v_lshlrev_b32_e32 v8, 16, v4
	global_store_b32 v[0:1], v8, off
.LBB416_1659:
	s_mov_b32 s0, 0
.LBB416_1660:
	s_delay_alu instid0(SALU_CYCLE_1)
	s_and_not1_b32 vcc_lo, exec_lo, s0
	s_cbranch_vccnz .LBB416_1662
; %bb.1661:
	v_lshlrev_b32_e32 v8, 16, v4
	s_delay_alu instid0(VALU_DEP_1)
	v_cvt_f16_f32_e32 v8, v8
	global_store_b16 v[0:1], v8, off
.LBB416_1662:
	s_mov_b32 s0, 0
.LBB416_1663:
	s_delay_alu instid0(SALU_CYCLE_1)
	s_and_not1_b32 vcc_lo, exec_lo, s0
	s_cbranch_vccnz .LBB416_1679
; %bb.1664:
	v_cmp_gt_i16_e32 vcc_lo, 2, v3
	s_mov_b32 s0, -1
	s_cbranch_vccnz .LBB416_1674
; %bb.1665:
	v_cmp_gt_i16_e32 vcc_lo, 3, v3
	s_cbranch_vccnz .LBB416_1671
; %bb.1666:
	v_cmp_lt_i16_e32 vcc_lo, 3, v3
	s_cbranch_vccz .LBB416_1668
; %bb.1667:
	v_lshlrev_b32_e32 v8, 16, v4
	s_mov_b32 s0, 0
	s_delay_alu instid0(VALU_DEP_1) | instskip(NEXT) | instid1(VALU_DEP_1)
	v_trunc_f32_e32 v8, v8
	v_mul_f32_e64 v9, 0x2f800000, |v8|
	v_ashrrev_i32_e32 v11, 31, v8
	s_delay_alu instid0(VALU_DEP_2) | instskip(NEXT) | instid1(VALU_DEP_1)
	v_floor_f32_e32 v9, v9
	v_fma_f32 v10, 0xcf800000, v9, |v8|
	v_cvt_u32_f32_e32 v9, v9
	s_delay_alu instid0(VALU_DEP_2) | instskip(NEXT) | instid1(VALU_DEP_2)
	v_cvt_u32_f32_e32 v8, v10
	v_xor_b32_e32 v9, v9, v11
	s_delay_alu instid0(VALU_DEP_2) | instskip(NEXT) | instid1(VALU_DEP_1)
	v_xor_b32_e32 v8, v8, v11
	v_sub_co_u32 v8, vcc_lo, v8, v11
	s_delay_alu instid0(VALU_DEP_3)
	v_sub_co_ci_u32_e32 v9, vcc_lo, v9, v11, vcc_lo
	global_store_b64 v[0:1], v[8:9], off
.LBB416_1668:
	s_and_not1_b32 vcc_lo, exec_lo, s0
	s_cbranch_vccnz .LBB416_1670
; %bb.1669:
	v_lshlrev_b32_e32 v8, 16, v4
	s_delay_alu instid0(VALU_DEP_1)
	v_cvt_i32_f32_e32 v8, v8
	global_store_b32 v[0:1], v8, off
.LBB416_1670:
	s_mov_b32 s0, 0
.LBB416_1671:
	s_delay_alu instid0(SALU_CYCLE_1)
	s_and_not1_b32 vcc_lo, exec_lo, s0
	s_cbranch_vccnz .LBB416_1673
; %bb.1672:
	v_lshlrev_b32_e32 v8, 16, v4
	s_delay_alu instid0(VALU_DEP_1)
	v_cvt_i32_f32_e32 v8, v8
	global_store_b16 v[0:1], v8, off
.LBB416_1673:
	s_mov_b32 s0, 0
.LBB416_1674:
	s_delay_alu instid0(SALU_CYCLE_1)
	s_and_not1_b32 vcc_lo, exec_lo, s0
	s_cbranch_vccnz .LBB416_1679
; %bb.1675:
	v_cmp_lt_i16_e32 vcc_lo, 0, v3
	s_mov_b32 s0, -1
	s_cbranch_vccz .LBB416_1677
; %bb.1676:
	v_lshlrev_b32_e32 v8, 16, v4
	s_mov_b32 s0, 0
	s_delay_alu instid0(VALU_DEP_1)
	v_cvt_i32_f32_e32 v8, v8
	global_store_b8 v[0:1], v8, off
.LBB416_1677:
	s_and_not1_b32 vcc_lo, exec_lo, s0
	s_cbranch_vccnz .LBB416_1679
; %bb.1678:
	v_lshlrev_b32_e32 v4, 16, v4
	s_delay_alu instid0(VALU_DEP_1) | instskip(NEXT) | instid1(VALU_DEP_1)
	v_trunc_f32_e32 v4, v4
	v_mul_f32_e64 v8, 0x2f800000, |v4|
	s_delay_alu instid0(VALU_DEP_1) | instskip(NEXT) | instid1(VALU_DEP_1)
	v_floor_f32_e32 v8, v8
	v_fma_f32 v8, 0xcf800000, v8, |v4|
	v_ashrrev_i32_e32 v4, 31, v4
	s_delay_alu instid0(VALU_DEP_2) | instskip(NEXT) | instid1(VALU_DEP_1)
	v_cvt_u32_f32_e32 v8, v8
	v_xor_b32_e32 v8, v8, v4
	s_delay_alu instid0(VALU_DEP_1)
	v_sub_nc_u32_e32 v4, v8, v4
	global_store_b8 v[0:1], v4, off
.LBB416_1679:
	s_mov_b32 s6, -1
.LBB416_1680:
	s_delay_alu instid0(SALU_CYCLE_1)
	s_and_not1_b32 vcc_lo, exec_lo, s6
	s_cbranch_vccnz .LBB416_1995
; %bb.1681:
	v_lshlrev_b32_e32 v0, 16, v5
	s_lshl_b32 s2, s2, 7
	v_cmp_gt_i16_e64 s1, 11, v3
	v_add_nc_u32_e32 v2, s2, v2
	s_delay_alu instid0(VALU_DEP_3) | instskip(SKIP_1) | instid1(VALU_DEP_3)
	v_cmp_u_f32_e32 vcc_lo, v0, v0
	v_cmp_lt_f32_e64 s0, s3, v0
	v_ashrrev_i32_e32 v1, 31, v2
	s_delay_alu instid0(VALU_DEP_2) | instskip(SKIP_2) | instid1(VALU_DEP_3)
	s_or_b32 vcc_lo, vcc_lo, s0
	v_cndmask_b32_e32 v4, s8, v5, vcc_lo
	v_add_co_u32 v0, vcc_lo, s4, v2
	v_add_co_ci_u32_e32 v1, vcc_lo, s5, v1, vcc_lo
	s_and_b32 vcc_lo, exec_lo, s1
	s_cbranch_vccnz .LBB416_1759
; %bb.1682:
	v_cmp_lt_i16_e32 vcc_lo, 25, v3
	s_mov_b32 s7, -1
	s_mov_b32 s1, 0
	s_mov_b32 s6, 0
	s_mov_b32 s0, 0
	s_cbranch_vccz .LBB416_1715
; %bb.1683:
	v_cmp_lt_i16_e32 vcc_lo, 28, v3
	s_cbranch_vccz .LBB416_1698
; %bb.1684:
	v_cmp_lt_i16_e32 vcc_lo, 43, v3
	;; [unrolled: 3-line block ×3, first 2 shown]
	s_cbranch_vccz .LBB416_1688
; %bb.1686:
	v_cmp_eq_u16_e32 vcc_lo, 46, v3
	s_mov_b32 s0, -1
	s_mov_b32 s7, 0
	s_cbranch_vccz .LBB416_1688
; %bb.1687:
	v_and_b32_e32 v5, 0xffff, v4
	s_mov_b32 s0, 0
	s_mov_b32 s6, -1
	global_store_b32 v[0:1], v5, off
.LBB416_1688:
	s_and_b32 vcc_lo, exec_lo, s7
	s_cbranch_vccz .LBB416_1693
; %bb.1689:
	v_cmp_eq_u16_e32 vcc_lo, 44, v3
	s_mov_b32 s0, -1
	s_cbranch_vccz .LBB416_1693
; %bb.1690:
	v_and_b32_e32 v5, 0xffff, v4
	v_mov_b32_e32 v8, 0xff
	s_mov_b32 s6, exec_lo
	s_delay_alu instid0(VALU_DEP_2) | instskip(NEXT) | instid1(VALU_DEP_1)
	v_bfe_u32 v9, v5, 7, 8
	v_cmpx_ne_u32_e32 0xff, v9
; %bb.1691:
	v_lshlrev_b32_e32 v8, 16, v5
	v_and_b32_e32 v10, 64, v5
	v_lshrrev_b32_e32 v5, 7, v5
	s_delay_alu instid0(VALU_DEP_3) | instskip(NEXT) | instid1(VALU_DEP_3)
	v_and_or_b32 v8, 0x3f0000, v8, v9
	v_cmp_ne_u32_e32 vcc_lo, 0, v10
	s_delay_alu instid0(VALU_DEP_2) | instskip(NEXT) | instid1(VALU_DEP_1)
	v_cmp_ne_u32_e64 s0, 0, v8
	s_and_b32 s0, vcc_lo, s0
	s_delay_alu instid0(SALU_CYCLE_1) | instskip(NEXT) | instid1(VALU_DEP_1)
	v_cndmask_b32_e64 v8, 0, 1, s0
	v_add_nc_u32_e32 v8, v5, v8
; %bb.1692:
	s_or_b32 exec_lo, exec_lo, s6
	s_mov_b32 s0, 0
	s_mov_b32 s6, -1
	global_store_b8 v[0:1], v8, off
.LBB416_1693:
	s_mov_b32 s7, 0
.LBB416_1694:
	s_delay_alu instid0(SALU_CYCLE_1)
	s_and_b32 vcc_lo, exec_lo, s7
	s_cbranch_vccz .LBB416_1697
; %bb.1695:
	v_cmp_eq_u16_e32 vcc_lo, 29, v3
	s_mov_b32 s0, -1
	s_cbranch_vccz .LBB416_1697
; %bb.1696:
	v_lshlrev_b32_e32 v5, 16, v4
	s_mov_b32 s0, 0
	s_mov_b32 s6, -1
	s_delay_alu instid0(VALU_DEP_1) | instskip(NEXT) | instid1(VALU_DEP_1)
	v_trunc_f32_e32 v5, v5
	v_mul_f32_e32 v8, 0x2f800000, v5
	s_delay_alu instid0(VALU_DEP_1) | instskip(NEXT) | instid1(VALU_DEP_1)
	v_floor_f32_e32 v8, v8
	v_fmamk_f32 v5, v8, 0xcf800000, v5
	v_cvt_u32_f32_e32 v9, v8
	s_delay_alu instid0(VALU_DEP_2)
	v_cvt_u32_f32_e32 v8, v5
	global_store_b64 v[0:1], v[8:9], off
.LBB416_1697:
	s_mov_b32 s7, 0
.LBB416_1698:
	s_delay_alu instid0(SALU_CYCLE_1)
	s_and_b32 vcc_lo, exec_lo, s7
	s_cbranch_vccz .LBB416_1714
; %bb.1699:
	v_cmp_gt_i16_e32 vcc_lo, 27, v3
	s_mov_b32 s6, -1
	s_cbranch_vccnz .LBB416_1705
; %bb.1700:
	v_cmp_lt_i16_e32 vcc_lo, 27, v3
	s_cbranch_vccz .LBB416_1702
; %bb.1701:
	v_lshlrev_b32_e32 v5, 16, v4
	s_mov_b32 s6, 0
	s_delay_alu instid0(VALU_DEP_1)
	v_cvt_u32_f32_e32 v5, v5
	global_store_b32 v[0:1], v5, off
.LBB416_1702:
	s_and_not1_b32 vcc_lo, exec_lo, s6
	s_cbranch_vccnz .LBB416_1704
; %bb.1703:
	v_lshlrev_b32_e32 v5, 16, v4
	s_delay_alu instid0(VALU_DEP_1)
	v_cvt_u32_f32_e32 v5, v5
	global_store_b16 v[0:1], v5, off
.LBB416_1704:
	s_mov_b32 s6, 0
.LBB416_1705:
	s_delay_alu instid0(SALU_CYCLE_1)
	s_and_not1_b32 vcc_lo, exec_lo, s6
	s_cbranch_vccnz .LBB416_1713
; %bb.1706:
	v_dual_mov_b32 v10, 0x80 :: v_dual_lshlrev_b32 v9, 16, v4
	s_mov_b32 s6, exec_lo
	s_delay_alu instid0(VALU_DEP_1) | instskip(NEXT) | instid1(VALU_DEP_1)
	v_and_b32_e32 v8, 0x7fffffff, v9
	v_cmpx_gt_u32_e32 0x43800000, v8
	s_cbranch_execz .LBB416_1712
; %bb.1707:
	v_and_b32_e32 v5, 0xffff, v4
	v_cmp_lt_u32_e32 vcc_lo, 0x3bffffff, v8
	s_mov_b32 s7, 0
                                        ; implicit-def: $vgpr8
	s_and_saveexec_b32 s9, vcc_lo
	s_delay_alu instid0(SALU_CYCLE_1)
	s_xor_b32 s9, exec_lo, s9
	s_cbranch_execz .LBB416_2051
; %bb.1708:
	v_bfe_u32 v8, v5, 4, 1
	s_mov_b32 s7, exec_lo
	s_delay_alu instid0(VALU_DEP_1) | instskip(NEXT) | instid1(VALU_DEP_1)
	v_add3_u32 v8, v9, v8, 0x487ffff
                                        ; implicit-def: $vgpr9
	v_lshrrev_b32_e32 v8, 20, v8
	s_or_saveexec_b32 s9, s9
                                        ; implicit-def: $sgpr10
	s_delay_alu instid0(SALU_CYCLE_1)
	s_xor_b32 exec_lo, exec_lo, s9
	s_cbranch_execnz .LBB416_2052
.LBB416_1709:
	s_or_b32 exec_lo, exec_lo, s9
	v_mov_b32_e32 v10, s10
	s_and_saveexec_b32 s9, s7
.LBB416_1710:
	v_lshrrev_b32_e32 v5, 8, v5
	s_delay_alu instid0(VALU_DEP_1)
	v_and_or_b32 v10, 0x80, v5, v8
.LBB416_1711:
	s_or_b32 exec_lo, exec_lo, s9
.LBB416_1712:
	s_delay_alu instid0(SALU_CYCLE_1)
	s_or_b32 exec_lo, exec_lo, s6
	global_store_b8 v[0:1], v10, off
.LBB416_1713:
	s_mov_b32 s6, -1
.LBB416_1714:
	s_mov_b32 s7, 0
.LBB416_1715:
	s_delay_alu instid0(SALU_CYCLE_1)
	s_and_b32 vcc_lo, exec_lo, s7
	s_cbranch_vccz .LBB416_1755
; %bb.1716:
	v_cmp_lt_i16_e32 vcc_lo, 22, v3
	s_mov_b32 s1, -1
	s_cbranch_vccz .LBB416_1748
; %bb.1717:
	v_cmp_gt_i16_e32 vcc_lo, 24, v3
	s_cbranch_vccnz .LBB416_1737
; %bb.1718:
	v_cmp_lt_i16_e32 vcc_lo, 24, v3
	s_cbranch_vccz .LBB416_1726
; %bb.1719:
	v_dual_mov_b32 v10, 0x80 :: v_dual_lshlrev_b32 v9, 16, v4
	s_mov_b32 s1, exec_lo
	s_delay_alu instid0(VALU_DEP_1) | instskip(NEXT) | instid1(VALU_DEP_1)
	v_and_b32_e32 v8, 0x7fffffff, v9
	v_cmpx_gt_u32_e32 0x47800000, v8
	s_cbranch_execz .LBB416_1725
; %bb.1720:
	v_and_b32_e32 v5, 0xffff, v4
	v_cmp_lt_u32_e32 vcc_lo, 0x37ffffff, v8
	s_mov_b32 s6, 0
                                        ; implicit-def: $vgpr8
	s_and_saveexec_b32 s7, vcc_lo
	s_delay_alu instid0(SALU_CYCLE_1)
	s_xor_b32 s7, exec_lo, s7
	s_cbranch_execz .LBB416_2057
; %bb.1721:
	v_bfe_u32 v8, v5, 5, 1
	s_mov_b32 s6, exec_lo
	s_delay_alu instid0(VALU_DEP_1) | instskip(NEXT) | instid1(VALU_DEP_1)
	v_add3_u32 v8, v9, v8, 0x88fffff
                                        ; implicit-def: $vgpr9
	v_lshrrev_b32_e32 v8, 21, v8
	s_or_saveexec_b32 s7, s7
                                        ; implicit-def: $sgpr9
	s_delay_alu instid0(SALU_CYCLE_1)
	s_xor_b32 exec_lo, exec_lo, s7
	s_cbranch_execnz .LBB416_2058
.LBB416_1722:
	s_or_b32 exec_lo, exec_lo, s7
	v_mov_b32_e32 v10, s9
	s_and_saveexec_b32 s7, s6
.LBB416_1723:
	v_lshrrev_b32_e32 v5, 8, v5
	s_delay_alu instid0(VALU_DEP_1)
	v_and_or_b32 v10, 0x80, v5, v8
.LBB416_1724:
	s_or_b32 exec_lo, exec_lo, s7
.LBB416_1725:
	s_delay_alu instid0(SALU_CYCLE_1)
	s_or_b32 exec_lo, exec_lo, s1
	s_mov_b32 s1, 0
	global_store_b8 v[0:1], v10, off
.LBB416_1726:
	s_and_b32 vcc_lo, exec_lo, s1
	s_cbranch_vccz .LBB416_1736
; %bb.1727:
	v_lshlrev_b32_e32 v9, 16, v4
	v_and_b32_e32 v5, 0xffff, v4
	s_mov_b32 s1, exec_lo
                                        ; implicit-def: $vgpr8
	s_delay_alu instid0(VALU_DEP_2) | instskip(NEXT) | instid1(VALU_DEP_1)
	v_and_b32_e32 v10, 0x7fffffff, v9
	v_cmpx_gt_u32_e32 0x43f00000, v10
	s_xor_b32 s1, exec_lo, s1
	s_cbranch_execz .LBB416_1733
; %bb.1728:
	s_mov_b32 s6, exec_lo
                                        ; implicit-def: $vgpr8
	v_cmpx_lt_u32_e32 0x3c7fffff, v10
	s_xor_b32 s6, exec_lo, s6
; %bb.1729:
	v_bfe_u32 v8, v5, 4, 1
	s_delay_alu instid0(VALU_DEP_1) | instskip(NEXT) | instid1(VALU_DEP_1)
	v_add3_u32 v8, v9, v8, 0x407ffff
	v_and_b32_e32 v9, 0xff00000, v8
	v_lshrrev_b32_e32 v8, 20, v8
	s_delay_alu instid0(VALU_DEP_2) | instskip(NEXT) | instid1(VALU_DEP_2)
	v_cmp_ne_u32_e32 vcc_lo, 0x7f00000, v9
                                        ; implicit-def: $vgpr9
	v_cndmask_b32_e32 v8, 0x7e, v8, vcc_lo
; %bb.1730:
	s_and_not1_saveexec_b32 s6, s6
; %bb.1731:
	v_add_f32_e64 v8, 0x46800000, |v9|
; %bb.1732:
	s_or_b32 exec_lo, exec_lo, s6
                                        ; implicit-def: $vgpr10
.LBB416_1733:
	s_and_not1_saveexec_b32 s1, s1
; %bb.1734:
	v_mov_b32_e32 v8, 0x7f
	v_cmp_lt_u32_e32 vcc_lo, 0x7f800000, v10
	s_delay_alu instid0(VALU_DEP_2)
	v_cndmask_b32_e32 v8, 0x7e, v8, vcc_lo
; %bb.1735:
	s_or_b32 exec_lo, exec_lo, s1
	v_lshrrev_b32_e32 v5, 8, v5
	s_delay_alu instid0(VALU_DEP_1)
	v_and_or_b32 v5, 0x80, v5, v8
	global_store_b8 v[0:1], v5, off
.LBB416_1736:
	s_mov_b32 s1, 0
.LBB416_1737:
	s_delay_alu instid0(SALU_CYCLE_1)
	s_and_not1_b32 vcc_lo, exec_lo, s1
	s_cbranch_vccnz .LBB416_1747
; %bb.1738:
	v_lshlrev_b32_e32 v9, 16, v4
	v_and_b32_e32 v5, 0xffff, v4
	s_mov_b32 s1, exec_lo
                                        ; implicit-def: $vgpr8
	s_delay_alu instid0(VALU_DEP_2) | instskip(NEXT) | instid1(VALU_DEP_1)
	v_and_b32_e32 v10, 0x7fffffff, v9
	v_cmpx_gt_u32_e32 0x47800000, v10
	s_xor_b32 s1, exec_lo, s1
	s_cbranch_execz .LBB416_1744
; %bb.1739:
	s_mov_b32 s6, exec_lo
                                        ; implicit-def: $vgpr8
	v_cmpx_lt_u32_e32 0x387fffff, v10
	s_xor_b32 s6, exec_lo, s6
; %bb.1740:
	v_bfe_u32 v8, v5, 5, 1
	s_delay_alu instid0(VALU_DEP_1) | instskip(NEXT) | instid1(VALU_DEP_1)
	v_add3_u32 v8, v9, v8, 0x80fffff
                                        ; implicit-def: $vgpr9
	v_lshrrev_b32_e32 v8, 21, v8
; %bb.1741:
	s_and_not1_saveexec_b32 s6, s6
; %bb.1742:
	v_add_f32_e64 v8, 0x43000000, |v9|
; %bb.1743:
	s_or_b32 exec_lo, exec_lo, s6
                                        ; implicit-def: $vgpr10
.LBB416_1744:
	s_and_not1_saveexec_b32 s1, s1
; %bb.1745:
	v_mov_b32_e32 v8, 0x7f
	v_cmp_lt_u32_e32 vcc_lo, 0x7f800000, v10
	s_delay_alu instid0(VALU_DEP_2)
	v_cndmask_b32_e32 v8, 0x7c, v8, vcc_lo
; %bb.1746:
	s_or_b32 exec_lo, exec_lo, s1
	v_lshrrev_b32_e32 v5, 8, v5
	s_delay_alu instid0(VALU_DEP_1)
	v_and_or_b32 v5, 0x80, v5, v8
	global_store_b8 v[0:1], v5, off
.LBB416_1747:
	s_mov_b32 s1, 0
	s_mov_b32 s6, -1
.LBB416_1748:
	s_and_not1_b32 vcc_lo, exec_lo, s1
	s_mov_b32 s1, 0
	s_cbranch_vccnz .LBB416_1755
; %bb.1749:
	v_cmp_lt_i16_e32 vcc_lo, 14, v3
	s_mov_b32 s1, -1
	s_cbranch_vccz .LBB416_1753
; %bb.1750:
	v_cmp_eq_u16_e32 vcc_lo, 15, v3
	s_mov_b32 s0, -1
	s_cbranch_vccz .LBB416_1752
; %bb.1751:
	s_mov_b32 s0, 0
	s_mov_b32 s6, -1
	global_store_b16 v[0:1], v4, off
.LBB416_1752:
	s_mov_b32 s1, 0
.LBB416_1753:
	s_delay_alu instid0(SALU_CYCLE_1)
	s_and_b32 vcc_lo, exec_lo, s1
	s_mov_b32 s1, 0
	s_cbranch_vccz .LBB416_1755
; %bb.1754:
	v_cmp_ne_u16_e64 s0, 11, v3
	s_mov_b32 s1, -1
.LBB416_1755:
	s_delay_alu instid0(VALU_DEP_1)
	s_and_b32 vcc_lo, exec_lo, s0
	s_cbranch_vccnz .LBB416_2055
; %bb.1756:
	s_and_not1_b32 vcc_lo, exec_lo, s1
	s_cbranch_vccnz .LBB416_1758
.LBB416_1757:
	v_and_b32_e32 v5, 0x7fff, v4
	s_mov_b32 s6, -1
	s_delay_alu instid0(VALU_DEP_1)
	v_cmp_ne_u16_e32 vcc_lo, 0, v5
	v_cndmask_b32_e64 v5, 0, 1, vcc_lo
	global_store_b8 v[0:1], v5, off
.LBB416_1758:
	s_mov_b32 s0, 0
	s_branch .LBB416_1760
.LBB416_1759:
	s_mov_b32 s0, -1
	s_mov_b32 s6, 0
.LBB416_1760:
	s_and_b32 vcc_lo, exec_lo, s0
	s_cbranch_vccz .LBB416_1799
; %bb.1761:
	v_cmp_gt_i16_e32 vcc_lo, 5, v3
	s_mov_b32 s0, -1
	s_cbranch_vccnz .LBB416_1782
; %bb.1762:
	v_cmp_gt_i16_e32 vcc_lo, 8, v3
	s_cbranch_vccnz .LBB416_1772
; %bb.1763:
	v_cmp_gt_i16_e32 vcc_lo, 9, v3
	s_cbranch_vccnz .LBB416_1769
; %bb.1764:
	v_cmp_lt_i16_e32 vcc_lo, 9, v3
	s_cbranch_vccz .LBB416_1766
; %bb.1765:
	v_dual_mov_b32 v10, 0 :: v_dual_lshlrev_b32 v5, 16, v4
	s_mov_b32 s0, 0
	s_delay_alu instid0(VALU_DEP_1) | instskip(NEXT) | instid1(VALU_DEP_2)
	v_cvt_f64_f32_e32 v[8:9], v5
	v_mov_b32_e32 v11, v10
	global_store_b128 v[0:1], v[8:11], off
.LBB416_1766:
	s_and_not1_b32 vcc_lo, exec_lo, s0
	s_cbranch_vccnz .LBB416_1768
; %bb.1767:
	v_dual_mov_b32 v9, 0 :: v_dual_lshlrev_b32 v8, 16, v4
	global_store_b64 v[0:1], v[8:9], off
.LBB416_1768:
	s_mov_b32 s0, 0
.LBB416_1769:
	s_delay_alu instid0(SALU_CYCLE_1)
	s_and_not1_b32 vcc_lo, exec_lo, s0
	s_cbranch_vccnz .LBB416_1771
; %bb.1770:
	v_lshlrev_b32_e32 v5, 16, v4
	s_delay_alu instid0(VALU_DEP_1) | instskip(NEXT) | instid1(VALU_DEP_1)
	v_cvt_f16_f32_e32 v5, v5
	v_and_b32_e32 v5, 0xffff, v5
	global_store_b32 v[0:1], v5, off
.LBB416_1771:
	s_mov_b32 s0, 0
.LBB416_1772:
	s_delay_alu instid0(SALU_CYCLE_1)
	s_and_not1_b32 vcc_lo, exec_lo, s0
	s_cbranch_vccnz .LBB416_1781
; %bb.1773:
	v_cmp_gt_i16_e32 vcc_lo, 6, v3
	s_mov_b32 s0, -1
	s_cbranch_vccnz .LBB416_1779
; %bb.1774:
	v_cmp_lt_i16_e32 vcc_lo, 6, v3
	s_cbranch_vccz .LBB416_1776
; %bb.1775:
	v_lshlrev_b32_e32 v5, 16, v4
	s_mov_b32 s0, 0
	s_delay_alu instid0(VALU_DEP_1)
	v_cvt_f64_f32_e32 v[8:9], v5
	global_store_b64 v[0:1], v[8:9], off
.LBB416_1776:
	s_and_not1_b32 vcc_lo, exec_lo, s0
	s_cbranch_vccnz .LBB416_1778
; %bb.1777:
	v_lshlrev_b32_e32 v5, 16, v4
	global_store_b32 v[0:1], v5, off
.LBB416_1778:
	s_mov_b32 s0, 0
.LBB416_1779:
	s_delay_alu instid0(SALU_CYCLE_1)
	s_and_not1_b32 vcc_lo, exec_lo, s0
	s_cbranch_vccnz .LBB416_1781
; %bb.1780:
	v_lshlrev_b32_e32 v5, 16, v4
	s_delay_alu instid0(VALU_DEP_1)
	v_cvt_f16_f32_e32 v5, v5
	global_store_b16 v[0:1], v5, off
.LBB416_1781:
	s_mov_b32 s0, 0
.LBB416_1782:
	s_delay_alu instid0(SALU_CYCLE_1)
	s_and_not1_b32 vcc_lo, exec_lo, s0
	s_cbranch_vccnz .LBB416_1798
; %bb.1783:
	v_cmp_gt_i16_e32 vcc_lo, 2, v3
	s_mov_b32 s0, -1
	s_cbranch_vccnz .LBB416_1793
; %bb.1784:
	v_cmp_gt_i16_e32 vcc_lo, 3, v3
	s_cbranch_vccnz .LBB416_1790
; %bb.1785:
	v_cmp_lt_i16_e32 vcc_lo, 3, v3
	s_cbranch_vccz .LBB416_1787
; %bb.1786:
	v_lshlrev_b32_e32 v5, 16, v4
	s_mov_b32 s0, 0
	s_delay_alu instid0(VALU_DEP_1) | instskip(NEXT) | instid1(VALU_DEP_1)
	v_trunc_f32_e32 v5, v5
	v_mul_f32_e64 v8, 0x2f800000, |v5|
	s_delay_alu instid0(VALU_DEP_1) | instskip(NEXT) | instid1(VALU_DEP_1)
	v_floor_f32_e32 v8, v8
	v_fma_f32 v9, 0xcf800000, v8, |v5|
	v_ashrrev_i32_e32 v5, 31, v5
	v_cvt_u32_f32_e32 v8, v8
	s_delay_alu instid0(VALU_DEP_3) | instskip(NEXT) | instid1(VALU_DEP_2)
	v_cvt_u32_f32_e32 v9, v9
	v_xor_b32_e32 v10, v8, v5
	s_delay_alu instid0(VALU_DEP_2) | instskip(NEXT) | instid1(VALU_DEP_1)
	v_xor_b32_e32 v9, v9, v5
	v_sub_co_u32 v8, vcc_lo, v9, v5
	s_delay_alu instid0(VALU_DEP_3)
	v_sub_co_ci_u32_e32 v9, vcc_lo, v10, v5, vcc_lo
	global_store_b64 v[0:1], v[8:9], off
.LBB416_1787:
	s_and_not1_b32 vcc_lo, exec_lo, s0
	s_cbranch_vccnz .LBB416_1789
; %bb.1788:
	v_lshlrev_b32_e32 v5, 16, v4
	s_delay_alu instid0(VALU_DEP_1)
	v_cvt_i32_f32_e32 v5, v5
	global_store_b32 v[0:1], v5, off
.LBB416_1789:
	s_mov_b32 s0, 0
.LBB416_1790:
	s_delay_alu instid0(SALU_CYCLE_1)
	s_and_not1_b32 vcc_lo, exec_lo, s0
	s_cbranch_vccnz .LBB416_1792
; %bb.1791:
	v_lshlrev_b32_e32 v5, 16, v4
	s_delay_alu instid0(VALU_DEP_1)
	v_cvt_i32_f32_e32 v5, v5
	global_store_b16 v[0:1], v5, off
.LBB416_1792:
	s_mov_b32 s0, 0
.LBB416_1793:
	s_delay_alu instid0(SALU_CYCLE_1)
	s_and_not1_b32 vcc_lo, exec_lo, s0
	s_cbranch_vccnz .LBB416_1798
; %bb.1794:
	v_cmp_lt_i16_e32 vcc_lo, 0, v3
	v_lshlrev_b32_e32 v4, 16, v4
	s_mov_b32 s0, -1
	s_cbranch_vccz .LBB416_1796
; %bb.1795:
	s_delay_alu instid0(VALU_DEP_1)
	v_cvt_i32_f32_e32 v5, v4
	s_mov_b32 s0, 0
	global_store_b8 v[0:1], v5, off
.LBB416_1796:
	s_and_not1_b32 vcc_lo, exec_lo, s0
	s_cbranch_vccnz .LBB416_1798
; %bb.1797:
	v_trunc_f32_e32 v4, v4
	s_delay_alu instid0(VALU_DEP_1) | instskip(NEXT) | instid1(VALU_DEP_1)
	v_mul_f32_e64 v5, 0x2f800000, |v4|
	v_floor_f32_e32 v5, v5
	s_delay_alu instid0(VALU_DEP_1) | instskip(SKIP_1) | instid1(VALU_DEP_2)
	v_fma_f32 v5, 0xcf800000, v5, |v4|
	v_ashrrev_i32_e32 v4, 31, v4
	v_cvt_u32_f32_e32 v5, v5
	s_delay_alu instid0(VALU_DEP_1) | instskip(NEXT) | instid1(VALU_DEP_1)
	v_xor_b32_e32 v5, v5, v4
	v_sub_nc_u32_e32 v4, v5, v4
	global_store_b8 v[0:1], v4, off
.LBB416_1798:
	s_mov_b32 s6, -1
.LBB416_1799:
	s_delay_alu instid0(SALU_CYCLE_1)
	s_and_not1_b32 vcc_lo, exec_lo, s6
	s_cbranch_vccnz .LBB416_1995
; %bb.1800:
	v_lshlrev_b32_e32 v0, 16, v6
	v_add_nc_u32_e32 v2, s2, v2
	v_cmp_gt_i16_e64 s1, 11, v3
	s_delay_alu instid0(VALU_DEP_3) | instskip(SKIP_1) | instid1(VALU_DEP_4)
	v_cmp_u_f32_e32 vcc_lo, v0, v0
	v_cmp_lt_f32_e64 s0, s3, v0
	v_ashrrev_i32_e32 v1, 31, v2
	s_delay_alu instid0(VALU_DEP_2) | instskip(SKIP_2) | instid1(VALU_DEP_3)
	s_or_b32 vcc_lo, vcc_lo, s0
	v_cndmask_b32_e32 v4, s8, v6, vcc_lo
	v_add_co_u32 v0, vcc_lo, s4, v2
	v_add_co_ci_u32_e32 v1, vcc_lo, s5, v1, vcc_lo
	s_and_b32 vcc_lo, exec_lo, s1
	s_cbranch_vccnz .LBB416_1878
; %bb.1801:
	v_cmp_lt_i16_e32 vcc_lo, 25, v3
	s_mov_b32 s7, -1
	s_mov_b32 s1, 0
	s_mov_b32 s6, 0
	;; [unrolled: 1-line block ×3, first 2 shown]
	s_cbranch_vccz .LBB416_1834
; %bb.1802:
	v_cmp_lt_i16_e32 vcc_lo, 28, v3
	s_cbranch_vccz .LBB416_1817
; %bb.1803:
	v_cmp_lt_i16_e32 vcc_lo, 43, v3
	s_cbranch_vccz .LBB416_1813
; %bb.1804:
	v_cmp_lt_i16_e32 vcc_lo, 45, v3
	s_cbranch_vccz .LBB416_1807
; %bb.1805:
	v_cmp_eq_u16_e32 vcc_lo, 46, v3
	s_mov_b32 s0, -1
	s_mov_b32 s7, 0
	s_cbranch_vccz .LBB416_1807
; %bb.1806:
	v_and_b32_e32 v5, 0xffff, v4
	s_mov_b32 s0, 0
	s_mov_b32 s6, -1
	global_store_b32 v[0:1], v5, off
.LBB416_1807:
	s_and_b32 vcc_lo, exec_lo, s7
	s_cbranch_vccz .LBB416_1812
; %bb.1808:
	v_cmp_eq_u16_e32 vcc_lo, 44, v3
	s_mov_b32 s0, -1
	s_cbranch_vccz .LBB416_1812
; %bb.1809:
	v_and_b32_e32 v5, 0xffff, v4
	v_mov_b32_e32 v6, 0xff
	s_mov_b32 s6, exec_lo
	s_delay_alu instid0(VALU_DEP_2) | instskip(NEXT) | instid1(VALU_DEP_1)
	v_bfe_u32 v8, v5, 7, 8
	v_cmpx_ne_u32_e32 0xff, v8
; %bb.1810:
	v_lshlrev_b32_e32 v6, 16, v5
	v_and_b32_e32 v9, 64, v5
	v_lshrrev_b32_e32 v5, 7, v5
	s_delay_alu instid0(VALU_DEP_3) | instskip(NEXT) | instid1(VALU_DEP_3)
	v_and_or_b32 v6, 0x3f0000, v6, v8
	v_cmp_ne_u32_e32 vcc_lo, 0, v9
	s_delay_alu instid0(VALU_DEP_2) | instskip(NEXT) | instid1(VALU_DEP_1)
	v_cmp_ne_u32_e64 s0, 0, v6
	s_and_b32 s0, vcc_lo, s0
	s_delay_alu instid0(SALU_CYCLE_1) | instskip(NEXT) | instid1(VALU_DEP_1)
	v_cndmask_b32_e64 v6, 0, 1, s0
	v_add_nc_u32_e32 v6, v5, v6
; %bb.1811:
	s_or_b32 exec_lo, exec_lo, s6
	s_mov_b32 s0, 0
	s_mov_b32 s6, -1
	global_store_b8 v[0:1], v6, off
.LBB416_1812:
	s_mov_b32 s7, 0
.LBB416_1813:
	s_delay_alu instid0(SALU_CYCLE_1)
	s_and_b32 vcc_lo, exec_lo, s7
	s_cbranch_vccz .LBB416_1816
; %bb.1814:
	v_cmp_eq_u16_e32 vcc_lo, 29, v3
	s_mov_b32 s0, -1
	s_cbranch_vccz .LBB416_1816
; %bb.1815:
	v_lshlrev_b32_e32 v5, 16, v4
	s_mov_b32 s0, 0
	s_mov_b32 s6, -1
	s_delay_alu instid0(VALU_DEP_1) | instskip(NEXT) | instid1(VALU_DEP_1)
	v_trunc_f32_e32 v5, v5
	v_mul_f32_e32 v6, 0x2f800000, v5
	s_delay_alu instid0(VALU_DEP_1) | instskip(NEXT) | instid1(VALU_DEP_1)
	v_floor_f32_e32 v6, v6
	v_fmamk_f32 v5, v6, 0xcf800000, v5
	v_cvt_u32_f32_e32 v6, v6
	s_delay_alu instid0(VALU_DEP_2)
	v_cvt_u32_f32_e32 v5, v5
	global_store_b64 v[0:1], v[5:6], off
.LBB416_1816:
	s_mov_b32 s7, 0
.LBB416_1817:
	s_delay_alu instid0(SALU_CYCLE_1)
	s_and_b32 vcc_lo, exec_lo, s7
	s_cbranch_vccz .LBB416_1833
; %bb.1818:
	v_cmp_gt_i16_e32 vcc_lo, 27, v3
	s_mov_b32 s6, -1
	s_cbranch_vccnz .LBB416_1824
; %bb.1819:
	v_cmp_lt_i16_e32 vcc_lo, 27, v3
	s_cbranch_vccz .LBB416_1821
; %bb.1820:
	v_lshlrev_b32_e32 v5, 16, v4
	s_mov_b32 s6, 0
	s_delay_alu instid0(VALU_DEP_1)
	v_cvt_u32_f32_e32 v5, v5
	global_store_b32 v[0:1], v5, off
.LBB416_1821:
	s_and_not1_b32 vcc_lo, exec_lo, s6
	s_cbranch_vccnz .LBB416_1823
; %bb.1822:
	v_lshlrev_b32_e32 v5, 16, v4
	s_delay_alu instid0(VALU_DEP_1)
	v_cvt_u32_f32_e32 v5, v5
	global_store_b16 v[0:1], v5, off
.LBB416_1823:
	s_mov_b32 s6, 0
.LBB416_1824:
	s_delay_alu instid0(SALU_CYCLE_1)
	s_and_not1_b32 vcc_lo, exec_lo, s6
	s_cbranch_vccnz .LBB416_1832
; %bb.1825:
	v_dual_mov_b32 v9, 0x80 :: v_dual_lshlrev_b32 v8, 16, v4
	s_mov_b32 s6, exec_lo
	s_delay_alu instid0(VALU_DEP_1) | instskip(NEXT) | instid1(VALU_DEP_1)
	v_and_b32_e32 v6, 0x7fffffff, v8
	v_cmpx_gt_u32_e32 0x43800000, v6
	s_cbranch_execz .LBB416_1831
; %bb.1826:
	v_and_b32_e32 v5, 0xffff, v4
	v_cmp_lt_u32_e32 vcc_lo, 0x3bffffff, v6
	s_mov_b32 s7, 0
                                        ; implicit-def: $vgpr6
	s_and_saveexec_b32 s9, vcc_lo
	s_delay_alu instid0(SALU_CYCLE_1)
	s_xor_b32 s9, exec_lo, s9
	s_cbranch_execz .LBB416_2059
; %bb.1827:
	v_bfe_u32 v6, v5, 4, 1
	s_mov_b32 s7, exec_lo
	s_delay_alu instid0(VALU_DEP_1) | instskip(NEXT) | instid1(VALU_DEP_1)
	v_add3_u32 v6, v8, v6, 0x487ffff
                                        ; implicit-def: $vgpr8
	v_lshrrev_b32_e32 v6, 20, v6
	s_or_saveexec_b32 s9, s9
                                        ; implicit-def: $sgpr10
	s_delay_alu instid0(SALU_CYCLE_1)
	s_xor_b32 exec_lo, exec_lo, s9
	s_cbranch_execnz .LBB416_2060
.LBB416_1828:
	s_or_b32 exec_lo, exec_lo, s9
	v_mov_b32_e32 v9, s10
	s_and_saveexec_b32 s9, s7
.LBB416_1829:
	v_lshrrev_b32_e32 v5, 8, v5
	s_delay_alu instid0(VALU_DEP_1)
	v_and_or_b32 v9, 0x80, v5, v6
.LBB416_1830:
	s_or_b32 exec_lo, exec_lo, s9
.LBB416_1831:
	s_delay_alu instid0(SALU_CYCLE_1)
	s_or_b32 exec_lo, exec_lo, s6
	global_store_b8 v[0:1], v9, off
.LBB416_1832:
	s_mov_b32 s6, -1
.LBB416_1833:
	s_mov_b32 s7, 0
.LBB416_1834:
	s_delay_alu instid0(SALU_CYCLE_1)
	s_and_b32 vcc_lo, exec_lo, s7
	s_cbranch_vccz .LBB416_1874
; %bb.1835:
	v_cmp_lt_i16_e32 vcc_lo, 22, v3
	s_mov_b32 s1, -1
	s_cbranch_vccz .LBB416_1867
; %bb.1836:
	v_cmp_gt_i16_e32 vcc_lo, 24, v3
	s_cbranch_vccnz .LBB416_1856
; %bb.1837:
	v_cmp_lt_i16_e32 vcc_lo, 24, v3
	s_cbranch_vccz .LBB416_1845
; %bb.1838:
	v_dual_mov_b32 v9, 0x80 :: v_dual_lshlrev_b32 v8, 16, v4
	s_mov_b32 s1, exec_lo
	s_delay_alu instid0(VALU_DEP_1) | instskip(NEXT) | instid1(VALU_DEP_1)
	v_and_b32_e32 v6, 0x7fffffff, v8
	v_cmpx_gt_u32_e32 0x47800000, v6
	s_cbranch_execz .LBB416_1844
; %bb.1839:
	v_and_b32_e32 v5, 0xffff, v4
	v_cmp_lt_u32_e32 vcc_lo, 0x37ffffff, v6
	s_mov_b32 s6, 0
                                        ; implicit-def: $vgpr6
	s_and_saveexec_b32 s7, vcc_lo
	s_delay_alu instid0(SALU_CYCLE_1)
	s_xor_b32 s7, exec_lo, s7
	s_cbranch_execz .LBB416_2065
; %bb.1840:
	v_bfe_u32 v6, v5, 5, 1
	s_mov_b32 s6, exec_lo
	s_delay_alu instid0(VALU_DEP_1) | instskip(NEXT) | instid1(VALU_DEP_1)
	v_add3_u32 v6, v8, v6, 0x88fffff
                                        ; implicit-def: $vgpr8
	v_lshrrev_b32_e32 v6, 21, v6
	s_or_saveexec_b32 s7, s7
                                        ; implicit-def: $sgpr9
	s_delay_alu instid0(SALU_CYCLE_1)
	s_xor_b32 exec_lo, exec_lo, s7
	s_cbranch_execnz .LBB416_2066
.LBB416_1841:
	s_or_b32 exec_lo, exec_lo, s7
	v_mov_b32_e32 v9, s9
	s_and_saveexec_b32 s7, s6
.LBB416_1842:
	v_lshrrev_b32_e32 v5, 8, v5
	s_delay_alu instid0(VALU_DEP_1)
	v_and_or_b32 v9, 0x80, v5, v6
.LBB416_1843:
	s_or_b32 exec_lo, exec_lo, s7
.LBB416_1844:
	s_delay_alu instid0(SALU_CYCLE_1)
	s_or_b32 exec_lo, exec_lo, s1
	s_mov_b32 s1, 0
	global_store_b8 v[0:1], v9, off
.LBB416_1845:
	s_and_b32 vcc_lo, exec_lo, s1
	s_cbranch_vccz .LBB416_1855
; %bb.1846:
	v_lshlrev_b32_e32 v8, 16, v4
	v_and_b32_e32 v5, 0xffff, v4
	s_mov_b32 s1, exec_lo
                                        ; implicit-def: $vgpr6
	s_delay_alu instid0(VALU_DEP_2) | instskip(NEXT) | instid1(VALU_DEP_1)
	v_and_b32_e32 v9, 0x7fffffff, v8
	v_cmpx_gt_u32_e32 0x43f00000, v9
	s_xor_b32 s1, exec_lo, s1
	s_cbranch_execz .LBB416_1852
; %bb.1847:
	s_mov_b32 s6, exec_lo
                                        ; implicit-def: $vgpr6
	v_cmpx_lt_u32_e32 0x3c7fffff, v9
	s_xor_b32 s6, exec_lo, s6
; %bb.1848:
	v_bfe_u32 v6, v5, 4, 1
	s_delay_alu instid0(VALU_DEP_1) | instskip(NEXT) | instid1(VALU_DEP_1)
	v_add3_u32 v6, v8, v6, 0x407ffff
	v_and_b32_e32 v8, 0xff00000, v6
	v_lshrrev_b32_e32 v6, 20, v6
	s_delay_alu instid0(VALU_DEP_2) | instskip(NEXT) | instid1(VALU_DEP_2)
	v_cmp_ne_u32_e32 vcc_lo, 0x7f00000, v8
                                        ; implicit-def: $vgpr8
	v_cndmask_b32_e32 v6, 0x7e, v6, vcc_lo
; %bb.1849:
	s_and_not1_saveexec_b32 s6, s6
; %bb.1850:
	v_add_f32_e64 v6, 0x46800000, |v8|
; %bb.1851:
	s_or_b32 exec_lo, exec_lo, s6
                                        ; implicit-def: $vgpr9
.LBB416_1852:
	s_and_not1_saveexec_b32 s1, s1
; %bb.1853:
	v_mov_b32_e32 v6, 0x7f
	v_cmp_lt_u32_e32 vcc_lo, 0x7f800000, v9
	s_delay_alu instid0(VALU_DEP_2)
	v_cndmask_b32_e32 v6, 0x7e, v6, vcc_lo
; %bb.1854:
	s_or_b32 exec_lo, exec_lo, s1
	v_lshrrev_b32_e32 v5, 8, v5
	s_delay_alu instid0(VALU_DEP_1)
	v_and_or_b32 v5, 0x80, v5, v6
	global_store_b8 v[0:1], v5, off
.LBB416_1855:
	s_mov_b32 s1, 0
.LBB416_1856:
	s_delay_alu instid0(SALU_CYCLE_1)
	s_and_not1_b32 vcc_lo, exec_lo, s1
	s_cbranch_vccnz .LBB416_1866
; %bb.1857:
	v_lshlrev_b32_e32 v8, 16, v4
	v_and_b32_e32 v5, 0xffff, v4
	s_mov_b32 s1, exec_lo
                                        ; implicit-def: $vgpr6
	s_delay_alu instid0(VALU_DEP_2) | instskip(NEXT) | instid1(VALU_DEP_1)
	v_and_b32_e32 v9, 0x7fffffff, v8
	v_cmpx_gt_u32_e32 0x47800000, v9
	s_xor_b32 s1, exec_lo, s1
	s_cbranch_execz .LBB416_1863
; %bb.1858:
	s_mov_b32 s6, exec_lo
                                        ; implicit-def: $vgpr6
	v_cmpx_lt_u32_e32 0x387fffff, v9
	s_xor_b32 s6, exec_lo, s6
; %bb.1859:
	v_bfe_u32 v6, v5, 5, 1
	s_delay_alu instid0(VALU_DEP_1) | instskip(NEXT) | instid1(VALU_DEP_1)
	v_add3_u32 v6, v8, v6, 0x80fffff
                                        ; implicit-def: $vgpr8
	v_lshrrev_b32_e32 v6, 21, v6
; %bb.1860:
	s_and_not1_saveexec_b32 s6, s6
; %bb.1861:
	v_add_f32_e64 v6, 0x43000000, |v8|
; %bb.1862:
	s_or_b32 exec_lo, exec_lo, s6
                                        ; implicit-def: $vgpr9
.LBB416_1863:
	s_and_not1_saveexec_b32 s1, s1
; %bb.1864:
	v_mov_b32_e32 v6, 0x7f
	v_cmp_lt_u32_e32 vcc_lo, 0x7f800000, v9
	s_delay_alu instid0(VALU_DEP_2)
	v_cndmask_b32_e32 v6, 0x7c, v6, vcc_lo
; %bb.1865:
	s_or_b32 exec_lo, exec_lo, s1
	v_lshrrev_b32_e32 v5, 8, v5
	s_delay_alu instid0(VALU_DEP_1)
	v_and_or_b32 v5, 0x80, v5, v6
	global_store_b8 v[0:1], v5, off
.LBB416_1866:
	s_mov_b32 s1, 0
	s_mov_b32 s6, -1
.LBB416_1867:
	s_and_not1_b32 vcc_lo, exec_lo, s1
	s_mov_b32 s1, 0
	s_cbranch_vccnz .LBB416_1874
; %bb.1868:
	v_cmp_lt_i16_e32 vcc_lo, 14, v3
	s_mov_b32 s1, -1
	s_cbranch_vccz .LBB416_1872
; %bb.1869:
	v_cmp_eq_u16_e32 vcc_lo, 15, v3
	s_mov_b32 s0, -1
	s_cbranch_vccz .LBB416_1871
; %bb.1870:
	s_mov_b32 s0, 0
	s_mov_b32 s6, -1
	global_store_b16 v[0:1], v4, off
.LBB416_1871:
	s_mov_b32 s1, 0
.LBB416_1872:
	s_delay_alu instid0(SALU_CYCLE_1)
	s_and_b32 vcc_lo, exec_lo, s1
	s_mov_b32 s1, 0
	s_cbranch_vccz .LBB416_1874
; %bb.1873:
	v_cmp_ne_u16_e64 s0, 11, v3
	s_mov_b32 s1, -1
.LBB416_1874:
	s_delay_alu instid0(VALU_DEP_1)
	s_and_b32 vcc_lo, exec_lo, s0
	s_cbranch_vccnz .LBB416_2063
; %bb.1875:
	s_and_not1_b32 vcc_lo, exec_lo, s1
	s_cbranch_vccnz .LBB416_1877
.LBB416_1876:
	v_and_b32_e32 v5, 0x7fff, v4
	s_mov_b32 s6, -1
	s_delay_alu instid0(VALU_DEP_1)
	v_cmp_ne_u16_e32 vcc_lo, 0, v5
	v_cndmask_b32_e64 v5, 0, 1, vcc_lo
	global_store_b8 v[0:1], v5, off
.LBB416_1877:
	s_mov_b32 s0, 0
	s_branch .LBB416_1879
.LBB416_1878:
	s_mov_b32 s0, -1
	s_mov_b32 s6, 0
.LBB416_1879:
	s_and_b32 vcc_lo, exec_lo, s0
	s_cbranch_vccz .LBB416_1918
; %bb.1880:
	v_cmp_gt_i16_e32 vcc_lo, 5, v3
	s_mov_b32 s0, -1
	s_cbranch_vccnz .LBB416_1901
; %bb.1881:
	v_cmp_gt_i16_e32 vcc_lo, 8, v3
	s_cbranch_vccnz .LBB416_1891
; %bb.1882:
	v_cmp_gt_i16_e32 vcc_lo, 9, v3
	s_cbranch_vccnz .LBB416_1888
; %bb.1883:
	v_cmp_lt_i16_e32 vcc_lo, 9, v3
	s_cbranch_vccz .LBB416_1885
; %bb.1884:
	v_dual_mov_b32 v10, 0 :: v_dual_lshlrev_b32 v5, 16, v4
	s_mov_b32 s0, 0
	s_delay_alu instid0(VALU_DEP_1) | instskip(NEXT) | instid1(VALU_DEP_2)
	v_cvt_f64_f32_e32 v[8:9], v5
	v_mov_b32_e32 v11, v10
	global_store_b128 v[0:1], v[8:11], off
.LBB416_1885:
	s_and_not1_b32 vcc_lo, exec_lo, s0
	s_cbranch_vccnz .LBB416_1887
; %bb.1886:
	v_dual_mov_b32 v6, 0 :: v_dual_lshlrev_b32 v5, 16, v4
	global_store_b64 v[0:1], v[5:6], off
.LBB416_1887:
	s_mov_b32 s0, 0
.LBB416_1888:
	s_delay_alu instid0(SALU_CYCLE_1)
	s_and_not1_b32 vcc_lo, exec_lo, s0
	s_cbranch_vccnz .LBB416_1890
; %bb.1889:
	v_lshlrev_b32_e32 v5, 16, v4
	s_delay_alu instid0(VALU_DEP_1) | instskip(NEXT) | instid1(VALU_DEP_1)
	v_cvt_f16_f32_e32 v5, v5
	v_and_b32_e32 v5, 0xffff, v5
	global_store_b32 v[0:1], v5, off
.LBB416_1890:
	s_mov_b32 s0, 0
.LBB416_1891:
	s_delay_alu instid0(SALU_CYCLE_1)
	s_and_not1_b32 vcc_lo, exec_lo, s0
	s_cbranch_vccnz .LBB416_1900
; %bb.1892:
	v_cmp_gt_i16_e32 vcc_lo, 6, v3
	s_mov_b32 s0, -1
	s_cbranch_vccnz .LBB416_1898
; %bb.1893:
	v_cmp_lt_i16_e32 vcc_lo, 6, v3
	s_cbranch_vccz .LBB416_1895
; %bb.1894:
	v_lshlrev_b32_e32 v5, 16, v4
	s_mov_b32 s0, 0
	s_delay_alu instid0(VALU_DEP_1)
	v_cvt_f64_f32_e32 v[5:6], v5
	global_store_b64 v[0:1], v[5:6], off
.LBB416_1895:
	s_and_not1_b32 vcc_lo, exec_lo, s0
	s_cbranch_vccnz .LBB416_1897
; %bb.1896:
	v_lshlrev_b32_e32 v5, 16, v4
	global_store_b32 v[0:1], v5, off
.LBB416_1897:
	s_mov_b32 s0, 0
.LBB416_1898:
	s_delay_alu instid0(SALU_CYCLE_1)
	s_and_not1_b32 vcc_lo, exec_lo, s0
	s_cbranch_vccnz .LBB416_1900
; %bb.1899:
	v_lshlrev_b32_e32 v5, 16, v4
	s_delay_alu instid0(VALU_DEP_1)
	v_cvt_f16_f32_e32 v5, v5
	global_store_b16 v[0:1], v5, off
.LBB416_1900:
	s_mov_b32 s0, 0
.LBB416_1901:
	s_delay_alu instid0(SALU_CYCLE_1)
	s_and_not1_b32 vcc_lo, exec_lo, s0
	s_cbranch_vccnz .LBB416_1917
; %bb.1902:
	v_cmp_gt_i16_e32 vcc_lo, 2, v3
	s_mov_b32 s0, -1
	s_cbranch_vccnz .LBB416_1912
; %bb.1903:
	v_cmp_gt_i16_e32 vcc_lo, 3, v3
	s_cbranch_vccnz .LBB416_1909
; %bb.1904:
	v_cmp_lt_i16_e32 vcc_lo, 3, v3
	s_cbranch_vccz .LBB416_1906
; %bb.1905:
	v_lshlrev_b32_e32 v5, 16, v4
	s_mov_b32 s0, 0
	s_delay_alu instid0(VALU_DEP_1) | instskip(NEXT) | instid1(VALU_DEP_1)
	v_trunc_f32_e32 v5, v5
	v_mul_f32_e64 v6, 0x2f800000, |v5|
	v_ashrrev_i32_e32 v9, 31, v5
	s_delay_alu instid0(VALU_DEP_2) | instskip(NEXT) | instid1(VALU_DEP_1)
	v_floor_f32_e32 v6, v6
	v_fma_f32 v8, 0xcf800000, v6, |v5|
	v_cvt_u32_f32_e32 v6, v6
	s_delay_alu instid0(VALU_DEP_2) | instskip(NEXT) | instid1(VALU_DEP_2)
	v_cvt_u32_f32_e32 v5, v8
	v_xor_b32_e32 v6, v6, v9
	s_delay_alu instid0(VALU_DEP_2) | instskip(NEXT) | instid1(VALU_DEP_1)
	v_xor_b32_e32 v5, v5, v9
	v_sub_co_u32 v5, vcc_lo, v5, v9
	s_delay_alu instid0(VALU_DEP_3)
	v_sub_co_ci_u32_e32 v6, vcc_lo, v6, v9, vcc_lo
	global_store_b64 v[0:1], v[5:6], off
.LBB416_1906:
	s_and_not1_b32 vcc_lo, exec_lo, s0
	s_cbranch_vccnz .LBB416_1908
; %bb.1907:
	v_lshlrev_b32_e32 v5, 16, v4
	s_delay_alu instid0(VALU_DEP_1)
	v_cvt_i32_f32_e32 v5, v5
	global_store_b32 v[0:1], v5, off
.LBB416_1908:
	s_mov_b32 s0, 0
.LBB416_1909:
	s_delay_alu instid0(SALU_CYCLE_1)
	s_and_not1_b32 vcc_lo, exec_lo, s0
	s_cbranch_vccnz .LBB416_1911
; %bb.1910:
	v_lshlrev_b32_e32 v5, 16, v4
	s_delay_alu instid0(VALU_DEP_1)
	v_cvt_i32_f32_e32 v5, v5
	global_store_b16 v[0:1], v5, off
.LBB416_1911:
	s_mov_b32 s0, 0
.LBB416_1912:
	s_delay_alu instid0(SALU_CYCLE_1)
	s_and_not1_b32 vcc_lo, exec_lo, s0
	s_cbranch_vccnz .LBB416_1917
; %bb.1913:
	v_cmp_lt_i16_e32 vcc_lo, 0, v3
	v_lshlrev_b32_e32 v4, 16, v4
	s_mov_b32 s0, -1
	s_cbranch_vccz .LBB416_1915
; %bb.1914:
	s_delay_alu instid0(VALU_DEP_1)
	v_cvt_i32_f32_e32 v5, v4
	s_mov_b32 s0, 0
	global_store_b8 v[0:1], v5, off
.LBB416_1915:
	s_and_not1_b32 vcc_lo, exec_lo, s0
	s_cbranch_vccnz .LBB416_1917
; %bb.1916:
	v_trunc_f32_e32 v4, v4
	s_delay_alu instid0(VALU_DEP_1) | instskip(NEXT) | instid1(VALU_DEP_1)
	v_mul_f32_e64 v5, 0x2f800000, |v4|
	v_floor_f32_e32 v5, v5
	s_delay_alu instid0(VALU_DEP_1) | instskip(SKIP_1) | instid1(VALU_DEP_2)
	v_fma_f32 v5, 0xcf800000, v5, |v4|
	v_ashrrev_i32_e32 v4, 31, v4
	v_cvt_u32_f32_e32 v5, v5
	s_delay_alu instid0(VALU_DEP_1) | instskip(NEXT) | instid1(VALU_DEP_1)
	v_xor_b32_e32 v5, v5, v4
	v_sub_nc_u32_e32 v4, v5, v4
	global_store_b8 v[0:1], v4, off
.LBB416_1917:
	s_mov_b32 s6, -1
.LBB416_1918:
	s_delay_alu instid0(SALU_CYCLE_1)
	s_and_not1_b32 vcc_lo, exec_lo, s6
	s_cbranch_vccnz .LBB416_1995
; %bb.1919:
	v_lshlrev_b32_e32 v0, 16, v7
	v_add_nc_u32_e32 v1, s2, v2
	v_cmp_gt_i16_e64 s1, 11, v3
	s_delay_alu instid0(VALU_DEP_3) | instskip(SKIP_1) | instid1(VALU_DEP_4)
	v_cmp_u_f32_e32 vcc_lo, v0, v0
	v_cmp_lt_f32_e64 s0, s3, v0
	v_ashrrev_i32_e32 v2, 31, v1
	s_delay_alu instid0(VALU_DEP_2) | instskip(SKIP_2) | instid1(VALU_DEP_3)
	s_or_b32 vcc_lo, vcc_lo, s0
	v_cndmask_b32_e32 v4, s8, v7, vcc_lo
	v_add_co_u32 v0, vcc_lo, s4, v1
	v_add_co_ci_u32_e32 v1, vcc_lo, s5, v2, vcc_lo
	s_and_b32 vcc_lo, exec_lo, s1
	s_cbranch_vccnz .LBB416_2040
; %bb.1920:
	v_cmp_lt_i16_e32 vcc_lo, 25, v3
	s_mov_b32 s2, -1
	s_mov_b32 s1, 0
	s_mov_b32 s0, 0
	s_cbranch_vccz .LBB416_1953
; %bb.1921:
	v_cmp_lt_i16_e32 vcc_lo, 28, v3
	s_cbranch_vccz .LBB416_1937
; %bb.1922:
	v_cmp_lt_i16_e32 vcc_lo, 43, v3
	;; [unrolled: 3-line block ×3, first 2 shown]
	s_cbranch_vccz .LBB416_1927
; %bb.1924:
	v_cmp_eq_u16_e32 vcc_lo, 46, v3
	s_mov_b32 s0, -1
	s_cbranch_vccz .LBB416_1926
; %bb.1925:
	v_and_b32_e32 v2, 0xffff, v4
	s_mov_b32 s0, 0
	global_store_b32 v[0:1], v2, off
.LBB416_1926:
	s_mov_b32 s2, 0
.LBB416_1927:
	s_delay_alu instid0(SALU_CYCLE_1)
	s_and_b32 vcc_lo, exec_lo, s2
	s_cbranch_vccz .LBB416_1932
; %bb.1928:
	v_cmp_eq_u16_e32 vcc_lo, 44, v3
	s_mov_b32 s0, -1
	s_cbranch_vccz .LBB416_1932
; %bb.1929:
	v_and_b32_e32 v2, 0xffff, v4
	v_mov_b32_e32 v5, 0xff
	s_mov_b32 s2, exec_lo
	s_delay_alu instid0(VALU_DEP_2) | instskip(NEXT) | instid1(VALU_DEP_1)
	v_bfe_u32 v6, v2, 7, 8
	v_cmpx_ne_u32_e32 0xff, v6
; %bb.1930:
	v_lshlrev_b32_e32 v5, 16, v2
	v_and_b32_e32 v7, 64, v2
	v_lshrrev_b32_e32 v2, 7, v2
	s_delay_alu instid0(VALU_DEP_3) | instskip(NEXT) | instid1(VALU_DEP_3)
	v_and_or_b32 v5, 0x3f0000, v5, v6
	v_cmp_ne_u32_e32 vcc_lo, 0, v7
	s_delay_alu instid0(VALU_DEP_2) | instskip(NEXT) | instid1(VALU_DEP_1)
	v_cmp_ne_u32_e64 s0, 0, v5
	s_and_b32 s0, vcc_lo, s0
	s_delay_alu instid0(SALU_CYCLE_1) | instskip(NEXT) | instid1(VALU_DEP_1)
	v_cndmask_b32_e64 v5, 0, 1, s0
	v_add_nc_u32_e32 v5, v2, v5
; %bb.1931:
	s_or_b32 exec_lo, exec_lo, s2
	s_mov_b32 s0, 0
	global_store_b8 v[0:1], v5, off
.LBB416_1932:
	s_mov_b32 s2, 0
.LBB416_1933:
	s_delay_alu instid0(SALU_CYCLE_1)
	s_and_b32 vcc_lo, exec_lo, s2
	s_cbranch_vccz .LBB416_1936
; %bb.1934:
	v_cmp_eq_u16_e32 vcc_lo, 29, v3
	s_mov_b32 s0, -1
	s_cbranch_vccz .LBB416_1936
; %bb.1935:
	v_lshlrev_b32_e32 v2, 16, v4
	s_mov_b32 s0, 0
	s_delay_alu instid0(VALU_DEP_1) | instskip(NEXT) | instid1(VALU_DEP_1)
	v_trunc_f32_e32 v2, v2
	v_mul_f32_e32 v5, 0x2f800000, v2
	s_delay_alu instid0(VALU_DEP_1) | instskip(NEXT) | instid1(VALU_DEP_1)
	v_floor_f32_e32 v5, v5
	v_fmamk_f32 v2, v5, 0xcf800000, v2
	v_cvt_u32_f32_e32 v6, v5
	s_delay_alu instid0(VALU_DEP_2)
	v_cvt_u32_f32_e32 v5, v2
	global_store_b64 v[0:1], v[5:6], off
.LBB416_1936:
	s_mov_b32 s2, 0
.LBB416_1937:
	s_delay_alu instid0(SALU_CYCLE_1)
	s_and_b32 vcc_lo, exec_lo, s2
	s_cbranch_vccz .LBB416_1952
; %bb.1938:
	v_cmp_gt_i16_e32 vcc_lo, 27, v3
	s_mov_b32 s2, -1
	s_cbranch_vccnz .LBB416_1944
; %bb.1939:
	v_cmp_lt_i16_e32 vcc_lo, 27, v3
	s_cbranch_vccz .LBB416_1941
; %bb.1940:
	v_lshlrev_b32_e32 v2, 16, v4
	s_mov_b32 s2, 0
	s_delay_alu instid0(VALU_DEP_1)
	v_cvt_u32_f32_e32 v2, v2
	global_store_b32 v[0:1], v2, off
.LBB416_1941:
	s_and_not1_b32 vcc_lo, exec_lo, s2
	s_cbranch_vccnz .LBB416_1943
; %bb.1942:
	v_lshlrev_b32_e32 v2, 16, v4
	s_delay_alu instid0(VALU_DEP_1)
	v_cvt_u32_f32_e32 v2, v2
	global_store_b16 v[0:1], v2, off
.LBB416_1943:
	s_mov_b32 s2, 0
.LBB416_1944:
	s_delay_alu instid0(SALU_CYCLE_1)
	s_and_not1_b32 vcc_lo, exec_lo, s2
	s_cbranch_vccnz .LBB416_1952
; %bb.1945:
	v_dual_mov_b32 v7, 0x80 :: v_dual_lshlrev_b32 v6, 16, v4
	s_mov_b32 s2, exec_lo
	s_delay_alu instid0(VALU_DEP_1) | instskip(NEXT) | instid1(VALU_DEP_1)
	v_and_b32_e32 v5, 0x7fffffff, v6
	v_cmpx_gt_u32_e32 0x43800000, v5
	s_cbranch_execz .LBB416_1951
; %bb.1946:
	v_and_b32_e32 v2, 0xffff, v4
	v_cmp_lt_u32_e32 vcc_lo, 0x3bffffff, v5
	s_mov_b32 s3, 0
                                        ; implicit-def: $vgpr5
	s_and_saveexec_b32 s4, vcc_lo
	s_delay_alu instid0(SALU_CYCLE_1)
	s_xor_b32 s4, exec_lo, s4
	s_cbranch_execz .LBB416_2067
; %bb.1947:
	v_bfe_u32 v5, v2, 4, 1
	s_mov_b32 s3, exec_lo
	s_delay_alu instid0(VALU_DEP_1) | instskip(NEXT) | instid1(VALU_DEP_1)
	v_add3_u32 v5, v6, v5, 0x487ffff
                                        ; implicit-def: $vgpr6
	v_lshrrev_b32_e32 v5, 20, v5
	s_or_saveexec_b32 s4, s4
                                        ; implicit-def: $sgpr5
	s_delay_alu instid0(SALU_CYCLE_1)
	s_xor_b32 exec_lo, exec_lo, s4
	s_cbranch_execnz .LBB416_2068
.LBB416_1948:
	s_or_b32 exec_lo, exec_lo, s4
	v_mov_b32_e32 v7, s5
	s_and_saveexec_b32 s4, s3
.LBB416_1949:
	v_lshrrev_b32_e32 v2, 8, v2
	s_delay_alu instid0(VALU_DEP_1)
	v_and_or_b32 v7, 0x80, v2, v5
.LBB416_1950:
	s_or_b32 exec_lo, exec_lo, s4
.LBB416_1951:
	s_delay_alu instid0(SALU_CYCLE_1)
	s_or_b32 exec_lo, exec_lo, s2
	global_store_b8 v[0:1], v7, off
.LBB416_1952:
	s_mov_b32 s2, 0
.LBB416_1953:
	s_delay_alu instid0(SALU_CYCLE_1)
	s_and_b32 vcc_lo, exec_lo, s2
	s_cbranch_vccz .LBB416_1993
; %bb.1954:
	v_cmp_lt_i16_e32 vcc_lo, 22, v3
	s_mov_b32 s1, -1
	s_cbranch_vccz .LBB416_1986
; %bb.1955:
	v_cmp_gt_i16_e32 vcc_lo, 24, v3
	s_cbranch_vccnz .LBB416_1975
; %bb.1956:
	v_cmp_lt_i16_e32 vcc_lo, 24, v3
	s_cbranch_vccz .LBB416_1964
; %bb.1957:
	v_dual_mov_b32 v7, 0x80 :: v_dual_lshlrev_b32 v6, 16, v4
	s_mov_b32 s1, exec_lo
	s_delay_alu instid0(VALU_DEP_1) | instskip(NEXT) | instid1(VALU_DEP_1)
	v_and_b32_e32 v5, 0x7fffffff, v6
	v_cmpx_gt_u32_e32 0x47800000, v5
	s_cbranch_execz .LBB416_1963
; %bb.1958:
	v_and_b32_e32 v2, 0xffff, v4
	v_cmp_lt_u32_e32 vcc_lo, 0x37ffffff, v5
	s_mov_b32 s2, 0
                                        ; implicit-def: $vgpr5
	s_and_saveexec_b32 s3, vcc_lo
	s_delay_alu instid0(SALU_CYCLE_1)
	s_xor_b32 s3, exec_lo, s3
	s_cbranch_execz .LBB416_2073
; %bb.1959:
	v_bfe_u32 v5, v2, 5, 1
	s_mov_b32 s2, exec_lo
	s_delay_alu instid0(VALU_DEP_1) | instskip(NEXT) | instid1(VALU_DEP_1)
	v_add3_u32 v5, v6, v5, 0x88fffff
                                        ; implicit-def: $vgpr6
	v_lshrrev_b32_e32 v5, 21, v5
	s_or_saveexec_b32 s3, s3
                                        ; implicit-def: $sgpr4
	s_delay_alu instid0(SALU_CYCLE_1)
	s_xor_b32 exec_lo, exec_lo, s3
	s_cbranch_execnz .LBB416_2074
.LBB416_1960:
	s_or_b32 exec_lo, exec_lo, s3
	v_mov_b32_e32 v7, s4
	s_and_saveexec_b32 s3, s2
.LBB416_1961:
	v_lshrrev_b32_e32 v2, 8, v2
	s_delay_alu instid0(VALU_DEP_1)
	v_and_or_b32 v7, 0x80, v2, v5
.LBB416_1962:
	s_or_b32 exec_lo, exec_lo, s3
.LBB416_1963:
	s_delay_alu instid0(SALU_CYCLE_1)
	s_or_b32 exec_lo, exec_lo, s1
	s_mov_b32 s1, 0
	global_store_b8 v[0:1], v7, off
.LBB416_1964:
	s_and_b32 vcc_lo, exec_lo, s1
	s_cbranch_vccz .LBB416_1974
; %bb.1965:
	v_lshlrev_b32_e32 v6, 16, v4
	v_and_b32_e32 v2, 0xffff, v4
	s_mov_b32 s1, exec_lo
                                        ; implicit-def: $vgpr5
	s_delay_alu instid0(VALU_DEP_2) | instskip(NEXT) | instid1(VALU_DEP_1)
	v_and_b32_e32 v7, 0x7fffffff, v6
	v_cmpx_gt_u32_e32 0x43f00000, v7
	s_xor_b32 s1, exec_lo, s1
	s_cbranch_execz .LBB416_1971
; %bb.1966:
	s_mov_b32 s2, exec_lo
                                        ; implicit-def: $vgpr5
	v_cmpx_lt_u32_e32 0x3c7fffff, v7
	s_xor_b32 s2, exec_lo, s2
; %bb.1967:
	v_bfe_u32 v5, v2, 4, 1
	s_delay_alu instid0(VALU_DEP_1) | instskip(NEXT) | instid1(VALU_DEP_1)
	v_add3_u32 v5, v6, v5, 0x407ffff
	v_and_b32_e32 v6, 0xff00000, v5
	v_lshrrev_b32_e32 v5, 20, v5
	s_delay_alu instid0(VALU_DEP_2) | instskip(NEXT) | instid1(VALU_DEP_2)
	v_cmp_ne_u32_e32 vcc_lo, 0x7f00000, v6
                                        ; implicit-def: $vgpr6
	v_cndmask_b32_e32 v5, 0x7e, v5, vcc_lo
; %bb.1968:
	s_and_not1_saveexec_b32 s2, s2
; %bb.1969:
	v_add_f32_e64 v5, 0x46800000, |v6|
; %bb.1970:
	s_or_b32 exec_lo, exec_lo, s2
                                        ; implicit-def: $vgpr7
.LBB416_1971:
	s_and_not1_saveexec_b32 s1, s1
; %bb.1972:
	v_mov_b32_e32 v5, 0x7f
	v_cmp_lt_u32_e32 vcc_lo, 0x7f800000, v7
	s_delay_alu instid0(VALU_DEP_2)
	v_cndmask_b32_e32 v5, 0x7e, v5, vcc_lo
; %bb.1973:
	s_or_b32 exec_lo, exec_lo, s1
	v_lshrrev_b32_e32 v2, 8, v2
	s_delay_alu instid0(VALU_DEP_1)
	v_and_or_b32 v2, 0x80, v2, v5
	global_store_b8 v[0:1], v2, off
.LBB416_1974:
	s_mov_b32 s1, 0
.LBB416_1975:
	s_delay_alu instid0(SALU_CYCLE_1)
	s_and_not1_b32 vcc_lo, exec_lo, s1
	s_cbranch_vccnz .LBB416_1985
; %bb.1976:
	v_lshlrev_b32_e32 v6, 16, v4
	v_and_b32_e32 v2, 0xffff, v4
	s_mov_b32 s1, exec_lo
                                        ; implicit-def: $vgpr5
	s_delay_alu instid0(VALU_DEP_2) | instskip(NEXT) | instid1(VALU_DEP_1)
	v_and_b32_e32 v7, 0x7fffffff, v6
	v_cmpx_gt_u32_e32 0x47800000, v7
	s_xor_b32 s1, exec_lo, s1
	s_cbranch_execz .LBB416_1982
; %bb.1977:
	s_mov_b32 s2, exec_lo
                                        ; implicit-def: $vgpr5
	v_cmpx_lt_u32_e32 0x387fffff, v7
	s_xor_b32 s2, exec_lo, s2
; %bb.1978:
	v_bfe_u32 v5, v2, 5, 1
	s_delay_alu instid0(VALU_DEP_1) | instskip(NEXT) | instid1(VALU_DEP_1)
	v_add3_u32 v5, v6, v5, 0x80fffff
                                        ; implicit-def: $vgpr6
	v_lshrrev_b32_e32 v5, 21, v5
; %bb.1979:
	s_and_not1_saveexec_b32 s2, s2
; %bb.1980:
	v_add_f32_e64 v5, 0x43000000, |v6|
; %bb.1981:
	s_or_b32 exec_lo, exec_lo, s2
                                        ; implicit-def: $vgpr7
.LBB416_1982:
	s_and_not1_saveexec_b32 s1, s1
; %bb.1983:
	v_mov_b32_e32 v5, 0x7f
	v_cmp_lt_u32_e32 vcc_lo, 0x7f800000, v7
	s_delay_alu instid0(VALU_DEP_2)
	v_cndmask_b32_e32 v5, 0x7c, v5, vcc_lo
; %bb.1984:
	s_or_b32 exec_lo, exec_lo, s1
	v_lshrrev_b32_e32 v2, 8, v2
	s_delay_alu instid0(VALU_DEP_1)
	v_and_or_b32 v2, 0x80, v2, v5
	global_store_b8 v[0:1], v2, off
.LBB416_1985:
	s_mov_b32 s1, 0
.LBB416_1986:
	s_delay_alu instid0(SALU_CYCLE_1)
	s_and_not1_b32 vcc_lo, exec_lo, s1
	s_mov_b32 s1, 0
	s_cbranch_vccnz .LBB416_1993
; %bb.1987:
	v_cmp_lt_i16_e32 vcc_lo, 14, v3
	s_mov_b32 s1, -1
	s_cbranch_vccz .LBB416_1991
; %bb.1988:
	v_cmp_eq_u16_e32 vcc_lo, 15, v3
	s_mov_b32 s0, -1
	s_cbranch_vccz .LBB416_1990
; %bb.1989:
	s_mov_b32 s0, 0
	global_store_b16 v[0:1], v4, off
.LBB416_1990:
	s_mov_b32 s1, 0
.LBB416_1991:
	s_delay_alu instid0(SALU_CYCLE_1)
	s_and_b32 vcc_lo, exec_lo, s1
	s_mov_b32 s1, 0
	s_cbranch_vccz .LBB416_1993
; %bb.1992:
	v_cmp_ne_u16_e64 s0, 11, v3
	s_mov_b32 s1, -1
.LBB416_1993:
	s_delay_alu instid0(VALU_DEP_1)
	s_and_b32 vcc_lo, exec_lo, s0
	s_cbranch_vccnz .LBB416_2071
.LBB416_1994:
	s_mov_b32 s0, 0
	s_branch .LBB416_1996
.LBB416_1995:
	s_mov_b32 s0, 0
	s_mov_b32 s1, 0
                                        ; implicit-def: $vgpr3
                                        ; implicit-def: $vgpr0_vgpr1
                                        ; implicit-def: $vgpr4
.LBB416_1996:
	s_and_not1_b32 s2, s13, exec_lo
	s_and_b32 s3, s11, exec_lo
	s_and_b32 s0, s0, exec_lo
	;; [unrolled: 1-line block ×3, first 2 shown]
	s_or_b32 s13, s2, s3
.LBB416_1997:
	s_or_b32 exec_lo, exec_lo, s12
	s_and_saveexec_b32 s1, s13
	s_cbranch_execz .LBB416_2000
; %bb.1998:
	; divergent unreachable
	s_or_b32 exec_lo, exec_lo, s1
	s_and_saveexec_b32 s1, s11
	s_delay_alu instid0(SALU_CYCLE_1)
	s_xor_b32 s1, exec_lo, s1
	s_cbranch_execnz .LBB416_2001
.LBB416_1999:
	s_or_b32 exec_lo, exec_lo, s1
	s_and_saveexec_b32 s1, s0
	s_cbranch_execnz .LBB416_2002
	s_branch .LBB416_2039
.LBB416_2000:
	s_or_b32 exec_lo, exec_lo, s1
	s_and_saveexec_b32 s1, s11
	s_delay_alu instid0(SALU_CYCLE_1)
	s_xor_b32 s1, exec_lo, s1
	s_cbranch_execz .LBB416_1999
.LBB416_2001:
	s_waitcnt vmcnt(0)
	v_and_b32_e32 v2, 0x7fff, v4
	s_delay_alu instid0(VALU_DEP_1)
	v_cmp_ne_u16_e32 vcc_lo, 0, v2
	v_cndmask_b32_e64 v2, 0, 1, vcc_lo
	global_store_b8 v[0:1], v2, off
	s_or_b32 exec_lo, exec_lo, s1
	s_and_saveexec_b32 s1, s0
	s_cbranch_execz .LBB416_2039
.LBB416_2002:
	s_waitcnt vmcnt(0)
	v_cmp_gt_i16_e32 vcc_lo, 5, v3
	s_mov_b32 s0, -1
	s_cbranch_vccnz .LBB416_2023
; %bb.2003:
	v_cmp_gt_i16_e32 vcc_lo, 8, v3
	s_cbranch_vccnz .LBB416_2013
; %bb.2004:
	v_cmp_gt_i16_e32 vcc_lo, 9, v3
	s_cbranch_vccnz .LBB416_2010
; %bb.2005:
	v_cmp_lt_i16_e32 vcc_lo, 9, v3
	s_cbranch_vccz .LBB416_2007
; %bb.2006:
	v_dual_mov_b32 v7, 0 :: v_dual_lshlrev_b32 v2, 16, v4
	s_mov_b32 s0, 0
	s_delay_alu instid0(VALU_DEP_1) | instskip(NEXT) | instid1(VALU_DEP_2)
	v_cvt_f64_f32_e32 v[5:6], v2
	v_mov_b32_e32 v8, v7
	global_store_b128 v[0:1], v[5:8], off
.LBB416_2007:
	s_and_not1_b32 vcc_lo, exec_lo, s0
	s_cbranch_vccnz .LBB416_2009
; %bb.2008:
	v_dual_mov_b32 v6, 0 :: v_dual_lshlrev_b32 v5, 16, v4
	global_store_b64 v[0:1], v[5:6], off
.LBB416_2009:
	s_mov_b32 s0, 0
.LBB416_2010:
	s_delay_alu instid0(SALU_CYCLE_1)
	s_and_not1_b32 vcc_lo, exec_lo, s0
	s_cbranch_vccnz .LBB416_2012
; %bb.2011:
	v_lshlrev_b32_e32 v2, 16, v4
	s_delay_alu instid0(VALU_DEP_1) | instskip(NEXT) | instid1(VALU_DEP_1)
	v_cvt_f16_f32_e32 v2, v2
	v_and_b32_e32 v2, 0xffff, v2
	global_store_b32 v[0:1], v2, off
.LBB416_2012:
	s_mov_b32 s0, 0
.LBB416_2013:
	s_delay_alu instid0(SALU_CYCLE_1)
	s_and_not1_b32 vcc_lo, exec_lo, s0
	s_cbranch_vccnz .LBB416_2022
; %bb.2014:
	v_cmp_gt_i16_e32 vcc_lo, 6, v3
	s_mov_b32 s0, -1
	s_cbranch_vccnz .LBB416_2020
; %bb.2015:
	v_cmp_lt_i16_e32 vcc_lo, 6, v3
	s_cbranch_vccz .LBB416_2017
; %bb.2016:
	v_lshlrev_b32_e32 v2, 16, v4
	s_mov_b32 s0, 0
	s_delay_alu instid0(VALU_DEP_1)
	v_cvt_f64_f32_e32 v[5:6], v2
	global_store_b64 v[0:1], v[5:6], off
.LBB416_2017:
	s_and_not1_b32 vcc_lo, exec_lo, s0
	s_cbranch_vccnz .LBB416_2019
; %bb.2018:
	v_lshlrev_b32_e32 v2, 16, v4
	global_store_b32 v[0:1], v2, off
.LBB416_2019:
	s_mov_b32 s0, 0
.LBB416_2020:
	s_delay_alu instid0(SALU_CYCLE_1)
	s_and_not1_b32 vcc_lo, exec_lo, s0
	s_cbranch_vccnz .LBB416_2022
; %bb.2021:
	v_lshlrev_b32_e32 v2, 16, v4
	s_delay_alu instid0(VALU_DEP_1)
	v_cvt_f16_f32_e32 v2, v2
	global_store_b16 v[0:1], v2, off
.LBB416_2022:
	s_mov_b32 s0, 0
.LBB416_2023:
	s_delay_alu instid0(SALU_CYCLE_1)
	s_and_not1_b32 vcc_lo, exec_lo, s0
	s_cbranch_vccnz .LBB416_2039
; %bb.2024:
	v_cmp_gt_i16_e32 vcc_lo, 2, v3
	s_mov_b32 s0, -1
	s_cbranch_vccnz .LBB416_2034
; %bb.2025:
	v_cmp_gt_i16_e32 vcc_lo, 3, v3
	s_cbranch_vccnz .LBB416_2031
; %bb.2026:
	v_cmp_lt_i16_e32 vcc_lo, 3, v3
	s_cbranch_vccz .LBB416_2028
; %bb.2027:
	v_lshlrev_b32_e32 v2, 16, v4
	s_mov_b32 s0, 0
	s_delay_alu instid0(VALU_DEP_1) | instskip(NEXT) | instid1(VALU_DEP_1)
	v_trunc_f32_e32 v2, v2
	v_mul_f32_e64 v5, 0x2f800000, |v2|
	s_delay_alu instid0(VALU_DEP_1) | instskip(NEXT) | instid1(VALU_DEP_1)
	v_floor_f32_e32 v5, v5
	v_fma_f32 v6, 0xcf800000, v5, |v2|
	v_ashrrev_i32_e32 v2, 31, v2
	v_cvt_u32_f32_e32 v5, v5
	s_delay_alu instid0(VALU_DEP_3) | instskip(NEXT) | instid1(VALU_DEP_2)
	v_cvt_u32_f32_e32 v6, v6
	v_xor_b32_e32 v7, v5, v2
	s_delay_alu instid0(VALU_DEP_2) | instskip(NEXT) | instid1(VALU_DEP_1)
	v_xor_b32_e32 v6, v6, v2
	v_sub_co_u32 v5, vcc_lo, v6, v2
	s_delay_alu instid0(VALU_DEP_3)
	v_sub_co_ci_u32_e32 v6, vcc_lo, v7, v2, vcc_lo
	global_store_b64 v[0:1], v[5:6], off
.LBB416_2028:
	s_and_not1_b32 vcc_lo, exec_lo, s0
	s_cbranch_vccnz .LBB416_2030
; %bb.2029:
	v_lshlrev_b32_e32 v2, 16, v4
	s_delay_alu instid0(VALU_DEP_1)
	v_cvt_i32_f32_e32 v2, v2
	global_store_b32 v[0:1], v2, off
.LBB416_2030:
	s_mov_b32 s0, 0
.LBB416_2031:
	s_delay_alu instid0(SALU_CYCLE_1)
	s_and_not1_b32 vcc_lo, exec_lo, s0
	s_cbranch_vccnz .LBB416_2033
; %bb.2032:
	v_lshlrev_b32_e32 v2, 16, v4
	s_delay_alu instid0(VALU_DEP_1)
	v_cvt_i32_f32_e32 v2, v2
	global_store_b16 v[0:1], v2, off
.LBB416_2033:
	s_mov_b32 s0, 0
.LBB416_2034:
	s_delay_alu instid0(SALU_CYCLE_1)
	s_and_not1_b32 vcc_lo, exec_lo, s0
	s_cbranch_vccnz .LBB416_2039
; %bb.2035:
	v_cmp_lt_i16_e32 vcc_lo, 0, v3
	v_lshlrev_b32_e32 v2, 16, v4
	s_mov_b32 s0, -1
	s_cbranch_vccz .LBB416_2037
; %bb.2036:
	s_delay_alu instid0(VALU_DEP_1)
	v_cvt_i32_f32_e32 v3, v2
	s_mov_b32 s0, 0
	global_store_b8 v[0:1], v3, off
.LBB416_2037:
	s_and_not1_b32 vcc_lo, exec_lo, s0
	s_cbranch_vccnz .LBB416_2039
; %bb.2038:
	v_trunc_f32_e32 v2, v2
	s_delay_alu instid0(VALU_DEP_1) | instskip(NEXT) | instid1(VALU_DEP_1)
	v_mul_f32_e64 v3, 0x2f800000, |v2|
	v_floor_f32_e32 v3, v3
	s_delay_alu instid0(VALU_DEP_1) | instskip(SKIP_1) | instid1(VALU_DEP_2)
	v_fma_f32 v3, 0xcf800000, v3, |v2|
	v_ashrrev_i32_e32 v2, 31, v2
	v_cvt_u32_f32_e32 v3, v3
	s_delay_alu instid0(VALU_DEP_1) | instskip(NEXT) | instid1(VALU_DEP_1)
	v_xor_b32_e32 v3, v3, v2
	v_sub_nc_u32_e32 v2, v3, v2
	global_store_b8 v[0:1], v2, off
	s_nop 0
	s_sendmsg sendmsg(MSG_DEALLOC_VGPRS)
	s_endpgm
.LBB416_2039:
	s_nop 0
	s_sendmsg sendmsg(MSG_DEALLOC_VGPRS)
	s_endpgm
.LBB416_2040:
	s_mov_b32 s1, 0
	s_mov_b32 s0, -1
	s_branch .LBB416_1996
.LBB416_2041:
	s_cbranch_execnz .LBB416_2045
; %bb.2042:
	s_or_b32 s11, s11, exec_lo
                                        ; implicit-def: $vgpr7
	s_cbranch_execz .LBB416_1510
	s_branch .LBB416_1511
.LBB416_2043:
	s_or_saveexec_b32 s9, s9
                                        ; implicit-def: $sgpr10
	s_delay_alu instid0(SALU_CYCLE_1)
	s_xor_b32 exec_lo, exec_lo, s9
	s_cbranch_execz .LBB416_1590
.LBB416_2044:
	v_add_f32_e64 v9, 0x46000000, |v10|
	s_and_not1_b32 s7, s7, exec_lo
	s_mov_b32 s10, 0
	s_delay_alu instid0(VALU_DEP_1) | instskip(NEXT) | instid1(VALU_DEP_1)
	v_and_b32_e32 v9, 0xff, v9
	v_cmp_ne_u32_e32 vcc_lo, 0, v9
	s_and_b32 s14, vcc_lo, exec_lo
	s_delay_alu instid0(SALU_CYCLE_1)
	s_or_b32 s7, s7, s14
	s_or_b32 exec_lo, exec_lo, s9
	v_mov_b32_e32 v11, s10
	s_and_saveexec_b32 s9, s7
	s_cbranch_execnz .LBB416_1591
	s_branch .LBB416_1592
.LBB416_2045:
	s_trap 2
	s_sendmsg_rtn_b32 s0, sendmsg(MSG_RTN_GET_DOORBELL)
	s_mov_b32 ttmp2, m0
	s_waitcnt lgkmcnt(0)
	s_and_b32 s0, s0, 0x3ff
	s_delay_alu instid0(SALU_CYCLE_1) | instskip(NEXT) | instid1(SALU_CYCLE_1)
	s_bitset1_b32 s0, 10
	s_mov_b32 m0, s0
	s_sendmsg sendmsg(MSG_INTERRUPT)
	s_mov_b32 m0, ttmp2
.LBB416_2046:                           ; =>This Inner Loop Header: Depth=1
	s_sethalt 5
	s_branch .LBB416_2046
.LBB416_2047:
	s_cbranch_execnz .LBB416_2053
; %bb.2048:
	s_or_b32 s11, s11, exec_lo
	s_cbranch_execz .LBB416_1638
	s_branch .LBB416_1639
.LBB416_2049:
	s_or_saveexec_b32 s7, s7
                                        ; implicit-def: $sgpr9
	s_delay_alu instid0(SALU_CYCLE_1)
	s_xor_b32 exec_lo, exec_lo, s7
	s_cbranch_execz .LBB416_1603
.LBB416_2050:
	v_add_f32_e64 v9, 0x42800000, |v10|
	s_and_not1_b32 s6, s6, exec_lo
	s_mov_b32 s9, 0
	s_delay_alu instid0(VALU_DEP_1) | instskip(NEXT) | instid1(VALU_DEP_1)
	v_and_b32_e32 v9, 0xff, v9
	v_cmp_ne_u32_e32 vcc_lo, 0, v9
	s_and_b32 s10, vcc_lo, exec_lo
	s_delay_alu instid0(SALU_CYCLE_1)
	s_or_b32 s6, s6, s10
	s_or_b32 exec_lo, exec_lo, s7
	v_mov_b32_e32 v11, s9
	s_and_saveexec_b32 s7, s6
	s_cbranch_execnz .LBB416_1604
	s_branch .LBB416_1605
.LBB416_2051:
	s_or_saveexec_b32 s9, s9
                                        ; implicit-def: $sgpr10
	s_delay_alu instid0(SALU_CYCLE_1)
	s_xor_b32 exec_lo, exec_lo, s9
	s_cbranch_execz .LBB416_1709
.LBB416_2052:
	v_add_f32_e64 v8, 0x46000000, |v9|
	s_and_not1_b32 s7, s7, exec_lo
	s_mov_b32 s10, 0
	s_delay_alu instid0(VALU_DEP_1) | instskip(NEXT) | instid1(VALU_DEP_1)
	v_and_b32_e32 v8, 0xff, v8
	v_cmp_ne_u32_e32 vcc_lo, 0, v8
	s_and_b32 s14, vcc_lo, exec_lo
	s_delay_alu instid0(SALU_CYCLE_1)
	s_or_b32 s7, s7, s14
	s_or_b32 exec_lo, exec_lo, s9
	v_mov_b32_e32 v10, s10
	s_and_saveexec_b32 s9, s7
	s_cbranch_execnz .LBB416_1710
	s_branch .LBB416_1711
.LBB416_2053:
	s_trap 2
	s_sendmsg_rtn_b32 s0, sendmsg(MSG_RTN_GET_DOORBELL)
	s_mov_b32 ttmp2, m0
	s_waitcnt lgkmcnt(0)
	s_and_b32 s0, s0, 0x3ff
	s_delay_alu instid0(SALU_CYCLE_1) | instskip(NEXT) | instid1(SALU_CYCLE_1)
	s_bitset1_b32 s0, 10
	s_mov_b32 m0, s0
	s_sendmsg sendmsg(MSG_INTERRUPT)
	s_mov_b32 m0, ttmp2
.LBB416_2054:                           ; =>This Inner Loop Header: Depth=1
	s_sethalt 5
	s_branch .LBB416_2054
.LBB416_2055:
	s_cbranch_execnz .LBB416_2061
; %bb.2056:
	s_or_b32 s11, s11, exec_lo
	s_cbranch_execz .LBB416_1757
	s_branch .LBB416_1758
.LBB416_2057:
	s_or_saveexec_b32 s7, s7
                                        ; implicit-def: $sgpr9
	s_delay_alu instid0(SALU_CYCLE_1)
	s_xor_b32 exec_lo, exec_lo, s7
	s_cbranch_execz .LBB416_1722
.LBB416_2058:
	v_add_f32_e64 v8, 0x42800000, |v9|
	s_and_not1_b32 s6, s6, exec_lo
	s_mov_b32 s9, 0
	s_delay_alu instid0(VALU_DEP_1) | instskip(NEXT) | instid1(VALU_DEP_1)
	v_and_b32_e32 v8, 0xff, v8
	v_cmp_ne_u32_e32 vcc_lo, 0, v8
	s_and_b32 s10, vcc_lo, exec_lo
	s_delay_alu instid0(SALU_CYCLE_1)
	s_or_b32 s6, s6, s10
	s_or_b32 exec_lo, exec_lo, s7
	v_mov_b32_e32 v10, s9
	s_and_saveexec_b32 s7, s6
	s_cbranch_execnz .LBB416_1723
	s_branch .LBB416_1724
.LBB416_2059:
	s_or_saveexec_b32 s9, s9
                                        ; implicit-def: $sgpr10
	s_delay_alu instid0(SALU_CYCLE_1)
	s_xor_b32 exec_lo, exec_lo, s9
	s_cbranch_execz .LBB416_1828
.LBB416_2060:
	v_add_f32_e64 v6, 0x46000000, |v8|
	s_and_not1_b32 s7, s7, exec_lo
	s_mov_b32 s10, 0
	s_delay_alu instid0(VALU_DEP_1) | instskip(NEXT) | instid1(VALU_DEP_1)
	v_and_b32_e32 v6, 0xff, v6
	v_cmp_ne_u32_e32 vcc_lo, 0, v6
	s_and_b32 s14, vcc_lo, exec_lo
	s_delay_alu instid0(SALU_CYCLE_1)
	s_or_b32 s7, s7, s14
	s_or_b32 exec_lo, exec_lo, s9
	v_mov_b32_e32 v9, s10
	s_and_saveexec_b32 s9, s7
	s_cbranch_execnz .LBB416_1829
	s_branch .LBB416_1830
.LBB416_2061:
	s_trap 2
	s_sendmsg_rtn_b32 s0, sendmsg(MSG_RTN_GET_DOORBELL)
	s_mov_b32 ttmp2, m0
	s_waitcnt lgkmcnt(0)
	s_and_b32 s0, s0, 0x3ff
	s_delay_alu instid0(SALU_CYCLE_1) | instskip(NEXT) | instid1(SALU_CYCLE_1)
	s_bitset1_b32 s0, 10
	s_mov_b32 m0, s0
	s_sendmsg sendmsg(MSG_INTERRUPT)
	s_mov_b32 m0, ttmp2
.LBB416_2062:                           ; =>This Inner Loop Header: Depth=1
	s_sethalt 5
	s_branch .LBB416_2062
.LBB416_2063:
	s_cbranch_execnz .LBB416_2069
; %bb.2064:
	s_or_b32 s11, s11, exec_lo
	s_cbranch_execz .LBB416_1876
	s_branch .LBB416_1877
.LBB416_2065:
	s_or_saveexec_b32 s7, s7
                                        ; implicit-def: $sgpr9
	s_delay_alu instid0(SALU_CYCLE_1)
	s_xor_b32 exec_lo, exec_lo, s7
	s_cbranch_execz .LBB416_1841
.LBB416_2066:
	v_add_f32_e64 v6, 0x42800000, |v8|
	s_and_not1_b32 s6, s6, exec_lo
	s_mov_b32 s9, 0
	s_delay_alu instid0(VALU_DEP_1) | instskip(NEXT) | instid1(VALU_DEP_1)
	v_and_b32_e32 v6, 0xff, v6
	v_cmp_ne_u32_e32 vcc_lo, 0, v6
	s_and_b32 s10, vcc_lo, exec_lo
	s_delay_alu instid0(SALU_CYCLE_1)
	s_or_b32 s6, s6, s10
	s_or_b32 exec_lo, exec_lo, s7
	v_mov_b32_e32 v9, s9
	s_and_saveexec_b32 s7, s6
	s_cbranch_execnz .LBB416_1842
	s_branch .LBB416_1843
.LBB416_2067:
	s_or_saveexec_b32 s4, s4
                                        ; implicit-def: $sgpr5
	s_delay_alu instid0(SALU_CYCLE_1)
	s_xor_b32 exec_lo, exec_lo, s4
	s_cbranch_execz .LBB416_1948
.LBB416_2068:
	v_add_f32_e64 v5, 0x46000000, |v6|
	s_and_not1_b32 s3, s3, exec_lo
	s_mov_b32 s5, 0
	s_delay_alu instid0(VALU_DEP_1) | instskip(NEXT) | instid1(VALU_DEP_1)
	v_and_b32_e32 v5, 0xff, v5
	v_cmp_ne_u32_e32 vcc_lo, 0, v5
	s_and_b32 s6, vcc_lo, exec_lo
	s_delay_alu instid0(SALU_CYCLE_1)
	s_or_b32 s3, s3, s6
	s_or_b32 exec_lo, exec_lo, s4
	v_mov_b32_e32 v7, s5
	s_and_saveexec_b32 s4, s3
	s_cbranch_execnz .LBB416_1949
	s_branch .LBB416_1950
.LBB416_2069:
	s_trap 2
	s_sendmsg_rtn_b32 s0, sendmsg(MSG_RTN_GET_DOORBELL)
	s_mov_b32 ttmp2, m0
	s_waitcnt lgkmcnt(0)
	s_and_b32 s0, s0, 0x3ff
	s_delay_alu instid0(SALU_CYCLE_1) | instskip(NEXT) | instid1(SALU_CYCLE_1)
	s_bitset1_b32 s0, 10
	s_mov_b32 m0, s0
	s_sendmsg sendmsg(MSG_INTERRUPT)
	s_mov_b32 m0, ttmp2
.LBB416_2070:                           ; =>This Inner Loop Header: Depth=1
	s_sethalt 5
	s_branch .LBB416_2070
.LBB416_2071:
	s_cbranch_execnz .LBB416_2075
; %bb.2072:
	s_mov_b32 s1, 0
	s_or_b32 s11, s11, exec_lo
	s_branch .LBB416_1994
.LBB416_2073:
	s_or_saveexec_b32 s3, s3
                                        ; implicit-def: $sgpr4
	s_delay_alu instid0(SALU_CYCLE_1)
	s_xor_b32 exec_lo, exec_lo, s3
	s_cbranch_execz .LBB416_1960
.LBB416_2074:
	v_add_f32_e64 v5, 0x42800000, |v6|
	s_and_not1_b32 s2, s2, exec_lo
	s_mov_b32 s4, 0
	s_delay_alu instid0(VALU_DEP_1) | instskip(NEXT) | instid1(VALU_DEP_1)
	v_and_b32_e32 v5, 0xff, v5
	v_cmp_ne_u32_e32 vcc_lo, 0, v5
	s_and_b32 s5, vcc_lo, exec_lo
	s_delay_alu instid0(SALU_CYCLE_1)
	s_or_b32 s2, s2, s5
	s_or_b32 exec_lo, exec_lo, s3
	v_mov_b32_e32 v7, s4
	s_and_saveexec_b32 s3, s2
	s_cbranch_execnz .LBB416_1961
	s_branch .LBB416_1962
.LBB416_2075:
	s_trap 2
	s_sendmsg_rtn_b32 s0, sendmsg(MSG_RTN_GET_DOORBELL)
	s_mov_b32 ttmp2, m0
	s_waitcnt lgkmcnt(0)
	s_and_b32 s0, s0, 0x3ff
	s_delay_alu instid0(SALU_CYCLE_1) | instskip(NEXT) | instid1(SALU_CYCLE_1)
	s_bitset1_b32 s0, 10
	s_mov_b32 m0, s0
	s_sendmsg sendmsg(MSG_INTERRUPT)
	s_mov_b32 m0, ttmp2
.LBB416_2076:                           ; =>This Inner Loop Header: Depth=1
	s_sethalt 5
	s_branch .LBB416_2076
	.section	.rodata,"a",@progbits
	.p2align	6, 0x0
	.amdhsa_kernel _ZN2at6native32elementwise_kernel_manual_unrollILi128ELi4EZNS0_15gpu_kernel_implIZZZNS0_21clamp_min_kernel_cudaERNS_18TensorIteratorBaseERKN3c106ScalarEENKUlvE_clEvENKUlvE7_clEvEUlNS5_8BFloat16EE_EEvS4_RKT_EUlibE_EEviT1_
		.amdhsa_group_segment_fixed_size 0
		.amdhsa_private_segment_fixed_size 0
		.amdhsa_kernarg_size 40
		.amdhsa_user_sgpr_count 15
		.amdhsa_user_sgpr_dispatch_ptr 0
		.amdhsa_user_sgpr_queue_ptr 0
		.amdhsa_user_sgpr_kernarg_segment_ptr 1
		.amdhsa_user_sgpr_dispatch_id 0
		.amdhsa_user_sgpr_private_segment_size 0
		.amdhsa_wavefront_size32 1
		.amdhsa_uses_dynamic_stack 0
		.amdhsa_enable_private_segment 0
		.amdhsa_system_sgpr_workgroup_id_x 1
		.amdhsa_system_sgpr_workgroup_id_y 0
		.amdhsa_system_sgpr_workgroup_id_z 0
		.amdhsa_system_sgpr_workgroup_info 0
		.amdhsa_system_vgpr_workitem_id 0
		.amdhsa_next_free_vgpr 12
		.amdhsa_next_free_sgpr 28
		.amdhsa_reserve_vcc 1
		.amdhsa_float_round_mode_32 0
		.amdhsa_float_round_mode_16_64 0
		.amdhsa_float_denorm_mode_32 3
		.amdhsa_float_denorm_mode_16_64 3
		.amdhsa_dx10_clamp 1
		.amdhsa_ieee_mode 1
		.amdhsa_fp16_overflow 0
		.amdhsa_workgroup_processor_mode 1
		.amdhsa_memory_ordered 1
		.amdhsa_forward_progress 0
		.amdhsa_shared_vgpr_count 0
		.amdhsa_exception_fp_ieee_invalid_op 0
		.amdhsa_exception_fp_denorm_src 0
		.amdhsa_exception_fp_ieee_div_zero 0
		.amdhsa_exception_fp_ieee_overflow 0
		.amdhsa_exception_fp_ieee_underflow 0
		.amdhsa_exception_fp_ieee_inexact 0
		.amdhsa_exception_int_div_zero 0
	.end_amdhsa_kernel
	.section	.text._ZN2at6native32elementwise_kernel_manual_unrollILi128ELi4EZNS0_15gpu_kernel_implIZZZNS0_21clamp_min_kernel_cudaERNS_18TensorIteratorBaseERKN3c106ScalarEENKUlvE_clEvENKUlvE7_clEvEUlNS5_8BFloat16EE_EEvS4_RKT_EUlibE_EEviT1_,"axG",@progbits,_ZN2at6native32elementwise_kernel_manual_unrollILi128ELi4EZNS0_15gpu_kernel_implIZZZNS0_21clamp_min_kernel_cudaERNS_18TensorIteratorBaseERKN3c106ScalarEENKUlvE_clEvENKUlvE7_clEvEUlNS5_8BFloat16EE_EEvS4_RKT_EUlibE_EEviT1_,comdat
.Lfunc_end416:
	.size	_ZN2at6native32elementwise_kernel_manual_unrollILi128ELi4EZNS0_15gpu_kernel_implIZZZNS0_21clamp_min_kernel_cudaERNS_18TensorIteratorBaseERKN3c106ScalarEENKUlvE_clEvENKUlvE7_clEvEUlNS5_8BFloat16EE_EEvS4_RKT_EUlibE_EEviT1_, .Lfunc_end416-_ZN2at6native32elementwise_kernel_manual_unrollILi128ELi4EZNS0_15gpu_kernel_implIZZZNS0_21clamp_min_kernel_cudaERNS_18TensorIteratorBaseERKN3c106ScalarEENKUlvE_clEvENKUlvE7_clEvEUlNS5_8BFloat16EE_EEvS4_RKT_EUlibE_EEviT1_
                                        ; -- End function
	.section	.AMDGPU.csdata,"",@progbits
; Kernel info:
; codeLenInByte = 44576
; NumSgprs: 30
; NumVgprs: 12
; ScratchSize: 0
; MemoryBound: 0
; FloatMode: 240
; IeeeMode: 1
; LDSByteSize: 0 bytes/workgroup (compile time only)
; SGPRBlocks: 3
; VGPRBlocks: 1
; NumSGPRsForWavesPerEU: 30
; NumVGPRsForWavesPerEU: 12
; Occupancy: 16
; WaveLimiterHint : 0
; COMPUTE_PGM_RSRC2:SCRATCH_EN: 0
; COMPUTE_PGM_RSRC2:USER_SGPR: 15
; COMPUTE_PGM_RSRC2:TRAP_HANDLER: 0
; COMPUTE_PGM_RSRC2:TGID_X_EN: 1
; COMPUTE_PGM_RSRC2:TGID_Y_EN: 0
; COMPUTE_PGM_RSRC2:TGID_Z_EN: 0
; COMPUTE_PGM_RSRC2:TIDIG_COMP_CNT: 0
	.section	.text._ZN2at6native32elementwise_kernel_manual_unrollILi128ELi4EZNS0_15gpu_kernel_implIZZZNS0_21clamp_min_kernel_cudaERNS_18TensorIteratorBaseERKN3c106ScalarEENKUlvE_clEvENKUlvE7_clEvEUlNS5_8BFloat16EE_EEvS4_RKT_EUlibE0_EEviT1_,"axG",@progbits,_ZN2at6native32elementwise_kernel_manual_unrollILi128ELi4EZNS0_15gpu_kernel_implIZZZNS0_21clamp_min_kernel_cudaERNS_18TensorIteratorBaseERKN3c106ScalarEENKUlvE_clEvENKUlvE7_clEvEUlNS5_8BFloat16EE_EEvS4_RKT_EUlibE0_EEviT1_,comdat
	.globl	_ZN2at6native32elementwise_kernel_manual_unrollILi128ELi4EZNS0_15gpu_kernel_implIZZZNS0_21clamp_min_kernel_cudaERNS_18TensorIteratorBaseERKN3c106ScalarEENKUlvE_clEvENKUlvE7_clEvEUlNS5_8BFloat16EE_EEvS4_RKT_EUlibE0_EEviT1_ ; -- Begin function _ZN2at6native32elementwise_kernel_manual_unrollILi128ELi4EZNS0_15gpu_kernel_implIZZZNS0_21clamp_min_kernel_cudaERNS_18TensorIteratorBaseERKN3c106ScalarEENKUlvE_clEvENKUlvE7_clEvEUlNS5_8BFloat16EE_EEvS4_RKT_EUlibE0_EEviT1_
	.p2align	8
	.type	_ZN2at6native32elementwise_kernel_manual_unrollILi128ELi4EZNS0_15gpu_kernel_implIZZZNS0_21clamp_min_kernel_cudaERNS_18TensorIteratorBaseERKN3c106ScalarEENKUlvE_clEvENKUlvE7_clEvEUlNS5_8BFloat16EE_EEvS4_RKT_EUlibE0_EEviT1_,@function
_ZN2at6native32elementwise_kernel_manual_unrollILi128ELi4EZNS0_15gpu_kernel_implIZZZNS0_21clamp_min_kernel_cudaERNS_18TensorIteratorBaseERKN3c106ScalarEENKUlvE_clEvENKUlvE7_clEvEUlNS5_8BFloat16EE_EEvS4_RKT_EUlibE0_EEviT1_: ; @_ZN2at6native32elementwise_kernel_manual_unrollILi128ELi4EZNS0_15gpu_kernel_implIZZZNS0_21clamp_min_kernel_cudaERNS_18TensorIteratorBaseERKN3c106ScalarEENKUlvE_clEvENKUlvE7_clEvEUlNS5_8BFloat16EE_EEvS4_RKT_EUlibE0_EEviT1_
; %bb.0:
	s_clause 0x1
	s_load_b32 s24, s[0:1], 0x8
	s_load_b32 s35, s[0:1], 0x0
	v_lshl_or_b32 v4, s15, 9, v0
	s_or_b32 s16, s0, 8
	s_mov_b32 s3, -1
	s_mov_b32 s26, 0
	s_mov_b32 s17, s1
	v_or_b32_e32 v8, 0x180, v4
	s_mov_b32 s8, 0
	s_mov_b32 s2, exec_lo
	s_waitcnt lgkmcnt(0)
	s_add_i32 s25, s24, -1
	s_delay_alu instid0(SALU_CYCLE_1)
	s_cmp_gt_u32 s25, 1
	s_cselect_b32 s27, -1, 0
	v_cmpx_le_i32_e64 s35, v8
	s_xor_b32 s28, exec_lo, s2
	s_cbranch_execz .LBB417_1080
; %bb.1:
	s_clause 0x5
	s_load_b32 s2, s[0:1], 0x160
	s_load_b128 s[12:15], s[16:17], 0x4
	s_load_b32 s29, s[16:17], 0x158
	s_load_b128 s[4:7], s[16:17], 0x148
	s_load_b64 s[18:19], s[16:17], 0x14
	s_load_b128 s[8:11], s[16:17], 0xc4
	s_cmp_lg_u32 s24, 0
	s_mov_b32 s41, 0
	s_cselect_b32 s37, -1, 0
	s_add_u32 s20, s16, 0xc4
	s_addc_u32 s21, s17, 0
	s_min_u32 s36, s25, 15
	s_cmp_gt_u32 s24, 1
	s_mov_b32 s39, 0
	s_cselect_b32 s34, -1, 0
	s_mov_b32 s38, 0
	s_mov_b32 s40, exec_lo
	s_waitcnt lgkmcnt(0)
	s_lshr_b32 s30, s2, 16
	s_lshr_b32 s33, s2, 24
	s_lshl_b32 s31, s29, 16
	v_cmpx_gt_i32_e64 s35, v4
	s_cbranch_execz .LBB417_265
; %bb.2:
	s_and_not1_b32 vcc_lo, exec_lo, s27
	s_cbranch_vccnz .LBB417_7
; %bb.3:
	v_dual_mov_b32 v0, 0 :: v_dual_mov_b32 v1, 0
	s_and_not1_b32 vcc_lo, exec_lo, s37
	s_cbranch_vccnz .LBB417_12
; %bb.4:
	v_mov_b32_e32 v0, 0
	s_add_i32 s42, s36, 1
	s_cmp_eq_u32 s25, 2
	s_cbranch_scc1 .LBB417_8
; %bb.5:
	v_dual_mov_b32 v1, 0 :: v_dual_mov_b32 v0, 0
	v_mov_b32_e32 v2, v4
	s_and_b32 s39, s42, 28
	s_mov_b32 s43, 0
	s_mov_b64 s[2:3], s[20:21]
	s_mov_b64 s[22:23], s[16:17]
.LBB417_6:                              ; =>This Inner Loop Header: Depth=1
	s_clause 0x1
	s_load_b256 s[44:51], s[22:23], 0x4
	s_load_b128 s[60:63], s[22:23], 0x24
	s_load_b256 s[52:59], s[2:3], 0x0
	s_add_u32 s22, s22, 48
	s_addc_u32 s23, s23, 0
	s_add_i32 s43, s43, 4
	s_add_u32 s2, s2, 32
	s_addc_u32 s3, s3, 0
	s_cmp_lg_u32 s39, s43
	s_waitcnt lgkmcnt(0)
	v_mul_hi_u32 v3, s45, v2
	s_delay_alu instid0(VALU_DEP_1) | instskip(NEXT) | instid1(VALU_DEP_1)
	v_add_nc_u32_e32 v3, v2, v3
	v_lshrrev_b32_e32 v3, s46, v3
	s_delay_alu instid0(VALU_DEP_1) | instskip(SKIP_1) | instid1(VALU_DEP_2)
	v_mul_hi_u32 v5, s48, v3
	v_mul_lo_u32 v7, v3, s44
	v_add_nc_u32_e32 v5, v3, v5
	s_delay_alu instid0(VALU_DEP_2) | instskip(NEXT) | instid1(VALU_DEP_2)
	v_sub_nc_u32_e32 v2, v2, v7
	v_lshrrev_b32_e32 v5, s49, v5
	s_delay_alu instid0(VALU_DEP_2) | instskip(SKIP_1) | instid1(VALU_DEP_3)
	v_mul_lo_u32 v7, v2, s52
	v_mul_lo_u32 v9, v2, s53
	v_mul_hi_u32 v6, s51, v5
	s_delay_alu instid0(VALU_DEP_1) | instskip(NEXT) | instid1(VALU_DEP_1)
	v_add_nc_u32_e32 v6, v5, v6
	v_lshrrev_b32_e32 v6, s60, v6
	s_delay_alu instid0(VALU_DEP_1) | instskip(SKIP_1) | instid1(VALU_DEP_2)
	v_mul_hi_u32 v8, s62, v6
	v_mul_lo_u32 v10, v6, s50
	v_add_nc_u32_e32 v2, v6, v8
	v_mul_lo_u32 v8, v5, s47
	s_delay_alu instid0(VALU_DEP_3) | instskip(NEXT) | instid1(VALU_DEP_3)
	v_sub_nc_u32_e32 v5, v5, v10
	v_lshrrev_b32_e32 v2, s63, v2
	s_delay_alu instid0(VALU_DEP_2) | instskip(SKIP_2) | instid1(VALU_DEP_4)
	v_mul_lo_u32 v10, v5, s56
	v_mul_lo_u32 v5, v5, s57
	v_sub_nc_u32_e32 v3, v3, v8
	v_mul_lo_u32 v11, v2, s61
	s_delay_alu instid0(VALU_DEP_2) | instskip(SKIP_1) | instid1(VALU_DEP_3)
	v_mul_lo_u32 v8, v3, s54
	v_mul_lo_u32 v3, v3, s55
	v_sub_nc_u32_e32 v6, v6, v11
	s_delay_alu instid0(VALU_DEP_3) | instskip(NEXT) | instid1(VALU_DEP_2)
	v_add3_u32 v0, v7, v0, v8
	v_mul_lo_u32 v11, v6, s58
	v_mul_lo_u32 v6, v6, s59
	v_add3_u32 v1, v9, v1, v3
	s_delay_alu instid0(VALU_DEP_3) | instskip(NEXT) | instid1(VALU_DEP_2)
	v_add3_u32 v0, v10, v0, v11
	v_add3_u32 v1, v5, v1, v6
	s_cbranch_scc1 .LBB417_6
	s_branch .LBB417_9
.LBB417_7:
	s_mov_b32 s38, -1
                                        ; implicit-def: $vgpr0
                                        ; implicit-def: $vgpr1
	s_branch .LBB417_12
.LBB417_8:
	v_dual_mov_b32 v2, v4 :: v_dual_mov_b32 v1, 0
.LBB417_9:
	s_and_b32 s42, s42, 3
	s_delay_alu instid0(SALU_CYCLE_1)
	s_cmp_eq_u32 s42, 0
	s_cbranch_scc1 .LBB417_12
; %bb.10:
	s_lshl_b32 s2, s39, 3
	s_mul_i32 s22, s39, 12
	s_add_u32 s2, s2, s16
	s_addc_u32 s3, s17, 0
	s_add_u32 s2, s2, 0xc4
	s_addc_u32 s3, s3, 0
	;; [unrolled: 2-line block ×3, first 2 shown]
	.p2align	6
.LBB417_11:                             ; =>This Inner Loop Header: Depth=1
	s_clause 0x1
	s_load_b64 s[44:45], s[22:23], 0x4
	s_load_b32 s39, s[22:23], 0xc
	s_load_b64 s[46:47], s[2:3], 0x0
	s_add_u32 s22, s22, 12
	s_addc_u32 s23, s23, 0
	s_add_u32 s2, s2, 8
	s_addc_u32 s3, s3, 0
	s_add_i32 s42, s42, -1
	s_delay_alu instid0(SALU_CYCLE_1) | instskip(SKIP_2) | instid1(VALU_DEP_1)
	s_cmp_lg_u32 s42, 0
	s_waitcnt lgkmcnt(0)
	v_mul_hi_u32 v3, s45, v2
	v_add_nc_u32_e32 v3, v2, v3
	s_delay_alu instid0(VALU_DEP_1) | instskip(NEXT) | instid1(VALU_DEP_1)
	v_lshrrev_b32_e32 v3, s39, v3
	v_mul_lo_u32 v5, v3, s44
	s_delay_alu instid0(VALU_DEP_1) | instskip(NEXT) | instid1(VALU_DEP_1)
	v_sub_nc_u32_e32 v2, v2, v5
	v_mad_u64_u32 v[5:6], null, v2, s46, v[0:1]
	v_mad_u64_u32 v[6:7], null, v2, s47, v[1:2]
	v_mov_b32_e32 v2, v3
	s_delay_alu instid0(VALU_DEP_2)
	v_dual_mov_b32 v0, v5 :: v_dual_mov_b32 v1, v6
	s_cbranch_scc1 .LBB417_11
.LBB417_12:
	s_and_not1_b32 vcc_lo, exec_lo, s38
	s_cbranch_vccnz .LBB417_15
; %bb.13:
	v_mul_hi_u32 v0, s13, v4
	s_and_not1_b32 vcc_lo, exec_lo, s34
	s_delay_alu instid0(VALU_DEP_1) | instskip(NEXT) | instid1(VALU_DEP_1)
	v_add_nc_u32_e32 v0, v4, v0
	v_lshrrev_b32_e32 v2, s14, v0
	s_delay_alu instid0(VALU_DEP_1) | instskip(NEXT) | instid1(VALU_DEP_1)
	v_mul_lo_u32 v0, v2, s12
	v_sub_nc_u32_e32 v1, v4, v0
	s_delay_alu instid0(VALU_DEP_1)
	v_mul_lo_u32 v0, v1, s8
	v_mul_lo_u32 v1, v1, s9
	s_cbranch_vccnz .LBB417_15
; %bb.14:
	v_mul_hi_u32 v3, s18, v2
	s_delay_alu instid0(VALU_DEP_1) | instskip(NEXT) | instid1(VALU_DEP_1)
	v_add_nc_u32_e32 v3, v2, v3
	v_lshrrev_b32_e32 v3, s19, v3
	s_delay_alu instid0(VALU_DEP_1) | instskip(NEXT) | instid1(VALU_DEP_1)
	v_mul_lo_u32 v3, v3, s15
	v_sub_nc_u32_e32 v7, v2, v3
	s_delay_alu instid0(VALU_DEP_1) | instskip(NEXT) | instid1(VALU_DEP_1)
	v_mad_u64_u32 v[2:3], null, v7, s10, v[0:1]
	v_mad_u64_u32 v[5:6], null, v7, s11, v[1:2]
	s_delay_alu instid0(VALU_DEP_1)
	v_dual_mov_b32 v0, v2 :: v_dual_mov_b32 v1, v5
.LBB417_15:
	v_cmp_lt_i16_e64 s2, s33, 11
	s_delay_alu instid0(VALU_DEP_2) | instskip(NEXT) | instid1(VALU_DEP_1)
	v_add_co_u32 v1, s3, s6, v1
	v_add_co_ci_u32_e64 v2, null, s7, 0, s3
	s_delay_alu instid0(VALU_DEP_3)
	s_and_b32 vcc_lo, exec_lo, s2
	s_mov_b32 s22, 0
	s_cbranch_vccnz .LBB417_22
; %bb.16:
	v_cmp_gt_i16_e64 s2, s33, 25
	s_delay_alu instid0(VALU_DEP_1)
	s_and_b32 vcc_lo, exec_lo, s2
	s_cbranch_vccz .LBB417_70
; %bb.17:
	v_cmp_gt_i16_e64 s2, s33, 28
	s_delay_alu instid0(VALU_DEP_1)
	s_and_b32 vcc_lo, exec_lo, s2
	s_cbranch_vccz .LBB417_71
	;; [unrolled: 5-line block ×4, first 2 shown]
; %bb.20:
	v_cmp_eq_u16_e64 s2, s33, 46
	s_mov_b32 s3, 0
	s_delay_alu instid0(VALU_DEP_1)
	s_and_b32 vcc_lo, exec_lo, s2
	s_cbranch_vccz .LBB417_77
; %bb.21:
	global_load_b32 v3, v[1:2], off
	s_mov_b32 s2, -1
	s_branch .LBB417_79
.LBB417_22:
	s_mov_b32 s2, 0
                                        ; implicit-def: $vgpr3
	s_cbranch_execnz .LBB417_215
.LBB417_23:
	s_and_not1_b32 vcc_lo, exec_lo, s2
	s_cbranch_vccnz .LBB417_262
.LBB417_24:
	s_waitcnt vmcnt(0)
	s_delay_alu instid0(VALU_DEP_1) | instskip(SKIP_3) | instid1(VALU_DEP_2)
	v_lshlrev_b32_e32 v1, 16, v3
	v_and_b32_e64 v2, 0xff, s30
	s_mov_b32 s23, 0
	s_mov_b32 s38, -1
	v_cmp_u_f32_e32 vcc_lo, v1, v1
	v_cmp_lt_f32_e64 s2, s31, v1
	v_cmp_gt_i16_e64 s3, 11, v2
	s_delay_alu instid0(VALU_DEP_2)
	s_or_b32 vcc_lo, vcc_lo, s2
	v_add_co_u32 v0, s2, s4, v0
	v_cndmask_b32_e32 v3, s29, v3, vcc_lo
	v_add_co_ci_u32_e64 v1, null, s5, 0, s2
	s_and_b32 vcc_lo, exec_lo, s3
	s_mov_b32 s2, 0
	s_cbranch_vccnz .LBB417_31
; %bb.25:
	v_cmp_lt_i16_e32 vcc_lo, 25, v2
	s_cbranch_vccz .LBB417_72
; %bb.26:
	v_cmp_lt_i16_e32 vcc_lo, 28, v2
	s_cbranch_vccz .LBB417_74
	;; [unrolled: 3-line block ×4, first 2 shown]
; %bb.29:
	v_cmp_eq_u16_e32 vcc_lo, 46, v2
	s_mov_b32 s3, 0
	s_mov_b32 s23, -1
	s_cbranch_vccz .LBB417_83
; %bb.30:
	v_and_b32_e32 v5, 0xffff, v3
	s_mov_b32 s2, -1
	s_mov_b32 s23, 0
	global_store_b32 v[0:1], v5, off
	s_branch .LBB417_83
.LBB417_31:
	s_and_b32 vcc_lo, exec_lo, s38
	s_cbranch_vccz .LBB417_152
; %bb.32:
	v_cmp_gt_i16_e32 vcc_lo, 5, v2
	s_mov_b32 s2, -1
	s_cbranch_vccnz .LBB417_53
; %bb.33:
	v_cmp_gt_i16_e32 vcc_lo, 8, v2
	s_cbranch_vccnz .LBB417_43
; %bb.34:
	v_cmp_gt_i16_e32 vcc_lo, 9, v2
	s_cbranch_vccnz .LBB417_40
; %bb.35:
	v_cmp_lt_i16_e32 vcc_lo, 9, v2
	s_cbranch_vccz .LBB417_37
; %bb.36:
	v_mov_b32_e32 v7, 0
	v_lshlrev_b32_e32 v5, 16, v3
	s_mov_b32 s2, 0
	s_delay_alu instid0(VALU_DEP_2) | instskip(NEXT) | instid1(VALU_DEP_2)
	v_mov_b32_e32 v8, v7
	v_cvt_f64_f32_e32 v[5:6], v5
	global_store_b128 v[0:1], v[5:8], off
.LBB417_37:
	s_and_not1_b32 vcc_lo, exec_lo, s2
	s_cbranch_vccnz .LBB417_39
; %bb.38:
	v_dual_mov_b32 v6, 0 :: v_dual_lshlrev_b32 v5, 16, v3
	global_store_b64 v[0:1], v[5:6], off
.LBB417_39:
	s_mov_b32 s2, 0
.LBB417_40:
	s_delay_alu instid0(SALU_CYCLE_1)
	s_and_not1_b32 vcc_lo, exec_lo, s2
	s_cbranch_vccnz .LBB417_42
; %bb.41:
	v_lshlrev_b32_e32 v5, 16, v3
	s_delay_alu instid0(VALU_DEP_1) | instskip(NEXT) | instid1(VALU_DEP_1)
	v_cvt_f16_f32_e32 v5, v5
	v_and_b32_e32 v5, 0xffff, v5
	global_store_b32 v[0:1], v5, off
.LBB417_42:
	s_mov_b32 s2, 0
.LBB417_43:
	s_delay_alu instid0(SALU_CYCLE_1)
	s_and_not1_b32 vcc_lo, exec_lo, s2
	s_cbranch_vccnz .LBB417_52
; %bb.44:
	v_cmp_gt_i16_e32 vcc_lo, 6, v2
	s_mov_b32 s2, -1
	s_cbranch_vccnz .LBB417_50
; %bb.45:
	v_cmp_lt_i16_e32 vcc_lo, 6, v2
	s_cbranch_vccz .LBB417_47
; %bb.46:
	v_lshlrev_b32_e32 v5, 16, v3
	s_mov_b32 s2, 0
	s_delay_alu instid0(VALU_DEP_1)
	v_cvt_f64_f32_e32 v[5:6], v5
	global_store_b64 v[0:1], v[5:6], off
.LBB417_47:
	s_and_not1_b32 vcc_lo, exec_lo, s2
	s_cbranch_vccnz .LBB417_49
; %bb.48:
	v_lshlrev_b32_e32 v5, 16, v3
	global_store_b32 v[0:1], v5, off
.LBB417_49:
	s_mov_b32 s2, 0
.LBB417_50:
	s_delay_alu instid0(SALU_CYCLE_1)
	s_and_not1_b32 vcc_lo, exec_lo, s2
	s_cbranch_vccnz .LBB417_52
; %bb.51:
	v_lshlrev_b32_e32 v5, 16, v3
	s_delay_alu instid0(VALU_DEP_1)
	v_cvt_f16_f32_e32 v5, v5
	global_store_b16 v[0:1], v5, off
.LBB417_52:
	s_mov_b32 s2, 0
.LBB417_53:
	s_delay_alu instid0(SALU_CYCLE_1)
	s_and_not1_b32 vcc_lo, exec_lo, s2
	s_cbranch_vccnz .LBB417_69
; %bb.54:
	v_cmp_gt_i16_e32 vcc_lo, 2, v2
	s_mov_b32 s2, -1
	s_cbranch_vccnz .LBB417_64
; %bb.55:
	v_cmp_gt_i16_e32 vcc_lo, 3, v2
	s_cbranch_vccnz .LBB417_61
; %bb.56:
	v_cmp_lt_i16_e32 vcc_lo, 3, v2
	s_cbranch_vccz .LBB417_58
; %bb.57:
	v_lshlrev_b32_e32 v5, 16, v3
	s_mov_b32 s2, 0
	s_delay_alu instid0(VALU_DEP_1) | instskip(NEXT) | instid1(VALU_DEP_1)
	v_trunc_f32_e32 v5, v5
	v_mul_f32_e64 v6, 0x2f800000, |v5|
	v_ashrrev_i32_e32 v8, 31, v5
	s_delay_alu instid0(VALU_DEP_2) | instskip(NEXT) | instid1(VALU_DEP_1)
	v_floor_f32_e32 v6, v6
	v_fma_f32 v7, 0xcf800000, v6, |v5|
	v_cvt_u32_f32_e32 v6, v6
	s_delay_alu instid0(VALU_DEP_2) | instskip(NEXT) | instid1(VALU_DEP_2)
	v_cvt_u32_f32_e32 v5, v7
	v_xor_b32_e32 v6, v6, v8
	s_delay_alu instid0(VALU_DEP_2) | instskip(NEXT) | instid1(VALU_DEP_1)
	v_xor_b32_e32 v5, v5, v8
	v_sub_co_u32 v5, vcc_lo, v5, v8
	s_delay_alu instid0(VALU_DEP_3)
	v_sub_co_ci_u32_e32 v6, vcc_lo, v6, v8, vcc_lo
	global_store_b64 v[0:1], v[5:6], off
.LBB417_58:
	s_and_not1_b32 vcc_lo, exec_lo, s2
	s_cbranch_vccnz .LBB417_60
; %bb.59:
	v_lshlrev_b32_e32 v5, 16, v3
	s_delay_alu instid0(VALU_DEP_1)
	v_cvt_i32_f32_e32 v5, v5
	global_store_b32 v[0:1], v5, off
.LBB417_60:
	s_mov_b32 s2, 0
.LBB417_61:
	s_delay_alu instid0(SALU_CYCLE_1)
	s_and_not1_b32 vcc_lo, exec_lo, s2
	s_cbranch_vccnz .LBB417_63
; %bb.62:
	v_lshlrev_b32_e32 v5, 16, v3
	s_delay_alu instid0(VALU_DEP_1)
	v_cvt_i32_f32_e32 v5, v5
	global_store_b16 v[0:1], v5, off
.LBB417_63:
	s_mov_b32 s2, 0
.LBB417_64:
	s_delay_alu instid0(SALU_CYCLE_1)
	s_and_not1_b32 vcc_lo, exec_lo, s2
	s_cbranch_vccnz .LBB417_69
; %bb.65:
	v_cmp_lt_i16_e32 vcc_lo, 0, v2
	v_lshlrev_b32_e32 v2, 16, v3
	s_mov_b32 s2, -1
	s_cbranch_vccz .LBB417_67
; %bb.66:
	s_delay_alu instid0(VALU_DEP_1)
	v_cvt_i32_f32_e32 v3, v2
	s_mov_b32 s2, 0
	global_store_b8 v[0:1], v3, off
.LBB417_67:
	s_and_not1_b32 vcc_lo, exec_lo, s2
	s_cbranch_vccnz .LBB417_69
; %bb.68:
	v_trunc_f32_e32 v2, v2
	s_delay_alu instid0(VALU_DEP_1) | instskip(NEXT) | instid1(VALU_DEP_1)
	v_mul_f32_e64 v3, 0x2f800000, |v2|
	v_floor_f32_e32 v3, v3
	s_delay_alu instid0(VALU_DEP_1) | instskip(SKIP_1) | instid1(VALU_DEP_2)
	v_fma_f32 v3, 0xcf800000, v3, |v2|
	v_ashrrev_i32_e32 v2, 31, v2
	v_cvt_u32_f32_e32 v3, v3
	s_delay_alu instid0(VALU_DEP_1) | instskip(NEXT) | instid1(VALU_DEP_1)
	v_xor_b32_e32 v3, v3, v2
	v_sub_nc_u32_e32 v2, v3, v2
	global_store_b8 v[0:1], v2, off
.LBB417_69:
	s_branch .LBB417_153
.LBB417_70:
	s_mov_b32 s2, 0
                                        ; implicit-def: $vgpr3
	s_cbranch_execnz .LBB417_180
	s_branch .LBB417_214
.LBB417_71:
	s_mov_b32 s3, -1
	s_mov_b32 s2, 0
                                        ; implicit-def: $vgpr3
	s_branch .LBB417_161
.LBB417_72:
	s_mov_b32 s3, -1
	s_branch .LBB417_110
.LBB417_73:
	s_mov_b32 s3, -1
	s_mov_b32 s2, 0
                                        ; implicit-def: $vgpr3
	s_branch .LBB417_156
.LBB417_74:
	s_mov_b32 s3, -1
	s_branch .LBB417_93
.LBB417_75:
	s_mov_b32 s3, -1
	s_branch .LBB417_78
.LBB417_76:
	s_mov_b32 s3, -1
	s_branch .LBB417_89
.LBB417_77:
	s_mov_b32 s22, -1
.LBB417_78:
	s_mov_b32 s2, 0
                                        ; implicit-def: $vgpr3
.LBB417_79:
	s_and_b32 vcc_lo, exec_lo, s3
	s_cbranch_vccz .LBB417_155
; %bb.80:
	v_cmp_eq_u16_e64 s3, s33, 44
	s_delay_alu instid0(VALU_DEP_1)
	s_and_b32 vcc_lo, exec_lo, s3
	s_cbranch_vccz .LBB417_154
; %bb.81:
	global_load_u8 v3, v[1:2], off
	s_mov_b32 s22, 0
	s_mov_b32 s2, -1
	s_waitcnt vmcnt(0)
	v_lshlrev_b32_e32 v5, 23, v3
	v_cmp_ne_u32_e32 vcc_lo, 0xff, v3
	s_delay_alu instid0(VALU_DEP_2) | instskip(SKIP_1) | instid1(VALU_DEP_2)
	v_cndmask_b32_e32 v5, 0x7f800001, v5, vcc_lo
	v_cmp_ne_u32_e32 vcc_lo, 0, v3
	v_cndmask_b32_e32 v3, 0x400000, v5, vcc_lo
	s_delay_alu instid0(VALU_DEP_1) | instskip(SKIP_1) | instid1(VALU_DEP_2)
	v_add_nc_u32_e32 v5, 0x7fff, v3
	v_cmp_o_f32_e32 vcc_lo, v3, v3
	v_lshrrev_b32_e32 v5, 16, v5
	s_delay_alu instid0(VALU_DEP_1)
	v_cndmask_b32_e32 v3, 0x7fc0, v5, vcc_lo
	s_branch .LBB417_155
.LBB417_82:
	s_mov_b32 s3, -1
.LBB417_83:
	s_delay_alu instid0(SALU_CYCLE_1)
	s_and_b32 vcc_lo, exec_lo, s3
	s_cbranch_vccz .LBB417_88
; %bb.84:
	v_cmp_eq_u16_e32 vcc_lo, 44, v2
	s_mov_b32 s23, -1
	s_cbranch_vccz .LBB417_88
; %bb.85:
	v_and_b32_e32 v5, 0xffff, v3
	v_mov_b32_e32 v6, 0xff
	s_mov_b32 s3, exec_lo
	s_delay_alu instid0(VALU_DEP_2) | instskip(NEXT) | instid1(VALU_DEP_1)
	v_bfe_u32 v7, v5, 7, 8
	v_cmpx_ne_u32_e32 0xff, v7
; %bb.86:
	v_lshlrev_b32_e32 v6, 16, v5
	v_and_b32_e32 v8, 64, v5
	v_lshrrev_b32_e32 v5, 7, v5
	s_delay_alu instid0(VALU_DEP_3) | instskip(NEXT) | instid1(VALU_DEP_3)
	v_and_or_b32 v6, 0x3f0000, v6, v7
	v_cmp_ne_u32_e32 vcc_lo, 0, v8
	s_delay_alu instid0(VALU_DEP_2) | instskip(NEXT) | instid1(VALU_DEP_1)
	v_cmp_ne_u32_e64 s2, 0, v6
	s_and_b32 s2, vcc_lo, s2
	s_delay_alu instid0(SALU_CYCLE_1) | instskip(NEXT) | instid1(VALU_DEP_1)
	v_cndmask_b32_e64 v6, 0, 1, s2
	v_add_nc_u32_e32 v6, v5, v6
; %bb.87:
	s_or_b32 exec_lo, exec_lo, s3
	s_mov_b32 s2, -1
	s_mov_b32 s23, 0
	global_store_b8 v[0:1], v6, off
.LBB417_88:
	s_mov_b32 s3, 0
.LBB417_89:
	s_delay_alu instid0(SALU_CYCLE_1)
	s_and_b32 vcc_lo, exec_lo, s3
	s_cbranch_vccz .LBB417_92
; %bb.90:
	v_cmp_eq_u16_e32 vcc_lo, 29, v2
	s_mov_b32 s23, -1
	s_cbranch_vccz .LBB417_92
; %bb.91:
	v_lshlrev_b32_e32 v5, 16, v3
	s_mov_b32 s2, -1
	s_mov_b32 s23, 0
	s_mov_b32 s3, 0
	s_delay_alu instid0(VALU_DEP_1) | instskip(NEXT) | instid1(VALU_DEP_1)
	v_trunc_f32_e32 v5, v5
	v_mul_f32_e32 v6, 0x2f800000, v5
	s_delay_alu instid0(VALU_DEP_1) | instskip(NEXT) | instid1(VALU_DEP_1)
	v_floor_f32_e32 v6, v6
	v_fmamk_f32 v5, v6, 0xcf800000, v5
	v_cvt_u32_f32_e32 v6, v6
	s_delay_alu instid0(VALU_DEP_2)
	v_cvt_u32_f32_e32 v5, v5
	global_store_b64 v[0:1], v[5:6], off
	s_branch .LBB417_93
.LBB417_92:
	s_mov_b32 s3, 0
.LBB417_93:
	s_delay_alu instid0(SALU_CYCLE_1)
	s_and_b32 vcc_lo, exec_lo, s3
	s_cbranch_vccz .LBB417_109
; %bb.94:
	v_cmp_gt_i16_e32 vcc_lo, 27, v2
	s_mov_b32 s2, -1
	s_cbranch_vccnz .LBB417_100
; %bb.95:
	v_cmp_lt_i16_e32 vcc_lo, 27, v2
	s_cbranch_vccz .LBB417_97
; %bb.96:
	v_lshlrev_b32_e32 v5, 16, v3
	s_mov_b32 s2, 0
	s_delay_alu instid0(VALU_DEP_1)
	v_cvt_u32_f32_e32 v5, v5
	global_store_b32 v[0:1], v5, off
.LBB417_97:
	s_and_not1_b32 vcc_lo, exec_lo, s2
	s_cbranch_vccnz .LBB417_99
; %bb.98:
	v_lshlrev_b32_e32 v5, 16, v3
	s_delay_alu instid0(VALU_DEP_1)
	v_cvt_u32_f32_e32 v5, v5
	global_store_b16 v[0:1], v5, off
.LBB417_99:
	s_mov_b32 s2, 0
.LBB417_100:
	s_delay_alu instid0(SALU_CYCLE_1)
	s_and_not1_b32 vcc_lo, exec_lo, s2
	s_cbranch_vccnz .LBB417_108
; %bb.101:
	v_dual_mov_b32 v8, 0x80 :: v_dual_lshlrev_b32 v7, 16, v3
	s_mov_b32 s2, exec_lo
	s_delay_alu instid0(VALU_DEP_1) | instskip(NEXT) | instid1(VALU_DEP_1)
	v_and_b32_e32 v6, 0x7fffffff, v7
	v_cmpx_gt_u32_e32 0x43800000, v6
	s_cbranch_execz .LBB417_107
; %bb.102:
	v_and_b32_e32 v5, 0xffff, v3
	v_cmp_lt_u32_e32 vcc_lo, 0x3bffffff, v6
	s_mov_b32 s3, 0
                                        ; implicit-def: $vgpr6
	s_and_saveexec_b32 s38, vcc_lo
	s_delay_alu instid0(SALU_CYCLE_1)
	s_xor_b32 s38, exec_lo, s38
	s_cbranch_execz .LBB417_341
; %bb.103:
	v_bfe_u32 v6, v5, 4, 1
	s_mov_b32 s3, exec_lo
	s_delay_alu instid0(VALU_DEP_1) | instskip(NEXT) | instid1(VALU_DEP_1)
	v_add3_u32 v6, v7, v6, 0x487ffff
                                        ; implicit-def: $vgpr7
	v_lshrrev_b32_e32 v6, 20, v6
	s_or_saveexec_b32 s38, s38
                                        ; implicit-def: $sgpr39
	s_delay_alu instid0(SALU_CYCLE_1)
	s_xor_b32 exec_lo, exec_lo, s38
	s_cbranch_execnz .LBB417_342
.LBB417_104:
	s_or_b32 exec_lo, exec_lo, s38
	v_mov_b32_e32 v8, s39
	s_and_saveexec_b32 s38, s3
.LBB417_105:
	v_lshrrev_b32_e32 v5, 8, v5
	s_delay_alu instid0(VALU_DEP_1)
	v_and_or_b32 v8, 0x80, v5, v6
.LBB417_106:
	s_or_b32 exec_lo, exec_lo, s38
.LBB417_107:
	s_delay_alu instid0(SALU_CYCLE_1)
	s_or_b32 exec_lo, exec_lo, s2
	global_store_b8 v[0:1], v8, off
.LBB417_108:
	s_mov_b32 s2, -1
.LBB417_109:
	s_mov_b32 s3, 0
.LBB417_110:
	s_delay_alu instid0(SALU_CYCLE_1)
	s_and_b32 vcc_lo, exec_lo, s3
	s_cbranch_vccz .LBB417_151
; %bb.111:
	v_cmp_lt_i16_e32 vcc_lo, 22, v2
	s_mov_b32 s3, -1
	s_cbranch_vccz .LBB417_143
; %bb.112:
	v_cmp_gt_i16_e32 vcc_lo, 24, v2
	s_mov_b32 s2, -1
	s_cbranch_vccnz .LBB417_132
; %bb.113:
	v_cmp_lt_i16_e32 vcc_lo, 24, v2
	s_cbranch_vccz .LBB417_121
; %bb.114:
	v_dual_mov_b32 v8, 0x80 :: v_dual_lshlrev_b32 v7, 16, v3
	s_mov_b32 s2, exec_lo
	s_delay_alu instid0(VALU_DEP_1) | instskip(NEXT) | instid1(VALU_DEP_1)
	v_and_b32_e32 v6, 0x7fffffff, v7
	v_cmpx_gt_u32_e32 0x47800000, v6
	s_cbranch_execz .LBB417_120
; %bb.115:
	v_and_b32_e32 v5, 0xffff, v3
	v_cmp_lt_u32_e32 vcc_lo, 0x37ffffff, v6
	s_mov_b32 s3, 0
                                        ; implicit-def: $vgpr6
	s_and_saveexec_b32 s38, vcc_lo
	s_delay_alu instid0(SALU_CYCLE_1)
	s_xor_b32 s38, exec_lo, s38
	s_cbranch_execz .LBB417_345
; %bb.116:
	v_bfe_u32 v6, v5, 5, 1
	s_mov_b32 s3, exec_lo
	s_delay_alu instid0(VALU_DEP_1) | instskip(NEXT) | instid1(VALU_DEP_1)
	v_add3_u32 v6, v7, v6, 0x88fffff
                                        ; implicit-def: $vgpr7
	v_lshrrev_b32_e32 v6, 21, v6
	s_or_saveexec_b32 s38, s38
                                        ; implicit-def: $sgpr39
	s_delay_alu instid0(SALU_CYCLE_1)
	s_xor_b32 exec_lo, exec_lo, s38
	s_cbranch_execnz .LBB417_346
.LBB417_117:
	s_or_b32 exec_lo, exec_lo, s38
	v_mov_b32_e32 v8, s39
	s_and_saveexec_b32 s38, s3
.LBB417_118:
	v_lshrrev_b32_e32 v5, 8, v5
	s_delay_alu instid0(VALU_DEP_1)
	v_and_or_b32 v8, 0x80, v5, v6
.LBB417_119:
	s_or_b32 exec_lo, exec_lo, s38
.LBB417_120:
	s_delay_alu instid0(SALU_CYCLE_1)
	s_or_b32 exec_lo, exec_lo, s2
	s_mov_b32 s2, 0
	global_store_b8 v[0:1], v8, off
.LBB417_121:
	s_and_b32 vcc_lo, exec_lo, s2
	s_cbranch_vccz .LBB417_131
; %bb.122:
	v_lshlrev_b32_e32 v7, 16, v3
	v_and_b32_e32 v5, 0xffff, v3
	s_mov_b32 s2, exec_lo
                                        ; implicit-def: $vgpr6
	s_delay_alu instid0(VALU_DEP_2) | instskip(NEXT) | instid1(VALU_DEP_1)
	v_and_b32_e32 v8, 0x7fffffff, v7
	v_cmpx_gt_u32_e32 0x43f00000, v8
	s_xor_b32 s2, exec_lo, s2
	s_cbranch_execz .LBB417_128
; %bb.123:
	s_mov_b32 s3, exec_lo
                                        ; implicit-def: $vgpr6
	v_cmpx_lt_u32_e32 0x3c7fffff, v8
	s_xor_b32 s3, exec_lo, s3
; %bb.124:
	v_bfe_u32 v6, v5, 4, 1
	s_delay_alu instid0(VALU_DEP_1) | instskip(NEXT) | instid1(VALU_DEP_1)
	v_add3_u32 v6, v7, v6, 0x407ffff
	v_and_b32_e32 v7, 0xff00000, v6
	v_lshrrev_b32_e32 v6, 20, v6
	s_delay_alu instid0(VALU_DEP_2) | instskip(NEXT) | instid1(VALU_DEP_2)
	v_cmp_ne_u32_e32 vcc_lo, 0x7f00000, v7
                                        ; implicit-def: $vgpr7
	v_cndmask_b32_e32 v6, 0x7e, v6, vcc_lo
; %bb.125:
	s_and_not1_saveexec_b32 s3, s3
; %bb.126:
	v_add_f32_e64 v6, 0x46800000, |v7|
; %bb.127:
	s_or_b32 exec_lo, exec_lo, s3
                                        ; implicit-def: $vgpr8
.LBB417_128:
	s_and_not1_saveexec_b32 s2, s2
; %bb.129:
	v_mov_b32_e32 v6, 0x7f
	v_cmp_lt_u32_e32 vcc_lo, 0x7f800000, v8
	s_delay_alu instid0(VALU_DEP_2)
	v_cndmask_b32_e32 v6, 0x7e, v6, vcc_lo
; %bb.130:
	s_or_b32 exec_lo, exec_lo, s2
	v_lshrrev_b32_e32 v5, 8, v5
	s_delay_alu instid0(VALU_DEP_1)
	v_and_or_b32 v5, 0x80, v5, v6
	global_store_b8 v[0:1], v5, off
.LBB417_131:
	s_mov_b32 s2, 0
.LBB417_132:
	s_delay_alu instid0(SALU_CYCLE_1)
	s_and_not1_b32 vcc_lo, exec_lo, s2
	s_cbranch_vccnz .LBB417_142
; %bb.133:
	v_lshlrev_b32_e32 v7, 16, v3
	v_and_b32_e32 v5, 0xffff, v3
	s_mov_b32 s2, exec_lo
                                        ; implicit-def: $vgpr6
	s_delay_alu instid0(VALU_DEP_2) | instskip(NEXT) | instid1(VALU_DEP_1)
	v_and_b32_e32 v8, 0x7fffffff, v7
	v_cmpx_gt_u32_e32 0x47800000, v8
	s_xor_b32 s2, exec_lo, s2
	s_cbranch_execz .LBB417_139
; %bb.134:
	s_mov_b32 s3, exec_lo
                                        ; implicit-def: $vgpr6
	v_cmpx_lt_u32_e32 0x387fffff, v8
	s_xor_b32 s3, exec_lo, s3
; %bb.135:
	v_bfe_u32 v6, v5, 5, 1
	s_delay_alu instid0(VALU_DEP_1) | instskip(NEXT) | instid1(VALU_DEP_1)
	v_add3_u32 v6, v7, v6, 0x80fffff
                                        ; implicit-def: $vgpr7
	v_lshrrev_b32_e32 v6, 21, v6
; %bb.136:
	s_and_not1_saveexec_b32 s3, s3
; %bb.137:
	v_add_f32_e64 v6, 0x43000000, |v7|
; %bb.138:
	s_or_b32 exec_lo, exec_lo, s3
                                        ; implicit-def: $vgpr8
.LBB417_139:
	s_and_not1_saveexec_b32 s2, s2
; %bb.140:
	v_mov_b32_e32 v6, 0x7f
	v_cmp_lt_u32_e32 vcc_lo, 0x7f800000, v8
	s_delay_alu instid0(VALU_DEP_2)
	v_cndmask_b32_e32 v6, 0x7c, v6, vcc_lo
; %bb.141:
	s_or_b32 exec_lo, exec_lo, s2
	v_lshrrev_b32_e32 v5, 8, v5
	s_delay_alu instid0(VALU_DEP_1)
	v_and_or_b32 v5, 0x80, v5, v6
	global_store_b8 v[0:1], v5, off
.LBB417_142:
	s_mov_b32 s3, 0
	s_mov_b32 s2, -1
.LBB417_143:
	s_and_not1_b32 vcc_lo, exec_lo, s3
	s_cbranch_vccnz .LBB417_151
; %bb.144:
	v_cmp_lt_i16_e32 vcc_lo, 14, v2
	s_mov_b32 s3, -1
	s_cbranch_vccz .LBB417_148
; %bb.145:
	v_cmp_eq_u16_e32 vcc_lo, 15, v2
	s_mov_b32 s23, -1
	s_cbranch_vccz .LBB417_147
; %bb.146:
	s_mov_b32 s2, -1
	s_mov_b32 s23, 0
	global_store_b16 v[0:1], v3, off
.LBB417_147:
	s_mov_b32 s3, 0
.LBB417_148:
	s_delay_alu instid0(SALU_CYCLE_1)
	s_and_b32 vcc_lo, exec_lo, s3
	s_cbranch_vccz .LBB417_151
; %bb.149:
	v_cmp_eq_u16_e32 vcc_lo, 11, v2
	s_mov_b32 s23, -1
	s_cbranch_vccz .LBB417_151
; %bb.150:
	v_and_b32_e32 v5, 0x7fff, v3
	s_mov_b32 s23, 0
	s_mov_b32 s2, -1
	s_delay_alu instid0(VALU_DEP_1)
	v_cmp_ne_u16_e32 vcc_lo, 0, v5
	v_cndmask_b32_e64 v5, 0, 1, vcc_lo
	global_store_b8 v[0:1], v5, off
.LBB417_151:
.LBB417_152:
	s_and_not1_b32 vcc_lo, exec_lo, s2
	s_cbranch_vccnz .LBB417_263
.LBB417_153:
	v_add_nc_u32_e32 v4, 0x80, v4
	s_mov_b32 s2, -1
	s_branch .LBB417_264
.LBB417_154:
	s_mov_b32 s22, -1
                                        ; implicit-def: $vgpr3
.LBB417_155:
	s_mov_b32 s3, 0
.LBB417_156:
	s_delay_alu instid0(SALU_CYCLE_1)
	s_and_b32 vcc_lo, exec_lo, s3
	s_cbranch_vccz .LBB417_160
; %bb.157:
	v_cmp_eq_u16_e64 s3, s33, 29
	s_delay_alu instid0(VALU_DEP_1)
	s_and_b32 vcc_lo, exec_lo, s3
	s_cbranch_vccz .LBB417_159
; %bb.158:
	global_load_b64 v[5:6], v[1:2], off
	s_mov_b32 s2, -1
	s_mov_b32 s22, 0
	s_mov_b32 s3, 0
	s_waitcnt vmcnt(0)
	v_clz_i32_u32_e32 v3, v6
	s_delay_alu instid0(VALU_DEP_1) | instskip(NEXT) | instid1(VALU_DEP_1)
	v_min_u32_e32 v3, 32, v3
	v_lshlrev_b64 v[5:6], v3, v[5:6]
	v_sub_nc_u32_e32 v3, 32, v3
	s_delay_alu instid0(VALU_DEP_2) | instskip(NEXT) | instid1(VALU_DEP_1)
	v_min_u32_e32 v5, 1, v5
	v_or_b32_e32 v5, v6, v5
	s_delay_alu instid0(VALU_DEP_1) | instskip(NEXT) | instid1(VALU_DEP_1)
	v_cvt_f32_u32_e32 v5, v5
	v_ldexp_f32 v3, v5, v3
	s_delay_alu instid0(VALU_DEP_1) | instskip(NEXT) | instid1(VALU_DEP_1)
	v_bfe_u32 v5, v3, 16, 1
	v_add3_u32 v3, v3, v5, 0x7fff
	s_delay_alu instid0(VALU_DEP_1)
	v_lshrrev_b32_e32 v3, 16, v3
	s_branch .LBB417_161
.LBB417_159:
	s_mov_b32 s22, -1
                                        ; implicit-def: $vgpr3
.LBB417_160:
	s_mov_b32 s3, 0
.LBB417_161:
	s_delay_alu instid0(SALU_CYCLE_1)
	s_and_b32 vcc_lo, exec_lo, s3
	s_cbranch_vccz .LBB417_179
; %bb.162:
	v_cmp_lt_i16_e64 s2, s33, 27
	s_delay_alu instid0(VALU_DEP_1)
	s_and_b32 vcc_lo, exec_lo, s2
	s_cbranch_vccnz .LBB417_165
; %bb.163:
	v_cmp_gt_i16_e64 s2, s33, 27
	s_delay_alu instid0(VALU_DEP_1)
	s_and_b32 vcc_lo, exec_lo, s2
	s_cbranch_vccz .LBB417_166
; %bb.164:
	global_load_b32 v3, v[1:2], off
	s_mov_b32 s2, 0
	s_waitcnt vmcnt(0)
	v_cvt_f32_u32_e32 v3, v3
	s_delay_alu instid0(VALU_DEP_1) | instskip(NEXT) | instid1(VALU_DEP_1)
	v_bfe_u32 v5, v3, 16, 1
	v_add3_u32 v3, v3, v5, 0x7fff
	s_delay_alu instid0(VALU_DEP_1)
	v_lshrrev_b32_e32 v3, 16, v3
	s_branch .LBB417_167
.LBB417_165:
	s_mov_b32 s2, -1
                                        ; implicit-def: $vgpr3
	s_branch .LBB417_170
.LBB417_166:
	s_mov_b32 s2, -1
                                        ; implicit-def: $vgpr3
.LBB417_167:
	s_delay_alu instid0(SALU_CYCLE_1)
	s_and_not1_b32 vcc_lo, exec_lo, s2
	s_cbranch_vccnz .LBB417_169
; %bb.168:
	global_load_u16 v3, v[1:2], off
	s_waitcnt vmcnt(0)
	v_cvt_f32_u32_e32 v3, v3
	s_delay_alu instid0(VALU_DEP_1) | instskip(NEXT) | instid1(VALU_DEP_1)
	v_bfe_u32 v5, v3, 16, 1
	v_add3_u32 v3, v3, v5, 0x7fff
	s_delay_alu instid0(VALU_DEP_1)
	v_lshrrev_b32_e32 v3, 16, v3
.LBB417_169:
	s_mov_b32 s2, 0
.LBB417_170:
	s_delay_alu instid0(SALU_CYCLE_1)
	s_and_not1_b32 vcc_lo, exec_lo, s2
	s_cbranch_vccnz .LBB417_178
; %bb.171:
	global_load_u8 v3, v[1:2], off
	s_mov_b32 s2, 0
	s_mov_b32 s23, exec_lo
                                        ; implicit-def: $sgpr3
	s_waitcnt vmcnt(0)
	v_cmpx_lt_i16_e32 0x7f, v3
	s_xor_b32 s23, exec_lo, s23
	s_cbranch_execz .LBB417_191
; %bb.172:
	s_mov_b32 s2, -1
	s_mov_b32 s38, exec_lo
                                        ; implicit-def: $sgpr3
	v_cmpx_eq_u16_e32 0x80, v3
; %bb.173:
	s_mov_b32 s3, 0x7f800001
	s_xor_b32 s2, exec_lo, -1
; %bb.174:
	s_or_b32 exec_lo, exec_lo, s38
	s_delay_alu instid0(SALU_CYCLE_1)
	s_and_b32 s2, s2, exec_lo
	s_or_saveexec_b32 s23, s23
	v_mov_b32_e32 v5, s3
	s_xor_b32 exec_lo, exec_lo, s23
	s_cbranch_execnz .LBB417_192
.LBB417_175:
	s_or_b32 exec_lo, exec_lo, s23
	s_and_saveexec_b32 s3, s2
	s_cbranch_execz .LBB417_177
.LBB417_176:
	v_and_b32_e32 v5, 0xffff, v3
	v_lshlrev_b32_e32 v3, 24, v3
	s_delay_alu instid0(VALU_DEP_2) | instskip(NEXT) | instid1(VALU_DEP_2)
	v_and_b32_e32 v6, 7, v5
	v_and_b32_e32 v3, 0x80000000, v3
	s_delay_alu instid0(VALU_DEP_2) | instskip(NEXT) | instid1(VALU_DEP_1)
	v_clz_i32_u32_e32 v7, v6
	v_min_u32_e32 v7, 32, v7
	s_delay_alu instid0(VALU_DEP_1) | instskip(SKIP_1) | instid1(VALU_DEP_2)
	v_subrev_nc_u32_e32 v8, 28, v7
	v_sub_nc_u32_e32 v7, 29, v7
	v_lshlrev_b32_e32 v8, v8, v5
	v_bfe_u32 v5, v5, 3, 4
	s_delay_alu instid0(VALU_DEP_2) | instskip(NEXT) | instid1(VALU_DEP_2)
	v_and_b32_e32 v8, 7, v8
	v_cmp_eq_u32_e32 vcc_lo, 0, v5
	s_delay_alu instid0(VALU_DEP_2) | instskip(NEXT) | instid1(VALU_DEP_1)
	v_dual_cndmask_b32 v5, v5, v7 :: v_dual_cndmask_b32 v6, v6, v8
	v_lshl_add_u32 v5, v5, 23, 0x3b800000
	s_delay_alu instid0(VALU_DEP_2) | instskip(NEXT) | instid1(VALU_DEP_1)
	v_lshlrev_b32_e32 v6, 20, v6
	v_or3_b32 v5, v3, v5, v6
.LBB417_177:
	s_or_b32 exec_lo, exec_lo, s3
	s_delay_alu instid0(VALU_DEP_1) | instskip(SKIP_1) | instid1(VALU_DEP_2)
	v_bfe_u32 v3, v5, 16, 1
	v_cmp_o_f32_e32 vcc_lo, v5, v5
	v_add3_u32 v3, v5, v3, 0x7fff
	s_delay_alu instid0(VALU_DEP_1) | instskip(NEXT) | instid1(VALU_DEP_1)
	v_lshrrev_b32_e32 v3, 16, v3
	v_cndmask_b32_e32 v3, 0x7fc0, v3, vcc_lo
.LBB417_178:
	s_mov_b32 s2, -1
.LBB417_179:
	s_branch .LBB417_214
.LBB417_180:
	v_cmp_gt_i16_e64 s3, s33, 22
	s_delay_alu instid0(VALU_DEP_1)
	s_and_b32 vcc_lo, exec_lo, s3
	s_cbranch_vccz .LBB417_190
; %bb.181:
	v_cmp_lt_i16_e64 s2, s33, 24
	s_delay_alu instid0(VALU_DEP_1)
	s_and_b32 vcc_lo, exec_lo, s2
	s_cbranch_vccnz .LBB417_193
; %bb.182:
	v_cmp_gt_i16_e64 s2, s33, 24
	s_delay_alu instid0(VALU_DEP_1)
	s_and_b32 vcc_lo, exec_lo, s2
	s_cbranch_vccz .LBB417_194
; %bb.183:
	global_load_u8 v3, v[1:2], off
	s_mov_b32 s2, 0
	s_mov_b32 s23, exec_lo
                                        ; implicit-def: $sgpr3
	s_waitcnt vmcnt(0)
	v_cmpx_lt_i16_e32 0x7f, v3
	s_xor_b32 s23, exec_lo, s23
	s_cbranch_execz .LBB417_206
; %bb.184:
	s_mov_b32 s2, -1
	s_mov_b32 s38, exec_lo
                                        ; implicit-def: $sgpr3
	v_cmpx_eq_u16_e32 0x80, v3
; %bb.185:
	s_mov_b32 s3, 0x7f800001
	s_xor_b32 s2, exec_lo, -1
; %bb.186:
	s_or_b32 exec_lo, exec_lo, s38
	s_delay_alu instid0(SALU_CYCLE_1)
	s_and_b32 s2, s2, exec_lo
	s_or_saveexec_b32 s23, s23
	v_mov_b32_e32 v5, s3
	s_xor_b32 exec_lo, exec_lo, s23
	s_cbranch_execnz .LBB417_207
.LBB417_187:
	s_or_b32 exec_lo, exec_lo, s23
	s_and_saveexec_b32 s3, s2
	s_cbranch_execz .LBB417_189
.LBB417_188:
	v_and_b32_e32 v5, 0xffff, v3
	v_lshlrev_b32_e32 v3, 24, v3
	s_delay_alu instid0(VALU_DEP_2) | instskip(NEXT) | instid1(VALU_DEP_2)
	v_and_b32_e32 v6, 3, v5
	v_and_b32_e32 v3, 0x80000000, v3
	s_delay_alu instid0(VALU_DEP_2) | instskip(NEXT) | instid1(VALU_DEP_1)
	v_clz_i32_u32_e32 v7, v6
	v_min_u32_e32 v7, 32, v7
	s_delay_alu instid0(VALU_DEP_1) | instskip(SKIP_1) | instid1(VALU_DEP_2)
	v_subrev_nc_u32_e32 v8, 29, v7
	v_sub_nc_u32_e32 v7, 30, v7
	v_lshlrev_b32_e32 v8, v8, v5
	v_bfe_u32 v5, v5, 2, 5
	s_delay_alu instid0(VALU_DEP_2) | instskip(NEXT) | instid1(VALU_DEP_2)
	v_and_b32_e32 v8, 3, v8
	v_cmp_eq_u32_e32 vcc_lo, 0, v5
	s_delay_alu instid0(VALU_DEP_2) | instskip(NEXT) | instid1(VALU_DEP_1)
	v_dual_cndmask_b32 v5, v5, v7 :: v_dual_cndmask_b32 v6, v6, v8
	v_lshl_add_u32 v5, v5, 23, 0x37800000
	s_delay_alu instid0(VALU_DEP_2) | instskip(NEXT) | instid1(VALU_DEP_1)
	v_lshlrev_b32_e32 v6, 21, v6
	v_or3_b32 v5, v3, v5, v6
.LBB417_189:
	s_or_b32 exec_lo, exec_lo, s3
	s_delay_alu instid0(VALU_DEP_1) | instskip(SKIP_2) | instid1(VALU_DEP_2)
	v_bfe_u32 v3, v5, 16, 1
	v_cmp_o_f32_e32 vcc_lo, v5, v5
	s_mov_b32 s2, 0
	v_add3_u32 v3, v5, v3, 0x7fff
	s_delay_alu instid0(VALU_DEP_1) | instskip(NEXT) | instid1(VALU_DEP_1)
	v_lshrrev_b32_e32 v3, 16, v3
	v_cndmask_b32_e32 v3, 0x7fc0, v3, vcc_lo
	s_branch .LBB417_195
.LBB417_190:
	s_mov_b32 s3, -1
                                        ; implicit-def: $vgpr3
	s_branch .LBB417_201
.LBB417_191:
	s_or_saveexec_b32 s23, s23
	v_mov_b32_e32 v5, s3
	s_xor_b32 exec_lo, exec_lo, s23
	s_cbranch_execz .LBB417_175
.LBB417_192:
	v_cmp_ne_u16_e32 vcc_lo, 0, v3
	v_mov_b32_e32 v5, 0
	s_and_not1_b32 s2, s2, exec_lo
	s_and_b32 s3, vcc_lo, exec_lo
	s_delay_alu instid0(SALU_CYCLE_1)
	s_or_b32 s2, s2, s3
	s_or_b32 exec_lo, exec_lo, s23
	s_and_saveexec_b32 s3, s2
	s_cbranch_execnz .LBB417_176
	s_branch .LBB417_177
.LBB417_193:
	s_mov_b32 s2, -1
                                        ; implicit-def: $vgpr3
	s_branch .LBB417_198
.LBB417_194:
	s_mov_b32 s2, -1
                                        ; implicit-def: $vgpr3
.LBB417_195:
	s_delay_alu instid0(SALU_CYCLE_1)
	s_and_b32 vcc_lo, exec_lo, s2
	s_cbranch_vccz .LBB417_197
; %bb.196:
	global_load_u8 v3, v[1:2], off
	s_waitcnt vmcnt(0)
	v_lshlrev_b32_e32 v3, 24, v3
	s_delay_alu instid0(VALU_DEP_1) | instskip(NEXT) | instid1(VALU_DEP_1)
	v_and_b32_e32 v5, 0x7f000000, v3
	v_clz_i32_u32_e32 v6, v5
	v_cmp_ne_u32_e32 vcc_lo, 0, v5
	v_add_nc_u32_e32 v8, 0x1000000, v5
	s_delay_alu instid0(VALU_DEP_3) | instskip(NEXT) | instid1(VALU_DEP_1)
	v_min_u32_e32 v6, 32, v6
	v_sub_nc_u32_e64 v6, v6, 4 clamp
	s_delay_alu instid0(VALU_DEP_1) | instskip(SKIP_1) | instid1(VALU_DEP_2)
	v_lshlrev_b32_e32 v7, v6, v5
	v_lshlrev_b32_e32 v6, 23, v6
	v_lshrrev_b32_e32 v7, 4, v7
	s_delay_alu instid0(VALU_DEP_1) | instskip(SKIP_1) | instid1(VALU_DEP_2)
	v_sub_nc_u32_e32 v6, v7, v6
	v_ashrrev_i32_e32 v7, 8, v8
	v_add_nc_u32_e32 v6, 0x3c000000, v6
	s_delay_alu instid0(VALU_DEP_1) | instskip(NEXT) | instid1(VALU_DEP_1)
	v_and_or_b32 v6, 0x7f800000, v7, v6
	v_cndmask_b32_e32 v5, 0, v6, vcc_lo
	s_delay_alu instid0(VALU_DEP_1) | instskip(SKIP_1) | instid1(VALU_DEP_2)
	v_and_or_b32 v3, 0x80000000, v3, v5
	v_bfe_u32 v5, v5, 16, 1
	v_cmp_o_f32_e32 vcc_lo, v3, v3
	s_delay_alu instid0(VALU_DEP_2) | instskip(NEXT) | instid1(VALU_DEP_1)
	v_add3_u32 v5, v3, v5, 0x7fff
	v_lshrrev_b32_e32 v5, 16, v5
	s_delay_alu instid0(VALU_DEP_1)
	v_cndmask_b32_e32 v3, 0x7fc0, v5, vcc_lo
.LBB417_197:
	s_mov_b32 s2, 0
.LBB417_198:
	s_delay_alu instid0(SALU_CYCLE_1)
	s_and_not1_b32 vcc_lo, exec_lo, s2
	s_cbranch_vccnz .LBB417_200
; %bb.199:
	global_load_u8 v3, v[1:2], off
	s_waitcnt vmcnt(0)
	v_lshlrev_b32_e32 v5, 25, v3
	v_lshlrev_b16 v3, 8, v3
	s_delay_alu instid0(VALU_DEP_2) | instskip(NEXT) | instid1(VALU_DEP_2)
	v_lshrrev_b32_e32 v6, 4, v5
	v_and_or_b32 v7, 0x7f00, v3, 0.5
	v_bfe_i32 v3, v3, 0, 16
	s_delay_alu instid0(VALU_DEP_3) | instskip(NEXT) | instid1(VALU_DEP_1)
	v_or_b32_e32 v6, 0x70000000, v6
	v_dual_add_f32 v7, -0.5, v7 :: v_dual_mul_f32 v6, 0x7800000, v6
	v_cmp_gt_u32_e32 vcc_lo, 0x8000000, v5
	s_delay_alu instid0(VALU_DEP_2) | instskip(NEXT) | instid1(VALU_DEP_1)
	v_cndmask_b32_e32 v5, v6, v7, vcc_lo
	v_and_or_b32 v3, 0x80000000, v3, v5
	v_bfe_u32 v5, v5, 16, 1
	s_delay_alu instid0(VALU_DEP_2) | instskip(NEXT) | instid1(VALU_DEP_2)
	v_cmp_o_f32_e32 vcc_lo, v3, v3
	v_add3_u32 v5, v3, v5, 0x7fff
	s_delay_alu instid0(VALU_DEP_1) | instskip(NEXT) | instid1(VALU_DEP_1)
	v_lshrrev_b32_e32 v5, 16, v5
	v_cndmask_b32_e32 v3, 0x7fc0, v5, vcc_lo
.LBB417_200:
	s_mov_b32 s3, 0
	s_mov_b32 s2, -1
.LBB417_201:
	s_and_not1_b32 vcc_lo, exec_lo, s3
	s_cbranch_vccnz .LBB417_214
; %bb.202:
	v_cmp_gt_i16_e64 s3, s33, 14
	s_delay_alu instid0(VALU_DEP_1)
	s_and_b32 vcc_lo, exec_lo, s3
	s_cbranch_vccz .LBB417_205
; %bb.203:
	v_cmp_eq_u16_e64 s3, s33, 15
	s_delay_alu instid0(VALU_DEP_1)
	s_and_b32 vcc_lo, exec_lo, s3
	s_cbranch_vccz .LBB417_208
; %bb.204:
	global_load_u16 v3, v[1:2], off
	s_mov_b32 s2, -1
	s_mov_b32 s22, 0
	s_branch .LBB417_209
.LBB417_205:
	s_mov_b32 s3, -1
                                        ; implicit-def: $vgpr3
	s_branch .LBB417_210
.LBB417_206:
	s_or_saveexec_b32 s23, s23
	v_mov_b32_e32 v5, s3
	s_xor_b32 exec_lo, exec_lo, s23
	s_cbranch_execz .LBB417_187
.LBB417_207:
	v_cmp_ne_u16_e32 vcc_lo, 0, v3
	v_mov_b32_e32 v5, 0
	s_and_not1_b32 s2, s2, exec_lo
	s_and_b32 s3, vcc_lo, exec_lo
	s_delay_alu instid0(SALU_CYCLE_1)
	s_or_b32 s2, s2, s3
	s_or_b32 exec_lo, exec_lo, s23
	s_and_saveexec_b32 s3, s2
	s_cbranch_execnz .LBB417_188
	s_branch .LBB417_189
.LBB417_208:
	s_mov_b32 s22, -1
                                        ; implicit-def: $vgpr3
.LBB417_209:
	s_mov_b32 s3, 0
.LBB417_210:
	s_delay_alu instid0(SALU_CYCLE_1)
	s_and_b32 vcc_lo, exec_lo, s3
	s_cbranch_vccz .LBB417_214
; %bb.211:
	v_cmp_eq_u16_e64 s3, s33, 11
	s_delay_alu instid0(VALU_DEP_1)
	s_and_b32 vcc_lo, exec_lo, s3
	s_cbranch_vccz .LBB417_213
; %bb.212:
	global_load_u8 v3, v[1:2], off
	s_mov_b32 s22, 0
	s_mov_b32 s2, -1
	s_waitcnt vmcnt(0)
	v_cmp_ne_u16_e32 vcc_lo, 0, v3
	v_cndmask_b32_e64 v3, 0, 1.0, vcc_lo
	s_delay_alu instid0(VALU_DEP_1)
	v_lshrrev_b32_e32 v3, 16, v3
	s_branch .LBB417_214
.LBB417_213:
	s_mov_b32 s22, -1
                                        ; implicit-def: $vgpr3
.LBB417_214:
	s_branch .LBB417_23
.LBB417_215:
	v_cmp_lt_i16_e64 s2, s33, 5
	s_delay_alu instid0(VALU_DEP_1)
	s_and_b32 vcc_lo, exec_lo, s2
	s_cbranch_vccnz .LBB417_220
; %bb.216:
	v_cmp_lt_i16_e64 s2, s33, 8
	s_delay_alu instid0(VALU_DEP_1)
	s_and_b32 vcc_lo, exec_lo, s2
	s_cbranch_vccnz .LBB417_221
; %bb.217:
	;; [unrolled: 5-line block ×3, first 2 shown]
	v_cmp_gt_i16_e64 s2, s33, 9
	s_delay_alu instid0(VALU_DEP_1)
	s_and_b32 vcc_lo, exec_lo, s2
	s_cbranch_vccz .LBB417_223
; %bb.219:
	global_load_b64 v[5:6], v[1:2], off
	s_mov_b32 s2, 0
	s_waitcnt vmcnt(0)
	v_cvt_f32_f64_e32 v3, v[5:6]
	s_delay_alu instid0(VALU_DEP_1) | instskip(SKIP_1) | instid1(VALU_DEP_2)
	v_bfe_u32 v5, v3, 16, 1
	v_cmp_o_f32_e32 vcc_lo, v3, v3
	v_add3_u32 v5, v3, v5, 0x7fff
	s_delay_alu instid0(VALU_DEP_1) | instskip(NEXT) | instid1(VALU_DEP_1)
	v_lshrrev_b32_e32 v5, 16, v5
	v_cndmask_b32_e32 v3, 0x7fc0, v5, vcc_lo
	s_branch .LBB417_224
.LBB417_220:
                                        ; implicit-def: $vgpr3
	s_branch .LBB417_242
.LBB417_221:
	s_mov_b32 s2, -1
                                        ; implicit-def: $vgpr3
	s_branch .LBB417_230
.LBB417_222:
	s_mov_b32 s2, -1
                                        ; implicit-def: $vgpr3
	s_branch .LBB417_227
.LBB417_223:
	s_mov_b32 s2, -1
                                        ; implicit-def: $vgpr3
.LBB417_224:
	s_delay_alu instid0(SALU_CYCLE_1)
	s_and_not1_b32 vcc_lo, exec_lo, s2
	s_cbranch_vccnz .LBB417_226
; %bb.225:
	global_load_b32 v3, v[1:2], off
	s_waitcnt vmcnt(0)
	v_bfe_u32 v5, v3, 16, 1
	v_cmp_o_f32_e32 vcc_lo, v3, v3
	s_delay_alu instid0(VALU_DEP_2) | instskip(NEXT) | instid1(VALU_DEP_1)
	v_add3_u32 v5, v3, v5, 0x7fff
	v_lshrrev_b32_e32 v5, 16, v5
	s_delay_alu instid0(VALU_DEP_1)
	v_cndmask_b32_e32 v3, 0x7fc0, v5, vcc_lo
.LBB417_226:
	s_mov_b32 s2, 0
.LBB417_227:
	s_delay_alu instid0(SALU_CYCLE_1)
	s_and_not1_b32 vcc_lo, exec_lo, s2
	s_cbranch_vccnz .LBB417_229
; %bb.228:
	global_load_b32 v3, v[1:2], off
	s_waitcnt vmcnt(0)
	v_cvt_f32_f16_e32 v5, v3
	v_cmp_o_f16_e32 vcc_lo, v3, v3
	s_delay_alu instid0(VALU_DEP_2) | instskip(NEXT) | instid1(VALU_DEP_1)
	v_bfe_u32 v6, v5, 16, 1
	v_add3_u32 v5, v5, v6, 0x7fff
	s_delay_alu instid0(VALU_DEP_1) | instskip(NEXT) | instid1(VALU_DEP_1)
	v_lshrrev_b32_e32 v5, 16, v5
	v_cndmask_b32_e32 v3, 0x7fc0, v5, vcc_lo
.LBB417_229:
	s_mov_b32 s2, 0
.LBB417_230:
	s_delay_alu instid0(SALU_CYCLE_1)
	s_and_not1_b32 vcc_lo, exec_lo, s2
	s_cbranch_vccnz .LBB417_241
; %bb.231:
	v_cmp_lt_i16_e64 s2, s33, 6
	s_delay_alu instid0(VALU_DEP_1)
	s_and_b32 vcc_lo, exec_lo, s2
	s_cbranch_vccnz .LBB417_234
; %bb.232:
	v_cmp_gt_i16_e64 s2, s33, 6
	s_delay_alu instid0(VALU_DEP_1)
	s_and_b32 vcc_lo, exec_lo, s2
	s_cbranch_vccz .LBB417_235
; %bb.233:
	global_load_b64 v[5:6], v[1:2], off
	s_mov_b32 s2, 0
	s_waitcnt vmcnt(0)
	v_cvt_f32_f64_e32 v3, v[5:6]
	s_delay_alu instid0(VALU_DEP_1) | instskip(SKIP_1) | instid1(VALU_DEP_2)
	v_bfe_u32 v5, v3, 16, 1
	v_cmp_o_f32_e32 vcc_lo, v3, v3
	v_add3_u32 v5, v3, v5, 0x7fff
	s_delay_alu instid0(VALU_DEP_1) | instskip(NEXT) | instid1(VALU_DEP_1)
	v_lshrrev_b32_e32 v5, 16, v5
	v_cndmask_b32_e32 v3, 0x7fc0, v5, vcc_lo
	s_branch .LBB417_236
.LBB417_234:
	s_mov_b32 s2, -1
                                        ; implicit-def: $vgpr3
	s_branch .LBB417_239
.LBB417_235:
	s_mov_b32 s2, -1
                                        ; implicit-def: $vgpr3
.LBB417_236:
	s_delay_alu instid0(SALU_CYCLE_1)
	s_and_not1_b32 vcc_lo, exec_lo, s2
	s_cbranch_vccnz .LBB417_238
; %bb.237:
	global_load_b32 v3, v[1:2], off
	s_waitcnt vmcnt(0)
	v_bfe_u32 v5, v3, 16, 1
	v_cmp_o_f32_e32 vcc_lo, v3, v3
	s_delay_alu instid0(VALU_DEP_2) | instskip(NEXT) | instid1(VALU_DEP_1)
	v_add3_u32 v5, v3, v5, 0x7fff
	v_lshrrev_b32_e32 v5, 16, v5
	s_delay_alu instid0(VALU_DEP_1)
	v_cndmask_b32_e32 v3, 0x7fc0, v5, vcc_lo
.LBB417_238:
	s_mov_b32 s2, 0
.LBB417_239:
	s_delay_alu instid0(SALU_CYCLE_1)
	s_and_not1_b32 vcc_lo, exec_lo, s2
	s_cbranch_vccnz .LBB417_241
; %bb.240:
	global_load_u16 v3, v[1:2], off
	s_waitcnt vmcnt(0)
	v_cvt_f32_f16_e32 v5, v3
	v_cmp_o_f16_e32 vcc_lo, v3, v3
	s_delay_alu instid0(VALU_DEP_2) | instskip(NEXT) | instid1(VALU_DEP_1)
	v_bfe_u32 v6, v5, 16, 1
	v_add3_u32 v5, v5, v6, 0x7fff
	s_delay_alu instid0(VALU_DEP_1) | instskip(NEXT) | instid1(VALU_DEP_1)
	v_lshrrev_b32_e32 v5, 16, v5
	v_cndmask_b32_e32 v3, 0x7fc0, v5, vcc_lo
.LBB417_241:
	s_cbranch_execnz .LBB417_261
.LBB417_242:
	v_cmp_lt_i16_e64 s2, s33, 2
	s_delay_alu instid0(VALU_DEP_1)
	s_and_b32 vcc_lo, exec_lo, s2
	s_cbranch_vccnz .LBB417_246
; %bb.243:
	v_cmp_lt_i16_e64 s2, s33, 3
	s_delay_alu instid0(VALU_DEP_1)
	s_and_b32 vcc_lo, exec_lo, s2
	s_cbranch_vccnz .LBB417_247
; %bb.244:
	v_cmp_gt_i16_e64 s2, s33, 3
	s_delay_alu instid0(VALU_DEP_1)
	s_and_b32 vcc_lo, exec_lo, s2
	s_cbranch_vccz .LBB417_248
; %bb.245:
	global_load_b64 v[5:6], v[1:2], off
	s_mov_b32 s2, 0
	s_waitcnt vmcnt(0)
	v_xor_b32_e32 v3, v5, v6
	v_cls_i32_e32 v7, v6
	s_delay_alu instid0(VALU_DEP_2) | instskip(NEXT) | instid1(VALU_DEP_2)
	v_ashrrev_i32_e32 v3, 31, v3
	v_add_nc_u32_e32 v7, -1, v7
	s_delay_alu instid0(VALU_DEP_2) | instskip(NEXT) | instid1(VALU_DEP_1)
	v_add_nc_u32_e32 v3, 32, v3
	v_min_u32_e32 v3, v7, v3
	s_delay_alu instid0(VALU_DEP_1) | instskip(SKIP_1) | instid1(VALU_DEP_2)
	v_lshlrev_b64 v[5:6], v3, v[5:6]
	v_sub_nc_u32_e32 v3, 32, v3
	v_min_u32_e32 v5, 1, v5
	s_delay_alu instid0(VALU_DEP_1) | instskip(NEXT) | instid1(VALU_DEP_1)
	v_or_b32_e32 v5, v6, v5
	v_cvt_f32_i32_e32 v5, v5
	s_delay_alu instid0(VALU_DEP_1) | instskip(NEXT) | instid1(VALU_DEP_1)
	v_ldexp_f32 v3, v5, v3
	v_bfe_u32 v5, v3, 16, 1
	s_delay_alu instid0(VALU_DEP_1) | instskip(NEXT) | instid1(VALU_DEP_1)
	v_add3_u32 v3, v3, v5, 0x7fff
	v_lshrrev_b32_e32 v3, 16, v3
	s_branch .LBB417_249
.LBB417_246:
	s_mov_b32 s2, -1
                                        ; implicit-def: $vgpr3
	s_branch .LBB417_255
.LBB417_247:
	s_mov_b32 s2, -1
                                        ; implicit-def: $vgpr3
	s_branch .LBB417_252
.LBB417_248:
	s_mov_b32 s2, -1
                                        ; implicit-def: $vgpr3
.LBB417_249:
	s_delay_alu instid0(SALU_CYCLE_1)
	s_and_not1_b32 vcc_lo, exec_lo, s2
	s_cbranch_vccnz .LBB417_251
; %bb.250:
	global_load_b32 v3, v[1:2], off
	s_waitcnt vmcnt(0)
	v_cvt_f32_i32_e32 v3, v3
	s_delay_alu instid0(VALU_DEP_1) | instskip(NEXT) | instid1(VALU_DEP_1)
	v_bfe_u32 v5, v3, 16, 1
	v_add3_u32 v3, v3, v5, 0x7fff
	s_delay_alu instid0(VALU_DEP_1)
	v_lshrrev_b32_e32 v3, 16, v3
.LBB417_251:
	s_mov_b32 s2, 0
.LBB417_252:
	s_delay_alu instid0(SALU_CYCLE_1)
	s_and_not1_b32 vcc_lo, exec_lo, s2
	s_cbranch_vccnz .LBB417_254
; %bb.253:
	global_load_i16 v3, v[1:2], off
	s_waitcnt vmcnt(0)
	v_cvt_f32_i32_e32 v3, v3
	s_delay_alu instid0(VALU_DEP_1) | instskip(NEXT) | instid1(VALU_DEP_1)
	v_bfe_u32 v5, v3, 16, 1
	v_add3_u32 v3, v3, v5, 0x7fff
	s_delay_alu instid0(VALU_DEP_1)
	v_lshrrev_b32_e32 v3, 16, v3
.LBB417_254:
	s_mov_b32 s2, 0
.LBB417_255:
	s_delay_alu instid0(SALU_CYCLE_1)
	s_and_not1_b32 vcc_lo, exec_lo, s2
	s_cbranch_vccnz .LBB417_261
; %bb.256:
	v_cmp_gt_i16_e64 s2, s33, 0
	s_delay_alu instid0(VALU_DEP_1)
	s_and_b32 vcc_lo, exec_lo, s2
	s_mov_b32 s2, 0
	s_cbranch_vccz .LBB417_258
; %bb.257:
	global_load_i8 v3, v[1:2], off
	s_waitcnt vmcnt(0)
	v_cvt_f32_i32_e32 v3, v3
	s_delay_alu instid0(VALU_DEP_1) | instskip(NEXT) | instid1(VALU_DEP_1)
	v_bfe_u32 v5, v3, 16, 1
	v_add3_u32 v3, v3, v5, 0x7fff
	s_delay_alu instid0(VALU_DEP_1)
	v_lshrrev_b32_e32 v3, 16, v3
	s_branch .LBB417_259
.LBB417_258:
	s_mov_b32 s2, -1
                                        ; implicit-def: $vgpr3
.LBB417_259:
	s_delay_alu instid0(SALU_CYCLE_1)
	s_and_not1_b32 vcc_lo, exec_lo, s2
	s_cbranch_vccnz .LBB417_261
; %bb.260:
	global_load_u8 v1, v[1:2], off
	s_waitcnt vmcnt(0)
	v_cvt_f32_ubyte0_e32 v1, v1
	s_delay_alu instid0(VALU_DEP_1) | instskip(NEXT) | instid1(VALU_DEP_1)
	v_bfe_u32 v2, v1, 16, 1
	v_add3_u32 v1, v1, v2, 0x7fff
	s_delay_alu instid0(VALU_DEP_1)
	v_lshrrev_b32_e32 v3, 16, v1
.LBB417_261:
	s_branch .LBB417_24
.LBB417_262:
	s_mov_b32 s23, 0
.LBB417_263:
	s_mov_b32 s2, 0
                                        ; implicit-def: $vgpr4
.LBB417_264:
	s_and_b32 s38, s23, exec_lo
	s_and_b32 s39, s22, exec_lo
	s_or_not1_b32 s3, s2, exec_lo
.LBB417_265:
	s_or_b32 exec_lo, exec_lo, s40
	s_mov_b32 s22, 0
	s_mov_b32 s2, 0
                                        ; implicit-def: $vgpr1_vgpr2
                                        ; implicit-def: $vgpr0
                                        ; implicit-def: $vgpr5
	s_and_saveexec_b32 s40, s3
	s_cbranch_execz .LBB417_910
; %bb.266:
	s_mov_b32 s2, -1
	s_mov_b32 s41, s39
	s_mov_b32 s42, s38
	s_mov_b32 s43, exec_lo
	v_cmpx_gt_i32_e64 s35, v4
	s_cbranch_execz .LBB417_537
; %bb.267:
	s_and_not1_b32 vcc_lo, exec_lo, s27
	s_cbranch_vccnz .LBB417_272
; %bb.268:
	v_dual_mov_b32 v0, 0 :: v_dual_mov_b32 v1, 0
	s_and_not1_b32 vcc_lo, exec_lo, s37
	s_mov_b32 s41, 0
	s_cbranch_vccnz .LBB417_277
; %bb.269:
	v_mov_b32_e32 v0, 0
	s_add_i32 s44, s36, 1
	s_cmp_eq_u32 s25, 2
	s_mov_b32 s42, 0
	s_cbranch_scc1 .LBB417_273
; %bb.270:
	v_dual_mov_b32 v1, 0 :: v_dual_mov_b32 v0, 0
	v_mov_b32_e32 v2, v4
	s_and_b32 s42, s44, 28
	s_mov_b32 s45, 0
	s_mov_b64 s[2:3], s[20:21]
	s_mov_b64 s[22:23], s[16:17]
.LBB417_271:                            ; =>This Inner Loop Header: Depth=1
	s_clause 0x1
	s_load_b256 s[48:55], s[22:23], 0x4
	s_load_b128 s[64:67], s[22:23], 0x24
	s_load_b256 s[56:63], s[2:3], 0x0
	s_add_u32 s22, s22, 48
	s_addc_u32 s23, s23, 0
	s_add_i32 s45, s45, 4
	s_add_u32 s2, s2, 32
	s_addc_u32 s3, s3, 0
	s_cmp_eq_u32 s42, s45
	s_waitcnt vmcnt(0) lgkmcnt(0)
	v_mul_hi_u32 v3, s49, v2
	s_delay_alu instid0(VALU_DEP_1) | instskip(NEXT) | instid1(VALU_DEP_1)
	v_add_nc_u32_e32 v3, v2, v3
	v_lshrrev_b32_e32 v3, s50, v3
	s_delay_alu instid0(VALU_DEP_1) | instskip(SKIP_1) | instid1(VALU_DEP_2)
	v_mul_hi_u32 v5, s52, v3
	v_mul_lo_u32 v7, v3, s48
	v_add_nc_u32_e32 v5, v3, v5
	s_delay_alu instid0(VALU_DEP_2) | instskip(NEXT) | instid1(VALU_DEP_2)
	v_sub_nc_u32_e32 v2, v2, v7
	v_lshrrev_b32_e32 v5, s53, v5
	s_delay_alu instid0(VALU_DEP_2) | instskip(SKIP_1) | instid1(VALU_DEP_3)
	v_mul_lo_u32 v7, v2, s56
	v_mul_lo_u32 v9, v2, s57
	v_mul_hi_u32 v6, s55, v5
	s_delay_alu instid0(VALU_DEP_1) | instskip(NEXT) | instid1(VALU_DEP_1)
	v_add_nc_u32_e32 v6, v5, v6
	v_lshrrev_b32_e32 v6, s64, v6
	s_delay_alu instid0(VALU_DEP_1) | instskip(SKIP_1) | instid1(VALU_DEP_2)
	v_mul_hi_u32 v8, s66, v6
	v_mul_lo_u32 v10, v6, s54
	v_add_nc_u32_e32 v2, v6, v8
	v_mul_lo_u32 v8, v5, s51
	s_delay_alu instid0(VALU_DEP_3) | instskip(NEXT) | instid1(VALU_DEP_3)
	v_sub_nc_u32_e32 v5, v5, v10
	v_lshrrev_b32_e32 v2, s67, v2
	s_delay_alu instid0(VALU_DEP_2) | instskip(SKIP_2) | instid1(VALU_DEP_4)
	v_mul_lo_u32 v10, v5, s60
	v_mul_lo_u32 v5, v5, s61
	v_sub_nc_u32_e32 v3, v3, v8
	v_mul_lo_u32 v11, v2, s65
	s_delay_alu instid0(VALU_DEP_2) | instskip(SKIP_1) | instid1(VALU_DEP_3)
	v_mul_lo_u32 v8, v3, s58
	v_mul_lo_u32 v3, v3, s59
	v_sub_nc_u32_e32 v6, v6, v11
	s_delay_alu instid0(VALU_DEP_3) | instskip(NEXT) | instid1(VALU_DEP_2)
	v_add3_u32 v0, v7, v0, v8
	v_mul_lo_u32 v11, v6, s62
	v_mul_lo_u32 v6, v6, s63
	v_add3_u32 v1, v9, v1, v3
	s_delay_alu instid0(VALU_DEP_3) | instskip(NEXT) | instid1(VALU_DEP_2)
	v_add3_u32 v0, v10, v0, v11
	v_add3_u32 v1, v5, v1, v6
	s_cbranch_scc0 .LBB417_271
	s_branch .LBB417_274
.LBB417_272:
	s_mov_b32 s41, -1
                                        ; implicit-def: $vgpr0
                                        ; implicit-def: $vgpr1
	s_branch .LBB417_277
.LBB417_273:
	v_dual_mov_b32 v2, v4 :: v_dual_mov_b32 v1, 0
.LBB417_274:
	s_and_b32 s44, s44, 3
	s_delay_alu instid0(SALU_CYCLE_1)
	s_cmp_eq_u32 s44, 0
	s_cbranch_scc1 .LBB417_277
; %bb.275:
	s_lshl_b32 s2, s42, 3
	s_mul_i32 s22, s42, 12
	s_add_u32 s2, s2, s16
	s_addc_u32 s3, s17, 0
	s_add_u32 s2, s2, 0xc4
	s_addc_u32 s3, s3, 0
	;; [unrolled: 2-line block ×3, first 2 shown]
	.p2align	6
.LBB417_276:                            ; =>This Inner Loop Header: Depth=1
	s_clause 0x1
	s_load_b64 s[46:47], s[22:23], 0x4
	s_load_b32 s42, s[22:23], 0xc
	s_load_b64 s[48:49], s[2:3], 0x0
	s_add_u32 s22, s22, 12
	s_addc_u32 s23, s23, 0
	s_add_u32 s2, s2, 8
	s_addc_u32 s3, s3, 0
	s_add_i32 s44, s44, -1
	s_delay_alu instid0(SALU_CYCLE_1) | instskip(SKIP_2) | instid1(VALU_DEP_1)
	s_cmp_lg_u32 s44, 0
	s_waitcnt vmcnt(0) lgkmcnt(0)
	v_mul_hi_u32 v3, s47, v2
	v_add_nc_u32_e32 v3, v2, v3
	s_delay_alu instid0(VALU_DEP_1) | instskip(NEXT) | instid1(VALU_DEP_1)
	v_lshrrev_b32_e32 v3, s42, v3
	v_mul_lo_u32 v5, v3, s46
	s_delay_alu instid0(VALU_DEP_1) | instskip(NEXT) | instid1(VALU_DEP_1)
	v_sub_nc_u32_e32 v2, v2, v5
	v_mad_u64_u32 v[5:6], null, v2, s48, v[0:1]
	v_mad_u64_u32 v[6:7], null, v2, s49, v[1:2]
	v_mov_b32_e32 v2, v3
	s_delay_alu instid0(VALU_DEP_2)
	v_dual_mov_b32 v0, v5 :: v_dual_mov_b32 v1, v6
	s_cbranch_scc1 .LBB417_276
.LBB417_277:
	s_and_not1_b32 vcc_lo, exec_lo, s41
	s_cbranch_vccnz .LBB417_280
; %bb.278:
	v_mul_hi_u32 v0, s13, v4
	s_and_not1_b32 vcc_lo, exec_lo, s34
	s_delay_alu instid0(VALU_DEP_1) | instskip(NEXT) | instid1(VALU_DEP_1)
	v_add_nc_u32_e32 v0, v4, v0
	v_lshrrev_b32_e32 v2, s14, v0
	s_delay_alu instid0(VALU_DEP_1) | instskip(NEXT) | instid1(VALU_DEP_1)
	v_mul_lo_u32 v0, v2, s12
	v_sub_nc_u32_e32 v1, v4, v0
	s_delay_alu instid0(VALU_DEP_1)
	v_mul_lo_u32 v0, v1, s8
	v_mul_lo_u32 v1, v1, s9
	s_cbranch_vccnz .LBB417_280
; %bb.279:
	s_waitcnt vmcnt(0)
	v_mul_hi_u32 v3, s18, v2
	s_delay_alu instid0(VALU_DEP_1) | instskip(NEXT) | instid1(VALU_DEP_1)
	v_add_nc_u32_e32 v3, v2, v3
	v_lshrrev_b32_e32 v3, s19, v3
	s_delay_alu instid0(VALU_DEP_1) | instskip(NEXT) | instid1(VALU_DEP_1)
	v_mul_lo_u32 v3, v3, s15
	v_sub_nc_u32_e32 v7, v2, v3
	s_delay_alu instid0(VALU_DEP_1) | instskip(NEXT) | instid1(VALU_DEP_1)
	v_mad_u64_u32 v[2:3], null, v7, s10, v[0:1]
	v_mad_u64_u32 v[5:6], null, v7, s11, v[1:2]
	s_delay_alu instid0(VALU_DEP_1)
	v_dual_mov_b32 v0, v2 :: v_dual_mov_b32 v1, v5
.LBB417_280:
	v_cmp_lt_i16_e64 s2, s33, 11
	s_delay_alu instid0(VALU_DEP_2) | instskip(NEXT) | instid1(VALU_DEP_1)
	v_add_co_u32 v1, s3, s6, v1
	v_add_co_ci_u32_e64 v2, null, s7, 0, s3
	s_delay_alu instid0(VALU_DEP_3)
	s_and_b32 vcc_lo, exec_lo, s2
	s_mov_b32 s2, 0
	s_cbranch_vccnz .LBB417_287
; %bb.281:
	v_cmp_gt_i16_e64 s2, s33, 25
	s_delay_alu instid0(VALU_DEP_1)
	s_and_b32 vcc_lo, exec_lo, s2
	s_cbranch_vccz .LBB417_336
; %bb.282:
	v_cmp_gt_i16_e64 s2, s33, 28
	s_delay_alu instid0(VALU_DEP_1)
	s_and_b32 vcc_lo, exec_lo, s2
	s_cbranch_vccz .LBB417_337
	;; [unrolled: 5-line block ×4, first 2 shown]
; %bb.285:
	v_cmp_eq_u16_e64 s2, s33, 46
	s_mov_b32 s3, 0
	s_delay_alu instid0(VALU_DEP_1)
	s_and_b32 vcc_lo, exec_lo, s2
	s_cbranch_vccz .LBB417_347
; %bb.286:
	global_load_b32 v5, v[1:2], off
	s_mov_b32 s2, -1
	s_mov_b32 s22, 0
	s_branch .LBB417_349
.LBB417_287:
	s_mov_b32 s22, s39
                                        ; implicit-def: $vgpr5
	s_cbranch_execnz .LBB417_486
.LBB417_288:
	s_and_not1_b32 vcc_lo, exec_lo, s2
	s_cbranch_vccnz .LBB417_534
.LBB417_289:
	s_waitcnt vmcnt(0)
	s_delay_alu instid0(VALU_DEP_1) | instskip(SKIP_3) | instid1(VALU_DEP_2)
	v_lshlrev_b32_e32 v1, 16, v5
	v_and_b32_e64 v3, 0xff, s30
	s_mov_b32 s23, 0
	s_mov_b32 s41, -1
	v_cmp_u_f32_e32 vcc_lo, v1, v1
	v_cmp_lt_f32_e64 s2, s31, v1
	v_cmp_gt_i16_e64 s3, 11, v3
	s_delay_alu instid0(VALU_DEP_2)
	s_or_b32 vcc_lo, vcc_lo, s2
	v_add_co_u32 v0, s2, s4, v0
	v_cndmask_b32_e32 v2, s29, v5, vcc_lo
	v_add_co_ci_u32_e64 v1, null, s5, 0, s2
	s_and_b32 vcc_lo, exec_lo, s3
	s_mov_b32 s2, s38
	s_cbranch_vccnz .LBB417_296
; %bb.290:
	v_cmp_lt_i16_e32 vcc_lo, 25, v3
	s_cbranch_vccz .LBB417_338
; %bb.291:
	v_cmp_lt_i16_e32 vcc_lo, 28, v3
	s_cbranch_vccz .LBB417_340
	;; [unrolled: 3-line block ×4, first 2 shown]
; %bb.294:
	v_cmp_eq_u16_e32 vcc_lo, 46, v3
	s_mov_b32 s3, 0
	s_mov_b32 s2, -1
	s_cbranch_vccz .LBB417_353
; %bb.295:
	v_and_b32_e32 v5, 0xffff, v2
	s_mov_b32 s23, -1
	s_mov_b32 s2, 0
	global_store_b32 v[0:1], v5, off
	s_branch .LBB417_353
.LBB417_296:
	s_and_b32 vcc_lo, exec_lo, s41
	s_cbranch_vccz .LBB417_422
; %bb.297:
	v_cmp_gt_i16_e32 vcc_lo, 5, v3
	s_mov_b32 s3, -1
	s_cbranch_vccnz .LBB417_318
; %bb.298:
	v_cmp_gt_i16_e32 vcc_lo, 8, v3
	s_cbranch_vccnz .LBB417_308
; %bb.299:
	v_cmp_gt_i16_e32 vcc_lo, 9, v3
	s_cbranch_vccnz .LBB417_305
; %bb.300:
	v_cmp_lt_i16_e32 vcc_lo, 9, v3
	s_cbranch_vccz .LBB417_302
; %bb.301:
	v_mov_b32_e32 v7, 0
	v_lshlrev_b32_e32 v5, 16, v2
	s_mov_b32 s3, 0
	s_delay_alu instid0(VALU_DEP_2) | instskip(NEXT) | instid1(VALU_DEP_2)
	v_mov_b32_e32 v8, v7
	v_cvt_f64_f32_e32 v[5:6], v5
	global_store_b128 v[0:1], v[5:8], off
.LBB417_302:
	s_and_not1_b32 vcc_lo, exec_lo, s3
	s_cbranch_vccnz .LBB417_304
; %bb.303:
	v_dual_mov_b32 v6, 0 :: v_dual_lshlrev_b32 v5, 16, v2
	global_store_b64 v[0:1], v[5:6], off
.LBB417_304:
	s_mov_b32 s3, 0
.LBB417_305:
	s_delay_alu instid0(SALU_CYCLE_1)
	s_and_not1_b32 vcc_lo, exec_lo, s3
	s_cbranch_vccnz .LBB417_307
; %bb.306:
	v_lshlrev_b32_e32 v5, 16, v2
	s_delay_alu instid0(VALU_DEP_1) | instskip(NEXT) | instid1(VALU_DEP_1)
	v_cvt_f16_f32_e32 v5, v5
	v_and_b32_e32 v5, 0xffff, v5
	global_store_b32 v[0:1], v5, off
.LBB417_307:
	s_mov_b32 s3, 0
.LBB417_308:
	s_delay_alu instid0(SALU_CYCLE_1)
	s_and_not1_b32 vcc_lo, exec_lo, s3
	s_cbranch_vccnz .LBB417_317
; %bb.309:
	v_cmp_gt_i16_e32 vcc_lo, 6, v3
	s_mov_b32 s3, -1
	s_cbranch_vccnz .LBB417_315
; %bb.310:
	v_cmp_lt_i16_e32 vcc_lo, 6, v3
	s_cbranch_vccz .LBB417_312
; %bb.311:
	v_lshlrev_b32_e32 v5, 16, v2
	s_mov_b32 s3, 0
	s_delay_alu instid0(VALU_DEP_1)
	v_cvt_f64_f32_e32 v[5:6], v5
	global_store_b64 v[0:1], v[5:6], off
.LBB417_312:
	s_and_not1_b32 vcc_lo, exec_lo, s3
	s_cbranch_vccnz .LBB417_314
; %bb.313:
	v_lshlrev_b32_e32 v5, 16, v2
	global_store_b32 v[0:1], v5, off
.LBB417_314:
	s_mov_b32 s3, 0
.LBB417_315:
	s_delay_alu instid0(SALU_CYCLE_1)
	s_and_not1_b32 vcc_lo, exec_lo, s3
	s_cbranch_vccnz .LBB417_317
; %bb.316:
	v_lshlrev_b32_e32 v5, 16, v2
	s_delay_alu instid0(VALU_DEP_1)
	v_cvt_f16_f32_e32 v5, v5
	global_store_b16 v[0:1], v5, off
.LBB417_317:
	s_mov_b32 s3, 0
.LBB417_318:
	s_delay_alu instid0(SALU_CYCLE_1)
	s_and_not1_b32 vcc_lo, exec_lo, s3
	s_cbranch_vccnz .LBB417_334
; %bb.319:
	v_cmp_gt_i16_e32 vcc_lo, 2, v3
	s_mov_b32 s3, -1
	s_cbranch_vccnz .LBB417_329
; %bb.320:
	v_cmp_gt_i16_e32 vcc_lo, 3, v3
	s_cbranch_vccnz .LBB417_326
; %bb.321:
	v_cmp_lt_i16_e32 vcc_lo, 3, v3
	s_cbranch_vccz .LBB417_323
; %bb.322:
	v_lshlrev_b32_e32 v5, 16, v2
	s_mov_b32 s3, 0
	s_delay_alu instid0(VALU_DEP_1) | instskip(NEXT) | instid1(VALU_DEP_1)
	v_trunc_f32_e32 v5, v5
	v_mul_f32_e64 v6, 0x2f800000, |v5|
	v_ashrrev_i32_e32 v8, 31, v5
	s_delay_alu instid0(VALU_DEP_2) | instskip(NEXT) | instid1(VALU_DEP_1)
	v_floor_f32_e32 v6, v6
	v_fma_f32 v7, 0xcf800000, v6, |v5|
	v_cvt_u32_f32_e32 v6, v6
	s_delay_alu instid0(VALU_DEP_2) | instskip(NEXT) | instid1(VALU_DEP_2)
	v_cvt_u32_f32_e32 v5, v7
	v_xor_b32_e32 v6, v6, v8
	s_delay_alu instid0(VALU_DEP_2) | instskip(NEXT) | instid1(VALU_DEP_1)
	v_xor_b32_e32 v5, v5, v8
	v_sub_co_u32 v5, vcc_lo, v5, v8
	s_delay_alu instid0(VALU_DEP_3)
	v_sub_co_ci_u32_e32 v6, vcc_lo, v6, v8, vcc_lo
	global_store_b64 v[0:1], v[5:6], off
.LBB417_323:
	s_and_not1_b32 vcc_lo, exec_lo, s3
	s_cbranch_vccnz .LBB417_325
; %bb.324:
	v_lshlrev_b32_e32 v5, 16, v2
	s_delay_alu instid0(VALU_DEP_1)
	v_cvt_i32_f32_e32 v5, v5
	global_store_b32 v[0:1], v5, off
.LBB417_325:
	s_mov_b32 s3, 0
.LBB417_326:
	s_delay_alu instid0(SALU_CYCLE_1)
	s_and_not1_b32 vcc_lo, exec_lo, s3
	s_cbranch_vccnz .LBB417_328
; %bb.327:
	v_lshlrev_b32_e32 v5, 16, v2
	s_delay_alu instid0(VALU_DEP_1)
	v_cvt_i32_f32_e32 v5, v5
	global_store_b16 v[0:1], v5, off
.LBB417_328:
	s_mov_b32 s3, 0
.LBB417_329:
	s_delay_alu instid0(SALU_CYCLE_1)
	s_and_not1_b32 vcc_lo, exec_lo, s3
	s_cbranch_vccnz .LBB417_334
; %bb.330:
	v_cmp_lt_i16_e32 vcc_lo, 0, v3
	s_mov_b32 s3, -1
	s_cbranch_vccz .LBB417_332
; %bb.331:
	v_lshlrev_b32_e32 v3, 16, v2
	s_mov_b32 s3, 0
	s_delay_alu instid0(VALU_DEP_1)
	v_cvt_i32_f32_e32 v3, v3
	global_store_b8 v[0:1], v3, off
.LBB417_332:
	s_and_not1_b32 vcc_lo, exec_lo, s3
	s_cbranch_vccnz .LBB417_334
; %bb.333:
	v_lshlrev_b32_e32 v2, 16, v2
	s_delay_alu instid0(VALU_DEP_1) | instskip(NEXT) | instid1(VALU_DEP_1)
	v_trunc_f32_e32 v2, v2
	v_mul_f32_e64 v3, 0x2f800000, |v2|
	s_delay_alu instid0(VALU_DEP_1) | instskip(NEXT) | instid1(VALU_DEP_1)
	v_floor_f32_e32 v3, v3
	v_fma_f32 v3, 0xcf800000, v3, |v2|
	v_ashrrev_i32_e32 v2, 31, v2
	s_delay_alu instid0(VALU_DEP_2) | instskip(NEXT) | instid1(VALU_DEP_1)
	v_cvt_u32_f32_e32 v3, v3
	v_xor_b32_e32 v3, v3, v2
	s_delay_alu instid0(VALU_DEP_1)
	v_sub_nc_u32_e32 v2, v3, v2
	global_store_b8 v[0:1], v2, off
.LBB417_334:
	s_branch .LBB417_423
.LBB417_335:
	s_mov_b32 s3, 0
	s_branch .LBB417_535
.LBB417_336:
	s_mov_b32 s3, -1
	s_mov_b32 s2, 0
	s_mov_b32 s22, s39
                                        ; implicit-def: $vgpr5
	s_branch .LBB417_450
.LBB417_337:
	s_mov_b32 s3, -1
	s_mov_b32 s2, 0
	s_mov_b32 s22, s39
                                        ; implicit-def: $vgpr5
	s_branch .LBB417_431
.LBB417_338:
	s_mov_b32 s3, -1
	s_mov_b32 s2, s38
	s_branch .LBB417_380
.LBB417_339:
	s_mov_b32 s3, -1
	s_mov_b32 s2, 0
	s_mov_b32 s22, s39
                                        ; implicit-def: $vgpr5
	s_branch .LBB417_426
.LBB417_340:
	s_mov_b32 s3, -1
	s_mov_b32 s2, s38
	s_branch .LBB417_363
.LBB417_341:
	s_or_saveexec_b32 s38, s38
                                        ; implicit-def: $sgpr39
	s_delay_alu instid0(SALU_CYCLE_1)
	s_xor_b32 exec_lo, exec_lo, s38
	s_cbranch_execz .LBB417_104
.LBB417_342:
	v_add_f32_e64 v6, 0x46000000, |v7|
	s_and_not1_b32 s3, s3, exec_lo
	s_mov_b32 s39, 0
	s_delay_alu instid0(VALU_DEP_1) | instskip(NEXT) | instid1(VALU_DEP_1)
	v_and_b32_e32 v6, 0xff, v6
	v_cmp_ne_u32_e32 vcc_lo, 0, v6
	s_and_b32 s42, vcc_lo, exec_lo
	s_delay_alu instid0(SALU_CYCLE_1)
	s_or_b32 s3, s3, s42
	s_or_b32 exec_lo, exec_lo, s38
	v_mov_b32_e32 v8, s39
	s_and_saveexec_b32 s38, s3
	s_cbranch_execnz .LBB417_105
	s_branch .LBB417_106
.LBB417_343:
	s_mov_b32 s3, -1
	s_mov_b32 s2, 0
	s_mov_b32 s22, s39
	s_branch .LBB417_348
.LBB417_344:
	s_mov_b32 s3, -1
	s_mov_b32 s2, s38
	s_branch .LBB417_359
.LBB417_345:
	s_or_saveexec_b32 s38, s38
                                        ; implicit-def: $sgpr39
	s_delay_alu instid0(SALU_CYCLE_1)
	s_xor_b32 exec_lo, exec_lo, s38
	s_cbranch_execz .LBB417_117
.LBB417_346:
	v_add_f32_e64 v6, 0x42800000, |v7|
	s_and_not1_b32 s3, s3, exec_lo
	s_mov_b32 s39, 0
	s_delay_alu instid0(VALU_DEP_1) | instskip(NEXT) | instid1(VALU_DEP_1)
	v_and_b32_e32 v6, 0xff, v6
	v_cmp_ne_u32_e32 vcc_lo, 0, v6
	s_and_b32 s42, vcc_lo, exec_lo
	s_delay_alu instid0(SALU_CYCLE_1)
	s_or_b32 s3, s3, s42
	s_or_b32 exec_lo, exec_lo, s38
	v_mov_b32_e32 v8, s39
	s_and_saveexec_b32 s38, s3
	s_cbranch_execnz .LBB417_118
	s_branch .LBB417_119
.LBB417_347:
	s_mov_b32 s22, -1
	s_mov_b32 s2, 0
.LBB417_348:
                                        ; implicit-def: $vgpr5
.LBB417_349:
	s_and_b32 vcc_lo, exec_lo, s3
	s_cbranch_vccz .LBB417_425
; %bb.350:
	v_cmp_eq_u16_e64 s3, s33, 44
	s_delay_alu instid0(VALU_DEP_1)
	s_and_b32 vcc_lo, exec_lo, s3
	s_cbranch_vccz .LBB417_424
; %bb.351:
	global_load_u8 v3, v[1:2], off
	s_mov_b32 s22, 0
	s_mov_b32 s2, -1
	s_waitcnt vmcnt(0)
	v_lshlrev_b32_e32 v5, 23, v3
	v_cmp_ne_u32_e32 vcc_lo, 0xff, v3
	s_delay_alu instid0(VALU_DEP_2) | instskip(SKIP_1) | instid1(VALU_DEP_2)
	v_cndmask_b32_e32 v5, 0x7f800001, v5, vcc_lo
	v_cmp_ne_u32_e32 vcc_lo, 0, v3
	v_cndmask_b32_e32 v3, 0x400000, v5, vcc_lo
	s_delay_alu instid0(VALU_DEP_1) | instskip(SKIP_1) | instid1(VALU_DEP_2)
	v_add_nc_u32_e32 v5, 0x7fff, v3
	v_cmp_o_f32_e32 vcc_lo, v3, v3
	v_lshrrev_b32_e32 v5, 16, v5
	s_delay_alu instid0(VALU_DEP_1)
	v_cndmask_b32_e32 v5, 0x7fc0, v5, vcc_lo
	s_branch .LBB417_425
.LBB417_352:
	s_mov_b32 s3, -1
	s_mov_b32 s2, s38
.LBB417_353:
	s_and_b32 vcc_lo, exec_lo, s3
	s_cbranch_vccz .LBB417_358
; %bb.354:
	v_cmp_eq_u16_e32 vcc_lo, 44, v3
	s_mov_b32 s2, -1
	s_cbranch_vccz .LBB417_358
; %bb.355:
	v_and_b32_e32 v5, 0xffff, v2
	v_mov_b32_e32 v6, 0xff
	s_mov_b32 s3, exec_lo
	s_delay_alu instid0(VALU_DEP_2) | instskip(NEXT) | instid1(VALU_DEP_1)
	v_bfe_u32 v7, v5, 7, 8
	v_cmpx_ne_u32_e32 0xff, v7
; %bb.356:
	v_lshlrev_b32_e32 v6, 16, v5
	v_and_b32_e32 v8, 64, v5
	v_lshrrev_b32_e32 v5, 7, v5
	s_delay_alu instid0(VALU_DEP_3) | instskip(NEXT) | instid1(VALU_DEP_3)
	v_and_or_b32 v6, 0x3f0000, v6, v7
	v_cmp_ne_u32_e32 vcc_lo, 0, v8
	s_delay_alu instid0(VALU_DEP_2) | instskip(NEXT) | instid1(VALU_DEP_1)
	v_cmp_ne_u32_e64 s2, 0, v6
	s_and_b32 s2, vcc_lo, s2
	s_delay_alu instid0(SALU_CYCLE_1) | instskip(NEXT) | instid1(VALU_DEP_1)
	v_cndmask_b32_e64 v6, 0, 1, s2
	v_add_nc_u32_e32 v6, v5, v6
; %bb.357:
	s_or_b32 exec_lo, exec_lo, s3
	s_mov_b32 s23, -1
	s_mov_b32 s2, 0
	global_store_b8 v[0:1], v6, off
.LBB417_358:
	s_mov_b32 s3, 0
.LBB417_359:
	s_delay_alu instid0(SALU_CYCLE_1)
	s_and_b32 vcc_lo, exec_lo, s3
	s_cbranch_vccz .LBB417_362
; %bb.360:
	v_cmp_eq_u16_e32 vcc_lo, 29, v3
	s_mov_b32 s2, -1
	s_cbranch_vccz .LBB417_362
; %bb.361:
	v_lshlrev_b32_e32 v5, 16, v2
	s_mov_b32 s23, -1
	s_mov_b32 s2, 0
	s_mov_b32 s3, 0
	s_delay_alu instid0(VALU_DEP_1) | instskip(NEXT) | instid1(VALU_DEP_1)
	v_trunc_f32_e32 v5, v5
	v_mul_f32_e32 v6, 0x2f800000, v5
	s_delay_alu instid0(VALU_DEP_1) | instskip(NEXT) | instid1(VALU_DEP_1)
	v_floor_f32_e32 v6, v6
	v_fmamk_f32 v5, v6, 0xcf800000, v5
	v_cvt_u32_f32_e32 v6, v6
	s_delay_alu instid0(VALU_DEP_2)
	v_cvt_u32_f32_e32 v5, v5
	global_store_b64 v[0:1], v[5:6], off
	s_branch .LBB417_363
.LBB417_362:
	s_mov_b32 s3, 0
.LBB417_363:
	s_delay_alu instid0(SALU_CYCLE_1)
	s_and_b32 vcc_lo, exec_lo, s3
	s_cbranch_vccz .LBB417_379
; %bb.364:
	v_cmp_gt_i16_e32 vcc_lo, 27, v3
	s_mov_b32 s3, -1
	s_cbranch_vccnz .LBB417_370
; %bb.365:
	v_cmp_lt_i16_e32 vcc_lo, 27, v3
	s_cbranch_vccz .LBB417_367
; %bb.366:
	v_lshlrev_b32_e32 v5, 16, v2
	s_mov_b32 s3, 0
	s_delay_alu instid0(VALU_DEP_1)
	v_cvt_u32_f32_e32 v5, v5
	global_store_b32 v[0:1], v5, off
.LBB417_367:
	s_and_not1_b32 vcc_lo, exec_lo, s3
	s_cbranch_vccnz .LBB417_369
; %bb.368:
	v_lshlrev_b32_e32 v5, 16, v2
	s_delay_alu instid0(VALU_DEP_1)
	v_cvt_u32_f32_e32 v5, v5
	global_store_b16 v[0:1], v5, off
.LBB417_369:
	s_mov_b32 s3, 0
.LBB417_370:
	s_delay_alu instid0(SALU_CYCLE_1)
	s_and_not1_b32 vcc_lo, exec_lo, s3
	s_cbranch_vccnz .LBB417_378
; %bb.371:
	v_dual_mov_b32 v8, 0x80 :: v_dual_lshlrev_b32 v7, 16, v2
	s_mov_b32 s3, exec_lo
	s_delay_alu instid0(VALU_DEP_1) | instskip(NEXT) | instid1(VALU_DEP_1)
	v_and_b32_e32 v6, 0x7fffffff, v7
	v_cmpx_gt_u32_e32 0x43800000, v6
	s_cbranch_execz .LBB417_377
; %bb.372:
	v_and_b32_e32 v5, 0xffff, v2
	v_cmp_lt_u32_e32 vcc_lo, 0x3bffffff, v6
	s_mov_b32 s23, 0
                                        ; implicit-def: $vgpr6
	s_and_saveexec_b32 s41, vcc_lo
	s_delay_alu instid0(SALU_CYCLE_1)
	s_xor_b32 s41, exec_lo, s41
	s_cbranch_execz .LBB417_563
; %bb.373:
	v_bfe_u32 v6, v5, 4, 1
	s_mov_b32 s23, exec_lo
	s_delay_alu instid0(VALU_DEP_1) | instskip(NEXT) | instid1(VALU_DEP_1)
	v_add3_u32 v6, v7, v6, 0x487ffff
                                        ; implicit-def: $vgpr7
	v_lshrrev_b32_e32 v6, 20, v6
	s_or_saveexec_b32 s41, s41
                                        ; implicit-def: $sgpr42
	s_delay_alu instid0(SALU_CYCLE_1)
	s_xor_b32 exec_lo, exec_lo, s41
	s_cbranch_execnz .LBB417_564
.LBB417_374:
	s_or_b32 exec_lo, exec_lo, s41
	v_mov_b32_e32 v8, s42
	s_and_saveexec_b32 s41, s23
.LBB417_375:
	v_lshrrev_b32_e32 v5, 8, v5
	s_delay_alu instid0(VALU_DEP_1)
	v_and_or_b32 v8, 0x80, v5, v6
.LBB417_376:
	s_or_b32 exec_lo, exec_lo, s41
.LBB417_377:
	s_delay_alu instid0(SALU_CYCLE_1)
	s_or_b32 exec_lo, exec_lo, s3
	global_store_b8 v[0:1], v8, off
.LBB417_378:
	s_mov_b32 s23, -1
.LBB417_379:
	s_mov_b32 s3, 0
.LBB417_380:
	s_delay_alu instid0(SALU_CYCLE_1)
	s_and_b32 vcc_lo, exec_lo, s3
	s_cbranch_vccz .LBB417_421
; %bb.381:
	v_cmp_lt_i16_e32 vcc_lo, 22, v3
	s_mov_b32 s3, -1
	s_cbranch_vccz .LBB417_413
; %bb.382:
	v_cmp_gt_i16_e32 vcc_lo, 24, v3
	s_cbranch_vccnz .LBB417_402
; %bb.383:
	v_cmp_lt_i16_e32 vcc_lo, 24, v3
	s_cbranch_vccz .LBB417_391
; %bb.384:
	v_dual_mov_b32 v8, 0x80 :: v_dual_lshlrev_b32 v7, 16, v2
	s_mov_b32 s3, exec_lo
	s_delay_alu instid0(VALU_DEP_1) | instskip(NEXT) | instid1(VALU_DEP_1)
	v_and_b32_e32 v6, 0x7fffffff, v7
	v_cmpx_gt_u32_e32 0x47800000, v6
	s_cbranch_execz .LBB417_390
; %bb.385:
	v_and_b32_e32 v5, 0xffff, v2
	v_cmp_lt_u32_e32 vcc_lo, 0x37ffffff, v6
	s_mov_b32 s23, 0
                                        ; implicit-def: $vgpr6
	s_and_saveexec_b32 s41, vcc_lo
	s_delay_alu instid0(SALU_CYCLE_1)
	s_xor_b32 s41, exec_lo, s41
	s_cbranch_execz .LBB417_566
; %bb.386:
	v_bfe_u32 v6, v5, 5, 1
	s_mov_b32 s23, exec_lo
	s_delay_alu instid0(VALU_DEP_1) | instskip(NEXT) | instid1(VALU_DEP_1)
	v_add3_u32 v6, v7, v6, 0x88fffff
                                        ; implicit-def: $vgpr7
	v_lshrrev_b32_e32 v6, 21, v6
	s_or_saveexec_b32 s41, s41
                                        ; implicit-def: $sgpr42
	s_delay_alu instid0(SALU_CYCLE_1)
	s_xor_b32 exec_lo, exec_lo, s41
	s_cbranch_execnz .LBB417_567
.LBB417_387:
	s_or_b32 exec_lo, exec_lo, s41
	v_mov_b32_e32 v8, s42
	s_and_saveexec_b32 s41, s23
.LBB417_388:
	v_lshrrev_b32_e32 v5, 8, v5
	s_delay_alu instid0(VALU_DEP_1)
	v_and_or_b32 v8, 0x80, v5, v6
.LBB417_389:
	s_or_b32 exec_lo, exec_lo, s41
.LBB417_390:
	s_delay_alu instid0(SALU_CYCLE_1)
	s_or_b32 exec_lo, exec_lo, s3
	s_mov_b32 s3, 0
	global_store_b8 v[0:1], v8, off
.LBB417_391:
	s_and_b32 vcc_lo, exec_lo, s3
	s_cbranch_vccz .LBB417_401
; %bb.392:
	v_lshlrev_b32_e32 v7, 16, v2
	v_and_b32_e32 v5, 0xffff, v2
	s_mov_b32 s3, exec_lo
                                        ; implicit-def: $vgpr6
	s_delay_alu instid0(VALU_DEP_2) | instskip(NEXT) | instid1(VALU_DEP_1)
	v_and_b32_e32 v8, 0x7fffffff, v7
	v_cmpx_gt_u32_e32 0x43f00000, v8
	s_xor_b32 s3, exec_lo, s3
	s_cbranch_execz .LBB417_398
; %bb.393:
	s_mov_b32 s23, exec_lo
                                        ; implicit-def: $vgpr6
	v_cmpx_lt_u32_e32 0x3c7fffff, v8
	s_xor_b32 s23, exec_lo, s23
; %bb.394:
	v_bfe_u32 v6, v5, 4, 1
	s_delay_alu instid0(VALU_DEP_1) | instskip(NEXT) | instid1(VALU_DEP_1)
	v_add3_u32 v6, v7, v6, 0x407ffff
	v_and_b32_e32 v7, 0xff00000, v6
	v_lshrrev_b32_e32 v6, 20, v6
	s_delay_alu instid0(VALU_DEP_2) | instskip(NEXT) | instid1(VALU_DEP_2)
	v_cmp_ne_u32_e32 vcc_lo, 0x7f00000, v7
                                        ; implicit-def: $vgpr7
	v_cndmask_b32_e32 v6, 0x7e, v6, vcc_lo
; %bb.395:
	s_and_not1_saveexec_b32 s23, s23
; %bb.396:
	v_add_f32_e64 v6, 0x46800000, |v7|
; %bb.397:
	s_or_b32 exec_lo, exec_lo, s23
                                        ; implicit-def: $vgpr8
.LBB417_398:
	s_and_not1_saveexec_b32 s3, s3
; %bb.399:
	v_mov_b32_e32 v6, 0x7f
	v_cmp_lt_u32_e32 vcc_lo, 0x7f800000, v8
	s_delay_alu instid0(VALU_DEP_2)
	v_cndmask_b32_e32 v6, 0x7e, v6, vcc_lo
; %bb.400:
	s_or_b32 exec_lo, exec_lo, s3
	v_lshrrev_b32_e32 v5, 8, v5
	s_delay_alu instid0(VALU_DEP_1)
	v_and_or_b32 v5, 0x80, v5, v6
	global_store_b8 v[0:1], v5, off
.LBB417_401:
	s_mov_b32 s3, 0
.LBB417_402:
	s_delay_alu instid0(SALU_CYCLE_1)
	s_and_not1_b32 vcc_lo, exec_lo, s3
	s_cbranch_vccnz .LBB417_412
; %bb.403:
	v_lshlrev_b32_e32 v7, 16, v2
	v_and_b32_e32 v5, 0xffff, v2
	s_mov_b32 s3, exec_lo
                                        ; implicit-def: $vgpr6
	s_delay_alu instid0(VALU_DEP_2) | instskip(NEXT) | instid1(VALU_DEP_1)
	v_and_b32_e32 v8, 0x7fffffff, v7
	v_cmpx_gt_u32_e32 0x47800000, v8
	s_xor_b32 s3, exec_lo, s3
	s_cbranch_execz .LBB417_409
; %bb.404:
	s_mov_b32 s23, exec_lo
                                        ; implicit-def: $vgpr6
	v_cmpx_lt_u32_e32 0x387fffff, v8
	s_xor_b32 s23, exec_lo, s23
; %bb.405:
	v_bfe_u32 v6, v5, 5, 1
	s_delay_alu instid0(VALU_DEP_1) | instskip(NEXT) | instid1(VALU_DEP_1)
	v_add3_u32 v6, v7, v6, 0x80fffff
                                        ; implicit-def: $vgpr7
	v_lshrrev_b32_e32 v6, 21, v6
; %bb.406:
	s_and_not1_saveexec_b32 s23, s23
; %bb.407:
	v_add_f32_e64 v6, 0x43000000, |v7|
; %bb.408:
	s_or_b32 exec_lo, exec_lo, s23
                                        ; implicit-def: $vgpr8
.LBB417_409:
	s_and_not1_saveexec_b32 s3, s3
; %bb.410:
	v_mov_b32_e32 v6, 0x7f
	v_cmp_lt_u32_e32 vcc_lo, 0x7f800000, v8
	s_delay_alu instid0(VALU_DEP_2)
	v_cndmask_b32_e32 v6, 0x7c, v6, vcc_lo
; %bb.411:
	s_or_b32 exec_lo, exec_lo, s3
	v_lshrrev_b32_e32 v5, 8, v5
	s_delay_alu instid0(VALU_DEP_1)
	v_and_or_b32 v5, 0x80, v5, v6
	global_store_b8 v[0:1], v5, off
.LBB417_412:
	s_mov_b32 s3, 0
	s_mov_b32 s23, -1
.LBB417_413:
	s_and_not1_b32 vcc_lo, exec_lo, s3
	s_cbranch_vccnz .LBB417_421
; %bb.414:
	v_cmp_lt_i16_e32 vcc_lo, 14, v3
	s_mov_b32 s3, -1
	s_cbranch_vccz .LBB417_418
; %bb.415:
	v_cmp_eq_u16_e32 vcc_lo, 15, v3
	s_mov_b32 s2, -1
	s_cbranch_vccz .LBB417_417
; %bb.416:
	s_mov_b32 s23, -1
	s_mov_b32 s2, 0
	global_store_b16 v[0:1], v2, off
.LBB417_417:
	s_mov_b32 s3, 0
.LBB417_418:
	s_delay_alu instid0(SALU_CYCLE_1)
	s_and_b32 vcc_lo, exec_lo, s3
	s_cbranch_vccz .LBB417_421
; %bb.419:
	v_cmp_eq_u16_e32 vcc_lo, 11, v3
	s_mov_b32 s2, -1
	s_cbranch_vccz .LBB417_421
; %bb.420:
	v_and_b32_e32 v5, 0x7fff, v2
	s_mov_b32 s2, 0
	s_mov_b32 s23, -1
	s_delay_alu instid0(VALU_DEP_1)
	v_cmp_ne_u16_e32 vcc_lo, 0, v5
	v_cndmask_b32_e64 v5, 0, 1, vcc_lo
	global_store_b8 v[0:1], v5, off
.LBB417_421:
.LBB417_422:
	s_and_not1_b32 vcc_lo, exec_lo, s23
	s_cbranch_vccnz .LBB417_335
.LBB417_423:
	v_add_nc_u32_e32 v4, 0x80, v4
	s_mov_b32 s3, -1
	s_branch .LBB417_536
.LBB417_424:
	s_mov_b32 s22, -1
                                        ; implicit-def: $vgpr5
.LBB417_425:
	s_mov_b32 s3, 0
.LBB417_426:
	s_delay_alu instid0(SALU_CYCLE_1)
	s_and_b32 vcc_lo, exec_lo, s3
	s_cbranch_vccz .LBB417_430
; %bb.427:
	v_cmp_eq_u16_e64 s3, s33, 29
	s_delay_alu instid0(VALU_DEP_1)
	s_and_b32 vcc_lo, exec_lo, s3
	s_cbranch_vccz .LBB417_429
; %bb.428:
	global_load_b64 v[5:6], v[1:2], off
	s_mov_b32 s2, -1
	s_mov_b32 s22, 0
	s_mov_b32 s3, 0
	s_waitcnt vmcnt(0)
	v_clz_i32_u32_e32 v3, v6
	s_delay_alu instid0(VALU_DEP_1) | instskip(NEXT) | instid1(VALU_DEP_1)
	v_min_u32_e32 v3, 32, v3
	v_lshlrev_b64 v[5:6], v3, v[5:6]
	v_sub_nc_u32_e32 v3, 32, v3
	s_delay_alu instid0(VALU_DEP_2) | instskip(NEXT) | instid1(VALU_DEP_1)
	v_min_u32_e32 v5, 1, v5
	v_or_b32_e32 v5, v6, v5
	s_delay_alu instid0(VALU_DEP_1) | instskip(NEXT) | instid1(VALU_DEP_1)
	v_cvt_f32_u32_e32 v5, v5
	v_ldexp_f32 v3, v5, v3
	s_delay_alu instid0(VALU_DEP_1) | instskip(NEXT) | instid1(VALU_DEP_1)
	v_bfe_u32 v5, v3, 16, 1
	v_add3_u32 v3, v3, v5, 0x7fff
	s_delay_alu instid0(VALU_DEP_1)
	v_lshrrev_b32_e32 v5, 16, v3
	s_branch .LBB417_431
.LBB417_429:
	s_mov_b32 s22, -1
                                        ; implicit-def: $vgpr5
.LBB417_430:
	s_mov_b32 s3, 0
.LBB417_431:
	s_delay_alu instid0(SALU_CYCLE_1)
	s_and_b32 vcc_lo, exec_lo, s3
	s_cbranch_vccz .LBB417_449
; %bb.432:
	v_cmp_lt_i16_e64 s2, s33, 27
	s_delay_alu instid0(VALU_DEP_1)
	s_and_b32 vcc_lo, exec_lo, s2
	s_cbranch_vccnz .LBB417_435
; %bb.433:
	v_cmp_gt_i16_e64 s2, s33, 27
	s_delay_alu instid0(VALU_DEP_1)
	s_and_b32 vcc_lo, exec_lo, s2
	s_cbranch_vccz .LBB417_436
; %bb.434:
	global_load_b32 v3, v[1:2], off
	s_mov_b32 s2, 0
	s_waitcnt vmcnt(0)
	v_cvt_f32_u32_e32 v3, v3
	s_delay_alu instid0(VALU_DEP_1) | instskip(NEXT) | instid1(VALU_DEP_1)
	v_bfe_u32 v5, v3, 16, 1
	v_add3_u32 v3, v3, v5, 0x7fff
	s_delay_alu instid0(VALU_DEP_1)
	v_lshrrev_b32_e32 v5, 16, v3
	s_branch .LBB417_437
.LBB417_435:
	s_mov_b32 s2, -1
                                        ; implicit-def: $vgpr5
	s_branch .LBB417_440
.LBB417_436:
	s_mov_b32 s2, -1
                                        ; implicit-def: $vgpr5
.LBB417_437:
	s_delay_alu instid0(SALU_CYCLE_1)
	s_and_not1_b32 vcc_lo, exec_lo, s2
	s_cbranch_vccnz .LBB417_439
; %bb.438:
	global_load_u16 v3, v[1:2], off
	s_waitcnt vmcnt(0)
	v_cvt_f32_u32_e32 v3, v3
	s_delay_alu instid0(VALU_DEP_1) | instskip(NEXT) | instid1(VALU_DEP_1)
	v_bfe_u32 v5, v3, 16, 1
	v_add3_u32 v3, v3, v5, 0x7fff
	s_delay_alu instid0(VALU_DEP_1)
	v_lshrrev_b32_e32 v5, 16, v3
.LBB417_439:
	s_mov_b32 s2, 0
.LBB417_440:
	s_delay_alu instid0(SALU_CYCLE_1)
	s_and_not1_b32 vcc_lo, exec_lo, s2
	s_cbranch_vccnz .LBB417_448
; %bb.441:
	global_load_u8 v3, v[1:2], off
	s_mov_b32 s2, 0
	s_mov_b32 s23, exec_lo
                                        ; implicit-def: $sgpr3
	s_waitcnt vmcnt(0)
	v_cmpx_lt_i16_e32 0x7f, v3
	s_xor_b32 s23, exec_lo, s23
	s_cbranch_execz .LBB417_462
; %bb.442:
	s_mov_b32 s2, -1
	s_mov_b32 s41, exec_lo
                                        ; implicit-def: $sgpr3
	v_cmpx_eq_u16_e32 0x80, v3
; %bb.443:
	s_mov_b32 s3, 0x7f800001
	s_xor_b32 s2, exec_lo, -1
; %bb.444:
	s_or_b32 exec_lo, exec_lo, s41
	s_delay_alu instid0(SALU_CYCLE_1)
	s_and_b32 s2, s2, exec_lo
	s_or_saveexec_b32 s23, s23
	v_mov_b32_e32 v5, s3
	s_xor_b32 exec_lo, exec_lo, s23
	s_cbranch_execnz .LBB417_463
.LBB417_445:
	s_or_b32 exec_lo, exec_lo, s23
	s_and_saveexec_b32 s3, s2
	s_cbranch_execz .LBB417_447
.LBB417_446:
	v_and_b32_e32 v5, 0xffff, v3
	v_lshlrev_b32_e32 v3, 24, v3
	s_delay_alu instid0(VALU_DEP_2) | instskip(NEXT) | instid1(VALU_DEP_2)
	v_and_b32_e32 v6, 7, v5
	v_and_b32_e32 v3, 0x80000000, v3
	s_delay_alu instid0(VALU_DEP_2) | instskip(NEXT) | instid1(VALU_DEP_1)
	v_clz_i32_u32_e32 v7, v6
	v_min_u32_e32 v7, 32, v7
	s_delay_alu instid0(VALU_DEP_1) | instskip(SKIP_1) | instid1(VALU_DEP_2)
	v_subrev_nc_u32_e32 v8, 28, v7
	v_sub_nc_u32_e32 v7, 29, v7
	v_lshlrev_b32_e32 v8, v8, v5
	v_bfe_u32 v5, v5, 3, 4
	s_delay_alu instid0(VALU_DEP_2) | instskip(NEXT) | instid1(VALU_DEP_2)
	v_and_b32_e32 v8, 7, v8
	v_cmp_eq_u32_e32 vcc_lo, 0, v5
	s_delay_alu instid0(VALU_DEP_2) | instskip(NEXT) | instid1(VALU_DEP_1)
	v_dual_cndmask_b32 v5, v5, v7 :: v_dual_cndmask_b32 v6, v6, v8
	v_lshl_add_u32 v5, v5, 23, 0x3b800000
	s_delay_alu instid0(VALU_DEP_2) | instskip(NEXT) | instid1(VALU_DEP_1)
	v_lshlrev_b32_e32 v6, 20, v6
	v_or3_b32 v5, v3, v5, v6
.LBB417_447:
	s_or_b32 exec_lo, exec_lo, s3
	s_delay_alu instid0(VALU_DEP_1) | instskip(SKIP_1) | instid1(VALU_DEP_2)
	v_bfe_u32 v3, v5, 16, 1
	v_cmp_o_f32_e32 vcc_lo, v5, v5
	v_add3_u32 v3, v5, v3, 0x7fff
	s_delay_alu instid0(VALU_DEP_1) | instskip(NEXT) | instid1(VALU_DEP_1)
	v_lshrrev_b32_e32 v3, 16, v3
	v_cndmask_b32_e32 v5, 0x7fc0, v3, vcc_lo
.LBB417_448:
	s_mov_b32 s2, -1
.LBB417_449:
	s_mov_b32 s3, 0
.LBB417_450:
	s_delay_alu instid0(SALU_CYCLE_1)
	s_and_b32 vcc_lo, exec_lo, s3
	s_cbranch_vccz .LBB417_485
; %bb.451:
	v_cmp_gt_i16_e64 s3, s33, 22
	s_delay_alu instid0(VALU_DEP_1)
	s_and_b32 vcc_lo, exec_lo, s3
	s_cbranch_vccz .LBB417_461
; %bb.452:
	v_cmp_lt_i16_e64 s2, s33, 24
	s_delay_alu instid0(VALU_DEP_1)
	s_and_b32 vcc_lo, exec_lo, s2
	s_cbranch_vccnz .LBB417_464
; %bb.453:
	v_cmp_gt_i16_e64 s2, s33, 24
	s_delay_alu instid0(VALU_DEP_1)
	s_and_b32 vcc_lo, exec_lo, s2
	s_cbranch_vccz .LBB417_465
; %bb.454:
	global_load_u8 v3, v[1:2], off
	s_mov_b32 s2, 0
	s_mov_b32 s23, exec_lo
                                        ; implicit-def: $sgpr3
	s_waitcnt vmcnt(0)
	v_cmpx_lt_i16_e32 0x7f, v3
	s_xor_b32 s23, exec_lo, s23
	s_cbranch_execz .LBB417_477
; %bb.455:
	s_mov_b32 s2, -1
	s_mov_b32 s41, exec_lo
                                        ; implicit-def: $sgpr3
	v_cmpx_eq_u16_e32 0x80, v3
; %bb.456:
	s_mov_b32 s3, 0x7f800001
	s_xor_b32 s2, exec_lo, -1
; %bb.457:
	s_or_b32 exec_lo, exec_lo, s41
	s_delay_alu instid0(SALU_CYCLE_1)
	s_and_b32 s2, s2, exec_lo
	s_or_saveexec_b32 s23, s23
	v_mov_b32_e32 v5, s3
	s_xor_b32 exec_lo, exec_lo, s23
	s_cbranch_execnz .LBB417_478
.LBB417_458:
	s_or_b32 exec_lo, exec_lo, s23
	s_and_saveexec_b32 s3, s2
	s_cbranch_execz .LBB417_460
.LBB417_459:
	v_and_b32_e32 v5, 0xffff, v3
	v_lshlrev_b32_e32 v3, 24, v3
	s_delay_alu instid0(VALU_DEP_2) | instskip(NEXT) | instid1(VALU_DEP_2)
	v_and_b32_e32 v6, 3, v5
	v_and_b32_e32 v3, 0x80000000, v3
	s_delay_alu instid0(VALU_DEP_2) | instskip(NEXT) | instid1(VALU_DEP_1)
	v_clz_i32_u32_e32 v7, v6
	v_min_u32_e32 v7, 32, v7
	s_delay_alu instid0(VALU_DEP_1) | instskip(SKIP_1) | instid1(VALU_DEP_2)
	v_subrev_nc_u32_e32 v8, 29, v7
	v_sub_nc_u32_e32 v7, 30, v7
	v_lshlrev_b32_e32 v8, v8, v5
	v_bfe_u32 v5, v5, 2, 5
	s_delay_alu instid0(VALU_DEP_2) | instskip(NEXT) | instid1(VALU_DEP_2)
	v_and_b32_e32 v8, 3, v8
	v_cmp_eq_u32_e32 vcc_lo, 0, v5
	s_delay_alu instid0(VALU_DEP_2) | instskip(NEXT) | instid1(VALU_DEP_1)
	v_dual_cndmask_b32 v5, v5, v7 :: v_dual_cndmask_b32 v6, v6, v8
	v_lshl_add_u32 v5, v5, 23, 0x37800000
	s_delay_alu instid0(VALU_DEP_2) | instskip(NEXT) | instid1(VALU_DEP_1)
	v_lshlrev_b32_e32 v6, 21, v6
	v_or3_b32 v5, v3, v5, v6
.LBB417_460:
	s_or_b32 exec_lo, exec_lo, s3
	s_delay_alu instid0(VALU_DEP_1) | instskip(SKIP_2) | instid1(VALU_DEP_2)
	v_bfe_u32 v3, v5, 16, 1
	v_cmp_o_f32_e32 vcc_lo, v5, v5
	s_mov_b32 s2, 0
	v_add3_u32 v3, v5, v3, 0x7fff
	s_delay_alu instid0(VALU_DEP_1) | instskip(NEXT) | instid1(VALU_DEP_1)
	v_lshrrev_b32_e32 v3, 16, v3
	v_cndmask_b32_e32 v5, 0x7fc0, v3, vcc_lo
	s_branch .LBB417_466
.LBB417_461:
	s_mov_b32 s3, -1
                                        ; implicit-def: $vgpr5
	s_branch .LBB417_472
.LBB417_462:
	s_or_saveexec_b32 s23, s23
	v_mov_b32_e32 v5, s3
	s_xor_b32 exec_lo, exec_lo, s23
	s_cbranch_execz .LBB417_445
.LBB417_463:
	v_cmp_ne_u16_e32 vcc_lo, 0, v3
	v_mov_b32_e32 v5, 0
	s_and_not1_b32 s2, s2, exec_lo
	s_and_b32 s3, vcc_lo, exec_lo
	s_delay_alu instid0(SALU_CYCLE_1)
	s_or_b32 s2, s2, s3
	s_or_b32 exec_lo, exec_lo, s23
	s_and_saveexec_b32 s3, s2
	s_cbranch_execnz .LBB417_446
	s_branch .LBB417_447
.LBB417_464:
	s_mov_b32 s2, -1
                                        ; implicit-def: $vgpr5
	s_branch .LBB417_469
.LBB417_465:
	s_mov_b32 s2, -1
                                        ; implicit-def: $vgpr5
.LBB417_466:
	s_delay_alu instid0(SALU_CYCLE_1)
	s_and_b32 vcc_lo, exec_lo, s2
	s_cbranch_vccz .LBB417_468
; %bb.467:
	global_load_u8 v3, v[1:2], off
	s_waitcnt vmcnt(0)
	v_lshlrev_b32_e32 v3, 24, v3
	s_delay_alu instid0(VALU_DEP_1) | instskip(NEXT) | instid1(VALU_DEP_1)
	v_and_b32_e32 v5, 0x7f000000, v3
	v_clz_i32_u32_e32 v6, v5
	v_cmp_ne_u32_e32 vcc_lo, 0, v5
	v_add_nc_u32_e32 v8, 0x1000000, v5
	s_delay_alu instid0(VALU_DEP_3) | instskip(NEXT) | instid1(VALU_DEP_1)
	v_min_u32_e32 v6, 32, v6
	v_sub_nc_u32_e64 v6, v6, 4 clamp
	s_delay_alu instid0(VALU_DEP_1) | instskip(SKIP_1) | instid1(VALU_DEP_2)
	v_lshlrev_b32_e32 v7, v6, v5
	v_lshlrev_b32_e32 v6, 23, v6
	v_lshrrev_b32_e32 v7, 4, v7
	s_delay_alu instid0(VALU_DEP_1) | instskip(SKIP_1) | instid1(VALU_DEP_2)
	v_sub_nc_u32_e32 v6, v7, v6
	v_ashrrev_i32_e32 v7, 8, v8
	v_add_nc_u32_e32 v6, 0x3c000000, v6
	s_delay_alu instid0(VALU_DEP_1) | instskip(NEXT) | instid1(VALU_DEP_1)
	v_and_or_b32 v6, 0x7f800000, v7, v6
	v_cndmask_b32_e32 v5, 0, v6, vcc_lo
	s_delay_alu instid0(VALU_DEP_1) | instskip(SKIP_1) | instid1(VALU_DEP_2)
	v_and_or_b32 v3, 0x80000000, v3, v5
	v_bfe_u32 v5, v5, 16, 1
	v_cmp_o_f32_e32 vcc_lo, v3, v3
	s_delay_alu instid0(VALU_DEP_2) | instskip(NEXT) | instid1(VALU_DEP_1)
	v_add3_u32 v5, v3, v5, 0x7fff
	v_lshrrev_b32_e32 v5, 16, v5
	s_delay_alu instid0(VALU_DEP_1)
	v_cndmask_b32_e32 v5, 0x7fc0, v5, vcc_lo
.LBB417_468:
	s_mov_b32 s2, 0
.LBB417_469:
	s_delay_alu instid0(SALU_CYCLE_1)
	s_and_not1_b32 vcc_lo, exec_lo, s2
	s_cbranch_vccnz .LBB417_471
; %bb.470:
	global_load_u8 v3, v[1:2], off
	s_waitcnt vmcnt(0)
	v_lshlrev_b32_e32 v5, 25, v3
	v_lshlrev_b16 v3, 8, v3
	s_delay_alu instid0(VALU_DEP_2) | instskip(NEXT) | instid1(VALU_DEP_2)
	v_lshrrev_b32_e32 v6, 4, v5
	v_and_or_b32 v7, 0x7f00, v3, 0.5
	v_bfe_i32 v3, v3, 0, 16
	s_delay_alu instid0(VALU_DEP_3) | instskip(NEXT) | instid1(VALU_DEP_1)
	v_or_b32_e32 v6, 0x70000000, v6
	v_dual_add_f32 v7, -0.5, v7 :: v_dual_mul_f32 v6, 0x7800000, v6
	v_cmp_gt_u32_e32 vcc_lo, 0x8000000, v5
	s_delay_alu instid0(VALU_DEP_2) | instskip(NEXT) | instid1(VALU_DEP_1)
	v_cndmask_b32_e32 v5, v6, v7, vcc_lo
	v_and_or_b32 v3, 0x80000000, v3, v5
	v_bfe_u32 v5, v5, 16, 1
	s_delay_alu instid0(VALU_DEP_2) | instskip(NEXT) | instid1(VALU_DEP_2)
	v_cmp_o_f32_e32 vcc_lo, v3, v3
	v_add3_u32 v5, v3, v5, 0x7fff
	s_delay_alu instid0(VALU_DEP_1) | instskip(NEXT) | instid1(VALU_DEP_1)
	v_lshrrev_b32_e32 v5, 16, v5
	v_cndmask_b32_e32 v5, 0x7fc0, v5, vcc_lo
.LBB417_471:
	s_mov_b32 s3, 0
	s_mov_b32 s2, -1
.LBB417_472:
	s_and_not1_b32 vcc_lo, exec_lo, s3
	s_cbranch_vccnz .LBB417_485
; %bb.473:
	v_cmp_gt_i16_e64 s3, s33, 14
	s_delay_alu instid0(VALU_DEP_1)
	s_and_b32 vcc_lo, exec_lo, s3
	s_cbranch_vccz .LBB417_476
; %bb.474:
	v_cmp_eq_u16_e64 s3, s33, 15
	s_delay_alu instid0(VALU_DEP_1)
	s_and_b32 vcc_lo, exec_lo, s3
	s_cbranch_vccz .LBB417_479
; %bb.475:
	global_load_u16 v5, v[1:2], off
	s_mov_b32 s2, -1
	s_mov_b32 s22, 0
	s_branch .LBB417_480
.LBB417_476:
	s_mov_b32 s3, -1
                                        ; implicit-def: $vgpr5
	s_branch .LBB417_481
.LBB417_477:
	s_or_saveexec_b32 s23, s23
	v_mov_b32_e32 v5, s3
	s_xor_b32 exec_lo, exec_lo, s23
	s_cbranch_execz .LBB417_458
.LBB417_478:
	v_cmp_ne_u16_e32 vcc_lo, 0, v3
	v_mov_b32_e32 v5, 0
	s_and_not1_b32 s2, s2, exec_lo
	s_and_b32 s3, vcc_lo, exec_lo
	s_delay_alu instid0(SALU_CYCLE_1)
	s_or_b32 s2, s2, s3
	s_or_b32 exec_lo, exec_lo, s23
	s_and_saveexec_b32 s3, s2
	s_cbranch_execnz .LBB417_459
	s_branch .LBB417_460
.LBB417_479:
	s_mov_b32 s22, -1
                                        ; implicit-def: $vgpr5
.LBB417_480:
	s_mov_b32 s3, 0
.LBB417_481:
	s_delay_alu instid0(SALU_CYCLE_1)
	s_and_b32 vcc_lo, exec_lo, s3
	s_cbranch_vccz .LBB417_485
; %bb.482:
	v_cmp_eq_u16_e64 s3, s33, 11
	s_delay_alu instid0(VALU_DEP_1)
	s_and_b32 vcc_lo, exec_lo, s3
	s_cbranch_vccz .LBB417_484
; %bb.483:
	global_load_u8 v3, v[1:2], off
	s_mov_b32 s22, 0
	s_mov_b32 s2, -1
	s_waitcnt vmcnt(0)
	v_cmp_ne_u16_e32 vcc_lo, 0, v3
	v_cndmask_b32_e64 v3, 0, 1.0, vcc_lo
	s_delay_alu instid0(VALU_DEP_1)
	v_lshrrev_b32_e32 v5, 16, v3
	s_branch .LBB417_485
.LBB417_484:
	s_mov_b32 s22, -1
                                        ; implicit-def: $vgpr5
.LBB417_485:
	s_branch .LBB417_288
.LBB417_486:
	v_cmp_lt_i16_e64 s2, s33, 5
	s_delay_alu instid0(VALU_DEP_1)
	s_and_b32 vcc_lo, exec_lo, s2
	s_cbranch_vccnz .LBB417_491
; %bb.487:
	v_cmp_lt_i16_e64 s2, s33, 8
	s_delay_alu instid0(VALU_DEP_1)
	s_and_b32 vcc_lo, exec_lo, s2
	s_cbranch_vccnz .LBB417_492
; %bb.488:
	;; [unrolled: 5-line block ×3, first 2 shown]
	v_cmp_gt_i16_e64 s2, s33, 9
	s_delay_alu instid0(VALU_DEP_1)
	s_and_b32 vcc_lo, exec_lo, s2
	s_cbranch_vccz .LBB417_494
; %bb.490:
	global_load_b64 v[5:6], v[1:2], off
	s_mov_b32 s2, 0
	s_waitcnt vmcnt(0)
	v_cvt_f32_f64_e32 v3, v[5:6]
	s_delay_alu instid0(VALU_DEP_1) | instskip(SKIP_1) | instid1(VALU_DEP_2)
	v_bfe_u32 v5, v3, 16, 1
	v_cmp_o_f32_e32 vcc_lo, v3, v3
	v_add3_u32 v5, v3, v5, 0x7fff
	s_delay_alu instid0(VALU_DEP_1) | instskip(NEXT) | instid1(VALU_DEP_1)
	v_lshrrev_b32_e32 v5, 16, v5
	v_cndmask_b32_e32 v5, 0x7fc0, v5, vcc_lo
	s_branch .LBB417_495
.LBB417_491:
	s_mov_b32 s2, -1
                                        ; implicit-def: $vgpr5
	s_branch .LBB417_513
.LBB417_492:
	s_mov_b32 s2, -1
                                        ; implicit-def: $vgpr5
	s_branch .LBB417_501
.LBB417_493:
	s_mov_b32 s2, -1
                                        ; implicit-def: $vgpr5
	s_branch .LBB417_498
.LBB417_494:
	s_mov_b32 s2, -1
                                        ; implicit-def: $vgpr5
.LBB417_495:
	s_delay_alu instid0(SALU_CYCLE_1)
	s_and_not1_b32 vcc_lo, exec_lo, s2
	s_cbranch_vccnz .LBB417_497
; %bb.496:
	global_load_b32 v3, v[1:2], off
	s_waitcnt vmcnt(0)
	v_bfe_u32 v5, v3, 16, 1
	v_cmp_o_f32_e32 vcc_lo, v3, v3
	s_delay_alu instid0(VALU_DEP_2) | instskip(NEXT) | instid1(VALU_DEP_1)
	v_add3_u32 v5, v3, v5, 0x7fff
	v_lshrrev_b32_e32 v5, 16, v5
	s_delay_alu instid0(VALU_DEP_1)
	v_cndmask_b32_e32 v5, 0x7fc0, v5, vcc_lo
.LBB417_497:
	s_mov_b32 s2, 0
.LBB417_498:
	s_delay_alu instid0(SALU_CYCLE_1)
	s_and_not1_b32 vcc_lo, exec_lo, s2
	s_cbranch_vccnz .LBB417_500
; %bb.499:
	global_load_b32 v3, v[1:2], off
	s_waitcnt vmcnt(0)
	v_cvt_f32_f16_e32 v5, v3
	v_cmp_o_f16_e32 vcc_lo, v3, v3
	s_delay_alu instid0(VALU_DEP_2) | instskip(NEXT) | instid1(VALU_DEP_1)
	v_bfe_u32 v6, v5, 16, 1
	v_add3_u32 v5, v5, v6, 0x7fff
	s_delay_alu instid0(VALU_DEP_1) | instskip(NEXT) | instid1(VALU_DEP_1)
	v_lshrrev_b32_e32 v5, 16, v5
	v_cndmask_b32_e32 v5, 0x7fc0, v5, vcc_lo
.LBB417_500:
	s_mov_b32 s2, 0
.LBB417_501:
	s_delay_alu instid0(SALU_CYCLE_1)
	s_and_not1_b32 vcc_lo, exec_lo, s2
	s_cbranch_vccnz .LBB417_512
; %bb.502:
	v_cmp_lt_i16_e64 s2, s33, 6
	s_delay_alu instid0(VALU_DEP_1)
	s_and_b32 vcc_lo, exec_lo, s2
	s_cbranch_vccnz .LBB417_505
; %bb.503:
	v_cmp_gt_i16_e64 s2, s33, 6
	s_delay_alu instid0(VALU_DEP_1)
	s_and_b32 vcc_lo, exec_lo, s2
	s_cbranch_vccz .LBB417_506
; %bb.504:
	global_load_b64 v[5:6], v[1:2], off
	s_mov_b32 s2, 0
	s_waitcnt vmcnt(0)
	v_cvt_f32_f64_e32 v3, v[5:6]
	s_delay_alu instid0(VALU_DEP_1) | instskip(SKIP_1) | instid1(VALU_DEP_2)
	v_bfe_u32 v5, v3, 16, 1
	v_cmp_o_f32_e32 vcc_lo, v3, v3
	v_add3_u32 v5, v3, v5, 0x7fff
	s_delay_alu instid0(VALU_DEP_1) | instskip(NEXT) | instid1(VALU_DEP_1)
	v_lshrrev_b32_e32 v5, 16, v5
	v_cndmask_b32_e32 v5, 0x7fc0, v5, vcc_lo
	s_branch .LBB417_507
.LBB417_505:
	s_mov_b32 s2, -1
                                        ; implicit-def: $vgpr5
	s_branch .LBB417_510
.LBB417_506:
	s_mov_b32 s2, -1
                                        ; implicit-def: $vgpr5
.LBB417_507:
	s_delay_alu instid0(SALU_CYCLE_1)
	s_and_not1_b32 vcc_lo, exec_lo, s2
	s_cbranch_vccnz .LBB417_509
; %bb.508:
	global_load_b32 v3, v[1:2], off
	s_waitcnt vmcnt(0)
	v_bfe_u32 v5, v3, 16, 1
	v_cmp_o_f32_e32 vcc_lo, v3, v3
	s_delay_alu instid0(VALU_DEP_2) | instskip(NEXT) | instid1(VALU_DEP_1)
	v_add3_u32 v5, v3, v5, 0x7fff
	v_lshrrev_b32_e32 v5, 16, v5
	s_delay_alu instid0(VALU_DEP_1)
	v_cndmask_b32_e32 v5, 0x7fc0, v5, vcc_lo
.LBB417_509:
	s_mov_b32 s2, 0
.LBB417_510:
	s_delay_alu instid0(SALU_CYCLE_1)
	s_and_not1_b32 vcc_lo, exec_lo, s2
	s_cbranch_vccnz .LBB417_512
; %bb.511:
	global_load_u16 v3, v[1:2], off
	s_waitcnt vmcnt(0)
	v_cvt_f32_f16_e32 v5, v3
	v_cmp_o_f16_e32 vcc_lo, v3, v3
	s_delay_alu instid0(VALU_DEP_2) | instskip(NEXT) | instid1(VALU_DEP_1)
	v_bfe_u32 v6, v5, 16, 1
	v_add3_u32 v5, v5, v6, 0x7fff
	s_delay_alu instid0(VALU_DEP_1) | instskip(NEXT) | instid1(VALU_DEP_1)
	v_lshrrev_b32_e32 v5, 16, v5
	v_cndmask_b32_e32 v5, 0x7fc0, v5, vcc_lo
.LBB417_512:
	s_mov_b32 s2, 0
.LBB417_513:
	s_delay_alu instid0(SALU_CYCLE_1)
	s_and_not1_b32 vcc_lo, exec_lo, s2
	s_cbranch_vccnz .LBB417_533
; %bb.514:
	v_cmp_lt_i16_e64 s2, s33, 2
	s_delay_alu instid0(VALU_DEP_1)
	s_and_b32 vcc_lo, exec_lo, s2
	s_cbranch_vccnz .LBB417_518
; %bb.515:
	v_cmp_lt_i16_e64 s2, s33, 3
	s_delay_alu instid0(VALU_DEP_1)
	s_and_b32 vcc_lo, exec_lo, s2
	s_cbranch_vccnz .LBB417_519
; %bb.516:
	v_cmp_gt_i16_e64 s2, s33, 3
	s_delay_alu instid0(VALU_DEP_1)
	s_and_b32 vcc_lo, exec_lo, s2
	s_cbranch_vccz .LBB417_520
; %bb.517:
	global_load_b64 v[5:6], v[1:2], off
	s_mov_b32 s2, 0
	s_waitcnt vmcnt(0)
	v_xor_b32_e32 v3, v5, v6
	v_cls_i32_e32 v7, v6
	s_delay_alu instid0(VALU_DEP_2) | instskip(NEXT) | instid1(VALU_DEP_2)
	v_ashrrev_i32_e32 v3, 31, v3
	v_add_nc_u32_e32 v7, -1, v7
	s_delay_alu instid0(VALU_DEP_2) | instskip(NEXT) | instid1(VALU_DEP_1)
	v_add_nc_u32_e32 v3, 32, v3
	v_min_u32_e32 v3, v7, v3
	s_delay_alu instid0(VALU_DEP_1) | instskip(SKIP_1) | instid1(VALU_DEP_2)
	v_lshlrev_b64 v[5:6], v3, v[5:6]
	v_sub_nc_u32_e32 v3, 32, v3
	v_min_u32_e32 v5, 1, v5
	s_delay_alu instid0(VALU_DEP_1) | instskip(NEXT) | instid1(VALU_DEP_1)
	v_or_b32_e32 v5, v6, v5
	v_cvt_f32_i32_e32 v5, v5
	s_delay_alu instid0(VALU_DEP_1) | instskip(NEXT) | instid1(VALU_DEP_1)
	v_ldexp_f32 v3, v5, v3
	v_bfe_u32 v5, v3, 16, 1
	s_delay_alu instid0(VALU_DEP_1) | instskip(NEXT) | instid1(VALU_DEP_1)
	v_add3_u32 v3, v3, v5, 0x7fff
	v_lshrrev_b32_e32 v5, 16, v3
	s_branch .LBB417_521
.LBB417_518:
	s_mov_b32 s2, -1
                                        ; implicit-def: $vgpr5
	s_branch .LBB417_527
.LBB417_519:
	s_mov_b32 s2, -1
                                        ; implicit-def: $vgpr5
	s_branch .LBB417_524
.LBB417_520:
	s_mov_b32 s2, -1
                                        ; implicit-def: $vgpr5
.LBB417_521:
	s_delay_alu instid0(SALU_CYCLE_1)
	s_and_not1_b32 vcc_lo, exec_lo, s2
	s_cbranch_vccnz .LBB417_523
; %bb.522:
	global_load_b32 v3, v[1:2], off
	s_waitcnt vmcnt(0)
	v_cvt_f32_i32_e32 v3, v3
	s_delay_alu instid0(VALU_DEP_1) | instskip(NEXT) | instid1(VALU_DEP_1)
	v_bfe_u32 v5, v3, 16, 1
	v_add3_u32 v3, v3, v5, 0x7fff
	s_delay_alu instid0(VALU_DEP_1)
	v_lshrrev_b32_e32 v5, 16, v3
.LBB417_523:
	s_mov_b32 s2, 0
.LBB417_524:
	s_delay_alu instid0(SALU_CYCLE_1)
	s_and_not1_b32 vcc_lo, exec_lo, s2
	s_cbranch_vccnz .LBB417_526
; %bb.525:
	global_load_i16 v3, v[1:2], off
	s_waitcnt vmcnt(0)
	v_cvt_f32_i32_e32 v3, v3
	s_delay_alu instid0(VALU_DEP_1) | instskip(NEXT) | instid1(VALU_DEP_1)
	v_bfe_u32 v5, v3, 16, 1
	v_add3_u32 v3, v3, v5, 0x7fff
	s_delay_alu instid0(VALU_DEP_1)
	v_lshrrev_b32_e32 v5, 16, v3
.LBB417_526:
	s_mov_b32 s2, 0
.LBB417_527:
	s_delay_alu instid0(SALU_CYCLE_1)
	s_and_not1_b32 vcc_lo, exec_lo, s2
	s_cbranch_vccnz .LBB417_533
; %bb.528:
	v_cmp_gt_i16_e64 s2, s33, 0
	s_delay_alu instid0(VALU_DEP_1)
	s_and_b32 vcc_lo, exec_lo, s2
	s_mov_b32 s2, 0
	s_cbranch_vccz .LBB417_530
; %bb.529:
	global_load_i8 v3, v[1:2], off
	s_waitcnt vmcnt(0)
	v_cvt_f32_i32_e32 v3, v3
	s_delay_alu instid0(VALU_DEP_1) | instskip(NEXT) | instid1(VALU_DEP_1)
	v_bfe_u32 v5, v3, 16, 1
	v_add3_u32 v3, v3, v5, 0x7fff
	s_delay_alu instid0(VALU_DEP_1)
	v_lshrrev_b32_e32 v5, 16, v3
	s_branch .LBB417_531
.LBB417_530:
	s_mov_b32 s2, -1
                                        ; implicit-def: $vgpr5
.LBB417_531:
	s_delay_alu instid0(SALU_CYCLE_1)
	s_and_not1_b32 vcc_lo, exec_lo, s2
	s_cbranch_vccnz .LBB417_533
; %bb.532:
	global_load_u8 v1, v[1:2], off
	s_waitcnt vmcnt(0)
	v_cvt_f32_ubyte0_e32 v1, v1
	s_delay_alu instid0(VALU_DEP_1) | instskip(NEXT) | instid1(VALU_DEP_1)
	v_bfe_u32 v2, v1, 16, 1
	v_add3_u32 v1, v1, v2, 0x7fff
	s_delay_alu instid0(VALU_DEP_1)
	v_lshrrev_b32_e32 v5, 16, v1
.LBB417_533:
	s_branch .LBB417_289
.LBB417_534:
	s_mov_b32 s3, 0
	s_mov_b32 s2, s38
.LBB417_535:
                                        ; implicit-def: $vgpr4
.LBB417_536:
	s_and_not1_b32 s23, s38, exec_lo
	s_and_b32 s2, s2, exec_lo
	s_and_not1_b32 s41, s39, exec_lo
	s_and_b32 s22, s22, exec_lo
	s_or_b32 s42, s23, s2
	s_or_b32 s41, s41, s22
	s_or_not1_b32 s2, s3, exec_lo
.LBB417_537:
	s_or_b32 exec_lo, exec_lo, s43
	s_mov_b32 s3, 0
	s_mov_b32 s23, 0
	;; [unrolled: 1-line block ×3, first 2 shown]
                                        ; implicit-def: $vgpr1_vgpr2
                                        ; implicit-def: $vgpr0
                                        ; implicit-def: $vgpr5
	s_and_saveexec_b32 s43, s2
	s_cbranch_execz .LBB417_909
; %bb.538:
	s_mov_b32 s46, -1
	s_mov_b32 s22, s41
	s_mov_b32 s23, s42
	s_mov_b32 s44, exec_lo
	v_cmpx_gt_i32_e64 s35, v4
	s_cbranch_execz .LBB417_810
; %bb.539:
	s_and_not1_b32 vcc_lo, exec_lo, s27
	s_cbranch_vccnz .LBB417_544
; %bb.540:
	v_dual_mov_b32 v0, 0 :: v_dual_mov_b32 v1, 0
	s_and_not1_b32 vcc_lo, exec_lo, s37
	s_mov_b32 s45, 0
	s_cbranch_vccnz .LBB417_549
; %bb.541:
	v_mov_b32_e32 v0, 0
	s_add_i32 s47, s36, 1
	s_cmp_eq_u32 s25, 2
	s_mov_b32 s46, 0
	s_cbranch_scc1 .LBB417_545
; %bb.542:
	v_dual_mov_b32 v1, 0 :: v_dual_mov_b32 v0, 0
	v_mov_b32_e32 v2, v4
	s_and_b32 s46, s47, 28
	s_mov_b32 s48, 0
	s_mov_b64 s[2:3], s[20:21]
	s_mov_b64 s[22:23], s[16:17]
.LBB417_543:                            ; =>This Inner Loop Header: Depth=1
	s_clause 0x1
	s_load_b256 s[52:59], s[22:23], 0x4
	s_load_b128 s[68:71], s[22:23], 0x24
	s_load_b256 s[60:67], s[2:3], 0x0
	s_add_u32 s22, s22, 48
	s_addc_u32 s23, s23, 0
	s_add_i32 s48, s48, 4
	s_add_u32 s2, s2, 32
	s_addc_u32 s3, s3, 0
	s_cmp_eq_u32 s46, s48
	s_waitcnt vmcnt(0) lgkmcnt(0)
	v_mul_hi_u32 v3, s53, v2
	s_delay_alu instid0(VALU_DEP_1) | instskip(NEXT) | instid1(VALU_DEP_1)
	v_add_nc_u32_e32 v3, v2, v3
	v_lshrrev_b32_e32 v3, s54, v3
	s_delay_alu instid0(VALU_DEP_1) | instskip(SKIP_1) | instid1(VALU_DEP_2)
	v_mul_hi_u32 v5, s56, v3
	v_mul_lo_u32 v7, v3, s52
	v_add_nc_u32_e32 v5, v3, v5
	s_delay_alu instid0(VALU_DEP_2) | instskip(NEXT) | instid1(VALU_DEP_2)
	v_sub_nc_u32_e32 v2, v2, v7
	v_lshrrev_b32_e32 v5, s57, v5
	s_delay_alu instid0(VALU_DEP_2) | instskip(SKIP_1) | instid1(VALU_DEP_3)
	v_mul_lo_u32 v7, v2, s60
	v_mul_lo_u32 v9, v2, s61
	v_mul_hi_u32 v6, s59, v5
	s_delay_alu instid0(VALU_DEP_1) | instskip(NEXT) | instid1(VALU_DEP_1)
	v_add_nc_u32_e32 v6, v5, v6
	v_lshrrev_b32_e32 v6, s68, v6
	s_delay_alu instid0(VALU_DEP_1) | instskip(SKIP_1) | instid1(VALU_DEP_2)
	v_mul_hi_u32 v8, s70, v6
	v_mul_lo_u32 v10, v6, s58
	v_add_nc_u32_e32 v2, v6, v8
	v_mul_lo_u32 v8, v5, s55
	s_delay_alu instid0(VALU_DEP_3) | instskip(NEXT) | instid1(VALU_DEP_3)
	v_sub_nc_u32_e32 v5, v5, v10
	v_lshrrev_b32_e32 v2, s71, v2
	s_delay_alu instid0(VALU_DEP_2) | instskip(SKIP_2) | instid1(VALU_DEP_4)
	v_mul_lo_u32 v10, v5, s64
	v_mul_lo_u32 v5, v5, s65
	v_sub_nc_u32_e32 v3, v3, v8
	v_mul_lo_u32 v11, v2, s69
	s_delay_alu instid0(VALU_DEP_2) | instskip(SKIP_1) | instid1(VALU_DEP_3)
	v_mul_lo_u32 v8, v3, s62
	v_mul_lo_u32 v3, v3, s63
	v_sub_nc_u32_e32 v6, v6, v11
	s_delay_alu instid0(VALU_DEP_3) | instskip(NEXT) | instid1(VALU_DEP_2)
	v_add3_u32 v0, v7, v0, v8
	v_mul_lo_u32 v11, v6, s66
	v_mul_lo_u32 v6, v6, s67
	v_add3_u32 v1, v9, v1, v3
	s_delay_alu instid0(VALU_DEP_3) | instskip(NEXT) | instid1(VALU_DEP_2)
	v_add3_u32 v0, v10, v0, v11
	v_add3_u32 v1, v5, v1, v6
	s_cbranch_scc0 .LBB417_543
	s_branch .LBB417_546
.LBB417_544:
	s_mov_b32 s45, -1
                                        ; implicit-def: $vgpr0
                                        ; implicit-def: $vgpr1
	s_branch .LBB417_549
.LBB417_545:
	v_dual_mov_b32 v2, v4 :: v_dual_mov_b32 v1, 0
.LBB417_546:
	s_and_b32 s47, s47, 3
	s_delay_alu instid0(SALU_CYCLE_1)
	s_cmp_eq_u32 s47, 0
	s_cbranch_scc1 .LBB417_549
; %bb.547:
	s_lshl_b32 s2, s46, 3
	s_mul_i32 s22, s46, 12
	s_add_u32 s2, s2, s16
	s_addc_u32 s3, s17, 0
	s_add_u32 s2, s2, 0xc4
	s_addc_u32 s3, s3, 0
	;; [unrolled: 2-line block ×3, first 2 shown]
	.p2align	6
.LBB417_548:                            ; =>This Inner Loop Header: Depth=1
	s_clause 0x1
	s_load_b64 s[48:49], s[22:23], 0x4
	s_load_b32 s46, s[22:23], 0xc
	s_load_b64 s[50:51], s[2:3], 0x0
	s_add_u32 s22, s22, 12
	s_addc_u32 s23, s23, 0
	s_add_u32 s2, s2, 8
	s_addc_u32 s3, s3, 0
	s_add_i32 s47, s47, -1
	s_delay_alu instid0(SALU_CYCLE_1) | instskip(SKIP_2) | instid1(VALU_DEP_1)
	s_cmp_lg_u32 s47, 0
	s_waitcnt vmcnt(0) lgkmcnt(0)
	v_mul_hi_u32 v3, s49, v2
	v_add_nc_u32_e32 v3, v2, v3
	s_delay_alu instid0(VALU_DEP_1) | instskip(NEXT) | instid1(VALU_DEP_1)
	v_lshrrev_b32_e32 v3, s46, v3
	v_mul_lo_u32 v5, v3, s48
	s_delay_alu instid0(VALU_DEP_1) | instskip(NEXT) | instid1(VALU_DEP_1)
	v_sub_nc_u32_e32 v2, v2, v5
	v_mad_u64_u32 v[5:6], null, v2, s50, v[0:1]
	v_mad_u64_u32 v[6:7], null, v2, s51, v[1:2]
	v_mov_b32_e32 v2, v3
	s_delay_alu instid0(VALU_DEP_2)
	v_dual_mov_b32 v0, v5 :: v_dual_mov_b32 v1, v6
	s_cbranch_scc1 .LBB417_548
.LBB417_549:
	s_and_not1_b32 vcc_lo, exec_lo, s45
	s_cbranch_vccnz .LBB417_552
; %bb.550:
	v_mul_hi_u32 v0, s13, v4
	s_and_not1_b32 vcc_lo, exec_lo, s34
	s_delay_alu instid0(VALU_DEP_1) | instskip(NEXT) | instid1(VALU_DEP_1)
	v_add_nc_u32_e32 v0, v4, v0
	v_lshrrev_b32_e32 v2, s14, v0
	s_delay_alu instid0(VALU_DEP_1) | instskip(NEXT) | instid1(VALU_DEP_1)
	v_mul_lo_u32 v0, v2, s12
	v_sub_nc_u32_e32 v1, v4, v0
	s_delay_alu instid0(VALU_DEP_1)
	v_mul_lo_u32 v0, v1, s8
	v_mul_lo_u32 v1, v1, s9
	s_cbranch_vccnz .LBB417_552
; %bb.551:
	s_waitcnt vmcnt(0)
	v_mul_hi_u32 v3, s18, v2
	s_delay_alu instid0(VALU_DEP_1) | instskip(NEXT) | instid1(VALU_DEP_1)
	v_add_nc_u32_e32 v3, v2, v3
	v_lshrrev_b32_e32 v3, s19, v3
	s_delay_alu instid0(VALU_DEP_1) | instskip(NEXT) | instid1(VALU_DEP_1)
	v_mul_lo_u32 v3, v3, s15
	v_sub_nc_u32_e32 v7, v2, v3
	s_delay_alu instid0(VALU_DEP_1) | instskip(NEXT) | instid1(VALU_DEP_1)
	v_mad_u64_u32 v[2:3], null, v7, s10, v[0:1]
	v_mad_u64_u32 v[5:6], null, v7, s11, v[1:2]
	s_delay_alu instid0(VALU_DEP_1)
	v_dual_mov_b32 v0, v2 :: v_dual_mov_b32 v1, v5
.LBB417_552:
	v_cmp_lt_i16_e64 s2, s33, 11
	s_delay_alu instid0(VALU_DEP_2) | instskip(NEXT) | instid1(VALU_DEP_1)
	v_add_co_u32 v1, s3, s6, v1
	v_add_co_ci_u32_e64 v2, null, s7, 0, s3
	s_delay_alu instid0(VALU_DEP_3)
	s_and_b32 vcc_lo, exec_lo, s2
	s_mov_b32 s2, 0
	s_cbranch_vccnz .LBB417_559
; %bb.553:
	v_cmp_gt_i16_e64 s2, s33, 25
	s_delay_alu instid0(VALU_DEP_1)
	s_and_b32 vcc_lo, exec_lo, s2
	s_cbranch_vccz .LBB417_560
; %bb.554:
	v_cmp_gt_i16_e64 s2, s33, 28
	s_delay_alu instid0(VALU_DEP_1)
	s_and_b32 vcc_lo, exec_lo, s2
	s_cbranch_vccz .LBB417_561
	;; [unrolled: 5-line block ×4, first 2 shown]
; %bb.557:
	v_cmp_eq_u16_e64 s2, s33, 46
	s_mov_b32 s3, 0
	s_delay_alu instid0(VALU_DEP_1)
	s_and_b32 vcc_lo, exec_lo, s2
	s_cbranch_vccz .LBB417_568
; %bb.558:
	global_load_b32 v5, v[1:2], off
	s_mov_b32 s2, -1
	s_mov_b32 s22, 0
	s_branch .LBB417_570
.LBB417_559:
	s_mov_b32 s3, -1
	s_mov_b32 s22, s41
                                        ; implicit-def: $vgpr5
	s_branch .LBB417_635
.LBB417_560:
	s_mov_b32 s3, -1
	s_mov_b32 s2, 0
	s_mov_b32 s22, s41
                                        ; implicit-def: $vgpr5
	s_branch .LBB417_599
.LBB417_561:
	s_mov_b32 s3, -1
	s_mov_b32 s2, 0
	s_mov_b32 s22, s41
                                        ; implicit-def: $vgpr5
	s_branch .LBB417_580
.LBB417_562:
	s_mov_b32 s3, -1
	s_mov_b32 s2, 0
	s_mov_b32 s22, s41
                                        ; implicit-def: $vgpr5
	s_branch .LBB417_575
.LBB417_563:
	s_or_saveexec_b32 s41, s41
                                        ; implicit-def: $sgpr42
	s_delay_alu instid0(SALU_CYCLE_1)
	s_xor_b32 exec_lo, exec_lo, s41
	s_cbranch_execz .LBB417_374
.LBB417_564:
	v_add_f32_e64 v6, 0x46000000, |v7|
	s_and_not1_b32 s23, s23, exec_lo
	s_mov_b32 s42, 0
	s_delay_alu instid0(VALU_DEP_1) | instskip(NEXT) | instid1(VALU_DEP_1)
	v_and_b32_e32 v6, 0xff, v6
	v_cmp_ne_u32_e32 vcc_lo, 0, v6
	s_and_b32 s44, vcc_lo, exec_lo
	s_delay_alu instid0(SALU_CYCLE_1)
	s_or_b32 s23, s23, s44
	s_or_b32 exec_lo, exec_lo, s41
	v_mov_b32_e32 v8, s42
	s_and_saveexec_b32 s41, s23
	s_cbranch_execnz .LBB417_375
	s_branch .LBB417_376
.LBB417_565:
	s_mov_b32 s3, -1
	s_mov_b32 s2, 0
	s_mov_b32 s22, s41
	s_branch .LBB417_569
.LBB417_566:
	s_or_saveexec_b32 s41, s41
                                        ; implicit-def: $sgpr42
	s_delay_alu instid0(SALU_CYCLE_1)
	s_xor_b32 exec_lo, exec_lo, s41
	s_cbranch_execz .LBB417_387
.LBB417_567:
	v_add_f32_e64 v6, 0x42800000, |v7|
	s_and_not1_b32 s23, s23, exec_lo
	s_mov_b32 s42, 0
	s_delay_alu instid0(VALU_DEP_1) | instskip(NEXT) | instid1(VALU_DEP_1)
	v_and_b32_e32 v6, 0xff, v6
	v_cmp_ne_u32_e32 vcc_lo, 0, v6
	s_and_b32 s44, vcc_lo, exec_lo
	s_delay_alu instid0(SALU_CYCLE_1)
	s_or_b32 s23, s23, s44
	s_or_b32 exec_lo, exec_lo, s41
	v_mov_b32_e32 v8, s42
	s_and_saveexec_b32 s41, s23
	s_cbranch_execnz .LBB417_388
	s_branch .LBB417_389
.LBB417_568:
	s_mov_b32 s22, -1
	s_mov_b32 s2, 0
.LBB417_569:
                                        ; implicit-def: $vgpr5
.LBB417_570:
	s_and_b32 vcc_lo, exec_lo, s3
	s_cbranch_vccz .LBB417_574
; %bb.571:
	v_cmp_eq_u16_e64 s3, s33, 44
	s_delay_alu instid0(VALU_DEP_1)
	s_and_b32 vcc_lo, exec_lo, s3
	s_cbranch_vccz .LBB417_573
; %bb.572:
	global_load_u8 v3, v[1:2], off
	s_mov_b32 s22, 0
	s_mov_b32 s2, -1
	s_waitcnt vmcnt(0)
	v_lshlrev_b32_e32 v5, 23, v3
	v_cmp_ne_u32_e32 vcc_lo, 0xff, v3
	s_delay_alu instid0(VALU_DEP_2) | instskip(SKIP_1) | instid1(VALU_DEP_2)
	v_cndmask_b32_e32 v5, 0x7f800001, v5, vcc_lo
	v_cmp_ne_u32_e32 vcc_lo, 0, v3
	v_cndmask_b32_e32 v3, 0x400000, v5, vcc_lo
	s_delay_alu instid0(VALU_DEP_1) | instskip(SKIP_1) | instid1(VALU_DEP_2)
	v_add_nc_u32_e32 v5, 0x7fff, v3
	v_cmp_o_f32_e32 vcc_lo, v3, v3
	v_lshrrev_b32_e32 v5, 16, v5
	s_delay_alu instid0(VALU_DEP_1)
	v_cndmask_b32_e32 v5, 0x7fc0, v5, vcc_lo
	s_branch .LBB417_574
.LBB417_573:
	s_mov_b32 s22, -1
                                        ; implicit-def: $vgpr5
.LBB417_574:
	s_mov_b32 s3, 0
.LBB417_575:
	s_delay_alu instid0(SALU_CYCLE_1)
	s_and_b32 vcc_lo, exec_lo, s3
	s_cbranch_vccz .LBB417_579
; %bb.576:
	v_cmp_eq_u16_e64 s3, s33, 29
	s_delay_alu instid0(VALU_DEP_1)
	s_and_b32 vcc_lo, exec_lo, s3
	s_cbranch_vccz .LBB417_578
; %bb.577:
	global_load_b64 v[5:6], v[1:2], off
	s_mov_b32 s2, -1
	s_mov_b32 s22, 0
	s_mov_b32 s3, 0
	s_waitcnt vmcnt(0)
	v_clz_i32_u32_e32 v3, v6
	s_delay_alu instid0(VALU_DEP_1) | instskip(NEXT) | instid1(VALU_DEP_1)
	v_min_u32_e32 v3, 32, v3
	v_lshlrev_b64 v[5:6], v3, v[5:6]
	v_sub_nc_u32_e32 v3, 32, v3
	s_delay_alu instid0(VALU_DEP_2) | instskip(NEXT) | instid1(VALU_DEP_1)
	v_min_u32_e32 v5, 1, v5
	v_or_b32_e32 v5, v6, v5
	s_delay_alu instid0(VALU_DEP_1) | instskip(NEXT) | instid1(VALU_DEP_1)
	v_cvt_f32_u32_e32 v5, v5
	v_ldexp_f32 v3, v5, v3
	s_delay_alu instid0(VALU_DEP_1) | instskip(NEXT) | instid1(VALU_DEP_1)
	v_bfe_u32 v5, v3, 16, 1
	v_add3_u32 v3, v3, v5, 0x7fff
	s_delay_alu instid0(VALU_DEP_1)
	v_lshrrev_b32_e32 v5, 16, v3
	s_branch .LBB417_580
.LBB417_578:
	s_mov_b32 s22, -1
                                        ; implicit-def: $vgpr5
.LBB417_579:
	s_mov_b32 s3, 0
.LBB417_580:
	s_delay_alu instid0(SALU_CYCLE_1)
	s_and_b32 vcc_lo, exec_lo, s3
	s_cbranch_vccz .LBB417_598
; %bb.581:
	v_cmp_lt_i16_e64 s2, s33, 27
	s_delay_alu instid0(VALU_DEP_1)
	s_and_b32 vcc_lo, exec_lo, s2
	s_cbranch_vccnz .LBB417_584
; %bb.582:
	v_cmp_gt_i16_e64 s2, s33, 27
	s_delay_alu instid0(VALU_DEP_1)
	s_and_b32 vcc_lo, exec_lo, s2
	s_cbranch_vccz .LBB417_585
; %bb.583:
	global_load_b32 v3, v[1:2], off
	s_mov_b32 s2, 0
	s_waitcnt vmcnt(0)
	v_cvt_f32_u32_e32 v3, v3
	s_delay_alu instid0(VALU_DEP_1) | instskip(NEXT) | instid1(VALU_DEP_1)
	v_bfe_u32 v5, v3, 16, 1
	v_add3_u32 v3, v3, v5, 0x7fff
	s_delay_alu instid0(VALU_DEP_1)
	v_lshrrev_b32_e32 v5, 16, v3
	s_branch .LBB417_586
.LBB417_584:
	s_mov_b32 s2, -1
                                        ; implicit-def: $vgpr5
	s_branch .LBB417_589
.LBB417_585:
	s_mov_b32 s2, -1
                                        ; implicit-def: $vgpr5
.LBB417_586:
	s_delay_alu instid0(SALU_CYCLE_1)
	s_and_not1_b32 vcc_lo, exec_lo, s2
	s_cbranch_vccnz .LBB417_588
; %bb.587:
	global_load_u16 v3, v[1:2], off
	s_waitcnt vmcnt(0)
	v_cvt_f32_u32_e32 v3, v3
	s_delay_alu instid0(VALU_DEP_1) | instskip(NEXT) | instid1(VALU_DEP_1)
	v_bfe_u32 v5, v3, 16, 1
	v_add3_u32 v3, v3, v5, 0x7fff
	s_delay_alu instid0(VALU_DEP_1)
	v_lshrrev_b32_e32 v5, 16, v3
.LBB417_588:
	s_mov_b32 s2, 0
.LBB417_589:
	s_delay_alu instid0(SALU_CYCLE_1)
	s_and_not1_b32 vcc_lo, exec_lo, s2
	s_cbranch_vccnz .LBB417_597
; %bb.590:
	global_load_u8 v3, v[1:2], off
	s_mov_b32 s2, 0
	s_mov_b32 s23, exec_lo
                                        ; implicit-def: $sgpr3
	s_waitcnt vmcnt(0)
	v_cmpx_lt_i16_e32 0x7f, v3
	s_xor_b32 s23, exec_lo, s23
	s_cbranch_execz .LBB417_611
; %bb.591:
	s_mov_b32 s2, -1
	s_mov_b32 s45, exec_lo
                                        ; implicit-def: $sgpr3
	v_cmpx_eq_u16_e32 0x80, v3
; %bb.592:
	s_mov_b32 s3, 0x7f800001
	s_xor_b32 s2, exec_lo, -1
; %bb.593:
	s_or_b32 exec_lo, exec_lo, s45
	s_delay_alu instid0(SALU_CYCLE_1)
	s_and_b32 s2, s2, exec_lo
	s_or_saveexec_b32 s23, s23
	v_mov_b32_e32 v5, s3
	s_xor_b32 exec_lo, exec_lo, s23
	s_cbranch_execnz .LBB417_612
.LBB417_594:
	s_or_b32 exec_lo, exec_lo, s23
	s_and_saveexec_b32 s3, s2
	s_cbranch_execz .LBB417_596
.LBB417_595:
	v_and_b32_e32 v5, 0xffff, v3
	v_lshlrev_b32_e32 v3, 24, v3
	s_delay_alu instid0(VALU_DEP_2) | instskip(NEXT) | instid1(VALU_DEP_2)
	v_and_b32_e32 v6, 7, v5
	v_and_b32_e32 v3, 0x80000000, v3
	s_delay_alu instid0(VALU_DEP_2) | instskip(NEXT) | instid1(VALU_DEP_1)
	v_clz_i32_u32_e32 v7, v6
	v_min_u32_e32 v7, 32, v7
	s_delay_alu instid0(VALU_DEP_1) | instskip(SKIP_1) | instid1(VALU_DEP_2)
	v_subrev_nc_u32_e32 v8, 28, v7
	v_sub_nc_u32_e32 v7, 29, v7
	v_lshlrev_b32_e32 v8, v8, v5
	v_bfe_u32 v5, v5, 3, 4
	s_delay_alu instid0(VALU_DEP_2) | instskip(NEXT) | instid1(VALU_DEP_2)
	v_and_b32_e32 v8, 7, v8
	v_cmp_eq_u32_e32 vcc_lo, 0, v5
	s_delay_alu instid0(VALU_DEP_2) | instskip(NEXT) | instid1(VALU_DEP_1)
	v_dual_cndmask_b32 v5, v5, v7 :: v_dual_cndmask_b32 v6, v6, v8
	v_lshl_add_u32 v5, v5, 23, 0x3b800000
	s_delay_alu instid0(VALU_DEP_2) | instskip(NEXT) | instid1(VALU_DEP_1)
	v_lshlrev_b32_e32 v6, 20, v6
	v_or3_b32 v5, v3, v5, v6
.LBB417_596:
	s_or_b32 exec_lo, exec_lo, s3
	s_delay_alu instid0(VALU_DEP_1) | instskip(SKIP_1) | instid1(VALU_DEP_2)
	v_bfe_u32 v3, v5, 16, 1
	v_cmp_o_f32_e32 vcc_lo, v5, v5
	v_add3_u32 v3, v5, v3, 0x7fff
	s_delay_alu instid0(VALU_DEP_1) | instskip(NEXT) | instid1(VALU_DEP_1)
	v_lshrrev_b32_e32 v3, 16, v3
	v_cndmask_b32_e32 v5, 0x7fc0, v3, vcc_lo
.LBB417_597:
	s_mov_b32 s2, -1
.LBB417_598:
	s_mov_b32 s3, 0
.LBB417_599:
	s_delay_alu instid0(SALU_CYCLE_1)
	s_and_b32 vcc_lo, exec_lo, s3
	s_cbranch_vccz .LBB417_634
; %bb.600:
	v_cmp_gt_i16_e64 s3, s33, 22
	s_delay_alu instid0(VALU_DEP_1)
	s_and_b32 vcc_lo, exec_lo, s3
	s_cbranch_vccz .LBB417_610
; %bb.601:
	v_cmp_lt_i16_e64 s2, s33, 24
	s_delay_alu instid0(VALU_DEP_1)
	s_and_b32 vcc_lo, exec_lo, s2
	s_cbranch_vccnz .LBB417_613
; %bb.602:
	v_cmp_gt_i16_e64 s2, s33, 24
	s_delay_alu instid0(VALU_DEP_1)
	s_and_b32 vcc_lo, exec_lo, s2
	s_cbranch_vccz .LBB417_614
; %bb.603:
	global_load_u8 v3, v[1:2], off
	s_mov_b32 s2, 0
	s_mov_b32 s23, exec_lo
                                        ; implicit-def: $sgpr3
	s_waitcnt vmcnt(0)
	v_cmpx_lt_i16_e32 0x7f, v3
	s_xor_b32 s23, exec_lo, s23
	s_cbranch_execz .LBB417_626
; %bb.604:
	s_mov_b32 s2, -1
	s_mov_b32 s45, exec_lo
                                        ; implicit-def: $sgpr3
	v_cmpx_eq_u16_e32 0x80, v3
; %bb.605:
	s_mov_b32 s3, 0x7f800001
	s_xor_b32 s2, exec_lo, -1
; %bb.606:
	s_or_b32 exec_lo, exec_lo, s45
	s_delay_alu instid0(SALU_CYCLE_1)
	s_and_b32 s2, s2, exec_lo
	s_or_saveexec_b32 s23, s23
	v_mov_b32_e32 v5, s3
	s_xor_b32 exec_lo, exec_lo, s23
	s_cbranch_execnz .LBB417_627
.LBB417_607:
	s_or_b32 exec_lo, exec_lo, s23
	s_and_saveexec_b32 s3, s2
	s_cbranch_execz .LBB417_609
.LBB417_608:
	v_and_b32_e32 v5, 0xffff, v3
	v_lshlrev_b32_e32 v3, 24, v3
	s_delay_alu instid0(VALU_DEP_2) | instskip(NEXT) | instid1(VALU_DEP_2)
	v_and_b32_e32 v6, 3, v5
	v_and_b32_e32 v3, 0x80000000, v3
	s_delay_alu instid0(VALU_DEP_2) | instskip(NEXT) | instid1(VALU_DEP_1)
	v_clz_i32_u32_e32 v7, v6
	v_min_u32_e32 v7, 32, v7
	s_delay_alu instid0(VALU_DEP_1) | instskip(SKIP_1) | instid1(VALU_DEP_2)
	v_subrev_nc_u32_e32 v8, 29, v7
	v_sub_nc_u32_e32 v7, 30, v7
	v_lshlrev_b32_e32 v8, v8, v5
	v_bfe_u32 v5, v5, 2, 5
	s_delay_alu instid0(VALU_DEP_2) | instskip(NEXT) | instid1(VALU_DEP_2)
	v_and_b32_e32 v8, 3, v8
	v_cmp_eq_u32_e32 vcc_lo, 0, v5
	s_delay_alu instid0(VALU_DEP_2) | instskip(NEXT) | instid1(VALU_DEP_1)
	v_dual_cndmask_b32 v5, v5, v7 :: v_dual_cndmask_b32 v6, v6, v8
	v_lshl_add_u32 v5, v5, 23, 0x37800000
	s_delay_alu instid0(VALU_DEP_2) | instskip(NEXT) | instid1(VALU_DEP_1)
	v_lshlrev_b32_e32 v6, 21, v6
	v_or3_b32 v5, v3, v5, v6
.LBB417_609:
	s_or_b32 exec_lo, exec_lo, s3
	s_delay_alu instid0(VALU_DEP_1) | instskip(SKIP_2) | instid1(VALU_DEP_2)
	v_bfe_u32 v3, v5, 16, 1
	v_cmp_o_f32_e32 vcc_lo, v5, v5
	s_mov_b32 s2, 0
	v_add3_u32 v3, v5, v3, 0x7fff
	s_delay_alu instid0(VALU_DEP_1) | instskip(NEXT) | instid1(VALU_DEP_1)
	v_lshrrev_b32_e32 v3, 16, v3
	v_cndmask_b32_e32 v5, 0x7fc0, v3, vcc_lo
	s_branch .LBB417_615
.LBB417_610:
	s_mov_b32 s3, -1
                                        ; implicit-def: $vgpr5
	s_branch .LBB417_621
.LBB417_611:
	s_or_saveexec_b32 s23, s23
	v_mov_b32_e32 v5, s3
	s_xor_b32 exec_lo, exec_lo, s23
	s_cbranch_execz .LBB417_594
.LBB417_612:
	v_cmp_ne_u16_e32 vcc_lo, 0, v3
	v_mov_b32_e32 v5, 0
	s_and_not1_b32 s2, s2, exec_lo
	s_and_b32 s3, vcc_lo, exec_lo
	s_delay_alu instid0(SALU_CYCLE_1)
	s_or_b32 s2, s2, s3
	s_or_b32 exec_lo, exec_lo, s23
	s_and_saveexec_b32 s3, s2
	s_cbranch_execnz .LBB417_595
	s_branch .LBB417_596
.LBB417_613:
	s_mov_b32 s2, -1
                                        ; implicit-def: $vgpr5
	s_branch .LBB417_618
.LBB417_614:
	s_mov_b32 s2, -1
                                        ; implicit-def: $vgpr5
.LBB417_615:
	s_delay_alu instid0(SALU_CYCLE_1)
	s_and_b32 vcc_lo, exec_lo, s2
	s_cbranch_vccz .LBB417_617
; %bb.616:
	global_load_u8 v3, v[1:2], off
	s_waitcnt vmcnt(0)
	v_lshlrev_b32_e32 v3, 24, v3
	s_delay_alu instid0(VALU_DEP_1) | instskip(NEXT) | instid1(VALU_DEP_1)
	v_and_b32_e32 v5, 0x7f000000, v3
	v_clz_i32_u32_e32 v6, v5
	v_cmp_ne_u32_e32 vcc_lo, 0, v5
	v_add_nc_u32_e32 v8, 0x1000000, v5
	s_delay_alu instid0(VALU_DEP_3) | instskip(NEXT) | instid1(VALU_DEP_1)
	v_min_u32_e32 v6, 32, v6
	v_sub_nc_u32_e64 v6, v6, 4 clamp
	s_delay_alu instid0(VALU_DEP_1) | instskip(SKIP_1) | instid1(VALU_DEP_2)
	v_lshlrev_b32_e32 v7, v6, v5
	v_lshlrev_b32_e32 v6, 23, v6
	v_lshrrev_b32_e32 v7, 4, v7
	s_delay_alu instid0(VALU_DEP_1) | instskip(SKIP_1) | instid1(VALU_DEP_2)
	v_sub_nc_u32_e32 v6, v7, v6
	v_ashrrev_i32_e32 v7, 8, v8
	v_add_nc_u32_e32 v6, 0x3c000000, v6
	s_delay_alu instid0(VALU_DEP_1) | instskip(NEXT) | instid1(VALU_DEP_1)
	v_and_or_b32 v6, 0x7f800000, v7, v6
	v_cndmask_b32_e32 v5, 0, v6, vcc_lo
	s_delay_alu instid0(VALU_DEP_1) | instskip(SKIP_1) | instid1(VALU_DEP_2)
	v_and_or_b32 v3, 0x80000000, v3, v5
	v_bfe_u32 v5, v5, 16, 1
	v_cmp_o_f32_e32 vcc_lo, v3, v3
	s_delay_alu instid0(VALU_DEP_2) | instskip(NEXT) | instid1(VALU_DEP_1)
	v_add3_u32 v5, v3, v5, 0x7fff
	v_lshrrev_b32_e32 v5, 16, v5
	s_delay_alu instid0(VALU_DEP_1)
	v_cndmask_b32_e32 v5, 0x7fc0, v5, vcc_lo
.LBB417_617:
	s_mov_b32 s2, 0
.LBB417_618:
	s_delay_alu instid0(SALU_CYCLE_1)
	s_and_not1_b32 vcc_lo, exec_lo, s2
	s_cbranch_vccnz .LBB417_620
; %bb.619:
	global_load_u8 v3, v[1:2], off
	s_waitcnt vmcnt(0)
	v_lshlrev_b32_e32 v5, 25, v3
	v_lshlrev_b16 v3, 8, v3
	s_delay_alu instid0(VALU_DEP_2) | instskip(NEXT) | instid1(VALU_DEP_2)
	v_lshrrev_b32_e32 v6, 4, v5
	v_and_or_b32 v7, 0x7f00, v3, 0.5
	v_bfe_i32 v3, v3, 0, 16
	s_delay_alu instid0(VALU_DEP_3) | instskip(NEXT) | instid1(VALU_DEP_1)
	v_or_b32_e32 v6, 0x70000000, v6
	v_dual_add_f32 v7, -0.5, v7 :: v_dual_mul_f32 v6, 0x7800000, v6
	v_cmp_gt_u32_e32 vcc_lo, 0x8000000, v5
	s_delay_alu instid0(VALU_DEP_2) | instskip(NEXT) | instid1(VALU_DEP_1)
	v_cndmask_b32_e32 v5, v6, v7, vcc_lo
	v_and_or_b32 v3, 0x80000000, v3, v5
	v_bfe_u32 v5, v5, 16, 1
	s_delay_alu instid0(VALU_DEP_2) | instskip(NEXT) | instid1(VALU_DEP_2)
	v_cmp_o_f32_e32 vcc_lo, v3, v3
	v_add3_u32 v5, v3, v5, 0x7fff
	s_delay_alu instid0(VALU_DEP_1) | instskip(NEXT) | instid1(VALU_DEP_1)
	v_lshrrev_b32_e32 v5, 16, v5
	v_cndmask_b32_e32 v5, 0x7fc0, v5, vcc_lo
.LBB417_620:
	s_mov_b32 s3, 0
	s_mov_b32 s2, -1
.LBB417_621:
	s_and_not1_b32 vcc_lo, exec_lo, s3
	s_cbranch_vccnz .LBB417_634
; %bb.622:
	v_cmp_gt_i16_e64 s3, s33, 14
	s_delay_alu instid0(VALU_DEP_1)
	s_and_b32 vcc_lo, exec_lo, s3
	s_cbranch_vccz .LBB417_625
; %bb.623:
	v_cmp_eq_u16_e64 s3, s33, 15
	s_delay_alu instid0(VALU_DEP_1)
	s_and_b32 vcc_lo, exec_lo, s3
	s_cbranch_vccz .LBB417_628
; %bb.624:
	global_load_u16 v5, v[1:2], off
	s_mov_b32 s2, -1
	s_mov_b32 s22, 0
	s_branch .LBB417_629
.LBB417_625:
	s_mov_b32 s3, -1
                                        ; implicit-def: $vgpr5
	s_branch .LBB417_630
.LBB417_626:
	s_or_saveexec_b32 s23, s23
	v_mov_b32_e32 v5, s3
	s_xor_b32 exec_lo, exec_lo, s23
	s_cbranch_execz .LBB417_607
.LBB417_627:
	v_cmp_ne_u16_e32 vcc_lo, 0, v3
	v_mov_b32_e32 v5, 0
	s_and_not1_b32 s2, s2, exec_lo
	s_and_b32 s3, vcc_lo, exec_lo
	s_delay_alu instid0(SALU_CYCLE_1)
	s_or_b32 s2, s2, s3
	s_or_b32 exec_lo, exec_lo, s23
	s_and_saveexec_b32 s3, s2
	s_cbranch_execnz .LBB417_608
	s_branch .LBB417_609
.LBB417_628:
	s_mov_b32 s22, -1
                                        ; implicit-def: $vgpr5
.LBB417_629:
	s_mov_b32 s3, 0
.LBB417_630:
	s_delay_alu instid0(SALU_CYCLE_1)
	s_and_b32 vcc_lo, exec_lo, s3
	s_cbranch_vccz .LBB417_634
; %bb.631:
	v_cmp_eq_u16_e64 s3, s33, 11
	s_delay_alu instid0(VALU_DEP_1)
	s_and_b32 vcc_lo, exec_lo, s3
	s_cbranch_vccz .LBB417_633
; %bb.632:
	global_load_u8 v3, v[1:2], off
	s_mov_b32 s22, 0
	s_mov_b32 s2, -1
	s_waitcnt vmcnt(0)
	v_cmp_ne_u16_e32 vcc_lo, 0, v3
	v_cndmask_b32_e64 v3, 0, 1.0, vcc_lo
	s_delay_alu instid0(VALU_DEP_1)
	v_lshrrev_b32_e32 v5, 16, v3
	s_branch .LBB417_634
.LBB417_633:
	s_mov_b32 s22, -1
                                        ; implicit-def: $vgpr5
.LBB417_634:
	s_mov_b32 s3, 0
.LBB417_635:
	s_delay_alu instid0(SALU_CYCLE_1)
	s_and_b32 vcc_lo, exec_lo, s3
	s_cbranch_vccz .LBB417_684
; %bb.636:
	v_cmp_lt_i16_e64 s2, s33, 5
	s_delay_alu instid0(VALU_DEP_1)
	s_and_b32 vcc_lo, exec_lo, s2
	s_cbranch_vccnz .LBB417_641
; %bb.637:
	v_cmp_lt_i16_e64 s2, s33, 8
	s_delay_alu instid0(VALU_DEP_1)
	s_and_b32 vcc_lo, exec_lo, s2
	s_cbranch_vccnz .LBB417_642
	;; [unrolled: 5-line block ×3, first 2 shown]
; %bb.639:
	v_cmp_gt_i16_e64 s2, s33, 9
	s_delay_alu instid0(VALU_DEP_1)
	s_and_b32 vcc_lo, exec_lo, s2
	s_cbranch_vccz .LBB417_644
; %bb.640:
	global_load_b64 v[5:6], v[1:2], off
	s_mov_b32 s2, 0
	s_waitcnt vmcnt(0)
	v_cvt_f32_f64_e32 v3, v[5:6]
	s_delay_alu instid0(VALU_DEP_1) | instskip(SKIP_1) | instid1(VALU_DEP_2)
	v_bfe_u32 v5, v3, 16, 1
	v_cmp_o_f32_e32 vcc_lo, v3, v3
	v_add3_u32 v5, v3, v5, 0x7fff
	s_delay_alu instid0(VALU_DEP_1) | instskip(NEXT) | instid1(VALU_DEP_1)
	v_lshrrev_b32_e32 v5, 16, v5
	v_cndmask_b32_e32 v5, 0x7fc0, v5, vcc_lo
	s_branch .LBB417_645
.LBB417_641:
	s_mov_b32 s2, -1
                                        ; implicit-def: $vgpr5
	s_branch .LBB417_663
.LBB417_642:
	s_mov_b32 s2, -1
                                        ; implicit-def: $vgpr5
	s_branch .LBB417_651
.LBB417_643:
	s_mov_b32 s2, -1
                                        ; implicit-def: $vgpr5
	s_branch .LBB417_648
.LBB417_644:
	s_mov_b32 s2, -1
                                        ; implicit-def: $vgpr5
.LBB417_645:
	s_delay_alu instid0(SALU_CYCLE_1)
	s_and_not1_b32 vcc_lo, exec_lo, s2
	s_cbranch_vccnz .LBB417_647
; %bb.646:
	global_load_b32 v3, v[1:2], off
	s_waitcnt vmcnt(0)
	v_bfe_u32 v5, v3, 16, 1
	v_cmp_o_f32_e32 vcc_lo, v3, v3
	s_delay_alu instid0(VALU_DEP_2) | instskip(NEXT) | instid1(VALU_DEP_1)
	v_add3_u32 v5, v3, v5, 0x7fff
	v_lshrrev_b32_e32 v5, 16, v5
	s_delay_alu instid0(VALU_DEP_1)
	v_cndmask_b32_e32 v5, 0x7fc0, v5, vcc_lo
.LBB417_647:
	s_mov_b32 s2, 0
.LBB417_648:
	s_delay_alu instid0(SALU_CYCLE_1)
	s_and_not1_b32 vcc_lo, exec_lo, s2
	s_cbranch_vccnz .LBB417_650
; %bb.649:
	global_load_b32 v3, v[1:2], off
	s_waitcnt vmcnt(0)
	v_cvt_f32_f16_e32 v5, v3
	v_cmp_o_f16_e32 vcc_lo, v3, v3
	s_delay_alu instid0(VALU_DEP_2) | instskip(NEXT) | instid1(VALU_DEP_1)
	v_bfe_u32 v6, v5, 16, 1
	v_add3_u32 v5, v5, v6, 0x7fff
	s_delay_alu instid0(VALU_DEP_1) | instskip(NEXT) | instid1(VALU_DEP_1)
	v_lshrrev_b32_e32 v5, 16, v5
	v_cndmask_b32_e32 v5, 0x7fc0, v5, vcc_lo
.LBB417_650:
	s_mov_b32 s2, 0
.LBB417_651:
	s_delay_alu instid0(SALU_CYCLE_1)
	s_and_not1_b32 vcc_lo, exec_lo, s2
	s_cbranch_vccnz .LBB417_662
; %bb.652:
	v_cmp_lt_i16_e64 s2, s33, 6
	s_delay_alu instid0(VALU_DEP_1)
	s_and_b32 vcc_lo, exec_lo, s2
	s_cbranch_vccnz .LBB417_655
; %bb.653:
	v_cmp_gt_i16_e64 s2, s33, 6
	s_delay_alu instid0(VALU_DEP_1)
	s_and_b32 vcc_lo, exec_lo, s2
	s_cbranch_vccz .LBB417_656
; %bb.654:
	global_load_b64 v[5:6], v[1:2], off
	s_mov_b32 s2, 0
	s_waitcnt vmcnt(0)
	v_cvt_f32_f64_e32 v3, v[5:6]
	s_delay_alu instid0(VALU_DEP_1) | instskip(SKIP_1) | instid1(VALU_DEP_2)
	v_bfe_u32 v5, v3, 16, 1
	v_cmp_o_f32_e32 vcc_lo, v3, v3
	v_add3_u32 v5, v3, v5, 0x7fff
	s_delay_alu instid0(VALU_DEP_1) | instskip(NEXT) | instid1(VALU_DEP_1)
	v_lshrrev_b32_e32 v5, 16, v5
	v_cndmask_b32_e32 v5, 0x7fc0, v5, vcc_lo
	s_branch .LBB417_657
.LBB417_655:
	s_mov_b32 s2, -1
                                        ; implicit-def: $vgpr5
	s_branch .LBB417_660
.LBB417_656:
	s_mov_b32 s2, -1
                                        ; implicit-def: $vgpr5
.LBB417_657:
	s_delay_alu instid0(SALU_CYCLE_1)
	s_and_not1_b32 vcc_lo, exec_lo, s2
	s_cbranch_vccnz .LBB417_659
; %bb.658:
	global_load_b32 v3, v[1:2], off
	s_waitcnt vmcnt(0)
	v_bfe_u32 v5, v3, 16, 1
	v_cmp_o_f32_e32 vcc_lo, v3, v3
	s_delay_alu instid0(VALU_DEP_2) | instskip(NEXT) | instid1(VALU_DEP_1)
	v_add3_u32 v5, v3, v5, 0x7fff
	v_lshrrev_b32_e32 v5, 16, v5
	s_delay_alu instid0(VALU_DEP_1)
	v_cndmask_b32_e32 v5, 0x7fc0, v5, vcc_lo
.LBB417_659:
	s_mov_b32 s2, 0
.LBB417_660:
	s_delay_alu instid0(SALU_CYCLE_1)
	s_and_not1_b32 vcc_lo, exec_lo, s2
	s_cbranch_vccnz .LBB417_662
; %bb.661:
	global_load_u16 v3, v[1:2], off
	s_waitcnt vmcnt(0)
	v_cvt_f32_f16_e32 v5, v3
	v_cmp_o_f16_e32 vcc_lo, v3, v3
	s_delay_alu instid0(VALU_DEP_2) | instskip(NEXT) | instid1(VALU_DEP_1)
	v_bfe_u32 v6, v5, 16, 1
	v_add3_u32 v5, v5, v6, 0x7fff
	s_delay_alu instid0(VALU_DEP_1) | instskip(NEXT) | instid1(VALU_DEP_1)
	v_lshrrev_b32_e32 v5, 16, v5
	v_cndmask_b32_e32 v5, 0x7fc0, v5, vcc_lo
.LBB417_662:
	s_mov_b32 s2, 0
.LBB417_663:
	s_delay_alu instid0(SALU_CYCLE_1)
	s_and_not1_b32 vcc_lo, exec_lo, s2
	s_cbranch_vccnz .LBB417_683
; %bb.664:
	v_cmp_lt_i16_e64 s2, s33, 2
	s_delay_alu instid0(VALU_DEP_1)
	s_and_b32 vcc_lo, exec_lo, s2
	s_cbranch_vccnz .LBB417_668
; %bb.665:
	v_cmp_lt_i16_e64 s2, s33, 3
	s_delay_alu instid0(VALU_DEP_1)
	s_and_b32 vcc_lo, exec_lo, s2
	s_cbranch_vccnz .LBB417_669
; %bb.666:
	v_cmp_gt_i16_e64 s2, s33, 3
	s_delay_alu instid0(VALU_DEP_1)
	s_and_b32 vcc_lo, exec_lo, s2
	s_cbranch_vccz .LBB417_670
; %bb.667:
	global_load_b64 v[5:6], v[1:2], off
	s_mov_b32 s2, 0
	s_waitcnt vmcnt(0)
	v_xor_b32_e32 v3, v5, v6
	v_cls_i32_e32 v7, v6
	s_delay_alu instid0(VALU_DEP_2) | instskip(NEXT) | instid1(VALU_DEP_2)
	v_ashrrev_i32_e32 v3, 31, v3
	v_add_nc_u32_e32 v7, -1, v7
	s_delay_alu instid0(VALU_DEP_2) | instskip(NEXT) | instid1(VALU_DEP_1)
	v_add_nc_u32_e32 v3, 32, v3
	v_min_u32_e32 v3, v7, v3
	s_delay_alu instid0(VALU_DEP_1) | instskip(SKIP_1) | instid1(VALU_DEP_2)
	v_lshlrev_b64 v[5:6], v3, v[5:6]
	v_sub_nc_u32_e32 v3, 32, v3
	v_min_u32_e32 v5, 1, v5
	s_delay_alu instid0(VALU_DEP_1) | instskip(NEXT) | instid1(VALU_DEP_1)
	v_or_b32_e32 v5, v6, v5
	v_cvt_f32_i32_e32 v5, v5
	s_delay_alu instid0(VALU_DEP_1) | instskip(NEXT) | instid1(VALU_DEP_1)
	v_ldexp_f32 v3, v5, v3
	v_bfe_u32 v5, v3, 16, 1
	s_delay_alu instid0(VALU_DEP_1) | instskip(NEXT) | instid1(VALU_DEP_1)
	v_add3_u32 v3, v3, v5, 0x7fff
	v_lshrrev_b32_e32 v5, 16, v3
	s_branch .LBB417_671
.LBB417_668:
	s_mov_b32 s2, -1
                                        ; implicit-def: $vgpr5
	s_branch .LBB417_677
.LBB417_669:
	s_mov_b32 s2, -1
                                        ; implicit-def: $vgpr5
	s_branch .LBB417_674
.LBB417_670:
	s_mov_b32 s2, -1
                                        ; implicit-def: $vgpr5
.LBB417_671:
	s_delay_alu instid0(SALU_CYCLE_1)
	s_and_not1_b32 vcc_lo, exec_lo, s2
	s_cbranch_vccnz .LBB417_673
; %bb.672:
	global_load_b32 v3, v[1:2], off
	s_waitcnt vmcnt(0)
	v_cvt_f32_i32_e32 v3, v3
	s_delay_alu instid0(VALU_DEP_1) | instskip(NEXT) | instid1(VALU_DEP_1)
	v_bfe_u32 v5, v3, 16, 1
	v_add3_u32 v3, v3, v5, 0x7fff
	s_delay_alu instid0(VALU_DEP_1)
	v_lshrrev_b32_e32 v5, 16, v3
.LBB417_673:
	s_mov_b32 s2, 0
.LBB417_674:
	s_delay_alu instid0(SALU_CYCLE_1)
	s_and_not1_b32 vcc_lo, exec_lo, s2
	s_cbranch_vccnz .LBB417_676
; %bb.675:
	global_load_i16 v3, v[1:2], off
	s_waitcnt vmcnt(0)
	v_cvt_f32_i32_e32 v3, v3
	s_delay_alu instid0(VALU_DEP_1) | instskip(NEXT) | instid1(VALU_DEP_1)
	v_bfe_u32 v5, v3, 16, 1
	v_add3_u32 v3, v3, v5, 0x7fff
	s_delay_alu instid0(VALU_DEP_1)
	v_lshrrev_b32_e32 v5, 16, v3
.LBB417_676:
	s_mov_b32 s2, 0
.LBB417_677:
	s_delay_alu instid0(SALU_CYCLE_1)
	s_and_not1_b32 vcc_lo, exec_lo, s2
	s_cbranch_vccnz .LBB417_683
; %bb.678:
	v_cmp_gt_i16_e64 s2, s33, 0
	s_delay_alu instid0(VALU_DEP_1)
	s_and_b32 vcc_lo, exec_lo, s2
	s_mov_b32 s2, 0
	s_cbranch_vccz .LBB417_680
; %bb.679:
	global_load_i8 v3, v[1:2], off
	s_waitcnt vmcnt(0)
	v_cvt_f32_i32_e32 v3, v3
	s_delay_alu instid0(VALU_DEP_1) | instskip(NEXT) | instid1(VALU_DEP_1)
	v_bfe_u32 v5, v3, 16, 1
	v_add3_u32 v3, v3, v5, 0x7fff
	s_delay_alu instid0(VALU_DEP_1)
	v_lshrrev_b32_e32 v5, 16, v3
	s_branch .LBB417_681
.LBB417_680:
	s_mov_b32 s2, -1
                                        ; implicit-def: $vgpr5
.LBB417_681:
	s_delay_alu instid0(SALU_CYCLE_1)
	s_and_not1_b32 vcc_lo, exec_lo, s2
	s_cbranch_vccnz .LBB417_683
; %bb.682:
	global_load_u8 v1, v[1:2], off
	s_waitcnt vmcnt(0)
	v_cvt_f32_ubyte0_e32 v1, v1
	s_delay_alu instid0(VALU_DEP_1) | instskip(NEXT) | instid1(VALU_DEP_1)
	v_bfe_u32 v2, v1, 16, 1
	v_add3_u32 v1, v1, v2, 0x7fff
	s_delay_alu instid0(VALU_DEP_1)
	v_lshrrev_b32_e32 v5, 16, v1
.LBB417_683:
	s_mov_b32 s2, -1
.LBB417_684:
	s_delay_alu instid0(SALU_CYCLE_1)
	s_and_not1_b32 vcc_lo, exec_lo, s2
	s_cbranch_vccnz .LBB417_692
; %bb.685:
	s_waitcnt vmcnt(0)
	v_lshlrev_b32_e32 v1, 16, v5
	v_and_b32_e64 v3, 0xff, s30
	s_mov_b32 s23, 0
	s_mov_b32 s45, -1
	s_delay_alu instid0(VALU_DEP_2) | instskip(SKIP_2) | instid1(VALU_DEP_2)
	v_cmp_u_f32_e32 vcc_lo, v1, v1
	v_cmp_lt_f32_e64 s2, s31, v1
	v_cmp_gt_i16_e64 s3, 11, v3
	s_or_b32 vcc_lo, vcc_lo, s2
	v_add_co_u32 v0, s2, s4, v0
	v_cndmask_b32_e32 v2, s29, v5, vcc_lo
	v_add_co_ci_u32_e64 v1, null, s5, 0, s2
	s_and_b32 vcc_lo, exec_lo, s3
	s_mov_b32 s2, s42
	s_cbranch_vccnz .LBB417_693
; %bb.686:
	v_cmp_lt_i16_e32 vcc_lo, 25, v3
	s_cbranch_vccz .LBB417_734
; %bb.687:
	v_cmp_lt_i16_e32 vcc_lo, 28, v3
	s_cbranch_vccz .LBB417_735
	;; [unrolled: 3-line block ×4, first 2 shown]
; %bb.690:
	v_cmp_eq_u16_e32 vcc_lo, 46, v3
	s_mov_b32 s3, 0
	s_mov_b32 s2, -1
	s_cbranch_vccz .LBB417_738
; %bb.691:
	v_and_b32_e32 v5, 0xffff, v2
	s_mov_b32 s23, -1
	s_mov_b32 s2, 0
	global_store_b32 v[0:1], v5, off
	s_branch .LBB417_738
.LBB417_692:
	s_mov_b32 s3, 0
	s_mov_b32 s2, s42
	s_branch .LBB417_733
.LBB417_693:
	s_and_b32 vcc_lo, exec_lo, s45
	s_cbranch_vccz .LBB417_807
; %bb.694:
	v_cmp_gt_i16_e32 vcc_lo, 5, v3
	s_mov_b32 s3, -1
	s_cbranch_vccnz .LBB417_715
; %bb.695:
	v_cmp_gt_i16_e32 vcc_lo, 8, v3
	s_cbranch_vccnz .LBB417_705
; %bb.696:
	v_cmp_gt_i16_e32 vcc_lo, 9, v3
	s_cbranch_vccnz .LBB417_702
; %bb.697:
	v_cmp_lt_i16_e32 vcc_lo, 9, v3
	s_cbranch_vccz .LBB417_699
; %bb.698:
	v_mov_b32_e32 v7, 0
	v_lshlrev_b32_e32 v5, 16, v2
	s_mov_b32 s3, 0
	s_delay_alu instid0(VALU_DEP_2) | instskip(NEXT) | instid1(VALU_DEP_2)
	v_mov_b32_e32 v8, v7
	v_cvt_f64_f32_e32 v[5:6], v5
	global_store_b128 v[0:1], v[5:8], off
.LBB417_699:
	s_and_not1_b32 vcc_lo, exec_lo, s3
	s_cbranch_vccnz .LBB417_701
; %bb.700:
	v_dual_mov_b32 v6, 0 :: v_dual_lshlrev_b32 v5, 16, v2
	global_store_b64 v[0:1], v[5:6], off
.LBB417_701:
	s_mov_b32 s3, 0
.LBB417_702:
	s_delay_alu instid0(SALU_CYCLE_1)
	s_and_not1_b32 vcc_lo, exec_lo, s3
	s_cbranch_vccnz .LBB417_704
; %bb.703:
	v_lshlrev_b32_e32 v5, 16, v2
	s_delay_alu instid0(VALU_DEP_1) | instskip(NEXT) | instid1(VALU_DEP_1)
	v_cvt_f16_f32_e32 v5, v5
	v_and_b32_e32 v5, 0xffff, v5
	global_store_b32 v[0:1], v5, off
.LBB417_704:
	s_mov_b32 s3, 0
.LBB417_705:
	s_delay_alu instid0(SALU_CYCLE_1)
	s_and_not1_b32 vcc_lo, exec_lo, s3
	s_cbranch_vccnz .LBB417_714
; %bb.706:
	v_cmp_gt_i16_e32 vcc_lo, 6, v3
	s_mov_b32 s3, -1
	s_cbranch_vccnz .LBB417_712
; %bb.707:
	v_cmp_lt_i16_e32 vcc_lo, 6, v3
	s_cbranch_vccz .LBB417_709
; %bb.708:
	v_lshlrev_b32_e32 v5, 16, v2
	s_mov_b32 s3, 0
	s_delay_alu instid0(VALU_DEP_1)
	v_cvt_f64_f32_e32 v[5:6], v5
	global_store_b64 v[0:1], v[5:6], off
.LBB417_709:
	s_and_not1_b32 vcc_lo, exec_lo, s3
	s_cbranch_vccnz .LBB417_711
; %bb.710:
	v_lshlrev_b32_e32 v5, 16, v2
	global_store_b32 v[0:1], v5, off
.LBB417_711:
	s_mov_b32 s3, 0
.LBB417_712:
	s_delay_alu instid0(SALU_CYCLE_1)
	s_and_not1_b32 vcc_lo, exec_lo, s3
	s_cbranch_vccnz .LBB417_714
; %bb.713:
	v_lshlrev_b32_e32 v5, 16, v2
	s_delay_alu instid0(VALU_DEP_1)
	v_cvt_f16_f32_e32 v5, v5
	global_store_b16 v[0:1], v5, off
.LBB417_714:
	s_mov_b32 s3, 0
.LBB417_715:
	s_delay_alu instid0(SALU_CYCLE_1)
	s_and_not1_b32 vcc_lo, exec_lo, s3
	s_cbranch_vccnz .LBB417_731
; %bb.716:
	v_cmp_gt_i16_e32 vcc_lo, 2, v3
	s_mov_b32 s3, -1
	s_cbranch_vccnz .LBB417_726
; %bb.717:
	v_cmp_gt_i16_e32 vcc_lo, 3, v3
	s_cbranch_vccnz .LBB417_723
; %bb.718:
	v_cmp_lt_i16_e32 vcc_lo, 3, v3
	s_cbranch_vccz .LBB417_720
; %bb.719:
	v_lshlrev_b32_e32 v5, 16, v2
	s_mov_b32 s3, 0
	s_delay_alu instid0(VALU_DEP_1) | instskip(NEXT) | instid1(VALU_DEP_1)
	v_trunc_f32_e32 v5, v5
	v_mul_f32_e64 v6, 0x2f800000, |v5|
	v_ashrrev_i32_e32 v8, 31, v5
	s_delay_alu instid0(VALU_DEP_2) | instskip(NEXT) | instid1(VALU_DEP_1)
	v_floor_f32_e32 v6, v6
	v_fma_f32 v7, 0xcf800000, v6, |v5|
	v_cvt_u32_f32_e32 v6, v6
	s_delay_alu instid0(VALU_DEP_2) | instskip(NEXT) | instid1(VALU_DEP_2)
	v_cvt_u32_f32_e32 v5, v7
	v_xor_b32_e32 v6, v6, v8
	s_delay_alu instid0(VALU_DEP_2) | instskip(NEXT) | instid1(VALU_DEP_1)
	v_xor_b32_e32 v5, v5, v8
	v_sub_co_u32 v5, vcc_lo, v5, v8
	s_delay_alu instid0(VALU_DEP_3)
	v_sub_co_ci_u32_e32 v6, vcc_lo, v6, v8, vcc_lo
	global_store_b64 v[0:1], v[5:6], off
.LBB417_720:
	s_and_not1_b32 vcc_lo, exec_lo, s3
	s_cbranch_vccnz .LBB417_722
; %bb.721:
	v_lshlrev_b32_e32 v5, 16, v2
	s_delay_alu instid0(VALU_DEP_1)
	v_cvt_i32_f32_e32 v5, v5
	global_store_b32 v[0:1], v5, off
.LBB417_722:
	s_mov_b32 s3, 0
.LBB417_723:
	s_delay_alu instid0(SALU_CYCLE_1)
	s_and_not1_b32 vcc_lo, exec_lo, s3
	s_cbranch_vccnz .LBB417_725
; %bb.724:
	v_lshlrev_b32_e32 v5, 16, v2
	s_delay_alu instid0(VALU_DEP_1)
	v_cvt_i32_f32_e32 v5, v5
	global_store_b16 v[0:1], v5, off
.LBB417_725:
	s_mov_b32 s3, 0
.LBB417_726:
	s_delay_alu instid0(SALU_CYCLE_1)
	s_and_not1_b32 vcc_lo, exec_lo, s3
	s_cbranch_vccnz .LBB417_731
; %bb.727:
	v_cmp_lt_i16_e32 vcc_lo, 0, v3
	s_mov_b32 s3, -1
	s_cbranch_vccz .LBB417_729
; %bb.728:
	v_lshlrev_b32_e32 v3, 16, v2
	s_mov_b32 s3, 0
	s_delay_alu instid0(VALU_DEP_1)
	v_cvt_i32_f32_e32 v3, v3
	global_store_b8 v[0:1], v3, off
.LBB417_729:
	s_and_not1_b32 vcc_lo, exec_lo, s3
	s_cbranch_vccnz .LBB417_731
; %bb.730:
	v_lshlrev_b32_e32 v2, 16, v2
	s_delay_alu instid0(VALU_DEP_1) | instskip(NEXT) | instid1(VALU_DEP_1)
	v_trunc_f32_e32 v2, v2
	v_mul_f32_e64 v3, 0x2f800000, |v2|
	s_delay_alu instid0(VALU_DEP_1) | instskip(NEXT) | instid1(VALU_DEP_1)
	v_floor_f32_e32 v3, v3
	v_fma_f32 v3, 0xcf800000, v3, |v2|
	v_ashrrev_i32_e32 v2, 31, v2
	s_delay_alu instid0(VALU_DEP_2) | instskip(NEXT) | instid1(VALU_DEP_1)
	v_cvt_u32_f32_e32 v3, v3
	v_xor_b32_e32 v3, v3, v2
	s_delay_alu instid0(VALU_DEP_1)
	v_sub_nc_u32_e32 v2, v3, v2
	global_store_b8 v[0:1], v2, off
.LBB417_731:
	s_branch .LBB417_808
.LBB417_732:
	s_mov_b32 s3, 0
.LBB417_733:
                                        ; implicit-def: $vgpr4
	s_branch .LBB417_809
.LBB417_734:
	s_mov_b32 s3, -1
	s_mov_b32 s2, s42
	s_branch .LBB417_765
.LBB417_735:
	s_mov_b32 s3, -1
	s_mov_b32 s2, s42
	s_branch .LBB417_748
.LBB417_736:
	s_mov_b32 s3, -1
	s_mov_b32 s2, s42
	s_branch .LBB417_744
.LBB417_737:
	s_mov_b32 s3, -1
	s_mov_b32 s2, s42
.LBB417_738:
	s_and_b32 vcc_lo, exec_lo, s3
	s_cbranch_vccz .LBB417_743
; %bb.739:
	v_cmp_eq_u16_e32 vcc_lo, 44, v3
	s_mov_b32 s2, -1
	s_cbranch_vccz .LBB417_743
; %bb.740:
	v_and_b32_e32 v5, 0xffff, v2
	v_mov_b32_e32 v6, 0xff
	s_mov_b32 s3, exec_lo
	s_delay_alu instid0(VALU_DEP_2) | instskip(NEXT) | instid1(VALU_DEP_1)
	v_bfe_u32 v7, v5, 7, 8
	v_cmpx_ne_u32_e32 0xff, v7
; %bb.741:
	v_lshlrev_b32_e32 v6, 16, v5
	v_and_b32_e32 v8, 64, v5
	v_lshrrev_b32_e32 v5, 7, v5
	s_delay_alu instid0(VALU_DEP_3) | instskip(NEXT) | instid1(VALU_DEP_3)
	v_and_or_b32 v6, 0x3f0000, v6, v7
	v_cmp_ne_u32_e32 vcc_lo, 0, v8
	s_delay_alu instid0(VALU_DEP_2) | instskip(NEXT) | instid1(VALU_DEP_1)
	v_cmp_ne_u32_e64 s2, 0, v6
	s_and_b32 s2, vcc_lo, s2
	s_delay_alu instid0(SALU_CYCLE_1) | instskip(NEXT) | instid1(VALU_DEP_1)
	v_cndmask_b32_e64 v6, 0, 1, s2
	v_add_nc_u32_e32 v6, v5, v6
; %bb.742:
	s_or_b32 exec_lo, exec_lo, s3
	s_mov_b32 s23, -1
	s_mov_b32 s2, 0
	global_store_b8 v[0:1], v6, off
.LBB417_743:
	s_mov_b32 s3, 0
.LBB417_744:
	s_delay_alu instid0(SALU_CYCLE_1)
	s_and_b32 vcc_lo, exec_lo, s3
	s_cbranch_vccz .LBB417_747
; %bb.745:
	v_cmp_eq_u16_e32 vcc_lo, 29, v3
	s_mov_b32 s2, -1
	s_cbranch_vccz .LBB417_747
; %bb.746:
	v_lshlrev_b32_e32 v5, 16, v2
	s_mov_b32 s23, -1
	s_mov_b32 s2, 0
	s_mov_b32 s3, 0
	s_delay_alu instid0(VALU_DEP_1) | instskip(NEXT) | instid1(VALU_DEP_1)
	v_trunc_f32_e32 v5, v5
	v_mul_f32_e32 v6, 0x2f800000, v5
	s_delay_alu instid0(VALU_DEP_1) | instskip(NEXT) | instid1(VALU_DEP_1)
	v_floor_f32_e32 v6, v6
	v_fmamk_f32 v5, v6, 0xcf800000, v5
	v_cvt_u32_f32_e32 v6, v6
	s_delay_alu instid0(VALU_DEP_2)
	v_cvt_u32_f32_e32 v5, v5
	global_store_b64 v[0:1], v[5:6], off
	s_branch .LBB417_748
.LBB417_747:
	s_mov_b32 s3, 0
.LBB417_748:
	s_delay_alu instid0(SALU_CYCLE_1)
	s_and_b32 vcc_lo, exec_lo, s3
	s_cbranch_vccz .LBB417_764
; %bb.749:
	v_cmp_gt_i16_e32 vcc_lo, 27, v3
	s_mov_b32 s3, -1
	s_cbranch_vccnz .LBB417_755
; %bb.750:
	v_cmp_lt_i16_e32 vcc_lo, 27, v3
	s_cbranch_vccz .LBB417_752
; %bb.751:
	v_lshlrev_b32_e32 v5, 16, v2
	s_mov_b32 s3, 0
	s_delay_alu instid0(VALU_DEP_1)
	v_cvt_u32_f32_e32 v5, v5
	global_store_b32 v[0:1], v5, off
.LBB417_752:
	s_and_not1_b32 vcc_lo, exec_lo, s3
	s_cbranch_vccnz .LBB417_754
; %bb.753:
	v_lshlrev_b32_e32 v5, 16, v2
	s_delay_alu instid0(VALU_DEP_1)
	v_cvt_u32_f32_e32 v5, v5
	global_store_b16 v[0:1], v5, off
.LBB417_754:
	s_mov_b32 s3, 0
.LBB417_755:
	s_delay_alu instid0(SALU_CYCLE_1)
	s_and_not1_b32 vcc_lo, exec_lo, s3
	s_cbranch_vccnz .LBB417_763
; %bb.756:
	v_dual_mov_b32 v8, 0x80 :: v_dual_lshlrev_b32 v7, 16, v2
	s_mov_b32 s3, exec_lo
	s_delay_alu instid0(VALU_DEP_1) | instskip(NEXT) | instid1(VALU_DEP_1)
	v_and_b32_e32 v6, 0x7fffffff, v7
	v_cmpx_gt_u32_e32 0x43800000, v6
	s_cbranch_execz .LBB417_762
; %bb.757:
	v_and_b32_e32 v5, 0xffff, v2
	v_cmp_lt_u32_e32 vcc_lo, 0x3bffffff, v6
	s_mov_b32 s23, 0
                                        ; implicit-def: $vgpr6
	s_and_saveexec_b32 s45, vcc_lo
	s_delay_alu instid0(SALU_CYCLE_1)
	s_xor_b32 s45, exec_lo, s45
	s_cbranch_execz .LBB417_836
; %bb.758:
	v_bfe_u32 v6, v5, 4, 1
	s_mov_b32 s23, exec_lo
	s_delay_alu instid0(VALU_DEP_1) | instskip(NEXT) | instid1(VALU_DEP_1)
	v_add3_u32 v6, v7, v6, 0x487ffff
                                        ; implicit-def: $vgpr7
	v_lshrrev_b32_e32 v6, 20, v6
	s_or_saveexec_b32 s45, s45
                                        ; implicit-def: $sgpr46
	s_delay_alu instid0(SALU_CYCLE_1)
	s_xor_b32 exec_lo, exec_lo, s45
	s_cbranch_execnz .LBB417_837
.LBB417_759:
	s_or_b32 exec_lo, exec_lo, s45
	v_mov_b32_e32 v8, s46
	s_and_saveexec_b32 s45, s23
.LBB417_760:
	v_lshrrev_b32_e32 v5, 8, v5
	s_delay_alu instid0(VALU_DEP_1)
	v_and_or_b32 v8, 0x80, v5, v6
.LBB417_761:
	s_or_b32 exec_lo, exec_lo, s45
.LBB417_762:
	s_delay_alu instid0(SALU_CYCLE_1)
	s_or_b32 exec_lo, exec_lo, s3
	global_store_b8 v[0:1], v8, off
.LBB417_763:
	s_mov_b32 s23, -1
.LBB417_764:
	s_mov_b32 s3, 0
.LBB417_765:
	s_delay_alu instid0(SALU_CYCLE_1)
	s_and_b32 vcc_lo, exec_lo, s3
	s_cbranch_vccz .LBB417_806
; %bb.766:
	v_cmp_lt_i16_e32 vcc_lo, 22, v3
	s_mov_b32 s3, -1
	s_cbranch_vccz .LBB417_798
; %bb.767:
	v_cmp_gt_i16_e32 vcc_lo, 24, v3
	s_cbranch_vccnz .LBB417_787
; %bb.768:
	v_cmp_lt_i16_e32 vcc_lo, 24, v3
	s_cbranch_vccz .LBB417_776
; %bb.769:
	v_dual_mov_b32 v8, 0x80 :: v_dual_lshlrev_b32 v7, 16, v2
	s_mov_b32 s3, exec_lo
	s_delay_alu instid0(VALU_DEP_1) | instskip(NEXT) | instid1(VALU_DEP_1)
	v_and_b32_e32 v6, 0x7fffffff, v7
	v_cmpx_gt_u32_e32 0x47800000, v6
	s_cbranch_execz .LBB417_775
; %bb.770:
	v_and_b32_e32 v5, 0xffff, v2
	v_cmp_lt_u32_e32 vcc_lo, 0x37ffffff, v6
	s_mov_b32 s23, 0
                                        ; implicit-def: $vgpr6
	s_and_saveexec_b32 s45, vcc_lo
	s_delay_alu instid0(SALU_CYCLE_1)
	s_xor_b32 s45, exec_lo, s45
	s_cbranch_execz .LBB417_839
; %bb.771:
	v_bfe_u32 v6, v5, 5, 1
	s_mov_b32 s23, exec_lo
	s_delay_alu instid0(VALU_DEP_1) | instskip(NEXT) | instid1(VALU_DEP_1)
	v_add3_u32 v6, v7, v6, 0x88fffff
                                        ; implicit-def: $vgpr7
	v_lshrrev_b32_e32 v6, 21, v6
	s_or_saveexec_b32 s45, s45
                                        ; implicit-def: $sgpr46
	s_delay_alu instid0(SALU_CYCLE_1)
	s_xor_b32 exec_lo, exec_lo, s45
	s_cbranch_execnz .LBB417_840
.LBB417_772:
	s_or_b32 exec_lo, exec_lo, s45
	v_mov_b32_e32 v8, s46
	s_and_saveexec_b32 s45, s23
.LBB417_773:
	v_lshrrev_b32_e32 v5, 8, v5
	s_delay_alu instid0(VALU_DEP_1)
	v_and_or_b32 v8, 0x80, v5, v6
.LBB417_774:
	s_or_b32 exec_lo, exec_lo, s45
.LBB417_775:
	s_delay_alu instid0(SALU_CYCLE_1)
	s_or_b32 exec_lo, exec_lo, s3
	s_mov_b32 s3, 0
	global_store_b8 v[0:1], v8, off
.LBB417_776:
	s_and_b32 vcc_lo, exec_lo, s3
	s_cbranch_vccz .LBB417_786
; %bb.777:
	v_lshlrev_b32_e32 v7, 16, v2
	v_and_b32_e32 v5, 0xffff, v2
	s_mov_b32 s3, exec_lo
                                        ; implicit-def: $vgpr6
	s_delay_alu instid0(VALU_DEP_2) | instskip(NEXT) | instid1(VALU_DEP_1)
	v_and_b32_e32 v8, 0x7fffffff, v7
	v_cmpx_gt_u32_e32 0x43f00000, v8
	s_xor_b32 s3, exec_lo, s3
	s_cbranch_execz .LBB417_783
; %bb.778:
	s_mov_b32 s23, exec_lo
                                        ; implicit-def: $vgpr6
	v_cmpx_lt_u32_e32 0x3c7fffff, v8
	s_xor_b32 s23, exec_lo, s23
; %bb.779:
	v_bfe_u32 v6, v5, 4, 1
	s_delay_alu instid0(VALU_DEP_1) | instskip(NEXT) | instid1(VALU_DEP_1)
	v_add3_u32 v6, v7, v6, 0x407ffff
	v_and_b32_e32 v7, 0xff00000, v6
	v_lshrrev_b32_e32 v6, 20, v6
	s_delay_alu instid0(VALU_DEP_2) | instskip(NEXT) | instid1(VALU_DEP_2)
	v_cmp_ne_u32_e32 vcc_lo, 0x7f00000, v7
                                        ; implicit-def: $vgpr7
	v_cndmask_b32_e32 v6, 0x7e, v6, vcc_lo
; %bb.780:
	s_and_not1_saveexec_b32 s23, s23
; %bb.781:
	v_add_f32_e64 v6, 0x46800000, |v7|
; %bb.782:
	s_or_b32 exec_lo, exec_lo, s23
                                        ; implicit-def: $vgpr8
.LBB417_783:
	s_and_not1_saveexec_b32 s3, s3
; %bb.784:
	v_mov_b32_e32 v6, 0x7f
	v_cmp_lt_u32_e32 vcc_lo, 0x7f800000, v8
	s_delay_alu instid0(VALU_DEP_2)
	v_cndmask_b32_e32 v6, 0x7e, v6, vcc_lo
; %bb.785:
	s_or_b32 exec_lo, exec_lo, s3
	v_lshrrev_b32_e32 v5, 8, v5
	s_delay_alu instid0(VALU_DEP_1)
	v_and_or_b32 v5, 0x80, v5, v6
	global_store_b8 v[0:1], v5, off
.LBB417_786:
	s_mov_b32 s3, 0
.LBB417_787:
	s_delay_alu instid0(SALU_CYCLE_1)
	s_and_not1_b32 vcc_lo, exec_lo, s3
	s_cbranch_vccnz .LBB417_797
; %bb.788:
	v_lshlrev_b32_e32 v7, 16, v2
	v_and_b32_e32 v5, 0xffff, v2
	s_mov_b32 s3, exec_lo
                                        ; implicit-def: $vgpr6
	s_delay_alu instid0(VALU_DEP_2) | instskip(NEXT) | instid1(VALU_DEP_1)
	v_and_b32_e32 v8, 0x7fffffff, v7
	v_cmpx_gt_u32_e32 0x47800000, v8
	s_xor_b32 s3, exec_lo, s3
	s_cbranch_execz .LBB417_794
; %bb.789:
	s_mov_b32 s23, exec_lo
                                        ; implicit-def: $vgpr6
	v_cmpx_lt_u32_e32 0x387fffff, v8
	s_xor_b32 s23, exec_lo, s23
; %bb.790:
	v_bfe_u32 v6, v5, 5, 1
	s_delay_alu instid0(VALU_DEP_1) | instskip(NEXT) | instid1(VALU_DEP_1)
	v_add3_u32 v6, v7, v6, 0x80fffff
                                        ; implicit-def: $vgpr7
	v_lshrrev_b32_e32 v6, 21, v6
; %bb.791:
	s_and_not1_saveexec_b32 s23, s23
; %bb.792:
	v_add_f32_e64 v6, 0x43000000, |v7|
; %bb.793:
	s_or_b32 exec_lo, exec_lo, s23
                                        ; implicit-def: $vgpr8
.LBB417_794:
	s_and_not1_saveexec_b32 s3, s3
; %bb.795:
	v_mov_b32_e32 v6, 0x7f
	v_cmp_lt_u32_e32 vcc_lo, 0x7f800000, v8
	s_delay_alu instid0(VALU_DEP_2)
	v_cndmask_b32_e32 v6, 0x7c, v6, vcc_lo
; %bb.796:
	s_or_b32 exec_lo, exec_lo, s3
	v_lshrrev_b32_e32 v5, 8, v5
	s_delay_alu instid0(VALU_DEP_1)
	v_and_or_b32 v5, 0x80, v5, v6
	global_store_b8 v[0:1], v5, off
.LBB417_797:
	s_mov_b32 s3, 0
	s_mov_b32 s23, -1
.LBB417_798:
	s_and_not1_b32 vcc_lo, exec_lo, s3
	s_cbranch_vccnz .LBB417_806
; %bb.799:
	v_cmp_lt_i16_e32 vcc_lo, 14, v3
	s_mov_b32 s3, -1
	s_cbranch_vccz .LBB417_803
; %bb.800:
	v_cmp_eq_u16_e32 vcc_lo, 15, v3
	s_mov_b32 s2, -1
	s_cbranch_vccz .LBB417_802
; %bb.801:
	s_mov_b32 s23, -1
	s_mov_b32 s2, 0
	global_store_b16 v[0:1], v2, off
.LBB417_802:
	s_mov_b32 s3, 0
.LBB417_803:
	s_delay_alu instid0(SALU_CYCLE_1)
	s_and_b32 vcc_lo, exec_lo, s3
	s_cbranch_vccz .LBB417_806
; %bb.804:
	v_cmp_eq_u16_e32 vcc_lo, 11, v3
	s_mov_b32 s2, -1
	s_cbranch_vccz .LBB417_806
; %bb.805:
	v_and_b32_e32 v5, 0x7fff, v2
	s_mov_b32 s2, 0
	s_mov_b32 s23, -1
	s_delay_alu instid0(VALU_DEP_1)
	v_cmp_ne_u16_e32 vcc_lo, 0, v5
	v_cndmask_b32_e64 v5, 0, 1, vcc_lo
	global_store_b8 v[0:1], v5, off
.LBB417_806:
.LBB417_807:
	s_and_not1_b32 vcc_lo, exec_lo, s23
	s_cbranch_vccnz .LBB417_732
.LBB417_808:
	v_add_nc_u32_e32 v4, 0x80, v4
	s_mov_b32 s3, -1
.LBB417_809:
	s_and_not1_b32 s23, s42, exec_lo
	s_and_b32 s2, s2, exec_lo
	s_and_not1_b32 s45, s41, exec_lo
	s_and_b32 s22, s22, exec_lo
	s_or_b32 s23, s23, s2
	s_or_b32 s22, s45, s22
	s_or_not1_b32 s46, s3, exec_lo
.LBB417_810:
	s_or_b32 exec_lo, exec_lo, s44
	s_mov_b32 s2, 0
	s_mov_b32 s3, 0
	;; [unrolled: 1-line block ×3, first 2 shown]
                                        ; implicit-def: $vgpr1_vgpr2
                                        ; implicit-def: $vgpr0
                                        ; implicit-def: $vgpr5
	s_and_saveexec_b32 s44, s46
	s_cbranch_execz .LBB417_908
; %bb.811:
	v_cmp_gt_i32_e32 vcc_lo, s35, v4
	s_mov_b32 s47, s22
	s_mov_b32 s46, 0
                                        ; implicit-def: $vgpr1_vgpr2
                                        ; implicit-def: $vgpr0
                                        ; implicit-def: $vgpr5
	s_and_saveexec_b32 s35, vcc_lo
	s_cbranch_execz .LBB417_907
; %bb.812:
	s_and_not1_b32 vcc_lo, exec_lo, s27
	s_cbranch_vccnz .LBB417_817
; %bb.813:
	v_dual_mov_b32 v0, 0 :: v_dual_mov_b32 v1, 0
	s_and_not1_b32 vcc_lo, exec_lo, s37
	s_mov_b32 s37, 0
	s_cbranch_vccnz .LBB417_822
; %bb.814:
	v_mov_b32_e32 v0, 0
	s_add_i32 s45, s36, 1
	s_cmp_eq_u32 s25, 2
	s_mov_b32 s36, 0
	s_cbranch_scc1 .LBB417_818
; %bb.815:
	v_dual_mov_b32 v1, 0 :: v_dual_mov_b32 v0, 0
	v_mov_b32_e32 v2, v4
	s_and_b32 s36, s45, 28
	s_mov_b64 s[2:3], s[16:17]
.LBB417_816:                            ; =>This Inner Loop Header: Depth=1
	s_clause 0x1
	s_load_b256 s[48:55], s[2:3], 0x4
	s_load_b128 s[64:67], s[2:3], 0x24
	s_load_b256 s[56:63], s[20:21], 0x0
	s_add_u32 s2, s2, 48
	s_addc_u32 s3, s3, 0
	s_add_i32 s46, s46, 4
	s_add_u32 s20, s20, 32
	s_addc_u32 s21, s21, 0
	s_cmp_eq_u32 s36, s46
	s_waitcnt vmcnt(0) lgkmcnt(0)
	v_mul_hi_u32 v3, s49, v2
	s_delay_alu instid0(VALU_DEP_1) | instskip(NEXT) | instid1(VALU_DEP_1)
	v_add_nc_u32_e32 v3, v2, v3
	v_lshrrev_b32_e32 v3, s50, v3
	s_delay_alu instid0(VALU_DEP_1) | instskip(SKIP_1) | instid1(VALU_DEP_2)
	v_mul_hi_u32 v5, s52, v3
	v_mul_lo_u32 v7, v3, s48
	v_add_nc_u32_e32 v5, v3, v5
	s_delay_alu instid0(VALU_DEP_2) | instskip(NEXT) | instid1(VALU_DEP_2)
	v_sub_nc_u32_e32 v2, v2, v7
	v_lshrrev_b32_e32 v5, s53, v5
	s_delay_alu instid0(VALU_DEP_2) | instskip(SKIP_1) | instid1(VALU_DEP_3)
	v_mul_lo_u32 v7, v2, s56
	v_mul_lo_u32 v9, v2, s57
	v_mul_hi_u32 v6, s55, v5
	s_delay_alu instid0(VALU_DEP_1) | instskip(NEXT) | instid1(VALU_DEP_1)
	v_add_nc_u32_e32 v6, v5, v6
	v_lshrrev_b32_e32 v6, s64, v6
	s_delay_alu instid0(VALU_DEP_1) | instskip(SKIP_1) | instid1(VALU_DEP_2)
	v_mul_hi_u32 v8, s66, v6
	v_mul_lo_u32 v10, v6, s54
	v_add_nc_u32_e32 v2, v6, v8
	v_mul_lo_u32 v8, v5, s51
	s_delay_alu instid0(VALU_DEP_3) | instskip(NEXT) | instid1(VALU_DEP_3)
	v_sub_nc_u32_e32 v5, v5, v10
	v_lshrrev_b32_e32 v2, s67, v2
	s_delay_alu instid0(VALU_DEP_2) | instskip(SKIP_2) | instid1(VALU_DEP_4)
	v_mul_lo_u32 v10, v5, s60
	v_mul_lo_u32 v5, v5, s61
	v_sub_nc_u32_e32 v3, v3, v8
	v_mul_lo_u32 v11, v2, s65
	s_delay_alu instid0(VALU_DEP_2) | instskip(SKIP_1) | instid1(VALU_DEP_3)
	v_mul_lo_u32 v8, v3, s58
	v_mul_lo_u32 v3, v3, s59
	v_sub_nc_u32_e32 v6, v6, v11
	s_delay_alu instid0(VALU_DEP_3) | instskip(NEXT) | instid1(VALU_DEP_2)
	v_add3_u32 v0, v7, v0, v8
	v_mul_lo_u32 v11, v6, s62
	v_mul_lo_u32 v6, v6, s63
	v_add3_u32 v1, v9, v1, v3
	s_delay_alu instid0(VALU_DEP_3) | instskip(NEXT) | instid1(VALU_DEP_2)
	v_add3_u32 v0, v10, v0, v11
	v_add3_u32 v1, v5, v1, v6
	s_cbranch_scc0 .LBB417_816
	s_branch .LBB417_819
.LBB417_817:
	s_mov_b32 s37, -1
                                        ; implicit-def: $vgpr0
                                        ; implicit-def: $vgpr1
	s_branch .LBB417_822
.LBB417_818:
	v_dual_mov_b32 v2, v4 :: v_dual_mov_b32 v1, 0
.LBB417_819:
	s_and_b32 s45, s45, 3
	s_delay_alu instid0(SALU_CYCLE_1)
	s_cmp_eq_u32 s45, 0
	s_cbranch_scc1 .LBB417_822
; %bb.820:
	s_lshl_b32 s2, s36, 3
	s_mul_i32 s20, s36, 12
	s_add_u32 s2, s2, s16
	s_addc_u32 s3, s17, 0
	s_add_u32 s2, s2, 0xc4
	s_addc_u32 s3, s3, 0
	;; [unrolled: 2-line block ×3, first 2 shown]
.LBB417_821:                            ; =>This Inner Loop Header: Depth=1
	s_clause 0x1
	s_load_b64 s[46:47], s[20:21], 0x4
	s_load_b32 s36, s[20:21], 0xc
	s_load_b64 s[48:49], s[2:3], 0x0
	s_add_u32 s20, s20, 12
	s_addc_u32 s21, s21, 0
	s_add_u32 s2, s2, 8
	s_addc_u32 s3, s3, 0
	s_add_i32 s45, s45, -1
	s_delay_alu instid0(SALU_CYCLE_1) | instskip(SKIP_2) | instid1(VALU_DEP_1)
	s_cmp_lg_u32 s45, 0
	s_waitcnt vmcnt(0) lgkmcnt(0)
	v_mul_hi_u32 v3, s47, v2
	v_add_nc_u32_e32 v3, v2, v3
	s_delay_alu instid0(VALU_DEP_1) | instskip(NEXT) | instid1(VALU_DEP_1)
	v_lshrrev_b32_e32 v3, s36, v3
	v_mul_lo_u32 v5, v3, s46
	s_delay_alu instid0(VALU_DEP_1) | instskip(NEXT) | instid1(VALU_DEP_1)
	v_sub_nc_u32_e32 v2, v2, v5
	v_mad_u64_u32 v[5:6], null, v2, s48, v[0:1]
	v_mad_u64_u32 v[6:7], null, v2, s49, v[1:2]
	v_mov_b32_e32 v2, v3
	s_delay_alu instid0(VALU_DEP_2)
	v_dual_mov_b32 v0, v5 :: v_dual_mov_b32 v1, v6
	s_cbranch_scc1 .LBB417_821
.LBB417_822:
	s_and_not1_b32 vcc_lo, exec_lo, s37
	s_cbranch_vccnz .LBB417_825
; %bb.823:
	v_mul_hi_u32 v0, s13, v4
	s_and_not1_b32 vcc_lo, exec_lo, s34
	s_delay_alu instid0(VALU_DEP_1) | instskip(NEXT) | instid1(VALU_DEP_1)
	v_add_nc_u32_e32 v0, v4, v0
	v_lshrrev_b32_e32 v2, s14, v0
	s_delay_alu instid0(VALU_DEP_1) | instskip(NEXT) | instid1(VALU_DEP_1)
	v_mul_lo_u32 v0, v2, s12
	v_sub_nc_u32_e32 v1, v4, v0
	s_delay_alu instid0(VALU_DEP_1)
	v_mul_lo_u32 v0, v1, s8
	v_mul_lo_u32 v1, v1, s9
	s_cbranch_vccnz .LBB417_825
; %bb.824:
	s_waitcnt vmcnt(0)
	v_mul_hi_u32 v3, s18, v2
	s_delay_alu instid0(VALU_DEP_1) | instskip(NEXT) | instid1(VALU_DEP_1)
	v_add_nc_u32_e32 v3, v2, v3
	v_lshrrev_b32_e32 v3, s19, v3
	s_delay_alu instid0(VALU_DEP_1) | instskip(NEXT) | instid1(VALU_DEP_1)
	v_mul_lo_u32 v3, v3, s15
	v_sub_nc_u32_e32 v5, v2, v3
	s_delay_alu instid0(VALU_DEP_1) | instskip(NEXT) | instid1(VALU_DEP_1)
	v_mad_u64_u32 v[2:3], null, v5, s10, v[0:1]
	v_mad_u64_u32 v[3:4], null, v5, s11, v[1:2]
	s_delay_alu instid0(VALU_DEP_1)
	v_dual_mov_b32 v0, v2 :: v_dual_mov_b32 v1, v3
.LBB417_825:
	v_cmp_lt_i16_e64 s2, s33, 11
	s_delay_alu instid0(VALU_DEP_2) | instskip(NEXT) | instid1(VALU_DEP_1)
	v_add_co_u32 v1, s3, s6, v1
	v_add_co_ci_u32_e64 v2, null, s7, 0, s3
	s_delay_alu instid0(VALU_DEP_3)
	s_and_b32 vcc_lo, exec_lo, s2
	s_mov_b32 s6, 0
	s_cbranch_vccnz .LBB417_832
; %bb.826:
	v_cmp_gt_i16_e64 s2, s33, 25
	s_mov_b32 s3, 0
	s_delay_alu instid0(VALU_DEP_1)
	s_and_b32 vcc_lo, exec_lo, s2
	s_cbranch_vccz .LBB417_833
; %bb.827:
	v_cmp_gt_i16_e64 s2, s33, 28
	s_delay_alu instid0(VALU_DEP_1)
	s_and_b32 vcc_lo, exec_lo, s2
	s_cbranch_vccz .LBB417_834
; %bb.828:
	v_cmp_gt_i16_e64 s2, s33, 43
	;; [unrolled: 5-line block ×3, first 2 shown]
	s_delay_alu instid0(VALU_DEP_1)
	s_and_b32 vcc_lo, exec_lo, s2
	s_cbranch_vccz .LBB417_838
; %bb.830:
	v_cmp_eq_u16_e64 s2, s33, 46
	s_mov_b32 s7, 0
	s_delay_alu instid0(VALU_DEP_1)
	s_and_b32 vcc_lo, exec_lo, s2
	s_cbranch_vccz .LBB417_841
; %bb.831:
	global_load_b32 v5, v[1:2], off
	s_mov_b32 s2, 0
	s_mov_b32 s6, -1
	s_branch .LBB417_843
.LBB417_832:
	s_mov_b32 s7, -1
	s_mov_b32 s3, 0
	s_mov_b32 s2, s22
                                        ; implicit-def: $vgpr5
	s_branch .LBB417_906
.LBB417_833:
	s_mov_b32 s7, -1
	s_mov_b32 s2, s22
                                        ; implicit-def: $vgpr5
	s_branch .LBB417_872
.LBB417_834:
	s_mov_b32 s7, -1
	s_mov_b32 s2, s22
                                        ; implicit-def: $vgpr5
	s_branch .LBB417_853
.LBB417_835:
	s_mov_b32 s7, -1
	s_mov_b32 s2, s22
                                        ; implicit-def: $vgpr5
	s_branch .LBB417_848
.LBB417_836:
	s_or_saveexec_b32 s45, s45
                                        ; implicit-def: $sgpr46
	s_delay_alu instid0(SALU_CYCLE_1)
	s_xor_b32 exec_lo, exec_lo, s45
	s_cbranch_execz .LBB417_759
.LBB417_837:
	v_add_f32_e64 v6, 0x46000000, |v7|
	s_and_not1_b32 s23, s23, exec_lo
	s_mov_b32 s46, 0
	s_delay_alu instid0(VALU_DEP_1) | instskip(NEXT) | instid1(VALU_DEP_1)
	v_and_b32_e32 v6, 0xff, v6
	v_cmp_ne_u32_e32 vcc_lo, 0, v6
	s_and_b32 s47, vcc_lo, exec_lo
	s_delay_alu instid0(SALU_CYCLE_1)
	s_or_b32 s23, s23, s47
	s_or_b32 exec_lo, exec_lo, s45
	v_mov_b32_e32 v8, s46
	s_and_saveexec_b32 s45, s23
	s_cbranch_execnz .LBB417_760
	s_branch .LBB417_761
.LBB417_838:
	s_mov_b32 s7, -1
	s_mov_b32 s2, s22
	s_branch .LBB417_842
.LBB417_839:
	s_or_saveexec_b32 s45, s45
                                        ; implicit-def: $sgpr46
	s_delay_alu instid0(SALU_CYCLE_1)
	s_xor_b32 exec_lo, exec_lo, s45
	s_cbranch_execz .LBB417_772
.LBB417_840:
	v_add_f32_e64 v6, 0x42800000, |v7|
	s_and_not1_b32 s23, s23, exec_lo
	s_mov_b32 s46, 0
	s_delay_alu instid0(VALU_DEP_1) | instskip(NEXT) | instid1(VALU_DEP_1)
	v_and_b32_e32 v6, 0xff, v6
	v_cmp_ne_u32_e32 vcc_lo, 0, v6
	s_and_b32 s47, vcc_lo, exec_lo
	s_delay_alu instid0(SALU_CYCLE_1)
	s_or_b32 s23, s23, s47
	s_or_b32 exec_lo, exec_lo, s45
	v_mov_b32_e32 v8, s46
	s_and_saveexec_b32 s45, s23
	s_cbranch_execnz .LBB417_773
	s_branch .LBB417_774
.LBB417_841:
	s_mov_b32 s2, -1
.LBB417_842:
                                        ; implicit-def: $vgpr5
.LBB417_843:
	s_and_b32 vcc_lo, exec_lo, s7
	s_cbranch_vccz .LBB417_847
; %bb.844:
	v_cmp_eq_u16_e64 s2, s33, 44
	s_delay_alu instid0(VALU_DEP_1)
	s_and_b32 vcc_lo, exec_lo, s2
	s_cbranch_vccz .LBB417_846
; %bb.845:
	global_load_u8 v3, v[1:2], off
	s_mov_b32 s2, 0
	s_mov_b32 s6, -1
	s_waitcnt vmcnt(0)
	v_lshlrev_b32_e32 v4, 23, v3
	v_cmp_ne_u32_e32 vcc_lo, 0xff, v3
	s_delay_alu instid0(VALU_DEP_2) | instskip(SKIP_1) | instid1(VALU_DEP_2)
	v_cndmask_b32_e32 v4, 0x7f800001, v4, vcc_lo
	v_cmp_ne_u32_e32 vcc_lo, 0, v3
	v_cndmask_b32_e32 v3, 0x400000, v4, vcc_lo
	s_delay_alu instid0(VALU_DEP_1) | instskip(SKIP_1) | instid1(VALU_DEP_2)
	v_add_nc_u32_e32 v4, 0x7fff, v3
	v_cmp_o_f32_e32 vcc_lo, v3, v3
	v_lshrrev_b32_e32 v4, 16, v4
	s_delay_alu instid0(VALU_DEP_1)
	v_cndmask_b32_e32 v5, 0x7fc0, v4, vcc_lo
	s_branch .LBB417_847
.LBB417_846:
	s_mov_b32 s2, -1
                                        ; implicit-def: $vgpr5
.LBB417_847:
	s_mov_b32 s7, 0
.LBB417_848:
	s_delay_alu instid0(SALU_CYCLE_1)
	s_and_b32 vcc_lo, exec_lo, s7
	s_cbranch_vccz .LBB417_852
; %bb.849:
	v_cmp_eq_u16_e64 s2, s33, 29
	s_delay_alu instid0(VALU_DEP_1)
	s_and_b32 vcc_lo, exec_lo, s2
	s_cbranch_vccz .LBB417_851
; %bb.850:
	global_load_b64 v[3:4], v[1:2], off
	s_mov_b32 s2, 0
	s_mov_b32 s6, -1
	s_mov_b32 s7, 0
	s_waitcnt vmcnt(0)
	v_clz_i32_u32_e32 v5, v4
	s_delay_alu instid0(VALU_DEP_1) | instskip(NEXT) | instid1(VALU_DEP_1)
	v_min_u32_e32 v5, 32, v5
	v_lshlrev_b64 v[3:4], v5, v[3:4]
	s_delay_alu instid0(VALU_DEP_1) | instskip(NEXT) | instid1(VALU_DEP_1)
	v_min_u32_e32 v3, 1, v3
	v_or_b32_e32 v3, v4, v3
	v_sub_nc_u32_e32 v4, 32, v5
	s_delay_alu instid0(VALU_DEP_2) | instskip(NEXT) | instid1(VALU_DEP_1)
	v_cvt_f32_u32_e32 v3, v3
	v_ldexp_f32 v3, v3, v4
	s_delay_alu instid0(VALU_DEP_1) | instskip(NEXT) | instid1(VALU_DEP_1)
	v_bfe_u32 v4, v3, 16, 1
	v_add3_u32 v3, v3, v4, 0x7fff
	s_delay_alu instid0(VALU_DEP_1)
	v_lshrrev_b32_e32 v5, 16, v3
	s_branch .LBB417_853
.LBB417_851:
	s_mov_b32 s2, -1
                                        ; implicit-def: $vgpr5
.LBB417_852:
	s_mov_b32 s7, 0
.LBB417_853:
	s_delay_alu instid0(SALU_CYCLE_1)
	s_and_b32 vcc_lo, exec_lo, s7
	s_cbranch_vccz .LBB417_871
; %bb.854:
	v_cmp_lt_i16_e64 s6, s33, 27
	s_delay_alu instid0(VALU_DEP_1)
	s_and_b32 vcc_lo, exec_lo, s6
	s_cbranch_vccnz .LBB417_857
; %bb.855:
	v_cmp_gt_i16_e64 s6, s33, 27
	s_delay_alu instid0(VALU_DEP_1)
	s_and_b32 vcc_lo, exec_lo, s6
	s_cbranch_vccz .LBB417_858
; %bb.856:
	global_load_b32 v3, v[1:2], off
	s_mov_b32 s6, 0
	s_waitcnt vmcnt(0)
	v_cvt_f32_u32_e32 v3, v3
	s_delay_alu instid0(VALU_DEP_1) | instskip(NEXT) | instid1(VALU_DEP_1)
	v_bfe_u32 v4, v3, 16, 1
	v_add3_u32 v3, v3, v4, 0x7fff
	s_delay_alu instid0(VALU_DEP_1)
	v_lshrrev_b32_e32 v5, 16, v3
	s_branch .LBB417_859
.LBB417_857:
	s_mov_b32 s6, -1
                                        ; implicit-def: $vgpr5
	s_branch .LBB417_862
.LBB417_858:
	s_mov_b32 s6, -1
                                        ; implicit-def: $vgpr5
.LBB417_859:
	s_delay_alu instid0(SALU_CYCLE_1)
	s_and_not1_b32 vcc_lo, exec_lo, s6
	s_cbranch_vccnz .LBB417_861
; %bb.860:
	global_load_u16 v3, v[1:2], off
	s_waitcnt vmcnt(0)
	v_cvt_f32_u32_e32 v3, v3
	s_delay_alu instid0(VALU_DEP_1) | instskip(NEXT) | instid1(VALU_DEP_1)
	v_bfe_u32 v4, v3, 16, 1
	v_add3_u32 v3, v3, v4, 0x7fff
	s_delay_alu instid0(VALU_DEP_1)
	v_lshrrev_b32_e32 v5, 16, v3
.LBB417_861:
	s_mov_b32 s6, 0
.LBB417_862:
	s_delay_alu instid0(SALU_CYCLE_1)
	s_and_not1_b32 vcc_lo, exec_lo, s6
	s_cbranch_vccnz .LBB417_870
; %bb.863:
	global_load_u8 v3, v[1:2], off
	s_mov_b32 s6, 0
	s_mov_b32 s8, exec_lo
                                        ; implicit-def: $sgpr7
	s_waitcnt vmcnt(0)
	v_cmpx_lt_i16_e32 0x7f, v3
	s_xor_b32 s8, exec_lo, s8
	s_cbranch_execz .LBB417_884
; %bb.864:
	s_mov_b32 s6, -1
	s_mov_b32 s9, exec_lo
                                        ; implicit-def: $sgpr7
	v_cmpx_eq_u16_e32 0x80, v3
; %bb.865:
	s_mov_b32 s7, 0x7f800001
	s_xor_b32 s6, exec_lo, -1
; %bb.866:
	s_or_b32 exec_lo, exec_lo, s9
	s_delay_alu instid0(SALU_CYCLE_1)
	s_and_b32 s6, s6, exec_lo
	s_or_saveexec_b32 s8, s8
	v_mov_b32_e32 v4, s7
	s_xor_b32 exec_lo, exec_lo, s8
	s_cbranch_execnz .LBB417_885
.LBB417_867:
	s_or_b32 exec_lo, exec_lo, s8
	s_and_saveexec_b32 s7, s6
	s_cbranch_execz .LBB417_869
.LBB417_868:
	v_and_b32_e32 v4, 0xffff, v3
	v_lshlrev_b32_e32 v3, 24, v3
	s_delay_alu instid0(VALU_DEP_2) | instskip(NEXT) | instid1(VALU_DEP_2)
	v_and_b32_e32 v5, 7, v4
	v_and_b32_e32 v3, 0x80000000, v3
	s_delay_alu instid0(VALU_DEP_2) | instskip(NEXT) | instid1(VALU_DEP_1)
	v_clz_i32_u32_e32 v6, v5
	v_min_u32_e32 v6, 32, v6
	s_delay_alu instid0(VALU_DEP_1) | instskip(SKIP_1) | instid1(VALU_DEP_2)
	v_subrev_nc_u32_e32 v7, 28, v6
	v_sub_nc_u32_e32 v6, 29, v6
	v_lshlrev_b32_e32 v7, v7, v4
	v_bfe_u32 v4, v4, 3, 4
	s_delay_alu instid0(VALU_DEP_2) | instskip(NEXT) | instid1(VALU_DEP_2)
	v_and_b32_e32 v7, 7, v7
	v_cmp_eq_u32_e32 vcc_lo, 0, v4
	s_delay_alu instid0(VALU_DEP_2) | instskip(NEXT) | instid1(VALU_DEP_1)
	v_dual_cndmask_b32 v4, v4, v6 :: v_dual_cndmask_b32 v5, v5, v7
	v_lshl_add_u32 v4, v4, 23, 0x3b800000
	s_delay_alu instid0(VALU_DEP_2) | instskip(NEXT) | instid1(VALU_DEP_1)
	v_lshlrev_b32_e32 v5, 20, v5
	v_or3_b32 v4, v3, v4, v5
.LBB417_869:
	s_or_b32 exec_lo, exec_lo, s7
	s_delay_alu instid0(VALU_DEP_1) | instskip(SKIP_1) | instid1(VALU_DEP_2)
	v_bfe_u32 v3, v4, 16, 1
	v_cmp_o_f32_e32 vcc_lo, v4, v4
	v_add3_u32 v3, v4, v3, 0x7fff
	s_delay_alu instid0(VALU_DEP_1) | instskip(NEXT) | instid1(VALU_DEP_1)
	v_lshrrev_b32_e32 v3, 16, v3
	v_cndmask_b32_e32 v5, 0x7fc0, v3, vcc_lo
.LBB417_870:
	s_mov_b32 s6, -1
.LBB417_871:
	s_mov_b32 s7, 0
.LBB417_872:
	s_delay_alu instid0(SALU_CYCLE_1)
	s_and_b32 vcc_lo, exec_lo, s7
	s_cbranch_vccz .LBB417_905
; %bb.873:
	v_cmp_gt_i16_e64 s3, s33, 22
	s_delay_alu instid0(VALU_DEP_1)
	s_and_b32 vcc_lo, exec_lo, s3
	s_cbranch_vccz .LBB417_883
; %bb.874:
	v_cmp_lt_i16_e64 s3, s33, 24
	s_delay_alu instid0(VALU_DEP_1)
	s_and_b32 vcc_lo, exec_lo, s3
	s_cbranch_vccnz .LBB417_886
; %bb.875:
	v_cmp_gt_i16_e64 s3, s33, 24
	s_delay_alu instid0(VALU_DEP_1)
	s_and_b32 vcc_lo, exec_lo, s3
	s_cbranch_vccz .LBB417_887
; %bb.876:
	global_load_u8 v3, v[1:2], off
	s_mov_b32 s3, 0
	s_mov_b32 s7, exec_lo
                                        ; implicit-def: $sgpr6
	s_waitcnt vmcnt(0)
	v_cmpx_lt_i16_e32 0x7f, v3
	s_xor_b32 s7, exec_lo, s7
	s_cbranch_execz .LBB417_899
; %bb.877:
	s_mov_b32 s3, -1
	s_mov_b32 s8, exec_lo
                                        ; implicit-def: $sgpr6
	v_cmpx_eq_u16_e32 0x80, v3
; %bb.878:
	s_mov_b32 s6, 0x7f800001
	s_xor_b32 s3, exec_lo, -1
; %bb.879:
	s_or_b32 exec_lo, exec_lo, s8
	s_delay_alu instid0(SALU_CYCLE_1)
	s_and_b32 s3, s3, exec_lo
	s_or_saveexec_b32 s7, s7
	v_mov_b32_e32 v4, s6
	s_xor_b32 exec_lo, exec_lo, s7
	s_cbranch_execnz .LBB417_900
.LBB417_880:
	s_or_b32 exec_lo, exec_lo, s7
	s_and_saveexec_b32 s6, s3
	s_cbranch_execz .LBB417_882
.LBB417_881:
	v_and_b32_e32 v4, 0xffff, v3
	v_lshlrev_b32_e32 v3, 24, v3
	s_delay_alu instid0(VALU_DEP_2) | instskip(NEXT) | instid1(VALU_DEP_2)
	v_and_b32_e32 v5, 3, v4
	v_and_b32_e32 v3, 0x80000000, v3
	s_delay_alu instid0(VALU_DEP_2) | instskip(NEXT) | instid1(VALU_DEP_1)
	v_clz_i32_u32_e32 v6, v5
	v_min_u32_e32 v6, 32, v6
	s_delay_alu instid0(VALU_DEP_1) | instskip(SKIP_1) | instid1(VALU_DEP_2)
	v_subrev_nc_u32_e32 v7, 29, v6
	v_sub_nc_u32_e32 v6, 30, v6
	v_lshlrev_b32_e32 v7, v7, v4
	v_bfe_u32 v4, v4, 2, 5
	s_delay_alu instid0(VALU_DEP_2) | instskip(NEXT) | instid1(VALU_DEP_2)
	v_and_b32_e32 v7, 3, v7
	v_cmp_eq_u32_e32 vcc_lo, 0, v4
	s_delay_alu instid0(VALU_DEP_2) | instskip(NEXT) | instid1(VALU_DEP_1)
	v_dual_cndmask_b32 v4, v4, v6 :: v_dual_cndmask_b32 v5, v5, v7
	v_lshl_add_u32 v4, v4, 23, 0x37800000
	s_delay_alu instid0(VALU_DEP_2) | instskip(NEXT) | instid1(VALU_DEP_1)
	v_lshlrev_b32_e32 v5, 21, v5
	v_or3_b32 v4, v3, v4, v5
.LBB417_882:
	s_or_b32 exec_lo, exec_lo, s6
	s_delay_alu instid0(VALU_DEP_1) | instskip(SKIP_2) | instid1(VALU_DEP_2)
	v_bfe_u32 v3, v4, 16, 1
	v_cmp_o_f32_e32 vcc_lo, v4, v4
	s_mov_b32 s3, 0
	v_add3_u32 v3, v4, v3, 0x7fff
	s_delay_alu instid0(VALU_DEP_1) | instskip(NEXT) | instid1(VALU_DEP_1)
	v_lshrrev_b32_e32 v3, 16, v3
	v_cndmask_b32_e32 v5, 0x7fc0, v3, vcc_lo
	s_branch .LBB417_888
.LBB417_883:
	s_mov_b32 s3, -1
                                        ; implicit-def: $vgpr5
	s_branch .LBB417_894
.LBB417_884:
	s_or_saveexec_b32 s8, s8
	v_mov_b32_e32 v4, s7
	s_xor_b32 exec_lo, exec_lo, s8
	s_cbranch_execz .LBB417_867
.LBB417_885:
	v_cmp_ne_u16_e32 vcc_lo, 0, v3
	v_mov_b32_e32 v4, 0
	s_and_not1_b32 s6, s6, exec_lo
	s_and_b32 s7, vcc_lo, exec_lo
	s_delay_alu instid0(SALU_CYCLE_1)
	s_or_b32 s6, s6, s7
	s_or_b32 exec_lo, exec_lo, s8
	s_and_saveexec_b32 s7, s6
	s_cbranch_execnz .LBB417_868
	s_branch .LBB417_869
.LBB417_886:
	s_mov_b32 s3, -1
                                        ; implicit-def: $vgpr5
	s_branch .LBB417_891
.LBB417_887:
	s_mov_b32 s3, -1
                                        ; implicit-def: $vgpr5
.LBB417_888:
	s_delay_alu instid0(SALU_CYCLE_1)
	s_and_b32 vcc_lo, exec_lo, s3
	s_cbranch_vccz .LBB417_890
; %bb.889:
	global_load_u8 v3, v[1:2], off
	s_waitcnt vmcnt(0)
	v_lshlrev_b32_e32 v3, 24, v3
	s_delay_alu instid0(VALU_DEP_1) | instskip(NEXT) | instid1(VALU_DEP_1)
	v_and_b32_e32 v4, 0x7f000000, v3
	v_clz_i32_u32_e32 v5, v4
	v_add_nc_u32_e32 v7, 0x1000000, v4
	v_cmp_ne_u32_e32 vcc_lo, 0, v4
	s_delay_alu instid0(VALU_DEP_3) | instskip(NEXT) | instid1(VALU_DEP_1)
	v_min_u32_e32 v5, 32, v5
	v_sub_nc_u32_e64 v5, v5, 4 clamp
	s_delay_alu instid0(VALU_DEP_1) | instskip(SKIP_1) | instid1(VALU_DEP_2)
	v_lshlrev_b32_e32 v6, v5, v4
	v_lshlrev_b32_e32 v5, 23, v5
	v_lshrrev_b32_e32 v6, 4, v6
	s_delay_alu instid0(VALU_DEP_1) | instskip(SKIP_1) | instid1(VALU_DEP_2)
	v_sub_nc_u32_e32 v5, v6, v5
	v_ashrrev_i32_e32 v6, 8, v7
	v_add_nc_u32_e32 v5, 0x3c000000, v5
	s_delay_alu instid0(VALU_DEP_1) | instskip(NEXT) | instid1(VALU_DEP_1)
	v_and_or_b32 v5, 0x7f800000, v6, v5
	v_cndmask_b32_e32 v4, 0, v5, vcc_lo
	s_delay_alu instid0(VALU_DEP_1) | instskip(SKIP_1) | instid1(VALU_DEP_2)
	v_and_or_b32 v3, 0x80000000, v3, v4
	v_bfe_u32 v4, v4, 16, 1
	v_cmp_o_f32_e32 vcc_lo, v3, v3
	s_delay_alu instid0(VALU_DEP_2) | instskip(NEXT) | instid1(VALU_DEP_1)
	v_add3_u32 v4, v3, v4, 0x7fff
	v_lshrrev_b32_e32 v4, 16, v4
	s_delay_alu instid0(VALU_DEP_1)
	v_cndmask_b32_e32 v5, 0x7fc0, v4, vcc_lo
.LBB417_890:
	s_mov_b32 s3, 0
.LBB417_891:
	s_delay_alu instid0(SALU_CYCLE_1)
	s_and_not1_b32 vcc_lo, exec_lo, s3
	s_cbranch_vccnz .LBB417_893
; %bb.892:
	global_load_u8 v3, v[1:2], off
	s_waitcnt vmcnt(0)
	v_lshlrev_b32_e32 v4, 25, v3
	v_lshlrev_b16 v3, 8, v3
	s_delay_alu instid0(VALU_DEP_2) | instskip(NEXT) | instid1(VALU_DEP_2)
	v_lshrrev_b32_e32 v5, 4, v4
	v_and_or_b32 v6, 0x7f00, v3, 0.5
	v_bfe_i32 v3, v3, 0, 16
	s_delay_alu instid0(VALU_DEP_3) | instskip(NEXT) | instid1(VALU_DEP_1)
	v_or_b32_e32 v5, 0x70000000, v5
	v_dual_add_f32 v6, -0.5, v6 :: v_dual_mul_f32 v5, 0x7800000, v5
	v_cmp_gt_u32_e32 vcc_lo, 0x8000000, v4
	s_delay_alu instid0(VALU_DEP_2) | instskip(NEXT) | instid1(VALU_DEP_1)
	v_cndmask_b32_e32 v4, v5, v6, vcc_lo
	v_and_or_b32 v3, 0x80000000, v3, v4
	v_bfe_u32 v4, v4, 16, 1
	s_delay_alu instid0(VALU_DEP_2) | instskip(NEXT) | instid1(VALU_DEP_2)
	v_cmp_o_f32_e32 vcc_lo, v3, v3
	v_add3_u32 v4, v3, v4, 0x7fff
	s_delay_alu instid0(VALU_DEP_1) | instskip(NEXT) | instid1(VALU_DEP_1)
	v_lshrrev_b32_e32 v4, 16, v4
	v_cndmask_b32_e32 v5, 0x7fc0, v4, vcc_lo
.LBB417_893:
	s_mov_b32 s3, 0
	s_mov_b32 s6, -1
.LBB417_894:
	s_and_not1_b32 vcc_lo, exec_lo, s3
	s_mov_b32 s3, 0
	s_cbranch_vccnz .LBB417_905
; %bb.895:
	v_cmp_gt_i16_e64 s3, s33, 14
	s_delay_alu instid0(VALU_DEP_1)
	s_and_b32 vcc_lo, exec_lo, s3
	s_cbranch_vccz .LBB417_898
; %bb.896:
	v_cmp_eq_u16_e64 s2, s33, 15
	s_delay_alu instid0(VALU_DEP_1)
	s_and_b32 vcc_lo, exec_lo, s2
	s_cbranch_vccz .LBB417_901
; %bb.897:
	global_load_u16 v5, v[1:2], off
	s_mov_b32 s2, 0
	s_mov_b32 s6, -1
	s_branch .LBB417_902
.LBB417_898:
	s_mov_b32 s3, -1
                                        ; implicit-def: $vgpr5
	s_branch .LBB417_903
.LBB417_899:
	s_or_saveexec_b32 s7, s7
	v_mov_b32_e32 v4, s6
	s_xor_b32 exec_lo, exec_lo, s7
	s_cbranch_execz .LBB417_880
.LBB417_900:
	v_cmp_ne_u16_e32 vcc_lo, 0, v3
	v_mov_b32_e32 v4, 0
	s_and_not1_b32 s3, s3, exec_lo
	s_and_b32 s6, vcc_lo, exec_lo
	s_delay_alu instid0(SALU_CYCLE_1)
	s_or_b32 s3, s3, s6
	s_or_b32 exec_lo, exec_lo, s7
	s_and_saveexec_b32 s6, s3
	s_cbranch_execnz .LBB417_881
	s_branch .LBB417_882
.LBB417_901:
	s_mov_b32 s2, -1
                                        ; implicit-def: $vgpr5
.LBB417_902:
	s_mov_b32 s3, 0
.LBB417_903:
	s_delay_alu instid0(SALU_CYCLE_1)
	s_and_b32 vcc_lo, exec_lo, s3
	s_mov_b32 s3, 0
	s_cbranch_vccz .LBB417_905
; %bb.904:
	v_cmp_ne_u16_e64 s3, s33, 11
	s_and_not1_b32 s2, s2, exec_lo
                                        ; implicit-def: $vgpr5
	s_delay_alu instid0(VALU_DEP_1)
	s_and_b32 s7, s3, exec_lo
	s_mov_b32 s3, -1
	s_or_b32 s2, s2, s7
.LBB417_905:
	s_mov_b32 s7, 0
.LBB417_906:
	s_and_b32 s45, s6, exec_lo
	s_and_b32 s46, s7, exec_lo
	s_and_not1_b32 s6, s22, exec_lo
	s_and_b32 s7, s2, exec_lo
	s_and_b32 s2, s3, exec_lo
	s_or_b32 s47, s6, s7
.LBB417_907:
	s_or_b32 exec_lo, exec_lo, s35
	s_delay_alu instid0(SALU_CYCLE_1)
	s_and_not1_b32 s6, s22, exec_lo
	s_and_b32 s7, s47, exec_lo
	s_and_b32 s45, s45, exec_lo
	;; [unrolled: 1-line block ×4, first 2 shown]
	s_or_b32 s22, s6, s7
.LBB417_908:
	s_or_b32 exec_lo, exec_lo, s44
	s_delay_alu instid0(SALU_CYCLE_1)
	s_and_not1_b32 s6, s42, exec_lo
	s_and_b32 s7, s23, exec_lo
	s_and_b32 s44, s45, exec_lo
	s_or_b32 s42, s6, s7
	s_and_not1_b32 s6, s41, exec_lo
	s_and_b32 s7, s22, exec_lo
	s_and_b32 s23, s3, exec_lo
	;; [unrolled: 1-line block ×3, first 2 shown]
	s_or_b32 s41, s6, s7
.LBB417_909:
	s_or_b32 exec_lo, exec_lo, s43
	s_delay_alu instid0(SALU_CYCLE_1)
	s_and_not1_b32 s2, s38, exec_lo
	s_and_b32 s6, s42, exec_lo
	s_and_b32 s7, s41, exec_lo
	s_or_b32 s38, s2, s6
	s_and_not1_b32 s6, s39, exec_lo
	s_and_b32 s2, s44, exec_lo
	s_and_b32 s22, s23, exec_lo
	s_and_b32 s41, s3, exec_lo
	s_or_b32 s39, s6, s7
.LBB417_910:
	s_or_b32 exec_lo, exec_lo, s40
	s_mov_b32 s6, 0
	s_and_saveexec_b32 s3, s39
	s_cbranch_execnz .LBB417_922
; %bb.911:
	s_or_b32 exec_lo, exec_lo, s3
	s_and_saveexec_b32 s3, s41
	s_delay_alu instid0(SALU_CYCLE_1)
	s_xor_b32 s3, exec_lo, s3
	s_cbranch_execz .LBB417_913
.LBB417_912:
	global_load_u8 v3, v[1:2], off
	s_or_b32 s2, s2, exec_lo
	s_waitcnt vmcnt(0)
	v_cmp_ne_u16_e32 vcc_lo, 0, v3
	v_cndmask_b32_e64 v3, 0, 1.0, vcc_lo
	s_delay_alu instid0(VALU_DEP_1)
	v_lshrrev_b32_e32 v5, 16, v3
.LBB417_913:
	s_or_b32 exec_lo, exec_lo, s3
	s_and_saveexec_b32 s3, s22
	s_cbranch_execz .LBB417_961
; %bb.914:
	v_cmp_lt_i16_e64 s7, s33, 5
	s_delay_alu instid0(VALU_DEP_1)
	s_and_b32 vcc_lo, exec_lo, s7
	s_cbranch_vccnz .LBB417_919
; %bb.915:
	v_cmp_lt_i16_e64 s7, s33, 8
	s_delay_alu instid0(VALU_DEP_1)
	s_and_b32 vcc_lo, exec_lo, s7
	s_cbranch_vccnz .LBB417_920
	;; [unrolled: 5-line block ×3, first 2 shown]
; %bb.917:
	v_cmp_gt_i16_e64 s7, s33, 9
	s_delay_alu instid0(VALU_DEP_1)
	s_and_b32 vcc_lo, exec_lo, s7
	s_cbranch_vccz .LBB417_924
; %bb.918:
	global_load_b64 v[3:4], v[1:2], off
	s_mov_b32 s7, 0
	s_waitcnt vmcnt(0)
	v_cvt_f32_f64_e32 v3, v[3:4]
	s_delay_alu instid0(VALU_DEP_1) | instskip(SKIP_1) | instid1(VALU_DEP_2)
	v_bfe_u32 v4, v3, 16, 1
	v_cmp_o_f32_e32 vcc_lo, v3, v3
	v_add3_u32 v4, v3, v4, 0x7fff
	s_delay_alu instid0(VALU_DEP_1) | instskip(NEXT) | instid1(VALU_DEP_1)
	v_lshrrev_b32_e32 v4, 16, v4
	v_cndmask_b32_e32 v5, 0x7fc0, v4, vcc_lo
	s_branch .LBB417_925
.LBB417_919:
                                        ; implicit-def: $vgpr5
	s_branch .LBB417_942
.LBB417_920:
                                        ; implicit-def: $vgpr5
	s_branch .LBB417_931
.LBB417_921:
	s_mov_b32 s7, -1
                                        ; implicit-def: $vgpr5
	s_branch .LBB417_928
.LBB417_922:
	s_cbranch_execnz .LBB417_1192
; %bb.923:
	s_mov_b32 s6, exec_lo
	s_and_not1_b32 s41, s41, exec_lo
                                        ; implicit-def: $vgpr5
	s_or_b32 exec_lo, exec_lo, s3
	s_and_saveexec_b32 s3, s41
	s_delay_alu instid0(SALU_CYCLE_1)
	s_xor_b32 s3, exec_lo, s3
	s_cbranch_execnz .LBB417_912
	s_branch .LBB417_913
.LBB417_924:
	s_mov_b32 s7, -1
                                        ; implicit-def: $vgpr5
.LBB417_925:
	s_delay_alu instid0(SALU_CYCLE_1)
	s_and_not1_b32 vcc_lo, exec_lo, s7
	s_cbranch_vccnz .LBB417_927
; %bb.926:
	global_load_b32 v3, v[1:2], off
	s_waitcnt vmcnt(0)
	v_bfe_u32 v4, v3, 16, 1
	v_cmp_o_f32_e32 vcc_lo, v3, v3
	s_delay_alu instid0(VALU_DEP_2) | instskip(NEXT) | instid1(VALU_DEP_1)
	v_add3_u32 v4, v3, v4, 0x7fff
	v_lshrrev_b32_e32 v4, 16, v4
	s_delay_alu instid0(VALU_DEP_1)
	v_cndmask_b32_e32 v5, 0x7fc0, v4, vcc_lo
.LBB417_927:
	s_mov_b32 s7, 0
.LBB417_928:
	s_delay_alu instid0(SALU_CYCLE_1)
	s_and_not1_b32 vcc_lo, exec_lo, s7
	s_cbranch_vccnz .LBB417_930
; %bb.929:
	global_load_b32 v3, v[1:2], off
	s_waitcnt vmcnt(0)
	v_cvt_f32_f16_e32 v4, v3
	v_cmp_o_f16_e32 vcc_lo, v3, v3
	s_delay_alu instid0(VALU_DEP_2) | instskip(NEXT) | instid1(VALU_DEP_1)
	v_bfe_u32 v5, v4, 16, 1
	v_add3_u32 v4, v4, v5, 0x7fff
	s_delay_alu instid0(VALU_DEP_1) | instskip(NEXT) | instid1(VALU_DEP_1)
	v_lshrrev_b32_e32 v4, 16, v4
	v_cndmask_b32_e32 v5, 0x7fc0, v4, vcc_lo
.LBB417_930:
	s_cbranch_execnz .LBB417_941
.LBB417_931:
	v_cmp_lt_i16_e64 s7, s33, 6
	s_delay_alu instid0(VALU_DEP_1)
	s_and_b32 vcc_lo, exec_lo, s7
	s_cbranch_vccnz .LBB417_934
; %bb.932:
	v_cmp_gt_i16_e64 s7, s33, 6
	s_delay_alu instid0(VALU_DEP_1)
	s_and_b32 vcc_lo, exec_lo, s7
	s_cbranch_vccz .LBB417_935
; %bb.933:
	global_load_b64 v[3:4], v[1:2], off
	s_mov_b32 s7, 0
	s_waitcnt vmcnt(0)
	v_cvt_f32_f64_e32 v3, v[3:4]
	s_delay_alu instid0(VALU_DEP_1) | instskip(SKIP_1) | instid1(VALU_DEP_2)
	v_bfe_u32 v4, v3, 16, 1
	v_cmp_o_f32_e32 vcc_lo, v3, v3
	v_add3_u32 v4, v3, v4, 0x7fff
	s_delay_alu instid0(VALU_DEP_1) | instskip(NEXT) | instid1(VALU_DEP_1)
	v_lshrrev_b32_e32 v4, 16, v4
	v_cndmask_b32_e32 v5, 0x7fc0, v4, vcc_lo
	s_branch .LBB417_936
.LBB417_934:
	s_mov_b32 s7, -1
                                        ; implicit-def: $vgpr5
	s_branch .LBB417_939
.LBB417_935:
	s_mov_b32 s7, -1
                                        ; implicit-def: $vgpr5
.LBB417_936:
	s_delay_alu instid0(SALU_CYCLE_1)
	s_and_not1_b32 vcc_lo, exec_lo, s7
	s_cbranch_vccnz .LBB417_938
; %bb.937:
	global_load_b32 v3, v[1:2], off
	s_waitcnt vmcnt(0)
	v_bfe_u32 v4, v3, 16, 1
	v_cmp_o_f32_e32 vcc_lo, v3, v3
	s_delay_alu instid0(VALU_DEP_2) | instskip(NEXT) | instid1(VALU_DEP_1)
	v_add3_u32 v4, v3, v4, 0x7fff
	v_lshrrev_b32_e32 v4, 16, v4
	s_delay_alu instid0(VALU_DEP_1)
	v_cndmask_b32_e32 v5, 0x7fc0, v4, vcc_lo
.LBB417_938:
	s_mov_b32 s7, 0
.LBB417_939:
	s_delay_alu instid0(SALU_CYCLE_1)
	s_and_not1_b32 vcc_lo, exec_lo, s7
	s_cbranch_vccnz .LBB417_941
; %bb.940:
	global_load_u16 v3, v[1:2], off
	s_waitcnt vmcnt(0)
	v_cvt_f32_f16_e32 v4, v3
	v_cmp_o_f16_e32 vcc_lo, v3, v3
	s_delay_alu instid0(VALU_DEP_2) | instskip(NEXT) | instid1(VALU_DEP_1)
	v_bfe_u32 v5, v4, 16, 1
	v_add3_u32 v4, v4, v5, 0x7fff
	s_delay_alu instid0(VALU_DEP_1) | instskip(NEXT) | instid1(VALU_DEP_1)
	v_lshrrev_b32_e32 v4, 16, v4
	v_cndmask_b32_e32 v5, 0x7fc0, v4, vcc_lo
.LBB417_941:
	s_cbranch_execnz .LBB417_960
.LBB417_942:
	v_cmp_lt_i16_e64 s7, s33, 2
	s_delay_alu instid0(VALU_DEP_1)
	s_and_b32 vcc_lo, exec_lo, s7
	s_cbranch_vccnz .LBB417_946
; %bb.943:
	v_cmp_lt_i16_e64 s7, s33, 3
	s_delay_alu instid0(VALU_DEP_1)
	s_and_b32 vcc_lo, exec_lo, s7
	s_cbranch_vccnz .LBB417_947
; %bb.944:
	v_cmp_gt_i16_e64 s7, s33, 3
	s_delay_alu instid0(VALU_DEP_1)
	s_and_b32 vcc_lo, exec_lo, s7
	s_cbranch_vccz .LBB417_948
; %bb.945:
	global_load_b64 v[3:4], v[1:2], off
	s_mov_b32 s7, 0
	s_waitcnt vmcnt(0)
	v_xor_b32_e32 v5, v3, v4
	v_cls_i32_e32 v6, v4
	s_delay_alu instid0(VALU_DEP_2) | instskip(NEXT) | instid1(VALU_DEP_2)
	v_ashrrev_i32_e32 v5, 31, v5
	v_add_nc_u32_e32 v6, -1, v6
	s_delay_alu instid0(VALU_DEP_2) | instskip(NEXT) | instid1(VALU_DEP_1)
	v_add_nc_u32_e32 v5, 32, v5
	v_min_u32_e32 v5, v6, v5
	s_delay_alu instid0(VALU_DEP_1) | instskip(NEXT) | instid1(VALU_DEP_1)
	v_lshlrev_b64 v[3:4], v5, v[3:4]
	v_min_u32_e32 v3, 1, v3
	s_delay_alu instid0(VALU_DEP_1) | instskip(SKIP_1) | instid1(VALU_DEP_2)
	v_or_b32_e32 v3, v4, v3
	v_sub_nc_u32_e32 v4, 32, v5
	v_cvt_f32_i32_e32 v3, v3
	s_delay_alu instid0(VALU_DEP_1) | instskip(NEXT) | instid1(VALU_DEP_1)
	v_ldexp_f32 v3, v3, v4
	v_bfe_u32 v4, v3, 16, 1
	s_delay_alu instid0(VALU_DEP_1) | instskip(NEXT) | instid1(VALU_DEP_1)
	v_add3_u32 v3, v3, v4, 0x7fff
	v_lshrrev_b32_e32 v5, 16, v3
	s_branch .LBB417_949
.LBB417_946:
                                        ; implicit-def: $vgpr5
	s_branch .LBB417_955
.LBB417_947:
	s_mov_b32 s7, -1
                                        ; implicit-def: $vgpr5
	s_branch .LBB417_952
.LBB417_948:
	s_mov_b32 s7, -1
                                        ; implicit-def: $vgpr5
.LBB417_949:
	s_delay_alu instid0(SALU_CYCLE_1)
	s_and_not1_b32 vcc_lo, exec_lo, s7
	s_cbranch_vccnz .LBB417_951
; %bb.950:
	global_load_b32 v3, v[1:2], off
	s_waitcnt vmcnt(0)
	v_cvt_f32_i32_e32 v3, v3
	s_delay_alu instid0(VALU_DEP_1) | instskip(NEXT) | instid1(VALU_DEP_1)
	v_bfe_u32 v4, v3, 16, 1
	v_add3_u32 v3, v3, v4, 0x7fff
	s_delay_alu instid0(VALU_DEP_1)
	v_lshrrev_b32_e32 v5, 16, v3
.LBB417_951:
	s_mov_b32 s7, 0
.LBB417_952:
	s_delay_alu instid0(SALU_CYCLE_1)
	s_and_not1_b32 vcc_lo, exec_lo, s7
	s_cbranch_vccnz .LBB417_954
; %bb.953:
	global_load_i16 v3, v[1:2], off
	s_waitcnt vmcnt(0)
	v_cvt_f32_i32_e32 v3, v3
	s_delay_alu instid0(VALU_DEP_1) | instskip(NEXT) | instid1(VALU_DEP_1)
	v_bfe_u32 v4, v3, 16, 1
	v_add3_u32 v3, v3, v4, 0x7fff
	s_delay_alu instid0(VALU_DEP_1)
	v_lshrrev_b32_e32 v5, 16, v3
.LBB417_954:
	s_cbranch_execnz .LBB417_960
.LBB417_955:
	v_cmp_gt_i16_e64 s7, s33, 0
	s_delay_alu instid0(VALU_DEP_1)
	s_and_b32 vcc_lo, exec_lo, s7
	s_mov_b32 s7, 0
	s_cbranch_vccz .LBB417_957
; %bb.956:
	global_load_i8 v3, v[1:2], off
	s_waitcnt vmcnt(0)
	v_cvt_f32_i32_e32 v3, v3
	s_delay_alu instid0(VALU_DEP_1) | instskip(NEXT) | instid1(VALU_DEP_1)
	v_bfe_u32 v4, v3, 16, 1
	v_add3_u32 v3, v3, v4, 0x7fff
	s_delay_alu instid0(VALU_DEP_1)
	v_lshrrev_b32_e32 v5, 16, v3
	s_branch .LBB417_958
.LBB417_957:
	s_mov_b32 s7, -1
                                        ; implicit-def: $vgpr5
.LBB417_958:
	s_delay_alu instid0(SALU_CYCLE_1)
	s_and_not1_b32 vcc_lo, exec_lo, s7
	s_cbranch_vccnz .LBB417_960
; %bb.959:
	global_load_u8 v1, v[1:2], off
	s_waitcnt vmcnt(0)
	v_cvt_f32_ubyte0_e32 v1, v1
	s_delay_alu instid0(VALU_DEP_1) | instskip(NEXT) | instid1(VALU_DEP_1)
	v_bfe_u32 v2, v1, 16, 1
	v_add3_u32 v1, v1, v2, 0x7fff
	s_delay_alu instid0(VALU_DEP_1)
	v_lshrrev_b32_e32 v5, 16, v1
.LBB417_960:
	s_or_b32 s2, s2, exec_lo
.LBB417_961:
	s_or_b32 exec_lo, exec_lo, s3
	s_mov_b32 s8, 0
	s_mov_b32 s3, 0
                                        ; implicit-def: $vgpr4
                                        ; implicit-def: $vgpr1_vgpr2
                                        ; implicit-def: $vgpr3
	s_and_saveexec_b32 s7, s2
	s_cbranch_execz .LBB417_1038
; %bb.962:
	s_waitcnt vmcnt(0)
	v_lshlrev_b32_e32 v1, 16, v5
	v_and_b32_e64 v4, 0xff, s30
	s_delay_alu instid0(VALU_DEP_2) | instskip(SKIP_1) | instid1(VALU_DEP_3)
	v_cmp_u_f32_e32 vcc_lo, v1, v1
	v_cmp_lt_f32_e64 s2, s31, v1
	v_cmp_gt_i16_e64 s3, 11, v4
	s_delay_alu instid0(VALU_DEP_2)
	s_or_b32 vcc_lo, vcc_lo, s2
	v_add_co_u32 v1, s2, s4, v0
	v_cndmask_b32_e32 v3, s29, v5, vcc_lo
	v_add_co_ci_u32_e64 v2, null, s5, 0, s2
	s_mov_b32 s4, -1
	s_and_b32 vcc_lo, exec_lo, s3
	s_mov_b32 s2, s38
	s_cbranch_vccnz .LBB417_1037
; %bb.963:
	v_cmp_lt_i16_e32 vcc_lo, 25, v4
	s_mov_b32 s3, -1
	s_mov_b32 s2, s38
	s_cbranch_vccz .LBB417_996
; %bb.964:
	v_cmp_lt_i16_e32 vcc_lo, 28, v4
	s_mov_b32 s2, s38
	s_cbranch_vccz .LBB417_980
; %bb.965:
	v_cmp_lt_i16_e32 vcc_lo, 43, v4
	;; [unrolled: 4-line block ×3, first 2 shown]
	s_mov_b32 s2, s38
	s_cbranch_vccz .LBB417_970
; %bb.967:
	v_cmp_eq_u16_e32 vcc_lo, 46, v4
	s_mov_b32 s2, -1
	s_cbranch_vccz .LBB417_969
; %bb.968:
	v_and_b32_e32 v0, 0xffff, v3
	s_mov_b32 s2, 0
	global_store_b32 v[1:2], v0, off
.LBB417_969:
	s_mov_b32 s3, 0
.LBB417_970:
	s_delay_alu instid0(SALU_CYCLE_1)
	s_and_b32 vcc_lo, exec_lo, s3
	s_cbranch_vccz .LBB417_975
; %bb.971:
	v_cmp_eq_u16_e32 vcc_lo, 44, v4
	s_mov_b32 s2, -1
	s_cbranch_vccz .LBB417_975
; %bb.972:
	v_and_b32_e32 v0, 0xffff, v3
	v_mov_b32_e32 v5, 0xff
	s_mov_b32 s3, exec_lo
	s_delay_alu instid0(VALU_DEP_2) | instskip(NEXT) | instid1(VALU_DEP_1)
	v_bfe_u32 v6, v0, 7, 8
	v_cmpx_ne_u32_e32 0xff, v6
; %bb.973:
	v_lshlrev_b32_e32 v5, 16, v0
	v_and_b32_e32 v7, 64, v0
	v_lshrrev_b32_e32 v0, 7, v0
	s_delay_alu instid0(VALU_DEP_3) | instskip(NEXT) | instid1(VALU_DEP_3)
	v_and_or_b32 v5, 0x3f0000, v5, v6
	v_cmp_ne_u32_e32 vcc_lo, 0, v7
	s_delay_alu instid0(VALU_DEP_2) | instskip(NEXT) | instid1(VALU_DEP_1)
	v_cmp_ne_u32_e64 s2, 0, v5
	s_and_b32 s2, vcc_lo, s2
	s_delay_alu instid0(SALU_CYCLE_1) | instskip(NEXT) | instid1(VALU_DEP_1)
	v_cndmask_b32_e64 v5, 0, 1, s2
	v_add_nc_u32_e32 v5, v0, v5
; %bb.974:
	s_or_b32 exec_lo, exec_lo, s3
	s_mov_b32 s2, 0
	global_store_b8 v[1:2], v5, off
.LBB417_975:
	s_mov_b32 s3, 0
.LBB417_976:
	s_delay_alu instid0(SALU_CYCLE_1)
	s_and_b32 vcc_lo, exec_lo, s3
	s_cbranch_vccz .LBB417_979
; %bb.977:
	v_cmp_eq_u16_e32 vcc_lo, 29, v4
	s_mov_b32 s2, -1
	s_cbranch_vccz .LBB417_979
; %bb.978:
	v_lshlrev_b32_e32 v0, 16, v3
	s_mov_b32 s2, 0
	s_delay_alu instid0(VALU_DEP_1) | instskip(NEXT) | instid1(VALU_DEP_1)
	v_trunc_f32_e32 v0, v0
	v_mul_f32_e32 v5, 0x2f800000, v0
	s_delay_alu instid0(VALU_DEP_1) | instskip(NEXT) | instid1(VALU_DEP_1)
	v_floor_f32_e32 v5, v5
	v_fmamk_f32 v0, v5, 0xcf800000, v0
	v_cvt_u32_f32_e32 v6, v5
	s_delay_alu instid0(VALU_DEP_2)
	v_cvt_u32_f32_e32 v5, v0
	global_store_b64 v[1:2], v[5:6], off
.LBB417_979:
	s_mov_b32 s3, 0
.LBB417_980:
	s_delay_alu instid0(SALU_CYCLE_1)
	s_and_b32 vcc_lo, exec_lo, s3
	s_cbranch_vccz .LBB417_995
; %bb.981:
	v_cmp_gt_i16_e32 vcc_lo, 27, v4
	s_mov_b32 s3, -1
	s_cbranch_vccnz .LBB417_987
; %bb.982:
	v_cmp_lt_i16_e32 vcc_lo, 27, v4
	s_cbranch_vccz .LBB417_984
; %bb.983:
	v_lshlrev_b32_e32 v0, 16, v3
	s_mov_b32 s3, 0
	s_delay_alu instid0(VALU_DEP_1)
	v_cvt_u32_f32_e32 v0, v0
	global_store_b32 v[1:2], v0, off
.LBB417_984:
	s_and_not1_b32 vcc_lo, exec_lo, s3
	s_cbranch_vccnz .LBB417_986
; %bb.985:
	v_lshlrev_b32_e32 v0, 16, v3
	s_delay_alu instid0(VALU_DEP_1)
	v_cvt_u32_f32_e32 v0, v0
	global_store_b16 v[1:2], v0, off
.LBB417_986:
	s_mov_b32 s3, 0
.LBB417_987:
	s_delay_alu instid0(SALU_CYCLE_1)
	s_and_not1_b32 vcc_lo, exec_lo, s3
	s_cbranch_vccnz .LBB417_995
; %bb.988:
	v_dual_mov_b32 v7, 0x80 :: v_dual_lshlrev_b32 v6, 16, v3
	s_mov_b32 s3, exec_lo
	s_delay_alu instid0(VALU_DEP_1) | instskip(NEXT) | instid1(VALU_DEP_1)
	v_and_b32_e32 v5, 0x7fffffff, v6
	v_cmpx_gt_u32_e32 0x43800000, v5
	s_cbranch_execz .LBB417_994
; %bb.989:
	v_and_b32_e32 v0, 0xffff, v3
	v_cmp_lt_u32_e32 vcc_lo, 0x3bffffff, v5
	s_mov_b32 s4, 0
                                        ; implicit-def: $vgpr5
	s_and_saveexec_b32 s5, vcc_lo
	s_delay_alu instid0(SALU_CYCLE_1)
	s_xor_b32 s5, exec_lo, s5
	s_cbranch_execz .LBB417_1283
; %bb.990:
	v_bfe_u32 v5, v0, 4, 1
	s_mov_b32 s4, exec_lo
	s_delay_alu instid0(VALU_DEP_1) | instskip(NEXT) | instid1(VALU_DEP_1)
	v_add3_u32 v5, v6, v5, 0x487ffff
                                        ; implicit-def: $vgpr6
	v_lshrrev_b32_e32 v5, 20, v5
	s_or_saveexec_b32 s5, s5
                                        ; implicit-def: $sgpr8
	s_delay_alu instid0(SALU_CYCLE_1)
	s_xor_b32 exec_lo, exec_lo, s5
	s_cbranch_execnz .LBB417_1284
.LBB417_991:
	s_or_b32 exec_lo, exec_lo, s5
	v_mov_b32_e32 v7, s8
	s_and_saveexec_b32 s5, s4
.LBB417_992:
	v_lshrrev_b32_e32 v0, 8, v0
	s_delay_alu instid0(VALU_DEP_1)
	v_and_or_b32 v7, 0x80, v0, v5
.LBB417_993:
	s_or_b32 exec_lo, exec_lo, s5
.LBB417_994:
	s_delay_alu instid0(SALU_CYCLE_1)
	s_or_b32 exec_lo, exec_lo, s3
	global_store_b8 v[1:2], v7, off
.LBB417_995:
	s_mov_b32 s3, 0
.LBB417_996:
	s_delay_alu instid0(SALU_CYCLE_1)
	s_and_b32 vcc_lo, exec_lo, s3
	s_mov_b32 s4, 0
	s_cbranch_vccz .LBB417_1036
; %bb.997:
	v_cmp_lt_i16_e32 vcc_lo, 22, v4
	s_mov_b32 s3, -1
	s_cbranch_vccz .LBB417_1029
; %bb.998:
	v_cmp_gt_i16_e32 vcc_lo, 24, v4
	s_cbranch_vccnz .LBB417_1018
; %bb.999:
	v_cmp_lt_i16_e32 vcc_lo, 24, v4
	s_cbranch_vccz .LBB417_1007
; %bb.1000:
	v_dual_mov_b32 v7, 0x80 :: v_dual_lshlrev_b32 v6, 16, v3
	s_mov_b32 s3, exec_lo
	s_delay_alu instid0(VALU_DEP_1) | instskip(NEXT) | instid1(VALU_DEP_1)
	v_and_b32_e32 v5, 0x7fffffff, v6
	v_cmpx_gt_u32_e32 0x47800000, v5
	s_cbranch_execz .LBB417_1006
; %bb.1001:
	v_and_b32_e32 v0, 0xffff, v3
	v_cmp_lt_u32_e32 vcc_lo, 0x37ffffff, v5
	s_mov_b32 s5, 0
                                        ; implicit-def: $vgpr5
	s_and_saveexec_b32 s8, vcc_lo
	s_delay_alu instid0(SALU_CYCLE_1)
	s_xor_b32 s8, exec_lo, s8
	s_cbranch_execz .LBB417_1327
; %bb.1002:
	v_bfe_u32 v5, v0, 5, 1
	s_mov_b32 s5, exec_lo
	s_delay_alu instid0(VALU_DEP_1) | instskip(NEXT) | instid1(VALU_DEP_1)
	v_add3_u32 v5, v6, v5, 0x88fffff
                                        ; implicit-def: $vgpr6
	v_lshrrev_b32_e32 v5, 21, v5
	s_or_saveexec_b32 s8, s8
                                        ; implicit-def: $sgpr9
	s_delay_alu instid0(SALU_CYCLE_1)
	s_xor_b32 exec_lo, exec_lo, s8
	s_cbranch_execnz .LBB417_1328
.LBB417_1003:
	s_or_b32 exec_lo, exec_lo, s8
	v_mov_b32_e32 v7, s9
	s_and_saveexec_b32 s8, s5
.LBB417_1004:
	v_lshrrev_b32_e32 v0, 8, v0
	s_delay_alu instid0(VALU_DEP_1)
	v_and_or_b32 v7, 0x80, v0, v5
.LBB417_1005:
	s_or_b32 exec_lo, exec_lo, s8
.LBB417_1006:
	s_delay_alu instid0(SALU_CYCLE_1)
	s_or_b32 exec_lo, exec_lo, s3
	s_mov_b32 s3, 0
	global_store_b8 v[1:2], v7, off
.LBB417_1007:
	s_and_b32 vcc_lo, exec_lo, s3
	s_cbranch_vccz .LBB417_1017
; %bb.1008:
	v_lshlrev_b32_e32 v6, 16, v3
	v_and_b32_e32 v0, 0xffff, v3
	s_mov_b32 s3, exec_lo
                                        ; implicit-def: $vgpr5
	s_delay_alu instid0(VALU_DEP_2) | instskip(NEXT) | instid1(VALU_DEP_1)
	v_and_b32_e32 v7, 0x7fffffff, v6
	v_cmpx_gt_u32_e32 0x43f00000, v7
	s_xor_b32 s3, exec_lo, s3
	s_cbranch_execz .LBB417_1014
; %bb.1009:
	s_mov_b32 s5, exec_lo
                                        ; implicit-def: $vgpr5
	v_cmpx_lt_u32_e32 0x3c7fffff, v7
	s_xor_b32 s5, exec_lo, s5
; %bb.1010:
	v_bfe_u32 v5, v0, 4, 1
	s_delay_alu instid0(VALU_DEP_1) | instskip(NEXT) | instid1(VALU_DEP_1)
	v_add3_u32 v5, v6, v5, 0x407ffff
	v_and_b32_e32 v6, 0xff00000, v5
	v_lshrrev_b32_e32 v5, 20, v5
	s_delay_alu instid0(VALU_DEP_2) | instskip(NEXT) | instid1(VALU_DEP_2)
	v_cmp_ne_u32_e32 vcc_lo, 0x7f00000, v6
                                        ; implicit-def: $vgpr6
	v_cndmask_b32_e32 v5, 0x7e, v5, vcc_lo
; %bb.1011:
	s_and_not1_saveexec_b32 s5, s5
; %bb.1012:
	v_add_f32_e64 v5, 0x46800000, |v6|
; %bb.1013:
	s_or_b32 exec_lo, exec_lo, s5
                                        ; implicit-def: $vgpr7
.LBB417_1014:
	s_and_not1_saveexec_b32 s3, s3
; %bb.1015:
	v_mov_b32_e32 v5, 0x7f
	v_cmp_lt_u32_e32 vcc_lo, 0x7f800000, v7
	s_delay_alu instid0(VALU_DEP_2)
	v_cndmask_b32_e32 v5, 0x7e, v5, vcc_lo
; %bb.1016:
	s_or_b32 exec_lo, exec_lo, s3
	v_lshrrev_b32_e32 v0, 8, v0
	s_delay_alu instid0(VALU_DEP_1)
	v_and_or_b32 v0, 0x80, v0, v5
	global_store_b8 v[1:2], v0, off
.LBB417_1017:
	s_mov_b32 s3, 0
.LBB417_1018:
	s_delay_alu instid0(SALU_CYCLE_1)
	s_and_not1_b32 vcc_lo, exec_lo, s3
	s_cbranch_vccnz .LBB417_1028
; %bb.1019:
	v_lshlrev_b32_e32 v6, 16, v3
	v_and_b32_e32 v0, 0xffff, v3
	s_mov_b32 s3, exec_lo
                                        ; implicit-def: $vgpr5
	s_delay_alu instid0(VALU_DEP_2) | instskip(NEXT) | instid1(VALU_DEP_1)
	v_and_b32_e32 v7, 0x7fffffff, v6
	v_cmpx_gt_u32_e32 0x47800000, v7
	s_xor_b32 s3, exec_lo, s3
	s_cbranch_execz .LBB417_1025
; %bb.1020:
	s_mov_b32 s5, exec_lo
                                        ; implicit-def: $vgpr5
	v_cmpx_lt_u32_e32 0x387fffff, v7
	s_xor_b32 s5, exec_lo, s5
; %bb.1021:
	v_bfe_u32 v5, v0, 5, 1
	s_delay_alu instid0(VALU_DEP_1) | instskip(NEXT) | instid1(VALU_DEP_1)
	v_add3_u32 v5, v6, v5, 0x80fffff
                                        ; implicit-def: $vgpr6
	v_lshrrev_b32_e32 v5, 21, v5
; %bb.1022:
	s_and_not1_saveexec_b32 s5, s5
; %bb.1023:
	v_add_f32_e64 v5, 0x43000000, |v6|
; %bb.1024:
	s_or_b32 exec_lo, exec_lo, s5
                                        ; implicit-def: $vgpr7
.LBB417_1025:
	s_and_not1_saveexec_b32 s3, s3
; %bb.1026:
	v_mov_b32_e32 v5, 0x7f
	v_cmp_lt_u32_e32 vcc_lo, 0x7f800000, v7
	s_delay_alu instid0(VALU_DEP_2)
	v_cndmask_b32_e32 v5, 0x7c, v5, vcc_lo
; %bb.1027:
	s_or_b32 exec_lo, exec_lo, s3
	v_lshrrev_b32_e32 v0, 8, v0
	s_delay_alu instid0(VALU_DEP_1)
	v_and_or_b32 v0, 0x80, v0, v5
	global_store_b8 v[1:2], v0, off
.LBB417_1028:
	s_mov_b32 s3, 0
.LBB417_1029:
	s_delay_alu instid0(SALU_CYCLE_1)
	s_and_not1_b32 vcc_lo, exec_lo, s3
	s_mov_b32 s8, 0
	s_cbranch_vccnz .LBB417_1037
; %bb.1030:
	v_cmp_lt_i16_e32 vcc_lo, 14, v4
	s_mov_b32 s3, -1
	s_cbranch_vccz .LBB417_1034
; %bb.1031:
	v_cmp_eq_u16_e32 vcc_lo, 15, v4
	s_mov_b32 s2, -1
	s_cbranch_vccz .LBB417_1033
; %bb.1032:
	s_mov_b32 s2, 0
	global_store_b16 v[1:2], v3, off
.LBB417_1033:
	s_mov_b32 s3, 0
.LBB417_1034:
	s_delay_alu instid0(SALU_CYCLE_1)
	s_and_b32 vcc_lo, exec_lo, s3
	s_cbranch_vccz .LBB417_1037
; %bb.1035:
	v_cmp_ne_u16_e32 vcc_lo, 11, v4
	s_and_not1_b32 s2, s2, exec_lo
	s_mov_b32 s8, -1
	s_and_b32 s3, vcc_lo, exec_lo
	s_delay_alu instid0(SALU_CYCLE_1)
	s_or_b32 s2, s2, s3
	s_branch .LBB417_1037
.LBB417_1036:
	s_mov_b32 s8, 0
.LBB417_1037:
	s_and_b32 s3, s4, exec_lo
	s_and_not1_b32 s4, s38, exec_lo
	s_and_b32 s2, s2, exec_lo
	s_and_b32 s8, s8, exec_lo
	s_or_b32 s38, s4, s2
.LBB417_1038:
	s_or_b32 exec_lo, exec_lo, s7
	s_and_saveexec_b32 s2, s38
	s_cbranch_execnz .LBB417_1152
; %bb.1039:
	s_or_b32 exec_lo, exec_lo, s2
	s_and_saveexec_b32 s2, s8
	s_delay_alu instid0(SALU_CYCLE_1)
	s_xor_b32 s2, exec_lo, s2
	s_cbranch_execz .LBB417_1041
.LBB417_1040:
	s_waitcnt vmcnt(0)
	v_and_b32_e32 v0, 0x7fff, v3
	s_delay_alu instid0(VALU_DEP_1)
	v_cmp_ne_u16_e32 vcc_lo, 0, v0
	v_cndmask_b32_e64 v0, 0, 1, vcc_lo
	global_store_b8 v[1:2], v0, off
.LBB417_1041:
	s_or_b32 exec_lo, exec_lo, s2
	s_and_saveexec_b32 s2, s3
	s_delay_alu instid0(SALU_CYCLE_1)
	s_xor_b32 s2, exec_lo, s2
	s_cbranch_execz .LBB417_1079
; %bb.1042:
	v_cmp_gt_i16_e32 vcc_lo, 5, v4
	s_mov_b32 s3, -1
	s_cbranch_vccnz .LBB417_1063
; %bb.1043:
	v_cmp_gt_i16_e32 vcc_lo, 8, v4
	s_cbranch_vccnz .LBB417_1053
; %bb.1044:
	v_cmp_gt_i16_e32 vcc_lo, 9, v4
	s_cbranch_vccnz .LBB417_1050
; %bb.1045:
	v_cmp_lt_i16_e32 vcc_lo, 9, v4
	s_cbranch_vccz .LBB417_1047
; %bb.1046:
	s_waitcnt vmcnt(0)
	v_dual_mov_b32 v7, 0 :: v_dual_lshlrev_b32 v0, 16, v3
	s_mov_b32 s3, 0
	s_delay_alu instid0(VALU_DEP_1) | instskip(NEXT) | instid1(VALU_DEP_2)
	v_cvt_f64_f32_e32 v[5:6], v0
	v_mov_b32_e32 v8, v7
	global_store_b128 v[1:2], v[5:8], off
.LBB417_1047:
	s_and_not1_b32 vcc_lo, exec_lo, s3
	s_cbranch_vccnz .LBB417_1049
; %bb.1048:
	s_waitcnt vmcnt(0)
	v_dual_mov_b32 v6, 0 :: v_dual_lshlrev_b32 v5, 16, v3
	global_store_b64 v[1:2], v[5:6], off
.LBB417_1049:
	s_mov_b32 s3, 0
.LBB417_1050:
	s_delay_alu instid0(SALU_CYCLE_1)
	s_and_not1_b32 vcc_lo, exec_lo, s3
	s_cbranch_vccnz .LBB417_1052
; %bb.1051:
	s_waitcnt vmcnt(0)
	v_lshlrev_b32_e32 v0, 16, v3
	s_delay_alu instid0(VALU_DEP_1) | instskip(NEXT) | instid1(VALU_DEP_1)
	v_cvt_f16_f32_e32 v0, v0
	v_and_b32_e32 v0, 0xffff, v0
	global_store_b32 v[1:2], v0, off
.LBB417_1052:
	s_mov_b32 s3, 0
.LBB417_1053:
	s_delay_alu instid0(SALU_CYCLE_1)
	s_and_not1_b32 vcc_lo, exec_lo, s3
	s_cbranch_vccnz .LBB417_1062
; %bb.1054:
	v_cmp_gt_i16_e32 vcc_lo, 6, v4
	s_mov_b32 s3, -1
	s_cbranch_vccnz .LBB417_1060
; %bb.1055:
	v_cmp_lt_i16_e32 vcc_lo, 6, v4
	s_cbranch_vccz .LBB417_1057
; %bb.1056:
	s_waitcnt vmcnt(0)
	v_lshlrev_b32_e32 v0, 16, v3
	s_mov_b32 s3, 0
	s_delay_alu instid0(VALU_DEP_1)
	v_cvt_f64_f32_e32 v[5:6], v0
	global_store_b64 v[1:2], v[5:6], off
.LBB417_1057:
	s_and_not1_b32 vcc_lo, exec_lo, s3
	s_cbranch_vccnz .LBB417_1059
; %bb.1058:
	s_waitcnt vmcnt(0)
	v_lshlrev_b32_e32 v0, 16, v3
	global_store_b32 v[1:2], v0, off
.LBB417_1059:
	s_mov_b32 s3, 0
.LBB417_1060:
	s_delay_alu instid0(SALU_CYCLE_1)
	s_and_not1_b32 vcc_lo, exec_lo, s3
	s_cbranch_vccnz .LBB417_1062
; %bb.1061:
	s_waitcnt vmcnt(0)
	v_lshlrev_b32_e32 v0, 16, v3
	s_delay_alu instid0(VALU_DEP_1)
	v_cvt_f16_f32_e32 v0, v0
	global_store_b16 v[1:2], v0, off
.LBB417_1062:
	s_mov_b32 s3, 0
.LBB417_1063:
	s_delay_alu instid0(SALU_CYCLE_1)
	s_and_not1_b32 vcc_lo, exec_lo, s3
	s_cbranch_vccnz .LBB417_1079
; %bb.1064:
	v_cmp_gt_i16_e32 vcc_lo, 2, v4
	s_mov_b32 s3, -1
	s_cbranch_vccnz .LBB417_1074
; %bb.1065:
	v_cmp_gt_i16_e32 vcc_lo, 3, v4
	s_cbranch_vccnz .LBB417_1071
; %bb.1066:
	v_cmp_lt_i16_e32 vcc_lo, 3, v4
	s_cbranch_vccz .LBB417_1068
; %bb.1067:
	s_waitcnt vmcnt(0)
	v_lshlrev_b32_e32 v0, 16, v3
	s_mov_b32 s3, 0
	s_delay_alu instid0(VALU_DEP_1) | instskip(NEXT) | instid1(VALU_DEP_1)
	v_trunc_f32_e32 v0, v0
	v_mul_f32_e64 v5, 0x2f800000, |v0|
	s_delay_alu instid0(VALU_DEP_1) | instskip(NEXT) | instid1(VALU_DEP_1)
	v_floor_f32_e32 v5, v5
	v_fma_f32 v6, 0xcf800000, v5, |v0|
	v_ashrrev_i32_e32 v0, 31, v0
	v_cvt_u32_f32_e32 v5, v5
	s_delay_alu instid0(VALU_DEP_3) | instskip(NEXT) | instid1(VALU_DEP_2)
	v_cvt_u32_f32_e32 v6, v6
	v_xor_b32_e32 v7, v5, v0
	s_delay_alu instid0(VALU_DEP_2) | instskip(NEXT) | instid1(VALU_DEP_1)
	v_xor_b32_e32 v6, v6, v0
	v_sub_co_u32 v5, vcc_lo, v6, v0
	s_delay_alu instid0(VALU_DEP_3)
	v_sub_co_ci_u32_e32 v6, vcc_lo, v7, v0, vcc_lo
	global_store_b64 v[1:2], v[5:6], off
.LBB417_1068:
	s_and_not1_b32 vcc_lo, exec_lo, s3
	s_cbranch_vccnz .LBB417_1070
; %bb.1069:
	s_waitcnt vmcnt(0)
	v_lshlrev_b32_e32 v0, 16, v3
	s_delay_alu instid0(VALU_DEP_1)
	v_cvt_i32_f32_e32 v0, v0
	global_store_b32 v[1:2], v0, off
.LBB417_1070:
	s_mov_b32 s3, 0
.LBB417_1071:
	s_delay_alu instid0(SALU_CYCLE_1)
	s_and_not1_b32 vcc_lo, exec_lo, s3
	s_cbranch_vccnz .LBB417_1073
; %bb.1072:
	s_waitcnt vmcnt(0)
	v_lshlrev_b32_e32 v0, 16, v3
	s_delay_alu instid0(VALU_DEP_1)
	v_cvt_i32_f32_e32 v0, v0
	global_store_b16 v[1:2], v0, off
.LBB417_1073:
	s_mov_b32 s3, 0
.LBB417_1074:
	s_delay_alu instid0(SALU_CYCLE_1)
	s_and_not1_b32 vcc_lo, exec_lo, s3
	s_cbranch_vccnz .LBB417_1079
; %bb.1075:
	v_cmp_lt_i16_e32 vcc_lo, 0, v4
	s_mov_b32 s3, -1
	s_cbranch_vccz .LBB417_1077
; %bb.1076:
	s_waitcnt vmcnt(0)
	v_lshlrev_b32_e32 v0, 16, v3
	s_mov_b32 s3, 0
	s_delay_alu instid0(VALU_DEP_1)
	v_cvt_i32_f32_e32 v0, v0
	global_store_b8 v[1:2], v0, off
.LBB417_1077:
	s_and_not1_b32 vcc_lo, exec_lo, s3
	s_cbranch_vccnz .LBB417_1079
; %bb.1078:
	s_waitcnt vmcnt(0)
	v_lshlrev_b32_e32 v0, 16, v3
	s_delay_alu instid0(VALU_DEP_1) | instskip(NEXT) | instid1(VALU_DEP_1)
	v_trunc_f32_e32 v0, v0
	v_mul_f32_e64 v3, 0x2f800000, |v0|
	s_delay_alu instid0(VALU_DEP_1) | instskip(NEXT) | instid1(VALU_DEP_1)
	v_floor_f32_e32 v3, v3
	v_fma_f32 v3, 0xcf800000, v3, |v0|
	v_ashrrev_i32_e32 v0, 31, v0
	s_delay_alu instid0(VALU_DEP_2) | instskip(NEXT) | instid1(VALU_DEP_1)
	v_cvt_u32_f32_e32 v3, v3
	v_xor_b32_e32 v3, v3, v0
	s_delay_alu instid0(VALU_DEP_1)
	v_sub_nc_u32_e32 v0, v3, v0
	global_store_b8 v[1:2], v0, off
.LBB417_1079:
	s_or_b32 exec_lo, exec_lo, s2
	s_delay_alu instid0(SALU_CYCLE_1)
	s_and_b32 s8, s6, exec_lo
                                        ; implicit-def: $vgpr8
                                        ; implicit-def: $vgpr4
.LBB417_1080:
	s_or_saveexec_b32 s9, s28
	s_mov_b32 s3, 0
                                        ; implicit-def: $vgpr0_vgpr1
                                        ; implicit-def: $vgpr5
                                        ; implicit-def: $vgpr2
	s_xor_b32 exec_lo, exec_lo, s9
	s_cbranch_execz .LBB417_2096
; %bb.1081:
	v_cndmask_b32_e64 v0, 0, 1, s27
	s_and_not1_b32 vcc_lo, exec_lo, s27
	s_cbranch_vccnz .LBB417_1087
; %bb.1082:
	s_waitcnt vmcnt(0)
	v_mov_b32_e32 v3, 0
	v_mov_b32_e32 v7, 0
	s_cmp_lg_u32 s24, 0
	s_mov_b32 s6, 0
	s_cbranch_scc0 .LBB417_1091
; %bb.1083:
	s_min_u32 s7, s25, 15
	v_mov_b32_e32 v3, 0
	s_add_i32 s7, s7, 1
	s_cmp_eq_u32 s25, 2
	s_mov_b32 s10, 0
	s_cbranch_scc1 .LBB417_1088
; %bb.1084:
	v_mov_b32_e32 v7, 0
	v_mov_b32_e32 v3, 0
	;; [unrolled: 1-line block ×3, first 2 shown]
	s_add_u32 s2, s16, 0xc4
	s_addc_u32 s3, s17, 0
	s_and_b32 s10, s7, 28
	s_mov_b32 s11, 0
	s_mov_b64 s[4:5], s[16:17]
.LBB417_1085:                           ; =>This Inner Loop Header: Depth=1
	s_clause 0x1
	s_load_b256 s[36:43], s[4:5], 0x4
	s_load_b128 s[12:15], s[4:5], 0x24
	s_load_b256 s[44:51], s[2:3], 0x0
	s_add_u32 s4, s4, 48
	s_addc_u32 s5, s5, 0
	s_add_i32 s11, s11, 4
	s_add_u32 s2, s2, 32
	s_addc_u32 s3, s3, 0
	s_cmp_lg_u32 s10, s11
	s_waitcnt lgkmcnt(0)
	v_mul_hi_u32 v2, s37, v1
	s_delay_alu instid0(VALU_DEP_1) | instskip(NEXT) | instid1(VALU_DEP_1)
	v_add_nc_u32_e32 v2, v1, v2
	v_lshrrev_b32_e32 v2, s38, v2
	s_delay_alu instid0(VALU_DEP_1) | instskip(SKIP_1) | instid1(VALU_DEP_2)
	v_mul_hi_u32 v5, s40, v2
	v_mul_lo_u32 v9, v2, s36
	v_add_nc_u32_e32 v5, v2, v5
	s_delay_alu instid0(VALU_DEP_2) | instskip(NEXT) | instid1(VALU_DEP_2)
	v_sub_nc_u32_e32 v1, v1, v9
	v_lshrrev_b32_e32 v5, s41, v5
	s_delay_alu instid0(VALU_DEP_2) | instskip(SKIP_1) | instid1(VALU_DEP_3)
	v_mul_lo_u32 v9, v1, s44
	v_mul_lo_u32 v11, v1, s45
	v_mul_hi_u32 v6, s43, v5
	s_delay_alu instid0(VALU_DEP_1) | instskip(NEXT) | instid1(VALU_DEP_1)
	v_add_nc_u32_e32 v6, v5, v6
	v_lshrrev_b32_e32 v6, s12, v6
	s_delay_alu instid0(VALU_DEP_1) | instskip(SKIP_1) | instid1(VALU_DEP_2)
	v_mul_hi_u32 v10, s14, v6
	v_mul_lo_u32 v12, v6, s42
	v_add_nc_u32_e32 v1, v6, v10
	v_mul_lo_u32 v10, v5, s39
	s_delay_alu instid0(VALU_DEP_3) | instskip(NEXT) | instid1(VALU_DEP_3)
	v_sub_nc_u32_e32 v5, v5, v12
	v_lshrrev_b32_e32 v1, s15, v1
	s_delay_alu instid0(VALU_DEP_2) | instskip(SKIP_2) | instid1(VALU_DEP_4)
	v_mul_lo_u32 v12, v5, s48
	v_mul_lo_u32 v5, v5, s49
	v_sub_nc_u32_e32 v2, v2, v10
	v_mul_lo_u32 v13, v1, s13
	s_delay_alu instid0(VALU_DEP_2) | instskip(SKIP_1) | instid1(VALU_DEP_3)
	v_mul_lo_u32 v10, v2, s46
	v_mul_lo_u32 v2, v2, s47
	v_sub_nc_u32_e32 v6, v6, v13
	s_delay_alu instid0(VALU_DEP_3) | instskip(NEXT) | instid1(VALU_DEP_2)
	v_add3_u32 v3, v9, v3, v10
	v_mul_lo_u32 v13, v6, s50
	v_mul_lo_u32 v6, v6, s51
	v_add3_u32 v2, v11, v7, v2
	s_delay_alu instid0(VALU_DEP_3) | instskip(NEXT) | instid1(VALU_DEP_2)
	v_add3_u32 v3, v12, v3, v13
	v_add3_u32 v7, v5, v2, v6
	s_cbranch_scc1 .LBB417_1085
; %bb.1086:
	s_and_b32 s7, s7, 3
	s_delay_alu instid0(SALU_CYCLE_1)
	s_cmp_eq_u32 s7, 0
	s_cbranch_scc0 .LBB417_1089
	s_branch .LBB417_1091
.LBB417_1087:
	s_mov_b32 s6, -1
                                        ; implicit-def: $vgpr3
                                        ; implicit-def: $vgpr7
	s_branch .LBB417_1091
.LBB417_1088:
	v_mov_b32_e32 v1, v4
	v_mov_b32_e32 v7, 0
	s_and_b32 s7, s7, 3
	s_delay_alu instid0(SALU_CYCLE_1)
	s_cmp_eq_u32 s7, 0
	s_cbranch_scc1 .LBB417_1091
.LBB417_1089:
	s_lshl_b32 s2, s10, 3
	s_mul_i32 s4, s10, 12
	s_add_u32 s2, s2, s16
	s_addc_u32 s3, 0, s17
	s_add_u32 s2, s2, 0xc4
	s_addc_u32 s3, s3, 0
	;; [unrolled: 2-line block ×3, first 2 shown]
	.p2align	6
.LBB417_1090:                           ; =>This Inner Loop Header: Depth=1
	s_clause 0x1
	s_load_b64 s[10:11], s[4:5], 0x4
	s_load_b32 s14, s[4:5], 0xc
	s_load_b64 s[12:13], s[2:3], 0x0
	s_add_u32 s4, s4, 12
	s_addc_u32 s5, s5, 0
	s_add_u32 s2, s2, 8
	s_addc_u32 s3, s3, 0
	s_add_i32 s7, s7, -1
	s_delay_alu instid0(SALU_CYCLE_1) | instskip(SKIP_2) | instid1(VALU_DEP_1)
	s_cmp_lg_u32 s7, 0
	s_waitcnt lgkmcnt(0)
	v_mul_hi_u32 v2, s11, v1
	v_add_nc_u32_e32 v2, v1, v2
	s_delay_alu instid0(VALU_DEP_1) | instskip(NEXT) | instid1(VALU_DEP_1)
	v_lshrrev_b32_e32 v9, s14, v2
	v_mul_lo_u32 v2, v9, s10
	s_delay_alu instid0(VALU_DEP_1) | instskip(NEXT) | instid1(VALU_DEP_1)
	v_sub_nc_u32_e32 v1, v1, v2
	v_mad_u64_u32 v[5:6], null, v1, s12, v[3:4]
	v_mad_u64_u32 v[2:3], null, v1, s13, v[7:8]
	v_mov_b32_e32 v1, v9
	s_delay_alu instid0(VALU_DEP_3) | instskip(NEXT) | instid1(VALU_DEP_3)
	v_mov_b32_e32 v3, v5
	v_mov_b32_e32 v7, v2
	s_cbranch_scc1 .LBB417_1090
.LBB417_1091:
	s_and_not1_b32 vcc_lo, exec_lo, s6
	s_cbranch_vccnz .LBB417_1094
; %bb.1092:
	s_clause 0x1
	s_load_b128 s[4:7], s[16:17], 0x4
	s_load_b64 s[2:3], s[16:17], 0xc4
	s_cmp_lt_u32 s24, 2
	s_waitcnt lgkmcnt(0)
	v_mul_hi_u32 v1, s5, v4
	s_delay_alu instid0(VALU_DEP_1) | instskip(NEXT) | instid1(VALU_DEP_1)
	v_add_nc_u32_e32 v1, v4, v1
	v_lshrrev_b32_e32 v1, s6, v1
	s_delay_alu instid0(VALU_DEP_1) | instskip(NEXT) | instid1(VALU_DEP_1)
	v_mul_lo_u32 v2, v1, s4
	v_sub_nc_u32_e32 v2, v4, v2
	s_waitcnt vmcnt(0)
	s_delay_alu instid0(VALU_DEP_1)
	v_mul_lo_u32 v3, v2, s2
	v_mul_lo_u32 v7, v2, s3
	s_cbranch_scc1 .LBB417_1094
; %bb.1093:
	s_clause 0x1
	s_load_b128 s[4:7], s[16:17], 0x10
	s_load_b64 s[2:3], s[16:17], 0xcc
	s_waitcnt lgkmcnt(0)
	v_mul_hi_u32 v2, s5, v1
	s_delay_alu instid0(VALU_DEP_1) | instskip(NEXT) | instid1(VALU_DEP_1)
	v_add_nc_u32_e32 v2, v1, v2
	v_lshrrev_b32_e32 v2, s6, v2
	s_delay_alu instid0(VALU_DEP_1) | instskip(NEXT) | instid1(VALU_DEP_1)
	v_mul_lo_u32 v2, v2, s4
	v_sub_nc_u32_e32 v5, v1, v2
	s_delay_alu instid0(VALU_DEP_1) | instskip(SKIP_1) | instid1(VALU_DEP_2)
	v_mad_u64_u32 v[1:2], null, v5, s2, v[3:4]
	v_mad_u64_u32 v[2:3], null, v5, s3, v[7:8]
	v_mov_b32_e32 v3, v1
	s_delay_alu instid0(VALU_DEP_2)
	v_mov_b32_e32 v7, v2
.LBB417_1094:
	v_cmp_ne_u32_e32 vcc_lo, 1, v0
	v_add_nc_u32_e32 v1, 0x80, v4
	s_cbranch_vccnz .LBB417_1100
; %bb.1095:
	v_mov_b32_e32 v2, 0
	v_mov_b32_e32 v6, 0
	s_cmp_lg_u32 s24, 0
	s_mov_b32 s6, 0
	s_cbranch_scc0 .LBB417_1104
; %bb.1096:
	s_min_u32 s7, s25, 15
	v_mov_b32_e32 v2, 0
	s_add_i32 s7, s7, 1
	s_cmp_eq_u32 s25, 2
	s_mov_b32 s10, 0
	s_cbranch_scc1 .LBB417_1101
; %bb.1097:
	s_waitcnt vmcnt(0)
	v_dual_mov_b32 v6, 0 :: v_dual_mov_b32 v5, v1
	v_mov_b32_e32 v2, 0
	s_add_u32 s2, s16, 0xc4
	s_addc_u32 s3, s17, 0
	s_and_b32 s10, s7, 28
	s_mov_b32 s11, 0
	s_mov_b64 s[4:5], s[16:17]
.LBB417_1098:                           ; =>This Inner Loop Header: Depth=1
	s_clause 0x1
	s_load_b256 s[36:43], s[4:5], 0x4
	s_load_b128 s[12:15], s[4:5], 0x24
	s_load_b256 s[44:51], s[2:3], 0x0
	s_add_u32 s4, s4, 48
	s_addc_u32 s5, s5, 0
	s_add_i32 s11, s11, 4
	s_add_u32 s2, s2, 32
	s_addc_u32 s3, s3, 0
	s_cmp_lg_u32 s10, s11
	s_waitcnt lgkmcnt(0)
	v_mul_hi_u32 v9, s37, v5
	s_delay_alu instid0(VALU_DEP_1) | instskip(NEXT) | instid1(VALU_DEP_1)
	v_add_nc_u32_e32 v9, v5, v9
	v_lshrrev_b32_e32 v9, s38, v9
	s_delay_alu instid0(VALU_DEP_1) | instskip(SKIP_1) | instid1(VALU_DEP_2)
	v_mul_hi_u32 v10, s40, v9
	v_mul_lo_u32 v12, v9, s36
	v_add_nc_u32_e32 v10, v9, v10
	s_delay_alu instid0(VALU_DEP_2) | instskip(NEXT) | instid1(VALU_DEP_2)
	v_sub_nc_u32_e32 v5, v5, v12
	v_lshrrev_b32_e32 v10, s41, v10
	s_delay_alu instid0(VALU_DEP_2) | instskip(SKIP_1) | instid1(VALU_DEP_3)
	v_mul_lo_u32 v12, v5, s44
	v_mul_lo_u32 v14, v5, s45
	v_mul_hi_u32 v11, s43, v10
	s_delay_alu instid0(VALU_DEP_1) | instskip(NEXT) | instid1(VALU_DEP_1)
	v_add_nc_u32_e32 v11, v10, v11
	v_lshrrev_b32_e32 v11, s12, v11
	s_delay_alu instid0(VALU_DEP_1) | instskip(SKIP_1) | instid1(VALU_DEP_2)
	v_mul_hi_u32 v13, s14, v11
	v_mul_lo_u32 v15, v11, s42
	v_add_nc_u32_e32 v5, v11, v13
	v_mul_lo_u32 v13, v10, s39
	s_delay_alu instid0(VALU_DEP_3) | instskip(NEXT) | instid1(VALU_DEP_3)
	v_sub_nc_u32_e32 v10, v10, v15
	v_lshrrev_b32_e32 v5, s15, v5
	s_delay_alu instid0(VALU_DEP_2) | instskip(SKIP_2) | instid1(VALU_DEP_4)
	v_mul_lo_u32 v15, v10, s48
	v_mul_lo_u32 v10, v10, s49
	v_sub_nc_u32_e32 v9, v9, v13
	v_mul_lo_u32 v16, v5, s13
	s_delay_alu instid0(VALU_DEP_2) | instskip(SKIP_1) | instid1(VALU_DEP_3)
	v_mul_lo_u32 v13, v9, s46
	v_mul_lo_u32 v9, v9, s47
	v_sub_nc_u32_e32 v11, v11, v16
	s_delay_alu instid0(VALU_DEP_3) | instskip(NEXT) | instid1(VALU_DEP_2)
	v_add3_u32 v2, v12, v2, v13
	v_mul_lo_u32 v16, v11, s50
	v_mul_lo_u32 v11, v11, s51
	v_add3_u32 v6, v14, v6, v9
	s_delay_alu instid0(VALU_DEP_3) | instskip(NEXT) | instid1(VALU_DEP_2)
	v_add3_u32 v2, v15, v2, v16
	v_add3_u32 v6, v10, v6, v11
	s_cbranch_scc1 .LBB417_1098
; %bb.1099:
	s_and_b32 s7, s7, 3
	s_delay_alu instid0(SALU_CYCLE_1)
	s_cmp_eq_u32 s7, 0
	s_cbranch_scc0 .LBB417_1102
	s_branch .LBB417_1104
.LBB417_1100:
	s_mov_b32 s6, -1
                                        ; implicit-def: $vgpr2
                                        ; implicit-def: $vgpr6
	s_branch .LBB417_1104
.LBB417_1101:
	s_waitcnt vmcnt(0)
	v_dual_mov_b32 v5, v1 :: v_dual_mov_b32 v6, 0
	s_and_b32 s7, s7, 3
	s_delay_alu instid0(SALU_CYCLE_1)
	s_cmp_eq_u32 s7, 0
	s_cbranch_scc1 .LBB417_1104
.LBB417_1102:
	s_lshl_b32 s2, s10, 3
	s_mul_i32 s4, s10, 12
	s_add_u32 s2, s2, s16
	s_addc_u32 s3, 0, s17
	s_add_u32 s2, s2, 0xc4
	s_addc_u32 s3, s3, 0
	;; [unrolled: 2-line block ×3, first 2 shown]
	.p2align	6
.LBB417_1103:                           ; =>This Inner Loop Header: Depth=1
	s_clause 0x1
	s_load_b64 s[10:11], s[4:5], 0x4
	s_load_b32 s14, s[4:5], 0xc
	s_load_b64 s[12:13], s[2:3], 0x0
	s_add_u32 s4, s4, 12
	s_addc_u32 s5, s5, 0
	s_add_u32 s2, s2, 8
	s_addc_u32 s3, s3, 0
	s_add_i32 s7, s7, -1
	s_delay_alu instid0(SALU_CYCLE_1) | instskip(SKIP_2) | instid1(VALU_DEP_1)
	s_cmp_lg_u32 s7, 0
	s_waitcnt lgkmcnt(0)
	v_mul_hi_u32 v9, s11, v5
	v_add_nc_u32_e32 v9, v5, v9
	s_delay_alu instid0(VALU_DEP_1) | instskip(NEXT) | instid1(VALU_DEP_1)
	v_lshrrev_b32_e32 v12, s14, v9
	v_mul_lo_u32 v9, v12, s10
	s_delay_alu instid0(VALU_DEP_1) | instskip(NEXT) | instid1(VALU_DEP_1)
	v_sub_nc_u32_e32 v5, v5, v9
	v_mad_u64_u32 v[9:10], null, v5, s12, v[2:3]
	v_mad_u64_u32 v[10:11], null, v5, s13, v[6:7]
	s_delay_alu instid0(VALU_DEP_2) | instskip(NEXT) | instid1(VALU_DEP_2)
	v_dual_mov_b32 v5, v12 :: v_dual_mov_b32 v2, v9
	v_mov_b32_e32 v6, v10
	s_cbranch_scc1 .LBB417_1103
.LBB417_1104:
	s_and_not1_b32 vcc_lo, exec_lo, s6
	s_cbranch_vccnz .LBB417_1107
; %bb.1105:
	s_clause 0x1
	s_load_b128 s[4:7], s[16:17], 0x4
	s_load_b64 s[2:3], s[16:17], 0xc4
	s_cmp_lt_u32 s24, 2
	s_waitcnt lgkmcnt(0)
	v_mul_hi_u32 v2, s5, v1
	s_delay_alu instid0(VALU_DEP_1) | instskip(SKIP_1) | instid1(VALU_DEP_1)
	v_add_nc_u32_e32 v2, v1, v2
	s_waitcnt vmcnt(0)
	v_lshrrev_b32_e32 v5, s6, v2
	s_delay_alu instid0(VALU_DEP_1) | instskip(NEXT) | instid1(VALU_DEP_1)
	v_mul_lo_u32 v2, v5, s4
	v_sub_nc_u32_e32 v1, v1, v2
	s_delay_alu instid0(VALU_DEP_1)
	v_mul_lo_u32 v2, v1, s2
	v_mul_lo_u32 v6, v1, s3
	s_cbranch_scc1 .LBB417_1107
; %bb.1106:
	s_clause 0x1
	s_load_b128 s[4:7], s[16:17], 0x10
	s_load_b64 s[2:3], s[16:17], 0xcc
	s_waitcnt lgkmcnt(0)
	v_mul_hi_u32 v1, s5, v5
	s_delay_alu instid0(VALU_DEP_1) | instskip(NEXT) | instid1(VALU_DEP_1)
	v_add_nc_u32_e32 v1, v5, v1
	v_lshrrev_b32_e32 v1, s6, v1
	s_delay_alu instid0(VALU_DEP_1) | instskip(NEXT) | instid1(VALU_DEP_1)
	v_mul_lo_u32 v1, v1, s4
	v_sub_nc_u32_e32 v5, v5, v1
	s_delay_alu instid0(VALU_DEP_1) | instskip(SKIP_1) | instid1(VALU_DEP_2)
	v_mad_u64_u32 v[9:10], null, v5, s2, v[2:3]
	v_mad_u64_u32 v[1:2], null, v5, s3, v[6:7]
	v_mov_b32_e32 v2, v9
	s_delay_alu instid0(VALU_DEP_2)
	v_mov_b32_e32 v6, v1
.LBB417_1107:
	v_cmp_ne_u32_e32 vcc_lo, 1, v0
	v_add_nc_u32_e32 v4, 0x100, v4
	s_cbranch_vccnz .LBB417_1113
; %bb.1108:
	v_mov_b32_e32 v1, 0
	s_waitcnt vmcnt(0)
	v_mov_b32_e32 v5, 0
	s_cmp_lg_u32 s24, 0
	s_mov_b32 s6, 0
	s_cbranch_scc0 .LBB417_1117
; %bb.1109:
	s_min_u32 s7, s25, 15
	v_mov_b32_e32 v1, 0
	s_add_i32 s7, s7, 1
	s_cmp_eq_u32 s25, 2
	s_mov_b32 s10, 0
	s_cbranch_scc1 .LBB417_1114
; %bb.1110:
	v_mov_b32_e32 v5, 0
	v_mov_b32_e32 v1, 0
	v_mov_b32_e32 v9, v4
	s_add_u32 s2, s16, 0xc4
	s_addc_u32 s3, s17, 0
	s_and_b32 s10, s7, 28
	s_mov_b32 s11, 0
	s_mov_b64 s[4:5], s[16:17]
.LBB417_1111:                           ; =>This Inner Loop Header: Depth=1
	s_clause 0x1
	s_load_b256 s[36:43], s[4:5], 0x4
	s_load_b128 s[12:15], s[4:5], 0x24
	s_load_b256 s[44:51], s[2:3], 0x0
	s_add_u32 s4, s4, 48
	s_addc_u32 s5, s5, 0
	s_add_i32 s11, s11, 4
	s_add_u32 s2, s2, 32
	s_addc_u32 s3, s3, 0
	s_cmp_lg_u32 s10, s11
	s_waitcnt lgkmcnt(0)
	v_mul_hi_u32 v10, s37, v9
	s_delay_alu instid0(VALU_DEP_1) | instskip(NEXT) | instid1(VALU_DEP_1)
	v_add_nc_u32_e32 v10, v9, v10
	v_lshrrev_b32_e32 v10, s38, v10
	s_delay_alu instid0(VALU_DEP_1) | instskip(SKIP_1) | instid1(VALU_DEP_2)
	v_mul_hi_u32 v11, s40, v10
	v_mul_lo_u32 v13, v10, s36
	v_add_nc_u32_e32 v11, v10, v11
	s_delay_alu instid0(VALU_DEP_2) | instskip(NEXT) | instid1(VALU_DEP_2)
	v_sub_nc_u32_e32 v9, v9, v13
	v_lshrrev_b32_e32 v11, s41, v11
	s_delay_alu instid0(VALU_DEP_2) | instskip(SKIP_1) | instid1(VALU_DEP_3)
	v_mul_lo_u32 v13, v9, s44
	v_mul_lo_u32 v15, v9, s45
	v_mul_hi_u32 v12, s43, v11
	s_delay_alu instid0(VALU_DEP_1) | instskip(NEXT) | instid1(VALU_DEP_1)
	v_add_nc_u32_e32 v12, v11, v12
	v_lshrrev_b32_e32 v12, s12, v12
	s_delay_alu instid0(VALU_DEP_1) | instskip(SKIP_1) | instid1(VALU_DEP_2)
	v_mul_hi_u32 v14, s14, v12
	v_mul_lo_u32 v16, v12, s42
	v_add_nc_u32_e32 v9, v12, v14
	v_mul_lo_u32 v14, v11, s39
	s_delay_alu instid0(VALU_DEP_3) | instskip(NEXT) | instid1(VALU_DEP_3)
	v_sub_nc_u32_e32 v11, v11, v16
	v_lshrrev_b32_e32 v9, s15, v9
	s_delay_alu instid0(VALU_DEP_2) | instskip(SKIP_2) | instid1(VALU_DEP_4)
	v_mul_lo_u32 v16, v11, s48
	v_mul_lo_u32 v11, v11, s49
	v_sub_nc_u32_e32 v10, v10, v14
	v_mul_lo_u32 v17, v9, s13
	s_delay_alu instid0(VALU_DEP_2) | instskip(SKIP_1) | instid1(VALU_DEP_3)
	v_mul_lo_u32 v14, v10, s46
	v_mul_lo_u32 v10, v10, s47
	v_sub_nc_u32_e32 v12, v12, v17
	s_delay_alu instid0(VALU_DEP_3) | instskip(NEXT) | instid1(VALU_DEP_2)
	v_add3_u32 v1, v13, v1, v14
	v_mul_lo_u32 v17, v12, s50
	v_mul_lo_u32 v12, v12, s51
	v_add3_u32 v5, v15, v5, v10
	s_delay_alu instid0(VALU_DEP_3) | instskip(NEXT) | instid1(VALU_DEP_2)
	v_add3_u32 v1, v16, v1, v17
	v_add3_u32 v5, v11, v5, v12
	s_cbranch_scc1 .LBB417_1111
; %bb.1112:
	s_and_b32 s7, s7, 3
	s_delay_alu instid0(SALU_CYCLE_1)
	s_cmp_eq_u32 s7, 0
	s_cbranch_scc0 .LBB417_1115
	s_branch .LBB417_1117
.LBB417_1113:
	s_mov_b32 s6, -1
                                        ; implicit-def: $vgpr1
                                        ; implicit-def: $vgpr5
	s_branch .LBB417_1117
.LBB417_1114:
	v_mov_b32_e32 v9, v4
	v_mov_b32_e32 v5, 0
	s_and_b32 s7, s7, 3
	s_delay_alu instid0(SALU_CYCLE_1)
	s_cmp_eq_u32 s7, 0
	s_cbranch_scc1 .LBB417_1117
.LBB417_1115:
	s_lshl_b32 s2, s10, 3
	s_mul_i32 s4, s10, 12
	s_add_u32 s2, s2, s16
	s_addc_u32 s3, 0, s17
	s_add_u32 s2, s2, 0xc4
	s_addc_u32 s3, s3, 0
	;; [unrolled: 2-line block ×3, first 2 shown]
	.p2align	6
.LBB417_1116:                           ; =>This Inner Loop Header: Depth=1
	s_clause 0x1
	s_load_b64 s[10:11], s[4:5], 0x4
	s_load_b32 s14, s[4:5], 0xc
	s_load_b64 s[12:13], s[2:3], 0x0
	s_add_u32 s4, s4, 12
	s_addc_u32 s5, s5, 0
	s_add_u32 s2, s2, 8
	s_addc_u32 s3, s3, 0
	s_add_i32 s7, s7, -1
	s_delay_alu instid0(SALU_CYCLE_1) | instskip(SKIP_2) | instid1(VALU_DEP_1)
	s_cmp_lg_u32 s7, 0
	s_waitcnt lgkmcnt(0)
	v_mul_hi_u32 v10, s11, v9
	v_add_nc_u32_e32 v10, v9, v10
	s_delay_alu instid0(VALU_DEP_1) | instskip(NEXT) | instid1(VALU_DEP_1)
	v_lshrrev_b32_e32 v13, s14, v10
	v_mul_lo_u32 v10, v13, s10
	s_delay_alu instid0(VALU_DEP_1) | instskip(NEXT) | instid1(VALU_DEP_1)
	v_sub_nc_u32_e32 v9, v9, v10
	v_mad_u64_u32 v[10:11], null, v9, s12, v[1:2]
	v_mad_u64_u32 v[11:12], null, v9, s13, v[5:6]
	v_mov_b32_e32 v9, v13
	s_delay_alu instid0(VALU_DEP_3) | instskip(NEXT) | instid1(VALU_DEP_3)
	v_mov_b32_e32 v1, v10
	v_mov_b32_e32 v5, v11
	s_cbranch_scc1 .LBB417_1116
.LBB417_1117:
	s_and_not1_b32 vcc_lo, exec_lo, s6
	s_cbranch_vccnz .LBB417_1120
; %bb.1118:
	s_clause 0x1
	s_load_b128 s[4:7], s[16:17], 0x4
	s_load_b64 s[2:3], s[16:17], 0xc4
	s_cmp_lt_u32 s24, 2
	s_waitcnt lgkmcnt(0)
	v_mul_hi_u32 v1, s5, v4
	s_delay_alu instid0(VALU_DEP_1) | instskip(NEXT) | instid1(VALU_DEP_1)
	v_add_nc_u32_e32 v1, v4, v1
	v_lshrrev_b32_e32 v9, s6, v1
	s_delay_alu instid0(VALU_DEP_1) | instskip(NEXT) | instid1(VALU_DEP_1)
	v_mul_lo_u32 v1, v9, s4
	v_sub_nc_u32_e32 v4, v4, v1
	s_delay_alu instid0(VALU_DEP_1)
	v_mul_lo_u32 v1, v4, s2
	s_waitcnt vmcnt(0)
	v_mul_lo_u32 v5, v4, s3
	s_cbranch_scc1 .LBB417_1120
; %bb.1119:
	s_clause 0x1
	s_load_b128 s[4:7], s[16:17], 0x10
	s_load_b64 s[2:3], s[16:17], 0xcc
	s_waitcnt lgkmcnt(0)
	v_mul_hi_u32 v4, s5, v9
	s_delay_alu instid0(VALU_DEP_1) | instskip(NEXT) | instid1(VALU_DEP_1)
	v_add_nc_u32_e32 v4, v9, v4
	v_lshrrev_b32_e32 v4, s6, v4
	s_delay_alu instid0(VALU_DEP_1) | instskip(NEXT) | instid1(VALU_DEP_1)
	v_mul_lo_u32 v4, v4, s4
	v_sub_nc_u32_e32 v4, v9, v4
	s_delay_alu instid0(VALU_DEP_1) | instskip(SKIP_1) | instid1(VALU_DEP_2)
	v_mad_u64_u32 v[9:10], null, v4, s2, v[1:2]
	v_mad_u64_u32 v[10:11], null, v4, s3, v[5:6]
	v_mov_b32_e32 v1, v9
	s_delay_alu instid0(VALU_DEP_2)
	v_mov_b32_e32 v5, v10
.LBB417_1120:
	v_cmp_ne_u32_e32 vcc_lo, 1, v0
	s_cbranch_vccnz .LBB417_1126
; %bb.1121:
	v_mov_b32_e32 v0, 0
	v_mov_b32_e32 v4, 0
	s_cmp_lg_u32 s24, 0
	s_mov_b32 s6, 0
	s_cbranch_scc0 .LBB417_1130
; %bb.1122:
	s_min_u32 s7, s25, 15
	v_mov_b32_e32 v0, 0
	s_add_i32 s7, s7, 1
	s_cmp_eq_u32 s25, 2
	s_mov_b32 s10, 0
	s_cbranch_scc1 .LBB417_1127
; %bb.1123:
	v_dual_mov_b32 v4, 0 :: v_dual_mov_b32 v9, v8
	v_mov_b32_e32 v0, 0
	s_add_u32 s2, s16, 0xc4
	s_addc_u32 s3, s17, 0
	s_and_b32 s10, s7, 28
	s_mov_b32 s11, 0
	s_mov_b64 s[4:5], s[16:17]
.LBB417_1124:                           ; =>This Inner Loop Header: Depth=1
	s_clause 0x1
	s_load_b256 s[36:43], s[4:5], 0x4
	s_load_b128 s[12:15], s[4:5], 0x24
	s_load_b256 s[44:51], s[2:3], 0x0
	s_add_u32 s4, s4, 48
	s_addc_u32 s5, s5, 0
	s_add_i32 s11, s11, 4
	s_add_u32 s2, s2, 32
	s_addc_u32 s3, s3, 0
	s_cmp_lg_u32 s10, s11
	s_waitcnt lgkmcnt(0)
	v_mul_hi_u32 v10, s37, v9
	s_delay_alu instid0(VALU_DEP_1) | instskip(NEXT) | instid1(VALU_DEP_1)
	v_add_nc_u32_e32 v10, v9, v10
	v_lshrrev_b32_e32 v10, s38, v10
	s_delay_alu instid0(VALU_DEP_1) | instskip(SKIP_1) | instid1(VALU_DEP_2)
	v_mul_hi_u32 v11, s40, v10
	v_mul_lo_u32 v13, v10, s36
	v_add_nc_u32_e32 v11, v10, v11
	s_delay_alu instid0(VALU_DEP_2) | instskip(NEXT) | instid1(VALU_DEP_2)
	v_sub_nc_u32_e32 v9, v9, v13
	v_lshrrev_b32_e32 v11, s41, v11
	s_delay_alu instid0(VALU_DEP_2) | instskip(SKIP_1) | instid1(VALU_DEP_3)
	v_mul_lo_u32 v13, v9, s44
	v_mul_lo_u32 v15, v9, s45
	v_mul_hi_u32 v12, s43, v11
	s_delay_alu instid0(VALU_DEP_1) | instskip(NEXT) | instid1(VALU_DEP_1)
	v_add_nc_u32_e32 v12, v11, v12
	v_lshrrev_b32_e32 v12, s12, v12
	s_delay_alu instid0(VALU_DEP_1) | instskip(SKIP_1) | instid1(VALU_DEP_2)
	v_mul_hi_u32 v14, s14, v12
	v_mul_lo_u32 v16, v12, s42
	v_add_nc_u32_e32 v9, v12, v14
	v_mul_lo_u32 v14, v11, s39
	s_delay_alu instid0(VALU_DEP_3) | instskip(NEXT) | instid1(VALU_DEP_3)
	v_sub_nc_u32_e32 v11, v11, v16
	v_lshrrev_b32_e32 v9, s15, v9
	s_delay_alu instid0(VALU_DEP_2) | instskip(SKIP_2) | instid1(VALU_DEP_4)
	v_mul_lo_u32 v16, v11, s48
	v_mul_lo_u32 v11, v11, s49
	v_sub_nc_u32_e32 v10, v10, v14
	v_mul_lo_u32 v17, v9, s13
	s_delay_alu instid0(VALU_DEP_2) | instskip(SKIP_1) | instid1(VALU_DEP_3)
	v_mul_lo_u32 v14, v10, s46
	v_mul_lo_u32 v10, v10, s47
	v_sub_nc_u32_e32 v12, v12, v17
	s_delay_alu instid0(VALU_DEP_3) | instskip(NEXT) | instid1(VALU_DEP_2)
	v_add3_u32 v0, v13, v0, v14
	v_mul_lo_u32 v17, v12, s50
	v_mul_lo_u32 v12, v12, s51
	v_add3_u32 v4, v15, v4, v10
	s_delay_alu instid0(VALU_DEP_3) | instskip(NEXT) | instid1(VALU_DEP_2)
	v_add3_u32 v0, v16, v0, v17
	v_add3_u32 v4, v11, v4, v12
	s_cbranch_scc1 .LBB417_1124
; %bb.1125:
	s_and_b32 s7, s7, 3
	s_delay_alu instid0(SALU_CYCLE_1)
	s_cmp_eq_u32 s7, 0
	s_cbranch_scc0 .LBB417_1128
	s_branch .LBB417_1130
.LBB417_1126:
	s_mov_b32 s6, -1
                                        ; implicit-def: $vgpr0
                                        ; implicit-def: $vgpr4
	s_branch .LBB417_1130
.LBB417_1127:
	v_dual_mov_b32 v9, v8 :: v_dual_mov_b32 v4, 0
	s_and_b32 s7, s7, 3
	s_delay_alu instid0(SALU_CYCLE_1)
	s_cmp_eq_u32 s7, 0
	s_cbranch_scc1 .LBB417_1130
.LBB417_1128:
	s_lshl_b32 s2, s10, 3
	s_mul_i32 s4, s10, 12
	s_add_u32 s2, s2, s16
	s_addc_u32 s3, 0, s17
	s_add_u32 s2, s2, 0xc4
	s_addc_u32 s3, s3, 0
	;; [unrolled: 2-line block ×3, first 2 shown]
	.p2align	6
.LBB417_1129:                           ; =>This Inner Loop Header: Depth=1
	s_clause 0x1
	s_load_b64 s[10:11], s[4:5], 0x4
	s_load_b32 s14, s[4:5], 0xc
	s_load_b64 s[12:13], s[2:3], 0x0
	s_add_u32 s4, s4, 12
	s_addc_u32 s5, s5, 0
	s_add_u32 s2, s2, 8
	s_addc_u32 s3, s3, 0
	s_add_i32 s7, s7, -1
	s_delay_alu instid0(SALU_CYCLE_1) | instskip(SKIP_2) | instid1(VALU_DEP_1)
	s_cmp_lg_u32 s7, 0
	s_waitcnt lgkmcnt(0)
	v_mul_hi_u32 v10, s11, v9
	v_add_nc_u32_e32 v10, v9, v10
	s_delay_alu instid0(VALU_DEP_1) | instskip(NEXT) | instid1(VALU_DEP_1)
	v_lshrrev_b32_e32 v13, s14, v10
	v_mul_lo_u32 v10, v13, s10
	s_delay_alu instid0(VALU_DEP_1) | instskip(NEXT) | instid1(VALU_DEP_1)
	v_sub_nc_u32_e32 v9, v9, v10
	v_mad_u64_u32 v[10:11], null, v9, s12, v[0:1]
	s_waitcnt vmcnt(0)
	v_mad_u64_u32 v[11:12], null, v9, s13, v[4:5]
	s_delay_alu instid0(VALU_DEP_2) | instskip(NEXT) | instid1(VALU_DEP_2)
	v_dual_mov_b32 v9, v13 :: v_dual_mov_b32 v0, v10
	v_mov_b32_e32 v4, v11
	s_cbranch_scc1 .LBB417_1129
.LBB417_1130:
	s_and_not1_b32 vcc_lo, exec_lo, s6
	s_cbranch_vccnz .LBB417_1133
; %bb.1131:
	s_clause 0x1
	s_load_b128 s[4:7], s[16:17], 0x4
	s_load_b64 s[2:3], s[16:17], 0xc4
	s_cmp_lt_u32 s24, 2
	s_waitcnt lgkmcnt(0)
	v_mul_hi_u32 v0, s5, v8
	s_delay_alu instid0(VALU_DEP_1) | instskip(NEXT) | instid1(VALU_DEP_1)
	v_add_nc_u32_e32 v0, v8, v0
	v_lshrrev_b32_e32 v9, s6, v0
	s_delay_alu instid0(VALU_DEP_1) | instskip(NEXT) | instid1(VALU_DEP_1)
	v_mul_lo_u32 v0, v9, s4
	v_sub_nc_u32_e32 v4, v8, v0
	s_delay_alu instid0(VALU_DEP_1)
	v_mul_lo_u32 v0, v4, s2
	v_mul_lo_u32 v4, v4, s3
	s_cbranch_scc1 .LBB417_1133
; %bb.1132:
	s_clause 0x1
	s_load_b128 s[4:7], s[16:17], 0x10
	s_load_b64 s[2:3], s[16:17], 0xcc
	s_waitcnt lgkmcnt(0)
	v_mul_hi_u32 v8, s5, v9
	s_delay_alu instid0(VALU_DEP_1) | instskip(NEXT) | instid1(VALU_DEP_1)
	v_add_nc_u32_e32 v8, v9, v8
	v_lshrrev_b32_e32 v8, s6, v8
	s_delay_alu instid0(VALU_DEP_1) | instskip(NEXT) | instid1(VALU_DEP_1)
	v_mul_lo_u32 v8, v8, s4
	v_sub_nc_u32_e32 v11, v9, v8
	s_delay_alu instid0(VALU_DEP_1) | instskip(SKIP_2) | instid1(VALU_DEP_2)
	v_mad_u64_u32 v[8:9], null, v11, s2, v[0:1]
	s_waitcnt vmcnt(0)
	v_mad_u64_u32 v[9:10], null, v11, s3, v[4:5]
	v_mov_b32_e32 v0, v8
	s_delay_alu instid0(VALU_DEP_2)
	v_mov_b32_e32 v4, v9
.LBB417_1133:
	s_clause 0x1
	s_load_b32 s0, s[0:1], 0x160
	s_load_b128 s[4:7], s[16:17], 0x148
	s_mov_b32 s10, 0
	s_waitcnt lgkmcnt(0)
	s_lshr_b32 s1, s0, 24
	v_add_co_u32 v7, s3, s6, v7
	v_cmp_lt_i16_e64 s2, s1, 11
	v_add_co_ci_u32_e64 v8, null, s7, 0, s3
	s_delay_alu instid0(VALU_DEP_2)
	s_and_b32 vcc_lo, exec_lo, s2
	s_cbranch_vccnz .LBB417_1140
; %bb.1134:
	v_cmp_gt_i16_e64 s2, s1, 25
	s_mov_b32 s3, 0
	s_delay_alu instid0(VALU_DEP_1)
	s_and_b32 vcc_lo, exec_lo, s2
	s_cbranch_vccz .LBB417_1146
; %bb.1135:
	v_cmp_gt_i16_e64 s2, s1, 28
	s_delay_alu instid0(VALU_DEP_1)
	s_and_b32 vcc_lo, exec_lo, s2
	s_cbranch_vccz .LBB417_1148
; %bb.1136:
	v_cmp_gt_i16_e64 s2, s1, 43
	;; [unrolled: 5-line block ×3, first 2 shown]
	s_delay_alu instid0(VALU_DEP_1)
	s_and_b32 vcc_lo, exec_lo, s2
	s_cbranch_vccz .LBB417_1154
; %bb.1138:
	v_cmp_eq_u16_e64 s2, s1, 46
	s_mov_b32 s11, 0
	s_delay_alu instid0(VALU_DEP_1)
	s_and_b32 vcc_lo, exec_lo, s2
	s_cbranch_vccz .LBB417_1196
; %bb.1139:
	global_load_b32 v9, v[7:8], off
	s_mov_b32 s2, 0
	s_mov_b32 s10, -1
	s_branch .LBB417_1198
.LBB417_1140:
	s_mov_b32 s2, s8
                                        ; implicit-def: $vgpr9
	s_cbranch_execz .LBB417_1261
; %bb.1141:
	v_cmp_lt_i16_e64 s3, s1, 5
	s_delay_alu instid0(VALU_DEP_1)
	s_and_b32 vcc_lo, exec_lo, s3
	s_cbranch_vccnz .LBB417_1147
; %bb.1142:
	v_cmp_lt_i16_e64 s3, s1, 8
	s_delay_alu instid0(VALU_DEP_1)
	s_and_b32 vcc_lo, exec_lo, s3
	s_cbranch_vccnz .LBB417_1149
; %bb.1143:
	v_cmp_lt_i16_e64 s3, s1, 9
	s_delay_alu instid0(VALU_DEP_1)
	s_and_b32 vcc_lo, exec_lo, s3
	s_cbranch_vccnz .LBB417_1151
; %bb.1144:
	v_cmp_gt_i16_e64 s3, s1, 9
	s_delay_alu instid0(VALU_DEP_1)
	s_and_b32 vcc_lo, exec_lo, s3
	s_cbranch_vccz .LBB417_1155
; %bb.1145:
	global_load_b64 v[9:10], v[7:8], off
	s_mov_b32 s3, 0
	s_waitcnt vmcnt(0)
	v_cvt_f32_f64_e32 v9, v[9:10]
	s_delay_alu instid0(VALU_DEP_1) | instskip(SKIP_1) | instid1(VALU_DEP_2)
	v_bfe_u32 v10, v9, 16, 1
	v_cmp_o_f32_e32 vcc_lo, v9, v9
	v_add3_u32 v10, v9, v10, 0x7fff
	s_delay_alu instid0(VALU_DEP_1) | instskip(NEXT) | instid1(VALU_DEP_1)
	v_lshrrev_b32_e32 v10, 16, v10
	v_cndmask_b32_e32 v9, 0x7fc0, v10, vcc_lo
	s_branch .LBB417_1156
.LBB417_1146:
	s_mov_b32 s2, 0
                                        ; implicit-def: $vgpr9
	s_cbranch_execnz .LBB417_1226
	s_branch .LBB417_1257
.LBB417_1147:
                                        ; implicit-def: $vgpr9
	s_branch .LBB417_1173
.LBB417_1148:
	s_mov_b32 s11, -1
	s_mov_b32 s2, 0
                                        ; implicit-def: $vgpr9
	s_branch .LBB417_1207
.LBB417_1149:
                                        ; implicit-def: $vgpr9
	s_branch .LBB417_1162
.LBB417_1150:
	s_mov_b32 s2, 0
                                        ; implicit-def: $vgpr9
	s_cbranch_execnz .LBB417_1203
	s_branch .LBB417_1206
.LBB417_1151:
	s_mov_b32 s3, -1
                                        ; implicit-def: $vgpr9
	s_branch .LBB417_1159
.LBB417_1152:
	s_cbranch_execnz .LBB417_1194
; %bb.1153:
	s_or_b32 s6, s6, exec_lo
	s_and_not1_b32 s8, s8, exec_lo
	s_or_b32 exec_lo, exec_lo, s2
	s_and_saveexec_b32 s2, s8
	s_delay_alu instid0(SALU_CYCLE_1)
	s_xor_b32 s2, exec_lo, s2
	s_cbranch_execnz .LBB417_1040
	s_branch .LBB417_1041
.LBB417_1154:
	s_mov_b32 s11, -1
	s_mov_b32 s2, 0
	s_branch .LBB417_1197
.LBB417_1155:
	s_mov_b32 s3, -1
                                        ; implicit-def: $vgpr9
.LBB417_1156:
	s_delay_alu instid0(SALU_CYCLE_1)
	s_and_not1_b32 vcc_lo, exec_lo, s3
	s_cbranch_vccnz .LBB417_1158
; %bb.1157:
	global_load_b32 v9, v[7:8], off
	s_waitcnt vmcnt(0)
	v_bfe_u32 v10, v9, 16, 1
	v_cmp_o_f32_e32 vcc_lo, v9, v9
	s_delay_alu instid0(VALU_DEP_2) | instskip(NEXT) | instid1(VALU_DEP_1)
	v_add3_u32 v10, v9, v10, 0x7fff
	v_lshrrev_b32_e32 v10, 16, v10
	s_delay_alu instid0(VALU_DEP_1)
	v_cndmask_b32_e32 v9, 0x7fc0, v10, vcc_lo
.LBB417_1158:
	s_mov_b32 s3, 0
.LBB417_1159:
	s_delay_alu instid0(SALU_CYCLE_1)
	s_and_not1_b32 vcc_lo, exec_lo, s3
	s_cbranch_vccnz .LBB417_1161
; %bb.1160:
	global_load_b32 v9, v[7:8], off
	s_waitcnt vmcnt(0)
	v_cvt_f32_f16_e32 v10, v9
	v_cmp_o_f16_e32 vcc_lo, v9, v9
	s_delay_alu instid0(VALU_DEP_2) | instskip(NEXT) | instid1(VALU_DEP_1)
	v_bfe_u32 v11, v10, 16, 1
	v_add3_u32 v10, v10, v11, 0x7fff
	s_delay_alu instid0(VALU_DEP_1) | instskip(NEXT) | instid1(VALU_DEP_1)
	v_lshrrev_b32_e32 v10, 16, v10
	v_cndmask_b32_e32 v9, 0x7fc0, v10, vcc_lo
.LBB417_1161:
	s_cbranch_execnz .LBB417_1172
.LBB417_1162:
	v_cmp_lt_i16_e64 s3, s1, 6
	s_delay_alu instid0(VALU_DEP_1)
	s_and_b32 vcc_lo, exec_lo, s3
	s_cbranch_vccnz .LBB417_1165
; %bb.1163:
	v_cmp_gt_i16_e64 s3, s1, 6
	s_delay_alu instid0(VALU_DEP_1)
	s_and_b32 vcc_lo, exec_lo, s3
	s_cbranch_vccz .LBB417_1166
; %bb.1164:
	global_load_b64 v[9:10], v[7:8], off
	s_mov_b32 s3, 0
	s_waitcnt vmcnt(0)
	v_cvt_f32_f64_e32 v9, v[9:10]
	s_delay_alu instid0(VALU_DEP_1) | instskip(SKIP_1) | instid1(VALU_DEP_2)
	v_bfe_u32 v10, v9, 16, 1
	v_cmp_o_f32_e32 vcc_lo, v9, v9
	v_add3_u32 v10, v9, v10, 0x7fff
	s_delay_alu instid0(VALU_DEP_1) | instskip(NEXT) | instid1(VALU_DEP_1)
	v_lshrrev_b32_e32 v10, 16, v10
	v_cndmask_b32_e32 v9, 0x7fc0, v10, vcc_lo
	s_branch .LBB417_1167
.LBB417_1165:
	s_mov_b32 s3, -1
                                        ; implicit-def: $vgpr9
	s_branch .LBB417_1170
.LBB417_1166:
	s_mov_b32 s3, -1
                                        ; implicit-def: $vgpr9
.LBB417_1167:
	s_delay_alu instid0(SALU_CYCLE_1)
	s_and_not1_b32 vcc_lo, exec_lo, s3
	s_cbranch_vccnz .LBB417_1169
; %bb.1168:
	global_load_b32 v9, v[7:8], off
	s_waitcnt vmcnt(0)
	v_bfe_u32 v10, v9, 16, 1
	v_cmp_o_f32_e32 vcc_lo, v9, v9
	s_delay_alu instid0(VALU_DEP_2) | instskip(NEXT) | instid1(VALU_DEP_1)
	v_add3_u32 v10, v9, v10, 0x7fff
	v_lshrrev_b32_e32 v10, 16, v10
	s_delay_alu instid0(VALU_DEP_1)
	v_cndmask_b32_e32 v9, 0x7fc0, v10, vcc_lo
.LBB417_1169:
	s_mov_b32 s3, 0
.LBB417_1170:
	s_delay_alu instid0(SALU_CYCLE_1)
	s_and_not1_b32 vcc_lo, exec_lo, s3
	s_cbranch_vccnz .LBB417_1172
; %bb.1171:
	global_load_u16 v9, v[7:8], off
	s_waitcnt vmcnt(0)
	v_cvt_f32_f16_e32 v10, v9
	v_cmp_o_f16_e32 vcc_lo, v9, v9
	s_delay_alu instid0(VALU_DEP_2) | instskip(NEXT) | instid1(VALU_DEP_1)
	v_bfe_u32 v11, v10, 16, 1
	v_add3_u32 v10, v10, v11, 0x7fff
	s_delay_alu instid0(VALU_DEP_1) | instskip(NEXT) | instid1(VALU_DEP_1)
	v_lshrrev_b32_e32 v10, 16, v10
	v_cndmask_b32_e32 v9, 0x7fc0, v10, vcc_lo
.LBB417_1172:
	s_cbranch_execnz .LBB417_1191
.LBB417_1173:
	v_cmp_lt_i16_e64 s3, s1, 2
	s_delay_alu instid0(VALU_DEP_1)
	s_and_b32 vcc_lo, exec_lo, s3
	s_cbranch_vccnz .LBB417_1177
; %bb.1174:
	v_cmp_lt_i16_e64 s3, s1, 3
	s_delay_alu instid0(VALU_DEP_1)
	s_and_b32 vcc_lo, exec_lo, s3
	s_cbranch_vccnz .LBB417_1178
; %bb.1175:
	v_cmp_gt_i16_e64 s3, s1, 3
	s_delay_alu instid0(VALU_DEP_1)
	s_and_b32 vcc_lo, exec_lo, s3
	s_cbranch_vccz .LBB417_1179
; %bb.1176:
	global_load_b64 v[9:10], v[7:8], off
	s_mov_b32 s3, 0
	s_waitcnt vmcnt(0)
	v_xor_b32_e32 v11, v9, v10
	v_cls_i32_e32 v12, v10
	s_delay_alu instid0(VALU_DEP_2) | instskip(NEXT) | instid1(VALU_DEP_2)
	v_ashrrev_i32_e32 v11, 31, v11
	v_add_nc_u32_e32 v12, -1, v12
	s_delay_alu instid0(VALU_DEP_2) | instskip(NEXT) | instid1(VALU_DEP_1)
	v_add_nc_u32_e32 v11, 32, v11
	v_min_u32_e32 v11, v12, v11
	s_delay_alu instid0(VALU_DEP_1) | instskip(NEXT) | instid1(VALU_DEP_1)
	v_lshlrev_b64 v[9:10], v11, v[9:10]
	v_min_u32_e32 v9, 1, v9
	s_delay_alu instid0(VALU_DEP_1) | instskip(SKIP_1) | instid1(VALU_DEP_2)
	v_or_b32_e32 v9, v10, v9
	v_sub_nc_u32_e32 v10, 32, v11
	v_cvt_f32_i32_e32 v9, v9
	s_delay_alu instid0(VALU_DEP_1) | instskip(NEXT) | instid1(VALU_DEP_1)
	v_ldexp_f32 v9, v9, v10
	v_bfe_u32 v10, v9, 16, 1
	s_delay_alu instid0(VALU_DEP_1) | instskip(NEXT) | instid1(VALU_DEP_1)
	v_add3_u32 v9, v9, v10, 0x7fff
	v_lshrrev_b32_e32 v9, 16, v9
	s_branch .LBB417_1180
.LBB417_1177:
                                        ; implicit-def: $vgpr9
	s_branch .LBB417_1186
.LBB417_1178:
	s_mov_b32 s3, -1
                                        ; implicit-def: $vgpr9
	s_branch .LBB417_1183
.LBB417_1179:
	s_mov_b32 s3, -1
                                        ; implicit-def: $vgpr9
.LBB417_1180:
	s_delay_alu instid0(SALU_CYCLE_1)
	s_and_not1_b32 vcc_lo, exec_lo, s3
	s_cbranch_vccnz .LBB417_1182
; %bb.1181:
	global_load_b32 v9, v[7:8], off
	s_waitcnt vmcnt(0)
	v_cvt_f32_i32_e32 v9, v9
	s_delay_alu instid0(VALU_DEP_1) | instskip(NEXT) | instid1(VALU_DEP_1)
	v_bfe_u32 v10, v9, 16, 1
	v_add3_u32 v9, v9, v10, 0x7fff
	s_delay_alu instid0(VALU_DEP_1)
	v_lshrrev_b32_e32 v9, 16, v9
.LBB417_1182:
	s_mov_b32 s3, 0
.LBB417_1183:
	s_delay_alu instid0(SALU_CYCLE_1)
	s_and_not1_b32 vcc_lo, exec_lo, s3
	s_cbranch_vccnz .LBB417_1185
; %bb.1184:
	global_load_i16 v9, v[7:8], off
	s_waitcnt vmcnt(0)
	v_cvt_f32_i32_e32 v9, v9
	s_delay_alu instid0(VALU_DEP_1) | instskip(NEXT) | instid1(VALU_DEP_1)
	v_bfe_u32 v10, v9, 16, 1
	v_add3_u32 v9, v9, v10, 0x7fff
	s_delay_alu instid0(VALU_DEP_1)
	v_lshrrev_b32_e32 v9, 16, v9
.LBB417_1185:
	s_cbranch_execnz .LBB417_1191
.LBB417_1186:
	v_cmp_gt_i16_e64 s3, s1, 0
	s_delay_alu instid0(VALU_DEP_1)
	s_and_b32 vcc_lo, exec_lo, s3
	s_mov_b32 s3, 0
	s_cbranch_vccz .LBB417_1188
; %bb.1187:
	global_load_i8 v9, v[7:8], off
	s_waitcnt vmcnt(0)
	v_cvt_f32_i32_e32 v9, v9
	s_delay_alu instid0(VALU_DEP_1) | instskip(NEXT) | instid1(VALU_DEP_1)
	v_bfe_u32 v10, v9, 16, 1
	v_add3_u32 v9, v9, v10, 0x7fff
	s_delay_alu instid0(VALU_DEP_1)
	v_lshrrev_b32_e32 v9, 16, v9
	s_branch .LBB417_1189
.LBB417_1188:
	s_mov_b32 s3, -1
                                        ; implicit-def: $vgpr9
.LBB417_1189:
	s_delay_alu instid0(SALU_CYCLE_1)
	s_and_not1_b32 vcc_lo, exec_lo, s3
	s_cbranch_vccnz .LBB417_1191
; %bb.1190:
	global_load_u8 v7, v[7:8], off
	s_waitcnt vmcnt(0)
	v_cvt_f32_ubyte0_e32 v7, v7
	s_delay_alu instid0(VALU_DEP_1) | instskip(NEXT) | instid1(VALU_DEP_1)
	v_bfe_u32 v8, v7, 16, 1
	v_add3_u32 v7, v7, v8, 0x7fff
	s_delay_alu instid0(VALU_DEP_1)
	v_lshrrev_b32_e32 v9, 16, v7
.LBB417_1191:
	s_branch .LBB417_1262
.LBB417_1192:
	s_trap 2
	s_sendmsg_rtn_b32 s0, sendmsg(MSG_RTN_GET_DOORBELL)
	s_mov_b32 ttmp2, m0
	s_waitcnt lgkmcnt(0)
	s_and_b32 s0, s0, 0x3ff
	s_delay_alu instid0(SALU_CYCLE_1) | instskip(NEXT) | instid1(SALU_CYCLE_1)
	s_bitset1_b32 s0, 10
	s_mov_b32 m0, s0
	s_sendmsg sendmsg(MSG_INTERRUPT)
	s_mov_b32 m0, ttmp2
.LBB417_1193:                           ; =>This Inner Loop Header: Depth=1
	s_sethalt 5
	s_branch .LBB417_1193
.LBB417_1194:
	s_trap 2
	s_sendmsg_rtn_b32 s0, sendmsg(MSG_RTN_GET_DOORBELL)
	s_mov_b32 ttmp2, m0
	s_waitcnt lgkmcnt(0)
	s_and_b32 s0, s0, 0x3ff
	s_delay_alu instid0(SALU_CYCLE_1) | instskip(NEXT) | instid1(SALU_CYCLE_1)
	s_bitset1_b32 s0, 10
	s_mov_b32 m0, s0
	s_sendmsg sendmsg(MSG_INTERRUPT)
	s_mov_b32 m0, ttmp2
.LBB417_1195:                           ; =>This Inner Loop Header: Depth=1
	s_sethalt 5
	s_branch .LBB417_1195
.LBB417_1196:
	s_mov_b32 s2, -1
.LBB417_1197:
                                        ; implicit-def: $vgpr9
.LBB417_1198:
	s_and_b32 vcc_lo, exec_lo, s11
	s_cbranch_vccz .LBB417_1201
; %bb.1199:
	v_cmp_eq_u16_e64 s2, s1, 44
	s_delay_alu instid0(VALU_DEP_1)
	s_and_b32 vcc_lo, exec_lo, s2
	s_cbranch_vccz .LBB417_1202
; %bb.1200:
	global_load_u8 v9, v[7:8], off
	s_mov_b32 s2, 0
	s_mov_b32 s10, -1
	s_waitcnt vmcnt(0)
	v_lshlrev_b32_e32 v10, 23, v9
	v_cmp_ne_u32_e32 vcc_lo, 0xff, v9
	s_delay_alu instid0(VALU_DEP_2) | instskip(SKIP_1) | instid1(VALU_DEP_2)
	v_cndmask_b32_e32 v10, 0x7f800001, v10, vcc_lo
	v_cmp_ne_u32_e32 vcc_lo, 0, v9
	v_cndmask_b32_e32 v9, 0x400000, v10, vcc_lo
	s_delay_alu instid0(VALU_DEP_1) | instskip(SKIP_1) | instid1(VALU_DEP_2)
	v_add_nc_u32_e32 v10, 0x7fff, v9
	v_cmp_o_f32_e32 vcc_lo, v9, v9
	v_lshrrev_b32_e32 v10, 16, v10
	s_delay_alu instid0(VALU_DEP_1)
	v_cndmask_b32_e32 v9, 0x7fc0, v10, vcc_lo
.LBB417_1201:
	s_branch .LBB417_1206
.LBB417_1202:
	s_mov_b32 s2, -1
                                        ; implicit-def: $vgpr9
	s_branch .LBB417_1206
.LBB417_1203:
	v_cmp_eq_u16_e64 s2, s1, 29
	s_delay_alu instid0(VALU_DEP_1)
	s_and_b32 vcc_lo, exec_lo, s2
	s_cbranch_vccz .LBB417_1205
; %bb.1204:
	global_load_b64 v[9:10], v[7:8], off
	s_mov_b32 s2, 0
	s_mov_b32 s10, -1
	s_mov_b32 s11, 0
	s_waitcnt vmcnt(0)
	v_clz_i32_u32_e32 v11, v10
	s_delay_alu instid0(VALU_DEP_1) | instskip(NEXT) | instid1(VALU_DEP_1)
	v_min_u32_e32 v11, 32, v11
	v_lshlrev_b64 v[9:10], v11, v[9:10]
	s_delay_alu instid0(VALU_DEP_1) | instskip(NEXT) | instid1(VALU_DEP_1)
	v_min_u32_e32 v9, 1, v9
	v_or_b32_e32 v9, v10, v9
	v_sub_nc_u32_e32 v10, 32, v11
	s_delay_alu instid0(VALU_DEP_2) | instskip(NEXT) | instid1(VALU_DEP_1)
	v_cvt_f32_u32_e32 v9, v9
	v_ldexp_f32 v9, v9, v10
	s_delay_alu instid0(VALU_DEP_1) | instskip(NEXT) | instid1(VALU_DEP_1)
	v_bfe_u32 v10, v9, 16, 1
	v_add3_u32 v9, v9, v10, 0x7fff
	s_delay_alu instid0(VALU_DEP_1)
	v_lshrrev_b32_e32 v9, 16, v9
	s_branch .LBB417_1207
.LBB417_1205:
	s_mov_b32 s2, -1
                                        ; implicit-def: $vgpr9
.LBB417_1206:
	s_mov_b32 s11, 0
.LBB417_1207:
	s_delay_alu instid0(SALU_CYCLE_1)
	s_and_b32 vcc_lo, exec_lo, s11
	s_cbranch_vccz .LBB417_1225
; %bb.1208:
	v_cmp_lt_i16_e64 s10, s1, 27
	s_delay_alu instid0(VALU_DEP_1)
	s_and_b32 vcc_lo, exec_lo, s10
	s_cbranch_vccnz .LBB417_1211
; %bb.1209:
	v_cmp_gt_i16_e64 s10, s1, 27
	s_delay_alu instid0(VALU_DEP_1)
	s_and_b32 vcc_lo, exec_lo, s10
	s_cbranch_vccz .LBB417_1212
; %bb.1210:
	global_load_b32 v9, v[7:8], off
	s_mov_b32 s10, 0
	s_waitcnt vmcnt(0)
	v_cvt_f32_u32_e32 v9, v9
	s_delay_alu instid0(VALU_DEP_1) | instskip(NEXT) | instid1(VALU_DEP_1)
	v_bfe_u32 v10, v9, 16, 1
	v_add3_u32 v9, v9, v10, 0x7fff
	s_delay_alu instid0(VALU_DEP_1)
	v_lshrrev_b32_e32 v9, 16, v9
	s_branch .LBB417_1213
.LBB417_1211:
	s_mov_b32 s10, -1
                                        ; implicit-def: $vgpr9
	s_branch .LBB417_1216
.LBB417_1212:
	s_mov_b32 s10, -1
                                        ; implicit-def: $vgpr9
.LBB417_1213:
	s_delay_alu instid0(SALU_CYCLE_1)
	s_and_not1_b32 vcc_lo, exec_lo, s10
	s_cbranch_vccnz .LBB417_1215
; %bb.1214:
	global_load_u16 v9, v[7:8], off
	s_waitcnt vmcnt(0)
	v_cvt_f32_u32_e32 v9, v9
	s_delay_alu instid0(VALU_DEP_1) | instskip(NEXT) | instid1(VALU_DEP_1)
	v_bfe_u32 v10, v9, 16, 1
	v_add3_u32 v9, v9, v10, 0x7fff
	s_delay_alu instid0(VALU_DEP_1)
	v_lshrrev_b32_e32 v9, 16, v9
.LBB417_1215:
	s_mov_b32 s10, 0
.LBB417_1216:
	s_delay_alu instid0(SALU_CYCLE_1)
	s_and_not1_b32 vcc_lo, exec_lo, s10
	s_cbranch_vccnz .LBB417_1224
; %bb.1217:
	global_load_u8 v9, v[7:8], off
	s_mov_b32 s10, 0
	s_mov_b32 s12, exec_lo
                                        ; implicit-def: $sgpr11
	s_waitcnt vmcnt(0)
	v_cmpx_lt_i16_e32 0x7f, v9
	s_xor_b32 s12, exec_lo, s12
	s_cbranch_execz .LBB417_1237
; %bb.1218:
	s_mov_b32 s10, -1
	s_mov_b32 s13, exec_lo
                                        ; implicit-def: $sgpr11
	v_cmpx_eq_u16_e32 0x80, v9
; %bb.1219:
	s_mov_b32 s11, 0x7f800001
	s_xor_b32 s10, exec_lo, -1
; %bb.1220:
	s_or_b32 exec_lo, exec_lo, s13
	s_delay_alu instid0(SALU_CYCLE_1)
	s_and_b32 s10, s10, exec_lo
	s_or_saveexec_b32 s12, s12
	v_mov_b32_e32 v10, s11
	s_xor_b32 exec_lo, exec_lo, s12
	s_cbranch_execnz .LBB417_1238
.LBB417_1221:
	s_or_b32 exec_lo, exec_lo, s12
	s_and_saveexec_b32 s11, s10
	s_cbranch_execz .LBB417_1223
.LBB417_1222:
	v_and_b32_e32 v10, 0xffff, v9
	v_lshlrev_b32_e32 v9, 24, v9
	s_delay_alu instid0(VALU_DEP_2) | instskip(NEXT) | instid1(VALU_DEP_2)
	v_and_b32_e32 v11, 7, v10
	v_and_b32_e32 v9, 0x80000000, v9
	s_delay_alu instid0(VALU_DEP_2) | instskip(NEXT) | instid1(VALU_DEP_1)
	v_clz_i32_u32_e32 v12, v11
	v_min_u32_e32 v12, 32, v12
	s_delay_alu instid0(VALU_DEP_1) | instskip(SKIP_1) | instid1(VALU_DEP_2)
	v_subrev_nc_u32_e32 v13, 28, v12
	v_sub_nc_u32_e32 v12, 29, v12
	v_lshlrev_b32_e32 v13, v13, v10
	v_bfe_u32 v10, v10, 3, 4
	s_delay_alu instid0(VALU_DEP_2) | instskip(NEXT) | instid1(VALU_DEP_2)
	v_and_b32_e32 v13, 7, v13
	v_cmp_eq_u32_e32 vcc_lo, 0, v10
	s_delay_alu instid0(VALU_DEP_2) | instskip(NEXT) | instid1(VALU_DEP_1)
	v_dual_cndmask_b32 v10, v10, v12 :: v_dual_cndmask_b32 v11, v11, v13
	v_lshl_add_u32 v10, v10, 23, 0x3b800000
	s_delay_alu instid0(VALU_DEP_2) | instskip(NEXT) | instid1(VALU_DEP_1)
	v_lshlrev_b32_e32 v11, 20, v11
	v_or3_b32 v10, v9, v10, v11
.LBB417_1223:
	s_or_b32 exec_lo, exec_lo, s11
	s_delay_alu instid0(VALU_DEP_1) | instskip(SKIP_1) | instid1(VALU_DEP_2)
	v_bfe_u32 v9, v10, 16, 1
	v_cmp_o_f32_e32 vcc_lo, v10, v10
	v_add3_u32 v9, v10, v9, 0x7fff
	s_delay_alu instid0(VALU_DEP_1) | instskip(NEXT) | instid1(VALU_DEP_1)
	v_lshrrev_b32_e32 v9, 16, v9
	v_cndmask_b32_e32 v9, 0x7fc0, v9, vcc_lo
.LBB417_1224:
	s_mov_b32 s10, -1
.LBB417_1225:
	s_branch .LBB417_1257
.LBB417_1226:
	v_cmp_gt_i16_e64 s3, s1, 22
	s_delay_alu instid0(VALU_DEP_1)
	s_and_b32 vcc_lo, exec_lo, s3
	s_cbranch_vccz .LBB417_1236
; %bb.1227:
	v_cmp_lt_i16_e64 s3, s1, 24
	s_delay_alu instid0(VALU_DEP_1)
	s_and_b32 vcc_lo, exec_lo, s3
	s_cbranch_vccnz .LBB417_1239
; %bb.1228:
	v_cmp_gt_i16_e64 s3, s1, 24
	s_delay_alu instid0(VALU_DEP_1)
	s_and_b32 vcc_lo, exec_lo, s3
	s_cbranch_vccz .LBB417_1240
; %bb.1229:
	global_load_u8 v9, v[7:8], off
	s_mov_b32 s3, 0
	s_mov_b32 s11, exec_lo
                                        ; implicit-def: $sgpr10
	s_waitcnt vmcnt(0)
	v_cmpx_lt_i16_e32 0x7f, v9
	s_xor_b32 s11, exec_lo, s11
	s_cbranch_execz .LBB417_1251
; %bb.1230:
	s_mov_b32 s3, -1
	s_mov_b32 s12, exec_lo
                                        ; implicit-def: $sgpr10
	v_cmpx_eq_u16_e32 0x80, v9
; %bb.1231:
	s_mov_b32 s10, 0x7f800001
	s_xor_b32 s3, exec_lo, -1
; %bb.1232:
	s_or_b32 exec_lo, exec_lo, s12
	s_delay_alu instid0(SALU_CYCLE_1)
	s_and_b32 s3, s3, exec_lo
	s_or_saveexec_b32 s11, s11
	v_mov_b32_e32 v10, s10
	s_xor_b32 exec_lo, exec_lo, s11
	s_cbranch_execnz .LBB417_1252
.LBB417_1233:
	s_or_b32 exec_lo, exec_lo, s11
	s_and_saveexec_b32 s10, s3
	s_cbranch_execz .LBB417_1235
.LBB417_1234:
	v_and_b32_e32 v10, 0xffff, v9
	v_lshlrev_b32_e32 v9, 24, v9
	s_delay_alu instid0(VALU_DEP_2) | instskip(NEXT) | instid1(VALU_DEP_2)
	v_and_b32_e32 v11, 3, v10
	v_and_b32_e32 v9, 0x80000000, v9
	s_delay_alu instid0(VALU_DEP_2) | instskip(NEXT) | instid1(VALU_DEP_1)
	v_clz_i32_u32_e32 v12, v11
	v_min_u32_e32 v12, 32, v12
	s_delay_alu instid0(VALU_DEP_1) | instskip(SKIP_1) | instid1(VALU_DEP_2)
	v_subrev_nc_u32_e32 v13, 29, v12
	v_sub_nc_u32_e32 v12, 30, v12
	v_lshlrev_b32_e32 v13, v13, v10
	v_bfe_u32 v10, v10, 2, 5
	s_delay_alu instid0(VALU_DEP_2) | instskip(NEXT) | instid1(VALU_DEP_2)
	v_and_b32_e32 v13, 3, v13
	v_cmp_eq_u32_e32 vcc_lo, 0, v10
	s_delay_alu instid0(VALU_DEP_2) | instskip(NEXT) | instid1(VALU_DEP_1)
	v_dual_cndmask_b32 v10, v10, v12 :: v_dual_cndmask_b32 v11, v11, v13
	v_lshl_add_u32 v10, v10, 23, 0x37800000
	s_delay_alu instid0(VALU_DEP_2) | instskip(NEXT) | instid1(VALU_DEP_1)
	v_lshlrev_b32_e32 v11, 21, v11
	v_or3_b32 v10, v9, v10, v11
.LBB417_1235:
	s_or_b32 exec_lo, exec_lo, s10
	s_delay_alu instid0(VALU_DEP_1) | instskip(SKIP_2) | instid1(VALU_DEP_2)
	v_bfe_u32 v9, v10, 16, 1
	v_cmp_o_f32_e32 vcc_lo, v10, v10
	s_mov_b32 s3, 0
	v_add3_u32 v9, v10, v9, 0x7fff
	s_delay_alu instid0(VALU_DEP_1) | instskip(NEXT) | instid1(VALU_DEP_1)
	v_lshrrev_b32_e32 v9, 16, v9
	v_cndmask_b32_e32 v9, 0x7fc0, v9, vcc_lo
	s_branch .LBB417_1241
.LBB417_1236:
                                        ; implicit-def: $vgpr9
	s_mov_b32 s3, 0
	s_branch .LBB417_1247
.LBB417_1237:
	s_or_saveexec_b32 s12, s12
	v_mov_b32_e32 v10, s11
	s_xor_b32 exec_lo, exec_lo, s12
	s_cbranch_execz .LBB417_1221
.LBB417_1238:
	v_cmp_ne_u16_e32 vcc_lo, 0, v9
	v_mov_b32_e32 v10, 0
	s_and_not1_b32 s10, s10, exec_lo
	s_and_b32 s11, vcc_lo, exec_lo
	s_delay_alu instid0(SALU_CYCLE_1)
	s_or_b32 s10, s10, s11
	s_or_b32 exec_lo, exec_lo, s12
	s_and_saveexec_b32 s11, s10
	s_cbranch_execnz .LBB417_1222
	s_branch .LBB417_1223
.LBB417_1239:
	s_mov_b32 s3, -1
                                        ; implicit-def: $vgpr9
	s_branch .LBB417_1244
.LBB417_1240:
	s_mov_b32 s3, -1
                                        ; implicit-def: $vgpr9
.LBB417_1241:
	s_delay_alu instid0(SALU_CYCLE_1)
	s_and_b32 vcc_lo, exec_lo, s3
	s_cbranch_vccz .LBB417_1243
; %bb.1242:
	global_load_u8 v9, v[7:8], off
	s_waitcnt vmcnt(0)
	v_lshlrev_b32_e32 v9, 24, v9
	s_delay_alu instid0(VALU_DEP_1) | instskip(NEXT) | instid1(VALU_DEP_1)
	v_and_b32_e32 v10, 0x7f000000, v9
	v_clz_i32_u32_e32 v11, v10
	v_add_nc_u32_e32 v13, 0x1000000, v10
	v_cmp_ne_u32_e32 vcc_lo, 0, v10
	s_delay_alu instid0(VALU_DEP_3) | instskip(NEXT) | instid1(VALU_DEP_1)
	v_min_u32_e32 v11, 32, v11
	v_sub_nc_u32_e64 v11, v11, 4 clamp
	s_delay_alu instid0(VALU_DEP_1) | instskip(SKIP_1) | instid1(VALU_DEP_2)
	v_lshlrev_b32_e32 v12, v11, v10
	v_lshlrev_b32_e32 v11, 23, v11
	v_lshrrev_b32_e32 v12, 4, v12
	s_delay_alu instid0(VALU_DEP_1) | instskip(SKIP_1) | instid1(VALU_DEP_2)
	v_sub_nc_u32_e32 v11, v12, v11
	v_ashrrev_i32_e32 v12, 8, v13
	v_add_nc_u32_e32 v11, 0x3c000000, v11
	s_delay_alu instid0(VALU_DEP_1) | instskip(NEXT) | instid1(VALU_DEP_1)
	v_and_or_b32 v11, 0x7f800000, v12, v11
	v_cndmask_b32_e32 v10, 0, v11, vcc_lo
	s_delay_alu instid0(VALU_DEP_1) | instskip(SKIP_1) | instid1(VALU_DEP_2)
	v_and_or_b32 v9, 0x80000000, v9, v10
	v_bfe_u32 v10, v10, 16, 1
	v_cmp_o_f32_e32 vcc_lo, v9, v9
	s_delay_alu instid0(VALU_DEP_2) | instskip(NEXT) | instid1(VALU_DEP_1)
	v_add3_u32 v10, v9, v10, 0x7fff
	v_lshrrev_b32_e32 v10, 16, v10
	s_delay_alu instid0(VALU_DEP_1)
	v_cndmask_b32_e32 v9, 0x7fc0, v10, vcc_lo
.LBB417_1243:
	s_mov_b32 s3, 0
.LBB417_1244:
	s_delay_alu instid0(SALU_CYCLE_1)
	s_and_not1_b32 vcc_lo, exec_lo, s3
	s_cbranch_vccnz .LBB417_1246
; %bb.1245:
	global_load_u8 v9, v[7:8], off
	s_waitcnt vmcnt(0)
	v_lshlrev_b32_e32 v10, 25, v9
	v_lshlrev_b16 v9, 8, v9
	s_delay_alu instid0(VALU_DEP_2) | instskip(NEXT) | instid1(VALU_DEP_2)
	v_lshrrev_b32_e32 v11, 4, v10
	v_and_or_b32 v12, 0x7f00, v9, 0.5
	v_bfe_i32 v9, v9, 0, 16
	s_delay_alu instid0(VALU_DEP_3) | instskip(NEXT) | instid1(VALU_DEP_1)
	v_or_b32_e32 v11, 0x70000000, v11
	v_dual_add_f32 v12, -0.5, v12 :: v_dual_mul_f32 v11, 0x7800000, v11
	v_cmp_gt_u32_e32 vcc_lo, 0x8000000, v10
	s_delay_alu instid0(VALU_DEP_2) | instskip(NEXT) | instid1(VALU_DEP_1)
	v_cndmask_b32_e32 v10, v11, v12, vcc_lo
	v_and_or_b32 v9, 0x80000000, v9, v10
	v_bfe_u32 v10, v10, 16, 1
	s_delay_alu instid0(VALU_DEP_2) | instskip(NEXT) | instid1(VALU_DEP_2)
	v_cmp_o_f32_e32 vcc_lo, v9, v9
	v_add3_u32 v10, v9, v10, 0x7fff
	s_delay_alu instid0(VALU_DEP_1) | instskip(NEXT) | instid1(VALU_DEP_1)
	v_lshrrev_b32_e32 v10, 16, v10
	v_cndmask_b32_e32 v9, 0x7fc0, v10, vcc_lo
.LBB417_1246:
	s_mov_b32 s10, -1
	s_mov_b32 s3, 0
	s_cbranch_execnz .LBB417_1257
.LBB417_1247:
	v_cmp_gt_i16_e64 s3, s1, 14
	s_delay_alu instid0(VALU_DEP_1)
	s_and_b32 vcc_lo, exec_lo, s3
	s_cbranch_vccz .LBB417_1250
; %bb.1248:
	v_cmp_eq_u16_e64 s2, s1, 15
	s_delay_alu instid0(VALU_DEP_1)
	s_and_b32 vcc_lo, exec_lo, s2
	s_cbranch_vccz .LBB417_1253
; %bb.1249:
	global_load_u16 v9, v[7:8], off
	s_mov_b32 s2, 0
	s_mov_b32 s10, -1
	s_branch .LBB417_1254
.LBB417_1250:
	s_mov_b32 s3, -1
                                        ; implicit-def: $vgpr9
	s_branch .LBB417_1255
.LBB417_1251:
	s_or_saveexec_b32 s11, s11
	v_mov_b32_e32 v10, s10
	s_xor_b32 exec_lo, exec_lo, s11
	s_cbranch_execz .LBB417_1233
.LBB417_1252:
	v_cmp_ne_u16_e32 vcc_lo, 0, v9
	v_mov_b32_e32 v10, 0
	s_and_not1_b32 s3, s3, exec_lo
	s_and_b32 s10, vcc_lo, exec_lo
	s_delay_alu instid0(SALU_CYCLE_1)
	s_or_b32 s3, s3, s10
	s_or_b32 exec_lo, exec_lo, s11
	s_and_saveexec_b32 s10, s3
	s_cbranch_execnz .LBB417_1234
	s_branch .LBB417_1235
.LBB417_1253:
	s_mov_b32 s2, -1
                                        ; implicit-def: $vgpr9
.LBB417_1254:
	s_mov_b32 s3, 0
.LBB417_1255:
	s_delay_alu instid0(SALU_CYCLE_1)
	s_and_b32 vcc_lo, exec_lo, s3
	s_mov_b32 s3, 0
	s_cbranch_vccz .LBB417_1257
; %bb.1256:
	v_cmp_ne_u16_e64 s2, s1, 11
	s_mov_b32 s3, -1
                                        ; implicit-def: $vgpr9
.LBB417_1257:
	s_delay_alu instid0(VALU_DEP_1)
	s_and_b32 vcc_lo, exec_lo, s2
	s_mov_b32 s2, s8
	s_cbranch_vccnz .LBB417_1281
; %bb.1258:
	s_and_not1_b32 vcc_lo, exec_lo, s3
	s_cbranch_vccnz .LBB417_1260
.LBB417_1259:
	global_load_u8 v9, v[7:8], off
	s_mov_b32 s10, -1
	s_waitcnt vmcnt(0)
	v_cmp_ne_u16_e32 vcc_lo, 0, v9
	v_cndmask_b32_e64 v9, 0, 1.0, vcc_lo
	s_delay_alu instid0(VALU_DEP_1)
	v_lshrrev_b32_e32 v9, 16, v9
.LBB417_1260:
.LBB417_1261:
	s_and_not1_b32 vcc_lo, exec_lo, s10
	s_cbranch_vccnz .LBB417_2094
.LBB417_1262:
	v_cmp_lt_i16_e64 s3, s1, 11
	v_add_co_u32 v6, s10, s6, v6
	s_delay_alu instid0(VALU_DEP_1) | instskip(NEXT) | instid1(VALU_DEP_3)
	v_add_co_ci_u32_e64 v7, null, s7, 0, s10
	s_and_b32 vcc_lo, exec_lo, s3
	s_mov_b32 s11, 0
	s_cbranch_vccnz .LBB417_1269
; %bb.1263:
	v_cmp_gt_i16_e64 s3, s1, 25
	s_mov_b32 s10, 0
	s_delay_alu instid0(VALU_DEP_1)
	s_and_b32 vcc_lo, exec_lo, s3
	s_cbranch_vccz .LBB417_1275
; %bb.1264:
	v_cmp_gt_i16_e64 s3, s1, 28
	s_delay_alu instid0(VALU_DEP_1)
	s_and_b32 vcc_lo, exec_lo, s3
	s_cbranch_vccz .LBB417_1277
; %bb.1265:
	v_cmp_gt_i16_e64 s3, s1, 43
	;; [unrolled: 5-line block ×3, first 2 shown]
	s_delay_alu instid0(VALU_DEP_1)
	s_and_b32 vcc_lo, exec_lo, s3
	s_cbranch_vccz .LBB417_1285
; %bb.1267:
	v_cmp_eq_u16_e64 s3, s1, 46
	s_mov_b32 s12, 0
	s_delay_alu instid0(VALU_DEP_1)
	s_and_b32 vcc_lo, exec_lo, s3
	s_cbranch_vccz .LBB417_1329
; %bb.1268:
	global_load_b32 v8, v[6:7], off
	s_mov_b32 s3, 0
	s_mov_b32 s11, -1
	s_branch .LBB417_1331
.LBB417_1269:
                                        ; implicit-def: $vgpr8
	s_cbranch_execz .LBB417_1396
; %bb.1270:
	v_cmp_lt_i16_e64 s3, s1, 5
	s_delay_alu instid0(VALU_DEP_1)
	s_and_b32 vcc_lo, exec_lo, s3
	s_cbranch_vccnz .LBB417_1276
; %bb.1271:
	v_cmp_lt_i16_e64 s3, s1, 8
	s_delay_alu instid0(VALU_DEP_1)
	s_and_b32 vcc_lo, exec_lo, s3
	s_cbranch_vccnz .LBB417_1278
	;; [unrolled: 5-line block ×3, first 2 shown]
; %bb.1273:
	v_cmp_gt_i16_e64 s3, s1, 9
	s_delay_alu instid0(VALU_DEP_1)
	s_and_b32 vcc_lo, exec_lo, s3
	s_cbranch_vccz .LBB417_1286
; %bb.1274:
	global_load_b64 v[10:11], v[6:7], off
	s_mov_b32 s3, 0
	s_waitcnt vmcnt(0)
	v_cvt_f32_f64_e32 v8, v[10:11]
	s_delay_alu instid0(VALU_DEP_1) | instskip(SKIP_1) | instid1(VALU_DEP_2)
	v_bfe_u32 v10, v8, 16, 1
	v_cmp_o_f32_e32 vcc_lo, v8, v8
	v_add3_u32 v10, v8, v10, 0x7fff
	s_delay_alu instid0(VALU_DEP_1) | instskip(NEXT) | instid1(VALU_DEP_1)
	v_lshrrev_b32_e32 v10, 16, v10
	v_cndmask_b32_e32 v8, 0x7fc0, v10, vcc_lo
	s_branch .LBB417_1287
.LBB417_1275:
	s_mov_b32 s3, 0
                                        ; implicit-def: $vgpr8
	s_cbranch_execnz .LBB417_1360
	s_branch .LBB417_1392
.LBB417_1276:
                                        ; implicit-def: $vgpr8
	s_branch .LBB417_1305
.LBB417_1277:
	s_mov_b32 s12, -1
	s_mov_b32 s3, 0
                                        ; implicit-def: $vgpr8
	s_branch .LBB417_1341
.LBB417_1278:
	s_mov_b32 s3, -1
                                        ; implicit-def: $vgpr8
	s_branch .LBB417_1293
.LBB417_1279:
	s_mov_b32 s12, -1
	s_mov_b32 s3, 0
                                        ; implicit-def: $vgpr8
	s_branch .LBB417_1336
.LBB417_1280:
	s_mov_b32 s3, -1
                                        ; implicit-def: $vgpr8
	s_branch .LBB417_1290
.LBB417_1281:
	s_cbranch_execnz .LBB417_1325
; %bb.1282:
	s_or_b32 s2, s8, exec_lo
                                        ; implicit-def: $vgpr9
	s_cbranch_execz .LBB417_1259
	s_branch .LBB417_1260
.LBB417_1283:
	s_or_saveexec_b32 s5, s5
                                        ; implicit-def: $sgpr8
	s_delay_alu instid0(SALU_CYCLE_1)
	s_xor_b32 exec_lo, exec_lo, s5
	s_cbranch_execz .LBB417_991
.LBB417_1284:
	v_add_f32_e64 v5, 0x46000000, |v6|
	s_and_not1_b32 s4, s4, exec_lo
	s_mov_b32 s8, 0
	s_delay_alu instid0(VALU_DEP_1) | instskip(NEXT) | instid1(VALU_DEP_1)
	v_and_b32_e32 v5, 0xff, v5
	v_cmp_ne_u32_e32 vcc_lo, 0, v5
	s_and_b32 s9, vcc_lo, exec_lo
	s_delay_alu instid0(SALU_CYCLE_1)
	s_or_b32 s4, s4, s9
	s_or_b32 exec_lo, exec_lo, s5
	v_mov_b32_e32 v7, s8
	s_and_saveexec_b32 s5, s4
	s_cbranch_execnz .LBB417_992
	s_branch .LBB417_993
.LBB417_1285:
	s_mov_b32 s12, -1
	s_mov_b32 s3, 0
	s_branch .LBB417_1330
.LBB417_1286:
	s_mov_b32 s3, -1
                                        ; implicit-def: $vgpr8
.LBB417_1287:
	s_delay_alu instid0(SALU_CYCLE_1)
	s_and_not1_b32 vcc_lo, exec_lo, s3
	s_cbranch_vccnz .LBB417_1289
; %bb.1288:
	global_load_b32 v8, v[6:7], off
	s_waitcnt vmcnt(0)
	v_bfe_u32 v10, v8, 16, 1
	v_cmp_o_f32_e32 vcc_lo, v8, v8
	s_delay_alu instid0(VALU_DEP_2) | instskip(NEXT) | instid1(VALU_DEP_1)
	v_add3_u32 v10, v8, v10, 0x7fff
	v_lshrrev_b32_e32 v10, 16, v10
	s_delay_alu instid0(VALU_DEP_1)
	v_cndmask_b32_e32 v8, 0x7fc0, v10, vcc_lo
.LBB417_1289:
	s_mov_b32 s3, 0
.LBB417_1290:
	s_delay_alu instid0(SALU_CYCLE_1)
	s_and_not1_b32 vcc_lo, exec_lo, s3
	s_cbranch_vccnz .LBB417_1292
; %bb.1291:
	global_load_b32 v8, v[6:7], off
	s_waitcnt vmcnt(0)
	v_cvt_f32_f16_e32 v10, v8
	v_cmp_o_f16_e32 vcc_lo, v8, v8
	s_delay_alu instid0(VALU_DEP_2) | instskip(NEXT) | instid1(VALU_DEP_1)
	v_bfe_u32 v11, v10, 16, 1
	v_add3_u32 v10, v10, v11, 0x7fff
	s_delay_alu instid0(VALU_DEP_1) | instskip(NEXT) | instid1(VALU_DEP_1)
	v_lshrrev_b32_e32 v10, 16, v10
	v_cndmask_b32_e32 v8, 0x7fc0, v10, vcc_lo
.LBB417_1292:
	s_mov_b32 s3, 0
.LBB417_1293:
	s_delay_alu instid0(SALU_CYCLE_1)
	s_and_not1_b32 vcc_lo, exec_lo, s3
	s_cbranch_vccnz .LBB417_1304
; %bb.1294:
	v_cmp_lt_i16_e64 s3, s1, 6
	s_delay_alu instid0(VALU_DEP_1)
	s_and_b32 vcc_lo, exec_lo, s3
	s_cbranch_vccnz .LBB417_1297
; %bb.1295:
	v_cmp_gt_i16_e64 s3, s1, 6
	s_delay_alu instid0(VALU_DEP_1)
	s_and_b32 vcc_lo, exec_lo, s3
	s_cbranch_vccz .LBB417_1298
; %bb.1296:
	global_load_b64 v[10:11], v[6:7], off
	s_mov_b32 s3, 0
	s_waitcnt vmcnt(0)
	v_cvt_f32_f64_e32 v8, v[10:11]
	s_delay_alu instid0(VALU_DEP_1) | instskip(SKIP_1) | instid1(VALU_DEP_2)
	v_bfe_u32 v10, v8, 16, 1
	v_cmp_o_f32_e32 vcc_lo, v8, v8
	v_add3_u32 v10, v8, v10, 0x7fff
	s_delay_alu instid0(VALU_DEP_1) | instskip(NEXT) | instid1(VALU_DEP_1)
	v_lshrrev_b32_e32 v10, 16, v10
	v_cndmask_b32_e32 v8, 0x7fc0, v10, vcc_lo
	s_branch .LBB417_1299
.LBB417_1297:
	s_mov_b32 s3, -1
                                        ; implicit-def: $vgpr8
	s_branch .LBB417_1302
.LBB417_1298:
	s_mov_b32 s3, -1
                                        ; implicit-def: $vgpr8
.LBB417_1299:
	s_delay_alu instid0(SALU_CYCLE_1)
	s_and_not1_b32 vcc_lo, exec_lo, s3
	s_cbranch_vccnz .LBB417_1301
; %bb.1300:
	global_load_b32 v8, v[6:7], off
	s_waitcnt vmcnt(0)
	v_bfe_u32 v10, v8, 16, 1
	v_cmp_o_f32_e32 vcc_lo, v8, v8
	s_delay_alu instid0(VALU_DEP_2) | instskip(NEXT) | instid1(VALU_DEP_1)
	v_add3_u32 v10, v8, v10, 0x7fff
	v_lshrrev_b32_e32 v10, 16, v10
	s_delay_alu instid0(VALU_DEP_1)
	v_cndmask_b32_e32 v8, 0x7fc0, v10, vcc_lo
.LBB417_1301:
	s_mov_b32 s3, 0
.LBB417_1302:
	s_delay_alu instid0(SALU_CYCLE_1)
	s_and_not1_b32 vcc_lo, exec_lo, s3
	s_cbranch_vccnz .LBB417_1304
; %bb.1303:
	global_load_u16 v8, v[6:7], off
	s_waitcnt vmcnt(0)
	v_cvt_f32_f16_e32 v10, v8
	v_cmp_o_f16_e32 vcc_lo, v8, v8
	s_delay_alu instid0(VALU_DEP_2) | instskip(NEXT) | instid1(VALU_DEP_1)
	v_bfe_u32 v11, v10, 16, 1
	v_add3_u32 v10, v10, v11, 0x7fff
	s_delay_alu instid0(VALU_DEP_1) | instskip(NEXT) | instid1(VALU_DEP_1)
	v_lshrrev_b32_e32 v10, 16, v10
	v_cndmask_b32_e32 v8, 0x7fc0, v10, vcc_lo
.LBB417_1304:
	s_cbranch_execnz .LBB417_1324
.LBB417_1305:
	v_cmp_lt_i16_e64 s3, s1, 2
	s_delay_alu instid0(VALU_DEP_1)
	s_and_b32 vcc_lo, exec_lo, s3
	s_cbranch_vccnz .LBB417_1309
; %bb.1306:
	v_cmp_lt_i16_e64 s3, s1, 3
	s_delay_alu instid0(VALU_DEP_1)
	s_and_b32 vcc_lo, exec_lo, s3
	s_cbranch_vccnz .LBB417_1310
; %bb.1307:
	v_cmp_gt_i16_e64 s3, s1, 3
	s_delay_alu instid0(VALU_DEP_1)
	s_and_b32 vcc_lo, exec_lo, s3
	s_cbranch_vccz .LBB417_1311
; %bb.1308:
	global_load_b64 v[10:11], v[6:7], off
	s_mov_b32 s3, 0
	s_waitcnt vmcnt(0)
	v_xor_b32_e32 v8, v10, v11
	v_cls_i32_e32 v12, v11
	s_delay_alu instid0(VALU_DEP_2) | instskip(NEXT) | instid1(VALU_DEP_2)
	v_ashrrev_i32_e32 v8, 31, v8
	v_add_nc_u32_e32 v12, -1, v12
	s_delay_alu instid0(VALU_DEP_2) | instskip(NEXT) | instid1(VALU_DEP_1)
	v_add_nc_u32_e32 v8, 32, v8
	v_min_u32_e32 v8, v12, v8
	s_delay_alu instid0(VALU_DEP_1) | instskip(SKIP_1) | instid1(VALU_DEP_2)
	v_lshlrev_b64 v[10:11], v8, v[10:11]
	v_sub_nc_u32_e32 v8, 32, v8
	v_min_u32_e32 v10, 1, v10
	s_delay_alu instid0(VALU_DEP_1) | instskip(NEXT) | instid1(VALU_DEP_1)
	v_or_b32_e32 v10, v11, v10
	v_cvt_f32_i32_e32 v10, v10
	s_delay_alu instid0(VALU_DEP_1) | instskip(NEXT) | instid1(VALU_DEP_1)
	v_ldexp_f32 v8, v10, v8
	v_bfe_u32 v10, v8, 16, 1
	s_delay_alu instid0(VALU_DEP_1) | instskip(NEXT) | instid1(VALU_DEP_1)
	v_add3_u32 v8, v8, v10, 0x7fff
	v_lshrrev_b32_e32 v8, 16, v8
	s_branch .LBB417_1312
.LBB417_1309:
	s_mov_b32 s3, -1
                                        ; implicit-def: $vgpr8
	s_branch .LBB417_1318
.LBB417_1310:
	s_mov_b32 s3, -1
                                        ; implicit-def: $vgpr8
	s_branch .LBB417_1315
.LBB417_1311:
	s_mov_b32 s3, -1
                                        ; implicit-def: $vgpr8
.LBB417_1312:
	s_delay_alu instid0(SALU_CYCLE_1)
	s_and_not1_b32 vcc_lo, exec_lo, s3
	s_cbranch_vccnz .LBB417_1314
; %bb.1313:
	global_load_b32 v8, v[6:7], off
	s_waitcnt vmcnt(0)
	v_cvt_f32_i32_e32 v8, v8
	s_delay_alu instid0(VALU_DEP_1) | instskip(NEXT) | instid1(VALU_DEP_1)
	v_bfe_u32 v10, v8, 16, 1
	v_add3_u32 v8, v8, v10, 0x7fff
	s_delay_alu instid0(VALU_DEP_1)
	v_lshrrev_b32_e32 v8, 16, v8
.LBB417_1314:
	s_mov_b32 s3, 0
.LBB417_1315:
	s_delay_alu instid0(SALU_CYCLE_1)
	s_and_not1_b32 vcc_lo, exec_lo, s3
	s_cbranch_vccnz .LBB417_1317
; %bb.1316:
	global_load_i16 v8, v[6:7], off
	s_waitcnt vmcnt(0)
	v_cvt_f32_i32_e32 v8, v8
	s_delay_alu instid0(VALU_DEP_1) | instskip(NEXT) | instid1(VALU_DEP_1)
	v_bfe_u32 v10, v8, 16, 1
	v_add3_u32 v8, v8, v10, 0x7fff
	s_delay_alu instid0(VALU_DEP_1)
	v_lshrrev_b32_e32 v8, 16, v8
.LBB417_1317:
	s_mov_b32 s3, 0
.LBB417_1318:
	s_delay_alu instid0(SALU_CYCLE_1)
	s_and_not1_b32 vcc_lo, exec_lo, s3
	s_cbranch_vccnz .LBB417_1324
; %bb.1319:
	v_cmp_gt_i16_e64 s3, s1, 0
	s_delay_alu instid0(VALU_DEP_1)
	s_and_b32 vcc_lo, exec_lo, s3
	s_mov_b32 s3, 0
	s_cbranch_vccz .LBB417_1321
; %bb.1320:
	global_load_i8 v8, v[6:7], off
	s_waitcnt vmcnt(0)
	v_cvt_f32_i32_e32 v8, v8
	s_delay_alu instid0(VALU_DEP_1) | instskip(NEXT) | instid1(VALU_DEP_1)
	v_bfe_u32 v10, v8, 16, 1
	v_add3_u32 v8, v8, v10, 0x7fff
	s_delay_alu instid0(VALU_DEP_1)
	v_lshrrev_b32_e32 v8, 16, v8
	s_branch .LBB417_1322
.LBB417_1321:
	s_mov_b32 s3, -1
                                        ; implicit-def: $vgpr8
.LBB417_1322:
	s_delay_alu instid0(SALU_CYCLE_1)
	s_and_not1_b32 vcc_lo, exec_lo, s3
	s_cbranch_vccnz .LBB417_1324
; %bb.1323:
	global_load_u8 v6, v[6:7], off
	s_waitcnt vmcnt(0)
	v_cvt_f32_ubyte0_e32 v6, v6
	s_delay_alu instid0(VALU_DEP_1) | instskip(NEXT) | instid1(VALU_DEP_1)
	v_bfe_u32 v7, v6, 16, 1
	v_add3_u32 v6, v6, v7, 0x7fff
	s_delay_alu instid0(VALU_DEP_1)
	v_lshrrev_b32_e32 v8, 16, v6
.LBB417_1324:
	s_branch .LBB417_1397
.LBB417_1325:
	s_trap 2
	s_sendmsg_rtn_b32 s0, sendmsg(MSG_RTN_GET_DOORBELL)
	s_mov_b32 ttmp2, m0
	s_waitcnt lgkmcnt(0)
	s_and_b32 s0, s0, 0x3ff
	s_delay_alu instid0(SALU_CYCLE_1) | instskip(NEXT) | instid1(SALU_CYCLE_1)
	s_bitset1_b32 s0, 10
	s_mov_b32 m0, s0
	s_sendmsg sendmsg(MSG_INTERRUPT)
	s_mov_b32 m0, ttmp2
.LBB417_1326:                           ; =>This Inner Loop Header: Depth=1
	s_sethalt 5
	s_branch .LBB417_1326
.LBB417_1327:
	s_or_saveexec_b32 s8, s8
                                        ; implicit-def: $sgpr9
	s_delay_alu instid0(SALU_CYCLE_1)
	s_xor_b32 exec_lo, exec_lo, s8
	s_cbranch_execz .LBB417_1003
.LBB417_1328:
	v_add_f32_e64 v5, 0x42800000, |v6|
	s_and_not1_b32 s5, s5, exec_lo
	s_mov_b32 s9, 0
	s_delay_alu instid0(VALU_DEP_1) | instskip(NEXT) | instid1(VALU_DEP_1)
	v_and_b32_e32 v5, 0xff, v5
	v_cmp_ne_u32_e32 vcc_lo, 0, v5
	s_and_b32 s10, vcc_lo, exec_lo
	s_delay_alu instid0(SALU_CYCLE_1)
	s_or_b32 s5, s5, s10
	s_or_b32 exec_lo, exec_lo, s8
	v_mov_b32_e32 v7, s9
	s_and_saveexec_b32 s8, s5
	s_cbranch_execnz .LBB417_1004
	s_branch .LBB417_1005
.LBB417_1329:
	s_mov_b32 s3, -1
.LBB417_1330:
                                        ; implicit-def: $vgpr8
.LBB417_1331:
	s_and_b32 vcc_lo, exec_lo, s12
	s_cbranch_vccz .LBB417_1335
; %bb.1332:
	v_cmp_eq_u16_e64 s3, s1, 44
	s_delay_alu instid0(VALU_DEP_1)
	s_and_b32 vcc_lo, exec_lo, s3
	s_cbranch_vccz .LBB417_1334
; %bb.1333:
	global_load_u8 v8, v[6:7], off
	s_mov_b32 s3, 0
	s_mov_b32 s11, -1
	s_waitcnt vmcnt(0)
	v_lshlrev_b32_e32 v10, 23, v8
	v_cmp_ne_u32_e32 vcc_lo, 0xff, v8
	s_delay_alu instid0(VALU_DEP_2) | instskip(SKIP_1) | instid1(VALU_DEP_2)
	v_cndmask_b32_e32 v10, 0x7f800001, v10, vcc_lo
	v_cmp_ne_u32_e32 vcc_lo, 0, v8
	v_cndmask_b32_e32 v8, 0x400000, v10, vcc_lo
	s_delay_alu instid0(VALU_DEP_1) | instskip(SKIP_1) | instid1(VALU_DEP_2)
	v_add_nc_u32_e32 v10, 0x7fff, v8
	v_cmp_o_f32_e32 vcc_lo, v8, v8
	v_lshrrev_b32_e32 v10, 16, v10
	s_delay_alu instid0(VALU_DEP_1)
	v_cndmask_b32_e32 v8, 0x7fc0, v10, vcc_lo
	s_branch .LBB417_1335
.LBB417_1334:
	s_mov_b32 s3, -1
                                        ; implicit-def: $vgpr8
.LBB417_1335:
	s_mov_b32 s12, 0
.LBB417_1336:
	s_delay_alu instid0(SALU_CYCLE_1)
	s_and_b32 vcc_lo, exec_lo, s12
	s_cbranch_vccz .LBB417_1340
; %bb.1337:
	v_cmp_eq_u16_e64 s3, s1, 29
	s_delay_alu instid0(VALU_DEP_1)
	s_and_b32 vcc_lo, exec_lo, s3
	s_cbranch_vccz .LBB417_1339
; %bb.1338:
	global_load_b64 v[10:11], v[6:7], off
	s_mov_b32 s3, 0
	s_mov_b32 s11, -1
	s_mov_b32 s12, 0
	s_waitcnt vmcnt(0)
	v_clz_i32_u32_e32 v8, v11
	s_delay_alu instid0(VALU_DEP_1) | instskip(NEXT) | instid1(VALU_DEP_1)
	v_min_u32_e32 v8, 32, v8
	v_lshlrev_b64 v[10:11], v8, v[10:11]
	v_sub_nc_u32_e32 v8, 32, v8
	s_delay_alu instid0(VALU_DEP_2) | instskip(NEXT) | instid1(VALU_DEP_1)
	v_min_u32_e32 v10, 1, v10
	v_or_b32_e32 v10, v11, v10
	s_delay_alu instid0(VALU_DEP_1) | instskip(NEXT) | instid1(VALU_DEP_1)
	v_cvt_f32_u32_e32 v10, v10
	v_ldexp_f32 v8, v10, v8
	s_delay_alu instid0(VALU_DEP_1) | instskip(NEXT) | instid1(VALU_DEP_1)
	v_bfe_u32 v10, v8, 16, 1
	v_add3_u32 v8, v8, v10, 0x7fff
	s_delay_alu instid0(VALU_DEP_1)
	v_lshrrev_b32_e32 v8, 16, v8
	s_branch .LBB417_1341
.LBB417_1339:
	s_mov_b32 s3, -1
                                        ; implicit-def: $vgpr8
.LBB417_1340:
	s_mov_b32 s12, 0
.LBB417_1341:
	s_delay_alu instid0(SALU_CYCLE_1)
	s_and_b32 vcc_lo, exec_lo, s12
	s_cbranch_vccz .LBB417_1359
; %bb.1342:
	v_cmp_lt_i16_e64 s11, s1, 27
	s_delay_alu instid0(VALU_DEP_1)
	s_and_b32 vcc_lo, exec_lo, s11
	s_cbranch_vccnz .LBB417_1345
; %bb.1343:
	v_cmp_gt_i16_e64 s11, s1, 27
	s_delay_alu instid0(VALU_DEP_1)
	s_and_b32 vcc_lo, exec_lo, s11
	s_cbranch_vccz .LBB417_1346
; %bb.1344:
	global_load_b32 v8, v[6:7], off
	s_mov_b32 s11, 0
	s_waitcnt vmcnt(0)
	v_cvt_f32_u32_e32 v8, v8
	s_delay_alu instid0(VALU_DEP_1) | instskip(NEXT) | instid1(VALU_DEP_1)
	v_bfe_u32 v10, v8, 16, 1
	v_add3_u32 v8, v8, v10, 0x7fff
	s_delay_alu instid0(VALU_DEP_1)
	v_lshrrev_b32_e32 v8, 16, v8
	s_branch .LBB417_1347
.LBB417_1345:
	s_mov_b32 s11, -1
                                        ; implicit-def: $vgpr8
	s_branch .LBB417_1350
.LBB417_1346:
	s_mov_b32 s11, -1
                                        ; implicit-def: $vgpr8
.LBB417_1347:
	s_delay_alu instid0(SALU_CYCLE_1)
	s_and_not1_b32 vcc_lo, exec_lo, s11
	s_cbranch_vccnz .LBB417_1349
; %bb.1348:
	global_load_u16 v8, v[6:7], off
	s_waitcnt vmcnt(0)
	v_cvt_f32_u32_e32 v8, v8
	s_delay_alu instid0(VALU_DEP_1) | instskip(NEXT) | instid1(VALU_DEP_1)
	v_bfe_u32 v10, v8, 16, 1
	v_add3_u32 v8, v8, v10, 0x7fff
	s_delay_alu instid0(VALU_DEP_1)
	v_lshrrev_b32_e32 v8, 16, v8
.LBB417_1349:
	s_mov_b32 s11, 0
.LBB417_1350:
	s_delay_alu instid0(SALU_CYCLE_1)
	s_and_not1_b32 vcc_lo, exec_lo, s11
	s_cbranch_vccnz .LBB417_1358
; %bb.1351:
	global_load_u8 v8, v[6:7], off
	s_mov_b32 s11, 0
	s_mov_b32 s13, exec_lo
                                        ; implicit-def: $sgpr12
	s_waitcnt vmcnt(0)
	v_cmpx_lt_i16_e32 0x7f, v8
	s_xor_b32 s13, exec_lo, s13
	s_cbranch_execz .LBB417_1371
; %bb.1352:
	s_mov_b32 s11, -1
	s_mov_b32 s14, exec_lo
                                        ; implicit-def: $sgpr12
	v_cmpx_eq_u16_e32 0x80, v8
; %bb.1353:
	s_mov_b32 s12, 0x7f800001
	s_xor_b32 s11, exec_lo, -1
; %bb.1354:
	s_or_b32 exec_lo, exec_lo, s14
	s_delay_alu instid0(SALU_CYCLE_1)
	s_and_b32 s11, s11, exec_lo
	s_or_saveexec_b32 s13, s13
	v_mov_b32_e32 v10, s12
	s_xor_b32 exec_lo, exec_lo, s13
	s_cbranch_execnz .LBB417_1372
.LBB417_1355:
	s_or_b32 exec_lo, exec_lo, s13
	s_and_saveexec_b32 s12, s11
	s_cbranch_execz .LBB417_1357
.LBB417_1356:
	v_and_b32_e32 v10, 0xffff, v8
	v_lshlrev_b32_e32 v8, 24, v8
	s_delay_alu instid0(VALU_DEP_2) | instskip(NEXT) | instid1(VALU_DEP_2)
	v_and_b32_e32 v11, 7, v10
	v_and_b32_e32 v8, 0x80000000, v8
	s_delay_alu instid0(VALU_DEP_2) | instskip(NEXT) | instid1(VALU_DEP_1)
	v_clz_i32_u32_e32 v12, v11
	v_min_u32_e32 v12, 32, v12
	s_delay_alu instid0(VALU_DEP_1) | instskip(SKIP_1) | instid1(VALU_DEP_2)
	v_subrev_nc_u32_e32 v13, 28, v12
	v_sub_nc_u32_e32 v12, 29, v12
	v_lshlrev_b32_e32 v13, v13, v10
	v_bfe_u32 v10, v10, 3, 4
	s_delay_alu instid0(VALU_DEP_2) | instskip(NEXT) | instid1(VALU_DEP_2)
	v_and_b32_e32 v13, 7, v13
	v_cmp_eq_u32_e32 vcc_lo, 0, v10
	s_delay_alu instid0(VALU_DEP_2) | instskip(NEXT) | instid1(VALU_DEP_1)
	v_dual_cndmask_b32 v10, v10, v12 :: v_dual_cndmask_b32 v11, v11, v13
	v_lshl_add_u32 v10, v10, 23, 0x3b800000
	s_delay_alu instid0(VALU_DEP_2) | instskip(NEXT) | instid1(VALU_DEP_1)
	v_lshlrev_b32_e32 v11, 20, v11
	v_or3_b32 v10, v8, v10, v11
.LBB417_1357:
	s_or_b32 exec_lo, exec_lo, s12
	s_delay_alu instid0(VALU_DEP_1) | instskip(SKIP_1) | instid1(VALU_DEP_2)
	v_bfe_u32 v8, v10, 16, 1
	v_cmp_o_f32_e32 vcc_lo, v10, v10
	v_add3_u32 v8, v10, v8, 0x7fff
	s_delay_alu instid0(VALU_DEP_1) | instskip(NEXT) | instid1(VALU_DEP_1)
	v_lshrrev_b32_e32 v8, 16, v8
	v_cndmask_b32_e32 v8, 0x7fc0, v8, vcc_lo
.LBB417_1358:
	s_mov_b32 s11, -1
.LBB417_1359:
	s_branch .LBB417_1392
.LBB417_1360:
	v_cmp_gt_i16_e64 s10, s1, 22
	s_delay_alu instid0(VALU_DEP_1)
	s_and_b32 vcc_lo, exec_lo, s10
	s_cbranch_vccz .LBB417_1370
; %bb.1361:
	v_cmp_lt_i16_e64 s10, s1, 24
	s_delay_alu instid0(VALU_DEP_1)
	s_and_b32 vcc_lo, exec_lo, s10
	s_cbranch_vccnz .LBB417_1373
; %bb.1362:
	v_cmp_gt_i16_e64 s10, s1, 24
	s_delay_alu instid0(VALU_DEP_1)
	s_and_b32 vcc_lo, exec_lo, s10
	s_cbranch_vccz .LBB417_1374
; %bb.1363:
	global_load_u8 v8, v[6:7], off
	s_mov_b32 s10, 0
	s_mov_b32 s12, exec_lo
                                        ; implicit-def: $sgpr11
	s_waitcnt vmcnt(0)
	v_cmpx_lt_i16_e32 0x7f, v8
	s_xor_b32 s12, exec_lo, s12
	s_cbranch_execz .LBB417_1386
; %bb.1364:
	s_mov_b32 s10, -1
	s_mov_b32 s13, exec_lo
                                        ; implicit-def: $sgpr11
	v_cmpx_eq_u16_e32 0x80, v8
; %bb.1365:
	s_mov_b32 s11, 0x7f800001
	s_xor_b32 s10, exec_lo, -1
; %bb.1366:
	s_or_b32 exec_lo, exec_lo, s13
	s_delay_alu instid0(SALU_CYCLE_1)
	s_and_b32 s10, s10, exec_lo
	s_or_saveexec_b32 s12, s12
	v_mov_b32_e32 v10, s11
	s_xor_b32 exec_lo, exec_lo, s12
	s_cbranch_execnz .LBB417_1387
.LBB417_1367:
	s_or_b32 exec_lo, exec_lo, s12
	s_and_saveexec_b32 s11, s10
	s_cbranch_execz .LBB417_1369
.LBB417_1368:
	v_and_b32_e32 v10, 0xffff, v8
	v_lshlrev_b32_e32 v8, 24, v8
	s_delay_alu instid0(VALU_DEP_2) | instskip(NEXT) | instid1(VALU_DEP_2)
	v_and_b32_e32 v11, 3, v10
	v_and_b32_e32 v8, 0x80000000, v8
	s_delay_alu instid0(VALU_DEP_2) | instskip(NEXT) | instid1(VALU_DEP_1)
	v_clz_i32_u32_e32 v12, v11
	v_min_u32_e32 v12, 32, v12
	s_delay_alu instid0(VALU_DEP_1) | instskip(SKIP_1) | instid1(VALU_DEP_2)
	v_subrev_nc_u32_e32 v13, 29, v12
	v_sub_nc_u32_e32 v12, 30, v12
	v_lshlrev_b32_e32 v13, v13, v10
	v_bfe_u32 v10, v10, 2, 5
	s_delay_alu instid0(VALU_DEP_2) | instskip(NEXT) | instid1(VALU_DEP_2)
	v_and_b32_e32 v13, 3, v13
	v_cmp_eq_u32_e32 vcc_lo, 0, v10
	s_delay_alu instid0(VALU_DEP_2) | instskip(NEXT) | instid1(VALU_DEP_1)
	v_dual_cndmask_b32 v10, v10, v12 :: v_dual_cndmask_b32 v11, v11, v13
	v_lshl_add_u32 v10, v10, 23, 0x37800000
	s_delay_alu instid0(VALU_DEP_2) | instskip(NEXT) | instid1(VALU_DEP_1)
	v_lshlrev_b32_e32 v11, 21, v11
	v_or3_b32 v10, v8, v10, v11
.LBB417_1369:
	s_or_b32 exec_lo, exec_lo, s11
	s_delay_alu instid0(VALU_DEP_1) | instskip(SKIP_2) | instid1(VALU_DEP_2)
	v_bfe_u32 v8, v10, 16, 1
	v_cmp_o_f32_e32 vcc_lo, v10, v10
	s_mov_b32 s10, 0
	v_add3_u32 v8, v10, v8, 0x7fff
	s_delay_alu instid0(VALU_DEP_1) | instskip(NEXT) | instid1(VALU_DEP_1)
	v_lshrrev_b32_e32 v8, 16, v8
	v_cndmask_b32_e32 v8, 0x7fc0, v8, vcc_lo
	s_branch .LBB417_1375
.LBB417_1370:
	s_mov_b32 s10, -1
                                        ; implicit-def: $vgpr8
	s_branch .LBB417_1381
.LBB417_1371:
	s_or_saveexec_b32 s13, s13
	v_mov_b32_e32 v10, s12
	s_xor_b32 exec_lo, exec_lo, s13
	s_cbranch_execz .LBB417_1355
.LBB417_1372:
	v_cmp_ne_u16_e32 vcc_lo, 0, v8
	v_mov_b32_e32 v10, 0
	s_and_not1_b32 s11, s11, exec_lo
	s_and_b32 s12, vcc_lo, exec_lo
	s_delay_alu instid0(SALU_CYCLE_1)
	s_or_b32 s11, s11, s12
	s_or_b32 exec_lo, exec_lo, s13
	s_and_saveexec_b32 s12, s11
	s_cbranch_execnz .LBB417_1356
	s_branch .LBB417_1357
.LBB417_1373:
	s_mov_b32 s10, -1
                                        ; implicit-def: $vgpr8
	s_branch .LBB417_1378
.LBB417_1374:
	s_mov_b32 s10, -1
                                        ; implicit-def: $vgpr8
.LBB417_1375:
	s_delay_alu instid0(SALU_CYCLE_1)
	s_and_b32 vcc_lo, exec_lo, s10
	s_cbranch_vccz .LBB417_1377
; %bb.1376:
	global_load_u8 v8, v[6:7], off
	s_waitcnt vmcnt(0)
	v_lshlrev_b32_e32 v8, 24, v8
	s_delay_alu instid0(VALU_DEP_1) | instskip(NEXT) | instid1(VALU_DEP_1)
	v_and_b32_e32 v10, 0x7f000000, v8
	v_clz_i32_u32_e32 v11, v10
	v_cmp_ne_u32_e32 vcc_lo, 0, v10
	v_add_nc_u32_e32 v13, 0x1000000, v10
	s_delay_alu instid0(VALU_DEP_3) | instskip(NEXT) | instid1(VALU_DEP_1)
	v_min_u32_e32 v11, 32, v11
	v_sub_nc_u32_e64 v11, v11, 4 clamp
	s_delay_alu instid0(VALU_DEP_1) | instskip(SKIP_1) | instid1(VALU_DEP_2)
	v_lshlrev_b32_e32 v12, v11, v10
	v_lshlrev_b32_e32 v11, 23, v11
	v_lshrrev_b32_e32 v12, 4, v12
	s_delay_alu instid0(VALU_DEP_1) | instskip(SKIP_1) | instid1(VALU_DEP_2)
	v_sub_nc_u32_e32 v11, v12, v11
	v_ashrrev_i32_e32 v12, 8, v13
	v_add_nc_u32_e32 v11, 0x3c000000, v11
	s_delay_alu instid0(VALU_DEP_1) | instskip(NEXT) | instid1(VALU_DEP_1)
	v_and_or_b32 v11, 0x7f800000, v12, v11
	v_cndmask_b32_e32 v10, 0, v11, vcc_lo
	s_delay_alu instid0(VALU_DEP_1) | instskip(SKIP_1) | instid1(VALU_DEP_2)
	v_and_or_b32 v8, 0x80000000, v8, v10
	v_bfe_u32 v10, v10, 16, 1
	v_cmp_o_f32_e32 vcc_lo, v8, v8
	s_delay_alu instid0(VALU_DEP_2) | instskip(NEXT) | instid1(VALU_DEP_1)
	v_add3_u32 v10, v8, v10, 0x7fff
	v_lshrrev_b32_e32 v10, 16, v10
	s_delay_alu instid0(VALU_DEP_1)
	v_cndmask_b32_e32 v8, 0x7fc0, v10, vcc_lo
.LBB417_1377:
	s_mov_b32 s10, 0
.LBB417_1378:
	s_delay_alu instid0(SALU_CYCLE_1)
	s_and_not1_b32 vcc_lo, exec_lo, s10
	s_cbranch_vccnz .LBB417_1380
; %bb.1379:
	global_load_u8 v8, v[6:7], off
	s_waitcnt vmcnt(0)
	v_lshlrev_b32_e32 v10, 25, v8
	v_lshlrev_b16 v8, 8, v8
	s_delay_alu instid0(VALU_DEP_2) | instskip(NEXT) | instid1(VALU_DEP_2)
	v_lshrrev_b32_e32 v11, 4, v10
	v_and_or_b32 v12, 0x7f00, v8, 0.5
	v_bfe_i32 v8, v8, 0, 16
	s_delay_alu instid0(VALU_DEP_3) | instskip(NEXT) | instid1(VALU_DEP_1)
	v_or_b32_e32 v11, 0x70000000, v11
	v_dual_add_f32 v12, -0.5, v12 :: v_dual_mul_f32 v11, 0x7800000, v11
	v_cmp_gt_u32_e32 vcc_lo, 0x8000000, v10
	s_delay_alu instid0(VALU_DEP_2) | instskip(NEXT) | instid1(VALU_DEP_1)
	v_cndmask_b32_e32 v10, v11, v12, vcc_lo
	v_and_or_b32 v8, 0x80000000, v8, v10
	v_bfe_u32 v10, v10, 16, 1
	s_delay_alu instid0(VALU_DEP_2) | instskip(NEXT) | instid1(VALU_DEP_2)
	v_cmp_o_f32_e32 vcc_lo, v8, v8
	v_add3_u32 v10, v8, v10, 0x7fff
	s_delay_alu instid0(VALU_DEP_1) | instskip(NEXT) | instid1(VALU_DEP_1)
	v_lshrrev_b32_e32 v10, 16, v10
	v_cndmask_b32_e32 v8, 0x7fc0, v10, vcc_lo
.LBB417_1380:
	s_mov_b32 s10, 0
	s_mov_b32 s11, -1
.LBB417_1381:
	s_and_not1_b32 vcc_lo, exec_lo, s10
	s_mov_b32 s10, 0
	s_cbranch_vccnz .LBB417_1392
; %bb.1382:
	v_cmp_gt_i16_e64 s10, s1, 14
	s_delay_alu instid0(VALU_DEP_1)
	s_and_b32 vcc_lo, exec_lo, s10
	s_cbranch_vccz .LBB417_1385
; %bb.1383:
	v_cmp_eq_u16_e64 s3, s1, 15
	s_delay_alu instid0(VALU_DEP_1)
	s_and_b32 vcc_lo, exec_lo, s3
	s_cbranch_vccz .LBB417_1388
; %bb.1384:
	global_load_u16 v8, v[6:7], off
	s_mov_b32 s3, 0
	s_mov_b32 s11, -1
	s_branch .LBB417_1389
.LBB417_1385:
	s_mov_b32 s10, -1
                                        ; implicit-def: $vgpr8
	s_branch .LBB417_1390
.LBB417_1386:
	s_or_saveexec_b32 s12, s12
	v_mov_b32_e32 v10, s11
	s_xor_b32 exec_lo, exec_lo, s12
	s_cbranch_execz .LBB417_1367
.LBB417_1387:
	v_cmp_ne_u16_e32 vcc_lo, 0, v8
	v_mov_b32_e32 v10, 0
	s_and_not1_b32 s10, s10, exec_lo
	s_and_b32 s11, vcc_lo, exec_lo
	s_delay_alu instid0(SALU_CYCLE_1)
	s_or_b32 s10, s10, s11
	s_or_b32 exec_lo, exec_lo, s12
	s_and_saveexec_b32 s11, s10
	s_cbranch_execnz .LBB417_1368
	s_branch .LBB417_1369
.LBB417_1388:
	s_mov_b32 s3, -1
                                        ; implicit-def: $vgpr8
.LBB417_1389:
	s_mov_b32 s10, 0
.LBB417_1390:
	s_delay_alu instid0(SALU_CYCLE_1)
	s_and_b32 vcc_lo, exec_lo, s10
	s_mov_b32 s10, 0
	s_cbranch_vccz .LBB417_1392
; %bb.1391:
	v_cmp_ne_u16_e64 s3, s1, 11
	s_mov_b32 s10, -1
                                        ; implicit-def: $vgpr8
.LBB417_1392:
	s_delay_alu instid0(VALU_DEP_1)
	s_and_b32 vcc_lo, exec_lo, s3
	s_cbranch_vccnz .LBB417_1416
; %bb.1393:
	s_and_not1_b32 vcc_lo, exec_lo, s10
	s_cbranch_vccnz .LBB417_1395
.LBB417_1394:
	global_load_u8 v8, v[6:7], off
	s_mov_b32 s11, -1
	s_waitcnt vmcnt(0)
	v_cmp_ne_u16_e32 vcc_lo, 0, v8
	v_cndmask_b32_e64 v8, 0, 1.0, vcc_lo
	s_delay_alu instid0(VALU_DEP_1)
	v_lshrrev_b32_e32 v8, 16, v8
.LBB417_1395:
.LBB417_1396:
	s_and_not1_b32 vcc_lo, exec_lo, s11
	s_cbranch_vccnz .LBB417_2094
.LBB417_1397:
	v_cmp_lt_i16_e64 s3, s1, 11
	s_waitcnt vmcnt(0)
	v_add_co_u32 v5, s10, s6, v5
	s_delay_alu instid0(VALU_DEP_1) | instskip(NEXT) | instid1(VALU_DEP_3)
	v_add_co_ci_u32_e64 v6, null, s7, 0, s10
	s_and_b32 vcc_lo, exec_lo, s3
	s_mov_b32 s11, 0
	s_cbranch_vccnz .LBB417_1404
; %bb.1398:
	v_cmp_gt_i16_e64 s3, s1, 25
	s_mov_b32 s10, 0
	s_delay_alu instid0(VALU_DEP_1)
	s_and_b32 vcc_lo, exec_lo, s3
	s_cbranch_vccz .LBB417_1410
; %bb.1399:
	v_cmp_gt_i16_e64 s3, s1, 28
	s_delay_alu instid0(VALU_DEP_1)
	s_and_b32 vcc_lo, exec_lo, s3
	s_cbranch_vccz .LBB417_1412
; %bb.1400:
	v_cmp_gt_i16_e64 s3, s1, 43
	;; [unrolled: 5-line block ×3, first 2 shown]
	s_delay_alu instid0(VALU_DEP_1)
	s_and_b32 vcc_lo, exec_lo, s3
	s_cbranch_vccz .LBB417_1418
; %bb.1402:
	v_cmp_eq_u16_e64 s3, s1, 46
	s_mov_b32 s12, 0
	s_delay_alu instid0(VALU_DEP_1)
	s_and_b32 vcc_lo, exec_lo, s3
	s_cbranch_vccz .LBB417_1461
; %bb.1403:
	global_load_b32 v7, v[5:6], off
	s_mov_b32 s3, 0
	s_mov_b32 s11, -1
	s_branch .LBB417_1463
.LBB417_1404:
                                        ; implicit-def: $vgpr7
	s_cbranch_execz .LBB417_1529
; %bb.1405:
	v_cmp_lt_i16_e64 s3, s1, 5
	s_delay_alu instid0(VALU_DEP_1)
	s_and_b32 vcc_lo, exec_lo, s3
	s_cbranch_vccnz .LBB417_1411
; %bb.1406:
	v_cmp_lt_i16_e64 s3, s1, 8
	s_delay_alu instid0(VALU_DEP_1)
	s_and_b32 vcc_lo, exec_lo, s3
	s_cbranch_vccnz .LBB417_1413
	;; [unrolled: 5-line block ×3, first 2 shown]
; %bb.1408:
	v_cmp_gt_i16_e64 s3, s1, 9
	s_delay_alu instid0(VALU_DEP_1)
	s_and_b32 vcc_lo, exec_lo, s3
	s_cbranch_vccz .LBB417_1419
; %bb.1409:
	global_load_b64 v[10:11], v[5:6], off
	s_mov_b32 s3, 0
	s_waitcnt vmcnt(0)
	v_cvt_f32_f64_e32 v7, v[10:11]
	s_delay_alu instid0(VALU_DEP_1) | instskip(SKIP_1) | instid1(VALU_DEP_2)
	v_bfe_u32 v10, v7, 16, 1
	v_cmp_o_f32_e32 vcc_lo, v7, v7
	v_add3_u32 v10, v7, v10, 0x7fff
	s_delay_alu instid0(VALU_DEP_1) | instskip(NEXT) | instid1(VALU_DEP_1)
	v_lshrrev_b32_e32 v10, 16, v10
	v_cndmask_b32_e32 v7, 0x7fc0, v10, vcc_lo
	s_branch .LBB417_1420
.LBB417_1410:
	s_mov_b32 s12, -1
	s_mov_b32 s3, 0
                                        ; implicit-def: $vgpr7
	s_branch .LBB417_1492
.LBB417_1411:
	s_mov_b32 s3, -1
                                        ; implicit-def: $vgpr7
	s_branch .LBB417_1438
.LBB417_1412:
	s_mov_b32 s12, -1
	s_mov_b32 s3, 0
                                        ; implicit-def: $vgpr7
	s_branch .LBB417_1473
.LBB417_1413:
	s_mov_b32 s3, -1
                                        ; implicit-def: $vgpr7
	s_branch .LBB417_1426
.LBB417_1414:
	s_mov_b32 s12, -1
	s_mov_b32 s3, 0
                                        ; implicit-def: $vgpr7
	s_branch .LBB417_1468
.LBB417_1415:
	s_mov_b32 s3, -1
                                        ; implicit-def: $vgpr7
	s_branch .LBB417_1423
.LBB417_1416:
	s_cbranch_execnz .LBB417_1459
; %bb.1417:
	s_or_b32 s2, s2, exec_lo
                                        ; implicit-def: $vgpr8
	s_cbranch_execz .LBB417_1394
	s_branch .LBB417_1395
.LBB417_1418:
	s_mov_b32 s12, -1
	s_mov_b32 s3, 0
	s_branch .LBB417_1462
.LBB417_1419:
	s_mov_b32 s3, -1
                                        ; implicit-def: $vgpr7
.LBB417_1420:
	s_delay_alu instid0(SALU_CYCLE_1)
	s_and_not1_b32 vcc_lo, exec_lo, s3
	s_cbranch_vccnz .LBB417_1422
; %bb.1421:
	global_load_b32 v7, v[5:6], off
	s_waitcnt vmcnt(0)
	v_bfe_u32 v10, v7, 16, 1
	v_cmp_o_f32_e32 vcc_lo, v7, v7
	s_delay_alu instid0(VALU_DEP_2) | instskip(NEXT) | instid1(VALU_DEP_1)
	v_add3_u32 v10, v7, v10, 0x7fff
	v_lshrrev_b32_e32 v10, 16, v10
	s_delay_alu instid0(VALU_DEP_1)
	v_cndmask_b32_e32 v7, 0x7fc0, v10, vcc_lo
.LBB417_1422:
	s_mov_b32 s3, 0
.LBB417_1423:
	s_delay_alu instid0(SALU_CYCLE_1)
	s_and_not1_b32 vcc_lo, exec_lo, s3
	s_cbranch_vccnz .LBB417_1425
; %bb.1424:
	global_load_b32 v7, v[5:6], off
	s_waitcnt vmcnt(0)
	v_cvt_f32_f16_e32 v10, v7
	v_cmp_o_f16_e32 vcc_lo, v7, v7
	s_delay_alu instid0(VALU_DEP_2) | instskip(NEXT) | instid1(VALU_DEP_1)
	v_bfe_u32 v11, v10, 16, 1
	v_add3_u32 v10, v10, v11, 0x7fff
	s_delay_alu instid0(VALU_DEP_1) | instskip(NEXT) | instid1(VALU_DEP_1)
	v_lshrrev_b32_e32 v10, 16, v10
	v_cndmask_b32_e32 v7, 0x7fc0, v10, vcc_lo
.LBB417_1425:
	s_mov_b32 s3, 0
.LBB417_1426:
	s_delay_alu instid0(SALU_CYCLE_1)
	s_and_not1_b32 vcc_lo, exec_lo, s3
	s_cbranch_vccnz .LBB417_1437
; %bb.1427:
	v_cmp_lt_i16_e64 s3, s1, 6
	s_delay_alu instid0(VALU_DEP_1)
	s_and_b32 vcc_lo, exec_lo, s3
	s_cbranch_vccnz .LBB417_1430
; %bb.1428:
	v_cmp_gt_i16_e64 s3, s1, 6
	s_delay_alu instid0(VALU_DEP_1)
	s_and_b32 vcc_lo, exec_lo, s3
	s_cbranch_vccz .LBB417_1431
; %bb.1429:
	global_load_b64 v[10:11], v[5:6], off
	s_mov_b32 s3, 0
	s_waitcnt vmcnt(0)
	v_cvt_f32_f64_e32 v7, v[10:11]
	s_delay_alu instid0(VALU_DEP_1) | instskip(SKIP_1) | instid1(VALU_DEP_2)
	v_bfe_u32 v10, v7, 16, 1
	v_cmp_o_f32_e32 vcc_lo, v7, v7
	v_add3_u32 v10, v7, v10, 0x7fff
	s_delay_alu instid0(VALU_DEP_1) | instskip(NEXT) | instid1(VALU_DEP_1)
	v_lshrrev_b32_e32 v10, 16, v10
	v_cndmask_b32_e32 v7, 0x7fc0, v10, vcc_lo
	s_branch .LBB417_1432
.LBB417_1430:
	s_mov_b32 s3, -1
                                        ; implicit-def: $vgpr7
	s_branch .LBB417_1435
.LBB417_1431:
	s_mov_b32 s3, -1
                                        ; implicit-def: $vgpr7
.LBB417_1432:
	s_delay_alu instid0(SALU_CYCLE_1)
	s_and_not1_b32 vcc_lo, exec_lo, s3
	s_cbranch_vccnz .LBB417_1434
; %bb.1433:
	global_load_b32 v7, v[5:6], off
	s_waitcnt vmcnt(0)
	v_bfe_u32 v10, v7, 16, 1
	v_cmp_o_f32_e32 vcc_lo, v7, v7
	s_delay_alu instid0(VALU_DEP_2) | instskip(NEXT) | instid1(VALU_DEP_1)
	v_add3_u32 v10, v7, v10, 0x7fff
	v_lshrrev_b32_e32 v10, 16, v10
	s_delay_alu instid0(VALU_DEP_1)
	v_cndmask_b32_e32 v7, 0x7fc0, v10, vcc_lo
.LBB417_1434:
	s_mov_b32 s3, 0
.LBB417_1435:
	s_delay_alu instid0(SALU_CYCLE_1)
	s_and_not1_b32 vcc_lo, exec_lo, s3
	s_cbranch_vccnz .LBB417_1437
; %bb.1436:
	global_load_u16 v7, v[5:6], off
	s_waitcnt vmcnt(0)
	v_cvt_f32_f16_e32 v10, v7
	v_cmp_o_f16_e32 vcc_lo, v7, v7
	s_delay_alu instid0(VALU_DEP_2) | instskip(NEXT) | instid1(VALU_DEP_1)
	v_bfe_u32 v11, v10, 16, 1
	v_add3_u32 v10, v10, v11, 0x7fff
	s_delay_alu instid0(VALU_DEP_1) | instskip(NEXT) | instid1(VALU_DEP_1)
	v_lshrrev_b32_e32 v10, 16, v10
	v_cndmask_b32_e32 v7, 0x7fc0, v10, vcc_lo
.LBB417_1437:
	s_mov_b32 s3, 0
.LBB417_1438:
	s_delay_alu instid0(SALU_CYCLE_1)
	s_and_not1_b32 vcc_lo, exec_lo, s3
	s_cbranch_vccnz .LBB417_1458
; %bb.1439:
	v_cmp_lt_i16_e64 s3, s1, 2
	s_delay_alu instid0(VALU_DEP_1)
	s_and_b32 vcc_lo, exec_lo, s3
	s_cbranch_vccnz .LBB417_1443
; %bb.1440:
	v_cmp_lt_i16_e64 s3, s1, 3
	s_delay_alu instid0(VALU_DEP_1)
	s_and_b32 vcc_lo, exec_lo, s3
	s_cbranch_vccnz .LBB417_1444
; %bb.1441:
	v_cmp_gt_i16_e64 s3, s1, 3
	s_delay_alu instid0(VALU_DEP_1)
	s_and_b32 vcc_lo, exec_lo, s3
	s_cbranch_vccz .LBB417_1445
; %bb.1442:
	global_load_b64 v[10:11], v[5:6], off
	s_mov_b32 s3, 0
	s_waitcnt vmcnt(0)
	v_xor_b32_e32 v7, v10, v11
	v_cls_i32_e32 v12, v11
	s_delay_alu instid0(VALU_DEP_2) | instskip(NEXT) | instid1(VALU_DEP_2)
	v_ashrrev_i32_e32 v7, 31, v7
	v_add_nc_u32_e32 v12, -1, v12
	s_delay_alu instid0(VALU_DEP_2) | instskip(NEXT) | instid1(VALU_DEP_1)
	v_add_nc_u32_e32 v7, 32, v7
	v_min_u32_e32 v7, v12, v7
	s_delay_alu instid0(VALU_DEP_1) | instskip(SKIP_1) | instid1(VALU_DEP_2)
	v_lshlrev_b64 v[10:11], v7, v[10:11]
	v_sub_nc_u32_e32 v7, 32, v7
	v_min_u32_e32 v10, 1, v10
	s_delay_alu instid0(VALU_DEP_1) | instskip(NEXT) | instid1(VALU_DEP_1)
	v_or_b32_e32 v10, v11, v10
	v_cvt_f32_i32_e32 v10, v10
	s_delay_alu instid0(VALU_DEP_1) | instskip(NEXT) | instid1(VALU_DEP_1)
	v_ldexp_f32 v7, v10, v7
	v_bfe_u32 v10, v7, 16, 1
	s_delay_alu instid0(VALU_DEP_1) | instskip(NEXT) | instid1(VALU_DEP_1)
	v_add3_u32 v7, v7, v10, 0x7fff
	v_lshrrev_b32_e32 v7, 16, v7
	s_branch .LBB417_1446
.LBB417_1443:
	s_mov_b32 s3, -1
                                        ; implicit-def: $vgpr7
	s_branch .LBB417_1452
.LBB417_1444:
	s_mov_b32 s3, -1
                                        ; implicit-def: $vgpr7
	s_branch .LBB417_1449
.LBB417_1445:
	s_mov_b32 s3, -1
                                        ; implicit-def: $vgpr7
.LBB417_1446:
	s_delay_alu instid0(SALU_CYCLE_1)
	s_and_not1_b32 vcc_lo, exec_lo, s3
	s_cbranch_vccnz .LBB417_1448
; %bb.1447:
	global_load_b32 v7, v[5:6], off
	s_waitcnt vmcnt(0)
	v_cvt_f32_i32_e32 v7, v7
	s_delay_alu instid0(VALU_DEP_1) | instskip(NEXT) | instid1(VALU_DEP_1)
	v_bfe_u32 v10, v7, 16, 1
	v_add3_u32 v7, v7, v10, 0x7fff
	s_delay_alu instid0(VALU_DEP_1)
	v_lshrrev_b32_e32 v7, 16, v7
.LBB417_1448:
	s_mov_b32 s3, 0
.LBB417_1449:
	s_delay_alu instid0(SALU_CYCLE_1)
	s_and_not1_b32 vcc_lo, exec_lo, s3
	s_cbranch_vccnz .LBB417_1451
; %bb.1450:
	global_load_i16 v7, v[5:6], off
	s_waitcnt vmcnt(0)
	v_cvt_f32_i32_e32 v7, v7
	s_delay_alu instid0(VALU_DEP_1) | instskip(NEXT) | instid1(VALU_DEP_1)
	v_bfe_u32 v10, v7, 16, 1
	v_add3_u32 v7, v7, v10, 0x7fff
	s_delay_alu instid0(VALU_DEP_1)
	v_lshrrev_b32_e32 v7, 16, v7
.LBB417_1451:
	s_mov_b32 s3, 0
.LBB417_1452:
	s_delay_alu instid0(SALU_CYCLE_1)
	s_and_not1_b32 vcc_lo, exec_lo, s3
	s_cbranch_vccnz .LBB417_1458
; %bb.1453:
	v_cmp_gt_i16_e64 s3, s1, 0
	s_delay_alu instid0(VALU_DEP_1)
	s_and_b32 vcc_lo, exec_lo, s3
	s_mov_b32 s3, 0
	s_cbranch_vccz .LBB417_1455
; %bb.1454:
	global_load_i8 v7, v[5:6], off
	s_waitcnt vmcnt(0)
	v_cvt_f32_i32_e32 v7, v7
	s_delay_alu instid0(VALU_DEP_1) | instskip(NEXT) | instid1(VALU_DEP_1)
	v_bfe_u32 v10, v7, 16, 1
	v_add3_u32 v7, v7, v10, 0x7fff
	s_delay_alu instid0(VALU_DEP_1)
	v_lshrrev_b32_e32 v7, 16, v7
	s_branch .LBB417_1456
.LBB417_1455:
	s_mov_b32 s3, -1
                                        ; implicit-def: $vgpr7
.LBB417_1456:
	s_delay_alu instid0(SALU_CYCLE_1)
	s_and_not1_b32 vcc_lo, exec_lo, s3
	s_cbranch_vccnz .LBB417_1458
; %bb.1457:
	global_load_u8 v5, v[5:6], off
	s_waitcnt vmcnt(0)
	v_cvt_f32_ubyte0_e32 v5, v5
	s_delay_alu instid0(VALU_DEP_1) | instskip(NEXT) | instid1(VALU_DEP_1)
	v_bfe_u32 v6, v5, 16, 1
	v_add3_u32 v5, v5, v6, 0x7fff
	s_delay_alu instid0(VALU_DEP_1)
	v_lshrrev_b32_e32 v7, 16, v5
.LBB417_1458:
	s_branch .LBB417_1530
.LBB417_1459:
	s_trap 2
	s_sendmsg_rtn_b32 s0, sendmsg(MSG_RTN_GET_DOORBELL)
	s_mov_b32 ttmp2, m0
	s_waitcnt lgkmcnt(0)
	s_and_b32 s0, s0, 0x3ff
	s_delay_alu instid0(SALU_CYCLE_1) | instskip(NEXT) | instid1(SALU_CYCLE_1)
	s_bitset1_b32 s0, 10
	s_mov_b32 m0, s0
	s_sendmsg sendmsg(MSG_INTERRUPT)
	s_mov_b32 m0, ttmp2
.LBB417_1460:                           ; =>This Inner Loop Header: Depth=1
	s_sethalt 5
	s_branch .LBB417_1460
.LBB417_1461:
	s_mov_b32 s3, -1
.LBB417_1462:
                                        ; implicit-def: $vgpr7
.LBB417_1463:
	s_and_b32 vcc_lo, exec_lo, s12
	s_cbranch_vccz .LBB417_1467
; %bb.1464:
	v_cmp_eq_u16_e64 s3, s1, 44
	s_delay_alu instid0(VALU_DEP_1)
	s_and_b32 vcc_lo, exec_lo, s3
	s_cbranch_vccz .LBB417_1466
; %bb.1465:
	global_load_u8 v7, v[5:6], off
	s_mov_b32 s3, 0
	s_mov_b32 s11, -1
	s_waitcnt vmcnt(0)
	v_lshlrev_b32_e32 v10, 23, v7
	v_cmp_ne_u32_e32 vcc_lo, 0xff, v7
	s_delay_alu instid0(VALU_DEP_2) | instskip(SKIP_1) | instid1(VALU_DEP_2)
	v_cndmask_b32_e32 v10, 0x7f800001, v10, vcc_lo
	v_cmp_ne_u32_e32 vcc_lo, 0, v7
	v_cndmask_b32_e32 v7, 0x400000, v10, vcc_lo
	s_delay_alu instid0(VALU_DEP_1) | instskip(SKIP_1) | instid1(VALU_DEP_2)
	v_add_nc_u32_e32 v10, 0x7fff, v7
	v_cmp_o_f32_e32 vcc_lo, v7, v7
	v_lshrrev_b32_e32 v10, 16, v10
	s_delay_alu instid0(VALU_DEP_1)
	v_cndmask_b32_e32 v7, 0x7fc0, v10, vcc_lo
	s_branch .LBB417_1467
.LBB417_1466:
	s_mov_b32 s3, -1
                                        ; implicit-def: $vgpr7
.LBB417_1467:
	s_mov_b32 s12, 0
.LBB417_1468:
	s_delay_alu instid0(SALU_CYCLE_1)
	s_and_b32 vcc_lo, exec_lo, s12
	s_cbranch_vccz .LBB417_1472
; %bb.1469:
	v_cmp_eq_u16_e64 s3, s1, 29
	s_delay_alu instid0(VALU_DEP_1)
	s_and_b32 vcc_lo, exec_lo, s3
	s_cbranch_vccz .LBB417_1471
; %bb.1470:
	global_load_b64 v[10:11], v[5:6], off
	s_mov_b32 s3, 0
	s_mov_b32 s11, -1
	s_mov_b32 s12, 0
	s_waitcnt vmcnt(0)
	v_clz_i32_u32_e32 v7, v11
	s_delay_alu instid0(VALU_DEP_1) | instskip(NEXT) | instid1(VALU_DEP_1)
	v_min_u32_e32 v7, 32, v7
	v_lshlrev_b64 v[10:11], v7, v[10:11]
	v_sub_nc_u32_e32 v7, 32, v7
	s_delay_alu instid0(VALU_DEP_2) | instskip(NEXT) | instid1(VALU_DEP_1)
	v_min_u32_e32 v10, 1, v10
	v_or_b32_e32 v10, v11, v10
	s_delay_alu instid0(VALU_DEP_1) | instskip(NEXT) | instid1(VALU_DEP_1)
	v_cvt_f32_u32_e32 v10, v10
	v_ldexp_f32 v7, v10, v7
	s_delay_alu instid0(VALU_DEP_1) | instskip(NEXT) | instid1(VALU_DEP_1)
	v_bfe_u32 v10, v7, 16, 1
	v_add3_u32 v7, v7, v10, 0x7fff
	s_delay_alu instid0(VALU_DEP_1)
	v_lshrrev_b32_e32 v7, 16, v7
	s_branch .LBB417_1473
.LBB417_1471:
	s_mov_b32 s3, -1
                                        ; implicit-def: $vgpr7
.LBB417_1472:
	s_mov_b32 s12, 0
.LBB417_1473:
	s_delay_alu instid0(SALU_CYCLE_1)
	s_and_b32 vcc_lo, exec_lo, s12
	s_cbranch_vccz .LBB417_1491
; %bb.1474:
	v_cmp_lt_i16_e64 s11, s1, 27
	s_delay_alu instid0(VALU_DEP_1)
	s_and_b32 vcc_lo, exec_lo, s11
	s_cbranch_vccnz .LBB417_1477
; %bb.1475:
	v_cmp_gt_i16_e64 s11, s1, 27
	s_delay_alu instid0(VALU_DEP_1)
	s_and_b32 vcc_lo, exec_lo, s11
	s_cbranch_vccz .LBB417_1478
; %bb.1476:
	global_load_b32 v7, v[5:6], off
	s_mov_b32 s11, 0
	s_waitcnt vmcnt(0)
	v_cvt_f32_u32_e32 v7, v7
	s_delay_alu instid0(VALU_DEP_1) | instskip(NEXT) | instid1(VALU_DEP_1)
	v_bfe_u32 v10, v7, 16, 1
	v_add3_u32 v7, v7, v10, 0x7fff
	s_delay_alu instid0(VALU_DEP_1)
	v_lshrrev_b32_e32 v7, 16, v7
	s_branch .LBB417_1479
.LBB417_1477:
	s_mov_b32 s11, -1
                                        ; implicit-def: $vgpr7
	s_branch .LBB417_1482
.LBB417_1478:
	s_mov_b32 s11, -1
                                        ; implicit-def: $vgpr7
.LBB417_1479:
	s_delay_alu instid0(SALU_CYCLE_1)
	s_and_not1_b32 vcc_lo, exec_lo, s11
	s_cbranch_vccnz .LBB417_1481
; %bb.1480:
	global_load_u16 v7, v[5:6], off
	s_waitcnt vmcnt(0)
	v_cvt_f32_u32_e32 v7, v7
	s_delay_alu instid0(VALU_DEP_1) | instskip(NEXT) | instid1(VALU_DEP_1)
	v_bfe_u32 v10, v7, 16, 1
	v_add3_u32 v7, v7, v10, 0x7fff
	s_delay_alu instid0(VALU_DEP_1)
	v_lshrrev_b32_e32 v7, 16, v7
.LBB417_1481:
	s_mov_b32 s11, 0
.LBB417_1482:
	s_delay_alu instid0(SALU_CYCLE_1)
	s_and_not1_b32 vcc_lo, exec_lo, s11
	s_cbranch_vccnz .LBB417_1490
; %bb.1483:
	global_load_u8 v7, v[5:6], off
	s_mov_b32 s11, 0
	s_mov_b32 s13, exec_lo
                                        ; implicit-def: $sgpr12
	s_waitcnt vmcnt(0)
	v_cmpx_lt_i16_e32 0x7f, v7
	s_xor_b32 s13, exec_lo, s13
	s_cbranch_execz .LBB417_1504
; %bb.1484:
	s_mov_b32 s11, -1
	s_mov_b32 s14, exec_lo
                                        ; implicit-def: $sgpr12
	v_cmpx_eq_u16_e32 0x80, v7
; %bb.1485:
	s_mov_b32 s12, 0x7f800001
	s_xor_b32 s11, exec_lo, -1
; %bb.1486:
	s_or_b32 exec_lo, exec_lo, s14
	s_delay_alu instid0(SALU_CYCLE_1)
	s_and_b32 s11, s11, exec_lo
	s_or_saveexec_b32 s13, s13
	v_mov_b32_e32 v10, s12
	s_xor_b32 exec_lo, exec_lo, s13
	s_cbranch_execnz .LBB417_1505
.LBB417_1487:
	s_or_b32 exec_lo, exec_lo, s13
	s_and_saveexec_b32 s12, s11
	s_cbranch_execz .LBB417_1489
.LBB417_1488:
	v_and_b32_e32 v10, 0xffff, v7
	v_lshlrev_b32_e32 v7, 24, v7
	s_delay_alu instid0(VALU_DEP_2) | instskip(NEXT) | instid1(VALU_DEP_2)
	v_and_b32_e32 v11, 7, v10
	v_and_b32_e32 v7, 0x80000000, v7
	s_delay_alu instid0(VALU_DEP_2) | instskip(NEXT) | instid1(VALU_DEP_1)
	v_clz_i32_u32_e32 v12, v11
	v_min_u32_e32 v12, 32, v12
	s_delay_alu instid0(VALU_DEP_1) | instskip(SKIP_1) | instid1(VALU_DEP_2)
	v_subrev_nc_u32_e32 v13, 28, v12
	v_sub_nc_u32_e32 v12, 29, v12
	v_lshlrev_b32_e32 v13, v13, v10
	v_bfe_u32 v10, v10, 3, 4
	s_delay_alu instid0(VALU_DEP_2) | instskip(NEXT) | instid1(VALU_DEP_2)
	v_and_b32_e32 v13, 7, v13
	v_cmp_eq_u32_e32 vcc_lo, 0, v10
	s_delay_alu instid0(VALU_DEP_2) | instskip(NEXT) | instid1(VALU_DEP_1)
	v_dual_cndmask_b32 v10, v10, v12 :: v_dual_cndmask_b32 v11, v11, v13
	v_lshl_add_u32 v10, v10, 23, 0x3b800000
	s_delay_alu instid0(VALU_DEP_2) | instskip(NEXT) | instid1(VALU_DEP_1)
	v_lshlrev_b32_e32 v11, 20, v11
	v_or3_b32 v10, v7, v10, v11
.LBB417_1489:
	s_or_b32 exec_lo, exec_lo, s12
	s_delay_alu instid0(VALU_DEP_1) | instskip(SKIP_1) | instid1(VALU_DEP_2)
	v_bfe_u32 v7, v10, 16, 1
	v_cmp_o_f32_e32 vcc_lo, v10, v10
	v_add3_u32 v7, v10, v7, 0x7fff
	s_delay_alu instid0(VALU_DEP_1) | instskip(NEXT) | instid1(VALU_DEP_1)
	v_lshrrev_b32_e32 v7, 16, v7
	v_cndmask_b32_e32 v7, 0x7fc0, v7, vcc_lo
.LBB417_1490:
	s_mov_b32 s11, -1
.LBB417_1491:
	s_mov_b32 s12, 0
.LBB417_1492:
	s_delay_alu instid0(SALU_CYCLE_1)
	s_and_b32 vcc_lo, exec_lo, s12
	s_cbranch_vccz .LBB417_1525
; %bb.1493:
	v_cmp_gt_i16_e64 s10, s1, 22
	s_delay_alu instid0(VALU_DEP_1)
	s_and_b32 vcc_lo, exec_lo, s10
	s_cbranch_vccz .LBB417_1503
; %bb.1494:
	v_cmp_lt_i16_e64 s10, s1, 24
	s_delay_alu instid0(VALU_DEP_1)
	s_and_b32 vcc_lo, exec_lo, s10
	s_cbranch_vccnz .LBB417_1506
; %bb.1495:
	v_cmp_gt_i16_e64 s10, s1, 24
	s_delay_alu instid0(VALU_DEP_1)
	s_and_b32 vcc_lo, exec_lo, s10
	s_cbranch_vccz .LBB417_1507
; %bb.1496:
	global_load_u8 v7, v[5:6], off
	s_mov_b32 s10, 0
	s_mov_b32 s12, exec_lo
                                        ; implicit-def: $sgpr11
	s_waitcnt vmcnt(0)
	v_cmpx_lt_i16_e32 0x7f, v7
	s_xor_b32 s12, exec_lo, s12
	s_cbranch_execz .LBB417_1519
; %bb.1497:
	s_mov_b32 s10, -1
	s_mov_b32 s13, exec_lo
                                        ; implicit-def: $sgpr11
	v_cmpx_eq_u16_e32 0x80, v7
; %bb.1498:
	s_mov_b32 s11, 0x7f800001
	s_xor_b32 s10, exec_lo, -1
; %bb.1499:
	s_or_b32 exec_lo, exec_lo, s13
	s_delay_alu instid0(SALU_CYCLE_1)
	s_and_b32 s10, s10, exec_lo
	s_or_saveexec_b32 s12, s12
	v_mov_b32_e32 v10, s11
	s_xor_b32 exec_lo, exec_lo, s12
	s_cbranch_execnz .LBB417_1520
.LBB417_1500:
	s_or_b32 exec_lo, exec_lo, s12
	s_and_saveexec_b32 s11, s10
	s_cbranch_execz .LBB417_1502
.LBB417_1501:
	v_and_b32_e32 v10, 0xffff, v7
	v_lshlrev_b32_e32 v7, 24, v7
	s_delay_alu instid0(VALU_DEP_2) | instskip(NEXT) | instid1(VALU_DEP_2)
	v_and_b32_e32 v11, 3, v10
	v_and_b32_e32 v7, 0x80000000, v7
	s_delay_alu instid0(VALU_DEP_2) | instskip(NEXT) | instid1(VALU_DEP_1)
	v_clz_i32_u32_e32 v12, v11
	v_min_u32_e32 v12, 32, v12
	s_delay_alu instid0(VALU_DEP_1) | instskip(SKIP_1) | instid1(VALU_DEP_2)
	v_subrev_nc_u32_e32 v13, 29, v12
	v_sub_nc_u32_e32 v12, 30, v12
	v_lshlrev_b32_e32 v13, v13, v10
	v_bfe_u32 v10, v10, 2, 5
	s_delay_alu instid0(VALU_DEP_2) | instskip(NEXT) | instid1(VALU_DEP_2)
	v_and_b32_e32 v13, 3, v13
	v_cmp_eq_u32_e32 vcc_lo, 0, v10
	s_delay_alu instid0(VALU_DEP_2) | instskip(NEXT) | instid1(VALU_DEP_1)
	v_dual_cndmask_b32 v10, v10, v12 :: v_dual_cndmask_b32 v11, v11, v13
	v_lshl_add_u32 v10, v10, 23, 0x37800000
	s_delay_alu instid0(VALU_DEP_2) | instskip(NEXT) | instid1(VALU_DEP_1)
	v_lshlrev_b32_e32 v11, 21, v11
	v_or3_b32 v10, v7, v10, v11
.LBB417_1502:
	s_or_b32 exec_lo, exec_lo, s11
	s_delay_alu instid0(VALU_DEP_1) | instskip(SKIP_2) | instid1(VALU_DEP_2)
	v_bfe_u32 v7, v10, 16, 1
	v_cmp_o_f32_e32 vcc_lo, v10, v10
	s_mov_b32 s10, 0
	v_add3_u32 v7, v10, v7, 0x7fff
	s_delay_alu instid0(VALU_DEP_1) | instskip(NEXT) | instid1(VALU_DEP_1)
	v_lshrrev_b32_e32 v7, 16, v7
	v_cndmask_b32_e32 v7, 0x7fc0, v7, vcc_lo
	s_branch .LBB417_1508
.LBB417_1503:
	s_mov_b32 s10, -1
                                        ; implicit-def: $vgpr7
	s_branch .LBB417_1514
.LBB417_1504:
	s_or_saveexec_b32 s13, s13
	v_mov_b32_e32 v10, s12
	s_xor_b32 exec_lo, exec_lo, s13
	s_cbranch_execz .LBB417_1487
.LBB417_1505:
	v_cmp_ne_u16_e32 vcc_lo, 0, v7
	v_mov_b32_e32 v10, 0
	s_and_not1_b32 s11, s11, exec_lo
	s_and_b32 s12, vcc_lo, exec_lo
	s_delay_alu instid0(SALU_CYCLE_1)
	s_or_b32 s11, s11, s12
	s_or_b32 exec_lo, exec_lo, s13
	s_and_saveexec_b32 s12, s11
	s_cbranch_execnz .LBB417_1488
	s_branch .LBB417_1489
.LBB417_1506:
	s_mov_b32 s10, -1
                                        ; implicit-def: $vgpr7
	s_branch .LBB417_1511
.LBB417_1507:
	s_mov_b32 s10, -1
                                        ; implicit-def: $vgpr7
.LBB417_1508:
	s_delay_alu instid0(SALU_CYCLE_1)
	s_and_b32 vcc_lo, exec_lo, s10
	s_cbranch_vccz .LBB417_1510
; %bb.1509:
	global_load_u8 v7, v[5:6], off
	s_waitcnt vmcnt(0)
	v_lshlrev_b32_e32 v7, 24, v7
	s_delay_alu instid0(VALU_DEP_1) | instskip(NEXT) | instid1(VALU_DEP_1)
	v_and_b32_e32 v10, 0x7f000000, v7
	v_clz_i32_u32_e32 v11, v10
	v_cmp_ne_u32_e32 vcc_lo, 0, v10
	v_add_nc_u32_e32 v13, 0x1000000, v10
	s_delay_alu instid0(VALU_DEP_3) | instskip(NEXT) | instid1(VALU_DEP_1)
	v_min_u32_e32 v11, 32, v11
	v_sub_nc_u32_e64 v11, v11, 4 clamp
	s_delay_alu instid0(VALU_DEP_1) | instskip(SKIP_1) | instid1(VALU_DEP_2)
	v_lshlrev_b32_e32 v12, v11, v10
	v_lshlrev_b32_e32 v11, 23, v11
	v_lshrrev_b32_e32 v12, 4, v12
	s_delay_alu instid0(VALU_DEP_1) | instskip(SKIP_1) | instid1(VALU_DEP_2)
	v_sub_nc_u32_e32 v11, v12, v11
	v_ashrrev_i32_e32 v12, 8, v13
	v_add_nc_u32_e32 v11, 0x3c000000, v11
	s_delay_alu instid0(VALU_DEP_1) | instskip(NEXT) | instid1(VALU_DEP_1)
	v_and_or_b32 v11, 0x7f800000, v12, v11
	v_cndmask_b32_e32 v10, 0, v11, vcc_lo
	s_delay_alu instid0(VALU_DEP_1) | instskip(SKIP_1) | instid1(VALU_DEP_2)
	v_and_or_b32 v7, 0x80000000, v7, v10
	v_bfe_u32 v10, v10, 16, 1
	v_cmp_o_f32_e32 vcc_lo, v7, v7
	s_delay_alu instid0(VALU_DEP_2) | instskip(NEXT) | instid1(VALU_DEP_1)
	v_add3_u32 v10, v7, v10, 0x7fff
	v_lshrrev_b32_e32 v10, 16, v10
	s_delay_alu instid0(VALU_DEP_1)
	v_cndmask_b32_e32 v7, 0x7fc0, v10, vcc_lo
.LBB417_1510:
	s_mov_b32 s10, 0
.LBB417_1511:
	s_delay_alu instid0(SALU_CYCLE_1)
	s_and_not1_b32 vcc_lo, exec_lo, s10
	s_cbranch_vccnz .LBB417_1513
; %bb.1512:
	global_load_u8 v7, v[5:6], off
	s_waitcnt vmcnt(0)
	v_lshlrev_b32_e32 v10, 25, v7
	v_lshlrev_b16 v7, 8, v7
	s_delay_alu instid0(VALU_DEP_2) | instskip(NEXT) | instid1(VALU_DEP_2)
	v_lshrrev_b32_e32 v11, 4, v10
	v_and_or_b32 v12, 0x7f00, v7, 0.5
	v_cmp_gt_u32_e32 vcc_lo, 0x8000000, v10
	v_bfe_i32 v7, v7, 0, 16
	s_delay_alu instid0(VALU_DEP_4) | instskip(NEXT) | instid1(VALU_DEP_1)
	v_or_b32_e32 v11, 0x70000000, v11
	v_dual_add_f32 v12, -0.5, v12 :: v_dual_mul_f32 v11, 0x7800000, v11
	s_delay_alu instid0(VALU_DEP_1) | instskip(NEXT) | instid1(VALU_DEP_1)
	v_cndmask_b32_e32 v10, v11, v12, vcc_lo
	v_and_or_b32 v7, 0x80000000, v7, v10
	v_bfe_u32 v10, v10, 16, 1
	s_delay_alu instid0(VALU_DEP_2) | instskip(NEXT) | instid1(VALU_DEP_2)
	v_cmp_o_f32_e32 vcc_lo, v7, v7
	v_add3_u32 v10, v7, v10, 0x7fff
	s_delay_alu instid0(VALU_DEP_1) | instskip(NEXT) | instid1(VALU_DEP_1)
	v_lshrrev_b32_e32 v10, 16, v10
	v_cndmask_b32_e32 v7, 0x7fc0, v10, vcc_lo
.LBB417_1513:
	s_mov_b32 s10, 0
	s_mov_b32 s11, -1
.LBB417_1514:
	s_and_not1_b32 vcc_lo, exec_lo, s10
	s_mov_b32 s10, 0
	s_cbranch_vccnz .LBB417_1525
; %bb.1515:
	v_cmp_gt_i16_e64 s10, s1, 14
	s_delay_alu instid0(VALU_DEP_1)
	s_and_b32 vcc_lo, exec_lo, s10
	s_cbranch_vccz .LBB417_1518
; %bb.1516:
	v_cmp_eq_u16_e64 s3, s1, 15
	s_delay_alu instid0(VALU_DEP_1)
	s_and_b32 vcc_lo, exec_lo, s3
	s_cbranch_vccz .LBB417_1521
; %bb.1517:
	global_load_u16 v7, v[5:6], off
	s_mov_b32 s3, 0
	s_mov_b32 s11, -1
	s_branch .LBB417_1522
.LBB417_1518:
	s_mov_b32 s10, -1
                                        ; implicit-def: $vgpr7
	s_branch .LBB417_1523
.LBB417_1519:
	s_or_saveexec_b32 s12, s12
	v_mov_b32_e32 v10, s11
	s_xor_b32 exec_lo, exec_lo, s12
	s_cbranch_execz .LBB417_1500
.LBB417_1520:
	v_cmp_ne_u16_e32 vcc_lo, 0, v7
	v_mov_b32_e32 v10, 0
	s_and_not1_b32 s10, s10, exec_lo
	s_and_b32 s11, vcc_lo, exec_lo
	s_delay_alu instid0(SALU_CYCLE_1)
	s_or_b32 s10, s10, s11
	s_or_b32 exec_lo, exec_lo, s12
	s_and_saveexec_b32 s11, s10
	s_cbranch_execnz .LBB417_1501
	s_branch .LBB417_1502
.LBB417_1521:
	s_mov_b32 s3, -1
                                        ; implicit-def: $vgpr7
.LBB417_1522:
	s_mov_b32 s10, 0
.LBB417_1523:
	s_delay_alu instid0(SALU_CYCLE_1)
	s_and_b32 vcc_lo, exec_lo, s10
	s_mov_b32 s10, 0
	s_cbranch_vccz .LBB417_1525
; %bb.1524:
	v_cmp_ne_u16_e64 s3, s1, 11
	s_mov_b32 s10, -1
                                        ; implicit-def: $vgpr7
.LBB417_1525:
	s_delay_alu instid0(VALU_DEP_1)
	s_and_b32 vcc_lo, exec_lo, s3
	s_cbranch_vccnz .LBB417_1541
; %bb.1526:
	s_and_not1_b32 vcc_lo, exec_lo, s10
	s_cbranch_vccnz .LBB417_1528
.LBB417_1527:
	global_load_u8 v7, v[5:6], off
	s_mov_b32 s11, -1
	s_waitcnt vmcnt(0)
	v_cmp_ne_u16_e32 vcc_lo, 0, v7
	v_cndmask_b32_e64 v7, 0, 1.0, vcc_lo
	s_delay_alu instid0(VALU_DEP_1)
	v_lshrrev_b32_e32 v7, 16, v7
.LBB417_1528:
.LBB417_1529:
	s_and_not1_b32 vcc_lo, exec_lo, s11
	s_cbranch_vccnz .LBB417_2094
.LBB417_1530:
	v_cmp_lt_i16_e64 s3, s1, 11
	v_add_co_u32 v4, s6, s6, v4
	s_delay_alu instid0(VALU_DEP_1) | instskip(NEXT) | instid1(VALU_DEP_3)
	v_add_co_ci_u32_e64 v5, null, s7, 0, s6
	s_and_b32 vcc_lo, exec_lo, s3
	s_mov_b32 s7, 0
	s_cbranch_vccnz .LBB417_1537
; %bb.1531:
	v_cmp_gt_i16_e64 s3, s1, 25
	s_mov_b32 s6, 0
	s_delay_alu instid0(VALU_DEP_1)
	s_and_b32 vcc_lo, exec_lo, s3
	s_cbranch_vccz .LBB417_1538
; %bb.1532:
	v_cmp_gt_i16_e64 s3, s1, 28
	s_delay_alu instid0(VALU_DEP_1)
	s_and_b32 vcc_lo, exec_lo, s3
	s_cbranch_vccz .LBB417_1539
; %bb.1533:
	v_cmp_gt_i16_e64 s3, s1, 43
	;; [unrolled: 5-line block ×3, first 2 shown]
	s_delay_alu instid0(VALU_DEP_1)
	s_and_b32 vcc_lo, exec_lo, s3
	s_cbranch_vccz .LBB417_1543
; %bb.1535:
	v_cmp_eq_u16_e64 s3, s1, 46
	s_mov_b32 s10, 0
	s_delay_alu instid0(VALU_DEP_1)
	s_and_b32 vcc_lo, exec_lo, s3
	s_cbranch_vccz .LBB417_1546
; %bb.1536:
	global_load_b32 v6, v[4:5], off
	s_mov_b32 s3, 0
	s_mov_b32 s7, -1
	s_branch .LBB417_1548
.LBB417_1537:
	s_mov_b32 s3, -1
                                        ; implicit-def: $vgpr6
	s_branch .LBB417_1614
.LBB417_1538:
	s_mov_b32 s10, -1
	s_mov_b32 s3, 0
                                        ; implicit-def: $vgpr6
	s_branch .LBB417_1577
.LBB417_1539:
	s_mov_b32 s10, -1
	s_mov_b32 s3, 0
                                        ; implicit-def: $vgpr6
	s_branch .LBB417_1558
.LBB417_1540:
	s_mov_b32 s10, -1
	s_mov_b32 s3, 0
                                        ; implicit-def: $vgpr6
	s_branch .LBB417_1553
.LBB417_1541:
	s_cbranch_execnz .LBB417_1544
; %bb.1542:
	s_or_b32 s2, s2, exec_lo
                                        ; implicit-def: $vgpr7
	s_cbranch_execz .LBB417_1527
	s_branch .LBB417_1528
.LBB417_1543:
	s_mov_b32 s10, -1
	s_mov_b32 s3, 0
	s_branch .LBB417_1547
.LBB417_1544:
	s_trap 2
	s_sendmsg_rtn_b32 s0, sendmsg(MSG_RTN_GET_DOORBELL)
	s_mov_b32 ttmp2, m0
	s_waitcnt lgkmcnt(0)
	s_and_b32 s0, s0, 0x3ff
	s_delay_alu instid0(SALU_CYCLE_1) | instskip(NEXT) | instid1(SALU_CYCLE_1)
	s_bitset1_b32 s0, 10
	s_mov_b32 m0, s0
	s_sendmsg sendmsg(MSG_INTERRUPT)
	s_mov_b32 m0, ttmp2
.LBB417_1545:                           ; =>This Inner Loop Header: Depth=1
	s_sethalt 5
	s_branch .LBB417_1545
.LBB417_1546:
	s_mov_b32 s3, -1
.LBB417_1547:
                                        ; implicit-def: $vgpr6
.LBB417_1548:
	s_and_b32 vcc_lo, exec_lo, s10
	s_cbranch_vccz .LBB417_1552
; %bb.1549:
	v_cmp_eq_u16_e64 s3, s1, 44
	s_delay_alu instid0(VALU_DEP_1)
	s_and_b32 vcc_lo, exec_lo, s3
	s_cbranch_vccz .LBB417_1551
; %bb.1550:
	global_load_u8 v6, v[4:5], off
	s_mov_b32 s3, 0
	s_mov_b32 s7, -1
	s_waitcnt vmcnt(0)
	v_lshlrev_b32_e32 v10, 23, v6
	v_cmp_ne_u32_e32 vcc_lo, 0xff, v6
	s_delay_alu instid0(VALU_DEP_2) | instskip(SKIP_1) | instid1(VALU_DEP_2)
	v_cndmask_b32_e32 v10, 0x7f800001, v10, vcc_lo
	v_cmp_ne_u32_e32 vcc_lo, 0, v6
	v_cndmask_b32_e32 v6, 0x400000, v10, vcc_lo
	s_delay_alu instid0(VALU_DEP_1) | instskip(SKIP_1) | instid1(VALU_DEP_2)
	v_add_nc_u32_e32 v10, 0x7fff, v6
	v_cmp_o_f32_e32 vcc_lo, v6, v6
	v_lshrrev_b32_e32 v10, 16, v10
	s_delay_alu instid0(VALU_DEP_1)
	v_cndmask_b32_e32 v6, 0x7fc0, v10, vcc_lo
	s_branch .LBB417_1552
.LBB417_1551:
	s_mov_b32 s3, -1
                                        ; implicit-def: $vgpr6
.LBB417_1552:
	s_mov_b32 s10, 0
.LBB417_1553:
	s_delay_alu instid0(SALU_CYCLE_1)
	s_and_b32 vcc_lo, exec_lo, s10
	s_cbranch_vccz .LBB417_1557
; %bb.1554:
	v_cmp_eq_u16_e64 s3, s1, 29
	s_delay_alu instid0(VALU_DEP_1)
	s_and_b32 vcc_lo, exec_lo, s3
	s_cbranch_vccz .LBB417_1556
; %bb.1555:
	global_load_b64 v[10:11], v[4:5], off
	s_mov_b32 s3, 0
	s_mov_b32 s7, -1
	s_mov_b32 s10, 0
	s_waitcnt vmcnt(0)
	v_clz_i32_u32_e32 v6, v11
	s_delay_alu instid0(VALU_DEP_1) | instskip(NEXT) | instid1(VALU_DEP_1)
	v_min_u32_e32 v6, 32, v6
	v_lshlrev_b64 v[10:11], v6, v[10:11]
	v_sub_nc_u32_e32 v6, 32, v6
	s_delay_alu instid0(VALU_DEP_2) | instskip(NEXT) | instid1(VALU_DEP_1)
	v_min_u32_e32 v10, 1, v10
	v_or_b32_e32 v10, v11, v10
	s_delay_alu instid0(VALU_DEP_1) | instskip(NEXT) | instid1(VALU_DEP_1)
	v_cvt_f32_u32_e32 v10, v10
	v_ldexp_f32 v6, v10, v6
	s_delay_alu instid0(VALU_DEP_1) | instskip(NEXT) | instid1(VALU_DEP_1)
	v_bfe_u32 v10, v6, 16, 1
	v_add3_u32 v6, v6, v10, 0x7fff
	s_delay_alu instid0(VALU_DEP_1)
	v_lshrrev_b32_e32 v6, 16, v6
	s_branch .LBB417_1558
.LBB417_1556:
	s_mov_b32 s3, -1
                                        ; implicit-def: $vgpr6
.LBB417_1557:
	s_mov_b32 s10, 0
.LBB417_1558:
	s_delay_alu instid0(SALU_CYCLE_1)
	s_and_b32 vcc_lo, exec_lo, s10
	s_cbranch_vccz .LBB417_1576
; %bb.1559:
	v_cmp_lt_i16_e64 s7, s1, 27
	s_delay_alu instid0(VALU_DEP_1)
	s_and_b32 vcc_lo, exec_lo, s7
	s_cbranch_vccnz .LBB417_1562
; %bb.1560:
	v_cmp_gt_i16_e64 s7, s1, 27
	s_delay_alu instid0(VALU_DEP_1)
	s_and_b32 vcc_lo, exec_lo, s7
	s_cbranch_vccz .LBB417_1563
; %bb.1561:
	global_load_b32 v6, v[4:5], off
	s_mov_b32 s7, 0
	s_waitcnt vmcnt(0)
	v_cvt_f32_u32_e32 v6, v6
	s_delay_alu instid0(VALU_DEP_1) | instskip(NEXT) | instid1(VALU_DEP_1)
	v_bfe_u32 v10, v6, 16, 1
	v_add3_u32 v6, v6, v10, 0x7fff
	s_delay_alu instid0(VALU_DEP_1)
	v_lshrrev_b32_e32 v6, 16, v6
	s_branch .LBB417_1564
.LBB417_1562:
	s_mov_b32 s7, -1
                                        ; implicit-def: $vgpr6
	s_branch .LBB417_1567
.LBB417_1563:
	s_mov_b32 s7, -1
                                        ; implicit-def: $vgpr6
.LBB417_1564:
	s_delay_alu instid0(SALU_CYCLE_1)
	s_and_not1_b32 vcc_lo, exec_lo, s7
	s_cbranch_vccnz .LBB417_1566
; %bb.1565:
	global_load_u16 v6, v[4:5], off
	s_waitcnt vmcnt(0)
	v_cvt_f32_u32_e32 v6, v6
	s_delay_alu instid0(VALU_DEP_1) | instskip(NEXT) | instid1(VALU_DEP_1)
	v_bfe_u32 v10, v6, 16, 1
	v_add3_u32 v6, v6, v10, 0x7fff
	s_delay_alu instid0(VALU_DEP_1)
	v_lshrrev_b32_e32 v6, 16, v6
.LBB417_1566:
	s_mov_b32 s7, 0
.LBB417_1567:
	s_delay_alu instid0(SALU_CYCLE_1)
	s_and_not1_b32 vcc_lo, exec_lo, s7
	s_cbranch_vccnz .LBB417_1575
; %bb.1568:
	global_load_u8 v6, v[4:5], off
	s_mov_b32 s7, 0
	s_mov_b32 s11, exec_lo
                                        ; implicit-def: $sgpr10
	s_waitcnt vmcnt(0)
	v_cmpx_lt_i16_e32 0x7f, v6
	s_xor_b32 s11, exec_lo, s11
	s_cbranch_execz .LBB417_1589
; %bb.1569:
	s_mov_b32 s7, -1
	s_mov_b32 s12, exec_lo
                                        ; implicit-def: $sgpr10
	v_cmpx_eq_u16_e32 0x80, v6
; %bb.1570:
	s_mov_b32 s10, 0x7f800001
	s_xor_b32 s7, exec_lo, -1
; %bb.1571:
	s_or_b32 exec_lo, exec_lo, s12
	s_delay_alu instid0(SALU_CYCLE_1)
	s_and_b32 s7, s7, exec_lo
	s_or_saveexec_b32 s11, s11
	v_mov_b32_e32 v10, s10
	s_xor_b32 exec_lo, exec_lo, s11
	s_cbranch_execnz .LBB417_1590
.LBB417_1572:
	s_or_b32 exec_lo, exec_lo, s11
	s_and_saveexec_b32 s10, s7
	s_cbranch_execz .LBB417_1574
.LBB417_1573:
	v_and_b32_e32 v10, 0xffff, v6
	v_lshlrev_b32_e32 v6, 24, v6
	s_delay_alu instid0(VALU_DEP_2) | instskip(NEXT) | instid1(VALU_DEP_2)
	v_and_b32_e32 v11, 7, v10
	v_and_b32_e32 v6, 0x80000000, v6
	s_delay_alu instid0(VALU_DEP_2) | instskip(NEXT) | instid1(VALU_DEP_1)
	v_clz_i32_u32_e32 v12, v11
	v_min_u32_e32 v12, 32, v12
	s_delay_alu instid0(VALU_DEP_1) | instskip(SKIP_1) | instid1(VALU_DEP_2)
	v_subrev_nc_u32_e32 v13, 28, v12
	v_sub_nc_u32_e32 v12, 29, v12
	v_lshlrev_b32_e32 v13, v13, v10
	v_bfe_u32 v10, v10, 3, 4
	s_delay_alu instid0(VALU_DEP_2) | instskip(NEXT) | instid1(VALU_DEP_2)
	v_and_b32_e32 v13, 7, v13
	v_cmp_eq_u32_e32 vcc_lo, 0, v10
	s_delay_alu instid0(VALU_DEP_2) | instskip(NEXT) | instid1(VALU_DEP_1)
	v_dual_cndmask_b32 v10, v10, v12 :: v_dual_cndmask_b32 v11, v11, v13
	v_lshl_add_u32 v10, v10, 23, 0x3b800000
	s_delay_alu instid0(VALU_DEP_2) | instskip(NEXT) | instid1(VALU_DEP_1)
	v_lshlrev_b32_e32 v11, 20, v11
	v_or3_b32 v10, v6, v10, v11
.LBB417_1574:
	s_or_b32 exec_lo, exec_lo, s10
	s_delay_alu instid0(VALU_DEP_1) | instskip(SKIP_1) | instid1(VALU_DEP_2)
	v_bfe_u32 v6, v10, 16, 1
	v_cmp_o_f32_e32 vcc_lo, v10, v10
	v_add3_u32 v6, v10, v6, 0x7fff
	s_delay_alu instid0(VALU_DEP_1) | instskip(NEXT) | instid1(VALU_DEP_1)
	v_lshrrev_b32_e32 v6, 16, v6
	v_cndmask_b32_e32 v6, 0x7fc0, v6, vcc_lo
.LBB417_1575:
	s_mov_b32 s7, -1
.LBB417_1576:
	s_mov_b32 s10, 0
.LBB417_1577:
	s_delay_alu instid0(SALU_CYCLE_1)
	s_and_b32 vcc_lo, exec_lo, s10
	s_cbranch_vccz .LBB417_1610
; %bb.1578:
	v_cmp_gt_i16_e64 s6, s1, 22
	s_delay_alu instid0(VALU_DEP_1)
	s_and_b32 vcc_lo, exec_lo, s6
	s_cbranch_vccz .LBB417_1588
; %bb.1579:
	v_cmp_lt_i16_e64 s6, s1, 24
	s_delay_alu instid0(VALU_DEP_1)
	s_and_b32 vcc_lo, exec_lo, s6
	s_cbranch_vccnz .LBB417_1591
; %bb.1580:
	v_cmp_gt_i16_e64 s6, s1, 24
	s_delay_alu instid0(VALU_DEP_1)
	s_and_b32 vcc_lo, exec_lo, s6
	s_cbranch_vccz .LBB417_1592
; %bb.1581:
	global_load_u8 v6, v[4:5], off
	s_mov_b32 s6, 0
	s_mov_b32 s10, exec_lo
                                        ; implicit-def: $sgpr7
	s_waitcnt vmcnt(0)
	v_cmpx_lt_i16_e32 0x7f, v6
	s_xor_b32 s10, exec_lo, s10
	s_cbranch_execz .LBB417_1604
; %bb.1582:
	s_mov_b32 s6, -1
	s_mov_b32 s11, exec_lo
                                        ; implicit-def: $sgpr7
	v_cmpx_eq_u16_e32 0x80, v6
; %bb.1583:
	s_mov_b32 s7, 0x7f800001
	s_xor_b32 s6, exec_lo, -1
; %bb.1584:
	s_or_b32 exec_lo, exec_lo, s11
	s_delay_alu instid0(SALU_CYCLE_1)
	s_and_b32 s6, s6, exec_lo
	s_or_saveexec_b32 s10, s10
	v_mov_b32_e32 v10, s7
	s_xor_b32 exec_lo, exec_lo, s10
	s_cbranch_execnz .LBB417_1605
.LBB417_1585:
	s_or_b32 exec_lo, exec_lo, s10
	s_and_saveexec_b32 s7, s6
	s_cbranch_execz .LBB417_1587
.LBB417_1586:
	v_and_b32_e32 v10, 0xffff, v6
	v_lshlrev_b32_e32 v6, 24, v6
	s_delay_alu instid0(VALU_DEP_2) | instskip(NEXT) | instid1(VALU_DEP_2)
	v_and_b32_e32 v11, 3, v10
	v_and_b32_e32 v6, 0x80000000, v6
	s_delay_alu instid0(VALU_DEP_2) | instskip(NEXT) | instid1(VALU_DEP_1)
	v_clz_i32_u32_e32 v12, v11
	v_min_u32_e32 v12, 32, v12
	s_delay_alu instid0(VALU_DEP_1) | instskip(SKIP_1) | instid1(VALU_DEP_2)
	v_subrev_nc_u32_e32 v13, 29, v12
	v_sub_nc_u32_e32 v12, 30, v12
	v_lshlrev_b32_e32 v13, v13, v10
	v_bfe_u32 v10, v10, 2, 5
	s_delay_alu instid0(VALU_DEP_2) | instskip(NEXT) | instid1(VALU_DEP_2)
	v_and_b32_e32 v13, 3, v13
	v_cmp_eq_u32_e32 vcc_lo, 0, v10
	s_delay_alu instid0(VALU_DEP_2) | instskip(NEXT) | instid1(VALU_DEP_1)
	v_dual_cndmask_b32 v10, v10, v12 :: v_dual_cndmask_b32 v11, v11, v13
	v_lshl_add_u32 v10, v10, 23, 0x37800000
	s_delay_alu instid0(VALU_DEP_2) | instskip(NEXT) | instid1(VALU_DEP_1)
	v_lshlrev_b32_e32 v11, 21, v11
	v_or3_b32 v10, v6, v10, v11
.LBB417_1587:
	s_or_b32 exec_lo, exec_lo, s7
	s_delay_alu instid0(VALU_DEP_1) | instskip(SKIP_2) | instid1(VALU_DEP_2)
	v_bfe_u32 v6, v10, 16, 1
	v_cmp_o_f32_e32 vcc_lo, v10, v10
	s_mov_b32 s6, 0
	v_add3_u32 v6, v10, v6, 0x7fff
	s_delay_alu instid0(VALU_DEP_1) | instskip(NEXT) | instid1(VALU_DEP_1)
	v_lshrrev_b32_e32 v6, 16, v6
	v_cndmask_b32_e32 v6, 0x7fc0, v6, vcc_lo
	s_branch .LBB417_1593
.LBB417_1588:
	s_mov_b32 s6, -1
                                        ; implicit-def: $vgpr6
	s_branch .LBB417_1599
.LBB417_1589:
	s_or_saveexec_b32 s11, s11
	v_mov_b32_e32 v10, s10
	s_xor_b32 exec_lo, exec_lo, s11
	s_cbranch_execz .LBB417_1572
.LBB417_1590:
	v_cmp_ne_u16_e32 vcc_lo, 0, v6
	v_mov_b32_e32 v10, 0
	s_and_not1_b32 s7, s7, exec_lo
	s_and_b32 s10, vcc_lo, exec_lo
	s_delay_alu instid0(SALU_CYCLE_1)
	s_or_b32 s7, s7, s10
	s_or_b32 exec_lo, exec_lo, s11
	s_and_saveexec_b32 s10, s7
	s_cbranch_execnz .LBB417_1573
	s_branch .LBB417_1574
.LBB417_1591:
	s_mov_b32 s6, -1
                                        ; implicit-def: $vgpr6
	s_branch .LBB417_1596
.LBB417_1592:
	s_mov_b32 s6, -1
                                        ; implicit-def: $vgpr6
.LBB417_1593:
	s_delay_alu instid0(SALU_CYCLE_1)
	s_and_b32 vcc_lo, exec_lo, s6
	s_cbranch_vccz .LBB417_1595
; %bb.1594:
	global_load_u8 v6, v[4:5], off
	s_waitcnt vmcnt(0)
	v_lshlrev_b32_e32 v6, 24, v6
	s_delay_alu instid0(VALU_DEP_1) | instskip(NEXT) | instid1(VALU_DEP_1)
	v_and_b32_e32 v10, 0x7f000000, v6
	v_clz_i32_u32_e32 v11, v10
	v_cmp_ne_u32_e32 vcc_lo, 0, v10
	v_add_nc_u32_e32 v13, 0x1000000, v10
	s_delay_alu instid0(VALU_DEP_3) | instskip(NEXT) | instid1(VALU_DEP_1)
	v_min_u32_e32 v11, 32, v11
	v_sub_nc_u32_e64 v11, v11, 4 clamp
	s_delay_alu instid0(VALU_DEP_1) | instskip(SKIP_1) | instid1(VALU_DEP_2)
	v_lshlrev_b32_e32 v12, v11, v10
	v_lshlrev_b32_e32 v11, 23, v11
	v_lshrrev_b32_e32 v12, 4, v12
	s_delay_alu instid0(VALU_DEP_1) | instskip(SKIP_1) | instid1(VALU_DEP_2)
	v_sub_nc_u32_e32 v11, v12, v11
	v_ashrrev_i32_e32 v12, 8, v13
	v_add_nc_u32_e32 v11, 0x3c000000, v11
	s_delay_alu instid0(VALU_DEP_1) | instskip(NEXT) | instid1(VALU_DEP_1)
	v_and_or_b32 v11, 0x7f800000, v12, v11
	v_cndmask_b32_e32 v10, 0, v11, vcc_lo
	s_delay_alu instid0(VALU_DEP_1) | instskip(SKIP_1) | instid1(VALU_DEP_2)
	v_and_or_b32 v6, 0x80000000, v6, v10
	v_bfe_u32 v10, v10, 16, 1
	v_cmp_o_f32_e32 vcc_lo, v6, v6
	s_delay_alu instid0(VALU_DEP_2) | instskip(NEXT) | instid1(VALU_DEP_1)
	v_add3_u32 v10, v6, v10, 0x7fff
	v_lshrrev_b32_e32 v10, 16, v10
	s_delay_alu instid0(VALU_DEP_1)
	v_cndmask_b32_e32 v6, 0x7fc0, v10, vcc_lo
.LBB417_1595:
	s_mov_b32 s6, 0
.LBB417_1596:
	s_delay_alu instid0(SALU_CYCLE_1)
	s_and_not1_b32 vcc_lo, exec_lo, s6
	s_cbranch_vccnz .LBB417_1598
; %bb.1597:
	global_load_u8 v6, v[4:5], off
	s_waitcnt vmcnt(0)
	v_lshlrev_b32_e32 v10, 25, v6
	v_lshlrev_b16 v6, 8, v6
	s_delay_alu instid0(VALU_DEP_2) | instskip(NEXT) | instid1(VALU_DEP_2)
	v_lshrrev_b32_e32 v11, 4, v10
	v_and_or_b32 v12, 0x7f00, v6, 0.5
	v_bfe_i32 v6, v6, 0, 16
	s_delay_alu instid0(VALU_DEP_3) | instskip(NEXT) | instid1(VALU_DEP_1)
	v_or_b32_e32 v11, 0x70000000, v11
	v_dual_add_f32 v12, -0.5, v12 :: v_dual_mul_f32 v11, 0x7800000, v11
	v_cmp_gt_u32_e32 vcc_lo, 0x8000000, v10
	s_delay_alu instid0(VALU_DEP_2) | instskip(NEXT) | instid1(VALU_DEP_1)
	v_cndmask_b32_e32 v10, v11, v12, vcc_lo
	v_and_or_b32 v6, 0x80000000, v6, v10
	v_bfe_u32 v10, v10, 16, 1
	s_delay_alu instid0(VALU_DEP_2) | instskip(NEXT) | instid1(VALU_DEP_2)
	v_cmp_o_f32_e32 vcc_lo, v6, v6
	v_add3_u32 v10, v6, v10, 0x7fff
	s_delay_alu instid0(VALU_DEP_1) | instskip(NEXT) | instid1(VALU_DEP_1)
	v_lshrrev_b32_e32 v10, 16, v10
	v_cndmask_b32_e32 v6, 0x7fc0, v10, vcc_lo
.LBB417_1598:
	s_mov_b32 s6, 0
	s_mov_b32 s7, -1
.LBB417_1599:
	s_and_not1_b32 vcc_lo, exec_lo, s6
	s_mov_b32 s6, 0
	s_cbranch_vccnz .LBB417_1610
; %bb.1600:
	v_cmp_gt_i16_e64 s6, s1, 14
	s_delay_alu instid0(VALU_DEP_1)
	s_and_b32 vcc_lo, exec_lo, s6
	s_cbranch_vccz .LBB417_1603
; %bb.1601:
	v_cmp_eq_u16_e64 s3, s1, 15
	s_delay_alu instid0(VALU_DEP_1)
	s_and_b32 vcc_lo, exec_lo, s3
	s_cbranch_vccz .LBB417_1606
; %bb.1602:
	global_load_u16 v6, v[4:5], off
	s_mov_b32 s3, 0
	s_mov_b32 s7, -1
	s_branch .LBB417_1607
.LBB417_1603:
	s_mov_b32 s6, -1
                                        ; implicit-def: $vgpr6
	s_branch .LBB417_1608
.LBB417_1604:
	s_or_saveexec_b32 s10, s10
	v_mov_b32_e32 v10, s7
	s_xor_b32 exec_lo, exec_lo, s10
	s_cbranch_execz .LBB417_1585
.LBB417_1605:
	v_cmp_ne_u16_e32 vcc_lo, 0, v6
	v_mov_b32_e32 v10, 0
	s_and_not1_b32 s6, s6, exec_lo
	s_and_b32 s7, vcc_lo, exec_lo
	s_delay_alu instid0(SALU_CYCLE_1)
	s_or_b32 s6, s6, s7
	s_or_b32 exec_lo, exec_lo, s10
	s_and_saveexec_b32 s7, s6
	s_cbranch_execnz .LBB417_1586
	s_branch .LBB417_1587
.LBB417_1606:
	s_mov_b32 s3, -1
                                        ; implicit-def: $vgpr6
.LBB417_1607:
	s_mov_b32 s6, 0
.LBB417_1608:
	s_delay_alu instid0(SALU_CYCLE_1)
	s_and_b32 vcc_lo, exec_lo, s6
	s_mov_b32 s6, 0
	s_cbranch_vccz .LBB417_1610
; %bb.1609:
	v_cmp_ne_u16_e64 s3, s1, 11
	s_mov_b32 s6, -1
                                        ; implicit-def: $vgpr6
.LBB417_1610:
	s_delay_alu instid0(VALU_DEP_1)
	s_and_b32 vcc_lo, exec_lo, s3
	s_cbranch_vccnz .LBB417_2139
; %bb.1611:
	s_and_not1_b32 vcc_lo, exec_lo, s6
	s_cbranch_vccnz .LBB417_1613
.LBB417_1612:
	global_load_u8 v6, v[4:5], off
	s_mov_b32 s7, -1
	s_waitcnt vmcnt(0)
	v_cmp_ne_u16_e32 vcc_lo, 0, v6
	v_cndmask_b32_e64 v6, 0, 1.0, vcc_lo
	s_delay_alu instid0(VALU_DEP_1)
	v_lshrrev_b32_e32 v6, 16, v6
.LBB417_1613:
	s_mov_b32 s3, 0
.LBB417_1614:
	s_delay_alu instid0(SALU_CYCLE_1)
	s_and_b32 vcc_lo, exec_lo, s3
	s_cbranch_vccz .LBB417_1663
; %bb.1615:
	v_cmp_lt_i16_e64 s3, s1, 5
	s_delay_alu instid0(VALU_DEP_1)
	s_and_b32 vcc_lo, exec_lo, s3
	s_cbranch_vccnz .LBB417_1620
; %bb.1616:
	v_cmp_lt_i16_e64 s3, s1, 8
	s_delay_alu instid0(VALU_DEP_1)
	s_and_b32 vcc_lo, exec_lo, s3
	s_cbranch_vccnz .LBB417_1621
	;; [unrolled: 5-line block ×3, first 2 shown]
; %bb.1618:
	v_cmp_gt_i16_e64 s3, s1, 9
	s_delay_alu instid0(VALU_DEP_1)
	s_and_b32 vcc_lo, exec_lo, s3
	s_cbranch_vccz .LBB417_1623
; %bb.1619:
	global_load_b64 v[10:11], v[4:5], off
	s_mov_b32 s3, 0
	s_waitcnt vmcnt(0)
	v_cvt_f32_f64_e32 v6, v[10:11]
	s_delay_alu instid0(VALU_DEP_1) | instskip(SKIP_1) | instid1(VALU_DEP_2)
	v_bfe_u32 v10, v6, 16, 1
	v_cmp_o_f32_e32 vcc_lo, v6, v6
	v_add3_u32 v10, v6, v10, 0x7fff
	s_delay_alu instid0(VALU_DEP_1) | instskip(NEXT) | instid1(VALU_DEP_1)
	v_lshrrev_b32_e32 v10, 16, v10
	v_cndmask_b32_e32 v6, 0x7fc0, v10, vcc_lo
	s_branch .LBB417_1624
.LBB417_1620:
	s_mov_b32 s3, -1
                                        ; implicit-def: $vgpr6
	s_branch .LBB417_1642
.LBB417_1621:
	s_mov_b32 s3, -1
                                        ; implicit-def: $vgpr6
	s_branch .LBB417_1630
.LBB417_1622:
	s_mov_b32 s3, -1
                                        ; implicit-def: $vgpr6
	s_branch .LBB417_1627
.LBB417_1623:
	s_mov_b32 s3, -1
                                        ; implicit-def: $vgpr6
.LBB417_1624:
	s_delay_alu instid0(SALU_CYCLE_1)
	s_and_not1_b32 vcc_lo, exec_lo, s3
	s_cbranch_vccnz .LBB417_1626
; %bb.1625:
	global_load_b32 v6, v[4:5], off
	s_waitcnt vmcnt(0)
	v_bfe_u32 v10, v6, 16, 1
	v_cmp_o_f32_e32 vcc_lo, v6, v6
	s_delay_alu instid0(VALU_DEP_2) | instskip(NEXT) | instid1(VALU_DEP_1)
	v_add3_u32 v10, v6, v10, 0x7fff
	v_lshrrev_b32_e32 v10, 16, v10
	s_delay_alu instid0(VALU_DEP_1)
	v_cndmask_b32_e32 v6, 0x7fc0, v10, vcc_lo
.LBB417_1626:
	s_mov_b32 s3, 0
.LBB417_1627:
	s_delay_alu instid0(SALU_CYCLE_1)
	s_and_not1_b32 vcc_lo, exec_lo, s3
	s_cbranch_vccnz .LBB417_1629
; %bb.1628:
	global_load_b32 v6, v[4:5], off
	s_waitcnt vmcnt(0)
	v_cvt_f32_f16_e32 v10, v6
	v_cmp_o_f16_e32 vcc_lo, v6, v6
	s_delay_alu instid0(VALU_DEP_2) | instskip(NEXT) | instid1(VALU_DEP_1)
	v_bfe_u32 v11, v10, 16, 1
	v_add3_u32 v10, v10, v11, 0x7fff
	s_delay_alu instid0(VALU_DEP_1) | instskip(NEXT) | instid1(VALU_DEP_1)
	v_lshrrev_b32_e32 v10, 16, v10
	v_cndmask_b32_e32 v6, 0x7fc0, v10, vcc_lo
.LBB417_1629:
	s_mov_b32 s3, 0
.LBB417_1630:
	s_delay_alu instid0(SALU_CYCLE_1)
	s_and_not1_b32 vcc_lo, exec_lo, s3
	s_cbranch_vccnz .LBB417_1641
; %bb.1631:
	v_cmp_lt_i16_e64 s3, s1, 6
	s_delay_alu instid0(VALU_DEP_1)
	s_and_b32 vcc_lo, exec_lo, s3
	s_cbranch_vccnz .LBB417_1634
; %bb.1632:
	v_cmp_gt_i16_e64 s3, s1, 6
	s_delay_alu instid0(VALU_DEP_1)
	s_and_b32 vcc_lo, exec_lo, s3
	s_cbranch_vccz .LBB417_1635
; %bb.1633:
	global_load_b64 v[10:11], v[4:5], off
	s_mov_b32 s3, 0
	s_waitcnt vmcnt(0)
	v_cvt_f32_f64_e32 v6, v[10:11]
	s_delay_alu instid0(VALU_DEP_1) | instskip(SKIP_1) | instid1(VALU_DEP_2)
	v_bfe_u32 v10, v6, 16, 1
	v_cmp_o_f32_e32 vcc_lo, v6, v6
	v_add3_u32 v10, v6, v10, 0x7fff
	s_delay_alu instid0(VALU_DEP_1) | instskip(NEXT) | instid1(VALU_DEP_1)
	v_lshrrev_b32_e32 v10, 16, v10
	v_cndmask_b32_e32 v6, 0x7fc0, v10, vcc_lo
	s_branch .LBB417_1636
.LBB417_1634:
	s_mov_b32 s3, -1
                                        ; implicit-def: $vgpr6
	s_branch .LBB417_1639
.LBB417_1635:
	s_mov_b32 s3, -1
                                        ; implicit-def: $vgpr6
.LBB417_1636:
	s_delay_alu instid0(SALU_CYCLE_1)
	s_and_not1_b32 vcc_lo, exec_lo, s3
	s_cbranch_vccnz .LBB417_1638
; %bb.1637:
	global_load_b32 v6, v[4:5], off
	s_waitcnt vmcnt(0)
	v_bfe_u32 v10, v6, 16, 1
	v_cmp_o_f32_e32 vcc_lo, v6, v6
	s_delay_alu instid0(VALU_DEP_2) | instskip(NEXT) | instid1(VALU_DEP_1)
	v_add3_u32 v10, v6, v10, 0x7fff
	v_lshrrev_b32_e32 v10, 16, v10
	s_delay_alu instid0(VALU_DEP_1)
	v_cndmask_b32_e32 v6, 0x7fc0, v10, vcc_lo
.LBB417_1638:
	s_mov_b32 s3, 0
.LBB417_1639:
	s_delay_alu instid0(SALU_CYCLE_1)
	s_and_not1_b32 vcc_lo, exec_lo, s3
	s_cbranch_vccnz .LBB417_1641
; %bb.1640:
	global_load_u16 v6, v[4:5], off
	s_waitcnt vmcnt(0)
	v_cvt_f32_f16_e32 v10, v6
	v_cmp_o_f16_e32 vcc_lo, v6, v6
	s_delay_alu instid0(VALU_DEP_2) | instskip(NEXT) | instid1(VALU_DEP_1)
	v_bfe_u32 v11, v10, 16, 1
	v_add3_u32 v10, v10, v11, 0x7fff
	s_delay_alu instid0(VALU_DEP_1) | instskip(NEXT) | instid1(VALU_DEP_1)
	v_lshrrev_b32_e32 v10, 16, v10
	v_cndmask_b32_e32 v6, 0x7fc0, v10, vcc_lo
.LBB417_1641:
	s_mov_b32 s3, 0
.LBB417_1642:
	s_delay_alu instid0(SALU_CYCLE_1)
	s_and_not1_b32 vcc_lo, exec_lo, s3
	s_cbranch_vccnz .LBB417_1662
; %bb.1643:
	v_cmp_lt_i16_e64 s3, s1, 2
	s_delay_alu instid0(VALU_DEP_1)
	s_and_b32 vcc_lo, exec_lo, s3
	s_cbranch_vccnz .LBB417_1647
; %bb.1644:
	v_cmp_lt_i16_e64 s3, s1, 3
	s_delay_alu instid0(VALU_DEP_1)
	s_and_b32 vcc_lo, exec_lo, s3
	s_cbranch_vccnz .LBB417_1648
; %bb.1645:
	v_cmp_gt_i16_e64 s3, s1, 3
	s_delay_alu instid0(VALU_DEP_1)
	s_and_b32 vcc_lo, exec_lo, s3
	s_cbranch_vccz .LBB417_1649
; %bb.1646:
	global_load_b64 v[10:11], v[4:5], off
	s_mov_b32 s3, 0
	s_waitcnt vmcnt(0)
	v_xor_b32_e32 v6, v10, v11
	v_cls_i32_e32 v12, v11
	s_delay_alu instid0(VALU_DEP_2) | instskip(NEXT) | instid1(VALU_DEP_2)
	v_ashrrev_i32_e32 v6, 31, v6
	v_add_nc_u32_e32 v12, -1, v12
	s_delay_alu instid0(VALU_DEP_2) | instskip(NEXT) | instid1(VALU_DEP_1)
	v_add_nc_u32_e32 v6, 32, v6
	v_min_u32_e32 v6, v12, v6
	s_delay_alu instid0(VALU_DEP_1) | instskip(SKIP_1) | instid1(VALU_DEP_2)
	v_lshlrev_b64 v[10:11], v6, v[10:11]
	v_sub_nc_u32_e32 v6, 32, v6
	v_min_u32_e32 v10, 1, v10
	s_delay_alu instid0(VALU_DEP_1) | instskip(NEXT) | instid1(VALU_DEP_1)
	v_or_b32_e32 v10, v11, v10
	v_cvt_f32_i32_e32 v10, v10
	s_delay_alu instid0(VALU_DEP_1) | instskip(NEXT) | instid1(VALU_DEP_1)
	v_ldexp_f32 v6, v10, v6
	v_bfe_u32 v10, v6, 16, 1
	s_delay_alu instid0(VALU_DEP_1) | instskip(NEXT) | instid1(VALU_DEP_1)
	v_add3_u32 v6, v6, v10, 0x7fff
	v_lshrrev_b32_e32 v6, 16, v6
	s_branch .LBB417_1650
.LBB417_1647:
	s_mov_b32 s3, -1
                                        ; implicit-def: $vgpr6
	s_branch .LBB417_1656
.LBB417_1648:
	s_mov_b32 s3, -1
                                        ; implicit-def: $vgpr6
	s_branch .LBB417_1653
.LBB417_1649:
	s_mov_b32 s3, -1
                                        ; implicit-def: $vgpr6
.LBB417_1650:
	s_delay_alu instid0(SALU_CYCLE_1)
	s_and_not1_b32 vcc_lo, exec_lo, s3
	s_cbranch_vccnz .LBB417_1652
; %bb.1651:
	global_load_b32 v6, v[4:5], off
	s_waitcnt vmcnt(0)
	v_cvt_f32_i32_e32 v6, v6
	s_delay_alu instid0(VALU_DEP_1) | instskip(NEXT) | instid1(VALU_DEP_1)
	v_bfe_u32 v10, v6, 16, 1
	v_add3_u32 v6, v6, v10, 0x7fff
	s_delay_alu instid0(VALU_DEP_1)
	v_lshrrev_b32_e32 v6, 16, v6
.LBB417_1652:
	s_mov_b32 s3, 0
.LBB417_1653:
	s_delay_alu instid0(SALU_CYCLE_1)
	s_and_not1_b32 vcc_lo, exec_lo, s3
	s_cbranch_vccnz .LBB417_1655
; %bb.1654:
	global_load_i16 v6, v[4:5], off
	s_waitcnt vmcnt(0)
	v_cvt_f32_i32_e32 v6, v6
	s_delay_alu instid0(VALU_DEP_1) | instskip(NEXT) | instid1(VALU_DEP_1)
	v_bfe_u32 v10, v6, 16, 1
	v_add3_u32 v6, v6, v10, 0x7fff
	s_delay_alu instid0(VALU_DEP_1)
	v_lshrrev_b32_e32 v6, 16, v6
.LBB417_1655:
	s_mov_b32 s3, 0
.LBB417_1656:
	s_delay_alu instid0(SALU_CYCLE_1)
	s_and_not1_b32 vcc_lo, exec_lo, s3
	s_cbranch_vccnz .LBB417_1662
; %bb.1657:
	v_cmp_gt_i16_e64 s1, s1, 0
	s_delay_alu instid0(VALU_DEP_1)
	s_and_b32 vcc_lo, exec_lo, s1
	s_mov_b32 s1, 0
	s_cbranch_vccz .LBB417_1659
; %bb.1658:
	global_load_i8 v6, v[4:5], off
	s_waitcnt vmcnt(0)
	v_cvt_f32_i32_e32 v6, v6
	s_delay_alu instid0(VALU_DEP_1) | instskip(NEXT) | instid1(VALU_DEP_1)
	v_bfe_u32 v10, v6, 16, 1
	v_add3_u32 v6, v6, v10, 0x7fff
	s_delay_alu instid0(VALU_DEP_1)
	v_lshrrev_b32_e32 v6, 16, v6
	s_branch .LBB417_1660
.LBB417_1659:
	s_mov_b32 s1, -1
                                        ; implicit-def: $vgpr6
.LBB417_1660:
	s_delay_alu instid0(SALU_CYCLE_1)
	s_and_not1_b32 vcc_lo, exec_lo, s1
	s_cbranch_vccnz .LBB417_1662
; %bb.1661:
	global_load_u8 v4, v[4:5], off
	s_waitcnt vmcnt(0)
	v_cvt_f32_ubyte0_e32 v4, v4
	s_delay_alu instid0(VALU_DEP_1) | instskip(NEXT) | instid1(VALU_DEP_1)
	v_bfe_u32 v5, v4, 16, 1
	v_add3_u32 v4, v4, v5, 0x7fff
	s_delay_alu instid0(VALU_DEP_1)
	v_lshrrev_b32_e32 v6, 16, v4
.LBB417_1662:
	s_mov_b32 s7, -1
.LBB417_1663:
	s_delay_alu instid0(SALU_CYCLE_1)
	s_and_not1_b32 vcc_lo, exec_lo, s7
	s_cbranch_vccnz .LBB417_2094
; %bb.1664:
	s_load_b32 s6, s[16:17], 0x158
	v_lshlrev_b32_e32 v4, 16, v9
	s_lshr_b32 s0, s0, 16
	v_add_co_u32 v3, s10, s4, v3
	v_and_b32_e64 v5, 0xff, s0
	s_delay_alu instid0(VALU_DEP_3) | instskip(SKIP_1) | instid1(VALU_DEP_2)
	v_cmp_u_f32_e32 vcc_lo, v4, v4
	s_mov_b32 s7, 0
	v_cmp_gt_i16_e64 s0, 11, v5
	s_waitcnt lgkmcnt(0)
	s_lshl_b32 s3, s6, 16
	s_delay_alu instid0(SALU_CYCLE_1) | instskip(SKIP_1) | instid1(VALU_DEP_2)
	v_cmp_lt_f32_e64 s1, s3, v4
	v_add_co_ci_u32_e64 v4, null, s5, 0, s10
	s_or_b32 vcc_lo, vcc_lo, s1
	v_cndmask_b32_e32 v9, s6, v9, vcc_lo
	s_and_b32 vcc_lo, exec_lo, s0
	s_mov_b32 s0, -1
	s_cbranch_vccnz .LBB417_1742
; %bb.1665:
	v_cmp_lt_i16_e32 vcc_lo, 25, v5
	s_mov_b32 s10, -1
	s_mov_b32 s1, 0
	s_mov_b32 s0, 0
	s_cbranch_vccz .LBB417_1698
; %bb.1666:
	v_cmp_lt_i16_e32 vcc_lo, 28, v5
	s_cbranch_vccz .LBB417_1681
; %bb.1667:
	v_cmp_lt_i16_e32 vcc_lo, 43, v5
	;; [unrolled: 3-line block ×3, first 2 shown]
	s_cbranch_vccz .LBB417_1671
; %bb.1669:
	v_cmp_eq_u16_e32 vcc_lo, 46, v5
	s_mov_b32 s0, -1
	s_mov_b32 s10, 0
	s_cbranch_vccz .LBB417_1671
; %bb.1670:
	v_and_b32_e32 v10, 0xffff, v9
	s_mov_b32 s0, 0
	s_mov_b32 s7, -1
	global_store_b32 v[3:4], v10, off
.LBB417_1671:
	s_and_b32 vcc_lo, exec_lo, s10
	s_cbranch_vccz .LBB417_1676
; %bb.1672:
	v_cmp_eq_u16_e32 vcc_lo, 44, v5
	s_mov_b32 s0, -1
	s_cbranch_vccz .LBB417_1676
; %bb.1673:
	v_and_b32_e32 v10, 0xffff, v9
	v_mov_b32_e32 v11, 0xff
	s_mov_b32 s7, exec_lo
	s_delay_alu instid0(VALU_DEP_2) | instskip(NEXT) | instid1(VALU_DEP_1)
	v_bfe_u32 v12, v10, 7, 8
	v_cmpx_ne_u32_e32 0xff, v12
; %bb.1674:
	v_lshlrev_b32_e32 v11, 16, v10
	v_and_b32_e32 v13, 64, v10
	v_lshrrev_b32_e32 v10, 7, v10
	s_delay_alu instid0(VALU_DEP_3) | instskip(NEXT) | instid1(VALU_DEP_3)
	v_and_or_b32 v11, 0x3f0000, v11, v12
	v_cmp_ne_u32_e32 vcc_lo, 0, v13
	s_delay_alu instid0(VALU_DEP_2) | instskip(NEXT) | instid1(VALU_DEP_1)
	v_cmp_ne_u32_e64 s0, 0, v11
	s_and_b32 s0, vcc_lo, s0
	s_delay_alu instid0(SALU_CYCLE_1) | instskip(NEXT) | instid1(VALU_DEP_1)
	v_cndmask_b32_e64 v11, 0, 1, s0
	v_add_nc_u32_e32 v11, v10, v11
; %bb.1675:
	s_or_b32 exec_lo, exec_lo, s7
	s_mov_b32 s0, 0
	s_mov_b32 s7, -1
	global_store_b8 v[3:4], v11, off
.LBB417_1676:
	s_mov_b32 s10, 0
.LBB417_1677:
	s_delay_alu instid0(SALU_CYCLE_1)
	s_and_b32 vcc_lo, exec_lo, s10
	s_cbranch_vccz .LBB417_1680
; %bb.1678:
	v_cmp_eq_u16_e32 vcc_lo, 29, v5
	s_mov_b32 s0, -1
	s_cbranch_vccz .LBB417_1680
; %bb.1679:
	v_lshlrev_b32_e32 v10, 16, v9
	s_mov_b32 s0, 0
	s_mov_b32 s7, -1
	s_delay_alu instid0(VALU_DEP_1) | instskip(NEXT) | instid1(VALU_DEP_1)
	v_trunc_f32_e32 v10, v10
	v_mul_f32_e32 v11, 0x2f800000, v10
	s_delay_alu instid0(VALU_DEP_1) | instskip(NEXT) | instid1(VALU_DEP_1)
	v_floor_f32_e32 v11, v11
	v_fmamk_f32 v10, v11, 0xcf800000, v10
	v_cvt_u32_f32_e32 v11, v11
	s_delay_alu instid0(VALU_DEP_2)
	v_cvt_u32_f32_e32 v10, v10
	global_store_b64 v[3:4], v[10:11], off
.LBB417_1680:
	s_mov_b32 s10, 0
.LBB417_1681:
	s_delay_alu instid0(SALU_CYCLE_1)
	s_and_b32 vcc_lo, exec_lo, s10
	s_cbranch_vccz .LBB417_1697
; %bb.1682:
	v_cmp_gt_i16_e32 vcc_lo, 27, v5
	s_mov_b32 s7, -1
	s_cbranch_vccnz .LBB417_1688
; %bb.1683:
	v_cmp_lt_i16_e32 vcc_lo, 27, v5
	s_cbranch_vccz .LBB417_1685
; %bb.1684:
	v_lshlrev_b32_e32 v10, 16, v9
	s_mov_b32 s7, 0
	s_delay_alu instid0(VALU_DEP_1)
	v_cvt_u32_f32_e32 v10, v10
	global_store_b32 v[3:4], v10, off
.LBB417_1685:
	s_and_not1_b32 vcc_lo, exec_lo, s7
	s_cbranch_vccnz .LBB417_1687
; %bb.1686:
	v_lshlrev_b32_e32 v10, 16, v9
	s_delay_alu instid0(VALU_DEP_1)
	v_cvt_u32_f32_e32 v10, v10
	global_store_b16 v[3:4], v10, off
.LBB417_1687:
	s_mov_b32 s7, 0
.LBB417_1688:
	s_delay_alu instid0(SALU_CYCLE_1)
	s_and_not1_b32 vcc_lo, exec_lo, s7
	s_cbranch_vccnz .LBB417_1696
; %bb.1689:
	v_dual_mov_b32 v13, 0x80 :: v_dual_lshlrev_b32 v12, 16, v9
	s_mov_b32 s7, exec_lo
	s_delay_alu instid0(VALU_DEP_1) | instskip(NEXT) | instid1(VALU_DEP_1)
	v_and_b32_e32 v11, 0x7fffffff, v12
	v_cmpx_gt_u32_e32 0x43800000, v11
	s_cbranch_execz .LBB417_1695
; %bb.1690:
	v_and_b32_e32 v10, 0xffff, v9
	v_cmp_lt_u32_e32 vcc_lo, 0x3bffffff, v11
	s_mov_b32 s10, 0
                                        ; implicit-def: $vgpr11
	s_and_saveexec_b32 s11, vcc_lo
	s_delay_alu instid0(SALU_CYCLE_1)
	s_xor_b32 s11, exec_lo, s11
	s_cbranch_execz .LBB417_2141
; %bb.1691:
	v_bfe_u32 v11, v10, 4, 1
	s_mov_b32 s10, exec_lo
	s_delay_alu instid0(VALU_DEP_1) | instskip(NEXT) | instid1(VALU_DEP_1)
	v_add3_u32 v11, v12, v11, 0x487ffff
                                        ; implicit-def: $vgpr12
	v_lshrrev_b32_e32 v11, 20, v11
	s_or_saveexec_b32 s11, s11
                                        ; implicit-def: $sgpr12
	s_delay_alu instid0(SALU_CYCLE_1)
	s_xor_b32 exec_lo, exec_lo, s11
	s_cbranch_execnz .LBB417_2142
.LBB417_1692:
	s_or_b32 exec_lo, exec_lo, s11
	v_mov_b32_e32 v13, s12
	s_and_saveexec_b32 s11, s10
.LBB417_1693:
	v_lshrrev_b32_e32 v10, 8, v10
	s_delay_alu instid0(VALU_DEP_1)
	v_and_or_b32 v13, 0x80, v10, v11
.LBB417_1694:
	s_or_b32 exec_lo, exec_lo, s11
.LBB417_1695:
	s_delay_alu instid0(SALU_CYCLE_1)
	s_or_b32 exec_lo, exec_lo, s7
	global_store_b8 v[3:4], v13, off
.LBB417_1696:
	s_mov_b32 s7, -1
.LBB417_1697:
	s_mov_b32 s10, 0
.LBB417_1698:
	s_delay_alu instid0(SALU_CYCLE_1)
	s_and_b32 vcc_lo, exec_lo, s10
	s_cbranch_vccz .LBB417_1738
; %bb.1699:
	v_cmp_lt_i16_e32 vcc_lo, 22, v5
	s_mov_b32 s1, -1
	s_cbranch_vccz .LBB417_1731
; %bb.1700:
	v_cmp_gt_i16_e32 vcc_lo, 24, v5
	s_cbranch_vccnz .LBB417_1720
; %bb.1701:
	v_cmp_lt_i16_e32 vcc_lo, 24, v5
	s_cbranch_vccz .LBB417_1709
; %bb.1702:
	v_dual_mov_b32 v13, 0x80 :: v_dual_lshlrev_b32 v12, 16, v9
	s_mov_b32 s1, exec_lo
	s_delay_alu instid0(VALU_DEP_1) | instskip(NEXT) | instid1(VALU_DEP_1)
	v_and_b32_e32 v11, 0x7fffffff, v12
	v_cmpx_gt_u32_e32 0x47800000, v11
	s_cbranch_execz .LBB417_1708
; %bb.1703:
	v_and_b32_e32 v10, 0xffff, v9
	v_cmp_lt_u32_e32 vcc_lo, 0x37ffffff, v11
	s_mov_b32 s7, 0
                                        ; implicit-def: $vgpr11
	s_and_saveexec_b32 s10, vcc_lo
	s_delay_alu instid0(SALU_CYCLE_1)
	s_xor_b32 s10, exec_lo, s10
	s_cbranch_execz .LBB417_2147
; %bb.1704:
	v_bfe_u32 v11, v10, 5, 1
	s_mov_b32 s7, exec_lo
	s_delay_alu instid0(VALU_DEP_1) | instskip(NEXT) | instid1(VALU_DEP_1)
	v_add3_u32 v11, v12, v11, 0x88fffff
                                        ; implicit-def: $vgpr12
	v_lshrrev_b32_e32 v11, 21, v11
	s_or_saveexec_b32 s10, s10
                                        ; implicit-def: $sgpr11
	s_delay_alu instid0(SALU_CYCLE_1)
	s_xor_b32 exec_lo, exec_lo, s10
	s_cbranch_execnz .LBB417_2148
.LBB417_1705:
	s_or_b32 exec_lo, exec_lo, s10
	v_mov_b32_e32 v13, s11
	s_and_saveexec_b32 s10, s7
.LBB417_1706:
	v_lshrrev_b32_e32 v10, 8, v10
	s_delay_alu instid0(VALU_DEP_1)
	v_and_or_b32 v13, 0x80, v10, v11
.LBB417_1707:
	s_or_b32 exec_lo, exec_lo, s10
.LBB417_1708:
	s_delay_alu instid0(SALU_CYCLE_1)
	s_or_b32 exec_lo, exec_lo, s1
	s_mov_b32 s1, 0
	global_store_b8 v[3:4], v13, off
.LBB417_1709:
	s_and_b32 vcc_lo, exec_lo, s1
	s_cbranch_vccz .LBB417_1719
; %bb.1710:
	v_lshlrev_b32_e32 v12, 16, v9
	v_and_b32_e32 v10, 0xffff, v9
	s_mov_b32 s1, exec_lo
                                        ; implicit-def: $vgpr11
	s_delay_alu instid0(VALU_DEP_2) | instskip(NEXT) | instid1(VALU_DEP_1)
	v_and_b32_e32 v13, 0x7fffffff, v12
	v_cmpx_gt_u32_e32 0x43f00000, v13
	s_xor_b32 s1, exec_lo, s1
	s_cbranch_execz .LBB417_1716
; %bb.1711:
	s_mov_b32 s7, exec_lo
                                        ; implicit-def: $vgpr11
	v_cmpx_lt_u32_e32 0x3c7fffff, v13
	s_xor_b32 s7, exec_lo, s7
; %bb.1712:
	v_bfe_u32 v11, v10, 4, 1
	s_delay_alu instid0(VALU_DEP_1) | instskip(NEXT) | instid1(VALU_DEP_1)
	v_add3_u32 v11, v12, v11, 0x407ffff
	v_and_b32_e32 v12, 0xff00000, v11
	v_lshrrev_b32_e32 v11, 20, v11
	s_delay_alu instid0(VALU_DEP_2) | instskip(NEXT) | instid1(VALU_DEP_2)
	v_cmp_ne_u32_e32 vcc_lo, 0x7f00000, v12
                                        ; implicit-def: $vgpr12
	v_cndmask_b32_e32 v11, 0x7e, v11, vcc_lo
; %bb.1713:
	s_and_not1_saveexec_b32 s7, s7
; %bb.1714:
	v_add_f32_e64 v11, 0x46800000, |v12|
; %bb.1715:
	s_or_b32 exec_lo, exec_lo, s7
                                        ; implicit-def: $vgpr13
.LBB417_1716:
	s_and_not1_saveexec_b32 s1, s1
; %bb.1717:
	v_mov_b32_e32 v11, 0x7f
	v_cmp_lt_u32_e32 vcc_lo, 0x7f800000, v13
	s_delay_alu instid0(VALU_DEP_2)
	v_cndmask_b32_e32 v11, 0x7e, v11, vcc_lo
; %bb.1718:
	s_or_b32 exec_lo, exec_lo, s1
	v_lshrrev_b32_e32 v10, 8, v10
	s_delay_alu instid0(VALU_DEP_1)
	v_and_or_b32 v10, 0x80, v10, v11
	global_store_b8 v[3:4], v10, off
.LBB417_1719:
	s_mov_b32 s1, 0
.LBB417_1720:
	s_delay_alu instid0(SALU_CYCLE_1)
	s_and_not1_b32 vcc_lo, exec_lo, s1
	s_cbranch_vccnz .LBB417_1730
; %bb.1721:
	v_lshlrev_b32_e32 v12, 16, v9
	v_and_b32_e32 v10, 0xffff, v9
	s_mov_b32 s1, exec_lo
                                        ; implicit-def: $vgpr11
	s_delay_alu instid0(VALU_DEP_2) | instskip(NEXT) | instid1(VALU_DEP_1)
	v_and_b32_e32 v13, 0x7fffffff, v12
	v_cmpx_gt_u32_e32 0x47800000, v13
	s_xor_b32 s1, exec_lo, s1
	s_cbranch_execz .LBB417_1727
; %bb.1722:
	s_mov_b32 s7, exec_lo
                                        ; implicit-def: $vgpr11
	v_cmpx_lt_u32_e32 0x387fffff, v13
	s_xor_b32 s7, exec_lo, s7
; %bb.1723:
	v_bfe_u32 v11, v10, 5, 1
	s_delay_alu instid0(VALU_DEP_1) | instskip(NEXT) | instid1(VALU_DEP_1)
	v_add3_u32 v11, v12, v11, 0x80fffff
                                        ; implicit-def: $vgpr12
	v_lshrrev_b32_e32 v11, 21, v11
; %bb.1724:
	s_and_not1_saveexec_b32 s7, s7
; %bb.1725:
	v_add_f32_e64 v11, 0x43000000, |v12|
; %bb.1726:
	s_or_b32 exec_lo, exec_lo, s7
                                        ; implicit-def: $vgpr13
.LBB417_1727:
	s_and_not1_saveexec_b32 s1, s1
; %bb.1728:
	v_mov_b32_e32 v11, 0x7f
	v_cmp_lt_u32_e32 vcc_lo, 0x7f800000, v13
	s_delay_alu instid0(VALU_DEP_2)
	v_cndmask_b32_e32 v11, 0x7c, v11, vcc_lo
; %bb.1729:
	s_or_b32 exec_lo, exec_lo, s1
	v_lshrrev_b32_e32 v10, 8, v10
	s_delay_alu instid0(VALU_DEP_1)
	v_and_or_b32 v10, 0x80, v10, v11
	global_store_b8 v[3:4], v10, off
.LBB417_1730:
	s_mov_b32 s1, 0
	s_mov_b32 s7, -1
.LBB417_1731:
	s_and_not1_b32 vcc_lo, exec_lo, s1
	s_mov_b32 s1, 0
	s_cbranch_vccnz .LBB417_1738
; %bb.1732:
	v_cmp_lt_i16_e32 vcc_lo, 14, v5
	s_mov_b32 s1, -1
	s_cbranch_vccz .LBB417_1736
; %bb.1733:
	v_cmp_eq_u16_e32 vcc_lo, 15, v5
	s_mov_b32 s0, -1
	s_cbranch_vccz .LBB417_1735
; %bb.1734:
	s_mov_b32 s0, 0
	s_mov_b32 s7, -1
	global_store_b16 v[3:4], v9, off
.LBB417_1735:
	s_mov_b32 s1, 0
.LBB417_1736:
	s_delay_alu instid0(SALU_CYCLE_1)
	s_and_b32 vcc_lo, exec_lo, s1
	s_mov_b32 s1, 0
	s_cbranch_vccz .LBB417_1738
; %bb.1737:
	v_cmp_ne_u16_e64 s0, 11, v5
	s_mov_b32 s1, -1
.LBB417_1738:
	s_delay_alu instid0(VALU_DEP_1)
	s_and_b32 vcc_lo, exec_lo, s0
	s_cbranch_vccnz .LBB417_2145
; %bb.1739:
	s_and_not1_b32 vcc_lo, exec_lo, s1
	s_cbranch_vccnz .LBB417_1741
.LBB417_1740:
	v_and_b32_e32 v10, 0x7fff, v9
	s_mov_b32 s7, -1
	s_delay_alu instid0(VALU_DEP_1)
	v_cmp_ne_u16_e32 vcc_lo, 0, v10
	v_cndmask_b32_e64 v10, 0, 1, vcc_lo
	global_store_b8 v[3:4], v10, off
.LBB417_1741:
	s_mov_b32 s0, 0
.LBB417_1742:
	s_delay_alu instid0(SALU_CYCLE_1)
	s_and_b32 vcc_lo, exec_lo, s0
	s_cbranch_vccz .LBB417_1781
; %bb.1743:
	v_cmp_gt_i16_e32 vcc_lo, 5, v5
	s_mov_b32 s0, -1
	s_cbranch_vccnz .LBB417_1764
; %bb.1744:
	v_cmp_gt_i16_e32 vcc_lo, 8, v5
	s_cbranch_vccnz .LBB417_1754
; %bb.1745:
	v_cmp_gt_i16_e32 vcc_lo, 9, v5
	s_cbranch_vccnz .LBB417_1751
; %bb.1746:
	v_cmp_lt_i16_e32 vcc_lo, 9, v5
	s_cbranch_vccz .LBB417_1748
; %bb.1747:
	v_mov_b32_e32 v12, 0
	v_lshlrev_b32_e32 v10, 16, v9
	s_mov_b32 s0, 0
	s_delay_alu instid0(VALU_DEP_2) | instskip(NEXT) | instid1(VALU_DEP_2)
	v_mov_b32_e32 v13, v12
	v_cvt_f64_f32_e32 v[10:11], v10
	global_store_b128 v[3:4], v[10:13], off
.LBB417_1748:
	s_and_not1_b32 vcc_lo, exec_lo, s0
	s_cbranch_vccnz .LBB417_1750
; %bb.1749:
	v_dual_mov_b32 v11, 0 :: v_dual_lshlrev_b32 v10, 16, v9
	global_store_b64 v[3:4], v[10:11], off
.LBB417_1750:
	s_mov_b32 s0, 0
.LBB417_1751:
	s_delay_alu instid0(SALU_CYCLE_1)
	s_and_not1_b32 vcc_lo, exec_lo, s0
	s_cbranch_vccnz .LBB417_1753
; %bb.1752:
	v_lshlrev_b32_e32 v10, 16, v9
	s_delay_alu instid0(VALU_DEP_1) | instskip(NEXT) | instid1(VALU_DEP_1)
	v_cvt_f16_f32_e32 v10, v10
	v_and_b32_e32 v10, 0xffff, v10
	global_store_b32 v[3:4], v10, off
.LBB417_1753:
	s_mov_b32 s0, 0
.LBB417_1754:
	s_delay_alu instid0(SALU_CYCLE_1)
	s_and_not1_b32 vcc_lo, exec_lo, s0
	s_cbranch_vccnz .LBB417_1763
; %bb.1755:
	v_cmp_gt_i16_e32 vcc_lo, 6, v5
	s_mov_b32 s0, -1
	s_cbranch_vccnz .LBB417_1761
; %bb.1756:
	v_cmp_lt_i16_e32 vcc_lo, 6, v5
	s_cbranch_vccz .LBB417_1758
; %bb.1757:
	v_lshlrev_b32_e32 v10, 16, v9
	s_mov_b32 s0, 0
	s_delay_alu instid0(VALU_DEP_1)
	v_cvt_f64_f32_e32 v[10:11], v10
	global_store_b64 v[3:4], v[10:11], off
.LBB417_1758:
	s_and_not1_b32 vcc_lo, exec_lo, s0
	s_cbranch_vccnz .LBB417_1760
; %bb.1759:
	v_lshlrev_b32_e32 v10, 16, v9
	global_store_b32 v[3:4], v10, off
.LBB417_1760:
	s_mov_b32 s0, 0
.LBB417_1761:
	s_delay_alu instid0(SALU_CYCLE_1)
	s_and_not1_b32 vcc_lo, exec_lo, s0
	s_cbranch_vccnz .LBB417_1763
; %bb.1762:
	v_lshlrev_b32_e32 v10, 16, v9
	s_delay_alu instid0(VALU_DEP_1)
	v_cvt_f16_f32_e32 v10, v10
	global_store_b16 v[3:4], v10, off
.LBB417_1763:
	s_mov_b32 s0, 0
.LBB417_1764:
	s_delay_alu instid0(SALU_CYCLE_1)
	s_and_not1_b32 vcc_lo, exec_lo, s0
	s_cbranch_vccnz .LBB417_1780
; %bb.1765:
	v_cmp_gt_i16_e32 vcc_lo, 2, v5
	s_mov_b32 s0, -1
	s_cbranch_vccnz .LBB417_1775
; %bb.1766:
	v_cmp_gt_i16_e32 vcc_lo, 3, v5
	s_cbranch_vccnz .LBB417_1772
; %bb.1767:
	v_cmp_lt_i16_e32 vcc_lo, 3, v5
	s_cbranch_vccz .LBB417_1769
; %bb.1768:
	v_lshlrev_b32_e32 v10, 16, v9
	s_mov_b32 s0, 0
	s_delay_alu instid0(VALU_DEP_1) | instskip(NEXT) | instid1(VALU_DEP_1)
	v_trunc_f32_e32 v10, v10
	v_mul_f32_e64 v11, 0x2f800000, |v10|
	v_ashrrev_i32_e32 v13, 31, v10
	s_delay_alu instid0(VALU_DEP_2) | instskip(NEXT) | instid1(VALU_DEP_1)
	v_floor_f32_e32 v11, v11
	v_fma_f32 v12, 0xcf800000, v11, |v10|
	v_cvt_u32_f32_e32 v11, v11
	s_delay_alu instid0(VALU_DEP_2) | instskip(NEXT) | instid1(VALU_DEP_2)
	v_cvt_u32_f32_e32 v10, v12
	v_xor_b32_e32 v11, v11, v13
	s_delay_alu instid0(VALU_DEP_2) | instskip(NEXT) | instid1(VALU_DEP_1)
	v_xor_b32_e32 v10, v10, v13
	v_sub_co_u32 v10, vcc_lo, v10, v13
	s_delay_alu instid0(VALU_DEP_3)
	v_sub_co_ci_u32_e32 v11, vcc_lo, v11, v13, vcc_lo
	global_store_b64 v[3:4], v[10:11], off
.LBB417_1769:
	s_and_not1_b32 vcc_lo, exec_lo, s0
	s_cbranch_vccnz .LBB417_1771
; %bb.1770:
	v_lshlrev_b32_e32 v10, 16, v9
	s_delay_alu instid0(VALU_DEP_1)
	v_cvt_i32_f32_e32 v10, v10
	global_store_b32 v[3:4], v10, off
.LBB417_1771:
	s_mov_b32 s0, 0
.LBB417_1772:
	s_delay_alu instid0(SALU_CYCLE_1)
	s_and_not1_b32 vcc_lo, exec_lo, s0
	s_cbranch_vccnz .LBB417_1774
; %bb.1773:
	v_lshlrev_b32_e32 v10, 16, v9
	s_delay_alu instid0(VALU_DEP_1)
	v_cvt_i32_f32_e32 v10, v10
	global_store_b16 v[3:4], v10, off
.LBB417_1774:
	s_mov_b32 s0, 0
.LBB417_1775:
	s_delay_alu instid0(SALU_CYCLE_1)
	s_and_not1_b32 vcc_lo, exec_lo, s0
	s_cbranch_vccnz .LBB417_1780
; %bb.1776:
	v_cmp_lt_i16_e32 vcc_lo, 0, v5
	s_mov_b32 s0, -1
	s_cbranch_vccz .LBB417_1778
; %bb.1777:
	v_lshlrev_b32_e32 v10, 16, v9
	s_mov_b32 s0, 0
	s_delay_alu instid0(VALU_DEP_1)
	v_cvt_i32_f32_e32 v10, v10
	global_store_b8 v[3:4], v10, off
.LBB417_1778:
	s_and_not1_b32 vcc_lo, exec_lo, s0
	s_cbranch_vccnz .LBB417_1780
; %bb.1779:
	v_lshlrev_b32_e32 v9, 16, v9
	s_delay_alu instid0(VALU_DEP_1) | instskip(NEXT) | instid1(VALU_DEP_1)
	v_trunc_f32_e32 v9, v9
	v_mul_f32_e64 v10, 0x2f800000, |v9|
	s_delay_alu instid0(VALU_DEP_1) | instskip(NEXT) | instid1(VALU_DEP_1)
	v_floor_f32_e32 v10, v10
	v_fma_f32 v10, 0xcf800000, v10, |v9|
	v_ashrrev_i32_e32 v9, 31, v9
	s_delay_alu instid0(VALU_DEP_2) | instskip(NEXT) | instid1(VALU_DEP_1)
	v_cvt_u32_f32_e32 v10, v10
	v_xor_b32_e32 v10, v10, v9
	s_delay_alu instid0(VALU_DEP_1)
	v_sub_nc_u32_e32 v9, v10, v9
	global_store_b8 v[3:4], v9, off
.LBB417_1780:
	s_mov_b32 s7, -1
.LBB417_1781:
	s_delay_alu instid0(SALU_CYCLE_1)
	s_and_not1_b32 vcc_lo, exec_lo, s7
	s_cbranch_vccnz .LBB417_2094
; %bb.1782:
	v_lshlrev_b32_e32 v3, 16, v8
	s_and_b32 s6, 0xffff, s6
	v_cmp_gt_i16_e64 s1, 11, v5
	s_mov_b32 s7, 0
	s_delay_alu instid0(VALU_DEP_2) | instskip(SKIP_1) | instid1(VALU_DEP_1)
	v_cmp_u_f32_e32 vcc_lo, v3, v3
	v_cmp_lt_f32_e64 s0, s3, v3
	s_or_b32 vcc_lo, vcc_lo, s0
	v_add_co_u32 v2, s0, s4, v2
	v_cndmask_b32_e32 v4, s6, v8, vcc_lo
	v_add_co_ci_u32_e64 v3, null, s5, 0, s0
	s_and_b32 vcc_lo, exec_lo, s1
	s_mov_b32 s0, -1
	s_cbranch_vccnz .LBB417_1860
; %bb.1783:
	v_cmp_lt_i16_e32 vcc_lo, 25, v5
	s_mov_b32 s10, -1
	s_mov_b32 s1, 0
	s_mov_b32 s0, 0
	s_cbranch_vccz .LBB417_1816
; %bb.1784:
	v_cmp_lt_i16_e32 vcc_lo, 28, v5
	s_cbranch_vccz .LBB417_1799
; %bb.1785:
	v_cmp_lt_i16_e32 vcc_lo, 43, v5
	;; [unrolled: 3-line block ×3, first 2 shown]
	s_cbranch_vccz .LBB417_1789
; %bb.1787:
	v_cmp_eq_u16_e32 vcc_lo, 46, v5
	s_mov_b32 s0, -1
	s_mov_b32 s10, 0
	s_cbranch_vccz .LBB417_1789
; %bb.1788:
	v_and_b32_e32 v8, 0xffff, v4
	s_mov_b32 s0, 0
	s_mov_b32 s7, -1
	global_store_b32 v[2:3], v8, off
.LBB417_1789:
	s_and_b32 vcc_lo, exec_lo, s10
	s_cbranch_vccz .LBB417_1794
; %bb.1790:
	v_cmp_eq_u16_e32 vcc_lo, 44, v5
	s_mov_b32 s0, -1
	s_cbranch_vccz .LBB417_1794
; %bb.1791:
	v_and_b32_e32 v8, 0xffff, v4
	v_mov_b32_e32 v9, 0xff
	s_mov_b32 s7, exec_lo
	s_delay_alu instid0(VALU_DEP_2) | instskip(NEXT) | instid1(VALU_DEP_1)
	v_bfe_u32 v10, v8, 7, 8
	v_cmpx_ne_u32_e32 0xff, v10
; %bb.1792:
	v_lshlrev_b32_e32 v9, 16, v8
	v_and_b32_e32 v11, 64, v8
	v_lshrrev_b32_e32 v8, 7, v8
	s_delay_alu instid0(VALU_DEP_3) | instskip(NEXT) | instid1(VALU_DEP_3)
	v_and_or_b32 v9, 0x3f0000, v9, v10
	v_cmp_ne_u32_e32 vcc_lo, 0, v11
	s_delay_alu instid0(VALU_DEP_2) | instskip(NEXT) | instid1(VALU_DEP_1)
	v_cmp_ne_u32_e64 s0, 0, v9
	s_and_b32 s0, vcc_lo, s0
	s_delay_alu instid0(SALU_CYCLE_1) | instskip(NEXT) | instid1(VALU_DEP_1)
	v_cndmask_b32_e64 v9, 0, 1, s0
	v_add_nc_u32_e32 v9, v8, v9
; %bb.1793:
	s_or_b32 exec_lo, exec_lo, s7
	s_mov_b32 s0, 0
	s_mov_b32 s7, -1
	global_store_b8 v[2:3], v9, off
.LBB417_1794:
	s_mov_b32 s10, 0
.LBB417_1795:
	s_delay_alu instid0(SALU_CYCLE_1)
	s_and_b32 vcc_lo, exec_lo, s10
	s_cbranch_vccz .LBB417_1798
; %bb.1796:
	v_cmp_eq_u16_e32 vcc_lo, 29, v5
	s_mov_b32 s0, -1
	s_cbranch_vccz .LBB417_1798
; %bb.1797:
	v_lshlrev_b32_e32 v8, 16, v4
	s_mov_b32 s0, 0
	s_mov_b32 s7, -1
	s_delay_alu instid0(VALU_DEP_1) | instskip(NEXT) | instid1(VALU_DEP_1)
	v_trunc_f32_e32 v8, v8
	v_mul_f32_e32 v9, 0x2f800000, v8
	s_delay_alu instid0(VALU_DEP_1) | instskip(NEXT) | instid1(VALU_DEP_1)
	v_floor_f32_e32 v9, v9
	v_fmamk_f32 v8, v9, 0xcf800000, v8
	v_cvt_u32_f32_e32 v9, v9
	s_delay_alu instid0(VALU_DEP_2)
	v_cvt_u32_f32_e32 v8, v8
	global_store_b64 v[2:3], v[8:9], off
.LBB417_1798:
	s_mov_b32 s10, 0
.LBB417_1799:
	s_delay_alu instid0(SALU_CYCLE_1)
	s_and_b32 vcc_lo, exec_lo, s10
	s_cbranch_vccz .LBB417_1815
; %bb.1800:
	v_cmp_gt_i16_e32 vcc_lo, 27, v5
	s_mov_b32 s7, -1
	s_cbranch_vccnz .LBB417_1806
; %bb.1801:
	v_cmp_lt_i16_e32 vcc_lo, 27, v5
	s_cbranch_vccz .LBB417_1803
; %bb.1802:
	v_lshlrev_b32_e32 v8, 16, v4
	s_mov_b32 s7, 0
	s_delay_alu instid0(VALU_DEP_1)
	v_cvt_u32_f32_e32 v8, v8
	global_store_b32 v[2:3], v8, off
.LBB417_1803:
	s_and_not1_b32 vcc_lo, exec_lo, s7
	s_cbranch_vccnz .LBB417_1805
; %bb.1804:
	v_lshlrev_b32_e32 v8, 16, v4
	s_delay_alu instid0(VALU_DEP_1)
	v_cvt_u32_f32_e32 v8, v8
	global_store_b16 v[2:3], v8, off
.LBB417_1805:
	s_mov_b32 s7, 0
.LBB417_1806:
	s_delay_alu instid0(SALU_CYCLE_1)
	s_and_not1_b32 vcc_lo, exec_lo, s7
	s_cbranch_vccnz .LBB417_1814
; %bb.1807:
	v_dual_mov_b32 v11, 0x80 :: v_dual_lshlrev_b32 v10, 16, v4
	s_mov_b32 s7, exec_lo
	s_delay_alu instid0(VALU_DEP_1) | instskip(NEXT) | instid1(VALU_DEP_1)
	v_and_b32_e32 v9, 0x7fffffff, v10
	v_cmpx_gt_u32_e32 0x43800000, v9
	s_cbranch_execz .LBB417_1813
; %bb.1808:
	v_and_b32_e32 v8, 0xffff, v4
	v_cmp_lt_u32_e32 vcc_lo, 0x3bffffff, v9
	s_mov_b32 s10, 0
                                        ; implicit-def: $vgpr9
	s_and_saveexec_b32 s11, vcc_lo
	s_delay_alu instid0(SALU_CYCLE_1)
	s_xor_b32 s11, exec_lo, s11
	s_cbranch_execz .LBB417_2149
; %bb.1809:
	v_bfe_u32 v9, v8, 4, 1
	s_mov_b32 s10, exec_lo
	s_delay_alu instid0(VALU_DEP_1) | instskip(NEXT) | instid1(VALU_DEP_1)
	v_add3_u32 v9, v10, v9, 0x487ffff
                                        ; implicit-def: $vgpr10
	v_lshrrev_b32_e32 v9, 20, v9
	s_or_saveexec_b32 s11, s11
                                        ; implicit-def: $sgpr12
	s_delay_alu instid0(SALU_CYCLE_1)
	s_xor_b32 exec_lo, exec_lo, s11
	s_cbranch_execnz .LBB417_2150
.LBB417_1810:
	s_or_b32 exec_lo, exec_lo, s11
	v_mov_b32_e32 v11, s12
	s_and_saveexec_b32 s11, s10
.LBB417_1811:
	v_lshrrev_b32_e32 v8, 8, v8
	s_delay_alu instid0(VALU_DEP_1)
	v_and_or_b32 v11, 0x80, v8, v9
.LBB417_1812:
	s_or_b32 exec_lo, exec_lo, s11
.LBB417_1813:
	s_delay_alu instid0(SALU_CYCLE_1)
	s_or_b32 exec_lo, exec_lo, s7
	global_store_b8 v[2:3], v11, off
.LBB417_1814:
	s_mov_b32 s7, -1
.LBB417_1815:
	s_mov_b32 s10, 0
.LBB417_1816:
	s_delay_alu instid0(SALU_CYCLE_1)
	s_and_b32 vcc_lo, exec_lo, s10
	s_cbranch_vccz .LBB417_1856
; %bb.1817:
	v_cmp_lt_i16_e32 vcc_lo, 22, v5
	s_mov_b32 s1, -1
	s_cbranch_vccz .LBB417_1849
; %bb.1818:
	v_cmp_gt_i16_e32 vcc_lo, 24, v5
	s_cbranch_vccnz .LBB417_1838
; %bb.1819:
	v_cmp_lt_i16_e32 vcc_lo, 24, v5
	s_cbranch_vccz .LBB417_1827
; %bb.1820:
	v_dual_mov_b32 v11, 0x80 :: v_dual_lshlrev_b32 v10, 16, v4
	s_mov_b32 s1, exec_lo
	s_delay_alu instid0(VALU_DEP_1) | instskip(NEXT) | instid1(VALU_DEP_1)
	v_and_b32_e32 v9, 0x7fffffff, v10
	v_cmpx_gt_u32_e32 0x47800000, v9
	s_cbranch_execz .LBB417_1826
; %bb.1821:
	v_and_b32_e32 v8, 0xffff, v4
	v_cmp_lt_u32_e32 vcc_lo, 0x37ffffff, v9
	s_mov_b32 s7, 0
                                        ; implicit-def: $vgpr9
	s_and_saveexec_b32 s10, vcc_lo
	s_delay_alu instid0(SALU_CYCLE_1)
	s_xor_b32 s10, exec_lo, s10
	s_cbranch_execz .LBB417_2155
; %bb.1822:
	v_bfe_u32 v9, v8, 5, 1
	s_mov_b32 s7, exec_lo
	s_delay_alu instid0(VALU_DEP_1) | instskip(NEXT) | instid1(VALU_DEP_1)
	v_add3_u32 v9, v10, v9, 0x88fffff
                                        ; implicit-def: $vgpr10
	v_lshrrev_b32_e32 v9, 21, v9
	s_or_saveexec_b32 s10, s10
                                        ; implicit-def: $sgpr11
	s_delay_alu instid0(SALU_CYCLE_1)
	s_xor_b32 exec_lo, exec_lo, s10
	s_cbranch_execnz .LBB417_2156
.LBB417_1823:
	s_or_b32 exec_lo, exec_lo, s10
	v_mov_b32_e32 v11, s11
	s_and_saveexec_b32 s10, s7
.LBB417_1824:
	v_lshrrev_b32_e32 v8, 8, v8
	s_delay_alu instid0(VALU_DEP_1)
	v_and_or_b32 v11, 0x80, v8, v9
.LBB417_1825:
	s_or_b32 exec_lo, exec_lo, s10
.LBB417_1826:
	s_delay_alu instid0(SALU_CYCLE_1)
	s_or_b32 exec_lo, exec_lo, s1
	s_mov_b32 s1, 0
	global_store_b8 v[2:3], v11, off
.LBB417_1827:
	s_and_b32 vcc_lo, exec_lo, s1
	s_cbranch_vccz .LBB417_1837
; %bb.1828:
	v_lshlrev_b32_e32 v10, 16, v4
	v_and_b32_e32 v8, 0xffff, v4
	s_mov_b32 s1, exec_lo
                                        ; implicit-def: $vgpr9
	s_delay_alu instid0(VALU_DEP_2) | instskip(NEXT) | instid1(VALU_DEP_1)
	v_and_b32_e32 v11, 0x7fffffff, v10
	v_cmpx_gt_u32_e32 0x43f00000, v11
	s_xor_b32 s1, exec_lo, s1
	s_cbranch_execz .LBB417_1834
; %bb.1829:
	s_mov_b32 s7, exec_lo
                                        ; implicit-def: $vgpr9
	v_cmpx_lt_u32_e32 0x3c7fffff, v11
	s_xor_b32 s7, exec_lo, s7
; %bb.1830:
	v_bfe_u32 v9, v8, 4, 1
	s_delay_alu instid0(VALU_DEP_1) | instskip(NEXT) | instid1(VALU_DEP_1)
	v_add3_u32 v9, v10, v9, 0x407ffff
	v_and_b32_e32 v10, 0xff00000, v9
	v_lshrrev_b32_e32 v9, 20, v9
	s_delay_alu instid0(VALU_DEP_2) | instskip(NEXT) | instid1(VALU_DEP_2)
	v_cmp_ne_u32_e32 vcc_lo, 0x7f00000, v10
                                        ; implicit-def: $vgpr10
	v_cndmask_b32_e32 v9, 0x7e, v9, vcc_lo
; %bb.1831:
	s_and_not1_saveexec_b32 s7, s7
; %bb.1832:
	v_add_f32_e64 v9, 0x46800000, |v10|
; %bb.1833:
	s_or_b32 exec_lo, exec_lo, s7
                                        ; implicit-def: $vgpr11
.LBB417_1834:
	s_and_not1_saveexec_b32 s1, s1
; %bb.1835:
	v_mov_b32_e32 v9, 0x7f
	v_cmp_lt_u32_e32 vcc_lo, 0x7f800000, v11
	s_delay_alu instid0(VALU_DEP_2)
	v_cndmask_b32_e32 v9, 0x7e, v9, vcc_lo
; %bb.1836:
	s_or_b32 exec_lo, exec_lo, s1
	v_lshrrev_b32_e32 v8, 8, v8
	s_delay_alu instid0(VALU_DEP_1)
	v_and_or_b32 v8, 0x80, v8, v9
	global_store_b8 v[2:3], v8, off
.LBB417_1837:
	s_mov_b32 s1, 0
.LBB417_1838:
	s_delay_alu instid0(SALU_CYCLE_1)
	s_and_not1_b32 vcc_lo, exec_lo, s1
	s_cbranch_vccnz .LBB417_1848
; %bb.1839:
	v_lshlrev_b32_e32 v10, 16, v4
	v_and_b32_e32 v8, 0xffff, v4
	s_mov_b32 s1, exec_lo
                                        ; implicit-def: $vgpr9
	s_delay_alu instid0(VALU_DEP_2) | instskip(NEXT) | instid1(VALU_DEP_1)
	v_and_b32_e32 v11, 0x7fffffff, v10
	v_cmpx_gt_u32_e32 0x47800000, v11
	s_xor_b32 s1, exec_lo, s1
	s_cbranch_execz .LBB417_1845
; %bb.1840:
	s_mov_b32 s7, exec_lo
                                        ; implicit-def: $vgpr9
	v_cmpx_lt_u32_e32 0x387fffff, v11
	s_xor_b32 s7, exec_lo, s7
; %bb.1841:
	v_bfe_u32 v9, v8, 5, 1
	s_delay_alu instid0(VALU_DEP_1) | instskip(NEXT) | instid1(VALU_DEP_1)
	v_add3_u32 v9, v10, v9, 0x80fffff
                                        ; implicit-def: $vgpr10
	v_lshrrev_b32_e32 v9, 21, v9
; %bb.1842:
	s_and_not1_saveexec_b32 s7, s7
; %bb.1843:
	v_add_f32_e64 v9, 0x43000000, |v10|
; %bb.1844:
	s_or_b32 exec_lo, exec_lo, s7
                                        ; implicit-def: $vgpr11
.LBB417_1845:
	s_and_not1_saveexec_b32 s1, s1
; %bb.1846:
	v_mov_b32_e32 v9, 0x7f
	v_cmp_lt_u32_e32 vcc_lo, 0x7f800000, v11
	s_delay_alu instid0(VALU_DEP_2)
	v_cndmask_b32_e32 v9, 0x7c, v9, vcc_lo
; %bb.1847:
	s_or_b32 exec_lo, exec_lo, s1
	v_lshrrev_b32_e32 v8, 8, v8
	s_delay_alu instid0(VALU_DEP_1)
	v_and_or_b32 v8, 0x80, v8, v9
	global_store_b8 v[2:3], v8, off
.LBB417_1848:
	s_mov_b32 s1, 0
	s_mov_b32 s7, -1
.LBB417_1849:
	s_and_not1_b32 vcc_lo, exec_lo, s1
	s_mov_b32 s1, 0
	s_cbranch_vccnz .LBB417_1856
; %bb.1850:
	v_cmp_lt_i16_e32 vcc_lo, 14, v5
	s_mov_b32 s1, -1
	s_cbranch_vccz .LBB417_1854
; %bb.1851:
	v_cmp_eq_u16_e32 vcc_lo, 15, v5
	s_mov_b32 s0, -1
	s_cbranch_vccz .LBB417_1853
; %bb.1852:
	s_mov_b32 s0, 0
	s_mov_b32 s7, -1
	global_store_b16 v[2:3], v4, off
.LBB417_1853:
	s_mov_b32 s1, 0
.LBB417_1854:
	s_delay_alu instid0(SALU_CYCLE_1)
	s_and_b32 vcc_lo, exec_lo, s1
	s_mov_b32 s1, 0
	s_cbranch_vccz .LBB417_1856
; %bb.1855:
	v_cmp_ne_u16_e64 s0, 11, v5
	s_mov_b32 s1, -1
.LBB417_1856:
	s_delay_alu instid0(VALU_DEP_1)
	s_and_b32 vcc_lo, exec_lo, s0
	s_cbranch_vccnz .LBB417_2153
; %bb.1857:
	s_and_not1_b32 vcc_lo, exec_lo, s1
	s_cbranch_vccnz .LBB417_1859
.LBB417_1858:
	v_and_b32_e32 v8, 0x7fff, v4
	s_mov_b32 s7, -1
	s_delay_alu instid0(VALU_DEP_1)
	v_cmp_ne_u16_e32 vcc_lo, 0, v8
	v_cndmask_b32_e64 v8, 0, 1, vcc_lo
	global_store_b8 v[2:3], v8, off
.LBB417_1859:
	s_mov_b32 s0, 0
.LBB417_1860:
	s_delay_alu instid0(SALU_CYCLE_1)
	s_and_b32 vcc_lo, exec_lo, s0
	s_cbranch_vccz .LBB417_1899
; %bb.1861:
	v_cmp_gt_i16_e32 vcc_lo, 5, v5
	s_mov_b32 s0, -1
	s_cbranch_vccnz .LBB417_1882
; %bb.1862:
	v_cmp_gt_i16_e32 vcc_lo, 8, v5
	s_cbranch_vccnz .LBB417_1872
; %bb.1863:
	v_cmp_gt_i16_e32 vcc_lo, 9, v5
	s_cbranch_vccnz .LBB417_1869
; %bb.1864:
	v_cmp_lt_i16_e32 vcc_lo, 9, v5
	s_cbranch_vccz .LBB417_1866
; %bb.1865:
	v_mov_b32_e32 v10, 0
	v_lshlrev_b32_e32 v8, 16, v4
	s_mov_b32 s0, 0
	s_delay_alu instid0(VALU_DEP_2) | instskip(NEXT) | instid1(VALU_DEP_2)
	v_mov_b32_e32 v11, v10
	v_cvt_f64_f32_e32 v[8:9], v8
	global_store_b128 v[2:3], v[8:11], off
.LBB417_1866:
	s_and_not1_b32 vcc_lo, exec_lo, s0
	s_cbranch_vccnz .LBB417_1868
; %bb.1867:
	v_dual_mov_b32 v9, 0 :: v_dual_lshlrev_b32 v8, 16, v4
	global_store_b64 v[2:3], v[8:9], off
.LBB417_1868:
	s_mov_b32 s0, 0
.LBB417_1869:
	s_delay_alu instid0(SALU_CYCLE_1)
	s_and_not1_b32 vcc_lo, exec_lo, s0
	s_cbranch_vccnz .LBB417_1871
; %bb.1870:
	v_lshlrev_b32_e32 v8, 16, v4
	s_delay_alu instid0(VALU_DEP_1) | instskip(NEXT) | instid1(VALU_DEP_1)
	v_cvt_f16_f32_e32 v8, v8
	v_and_b32_e32 v8, 0xffff, v8
	global_store_b32 v[2:3], v8, off
.LBB417_1871:
	s_mov_b32 s0, 0
.LBB417_1872:
	s_delay_alu instid0(SALU_CYCLE_1)
	s_and_not1_b32 vcc_lo, exec_lo, s0
	s_cbranch_vccnz .LBB417_1881
; %bb.1873:
	v_cmp_gt_i16_e32 vcc_lo, 6, v5
	s_mov_b32 s0, -1
	s_cbranch_vccnz .LBB417_1879
; %bb.1874:
	v_cmp_lt_i16_e32 vcc_lo, 6, v5
	s_cbranch_vccz .LBB417_1876
; %bb.1875:
	v_lshlrev_b32_e32 v8, 16, v4
	s_mov_b32 s0, 0
	s_delay_alu instid0(VALU_DEP_1)
	v_cvt_f64_f32_e32 v[8:9], v8
	global_store_b64 v[2:3], v[8:9], off
.LBB417_1876:
	s_and_not1_b32 vcc_lo, exec_lo, s0
	s_cbranch_vccnz .LBB417_1878
; %bb.1877:
	v_lshlrev_b32_e32 v8, 16, v4
	global_store_b32 v[2:3], v8, off
.LBB417_1878:
	s_mov_b32 s0, 0
.LBB417_1879:
	s_delay_alu instid0(SALU_CYCLE_1)
	s_and_not1_b32 vcc_lo, exec_lo, s0
	s_cbranch_vccnz .LBB417_1881
; %bb.1880:
	v_lshlrev_b32_e32 v8, 16, v4
	s_delay_alu instid0(VALU_DEP_1)
	v_cvt_f16_f32_e32 v8, v8
	global_store_b16 v[2:3], v8, off
.LBB417_1881:
	s_mov_b32 s0, 0
.LBB417_1882:
	s_delay_alu instid0(SALU_CYCLE_1)
	s_and_not1_b32 vcc_lo, exec_lo, s0
	s_cbranch_vccnz .LBB417_1898
; %bb.1883:
	v_cmp_gt_i16_e32 vcc_lo, 2, v5
	s_mov_b32 s0, -1
	s_cbranch_vccnz .LBB417_1893
; %bb.1884:
	v_cmp_gt_i16_e32 vcc_lo, 3, v5
	s_cbranch_vccnz .LBB417_1890
; %bb.1885:
	v_cmp_lt_i16_e32 vcc_lo, 3, v5
	s_cbranch_vccz .LBB417_1887
; %bb.1886:
	v_lshlrev_b32_e32 v8, 16, v4
	s_mov_b32 s0, 0
	s_delay_alu instid0(VALU_DEP_1) | instskip(NEXT) | instid1(VALU_DEP_1)
	v_trunc_f32_e32 v8, v8
	v_mul_f32_e64 v9, 0x2f800000, |v8|
	v_ashrrev_i32_e32 v11, 31, v8
	s_delay_alu instid0(VALU_DEP_2) | instskip(NEXT) | instid1(VALU_DEP_1)
	v_floor_f32_e32 v9, v9
	v_fma_f32 v10, 0xcf800000, v9, |v8|
	v_cvt_u32_f32_e32 v9, v9
	s_delay_alu instid0(VALU_DEP_2) | instskip(NEXT) | instid1(VALU_DEP_2)
	v_cvt_u32_f32_e32 v8, v10
	v_xor_b32_e32 v9, v9, v11
	s_delay_alu instid0(VALU_DEP_2) | instskip(NEXT) | instid1(VALU_DEP_1)
	v_xor_b32_e32 v8, v8, v11
	v_sub_co_u32 v8, vcc_lo, v8, v11
	s_delay_alu instid0(VALU_DEP_3)
	v_sub_co_ci_u32_e32 v9, vcc_lo, v9, v11, vcc_lo
	global_store_b64 v[2:3], v[8:9], off
.LBB417_1887:
	s_and_not1_b32 vcc_lo, exec_lo, s0
	s_cbranch_vccnz .LBB417_1889
; %bb.1888:
	v_lshlrev_b32_e32 v8, 16, v4
	s_delay_alu instid0(VALU_DEP_1)
	v_cvt_i32_f32_e32 v8, v8
	global_store_b32 v[2:3], v8, off
.LBB417_1889:
	s_mov_b32 s0, 0
.LBB417_1890:
	s_delay_alu instid0(SALU_CYCLE_1)
	s_and_not1_b32 vcc_lo, exec_lo, s0
	s_cbranch_vccnz .LBB417_1892
; %bb.1891:
	v_lshlrev_b32_e32 v8, 16, v4
	s_delay_alu instid0(VALU_DEP_1)
	v_cvt_i32_f32_e32 v8, v8
	global_store_b16 v[2:3], v8, off
.LBB417_1892:
	s_mov_b32 s0, 0
.LBB417_1893:
	s_delay_alu instid0(SALU_CYCLE_1)
	s_and_not1_b32 vcc_lo, exec_lo, s0
	s_cbranch_vccnz .LBB417_1898
; %bb.1894:
	v_cmp_lt_i16_e32 vcc_lo, 0, v5
	v_lshlrev_b32_e32 v4, 16, v4
	s_mov_b32 s0, -1
	s_cbranch_vccz .LBB417_1896
; %bb.1895:
	s_delay_alu instid0(VALU_DEP_1)
	v_cvt_i32_f32_e32 v8, v4
	s_mov_b32 s0, 0
	global_store_b8 v[2:3], v8, off
.LBB417_1896:
	s_and_not1_b32 vcc_lo, exec_lo, s0
	s_cbranch_vccnz .LBB417_1898
; %bb.1897:
	v_trunc_f32_e32 v4, v4
	s_delay_alu instid0(VALU_DEP_1) | instskip(NEXT) | instid1(VALU_DEP_1)
	v_mul_f32_e64 v8, 0x2f800000, |v4|
	v_floor_f32_e32 v8, v8
	s_delay_alu instid0(VALU_DEP_1) | instskip(SKIP_1) | instid1(VALU_DEP_2)
	v_fma_f32 v8, 0xcf800000, v8, |v4|
	v_ashrrev_i32_e32 v4, 31, v4
	v_cvt_u32_f32_e32 v8, v8
	s_delay_alu instid0(VALU_DEP_1) | instskip(NEXT) | instid1(VALU_DEP_1)
	v_xor_b32_e32 v8, v8, v4
	v_sub_nc_u32_e32 v4, v8, v4
	global_store_b8 v[2:3], v4, off
.LBB417_1898:
	s_mov_b32 s7, -1
.LBB417_1899:
	s_delay_alu instid0(SALU_CYCLE_1)
	s_and_not1_b32 vcc_lo, exec_lo, s7
	s_cbranch_vccnz .LBB417_2094
; %bb.1900:
	s_waitcnt vmcnt(0)
	v_lshlrev_b32_e32 v2, 16, v7
	v_cmp_gt_i16_e32 vcc_lo, 11, v5
	v_add_co_u32 v1, s10, s4, v1
	s_mov_b32 s7, 0
	s_delay_alu instid0(VALU_DEP_3) | instskip(SKIP_2) | instid1(VALU_DEP_2)
	v_cmp_u_f32_e64 s0, v2, v2
	v_cmp_lt_f32_e64 s1, s3, v2
	v_add_co_ci_u32_e64 v2, null, s5, 0, s10
	s_or_b32 s0, s0, s1
	s_delay_alu instid0(SALU_CYCLE_1)
	v_cndmask_b32_e64 v3, s6, v7, s0
	s_mov_b32 s0, -1
	s_cbranch_vccnz .LBB417_1978
; %bb.1901:
	v_cmp_lt_i16_e32 vcc_lo, 25, v5
	s_mov_b32 s10, -1
	s_mov_b32 s1, 0
	s_mov_b32 s0, 0
	s_cbranch_vccz .LBB417_1934
; %bb.1902:
	v_cmp_lt_i16_e32 vcc_lo, 28, v5
	s_cbranch_vccz .LBB417_1917
; %bb.1903:
	v_cmp_lt_i16_e32 vcc_lo, 43, v5
	;; [unrolled: 3-line block ×3, first 2 shown]
	s_cbranch_vccz .LBB417_1907
; %bb.1905:
	v_cmp_eq_u16_e32 vcc_lo, 46, v5
	s_mov_b32 s0, -1
	s_mov_b32 s10, 0
	s_cbranch_vccz .LBB417_1907
; %bb.1906:
	v_and_b32_e32 v4, 0xffff, v3
	s_mov_b32 s0, 0
	s_mov_b32 s7, -1
	global_store_b32 v[1:2], v4, off
.LBB417_1907:
	s_and_b32 vcc_lo, exec_lo, s10
	s_cbranch_vccz .LBB417_1912
; %bb.1908:
	v_cmp_eq_u16_e32 vcc_lo, 44, v5
	s_mov_b32 s0, -1
	s_cbranch_vccz .LBB417_1912
; %bb.1909:
	v_and_b32_e32 v4, 0xffff, v3
	v_mov_b32_e32 v7, 0xff
	s_mov_b32 s7, exec_lo
	s_delay_alu instid0(VALU_DEP_2) | instskip(NEXT) | instid1(VALU_DEP_1)
	v_bfe_u32 v8, v4, 7, 8
	v_cmpx_ne_u32_e32 0xff, v8
; %bb.1910:
	v_lshlrev_b32_e32 v7, 16, v4
	v_and_b32_e32 v9, 64, v4
	v_lshrrev_b32_e32 v4, 7, v4
	s_delay_alu instid0(VALU_DEP_3) | instskip(NEXT) | instid1(VALU_DEP_3)
	v_and_or_b32 v7, 0x3f0000, v7, v8
	v_cmp_ne_u32_e32 vcc_lo, 0, v9
	s_delay_alu instid0(VALU_DEP_2) | instskip(NEXT) | instid1(VALU_DEP_1)
	v_cmp_ne_u32_e64 s0, 0, v7
	s_and_b32 s0, vcc_lo, s0
	s_delay_alu instid0(SALU_CYCLE_1) | instskip(NEXT) | instid1(VALU_DEP_1)
	v_cndmask_b32_e64 v7, 0, 1, s0
	v_add_nc_u32_e32 v7, v4, v7
; %bb.1911:
	s_or_b32 exec_lo, exec_lo, s7
	s_mov_b32 s0, 0
	s_mov_b32 s7, -1
	global_store_b8 v[1:2], v7, off
.LBB417_1912:
	s_mov_b32 s10, 0
.LBB417_1913:
	s_delay_alu instid0(SALU_CYCLE_1)
	s_and_b32 vcc_lo, exec_lo, s10
	s_cbranch_vccz .LBB417_1916
; %bb.1914:
	v_cmp_eq_u16_e32 vcc_lo, 29, v5
	s_mov_b32 s0, -1
	s_cbranch_vccz .LBB417_1916
; %bb.1915:
	v_lshlrev_b32_e32 v4, 16, v3
	s_mov_b32 s0, 0
	s_mov_b32 s7, -1
	s_delay_alu instid0(VALU_DEP_1) | instskip(NEXT) | instid1(VALU_DEP_1)
	v_trunc_f32_e32 v4, v4
	v_mul_f32_e32 v7, 0x2f800000, v4
	s_delay_alu instid0(VALU_DEP_1) | instskip(NEXT) | instid1(VALU_DEP_1)
	v_floor_f32_e32 v7, v7
	v_fmamk_f32 v4, v7, 0xcf800000, v4
	v_cvt_u32_f32_e32 v8, v7
	s_delay_alu instid0(VALU_DEP_2)
	v_cvt_u32_f32_e32 v7, v4
	global_store_b64 v[1:2], v[7:8], off
.LBB417_1916:
	s_mov_b32 s10, 0
.LBB417_1917:
	s_delay_alu instid0(SALU_CYCLE_1)
	s_and_b32 vcc_lo, exec_lo, s10
	s_cbranch_vccz .LBB417_1933
; %bb.1918:
	v_cmp_gt_i16_e32 vcc_lo, 27, v5
	s_mov_b32 s7, -1
	s_cbranch_vccnz .LBB417_1924
; %bb.1919:
	v_cmp_lt_i16_e32 vcc_lo, 27, v5
	s_cbranch_vccz .LBB417_1921
; %bb.1920:
	v_lshlrev_b32_e32 v4, 16, v3
	s_mov_b32 s7, 0
	s_delay_alu instid0(VALU_DEP_1)
	v_cvt_u32_f32_e32 v4, v4
	global_store_b32 v[1:2], v4, off
.LBB417_1921:
	s_and_not1_b32 vcc_lo, exec_lo, s7
	s_cbranch_vccnz .LBB417_1923
; %bb.1922:
	v_lshlrev_b32_e32 v4, 16, v3
	s_delay_alu instid0(VALU_DEP_1)
	v_cvt_u32_f32_e32 v4, v4
	global_store_b16 v[1:2], v4, off
.LBB417_1923:
	s_mov_b32 s7, 0
.LBB417_1924:
	s_delay_alu instid0(SALU_CYCLE_1)
	s_and_not1_b32 vcc_lo, exec_lo, s7
	s_cbranch_vccnz .LBB417_1932
; %bb.1925:
	v_dual_mov_b32 v9, 0x80 :: v_dual_lshlrev_b32 v8, 16, v3
	s_mov_b32 s7, exec_lo
	s_delay_alu instid0(VALU_DEP_1) | instskip(NEXT) | instid1(VALU_DEP_1)
	v_and_b32_e32 v7, 0x7fffffff, v8
	v_cmpx_gt_u32_e32 0x43800000, v7
	s_cbranch_execz .LBB417_1931
; %bb.1926:
	v_and_b32_e32 v4, 0xffff, v3
	v_cmp_lt_u32_e32 vcc_lo, 0x3bffffff, v7
	s_mov_b32 s10, 0
                                        ; implicit-def: $vgpr7
	s_and_saveexec_b32 s11, vcc_lo
	s_delay_alu instid0(SALU_CYCLE_1)
	s_xor_b32 s11, exec_lo, s11
	s_cbranch_execz .LBB417_2157
; %bb.1927:
	v_bfe_u32 v7, v4, 4, 1
	s_mov_b32 s10, exec_lo
	s_delay_alu instid0(VALU_DEP_1) | instskip(NEXT) | instid1(VALU_DEP_1)
	v_add3_u32 v7, v8, v7, 0x487ffff
                                        ; implicit-def: $vgpr8
	v_lshrrev_b32_e32 v7, 20, v7
	s_or_saveexec_b32 s11, s11
                                        ; implicit-def: $sgpr12
	s_delay_alu instid0(SALU_CYCLE_1)
	s_xor_b32 exec_lo, exec_lo, s11
	s_cbranch_execnz .LBB417_2158
.LBB417_1928:
	s_or_b32 exec_lo, exec_lo, s11
	v_mov_b32_e32 v9, s12
	s_and_saveexec_b32 s11, s10
.LBB417_1929:
	v_lshrrev_b32_e32 v4, 8, v4
	s_delay_alu instid0(VALU_DEP_1)
	v_and_or_b32 v9, 0x80, v4, v7
.LBB417_1930:
	s_or_b32 exec_lo, exec_lo, s11
.LBB417_1931:
	s_delay_alu instid0(SALU_CYCLE_1)
	s_or_b32 exec_lo, exec_lo, s7
	global_store_b8 v[1:2], v9, off
.LBB417_1932:
	s_mov_b32 s7, -1
.LBB417_1933:
	s_mov_b32 s10, 0
.LBB417_1934:
	s_delay_alu instid0(SALU_CYCLE_1)
	s_and_b32 vcc_lo, exec_lo, s10
	s_cbranch_vccz .LBB417_1974
; %bb.1935:
	v_cmp_lt_i16_e32 vcc_lo, 22, v5
	s_mov_b32 s1, -1
	s_cbranch_vccz .LBB417_1967
; %bb.1936:
	v_cmp_gt_i16_e32 vcc_lo, 24, v5
	s_cbranch_vccnz .LBB417_1956
; %bb.1937:
	v_cmp_lt_i16_e32 vcc_lo, 24, v5
	s_cbranch_vccz .LBB417_1945
; %bb.1938:
	v_dual_mov_b32 v9, 0x80 :: v_dual_lshlrev_b32 v8, 16, v3
	s_mov_b32 s1, exec_lo
	s_delay_alu instid0(VALU_DEP_1) | instskip(NEXT) | instid1(VALU_DEP_1)
	v_and_b32_e32 v7, 0x7fffffff, v8
	v_cmpx_gt_u32_e32 0x47800000, v7
	s_cbranch_execz .LBB417_1944
; %bb.1939:
	v_and_b32_e32 v4, 0xffff, v3
	v_cmp_lt_u32_e32 vcc_lo, 0x37ffffff, v7
	s_mov_b32 s7, 0
                                        ; implicit-def: $vgpr7
	s_and_saveexec_b32 s10, vcc_lo
	s_delay_alu instid0(SALU_CYCLE_1)
	s_xor_b32 s10, exec_lo, s10
	s_cbranch_execz .LBB417_2163
; %bb.1940:
	v_bfe_u32 v7, v4, 5, 1
	s_mov_b32 s7, exec_lo
	s_delay_alu instid0(VALU_DEP_1) | instskip(NEXT) | instid1(VALU_DEP_1)
	v_add3_u32 v7, v8, v7, 0x88fffff
                                        ; implicit-def: $vgpr8
	v_lshrrev_b32_e32 v7, 21, v7
	s_or_saveexec_b32 s10, s10
                                        ; implicit-def: $sgpr11
	s_delay_alu instid0(SALU_CYCLE_1)
	s_xor_b32 exec_lo, exec_lo, s10
	s_cbranch_execnz .LBB417_2164
.LBB417_1941:
	s_or_b32 exec_lo, exec_lo, s10
	v_mov_b32_e32 v9, s11
	s_and_saveexec_b32 s10, s7
.LBB417_1942:
	v_lshrrev_b32_e32 v4, 8, v4
	s_delay_alu instid0(VALU_DEP_1)
	v_and_or_b32 v9, 0x80, v4, v7
.LBB417_1943:
	s_or_b32 exec_lo, exec_lo, s10
.LBB417_1944:
	s_delay_alu instid0(SALU_CYCLE_1)
	s_or_b32 exec_lo, exec_lo, s1
	s_mov_b32 s1, 0
	global_store_b8 v[1:2], v9, off
.LBB417_1945:
	s_and_b32 vcc_lo, exec_lo, s1
	s_cbranch_vccz .LBB417_1955
; %bb.1946:
	v_lshlrev_b32_e32 v8, 16, v3
	v_and_b32_e32 v4, 0xffff, v3
	s_mov_b32 s1, exec_lo
                                        ; implicit-def: $vgpr7
	s_delay_alu instid0(VALU_DEP_2) | instskip(NEXT) | instid1(VALU_DEP_1)
	v_and_b32_e32 v9, 0x7fffffff, v8
	v_cmpx_gt_u32_e32 0x43f00000, v9
	s_xor_b32 s1, exec_lo, s1
	s_cbranch_execz .LBB417_1952
; %bb.1947:
	s_mov_b32 s7, exec_lo
                                        ; implicit-def: $vgpr7
	v_cmpx_lt_u32_e32 0x3c7fffff, v9
	s_xor_b32 s7, exec_lo, s7
; %bb.1948:
	v_bfe_u32 v7, v4, 4, 1
	s_delay_alu instid0(VALU_DEP_1) | instskip(NEXT) | instid1(VALU_DEP_1)
	v_add3_u32 v7, v8, v7, 0x407ffff
	v_and_b32_e32 v8, 0xff00000, v7
	v_lshrrev_b32_e32 v7, 20, v7
	s_delay_alu instid0(VALU_DEP_2) | instskip(NEXT) | instid1(VALU_DEP_2)
	v_cmp_ne_u32_e32 vcc_lo, 0x7f00000, v8
                                        ; implicit-def: $vgpr8
	v_cndmask_b32_e32 v7, 0x7e, v7, vcc_lo
; %bb.1949:
	s_and_not1_saveexec_b32 s7, s7
; %bb.1950:
	v_add_f32_e64 v7, 0x46800000, |v8|
; %bb.1951:
	s_or_b32 exec_lo, exec_lo, s7
                                        ; implicit-def: $vgpr9
.LBB417_1952:
	s_and_not1_saveexec_b32 s1, s1
; %bb.1953:
	v_mov_b32_e32 v7, 0x7f
	v_cmp_lt_u32_e32 vcc_lo, 0x7f800000, v9
	s_delay_alu instid0(VALU_DEP_2)
	v_cndmask_b32_e32 v7, 0x7e, v7, vcc_lo
; %bb.1954:
	s_or_b32 exec_lo, exec_lo, s1
	v_lshrrev_b32_e32 v4, 8, v4
	s_delay_alu instid0(VALU_DEP_1)
	v_and_or_b32 v4, 0x80, v4, v7
	global_store_b8 v[1:2], v4, off
.LBB417_1955:
	s_mov_b32 s1, 0
.LBB417_1956:
	s_delay_alu instid0(SALU_CYCLE_1)
	s_and_not1_b32 vcc_lo, exec_lo, s1
	s_cbranch_vccnz .LBB417_1966
; %bb.1957:
	v_lshlrev_b32_e32 v8, 16, v3
	v_and_b32_e32 v4, 0xffff, v3
	s_mov_b32 s1, exec_lo
                                        ; implicit-def: $vgpr7
	s_delay_alu instid0(VALU_DEP_2) | instskip(NEXT) | instid1(VALU_DEP_1)
	v_and_b32_e32 v9, 0x7fffffff, v8
	v_cmpx_gt_u32_e32 0x47800000, v9
	s_xor_b32 s1, exec_lo, s1
	s_cbranch_execz .LBB417_1963
; %bb.1958:
	s_mov_b32 s7, exec_lo
                                        ; implicit-def: $vgpr7
	v_cmpx_lt_u32_e32 0x387fffff, v9
	s_xor_b32 s7, exec_lo, s7
; %bb.1959:
	v_bfe_u32 v7, v4, 5, 1
	s_delay_alu instid0(VALU_DEP_1) | instskip(NEXT) | instid1(VALU_DEP_1)
	v_add3_u32 v7, v8, v7, 0x80fffff
                                        ; implicit-def: $vgpr8
	v_lshrrev_b32_e32 v7, 21, v7
; %bb.1960:
	s_and_not1_saveexec_b32 s7, s7
; %bb.1961:
	v_add_f32_e64 v7, 0x43000000, |v8|
; %bb.1962:
	s_or_b32 exec_lo, exec_lo, s7
                                        ; implicit-def: $vgpr9
.LBB417_1963:
	s_and_not1_saveexec_b32 s1, s1
; %bb.1964:
	v_mov_b32_e32 v7, 0x7f
	v_cmp_lt_u32_e32 vcc_lo, 0x7f800000, v9
	s_delay_alu instid0(VALU_DEP_2)
	v_cndmask_b32_e32 v7, 0x7c, v7, vcc_lo
; %bb.1965:
	s_or_b32 exec_lo, exec_lo, s1
	v_lshrrev_b32_e32 v4, 8, v4
	s_delay_alu instid0(VALU_DEP_1)
	v_and_or_b32 v4, 0x80, v4, v7
	global_store_b8 v[1:2], v4, off
.LBB417_1966:
	s_mov_b32 s1, 0
	s_mov_b32 s7, -1
.LBB417_1967:
	s_and_not1_b32 vcc_lo, exec_lo, s1
	s_mov_b32 s1, 0
	s_cbranch_vccnz .LBB417_1974
; %bb.1968:
	v_cmp_lt_i16_e32 vcc_lo, 14, v5
	s_mov_b32 s1, -1
	s_cbranch_vccz .LBB417_1972
; %bb.1969:
	v_cmp_eq_u16_e32 vcc_lo, 15, v5
	s_mov_b32 s0, -1
	s_cbranch_vccz .LBB417_1971
; %bb.1970:
	s_mov_b32 s0, 0
	s_mov_b32 s7, -1
	global_store_b16 v[1:2], v3, off
.LBB417_1971:
	s_mov_b32 s1, 0
.LBB417_1972:
	s_delay_alu instid0(SALU_CYCLE_1)
	s_and_b32 vcc_lo, exec_lo, s1
	s_mov_b32 s1, 0
	s_cbranch_vccz .LBB417_1974
; %bb.1973:
	v_cmp_ne_u16_e64 s0, 11, v5
	s_mov_b32 s1, -1
.LBB417_1974:
	s_delay_alu instid0(VALU_DEP_1)
	s_and_b32 vcc_lo, exec_lo, s0
	s_cbranch_vccnz .LBB417_2161
; %bb.1975:
	s_and_not1_b32 vcc_lo, exec_lo, s1
	s_cbranch_vccnz .LBB417_1977
.LBB417_1976:
	v_and_b32_e32 v4, 0x7fff, v3
	s_mov_b32 s7, -1
	s_delay_alu instid0(VALU_DEP_1)
	v_cmp_ne_u16_e32 vcc_lo, 0, v4
	v_cndmask_b32_e64 v4, 0, 1, vcc_lo
	global_store_b8 v[1:2], v4, off
.LBB417_1977:
	s_mov_b32 s0, 0
.LBB417_1978:
	s_delay_alu instid0(SALU_CYCLE_1)
	s_and_b32 vcc_lo, exec_lo, s0
	s_cbranch_vccz .LBB417_2017
; %bb.1979:
	v_cmp_gt_i16_e32 vcc_lo, 5, v5
	s_mov_b32 s0, -1
	s_cbranch_vccnz .LBB417_2000
; %bb.1980:
	v_cmp_gt_i16_e32 vcc_lo, 8, v5
	s_cbranch_vccnz .LBB417_1990
; %bb.1981:
	v_cmp_gt_i16_e32 vcc_lo, 9, v5
	s_cbranch_vccnz .LBB417_1987
; %bb.1982:
	v_cmp_lt_i16_e32 vcc_lo, 9, v5
	s_cbranch_vccz .LBB417_1984
; %bb.1983:
	v_dual_mov_b32 v9, 0 :: v_dual_lshlrev_b32 v4, 16, v3
	s_mov_b32 s0, 0
	s_delay_alu instid0(VALU_DEP_1) | instskip(NEXT) | instid1(VALU_DEP_2)
	v_cvt_f64_f32_e32 v[7:8], v4
	v_mov_b32_e32 v10, v9
	global_store_b128 v[1:2], v[7:10], off
.LBB417_1984:
	s_and_not1_b32 vcc_lo, exec_lo, s0
	s_cbranch_vccnz .LBB417_1986
; %bb.1985:
	v_dual_mov_b32 v8, 0 :: v_dual_lshlrev_b32 v7, 16, v3
	global_store_b64 v[1:2], v[7:8], off
.LBB417_1986:
	s_mov_b32 s0, 0
.LBB417_1987:
	s_delay_alu instid0(SALU_CYCLE_1)
	s_and_not1_b32 vcc_lo, exec_lo, s0
	s_cbranch_vccnz .LBB417_1989
; %bb.1988:
	v_lshlrev_b32_e32 v4, 16, v3
	s_delay_alu instid0(VALU_DEP_1) | instskip(NEXT) | instid1(VALU_DEP_1)
	v_cvt_f16_f32_e32 v4, v4
	v_and_b32_e32 v4, 0xffff, v4
	global_store_b32 v[1:2], v4, off
.LBB417_1989:
	s_mov_b32 s0, 0
.LBB417_1990:
	s_delay_alu instid0(SALU_CYCLE_1)
	s_and_not1_b32 vcc_lo, exec_lo, s0
	s_cbranch_vccnz .LBB417_1999
; %bb.1991:
	v_cmp_gt_i16_e32 vcc_lo, 6, v5
	s_mov_b32 s0, -1
	s_cbranch_vccnz .LBB417_1997
; %bb.1992:
	v_cmp_lt_i16_e32 vcc_lo, 6, v5
	s_cbranch_vccz .LBB417_1994
; %bb.1993:
	v_lshlrev_b32_e32 v4, 16, v3
	s_mov_b32 s0, 0
	s_delay_alu instid0(VALU_DEP_1)
	v_cvt_f64_f32_e32 v[7:8], v4
	global_store_b64 v[1:2], v[7:8], off
.LBB417_1994:
	s_and_not1_b32 vcc_lo, exec_lo, s0
	s_cbranch_vccnz .LBB417_1996
; %bb.1995:
	v_lshlrev_b32_e32 v4, 16, v3
	global_store_b32 v[1:2], v4, off
.LBB417_1996:
	s_mov_b32 s0, 0
.LBB417_1997:
	s_delay_alu instid0(SALU_CYCLE_1)
	s_and_not1_b32 vcc_lo, exec_lo, s0
	s_cbranch_vccnz .LBB417_1999
; %bb.1998:
	v_lshlrev_b32_e32 v4, 16, v3
	s_delay_alu instid0(VALU_DEP_1)
	v_cvt_f16_f32_e32 v4, v4
	global_store_b16 v[1:2], v4, off
.LBB417_1999:
	s_mov_b32 s0, 0
.LBB417_2000:
	s_delay_alu instid0(SALU_CYCLE_1)
	s_and_not1_b32 vcc_lo, exec_lo, s0
	s_cbranch_vccnz .LBB417_2016
; %bb.2001:
	v_cmp_gt_i16_e32 vcc_lo, 2, v5
	s_mov_b32 s0, -1
	s_cbranch_vccnz .LBB417_2011
; %bb.2002:
	v_cmp_gt_i16_e32 vcc_lo, 3, v5
	s_cbranch_vccnz .LBB417_2008
; %bb.2003:
	v_cmp_lt_i16_e32 vcc_lo, 3, v5
	s_cbranch_vccz .LBB417_2005
; %bb.2004:
	v_lshlrev_b32_e32 v4, 16, v3
	s_mov_b32 s0, 0
	s_delay_alu instid0(VALU_DEP_1) | instskip(NEXT) | instid1(VALU_DEP_1)
	v_trunc_f32_e32 v4, v4
	v_mul_f32_e64 v7, 0x2f800000, |v4|
	s_delay_alu instid0(VALU_DEP_1) | instskip(NEXT) | instid1(VALU_DEP_1)
	v_floor_f32_e32 v7, v7
	v_fma_f32 v8, 0xcf800000, v7, |v4|
	v_ashrrev_i32_e32 v4, 31, v4
	v_cvt_u32_f32_e32 v7, v7
	s_delay_alu instid0(VALU_DEP_3) | instskip(NEXT) | instid1(VALU_DEP_2)
	v_cvt_u32_f32_e32 v8, v8
	v_xor_b32_e32 v9, v7, v4
	s_delay_alu instid0(VALU_DEP_2) | instskip(NEXT) | instid1(VALU_DEP_1)
	v_xor_b32_e32 v8, v8, v4
	v_sub_co_u32 v7, vcc_lo, v8, v4
	s_delay_alu instid0(VALU_DEP_3)
	v_sub_co_ci_u32_e32 v8, vcc_lo, v9, v4, vcc_lo
	global_store_b64 v[1:2], v[7:8], off
.LBB417_2005:
	s_and_not1_b32 vcc_lo, exec_lo, s0
	s_cbranch_vccnz .LBB417_2007
; %bb.2006:
	v_lshlrev_b32_e32 v4, 16, v3
	s_delay_alu instid0(VALU_DEP_1)
	v_cvt_i32_f32_e32 v4, v4
	global_store_b32 v[1:2], v4, off
.LBB417_2007:
	s_mov_b32 s0, 0
.LBB417_2008:
	s_delay_alu instid0(SALU_CYCLE_1)
	s_and_not1_b32 vcc_lo, exec_lo, s0
	s_cbranch_vccnz .LBB417_2010
; %bb.2009:
	v_lshlrev_b32_e32 v4, 16, v3
	s_delay_alu instid0(VALU_DEP_1)
	v_cvt_i32_f32_e32 v4, v4
	global_store_b16 v[1:2], v4, off
.LBB417_2010:
	s_mov_b32 s0, 0
.LBB417_2011:
	s_delay_alu instid0(SALU_CYCLE_1)
	s_and_not1_b32 vcc_lo, exec_lo, s0
	s_cbranch_vccnz .LBB417_2016
; %bb.2012:
	v_cmp_lt_i16_e32 vcc_lo, 0, v5
	v_lshlrev_b32_e32 v3, 16, v3
	s_mov_b32 s0, -1
	s_cbranch_vccz .LBB417_2014
; %bb.2013:
	s_delay_alu instid0(VALU_DEP_1)
	v_cvt_i32_f32_e32 v4, v3
	s_mov_b32 s0, 0
	global_store_b8 v[1:2], v4, off
.LBB417_2014:
	s_and_not1_b32 vcc_lo, exec_lo, s0
	s_cbranch_vccnz .LBB417_2016
; %bb.2015:
	v_trunc_f32_e32 v3, v3
	s_delay_alu instid0(VALU_DEP_1) | instskip(NEXT) | instid1(VALU_DEP_1)
	v_mul_f32_e64 v4, 0x2f800000, |v3|
	v_floor_f32_e32 v4, v4
	s_delay_alu instid0(VALU_DEP_1) | instskip(SKIP_1) | instid1(VALU_DEP_2)
	v_fma_f32 v4, 0xcf800000, v4, |v3|
	v_ashrrev_i32_e32 v3, 31, v3
	v_cvt_u32_f32_e32 v4, v4
	s_delay_alu instid0(VALU_DEP_1) | instskip(NEXT) | instid1(VALU_DEP_1)
	v_xor_b32_e32 v4, v4, v3
	v_sub_nc_u32_e32 v3, v4, v3
	global_store_b8 v[1:2], v3, off
.LBB417_2016:
	s_mov_b32 s7, -1
.LBB417_2017:
	s_delay_alu instid0(SALU_CYCLE_1)
	s_and_not1_b32 vcc_lo, exec_lo, s7
	s_cbranch_vccnz .LBB417_2094
; %bb.2018:
	v_lshlrev_b32_e32 v1, 16, v6
	v_cmp_gt_i16_e32 vcc_lo, 11, v5
	s_mov_b32 s7, 0
	s_delay_alu instid0(VALU_DEP_2) | instskip(SKIP_2) | instid1(VALU_DEP_1)
	v_cmp_u_f32_e64 s0, v1, v1
	v_cmp_lt_f32_e64 s1, s3, v1
	v_add_co_u32 v0, s3, s4, v0
	v_add_co_ci_u32_e64 v1, null, s5, 0, s3
	s_delay_alu instid0(VALU_DEP_3) | instskip(NEXT) | instid1(SALU_CYCLE_1)
	s_or_b32 s0, s0, s1
	v_cndmask_b32_e64 v2, s6, v6, s0
	s_mov_b32 s0, -1
	s_cbranch_vccnz .LBB417_2095
; %bb.2019:
	v_cmp_lt_i16_e32 vcc_lo, 25, v5
	s_mov_b32 s1, -1
	s_mov_b32 s0, 0
	s_cbranch_vccz .LBB417_2052
; %bb.2020:
	v_cmp_lt_i16_e32 vcc_lo, 28, v5
	s_cbranch_vccz .LBB417_2036
; %bb.2021:
	v_cmp_lt_i16_e32 vcc_lo, 43, v5
	;; [unrolled: 3-line block ×3, first 2 shown]
	s_cbranch_vccz .LBB417_2026
; %bb.2023:
	v_cmp_eq_u16_e32 vcc_lo, 46, v5
	s_mov_b32 s0, -1
	s_cbranch_vccz .LBB417_2025
; %bb.2024:
	v_and_b32_e32 v3, 0xffff, v2
	s_mov_b32 s0, 0
	global_store_b32 v[0:1], v3, off
.LBB417_2025:
	s_mov_b32 s1, 0
.LBB417_2026:
	s_delay_alu instid0(SALU_CYCLE_1)
	s_and_b32 vcc_lo, exec_lo, s1
	s_cbranch_vccz .LBB417_2031
; %bb.2027:
	v_cmp_eq_u16_e32 vcc_lo, 44, v5
	s_mov_b32 s0, -1
	s_cbranch_vccz .LBB417_2031
; %bb.2028:
	v_and_b32_e32 v3, 0xffff, v2
	v_mov_b32_e32 v4, 0xff
	s_mov_b32 s1, exec_lo
	s_delay_alu instid0(VALU_DEP_2) | instskip(NEXT) | instid1(VALU_DEP_1)
	v_bfe_u32 v6, v3, 7, 8
	v_cmpx_ne_u32_e32 0xff, v6
; %bb.2029:
	v_lshlrev_b32_e32 v4, 16, v3
	v_and_b32_e32 v7, 64, v3
	v_lshrrev_b32_e32 v3, 7, v3
	s_delay_alu instid0(VALU_DEP_3) | instskip(NEXT) | instid1(VALU_DEP_3)
	v_and_or_b32 v4, 0x3f0000, v4, v6
	v_cmp_ne_u32_e32 vcc_lo, 0, v7
	s_delay_alu instid0(VALU_DEP_2) | instskip(NEXT) | instid1(VALU_DEP_1)
	v_cmp_ne_u32_e64 s0, 0, v4
	s_and_b32 s0, vcc_lo, s0
	s_delay_alu instid0(SALU_CYCLE_1) | instskip(NEXT) | instid1(VALU_DEP_1)
	v_cndmask_b32_e64 v4, 0, 1, s0
	v_add_nc_u32_e32 v4, v3, v4
; %bb.2030:
	s_or_b32 exec_lo, exec_lo, s1
	s_mov_b32 s0, 0
	global_store_b8 v[0:1], v4, off
.LBB417_2031:
	s_mov_b32 s1, 0
.LBB417_2032:
	s_delay_alu instid0(SALU_CYCLE_1)
	s_and_b32 vcc_lo, exec_lo, s1
	s_cbranch_vccz .LBB417_2035
; %bb.2033:
	v_cmp_eq_u16_e32 vcc_lo, 29, v5
	s_mov_b32 s0, -1
	s_cbranch_vccz .LBB417_2035
; %bb.2034:
	v_lshlrev_b32_e32 v3, 16, v2
	s_mov_b32 s0, 0
	s_delay_alu instid0(VALU_DEP_1) | instskip(NEXT) | instid1(VALU_DEP_1)
	v_trunc_f32_e32 v3, v3
	v_mul_f32_e32 v4, 0x2f800000, v3
	s_delay_alu instid0(VALU_DEP_1) | instskip(NEXT) | instid1(VALU_DEP_1)
	v_floor_f32_e32 v4, v4
	v_fmamk_f32 v3, v4, 0xcf800000, v3
	v_cvt_u32_f32_e32 v4, v4
	s_delay_alu instid0(VALU_DEP_2)
	v_cvt_u32_f32_e32 v3, v3
	global_store_b64 v[0:1], v[3:4], off
.LBB417_2035:
	s_mov_b32 s1, 0
.LBB417_2036:
	s_delay_alu instid0(SALU_CYCLE_1)
	s_and_b32 vcc_lo, exec_lo, s1
	s_cbranch_vccz .LBB417_2051
; %bb.2037:
	v_cmp_gt_i16_e32 vcc_lo, 27, v5
	s_mov_b32 s1, -1
	s_cbranch_vccnz .LBB417_2043
; %bb.2038:
	v_cmp_lt_i16_e32 vcc_lo, 27, v5
	s_cbranch_vccz .LBB417_2040
; %bb.2039:
	v_lshlrev_b32_e32 v3, 16, v2
	s_mov_b32 s1, 0
	s_delay_alu instid0(VALU_DEP_1)
	v_cvt_u32_f32_e32 v3, v3
	global_store_b32 v[0:1], v3, off
.LBB417_2040:
	s_and_not1_b32 vcc_lo, exec_lo, s1
	s_cbranch_vccnz .LBB417_2042
; %bb.2041:
	v_lshlrev_b32_e32 v3, 16, v2
	s_delay_alu instid0(VALU_DEP_1)
	v_cvt_u32_f32_e32 v3, v3
	global_store_b16 v[0:1], v3, off
.LBB417_2042:
	s_mov_b32 s1, 0
.LBB417_2043:
	s_delay_alu instid0(SALU_CYCLE_1)
	s_and_not1_b32 vcc_lo, exec_lo, s1
	s_cbranch_vccnz .LBB417_2051
; %bb.2044:
	v_dual_mov_b32 v7, 0x80 :: v_dual_lshlrev_b32 v6, 16, v2
	s_mov_b32 s1, exec_lo
	s_delay_alu instid0(VALU_DEP_1) | instskip(NEXT) | instid1(VALU_DEP_1)
	v_and_b32_e32 v4, 0x7fffffff, v6
	v_cmpx_gt_u32_e32 0x43800000, v4
	s_cbranch_execz .LBB417_2050
; %bb.2045:
	v_and_b32_e32 v3, 0xffff, v2
	v_cmp_lt_u32_e32 vcc_lo, 0x3bffffff, v4
	s_mov_b32 s3, 0
                                        ; implicit-def: $vgpr4
	s_and_saveexec_b32 s4, vcc_lo
	s_delay_alu instid0(SALU_CYCLE_1)
	s_xor_b32 s4, exec_lo, s4
	s_cbranch_execz .LBB417_2165
; %bb.2046:
	v_bfe_u32 v4, v3, 4, 1
	s_mov_b32 s3, exec_lo
	s_delay_alu instid0(VALU_DEP_1) | instskip(NEXT) | instid1(VALU_DEP_1)
	v_add3_u32 v4, v6, v4, 0x487ffff
                                        ; implicit-def: $vgpr6
	v_lshrrev_b32_e32 v4, 20, v4
	s_or_saveexec_b32 s4, s4
                                        ; implicit-def: $sgpr5
	s_delay_alu instid0(SALU_CYCLE_1)
	s_xor_b32 exec_lo, exec_lo, s4
	s_cbranch_execnz .LBB417_2166
.LBB417_2047:
	s_or_b32 exec_lo, exec_lo, s4
	v_mov_b32_e32 v7, s5
	s_and_saveexec_b32 s4, s3
.LBB417_2048:
	v_lshrrev_b32_e32 v3, 8, v3
	s_delay_alu instid0(VALU_DEP_1)
	v_and_or_b32 v7, 0x80, v3, v4
.LBB417_2049:
	s_or_b32 exec_lo, exec_lo, s4
.LBB417_2050:
	s_delay_alu instid0(SALU_CYCLE_1)
	s_or_b32 exec_lo, exec_lo, s1
	global_store_b8 v[0:1], v7, off
.LBB417_2051:
	s_mov_b32 s1, 0
.LBB417_2052:
	s_delay_alu instid0(SALU_CYCLE_1)
	s_and_b32 vcc_lo, exec_lo, s1
	s_cbranch_vccz .LBB417_2092
; %bb.2053:
	v_cmp_lt_i16_e32 vcc_lo, 22, v5
	s_mov_b32 s1, -1
	s_cbranch_vccz .LBB417_2085
; %bb.2054:
	v_cmp_gt_i16_e32 vcc_lo, 24, v5
	s_cbranch_vccnz .LBB417_2074
; %bb.2055:
	v_cmp_lt_i16_e32 vcc_lo, 24, v5
	s_cbranch_vccz .LBB417_2063
; %bb.2056:
	v_dual_mov_b32 v7, 0x80 :: v_dual_lshlrev_b32 v6, 16, v2
	s_mov_b32 s1, exec_lo
	s_delay_alu instid0(VALU_DEP_1) | instskip(NEXT) | instid1(VALU_DEP_1)
	v_and_b32_e32 v4, 0x7fffffff, v6
	v_cmpx_gt_u32_e32 0x47800000, v4
	s_cbranch_execz .LBB417_2062
; %bb.2057:
	v_and_b32_e32 v3, 0xffff, v2
	v_cmp_lt_u32_e32 vcc_lo, 0x37ffffff, v4
	s_mov_b32 s3, 0
                                        ; implicit-def: $vgpr4
	s_and_saveexec_b32 s4, vcc_lo
	s_delay_alu instid0(SALU_CYCLE_1)
	s_xor_b32 s4, exec_lo, s4
	s_cbranch_execz .LBB417_2171
; %bb.2058:
	v_bfe_u32 v4, v3, 5, 1
	s_mov_b32 s3, exec_lo
	s_delay_alu instid0(VALU_DEP_1) | instskip(NEXT) | instid1(VALU_DEP_1)
	v_add3_u32 v4, v6, v4, 0x88fffff
                                        ; implicit-def: $vgpr6
	v_lshrrev_b32_e32 v4, 21, v4
	s_or_saveexec_b32 s4, s4
                                        ; implicit-def: $sgpr5
	s_delay_alu instid0(SALU_CYCLE_1)
	s_xor_b32 exec_lo, exec_lo, s4
	s_cbranch_execnz .LBB417_2172
.LBB417_2059:
	s_or_b32 exec_lo, exec_lo, s4
	v_mov_b32_e32 v7, s5
	s_and_saveexec_b32 s4, s3
.LBB417_2060:
	v_lshrrev_b32_e32 v3, 8, v3
	s_delay_alu instid0(VALU_DEP_1)
	v_and_or_b32 v7, 0x80, v3, v4
.LBB417_2061:
	s_or_b32 exec_lo, exec_lo, s4
.LBB417_2062:
	s_delay_alu instid0(SALU_CYCLE_1)
	s_or_b32 exec_lo, exec_lo, s1
	s_mov_b32 s1, 0
	global_store_b8 v[0:1], v7, off
.LBB417_2063:
	s_and_b32 vcc_lo, exec_lo, s1
	s_cbranch_vccz .LBB417_2073
; %bb.2064:
	v_lshlrev_b32_e32 v6, 16, v2
	v_and_b32_e32 v3, 0xffff, v2
	s_mov_b32 s1, exec_lo
                                        ; implicit-def: $vgpr4
	s_delay_alu instid0(VALU_DEP_2) | instskip(NEXT) | instid1(VALU_DEP_1)
	v_and_b32_e32 v7, 0x7fffffff, v6
	v_cmpx_gt_u32_e32 0x43f00000, v7
	s_xor_b32 s1, exec_lo, s1
	s_cbranch_execz .LBB417_2070
; %bb.2065:
	s_mov_b32 s3, exec_lo
                                        ; implicit-def: $vgpr4
	v_cmpx_lt_u32_e32 0x3c7fffff, v7
	s_xor_b32 s3, exec_lo, s3
; %bb.2066:
	v_bfe_u32 v4, v3, 4, 1
	s_delay_alu instid0(VALU_DEP_1) | instskip(NEXT) | instid1(VALU_DEP_1)
	v_add3_u32 v4, v6, v4, 0x407ffff
	v_and_b32_e32 v6, 0xff00000, v4
	v_lshrrev_b32_e32 v4, 20, v4
	s_delay_alu instid0(VALU_DEP_2) | instskip(NEXT) | instid1(VALU_DEP_2)
	v_cmp_ne_u32_e32 vcc_lo, 0x7f00000, v6
                                        ; implicit-def: $vgpr6
	v_cndmask_b32_e32 v4, 0x7e, v4, vcc_lo
; %bb.2067:
	s_and_not1_saveexec_b32 s3, s3
; %bb.2068:
	v_add_f32_e64 v4, 0x46800000, |v6|
; %bb.2069:
	s_or_b32 exec_lo, exec_lo, s3
                                        ; implicit-def: $vgpr7
.LBB417_2070:
	s_and_not1_saveexec_b32 s1, s1
; %bb.2071:
	v_mov_b32_e32 v4, 0x7f
	v_cmp_lt_u32_e32 vcc_lo, 0x7f800000, v7
	s_delay_alu instid0(VALU_DEP_2)
	v_cndmask_b32_e32 v4, 0x7e, v4, vcc_lo
; %bb.2072:
	s_or_b32 exec_lo, exec_lo, s1
	v_lshrrev_b32_e32 v3, 8, v3
	s_delay_alu instid0(VALU_DEP_1)
	v_and_or_b32 v3, 0x80, v3, v4
	global_store_b8 v[0:1], v3, off
.LBB417_2073:
	s_mov_b32 s1, 0
.LBB417_2074:
	s_delay_alu instid0(SALU_CYCLE_1)
	s_and_not1_b32 vcc_lo, exec_lo, s1
	s_cbranch_vccnz .LBB417_2084
; %bb.2075:
	v_lshlrev_b32_e32 v6, 16, v2
	v_and_b32_e32 v3, 0xffff, v2
	s_mov_b32 s1, exec_lo
                                        ; implicit-def: $vgpr4
	s_delay_alu instid0(VALU_DEP_2) | instskip(NEXT) | instid1(VALU_DEP_1)
	v_and_b32_e32 v7, 0x7fffffff, v6
	v_cmpx_gt_u32_e32 0x47800000, v7
	s_xor_b32 s1, exec_lo, s1
	s_cbranch_execz .LBB417_2081
; %bb.2076:
	s_mov_b32 s3, exec_lo
                                        ; implicit-def: $vgpr4
	v_cmpx_lt_u32_e32 0x387fffff, v7
	s_xor_b32 s3, exec_lo, s3
; %bb.2077:
	v_bfe_u32 v4, v3, 5, 1
	s_delay_alu instid0(VALU_DEP_1) | instskip(NEXT) | instid1(VALU_DEP_1)
	v_add3_u32 v4, v6, v4, 0x80fffff
                                        ; implicit-def: $vgpr6
	v_lshrrev_b32_e32 v4, 21, v4
; %bb.2078:
	s_and_not1_saveexec_b32 s3, s3
; %bb.2079:
	v_add_f32_e64 v4, 0x43000000, |v6|
; %bb.2080:
	s_or_b32 exec_lo, exec_lo, s3
                                        ; implicit-def: $vgpr7
.LBB417_2081:
	s_and_not1_saveexec_b32 s1, s1
; %bb.2082:
	v_mov_b32_e32 v4, 0x7f
	v_cmp_lt_u32_e32 vcc_lo, 0x7f800000, v7
	s_delay_alu instid0(VALU_DEP_2)
	v_cndmask_b32_e32 v4, 0x7c, v4, vcc_lo
; %bb.2083:
	s_or_b32 exec_lo, exec_lo, s1
	v_lshrrev_b32_e32 v3, 8, v3
	s_delay_alu instid0(VALU_DEP_1)
	v_and_or_b32 v3, 0x80, v3, v4
	global_store_b8 v[0:1], v3, off
.LBB417_2084:
	s_mov_b32 s1, 0
.LBB417_2085:
	s_delay_alu instid0(SALU_CYCLE_1)
	s_and_not1_b32 vcc_lo, exec_lo, s1
	s_cbranch_vccnz .LBB417_2092
; %bb.2086:
	v_cmp_lt_i16_e32 vcc_lo, 14, v5
	s_mov_b32 s1, -1
	s_cbranch_vccz .LBB417_2090
; %bb.2087:
	v_cmp_eq_u16_e32 vcc_lo, 15, v5
	s_mov_b32 s0, -1
	s_cbranch_vccz .LBB417_2089
; %bb.2088:
	s_mov_b32 s0, 0
	global_store_b16 v[0:1], v2, off
.LBB417_2089:
	s_mov_b32 s1, 0
.LBB417_2090:
	s_delay_alu instid0(SALU_CYCLE_1)
	s_and_b32 vcc_lo, exec_lo, s1
	s_cbranch_vccz .LBB417_2092
; %bb.2091:
	v_cmp_ne_u16_e64 s0, 11, v5
	s_mov_b32 s7, -1
.LBB417_2092:
	s_delay_alu instid0(VALU_DEP_1)
	s_and_b32 vcc_lo, exec_lo, s0
	s_cbranch_vccnz .LBB417_2169
.LBB417_2093:
	s_mov_b32 s0, 0
	s_branch .LBB417_2095
.LBB417_2094:
	s_mov_b32 s0, 0
	s_mov_b32 s7, 0
                                        ; implicit-def: $vgpr0_vgpr1
                                        ; implicit-def: $vgpr5
                                        ; implicit-def: $vgpr2
.LBB417_2095:
	s_and_b32 s3, s0, exec_lo
	s_and_not1_b32 s0, s8, exec_lo
	s_and_b32 s1, s2, exec_lo
	s_and_b32 s26, s7, exec_lo
	s_or_b32 s8, s0, s1
.LBB417_2096:
	s_or_b32 exec_lo, exec_lo, s9
	s_and_saveexec_b32 s0, s8
	s_cbranch_execz .LBB417_2099
; %bb.2097:
	; divergent unreachable
	s_or_b32 exec_lo, exec_lo, s0
	s_and_saveexec_b32 s0, s26
	s_delay_alu instid0(SALU_CYCLE_1)
	s_xor_b32 s0, exec_lo, s0
	s_cbranch_execnz .LBB417_2100
.LBB417_2098:
	s_or_b32 exec_lo, exec_lo, s0
	s_and_saveexec_b32 s0, s3
	s_cbranch_execnz .LBB417_2101
	s_branch .LBB417_2138
.LBB417_2099:
	s_or_b32 exec_lo, exec_lo, s0
	s_and_saveexec_b32 s0, s26
	s_delay_alu instid0(SALU_CYCLE_1)
	s_xor_b32 s0, exec_lo, s0
	s_cbranch_execz .LBB417_2098
.LBB417_2100:
	s_waitcnt vmcnt(0)
	v_and_b32_e32 v3, 0x7fff, v2
	s_delay_alu instid0(VALU_DEP_1)
	v_cmp_ne_u16_e32 vcc_lo, 0, v3
	v_cndmask_b32_e64 v3, 0, 1, vcc_lo
	global_store_b8 v[0:1], v3, off
	s_or_b32 exec_lo, exec_lo, s0
	s_and_saveexec_b32 s0, s3
	s_cbranch_execz .LBB417_2138
.LBB417_2101:
	s_waitcnt vmcnt(0)
	v_cmp_gt_i16_e32 vcc_lo, 5, v5
	s_mov_b32 s0, -1
	s_cbranch_vccnz .LBB417_2122
; %bb.2102:
	v_cmp_gt_i16_e32 vcc_lo, 8, v5
	s_cbranch_vccnz .LBB417_2112
; %bb.2103:
	v_cmp_gt_i16_e32 vcc_lo, 9, v5
	s_cbranch_vccnz .LBB417_2109
; %bb.2104:
	v_cmp_lt_i16_e32 vcc_lo, 9, v5
	s_cbranch_vccz .LBB417_2106
; %bb.2105:
	v_dual_mov_b32 v8, 0 :: v_dual_lshlrev_b32 v3, 16, v2
	s_mov_b32 s0, 0
	s_delay_alu instid0(VALU_DEP_1) | instskip(NEXT) | instid1(VALU_DEP_2)
	v_cvt_f64_f32_e32 v[6:7], v3
	v_mov_b32_e32 v9, v8
	global_store_b128 v[0:1], v[6:9], off
.LBB417_2106:
	s_and_not1_b32 vcc_lo, exec_lo, s0
	s_cbranch_vccnz .LBB417_2108
; %bb.2107:
	v_dual_mov_b32 v4, 0 :: v_dual_lshlrev_b32 v3, 16, v2
	global_store_b64 v[0:1], v[3:4], off
.LBB417_2108:
	s_mov_b32 s0, 0
.LBB417_2109:
	s_delay_alu instid0(SALU_CYCLE_1)
	s_and_not1_b32 vcc_lo, exec_lo, s0
	s_cbranch_vccnz .LBB417_2111
; %bb.2110:
	v_lshlrev_b32_e32 v3, 16, v2
	s_delay_alu instid0(VALU_DEP_1) | instskip(NEXT) | instid1(VALU_DEP_1)
	v_cvt_f16_f32_e32 v3, v3
	v_and_b32_e32 v3, 0xffff, v3
	global_store_b32 v[0:1], v3, off
.LBB417_2111:
	s_mov_b32 s0, 0
.LBB417_2112:
	s_delay_alu instid0(SALU_CYCLE_1)
	s_and_not1_b32 vcc_lo, exec_lo, s0
	s_cbranch_vccnz .LBB417_2121
; %bb.2113:
	v_cmp_gt_i16_e32 vcc_lo, 6, v5
	s_mov_b32 s0, -1
	s_cbranch_vccnz .LBB417_2119
; %bb.2114:
	v_cmp_lt_i16_e32 vcc_lo, 6, v5
	s_cbranch_vccz .LBB417_2116
; %bb.2115:
	v_lshlrev_b32_e32 v3, 16, v2
	s_mov_b32 s0, 0
	s_delay_alu instid0(VALU_DEP_1)
	v_cvt_f64_f32_e32 v[3:4], v3
	global_store_b64 v[0:1], v[3:4], off
.LBB417_2116:
	s_and_not1_b32 vcc_lo, exec_lo, s0
	s_cbranch_vccnz .LBB417_2118
; %bb.2117:
	v_lshlrev_b32_e32 v3, 16, v2
	global_store_b32 v[0:1], v3, off
.LBB417_2118:
	s_mov_b32 s0, 0
.LBB417_2119:
	s_delay_alu instid0(SALU_CYCLE_1)
	s_and_not1_b32 vcc_lo, exec_lo, s0
	s_cbranch_vccnz .LBB417_2121
; %bb.2120:
	v_lshlrev_b32_e32 v3, 16, v2
	s_delay_alu instid0(VALU_DEP_1)
	v_cvt_f16_f32_e32 v3, v3
	global_store_b16 v[0:1], v3, off
.LBB417_2121:
	s_mov_b32 s0, 0
.LBB417_2122:
	s_delay_alu instid0(SALU_CYCLE_1)
	s_and_not1_b32 vcc_lo, exec_lo, s0
	s_cbranch_vccnz .LBB417_2138
; %bb.2123:
	v_cmp_gt_i16_e32 vcc_lo, 2, v5
	s_mov_b32 s0, -1
	s_cbranch_vccnz .LBB417_2133
; %bb.2124:
	v_cmp_gt_i16_e32 vcc_lo, 3, v5
	s_cbranch_vccnz .LBB417_2130
; %bb.2125:
	v_cmp_lt_i16_e32 vcc_lo, 3, v5
	s_cbranch_vccz .LBB417_2127
; %bb.2126:
	v_lshlrev_b32_e32 v3, 16, v2
	s_mov_b32 s0, 0
	s_delay_alu instid0(VALU_DEP_1) | instskip(NEXT) | instid1(VALU_DEP_1)
	v_trunc_f32_e32 v3, v3
	v_mul_f32_e64 v4, 0x2f800000, |v3|
	v_ashrrev_i32_e32 v7, 31, v3
	s_delay_alu instid0(VALU_DEP_2) | instskip(NEXT) | instid1(VALU_DEP_1)
	v_floor_f32_e32 v4, v4
	v_fma_f32 v6, 0xcf800000, v4, |v3|
	v_cvt_u32_f32_e32 v4, v4
	s_delay_alu instid0(VALU_DEP_2) | instskip(NEXT) | instid1(VALU_DEP_2)
	v_cvt_u32_f32_e32 v3, v6
	v_xor_b32_e32 v4, v4, v7
	s_delay_alu instid0(VALU_DEP_2) | instskip(NEXT) | instid1(VALU_DEP_1)
	v_xor_b32_e32 v3, v3, v7
	v_sub_co_u32 v3, vcc_lo, v3, v7
	s_delay_alu instid0(VALU_DEP_3)
	v_sub_co_ci_u32_e32 v4, vcc_lo, v4, v7, vcc_lo
	global_store_b64 v[0:1], v[3:4], off
.LBB417_2127:
	s_and_not1_b32 vcc_lo, exec_lo, s0
	s_cbranch_vccnz .LBB417_2129
; %bb.2128:
	v_lshlrev_b32_e32 v3, 16, v2
	s_delay_alu instid0(VALU_DEP_1)
	v_cvt_i32_f32_e32 v3, v3
	global_store_b32 v[0:1], v3, off
.LBB417_2129:
	s_mov_b32 s0, 0
.LBB417_2130:
	s_delay_alu instid0(SALU_CYCLE_1)
	s_and_not1_b32 vcc_lo, exec_lo, s0
	s_cbranch_vccnz .LBB417_2132
; %bb.2131:
	v_lshlrev_b32_e32 v3, 16, v2
	s_delay_alu instid0(VALU_DEP_1)
	v_cvt_i32_f32_e32 v3, v3
	global_store_b16 v[0:1], v3, off
.LBB417_2132:
	s_mov_b32 s0, 0
.LBB417_2133:
	s_delay_alu instid0(SALU_CYCLE_1)
	s_and_not1_b32 vcc_lo, exec_lo, s0
	s_cbranch_vccnz .LBB417_2138
; %bb.2134:
	v_cmp_lt_i16_e32 vcc_lo, 0, v5
	v_lshlrev_b32_e32 v2, 16, v2
	s_mov_b32 s0, -1
	s_cbranch_vccz .LBB417_2136
; %bb.2135:
	s_delay_alu instid0(VALU_DEP_1)
	v_cvt_i32_f32_e32 v3, v2
	s_mov_b32 s0, 0
	global_store_b8 v[0:1], v3, off
.LBB417_2136:
	s_and_not1_b32 vcc_lo, exec_lo, s0
	s_cbranch_vccnz .LBB417_2138
; %bb.2137:
	v_trunc_f32_e32 v2, v2
	s_delay_alu instid0(VALU_DEP_1) | instskip(NEXT) | instid1(VALU_DEP_1)
	v_mul_f32_e64 v3, 0x2f800000, |v2|
	v_floor_f32_e32 v3, v3
	s_delay_alu instid0(VALU_DEP_1) | instskip(SKIP_1) | instid1(VALU_DEP_2)
	v_fma_f32 v3, 0xcf800000, v3, |v2|
	v_ashrrev_i32_e32 v2, 31, v2
	v_cvt_u32_f32_e32 v3, v3
	s_delay_alu instid0(VALU_DEP_1) | instskip(NEXT) | instid1(VALU_DEP_1)
	v_xor_b32_e32 v3, v3, v2
	v_sub_nc_u32_e32 v2, v3, v2
	global_store_b8 v[0:1], v2, off
	s_nop 0
	s_sendmsg sendmsg(MSG_DEALLOC_VGPRS)
	s_endpgm
.LBB417_2138:
	s_nop 0
	s_sendmsg sendmsg(MSG_DEALLOC_VGPRS)
	s_endpgm
.LBB417_2139:
	s_cbranch_execnz .LBB417_2143
; %bb.2140:
	s_or_b32 s2, s2, exec_lo
                                        ; implicit-def: $vgpr6
	s_cbranch_execz .LBB417_1612
	s_branch .LBB417_1613
.LBB417_2141:
	s_or_saveexec_b32 s11, s11
                                        ; implicit-def: $sgpr12
	s_delay_alu instid0(SALU_CYCLE_1)
	s_xor_b32 exec_lo, exec_lo, s11
	s_cbranch_execz .LBB417_1692
.LBB417_2142:
	v_add_f32_e64 v11, 0x46000000, |v12|
	s_and_not1_b32 s10, s10, exec_lo
	s_mov_b32 s12, 0
	s_delay_alu instid0(VALU_DEP_1) | instskip(NEXT) | instid1(VALU_DEP_1)
	v_and_b32_e32 v11, 0xff, v11
	v_cmp_ne_u32_e32 vcc_lo, 0, v11
	s_and_b32 s13, vcc_lo, exec_lo
	s_delay_alu instid0(SALU_CYCLE_1)
	s_or_b32 s10, s10, s13
	s_or_b32 exec_lo, exec_lo, s11
	v_mov_b32_e32 v13, s12
	s_and_saveexec_b32 s11, s10
	s_cbranch_execnz .LBB417_1693
	s_branch .LBB417_1694
.LBB417_2143:
	s_trap 2
	s_sendmsg_rtn_b32 s0, sendmsg(MSG_RTN_GET_DOORBELL)
	s_mov_b32 ttmp2, m0
	s_waitcnt lgkmcnt(0)
	s_and_b32 s0, s0, 0x3ff
	s_delay_alu instid0(SALU_CYCLE_1) | instskip(NEXT) | instid1(SALU_CYCLE_1)
	s_bitset1_b32 s0, 10
	s_mov_b32 m0, s0
	s_sendmsg sendmsg(MSG_INTERRUPT)
	s_mov_b32 m0, ttmp2
.LBB417_2144:                           ; =>This Inner Loop Header: Depth=1
	s_sethalt 5
	s_branch .LBB417_2144
.LBB417_2145:
	s_cbranch_execnz .LBB417_2151
; %bb.2146:
	s_or_b32 s2, s2, exec_lo
	s_cbranch_execz .LBB417_1740
	s_branch .LBB417_1741
.LBB417_2147:
	s_or_saveexec_b32 s10, s10
                                        ; implicit-def: $sgpr11
	s_delay_alu instid0(SALU_CYCLE_1)
	s_xor_b32 exec_lo, exec_lo, s10
	s_cbranch_execz .LBB417_1705
.LBB417_2148:
	v_add_f32_e64 v11, 0x42800000, |v12|
	s_and_not1_b32 s7, s7, exec_lo
	s_mov_b32 s11, 0
	s_delay_alu instid0(VALU_DEP_1) | instskip(NEXT) | instid1(VALU_DEP_1)
	v_and_b32_e32 v11, 0xff, v11
	v_cmp_ne_u32_e32 vcc_lo, 0, v11
	s_and_b32 s12, vcc_lo, exec_lo
	s_delay_alu instid0(SALU_CYCLE_1)
	s_or_b32 s7, s7, s12
	s_or_b32 exec_lo, exec_lo, s10
	v_mov_b32_e32 v13, s11
	s_and_saveexec_b32 s10, s7
	s_cbranch_execnz .LBB417_1706
	s_branch .LBB417_1707
.LBB417_2149:
	s_or_saveexec_b32 s11, s11
                                        ; implicit-def: $sgpr12
	s_delay_alu instid0(SALU_CYCLE_1)
	s_xor_b32 exec_lo, exec_lo, s11
	s_cbranch_execz .LBB417_1810
.LBB417_2150:
	v_add_f32_e64 v9, 0x46000000, |v10|
	s_and_not1_b32 s10, s10, exec_lo
	s_mov_b32 s12, 0
	s_delay_alu instid0(VALU_DEP_1) | instskip(NEXT) | instid1(VALU_DEP_1)
	v_and_b32_e32 v9, 0xff, v9
	v_cmp_ne_u32_e32 vcc_lo, 0, v9
	s_and_b32 s13, vcc_lo, exec_lo
	s_delay_alu instid0(SALU_CYCLE_1)
	s_or_b32 s10, s10, s13
	s_or_b32 exec_lo, exec_lo, s11
	v_mov_b32_e32 v11, s12
	s_and_saveexec_b32 s11, s10
	s_cbranch_execnz .LBB417_1811
	s_branch .LBB417_1812
.LBB417_2151:
	s_trap 2
	s_sendmsg_rtn_b32 s0, sendmsg(MSG_RTN_GET_DOORBELL)
	s_mov_b32 ttmp2, m0
	s_waitcnt lgkmcnt(0)
	s_and_b32 s0, s0, 0x3ff
	s_delay_alu instid0(SALU_CYCLE_1) | instskip(NEXT) | instid1(SALU_CYCLE_1)
	s_bitset1_b32 s0, 10
	s_mov_b32 m0, s0
	s_sendmsg sendmsg(MSG_INTERRUPT)
	s_mov_b32 m0, ttmp2
.LBB417_2152:                           ; =>This Inner Loop Header: Depth=1
	s_sethalt 5
	s_branch .LBB417_2152
.LBB417_2153:
	s_cbranch_execnz .LBB417_2159
; %bb.2154:
	s_or_b32 s2, s2, exec_lo
	s_cbranch_execz .LBB417_1858
	s_branch .LBB417_1859
.LBB417_2155:
	s_or_saveexec_b32 s10, s10
                                        ; implicit-def: $sgpr11
	s_delay_alu instid0(SALU_CYCLE_1)
	s_xor_b32 exec_lo, exec_lo, s10
	s_cbranch_execz .LBB417_1823
.LBB417_2156:
	v_add_f32_e64 v9, 0x42800000, |v10|
	s_and_not1_b32 s7, s7, exec_lo
	s_mov_b32 s11, 0
	s_delay_alu instid0(VALU_DEP_1) | instskip(NEXT) | instid1(VALU_DEP_1)
	v_and_b32_e32 v9, 0xff, v9
	v_cmp_ne_u32_e32 vcc_lo, 0, v9
	s_and_b32 s12, vcc_lo, exec_lo
	s_delay_alu instid0(SALU_CYCLE_1)
	s_or_b32 s7, s7, s12
	s_or_b32 exec_lo, exec_lo, s10
	v_mov_b32_e32 v11, s11
	s_and_saveexec_b32 s10, s7
	s_cbranch_execnz .LBB417_1824
	s_branch .LBB417_1825
.LBB417_2157:
	s_or_saveexec_b32 s11, s11
                                        ; implicit-def: $sgpr12
	s_delay_alu instid0(SALU_CYCLE_1)
	s_xor_b32 exec_lo, exec_lo, s11
	s_cbranch_execz .LBB417_1928
.LBB417_2158:
	v_add_f32_e64 v7, 0x46000000, |v8|
	s_and_not1_b32 s10, s10, exec_lo
	s_mov_b32 s12, 0
	s_delay_alu instid0(VALU_DEP_1) | instskip(NEXT) | instid1(VALU_DEP_1)
	v_and_b32_e32 v7, 0xff, v7
	v_cmp_ne_u32_e32 vcc_lo, 0, v7
	s_and_b32 s13, vcc_lo, exec_lo
	s_delay_alu instid0(SALU_CYCLE_1)
	s_or_b32 s10, s10, s13
	s_or_b32 exec_lo, exec_lo, s11
	v_mov_b32_e32 v9, s12
	s_and_saveexec_b32 s11, s10
	s_cbranch_execnz .LBB417_1929
	s_branch .LBB417_1930
.LBB417_2159:
	s_trap 2
	s_sendmsg_rtn_b32 s0, sendmsg(MSG_RTN_GET_DOORBELL)
	s_mov_b32 ttmp2, m0
	s_waitcnt lgkmcnt(0)
	s_and_b32 s0, s0, 0x3ff
	s_delay_alu instid0(SALU_CYCLE_1) | instskip(NEXT) | instid1(SALU_CYCLE_1)
	s_bitset1_b32 s0, 10
	s_mov_b32 m0, s0
	s_sendmsg sendmsg(MSG_INTERRUPT)
	s_mov_b32 m0, ttmp2
.LBB417_2160:                           ; =>This Inner Loop Header: Depth=1
	s_sethalt 5
	s_branch .LBB417_2160
.LBB417_2161:
	s_cbranch_execnz .LBB417_2167
; %bb.2162:
	s_or_b32 s2, s2, exec_lo
	s_cbranch_execz .LBB417_1976
	s_branch .LBB417_1977
.LBB417_2163:
	s_or_saveexec_b32 s10, s10
                                        ; implicit-def: $sgpr11
	s_delay_alu instid0(SALU_CYCLE_1)
	s_xor_b32 exec_lo, exec_lo, s10
	s_cbranch_execz .LBB417_1941
.LBB417_2164:
	v_add_f32_e64 v7, 0x42800000, |v8|
	s_and_not1_b32 s7, s7, exec_lo
	s_mov_b32 s11, 0
	s_delay_alu instid0(VALU_DEP_1) | instskip(NEXT) | instid1(VALU_DEP_1)
	v_and_b32_e32 v7, 0xff, v7
	v_cmp_ne_u32_e32 vcc_lo, 0, v7
	s_and_b32 s12, vcc_lo, exec_lo
	s_delay_alu instid0(SALU_CYCLE_1)
	s_or_b32 s7, s7, s12
	s_or_b32 exec_lo, exec_lo, s10
	v_mov_b32_e32 v9, s11
	s_and_saveexec_b32 s10, s7
	s_cbranch_execnz .LBB417_1942
	s_branch .LBB417_1943
.LBB417_2165:
	s_or_saveexec_b32 s4, s4
                                        ; implicit-def: $sgpr5
	s_delay_alu instid0(SALU_CYCLE_1)
	s_xor_b32 exec_lo, exec_lo, s4
	s_cbranch_execz .LBB417_2047
.LBB417_2166:
	v_add_f32_e64 v4, 0x46000000, |v6|
	s_and_not1_b32 s3, s3, exec_lo
	s_mov_b32 s5, 0
	s_delay_alu instid0(VALU_DEP_1) | instskip(NEXT) | instid1(VALU_DEP_1)
	v_and_b32_e32 v4, 0xff, v4
	v_cmp_ne_u32_e32 vcc_lo, 0, v4
	s_and_b32 s6, vcc_lo, exec_lo
	s_delay_alu instid0(SALU_CYCLE_1)
	s_or_b32 s3, s3, s6
	s_or_b32 exec_lo, exec_lo, s4
	v_mov_b32_e32 v7, s5
	s_and_saveexec_b32 s4, s3
	s_cbranch_execnz .LBB417_2048
	s_branch .LBB417_2049
.LBB417_2167:
	s_trap 2
	s_sendmsg_rtn_b32 s0, sendmsg(MSG_RTN_GET_DOORBELL)
	s_mov_b32 ttmp2, m0
	s_waitcnt lgkmcnt(0)
	s_and_b32 s0, s0, 0x3ff
	s_delay_alu instid0(SALU_CYCLE_1) | instskip(NEXT) | instid1(SALU_CYCLE_1)
	s_bitset1_b32 s0, 10
	s_mov_b32 m0, s0
	s_sendmsg sendmsg(MSG_INTERRUPT)
	s_mov_b32 m0, ttmp2
.LBB417_2168:                           ; =>This Inner Loop Header: Depth=1
	s_sethalt 5
	s_branch .LBB417_2168
.LBB417_2169:
	s_cbranch_execnz .LBB417_2173
; %bb.2170:
	s_mov_b32 s7, 0
	s_or_b32 s2, s2, exec_lo
	s_branch .LBB417_2093
.LBB417_2171:
	s_or_saveexec_b32 s4, s4
                                        ; implicit-def: $sgpr5
	s_delay_alu instid0(SALU_CYCLE_1)
	s_xor_b32 exec_lo, exec_lo, s4
	s_cbranch_execz .LBB417_2059
.LBB417_2172:
	v_add_f32_e64 v4, 0x42800000, |v6|
	s_and_not1_b32 s3, s3, exec_lo
	s_mov_b32 s5, 0
	s_delay_alu instid0(VALU_DEP_1) | instskip(NEXT) | instid1(VALU_DEP_1)
	v_and_b32_e32 v4, 0xff, v4
	v_cmp_ne_u32_e32 vcc_lo, 0, v4
	s_and_b32 s6, vcc_lo, exec_lo
	s_delay_alu instid0(SALU_CYCLE_1)
	s_or_b32 s3, s3, s6
	s_or_b32 exec_lo, exec_lo, s4
	v_mov_b32_e32 v7, s5
	s_and_saveexec_b32 s4, s3
	s_cbranch_execnz .LBB417_2060
	s_branch .LBB417_2061
.LBB417_2173:
	s_trap 2
	s_sendmsg_rtn_b32 s0, sendmsg(MSG_RTN_GET_DOORBELL)
	s_mov_b32 ttmp2, m0
	s_waitcnt lgkmcnt(0)
	s_and_b32 s0, s0, 0x3ff
	s_delay_alu instid0(SALU_CYCLE_1) | instskip(NEXT) | instid1(SALU_CYCLE_1)
	s_bitset1_b32 s0, 10
	s_mov_b32 m0, s0
	s_sendmsg sendmsg(MSG_INTERRUPT)
	s_mov_b32 m0, ttmp2
.LBB417_2174:                           ; =>This Inner Loop Header: Depth=1
	s_sethalt 5
	s_branch .LBB417_2174
	.section	.rodata,"a",@progbits
	.p2align	6, 0x0
	.amdhsa_kernel _ZN2at6native32elementwise_kernel_manual_unrollILi128ELi4EZNS0_15gpu_kernel_implIZZZNS0_21clamp_min_kernel_cudaERNS_18TensorIteratorBaseERKN3c106ScalarEENKUlvE_clEvENKUlvE7_clEvEUlNS5_8BFloat16EE_EEvS4_RKT_EUlibE0_EEviT1_
		.amdhsa_group_segment_fixed_size 0
		.amdhsa_private_segment_fixed_size 0
		.amdhsa_kernarg_size 360
		.amdhsa_user_sgpr_count 15
		.amdhsa_user_sgpr_dispatch_ptr 0
		.amdhsa_user_sgpr_queue_ptr 0
		.amdhsa_user_sgpr_kernarg_segment_ptr 1
		.amdhsa_user_sgpr_dispatch_id 0
		.amdhsa_user_sgpr_private_segment_size 0
		.amdhsa_wavefront_size32 1
		.amdhsa_uses_dynamic_stack 0
		.amdhsa_enable_private_segment 0
		.amdhsa_system_sgpr_workgroup_id_x 1
		.amdhsa_system_sgpr_workgroup_id_y 0
		.amdhsa_system_sgpr_workgroup_id_z 0
		.amdhsa_system_sgpr_workgroup_info 0
		.amdhsa_system_vgpr_workitem_id 0
		.amdhsa_next_free_vgpr 18
		.amdhsa_next_free_sgpr 72
		.amdhsa_reserve_vcc 1
		.amdhsa_float_round_mode_32 0
		.amdhsa_float_round_mode_16_64 0
		.amdhsa_float_denorm_mode_32 3
		.amdhsa_float_denorm_mode_16_64 3
		.amdhsa_dx10_clamp 1
		.amdhsa_ieee_mode 1
		.amdhsa_fp16_overflow 0
		.amdhsa_workgroup_processor_mode 1
		.amdhsa_memory_ordered 1
		.amdhsa_forward_progress 0
		.amdhsa_shared_vgpr_count 0
		.amdhsa_exception_fp_ieee_invalid_op 0
		.amdhsa_exception_fp_denorm_src 0
		.amdhsa_exception_fp_ieee_div_zero 0
		.amdhsa_exception_fp_ieee_overflow 0
		.amdhsa_exception_fp_ieee_underflow 0
		.amdhsa_exception_fp_ieee_inexact 0
		.amdhsa_exception_int_div_zero 0
	.end_amdhsa_kernel
	.section	.text._ZN2at6native32elementwise_kernel_manual_unrollILi128ELi4EZNS0_15gpu_kernel_implIZZZNS0_21clamp_min_kernel_cudaERNS_18TensorIteratorBaseERKN3c106ScalarEENKUlvE_clEvENKUlvE7_clEvEUlNS5_8BFloat16EE_EEvS4_RKT_EUlibE0_EEviT1_,"axG",@progbits,_ZN2at6native32elementwise_kernel_manual_unrollILi128ELi4EZNS0_15gpu_kernel_implIZZZNS0_21clamp_min_kernel_cudaERNS_18TensorIteratorBaseERKN3c106ScalarEENKUlvE_clEvENKUlvE7_clEvEUlNS5_8BFloat16EE_EEvS4_RKT_EUlibE0_EEviT1_,comdat
.Lfunc_end417:
	.size	_ZN2at6native32elementwise_kernel_manual_unrollILi128ELi4EZNS0_15gpu_kernel_implIZZZNS0_21clamp_min_kernel_cudaERNS_18TensorIteratorBaseERKN3c106ScalarEENKUlvE_clEvENKUlvE7_clEvEUlNS5_8BFloat16EE_EEvS4_RKT_EUlibE0_EEviT1_, .Lfunc_end417-_ZN2at6native32elementwise_kernel_manual_unrollILi128ELi4EZNS0_15gpu_kernel_implIZZZNS0_21clamp_min_kernel_cudaERNS_18TensorIteratorBaseERKN3c106ScalarEENKUlvE_clEvENKUlvE7_clEvEUlNS5_8BFloat16EE_EEvS4_RKT_EUlibE0_EEviT1_
                                        ; -- End function
	.section	.AMDGPU.csdata,"",@progbits
; Kernel info:
; codeLenInByte = 50612
; NumSgprs: 74
; NumVgprs: 18
; ScratchSize: 0
; MemoryBound: 0
; FloatMode: 240
; IeeeMode: 1
; LDSByteSize: 0 bytes/workgroup (compile time only)
; SGPRBlocks: 9
; VGPRBlocks: 2
; NumSGPRsForWavesPerEU: 74
; NumVGPRsForWavesPerEU: 18
; Occupancy: 16
; WaveLimiterHint : 1
; COMPUTE_PGM_RSRC2:SCRATCH_EN: 0
; COMPUTE_PGM_RSRC2:USER_SGPR: 15
; COMPUTE_PGM_RSRC2:TRAP_HANDLER: 0
; COMPUTE_PGM_RSRC2:TGID_X_EN: 1
; COMPUTE_PGM_RSRC2:TGID_Y_EN: 0
; COMPUTE_PGM_RSRC2:TGID_Z_EN: 0
; COMPUTE_PGM_RSRC2:TIDIG_COMP_CNT: 0
	.section	.text._ZN2at6native29vectorized_elementwise_kernelILi16EZZZNS0_21clamp_max_kernel_cudaERNS_18TensorIteratorBaseERKN3c106ScalarEENKUlvE_clEvENKUlvE_clEvEUlhE_St5arrayIPcLm2EEEEviT0_T1_,"axG",@progbits,_ZN2at6native29vectorized_elementwise_kernelILi16EZZZNS0_21clamp_max_kernel_cudaERNS_18TensorIteratorBaseERKN3c106ScalarEENKUlvE_clEvENKUlvE_clEvEUlhE_St5arrayIPcLm2EEEEviT0_T1_,comdat
	.globl	_ZN2at6native29vectorized_elementwise_kernelILi16EZZZNS0_21clamp_max_kernel_cudaERNS_18TensorIteratorBaseERKN3c106ScalarEENKUlvE_clEvENKUlvE_clEvEUlhE_St5arrayIPcLm2EEEEviT0_T1_ ; -- Begin function _ZN2at6native29vectorized_elementwise_kernelILi16EZZZNS0_21clamp_max_kernel_cudaERNS_18TensorIteratorBaseERKN3c106ScalarEENKUlvE_clEvENKUlvE_clEvEUlhE_St5arrayIPcLm2EEEEviT0_T1_
	.p2align	8
	.type	_ZN2at6native29vectorized_elementwise_kernelILi16EZZZNS0_21clamp_max_kernel_cudaERNS_18TensorIteratorBaseERKN3c106ScalarEENKUlvE_clEvENKUlvE_clEvEUlhE_St5arrayIPcLm2EEEEviT0_T1_,@function
_ZN2at6native29vectorized_elementwise_kernelILi16EZZZNS0_21clamp_max_kernel_cudaERNS_18TensorIteratorBaseERKN3c106ScalarEENKUlvE_clEvENKUlvE_clEvEUlhE_St5arrayIPcLm2EEEEviT0_T1_: ; @_ZN2at6native29vectorized_elementwise_kernelILi16EZZZNS0_21clamp_max_kernel_cudaERNS_18TensorIteratorBaseERKN3c106ScalarEENKUlvE_clEvENKUlvE_clEvEUlhE_St5arrayIPcLm2EEEEviT0_T1_
; %bb.0:
	s_clause 0x1
	s_load_b64 s[2:3], s[0:1], 0x0
	s_load_b128 s[4:7], s[0:1], 0x8
	s_lshl_b32 s1, s15, 12
	s_mov_b32 s0, -1
	s_waitcnt lgkmcnt(0)
	v_and_b32_e64 v1, 0xff, s3
	s_sub_i32 s2, s2, s1
	s_delay_alu instid0(SALU_CYCLE_1)
	s_cmpk_gt_i32 s2, 0xfff
	s_cbranch_scc0 .LBB418_2
; %bb.1:
	v_lshlrev_b32_e32 v6, 4, v0
	s_ashr_i32 s0, s1, 31
	s_add_u32 s8, s6, s1
	s_addc_u32 s9, s7, s0
	global_load_b128 v[2:5], v6, s[8:9]
	s_add_u32 s8, s4, s1
	s_addc_u32 s9, s5, s0
	s_mov_b32 s0, 0
	s_waitcnt vmcnt(0)
	v_lshrrev_b32_e32 v8, 8, v2
	v_lshrrev_b32_e32 v11, 8, v3
	;; [unrolled: 1-line block ×4, first 2 shown]
	v_and_b32_e32 v7, 0xff, v2
	v_lshrrev_b32_e32 v9, 16, v2
	v_lshrrev_b32_e32 v2, 24, v2
	v_and_b32_e32 v10, 0xff, v3
	v_lshrrev_b32_e32 v12, 16, v3
	v_lshrrev_b32_e32 v3, 24, v3
	;; [unrolled: 3-line block ×4, first 2 shown]
	v_and_b32_e32 v8, 0xff, v8
	v_and_b32_e32 v11, 0xff, v11
	;; [unrolled: 1-line block ×8, first 2 shown]
	v_min_u16 v2, v2, v1
	v_min_u16 v3, v3, v1
	;; [unrolled: 1-line block ×16, first 2 shown]
	v_lshlrev_b16 v5, 8, v5
	v_lshlrev_b16 v4, 8, v4
	;; [unrolled: 1-line block ×8, first 2 shown]
	v_or_b32_e32 v5, v18, v5
	v_or_b32_e32 v4, v15, v4
	;; [unrolled: 1-line block ×8, first 2 shown]
	v_lshlrev_b32_e32 v5, 16, v5
	v_lshlrev_b32_e32 v4, 16, v4
	;; [unrolled: 1-line block ×4, first 2 shown]
	v_and_b32_e32 v8, 0xffff, v9
	v_and_b32_e32 v9, 0xffff, v12
	;; [unrolled: 1-line block ×4, first 2 shown]
	s_delay_alu instid0(VALU_DEP_4) | instskip(NEXT) | instid1(VALU_DEP_4)
	v_or_b32_e32 v5, v8, v5
	v_or_b32_e32 v4, v9, v4
	s_delay_alu instid0(VALU_DEP_4) | instskip(NEXT) | instid1(VALU_DEP_4)
	v_or_b32_e32 v3, v10, v3
	v_or_b32_e32 v2, v7, v2
	global_store_b128 v6, v[2:5], s[8:9]
.LBB418_2:
	s_and_not1_b32 vcc_lo, exec_lo, s0
	s_cbranch_vccnz .LBB418_52
; %bb.3:
	v_cmp_gt_i32_e32 vcc_lo, s2, v0
	v_dual_mov_b32 v5, 0 :: v_dual_mov_b32 v6, 0
	v_or_b32_e32 v2, s1, v0
	v_or_b32_e32 v3, 0x100, v0
	v_mov_b32_e32 v11, v0
	s_and_saveexec_b32 s0, vcc_lo
	s_cbranch_execz .LBB418_5
; %bb.4:
	global_load_u8 v6, v2, s[6:7]
	v_or_b32_e32 v11, 0x100, v0
.LBB418_5:
	s_or_b32 exec_lo, exec_lo, s0
	s_delay_alu instid0(SALU_CYCLE_1) | instskip(NEXT) | instid1(VALU_DEP_1)
	s_mov_b32 s3, exec_lo
	v_cmpx_gt_i32_e64 s2, v11
	s_cbranch_execz .LBB418_7
; %bb.6:
	v_add_nc_u32_e32 v4, s1, v11
	v_add_nc_u32_e32 v11, 0x100, v11
	global_load_u8 v5, v4, s[6:7]
.LBB418_7:
	s_or_b32 exec_lo, exec_lo, s3
	v_dual_mov_b32 v9, 0 :: v_dual_mov_b32 v12, 0
	s_mov_b32 s3, exec_lo
	v_cmpx_gt_i32_e64 s2, v11
	s_cbranch_execz .LBB418_9
; %bb.8:
	v_add_nc_u32_e32 v4, s1, v11
	v_add_nc_u32_e32 v11, 0x100, v11
	global_load_u8 v12, v4, s[6:7]
.LBB418_9:
	s_or_b32 exec_lo, exec_lo, s3
	s_delay_alu instid0(SALU_CYCLE_1)
	s_mov_b32 s3, exec_lo
	v_cmpx_gt_i32_e64 s2, v11
	s_cbranch_execz .LBB418_11
; %bb.10:
	v_add_nc_u32_e32 v4, s1, v11
	v_add_nc_u32_e32 v11, 0x100, v11
	global_load_u8 v9, v4, s[6:7]
.LBB418_11:
	s_or_b32 exec_lo, exec_lo, s3
	v_dual_mov_b32 v14, 0 :: v_dual_mov_b32 v15, 0
	s_mov_b32 s3, exec_lo
	v_cmpx_gt_i32_e64 s2, v11
	s_cbranch_execz .LBB418_13
; %bb.12:
	v_add_nc_u32_e32 v4, s1, v11
	v_add_nc_u32_e32 v11, 0x100, v11
	global_load_u8 v15, v4, s[6:7]
.LBB418_13:
	s_or_b32 exec_lo, exec_lo, s3
	s_delay_alu instid0(SALU_CYCLE_1)
	s_mov_b32 s3, exec_lo
	v_cmpx_gt_i32_e64 s2, v11
	s_cbranch_execz .LBB418_15
; %bb.14:
	v_add_nc_u32_e32 v4, s1, v11
	v_add_nc_u32_e32 v11, 0x100, v11
	global_load_u8 v14, v4, s[6:7]
.LBB418_15:
	s_or_b32 exec_lo, exec_lo, s3
	v_mov_b32_e32 v4, 0
	v_mov_b32_e32 v16, 0
	s_mov_b32 s3, exec_lo
	v_cmpx_gt_i32_e64 s2, v11
	s_cbranch_execz .LBB418_17
; %bb.16:
	v_add_nc_u32_e32 v7, s1, v11
	v_add_nc_u32_e32 v11, 0x100, v11
	global_load_u8 v16, v7, s[6:7]
.LBB418_17:
	s_or_b32 exec_lo, exec_lo, s3
	s_delay_alu instid0(SALU_CYCLE_1)
	s_mov_b32 s3, exec_lo
	v_cmpx_gt_i32_e64 s2, v11
	s_cbranch_execz .LBB418_19
; %bb.18:
	v_add_nc_u32_e32 v4, s1, v11
	v_add_nc_u32_e32 v11, 0x100, v11
	global_load_u8 v4, v4, s[6:7]
.LBB418_19:
	s_or_b32 exec_lo, exec_lo, s3
	v_dual_mov_b32 v10, 0 :: v_dual_mov_b32 v7, 0
	s_mov_b32 s3, exec_lo
	v_cmpx_gt_i32_e64 s2, v11
	s_cbranch_execz .LBB418_21
; %bb.20:
	v_add_nc_u32_e32 v7, s1, v11
	v_add_nc_u32_e32 v11, 0x100, v11
	global_load_u8 v7, v7, s[6:7]
.LBB418_21:
	s_or_b32 exec_lo, exec_lo, s3
	s_delay_alu instid0(SALU_CYCLE_1)
	s_mov_b32 s3, exec_lo
	v_cmpx_gt_i32_e64 s2, v11
	s_cbranch_execz .LBB418_23
; %bb.22:
	v_add_nc_u32_e32 v8, s1, v11
	v_add_nc_u32_e32 v11, 0x100, v11
	global_load_u8 v10, v8, s[6:7]
.LBB418_23:
	s_or_b32 exec_lo, exec_lo, s3
	v_dual_mov_b32 v8, 0 :: v_dual_mov_b32 v13, 0
	s_mov_b32 s3, exec_lo
	v_cmpx_gt_i32_e64 s2, v11
	s_cbranch_execz .LBB418_25
; %bb.24:
	v_add_nc_u32_e32 v13, s1, v11
	v_add_nc_u32_e32 v11, 0x100, v11
	global_load_u8 v13, v13, s[6:7]
.LBB418_25:
	s_or_b32 exec_lo, exec_lo, s3
	s_delay_alu instid0(SALU_CYCLE_1)
	s_mov_b32 s3, exec_lo
	v_cmpx_gt_i32_e64 s2, v11
	s_cbranch_execz .LBB418_27
; %bb.26:
	v_add_nc_u32_e32 v8, s1, v11
	v_add_nc_u32_e32 v11, 0x100, v11
	global_load_u8 v8, v8, s[6:7]
.LBB418_27:
	s_or_b32 exec_lo, exec_lo, s3
	v_mov_b32_e32 v18, 0
	v_mov_b32_e32 v20, 0
	s_mov_b32 s3, exec_lo
	v_cmpx_gt_i32_e64 s2, v11
	s_cbranch_execz .LBB418_29
; %bb.28:
	v_add_nc_u32_e32 v17, s1, v11
	v_add_nc_u32_e32 v11, 0x100, v11
	global_load_u8 v20, v17, s[6:7]
.LBB418_29:
	s_or_b32 exec_lo, exec_lo, s3
	s_delay_alu instid0(SALU_CYCLE_1)
	s_mov_b32 s3, exec_lo
	v_cmpx_gt_i32_e64 s2, v11
	s_cbranch_execz .LBB418_31
; %bb.30:
	v_add_nc_u32_e32 v17, s1, v11
	v_add_nc_u32_e32 v11, 0x100, v11
	global_load_u8 v18, v17, s[6:7]
.LBB418_31:
	s_or_b32 exec_lo, exec_lo, s3
	v_mov_b32_e32 v17, 0
	v_mov_b32_e32 v19, 0
	s_mov_b32 s3, exec_lo
	v_cmpx_gt_i32_e64 s2, v11
	s_cbranch_execz .LBB418_33
; %bb.32:
	v_add_nc_u32_e32 v19, s1, v11
	v_add_nc_u32_e32 v11, 0x100, v11
	global_load_u8 v19, v19, s[6:7]
.LBB418_33:
	s_or_b32 exec_lo, exec_lo, s3
	s_delay_alu instid0(SALU_CYCLE_1)
	s_mov_b32 s3, exec_lo
	v_cmpx_gt_i32_e64 s2, v11
	s_cbranch_execz .LBB418_35
; %bb.34:
	v_add_nc_u32_e32 v11, s1, v11
	global_load_u8 v17, v11, s[6:7]
.LBB418_35:
	s_or_b32 exec_lo, exec_lo, s3
	s_waitcnt vmcnt(0)
	v_and_b32_e32 v5, 0xff, v5
	v_and_b32_e32 v6, 0xff, v6
	;; [unrolled: 1-line block ×3, first 2 shown]
	v_or_b32_e32 v21, 0x400, v0
	v_and_b32_e32 v12, 0xff, v12
	v_min_u16 v5, v5, v1
	v_min_u16 v6, v6, v1
	;; [unrolled: 1-line block ×3, first 2 shown]
	v_and_b32_e32 v14, 0xff, v14
	v_cmp_gt_i32_e64 s0, s2, v21
	v_lshlrev_b16 v5, 8, v5
	v_min_u16 v12, v12, v1
	v_and_b32_e32 v11, 0xffff, v11
	v_min_u16 v14, v14, v1
	v_or_b32_e32 v15, 0x200, v0
	v_or_b32_e32 v5, v6, v5
	v_and_b32_e32 v6, 0xffff, v6
	v_cndmask_b32_e64 v11, 0, v11, s0
	v_cmp_gt_i32_e64 s0, s2, v3
	v_lshlrev_b16 v14, 8, v14
	v_and_b32_e32 v5, 0xffff, v5
	v_lshlrev_b32_e32 v12, 16, v12
	v_and_b32_e32 v21, 0xff, v11
	v_or_b32_e32 v22, 0x500, v0
	v_and_b32_e32 v18, 0xff, v18
	v_cndmask_b32_e64 v5, v6, v5, s0
	v_and_b32_e32 v6, 0xff, v16
	v_or_b32_e32 v14, v21, v14
	v_and_b32_e32 v16, 0xff, v20
	v_cmp_gt_i32_e64 s0, s2, v15
	v_or_b32_e32 v12, v5, v12
	v_or_b32_e32 v20, 0xc00, v0
	v_and_b32_e32 v14, 0xffff, v14
	v_min_u16 v16, v16, v1
	v_and_b32_e32 v9, 0xff, v9
	v_cndmask_b32_e64 v5, v5, v12, s0
	v_cmp_gt_i32_e64 s0, s2, v22
	v_min_u16 v15, v18, v1
	v_and_b32_e32 v12, 0xffff, v16
	v_min_u16 v9, v9, v1
	v_min_u16 v6, v6, v1
	v_cndmask_b32_e64 v11, v11, v14, s0
	v_cmp_gt_i32_e64 s0, s2, v20
	v_lshrrev_b32_e32 v14, 16, v5
	v_lshlrev_b16 v15, 8, v15
	v_lshlrev_b16 v9, 8, v9
	v_lshrrev_b32_e32 v16, 16, v11
	v_cndmask_b32_e64 v12, 0, v12, s0
	v_and_b32_e32 v14, 0xff, v14
	v_and_b32_e32 v10, 0xff, v10
	;; [unrolled: 1-line block ×5, first 2 shown]
	v_or_b32_e32 v9, v14, v9
	v_or_b32_e32 v14, 0x600, v0
	v_min_u16 v10, v10, v1
	v_or_b32_e32 v6, v6, v16
	v_or_b32_e32 v15, v18, v15
	;; [unrolled: 1-line block ×3, first 2 shown]
	v_min_u16 v7, v7, v1
	v_lshlrev_b16 v10, 8, v10
	v_lshlrev_b32_e32 v6, 16, v6
	v_and_b32_e32 v15, 0xffff, v15
	v_cmp_gt_i32_e64 s0, s2, v16
	v_and_b32_e32 v4, 0xff, v4
	v_and_b32_e32 v8, 0xff, v8
	v_and_or_b32 v6, 0xffff, v11, v6
	v_lshlrev_b32_e32 v9, 16, v9
	v_cndmask_b32_e64 v12, v12, v15, s0
	v_cmp_gt_i32_e64 s0, s2, v14
	v_and_b32_e32 v14, 0xff, v19
	v_and_b32_e32 v15, 0xffff, v7
	v_or_b32_e32 v7, v7, v10
	v_and_b32_e32 v10, 0xff, v13
	v_cndmask_b32_e64 v11, v11, v6, s0
	v_lshrrev_b32_e32 v6, 16, v12
	v_min_u16 v13, v14, v1
	v_or_b32_e32 v14, 0x900, v0
	v_and_b32_e32 v7, 0xffff, v7
	v_min_u16 v10, v10, v1
	v_and_b32_e32 v6, 0xffffff00, v6
	v_lshrrev_b32_e32 v16, 16, v11
	v_cmp_gt_i32_e64 s0, s2, v14
	v_or_b32_e32 v14, 0xa00, v0
	v_lshlrev_b32_e32 v10, 16, v10
	v_or_b32_e32 v6, v13, v6
	v_min_u16 v4, v4, v1
	v_cndmask_b32_e64 v7, v15, v7, s0
	v_or_b32_e32 v15, 0xe00, v0
	v_cmp_gt_i32_e64 s0, s2, v14
	v_lshlrev_b32_e32 v6, 16, v6
	v_and_b32_e32 v13, 0xff, v16
	v_or_b32_e32 v10, v7, v10
	v_lshlrev_b16 v4, 8, v4
	v_min_u16 v8, v8, v1
	v_and_or_b32 v6, 0xffff, v12, v6
	v_and_or_b32 v9, 0xffff, v5, v9
	v_cndmask_b32_e64 v7, v7, v10, s0
	v_cmp_gt_i32_e64 s0, s2, v15
	v_or_b32_e32 v4, v13, v4
	v_lshlrev_b16 v8, 8, v8
	v_or_b32_e32 v13, 0x300, v0
	s_delay_alu instid0(VALU_DEP_4) | instskip(SKIP_2) | instid1(VALU_DEP_4)
	v_cndmask_b32_e64 v10, v12, v6, s0
	v_and_b32_e32 v6, 0xff, v17
	v_lshrrev_b32_e32 v12, 16, v7
	v_cmp_gt_i32_e64 s0, s2, v13
	v_lshlrev_b32_e32 v4, 16, v4
	v_lshrrev_b32_e32 v14, 16, v10
	v_min_u16 v1, v6, v1
	v_and_b32_e32 v6, 0xff, v12
	v_or_b32_e32 v13, 0xf00, v0
	v_and_or_b32 v4, 0xffff, v11, v4
	v_and_b32_e32 v12, 0xff, v14
	v_lshlrev_b16 v1, 8, v1
	v_or_b32_e32 v8, v6, v8
	v_cndmask_b32_e64 v6, v5, v9, s0
	v_or_b32_e32 v9, 0xb00, v0
	s_delay_alu instid0(VALU_DEP_4) | instskip(NEXT) | instid1(VALU_DEP_4)
	v_or_b32_e32 v1, v12, v1
	v_lshlrev_b32_e32 v5, 16, v8
	v_or_b32_e32 v8, 0x700, v0
	s_delay_alu instid0(VALU_DEP_3) | instskip(NEXT) | instid1(VALU_DEP_3)
	v_lshlrev_b32_e32 v1, 16, v1
	v_and_or_b32 v12, 0xffff, v7, v5
	s_delay_alu instid0(VALU_DEP_3) | instskip(NEXT) | instid1(VALU_DEP_3)
	v_cmp_gt_i32_e64 s0, s2, v8
	v_and_or_b32 v1, 0xffff, v10, v1
	s_delay_alu instid0(VALU_DEP_2) | instskip(SKIP_1) | instid1(VALU_DEP_1)
	v_cndmask_b32_e64 v5, v11, v4, s0
	v_cmp_gt_i32_e64 s0, s2, v9
	v_cndmask_b32_e64 v4, v7, v12, s0
	v_cmp_gt_i32_e64 s0, s2, v13
	s_delay_alu instid0(VALU_DEP_1)
	v_cndmask_b32_e64 v1, v10, v1, s0
	s_and_saveexec_b32 s0, vcc_lo
	s_cbranch_execnz .LBB418_53
; %bb.36:
	s_or_b32 exec_lo, exec_lo, s0
	s_delay_alu instid0(SALU_CYCLE_1)
	s_mov_b32 s0, exec_lo
	v_cmpx_gt_i32_e64 s2, v0
	s_cbranch_execnz .LBB418_54
.LBB418_37:
	s_or_b32 exec_lo, exec_lo, s0
	s_delay_alu instid0(SALU_CYCLE_1)
	s_mov_b32 s0, exec_lo
	v_cmpx_gt_i32_e64 s2, v0
	s_cbranch_execnz .LBB418_55
.LBB418_38:
	s_or_b32 exec_lo, exec_lo, s0
	s_delay_alu instid0(SALU_CYCLE_1)
	s_mov_b32 s0, exec_lo
	v_cmpx_gt_i32_e64 s2, v0
	s_cbranch_execnz .LBB418_56
.LBB418_39:
	s_or_b32 exec_lo, exec_lo, s0
	s_delay_alu instid0(SALU_CYCLE_1)
	s_mov_b32 s0, exec_lo
	v_cmpx_gt_i32_e64 s2, v0
	s_cbranch_execnz .LBB418_57
.LBB418_40:
	s_or_b32 exec_lo, exec_lo, s0
	s_delay_alu instid0(SALU_CYCLE_1)
	s_mov_b32 s0, exec_lo
	v_cmpx_gt_i32_e64 s2, v0
	s_cbranch_execnz .LBB418_58
.LBB418_41:
	s_or_b32 exec_lo, exec_lo, s0
	s_delay_alu instid0(SALU_CYCLE_1)
	s_mov_b32 s0, exec_lo
	v_cmpx_gt_i32_e64 s2, v0
	s_cbranch_execnz .LBB418_59
.LBB418_42:
	s_or_b32 exec_lo, exec_lo, s0
	s_delay_alu instid0(SALU_CYCLE_1)
	s_mov_b32 s0, exec_lo
	v_cmpx_gt_i32_e64 s2, v0
	s_cbranch_execnz .LBB418_60
.LBB418_43:
	s_or_b32 exec_lo, exec_lo, s0
	s_delay_alu instid0(SALU_CYCLE_1)
	s_mov_b32 s0, exec_lo
	v_cmpx_gt_i32_e64 s2, v0
	s_cbranch_execnz .LBB418_61
.LBB418_44:
	s_or_b32 exec_lo, exec_lo, s0
	s_delay_alu instid0(SALU_CYCLE_1)
	s_mov_b32 s0, exec_lo
	v_cmpx_gt_i32_e64 s2, v0
	s_cbranch_execnz .LBB418_62
.LBB418_45:
	s_or_b32 exec_lo, exec_lo, s0
	s_delay_alu instid0(SALU_CYCLE_1)
	s_mov_b32 s0, exec_lo
	v_cmpx_gt_i32_e64 s2, v0
	s_cbranch_execnz .LBB418_63
.LBB418_46:
	s_or_b32 exec_lo, exec_lo, s0
	s_delay_alu instid0(SALU_CYCLE_1)
	s_mov_b32 s0, exec_lo
	v_cmpx_gt_i32_e64 s2, v0
	s_cbranch_execnz .LBB418_64
.LBB418_47:
	s_or_b32 exec_lo, exec_lo, s0
	s_delay_alu instid0(SALU_CYCLE_1)
	s_mov_b32 s0, exec_lo
	v_cmpx_gt_i32_e64 s2, v0
	s_cbranch_execnz .LBB418_65
.LBB418_48:
	s_or_b32 exec_lo, exec_lo, s0
	s_delay_alu instid0(SALU_CYCLE_1)
	s_mov_b32 s0, exec_lo
	v_cmpx_gt_i32_e64 s2, v0
	s_cbranch_execnz .LBB418_66
.LBB418_49:
	s_or_b32 exec_lo, exec_lo, s0
	s_delay_alu instid0(SALU_CYCLE_1)
	s_mov_b32 s0, exec_lo
	v_cmpx_gt_i32_e64 s2, v0
	s_cbranch_execnz .LBB418_67
.LBB418_50:
	s_or_b32 exec_lo, exec_lo, s0
	s_delay_alu instid0(SALU_CYCLE_1)
	s_mov_b32 s0, exec_lo
	v_cmpx_gt_i32_e64 s2, v0
	s_cbranch_execz .LBB418_52
.LBB418_51:
	v_add_nc_u32_e32 v0, s1, v0
	v_lshrrev_b32_e32 v1, 24, v1
	global_store_b8 v0, v1, s[4:5]
.LBB418_52:
	s_nop 0
	s_sendmsg sendmsg(MSG_DEALLOC_VGPRS)
	s_endpgm
.LBB418_53:
	v_mov_b32_e32 v0, v3
	global_store_b8 v2, v6, s[4:5]
	s_or_b32 exec_lo, exec_lo, s0
	s_delay_alu instid0(SALU_CYCLE_1)
	s_mov_b32 s0, exec_lo
	v_cmpx_gt_i32_e64 s2, v0
	s_cbranch_execz .LBB418_37
.LBB418_54:
	v_add_nc_u32_e32 v2, s1, v0
	v_lshrrev_b32_e32 v3, 8, v6
	v_add_nc_u32_e32 v0, 0x100, v0
	global_store_b8 v2, v3, s[4:5]
	s_or_b32 exec_lo, exec_lo, s0
	s_delay_alu instid0(SALU_CYCLE_1)
	s_mov_b32 s0, exec_lo
	v_cmpx_gt_i32_e64 s2, v0
	s_cbranch_execz .LBB418_38
.LBB418_55:
	v_add_nc_u32_e32 v2, s1, v0
	v_add_nc_u32_e32 v0, 0x100, v0
	global_store_d16_hi_b8 v2, v6, s[4:5]
	s_or_b32 exec_lo, exec_lo, s0
	s_delay_alu instid0(SALU_CYCLE_1)
	s_mov_b32 s0, exec_lo
	v_cmpx_gt_i32_e64 s2, v0
	s_cbranch_execz .LBB418_39
.LBB418_56:
	v_add_nc_u32_e32 v2, s1, v0
	v_lshrrev_b32_e32 v3, 24, v6
	v_add_nc_u32_e32 v0, 0x100, v0
	global_store_b8 v2, v3, s[4:5]
	s_or_b32 exec_lo, exec_lo, s0
	s_delay_alu instid0(SALU_CYCLE_1)
	s_mov_b32 s0, exec_lo
	v_cmpx_gt_i32_e64 s2, v0
	s_cbranch_execz .LBB418_40
.LBB418_57:
	v_add_nc_u32_e32 v2, s1, v0
	v_add_nc_u32_e32 v0, 0x100, v0
	global_store_b8 v2, v5, s[4:5]
	s_or_b32 exec_lo, exec_lo, s0
	s_delay_alu instid0(SALU_CYCLE_1)
	s_mov_b32 s0, exec_lo
	v_cmpx_gt_i32_e64 s2, v0
	s_cbranch_execz .LBB418_41
.LBB418_58:
	v_add_nc_u32_e32 v2, s1, v0
	v_lshrrev_b32_e32 v3, 8, v5
	v_add_nc_u32_e32 v0, 0x100, v0
	global_store_b8 v2, v3, s[4:5]
	s_or_b32 exec_lo, exec_lo, s0
	s_delay_alu instid0(SALU_CYCLE_1)
	s_mov_b32 s0, exec_lo
	v_cmpx_gt_i32_e64 s2, v0
	s_cbranch_execz .LBB418_42
.LBB418_59:
	v_add_nc_u32_e32 v2, s1, v0
	v_add_nc_u32_e32 v0, 0x100, v0
	global_store_d16_hi_b8 v2, v5, s[4:5]
	s_or_b32 exec_lo, exec_lo, s0
	s_delay_alu instid0(SALU_CYCLE_1)
	s_mov_b32 s0, exec_lo
	v_cmpx_gt_i32_e64 s2, v0
	s_cbranch_execz .LBB418_43
.LBB418_60:
	v_add_nc_u32_e32 v2, s1, v0
	v_lshrrev_b32_e32 v3, 24, v5
	v_add_nc_u32_e32 v0, 0x100, v0
	global_store_b8 v2, v3, s[4:5]
	s_or_b32 exec_lo, exec_lo, s0
	s_delay_alu instid0(SALU_CYCLE_1)
	s_mov_b32 s0, exec_lo
	v_cmpx_gt_i32_e64 s2, v0
	s_cbranch_execz .LBB418_44
.LBB418_61:
	v_add_nc_u32_e32 v2, s1, v0
	v_add_nc_u32_e32 v0, 0x100, v0
	global_store_b8 v2, v4, s[4:5]
	s_or_b32 exec_lo, exec_lo, s0
	s_delay_alu instid0(SALU_CYCLE_1)
	s_mov_b32 s0, exec_lo
	v_cmpx_gt_i32_e64 s2, v0
	s_cbranch_execz .LBB418_45
.LBB418_62:
	v_add_nc_u32_e32 v2, s1, v0
	v_lshrrev_b32_e32 v3, 8, v4
	v_add_nc_u32_e32 v0, 0x100, v0
	global_store_b8 v2, v3, s[4:5]
	s_or_b32 exec_lo, exec_lo, s0
	s_delay_alu instid0(SALU_CYCLE_1)
	s_mov_b32 s0, exec_lo
	v_cmpx_gt_i32_e64 s2, v0
	s_cbranch_execz .LBB418_46
.LBB418_63:
	v_add_nc_u32_e32 v2, s1, v0
	v_add_nc_u32_e32 v0, 0x100, v0
	global_store_d16_hi_b8 v2, v4, s[4:5]
	s_or_b32 exec_lo, exec_lo, s0
	s_delay_alu instid0(SALU_CYCLE_1)
	s_mov_b32 s0, exec_lo
	v_cmpx_gt_i32_e64 s2, v0
	s_cbranch_execz .LBB418_47
.LBB418_64:
	v_add_nc_u32_e32 v2, s1, v0
	v_lshrrev_b32_e32 v3, 24, v4
	v_add_nc_u32_e32 v0, 0x100, v0
	global_store_b8 v2, v3, s[4:5]
	s_or_b32 exec_lo, exec_lo, s0
	s_delay_alu instid0(SALU_CYCLE_1)
	s_mov_b32 s0, exec_lo
	v_cmpx_gt_i32_e64 s2, v0
	s_cbranch_execz .LBB418_48
.LBB418_65:
	v_add_nc_u32_e32 v2, s1, v0
	v_add_nc_u32_e32 v0, 0x100, v0
	global_store_b8 v2, v1, s[4:5]
	s_or_b32 exec_lo, exec_lo, s0
	s_delay_alu instid0(SALU_CYCLE_1)
	s_mov_b32 s0, exec_lo
	v_cmpx_gt_i32_e64 s2, v0
	s_cbranch_execz .LBB418_49
.LBB418_66:
	v_add_nc_u32_e32 v2, s1, v0
	v_lshrrev_b32_e32 v3, 8, v1
	v_add_nc_u32_e32 v0, 0x100, v0
	global_store_b8 v2, v3, s[4:5]
	s_or_b32 exec_lo, exec_lo, s0
	s_delay_alu instid0(SALU_CYCLE_1)
	s_mov_b32 s0, exec_lo
	v_cmpx_gt_i32_e64 s2, v0
	s_cbranch_execz .LBB418_50
.LBB418_67:
	v_add_nc_u32_e32 v2, s1, v0
	v_add_nc_u32_e32 v0, 0x100, v0
	global_store_d16_hi_b8 v2, v1, s[4:5]
	s_or_b32 exec_lo, exec_lo, s0
	s_delay_alu instid0(SALU_CYCLE_1)
	s_mov_b32 s0, exec_lo
	v_cmpx_gt_i32_e64 s2, v0
	s_cbranch_execnz .LBB418_51
	s_branch .LBB418_52
	.section	.rodata,"a",@progbits
	.p2align	6, 0x0
	.amdhsa_kernel _ZN2at6native29vectorized_elementwise_kernelILi16EZZZNS0_21clamp_max_kernel_cudaERNS_18TensorIteratorBaseERKN3c106ScalarEENKUlvE_clEvENKUlvE_clEvEUlhE_St5arrayIPcLm2EEEEviT0_T1_
		.amdhsa_group_segment_fixed_size 0
		.amdhsa_private_segment_fixed_size 0
		.amdhsa_kernarg_size 24
		.amdhsa_user_sgpr_count 15
		.amdhsa_user_sgpr_dispatch_ptr 0
		.amdhsa_user_sgpr_queue_ptr 0
		.amdhsa_user_sgpr_kernarg_segment_ptr 1
		.amdhsa_user_sgpr_dispatch_id 0
		.amdhsa_user_sgpr_private_segment_size 0
		.amdhsa_wavefront_size32 1
		.amdhsa_uses_dynamic_stack 0
		.amdhsa_enable_private_segment 0
		.amdhsa_system_sgpr_workgroup_id_x 1
		.amdhsa_system_sgpr_workgroup_id_y 0
		.amdhsa_system_sgpr_workgroup_id_z 0
		.amdhsa_system_sgpr_workgroup_info 0
		.amdhsa_system_vgpr_workitem_id 0
		.amdhsa_next_free_vgpr 23
		.amdhsa_next_free_sgpr 16
		.amdhsa_reserve_vcc 1
		.amdhsa_float_round_mode_32 0
		.amdhsa_float_round_mode_16_64 0
		.amdhsa_float_denorm_mode_32 3
		.amdhsa_float_denorm_mode_16_64 3
		.amdhsa_dx10_clamp 1
		.amdhsa_ieee_mode 1
		.amdhsa_fp16_overflow 0
		.amdhsa_workgroup_processor_mode 1
		.amdhsa_memory_ordered 1
		.amdhsa_forward_progress 0
		.amdhsa_shared_vgpr_count 0
		.amdhsa_exception_fp_ieee_invalid_op 0
		.amdhsa_exception_fp_denorm_src 0
		.amdhsa_exception_fp_ieee_div_zero 0
		.amdhsa_exception_fp_ieee_overflow 0
		.amdhsa_exception_fp_ieee_underflow 0
		.amdhsa_exception_fp_ieee_inexact 0
		.amdhsa_exception_int_div_zero 0
	.end_amdhsa_kernel
	.section	.text._ZN2at6native29vectorized_elementwise_kernelILi16EZZZNS0_21clamp_max_kernel_cudaERNS_18TensorIteratorBaseERKN3c106ScalarEENKUlvE_clEvENKUlvE_clEvEUlhE_St5arrayIPcLm2EEEEviT0_T1_,"axG",@progbits,_ZN2at6native29vectorized_elementwise_kernelILi16EZZZNS0_21clamp_max_kernel_cudaERNS_18TensorIteratorBaseERKN3c106ScalarEENKUlvE_clEvENKUlvE_clEvEUlhE_St5arrayIPcLm2EEEEviT0_T1_,comdat
.Lfunc_end418:
	.size	_ZN2at6native29vectorized_elementwise_kernelILi16EZZZNS0_21clamp_max_kernel_cudaERNS_18TensorIteratorBaseERKN3c106ScalarEENKUlvE_clEvENKUlvE_clEvEUlhE_St5arrayIPcLm2EEEEviT0_T1_, .Lfunc_end418-_ZN2at6native29vectorized_elementwise_kernelILi16EZZZNS0_21clamp_max_kernel_cudaERNS_18TensorIteratorBaseERKN3c106ScalarEENKUlvE_clEvENKUlvE_clEvEUlhE_St5arrayIPcLm2EEEEviT0_T1_
                                        ; -- End function
	.section	.AMDGPU.csdata,"",@progbits
; Kernel info:
; codeLenInByte = 3352
; NumSgprs: 18
; NumVgprs: 23
; ScratchSize: 0
; MemoryBound: 0
; FloatMode: 240
; IeeeMode: 1
; LDSByteSize: 0 bytes/workgroup (compile time only)
; SGPRBlocks: 2
; VGPRBlocks: 2
; NumSGPRsForWavesPerEU: 18
; NumVGPRsForWavesPerEU: 23
; Occupancy: 16
; WaveLimiterHint : 0
; COMPUTE_PGM_RSRC2:SCRATCH_EN: 0
; COMPUTE_PGM_RSRC2:USER_SGPR: 15
; COMPUTE_PGM_RSRC2:TRAP_HANDLER: 0
; COMPUTE_PGM_RSRC2:TGID_X_EN: 1
; COMPUTE_PGM_RSRC2:TGID_Y_EN: 0
; COMPUTE_PGM_RSRC2:TGID_Z_EN: 0
; COMPUTE_PGM_RSRC2:TIDIG_COMP_CNT: 0
	.section	.text._ZN2at6native29vectorized_elementwise_kernelILi8EZZZNS0_21clamp_max_kernel_cudaERNS_18TensorIteratorBaseERKN3c106ScalarEENKUlvE_clEvENKUlvE_clEvEUlhE_St5arrayIPcLm2EEEEviT0_T1_,"axG",@progbits,_ZN2at6native29vectorized_elementwise_kernelILi8EZZZNS0_21clamp_max_kernel_cudaERNS_18TensorIteratorBaseERKN3c106ScalarEENKUlvE_clEvENKUlvE_clEvEUlhE_St5arrayIPcLm2EEEEviT0_T1_,comdat
	.globl	_ZN2at6native29vectorized_elementwise_kernelILi8EZZZNS0_21clamp_max_kernel_cudaERNS_18TensorIteratorBaseERKN3c106ScalarEENKUlvE_clEvENKUlvE_clEvEUlhE_St5arrayIPcLm2EEEEviT0_T1_ ; -- Begin function _ZN2at6native29vectorized_elementwise_kernelILi8EZZZNS0_21clamp_max_kernel_cudaERNS_18TensorIteratorBaseERKN3c106ScalarEENKUlvE_clEvENKUlvE_clEvEUlhE_St5arrayIPcLm2EEEEviT0_T1_
	.p2align	8
	.type	_ZN2at6native29vectorized_elementwise_kernelILi8EZZZNS0_21clamp_max_kernel_cudaERNS_18TensorIteratorBaseERKN3c106ScalarEENKUlvE_clEvENKUlvE_clEvEUlhE_St5arrayIPcLm2EEEEviT0_T1_,@function
_ZN2at6native29vectorized_elementwise_kernelILi8EZZZNS0_21clamp_max_kernel_cudaERNS_18TensorIteratorBaseERKN3c106ScalarEENKUlvE_clEvENKUlvE_clEvEUlhE_St5arrayIPcLm2EEEEviT0_T1_: ; @_ZN2at6native29vectorized_elementwise_kernelILi8EZZZNS0_21clamp_max_kernel_cudaERNS_18TensorIteratorBaseERKN3c106ScalarEENKUlvE_clEvENKUlvE_clEvEUlhE_St5arrayIPcLm2EEEEviT0_T1_
; %bb.0:
	s_clause 0x1
	s_load_b64 s[2:3], s[0:1], 0x0
	s_load_b128 s[4:7], s[0:1], 0x8
	s_lshl_b32 s1, s15, 12
	s_mov_b32 s0, -1
	s_waitcnt lgkmcnt(0)
	v_and_b32_e64 v1, 0xff, s3
	s_sub_i32 s2, s2, s1
	s_delay_alu instid0(SALU_CYCLE_1)
	s_cmpk_gt_i32 s2, 0xfff
	s_cbranch_scc0 .LBB419_2
; %bb.1:
	v_lshlrev_b32_e32 v6, 3, v0
	s_ashr_i32 s0, s1, 31
	s_add_u32 s8, s6, s1
	s_addc_u32 s9, s7, s0
	s_clause 0x1
	global_load_b64 v[2:3], v6, s[8:9]
	global_load_b64 v[4:5], v6, s[8:9] offset:2048
	s_add_u32 s8, s4, s1
	s_addc_u32 s9, s5, s0
	s_mov_b32 s0, 0
	s_waitcnt vmcnt(1)
	v_lshrrev_b32_e32 v8, 8, v2
	v_lshrrev_b32_e32 v12, 16, v3
	s_waitcnt vmcnt(0)
	v_lshrrev_b32_e32 v14, 8, v4
	v_lshrrev_b32_e32 v9, 16, v2
	;; [unrolled: 1-line block ×3, first 2 shown]
	v_and_b32_e32 v8, 0xff, v8
	v_and_b32_e32 v10, 0xff, v3
	v_lshrrev_b32_e32 v3, 24, v3
	v_lshrrev_b32_e32 v15, 16, v4
	;; [unrolled: 1-line block ×4, first 2 shown]
	v_and_b32_e32 v12, 0xff, v12
	v_and_b32_e32 v14, 0xff, v14
	;; [unrolled: 1-line block ×3, first 2 shown]
	v_lshrrev_b32_e32 v2, 24, v2
	v_and_b32_e32 v9, 0xff, v9
	v_and_b32_e32 v11, 0xff, v11
	v_min_u16 v8, v8, v1
	v_and_b32_e32 v13, 0xff, v4
	v_lshrrev_b32_e32 v4, 24, v4
	v_and_b32_e32 v16, 0xff, v5
	v_lshrrev_b32_e32 v5, 24, v5
	v_and_b32_e32 v15, 0xff, v15
	v_and_b32_e32 v17, 0xff, v17
	;; [unrolled: 1-line block ×3, first 2 shown]
	v_min_u16 v3, v3, v1
	v_min_u16 v12, v12, v1
	;; [unrolled: 1-line block ×6, first 2 shown]
	v_and_b32_e32 v8, 0xffff, v8
	v_min_u16 v4, v4, v1
	v_min_u16 v5, v5, v1
	;; [unrolled: 1-line block ×5, first 2 shown]
	v_lshlrev_b32_e32 v3, 24, v3
	v_lshlrev_b32_e32 v12, 16, v12
	v_and_b32_e32 v14, 0xffff, v14
	v_min_u16 v7, v7, v1
	v_min_u16 v10, v10, v1
	v_lshlrev_b32_e32 v2, 24, v2
	v_and_b32_e32 v11, 0xffff, v11
	v_lshlrev_b32_e32 v9, 16, v9
	v_lshlrev_b32_e32 v8, 8, v8
	v_min_u16 v13, v13, v1
	v_min_u16 v16, v16, v1
	v_lshlrev_b32_e32 v5, 24, v5
	v_lshlrev_b32_e32 v4, 24, v4
	;; [unrolled: 1-line block ×3, first 2 shown]
	v_and_b32_e32 v17, 0xffff, v17
	v_lshlrev_b32_e32 v15, 16, v15
	v_or_b32_e32 v3, v3, v12
	v_lshlrev_b32_e32 v12, 8, v14
	v_and_b32_e32 v10, 0xffff, v10
	v_and_b32_e32 v7, 0xffff, v7
	v_lshlrev_b32_e32 v11, 8, v11
	v_or3_b32 v2, v2, v9, v8
	v_and_b32_e32 v16, 0xffff, v16
	v_and_b32_e32 v13, 0xffff, v13
	v_or_b32_e32 v5, v5, v18
	v_lshlrev_b32_e32 v14, 8, v17
	v_or3_b32 v4, v4, v15, v12
	v_or3_b32 v3, v3, v11, v10
	v_or_b32_e32 v2, v2, v7
	s_delay_alu instid0(VALU_DEP_4) | instskip(NEXT) | instid1(VALU_DEP_4)
	v_or3_b32 v5, v5, v14, v16
	v_or_b32_e32 v4, v4, v13
	s_clause 0x1
	global_store_b64 v6, v[2:3], s[8:9]
	global_store_b64 v6, v[4:5], s[8:9] offset:2048
.LBB419_2:
	s_and_not1_b32 vcc_lo, exec_lo, s0
	s_cbranch_vccnz .LBB419_52
; %bb.3:
	v_cmp_gt_i32_e32 vcc_lo, s2, v0
	v_dual_mov_b32 v5, 0 :: v_dual_mov_b32 v6, 0
	v_or_b32_e32 v2, s1, v0
	v_or_b32_e32 v3, 0x100, v0
	v_mov_b32_e32 v11, v0
	s_and_saveexec_b32 s0, vcc_lo
	s_cbranch_execz .LBB419_5
; %bb.4:
	global_load_u8 v6, v2, s[6:7]
	v_or_b32_e32 v11, 0x100, v0
.LBB419_5:
	s_or_b32 exec_lo, exec_lo, s0
	s_delay_alu instid0(SALU_CYCLE_1) | instskip(NEXT) | instid1(VALU_DEP_1)
	s_mov_b32 s3, exec_lo
	v_cmpx_gt_i32_e64 s2, v11
	s_cbranch_execz .LBB419_7
; %bb.6:
	v_add_nc_u32_e32 v4, s1, v11
	v_add_nc_u32_e32 v11, 0x100, v11
	global_load_u8 v5, v4, s[6:7]
.LBB419_7:
	s_or_b32 exec_lo, exec_lo, s3
	v_dual_mov_b32 v9, 0 :: v_dual_mov_b32 v12, 0
	s_mov_b32 s3, exec_lo
	v_cmpx_gt_i32_e64 s2, v11
	s_cbranch_execz .LBB419_9
; %bb.8:
	v_add_nc_u32_e32 v4, s1, v11
	v_add_nc_u32_e32 v11, 0x100, v11
	global_load_u8 v12, v4, s[6:7]
.LBB419_9:
	s_or_b32 exec_lo, exec_lo, s3
	s_delay_alu instid0(SALU_CYCLE_1)
	s_mov_b32 s3, exec_lo
	v_cmpx_gt_i32_e64 s2, v11
	s_cbranch_execz .LBB419_11
; %bb.10:
	v_add_nc_u32_e32 v4, s1, v11
	v_add_nc_u32_e32 v11, 0x100, v11
	global_load_u8 v9, v4, s[6:7]
.LBB419_11:
	s_or_b32 exec_lo, exec_lo, s3
	v_dual_mov_b32 v14, 0 :: v_dual_mov_b32 v15, 0
	s_mov_b32 s3, exec_lo
	v_cmpx_gt_i32_e64 s2, v11
	s_cbranch_execz .LBB419_13
; %bb.12:
	v_add_nc_u32_e32 v4, s1, v11
	v_add_nc_u32_e32 v11, 0x100, v11
	global_load_u8 v15, v4, s[6:7]
.LBB419_13:
	s_or_b32 exec_lo, exec_lo, s3
	s_delay_alu instid0(SALU_CYCLE_1)
	s_mov_b32 s3, exec_lo
	v_cmpx_gt_i32_e64 s2, v11
	s_cbranch_execz .LBB419_15
; %bb.14:
	v_add_nc_u32_e32 v4, s1, v11
	v_add_nc_u32_e32 v11, 0x100, v11
	global_load_u8 v14, v4, s[6:7]
.LBB419_15:
	s_or_b32 exec_lo, exec_lo, s3
	v_mov_b32_e32 v4, 0
	v_mov_b32_e32 v16, 0
	s_mov_b32 s3, exec_lo
	v_cmpx_gt_i32_e64 s2, v11
	s_cbranch_execz .LBB419_17
; %bb.16:
	v_add_nc_u32_e32 v7, s1, v11
	v_add_nc_u32_e32 v11, 0x100, v11
	global_load_u8 v16, v7, s[6:7]
.LBB419_17:
	s_or_b32 exec_lo, exec_lo, s3
	s_delay_alu instid0(SALU_CYCLE_1)
	s_mov_b32 s3, exec_lo
	v_cmpx_gt_i32_e64 s2, v11
	s_cbranch_execz .LBB419_19
; %bb.18:
	v_add_nc_u32_e32 v4, s1, v11
	v_add_nc_u32_e32 v11, 0x100, v11
	global_load_u8 v4, v4, s[6:7]
.LBB419_19:
	s_or_b32 exec_lo, exec_lo, s3
	v_dual_mov_b32 v10, 0 :: v_dual_mov_b32 v7, 0
	s_mov_b32 s3, exec_lo
	v_cmpx_gt_i32_e64 s2, v11
	s_cbranch_execz .LBB419_21
; %bb.20:
	v_add_nc_u32_e32 v7, s1, v11
	v_add_nc_u32_e32 v11, 0x100, v11
	global_load_u8 v7, v7, s[6:7]
.LBB419_21:
	s_or_b32 exec_lo, exec_lo, s3
	s_delay_alu instid0(SALU_CYCLE_1)
	s_mov_b32 s3, exec_lo
	v_cmpx_gt_i32_e64 s2, v11
	s_cbranch_execz .LBB419_23
; %bb.22:
	v_add_nc_u32_e32 v8, s1, v11
	v_add_nc_u32_e32 v11, 0x100, v11
	global_load_u8 v10, v8, s[6:7]
.LBB419_23:
	s_or_b32 exec_lo, exec_lo, s3
	v_dual_mov_b32 v8, 0 :: v_dual_mov_b32 v13, 0
	s_mov_b32 s3, exec_lo
	v_cmpx_gt_i32_e64 s2, v11
	s_cbranch_execz .LBB419_25
; %bb.24:
	v_add_nc_u32_e32 v13, s1, v11
	v_add_nc_u32_e32 v11, 0x100, v11
	global_load_u8 v13, v13, s[6:7]
.LBB419_25:
	s_or_b32 exec_lo, exec_lo, s3
	s_delay_alu instid0(SALU_CYCLE_1)
	s_mov_b32 s3, exec_lo
	v_cmpx_gt_i32_e64 s2, v11
	s_cbranch_execz .LBB419_27
; %bb.26:
	v_add_nc_u32_e32 v8, s1, v11
	v_add_nc_u32_e32 v11, 0x100, v11
	global_load_u8 v8, v8, s[6:7]
.LBB419_27:
	s_or_b32 exec_lo, exec_lo, s3
	v_mov_b32_e32 v18, 0
	v_mov_b32_e32 v20, 0
	s_mov_b32 s3, exec_lo
	v_cmpx_gt_i32_e64 s2, v11
	s_cbranch_execz .LBB419_29
; %bb.28:
	v_add_nc_u32_e32 v17, s1, v11
	v_add_nc_u32_e32 v11, 0x100, v11
	global_load_u8 v20, v17, s[6:7]
.LBB419_29:
	s_or_b32 exec_lo, exec_lo, s3
	s_delay_alu instid0(SALU_CYCLE_1)
	s_mov_b32 s3, exec_lo
	v_cmpx_gt_i32_e64 s2, v11
	s_cbranch_execz .LBB419_31
; %bb.30:
	v_add_nc_u32_e32 v17, s1, v11
	v_add_nc_u32_e32 v11, 0x100, v11
	global_load_u8 v18, v17, s[6:7]
.LBB419_31:
	s_or_b32 exec_lo, exec_lo, s3
	v_mov_b32_e32 v17, 0
	v_mov_b32_e32 v19, 0
	s_mov_b32 s3, exec_lo
	v_cmpx_gt_i32_e64 s2, v11
	s_cbranch_execz .LBB419_33
; %bb.32:
	v_add_nc_u32_e32 v19, s1, v11
	v_add_nc_u32_e32 v11, 0x100, v11
	global_load_u8 v19, v19, s[6:7]
.LBB419_33:
	s_or_b32 exec_lo, exec_lo, s3
	s_delay_alu instid0(SALU_CYCLE_1)
	s_mov_b32 s3, exec_lo
	v_cmpx_gt_i32_e64 s2, v11
	s_cbranch_execz .LBB419_35
; %bb.34:
	v_add_nc_u32_e32 v11, s1, v11
	global_load_u8 v17, v11, s[6:7]
.LBB419_35:
	s_or_b32 exec_lo, exec_lo, s3
	s_waitcnt vmcnt(0)
	v_and_b32_e32 v5, 0xff, v5
	v_and_b32_e32 v6, 0xff, v6
	;; [unrolled: 1-line block ×3, first 2 shown]
	v_or_b32_e32 v21, 0x400, v0
	v_and_b32_e32 v12, 0xff, v12
	v_min_u16 v5, v5, v1
	v_min_u16 v6, v6, v1
	;; [unrolled: 1-line block ×3, first 2 shown]
	v_and_b32_e32 v14, 0xff, v14
	v_cmp_gt_i32_e64 s0, s2, v21
	v_lshlrev_b16 v5, 8, v5
	v_min_u16 v12, v12, v1
	v_and_b32_e32 v11, 0xffff, v11
	v_min_u16 v14, v14, v1
	v_or_b32_e32 v15, 0x200, v0
	v_or_b32_e32 v5, v6, v5
	v_and_b32_e32 v6, 0xffff, v6
	v_cndmask_b32_e64 v11, 0, v11, s0
	v_cmp_gt_i32_e64 s0, s2, v3
	v_lshlrev_b16 v14, 8, v14
	v_and_b32_e32 v5, 0xffff, v5
	v_lshlrev_b32_e32 v12, 16, v12
	v_and_b32_e32 v21, 0xff, v11
	v_or_b32_e32 v22, 0x500, v0
	v_and_b32_e32 v18, 0xff, v18
	v_cndmask_b32_e64 v5, v6, v5, s0
	v_and_b32_e32 v6, 0xff, v16
	v_or_b32_e32 v14, v21, v14
	v_and_b32_e32 v16, 0xff, v20
	v_cmp_gt_i32_e64 s0, s2, v15
	v_or_b32_e32 v12, v5, v12
	v_or_b32_e32 v20, 0xc00, v0
	v_and_b32_e32 v14, 0xffff, v14
	v_min_u16 v16, v16, v1
	v_and_b32_e32 v9, 0xff, v9
	v_cndmask_b32_e64 v5, v5, v12, s0
	v_cmp_gt_i32_e64 s0, s2, v22
	v_min_u16 v15, v18, v1
	v_and_b32_e32 v12, 0xffff, v16
	v_min_u16 v9, v9, v1
	v_min_u16 v6, v6, v1
	v_cndmask_b32_e64 v11, v11, v14, s0
	v_cmp_gt_i32_e64 s0, s2, v20
	v_lshrrev_b32_e32 v14, 16, v5
	v_lshlrev_b16 v15, 8, v15
	v_lshlrev_b16 v9, 8, v9
	v_lshrrev_b32_e32 v16, 16, v11
	v_cndmask_b32_e64 v12, 0, v12, s0
	v_and_b32_e32 v14, 0xff, v14
	v_and_b32_e32 v10, 0xff, v10
	;; [unrolled: 1-line block ×5, first 2 shown]
	v_or_b32_e32 v9, v14, v9
	v_or_b32_e32 v14, 0x600, v0
	v_min_u16 v10, v10, v1
	v_or_b32_e32 v6, v6, v16
	v_or_b32_e32 v15, v18, v15
	;; [unrolled: 1-line block ×3, first 2 shown]
	v_min_u16 v7, v7, v1
	v_lshlrev_b16 v10, 8, v10
	v_lshlrev_b32_e32 v6, 16, v6
	v_and_b32_e32 v15, 0xffff, v15
	v_cmp_gt_i32_e64 s0, s2, v16
	v_and_b32_e32 v4, 0xff, v4
	v_and_b32_e32 v8, 0xff, v8
	v_and_or_b32 v6, 0xffff, v11, v6
	v_lshlrev_b32_e32 v9, 16, v9
	v_cndmask_b32_e64 v12, v12, v15, s0
	v_cmp_gt_i32_e64 s0, s2, v14
	v_and_b32_e32 v14, 0xff, v19
	v_and_b32_e32 v15, 0xffff, v7
	v_or_b32_e32 v7, v7, v10
	v_and_b32_e32 v10, 0xff, v13
	v_cndmask_b32_e64 v11, v11, v6, s0
	v_lshrrev_b32_e32 v6, 16, v12
	v_min_u16 v13, v14, v1
	v_or_b32_e32 v14, 0x900, v0
	v_and_b32_e32 v7, 0xffff, v7
	v_min_u16 v10, v10, v1
	v_and_b32_e32 v6, 0xffffff00, v6
	v_lshrrev_b32_e32 v16, 16, v11
	v_cmp_gt_i32_e64 s0, s2, v14
	v_or_b32_e32 v14, 0xa00, v0
	v_lshlrev_b32_e32 v10, 16, v10
	v_or_b32_e32 v6, v13, v6
	v_min_u16 v4, v4, v1
	v_cndmask_b32_e64 v7, v15, v7, s0
	v_or_b32_e32 v15, 0xe00, v0
	v_cmp_gt_i32_e64 s0, s2, v14
	v_lshlrev_b32_e32 v6, 16, v6
	v_and_b32_e32 v13, 0xff, v16
	v_or_b32_e32 v10, v7, v10
	v_lshlrev_b16 v4, 8, v4
	v_min_u16 v8, v8, v1
	v_and_or_b32 v6, 0xffff, v12, v6
	v_and_or_b32 v9, 0xffff, v5, v9
	v_cndmask_b32_e64 v7, v7, v10, s0
	v_cmp_gt_i32_e64 s0, s2, v15
	v_or_b32_e32 v4, v13, v4
	v_lshlrev_b16 v8, 8, v8
	v_or_b32_e32 v13, 0x300, v0
	s_delay_alu instid0(VALU_DEP_4) | instskip(SKIP_2) | instid1(VALU_DEP_4)
	v_cndmask_b32_e64 v10, v12, v6, s0
	v_and_b32_e32 v6, 0xff, v17
	v_lshrrev_b32_e32 v12, 16, v7
	v_cmp_gt_i32_e64 s0, s2, v13
	v_lshlrev_b32_e32 v4, 16, v4
	v_lshrrev_b32_e32 v14, 16, v10
	v_min_u16 v1, v6, v1
	v_and_b32_e32 v6, 0xff, v12
	v_or_b32_e32 v13, 0xf00, v0
	v_and_or_b32 v4, 0xffff, v11, v4
	v_and_b32_e32 v12, 0xff, v14
	v_lshlrev_b16 v1, 8, v1
	v_or_b32_e32 v8, v6, v8
	v_cndmask_b32_e64 v6, v5, v9, s0
	v_or_b32_e32 v9, 0xb00, v0
	s_delay_alu instid0(VALU_DEP_4) | instskip(NEXT) | instid1(VALU_DEP_4)
	v_or_b32_e32 v1, v12, v1
	v_lshlrev_b32_e32 v5, 16, v8
	v_or_b32_e32 v8, 0x700, v0
	s_delay_alu instid0(VALU_DEP_3) | instskip(NEXT) | instid1(VALU_DEP_3)
	v_lshlrev_b32_e32 v1, 16, v1
	v_and_or_b32 v12, 0xffff, v7, v5
	s_delay_alu instid0(VALU_DEP_3) | instskip(NEXT) | instid1(VALU_DEP_3)
	v_cmp_gt_i32_e64 s0, s2, v8
	v_and_or_b32 v1, 0xffff, v10, v1
	s_delay_alu instid0(VALU_DEP_2) | instskip(SKIP_1) | instid1(VALU_DEP_1)
	v_cndmask_b32_e64 v5, v11, v4, s0
	v_cmp_gt_i32_e64 s0, s2, v9
	v_cndmask_b32_e64 v4, v7, v12, s0
	v_cmp_gt_i32_e64 s0, s2, v13
	s_delay_alu instid0(VALU_DEP_1)
	v_cndmask_b32_e64 v1, v10, v1, s0
	s_and_saveexec_b32 s0, vcc_lo
	s_cbranch_execnz .LBB419_53
; %bb.36:
	s_or_b32 exec_lo, exec_lo, s0
	s_delay_alu instid0(SALU_CYCLE_1)
	s_mov_b32 s0, exec_lo
	v_cmpx_gt_i32_e64 s2, v0
	s_cbranch_execnz .LBB419_54
.LBB419_37:
	s_or_b32 exec_lo, exec_lo, s0
	s_delay_alu instid0(SALU_CYCLE_1)
	s_mov_b32 s0, exec_lo
	v_cmpx_gt_i32_e64 s2, v0
	s_cbranch_execnz .LBB419_55
.LBB419_38:
	s_or_b32 exec_lo, exec_lo, s0
	s_delay_alu instid0(SALU_CYCLE_1)
	s_mov_b32 s0, exec_lo
	v_cmpx_gt_i32_e64 s2, v0
	s_cbranch_execnz .LBB419_56
.LBB419_39:
	s_or_b32 exec_lo, exec_lo, s0
	s_delay_alu instid0(SALU_CYCLE_1)
	s_mov_b32 s0, exec_lo
	v_cmpx_gt_i32_e64 s2, v0
	s_cbranch_execnz .LBB419_57
.LBB419_40:
	s_or_b32 exec_lo, exec_lo, s0
	s_delay_alu instid0(SALU_CYCLE_1)
	s_mov_b32 s0, exec_lo
	v_cmpx_gt_i32_e64 s2, v0
	s_cbranch_execnz .LBB419_58
.LBB419_41:
	s_or_b32 exec_lo, exec_lo, s0
	s_delay_alu instid0(SALU_CYCLE_1)
	s_mov_b32 s0, exec_lo
	v_cmpx_gt_i32_e64 s2, v0
	s_cbranch_execnz .LBB419_59
.LBB419_42:
	s_or_b32 exec_lo, exec_lo, s0
	s_delay_alu instid0(SALU_CYCLE_1)
	s_mov_b32 s0, exec_lo
	v_cmpx_gt_i32_e64 s2, v0
	s_cbranch_execnz .LBB419_60
.LBB419_43:
	s_or_b32 exec_lo, exec_lo, s0
	s_delay_alu instid0(SALU_CYCLE_1)
	s_mov_b32 s0, exec_lo
	v_cmpx_gt_i32_e64 s2, v0
	s_cbranch_execnz .LBB419_61
.LBB419_44:
	s_or_b32 exec_lo, exec_lo, s0
	s_delay_alu instid0(SALU_CYCLE_1)
	s_mov_b32 s0, exec_lo
	v_cmpx_gt_i32_e64 s2, v0
	s_cbranch_execnz .LBB419_62
.LBB419_45:
	s_or_b32 exec_lo, exec_lo, s0
	s_delay_alu instid0(SALU_CYCLE_1)
	s_mov_b32 s0, exec_lo
	v_cmpx_gt_i32_e64 s2, v0
	s_cbranch_execnz .LBB419_63
.LBB419_46:
	s_or_b32 exec_lo, exec_lo, s0
	s_delay_alu instid0(SALU_CYCLE_1)
	s_mov_b32 s0, exec_lo
	v_cmpx_gt_i32_e64 s2, v0
	s_cbranch_execnz .LBB419_64
.LBB419_47:
	s_or_b32 exec_lo, exec_lo, s0
	s_delay_alu instid0(SALU_CYCLE_1)
	s_mov_b32 s0, exec_lo
	v_cmpx_gt_i32_e64 s2, v0
	s_cbranch_execnz .LBB419_65
.LBB419_48:
	s_or_b32 exec_lo, exec_lo, s0
	s_delay_alu instid0(SALU_CYCLE_1)
	s_mov_b32 s0, exec_lo
	v_cmpx_gt_i32_e64 s2, v0
	s_cbranch_execnz .LBB419_66
.LBB419_49:
	s_or_b32 exec_lo, exec_lo, s0
	s_delay_alu instid0(SALU_CYCLE_1)
	s_mov_b32 s0, exec_lo
	v_cmpx_gt_i32_e64 s2, v0
	s_cbranch_execnz .LBB419_67
.LBB419_50:
	s_or_b32 exec_lo, exec_lo, s0
	s_delay_alu instid0(SALU_CYCLE_1)
	s_mov_b32 s0, exec_lo
	v_cmpx_gt_i32_e64 s2, v0
	s_cbranch_execz .LBB419_52
.LBB419_51:
	v_add_nc_u32_e32 v0, s1, v0
	v_lshrrev_b32_e32 v1, 24, v1
	global_store_b8 v0, v1, s[4:5]
.LBB419_52:
	s_nop 0
	s_sendmsg sendmsg(MSG_DEALLOC_VGPRS)
	s_endpgm
.LBB419_53:
	v_mov_b32_e32 v0, v3
	global_store_b8 v2, v6, s[4:5]
	s_or_b32 exec_lo, exec_lo, s0
	s_delay_alu instid0(SALU_CYCLE_1)
	s_mov_b32 s0, exec_lo
	v_cmpx_gt_i32_e64 s2, v0
	s_cbranch_execz .LBB419_37
.LBB419_54:
	v_add_nc_u32_e32 v2, s1, v0
	v_lshrrev_b32_e32 v3, 8, v6
	v_add_nc_u32_e32 v0, 0x100, v0
	global_store_b8 v2, v3, s[4:5]
	s_or_b32 exec_lo, exec_lo, s0
	s_delay_alu instid0(SALU_CYCLE_1)
	s_mov_b32 s0, exec_lo
	v_cmpx_gt_i32_e64 s2, v0
	s_cbranch_execz .LBB419_38
.LBB419_55:
	v_add_nc_u32_e32 v2, s1, v0
	v_add_nc_u32_e32 v0, 0x100, v0
	global_store_d16_hi_b8 v2, v6, s[4:5]
	s_or_b32 exec_lo, exec_lo, s0
	s_delay_alu instid0(SALU_CYCLE_1)
	s_mov_b32 s0, exec_lo
	v_cmpx_gt_i32_e64 s2, v0
	s_cbranch_execz .LBB419_39
.LBB419_56:
	v_add_nc_u32_e32 v2, s1, v0
	v_lshrrev_b32_e32 v3, 24, v6
	v_add_nc_u32_e32 v0, 0x100, v0
	global_store_b8 v2, v3, s[4:5]
	s_or_b32 exec_lo, exec_lo, s0
	s_delay_alu instid0(SALU_CYCLE_1)
	s_mov_b32 s0, exec_lo
	v_cmpx_gt_i32_e64 s2, v0
	s_cbranch_execz .LBB419_40
.LBB419_57:
	v_add_nc_u32_e32 v2, s1, v0
	v_add_nc_u32_e32 v0, 0x100, v0
	global_store_b8 v2, v5, s[4:5]
	s_or_b32 exec_lo, exec_lo, s0
	s_delay_alu instid0(SALU_CYCLE_1)
	s_mov_b32 s0, exec_lo
	v_cmpx_gt_i32_e64 s2, v0
	s_cbranch_execz .LBB419_41
.LBB419_58:
	v_add_nc_u32_e32 v2, s1, v0
	v_lshrrev_b32_e32 v3, 8, v5
	v_add_nc_u32_e32 v0, 0x100, v0
	global_store_b8 v2, v3, s[4:5]
	s_or_b32 exec_lo, exec_lo, s0
	s_delay_alu instid0(SALU_CYCLE_1)
	s_mov_b32 s0, exec_lo
	v_cmpx_gt_i32_e64 s2, v0
	s_cbranch_execz .LBB419_42
.LBB419_59:
	v_add_nc_u32_e32 v2, s1, v0
	v_add_nc_u32_e32 v0, 0x100, v0
	global_store_d16_hi_b8 v2, v5, s[4:5]
	s_or_b32 exec_lo, exec_lo, s0
	s_delay_alu instid0(SALU_CYCLE_1)
	s_mov_b32 s0, exec_lo
	v_cmpx_gt_i32_e64 s2, v0
	s_cbranch_execz .LBB419_43
.LBB419_60:
	v_add_nc_u32_e32 v2, s1, v0
	v_lshrrev_b32_e32 v3, 24, v5
	v_add_nc_u32_e32 v0, 0x100, v0
	global_store_b8 v2, v3, s[4:5]
	s_or_b32 exec_lo, exec_lo, s0
	s_delay_alu instid0(SALU_CYCLE_1)
	s_mov_b32 s0, exec_lo
	v_cmpx_gt_i32_e64 s2, v0
	s_cbranch_execz .LBB419_44
.LBB419_61:
	v_add_nc_u32_e32 v2, s1, v0
	v_add_nc_u32_e32 v0, 0x100, v0
	global_store_b8 v2, v4, s[4:5]
	s_or_b32 exec_lo, exec_lo, s0
	s_delay_alu instid0(SALU_CYCLE_1)
	s_mov_b32 s0, exec_lo
	v_cmpx_gt_i32_e64 s2, v0
	s_cbranch_execz .LBB419_45
.LBB419_62:
	v_add_nc_u32_e32 v2, s1, v0
	v_lshrrev_b32_e32 v3, 8, v4
	v_add_nc_u32_e32 v0, 0x100, v0
	global_store_b8 v2, v3, s[4:5]
	s_or_b32 exec_lo, exec_lo, s0
	s_delay_alu instid0(SALU_CYCLE_1)
	s_mov_b32 s0, exec_lo
	v_cmpx_gt_i32_e64 s2, v0
	s_cbranch_execz .LBB419_46
.LBB419_63:
	v_add_nc_u32_e32 v2, s1, v0
	v_add_nc_u32_e32 v0, 0x100, v0
	global_store_d16_hi_b8 v2, v4, s[4:5]
	s_or_b32 exec_lo, exec_lo, s0
	s_delay_alu instid0(SALU_CYCLE_1)
	s_mov_b32 s0, exec_lo
	v_cmpx_gt_i32_e64 s2, v0
	s_cbranch_execz .LBB419_47
.LBB419_64:
	v_add_nc_u32_e32 v2, s1, v0
	v_lshrrev_b32_e32 v3, 24, v4
	v_add_nc_u32_e32 v0, 0x100, v0
	global_store_b8 v2, v3, s[4:5]
	s_or_b32 exec_lo, exec_lo, s0
	s_delay_alu instid0(SALU_CYCLE_1)
	s_mov_b32 s0, exec_lo
	v_cmpx_gt_i32_e64 s2, v0
	s_cbranch_execz .LBB419_48
.LBB419_65:
	v_add_nc_u32_e32 v2, s1, v0
	v_add_nc_u32_e32 v0, 0x100, v0
	global_store_b8 v2, v1, s[4:5]
	s_or_b32 exec_lo, exec_lo, s0
	s_delay_alu instid0(SALU_CYCLE_1)
	s_mov_b32 s0, exec_lo
	v_cmpx_gt_i32_e64 s2, v0
	s_cbranch_execz .LBB419_49
.LBB419_66:
	v_add_nc_u32_e32 v2, s1, v0
	v_lshrrev_b32_e32 v3, 8, v1
	v_add_nc_u32_e32 v0, 0x100, v0
	global_store_b8 v2, v3, s[4:5]
	s_or_b32 exec_lo, exec_lo, s0
	s_delay_alu instid0(SALU_CYCLE_1)
	s_mov_b32 s0, exec_lo
	v_cmpx_gt_i32_e64 s2, v0
	s_cbranch_execz .LBB419_50
.LBB419_67:
	v_add_nc_u32_e32 v2, s1, v0
	v_add_nc_u32_e32 v0, 0x100, v0
	global_store_d16_hi_b8 v2, v1, s[4:5]
	s_or_b32 exec_lo, exec_lo, s0
	s_delay_alu instid0(SALU_CYCLE_1)
	s_mov_b32 s0, exec_lo
	v_cmpx_gt_i32_e64 s2, v0
	s_cbranch_execnz .LBB419_51
	s_branch .LBB419_52
	.section	.rodata,"a",@progbits
	.p2align	6, 0x0
	.amdhsa_kernel _ZN2at6native29vectorized_elementwise_kernelILi8EZZZNS0_21clamp_max_kernel_cudaERNS_18TensorIteratorBaseERKN3c106ScalarEENKUlvE_clEvENKUlvE_clEvEUlhE_St5arrayIPcLm2EEEEviT0_T1_
		.amdhsa_group_segment_fixed_size 0
		.amdhsa_private_segment_fixed_size 0
		.amdhsa_kernarg_size 24
		.amdhsa_user_sgpr_count 15
		.amdhsa_user_sgpr_dispatch_ptr 0
		.amdhsa_user_sgpr_queue_ptr 0
		.amdhsa_user_sgpr_kernarg_segment_ptr 1
		.amdhsa_user_sgpr_dispatch_id 0
		.amdhsa_user_sgpr_private_segment_size 0
		.amdhsa_wavefront_size32 1
		.amdhsa_uses_dynamic_stack 0
		.amdhsa_enable_private_segment 0
		.amdhsa_system_sgpr_workgroup_id_x 1
		.amdhsa_system_sgpr_workgroup_id_y 0
		.amdhsa_system_sgpr_workgroup_id_z 0
		.amdhsa_system_sgpr_workgroup_info 0
		.amdhsa_system_vgpr_workitem_id 0
		.amdhsa_next_free_vgpr 23
		.amdhsa_next_free_sgpr 16
		.amdhsa_reserve_vcc 1
		.amdhsa_float_round_mode_32 0
		.amdhsa_float_round_mode_16_64 0
		.amdhsa_float_denorm_mode_32 3
		.amdhsa_float_denorm_mode_16_64 3
		.amdhsa_dx10_clamp 1
		.amdhsa_ieee_mode 1
		.amdhsa_fp16_overflow 0
		.amdhsa_workgroup_processor_mode 1
		.amdhsa_memory_ordered 1
		.amdhsa_forward_progress 0
		.amdhsa_shared_vgpr_count 0
		.amdhsa_exception_fp_ieee_invalid_op 0
		.amdhsa_exception_fp_denorm_src 0
		.amdhsa_exception_fp_ieee_div_zero 0
		.amdhsa_exception_fp_ieee_overflow 0
		.amdhsa_exception_fp_ieee_underflow 0
		.amdhsa_exception_fp_ieee_inexact 0
		.amdhsa_exception_int_div_zero 0
	.end_amdhsa_kernel
	.section	.text._ZN2at6native29vectorized_elementwise_kernelILi8EZZZNS0_21clamp_max_kernel_cudaERNS_18TensorIteratorBaseERKN3c106ScalarEENKUlvE_clEvENKUlvE_clEvEUlhE_St5arrayIPcLm2EEEEviT0_T1_,"axG",@progbits,_ZN2at6native29vectorized_elementwise_kernelILi8EZZZNS0_21clamp_max_kernel_cudaERNS_18TensorIteratorBaseERKN3c106ScalarEENKUlvE_clEvENKUlvE_clEvEUlhE_St5arrayIPcLm2EEEEviT0_T1_,comdat
.Lfunc_end419:
	.size	_ZN2at6native29vectorized_elementwise_kernelILi8EZZZNS0_21clamp_max_kernel_cudaERNS_18TensorIteratorBaseERKN3c106ScalarEENKUlvE_clEvENKUlvE_clEvEUlhE_St5arrayIPcLm2EEEEviT0_T1_, .Lfunc_end419-_ZN2at6native29vectorized_elementwise_kernelILi8EZZZNS0_21clamp_max_kernel_cudaERNS_18TensorIteratorBaseERKN3c106ScalarEENKUlvE_clEvENKUlvE_clEvEUlhE_St5arrayIPcLm2EEEEviT0_T1_
                                        ; -- End function
	.section	.AMDGPU.csdata,"",@progbits
; Kernel info:
; codeLenInByte = 3376
; NumSgprs: 18
; NumVgprs: 23
; ScratchSize: 0
; MemoryBound: 0
; FloatMode: 240
; IeeeMode: 1
; LDSByteSize: 0 bytes/workgroup (compile time only)
; SGPRBlocks: 2
; VGPRBlocks: 2
; NumSGPRsForWavesPerEU: 18
; NumVGPRsForWavesPerEU: 23
; Occupancy: 16
; WaveLimiterHint : 1
; COMPUTE_PGM_RSRC2:SCRATCH_EN: 0
; COMPUTE_PGM_RSRC2:USER_SGPR: 15
; COMPUTE_PGM_RSRC2:TRAP_HANDLER: 0
; COMPUTE_PGM_RSRC2:TGID_X_EN: 1
; COMPUTE_PGM_RSRC2:TGID_Y_EN: 0
; COMPUTE_PGM_RSRC2:TGID_Z_EN: 0
; COMPUTE_PGM_RSRC2:TIDIG_COMP_CNT: 0
	.section	.text._ZN2at6native29vectorized_elementwise_kernelILi4EZZZNS0_21clamp_max_kernel_cudaERNS_18TensorIteratorBaseERKN3c106ScalarEENKUlvE_clEvENKUlvE_clEvEUlhE_St5arrayIPcLm2EEEEviT0_T1_,"axG",@progbits,_ZN2at6native29vectorized_elementwise_kernelILi4EZZZNS0_21clamp_max_kernel_cudaERNS_18TensorIteratorBaseERKN3c106ScalarEENKUlvE_clEvENKUlvE_clEvEUlhE_St5arrayIPcLm2EEEEviT0_T1_,comdat
	.globl	_ZN2at6native29vectorized_elementwise_kernelILi4EZZZNS0_21clamp_max_kernel_cudaERNS_18TensorIteratorBaseERKN3c106ScalarEENKUlvE_clEvENKUlvE_clEvEUlhE_St5arrayIPcLm2EEEEviT0_T1_ ; -- Begin function _ZN2at6native29vectorized_elementwise_kernelILi4EZZZNS0_21clamp_max_kernel_cudaERNS_18TensorIteratorBaseERKN3c106ScalarEENKUlvE_clEvENKUlvE_clEvEUlhE_St5arrayIPcLm2EEEEviT0_T1_
	.p2align	8
	.type	_ZN2at6native29vectorized_elementwise_kernelILi4EZZZNS0_21clamp_max_kernel_cudaERNS_18TensorIteratorBaseERKN3c106ScalarEENKUlvE_clEvENKUlvE_clEvEUlhE_St5arrayIPcLm2EEEEviT0_T1_,@function
_ZN2at6native29vectorized_elementwise_kernelILi4EZZZNS0_21clamp_max_kernel_cudaERNS_18TensorIteratorBaseERKN3c106ScalarEENKUlvE_clEvENKUlvE_clEvEUlhE_St5arrayIPcLm2EEEEviT0_T1_: ; @_ZN2at6native29vectorized_elementwise_kernelILi4EZZZNS0_21clamp_max_kernel_cudaERNS_18TensorIteratorBaseERKN3c106ScalarEENKUlvE_clEvENKUlvE_clEvEUlhE_St5arrayIPcLm2EEEEviT0_T1_
; %bb.0:
	s_clause 0x1
	s_load_b64 s[2:3], s[0:1], 0x0
	s_load_b128 s[4:7], s[0:1], 0x8
	s_lshl_b32 s1, s15, 12
	s_mov_b32 s0, -1
	s_waitcnt lgkmcnt(0)
	v_and_b32_e64 v1, 0xff, s3
	s_sub_i32 s2, s2, s1
	s_delay_alu instid0(SALU_CYCLE_1)
	s_cmpk_gt_i32 s2, 0xfff
	s_cbranch_scc0 .LBB420_2
; %bb.1:
	v_lshlrev_b32_e32 v2, 2, v0
	s_ashr_i32 s0, s1, 31
	s_add_u32 s8, s6, s1
	s_addc_u32 s9, s7, s0
	s_clause 0x3
	global_load_b32 v3, v2, s[8:9]
	global_load_b32 v4, v2, s[8:9] offset:1024
	global_load_b32 v5, v2, s[8:9] offset:2048
	;; [unrolled: 1-line block ×3, first 2 shown]
	s_add_u32 s8, s4, s1
	s_addc_u32 s9, s5, s0
	s_mov_b32 s0, 0
	s_waitcnt vmcnt(3)
	v_lshrrev_b32_e32 v8, 8, v3
	v_lshrrev_b32_e32 v9, 16, v3
	s_waitcnt vmcnt(2)
	v_lshrrev_b32_e32 v11, 8, v4
	v_lshrrev_b32_e32 v12, 16, v4
	;; [unrolled: 3-line block ×4, first 2 shown]
	v_and_b32_e32 v8, 0xff, v8
	v_and_b32_e32 v9, 0xff, v9
	;; [unrolled: 1-line block ×9, first 2 shown]
	v_lshrrev_b32_e32 v3, 24, v3
	v_min_u16 v8, v8, v1
	v_min_u16 v9, v9, v1
	v_and_b32_e32 v10, 0xff, v4
	v_lshrrev_b32_e32 v4, 24, v4
	v_min_u16 v11, v11, v1
	v_min_u16 v12, v12, v1
	v_and_b32_e32 v13, 0xff, v5
	;; [unrolled: 4-line block ×3, first 2 shown]
	v_lshrrev_b32_e32 v6, 24, v6
	v_min_u16 v17, v17, v1
	v_min_u16 v18, v18, v1
	v_min_u16 v7, v7, v1
	v_min_u16 v3, v3, v1
	v_lshlrev_b32_e32 v9, 16, v9
	v_and_b32_e32 v8, 0xffff, v8
	v_min_u16 v10, v10, v1
	v_min_u16 v4, v4, v1
	v_lshlrev_b32_e32 v12, 16, v12
	v_and_b32_e32 v11, 0xffff, v11
	v_min_u16 v13, v13, v1
	v_min_u16 v5, v5, v1
	;; [unrolled: 4-line block ×3, first 2 shown]
	v_lshlrev_b32_e32 v18, 16, v18
	v_and_b32_e32 v17, 0xffff, v17
	v_and_b32_e32 v7, 0xffff, v7
	v_lshl_or_b32 v3, v3, 24, v9
	v_lshlrev_b32_e32 v8, 8, v8
	v_and_b32_e32 v10, 0xffff, v10
	v_lshl_or_b32 v4, v4, 24, v12
	v_lshlrev_b32_e32 v9, 8, v11
	;; [unrolled: 3-line block ×4, first 2 shown]
	v_or3_b32 v3, v3, v8, v7
	v_or3_b32 v4, v4, v9, v10
	;; [unrolled: 1-line block ×3, first 2 shown]
	s_delay_alu instid0(VALU_DEP_4)
	v_or3_b32 v6, v6, v12, v16
	s_clause 0x3
	global_store_b32 v2, v3, s[8:9]
	global_store_b32 v2, v4, s[8:9] offset:1024
	global_store_b32 v2, v5, s[8:9] offset:2048
	;; [unrolled: 1-line block ×3, first 2 shown]
.LBB420_2:
	s_and_not1_b32 vcc_lo, exec_lo, s0
	s_cbranch_vccnz .LBB420_52
; %bb.3:
	v_cmp_gt_i32_e32 vcc_lo, s2, v0
	v_dual_mov_b32 v5, 0 :: v_dual_mov_b32 v6, 0
	v_or_b32_e32 v2, s1, v0
	v_or_b32_e32 v3, 0x100, v0
	v_mov_b32_e32 v11, v0
	s_and_saveexec_b32 s0, vcc_lo
	s_cbranch_execz .LBB420_5
; %bb.4:
	global_load_u8 v6, v2, s[6:7]
	v_or_b32_e32 v11, 0x100, v0
.LBB420_5:
	s_or_b32 exec_lo, exec_lo, s0
	s_delay_alu instid0(SALU_CYCLE_1) | instskip(NEXT) | instid1(VALU_DEP_1)
	s_mov_b32 s3, exec_lo
	v_cmpx_gt_i32_e64 s2, v11
	s_cbranch_execz .LBB420_7
; %bb.6:
	v_add_nc_u32_e32 v4, s1, v11
	v_add_nc_u32_e32 v11, 0x100, v11
	global_load_u8 v5, v4, s[6:7]
.LBB420_7:
	s_or_b32 exec_lo, exec_lo, s3
	v_dual_mov_b32 v9, 0 :: v_dual_mov_b32 v12, 0
	s_mov_b32 s3, exec_lo
	v_cmpx_gt_i32_e64 s2, v11
	s_cbranch_execz .LBB420_9
; %bb.8:
	v_add_nc_u32_e32 v4, s1, v11
	v_add_nc_u32_e32 v11, 0x100, v11
	global_load_u8 v12, v4, s[6:7]
.LBB420_9:
	s_or_b32 exec_lo, exec_lo, s3
	s_delay_alu instid0(SALU_CYCLE_1)
	s_mov_b32 s3, exec_lo
	v_cmpx_gt_i32_e64 s2, v11
	s_cbranch_execz .LBB420_11
; %bb.10:
	v_add_nc_u32_e32 v4, s1, v11
	v_add_nc_u32_e32 v11, 0x100, v11
	global_load_u8 v9, v4, s[6:7]
.LBB420_11:
	s_or_b32 exec_lo, exec_lo, s3
	v_dual_mov_b32 v14, 0 :: v_dual_mov_b32 v15, 0
	s_mov_b32 s3, exec_lo
	v_cmpx_gt_i32_e64 s2, v11
	s_cbranch_execz .LBB420_13
; %bb.12:
	v_add_nc_u32_e32 v4, s1, v11
	v_add_nc_u32_e32 v11, 0x100, v11
	global_load_u8 v15, v4, s[6:7]
.LBB420_13:
	s_or_b32 exec_lo, exec_lo, s3
	s_delay_alu instid0(SALU_CYCLE_1)
	s_mov_b32 s3, exec_lo
	v_cmpx_gt_i32_e64 s2, v11
	s_cbranch_execz .LBB420_15
; %bb.14:
	v_add_nc_u32_e32 v4, s1, v11
	v_add_nc_u32_e32 v11, 0x100, v11
	global_load_u8 v14, v4, s[6:7]
.LBB420_15:
	s_or_b32 exec_lo, exec_lo, s3
	v_mov_b32_e32 v4, 0
	v_mov_b32_e32 v16, 0
	s_mov_b32 s3, exec_lo
	v_cmpx_gt_i32_e64 s2, v11
	s_cbranch_execz .LBB420_17
; %bb.16:
	v_add_nc_u32_e32 v7, s1, v11
	v_add_nc_u32_e32 v11, 0x100, v11
	global_load_u8 v16, v7, s[6:7]
.LBB420_17:
	s_or_b32 exec_lo, exec_lo, s3
	s_delay_alu instid0(SALU_CYCLE_1)
	s_mov_b32 s3, exec_lo
	v_cmpx_gt_i32_e64 s2, v11
	s_cbranch_execz .LBB420_19
; %bb.18:
	v_add_nc_u32_e32 v4, s1, v11
	v_add_nc_u32_e32 v11, 0x100, v11
	global_load_u8 v4, v4, s[6:7]
.LBB420_19:
	s_or_b32 exec_lo, exec_lo, s3
	v_dual_mov_b32 v10, 0 :: v_dual_mov_b32 v7, 0
	s_mov_b32 s3, exec_lo
	v_cmpx_gt_i32_e64 s2, v11
	s_cbranch_execz .LBB420_21
; %bb.20:
	v_add_nc_u32_e32 v7, s1, v11
	v_add_nc_u32_e32 v11, 0x100, v11
	global_load_u8 v7, v7, s[6:7]
.LBB420_21:
	s_or_b32 exec_lo, exec_lo, s3
	s_delay_alu instid0(SALU_CYCLE_1)
	s_mov_b32 s3, exec_lo
	v_cmpx_gt_i32_e64 s2, v11
	s_cbranch_execz .LBB420_23
; %bb.22:
	v_add_nc_u32_e32 v8, s1, v11
	v_add_nc_u32_e32 v11, 0x100, v11
	global_load_u8 v10, v8, s[6:7]
.LBB420_23:
	s_or_b32 exec_lo, exec_lo, s3
	v_dual_mov_b32 v8, 0 :: v_dual_mov_b32 v13, 0
	s_mov_b32 s3, exec_lo
	v_cmpx_gt_i32_e64 s2, v11
	s_cbranch_execz .LBB420_25
; %bb.24:
	v_add_nc_u32_e32 v13, s1, v11
	v_add_nc_u32_e32 v11, 0x100, v11
	global_load_u8 v13, v13, s[6:7]
.LBB420_25:
	s_or_b32 exec_lo, exec_lo, s3
	s_delay_alu instid0(SALU_CYCLE_1)
	s_mov_b32 s3, exec_lo
	v_cmpx_gt_i32_e64 s2, v11
	s_cbranch_execz .LBB420_27
; %bb.26:
	v_add_nc_u32_e32 v8, s1, v11
	v_add_nc_u32_e32 v11, 0x100, v11
	global_load_u8 v8, v8, s[6:7]
.LBB420_27:
	s_or_b32 exec_lo, exec_lo, s3
	v_mov_b32_e32 v18, 0
	v_mov_b32_e32 v20, 0
	s_mov_b32 s3, exec_lo
	v_cmpx_gt_i32_e64 s2, v11
	s_cbranch_execz .LBB420_29
; %bb.28:
	v_add_nc_u32_e32 v17, s1, v11
	v_add_nc_u32_e32 v11, 0x100, v11
	global_load_u8 v20, v17, s[6:7]
.LBB420_29:
	s_or_b32 exec_lo, exec_lo, s3
	s_delay_alu instid0(SALU_CYCLE_1)
	s_mov_b32 s3, exec_lo
	v_cmpx_gt_i32_e64 s2, v11
	s_cbranch_execz .LBB420_31
; %bb.30:
	v_add_nc_u32_e32 v17, s1, v11
	v_add_nc_u32_e32 v11, 0x100, v11
	global_load_u8 v18, v17, s[6:7]
.LBB420_31:
	s_or_b32 exec_lo, exec_lo, s3
	v_mov_b32_e32 v17, 0
	v_mov_b32_e32 v19, 0
	s_mov_b32 s3, exec_lo
	v_cmpx_gt_i32_e64 s2, v11
	s_cbranch_execz .LBB420_33
; %bb.32:
	v_add_nc_u32_e32 v19, s1, v11
	v_add_nc_u32_e32 v11, 0x100, v11
	global_load_u8 v19, v19, s[6:7]
.LBB420_33:
	s_or_b32 exec_lo, exec_lo, s3
	s_delay_alu instid0(SALU_CYCLE_1)
	s_mov_b32 s3, exec_lo
	v_cmpx_gt_i32_e64 s2, v11
	s_cbranch_execz .LBB420_35
; %bb.34:
	v_add_nc_u32_e32 v11, s1, v11
	global_load_u8 v17, v11, s[6:7]
.LBB420_35:
	s_or_b32 exec_lo, exec_lo, s3
	s_waitcnt vmcnt(0)
	v_and_b32_e32 v5, 0xff, v5
	v_and_b32_e32 v6, 0xff, v6
	;; [unrolled: 1-line block ×3, first 2 shown]
	v_or_b32_e32 v21, 0x400, v0
	v_and_b32_e32 v12, 0xff, v12
	v_min_u16 v5, v5, v1
	v_min_u16 v6, v6, v1
	;; [unrolled: 1-line block ×3, first 2 shown]
	v_and_b32_e32 v14, 0xff, v14
	v_cmp_gt_i32_e64 s0, s2, v21
	v_lshlrev_b16 v5, 8, v5
	v_min_u16 v12, v12, v1
	v_and_b32_e32 v11, 0xffff, v11
	v_min_u16 v14, v14, v1
	v_or_b32_e32 v15, 0x200, v0
	v_or_b32_e32 v5, v6, v5
	v_and_b32_e32 v6, 0xffff, v6
	v_cndmask_b32_e64 v11, 0, v11, s0
	v_cmp_gt_i32_e64 s0, s2, v3
	v_lshlrev_b16 v14, 8, v14
	v_and_b32_e32 v5, 0xffff, v5
	v_lshlrev_b32_e32 v12, 16, v12
	v_and_b32_e32 v21, 0xff, v11
	v_or_b32_e32 v22, 0x500, v0
	v_and_b32_e32 v18, 0xff, v18
	v_cndmask_b32_e64 v5, v6, v5, s0
	v_and_b32_e32 v6, 0xff, v16
	v_or_b32_e32 v14, v21, v14
	v_and_b32_e32 v16, 0xff, v20
	v_cmp_gt_i32_e64 s0, s2, v15
	v_or_b32_e32 v12, v5, v12
	v_or_b32_e32 v20, 0xc00, v0
	v_and_b32_e32 v14, 0xffff, v14
	v_min_u16 v16, v16, v1
	v_and_b32_e32 v9, 0xff, v9
	v_cndmask_b32_e64 v5, v5, v12, s0
	v_cmp_gt_i32_e64 s0, s2, v22
	v_min_u16 v15, v18, v1
	v_and_b32_e32 v12, 0xffff, v16
	v_min_u16 v9, v9, v1
	v_min_u16 v6, v6, v1
	v_cndmask_b32_e64 v11, v11, v14, s0
	v_cmp_gt_i32_e64 s0, s2, v20
	v_lshrrev_b32_e32 v14, 16, v5
	v_lshlrev_b16 v15, 8, v15
	v_lshlrev_b16 v9, 8, v9
	v_lshrrev_b32_e32 v16, 16, v11
	v_cndmask_b32_e64 v12, 0, v12, s0
	v_and_b32_e32 v14, 0xff, v14
	v_and_b32_e32 v10, 0xff, v10
	;; [unrolled: 1-line block ×5, first 2 shown]
	v_or_b32_e32 v9, v14, v9
	v_or_b32_e32 v14, 0x600, v0
	v_min_u16 v10, v10, v1
	v_or_b32_e32 v6, v6, v16
	v_or_b32_e32 v15, v18, v15
	;; [unrolled: 1-line block ×3, first 2 shown]
	v_min_u16 v7, v7, v1
	v_lshlrev_b16 v10, 8, v10
	v_lshlrev_b32_e32 v6, 16, v6
	v_and_b32_e32 v15, 0xffff, v15
	v_cmp_gt_i32_e64 s0, s2, v16
	v_and_b32_e32 v4, 0xff, v4
	v_and_b32_e32 v8, 0xff, v8
	v_and_or_b32 v6, 0xffff, v11, v6
	v_lshlrev_b32_e32 v9, 16, v9
	v_cndmask_b32_e64 v12, v12, v15, s0
	v_cmp_gt_i32_e64 s0, s2, v14
	v_and_b32_e32 v14, 0xff, v19
	v_and_b32_e32 v15, 0xffff, v7
	v_or_b32_e32 v7, v7, v10
	v_and_b32_e32 v10, 0xff, v13
	v_cndmask_b32_e64 v11, v11, v6, s0
	v_lshrrev_b32_e32 v6, 16, v12
	v_min_u16 v13, v14, v1
	v_or_b32_e32 v14, 0x900, v0
	v_and_b32_e32 v7, 0xffff, v7
	v_min_u16 v10, v10, v1
	v_and_b32_e32 v6, 0xffffff00, v6
	v_lshrrev_b32_e32 v16, 16, v11
	v_cmp_gt_i32_e64 s0, s2, v14
	v_or_b32_e32 v14, 0xa00, v0
	v_lshlrev_b32_e32 v10, 16, v10
	v_or_b32_e32 v6, v13, v6
	v_min_u16 v4, v4, v1
	v_cndmask_b32_e64 v7, v15, v7, s0
	v_or_b32_e32 v15, 0xe00, v0
	v_cmp_gt_i32_e64 s0, s2, v14
	v_lshlrev_b32_e32 v6, 16, v6
	v_and_b32_e32 v13, 0xff, v16
	v_or_b32_e32 v10, v7, v10
	v_lshlrev_b16 v4, 8, v4
	v_min_u16 v8, v8, v1
	v_and_or_b32 v6, 0xffff, v12, v6
	v_and_or_b32 v9, 0xffff, v5, v9
	v_cndmask_b32_e64 v7, v7, v10, s0
	v_cmp_gt_i32_e64 s0, s2, v15
	v_or_b32_e32 v4, v13, v4
	v_lshlrev_b16 v8, 8, v8
	v_or_b32_e32 v13, 0x300, v0
	s_delay_alu instid0(VALU_DEP_4) | instskip(SKIP_2) | instid1(VALU_DEP_4)
	v_cndmask_b32_e64 v10, v12, v6, s0
	v_and_b32_e32 v6, 0xff, v17
	v_lshrrev_b32_e32 v12, 16, v7
	v_cmp_gt_i32_e64 s0, s2, v13
	v_lshlrev_b32_e32 v4, 16, v4
	v_lshrrev_b32_e32 v14, 16, v10
	v_min_u16 v1, v6, v1
	v_and_b32_e32 v6, 0xff, v12
	v_or_b32_e32 v13, 0xf00, v0
	v_and_or_b32 v4, 0xffff, v11, v4
	v_and_b32_e32 v12, 0xff, v14
	v_lshlrev_b16 v1, 8, v1
	v_or_b32_e32 v8, v6, v8
	v_cndmask_b32_e64 v6, v5, v9, s0
	v_or_b32_e32 v9, 0xb00, v0
	s_delay_alu instid0(VALU_DEP_4) | instskip(NEXT) | instid1(VALU_DEP_4)
	v_or_b32_e32 v1, v12, v1
	v_lshlrev_b32_e32 v5, 16, v8
	v_or_b32_e32 v8, 0x700, v0
	s_delay_alu instid0(VALU_DEP_3) | instskip(NEXT) | instid1(VALU_DEP_3)
	v_lshlrev_b32_e32 v1, 16, v1
	v_and_or_b32 v12, 0xffff, v7, v5
	s_delay_alu instid0(VALU_DEP_3) | instskip(NEXT) | instid1(VALU_DEP_3)
	v_cmp_gt_i32_e64 s0, s2, v8
	v_and_or_b32 v1, 0xffff, v10, v1
	s_delay_alu instid0(VALU_DEP_2) | instskip(SKIP_1) | instid1(VALU_DEP_1)
	v_cndmask_b32_e64 v5, v11, v4, s0
	v_cmp_gt_i32_e64 s0, s2, v9
	v_cndmask_b32_e64 v4, v7, v12, s0
	v_cmp_gt_i32_e64 s0, s2, v13
	s_delay_alu instid0(VALU_DEP_1)
	v_cndmask_b32_e64 v1, v10, v1, s0
	s_and_saveexec_b32 s0, vcc_lo
	s_cbranch_execnz .LBB420_53
; %bb.36:
	s_or_b32 exec_lo, exec_lo, s0
	s_delay_alu instid0(SALU_CYCLE_1)
	s_mov_b32 s0, exec_lo
	v_cmpx_gt_i32_e64 s2, v0
	s_cbranch_execnz .LBB420_54
.LBB420_37:
	s_or_b32 exec_lo, exec_lo, s0
	s_delay_alu instid0(SALU_CYCLE_1)
	s_mov_b32 s0, exec_lo
	v_cmpx_gt_i32_e64 s2, v0
	s_cbranch_execnz .LBB420_55
.LBB420_38:
	s_or_b32 exec_lo, exec_lo, s0
	s_delay_alu instid0(SALU_CYCLE_1)
	s_mov_b32 s0, exec_lo
	v_cmpx_gt_i32_e64 s2, v0
	s_cbranch_execnz .LBB420_56
.LBB420_39:
	s_or_b32 exec_lo, exec_lo, s0
	s_delay_alu instid0(SALU_CYCLE_1)
	s_mov_b32 s0, exec_lo
	v_cmpx_gt_i32_e64 s2, v0
	s_cbranch_execnz .LBB420_57
.LBB420_40:
	s_or_b32 exec_lo, exec_lo, s0
	s_delay_alu instid0(SALU_CYCLE_1)
	s_mov_b32 s0, exec_lo
	v_cmpx_gt_i32_e64 s2, v0
	s_cbranch_execnz .LBB420_58
.LBB420_41:
	s_or_b32 exec_lo, exec_lo, s0
	s_delay_alu instid0(SALU_CYCLE_1)
	s_mov_b32 s0, exec_lo
	v_cmpx_gt_i32_e64 s2, v0
	s_cbranch_execnz .LBB420_59
.LBB420_42:
	s_or_b32 exec_lo, exec_lo, s0
	s_delay_alu instid0(SALU_CYCLE_1)
	s_mov_b32 s0, exec_lo
	v_cmpx_gt_i32_e64 s2, v0
	s_cbranch_execnz .LBB420_60
.LBB420_43:
	s_or_b32 exec_lo, exec_lo, s0
	s_delay_alu instid0(SALU_CYCLE_1)
	s_mov_b32 s0, exec_lo
	v_cmpx_gt_i32_e64 s2, v0
	s_cbranch_execnz .LBB420_61
.LBB420_44:
	s_or_b32 exec_lo, exec_lo, s0
	s_delay_alu instid0(SALU_CYCLE_1)
	s_mov_b32 s0, exec_lo
	v_cmpx_gt_i32_e64 s2, v0
	s_cbranch_execnz .LBB420_62
.LBB420_45:
	s_or_b32 exec_lo, exec_lo, s0
	s_delay_alu instid0(SALU_CYCLE_1)
	s_mov_b32 s0, exec_lo
	v_cmpx_gt_i32_e64 s2, v0
	s_cbranch_execnz .LBB420_63
.LBB420_46:
	s_or_b32 exec_lo, exec_lo, s0
	s_delay_alu instid0(SALU_CYCLE_1)
	s_mov_b32 s0, exec_lo
	v_cmpx_gt_i32_e64 s2, v0
	s_cbranch_execnz .LBB420_64
.LBB420_47:
	s_or_b32 exec_lo, exec_lo, s0
	s_delay_alu instid0(SALU_CYCLE_1)
	s_mov_b32 s0, exec_lo
	v_cmpx_gt_i32_e64 s2, v0
	s_cbranch_execnz .LBB420_65
.LBB420_48:
	s_or_b32 exec_lo, exec_lo, s0
	s_delay_alu instid0(SALU_CYCLE_1)
	s_mov_b32 s0, exec_lo
	v_cmpx_gt_i32_e64 s2, v0
	s_cbranch_execnz .LBB420_66
.LBB420_49:
	s_or_b32 exec_lo, exec_lo, s0
	s_delay_alu instid0(SALU_CYCLE_1)
	s_mov_b32 s0, exec_lo
	v_cmpx_gt_i32_e64 s2, v0
	s_cbranch_execnz .LBB420_67
.LBB420_50:
	s_or_b32 exec_lo, exec_lo, s0
	s_delay_alu instid0(SALU_CYCLE_1)
	s_mov_b32 s0, exec_lo
	v_cmpx_gt_i32_e64 s2, v0
	s_cbranch_execz .LBB420_52
.LBB420_51:
	v_add_nc_u32_e32 v0, s1, v0
	v_lshrrev_b32_e32 v1, 24, v1
	global_store_b8 v0, v1, s[4:5]
.LBB420_52:
	s_nop 0
	s_sendmsg sendmsg(MSG_DEALLOC_VGPRS)
	s_endpgm
.LBB420_53:
	v_mov_b32_e32 v0, v3
	global_store_b8 v2, v6, s[4:5]
	s_or_b32 exec_lo, exec_lo, s0
	s_delay_alu instid0(SALU_CYCLE_1)
	s_mov_b32 s0, exec_lo
	v_cmpx_gt_i32_e64 s2, v0
	s_cbranch_execz .LBB420_37
.LBB420_54:
	v_add_nc_u32_e32 v2, s1, v0
	v_lshrrev_b32_e32 v3, 8, v6
	v_add_nc_u32_e32 v0, 0x100, v0
	global_store_b8 v2, v3, s[4:5]
	s_or_b32 exec_lo, exec_lo, s0
	s_delay_alu instid0(SALU_CYCLE_1)
	s_mov_b32 s0, exec_lo
	v_cmpx_gt_i32_e64 s2, v0
	s_cbranch_execz .LBB420_38
.LBB420_55:
	v_add_nc_u32_e32 v2, s1, v0
	v_add_nc_u32_e32 v0, 0x100, v0
	global_store_d16_hi_b8 v2, v6, s[4:5]
	s_or_b32 exec_lo, exec_lo, s0
	s_delay_alu instid0(SALU_CYCLE_1)
	s_mov_b32 s0, exec_lo
	v_cmpx_gt_i32_e64 s2, v0
	s_cbranch_execz .LBB420_39
.LBB420_56:
	v_add_nc_u32_e32 v2, s1, v0
	v_lshrrev_b32_e32 v3, 24, v6
	v_add_nc_u32_e32 v0, 0x100, v0
	global_store_b8 v2, v3, s[4:5]
	s_or_b32 exec_lo, exec_lo, s0
	s_delay_alu instid0(SALU_CYCLE_1)
	s_mov_b32 s0, exec_lo
	v_cmpx_gt_i32_e64 s2, v0
	s_cbranch_execz .LBB420_40
.LBB420_57:
	v_add_nc_u32_e32 v2, s1, v0
	v_add_nc_u32_e32 v0, 0x100, v0
	global_store_b8 v2, v5, s[4:5]
	s_or_b32 exec_lo, exec_lo, s0
	s_delay_alu instid0(SALU_CYCLE_1)
	s_mov_b32 s0, exec_lo
	v_cmpx_gt_i32_e64 s2, v0
	s_cbranch_execz .LBB420_41
.LBB420_58:
	v_add_nc_u32_e32 v2, s1, v0
	v_lshrrev_b32_e32 v3, 8, v5
	v_add_nc_u32_e32 v0, 0x100, v0
	global_store_b8 v2, v3, s[4:5]
	s_or_b32 exec_lo, exec_lo, s0
	s_delay_alu instid0(SALU_CYCLE_1)
	s_mov_b32 s0, exec_lo
	v_cmpx_gt_i32_e64 s2, v0
	s_cbranch_execz .LBB420_42
.LBB420_59:
	v_add_nc_u32_e32 v2, s1, v0
	v_add_nc_u32_e32 v0, 0x100, v0
	global_store_d16_hi_b8 v2, v5, s[4:5]
	s_or_b32 exec_lo, exec_lo, s0
	s_delay_alu instid0(SALU_CYCLE_1)
	s_mov_b32 s0, exec_lo
	v_cmpx_gt_i32_e64 s2, v0
	s_cbranch_execz .LBB420_43
.LBB420_60:
	v_add_nc_u32_e32 v2, s1, v0
	v_lshrrev_b32_e32 v3, 24, v5
	v_add_nc_u32_e32 v0, 0x100, v0
	global_store_b8 v2, v3, s[4:5]
	s_or_b32 exec_lo, exec_lo, s0
	s_delay_alu instid0(SALU_CYCLE_1)
	s_mov_b32 s0, exec_lo
	v_cmpx_gt_i32_e64 s2, v0
	s_cbranch_execz .LBB420_44
.LBB420_61:
	v_add_nc_u32_e32 v2, s1, v0
	v_add_nc_u32_e32 v0, 0x100, v0
	global_store_b8 v2, v4, s[4:5]
	s_or_b32 exec_lo, exec_lo, s0
	s_delay_alu instid0(SALU_CYCLE_1)
	s_mov_b32 s0, exec_lo
	v_cmpx_gt_i32_e64 s2, v0
	s_cbranch_execz .LBB420_45
.LBB420_62:
	v_add_nc_u32_e32 v2, s1, v0
	v_lshrrev_b32_e32 v3, 8, v4
	v_add_nc_u32_e32 v0, 0x100, v0
	global_store_b8 v2, v3, s[4:5]
	s_or_b32 exec_lo, exec_lo, s0
	s_delay_alu instid0(SALU_CYCLE_1)
	s_mov_b32 s0, exec_lo
	v_cmpx_gt_i32_e64 s2, v0
	s_cbranch_execz .LBB420_46
.LBB420_63:
	v_add_nc_u32_e32 v2, s1, v0
	v_add_nc_u32_e32 v0, 0x100, v0
	global_store_d16_hi_b8 v2, v4, s[4:5]
	s_or_b32 exec_lo, exec_lo, s0
	s_delay_alu instid0(SALU_CYCLE_1)
	s_mov_b32 s0, exec_lo
	v_cmpx_gt_i32_e64 s2, v0
	s_cbranch_execz .LBB420_47
.LBB420_64:
	v_add_nc_u32_e32 v2, s1, v0
	v_lshrrev_b32_e32 v3, 24, v4
	v_add_nc_u32_e32 v0, 0x100, v0
	global_store_b8 v2, v3, s[4:5]
	s_or_b32 exec_lo, exec_lo, s0
	s_delay_alu instid0(SALU_CYCLE_1)
	s_mov_b32 s0, exec_lo
	v_cmpx_gt_i32_e64 s2, v0
	s_cbranch_execz .LBB420_48
.LBB420_65:
	v_add_nc_u32_e32 v2, s1, v0
	v_add_nc_u32_e32 v0, 0x100, v0
	global_store_b8 v2, v1, s[4:5]
	s_or_b32 exec_lo, exec_lo, s0
	s_delay_alu instid0(SALU_CYCLE_1)
	s_mov_b32 s0, exec_lo
	v_cmpx_gt_i32_e64 s2, v0
	s_cbranch_execz .LBB420_49
.LBB420_66:
	v_add_nc_u32_e32 v2, s1, v0
	v_lshrrev_b32_e32 v3, 8, v1
	v_add_nc_u32_e32 v0, 0x100, v0
	global_store_b8 v2, v3, s[4:5]
	s_or_b32 exec_lo, exec_lo, s0
	s_delay_alu instid0(SALU_CYCLE_1)
	s_mov_b32 s0, exec_lo
	v_cmpx_gt_i32_e64 s2, v0
	s_cbranch_execz .LBB420_50
.LBB420_67:
	v_add_nc_u32_e32 v2, s1, v0
	v_add_nc_u32_e32 v0, 0x100, v0
	global_store_d16_hi_b8 v2, v1, s[4:5]
	s_or_b32 exec_lo, exec_lo, s0
	s_delay_alu instid0(SALU_CYCLE_1)
	s_mov_b32 s0, exec_lo
	v_cmpx_gt_i32_e64 s2, v0
	s_cbranch_execnz .LBB420_51
	s_branch .LBB420_52
	.section	.rodata,"a",@progbits
	.p2align	6, 0x0
	.amdhsa_kernel _ZN2at6native29vectorized_elementwise_kernelILi4EZZZNS0_21clamp_max_kernel_cudaERNS_18TensorIteratorBaseERKN3c106ScalarEENKUlvE_clEvENKUlvE_clEvEUlhE_St5arrayIPcLm2EEEEviT0_T1_
		.amdhsa_group_segment_fixed_size 0
		.amdhsa_private_segment_fixed_size 0
		.amdhsa_kernarg_size 24
		.amdhsa_user_sgpr_count 15
		.amdhsa_user_sgpr_dispatch_ptr 0
		.amdhsa_user_sgpr_queue_ptr 0
		.amdhsa_user_sgpr_kernarg_segment_ptr 1
		.amdhsa_user_sgpr_dispatch_id 0
		.amdhsa_user_sgpr_private_segment_size 0
		.amdhsa_wavefront_size32 1
		.amdhsa_uses_dynamic_stack 0
		.amdhsa_enable_private_segment 0
		.amdhsa_system_sgpr_workgroup_id_x 1
		.amdhsa_system_sgpr_workgroup_id_y 0
		.amdhsa_system_sgpr_workgroup_id_z 0
		.amdhsa_system_sgpr_workgroup_info 0
		.amdhsa_system_vgpr_workitem_id 0
		.amdhsa_next_free_vgpr 23
		.amdhsa_next_free_sgpr 16
		.amdhsa_reserve_vcc 1
		.amdhsa_float_round_mode_32 0
		.amdhsa_float_round_mode_16_64 0
		.amdhsa_float_denorm_mode_32 3
		.amdhsa_float_denorm_mode_16_64 3
		.amdhsa_dx10_clamp 1
		.amdhsa_ieee_mode 1
		.amdhsa_fp16_overflow 0
		.amdhsa_workgroup_processor_mode 1
		.amdhsa_memory_ordered 1
		.amdhsa_forward_progress 0
		.amdhsa_shared_vgpr_count 0
		.amdhsa_exception_fp_ieee_invalid_op 0
		.amdhsa_exception_fp_denorm_src 0
		.amdhsa_exception_fp_ieee_div_zero 0
		.amdhsa_exception_fp_ieee_overflow 0
		.amdhsa_exception_fp_ieee_underflow 0
		.amdhsa_exception_fp_ieee_inexact 0
		.amdhsa_exception_int_div_zero 0
	.end_amdhsa_kernel
	.section	.text._ZN2at6native29vectorized_elementwise_kernelILi4EZZZNS0_21clamp_max_kernel_cudaERNS_18TensorIteratorBaseERKN3c106ScalarEENKUlvE_clEvENKUlvE_clEvEUlhE_St5arrayIPcLm2EEEEviT0_T1_,"axG",@progbits,_ZN2at6native29vectorized_elementwise_kernelILi4EZZZNS0_21clamp_max_kernel_cudaERNS_18TensorIteratorBaseERKN3c106ScalarEENKUlvE_clEvENKUlvE_clEvEUlhE_St5arrayIPcLm2EEEEviT0_T1_,comdat
.Lfunc_end420:
	.size	_ZN2at6native29vectorized_elementwise_kernelILi4EZZZNS0_21clamp_max_kernel_cudaERNS_18TensorIteratorBaseERKN3c106ScalarEENKUlvE_clEvENKUlvE_clEvEUlhE_St5arrayIPcLm2EEEEviT0_T1_, .Lfunc_end420-_ZN2at6native29vectorized_elementwise_kernelILi4EZZZNS0_21clamp_max_kernel_cudaERNS_18TensorIteratorBaseERKN3c106ScalarEENKUlvE_clEvENKUlvE_clEvEUlhE_St5arrayIPcLm2EEEEviT0_T1_
                                        ; -- End function
	.section	.AMDGPU.csdata,"",@progbits
; Kernel info:
; codeLenInByte = 3416
; NumSgprs: 18
; NumVgprs: 23
; ScratchSize: 0
; MemoryBound: 0
; FloatMode: 240
; IeeeMode: 1
; LDSByteSize: 0 bytes/workgroup (compile time only)
; SGPRBlocks: 2
; VGPRBlocks: 2
; NumSGPRsForWavesPerEU: 18
; NumVGPRsForWavesPerEU: 23
; Occupancy: 16
; WaveLimiterHint : 1
; COMPUTE_PGM_RSRC2:SCRATCH_EN: 0
; COMPUTE_PGM_RSRC2:USER_SGPR: 15
; COMPUTE_PGM_RSRC2:TRAP_HANDLER: 0
; COMPUTE_PGM_RSRC2:TGID_X_EN: 1
; COMPUTE_PGM_RSRC2:TGID_Y_EN: 0
; COMPUTE_PGM_RSRC2:TGID_Z_EN: 0
; COMPUTE_PGM_RSRC2:TIDIG_COMP_CNT: 0
	.section	.text._ZN2at6native29vectorized_elementwise_kernelILi2EZZZNS0_21clamp_max_kernel_cudaERNS_18TensorIteratorBaseERKN3c106ScalarEENKUlvE_clEvENKUlvE_clEvEUlhE_St5arrayIPcLm2EEEEviT0_T1_,"axG",@progbits,_ZN2at6native29vectorized_elementwise_kernelILi2EZZZNS0_21clamp_max_kernel_cudaERNS_18TensorIteratorBaseERKN3c106ScalarEENKUlvE_clEvENKUlvE_clEvEUlhE_St5arrayIPcLm2EEEEviT0_T1_,comdat
	.globl	_ZN2at6native29vectorized_elementwise_kernelILi2EZZZNS0_21clamp_max_kernel_cudaERNS_18TensorIteratorBaseERKN3c106ScalarEENKUlvE_clEvENKUlvE_clEvEUlhE_St5arrayIPcLm2EEEEviT0_T1_ ; -- Begin function _ZN2at6native29vectorized_elementwise_kernelILi2EZZZNS0_21clamp_max_kernel_cudaERNS_18TensorIteratorBaseERKN3c106ScalarEENKUlvE_clEvENKUlvE_clEvEUlhE_St5arrayIPcLm2EEEEviT0_T1_
	.p2align	8
	.type	_ZN2at6native29vectorized_elementwise_kernelILi2EZZZNS0_21clamp_max_kernel_cudaERNS_18TensorIteratorBaseERKN3c106ScalarEENKUlvE_clEvENKUlvE_clEvEUlhE_St5arrayIPcLm2EEEEviT0_T1_,@function
_ZN2at6native29vectorized_elementwise_kernelILi2EZZZNS0_21clamp_max_kernel_cudaERNS_18TensorIteratorBaseERKN3c106ScalarEENKUlvE_clEvENKUlvE_clEvEUlhE_St5arrayIPcLm2EEEEviT0_T1_: ; @_ZN2at6native29vectorized_elementwise_kernelILi2EZZZNS0_21clamp_max_kernel_cudaERNS_18TensorIteratorBaseERKN3c106ScalarEENKUlvE_clEvENKUlvE_clEvEUlhE_St5arrayIPcLm2EEEEviT0_T1_
; %bb.0:
	s_clause 0x1
	s_load_b64 s[2:3], s[0:1], 0x0
	s_load_b128 s[4:7], s[0:1], 0x8
	s_lshl_b32 s1, s15, 12
	s_mov_b32 s0, -1
	s_waitcnt lgkmcnt(0)
	v_and_b32_e64 v1, 0xff, s3
	s_sub_i32 s2, s2, s1
	s_delay_alu instid0(SALU_CYCLE_1)
	s_cmpk_gt_i32 s2, 0xfff
	s_cbranch_scc0 .LBB421_2
; %bb.1:
	v_lshlrev_b32_e32 v2, 1, v0
	s_ashr_i32 s3, s1, 31
	s_add_u32 s8, s6, s1
	s_addc_u32 s9, s7, s3
	s_mov_b32 s0, 0
	s_clause 0x7
	global_load_u16 v3, v2, s[8:9]
	global_load_u16 v4, v2, s[8:9] offset:512
	global_load_u16 v5, v2, s[8:9] offset:1024
	;; [unrolled: 1-line block ×7, first 2 shown]
	s_add_u32 s8, s4, s1
	s_addc_u32 s9, s5, s3
	s_waitcnt vmcnt(7)
	v_and_b32_e32 v11, 0xff, v3
	v_lshrrev_b16 v3, 8, v3
	s_waitcnt vmcnt(6)
	v_and_b32_e32 v12, 0xff, v4
	v_lshrrev_b16 v4, 8, v4
	;; [unrolled: 3-line block ×8, first 2 shown]
	v_min_u16 v3, v3, v1
	v_min_u16 v4, v4, v1
	;; [unrolled: 1-line block ×9, first 2 shown]
	v_lshlrev_b16 v3, 8, v3
	v_min_u16 v12, v12, v1
	v_lshlrev_b16 v4, 8, v4
	v_min_u16 v13, v13, v1
	;; [unrolled: 2-line block ×5, first 2 shown]
	v_min_u16 v17, v17, v1
	v_min_u16 v18, v18, v1
	v_lshlrev_b16 v8, 8, v8
	v_lshlrev_b16 v9, 8, v9
	;; [unrolled: 1-line block ×3, first 2 shown]
	v_or_b32_e32 v3, v3, v11
	v_or_b32_e32 v4, v4, v12
	;; [unrolled: 1-line block ×8, first 2 shown]
	s_clause 0x7
	global_store_b16 v2, v3, s[8:9]
	global_store_b16 v2, v4, s[8:9] offset:512
	global_store_b16 v2, v5, s[8:9] offset:1024
	global_store_b16 v2, v6, s[8:9] offset:1536
	global_store_b16 v2, v7, s[8:9] offset:2048
	global_store_b16 v2, v8, s[8:9] offset:2560
	global_store_b16 v2, v9, s[8:9] offset:3072
	global_store_b16 v2, v10, s[8:9] offset:3584
.LBB421_2:
	s_and_not1_b32 vcc_lo, exec_lo, s0
	s_cbranch_vccnz .LBB421_52
; %bb.3:
	v_cmp_gt_i32_e32 vcc_lo, s2, v0
	v_dual_mov_b32 v5, 0 :: v_dual_mov_b32 v6, 0
	v_or_b32_e32 v2, s1, v0
	v_or_b32_e32 v3, 0x100, v0
	v_mov_b32_e32 v11, v0
	s_and_saveexec_b32 s0, vcc_lo
	s_cbranch_execz .LBB421_5
; %bb.4:
	global_load_u8 v6, v2, s[6:7]
	v_or_b32_e32 v11, 0x100, v0
.LBB421_5:
	s_or_b32 exec_lo, exec_lo, s0
	s_delay_alu instid0(SALU_CYCLE_1) | instskip(NEXT) | instid1(VALU_DEP_1)
	s_mov_b32 s3, exec_lo
	v_cmpx_gt_i32_e64 s2, v11
	s_cbranch_execz .LBB421_7
; %bb.6:
	v_add_nc_u32_e32 v4, s1, v11
	v_add_nc_u32_e32 v11, 0x100, v11
	global_load_u8 v5, v4, s[6:7]
.LBB421_7:
	s_or_b32 exec_lo, exec_lo, s3
	v_dual_mov_b32 v9, 0 :: v_dual_mov_b32 v12, 0
	s_mov_b32 s3, exec_lo
	v_cmpx_gt_i32_e64 s2, v11
	s_cbranch_execz .LBB421_9
; %bb.8:
	v_add_nc_u32_e32 v4, s1, v11
	v_add_nc_u32_e32 v11, 0x100, v11
	global_load_u8 v12, v4, s[6:7]
.LBB421_9:
	s_or_b32 exec_lo, exec_lo, s3
	s_delay_alu instid0(SALU_CYCLE_1)
	s_mov_b32 s3, exec_lo
	v_cmpx_gt_i32_e64 s2, v11
	s_cbranch_execz .LBB421_11
; %bb.10:
	v_add_nc_u32_e32 v4, s1, v11
	v_add_nc_u32_e32 v11, 0x100, v11
	global_load_u8 v9, v4, s[6:7]
.LBB421_11:
	s_or_b32 exec_lo, exec_lo, s3
	v_dual_mov_b32 v14, 0 :: v_dual_mov_b32 v15, 0
	s_mov_b32 s3, exec_lo
	v_cmpx_gt_i32_e64 s2, v11
	s_cbranch_execz .LBB421_13
; %bb.12:
	v_add_nc_u32_e32 v4, s1, v11
	v_add_nc_u32_e32 v11, 0x100, v11
	global_load_u8 v15, v4, s[6:7]
.LBB421_13:
	s_or_b32 exec_lo, exec_lo, s3
	s_delay_alu instid0(SALU_CYCLE_1)
	s_mov_b32 s3, exec_lo
	v_cmpx_gt_i32_e64 s2, v11
	s_cbranch_execz .LBB421_15
; %bb.14:
	v_add_nc_u32_e32 v4, s1, v11
	v_add_nc_u32_e32 v11, 0x100, v11
	global_load_u8 v14, v4, s[6:7]
.LBB421_15:
	s_or_b32 exec_lo, exec_lo, s3
	v_mov_b32_e32 v4, 0
	v_mov_b32_e32 v16, 0
	s_mov_b32 s3, exec_lo
	v_cmpx_gt_i32_e64 s2, v11
	s_cbranch_execz .LBB421_17
; %bb.16:
	v_add_nc_u32_e32 v7, s1, v11
	v_add_nc_u32_e32 v11, 0x100, v11
	global_load_u8 v16, v7, s[6:7]
.LBB421_17:
	s_or_b32 exec_lo, exec_lo, s3
	s_delay_alu instid0(SALU_CYCLE_1)
	s_mov_b32 s3, exec_lo
	v_cmpx_gt_i32_e64 s2, v11
	s_cbranch_execz .LBB421_19
; %bb.18:
	v_add_nc_u32_e32 v4, s1, v11
	v_add_nc_u32_e32 v11, 0x100, v11
	global_load_u8 v4, v4, s[6:7]
.LBB421_19:
	s_or_b32 exec_lo, exec_lo, s3
	v_dual_mov_b32 v10, 0 :: v_dual_mov_b32 v7, 0
	s_mov_b32 s3, exec_lo
	v_cmpx_gt_i32_e64 s2, v11
	s_cbranch_execz .LBB421_21
; %bb.20:
	v_add_nc_u32_e32 v7, s1, v11
	v_add_nc_u32_e32 v11, 0x100, v11
	global_load_u8 v7, v7, s[6:7]
.LBB421_21:
	s_or_b32 exec_lo, exec_lo, s3
	s_delay_alu instid0(SALU_CYCLE_1)
	s_mov_b32 s3, exec_lo
	v_cmpx_gt_i32_e64 s2, v11
	s_cbranch_execz .LBB421_23
; %bb.22:
	v_add_nc_u32_e32 v8, s1, v11
	v_add_nc_u32_e32 v11, 0x100, v11
	global_load_u8 v10, v8, s[6:7]
.LBB421_23:
	s_or_b32 exec_lo, exec_lo, s3
	v_dual_mov_b32 v8, 0 :: v_dual_mov_b32 v13, 0
	s_mov_b32 s3, exec_lo
	v_cmpx_gt_i32_e64 s2, v11
	s_cbranch_execz .LBB421_25
; %bb.24:
	v_add_nc_u32_e32 v13, s1, v11
	v_add_nc_u32_e32 v11, 0x100, v11
	global_load_u8 v13, v13, s[6:7]
.LBB421_25:
	s_or_b32 exec_lo, exec_lo, s3
	s_delay_alu instid0(SALU_CYCLE_1)
	s_mov_b32 s3, exec_lo
	v_cmpx_gt_i32_e64 s2, v11
	s_cbranch_execz .LBB421_27
; %bb.26:
	v_add_nc_u32_e32 v8, s1, v11
	v_add_nc_u32_e32 v11, 0x100, v11
	global_load_u8 v8, v8, s[6:7]
.LBB421_27:
	s_or_b32 exec_lo, exec_lo, s3
	v_mov_b32_e32 v18, 0
	v_mov_b32_e32 v20, 0
	s_mov_b32 s3, exec_lo
	v_cmpx_gt_i32_e64 s2, v11
	s_cbranch_execz .LBB421_29
; %bb.28:
	v_add_nc_u32_e32 v17, s1, v11
	v_add_nc_u32_e32 v11, 0x100, v11
	global_load_u8 v20, v17, s[6:7]
.LBB421_29:
	s_or_b32 exec_lo, exec_lo, s3
	s_delay_alu instid0(SALU_CYCLE_1)
	s_mov_b32 s3, exec_lo
	v_cmpx_gt_i32_e64 s2, v11
	s_cbranch_execz .LBB421_31
; %bb.30:
	v_add_nc_u32_e32 v17, s1, v11
	v_add_nc_u32_e32 v11, 0x100, v11
	global_load_u8 v18, v17, s[6:7]
.LBB421_31:
	s_or_b32 exec_lo, exec_lo, s3
	v_mov_b32_e32 v17, 0
	v_mov_b32_e32 v19, 0
	s_mov_b32 s3, exec_lo
	v_cmpx_gt_i32_e64 s2, v11
	s_cbranch_execz .LBB421_33
; %bb.32:
	v_add_nc_u32_e32 v19, s1, v11
	v_add_nc_u32_e32 v11, 0x100, v11
	global_load_u8 v19, v19, s[6:7]
.LBB421_33:
	s_or_b32 exec_lo, exec_lo, s3
	s_delay_alu instid0(SALU_CYCLE_1)
	s_mov_b32 s3, exec_lo
	v_cmpx_gt_i32_e64 s2, v11
	s_cbranch_execz .LBB421_35
; %bb.34:
	v_add_nc_u32_e32 v11, s1, v11
	global_load_u8 v17, v11, s[6:7]
.LBB421_35:
	s_or_b32 exec_lo, exec_lo, s3
	s_waitcnt vmcnt(0)
	v_and_b32_e32 v5, 0xff, v5
	v_and_b32_e32 v6, 0xff, v6
	;; [unrolled: 1-line block ×3, first 2 shown]
	v_or_b32_e32 v21, 0x400, v0
	v_and_b32_e32 v12, 0xff, v12
	v_min_u16 v5, v5, v1
	v_min_u16 v6, v6, v1
	;; [unrolled: 1-line block ×3, first 2 shown]
	v_and_b32_e32 v14, 0xff, v14
	v_cmp_gt_i32_e64 s0, s2, v21
	v_lshlrev_b16 v5, 8, v5
	v_min_u16 v12, v12, v1
	v_and_b32_e32 v11, 0xffff, v11
	v_min_u16 v14, v14, v1
	v_or_b32_e32 v15, 0x200, v0
	v_or_b32_e32 v5, v6, v5
	v_and_b32_e32 v6, 0xffff, v6
	v_cndmask_b32_e64 v11, 0, v11, s0
	v_cmp_gt_i32_e64 s0, s2, v3
	v_lshlrev_b16 v14, 8, v14
	v_and_b32_e32 v5, 0xffff, v5
	v_lshlrev_b32_e32 v12, 16, v12
	v_and_b32_e32 v21, 0xff, v11
	v_or_b32_e32 v22, 0x500, v0
	v_and_b32_e32 v18, 0xff, v18
	v_cndmask_b32_e64 v5, v6, v5, s0
	v_and_b32_e32 v6, 0xff, v16
	v_or_b32_e32 v14, v21, v14
	v_and_b32_e32 v16, 0xff, v20
	v_cmp_gt_i32_e64 s0, s2, v15
	v_or_b32_e32 v12, v5, v12
	v_or_b32_e32 v20, 0xc00, v0
	v_and_b32_e32 v14, 0xffff, v14
	v_min_u16 v16, v16, v1
	v_and_b32_e32 v9, 0xff, v9
	v_cndmask_b32_e64 v5, v5, v12, s0
	v_cmp_gt_i32_e64 s0, s2, v22
	v_min_u16 v15, v18, v1
	v_and_b32_e32 v12, 0xffff, v16
	v_min_u16 v9, v9, v1
	v_min_u16 v6, v6, v1
	v_cndmask_b32_e64 v11, v11, v14, s0
	v_cmp_gt_i32_e64 s0, s2, v20
	v_lshrrev_b32_e32 v14, 16, v5
	v_lshlrev_b16 v15, 8, v15
	v_lshlrev_b16 v9, 8, v9
	v_lshrrev_b32_e32 v16, 16, v11
	v_cndmask_b32_e64 v12, 0, v12, s0
	v_and_b32_e32 v14, 0xff, v14
	v_and_b32_e32 v10, 0xff, v10
	;; [unrolled: 1-line block ×5, first 2 shown]
	v_or_b32_e32 v9, v14, v9
	v_or_b32_e32 v14, 0x600, v0
	v_min_u16 v10, v10, v1
	v_or_b32_e32 v6, v6, v16
	v_or_b32_e32 v15, v18, v15
	;; [unrolled: 1-line block ×3, first 2 shown]
	v_min_u16 v7, v7, v1
	v_lshlrev_b16 v10, 8, v10
	v_lshlrev_b32_e32 v6, 16, v6
	v_and_b32_e32 v15, 0xffff, v15
	v_cmp_gt_i32_e64 s0, s2, v16
	v_and_b32_e32 v4, 0xff, v4
	v_and_b32_e32 v8, 0xff, v8
	v_and_or_b32 v6, 0xffff, v11, v6
	v_lshlrev_b32_e32 v9, 16, v9
	v_cndmask_b32_e64 v12, v12, v15, s0
	v_cmp_gt_i32_e64 s0, s2, v14
	v_and_b32_e32 v14, 0xff, v19
	v_and_b32_e32 v15, 0xffff, v7
	v_or_b32_e32 v7, v7, v10
	v_and_b32_e32 v10, 0xff, v13
	v_cndmask_b32_e64 v11, v11, v6, s0
	v_lshrrev_b32_e32 v6, 16, v12
	v_min_u16 v13, v14, v1
	v_or_b32_e32 v14, 0x900, v0
	v_and_b32_e32 v7, 0xffff, v7
	v_min_u16 v10, v10, v1
	v_and_b32_e32 v6, 0xffffff00, v6
	v_lshrrev_b32_e32 v16, 16, v11
	v_cmp_gt_i32_e64 s0, s2, v14
	v_or_b32_e32 v14, 0xa00, v0
	v_lshlrev_b32_e32 v10, 16, v10
	v_or_b32_e32 v6, v13, v6
	v_min_u16 v4, v4, v1
	v_cndmask_b32_e64 v7, v15, v7, s0
	v_or_b32_e32 v15, 0xe00, v0
	v_cmp_gt_i32_e64 s0, s2, v14
	v_lshlrev_b32_e32 v6, 16, v6
	v_and_b32_e32 v13, 0xff, v16
	v_or_b32_e32 v10, v7, v10
	v_lshlrev_b16 v4, 8, v4
	v_min_u16 v8, v8, v1
	v_and_or_b32 v6, 0xffff, v12, v6
	v_and_or_b32 v9, 0xffff, v5, v9
	v_cndmask_b32_e64 v7, v7, v10, s0
	v_cmp_gt_i32_e64 s0, s2, v15
	v_or_b32_e32 v4, v13, v4
	v_lshlrev_b16 v8, 8, v8
	v_or_b32_e32 v13, 0x300, v0
	s_delay_alu instid0(VALU_DEP_4) | instskip(SKIP_2) | instid1(VALU_DEP_4)
	v_cndmask_b32_e64 v10, v12, v6, s0
	v_and_b32_e32 v6, 0xff, v17
	v_lshrrev_b32_e32 v12, 16, v7
	v_cmp_gt_i32_e64 s0, s2, v13
	v_lshlrev_b32_e32 v4, 16, v4
	v_lshrrev_b32_e32 v14, 16, v10
	v_min_u16 v1, v6, v1
	v_and_b32_e32 v6, 0xff, v12
	v_or_b32_e32 v13, 0xf00, v0
	v_and_or_b32 v4, 0xffff, v11, v4
	v_and_b32_e32 v12, 0xff, v14
	v_lshlrev_b16 v1, 8, v1
	v_or_b32_e32 v8, v6, v8
	v_cndmask_b32_e64 v6, v5, v9, s0
	v_or_b32_e32 v9, 0xb00, v0
	s_delay_alu instid0(VALU_DEP_4) | instskip(NEXT) | instid1(VALU_DEP_4)
	v_or_b32_e32 v1, v12, v1
	v_lshlrev_b32_e32 v5, 16, v8
	v_or_b32_e32 v8, 0x700, v0
	s_delay_alu instid0(VALU_DEP_3) | instskip(NEXT) | instid1(VALU_DEP_3)
	v_lshlrev_b32_e32 v1, 16, v1
	v_and_or_b32 v12, 0xffff, v7, v5
	s_delay_alu instid0(VALU_DEP_3) | instskip(NEXT) | instid1(VALU_DEP_3)
	v_cmp_gt_i32_e64 s0, s2, v8
	v_and_or_b32 v1, 0xffff, v10, v1
	s_delay_alu instid0(VALU_DEP_2) | instskip(SKIP_1) | instid1(VALU_DEP_1)
	v_cndmask_b32_e64 v5, v11, v4, s0
	v_cmp_gt_i32_e64 s0, s2, v9
	v_cndmask_b32_e64 v4, v7, v12, s0
	v_cmp_gt_i32_e64 s0, s2, v13
	s_delay_alu instid0(VALU_DEP_1)
	v_cndmask_b32_e64 v1, v10, v1, s0
	s_and_saveexec_b32 s0, vcc_lo
	s_cbranch_execnz .LBB421_53
; %bb.36:
	s_or_b32 exec_lo, exec_lo, s0
	s_delay_alu instid0(SALU_CYCLE_1)
	s_mov_b32 s0, exec_lo
	v_cmpx_gt_i32_e64 s2, v0
	s_cbranch_execnz .LBB421_54
.LBB421_37:
	s_or_b32 exec_lo, exec_lo, s0
	s_delay_alu instid0(SALU_CYCLE_1)
	s_mov_b32 s0, exec_lo
	v_cmpx_gt_i32_e64 s2, v0
	s_cbranch_execnz .LBB421_55
.LBB421_38:
	s_or_b32 exec_lo, exec_lo, s0
	s_delay_alu instid0(SALU_CYCLE_1)
	s_mov_b32 s0, exec_lo
	v_cmpx_gt_i32_e64 s2, v0
	s_cbranch_execnz .LBB421_56
.LBB421_39:
	s_or_b32 exec_lo, exec_lo, s0
	s_delay_alu instid0(SALU_CYCLE_1)
	s_mov_b32 s0, exec_lo
	v_cmpx_gt_i32_e64 s2, v0
	s_cbranch_execnz .LBB421_57
.LBB421_40:
	s_or_b32 exec_lo, exec_lo, s0
	s_delay_alu instid0(SALU_CYCLE_1)
	s_mov_b32 s0, exec_lo
	v_cmpx_gt_i32_e64 s2, v0
	s_cbranch_execnz .LBB421_58
.LBB421_41:
	s_or_b32 exec_lo, exec_lo, s0
	s_delay_alu instid0(SALU_CYCLE_1)
	s_mov_b32 s0, exec_lo
	v_cmpx_gt_i32_e64 s2, v0
	s_cbranch_execnz .LBB421_59
.LBB421_42:
	s_or_b32 exec_lo, exec_lo, s0
	s_delay_alu instid0(SALU_CYCLE_1)
	s_mov_b32 s0, exec_lo
	v_cmpx_gt_i32_e64 s2, v0
	s_cbranch_execnz .LBB421_60
.LBB421_43:
	s_or_b32 exec_lo, exec_lo, s0
	s_delay_alu instid0(SALU_CYCLE_1)
	s_mov_b32 s0, exec_lo
	v_cmpx_gt_i32_e64 s2, v0
	s_cbranch_execnz .LBB421_61
.LBB421_44:
	s_or_b32 exec_lo, exec_lo, s0
	s_delay_alu instid0(SALU_CYCLE_1)
	s_mov_b32 s0, exec_lo
	v_cmpx_gt_i32_e64 s2, v0
	s_cbranch_execnz .LBB421_62
.LBB421_45:
	s_or_b32 exec_lo, exec_lo, s0
	s_delay_alu instid0(SALU_CYCLE_1)
	s_mov_b32 s0, exec_lo
	v_cmpx_gt_i32_e64 s2, v0
	s_cbranch_execnz .LBB421_63
.LBB421_46:
	s_or_b32 exec_lo, exec_lo, s0
	s_delay_alu instid0(SALU_CYCLE_1)
	s_mov_b32 s0, exec_lo
	v_cmpx_gt_i32_e64 s2, v0
	s_cbranch_execnz .LBB421_64
.LBB421_47:
	s_or_b32 exec_lo, exec_lo, s0
	s_delay_alu instid0(SALU_CYCLE_1)
	s_mov_b32 s0, exec_lo
	v_cmpx_gt_i32_e64 s2, v0
	s_cbranch_execnz .LBB421_65
.LBB421_48:
	s_or_b32 exec_lo, exec_lo, s0
	s_delay_alu instid0(SALU_CYCLE_1)
	s_mov_b32 s0, exec_lo
	v_cmpx_gt_i32_e64 s2, v0
	s_cbranch_execnz .LBB421_66
.LBB421_49:
	s_or_b32 exec_lo, exec_lo, s0
	s_delay_alu instid0(SALU_CYCLE_1)
	s_mov_b32 s0, exec_lo
	v_cmpx_gt_i32_e64 s2, v0
	s_cbranch_execnz .LBB421_67
.LBB421_50:
	s_or_b32 exec_lo, exec_lo, s0
	s_delay_alu instid0(SALU_CYCLE_1)
	s_mov_b32 s0, exec_lo
	v_cmpx_gt_i32_e64 s2, v0
	s_cbranch_execz .LBB421_52
.LBB421_51:
	v_add_nc_u32_e32 v0, s1, v0
	v_lshrrev_b32_e32 v1, 24, v1
	global_store_b8 v0, v1, s[4:5]
.LBB421_52:
	s_nop 0
	s_sendmsg sendmsg(MSG_DEALLOC_VGPRS)
	s_endpgm
.LBB421_53:
	v_mov_b32_e32 v0, v3
	global_store_b8 v2, v6, s[4:5]
	s_or_b32 exec_lo, exec_lo, s0
	s_delay_alu instid0(SALU_CYCLE_1)
	s_mov_b32 s0, exec_lo
	v_cmpx_gt_i32_e64 s2, v0
	s_cbranch_execz .LBB421_37
.LBB421_54:
	v_add_nc_u32_e32 v2, s1, v0
	v_lshrrev_b32_e32 v3, 8, v6
	v_add_nc_u32_e32 v0, 0x100, v0
	global_store_b8 v2, v3, s[4:5]
	s_or_b32 exec_lo, exec_lo, s0
	s_delay_alu instid0(SALU_CYCLE_1)
	s_mov_b32 s0, exec_lo
	v_cmpx_gt_i32_e64 s2, v0
	s_cbranch_execz .LBB421_38
.LBB421_55:
	v_add_nc_u32_e32 v2, s1, v0
	v_add_nc_u32_e32 v0, 0x100, v0
	global_store_d16_hi_b8 v2, v6, s[4:5]
	s_or_b32 exec_lo, exec_lo, s0
	s_delay_alu instid0(SALU_CYCLE_1)
	s_mov_b32 s0, exec_lo
	v_cmpx_gt_i32_e64 s2, v0
	s_cbranch_execz .LBB421_39
.LBB421_56:
	v_add_nc_u32_e32 v2, s1, v0
	v_lshrrev_b32_e32 v3, 24, v6
	v_add_nc_u32_e32 v0, 0x100, v0
	global_store_b8 v2, v3, s[4:5]
	s_or_b32 exec_lo, exec_lo, s0
	s_delay_alu instid0(SALU_CYCLE_1)
	s_mov_b32 s0, exec_lo
	v_cmpx_gt_i32_e64 s2, v0
	s_cbranch_execz .LBB421_40
.LBB421_57:
	v_add_nc_u32_e32 v2, s1, v0
	v_add_nc_u32_e32 v0, 0x100, v0
	global_store_b8 v2, v5, s[4:5]
	s_or_b32 exec_lo, exec_lo, s0
	s_delay_alu instid0(SALU_CYCLE_1)
	s_mov_b32 s0, exec_lo
	v_cmpx_gt_i32_e64 s2, v0
	s_cbranch_execz .LBB421_41
.LBB421_58:
	v_add_nc_u32_e32 v2, s1, v0
	v_lshrrev_b32_e32 v3, 8, v5
	v_add_nc_u32_e32 v0, 0x100, v0
	global_store_b8 v2, v3, s[4:5]
	s_or_b32 exec_lo, exec_lo, s0
	s_delay_alu instid0(SALU_CYCLE_1)
	s_mov_b32 s0, exec_lo
	v_cmpx_gt_i32_e64 s2, v0
	s_cbranch_execz .LBB421_42
.LBB421_59:
	v_add_nc_u32_e32 v2, s1, v0
	v_add_nc_u32_e32 v0, 0x100, v0
	global_store_d16_hi_b8 v2, v5, s[4:5]
	s_or_b32 exec_lo, exec_lo, s0
	s_delay_alu instid0(SALU_CYCLE_1)
	s_mov_b32 s0, exec_lo
	v_cmpx_gt_i32_e64 s2, v0
	s_cbranch_execz .LBB421_43
.LBB421_60:
	v_add_nc_u32_e32 v2, s1, v0
	v_lshrrev_b32_e32 v3, 24, v5
	v_add_nc_u32_e32 v0, 0x100, v0
	global_store_b8 v2, v3, s[4:5]
	s_or_b32 exec_lo, exec_lo, s0
	s_delay_alu instid0(SALU_CYCLE_1)
	s_mov_b32 s0, exec_lo
	v_cmpx_gt_i32_e64 s2, v0
	s_cbranch_execz .LBB421_44
.LBB421_61:
	v_add_nc_u32_e32 v2, s1, v0
	v_add_nc_u32_e32 v0, 0x100, v0
	global_store_b8 v2, v4, s[4:5]
	s_or_b32 exec_lo, exec_lo, s0
	s_delay_alu instid0(SALU_CYCLE_1)
	s_mov_b32 s0, exec_lo
	v_cmpx_gt_i32_e64 s2, v0
	s_cbranch_execz .LBB421_45
.LBB421_62:
	v_add_nc_u32_e32 v2, s1, v0
	v_lshrrev_b32_e32 v3, 8, v4
	v_add_nc_u32_e32 v0, 0x100, v0
	global_store_b8 v2, v3, s[4:5]
	s_or_b32 exec_lo, exec_lo, s0
	s_delay_alu instid0(SALU_CYCLE_1)
	s_mov_b32 s0, exec_lo
	v_cmpx_gt_i32_e64 s2, v0
	s_cbranch_execz .LBB421_46
.LBB421_63:
	v_add_nc_u32_e32 v2, s1, v0
	v_add_nc_u32_e32 v0, 0x100, v0
	global_store_d16_hi_b8 v2, v4, s[4:5]
	s_or_b32 exec_lo, exec_lo, s0
	s_delay_alu instid0(SALU_CYCLE_1)
	s_mov_b32 s0, exec_lo
	v_cmpx_gt_i32_e64 s2, v0
	s_cbranch_execz .LBB421_47
.LBB421_64:
	v_add_nc_u32_e32 v2, s1, v0
	v_lshrrev_b32_e32 v3, 24, v4
	v_add_nc_u32_e32 v0, 0x100, v0
	global_store_b8 v2, v3, s[4:5]
	s_or_b32 exec_lo, exec_lo, s0
	s_delay_alu instid0(SALU_CYCLE_1)
	s_mov_b32 s0, exec_lo
	v_cmpx_gt_i32_e64 s2, v0
	s_cbranch_execz .LBB421_48
.LBB421_65:
	v_add_nc_u32_e32 v2, s1, v0
	v_add_nc_u32_e32 v0, 0x100, v0
	global_store_b8 v2, v1, s[4:5]
	s_or_b32 exec_lo, exec_lo, s0
	s_delay_alu instid0(SALU_CYCLE_1)
	s_mov_b32 s0, exec_lo
	v_cmpx_gt_i32_e64 s2, v0
	s_cbranch_execz .LBB421_49
.LBB421_66:
	v_add_nc_u32_e32 v2, s1, v0
	v_lshrrev_b32_e32 v3, 8, v1
	v_add_nc_u32_e32 v0, 0x100, v0
	global_store_b8 v2, v3, s[4:5]
	s_or_b32 exec_lo, exec_lo, s0
	s_delay_alu instid0(SALU_CYCLE_1)
	s_mov_b32 s0, exec_lo
	v_cmpx_gt_i32_e64 s2, v0
	s_cbranch_execz .LBB421_50
.LBB421_67:
	v_add_nc_u32_e32 v2, s1, v0
	v_add_nc_u32_e32 v0, 0x100, v0
	global_store_d16_hi_b8 v2, v1, s[4:5]
	s_or_b32 exec_lo, exec_lo, s0
	s_delay_alu instid0(SALU_CYCLE_1)
	s_mov_b32 s0, exec_lo
	v_cmpx_gt_i32_e64 s2, v0
	s_cbranch_execnz .LBB421_51
	s_branch .LBB421_52
	.section	.rodata,"a",@progbits
	.p2align	6, 0x0
	.amdhsa_kernel _ZN2at6native29vectorized_elementwise_kernelILi2EZZZNS0_21clamp_max_kernel_cudaERNS_18TensorIteratorBaseERKN3c106ScalarEENKUlvE_clEvENKUlvE_clEvEUlhE_St5arrayIPcLm2EEEEviT0_T1_
		.amdhsa_group_segment_fixed_size 0
		.amdhsa_private_segment_fixed_size 0
		.amdhsa_kernarg_size 24
		.amdhsa_user_sgpr_count 15
		.amdhsa_user_sgpr_dispatch_ptr 0
		.amdhsa_user_sgpr_queue_ptr 0
		.amdhsa_user_sgpr_kernarg_segment_ptr 1
		.amdhsa_user_sgpr_dispatch_id 0
		.amdhsa_user_sgpr_private_segment_size 0
		.amdhsa_wavefront_size32 1
		.amdhsa_uses_dynamic_stack 0
		.amdhsa_enable_private_segment 0
		.amdhsa_system_sgpr_workgroup_id_x 1
		.amdhsa_system_sgpr_workgroup_id_y 0
		.amdhsa_system_sgpr_workgroup_id_z 0
		.amdhsa_system_sgpr_workgroup_info 0
		.amdhsa_system_vgpr_workitem_id 0
		.amdhsa_next_free_vgpr 23
		.amdhsa_next_free_sgpr 16
		.amdhsa_reserve_vcc 1
		.amdhsa_float_round_mode_32 0
		.amdhsa_float_round_mode_16_64 0
		.amdhsa_float_denorm_mode_32 3
		.amdhsa_float_denorm_mode_16_64 3
		.amdhsa_dx10_clamp 1
		.amdhsa_ieee_mode 1
		.amdhsa_fp16_overflow 0
		.amdhsa_workgroup_processor_mode 1
		.amdhsa_memory_ordered 1
		.amdhsa_forward_progress 0
		.amdhsa_shared_vgpr_count 0
		.amdhsa_exception_fp_ieee_invalid_op 0
		.amdhsa_exception_fp_denorm_src 0
		.amdhsa_exception_fp_ieee_div_zero 0
		.amdhsa_exception_fp_ieee_overflow 0
		.amdhsa_exception_fp_ieee_underflow 0
		.amdhsa_exception_fp_ieee_inexact 0
		.amdhsa_exception_int_div_zero 0
	.end_amdhsa_kernel
	.section	.text._ZN2at6native29vectorized_elementwise_kernelILi2EZZZNS0_21clamp_max_kernel_cudaERNS_18TensorIteratorBaseERKN3c106ScalarEENKUlvE_clEvENKUlvE_clEvEUlhE_St5arrayIPcLm2EEEEviT0_T1_,"axG",@progbits,_ZN2at6native29vectorized_elementwise_kernelILi2EZZZNS0_21clamp_max_kernel_cudaERNS_18TensorIteratorBaseERKN3c106ScalarEENKUlvE_clEvENKUlvE_clEvEUlhE_St5arrayIPcLm2EEEEviT0_T1_,comdat
.Lfunc_end421:
	.size	_ZN2at6native29vectorized_elementwise_kernelILi2EZZZNS0_21clamp_max_kernel_cudaERNS_18TensorIteratorBaseERKN3c106ScalarEENKUlvE_clEvENKUlvE_clEvEUlhE_St5arrayIPcLm2EEEEviT0_T1_, .Lfunc_end421-_ZN2at6native29vectorized_elementwise_kernelILi2EZZZNS0_21clamp_max_kernel_cudaERNS_18TensorIteratorBaseERKN3c106ScalarEENKUlvE_clEvENKUlvE_clEvEUlhE_St5arrayIPcLm2EEEEviT0_T1_
                                        ; -- End function
	.section	.AMDGPU.csdata,"",@progbits
; Kernel info:
; codeLenInByte = 3412
; NumSgprs: 18
; NumVgprs: 23
; ScratchSize: 0
; MemoryBound: 0
; FloatMode: 240
; IeeeMode: 1
; LDSByteSize: 0 bytes/workgroup (compile time only)
; SGPRBlocks: 2
; VGPRBlocks: 2
; NumSGPRsForWavesPerEU: 18
; NumVGPRsForWavesPerEU: 23
; Occupancy: 16
; WaveLimiterHint : 1
; COMPUTE_PGM_RSRC2:SCRATCH_EN: 0
; COMPUTE_PGM_RSRC2:USER_SGPR: 15
; COMPUTE_PGM_RSRC2:TRAP_HANDLER: 0
; COMPUTE_PGM_RSRC2:TGID_X_EN: 1
; COMPUTE_PGM_RSRC2:TGID_Y_EN: 0
; COMPUTE_PGM_RSRC2:TGID_Z_EN: 0
; COMPUTE_PGM_RSRC2:TIDIG_COMP_CNT: 0
	.section	.text._ZN2at6native27unrolled_elementwise_kernelIZZZNS0_21clamp_max_kernel_cudaERNS_18TensorIteratorBaseERKN3c106ScalarEENKUlvE_clEvENKUlvE_clEvEUlhE_St5arrayIPcLm2EELi4E23TrivialOffsetCalculatorILi1EjESF_NS0_6memory15LoadWithoutCastENSG_16StoreWithoutCastEEEviT_T0_T2_T3_T4_T5_,"axG",@progbits,_ZN2at6native27unrolled_elementwise_kernelIZZZNS0_21clamp_max_kernel_cudaERNS_18TensorIteratorBaseERKN3c106ScalarEENKUlvE_clEvENKUlvE_clEvEUlhE_St5arrayIPcLm2EELi4E23TrivialOffsetCalculatorILi1EjESF_NS0_6memory15LoadWithoutCastENSG_16StoreWithoutCastEEEviT_T0_T2_T3_T4_T5_,comdat
	.globl	_ZN2at6native27unrolled_elementwise_kernelIZZZNS0_21clamp_max_kernel_cudaERNS_18TensorIteratorBaseERKN3c106ScalarEENKUlvE_clEvENKUlvE_clEvEUlhE_St5arrayIPcLm2EELi4E23TrivialOffsetCalculatorILi1EjESF_NS0_6memory15LoadWithoutCastENSG_16StoreWithoutCastEEEviT_T0_T2_T3_T4_T5_ ; -- Begin function _ZN2at6native27unrolled_elementwise_kernelIZZZNS0_21clamp_max_kernel_cudaERNS_18TensorIteratorBaseERKN3c106ScalarEENKUlvE_clEvENKUlvE_clEvEUlhE_St5arrayIPcLm2EELi4E23TrivialOffsetCalculatorILi1EjESF_NS0_6memory15LoadWithoutCastENSG_16StoreWithoutCastEEEviT_T0_T2_T3_T4_T5_
	.p2align	8
	.type	_ZN2at6native27unrolled_elementwise_kernelIZZZNS0_21clamp_max_kernel_cudaERNS_18TensorIteratorBaseERKN3c106ScalarEENKUlvE_clEvENKUlvE_clEvEUlhE_St5arrayIPcLm2EELi4E23TrivialOffsetCalculatorILi1EjESF_NS0_6memory15LoadWithoutCastENSG_16StoreWithoutCastEEEviT_T0_T2_T3_T4_T5_,@function
_ZN2at6native27unrolled_elementwise_kernelIZZZNS0_21clamp_max_kernel_cudaERNS_18TensorIteratorBaseERKN3c106ScalarEENKUlvE_clEvENKUlvE_clEvEUlhE_St5arrayIPcLm2EELi4E23TrivialOffsetCalculatorILi1EjESF_NS0_6memory15LoadWithoutCastENSG_16StoreWithoutCastEEEviT_T0_T2_T3_T4_T5_: ; @_ZN2at6native27unrolled_elementwise_kernelIZZZNS0_21clamp_max_kernel_cudaERNS_18TensorIteratorBaseERKN3c106ScalarEENKUlvE_clEvENKUlvE_clEvEUlhE_St5arrayIPcLm2EELi4E23TrivialOffsetCalculatorILi1EjESF_NS0_6memory15LoadWithoutCastENSG_16StoreWithoutCastEEEviT_T0_T2_T3_T4_T5_
; %bb.0:
	s_clause 0x1
	s_load_b64 s[2:3], s[0:1], 0x0
	s_load_b128 s[4:7], s[0:1], 0x8
	s_lshl_b32 s1, s15, 10
	v_dual_mov_b32 v3, 0 :: v_dual_mov_b32 v4, 0
	v_or_b32_e32 v1, s1, v0
	v_or_b32_e32 v2, 0x100, v0
	v_mov_b32_e32 v6, v0
	s_waitcnt lgkmcnt(0)
	s_sub_i32 s2, s2, s1
	s_delay_alu instid0(SALU_CYCLE_1)
	v_cmp_gt_i32_e32 vcc_lo, s2, v0
	s_and_saveexec_b32 s0, vcc_lo
	s_cbranch_execz .LBB422_2
; %bb.1:
	global_load_u8 v4, v1, s[6:7]
	v_or_b32_e32 v6, 0x100, v0
.LBB422_2:
	s_or_b32 exec_lo, exec_lo, s0
	s_delay_alu instid0(SALU_CYCLE_1) | instskip(NEXT) | instid1(VALU_DEP_1)
	s_mov_b32 s8, exec_lo
	v_cmpx_gt_i32_e64 s2, v6
	s_cbranch_execz .LBB422_4
; %bb.3:
	v_add_nc_u32_e32 v3, s1, v6
	v_add_nc_u32_e32 v6, 0x100, v6
	global_load_u8 v3, v3, s[6:7]
.LBB422_4:
	s_or_b32 exec_lo, exec_lo, s8
	v_mov_b32_e32 v5, 0
	v_mov_b32_e32 v7, 0
	s_mov_b32 s8, exec_lo
	v_cmpx_gt_i32_e64 s2, v6
	s_cbranch_execz .LBB422_6
; %bb.5:
	v_add_nc_u32_e32 v7, s1, v6
	v_add_nc_u32_e32 v6, 0x100, v6
	global_load_u8 v7, v7, s[6:7]
.LBB422_6:
	s_or_b32 exec_lo, exec_lo, s8
	s_delay_alu instid0(SALU_CYCLE_1)
	s_mov_b32 s8, exec_lo
	v_cmpx_gt_i32_e64 s2, v6
	s_cbranch_execz .LBB422_8
; %bb.7:
	v_add_nc_u32_e32 v5, s1, v6
	global_load_u8 v5, v5, s[6:7]
.LBB422_8:
	s_or_b32 exec_lo, exec_lo, s8
	v_and_b32_e64 v6, 0xff, s3
	s_waitcnt vmcnt(0)
	v_and_b32_e32 v3, 0xff, v3
	v_and_b32_e32 v4, 0xff, v4
	;; [unrolled: 1-line block ×3, first 2 shown]
	v_cmp_gt_i32_e64 s0, s2, v2
	s_delay_alu instid0(VALU_DEP_4) | instskip(NEXT) | instid1(VALU_DEP_4)
	v_min_u16 v3, v3, v6
	v_min_u16 v4, v4, v6
	s_delay_alu instid0(VALU_DEP_4) | instskip(NEXT) | instid1(VALU_DEP_3)
	v_min_u16 v7, v7, v6
	v_lshlrev_b16 v3, 8, v3
	s_delay_alu instid0(VALU_DEP_2) | instskip(NEXT) | instid1(VALU_DEP_2)
	v_lshlrev_b32_e32 v7, 16, v7
	v_or_b32_e32 v3, v4, v3
	v_and_b32_e32 v4, 0xffff, v4
	s_delay_alu instid0(VALU_DEP_2) | instskip(NEXT) | instid1(VALU_DEP_1)
	v_and_b32_e32 v3, 0xffff, v3
	v_cndmask_b32_e64 v3, v4, v3, s0
	v_or_b32_e32 v4, 0x200, v0
	s_delay_alu instid0(VALU_DEP_2) | instskip(NEXT) | instid1(VALU_DEP_2)
	v_or_b32_e32 v7, v3, v7
	v_cmp_gt_i32_e64 s0, s2, v4
	v_and_b32_e32 v4, 0xff, v5
	s_delay_alu instid0(VALU_DEP_2) | instskip(NEXT) | instid1(VALU_DEP_2)
	v_cndmask_b32_e64 v3, v3, v7, s0
	v_min_u16 v4, v4, v6
	s_delay_alu instid0(VALU_DEP_2) | instskip(NEXT) | instid1(VALU_DEP_2)
	v_lshrrev_b32_e32 v5, 16, v3
	v_lshlrev_b16 v4, 8, v4
	s_delay_alu instid0(VALU_DEP_2) | instskip(NEXT) | instid1(VALU_DEP_1)
	v_and_b32_e32 v5, 0xff, v5
	v_or_b32_e32 v4, v5, v4
	v_or_b32_e32 v5, 0x300, v0
	s_delay_alu instid0(VALU_DEP_2) | instskip(NEXT) | instid1(VALU_DEP_2)
	v_lshlrev_b32_e32 v4, 16, v4
	v_cmp_gt_i32_e64 s0, s2, v5
	s_delay_alu instid0(VALU_DEP_2) | instskip(NEXT) | instid1(VALU_DEP_1)
	v_and_or_b32 v4, 0xffff, v3, v4
	v_cndmask_b32_e64 v3, v3, v4, s0
	s_and_saveexec_b32 s0, vcc_lo
	s_cbranch_execnz .LBB422_13
; %bb.9:
	s_or_b32 exec_lo, exec_lo, s0
	s_delay_alu instid0(SALU_CYCLE_1)
	s_mov_b32 s0, exec_lo
	v_cmpx_gt_i32_e64 s2, v0
	s_cbranch_execnz .LBB422_14
.LBB422_10:
	s_or_b32 exec_lo, exec_lo, s0
	s_delay_alu instid0(SALU_CYCLE_1)
	s_mov_b32 s0, exec_lo
	v_cmpx_gt_i32_e64 s2, v0
	s_cbranch_execnz .LBB422_15
.LBB422_11:
	s_or_b32 exec_lo, exec_lo, s0
	s_delay_alu instid0(SALU_CYCLE_1)
	s_mov_b32 s0, exec_lo
	v_cmpx_gt_i32_e64 s2, v0
	s_cbranch_execnz .LBB422_16
.LBB422_12:
	s_nop 0
	s_sendmsg sendmsg(MSG_DEALLOC_VGPRS)
	s_endpgm
.LBB422_13:
	v_mov_b32_e32 v0, v2
	global_store_b8 v1, v3, s[4:5]
	s_or_b32 exec_lo, exec_lo, s0
	s_delay_alu instid0(SALU_CYCLE_1)
	s_mov_b32 s0, exec_lo
	v_cmpx_gt_i32_e64 s2, v0
	s_cbranch_execz .LBB422_10
.LBB422_14:
	v_add_nc_u32_e32 v1, 0x100, v0
	v_lshrrev_b32_e32 v2, 8, v3
	v_add_nc_u32_e32 v4, s1, v0
	s_delay_alu instid0(VALU_DEP_3) | instskip(SKIP_2) | instid1(SALU_CYCLE_1)
	v_mov_b32_e32 v0, v1
	global_store_b8 v4, v2, s[4:5]
	s_or_b32 exec_lo, exec_lo, s0
	s_mov_b32 s0, exec_lo
	v_cmpx_gt_i32_e64 s2, v0
	s_cbranch_execz .LBB422_11
.LBB422_15:
	v_add_nc_u32_e32 v1, 0x100, v0
	v_add_nc_u32_e32 v2, s1, v0
	s_delay_alu instid0(VALU_DEP_2) | instskip(SKIP_2) | instid1(SALU_CYCLE_1)
	v_mov_b32_e32 v0, v1
	global_store_d16_hi_b8 v2, v3, s[4:5]
	s_or_b32 exec_lo, exec_lo, s0
	s_mov_b32 s0, exec_lo
	v_cmpx_gt_i32_e64 s2, v0
	s_cbranch_execz .LBB422_12
.LBB422_16:
	v_lshrrev_b32_e32 v1, 24, v3
	v_add_nc_u32_e32 v0, s1, v0
	global_store_b8 v0, v1, s[4:5]
	s_nop 0
	s_sendmsg sendmsg(MSG_DEALLOC_VGPRS)
	s_endpgm
	.section	.rodata,"a",@progbits
	.p2align	6, 0x0
	.amdhsa_kernel _ZN2at6native27unrolled_elementwise_kernelIZZZNS0_21clamp_max_kernel_cudaERNS_18TensorIteratorBaseERKN3c106ScalarEENKUlvE_clEvENKUlvE_clEvEUlhE_St5arrayIPcLm2EELi4E23TrivialOffsetCalculatorILi1EjESF_NS0_6memory15LoadWithoutCastENSG_16StoreWithoutCastEEEviT_T0_T2_T3_T4_T5_
		.amdhsa_group_segment_fixed_size 0
		.amdhsa_private_segment_fixed_size 0
		.amdhsa_kernarg_size 28
		.amdhsa_user_sgpr_count 15
		.amdhsa_user_sgpr_dispatch_ptr 0
		.amdhsa_user_sgpr_queue_ptr 0
		.amdhsa_user_sgpr_kernarg_segment_ptr 1
		.amdhsa_user_sgpr_dispatch_id 0
		.amdhsa_user_sgpr_private_segment_size 0
		.amdhsa_wavefront_size32 1
		.amdhsa_uses_dynamic_stack 0
		.amdhsa_enable_private_segment 0
		.amdhsa_system_sgpr_workgroup_id_x 1
		.amdhsa_system_sgpr_workgroup_id_y 0
		.amdhsa_system_sgpr_workgroup_id_z 0
		.amdhsa_system_sgpr_workgroup_info 0
		.amdhsa_system_vgpr_workitem_id 0
		.amdhsa_next_free_vgpr 8
		.amdhsa_next_free_sgpr 16
		.amdhsa_reserve_vcc 1
		.amdhsa_float_round_mode_32 0
		.amdhsa_float_round_mode_16_64 0
		.amdhsa_float_denorm_mode_32 3
		.amdhsa_float_denorm_mode_16_64 3
		.amdhsa_dx10_clamp 1
		.amdhsa_ieee_mode 1
		.amdhsa_fp16_overflow 0
		.amdhsa_workgroup_processor_mode 1
		.amdhsa_memory_ordered 1
		.amdhsa_forward_progress 0
		.amdhsa_shared_vgpr_count 0
		.amdhsa_exception_fp_ieee_invalid_op 0
		.amdhsa_exception_fp_denorm_src 0
		.amdhsa_exception_fp_ieee_div_zero 0
		.amdhsa_exception_fp_ieee_overflow 0
		.amdhsa_exception_fp_ieee_underflow 0
		.amdhsa_exception_fp_ieee_inexact 0
		.amdhsa_exception_int_div_zero 0
	.end_amdhsa_kernel
	.section	.text._ZN2at6native27unrolled_elementwise_kernelIZZZNS0_21clamp_max_kernel_cudaERNS_18TensorIteratorBaseERKN3c106ScalarEENKUlvE_clEvENKUlvE_clEvEUlhE_St5arrayIPcLm2EELi4E23TrivialOffsetCalculatorILi1EjESF_NS0_6memory15LoadWithoutCastENSG_16StoreWithoutCastEEEviT_T0_T2_T3_T4_T5_,"axG",@progbits,_ZN2at6native27unrolled_elementwise_kernelIZZZNS0_21clamp_max_kernel_cudaERNS_18TensorIteratorBaseERKN3c106ScalarEENKUlvE_clEvENKUlvE_clEvEUlhE_St5arrayIPcLm2EELi4E23TrivialOffsetCalculatorILi1EjESF_NS0_6memory15LoadWithoutCastENSG_16StoreWithoutCastEEEviT_T0_T2_T3_T4_T5_,comdat
.Lfunc_end422:
	.size	_ZN2at6native27unrolled_elementwise_kernelIZZZNS0_21clamp_max_kernel_cudaERNS_18TensorIteratorBaseERKN3c106ScalarEENKUlvE_clEvENKUlvE_clEvEUlhE_St5arrayIPcLm2EELi4E23TrivialOffsetCalculatorILi1EjESF_NS0_6memory15LoadWithoutCastENSG_16StoreWithoutCastEEEviT_T0_T2_T3_T4_T5_, .Lfunc_end422-_ZN2at6native27unrolled_elementwise_kernelIZZZNS0_21clamp_max_kernel_cudaERNS_18TensorIteratorBaseERKN3c106ScalarEENKUlvE_clEvENKUlvE_clEvEUlhE_St5arrayIPcLm2EELi4E23TrivialOffsetCalculatorILi1EjESF_NS0_6memory15LoadWithoutCastENSG_16StoreWithoutCastEEEviT_T0_T2_T3_T4_T5_
                                        ; -- End function
	.section	.AMDGPU.csdata,"",@progbits
; Kernel info:
; codeLenInByte = 736
; NumSgprs: 18
; NumVgprs: 8
; ScratchSize: 0
; MemoryBound: 0
; FloatMode: 240
; IeeeMode: 1
; LDSByteSize: 0 bytes/workgroup (compile time only)
; SGPRBlocks: 2
; VGPRBlocks: 0
; NumSGPRsForWavesPerEU: 18
; NumVGPRsForWavesPerEU: 8
; Occupancy: 16
; WaveLimiterHint : 0
; COMPUTE_PGM_RSRC2:SCRATCH_EN: 0
; COMPUTE_PGM_RSRC2:USER_SGPR: 15
; COMPUTE_PGM_RSRC2:TRAP_HANDLER: 0
; COMPUTE_PGM_RSRC2:TGID_X_EN: 1
; COMPUTE_PGM_RSRC2:TGID_Y_EN: 0
; COMPUTE_PGM_RSRC2:TGID_Z_EN: 0
; COMPUTE_PGM_RSRC2:TIDIG_COMP_CNT: 0
	.section	.text._ZN2at6native32elementwise_kernel_manual_unrollILi128ELi8EZNS0_22gpu_kernel_impl_nocastIZZZNS0_21clamp_max_kernel_cudaERNS_18TensorIteratorBaseERKN3c106ScalarEENKUlvE_clEvENKUlvE_clEvEUlhE_EEvS4_RKT_EUlibE_EEviT1_,"axG",@progbits,_ZN2at6native32elementwise_kernel_manual_unrollILi128ELi8EZNS0_22gpu_kernel_impl_nocastIZZZNS0_21clamp_max_kernel_cudaERNS_18TensorIteratorBaseERKN3c106ScalarEENKUlvE_clEvENKUlvE_clEvEUlhE_EEvS4_RKT_EUlibE_EEviT1_,comdat
	.globl	_ZN2at6native32elementwise_kernel_manual_unrollILi128ELi8EZNS0_22gpu_kernel_impl_nocastIZZZNS0_21clamp_max_kernel_cudaERNS_18TensorIteratorBaseERKN3c106ScalarEENKUlvE_clEvENKUlvE_clEvEUlhE_EEvS4_RKT_EUlibE_EEviT1_ ; -- Begin function _ZN2at6native32elementwise_kernel_manual_unrollILi128ELi8EZNS0_22gpu_kernel_impl_nocastIZZZNS0_21clamp_max_kernel_cudaERNS_18TensorIteratorBaseERKN3c106ScalarEENKUlvE_clEvENKUlvE_clEvEUlhE_EEvS4_RKT_EUlibE_EEviT1_
	.p2align	8
	.type	_ZN2at6native32elementwise_kernel_manual_unrollILi128ELi8EZNS0_22gpu_kernel_impl_nocastIZZZNS0_21clamp_max_kernel_cudaERNS_18TensorIteratorBaseERKN3c106ScalarEENKUlvE_clEvENKUlvE_clEvEUlhE_EEvS4_RKT_EUlibE_EEviT1_,@function
_ZN2at6native32elementwise_kernel_manual_unrollILi128ELi8EZNS0_22gpu_kernel_impl_nocastIZZZNS0_21clamp_max_kernel_cudaERNS_18TensorIteratorBaseERKN3c106ScalarEENKUlvE_clEvENKUlvE_clEvEUlhE_EEvS4_RKT_EUlibE_EEviT1_: ; @_ZN2at6native32elementwise_kernel_manual_unrollILi128ELi8EZNS0_22gpu_kernel_impl_nocastIZZZNS0_21clamp_max_kernel_cudaERNS_18TensorIteratorBaseERKN3c106ScalarEENKUlvE_clEvENKUlvE_clEvEUlhE_EEvS4_RKT_EUlibE_EEviT1_
; %bb.0:
	s_clause 0x1
	s_load_b32 s22, s[0:1], 0x8
	s_load_b32 s28, s[0:1], 0x0
	v_lshl_or_b32 v12, s15, 10, v0
	s_or_b32 s0, s0, 8
	s_mov_b32 s2, exec_lo
	s_delay_alu instid0(VALU_DEP_1) | instskip(SKIP_2) | instid1(SALU_CYCLE_1)
	v_or_b32_e32 v16, 0x380, v12
	s_waitcnt lgkmcnt(0)
	s_add_i32 s23, s22, -1
	s_cmp_gt_u32 s23, 1
	s_cselect_b32 s24, -1, 0
	v_cmpx_le_i32_e64 s28, v16
	s_xor_b32 s25, exec_lo, s2
	s_cbranch_execz .LBB423_7
; %bb.1:
	s_clause 0x4
	s_load_b128 s[12:15], s[0:1], 0x4
	s_load_b64 s[2:3], s[0:1], 0x14
	s_load_b128 s[8:11], s[0:1], 0xc4
	s_load_b128 s[4:7], s[0:1], 0x148
	s_load_b32 s26, s[0:1], 0x158
	s_cmp_lg_u32 s22, 0
	s_mov_b32 s31, exec_lo
	s_cselect_b32 s30, -1, 0
	s_add_u32 s16, s0, 0xc4
	s_addc_u32 s17, s1, 0
	s_min_u32 s29, s23, 15
	s_cmp_gt_u32 s22, 1
	s_cselect_b32 s27, -1, 0
	v_cmpx_gt_i32_e64 s28, v12
	s_cbranch_execz .LBB423_14
; %bb.2:
	s_and_not1_b32 vcc_lo, exec_lo, s24
	s_cbranch_vccnz .LBB423_21
; %bb.3:
	v_dual_mov_b32 v0, 0 :: v_dual_mov_b32 v1, 0
	s_and_not1_b32 vcc_lo, exec_lo, s30
	s_mov_b32 s33, 0
	s_cbranch_vccnz .LBB423_125
; %bb.4:
	v_mov_b32_e32 v0, 0
	s_add_i32 s35, s29, 1
	s_cmp_eq_u32 s23, 2
	s_mov_b32 s34, 0
	s_cbranch_scc1 .LBB423_121
; %bb.5:
	v_dual_mov_b32 v1, 0 :: v_dual_mov_b32 v0, 0
	v_mov_b32_e32 v2, v12
	s_and_b32 s34, s35, 28
	s_mov_b32 s36, 0
	s_mov_b64 s[18:19], s[16:17]
	s_mov_b64 s[20:21], s[0:1]
.LBB423_6:                              ; =>This Inner Loop Header: Depth=1
	s_clause 0x1
	s_load_b256 s[40:47], s[20:21], 0x4
	s_load_b128 s[56:59], s[20:21], 0x24
	s_load_b256 s[48:55], s[18:19], 0x0
	s_add_u32 s20, s20, 48
	s_addc_u32 s21, s21, 0
	s_add_i32 s36, s36, 4
	s_add_u32 s18, s18, 32
	s_addc_u32 s19, s19, 0
	s_cmp_lg_u32 s34, s36
	s_waitcnt lgkmcnt(0)
	v_mul_hi_u32 v3, s41, v2
	s_delay_alu instid0(VALU_DEP_1) | instskip(NEXT) | instid1(VALU_DEP_1)
	v_add_nc_u32_e32 v3, v2, v3
	v_lshrrev_b32_e32 v3, s42, v3
	s_delay_alu instid0(VALU_DEP_1) | instskip(SKIP_1) | instid1(VALU_DEP_2)
	v_mul_hi_u32 v4, s44, v3
	v_mul_lo_u32 v6, v3, s40
	v_add_nc_u32_e32 v4, v3, v4
	s_delay_alu instid0(VALU_DEP_2) | instskip(NEXT) | instid1(VALU_DEP_2)
	v_sub_nc_u32_e32 v2, v2, v6
	v_lshrrev_b32_e32 v4, s45, v4
	s_delay_alu instid0(VALU_DEP_2) | instskip(SKIP_1) | instid1(VALU_DEP_3)
	v_mul_lo_u32 v6, v2, s48
	v_mul_lo_u32 v8, v2, s49
	v_mul_hi_u32 v5, s47, v4
	s_delay_alu instid0(VALU_DEP_1) | instskip(NEXT) | instid1(VALU_DEP_1)
	v_add_nc_u32_e32 v5, v4, v5
	v_lshrrev_b32_e32 v5, s56, v5
	s_delay_alu instid0(VALU_DEP_1) | instskip(SKIP_1) | instid1(VALU_DEP_2)
	v_mul_hi_u32 v7, s58, v5
	v_mul_lo_u32 v9, v5, s46
	v_add_nc_u32_e32 v2, v5, v7
	v_mul_lo_u32 v7, v4, s43
	s_delay_alu instid0(VALU_DEP_3) | instskip(NEXT) | instid1(VALU_DEP_3)
	v_sub_nc_u32_e32 v4, v4, v9
	v_lshrrev_b32_e32 v2, s59, v2
	s_delay_alu instid0(VALU_DEP_2) | instskip(SKIP_2) | instid1(VALU_DEP_4)
	v_mul_lo_u32 v9, v4, s52
	v_mul_lo_u32 v4, v4, s53
	v_sub_nc_u32_e32 v3, v3, v7
	v_mul_lo_u32 v10, v2, s57
	s_delay_alu instid0(VALU_DEP_2) | instskip(SKIP_1) | instid1(VALU_DEP_3)
	v_mul_lo_u32 v7, v3, s50
	v_mul_lo_u32 v3, v3, s51
	v_sub_nc_u32_e32 v5, v5, v10
	s_delay_alu instid0(VALU_DEP_3) | instskip(NEXT) | instid1(VALU_DEP_2)
	v_add3_u32 v0, v6, v0, v7
	v_mul_lo_u32 v10, v5, s54
	v_mul_lo_u32 v5, v5, s55
	v_add3_u32 v1, v8, v1, v3
	s_delay_alu instid0(VALU_DEP_3) | instskip(NEXT) | instid1(VALU_DEP_2)
	v_add3_u32 v0, v9, v0, v10
	v_add3_u32 v1, v4, v1, v5
	s_cbranch_scc1 .LBB423_6
	s_branch .LBB423_122
.LBB423_7:
	s_and_not1_saveexec_b32 s2, s25
	s_cbranch_execz .LBB423_206
.LBB423_8:
	v_cndmask_b32_e64 v14, 0, 1, s24
	s_and_not1_b32 vcc_lo, exec_lo, s24
	s_cbranch_vccnz .LBB423_20
; %bb.9:
	v_dual_mov_b32 v0, 0 :: v_dual_mov_b32 v1, 0
	s_cmp_lg_u32 s22, 0
	s_mov_b32 s6, 0
	s_cbranch_scc0 .LBB423_26
; %bb.10:
	s_min_u32 s7, s23, 15
	v_mov_b32_e32 v0, 0
	s_add_i32 s7, s7, 1
	s_cmp_eq_u32 s23, 2
	s_mov_b32 s8, 0
	s_cbranch_scc1 .LBB423_23
; %bb.11:
	v_dual_mov_b32 v1, 0 :: v_dual_mov_b32 v0, 0
	v_mov_b32_e32 v2, v12
	s_add_u32 s2, s0, 0xc4
	s_addc_u32 s3, s1, 0
	s_and_b32 s8, s7, 28
	s_mov_b32 s9, 0
	s_mov_b64 s[4:5], s[0:1]
.LBB423_12:                             ; =>This Inner Loop Header: Depth=1
	s_clause 0x1
	s_load_b256 s[12:19], s[4:5], 0x4
	s_load_b128 s[36:39], s[4:5], 0x24
	s_load_b256 s[24:31], s[2:3], 0x0
	s_add_u32 s4, s4, 48
	s_addc_u32 s5, s5, 0
	s_add_i32 s9, s9, 4
	s_add_u32 s2, s2, 32
	s_addc_u32 s3, s3, 0
	s_cmp_lg_u32 s8, s9
	s_waitcnt lgkmcnt(0)
	v_mul_hi_u32 v3, s13, v2
	s_delay_alu instid0(VALU_DEP_1) | instskip(NEXT) | instid1(VALU_DEP_1)
	v_add_nc_u32_e32 v3, v2, v3
	v_lshrrev_b32_e32 v3, s14, v3
	s_delay_alu instid0(VALU_DEP_1) | instskip(SKIP_1) | instid1(VALU_DEP_2)
	v_mul_hi_u32 v4, s16, v3
	v_mul_lo_u32 v6, v3, s12
	v_add_nc_u32_e32 v4, v3, v4
	s_delay_alu instid0(VALU_DEP_2) | instskip(NEXT) | instid1(VALU_DEP_2)
	v_sub_nc_u32_e32 v2, v2, v6
	v_lshrrev_b32_e32 v4, s17, v4
	s_delay_alu instid0(VALU_DEP_2) | instskip(SKIP_1) | instid1(VALU_DEP_3)
	v_mul_lo_u32 v6, v2, s24
	v_mul_lo_u32 v8, v2, s25
	v_mul_hi_u32 v5, s19, v4
	s_delay_alu instid0(VALU_DEP_1) | instskip(NEXT) | instid1(VALU_DEP_1)
	v_add_nc_u32_e32 v5, v4, v5
	v_lshrrev_b32_e32 v5, s36, v5
	s_delay_alu instid0(VALU_DEP_1) | instskip(SKIP_1) | instid1(VALU_DEP_2)
	v_mul_hi_u32 v7, s38, v5
	v_mul_lo_u32 v9, v5, s18
	v_add_nc_u32_e32 v2, v5, v7
	v_mul_lo_u32 v7, v4, s15
	s_delay_alu instid0(VALU_DEP_3) | instskip(NEXT) | instid1(VALU_DEP_3)
	v_sub_nc_u32_e32 v4, v4, v9
	v_lshrrev_b32_e32 v2, s39, v2
	s_delay_alu instid0(VALU_DEP_2) | instskip(SKIP_2) | instid1(VALU_DEP_4)
	v_mul_lo_u32 v9, v4, s28
	v_mul_lo_u32 v4, v4, s29
	v_sub_nc_u32_e32 v3, v3, v7
	v_mul_lo_u32 v10, v2, s37
	s_delay_alu instid0(VALU_DEP_2) | instskip(SKIP_1) | instid1(VALU_DEP_3)
	v_mul_lo_u32 v7, v3, s26
	v_mul_lo_u32 v3, v3, s27
	v_sub_nc_u32_e32 v5, v5, v10
	s_delay_alu instid0(VALU_DEP_3) | instskip(NEXT) | instid1(VALU_DEP_2)
	v_add3_u32 v0, v6, v0, v7
	v_mul_lo_u32 v10, v5, s30
	v_mul_lo_u32 v5, v5, s31
	v_add3_u32 v1, v8, v1, v3
	s_delay_alu instid0(VALU_DEP_3) | instskip(NEXT) | instid1(VALU_DEP_2)
	v_add3_u32 v0, v9, v0, v10
	v_add3_u32 v1, v4, v1, v5
	s_cbranch_scc1 .LBB423_12
; %bb.13:
	s_and_b32 s7, s7, 3
	s_delay_alu instid0(SALU_CYCLE_1)
	s_cmp_eq_u32 s7, 0
	s_cbranch_scc0 .LBB423_24
	s_branch .LBB423_26
.LBB423_14:
	s_or_b32 exec_lo, exec_lo, s31
	s_delay_alu instid0(SALU_CYCLE_1)
	s_mov_b32 s31, exec_lo
	v_cmpx_gt_i32_e64 s28, v12
	s_cbranch_execz .LBB423_129
.LBB423_15:
	s_and_not1_b32 vcc_lo, exec_lo, s24
	s_cbranch_vccnz .LBB423_22
; %bb.16:
	v_dual_mov_b32 v0, 0 :: v_dual_mov_b32 v1, 0
	s_and_not1_b32 vcc_lo, exec_lo, s30
	s_mov_b32 s33, 0
	s_cbranch_vccnz .LBB423_140
; %bb.17:
	v_mov_b32_e32 v0, 0
	s_add_i32 s35, s29, 1
	s_cmp_eq_u32 s23, 2
	s_mov_b32 s34, 0
	s_cbranch_scc1 .LBB423_136
; %bb.18:
	v_dual_mov_b32 v1, 0 :: v_dual_mov_b32 v0, 0
	v_mov_b32_e32 v2, v12
	s_and_b32 s34, s35, 28
	s_mov_b32 s36, 0
	s_mov_b64 s[18:19], s[16:17]
	s_mov_b64 s[20:21], s[0:1]
.LBB423_19:                             ; =>This Inner Loop Header: Depth=1
	s_clause 0x1
	s_load_b256 s[40:47], s[20:21], 0x4
	s_load_b128 s[56:59], s[20:21], 0x24
	s_load_b256 s[48:55], s[18:19], 0x0
	s_add_u32 s20, s20, 48
	s_addc_u32 s21, s21, 0
	s_add_i32 s36, s36, 4
	s_add_u32 s18, s18, 32
	s_addc_u32 s19, s19, 0
	s_cmp_eq_u32 s34, s36
	s_waitcnt lgkmcnt(0)
	v_mul_hi_u32 v3, s41, v2
	s_delay_alu instid0(VALU_DEP_1) | instskip(NEXT) | instid1(VALU_DEP_1)
	v_add_nc_u32_e32 v3, v2, v3
	v_lshrrev_b32_e32 v3, s42, v3
	s_delay_alu instid0(VALU_DEP_1) | instskip(SKIP_1) | instid1(VALU_DEP_2)
	v_mul_hi_u32 v4, s44, v3
	v_mul_lo_u32 v6, v3, s40
	v_add_nc_u32_e32 v4, v3, v4
	s_delay_alu instid0(VALU_DEP_2) | instskip(NEXT) | instid1(VALU_DEP_2)
	v_sub_nc_u32_e32 v2, v2, v6
	v_lshrrev_b32_e32 v4, s45, v4
	s_delay_alu instid0(VALU_DEP_2) | instskip(SKIP_1) | instid1(VALU_DEP_3)
	v_mul_lo_u32 v6, v2, s48
	v_mul_lo_u32 v8, v2, s49
	v_mul_hi_u32 v5, s47, v4
	s_delay_alu instid0(VALU_DEP_1) | instskip(NEXT) | instid1(VALU_DEP_1)
	v_add_nc_u32_e32 v5, v4, v5
	v_lshrrev_b32_e32 v5, s56, v5
	s_delay_alu instid0(VALU_DEP_1) | instskip(SKIP_1) | instid1(VALU_DEP_2)
	v_mul_hi_u32 v7, s58, v5
	v_mul_lo_u32 v9, v5, s46
	v_add_nc_u32_e32 v2, v5, v7
	v_mul_lo_u32 v7, v4, s43
	s_delay_alu instid0(VALU_DEP_3) | instskip(NEXT) | instid1(VALU_DEP_3)
	v_sub_nc_u32_e32 v4, v4, v9
	v_lshrrev_b32_e32 v2, s59, v2
	s_delay_alu instid0(VALU_DEP_2) | instskip(SKIP_2) | instid1(VALU_DEP_4)
	v_mul_lo_u32 v9, v4, s52
	v_mul_lo_u32 v4, v4, s53
	v_sub_nc_u32_e32 v3, v3, v7
	v_mul_lo_u32 v10, v2, s57
	s_delay_alu instid0(VALU_DEP_2) | instskip(SKIP_1) | instid1(VALU_DEP_3)
	v_mul_lo_u32 v7, v3, s50
	v_mul_lo_u32 v3, v3, s51
	v_sub_nc_u32_e32 v5, v5, v10
	s_delay_alu instid0(VALU_DEP_3) | instskip(NEXT) | instid1(VALU_DEP_2)
	v_add3_u32 v0, v6, v0, v7
	v_mul_lo_u32 v10, v5, s54
	v_mul_lo_u32 v5, v5, s55
	v_add3_u32 v1, v8, v1, v3
	s_delay_alu instid0(VALU_DEP_3) | instskip(NEXT) | instid1(VALU_DEP_2)
	v_add3_u32 v0, v9, v0, v10
	v_add3_u32 v1, v4, v1, v5
	s_cbranch_scc0 .LBB423_19
	s_branch .LBB423_137
.LBB423_20:
	s_mov_b32 s6, -1
                                        ; implicit-def: $vgpr0
                                        ; implicit-def: $vgpr1
	s_branch .LBB423_26
.LBB423_21:
	s_mov_b32 s33, -1
                                        ; implicit-def: $vgpr0
                                        ; implicit-def: $vgpr1
	s_branch .LBB423_125
.LBB423_22:
	s_mov_b32 s33, -1
                                        ; implicit-def: $vgpr0
                                        ; implicit-def: $vgpr1
	s_branch .LBB423_140
.LBB423_23:
	v_dual_mov_b32 v2, v12 :: v_dual_mov_b32 v1, 0
	s_and_b32 s7, s7, 3
	s_delay_alu instid0(SALU_CYCLE_1)
	s_cmp_eq_u32 s7, 0
	s_cbranch_scc1 .LBB423_26
.LBB423_24:
	s_lshl_b32 s2, s8, 3
	s_mul_i32 s4, s8, 12
	s_add_u32 s2, s2, s0
	s_addc_u32 s3, 0, s1
	s_add_u32 s2, s2, 0xc4
	s_addc_u32 s3, s3, 0
	;; [unrolled: 2-line block ×3, first 2 shown]
	.p2align	6
.LBB423_25:                             ; =>This Inner Loop Header: Depth=1
	s_clause 0x1
	s_load_b64 s[8:9], s[4:5], 0x4
	s_load_b32 s12, s[4:5], 0xc
	s_load_b64 s[10:11], s[2:3], 0x0
	s_add_u32 s4, s4, 12
	s_addc_u32 s5, s5, 0
	s_add_u32 s2, s2, 8
	s_addc_u32 s3, s3, 0
	s_add_i32 s7, s7, -1
	s_delay_alu instid0(SALU_CYCLE_1) | instskip(SKIP_2) | instid1(VALU_DEP_1)
	s_cmp_lg_u32 s7, 0
	s_waitcnt lgkmcnt(0)
	v_mul_hi_u32 v3, s9, v2
	v_add_nc_u32_e32 v3, v2, v3
	s_delay_alu instid0(VALU_DEP_1) | instskip(NEXT) | instid1(VALU_DEP_1)
	v_lshrrev_b32_e32 v6, s12, v3
	v_mul_lo_u32 v3, v6, s8
	s_delay_alu instid0(VALU_DEP_1) | instskip(NEXT) | instid1(VALU_DEP_1)
	v_sub_nc_u32_e32 v2, v2, v3
	v_mad_u64_u32 v[3:4], null, v2, s10, v[0:1]
	v_mad_u64_u32 v[4:5], null, v2, s11, v[1:2]
	v_mov_b32_e32 v2, v6
	s_delay_alu instid0(VALU_DEP_2)
	v_dual_mov_b32 v0, v3 :: v_dual_mov_b32 v1, v4
	s_cbranch_scc1 .LBB423_25
.LBB423_26:
	s_and_not1_b32 vcc_lo, exec_lo, s6
	s_cbranch_vccnz .LBB423_29
; %bb.27:
	s_clause 0x1
	s_load_b128 s[4:7], s[0:1], 0x4
	s_load_b64 s[2:3], s[0:1], 0xc4
	s_cmp_lt_u32 s22, 2
	s_waitcnt lgkmcnt(0)
	v_mul_hi_u32 v0, s5, v12
	s_delay_alu instid0(VALU_DEP_1) | instskip(NEXT) | instid1(VALU_DEP_1)
	v_add_nc_u32_e32 v0, v12, v0
	v_lshrrev_b32_e32 v2, s6, v0
	s_delay_alu instid0(VALU_DEP_1) | instskip(NEXT) | instid1(VALU_DEP_1)
	v_mul_lo_u32 v0, v2, s4
	v_sub_nc_u32_e32 v1, v12, v0
	s_delay_alu instid0(VALU_DEP_1)
	v_mul_lo_u32 v0, v1, s2
	v_mul_lo_u32 v1, v1, s3
	s_cbranch_scc1 .LBB423_29
; %bb.28:
	s_clause 0x1
	s_load_b128 s[4:7], s[0:1], 0x10
	s_load_b64 s[2:3], s[0:1], 0xcc
	s_waitcnt lgkmcnt(0)
	v_mul_hi_u32 v3, s5, v2
	s_delay_alu instid0(VALU_DEP_1) | instskip(NEXT) | instid1(VALU_DEP_1)
	v_add_nc_u32_e32 v3, v2, v3
	v_lshrrev_b32_e32 v3, s6, v3
	s_delay_alu instid0(VALU_DEP_1) | instskip(NEXT) | instid1(VALU_DEP_1)
	v_mul_lo_u32 v3, v3, s4
	v_sub_nc_u32_e32 v5, v2, v3
	s_delay_alu instid0(VALU_DEP_1) | instskip(NEXT) | instid1(VALU_DEP_1)
	v_mad_u64_u32 v[2:3], null, v5, s2, v[0:1]
	v_mad_u64_u32 v[3:4], null, v5, s3, v[1:2]
	s_delay_alu instid0(VALU_DEP_1)
	v_dual_mov_b32 v0, v2 :: v_dual_mov_b32 v1, v3
.LBB423_29:
	v_cmp_ne_u32_e32 vcc_lo, 1, v14
	v_add_nc_u32_e32 v4, 0x80, v12
	s_cbranch_vccnz .LBB423_35
; %bb.30:
	v_dual_mov_b32 v2, 0 :: v_dual_mov_b32 v3, 0
	s_cmp_lg_u32 s22, 0
	s_mov_b32 s6, 0
	s_cbranch_scc0 .LBB423_39
; %bb.31:
	s_min_u32 s7, s23, 15
	v_mov_b32_e32 v2, 0
	s_add_i32 s7, s7, 1
	s_cmp_eq_u32 s23, 2
	s_mov_b32 s8, 0
	s_cbranch_scc1 .LBB423_36
; %bb.32:
	v_dual_mov_b32 v3, 0 :: v_dual_mov_b32 v2, 0
	v_mov_b32_e32 v5, v4
	s_add_u32 s2, s0, 0xc4
	s_addc_u32 s3, s1, 0
	s_and_b32 s8, s7, 28
	s_mov_b32 s9, 0
	s_mov_b64 s[4:5], s[0:1]
.LBB423_33:                             ; =>This Inner Loop Header: Depth=1
	s_clause 0x1
	s_load_b256 s[12:19], s[4:5], 0x4
	s_load_b128 s[36:39], s[4:5], 0x24
	s_load_b256 s[24:31], s[2:3], 0x0
	s_add_u32 s4, s4, 48
	s_addc_u32 s5, s5, 0
	s_add_i32 s9, s9, 4
	s_add_u32 s2, s2, 32
	s_addc_u32 s3, s3, 0
	s_cmp_lg_u32 s8, s9
	s_waitcnt lgkmcnt(0)
	v_mul_hi_u32 v6, s13, v5
	s_delay_alu instid0(VALU_DEP_1) | instskip(NEXT) | instid1(VALU_DEP_1)
	v_add_nc_u32_e32 v6, v5, v6
	v_lshrrev_b32_e32 v6, s14, v6
	s_delay_alu instid0(VALU_DEP_1) | instskip(SKIP_1) | instid1(VALU_DEP_2)
	v_mul_hi_u32 v7, s16, v6
	v_mul_lo_u32 v9, v6, s12
	v_add_nc_u32_e32 v7, v6, v7
	s_delay_alu instid0(VALU_DEP_2) | instskip(NEXT) | instid1(VALU_DEP_2)
	v_sub_nc_u32_e32 v5, v5, v9
	v_lshrrev_b32_e32 v7, s17, v7
	s_delay_alu instid0(VALU_DEP_2) | instskip(SKIP_1) | instid1(VALU_DEP_3)
	v_mul_lo_u32 v9, v5, s24
	v_mul_lo_u32 v11, v5, s25
	v_mul_hi_u32 v8, s19, v7
	s_delay_alu instid0(VALU_DEP_1) | instskip(NEXT) | instid1(VALU_DEP_1)
	v_add_nc_u32_e32 v8, v7, v8
	v_lshrrev_b32_e32 v8, s36, v8
	s_delay_alu instid0(VALU_DEP_1) | instskip(SKIP_1) | instid1(VALU_DEP_2)
	v_mul_hi_u32 v10, s38, v8
	v_mul_lo_u32 v13, v8, s18
	v_add_nc_u32_e32 v5, v8, v10
	v_mul_lo_u32 v10, v7, s15
	s_delay_alu instid0(VALU_DEP_3) | instskip(NEXT) | instid1(VALU_DEP_3)
	v_sub_nc_u32_e32 v7, v7, v13
	v_lshrrev_b32_e32 v5, s39, v5
	s_delay_alu instid0(VALU_DEP_2) | instskip(SKIP_2) | instid1(VALU_DEP_4)
	v_mul_lo_u32 v13, v7, s28
	v_mul_lo_u32 v7, v7, s29
	v_sub_nc_u32_e32 v6, v6, v10
	v_mul_lo_u32 v15, v5, s37
	s_delay_alu instid0(VALU_DEP_2) | instskip(SKIP_1) | instid1(VALU_DEP_3)
	v_mul_lo_u32 v10, v6, s26
	v_mul_lo_u32 v6, v6, s27
	v_sub_nc_u32_e32 v8, v8, v15
	s_delay_alu instid0(VALU_DEP_3) | instskip(NEXT) | instid1(VALU_DEP_2)
	v_add3_u32 v2, v9, v2, v10
	v_mul_lo_u32 v15, v8, s30
	v_mul_lo_u32 v8, v8, s31
	v_add3_u32 v3, v11, v3, v6
	s_delay_alu instid0(VALU_DEP_3) | instskip(NEXT) | instid1(VALU_DEP_2)
	v_add3_u32 v2, v13, v2, v15
	v_add3_u32 v3, v7, v3, v8
	s_cbranch_scc1 .LBB423_33
; %bb.34:
	s_and_b32 s7, s7, 3
	s_delay_alu instid0(SALU_CYCLE_1)
	s_cmp_eq_u32 s7, 0
	s_cbranch_scc0 .LBB423_37
	s_branch .LBB423_39
.LBB423_35:
	s_mov_b32 s6, -1
                                        ; implicit-def: $vgpr2
                                        ; implicit-def: $vgpr3
	s_branch .LBB423_39
.LBB423_36:
	v_mov_b32_e32 v5, v4
	v_mov_b32_e32 v3, 0
	s_and_b32 s7, s7, 3
	s_delay_alu instid0(SALU_CYCLE_1)
	s_cmp_eq_u32 s7, 0
	s_cbranch_scc1 .LBB423_39
.LBB423_37:
	s_lshl_b32 s2, s8, 3
	s_mul_i32 s4, s8, 12
	s_add_u32 s2, s2, s0
	s_addc_u32 s3, 0, s1
	s_add_u32 s2, s2, 0xc4
	s_addc_u32 s3, s3, 0
	;; [unrolled: 2-line block ×3, first 2 shown]
	.p2align	6
.LBB423_38:                             ; =>This Inner Loop Header: Depth=1
	s_clause 0x1
	s_load_b64 s[8:9], s[4:5], 0x4
	s_load_b32 s12, s[4:5], 0xc
	s_load_b64 s[10:11], s[2:3], 0x0
	s_add_u32 s4, s4, 12
	s_addc_u32 s5, s5, 0
	s_add_u32 s2, s2, 8
	s_addc_u32 s3, s3, 0
	s_add_i32 s7, s7, -1
	s_delay_alu instid0(SALU_CYCLE_1) | instskip(SKIP_2) | instid1(VALU_DEP_1)
	s_cmp_lg_u32 s7, 0
	s_waitcnt lgkmcnt(0)
	v_mul_hi_u32 v6, s9, v5
	v_add_nc_u32_e32 v6, v5, v6
	s_delay_alu instid0(VALU_DEP_1) | instskip(NEXT) | instid1(VALU_DEP_1)
	v_lshrrev_b32_e32 v9, s12, v6
	v_mul_lo_u32 v6, v9, s8
	s_delay_alu instid0(VALU_DEP_1) | instskip(NEXT) | instid1(VALU_DEP_1)
	v_sub_nc_u32_e32 v5, v5, v6
	v_mad_u64_u32 v[6:7], null, v5, s10, v[2:3]
	v_mad_u64_u32 v[7:8], null, v5, s11, v[3:4]
	s_delay_alu instid0(VALU_DEP_2) | instskip(NEXT) | instid1(VALU_DEP_2)
	v_dual_mov_b32 v5, v9 :: v_dual_mov_b32 v2, v6
	v_mov_b32_e32 v3, v7
	s_cbranch_scc1 .LBB423_38
.LBB423_39:
	s_and_not1_b32 vcc_lo, exec_lo, s6
	s_cbranch_vccnz .LBB423_42
; %bb.40:
	s_clause 0x1
	s_load_b128 s[4:7], s[0:1], 0x4
	s_load_b64 s[2:3], s[0:1], 0xc4
	s_cmp_lt_u32 s22, 2
	s_waitcnt lgkmcnt(0)
	v_mul_hi_u32 v2, s5, v4
	s_delay_alu instid0(VALU_DEP_1) | instskip(NEXT) | instid1(VALU_DEP_1)
	v_add_nc_u32_e32 v2, v4, v2
	v_lshrrev_b32_e32 v5, s6, v2
	s_delay_alu instid0(VALU_DEP_1) | instskip(NEXT) | instid1(VALU_DEP_1)
	v_mul_lo_u32 v2, v5, s4
	v_sub_nc_u32_e32 v3, v4, v2
	s_delay_alu instid0(VALU_DEP_1)
	v_mul_lo_u32 v2, v3, s2
	v_mul_lo_u32 v3, v3, s3
	s_cbranch_scc1 .LBB423_42
; %bb.41:
	s_clause 0x1
	s_load_b128 s[4:7], s[0:1], 0x10
	s_load_b64 s[2:3], s[0:1], 0xcc
	s_waitcnt lgkmcnt(0)
	v_mul_hi_u32 v4, s5, v5
	s_delay_alu instid0(VALU_DEP_1) | instskip(NEXT) | instid1(VALU_DEP_1)
	v_add_nc_u32_e32 v4, v5, v4
	v_lshrrev_b32_e32 v4, s6, v4
	s_delay_alu instid0(VALU_DEP_1) | instskip(NEXT) | instid1(VALU_DEP_1)
	v_mul_lo_u32 v4, v4, s4
	v_sub_nc_u32_e32 v7, v5, v4
	s_delay_alu instid0(VALU_DEP_1) | instskip(NEXT) | instid1(VALU_DEP_1)
	v_mad_u64_u32 v[4:5], null, v7, s2, v[2:3]
	v_mad_u64_u32 v[5:6], null, v7, s3, v[3:4]
	s_delay_alu instid0(VALU_DEP_1)
	v_dual_mov_b32 v2, v4 :: v_dual_mov_b32 v3, v5
.LBB423_42:
	v_cmp_ne_u32_e32 vcc_lo, 1, v14
	v_add_nc_u32_e32 v6, 0x100, v12
	s_cbranch_vccnz .LBB423_48
; %bb.43:
	v_dual_mov_b32 v4, 0 :: v_dual_mov_b32 v5, 0
	s_cmp_lg_u32 s22, 0
	s_mov_b32 s6, 0
	s_cbranch_scc0 .LBB423_52
; %bb.44:
	s_min_u32 s7, s23, 15
	v_mov_b32_e32 v4, 0
	s_add_i32 s7, s7, 1
	s_cmp_eq_u32 s23, 2
	s_mov_b32 s8, 0
	s_cbranch_scc1 .LBB423_49
; %bb.45:
	v_dual_mov_b32 v5, 0 :: v_dual_mov_b32 v4, 0
	v_mov_b32_e32 v7, v6
	s_add_u32 s2, s0, 0xc4
	s_addc_u32 s3, s1, 0
	s_and_b32 s8, s7, 28
	s_mov_b32 s9, 0
	s_mov_b64 s[4:5], s[0:1]
.LBB423_46:                             ; =>This Inner Loop Header: Depth=1
	s_clause 0x1
	s_load_b256 s[12:19], s[4:5], 0x4
	s_load_b128 s[36:39], s[4:5], 0x24
	s_load_b256 s[24:31], s[2:3], 0x0
	s_add_u32 s4, s4, 48
	s_addc_u32 s5, s5, 0
	s_add_i32 s9, s9, 4
	s_add_u32 s2, s2, 32
	s_addc_u32 s3, s3, 0
	s_cmp_lg_u32 s8, s9
	s_waitcnt lgkmcnt(0)
	v_mul_hi_u32 v8, s13, v7
	s_delay_alu instid0(VALU_DEP_1) | instskip(NEXT) | instid1(VALU_DEP_1)
	v_add_nc_u32_e32 v8, v7, v8
	v_lshrrev_b32_e32 v8, s14, v8
	s_delay_alu instid0(VALU_DEP_1) | instskip(SKIP_1) | instid1(VALU_DEP_2)
	v_mul_hi_u32 v9, s16, v8
	v_mul_lo_u32 v11, v8, s12
	v_add_nc_u32_e32 v9, v8, v9
	s_delay_alu instid0(VALU_DEP_2) | instskip(NEXT) | instid1(VALU_DEP_2)
	v_sub_nc_u32_e32 v7, v7, v11
	v_lshrrev_b32_e32 v9, s17, v9
	s_delay_alu instid0(VALU_DEP_2) | instskip(SKIP_1) | instid1(VALU_DEP_3)
	v_mul_lo_u32 v11, v7, s24
	v_mul_lo_u32 v15, v7, s25
	v_mul_hi_u32 v10, s19, v9
	s_delay_alu instid0(VALU_DEP_1) | instskip(NEXT) | instid1(VALU_DEP_1)
	v_add_nc_u32_e32 v10, v9, v10
	v_lshrrev_b32_e32 v10, s36, v10
	s_delay_alu instid0(VALU_DEP_1) | instskip(SKIP_1) | instid1(VALU_DEP_2)
	v_mul_hi_u32 v13, s38, v10
	v_mul_lo_u32 v17, v10, s18
	v_add_nc_u32_e32 v7, v10, v13
	v_mul_lo_u32 v13, v9, s15
	s_delay_alu instid0(VALU_DEP_3) | instskip(NEXT) | instid1(VALU_DEP_3)
	v_sub_nc_u32_e32 v9, v9, v17
	v_lshrrev_b32_e32 v7, s39, v7
	s_delay_alu instid0(VALU_DEP_2) | instskip(SKIP_2) | instid1(VALU_DEP_4)
	v_mul_lo_u32 v17, v9, s28
	v_mul_lo_u32 v9, v9, s29
	v_sub_nc_u32_e32 v8, v8, v13
	v_mul_lo_u32 v18, v7, s37
	s_delay_alu instid0(VALU_DEP_2) | instskip(SKIP_1) | instid1(VALU_DEP_3)
	v_mul_lo_u32 v13, v8, s26
	v_mul_lo_u32 v8, v8, s27
	v_sub_nc_u32_e32 v10, v10, v18
	s_delay_alu instid0(VALU_DEP_3) | instskip(NEXT) | instid1(VALU_DEP_2)
	v_add3_u32 v4, v11, v4, v13
	v_mul_lo_u32 v18, v10, s30
	v_mul_lo_u32 v10, v10, s31
	v_add3_u32 v5, v15, v5, v8
	s_delay_alu instid0(VALU_DEP_3) | instskip(NEXT) | instid1(VALU_DEP_2)
	v_add3_u32 v4, v17, v4, v18
	v_add3_u32 v5, v9, v5, v10
	s_cbranch_scc1 .LBB423_46
; %bb.47:
	s_and_b32 s7, s7, 3
	s_delay_alu instid0(SALU_CYCLE_1)
	s_cmp_eq_u32 s7, 0
	s_cbranch_scc0 .LBB423_50
	s_branch .LBB423_52
.LBB423_48:
	s_mov_b32 s6, -1
                                        ; implicit-def: $vgpr4
                                        ; implicit-def: $vgpr5
	s_branch .LBB423_52
.LBB423_49:
	v_mov_b32_e32 v7, v6
	v_mov_b32_e32 v5, 0
	s_and_b32 s7, s7, 3
	s_delay_alu instid0(SALU_CYCLE_1)
	s_cmp_eq_u32 s7, 0
	s_cbranch_scc1 .LBB423_52
.LBB423_50:
	s_lshl_b32 s2, s8, 3
	s_mul_i32 s4, s8, 12
	s_add_u32 s2, s2, s0
	s_addc_u32 s3, 0, s1
	s_add_u32 s2, s2, 0xc4
	s_addc_u32 s3, s3, 0
	s_add_u32 s4, s0, s4
	s_addc_u32 s5, 0, s1
	.p2align	6
.LBB423_51:                             ; =>This Inner Loop Header: Depth=1
	s_clause 0x1
	s_load_b64 s[8:9], s[4:5], 0x4
	s_load_b32 s12, s[4:5], 0xc
	s_load_b64 s[10:11], s[2:3], 0x0
	s_add_u32 s4, s4, 12
	s_addc_u32 s5, s5, 0
	s_add_u32 s2, s2, 8
	s_addc_u32 s3, s3, 0
	s_add_i32 s7, s7, -1
	s_delay_alu instid0(SALU_CYCLE_1) | instskip(SKIP_2) | instid1(VALU_DEP_1)
	s_cmp_lg_u32 s7, 0
	s_waitcnt lgkmcnt(0)
	v_mul_hi_u32 v8, s9, v7
	v_add_nc_u32_e32 v8, v7, v8
	s_delay_alu instid0(VALU_DEP_1) | instskip(NEXT) | instid1(VALU_DEP_1)
	v_lshrrev_b32_e32 v11, s12, v8
	v_mul_lo_u32 v8, v11, s8
	s_delay_alu instid0(VALU_DEP_1) | instskip(NEXT) | instid1(VALU_DEP_1)
	v_sub_nc_u32_e32 v7, v7, v8
	v_mad_u64_u32 v[8:9], null, v7, s10, v[4:5]
	v_mad_u64_u32 v[9:10], null, v7, s11, v[5:6]
	s_delay_alu instid0(VALU_DEP_2) | instskip(NEXT) | instid1(VALU_DEP_2)
	v_dual_mov_b32 v7, v11 :: v_dual_mov_b32 v4, v8
	v_mov_b32_e32 v5, v9
	s_cbranch_scc1 .LBB423_51
.LBB423_52:
	s_and_not1_b32 vcc_lo, exec_lo, s6
	s_cbranch_vccnz .LBB423_55
; %bb.53:
	s_clause 0x1
	s_load_b128 s[4:7], s[0:1], 0x4
	s_load_b64 s[2:3], s[0:1], 0xc4
	s_cmp_lt_u32 s22, 2
	s_waitcnt lgkmcnt(0)
	v_mul_hi_u32 v4, s5, v6
	s_delay_alu instid0(VALU_DEP_1) | instskip(NEXT) | instid1(VALU_DEP_1)
	v_add_nc_u32_e32 v4, v6, v4
	v_lshrrev_b32_e32 v7, s6, v4
	s_delay_alu instid0(VALU_DEP_1) | instskip(NEXT) | instid1(VALU_DEP_1)
	v_mul_lo_u32 v4, v7, s4
	v_sub_nc_u32_e32 v5, v6, v4
	s_delay_alu instid0(VALU_DEP_1)
	v_mul_lo_u32 v4, v5, s2
	v_mul_lo_u32 v5, v5, s3
	s_cbranch_scc1 .LBB423_55
; %bb.54:
	s_clause 0x1
	s_load_b128 s[4:7], s[0:1], 0x10
	s_load_b64 s[2:3], s[0:1], 0xcc
	s_waitcnt lgkmcnt(0)
	v_mul_hi_u32 v6, s5, v7
	s_delay_alu instid0(VALU_DEP_1) | instskip(NEXT) | instid1(VALU_DEP_1)
	v_add_nc_u32_e32 v6, v7, v6
	v_lshrrev_b32_e32 v6, s6, v6
	s_delay_alu instid0(VALU_DEP_1) | instskip(NEXT) | instid1(VALU_DEP_1)
	v_mul_lo_u32 v6, v6, s4
	v_sub_nc_u32_e32 v9, v7, v6
	s_delay_alu instid0(VALU_DEP_1) | instskip(NEXT) | instid1(VALU_DEP_1)
	v_mad_u64_u32 v[6:7], null, v9, s2, v[4:5]
	v_mad_u64_u32 v[7:8], null, v9, s3, v[5:6]
	s_delay_alu instid0(VALU_DEP_1)
	v_dual_mov_b32 v4, v6 :: v_dual_mov_b32 v5, v7
.LBB423_55:
	v_cmp_ne_u32_e32 vcc_lo, 1, v14
	v_add_nc_u32_e32 v8, 0x180, v12
	s_cbranch_vccnz .LBB423_61
; %bb.56:
	v_dual_mov_b32 v6, 0 :: v_dual_mov_b32 v7, 0
	s_cmp_lg_u32 s22, 0
	s_mov_b32 s6, 0
	s_cbranch_scc0 .LBB423_65
; %bb.57:
	s_min_u32 s7, s23, 15
	v_mov_b32_e32 v6, 0
	s_add_i32 s7, s7, 1
	s_cmp_eq_u32 s23, 2
	s_mov_b32 s8, 0
	s_cbranch_scc1 .LBB423_62
; %bb.58:
	v_dual_mov_b32 v7, 0 :: v_dual_mov_b32 v6, 0
	v_mov_b32_e32 v9, v8
	s_add_u32 s2, s0, 0xc4
	s_addc_u32 s3, s1, 0
	s_and_b32 s8, s7, 28
	s_mov_b32 s9, 0
	s_mov_b64 s[4:5], s[0:1]
.LBB423_59:                             ; =>This Inner Loop Header: Depth=1
	s_clause 0x1
	s_load_b256 s[12:19], s[4:5], 0x4
	s_load_b128 s[36:39], s[4:5], 0x24
	s_load_b256 s[24:31], s[2:3], 0x0
	s_add_u32 s4, s4, 48
	s_addc_u32 s5, s5, 0
	s_add_i32 s9, s9, 4
	s_add_u32 s2, s2, 32
	s_addc_u32 s3, s3, 0
	s_cmp_lg_u32 s8, s9
	s_waitcnt lgkmcnt(0)
	v_mul_hi_u32 v10, s13, v9
	s_delay_alu instid0(VALU_DEP_1) | instskip(NEXT) | instid1(VALU_DEP_1)
	v_add_nc_u32_e32 v10, v9, v10
	v_lshrrev_b32_e32 v10, s14, v10
	s_delay_alu instid0(VALU_DEP_1) | instskip(SKIP_1) | instid1(VALU_DEP_2)
	v_mul_hi_u32 v11, s16, v10
	v_mul_lo_u32 v15, v10, s12
	v_add_nc_u32_e32 v11, v10, v11
	s_delay_alu instid0(VALU_DEP_2) | instskip(NEXT) | instid1(VALU_DEP_2)
	v_sub_nc_u32_e32 v9, v9, v15
	v_lshrrev_b32_e32 v11, s17, v11
	s_delay_alu instid0(VALU_DEP_2) | instskip(SKIP_1) | instid1(VALU_DEP_3)
	v_mul_lo_u32 v15, v9, s24
	v_mul_lo_u32 v18, v9, s25
	v_mul_hi_u32 v13, s19, v11
	s_delay_alu instid0(VALU_DEP_1) | instskip(NEXT) | instid1(VALU_DEP_1)
	v_add_nc_u32_e32 v13, v11, v13
	v_lshrrev_b32_e32 v13, s36, v13
	s_delay_alu instid0(VALU_DEP_1) | instskip(SKIP_1) | instid1(VALU_DEP_2)
	v_mul_hi_u32 v17, s38, v13
	v_mul_lo_u32 v19, v13, s18
	v_add_nc_u32_e32 v9, v13, v17
	v_mul_lo_u32 v17, v11, s15
	s_delay_alu instid0(VALU_DEP_3) | instskip(NEXT) | instid1(VALU_DEP_3)
	v_sub_nc_u32_e32 v11, v11, v19
	v_lshrrev_b32_e32 v9, s39, v9
	s_delay_alu instid0(VALU_DEP_2) | instskip(SKIP_2) | instid1(VALU_DEP_4)
	v_mul_lo_u32 v19, v11, s28
	v_mul_lo_u32 v11, v11, s29
	v_sub_nc_u32_e32 v10, v10, v17
	v_mul_lo_u32 v20, v9, s37
	s_delay_alu instid0(VALU_DEP_2) | instskip(SKIP_1) | instid1(VALU_DEP_3)
	v_mul_lo_u32 v17, v10, s26
	v_mul_lo_u32 v10, v10, s27
	v_sub_nc_u32_e32 v13, v13, v20
	s_delay_alu instid0(VALU_DEP_3) | instskip(NEXT) | instid1(VALU_DEP_2)
	v_add3_u32 v6, v15, v6, v17
	v_mul_lo_u32 v20, v13, s30
	v_mul_lo_u32 v13, v13, s31
	v_add3_u32 v7, v18, v7, v10
	s_delay_alu instid0(VALU_DEP_3) | instskip(NEXT) | instid1(VALU_DEP_2)
	v_add3_u32 v6, v19, v6, v20
	v_add3_u32 v7, v11, v7, v13
	s_cbranch_scc1 .LBB423_59
; %bb.60:
	s_and_b32 s7, s7, 3
	s_delay_alu instid0(SALU_CYCLE_1)
	s_cmp_eq_u32 s7, 0
	s_cbranch_scc0 .LBB423_63
	s_branch .LBB423_65
.LBB423_61:
	s_mov_b32 s6, -1
                                        ; implicit-def: $vgpr6
                                        ; implicit-def: $vgpr7
	s_branch .LBB423_65
.LBB423_62:
	v_mov_b32_e32 v9, v8
	v_mov_b32_e32 v7, 0
	s_and_b32 s7, s7, 3
	s_delay_alu instid0(SALU_CYCLE_1)
	s_cmp_eq_u32 s7, 0
	s_cbranch_scc1 .LBB423_65
.LBB423_63:
	s_lshl_b32 s2, s8, 3
	s_mul_i32 s4, s8, 12
	s_add_u32 s2, s2, s0
	s_addc_u32 s3, 0, s1
	s_add_u32 s2, s2, 0xc4
	s_addc_u32 s3, s3, 0
	;; [unrolled: 2-line block ×3, first 2 shown]
	.p2align	6
.LBB423_64:                             ; =>This Inner Loop Header: Depth=1
	s_clause 0x1
	s_load_b64 s[8:9], s[4:5], 0x4
	s_load_b32 s12, s[4:5], 0xc
	s_load_b64 s[10:11], s[2:3], 0x0
	s_add_u32 s4, s4, 12
	s_addc_u32 s5, s5, 0
	s_add_u32 s2, s2, 8
	s_addc_u32 s3, s3, 0
	s_add_i32 s7, s7, -1
	s_delay_alu instid0(SALU_CYCLE_1) | instskip(SKIP_2) | instid1(VALU_DEP_1)
	s_cmp_lg_u32 s7, 0
	s_waitcnt lgkmcnt(0)
	v_mul_hi_u32 v10, s9, v9
	v_add_nc_u32_e32 v10, v9, v10
	s_delay_alu instid0(VALU_DEP_1) | instskip(NEXT) | instid1(VALU_DEP_1)
	v_lshrrev_b32_e32 v13, s12, v10
	v_mul_lo_u32 v10, v13, s8
	s_delay_alu instid0(VALU_DEP_1) | instskip(NEXT) | instid1(VALU_DEP_1)
	v_sub_nc_u32_e32 v9, v9, v10
	v_mad_u64_u32 v[10:11], null, v9, s10, v[6:7]
	v_mad_u64_u32 v[17:18], null, v9, s11, v[7:8]
	s_delay_alu instid0(VALU_DEP_2) | instskip(NEXT) | instid1(VALU_DEP_2)
	v_dual_mov_b32 v9, v13 :: v_dual_mov_b32 v6, v10
	v_mov_b32_e32 v7, v17
	s_cbranch_scc1 .LBB423_64
.LBB423_65:
	s_and_not1_b32 vcc_lo, exec_lo, s6
	s_cbranch_vccnz .LBB423_68
; %bb.66:
	s_clause 0x1
	s_load_b128 s[4:7], s[0:1], 0x4
	s_load_b64 s[2:3], s[0:1], 0xc4
	s_cmp_lt_u32 s22, 2
	s_waitcnt lgkmcnt(0)
	v_mul_hi_u32 v6, s5, v8
	s_delay_alu instid0(VALU_DEP_1) | instskip(NEXT) | instid1(VALU_DEP_1)
	v_add_nc_u32_e32 v6, v8, v6
	v_lshrrev_b32_e32 v9, s6, v6
	s_delay_alu instid0(VALU_DEP_1) | instskip(NEXT) | instid1(VALU_DEP_1)
	v_mul_lo_u32 v6, v9, s4
	v_sub_nc_u32_e32 v7, v8, v6
	s_delay_alu instid0(VALU_DEP_1)
	v_mul_lo_u32 v6, v7, s2
	v_mul_lo_u32 v7, v7, s3
	s_cbranch_scc1 .LBB423_68
; %bb.67:
	s_clause 0x1
	s_load_b128 s[4:7], s[0:1], 0x10
	s_load_b64 s[2:3], s[0:1], 0xcc
	s_waitcnt lgkmcnt(0)
	v_mul_hi_u32 v8, s5, v9
	s_delay_alu instid0(VALU_DEP_1) | instskip(NEXT) | instid1(VALU_DEP_1)
	v_add_nc_u32_e32 v8, v9, v8
	v_lshrrev_b32_e32 v8, s6, v8
	s_delay_alu instid0(VALU_DEP_1) | instskip(NEXT) | instid1(VALU_DEP_1)
	v_mul_lo_u32 v8, v8, s4
	v_sub_nc_u32_e32 v11, v9, v8
	s_delay_alu instid0(VALU_DEP_1) | instskip(NEXT) | instid1(VALU_DEP_1)
	v_mad_u64_u32 v[8:9], null, v11, s2, v[6:7]
	v_mad_u64_u32 v[9:10], null, v11, s3, v[7:8]
	s_delay_alu instid0(VALU_DEP_1)
	v_dual_mov_b32 v6, v8 :: v_dual_mov_b32 v7, v9
.LBB423_68:
	v_cmp_ne_u32_e32 vcc_lo, 1, v14
	v_add_nc_u32_e32 v10, 0x200, v12
	s_cbranch_vccnz .LBB423_74
; %bb.69:
	v_dual_mov_b32 v8, 0 :: v_dual_mov_b32 v9, 0
	s_cmp_lg_u32 s22, 0
	s_mov_b32 s6, 0
	s_cbranch_scc0 .LBB423_78
; %bb.70:
	s_min_u32 s7, s23, 15
	v_mov_b32_e32 v8, 0
	s_add_i32 s7, s7, 1
	s_cmp_eq_u32 s23, 2
	s_mov_b32 s8, 0
	s_cbranch_scc1 .LBB423_75
; %bb.71:
	v_dual_mov_b32 v9, 0 :: v_dual_mov_b32 v8, 0
	v_mov_b32_e32 v11, v10
	s_add_u32 s2, s0, 0xc4
	s_addc_u32 s3, s1, 0
	s_and_b32 s8, s7, 28
	s_mov_b32 s9, 0
	s_mov_b64 s[4:5], s[0:1]
.LBB423_72:                             ; =>This Inner Loop Header: Depth=1
	s_clause 0x1
	s_load_b256 s[12:19], s[4:5], 0x4
	s_load_b128 s[36:39], s[4:5], 0x24
	s_load_b256 s[24:31], s[2:3], 0x0
	s_add_u32 s4, s4, 48
	s_addc_u32 s5, s5, 0
	s_add_i32 s9, s9, 4
	s_add_u32 s2, s2, 32
	s_addc_u32 s3, s3, 0
	s_cmp_lg_u32 s8, s9
	s_waitcnt lgkmcnt(0)
	v_mul_hi_u32 v13, s13, v11
	s_delay_alu instid0(VALU_DEP_1) | instskip(NEXT) | instid1(VALU_DEP_1)
	v_add_nc_u32_e32 v13, v11, v13
	v_lshrrev_b32_e32 v13, s14, v13
	s_delay_alu instid0(VALU_DEP_1) | instskip(SKIP_1) | instid1(VALU_DEP_2)
	v_mul_hi_u32 v15, s16, v13
	v_mul_lo_u32 v18, v13, s12
	v_add_nc_u32_e32 v15, v13, v15
	s_delay_alu instid0(VALU_DEP_2) | instskip(NEXT) | instid1(VALU_DEP_2)
	v_sub_nc_u32_e32 v11, v11, v18
	v_lshrrev_b32_e32 v15, s17, v15
	s_delay_alu instid0(VALU_DEP_2) | instskip(SKIP_1) | instid1(VALU_DEP_3)
	v_mul_lo_u32 v18, v11, s24
	v_mul_lo_u32 v20, v11, s25
	v_mul_hi_u32 v17, s19, v15
	s_delay_alu instid0(VALU_DEP_1) | instskip(NEXT) | instid1(VALU_DEP_1)
	v_add_nc_u32_e32 v17, v15, v17
	v_lshrrev_b32_e32 v17, s36, v17
	s_delay_alu instid0(VALU_DEP_1) | instskip(SKIP_1) | instid1(VALU_DEP_2)
	v_mul_hi_u32 v19, s38, v17
	v_mul_lo_u32 v21, v17, s18
	v_add_nc_u32_e32 v11, v17, v19
	v_mul_lo_u32 v19, v15, s15
	s_delay_alu instid0(VALU_DEP_3) | instskip(NEXT) | instid1(VALU_DEP_3)
	v_sub_nc_u32_e32 v15, v15, v21
	v_lshrrev_b32_e32 v11, s39, v11
	s_delay_alu instid0(VALU_DEP_2) | instskip(SKIP_2) | instid1(VALU_DEP_4)
	v_mul_lo_u32 v21, v15, s28
	v_mul_lo_u32 v15, v15, s29
	v_sub_nc_u32_e32 v13, v13, v19
	v_mul_lo_u32 v22, v11, s37
	s_delay_alu instid0(VALU_DEP_2) | instskip(SKIP_1) | instid1(VALU_DEP_3)
	v_mul_lo_u32 v19, v13, s26
	v_mul_lo_u32 v13, v13, s27
	v_sub_nc_u32_e32 v17, v17, v22
	s_delay_alu instid0(VALU_DEP_3) | instskip(NEXT) | instid1(VALU_DEP_2)
	v_add3_u32 v8, v18, v8, v19
	v_mul_lo_u32 v22, v17, s30
	v_mul_lo_u32 v17, v17, s31
	v_add3_u32 v9, v20, v9, v13
	s_delay_alu instid0(VALU_DEP_3) | instskip(NEXT) | instid1(VALU_DEP_2)
	v_add3_u32 v8, v21, v8, v22
	v_add3_u32 v9, v15, v9, v17
	s_cbranch_scc1 .LBB423_72
; %bb.73:
	s_and_b32 s7, s7, 3
	s_delay_alu instid0(SALU_CYCLE_1)
	s_cmp_eq_u32 s7, 0
	s_cbranch_scc0 .LBB423_76
	s_branch .LBB423_78
.LBB423_74:
	s_mov_b32 s6, -1
                                        ; implicit-def: $vgpr8
                                        ; implicit-def: $vgpr9
	s_branch .LBB423_78
.LBB423_75:
	v_mov_b32_e32 v11, v10
	v_mov_b32_e32 v9, 0
	s_and_b32 s7, s7, 3
	s_delay_alu instid0(SALU_CYCLE_1)
	s_cmp_eq_u32 s7, 0
	s_cbranch_scc1 .LBB423_78
.LBB423_76:
	s_lshl_b32 s2, s8, 3
	s_mul_i32 s4, s8, 12
	s_add_u32 s2, s2, s0
	s_addc_u32 s3, 0, s1
	s_add_u32 s2, s2, 0xc4
	s_addc_u32 s3, s3, 0
	;; [unrolled: 2-line block ×3, first 2 shown]
	.p2align	6
.LBB423_77:                             ; =>This Inner Loop Header: Depth=1
	s_clause 0x1
	s_load_b64 s[8:9], s[4:5], 0x4
	s_load_b32 s12, s[4:5], 0xc
	s_load_b64 s[10:11], s[2:3], 0x0
	s_add_u32 s4, s4, 12
	s_addc_u32 s5, s5, 0
	s_add_u32 s2, s2, 8
	s_addc_u32 s3, s3, 0
	s_add_i32 s7, s7, -1
	s_delay_alu instid0(SALU_CYCLE_1) | instskip(SKIP_2) | instid1(VALU_DEP_1)
	s_cmp_lg_u32 s7, 0
	s_waitcnt lgkmcnt(0)
	v_mul_hi_u32 v13, s9, v11
	v_add_nc_u32_e32 v13, v11, v13
	s_delay_alu instid0(VALU_DEP_1) | instskip(NEXT) | instid1(VALU_DEP_1)
	v_lshrrev_b32_e32 v13, s12, v13
	v_mul_lo_u32 v15, v13, s8
	s_delay_alu instid0(VALU_DEP_1) | instskip(NEXT) | instid1(VALU_DEP_1)
	v_sub_nc_u32_e32 v11, v11, v15
	v_mad_u64_u32 v[17:18], null, v11, s10, v[8:9]
	v_mad_u64_u32 v[18:19], null, v11, s11, v[9:10]
	v_mov_b32_e32 v11, v13
	s_delay_alu instid0(VALU_DEP_2)
	v_dual_mov_b32 v8, v17 :: v_dual_mov_b32 v9, v18
	s_cbranch_scc1 .LBB423_77
.LBB423_78:
	s_and_not1_b32 vcc_lo, exec_lo, s6
	s_cbranch_vccnz .LBB423_81
; %bb.79:
	s_clause 0x1
	s_load_b128 s[4:7], s[0:1], 0x4
	s_load_b64 s[2:3], s[0:1], 0xc4
	s_cmp_lt_u32 s22, 2
	s_waitcnt lgkmcnt(0)
	v_mul_hi_u32 v8, s5, v10
	s_delay_alu instid0(VALU_DEP_1) | instskip(NEXT) | instid1(VALU_DEP_1)
	v_add_nc_u32_e32 v8, v10, v8
	v_lshrrev_b32_e32 v11, s6, v8
	s_delay_alu instid0(VALU_DEP_1) | instskip(NEXT) | instid1(VALU_DEP_1)
	v_mul_lo_u32 v8, v11, s4
	v_sub_nc_u32_e32 v9, v10, v8
	s_delay_alu instid0(VALU_DEP_1)
	v_mul_lo_u32 v8, v9, s2
	v_mul_lo_u32 v9, v9, s3
	s_cbranch_scc1 .LBB423_81
; %bb.80:
	s_clause 0x1
	s_load_b128 s[4:7], s[0:1], 0x10
	s_load_b64 s[2:3], s[0:1], 0xcc
	s_waitcnt lgkmcnt(0)
	v_mul_hi_u32 v10, s5, v11
	s_delay_alu instid0(VALU_DEP_1) | instskip(NEXT) | instid1(VALU_DEP_1)
	v_add_nc_u32_e32 v10, v11, v10
	v_lshrrev_b32_e32 v10, s6, v10
	s_delay_alu instid0(VALU_DEP_1) | instskip(NEXT) | instid1(VALU_DEP_1)
	v_mul_lo_u32 v10, v10, s4
	v_sub_nc_u32_e32 v13, v11, v10
	s_delay_alu instid0(VALU_DEP_1) | instskip(NEXT) | instid1(VALU_DEP_1)
	v_mad_u64_u32 v[10:11], null, v13, s2, v[8:9]
	v_mad_u64_u32 v[17:18], null, v13, s3, v[9:10]
	s_delay_alu instid0(VALU_DEP_1)
	v_dual_mov_b32 v8, v10 :: v_dual_mov_b32 v9, v17
.LBB423_81:
	v_cmp_ne_u32_e32 vcc_lo, 1, v14
	v_add_nc_u32_e32 v13, 0x280, v12
	s_cbranch_vccnz .LBB423_87
; %bb.82:
	v_dual_mov_b32 v10, 0 :: v_dual_mov_b32 v11, 0
	s_cmp_lg_u32 s22, 0
	s_mov_b32 s6, 0
	s_cbranch_scc0 .LBB423_91
; %bb.83:
	s_min_u32 s7, s23, 15
	v_mov_b32_e32 v10, 0
	s_add_i32 s7, s7, 1
	s_cmp_eq_u32 s23, 2
	s_mov_b32 s8, 0
	s_cbranch_scc1 .LBB423_88
; %bb.84:
	v_dual_mov_b32 v11, 0 :: v_dual_mov_b32 v10, 0
	v_mov_b32_e32 v15, v13
	s_add_u32 s2, s0, 0xc4
	s_addc_u32 s3, s1, 0
	s_and_b32 s8, s7, 28
	s_mov_b32 s9, 0
	s_mov_b64 s[4:5], s[0:1]
.LBB423_85:                             ; =>This Inner Loop Header: Depth=1
	s_clause 0x1
	s_load_b256 s[12:19], s[4:5], 0x4
	s_load_b128 s[36:39], s[4:5], 0x24
	s_load_b256 s[24:31], s[2:3], 0x0
	s_add_u32 s4, s4, 48
	s_addc_u32 s5, s5, 0
	s_add_i32 s9, s9, 4
	s_add_u32 s2, s2, 32
	s_addc_u32 s3, s3, 0
	s_cmp_lg_u32 s8, s9
	s_waitcnt lgkmcnt(0)
	v_mul_hi_u32 v17, s13, v15
	s_delay_alu instid0(VALU_DEP_1) | instskip(NEXT) | instid1(VALU_DEP_1)
	v_add_nc_u32_e32 v17, v15, v17
	v_lshrrev_b32_e32 v17, s14, v17
	s_delay_alu instid0(VALU_DEP_1) | instskip(SKIP_1) | instid1(VALU_DEP_2)
	v_mul_hi_u32 v18, s16, v17
	v_mul_lo_u32 v20, v17, s12
	v_add_nc_u32_e32 v18, v17, v18
	s_delay_alu instid0(VALU_DEP_2) | instskip(NEXT) | instid1(VALU_DEP_2)
	v_sub_nc_u32_e32 v15, v15, v20
	v_lshrrev_b32_e32 v18, s17, v18
	s_delay_alu instid0(VALU_DEP_2) | instskip(SKIP_1) | instid1(VALU_DEP_3)
	v_mul_lo_u32 v20, v15, s24
	v_mul_lo_u32 v22, v15, s25
	v_mul_hi_u32 v19, s19, v18
	s_delay_alu instid0(VALU_DEP_1) | instskip(NEXT) | instid1(VALU_DEP_1)
	v_add_nc_u32_e32 v19, v18, v19
	v_lshrrev_b32_e32 v19, s36, v19
	s_delay_alu instid0(VALU_DEP_1) | instskip(SKIP_1) | instid1(VALU_DEP_2)
	v_mul_hi_u32 v21, s38, v19
	v_mul_lo_u32 v23, v19, s18
	v_add_nc_u32_e32 v15, v19, v21
	v_mul_lo_u32 v21, v18, s15
	s_delay_alu instid0(VALU_DEP_3) | instskip(NEXT) | instid1(VALU_DEP_3)
	v_sub_nc_u32_e32 v18, v18, v23
	v_lshrrev_b32_e32 v15, s39, v15
	s_delay_alu instid0(VALU_DEP_2) | instskip(SKIP_2) | instid1(VALU_DEP_4)
	v_mul_lo_u32 v23, v18, s28
	v_mul_lo_u32 v18, v18, s29
	v_sub_nc_u32_e32 v17, v17, v21
	v_mul_lo_u32 v24, v15, s37
	s_delay_alu instid0(VALU_DEP_2) | instskip(SKIP_1) | instid1(VALU_DEP_3)
	v_mul_lo_u32 v21, v17, s26
	v_mul_lo_u32 v17, v17, s27
	v_sub_nc_u32_e32 v19, v19, v24
	s_delay_alu instid0(VALU_DEP_3) | instskip(NEXT) | instid1(VALU_DEP_2)
	v_add3_u32 v10, v20, v10, v21
	v_mul_lo_u32 v24, v19, s30
	v_mul_lo_u32 v19, v19, s31
	v_add3_u32 v11, v22, v11, v17
	s_delay_alu instid0(VALU_DEP_3) | instskip(NEXT) | instid1(VALU_DEP_2)
	v_add3_u32 v10, v23, v10, v24
	v_add3_u32 v11, v18, v11, v19
	s_cbranch_scc1 .LBB423_85
; %bb.86:
	s_and_b32 s7, s7, 3
	s_delay_alu instid0(SALU_CYCLE_1)
	s_cmp_eq_u32 s7, 0
	s_cbranch_scc0 .LBB423_89
	s_branch .LBB423_91
.LBB423_87:
	s_mov_b32 s6, -1
                                        ; implicit-def: $vgpr10
                                        ; implicit-def: $vgpr11
	s_branch .LBB423_91
.LBB423_88:
	v_mov_b32_e32 v15, v13
	v_mov_b32_e32 v11, 0
	s_and_b32 s7, s7, 3
	s_delay_alu instid0(SALU_CYCLE_1)
	s_cmp_eq_u32 s7, 0
	s_cbranch_scc1 .LBB423_91
.LBB423_89:
	s_lshl_b32 s2, s8, 3
	s_mul_i32 s4, s8, 12
	s_add_u32 s2, s2, s0
	s_addc_u32 s3, 0, s1
	s_add_u32 s2, s2, 0xc4
	s_addc_u32 s3, s3, 0
	;; [unrolled: 2-line block ×3, first 2 shown]
	.p2align	6
.LBB423_90:                             ; =>This Inner Loop Header: Depth=1
	s_clause 0x1
	s_load_b64 s[8:9], s[4:5], 0x4
	s_load_b32 s12, s[4:5], 0xc
	s_load_b64 s[10:11], s[2:3], 0x0
	s_add_u32 s4, s4, 12
	s_addc_u32 s5, s5, 0
	s_add_u32 s2, s2, 8
	s_addc_u32 s3, s3, 0
	s_add_i32 s7, s7, -1
	s_delay_alu instid0(SALU_CYCLE_1) | instskip(SKIP_2) | instid1(VALU_DEP_1)
	s_cmp_lg_u32 s7, 0
	s_waitcnt lgkmcnt(0)
	v_mul_hi_u32 v17, s9, v15
	v_add_nc_u32_e32 v17, v15, v17
	s_delay_alu instid0(VALU_DEP_1) | instskip(NEXT) | instid1(VALU_DEP_1)
	v_lshrrev_b32_e32 v20, s12, v17
	v_mul_lo_u32 v17, v20, s8
	s_delay_alu instid0(VALU_DEP_1) | instskip(NEXT) | instid1(VALU_DEP_1)
	v_sub_nc_u32_e32 v15, v15, v17
	v_mad_u64_u32 v[17:18], null, v15, s10, v[10:11]
	v_mad_u64_u32 v[18:19], null, v15, s11, v[11:12]
	s_delay_alu instid0(VALU_DEP_2) | instskip(NEXT) | instid1(VALU_DEP_2)
	v_dual_mov_b32 v15, v20 :: v_dual_mov_b32 v10, v17
	v_mov_b32_e32 v11, v18
	s_cbranch_scc1 .LBB423_90
.LBB423_91:
	s_and_not1_b32 vcc_lo, exec_lo, s6
	s_cbranch_vccnz .LBB423_94
; %bb.92:
	s_clause 0x1
	s_load_b128 s[4:7], s[0:1], 0x4
	s_load_b64 s[2:3], s[0:1], 0xc4
	s_cmp_lt_u32 s22, 2
	s_waitcnt lgkmcnt(0)
	v_mul_hi_u32 v10, s5, v13
	s_delay_alu instid0(VALU_DEP_1) | instskip(NEXT) | instid1(VALU_DEP_1)
	v_add_nc_u32_e32 v10, v13, v10
	v_lshrrev_b32_e32 v15, s6, v10
	s_delay_alu instid0(VALU_DEP_1) | instskip(NEXT) | instid1(VALU_DEP_1)
	v_mul_lo_u32 v10, v15, s4
	v_sub_nc_u32_e32 v11, v13, v10
	s_delay_alu instid0(VALU_DEP_1)
	v_mul_lo_u32 v10, v11, s2
	v_mul_lo_u32 v11, v11, s3
	s_cbranch_scc1 .LBB423_94
; %bb.93:
	s_clause 0x1
	s_load_b128 s[4:7], s[0:1], 0x10
	s_load_b64 s[2:3], s[0:1], 0xcc
	s_waitcnt lgkmcnt(0)
	v_mul_hi_u32 v13, s5, v15
	s_delay_alu instid0(VALU_DEP_1) | instskip(NEXT) | instid1(VALU_DEP_1)
	v_add_nc_u32_e32 v13, v15, v13
	v_lshrrev_b32_e32 v13, s6, v13
	s_delay_alu instid0(VALU_DEP_1) | instskip(NEXT) | instid1(VALU_DEP_1)
	v_mul_lo_u32 v13, v13, s4
	v_sub_nc_u32_e32 v13, v15, v13
	s_delay_alu instid0(VALU_DEP_1) | instskip(SKIP_1) | instid1(VALU_DEP_1)
	v_mad_u64_u32 v[17:18], null, v13, s2, v[10:11]
	v_mad_u64_u32 v[18:19], null, v13, s3, v[11:12]
	v_dual_mov_b32 v10, v17 :: v_dual_mov_b32 v11, v18
.LBB423_94:
	v_cmp_ne_u32_e32 vcc_lo, 1, v14
	v_add_nc_u32_e32 v15, 0x300, v12
	s_cbranch_vccnz .LBB423_100
; %bb.95:
	v_dual_mov_b32 v12, 0 :: v_dual_mov_b32 v13, 0
	s_cmp_lg_u32 s22, 0
	s_mov_b32 s6, 0
	s_cbranch_scc0 .LBB423_104
; %bb.96:
	s_min_u32 s7, s23, 15
	v_mov_b32_e32 v12, 0
	s_add_i32 s7, s7, 1
	s_cmp_eq_u32 s23, 2
	s_mov_b32 s8, 0
	s_cbranch_scc1 .LBB423_101
; %bb.97:
	v_dual_mov_b32 v13, 0 :: v_dual_mov_b32 v12, 0
	v_mov_b32_e32 v17, v15
	s_add_u32 s2, s0, 0xc4
	s_addc_u32 s3, s1, 0
	s_and_b32 s8, s7, 28
	s_mov_b32 s9, 0
	s_mov_b64 s[4:5], s[0:1]
.LBB423_98:                             ; =>This Inner Loop Header: Depth=1
	s_clause 0x1
	s_load_b256 s[12:19], s[4:5], 0x4
	s_load_b128 s[36:39], s[4:5], 0x24
	s_load_b256 s[24:31], s[2:3], 0x0
	s_add_u32 s4, s4, 48
	s_addc_u32 s5, s5, 0
	s_add_i32 s9, s9, 4
	s_add_u32 s2, s2, 32
	s_addc_u32 s3, s3, 0
	s_cmp_lg_u32 s8, s9
	s_waitcnt lgkmcnt(0)
	v_mul_hi_u32 v18, s13, v17
	s_delay_alu instid0(VALU_DEP_1) | instskip(NEXT) | instid1(VALU_DEP_1)
	v_add_nc_u32_e32 v18, v17, v18
	v_lshrrev_b32_e32 v18, s14, v18
	s_delay_alu instid0(VALU_DEP_1) | instskip(SKIP_1) | instid1(VALU_DEP_2)
	v_mul_hi_u32 v19, s16, v18
	v_mul_lo_u32 v21, v18, s12
	v_add_nc_u32_e32 v19, v18, v19
	s_delay_alu instid0(VALU_DEP_2) | instskip(NEXT) | instid1(VALU_DEP_2)
	v_sub_nc_u32_e32 v17, v17, v21
	v_lshrrev_b32_e32 v19, s17, v19
	s_delay_alu instid0(VALU_DEP_2) | instskip(SKIP_1) | instid1(VALU_DEP_3)
	v_mul_lo_u32 v21, v17, s24
	v_mul_lo_u32 v23, v17, s25
	v_mul_hi_u32 v20, s19, v19
	s_delay_alu instid0(VALU_DEP_1) | instskip(NEXT) | instid1(VALU_DEP_1)
	v_add_nc_u32_e32 v20, v19, v20
	v_lshrrev_b32_e32 v20, s36, v20
	s_delay_alu instid0(VALU_DEP_1) | instskip(SKIP_1) | instid1(VALU_DEP_2)
	v_mul_hi_u32 v22, s38, v20
	v_mul_lo_u32 v24, v20, s18
	v_add_nc_u32_e32 v17, v20, v22
	v_mul_lo_u32 v22, v19, s15
	s_delay_alu instid0(VALU_DEP_3) | instskip(NEXT) | instid1(VALU_DEP_3)
	v_sub_nc_u32_e32 v19, v19, v24
	v_lshrrev_b32_e32 v17, s39, v17
	s_delay_alu instid0(VALU_DEP_2) | instskip(SKIP_2) | instid1(VALU_DEP_4)
	v_mul_lo_u32 v24, v19, s28
	v_mul_lo_u32 v19, v19, s29
	v_sub_nc_u32_e32 v18, v18, v22
	v_mul_lo_u32 v25, v17, s37
	s_delay_alu instid0(VALU_DEP_2) | instskip(SKIP_1) | instid1(VALU_DEP_3)
	v_mul_lo_u32 v22, v18, s26
	v_mul_lo_u32 v18, v18, s27
	v_sub_nc_u32_e32 v20, v20, v25
	s_delay_alu instid0(VALU_DEP_3) | instskip(NEXT) | instid1(VALU_DEP_2)
	v_add3_u32 v12, v21, v12, v22
	v_mul_lo_u32 v25, v20, s30
	v_mul_lo_u32 v20, v20, s31
	v_add3_u32 v13, v23, v13, v18
	s_delay_alu instid0(VALU_DEP_3) | instskip(NEXT) | instid1(VALU_DEP_2)
	v_add3_u32 v12, v24, v12, v25
	v_add3_u32 v13, v19, v13, v20
	s_cbranch_scc1 .LBB423_98
; %bb.99:
	s_and_b32 s7, s7, 3
	s_delay_alu instid0(SALU_CYCLE_1)
	s_cmp_eq_u32 s7, 0
	s_cbranch_scc0 .LBB423_102
	s_branch .LBB423_104
.LBB423_100:
	s_mov_b32 s6, -1
                                        ; implicit-def: $vgpr12
                                        ; implicit-def: $vgpr13
	s_branch .LBB423_104
.LBB423_101:
	v_mov_b32_e32 v17, v15
	v_mov_b32_e32 v13, 0
	s_and_b32 s7, s7, 3
	s_delay_alu instid0(SALU_CYCLE_1)
	s_cmp_eq_u32 s7, 0
	s_cbranch_scc1 .LBB423_104
.LBB423_102:
	s_lshl_b32 s2, s8, 3
	s_mul_i32 s4, s8, 12
	s_add_u32 s2, s2, s0
	s_addc_u32 s3, 0, s1
	s_add_u32 s2, s2, 0xc4
	s_addc_u32 s3, s3, 0
	;; [unrolled: 2-line block ×3, first 2 shown]
	.p2align	6
.LBB423_103:                            ; =>This Inner Loop Header: Depth=1
	s_clause 0x1
	s_load_b64 s[8:9], s[4:5], 0x4
	s_load_b32 s12, s[4:5], 0xc
	s_load_b64 s[10:11], s[2:3], 0x0
	s_add_u32 s4, s4, 12
	s_addc_u32 s5, s5, 0
	s_add_u32 s2, s2, 8
	s_addc_u32 s3, s3, 0
	s_add_i32 s7, s7, -1
	s_delay_alu instid0(SALU_CYCLE_1) | instskip(SKIP_2) | instid1(VALU_DEP_1)
	s_cmp_lg_u32 s7, 0
	s_waitcnt lgkmcnt(0)
	v_mul_hi_u32 v18, s9, v17
	v_add_nc_u32_e32 v18, v17, v18
	s_delay_alu instid0(VALU_DEP_1) | instskip(NEXT) | instid1(VALU_DEP_1)
	v_lshrrev_b32_e32 v21, s12, v18
	v_mul_lo_u32 v18, v21, s8
	s_delay_alu instid0(VALU_DEP_1) | instskip(NEXT) | instid1(VALU_DEP_1)
	v_sub_nc_u32_e32 v17, v17, v18
	v_mad_u64_u32 v[18:19], null, v17, s10, v[12:13]
	v_mad_u64_u32 v[19:20], null, v17, s11, v[13:14]
	s_delay_alu instid0(VALU_DEP_2) | instskip(NEXT) | instid1(VALU_DEP_2)
	v_dual_mov_b32 v17, v21 :: v_dual_mov_b32 v12, v18
	v_mov_b32_e32 v13, v19
	s_cbranch_scc1 .LBB423_103
.LBB423_104:
	s_and_not1_b32 vcc_lo, exec_lo, s6
	s_cbranch_vccnz .LBB423_107
; %bb.105:
	s_clause 0x1
	s_load_b128 s[4:7], s[0:1], 0x4
	s_load_b64 s[2:3], s[0:1], 0xc4
	s_cmp_lt_u32 s22, 2
	s_waitcnt lgkmcnt(0)
	v_mul_hi_u32 v12, s5, v15
	s_delay_alu instid0(VALU_DEP_1) | instskip(NEXT) | instid1(VALU_DEP_1)
	v_add_nc_u32_e32 v12, v15, v12
	v_lshrrev_b32_e32 v17, s6, v12
	s_delay_alu instid0(VALU_DEP_1) | instskip(NEXT) | instid1(VALU_DEP_1)
	v_mul_lo_u32 v12, v17, s4
	v_sub_nc_u32_e32 v13, v15, v12
	s_delay_alu instid0(VALU_DEP_1)
	v_mul_lo_u32 v12, v13, s2
	v_mul_lo_u32 v13, v13, s3
	s_cbranch_scc1 .LBB423_107
; %bb.106:
	s_clause 0x1
	s_load_b128 s[4:7], s[0:1], 0x10
	s_load_b64 s[2:3], s[0:1], 0xcc
	s_waitcnt lgkmcnt(0)
	v_mul_hi_u32 v15, s5, v17
	s_delay_alu instid0(VALU_DEP_1) | instskip(NEXT) | instid1(VALU_DEP_1)
	v_add_nc_u32_e32 v15, v17, v15
	v_lshrrev_b32_e32 v15, s6, v15
	s_delay_alu instid0(VALU_DEP_1) | instskip(NEXT) | instid1(VALU_DEP_1)
	v_mul_lo_u32 v15, v15, s4
	v_sub_nc_u32_e32 v15, v17, v15
	s_delay_alu instid0(VALU_DEP_1) | instskip(SKIP_1) | instid1(VALU_DEP_1)
	v_mad_u64_u32 v[17:18], null, v15, s2, v[12:13]
	v_mad_u64_u32 v[18:19], null, v15, s3, v[13:14]
	v_dual_mov_b32 v12, v17 :: v_dual_mov_b32 v13, v18
.LBB423_107:
	v_cmp_ne_u32_e32 vcc_lo, 1, v14
	s_cbranch_vccnz .LBB423_113
; %bb.108:
	v_dual_mov_b32 v14, 0 :: v_dual_mov_b32 v15, 0
	s_cmp_lg_u32 s22, 0
	s_mov_b32 s6, 0
	s_cbranch_scc0 .LBB423_117
; %bb.109:
	s_min_u32 s7, s23, 15
	v_mov_b32_e32 v14, 0
	s_add_i32 s7, s7, 1
	s_cmp_eq_u32 s23, 2
	s_mov_b32 s8, 0
	s_cbranch_scc1 .LBB423_114
; %bb.110:
	v_dual_mov_b32 v15, 0 :: v_dual_mov_b32 v14, 0
	v_mov_b32_e32 v17, v16
	s_add_u32 s2, s0, 0xc4
	s_addc_u32 s3, s1, 0
	s_and_b32 s8, s7, 28
	s_mov_b32 s9, 0
	s_mov_b64 s[4:5], s[0:1]
.LBB423_111:                            ; =>This Inner Loop Header: Depth=1
	s_clause 0x1
	s_load_b256 s[12:19], s[4:5], 0x4
	s_load_b128 s[36:39], s[4:5], 0x24
	s_load_b256 s[24:31], s[2:3], 0x0
	s_add_u32 s4, s4, 48
	s_addc_u32 s5, s5, 0
	s_add_i32 s9, s9, 4
	s_add_u32 s2, s2, 32
	s_addc_u32 s3, s3, 0
	s_cmp_lg_u32 s8, s9
	s_waitcnt lgkmcnt(0)
	v_mul_hi_u32 v18, s13, v17
	s_delay_alu instid0(VALU_DEP_1) | instskip(NEXT) | instid1(VALU_DEP_1)
	v_add_nc_u32_e32 v18, v17, v18
	v_lshrrev_b32_e32 v18, s14, v18
	s_delay_alu instid0(VALU_DEP_1) | instskip(SKIP_1) | instid1(VALU_DEP_2)
	v_mul_hi_u32 v19, s16, v18
	v_mul_lo_u32 v21, v18, s12
	v_add_nc_u32_e32 v19, v18, v19
	s_delay_alu instid0(VALU_DEP_2) | instskip(NEXT) | instid1(VALU_DEP_2)
	v_sub_nc_u32_e32 v17, v17, v21
	v_lshrrev_b32_e32 v19, s17, v19
	s_delay_alu instid0(VALU_DEP_2) | instskip(SKIP_1) | instid1(VALU_DEP_3)
	v_mul_lo_u32 v21, v17, s24
	v_mul_lo_u32 v23, v17, s25
	v_mul_hi_u32 v20, s19, v19
	s_delay_alu instid0(VALU_DEP_1) | instskip(NEXT) | instid1(VALU_DEP_1)
	v_add_nc_u32_e32 v20, v19, v20
	v_lshrrev_b32_e32 v20, s36, v20
	s_delay_alu instid0(VALU_DEP_1) | instskip(SKIP_1) | instid1(VALU_DEP_2)
	v_mul_hi_u32 v22, s38, v20
	v_mul_lo_u32 v24, v20, s18
	v_add_nc_u32_e32 v17, v20, v22
	v_mul_lo_u32 v22, v19, s15
	s_delay_alu instid0(VALU_DEP_3) | instskip(NEXT) | instid1(VALU_DEP_3)
	v_sub_nc_u32_e32 v19, v19, v24
	v_lshrrev_b32_e32 v17, s39, v17
	s_delay_alu instid0(VALU_DEP_2) | instskip(SKIP_2) | instid1(VALU_DEP_4)
	v_mul_lo_u32 v24, v19, s28
	v_mul_lo_u32 v19, v19, s29
	v_sub_nc_u32_e32 v18, v18, v22
	v_mul_lo_u32 v25, v17, s37
	s_delay_alu instid0(VALU_DEP_2) | instskip(SKIP_1) | instid1(VALU_DEP_3)
	v_mul_lo_u32 v22, v18, s26
	v_mul_lo_u32 v18, v18, s27
	v_sub_nc_u32_e32 v20, v20, v25
	s_delay_alu instid0(VALU_DEP_3) | instskip(NEXT) | instid1(VALU_DEP_2)
	v_add3_u32 v14, v21, v14, v22
	v_mul_lo_u32 v25, v20, s30
	v_mul_lo_u32 v20, v20, s31
	v_add3_u32 v15, v23, v15, v18
	s_delay_alu instid0(VALU_DEP_3) | instskip(NEXT) | instid1(VALU_DEP_2)
	v_add3_u32 v14, v24, v14, v25
	v_add3_u32 v15, v19, v15, v20
	s_cbranch_scc1 .LBB423_111
; %bb.112:
	s_and_b32 s7, s7, 3
	s_delay_alu instid0(SALU_CYCLE_1)
	s_cmp_eq_u32 s7, 0
	s_cbranch_scc0 .LBB423_115
	s_branch .LBB423_117
.LBB423_113:
	s_mov_b32 s6, -1
                                        ; implicit-def: $vgpr14
                                        ; implicit-def: $vgpr15
	s_branch .LBB423_117
.LBB423_114:
	v_mov_b32_e32 v17, v16
	v_mov_b32_e32 v15, 0
	s_and_b32 s7, s7, 3
	s_delay_alu instid0(SALU_CYCLE_1)
	s_cmp_eq_u32 s7, 0
	s_cbranch_scc1 .LBB423_117
.LBB423_115:
	s_lshl_b32 s2, s8, 3
	s_mul_i32 s4, s8, 12
	s_add_u32 s2, s2, s0
	s_addc_u32 s3, 0, s1
	s_add_u32 s2, s2, 0xc4
	s_addc_u32 s3, s3, 0
	;; [unrolled: 2-line block ×3, first 2 shown]
	.p2align	6
.LBB423_116:                            ; =>This Inner Loop Header: Depth=1
	s_clause 0x1
	s_load_b64 s[8:9], s[4:5], 0x4
	s_load_b32 s12, s[4:5], 0xc
	s_load_b64 s[10:11], s[2:3], 0x0
	s_add_u32 s4, s4, 12
	s_addc_u32 s5, s5, 0
	s_add_u32 s2, s2, 8
	s_addc_u32 s3, s3, 0
	s_add_i32 s7, s7, -1
	s_delay_alu instid0(SALU_CYCLE_1) | instskip(SKIP_2) | instid1(VALU_DEP_1)
	s_cmp_lg_u32 s7, 0
	s_waitcnt lgkmcnt(0)
	v_mul_hi_u32 v18, s9, v17
	v_add_nc_u32_e32 v18, v17, v18
	s_delay_alu instid0(VALU_DEP_1) | instskip(NEXT) | instid1(VALU_DEP_1)
	v_lshrrev_b32_e32 v21, s12, v18
	v_mul_lo_u32 v18, v21, s8
	s_delay_alu instid0(VALU_DEP_1) | instskip(NEXT) | instid1(VALU_DEP_1)
	v_sub_nc_u32_e32 v17, v17, v18
	v_mad_u64_u32 v[18:19], null, v17, s10, v[14:15]
	v_mad_u64_u32 v[19:20], null, v17, s11, v[15:16]
	s_delay_alu instid0(VALU_DEP_2) | instskip(NEXT) | instid1(VALU_DEP_2)
	v_dual_mov_b32 v17, v21 :: v_dual_mov_b32 v14, v18
	v_mov_b32_e32 v15, v19
	s_cbranch_scc1 .LBB423_116
.LBB423_117:
	s_and_not1_b32 vcc_lo, exec_lo, s6
	s_cbranch_vccnz .LBB423_120
; %bb.118:
	s_clause 0x1
	s_load_b128 s[4:7], s[0:1], 0x4
	s_load_b64 s[2:3], s[0:1], 0xc4
	s_cmp_lt_u32 s22, 2
	s_waitcnt lgkmcnt(0)
	v_mul_hi_u32 v14, s5, v16
	s_delay_alu instid0(VALU_DEP_1) | instskip(NEXT) | instid1(VALU_DEP_1)
	v_add_nc_u32_e32 v14, v16, v14
	v_lshrrev_b32_e32 v17, s6, v14
	s_delay_alu instid0(VALU_DEP_1) | instskip(NEXT) | instid1(VALU_DEP_1)
	v_mul_lo_u32 v14, v17, s4
	v_sub_nc_u32_e32 v15, v16, v14
	s_delay_alu instid0(VALU_DEP_1)
	v_mul_lo_u32 v14, v15, s2
	v_mul_lo_u32 v15, v15, s3
	s_cbranch_scc1 .LBB423_120
; %bb.119:
	s_clause 0x1
	s_load_b128 s[4:7], s[0:1], 0x10
	s_load_b64 s[2:3], s[0:1], 0xcc
	s_waitcnt lgkmcnt(0)
	v_mul_hi_u32 v16, s5, v17
	s_delay_alu instid0(VALU_DEP_1) | instskip(NEXT) | instid1(VALU_DEP_1)
	v_add_nc_u32_e32 v16, v17, v16
	v_lshrrev_b32_e32 v16, s6, v16
	s_delay_alu instid0(VALU_DEP_1) | instskip(NEXT) | instid1(VALU_DEP_1)
	v_mul_lo_u32 v16, v16, s4
	v_sub_nc_u32_e32 v19, v17, v16
	s_delay_alu instid0(VALU_DEP_1) | instskip(NEXT) | instid1(VALU_DEP_1)
	v_mad_u64_u32 v[16:17], null, v19, s2, v[14:15]
	v_mad_u64_u32 v[17:18], null, v19, s3, v[15:16]
	s_delay_alu instid0(VALU_DEP_1)
	v_dual_mov_b32 v14, v16 :: v_dual_mov_b32 v15, v17
.LBB423_120:
	s_clause 0x1
	s_load_b128 s[4:7], s[0:1], 0x148
	s_load_b32 s0, s[0:1], 0x158
	s_waitcnt lgkmcnt(0)
	s_clause 0x7
	global_load_u8 v1, v1, s[6:7]
	global_load_u8 v3, v3, s[6:7]
	global_load_u8 v5, v5, s[6:7]
	global_load_u8 v7, v7, s[6:7]
	global_load_u8 v9, v9, s[6:7]
	global_load_u8 v11, v11, s[6:7]
	global_load_u8 v13, v13, s[6:7]
	global_load_u8 v15, v15, s[6:7]
	s_and_b32 s0, s0, 0xff
	s_waitcnt vmcnt(7)
	v_min_u16 v1, v1, s0
	s_waitcnt vmcnt(6)
	v_min_u16 v3, v3, s0
	;; [unrolled: 2-line block ×8, first 2 shown]
	s_clause 0x7
	global_store_b8 v0, v1, s[4:5]
	global_store_b8 v2, v3, s[4:5]
	;; [unrolled: 1-line block ×8, first 2 shown]
	s_nop 0
	s_sendmsg sendmsg(MSG_DEALLOC_VGPRS)
	s_endpgm
.LBB423_121:
	v_dual_mov_b32 v2, v12 :: v_dual_mov_b32 v1, 0
.LBB423_122:
	s_and_b32 s35, s35, 3
	s_delay_alu instid0(SALU_CYCLE_1)
	s_cmp_eq_u32 s35, 0
	s_cbranch_scc1 .LBB423_125
; %bb.123:
	s_lshl_b32 s18, s34, 3
	s_mul_i32 s20, s34, 12
	s_add_u32 s18, s18, s0
	s_addc_u32 s19, s1, 0
	s_add_u32 s18, s18, 0xc4
	s_addc_u32 s19, s19, 0
	;; [unrolled: 2-line block ×3, first 2 shown]
	.p2align	6
.LBB423_124:                            ; =>This Inner Loop Header: Depth=1
	s_clause 0x1
	s_load_b64 s[36:37], s[20:21], 0x4
	s_load_b32 s34, s[20:21], 0xc
	s_load_b64 s[38:39], s[18:19], 0x0
	s_add_u32 s20, s20, 12
	s_addc_u32 s21, s21, 0
	s_add_u32 s18, s18, 8
	s_addc_u32 s19, s19, 0
	s_add_i32 s35, s35, -1
	s_delay_alu instid0(SALU_CYCLE_1) | instskip(SKIP_2) | instid1(VALU_DEP_1)
	s_cmp_lg_u32 s35, 0
	s_waitcnt lgkmcnt(0)
	v_mul_hi_u32 v3, s37, v2
	v_add_nc_u32_e32 v3, v2, v3
	s_delay_alu instid0(VALU_DEP_1) | instskip(NEXT) | instid1(VALU_DEP_1)
	v_lshrrev_b32_e32 v6, s34, v3
	v_mul_lo_u32 v3, v6, s36
	s_delay_alu instid0(VALU_DEP_1) | instskip(NEXT) | instid1(VALU_DEP_1)
	v_sub_nc_u32_e32 v2, v2, v3
	v_mad_u64_u32 v[3:4], null, v2, s38, v[0:1]
	v_mad_u64_u32 v[4:5], null, v2, s39, v[1:2]
	v_mov_b32_e32 v2, v6
	s_delay_alu instid0(VALU_DEP_2)
	v_dual_mov_b32 v0, v3 :: v_dual_mov_b32 v1, v4
	s_cbranch_scc1 .LBB423_124
.LBB423_125:
	s_and_not1_b32 vcc_lo, exec_lo, s33
	s_cbranch_vccnz .LBB423_128
; %bb.126:
	s_waitcnt lgkmcnt(0)
	v_mul_hi_u32 v0, s13, v12
	s_and_not1_b32 vcc_lo, exec_lo, s27
	s_delay_alu instid0(VALU_DEP_1) | instskip(NEXT) | instid1(VALU_DEP_1)
	v_add_nc_u32_e32 v0, v12, v0
	v_lshrrev_b32_e32 v2, s14, v0
	s_delay_alu instid0(VALU_DEP_1) | instskip(NEXT) | instid1(VALU_DEP_1)
	v_mul_lo_u32 v0, v2, s12
	v_sub_nc_u32_e32 v1, v12, v0
	s_delay_alu instid0(VALU_DEP_1)
	v_mul_lo_u32 v0, v1, s8
	v_mul_lo_u32 v1, v1, s9
	s_cbranch_vccnz .LBB423_128
; %bb.127:
	v_mul_hi_u32 v3, s2, v2
	s_delay_alu instid0(VALU_DEP_1) | instskip(NEXT) | instid1(VALU_DEP_1)
	v_add_nc_u32_e32 v3, v2, v3
	v_lshrrev_b32_e32 v3, s3, v3
	s_delay_alu instid0(VALU_DEP_1) | instskip(NEXT) | instid1(VALU_DEP_1)
	v_mul_lo_u32 v3, v3, s15
	v_sub_nc_u32_e32 v5, v2, v3
	s_delay_alu instid0(VALU_DEP_1) | instskip(NEXT) | instid1(VALU_DEP_1)
	v_mad_u64_u32 v[2:3], null, v5, s10, v[0:1]
	v_mad_u64_u32 v[3:4], null, v5, s11, v[1:2]
	s_delay_alu instid0(VALU_DEP_1)
	v_dual_mov_b32 v0, v2 :: v_dual_mov_b32 v1, v3
.LBB423_128:
	s_waitcnt lgkmcnt(0)
	global_load_u8 v1, v1, s[6:7]
	v_and_b32_e64 v2, 0xff, s26
	v_add_nc_u32_e32 v12, 0x80, v12
	s_waitcnt vmcnt(0)
	s_delay_alu instid0(VALU_DEP_2) | instskip(SKIP_2) | instid1(SALU_CYCLE_1)
	v_min_u16 v1, v1, v2
	global_store_b8 v0, v1, s[4:5]
	s_or_b32 exec_lo, exec_lo, s31
	s_mov_b32 s31, exec_lo
	v_cmpx_gt_i32_e64 s28, v12
	s_cbranch_execnz .LBB423_15
.LBB423_129:
	s_or_b32 exec_lo, exec_lo, s31
	s_delay_alu instid0(SALU_CYCLE_1)
	s_mov_b32 s31, exec_lo
	v_cmpx_gt_i32_e64 s28, v12
	s_cbranch_execz .LBB423_144
.LBB423_130:
	s_and_not1_b32 vcc_lo, exec_lo, s24
	s_cbranch_vccnz .LBB423_135
; %bb.131:
	v_dual_mov_b32 v0, 0 :: v_dual_mov_b32 v1, 0
	s_and_not1_b32 vcc_lo, exec_lo, s30
	s_mov_b32 s33, 0
	s_cbranch_vccnz .LBB423_155
; %bb.132:
	v_mov_b32_e32 v0, 0
	s_add_i32 s35, s29, 1
	s_cmp_eq_u32 s23, 2
	s_mov_b32 s34, 0
	s_cbranch_scc1 .LBB423_151
; %bb.133:
	v_dual_mov_b32 v1, 0 :: v_dual_mov_b32 v0, 0
	v_mov_b32_e32 v2, v12
	s_and_b32 s34, s35, 28
	s_mov_b32 s36, 0
	s_mov_b64 s[18:19], s[16:17]
	s_mov_b64 s[20:21], s[0:1]
.LBB423_134:                            ; =>This Inner Loop Header: Depth=1
	s_clause 0x1
	s_load_b256 s[40:47], s[20:21], 0x4
	s_load_b128 s[56:59], s[20:21], 0x24
	s_load_b256 s[48:55], s[18:19], 0x0
	s_add_u32 s20, s20, 48
	s_addc_u32 s21, s21, 0
	s_add_i32 s36, s36, 4
	s_add_u32 s18, s18, 32
	s_addc_u32 s19, s19, 0
	s_cmp_eq_u32 s34, s36
	s_waitcnt lgkmcnt(0)
	v_mul_hi_u32 v3, s41, v2
	s_delay_alu instid0(VALU_DEP_1) | instskip(NEXT) | instid1(VALU_DEP_1)
	v_add_nc_u32_e32 v3, v2, v3
	v_lshrrev_b32_e32 v3, s42, v3
	s_delay_alu instid0(VALU_DEP_1) | instskip(SKIP_1) | instid1(VALU_DEP_2)
	v_mul_hi_u32 v4, s44, v3
	v_mul_lo_u32 v6, v3, s40
	v_add_nc_u32_e32 v4, v3, v4
	s_delay_alu instid0(VALU_DEP_2) | instskip(NEXT) | instid1(VALU_DEP_2)
	v_sub_nc_u32_e32 v2, v2, v6
	v_lshrrev_b32_e32 v4, s45, v4
	s_delay_alu instid0(VALU_DEP_2) | instskip(SKIP_1) | instid1(VALU_DEP_3)
	v_mul_lo_u32 v6, v2, s48
	v_mul_lo_u32 v8, v2, s49
	v_mul_hi_u32 v5, s47, v4
	s_delay_alu instid0(VALU_DEP_1) | instskip(NEXT) | instid1(VALU_DEP_1)
	v_add_nc_u32_e32 v5, v4, v5
	v_lshrrev_b32_e32 v5, s56, v5
	s_delay_alu instid0(VALU_DEP_1) | instskip(SKIP_1) | instid1(VALU_DEP_2)
	v_mul_hi_u32 v7, s58, v5
	v_mul_lo_u32 v9, v5, s46
	v_add_nc_u32_e32 v2, v5, v7
	v_mul_lo_u32 v7, v4, s43
	s_delay_alu instid0(VALU_DEP_3) | instskip(NEXT) | instid1(VALU_DEP_3)
	v_sub_nc_u32_e32 v4, v4, v9
	v_lshrrev_b32_e32 v2, s59, v2
	s_delay_alu instid0(VALU_DEP_2) | instskip(SKIP_2) | instid1(VALU_DEP_4)
	v_mul_lo_u32 v9, v4, s52
	v_mul_lo_u32 v4, v4, s53
	v_sub_nc_u32_e32 v3, v3, v7
	v_mul_lo_u32 v10, v2, s57
	s_delay_alu instid0(VALU_DEP_2) | instskip(SKIP_1) | instid1(VALU_DEP_3)
	v_mul_lo_u32 v7, v3, s50
	v_mul_lo_u32 v3, v3, s51
	v_sub_nc_u32_e32 v5, v5, v10
	s_delay_alu instid0(VALU_DEP_3) | instskip(NEXT) | instid1(VALU_DEP_2)
	v_add3_u32 v0, v6, v0, v7
	v_mul_lo_u32 v10, v5, s54
	v_mul_lo_u32 v5, v5, s55
	v_add3_u32 v1, v8, v1, v3
	s_delay_alu instid0(VALU_DEP_3) | instskip(NEXT) | instid1(VALU_DEP_2)
	v_add3_u32 v0, v9, v0, v10
	v_add3_u32 v1, v4, v1, v5
	s_cbranch_scc0 .LBB423_134
	s_branch .LBB423_152
.LBB423_135:
	s_mov_b32 s33, -1
                                        ; implicit-def: $vgpr0
                                        ; implicit-def: $vgpr1
	s_branch .LBB423_155
.LBB423_136:
	v_dual_mov_b32 v2, v12 :: v_dual_mov_b32 v1, 0
.LBB423_137:
	s_and_b32 s35, s35, 3
	s_delay_alu instid0(SALU_CYCLE_1)
	s_cmp_eq_u32 s35, 0
	s_cbranch_scc1 .LBB423_140
; %bb.138:
	s_lshl_b32 s18, s34, 3
	s_mul_i32 s20, s34, 12
	s_add_u32 s18, s18, s0
	s_addc_u32 s19, s1, 0
	s_add_u32 s18, s18, 0xc4
	s_addc_u32 s19, s19, 0
	;; [unrolled: 2-line block ×3, first 2 shown]
	.p2align	6
.LBB423_139:                            ; =>This Inner Loop Header: Depth=1
	s_clause 0x1
	s_load_b64 s[36:37], s[20:21], 0x4
	s_load_b32 s34, s[20:21], 0xc
	s_load_b64 s[38:39], s[18:19], 0x0
	s_add_u32 s20, s20, 12
	s_addc_u32 s21, s21, 0
	s_add_u32 s18, s18, 8
	s_addc_u32 s19, s19, 0
	s_add_i32 s35, s35, -1
	s_delay_alu instid0(SALU_CYCLE_1) | instskip(SKIP_2) | instid1(VALU_DEP_1)
	s_cmp_lg_u32 s35, 0
	s_waitcnt lgkmcnt(0)
	v_mul_hi_u32 v3, s37, v2
	v_add_nc_u32_e32 v3, v2, v3
	s_delay_alu instid0(VALU_DEP_1) | instskip(NEXT) | instid1(VALU_DEP_1)
	v_lshrrev_b32_e32 v6, s34, v3
	v_mul_lo_u32 v3, v6, s36
	s_delay_alu instid0(VALU_DEP_1) | instskip(NEXT) | instid1(VALU_DEP_1)
	v_sub_nc_u32_e32 v2, v2, v3
	v_mad_u64_u32 v[3:4], null, v2, s38, v[0:1]
	v_mad_u64_u32 v[4:5], null, v2, s39, v[1:2]
	v_mov_b32_e32 v2, v6
	s_delay_alu instid0(VALU_DEP_2)
	v_dual_mov_b32 v0, v3 :: v_dual_mov_b32 v1, v4
	s_cbranch_scc1 .LBB423_139
.LBB423_140:
	s_and_not1_b32 vcc_lo, exec_lo, s33
	s_cbranch_vccnz .LBB423_143
; %bb.141:
	s_waitcnt lgkmcnt(0)
	v_mul_hi_u32 v0, s13, v12
	s_and_not1_b32 vcc_lo, exec_lo, s27
	s_delay_alu instid0(VALU_DEP_1) | instskip(NEXT) | instid1(VALU_DEP_1)
	v_add_nc_u32_e32 v0, v12, v0
	v_lshrrev_b32_e32 v2, s14, v0
	s_delay_alu instid0(VALU_DEP_1) | instskip(NEXT) | instid1(VALU_DEP_1)
	v_mul_lo_u32 v0, v2, s12
	v_sub_nc_u32_e32 v1, v12, v0
	s_delay_alu instid0(VALU_DEP_1)
	v_mul_lo_u32 v0, v1, s8
	v_mul_lo_u32 v1, v1, s9
	s_cbranch_vccnz .LBB423_143
; %bb.142:
	v_mul_hi_u32 v3, s2, v2
	s_delay_alu instid0(VALU_DEP_1) | instskip(NEXT) | instid1(VALU_DEP_1)
	v_add_nc_u32_e32 v3, v2, v3
	v_lshrrev_b32_e32 v3, s3, v3
	s_delay_alu instid0(VALU_DEP_1) | instskip(NEXT) | instid1(VALU_DEP_1)
	v_mul_lo_u32 v3, v3, s15
	v_sub_nc_u32_e32 v5, v2, v3
	s_delay_alu instid0(VALU_DEP_1) | instskip(NEXT) | instid1(VALU_DEP_1)
	v_mad_u64_u32 v[2:3], null, v5, s10, v[0:1]
	v_mad_u64_u32 v[3:4], null, v5, s11, v[1:2]
	s_delay_alu instid0(VALU_DEP_1)
	v_dual_mov_b32 v0, v2 :: v_dual_mov_b32 v1, v3
.LBB423_143:
	s_waitcnt lgkmcnt(0)
	global_load_u8 v1, v1, s[6:7]
	v_and_b32_e64 v2, 0xff, s26
	v_add_nc_u32_e32 v12, 0x80, v12
	s_waitcnt vmcnt(0)
	s_delay_alu instid0(VALU_DEP_2) | instskip(SKIP_2) | instid1(SALU_CYCLE_1)
	v_min_u16 v1, v1, v2
	global_store_b8 v0, v1, s[4:5]
	s_or_b32 exec_lo, exec_lo, s31
	s_mov_b32 s31, exec_lo
	v_cmpx_gt_i32_e64 s28, v12
	s_cbranch_execnz .LBB423_130
.LBB423_144:
	s_or_b32 exec_lo, exec_lo, s31
	s_delay_alu instid0(SALU_CYCLE_1)
	s_mov_b32 s31, exec_lo
	v_cmpx_gt_i32_e64 s28, v12
	s_cbranch_execz .LBB423_159
.LBB423_145:
	s_and_not1_b32 vcc_lo, exec_lo, s24
	s_cbranch_vccnz .LBB423_150
; %bb.146:
	v_dual_mov_b32 v0, 0 :: v_dual_mov_b32 v1, 0
	s_and_not1_b32 vcc_lo, exec_lo, s30
	s_mov_b32 s33, 0
	s_cbranch_vccnz .LBB423_170
; %bb.147:
	v_mov_b32_e32 v0, 0
	s_add_i32 s35, s29, 1
	s_cmp_eq_u32 s23, 2
	s_mov_b32 s34, 0
	s_cbranch_scc1 .LBB423_166
; %bb.148:
	v_dual_mov_b32 v1, 0 :: v_dual_mov_b32 v0, 0
	v_mov_b32_e32 v2, v12
	s_and_b32 s34, s35, 28
	s_mov_b32 s36, 0
	s_mov_b64 s[18:19], s[16:17]
	s_mov_b64 s[20:21], s[0:1]
.LBB423_149:                            ; =>This Inner Loop Header: Depth=1
	s_clause 0x1
	s_load_b256 s[40:47], s[20:21], 0x4
	s_load_b128 s[56:59], s[20:21], 0x24
	s_load_b256 s[48:55], s[18:19], 0x0
	s_add_u32 s20, s20, 48
	s_addc_u32 s21, s21, 0
	s_add_i32 s36, s36, 4
	s_add_u32 s18, s18, 32
	s_addc_u32 s19, s19, 0
	s_cmp_eq_u32 s34, s36
	s_waitcnt lgkmcnt(0)
	v_mul_hi_u32 v3, s41, v2
	s_delay_alu instid0(VALU_DEP_1) | instskip(NEXT) | instid1(VALU_DEP_1)
	v_add_nc_u32_e32 v3, v2, v3
	v_lshrrev_b32_e32 v3, s42, v3
	s_delay_alu instid0(VALU_DEP_1) | instskip(SKIP_1) | instid1(VALU_DEP_2)
	v_mul_hi_u32 v4, s44, v3
	v_mul_lo_u32 v6, v3, s40
	v_add_nc_u32_e32 v4, v3, v4
	s_delay_alu instid0(VALU_DEP_2) | instskip(NEXT) | instid1(VALU_DEP_2)
	v_sub_nc_u32_e32 v2, v2, v6
	v_lshrrev_b32_e32 v4, s45, v4
	s_delay_alu instid0(VALU_DEP_2) | instskip(SKIP_1) | instid1(VALU_DEP_3)
	v_mul_lo_u32 v6, v2, s48
	v_mul_lo_u32 v8, v2, s49
	v_mul_hi_u32 v5, s47, v4
	s_delay_alu instid0(VALU_DEP_1) | instskip(NEXT) | instid1(VALU_DEP_1)
	v_add_nc_u32_e32 v5, v4, v5
	v_lshrrev_b32_e32 v5, s56, v5
	s_delay_alu instid0(VALU_DEP_1) | instskip(SKIP_1) | instid1(VALU_DEP_2)
	v_mul_hi_u32 v7, s58, v5
	v_mul_lo_u32 v9, v5, s46
	v_add_nc_u32_e32 v2, v5, v7
	v_mul_lo_u32 v7, v4, s43
	s_delay_alu instid0(VALU_DEP_3) | instskip(NEXT) | instid1(VALU_DEP_3)
	v_sub_nc_u32_e32 v4, v4, v9
	v_lshrrev_b32_e32 v2, s59, v2
	s_delay_alu instid0(VALU_DEP_2) | instskip(SKIP_2) | instid1(VALU_DEP_4)
	v_mul_lo_u32 v9, v4, s52
	v_mul_lo_u32 v4, v4, s53
	v_sub_nc_u32_e32 v3, v3, v7
	v_mul_lo_u32 v10, v2, s57
	s_delay_alu instid0(VALU_DEP_2) | instskip(SKIP_1) | instid1(VALU_DEP_3)
	v_mul_lo_u32 v7, v3, s50
	v_mul_lo_u32 v3, v3, s51
	v_sub_nc_u32_e32 v5, v5, v10
	s_delay_alu instid0(VALU_DEP_3) | instskip(NEXT) | instid1(VALU_DEP_2)
	v_add3_u32 v0, v6, v0, v7
	v_mul_lo_u32 v10, v5, s54
	v_mul_lo_u32 v5, v5, s55
	v_add3_u32 v1, v8, v1, v3
	s_delay_alu instid0(VALU_DEP_3) | instskip(NEXT) | instid1(VALU_DEP_2)
	v_add3_u32 v0, v9, v0, v10
	v_add3_u32 v1, v4, v1, v5
	s_cbranch_scc0 .LBB423_149
	s_branch .LBB423_167
.LBB423_150:
	s_mov_b32 s33, -1
                                        ; implicit-def: $vgpr0
                                        ; implicit-def: $vgpr1
	s_branch .LBB423_170
.LBB423_151:
	v_dual_mov_b32 v2, v12 :: v_dual_mov_b32 v1, 0
.LBB423_152:
	s_and_b32 s35, s35, 3
	s_delay_alu instid0(SALU_CYCLE_1)
	s_cmp_eq_u32 s35, 0
	s_cbranch_scc1 .LBB423_155
; %bb.153:
	s_lshl_b32 s18, s34, 3
	s_mul_i32 s20, s34, 12
	s_add_u32 s18, s18, s0
	s_addc_u32 s19, s1, 0
	s_add_u32 s18, s18, 0xc4
	s_addc_u32 s19, s19, 0
	;; [unrolled: 2-line block ×3, first 2 shown]
	.p2align	6
.LBB423_154:                            ; =>This Inner Loop Header: Depth=1
	s_clause 0x1
	s_load_b64 s[36:37], s[20:21], 0x4
	s_load_b32 s34, s[20:21], 0xc
	s_load_b64 s[38:39], s[18:19], 0x0
	s_add_u32 s20, s20, 12
	s_addc_u32 s21, s21, 0
	s_add_u32 s18, s18, 8
	s_addc_u32 s19, s19, 0
	s_add_i32 s35, s35, -1
	s_delay_alu instid0(SALU_CYCLE_1) | instskip(SKIP_2) | instid1(VALU_DEP_1)
	s_cmp_lg_u32 s35, 0
	s_waitcnt lgkmcnt(0)
	v_mul_hi_u32 v3, s37, v2
	v_add_nc_u32_e32 v3, v2, v3
	s_delay_alu instid0(VALU_DEP_1) | instskip(NEXT) | instid1(VALU_DEP_1)
	v_lshrrev_b32_e32 v6, s34, v3
	v_mul_lo_u32 v3, v6, s36
	s_delay_alu instid0(VALU_DEP_1) | instskip(NEXT) | instid1(VALU_DEP_1)
	v_sub_nc_u32_e32 v2, v2, v3
	v_mad_u64_u32 v[3:4], null, v2, s38, v[0:1]
	v_mad_u64_u32 v[4:5], null, v2, s39, v[1:2]
	v_mov_b32_e32 v2, v6
	s_delay_alu instid0(VALU_DEP_2)
	v_dual_mov_b32 v0, v3 :: v_dual_mov_b32 v1, v4
	s_cbranch_scc1 .LBB423_154
.LBB423_155:
	s_and_not1_b32 vcc_lo, exec_lo, s33
	s_cbranch_vccnz .LBB423_158
; %bb.156:
	s_waitcnt lgkmcnt(0)
	v_mul_hi_u32 v0, s13, v12
	s_and_not1_b32 vcc_lo, exec_lo, s27
	s_delay_alu instid0(VALU_DEP_1) | instskip(NEXT) | instid1(VALU_DEP_1)
	v_add_nc_u32_e32 v0, v12, v0
	v_lshrrev_b32_e32 v2, s14, v0
	s_delay_alu instid0(VALU_DEP_1) | instskip(NEXT) | instid1(VALU_DEP_1)
	v_mul_lo_u32 v0, v2, s12
	v_sub_nc_u32_e32 v1, v12, v0
	s_delay_alu instid0(VALU_DEP_1)
	v_mul_lo_u32 v0, v1, s8
	v_mul_lo_u32 v1, v1, s9
	s_cbranch_vccnz .LBB423_158
; %bb.157:
	v_mul_hi_u32 v3, s2, v2
	s_delay_alu instid0(VALU_DEP_1) | instskip(NEXT) | instid1(VALU_DEP_1)
	v_add_nc_u32_e32 v3, v2, v3
	v_lshrrev_b32_e32 v3, s3, v3
	s_delay_alu instid0(VALU_DEP_1) | instskip(NEXT) | instid1(VALU_DEP_1)
	v_mul_lo_u32 v3, v3, s15
	v_sub_nc_u32_e32 v5, v2, v3
	s_delay_alu instid0(VALU_DEP_1) | instskip(NEXT) | instid1(VALU_DEP_1)
	v_mad_u64_u32 v[2:3], null, v5, s10, v[0:1]
	v_mad_u64_u32 v[3:4], null, v5, s11, v[1:2]
	s_delay_alu instid0(VALU_DEP_1)
	v_dual_mov_b32 v0, v2 :: v_dual_mov_b32 v1, v3
.LBB423_158:
	s_waitcnt lgkmcnt(0)
	global_load_u8 v1, v1, s[6:7]
	v_and_b32_e64 v2, 0xff, s26
	v_add_nc_u32_e32 v12, 0x80, v12
	s_waitcnt vmcnt(0)
	s_delay_alu instid0(VALU_DEP_2) | instskip(SKIP_2) | instid1(SALU_CYCLE_1)
	v_min_u16 v1, v1, v2
	global_store_b8 v0, v1, s[4:5]
	s_or_b32 exec_lo, exec_lo, s31
	s_mov_b32 s31, exec_lo
	v_cmpx_gt_i32_e64 s28, v12
	s_cbranch_execnz .LBB423_145
.LBB423_159:
	s_or_b32 exec_lo, exec_lo, s31
	s_delay_alu instid0(SALU_CYCLE_1)
	s_mov_b32 s31, exec_lo
	v_cmpx_gt_i32_e64 s28, v12
	s_cbranch_execz .LBB423_174
.LBB423_160:
	s_and_not1_b32 vcc_lo, exec_lo, s24
	s_cbranch_vccnz .LBB423_165
; %bb.161:
	v_dual_mov_b32 v0, 0 :: v_dual_mov_b32 v1, 0
	s_and_not1_b32 vcc_lo, exec_lo, s30
	s_mov_b32 s33, 0
	s_cbranch_vccnz .LBB423_185
; %bb.162:
	v_mov_b32_e32 v0, 0
	s_add_i32 s35, s29, 1
	s_cmp_eq_u32 s23, 2
	s_mov_b32 s34, 0
	s_cbranch_scc1 .LBB423_181
; %bb.163:
	v_dual_mov_b32 v1, 0 :: v_dual_mov_b32 v0, 0
	v_mov_b32_e32 v2, v12
	s_and_b32 s34, s35, 28
	s_mov_b32 s36, 0
	s_mov_b64 s[18:19], s[16:17]
	s_mov_b64 s[20:21], s[0:1]
.LBB423_164:                            ; =>This Inner Loop Header: Depth=1
	s_clause 0x1
	s_load_b256 s[40:47], s[20:21], 0x4
	s_load_b128 s[56:59], s[20:21], 0x24
	s_load_b256 s[48:55], s[18:19], 0x0
	s_add_u32 s20, s20, 48
	s_addc_u32 s21, s21, 0
	s_add_i32 s36, s36, 4
	s_add_u32 s18, s18, 32
	s_addc_u32 s19, s19, 0
	s_cmp_eq_u32 s34, s36
	s_waitcnt lgkmcnt(0)
	v_mul_hi_u32 v3, s41, v2
	s_delay_alu instid0(VALU_DEP_1) | instskip(NEXT) | instid1(VALU_DEP_1)
	v_add_nc_u32_e32 v3, v2, v3
	v_lshrrev_b32_e32 v3, s42, v3
	s_delay_alu instid0(VALU_DEP_1) | instskip(SKIP_1) | instid1(VALU_DEP_2)
	v_mul_hi_u32 v4, s44, v3
	v_mul_lo_u32 v6, v3, s40
	v_add_nc_u32_e32 v4, v3, v4
	s_delay_alu instid0(VALU_DEP_2) | instskip(NEXT) | instid1(VALU_DEP_2)
	v_sub_nc_u32_e32 v2, v2, v6
	v_lshrrev_b32_e32 v4, s45, v4
	s_delay_alu instid0(VALU_DEP_2) | instskip(SKIP_1) | instid1(VALU_DEP_3)
	v_mul_lo_u32 v6, v2, s48
	v_mul_lo_u32 v8, v2, s49
	v_mul_hi_u32 v5, s47, v4
	s_delay_alu instid0(VALU_DEP_1) | instskip(NEXT) | instid1(VALU_DEP_1)
	v_add_nc_u32_e32 v5, v4, v5
	v_lshrrev_b32_e32 v5, s56, v5
	s_delay_alu instid0(VALU_DEP_1) | instskip(SKIP_1) | instid1(VALU_DEP_2)
	v_mul_hi_u32 v7, s58, v5
	v_mul_lo_u32 v9, v5, s46
	v_add_nc_u32_e32 v2, v5, v7
	v_mul_lo_u32 v7, v4, s43
	s_delay_alu instid0(VALU_DEP_3) | instskip(NEXT) | instid1(VALU_DEP_3)
	v_sub_nc_u32_e32 v4, v4, v9
	v_lshrrev_b32_e32 v2, s59, v2
	s_delay_alu instid0(VALU_DEP_2) | instskip(SKIP_2) | instid1(VALU_DEP_4)
	v_mul_lo_u32 v9, v4, s52
	v_mul_lo_u32 v4, v4, s53
	v_sub_nc_u32_e32 v3, v3, v7
	v_mul_lo_u32 v10, v2, s57
	s_delay_alu instid0(VALU_DEP_2) | instskip(SKIP_1) | instid1(VALU_DEP_3)
	v_mul_lo_u32 v7, v3, s50
	v_mul_lo_u32 v3, v3, s51
	v_sub_nc_u32_e32 v5, v5, v10
	s_delay_alu instid0(VALU_DEP_3) | instskip(NEXT) | instid1(VALU_DEP_2)
	v_add3_u32 v0, v6, v0, v7
	v_mul_lo_u32 v10, v5, s54
	v_mul_lo_u32 v5, v5, s55
	v_add3_u32 v1, v8, v1, v3
	s_delay_alu instid0(VALU_DEP_3) | instskip(NEXT) | instid1(VALU_DEP_2)
	v_add3_u32 v0, v9, v0, v10
	v_add3_u32 v1, v4, v1, v5
	s_cbranch_scc0 .LBB423_164
	s_branch .LBB423_182
.LBB423_165:
	s_mov_b32 s33, -1
                                        ; implicit-def: $vgpr0
                                        ; implicit-def: $vgpr1
	s_branch .LBB423_185
.LBB423_166:
	v_dual_mov_b32 v2, v12 :: v_dual_mov_b32 v1, 0
.LBB423_167:
	s_and_b32 s35, s35, 3
	s_delay_alu instid0(SALU_CYCLE_1)
	s_cmp_eq_u32 s35, 0
	s_cbranch_scc1 .LBB423_170
; %bb.168:
	s_lshl_b32 s18, s34, 3
	s_mul_i32 s20, s34, 12
	s_add_u32 s18, s18, s0
	s_addc_u32 s19, s1, 0
	s_add_u32 s18, s18, 0xc4
	s_addc_u32 s19, s19, 0
	;; [unrolled: 2-line block ×3, first 2 shown]
	.p2align	6
.LBB423_169:                            ; =>This Inner Loop Header: Depth=1
	s_clause 0x1
	s_load_b64 s[36:37], s[20:21], 0x4
	s_load_b32 s34, s[20:21], 0xc
	s_load_b64 s[38:39], s[18:19], 0x0
	s_add_u32 s20, s20, 12
	s_addc_u32 s21, s21, 0
	s_add_u32 s18, s18, 8
	s_addc_u32 s19, s19, 0
	s_add_i32 s35, s35, -1
	s_delay_alu instid0(SALU_CYCLE_1) | instskip(SKIP_2) | instid1(VALU_DEP_1)
	s_cmp_lg_u32 s35, 0
	s_waitcnt lgkmcnt(0)
	v_mul_hi_u32 v3, s37, v2
	v_add_nc_u32_e32 v3, v2, v3
	s_delay_alu instid0(VALU_DEP_1) | instskip(NEXT) | instid1(VALU_DEP_1)
	v_lshrrev_b32_e32 v6, s34, v3
	v_mul_lo_u32 v3, v6, s36
	s_delay_alu instid0(VALU_DEP_1) | instskip(NEXT) | instid1(VALU_DEP_1)
	v_sub_nc_u32_e32 v2, v2, v3
	v_mad_u64_u32 v[3:4], null, v2, s38, v[0:1]
	v_mad_u64_u32 v[4:5], null, v2, s39, v[1:2]
	v_mov_b32_e32 v2, v6
	s_delay_alu instid0(VALU_DEP_2)
	v_dual_mov_b32 v0, v3 :: v_dual_mov_b32 v1, v4
	s_cbranch_scc1 .LBB423_169
.LBB423_170:
	s_and_not1_b32 vcc_lo, exec_lo, s33
	s_cbranch_vccnz .LBB423_173
; %bb.171:
	s_waitcnt lgkmcnt(0)
	v_mul_hi_u32 v0, s13, v12
	s_and_not1_b32 vcc_lo, exec_lo, s27
	s_delay_alu instid0(VALU_DEP_1) | instskip(NEXT) | instid1(VALU_DEP_1)
	v_add_nc_u32_e32 v0, v12, v0
	v_lshrrev_b32_e32 v2, s14, v0
	s_delay_alu instid0(VALU_DEP_1) | instskip(NEXT) | instid1(VALU_DEP_1)
	v_mul_lo_u32 v0, v2, s12
	v_sub_nc_u32_e32 v1, v12, v0
	s_delay_alu instid0(VALU_DEP_1)
	v_mul_lo_u32 v0, v1, s8
	v_mul_lo_u32 v1, v1, s9
	s_cbranch_vccnz .LBB423_173
; %bb.172:
	v_mul_hi_u32 v3, s2, v2
	s_delay_alu instid0(VALU_DEP_1) | instskip(NEXT) | instid1(VALU_DEP_1)
	v_add_nc_u32_e32 v3, v2, v3
	v_lshrrev_b32_e32 v3, s3, v3
	s_delay_alu instid0(VALU_DEP_1) | instskip(NEXT) | instid1(VALU_DEP_1)
	v_mul_lo_u32 v3, v3, s15
	v_sub_nc_u32_e32 v5, v2, v3
	s_delay_alu instid0(VALU_DEP_1) | instskip(NEXT) | instid1(VALU_DEP_1)
	v_mad_u64_u32 v[2:3], null, v5, s10, v[0:1]
	v_mad_u64_u32 v[3:4], null, v5, s11, v[1:2]
	s_delay_alu instid0(VALU_DEP_1)
	v_dual_mov_b32 v0, v2 :: v_dual_mov_b32 v1, v3
.LBB423_173:
	s_waitcnt lgkmcnt(0)
	global_load_u8 v1, v1, s[6:7]
	v_and_b32_e64 v2, 0xff, s26
	v_add_nc_u32_e32 v12, 0x80, v12
	s_waitcnt vmcnt(0)
	s_delay_alu instid0(VALU_DEP_2) | instskip(SKIP_2) | instid1(SALU_CYCLE_1)
	v_min_u16 v1, v1, v2
	global_store_b8 v0, v1, s[4:5]
	s_or_b32 exec_lo, exec_lo, s31
	s_mov_b32 s31, exec_lo
	v_cmpx_gt_i32_e64 s28, v12
	s_cbranch_execnz .LBB423_160
.LBB423_174:
	s_or_b32 exec_lo, exec_lo, s31
	s_delay_alu instid0(SALU_CYCLE_1)
	s_mov_b32 s31, exec_lo
	v_cmpx_gt_i32_e64 s28, v12
	s_cbranch_execz .LBB423_189
.LBB423_175:
	s_and_not1_b32 vcc_lo, exec_lo, s24
	s_cbranch_vccnz .LBB423_180
; %bb.176:
	v_dual_mov_b32 v0, 0 :: v_dual_mov_b32 v1, 0
	s_and_not1_b32 vcc_lo, exec_lo, s30
	s_mov_b32 s33, 0
	s_cbranch_vccnz .LBB423_200
; %bb.177:
	v_mov_b32_e32 v0, 0
	s_add_i32 s35, s29, 1
	s_cmp_eq_u32 s23, 2
	s_mov_b32 s34, 0
	s_cbranch_scc1 .LBB423_196
; %bb.178:
	v_dual_mov_b32 v1, 0 :: v_dual_mov_b32 v0, 0
	v_mov_b32_e32 v2, v12
	s_and_b32 s34, s35, 28
	s_mov_b32 s36, 0
	s_mov_b64 s[18:19], s[16:17]
	s_mov_b64 s[20:21], s[0:1]
.LBB423_179:                            ; =>This Inner Loop Header: Depth=1
	s_clause 0x1
	s_load_b256 s[40:47], s[20:21], 0x4
	s_load_b128 s[56:59], s[20:21], 0x24
	s_load_b256 s[48:55], s[18:19], 0x0
	s_add_u32 s20, s20, 48
	s_addc_u32 s21, s21, 0
	s_add_i32 s36, s36, 4
	s_add_u32 s18, s18, 32
	s_addc_u32 s19, s19, 0
	s_cmp_eq_u32 s34, s36
	s_waitcnt lgkmcnt(0)
	v_mul_hi_u32 v3, s41, v2
	s_delay_alu instid0(VALU_DEP_1) | instskip(NEXT) | instid1(VALU_DEP_1)
	v_add_nc_u32_e32 v3, v2, v3
	v_lshrrev_b32_e32 v3, s42, v3
	s_delay_alu instid0(VALU_DEP_1) | instskip(SKIP_1) | instid1(VALU_DEP_2)
	v_mul_hi_u32 v4, s44, v3
	v_mul_lo_u32 v6, v3, s40
	v_add_nc_u32_e32 v4, v3, v4
	s_delay_alu instid0(VALU_DEP_2) | instskip(NEXT) | instid1(VALU_DEP_2)
	v_sub_nc_u32_e32 v2, v2, v6
	v_lshrrev_b32_e32 v4, s45, v4
	s_delay_alu instid0(VALU_DEP_2) | instskip(SKIP_1) | instid1(VALU_DEP_3)
	v_mul_lo_u32 v6, v2, s48
	v_mul_lo_u32 v8, v2, s49
	v_mul_hi_u32 v5, s47, v4
	s_delay_alu instid0(VALU_DEP_1) | instskip(NEXT) | instid1(VALU_DEP_1)
	v_add_nc_u32_e32 v5, v4, v5
	v_lshrrev_b32_e32 v5, s56, v5
	s_delay_alu instid0(VALU_DEP_1) | instskip(SKIP_1) | instid1(VALU_DEP_2)
	v_mul_hi_u32 v7, s58, v5
	v_mul_lo_u32 v9, v5, s46
	v_add_nc_u32_e32 v2, v5, v7
	v_mul_lo_u32 v7, v4, s43
	s_delay_alu instid0(VALU_DEP_3) | instskip(NEXT) | instid1(VALU_DEP_3)
	v_sub_nc_u32_e32 v4, v4, v9
	v_lshrrev_b32_e32 v2, s59, v2
	s_delay_alu instid0(VALU_DEP_2) | instskip(SKIP_2) | instid1(VALU_DEP_4)
	v_mul_lo_u32 v9, v4, s52
	v_mul_lo_u32 v4, v4, s53
	v_sub_nc_u32_e32 v3, v3, v7
	v_mul_lo_u32 v10, v2, s57
	s_delay_alu instid0(VALU_DEP_2) | instskip(SKIP_1) | instid1(VALU_DEP_3)
	v_mul_lo_u32 v7, v3, s50
	v_mul_lo_u32 v3, v3, s51
	v_sub_nc_u32_e32 v5, v5, v10
	s_delay_alu instid0(VALU_DEP_3) | instskip(NEXT) | instid1(VALU_DEP_2)
	v_add3_u32 v0, v6, v0, v7
	v_mul_lo_u32 v10, v5, s54
	v_mul_lo_u32 v5, v5, s55
	v_add3_u32 v1, v8, v1, v3
	s_delay_alu instid0(VALU_DEP_3) | instskip(NEXT) | instid1(VALU_DEP_2)
	v_add3_u32 v0, v9, v0, v10
	v_add3_u32 v1, v4, v1, v5
	s_cbranch_scc0 .LBB423_179
	s_branch .LBB423_197
.LBB423_180:
	s_mov_b32 s33, -1
                                        ; implicit-def: $vgpr0
                                        ; implicit-def: $vgpr1
	s_branch .LBB423_200
.LBB423_181:
	v_dual_mov_b32 v2, v12 :: v_dual_mov_b32 v1, 0
.LBB423_182:
	s_and_b32 s35, s35, 3
	s_delay_alu instid0(SALU_CYCLE_1)
	s_cmp_eq_u32 s35, 0
	s_cbranch_scc1 .LBB423_185
; %bb.183:
	s_lshl_b32 s18, s34, 3
	s_mul_i32 s20, s34, 12
	s_add_u32 s18, s18, s0
	s_addc_u32 s19, s1, 0
	s_add_u32 s18, s18, 0xc4
	s_addc_u32 s19, s19, 0
	;; [unrolled: 2-line block ×3, first 2 shown]
	.p2align	6
.LBB423_184:                            ; =>This Inner Loop Header: Depth=1
	s_clause 0x1
	s_load_b64 s[36:37], s[20:21], 0x4
	s_load_b32 s34, s[20:21], 0xc
	s_load_b64 s[38:39], s[18:19], 0x0
	s_add_u32 s20, s20, 12
	s_addc_u32 s21, s21, 0
	s_add_u32 s18, s18, 8
	s_addc_u32 s19, s19, 0
	s_add_i32 s35, s35, -1
	s_delay_alu instid0(SALU_CYCLE_1) | instskip(SKIP_2) | instid1(VALU_DEP_1)
	s_cmp_lg_u32 s35, 0
	s_waitcnt lgkmcnt(0)
	v_mul_hi_u32 v3, s37, v2
	v_add_nc_u32_e32 v3, v2, v3
	s_delay_alu instid0(VALU_DEP_1) | instskip(NEXT) | instid1(VALU_DEP_1)
	v_lshrrev_b32_e32 v6, s34, v3
	v_mul_lo_u32 v3, v6, s36
	s_delay_alu instid0(VALU_DEP_1) | instskip(NEXT) | instid1(VALU_DEP_1)
	v_sub_nc_u32_e32 v2, v2, v3
	v_mad_u64_u32 v[3:4], null, v2, s38, v[0:1]
	v_mad_u64_u32 v[4:5], null, v2, s39, v[1:2]
	v_mov_b32_e32 v2, v6
	s_delay_alu instid0(VALU_DEP_2)
	v_dual_mov_b32 v0, v3 :: v_dual_mov_b32 v1, v4
	s_cbranch_scc1 .LBB423_184
.LBB423_185:
	s_and_not1_b32 vcc_lo, exec_lo, s33
	s_cbranch_vccnz .LBB423_188
; %bb.186:
	s_waitcnt lgkmcnt(0)
	v_mul_hi_u32 v0, s13, v12
	s_and_not1_b32 vcc_lo, exec_lo, s27
	s_delay_alu instid0(VALU_DEP_1) | instskip(NEXT) | instid1(VALU_DEP_1)
	v_add_nc_u32_e32 v0, v12, v0
	v_lshrrev_b32_e32 v2, s14, v0
	s_delay_alu instid0(VALU_DEP_1) | instskip(NEXT) | instid1(VALU_DEP_1)
	v_mul_lo_u32 v0, v2, s12
	v_sub_nc_u32_e32 v1, v12, v0
	s_delay_alu instid0(VALU_DEP_1)
	v_mul_lo_u32 v0, v1, s8
	v_mul_lo_u32 v1, v1, s9
	s_cbranch_vccnz .LBB423_188
; %bb.187:
	v_mul_hi_u32 v3, s2, v2
	s_delay_alu instid0(VALU_DEP_1) | instskip(NEXT) | instid1(VALU_DEP_1)
	v_add_nc_u32_e32 v3, v2, v3
	v_lshrrev_b32_e32 v3, s3, v3
	s_delay_alu instid0(VALU_DEP_1) | instskip(NEXT) | instid1(VALU_DEP_1)
	v_mul_lo_u32 v3, v3, s15
	v_sub_nc_u32_e32 v5, v2, v3
	s_delay_alu instid0(VALU_DEP_1) | instskip(NEXT) | instid1(VALU_DEP_1)
	v_mad_u64_u32 v[2:3], null, v5, s10, v[0:1]
	v_mad_u64_u32 v[3:4], null, v5, s11, v[1:2]
	s_delay_alu instid0(VALU_DEP_1)
	v_dual_mov_b32 v0, v2 :: v_dual_mov_b32 v1, v3
.LBB423_188:
	s_waitcnt lgkmcnt(0)
	global_load_u8 v1, v1, s[6:7]
	v_and_b32_e64 v2, 0xff, s26
	v_add_nc_u32_e32 v12, 0x80, v12
	s_waitcnt vmcnt(0)
	s_delay_alu instid0(VALU_DEP_2) | instskip(SKIP_2) | instid1(SALU_CYCLE_1)
	v_min_u16 v1, v1, v2
	global_store_b8 v0, v1, s[4:5]
	s_or_b32 exec_lo, exec_lo, s31
	s_mov_b32 s31, exec_lo
	v_cmpx_gt_i32_e64 s28, v12
	s_cbranch_execnz .LBB423_175
.LBB423_189:
	s_or_b32 exec_lo, exec_lo, s31
	s_delay_alu instid0(SALU_CYCLE_1)
	s_mov_b32 s31, exec_lo
	v_cmpx_gt_i32_e64 s28, v12
	s_cbranch_execz .LBB423_204
.LBB423_190:
	s_and_not1_b32 vcc_lo, exec_lo, s24
	s_cbranch_vccnz .LBB423_195
; %bb.191:
	v_dual_mov_b32 v0, 0 :: v_dual_mov_b32 v1, 0
	s_and_not1_b32 vcc_lo, exec_lo, s30
	s_mov_b32 s33, 0
	s_cbranch_vccnz .LBB423_211
; %bb.192:
	v_mov_b32_e32 v0, 0
	s_add_i32 s35, s29, 1
	s_cmp_eq_u32 s23, 2
	s_mov_b32 s34, 0
	s_cbranch_scc1 .LBB423_207
; %bb.193:
	v_dual_mov_b32 v1, 0 :: v_dual_mov_b32 v0, 0
	v_mov_b32_e32 v2, v12
	s_and_b32 s34, s35, 28
	s_mov_b32 s36, 0
	s_mov_b64 s[18:19], s[16:17]
	s_mov_b64 s[20:21], s[0:1]
.LBB423_194:                            ; =>This Inner Loop Header: Depth=1
	s_clause 0x1
	s_load_b256 s[40:47], s[20:21], 0x4
	s_load_b128 s[56:59], s[20:21], 0x24
	s_load_b256 s[48:55], s[18:19], 0x0
	s_add_u32 s20, s20, 48
	s_addc_u32 s21, s21, 0
	s_add_i32 s36, s36, 4
	s_add_u32 s18, s18, 32
	s_addc_u32 s19, s19, 0
	s_cmp_eq_u32 s34, s36
	s_waitcnt lgkmcnt(0)
	v_mul_hi_u32 v3, s41, v2
	s_delay_alu instid0(VALU_DEP_1) | instskip(NEXT) | instid1(VALU_DEP_1)
	v_add_nc_u32_e32 v3, v2, v3
	v_lshrrev_b32_e32 v3, s42, v3
	s_delay_alu instid0(VALU_DEP_1) | instskip(SKIP_1) | instid1(VALU_DEP_2)
	v_mul_hi_u32 v4, s44, v3
	v_mul_lo_u32 v6, v3, s40
	v_add_nc_u32_e32 v4, v3, v4
	s_delay_alu instid0(VALU_DEP_2) | instskip(NEXT) | instid1(VALU_DEP_2)
	v_sub_nc_u32_e32 v2, v2, v6
	v_lshrrev_b32_e32 v4, s45, v4
	s_delay_alu instid0(VALU_DEP_2) | instskip(SKIP_1) | instid1(VALU_DEP_3)
	v_mul_lo_u32 v6, v2, s48
	v_mul_lo_u32 v8, v2, s49
	v_mul_hi_u32 v5, s47, v4
	s_delay_alu instid0(VALU_DEP_1) | instskip(NEXT) | instid1(VALU_DEP_1)
	v_add_nc_u32_e32 v5, v4, v5
	v_lshrrev_b32_e32 v5, s56, v5
	s_delay_alu instid0(VALU_DEP_1) | instskip(SKIP_1) | instid1(VALU_DEP_2)
	v_mul_hi_u32 v7, s58, v5
	v_mul_lo_u32 v9, v5, s46
	v_add_nc_u32_e32 v2, v5, v7
	v_mul_lo_u32 v7, v4, s43
	s_delay_alu instid0(VALU_DEP_3) | instskip(NEXT) | instid1(VALU_DEP_3)
	v_sub_nc_u32_e32 v4, v4, v9
	v_lshrrev_b32_e32 v2, s59, v2
	s_delay_alu instid0(VALU_DEP_2) | instskip(SKIP_2) | instid1(VALU_DEP_4)
	v_mul_lo_u32 v9, v4, s52
	v_mul_lo_u32 v4, v4, s53
	v_sub_nc_u32_e32 v3, v3, v7
	v_mul_lo_u32 v10, v2, s57
	s_delay_alu instid0(VALU_DEP_2) | instskip(SKIP_1) | instid1(VALU_DEP_3)
	v_mul_lo_u32 v7, v3, s50
	v_mul_lo_u32 v3, v3, s51
	v_sub_nc_u32_e32 v5, v5, v10
	s_delay_alu instid0(VALU_DEP_3) | instskip(NEXT) | instid1(VALU_DEP_2)
	v_add3_u32 v0, v6, v0, v7
	v_mul_lo_u32 v10, v5, s54
	v_mul_lo_u32 v5, v5, s55
	v_add3_u32 v1, v8, v1, v3
	s_delay_alu instid0(VALU_DEP_3) | instskip(NEXT) | instid1(VALU_DEP_2)
	v_add3_u32 v0, v9, v0, v10
	v_add3_u32 v1, v4, v1, v5
	s_cbranch_scc0 .LBB423_194
	s_branch .LBB423_208
.LBB423_195:
	s_mov_b32 s33, -1
                                        ; implicit-def: $vgpr0
                                        ; implicit-def: $vgpr1
	s_branch .LBB423_211
.LBB423_196:
	v_dual_mov_b32 v2, v12 :: v_dual_mov_b32 v1, 0
.LBB423_197:
	s_and_b32 s35, s35, 3
	s_delay_alu instid0(SALU_CYCLE_1)
	s_cmp_eq_u32 s35, 0
	s_cbranch_scc1 .LBB423_200
; %bb.198:
	s_lshl_b32 s18, s34, 3
	s_mul_i32 s20, s34, 12
	s_add_u32 s18, s18, s0
	s_addc_u32 s19, s1, 0
	s_add_u32 s18, s18, 0xc4
	s_addc_u32 s19, s19, 0
	;; [unrolled: 2-line block ×3, first 2 shown]
	.p2align	6
.LBB423_199:                            ; =>This Inner Loop Header: Depth=1
	s_clause 0x1
	s_load_b64 s[36:37], s[20:21], 0x4
	s_load_b32 s34, s[20:21], 0xc
	s_load_b64 s[38:39], s[18:19], 0x0
	s_add_u32 s20, s20, 12
	s_addc_u32 s21, s21, 0
	s_add_u32 s18, s18, 8
	s_addc_u32 s19, s19, 0
	s_add_i32 s35, s35, -1
	s_delay_alu instid0(SALU_CYCLE_1) | instskip(SKIP_2) | instid1(VALU_DEP_1)
	s_cmp_lg_u32 s35, 0
	s_waitcnt lgkmcnt(0)
	v_mul_hi_u32 v3, s37, v2
	v_add_nc_u32_e32 v3, v2, v3
	s_delay_alu instid0(VALU_DEP_1) | instskip(NEXT) | instid1(VALU_DEP_1)
	v_lshrrev_b32_e32 v6, s34, v3
	v_mul_lo_u32 v3, v6, s36
	s_delay_alu instid0(VALU_DEP_1) | instskip(NEXT) | instid1(VALU_DEP_1)
	v_sub_nc_u32_e32 v2, v2, v3
	v_mad_u64_u32 v[3:4], null, v2, s38, v[0:1]
	v_mad_u64_u32 v[4:5], null, v2, s39, v[1:2]
	v_mov_b32_e32 v2, v6
	s_delay_alu instid0(VALU_DEP_2)
	v_dual_mov_b32 v0, v3 :: v_dual_mov_b32 v1, v4
	s_cbranch_scc1 .LBB423_199
.LBB423_200:
	s_and_not1_b32 vcc_lo, exec_lo, s33
	s_cbranch_vccnz .LBB423_203
; %bb.201:
	s_waitcnt lgkmcnt(0)
	v_mul_hi_u32 v0, s13, v12
	s_and_not1_b32 vcc_lo, exec_lo, s27
	s_delay_alu instid0(VALU_DEP_1) | instskip(NEXT) | instid1(VALU_DEP_1)
	v_add_nc_u32_e32 v0, v12, v0
	v_lshrrev_b32_e32 v2, s14, v0
	s_delay_alu instid0(VALU_DEP_1) | instskip(NEXT) | instid1(VALU_DEP_1)
	v_mul_lo_u32 v0, v2, s12
	v_sub_nc_u32_e32 v1, v12, v0
	s_delay_alu instid0(VALU_DEP_1)
	v_mul_lo_u32 v0, v1, s8
	v_mul_lo_u32 v1, v1, s9
	s_cbranch_vccnz .LBB423_203
; %bb.202:
	v_mul_hi_u32 v3, s2, v2
	s_delay_alu instid0(VALU_DEP_1) | instskip(NEXT) | instid1(VALU_DEP_1)
	v_add_nc_u32_e32 v3, v2, v3
	v_lshrrev_b32_e32 v3, s3, v3
	s_delay_alu instid0(VALU_DEP_1) | instskip(NEXT) | instid1(VALU_DEP_1)
	v_mul_lo_u32 v3, v3, s15
	v_sub_nc_u32_e32 v5, v2, v3
	s_delay_alu instid0(VALU_DEP_1) | instskip(NEXT) | instid1(VALU_DEP_1)
	v_mad_u64_u32 v[2:3], null, v5, s10, v[0:1]
	v_mad_u64_u32 v[3:4], null, v5, s11, v[1:2]
	s_delay_alu instid0(VALU_DEP_1)
	v_dual_mov_b32 v0, v2 :: v_dual_mov_b32 v1, v3
.LBB423_203:
	s_waitcnt lgkmcnt(0)
	global_load_u8 v1, v1, s[6:7]
	v_and_b32_e64 v2, 0xff, s26
	v_add_nc_u32_e32 v12, 0x80, v12
	s_waitcnt vmcnt(0)
	s_delay_alu instid0(VALU_DEP_2) | instskip(SKIP_2) | instid1(SALU_CYCLE_1)
	v_min_u16 v1, v1, v2
	global_store_b8 v0, v1, s[4:5]
	s_or_b32 exec_lo, exec_lo, s31
	s_mov_b32 s31, exec_lo
	v_cmpx_gt_i32_e64 s28, v12
	s_cbranch_execnz .LBB423_190
.LBB423_204:
	s_or_b32 exec_lo, exec_lo, s31
	s_delay_alu instid0(SALU_CYCLE_1)
	s_mov_b32 s20, exec_lo
	v_cmpx_gt_i32_e64 s28, v12
	s_cbranch_execnz .LBB423_215
.LBB423_205:
	s_or_b32 exec_lo, exec_lo, s20
                                        ; implicit-def: $vgpr16
                                        ; implicit-def: $vgpr12
	s_waitcnt lgkmcnt(0)
	s_and_not1_saveexec_b32 s2, s25
	s_cbranch_execnz .LBB423_8
.LBB423_206:
	s_nop 0
	s_sendmsg sendmsg(MSG_DEALLOC_VGPRS)
	s_endpgm
.LBB423_207:
	v_dual_mov_b32 v2, v12 :: v_dual_mov_b32 v1, 0
.LBB423_208:
	s_and_b32 s35, s35, 3
	s_delay_alu instid0(SALU_CYCLE_1)
	s_cmp_eq_u32 s35, 0
	s_cbranch_scc1 .LBB423_211
; %bb.209:
	s_lshl_b32 s18, s34, 3
	s_mul_i32 s20, s34, 12
	s_add_u32 s18, s18, s0
	s_addc_u32 s19, s1, 0
	s_add_u32 s18, s18, 0xc4
	s_addc_u32 s19, s19, 0
	;; [unrolled: 2-line block ×3, first 2 shown]
	.p2align	6
.LBB423_210:                            ; =>This Inner Loop Header: Depth=1
	s_clause 0x1
	s_load_b64 s[36:37], s[20:21], 0x4
	s_load_b32 s34, s[20:21], 0xc
	s_load_b64 s[38:39], s[18:19], 0x0
	s_add_u32 s20, s20, 12
	s_addc_u32 s21, s21, 0
	s_add_u32 s18, s18, 8
	s_addc_u32 s19, s19, 0
	s_add_i32 s35, s35, -1
	s_delay_alu instid0(SALU_CYCLE_1) | instskip(SKIP_2) | instid1(VALU_DEP_1)
	s_cmp_lg_u32 s35, 0
	s_waitcnt lgkmcnt(0)
	v_mul_hi_u32 v3, s37, v2
	v_add_nc_u32_e32 v3, v2, v3
	s_delay_alu instid0(VALU_DEP_1) | instskip(NEXT) | instid1(VALU_DEP_1)
	v_lshrrev_b32_e32 v6, s34, v3
	v_mul_lo_u32 v3, v6, s36
	s_delay_alu instid0(VALU_DEP_1) | instskip(NEXT) | instid1(VALU_DEP_1)
	v_sub_nc_u32_e32 v2, v2, v3
	v_mad_u64_u32 v[3:4], null, v2, s38, v[0:1]
	v_mad_u64_u32 v[4:5], null, v2, s39, v[1:2]
	v_mov_b32_e32 v2, v6
	s_delay_alu instid0(VALU_DEP_2)
	v_dual_mov_b32 v0, v3 :: v_dual_mov_b32 v1, v4
	s_cbranch_scc1 .LBB423_210
.LBB423_211:
	s_and_not1_b32 vcc_lo, exec_lo, s33
	s_cbranch_vccnz .LBB423_214
; %bb.212:
	s_waitcnt lgkmcnt(0)
	v_mul_hi_u32 v0, s13, v12
	s_and_not1_b32 vcc_lo, exec_lo, s27
	s_delay_alu instid0(VALU_DEP_1) | instskip(NEXT) | instid1(VALU_DEP_1)
	v_add_nc_u32_e32 v0, v12, v0
	v_lshrrev_b32_e32 v2, s14, v0
	s_delay_alu instid0(VALU_DEP_1) | instskip(NEXT) | instid1(VALU_DEP_1)
	v_mul_lo_u32 v0, v2, s12
	v_sub_nc_u32_e32 v1, v12, v0
	s_delay_alu instid0(VALU_DEP_1)
	v_mul_lo_u32 v0, v1, s8
	v_mul_lo_u32 v1, v1, s9
	s_cbranch_vccnz .LBB423_214
; %bb.213:
	v_mul_hi_u32 v3, s2, v2
	s_delay_alu instid0(VALU_DEP_1) | instskip(NEXT) | instid1(VALU_DEP_1)
	v_add_nc_u32_e32 v3, v2, v3
	v_lshrrev_b32_e32 v3, s3, v3
	s_delay_alu instid0(VALU_DEP_1) | instskip(NEXT) | instid1(VALU_DEP_1)
	v_mul_lo_u32 v3, v3, s15
	v_sub_nc_u32_e32 v5, v2, v3
	s_delay_alu instid0(VALU_DEP_1) | instskip(NEXT) | instid1(VALU_DEP_1)
	v_mad_u64_u32 v[2:3], null, v5, s10, v[0:1]
	v_mad_u64_u32 v[3:4], null, v5, s11, v[1:2]
	s_delay_alu instid0(VALU_DEP_1)
	v_dual_mov_b32 v0, v2 :: v_dual_mov_b32 v1, v3
.LBB423_214:
	s_waitcnt lgkmcnt(0)
	global_load_u8 v1, v1, s[6:7]
	v_and_b32_e64 v2, 0xff, s26
	v_add_nc_u32_e32 v12, 0x80, v12
	s_waitcnt vmcnt(0)
	s_delay_alu instid0(VALU_DEP_2) | instskip(SKIP_2) | instid1(SALU_CYCLE_1)
	v_min_u16 v1, v1, v2
	global_store_b8 v0, v1, s[4:5]
	s_or_b32 exec_lo, exec_lo, s31
	s_mov_b32 s20, exec_lo
	v_cmpx_gt_i32_e64 s28, v12
	s_cbranch_execz .LBB423_205
.LBB423_215:
	s_and_not1_b32 vcc_lo, exec_lo, s24
	s_cbranch_vccnz .LBB423_220
; %bb.216:
	v_dual_mov_b32 v0, 0 :: v_dual_mov_b32 v1, 0
	s_and_not1_b32 vcc_lo, exec_lo, s30
	s_mov_b32 s21, 0
	s_cbranch_vccnz .LBB423_225
; %bb.217:
	v_mov_b32_e32 v0, 0
	s_add_i32 s29, s29, 1
	s_cmp_eq_u32 s23, 2
	s_mov_b32 s28, 0
	s_cbranch_scc1 .LBB423_221
; %bb.218:
	v_dual_mov_b32 v1, 0 :: v_dual_mov_b32 v0, 0
	v_mov_b32_e32 v2, v12
	s_and_b32 s28, s29, 28
	s_mov_b32 s30, 0
	s_mov_b64 s[18:19], s[0:1]
.LBB423_219:                            ; =>This Inner Loop Header: Depth=1
	s_clause 0x1
	s_load_b256 s[36:43], s[18:19], 0x4
	s_load_b128 s[52:55], s[18:19], 0x24
	s_load_b256 s[44:51], s[16:17], 0x0
	s_add_u32 s18, s18, 48
	s_addc_u32 s19, s19, 0
	s_add_i32 s30, s30, 4
	s_add_u32 s16, s16, 32
	s_addc_u32 s17, s17, 0
	s_cmp_eq_u32 s28, s30
	s_waitcnt lgkmcnt(0)
	v_mul_hi_u32 v3, s37, v2
	s_delay_alu instid0(VALU_DEP_1) | instskip(NEXT) | instid1(VALU_DEP_1)
	v_add_nc_u32_e32 v3, v2, v3
	v_lshrrev_b32_e32 v3, s38, v3
	s_delay_alu instid0(VALU_DEP_1) | instskip(SKIP_1) | instid1(VALU_DEP_2)
	v_mul_hi_u32 v4, s40, v3
	v_mul_lo_u32 v6, v3, s36
	v_add_nc_u32_e32 v4, v3, v4
	s_delay_alu instid0(VALU_DEP_2) | instskip(NEXT) | instid1(VALU_DEP_2)
	v_sub_nc_u32_e32 v2, v2, v6
	v_lshrrev_b32_e32 v4, s41, v4
	s_delay_alu instid0(VALU_DEP_2) | instskip(SKIP_1) | instid1(VALU_DEP_3)
	v_mul_lo_u32 v6, v2, s44
	v_mul_lo_u32 v8, v2, s45
	v_mul_hi_u32 v5, s43, v4
	s_delay_alu instid0(VALU_DEP_1) | instskip(NEXT) | instid1(VALU_DEP_1)
	v_add_nc_u32_e32 v5, v4, v5
	v_lshrrev_b32_e32 v5, s52, v5
	s_delay_alu instid0(VALU_DEP_1) | instskip(SKIP_1) | instid1(VALU_DEP_2)
	v_mul_hi_u32 v7, s54, v5
	v_mul_lo_u32 v9, v5, s42
	v_add_nc_u32_e32 v2, v5, v7
	v_mul_lo_u32 v7, v4, s39
	s_delay_alu instid0(VALU_DEP_3) | instskip(NEXT) | instid1(VALU_DEP_3)
	v_sub_nc_u32_e32 v4, v4, v9
	v_lshrrev_b32_e32 v2, s55, v2
	s_delay_alu instid0(VALU_DEP_2) | instskip(SKIP_2) | instid1(VALU_DEP_4)
	v_mul_lo_u32 v9, v4, s48
	v_mul_lo_u32 v4, v4, s49
	v_sub_nc_u32_e32 v3, v3, v7
	v_mul_lo_u32 v10, v2, s53
	s_delay_alu instid0(VALU_DEP_2) | instskip(SKIP_1) | instid1(VALU_DEP_3)
	v_mul_lo_u32 v7, v3, s46
	v_mul_lo_u32 v3, v3, s47
	v_sub_nc_u32_e32 v5, v5, v10
	s_delay_alu instid0(VALU_DEP_3) | instskip(NEXT) | instid1(VALU_DEP_2)
	v_add3_u32 v0, v6, v0, v7
	v_mul_lo_u32 v10, v5, s50
	v_mul_lo_u32 v5, v5, s51
	v_add3_u32 v1, v8, v1, v3
	s_delay_alu instid0(VALU_DEP_3) | instskip(NEXT) | instid1(VALU_DEP_2)
	v_add3_u32 v0, v9, v0, v10
	v_add3_u32 v1, v4, v1, v5
	s_cbranch_scc0 .LBB423_219
	s_branch .LBB423_222
.LBB423_220:
	s_mov_b32 s21, -1
                                        ; implicit-def: $vgpr0
                                        ; implicit-def: $vgpr1
	s_branch .LBB423_225
.LBB423_221:
	v_dual_mov_b32 v2, v12 :: v_dual_mov_b32 v1, 0
.LBB423_222:
	s_and_b32 s29, s29, 3
	s_delay_alu instid0(SALU_CYCLE_1)
	s_cmp_eq_u32 s29, 0
	s_cbranch_scc1 .LBB423_225
; %bb.223:
	s_lshl_b32 s16, s28, 3
	s_mul_i32 s18, s28, 12
	s_add_u32 s16, s16, s0
	s_addc_u32 s17, s1, 0
	s_add_u32 s16, s16, 0xc4
	s_addc_u32 s17, s17, 0
	s_add_u32 s18, s0, s18
	s_addc_u32 s19, s1, 0
	.p2align	6
.LBB423_224:                            ; =>This Inner Loop Header: Depth=1
	s_clause 0x1
	s_load_b64 s[30:31], s[18:19], 0x4
	s_load_b32 s28, s[18:19], 0xc
	s_load_b64 s[34:35], s[16:17], 0x0
	s_add_u32 s18, s18, 12
	s_addc_u32 s19, s19, 0
	s_add_u32 s16, s16, 8
	s_addc_u32 s17, s17, 0
	s_add_i32 s29, s29, -1
	s_delay_alu instid0(SALU_CYCLE_1) | instskip(SKIP_2) | instid1(VALU_DEP_1)
	s_cmp_lg_u32 s29, 0
	s_waitcnt lgkmcnt(0)
	v_mul_hi_u32 v3, s31, v2
	v_add_nc_u32_e32 v3, v2, v3
	s_delay_alu instid0(VALU_DEP_1) | instskip(NEXT) | instid1(VALU_DEP_1)
	v_lshrrev_b32_e32 v6, s28, v3
	v_mul_lo_u32 v3, v6, s30
	s_delay_alu instid0(VALU_DEP_1) | instskip(NEXT) | instid1(VALU_DEP_1)
	v_sub_nc_u32_e32 v2, v2, v3
	v_mad_u64_u32 v[3:4], null, v2, s34, v[0:1]
	v_mad_u64_u32 v[4:5], null, v2, s35, v[1:2]
	v_mov_b32_e32 v2, v6
	s_delay_alu instid0(VALU_DEP_2)
	v_dual_mov_b32 v0, v3 :: v_dual_mov_b32 v1, v4
	s_cbranch_scc1 .LBB423_224
.LBB423_225:
	s_and_not1_b32 vcc_lo, exec_lo, s21
	s_cbranch_vccnz .LBB423_228
; %bb.226:
	s_waitcnt lgkmcnt(0)
	v_mul_hi_u32 v0, s13, v12
	s_and_not1_b32 vcc_lo, exec_lo, s27
	s_delay_alu instid0(VALU_DEP_1) | instskip(NEXT) | instid1(VALU_DEP_1)
	v_add_nc_u32_e32 v0, v12, v0
	v_lshrrev_b32_e32 v2, s14, v0
	s_delay_alu instid0(VALU_DEP_1) | instskip(NEXT) | instid1(VALU_DEP_1)
	v_mul_lo_u32 v0, v2, s12
	v_sub_nc_u32_e32 v1, v12, v0
	s_delay_alu instid0(VALU_DEP_1)
	v_mul_lo_u32 v0, v1, s8
	v_mul_lo_u32 v1, v1, s9
	s_cbranch_vccnz .LBB423_228
; %bb.227:
	v_mul_hi_u32 v3, s2, v2
	s_delay_alu instid0(VALU_DEP_1) | instskip(NEXT) | instid1(VALU_DEP_1)
	v_add_nc_u32_e32 v3, v2, v3
	v_lshrrev_b32_e32 v3, s3, v3
	s_delay_alu instid0(VALU_DEP_1) | instskip(NEXT) | instid1(VALU_DEP_1)
	v_mul_lo_u32 v3, v3, s15
	v_sub_nc_u32_e32 v5, v2, v3
	s_delay_alu instid0(VALU_DEP_1) | instskip(NEXT) | instid1(VALU_DEP_1)
	v_mad_u64_u32 v[2:3], null, v5, s10, v[0:1]
	v_mad_u64_u32 v[3:4], null, v5, s11, v[1:2]
	s_delay_alu instid0(VALU_DEP_1)
	v_dual_mov_b32 v0, v2 :: v_dual_mov_b32 v1, v3
.LBB423_228:
	s_waitcnt lgkmcnt(0)
	global_load_u8 v1, v1, s[6:7]
	v_and_b32_e64 v2, 0xff, s26
	s_waitcnt vmcnt(0)
	s_delay_alu instid0(VALU_DEP_1)
	v_min_u16 v1, v1, v2
	global_store_b8 v0, v1, s[4:5]
	s_or_b32 exec_lo, exec_lo, s20
                                        ; implicit-def: $vgpr16
                                        ; implicit-def: $vgpr12
	s_and_not1_saveexec_b32 s2, s25
	s_cbranch_execz .LBB423_206
	s_branch .LBB423_8
	.section	.rodata,"a",@progbits
	.p2align	6, 0x0
	.amdhsa_kernel _ZN2at6native32elementwise_kernel_manual_unrollILi128ELi8EZNS0_22gpu_kernel_impl_nocastIZZZNS0_21clamp_max_kernel_cudaERNS_18TensorIteratorBaseERKN3c106ScalarEENKUlvE_clEvENKUlvE_clEvEUlhE_EEvS4_RKT_EUlibE_EEviT1_
		.amdhsa_group_segment_fixed_size 0
		.amdhsa_private_segment_fixed_size 0
		.amdhsa_kernarg_size 360
		.amdhsa_user_sgpr_count 15
		.amdhsa_user_sgpr_dispatch_ptr 0
		.amdhsa_user_sgpr_queue_ptr 0
		.amdhsa_user_sgpr_kernarg_segment_ptr 1
		.amdhsa_user_sgpr_dispatch_id 0
		.amdhsa_user_sgpr_private_segment_size 0
		.amdhsa_wavefront_size32 1
		.amdhsa_uses_dynamic_stack 0
		.amdhsa_enable_private_segment 0
		.amdhsa_system_sgpr_workgroup_id_x 1
		.amdhsa_system_sgpr_workgroup_id_y 0
		.amdhsa_system_sgpr_workgroup_id_z 0
		.amdhsa_system_sgpr_workgroup_info 0
		.amdhsa_system_vgpr_workitem_id 0
		.amdhsa_next_free_vgpr 26
		.amdhsa_next_free_sgpr 60
		.amdhsa_reserve_vcc 1
		.amdhsa_float_round_mode_32 0
		.amdhsa_float_round_mode_16_64 0
		.amdhsa_float_denorm_mode_32 3
		.amdhsa_float_denorm_mode_16_64 3
		.amdhsa_dx10_clamp 1
		.amdhsa_ieee_mode 1
		.amdhsa_fp16_overflow 0
		.amdhsa_workgroup_processor_mode 1
		.amdhsa_memory_ordered 1
		.amdhsa_forward_progress 0
		.amdhsa_shared_vgpr_count 0
		.amdhsa_exception_fp_ieee_invalid_op 0
		.amdhsa_exception_fp_denorm_src 0
		.amdhsa_exception_fp_ieee_div_zero 0
		.amdhsa_exception_fp_ieee_overflow 0
		.amdhsa_exception_fp_ieee_underflow 0
		.amdhsa_exception_fp_ieee_inexact 0
		.amdhsa_exception_int_div_zero 0
	.end_amdhsa_kernel
	.section	.text._ZN2at6native32elementwise_kernel_manual_unrollILi128ELi8EZNS0_22gpu_kernel_impl_nocastIZZZNS0_21clamp_max_kernel_cudaERNS_18TensorIteratorBaseERKN3c106ScalarEENKUlvE_clEvENKUlvE_clEvEUlhE_EEvS4_RKT_EUlibE_EEviT1_,"axG",@progbits,_ZN2at6native32elementwise_kernel_manual_unrollILi128ELi8EZNS0_22gpu_kernel_impl_nocastIZZZNS0_21clamp_max_kernel_cudaERNS_18TensorIteratorBaseERKN3c106ScalarEENKUlvE_clEvENKUlvE_clEvEUlhE_EEvS4_RKT_EUlibE_EEviT1_,comdat
.Lfunc_end423:
	.size	_ZN2at6native32elementwise_kernel_manual_unrollILi128ELi8EZNS0_22gpu_kernel_impl_nocastIZZZNS0_21clamp_max_kernel_cudaERNS_18TensorIteratorBaseERKN3c106ScalarEENKUlvE_clEvENKUlvE_clEvEUlhE_EEvS4_RKT_EUlibE_EEviT1_, .Lfunc_end423-_ZN2at6native32elementwise_kernel_manual_unrollILi128ELi8EZNS0_22gpu_kernel_impl_nocastIZZZNS0_21clamp_max_kernel_cudaERNS_18TensorIteratorBaseERKN3c106ScalarEENKUlvE_clEvENKUlvE_clEvEUlhE_EEvS4_RKT_EUlibE_EEviT1_
                                        ; -- End function
	.section	.AMDGPU.csdata,"",@progbits
; Kernel info:
; codeLenInByte = 13644
; NumSgprs: 62
; NumVgprs: 26
; ScratchSize: 0
; MemoryBound: 0
; FloatMode: 240
; IeeeMode: 1
; LDSByteSize: 0 bytes/workgroup (compile time only)
; SGPRBlocks: 7
; VGPRBlocks: 3
; NumSGPRsForWavesPerEU: 62
; NumVGPRsForWavesPerEU: 26
; Occupancy: 16
; WaveLimiterHint : 1
; COMPUTE_PGM_RSRC2:SCRATCH_EN: 0
; COMPUTE_PGM_RSRC2:USER_SGPR: 15
; COMPUTE_PGM_RSRC2:TRAP_HANDLER: 0
; COMPUTE_PGM_RSRC2:TGID_X_EN: 1
; COMPUTE_PGM_RSRC2:TGID_Y_EN: 0
; COMPUTE_PGM_RSRC2:TGID_Z_EN: 0
; COMPUTE_PGM_RSRC2:TIDIG_COMP_CNT: 0
	.section	.text._ZN2at6native32elementwise_kernel_manual_unrollILi128ELi4EZNS0_15gpu_kernel_implIZZZNS0_21clamp_max_kernel_cudaERNS_18TensorIteratorBaseERKN3c106ScalarEENKUlvE_clEvENKUlvE_clEvEUlhE_EEvS4_RKT_EUlibE_EEviT1_,"axG",@progbits,_ZN2at6native32elementwise_kernel_manual_unrollILi128ELi4EZNS0_15gpu_kernel_implIZZZNS0_21clamp_max_kernel_cudaERNS_18TensorIteratorBaseERKN3c106ScalarEENKUlvE_clEvENKUlvE_clEvEUlhE_EEvS4_RKT_EUlibE_EEviT1_,comdat
	.globl	_ZN2at6native32elementwise_kernel_manual_unrollILi128ELi4EZNS0_15gpu_kernel_implIZZZNS0_21clamp_max_kernel_cudaERNS_18TensorIteratorBaseERKN3c106ScalarEENKUlvE_clEvENKUlvE_clEvEUlhE_EEvS4_RKT_EUlibE_EEviT1_ ; -- Begin function _ZN2at6native32elementwise_kernel_manual_unrollILi128ELi4EZNS0_15gpu_kernel_implIZZZNS0_21clamp_max_kernel_cudaERNS_18TensorIteratorBaseERKN3c106ScalarEENKUlvE_clEvENKUlvE_clEvEUlhE_EEvS4_RKT_EUlibE_EEviT1_
	.p2align	8
	.type	_ZN2at6native32elementwise_kernel_manual_unrollILi128ELi4EZNS0_15gpu_kernel_implIZZZNS0_21clamp_max_kernel_cudaERNS_18TensorIteratorBaseERKN3c106ScalarEENKUlvE_clEvENKUlvE_clEvEUlhE_EEvS4_RKT_EUlibE_EEviT1_,@function
_ZN2at6native32elementwise_kernel_manual_unrollILi128ELi4EZNS0_15gpu_kernel_implIZZZNS0_21clamp_max_kernel_cudaERNS_18TensorIteratorBaseERKN3c106ScalarEENKUlvE_clEvENKUlvE_clEvEUlhE_EEvS4_RKT_EUlibE_EEviT1_: ; @_ZN2at6native32elementwise_kernel_manual_unrollILi128ELi4EZNS0_15gpu_kernel_implIZZZNS0_21clamp_max_kernel_cudaERNS_18TensorIteratorBaseERKN3c106ScalarEENKUlvE_clEvENKUlvE_clEvEUlhE_EEvS4_RKT_EUlibE_EEviT1_
; %bb.0:
	s_clause 0x3
	s_load_b32 s8, s[0:1], 0x20
	s_load_b32 s13, s[0:1], 0x0
	s_load_b64 s[2:3], s[0:1], 0x18
	s_load_b128 s[4:7], s[0:1], 0x8
	v_lshl_or_b32 v7, s15, 9, v0
	s_mov_b32 s9, 0
	s_mov_b32 s12, 0
	s_mov_b32 s0, exec_lo
	s_delay_alu instid0(VALU_DEP_1) | instskip(SKIP_3) | instid1(VALU_DEP_1)
	v_or_b32_e32 v0, 0x180, v7
	s_waitcnt lgkmcnt(0)
	s_lshr_b32 s1, s8, 8
	s_lshr_b32 s10, s8, 16
	v_cmpx_le_i32_e64 s13, v0
	s_xor_b32 s11, exec_lo, s0
	s_cbranch_execz .LBB424_1017
; %bb.1:
	s_mov_b32 s18, -1
	s_mov_b32 s16, 0
	s_mov_b32 s14, 0
	s_mov_b32 s15, exec_lo
	v_cmpx_gt_i32_e64 s13, v7
	s_cbranch_execz .LBB424_248
; %bb.2:
	v_mul_lo_u32 v0, v7, s3
	v_and_b32_e64 v4, 0xff, s10
	s_delay_alu instid0(VALU_DEP_1) | instskip(NEXT) | instid1(VALU_DEP_3)
	v_cmp_gt_i16_e32 vcc_lo, 11, v4
	v_ashrrev_i32_e32 v1, 31, v0
	v_add_co_u32 v0, s0, s6, v0
	s_delay_alu instid0(VALU_DEP_1)
	v_add_co_ci_u32_e64 v1, s0, s7, v1, s0
	s_cbranch_vccnz .LBB424_9
; %bb.3:
	v_cmp_lt_i16_e32 vcc_lo, 25, v4
	s_cbranch_vccz .LBB424_18
; %bb.4:
	v_cmp_lt_i16_e32 vcc_lo, 28, v4
	s_cbranch_vccz .LBB424_21
	;; [unrolled: 3-line block ×4, first 2 shown]
; %bb.7:
	v_cmp_eq_u16_e32 vcc_lo, 46, v4
	s_cbranch_vccz .LBB424_27
; %bb.8:
	global_load_b32 v2, v[0:1], off
	s_mov_b32 s0, -1
	s_waitcnt vmcnt(0)
	v_lshlrev_b32_e32 v2, 16, v2
	s_delay_alu instid0(VALU_DEP_1) | instskip(NEXT) | instid1(VALU_DEP_1)
	v_trunc_f32_e32 v2, v2
	v_mul_f32_e64 v3, 0x2f800000, |v2|
	s_delay_alu instid0(VALU_DEP_1) | instskip(NEXT) | instid1(VALU_DEP_1)
	v_floor_f32_e32 v3, v3
	v_fma_f32 v3, 0xcf800000, v3, |v2|
	v_ashrrev_i32_e32 v2, 31, v2
	s_delay_alu instid0(VALU_DEP_2) | instskip(NEXT) | instid1(VALU_DEP_1)
	v_cvt_u32_f32_e32 v3, v3
	v_xor_b32_e32 v3, v3, v2
	s_delay_alu instid0(VALU_DEP_1)
	v_sub_nc_u32_e32 v2, v3, v2
	s_branch .LBB424_29
.LBB424_9:
	s_mov_b32 s0, 0
                                        ; implicit-def: $vgpr2
	s_cbranch_execnz .LBB424_198
.LBB424_10:
	s_and_not1_b32 vcc_lo, exec_lo, s0
	s_cbranch_vccnz .LBB424_245
.LBB424_11:
	v_mul_lo_u32 v0, v7, s2
	v_and_b32_e64 v1, 0xff, s8
	s_waitcnt vmcnt(0)
	s_delay_alu instid0(VALU_DEP_3) | instskip(SKIP_1) | instid1(VALU_DEP_2)
	v_and_b32_e32 v2, 0xff, v2
	v_and_b32_e64 v3, 0xff, s1
	v_min_u16 v2, v2, v1
	v_ashrrev_i32_e32 v1, 31, v0
	s_delay_alu instid0(VALU_DEP_3) | instskip(SKIP_1) | instid1(VALU_DEP_1)
	v_cmp_gt_i16_e32 vcc_lo, 11, v3
	v_add_co_u32 v0, s0, s4, v0
	v_add_co_ci_u32_e64 v1, s0, s5, v1, s0
	s_cbranch_vccnz .LBB424_19
; %bb.12:
	v_cmp_lt_i16_e32 vcc_lo, 25, v3
	s_cbranch_vccz .LBB424_22
; %bb.13:
	v_cmp_lt_i16_e32 vcc_lo, 28, v3
	s_cbranch_vccz .LBB424_24
	;; [unrolled: 3-line block ×4, first 2 shown]
; %bb.16:
	v_cmp_eq_u16_e32 vcc_lo, 46, v3
	s_mov_b32 s17, 0
	s_mov_b32 s0, -1
	s_mov_b32 s12, 0
	s_cbranch_vccz .LBB424_33
; %bb.17:
	v_cvt_f32_ubyte0_e32 v4, v2
	s_mov_b32 s12, -1
	s_mov_b32 s0, 0
	s_delay_alu instid0(VALU_DEP_1) | instskip(NEXT) | instid1(VALU_DEP_1)
	v_bfe_u32 v5, v4, 16, 1
	v_add3_u32 v4, v4, v5, 0x7fff
	s_delay_alu instid0(VALU_DEP_1)
	v_lshrrev_b32_e32 v4, 16, v4
	global_store_b32 v[0:1], v4, off
	s_branch .LBB424_33
.LBB424_18:
	s_mov_b32 s0, 0
                                        ; implicit-def: $vgpr2
	s_cbranch_execnz .LBB424_165
	s_branch .LBB424_197
.LBB424_19:
	s_mov_b32 s0, 0
	s_mov_b32 s12, 0
	s_cbranch_execnz .LBB424_102
.LBB424_20:
	s_and_not1_b32 vcc_lo, exec_lo, s12
	s_cbranch_vccnz .LBB424_246
	s_branch .LBB424_140
.LBB424_21:
	s_mov_b32 s12, -1
	s_mov_b32 s0, 0
                                        ; implicit-def: $vgpr2
	s_branch .LBB424_148
.LBB424_22:
	s_mov_b32 s17, -1
	s_mov_b32 s0, 0
	s_mov_b32 s12, 0
	s_branch .LBB424_60
.LBB424_23:
	s_mov_b32 s12, -1
	s_mov_b32 s0, 0
                                        ; implicit-def: $vgpr2
	s_branch .LBB424_143
.LBB424_24:
	s_mov_b32 s17, -1
	s_mov_b32 s0, 0
	s_mov_b32 s12, 0
	s_branch .LBB424_43
.LBB424_25:
	s_mov_b32 s12, -1
	s_branch .LBB424_28
.LBB424_26:
	s_mov_b32 s17, -1
	s_mov_b32 s0, 0
	s_mov_b32 s12, 0
	s_branch .LBB424_39
.LBB424_27:
	s_mov_b32 s14, -1
.LBB424_28:
	s_mov_b32 s0, 0
                                        ; implicit-def: $vgpr2
.LBB424_29:
	s_and_b32 vcc_lo, exec_lo, s12
	s_cbranch_vccz .LBB424_142
; %bb.30:
	v_cmp_eq_u16_e32 vcc_lo, 44, v4
	s_cbranch_vccz .LBB424_141
; %bb.31:
	global_load_u8 v2, v[0:1], off
	s_mov_b32 s14, 0
	s_mov_b32 s0, -1
	s_waitcnt vmcnt(0)
	v_lshlrev_b32_e32 v3, 23, v2
	v_cmp_ne_u32_e32 vcc_lo, 0, v2
	s_delay_alu instid0(VALU_DEP_2) | instskip(NEXT) | instid1(VALU_DEP_1)
	v_trunc_f32_e32 v3, v3
	v_mul_f32_e64 v5, 0x2f800000, |v3|
	s_delay_alu instid0(VALU_DEP_1) | instskip(NEXT) | instid1(VALU_DEP_1)
	v_floor_f32_e32 v5, v5
	v_fma_f32 v5, 0xcf800000, v5, |v3|
	v_ashrrev_i32_e32 v3, 31, v3
	s_delay_alu instid0(VALU_DEP_2) | instskip(NEXT) | instid1(VALU_DEP_1)
	v_cvt_u32_f32_e32 v5, v5
	v_xor_b32_e32 v5, v5, v3
	s_delay_alu instid0(VALU_DEP_1) | instskip(NEXT) | instid1(VALU_DEP_1)
	v_sub_nc_u32_e32 v3, v5, v3
	v_cndmask_b32_e32 v2, 0, v3, vcc_lo
	s_branch .LBB424_142
.LBB424_32:
	s_mov_b32 s17, -1
	s_mov_b32 s0, 0
	s_mov_b32 s12, 0
.LBB424_33:
	s_and_b32 vcc_lo, exec_lo, s17
	s_cbranch_vccz .LBB424_38
; %bb.34:
	v_cmp_eq_u16_e32 vcc_lo, 44, v3
	s_mov_b32 s0, -1
	s_cbranch_vccz .LBB424_38
; %bb.35:
	v_cvt_f32_ubyte0_e32 v6, v2
	v_mov_b32_e32 v5, 0xff
	s_mov_b32 s12, exec_lo
	s_delay_alu instid0(VALU_DEP_2) | instskip(NEXT) | instid1(VALU_DEP_1)
	v_lshrrev_b32_e32 v4, 23, v6
	v_cmpx_ne_u32_e32 0xff, v4
; %bb.36:
	v_and_b32_e32 v5, 0x400000, v6
	v_and_or_b32 v6, 0x3fffff, v6, v4
	s_delay_alu instid0(VALU_DEP_2) | instskip(NEXT) | instid1(VALU_DEP_2)
	v_cmp_ne_u32_e32 vcc_lo, 0, v5
	v_cmp_ne_u32_e64 s0, 0, v6
	s_delay_alu instid0(VALU_DEP_1) | instskip(NEXT) | instid1(SALU_CYCLE_1)
	s_and_b32 s0, vcc_lo, s0
	v_cndmask_b32_e64 v5, 0, 1, s0
	s_delay_alu instid0(VALU_DEP_1)
	v_add_nc_u32_e32 v5, v4, v5
; %bb.37:
	s_or_b32 exec_lo, exec_lo, s12
	s_mov_b32 s12, -1
	s_mov_b32 s0, 0
	global_store_b8 v[0:1], v5, off
.LBB424_38:
	s_mov_b32 s17, 0
.LBB424_39:
	s_delay_alu instid0(SALU_CYCLE_1)
	s_and_b32 vcc_lo, exec_lo, s17
	s_cbranch_vccz .LBB424_42
; %bb.40:
	v_cmp_eq_u16_e32 vcc_lo, 29, v3
	s_mov_b32 s0, -1
	s_cbranch_vccz .LBB424_42
; %bb.41:
	s_mov_b32 s0, 0
	s_delay_alu instid0(SALU_CYCLE_1)
	v_dual_mov_b32 v5, s0 :: v_dual_and_b32 v4, 0xffff, v2
	s_mov_b32 s12, -1
	s_mov_b32 s17, 0
	global_store_b64 v[0:1], v[4:5], off
	s_branch .LBB424_43
.LBB424_42:
	s_mov_b32 s17, 0
.LBB424_43:
	s_delay_alu instid0(SALU_CYCLE_1)
	s_and_b32 vcc_lo, exec_lo, s17
	s_cbranch_vccz .LBB424_59
; %bb.44:
	v_cmp_gt_i16_e32 vcc_lo, 27, v3
	s_mov_b32 s12, -1
	s_cbranch_vccnz .LBB424_50
; %bb.45:
	v_cmp_lt_i16_e32 vcc_lo, 27, v3
	s_cbranch_vccz .LBB424_47
; %bb.46:
	v_and_b32_e32 v4, 0xffff, v2
	s_mov_b32 s12, 0
	global_store_b32 v[0:1], v4, off
.LBB424_47:
	s_and_not1_b32 vcc_lo, exec_lo, s12
	s_cbranch_vccnz .LBB424_49
; %bb.48:
	global_store_b16 v[0:1], v2, off
.LBB424_49:
	s_mov_b32 s12, 0
.LBB424_50:
	s_delay_alu instid0(SALU_CYCLE_1)
	s_and_not1_b32 vcc_lo, exec_lo, s12
	s_cbranch_vccnz .LBB424_58
; %bb.51:
	v_cvt_f32_ubyte0_e32 v5, v2
	v_mov_b32_e32 v6, 0x80
	s_mov_b32 s12, exec_lo
	s_delay_alu instid0(VALU_DEP_2)
	v_cmpx_gt_u32_e32 0x43800000, v5
	s_cbranch_execz .LBB424_57
; %bb.52:
	s_mov_b32 s17, 0
	s_mov_b32 s18, exec_lo
                                        ; implicit-def: $vgpr4
	v_cmpx_lt_u32_e32 0x3bffffff, v5
	s_xor_b32 s18, exec_lo, s18
	s_cbranch_execz .LBB424_272
; %bb.53:
	v_bfe_u32 v4, v5, 20, 1
	s_mov_b32 s17, exec_lo
	s_delay_alu instid0(VALU_DEP_1) | instskip(NEXT) | instid1(VALU_DEP_1)
	v_add3_u32 v4, v5, v4, 0x487ffff
                                        ; implicit-def: $vgpr5
	v_lshrrev_b32_e32 v4, 20, v4
	s_or_saveexec_b32 s18, s18
                                        ; implicit-def: $sgpr19
	s_delay_alu instid0(SALU_CYCLE_1)
	s_xor_b32 exec_lo, exec_lo, s18
	s_cbranch_execnz .LBB424_273
.LBB424_54:
	s_or_b32 exec_lo, exec_lo, s18
	v_mov_b32_e32 v6, s19
	s_and_saveexec_b32 s18, s17
.LBB424_55:
	v_mov_b32_e32 v6, v4
.LBB424_56:
	s_or_b32 exec_lo, exec_lo, s18
.LBB424_57:
	s_delay_alu instid0(SALU_CYCLE_1)
	s_or_b32 exec_lo, exec_lo, s12
	global_store_b8 v[0:1], v6, off
.LBB424_58:
	s_mov_b32 s12, -1
.LBB424_59:
	s_mov_b32 s17, 0
.LBB424_60:
	s_delay_alu instid0(SALU_CYCLE_1)
	s_and_b32 vcc_lo, exec_lo, s17
	s_cbranch_vccz .LBB424_101
; %bb.61:
	v_cmp_lt_i16_e32 vcc_lo, 22, v3
	s_mov_b32 s17, -1
	s_cbranch_vccz .LBB424_93
; %bb.62:
	v_cmp_gt_i16_e32 vcc_lo, 24, v3
	s_mov_b32 s12, -1
	s_cbranch_vccnz .LBB424_82
; %bb.63:
	v_cmp_lt_i16_e32 vcc_lo, 24, v3
	s_cbranch_vccz .LBB424_71
; %bb.64:
	v_cvt_f32_ubyte0_e32 v5, v2
	v_mov_b32_e32 v6, 0x80
	s_mov_b32 s12, exec_lo
	s_delay_alu instid0(VALU_DEP_2)
	v_cmpx_gt_u32_e32 0x47800000, v5
	s_cbranch_execz .LBB424_70
; %bb.65:
	s_mov_b32 s17, 0
	s_mov_b32 s18, exec_lo
                                        ; implicit-def: $vgpr4
	v_cmpx_lt_u32_e32 0x37ffffff, v5
	s_xor_b32 s18, exec_lo, s18
	s_cbranch_execz .LBB424_276
; %bb.66:
	v_bfe_u32 v4, v5, 21, 1
	s_mov_b32 s17, exec_lo
	s_delay_alu instid0(VALU_DEP_1) | instskip(NEXT) | instid1(VALU_DEP_1)
	v_add3_u32 v4, v5, v4, 0x88fffff
                                        ; implicit-def: $vgpr5
	v_lshrrev_b32_e32 v4, 21, v4
	s_or_saveexec_b32 s18, s18
                                        ; implicit-def: $sgpr19
	s_delay_alu instid0(SALU_CYCLE_1)
	s_xor_b32 exec_lo, exec_lo, s18
	s_cbranch_execnz .LBB424_277
.LBB424_67:
	s_or_b32 exec_lo, exec_lo, s18
	v_mov_b32_e32 v6, s19
	s_and_saveexec_b32 s18, s17
.LBB424_68:
	v_mov_b32_e32 v6, v4
.LBB424_69:
	s_or_b32 exec_lo, exec_lo, s18
.LBB424_70:
	s_delay_alu instid0(SALU_CYCLE_1)
	s_or_b32 exec_lo, exec_lo, s12
	s_mov_b32 s12, 0
	global_store_b8 v[0:1], v6, off
.LBB424_71:
	s_and_b32 vcc_lo, exec_lo, s12
	s_cbranch_vccz .LBB424_81
; %bb.72:
	v_cvt_f32_ubyte0_e32 v5, v2
	s_mov_b32 s12, exec_lo
                                        ; implicit-def: $vgpr4
	s_delay_alu instid0(VALU_DEP_1)
	v_cmpx_gt_u32_e32 0x43f00000, v5
	s_xor_b32 s12, exec_lo, s12
	s_cbranch_execz .LBB424_78
; %bb.73:
	s_mov_b32 s17, exec_lo
                                        ; implicit-def: $vgpr4
	v_cmpx_lt_u32_e32 0x3c7fffff, v5
	s_xor_b32 s17, exec_lo, s17
; %bb.74:
	v_bfe_u32 v4, v5, 20, 1
	s_delay_alu instid0(VALU_DEP_1) | instskip(NEXT) | instid1(VALU_DEP_1)
	v_add3_u32 v4, v5, v4, 0x407ffff
	v_and_b32_e32 v5, 0xff00000, v4
	v_lshrrev_b32_e32 v4, 20, v4
	s_delay_alu instid0(VALU_DEP_2) | instskip(NEXT) | instid1(VALU_DEP_2)
	v_cmp_ne_u32_e32 vcc_lo, 0x7f00000, v5
                                        ; implicit-def: $vgpr5
	v_cndmask_b32_e32 v4, 0x7e, v4, vcc_lo
; %bb.75:
	s_and_not1_saveexec_b32 s17, s17
; %bb.76:
	v_add_f32_e32 v4, 0x46800000, v5
; %bb.77:
	s_or_b32 exec_lo, exec_lo, s17
                                        ; implicit-def: $vgpr5
.LBB424_78:
	s_and_not1_saveexec_b32 s12, s12
; %bb.79:
	v_mov_b32_e32 v4, 0x7f
	v_cmp_lt_u32_e32 vcc_lo, 0x7f800000, v5
	s_delay_alu instid0(VALU_DEP_2)
	v_cndmask_b32_e32 v4, 0x7e, v4, vcc_lo
; %bb.80:
	s_or_b32 exec_lo, exec_lo, s12
	global_store_b8 v[0:1], v4, off
.LBB424_81:
	s_mov_b32 s12, 0
.LBB424_82:
	s_delay_alu instid0(SALU_CYCLE_1)
	s_and_not1_b32 vcc_lo, exec_lo, s12
	s_cbranch_vccnz .LBB424_92
; %bb.83:
	v_cvt_f32_ubyte0_e32 v5, v2
	s_mov_b32 s12, exec_lo
                                        ; implicit-def: $vgpr4
	s_delay_alu instid0(VALU_DEP_1)
	v_cmpx_gt_u32_e32 0x47800000, v5
	s_xor_b32 s12, exec_lo, s12
	s_cbranch_execz .LBB424_89
; %bb.84:
	s_mov_b32 s17, exec_lo
                                        ; implicit-def: $vgpr4
	v_cmpx_lt_u32_e32 0x387fffff, v5
	s_xor_b32 s17, exec_lo, s17
; %bb.85:
	v_bfe_u32 v4, v5, 21, 1
	s_delay_alu instid0(VALU_DEP_1) | instskip(NEXT) | instid1(VALU_DEP_1)
	v_add3_u32 v4, v5, v4, 0x80fffff
                                        ; implicit-def: $vgpr5
	v_lshrrev_b32_e32 v4, 21, v4
; %bb.86:
	s_and_not1_saveexec_b32 s17, s17
; %bb.87:
	v_add_f32_e32 v4, 0x43000000, v5
; %bb.88:
	s_or_b32 exec_lo, exec_lo, s17
                                        ; implicit-def: $vgpr5
.LBB424_89:
	s_and_not1_saveexec_b32 s12, s12
; %bb.90:
	v_mov_b32_e32 v4, 0x7f
	v_cmp_lt_u32_e32 vcc_lo, 0x7f800000, v5
	s_delay_alu instid0(VALU_DEP_2)
	v_cndmask_b32_e32 v4, 0x7c, v4, vcc_lo
; %bb.91:
	s_or_b32 exec_lo, exec_lo, s12
	global_store_b8 v[0:1], v4, off
.LBB424_92:
	s_mov_b32 s17, 0
	s_mov_b32 s12, -1
.LBB424_93:
	s_and_not1_b32 vcc_lo, exec_lo, s17
	s_cbranch_vccnz .LBB424_101
; %bb.94:
	v_cmp_lt_i16_e32 vcc_lo, 14, v3
	s_mov_b32 s17, -1
	s_cbranch_vccz .LBB424_98
; %bb.95:
	v_cmp_eq_u16_e32 vcc_lo, 15, v3
	s_mov_b32 s0, -1
	s_cbranch_vccz .LBB424_97
; %bb.96:
	v_cvt_f32_ubyte0_e32 v4, v2
	s_mov_b32 s12, -1
	s_mov_b32 s0, 0
	s_delay_alu instid0(VALU_DEP_1) | instskip(NEXT) | instid1(VALU_DEP_1)
	v_bfe_u32 v5, v4, 16, 1
	v_add3_u32 v4, v4, v5, 0x7fff
	global_store_d16_hi_b16 v[0:1], v4, off
.LBB424_97:
	s_mov_b32 s17, 0
.LBB424_98:
	s_delay_alu instid0(SALU_CYCLE_1)
	s_and_b32 vcc_lo, exec_lo, s17
	s_cbranch_vccz .LBB424_101
; %bb.99:
	v_cmp_eq_u16_e32 vcc_lo, 11, v3
	s_mov_b32 s0, -1
	s_cbranch_vccz .LBB424_101
; %bb.100:
	v_cmp_ne_u16_e32 vcc_lo, 0, v2
	s_mov_b32 s0, 0
	s_mov_b32 s12, -1
	v_cndmask_b32_e64 v4, 0, 1, vcc_lo
	global_store_b8 v[0:1], v4, off
.LBB424_101:
	s_branch .LBB424_20
.LBB424_102:
	v_cmp_gt_i16_e32 vcc_lo, 5, v3
	s_mov_b32 s12, -1
	s_cbranch_vccnz .LBB424_123
; %bb.103:
	v_cmp_gt_i16_e32 vcc_lo, 8, v3
	s_cbranch_vccnz .LBB424_113
; %bb.104:
	v_cmp_gt_i16_e32 vcc_lo, 9, v3
	s_cbranch_vccnz .LBB424_110
; %bb.105:
	v_cmp_lt_i16_e32 vcc_lo, 9, v3
	s_cbranch_vccz .LBB424_107
; %bb.106:
	v_mov_b32_e32 v10, 0
	v_and_b32_e32 v4, 0xffff, v2
	s_mov_b32 s12, 0
	s_delay_alu instid0(VALU_DEP_2) | instskip(NEXT) | instid1(VALU_DEP_2)
	v_mov_b32_e32 v11, v10
	v_cvt_f64_u32_e32 v[8:9], v4
	global_store_b128 v[0:1], v[8:11], off
.LBB424_107:
	s_and_not1_b32 vcc_lo, exec_lo, s12
	s_cbranch_vccnz .LBB424_109
; %bb.108:
	v_cvt_f32_ubyte0_e32 v4, v2
	v_mov_b32_e32 v5, 0
	global_store_b64 v[0:1], v[4:5], off
.LBB424_109:
	s_mov_b32 s12, 0
.LBB424_110:
	s_delay_alu instid0(SALU_CYCLE_1)
	s_and_not1_b32 vcc_lo, exec_lo, s12
	s_cbranch_vccnz .LBB424_112
; %bb.111:
	v_cvt_f16_u16_e32 v4, v2
	s_delay_alu instid0(VALU_DEP_1)
	v_and_b32_e32 v4, 0xffff, v4
	global_store_b32 v[0:1], v4, off
.LBB424_112:
	s_mov_b32 s12, 0
.LBB424_113:
	s_delay_alu instid0(SALU_CYCLE_1)
	s_and_not1_b32 vcc_lo, exec_lo, s12
	s_cbranch_vccnz .LBB424_122
; %bb.114:
	v_cmp_gt_i16_e32 vcc_lo, 6, v3
	s_mov_b32 s12, -1
	s_cbranch_vccnz .LBB424_120
; %bb.115:
	v_cmp_lt_i16_e32 vcc_lo, 6, v3
	s_cbranch_vccz .LBB424_117
; %bb.116:
	v_and_b32_e32 v4, 0xffff, v2
	s_mov_b32 s12, 0
	s_delay_alu instid0(VALU_DEP_1)
	v_cvt_f64_u32_e32 v[4:5], v4
	global_store_b64 v[0:1], v[4:5], off
.LBB424_117:
	s_and_not1_b32 vcc_lo, exec_lo, s12
	s_cbranch_vccnz .LBB424_119
; %bb.118:
	v_cvt_f32_ubyte0_e32 v4, v2
	global_store_b32 v[0:1], v4, off
.LBB424_119:
	s_mov_b32 s12, 0
.LBB424_120:
	s_delay_alu instid0(SALU_CYCLE_1)
	s_and_not1_b32 vcc_lo, exec_lo, s12
	s_cbranch_vccnz .LBB424_122
; %bb.121:
	v_cvt_f16_u16_e32 v4, v2
	global_store_b16 v[0:1], v4, off
.LBB424_122:
	s_mov_b32 s12, 0
.LBB424_123:
	s_delay_alu instid0(SALU_CYCLE_1)
	s_and_not1_b32 vcc_lo, exec_lo, s12
	s_cbranch_vccnz .LBB424_139
; %bb.124:
	v_cmp_gt_i16_e32 vcc_lo, 2, v3
	s_mov_b32 s12, -1
	s_cbranch_vccnz .LBB424_134
; %bb.125:
	v_cmp_gt_i16_e32 vcc_lo, 3, v3
	s_cbranch_vccnz .LBB424_131
; %bb.126:
	v_cmp_lt_i16_e32 vcc_lo, 3, v3
	s_cbranch_vccz .LBB424_128
; %bb.127:
	s_mov_b32 s12, 0
	s_delay_alu instid0(SALU_CYCLE_1)
	v_dual_mov_b32 v5, s12 :: v_dual_and_b32 v4, 0xffff, v2
	global_store_b64 v[0:1], v[4:5], off
.LBB424_128:
	s_and_not1_b32 vcc_lo, exec_lo, s12
	s_cbranch_vccnz .LBB424_130
; %bb.129:
	v_and_b32_e32 v4, 0xffff, v2
	global_store_b32 v[0:1], v4, off
.LBB424_130:
	s_mov_b32 s12, 0
.LBB424_131:
	s_delay_alu instid0(SALU_CYCLE_1)
	s_and_not1_b32 vcc_lo, exec_lo, s12
	s_cbranch_vccnz .LBB424_133
; %bb.132:
	global_store_b16 v[0:1], v2, off
.LBB424_133:
	s_mov_b32 s12, 0
.LBB424_134:
	s_delay_alu instid0(SALU_CYCLE_1)
	s_and_not1_b32 vcc_lo, exec_lo, s12
	s_cbranch_vccnz .LBB424_139
; %bb.135:
	v_cmp_lt_i16_e32 vcc_lo, 0, v3
	s_mov_b32 s12, -1
	s_cbranch_vccz .LBB424_137
; %bb.136:
	s_mov_b32 s12, 0
	global_store_b8 v[0:1], v2, off
.LBB424_137:
	s_and_not1_b32 vcc_lo, exec_lo, s12
	s_cbranch_vccnz .LBB424_139
; %bb.138:
	global_store_b8 v[0:1], v2, off
.LBB424_139:
.LBB424_140:
	v_add_nc_u32_e32 v7, 0x80, v7
	s_mov_b32 s17, -1
	s_branch .LBB424_247
.LBB424_141:
	s_mov_b32 s14, -1
                                        ; implicit-def: $vgpr2
.LBB424_142:
	s_mov_b32 s12, 0
.LBB424_143:
	s_delay_alu instid0(SALU_CYCLE_1)
	s_and_b32 vcc_lo, exec_lo, s12
	s_cbranch_vccz .LBB424_147
; %bb.144:
	v_cmp_eq_u16_e32 vcc_lo, 29, v4
	s_cbranch_vccz .LBB424_146
; %bb.145:
	global_load_b64 v[2:3], v[0:1], off
	s_mov_b32 s0, -1
	s_mov_b32 s14, 0
	s_branch .LBB424_147
.LBB424_146:
	s_mov_b32 s14, -1
                                        ; implicit-def: $vgpr2
.LBB424_147:
	s_mov_b32 s12, 0
.LBB424_148:
	s_delay_alu instid0(SALU_CYCLE_1)
	s_and_b32 vcc_lo, exec_lo, s12
	s_cbranch_vccz .LBB424_164
; %bb.149:
	v_cmp_gt_i16_e32 vcc_lo, 27, v4
	s_cbranch_vccnz .LBB424_152
; %bb.150:
	v_cmp_lt_i16_e32 vcc_lo, 27, v4
	s_cbranch_vccz .LBB424_153
; %bb.151:
	global_load_b32 v2, v[0:1], off
	s_mov_b32 s0, 0
	s_branch .LBB424_154
.LBB424_152:
	s_mov_b32 s0, -1
                                        ; implicit-def: $vgpr2
	s_branch .LBB424_157
.LBB424_153:
	s_mov_b32 s0, -1
                                        ; implicit-def: $vgpr2
.LBB424_154:
	s_delay_alu instid0(SALU_CYCLE_1)
	s_and_not1_b32 vcc_lo, exec_lo, s0
	s_cbranch_vccnz .LBB424_156
; %bb.155:
	global_load_u16 v2, v[0:1], off
.LBB424_156:
	s_mov_b32 s0, 0
.LBB424_157:
	s_delay_alu instid0(SALU_CYCLE_1)
	s_and_not1_b32 vcc_lo, exec_lo, s0
	s_cbranch_vccnz .LBB424_163
; %bb.158:
	global_load_u8 v3, v[0:1], off
	s_mov_b32 s12, 0
	s_mov_b32 s0, exec_lo
                                        ; implicit-def: $sgpr17
	s_waitcnt vmcnt(0)
	v_cmpx_lt_i16_e32 0x7f, v3
	s_xor_b32 s0, exec_lo, s0
	s_cbranch_execz .LBB424_174
; %bb.159:
	v_cmp_ne_u16_e32 vcc_lo, 0x80, v3
	s_mov_b32 s17, 0
	s_and_b32 s12, vcc_lo, exec_lo
	s_or_saveexec_b32 s0, s0
	v_mov_b32_e32 v2, s17
	s_xor_b32 exec_lo, exec_lo, s0
	s_cbranch_execnz .LBB424_175
.LBB424_160:
	s_or_b32 exec_lo, exec_lo, s0
	s_and_saveexec_b32 s0, s12
	s_cbranch_execz .LBB424_162
.LBB424_161:
	v_and_b32_e32 v2, 0xffff, v3
	s_delay_alu instid0(VALU_DEP_1) | instskip(NEXT) | instid1(VALU_DEP_1)
	v_and_b32_e32 v5, 7, v2
	v_clz_i32_u32_e32 v6, v5
	s_delay_alu instid0(VALU_DEP_1) | instskip(NEXT) | instid1(VALU_DEP_1)
	v_min_u32_e32 v6, 32, v6
	v_subrev_nc_u32_e32 v8, 28, v6
	v_sub_nc_u32_e32 v6, 29, v6
	s_delay_alu instid0(VALU_DEP_2) | instskip(SKIP_1) | instid1(VALU_DEP_2)
	v_lshlrev_b32_e32 v8, v8, v2
	v_bfe_u32 v2, v2, 3, 4
	v_and_b32_e32 v8, 7, v8
	s_delay_alu instid0(VALU_DEP_2) | instskip(SKIP_1) | instid1(VALU_DEP_3)
	v_cmp_eq_u32_e32 vcc_lo, 0, v2
	v_dual_cndmask_b32 v2, v2, v6 :: v_dual_lshlrev_b32 v3, 24, v3
	v_cndmask_b32_e32 v5, v5, v8, vcc_lo
	s_delay_alu instid0(VALU_DEP_2) | instskip(NEXT) | instid1(VALU_DEP_3)
	v_and_b32_e32 v3, 0x80000000, v3
	v_lshl_add_u32 v2, v2, 23, 0x3b800000
	s_delay_alu instid0(VALU_DEP_3) | instskip(NEXT) | instid1(VALU_DEP_1)
	v_lshlrev_b32_e32 v5, 20, v5
	v_or3_b32 v2, v3, v2, v5
	s_delay_alu instid0(VALU_DEP_1) | instskip(NEXT) | instid1(VALU_DEP_1)
	v_trunc_f32_e32 v2, v2
	v_mul_f32_e64 v3, 0x2f800000, |v2|
	s_delay_alu instid0(VALU_DEP_1) | instskip(NEXT) | instid1(VALU_DEP_1)
	v_floor_f32_e32 v3, v3
	v_fma_f32 v3, 0xcf800000, v3, |v2|
	v_ashrrev_i32_e32 v2, 31, v2
	s_delay_alu instid0(VALU_DEP_2) | instskip(NEXT) | instid1(VALU_DEP_1)
	v_cvt_u32_f32_e32 v3, v3
	v_xor_b32_e32 v3, v3, v2
	s_delay_alu instid0(VALU_DEP_1)
	v_sub_nc_u32_e32 v2, v3, v2
.LBB424_162:
	s_or_b32 exec_lo, exec_lo, s0
.LBB424_163:
	s_mov_b32 s0, -1
.LBB424_164:
	s_branch .LBB424_197
.LBB424_165:
	v_cmp_lt_i16_e32 vcc_lo, 22, v4
	s_cbranch_vccz .LBB424_173
; %bb.166:
	v_cmp_gt_i16_e32 vcc_lo, 24, v4
	s_cbranch_vccnz .LBB424_176
; %bb.167:
	v_cmp_lt_i16_e32 vcc_lo, 24, v4
	s_cbranch_vccz .LBB424_177
; %bb.168:
	global_load_u8 v3, v[0:1], off
	s_mov_b32 s12, 0
	s_mov_b32 s0, exec_lo
                                        ; implicit-def: $sgpr17
	s_waitcnt vmcnt(0)
	v_cmpx_lt_i16_e32 0x7f, v3
	s_xor_b32 s0, exec_lo, s0
	s_cbranch_execz .LBB424_189
; %bb.169:
	v_cmp_ne_u16_e32 vcc_lo, 0x80, v3
	s_mov_b32 s17, 0
	s_and_b32 s12, vcc_lo, exec_lo
	s_or_saveexec_b32 s0, s0
	v_mov_b32_e32 v2, s17
	s_xor_b32 exec_lo, exec_lo, s0
	s_cbranch_execnz .LBB424_190
.LBB424_170:
	s_or_b32 exec_lo, exec_lo, s0
	s_and_saveexec_b32 s0, s12
	s_cbranch_execz .LBB424_172
.LBB424_171:
	v_and_b32_e32 v2, 0xffff, v3
	s_delay_alu instid0(VALU_DEP_1) | instskip(NEXT) | instid1(VALU_DEP_1)
	v_and_b32_e32 v5, 3, v2
	v_clz_i32_u32_e32 v6, v5
	s_delay_alu instid0(VALU_DEP_1) | instskip(NEXT) | instid1(VALU_DEP_1)
	v_min_u32_e32 v6, 32, v6
	v_subrev_nc_u32_e32 v8, 29, v6
	v_sub_nc_u32_e32 v6, 30, v6
	s_delay_alu instid0(VALU_DEP_2) | instskip(SKIP_1) | instid1(VALU_DEP_2)
	v_lshlrev_b32_e32 v8, v8, v2
	v_bfe_u32 v2, v2, 2, 5
	v_and_b32_e32 v8, 3, v8
	s_delay_alu instid0(VALU_DEP_2) | instskip(SKIP_1) | instid1(VALU_DEP_3)
	v_cmp_eq_u32_e32 vcc_lo, 0, v2
	v_dual_cndmask_b32 v2, v2, v6 :: v_dual_lshlrev_b32 v3, 24, v3
	v_cndmask_b32_e32 v5, v5, v8, vcc_lo
	s_delay_alu instid0(VALU_DEP_2) | instskip(NEXT) | instid1(VALU_DEP_3)
	v_and_b32_e32 v3, 0x80000000, v3
	v_lshl_add_u32 v2, v2, 23, 0x37800000
	s_delay_alu instid0(VALU_DEP_3) | instskip(NEXT) | instid1(VALU_DEP_1)
	v_lshlrev_b32_e32 v5, 21, v5
	v_or3_b32 v2, v3, v2, v5
	s_delay_alu instid0(VALU_DEP_1) | instskip(NEXT) | instid1(VALU_DEP_1)
	v_trunc_f32_e32 v2, v2
	v_mul_f32_e64 v3, 0x2f800000, |v2|
	s_delay_alu instid0(VALU_DEP_1) | instskip(NEXT) | instid1(VALU_DEP_1)
	v_floor_f32_e32 v3, v3
	v_fma_f32 v3, 0xcf800000, v3, |v2|
	v_ashrrev_i32_e32 v2, 31, v2
	s_delay_alu instid0(VALU_DEP_2) | instskip(NEXT) | instid1(VALU_DEP_1)
	v_cvt_u32_f32_e32 v3, v3
	v_xor_b32_e32 v3, v3, v2
	s_delay_alu instid0(VALU_DEP_1)
	v_sub_nc_u32_e32 v2, v3, v2
.LBB424_172:
	s_or_b32 exec_lo, exec_lo, s0
	s_mov_b32 s0, 0
	s_branch .LBB424_178
.LBB424_173:
	s_mov_b32 s12, -1
                                        ; implicit-def: $vgpr2
	s_branch .LBB424_184
.LBB424_174:
	s_or_saveexec_b32 s0, s0
	v_mov_b32_e32 v2, s17
	s_xor_b32 exec_lo, exec_lo, s0
	s_cbranch_execz .LBB424_160
.LBB424_175:
	v_cmp_ne_u16_e32 vcc_lo, 0, v3
	v_mov_b32_e32 v2, 0
	s_and_not1_b32 s12, s12, exec_lo
	s_and_b32 s17, vcc_lo, exec_lo
	s_delay_alu instid0(SALU_CYCLE_1)
	s_or_b32 s12, s12, s17
	s_or_b32 exec_lo, exec_lo, s0
	s_and_saveexec_b32 s0, s12
	s_cbranch_execnz .LBB424_161
	s_branch .LBB424_162
.LBB424_176:
	s_mov_b32 s0, -1
                                        ; implicit-def: $vgpr2
	s_branch .LBB424_181
.LBB424_177:
	s_mov_b32 s0, -1
                                        ; implicit-def: $vgpr2
.LBB424_178:
	s_delay_alu instid0(SALU_CYCLE_1)
	s_and_b32 vcc_lo, exec_lo, s0
	s_cbranch_vccz .LBB424_180
; %bb.179:
	global_load_u8 v2, v[0:1], off
	s_waitcnt vmcnt(0)
	v_lshlrev_b32_e32 v2, 24, v2
	s_delay_alu instid0(VALU_DEP_1) | instskip(NEXT) | instid1(VALU_DEP_1)
	v_and_b32_e32 v3, 0x7f000000, v2
	v_clz_i32_u32_e32 v5, v3
	v_add_nc_u32_e32 v8, 0x1000000, v3
	v_cmp_ne_u32_e32 vcc_lo, 0, v3
	s_delay_alu instid0(VALU_DEP_3) | instskip(NEXT) | instid1(VALU_DEP_1)
	v_min_u32_e32 v5, 32, v5
	v_sub_nc_u32_e64 v5, v5, 4 clamp
	s_delay_alu instid0(VALU_DEP_1) | instskip(SKIP_1) | instid1(VALU_DEP_2)
	v_lshlrev_b32_e32 v6, v5, v3
	v_lshlrev_b32_e32 v5, 23, v5
	v_lshrrev_b32_e32 v6, 4, v6
	s_delay_alu instid0(VALU_DEP_1) | instskip(SKIP_1) | instid1(VALU_DEP_2)
	v_sub_nc_u32_e32 v5, v6, v5
	v_ashrrev_i32_e32 v6, 8, v8
	v_add_nc_u32_e32 v5, 0x3c000000, v5
	s_delay_alu instid0(VALU_DEP_1) | instskip(NEXT) | instid1(VALU_DEP_1)
	v_and_or_b32 v5, 0x7f800000, v6, v5
	v_cndmask_b32_e32 v3, 0, v5, vcc_lo
	s_delay_alu instid0(VALU_DEP_1) | instskip(NEXT) | instid1(VALU_DEP_1)
	v_and_or_b32 v2, 0x80000000, v2, v3
	v_trunc_f32_e32 v2, v2
	s_delay_alu instid0(VALU_DEP_1) | instskip(NEXT) | instid1(VALU_DEP_1)
	v_mul_f32_e64 v3, 0x2f800000, |v2|
	v_floor_f32_e32 v3, v3
	s_delay_alu instid0(VALU_DEP_1) | instskip(SKIP_1) | instid1(VALU_DEP_2)
	v_fma_f32 v3, 0xcf800000, v3, |v2|
	v_ashrrev_i32_e32 v2, 31, v2
	v_cvt_u32_f32_e32 v3, v3
	s_delay_alu instid0(VALU_DEP_1) | instskip(NEXT) | instid1(VALU_DEP_1)
	v_xor_b32_e32 v3, v3, v2
	v_sub_nc_u32_e32 v2, v3, v2
.LBB424_180:
	s_mov_b32 s0, 0
.LBB424_181:
	s_delay_alu instid0(SALU_CYCLE_1)
	s_and_not1_b32 vcc_lo, exec_lo, s0
	s_cbranch_vccnz .LBB424_183
; %bb.182:
	global_load_u8 v2, v[0:1], off
	s_waitcnt vmcnt(0)
	v_lshlrev_b32_e32 v3, 25, v2
	v_lshlrev_b16 v2, 8, v2
	s_delay_alu instid0(VALU_DEP_2) | instskip(NEXT) | instid1(VALU_DEP_2)
	v_lshrrev_b32_e32 v5, 4, v3
	v_and_or_b32 v6, 0x7f00, v2, 0.5
	v_cmp_gt_u32_e32 vcc_lo, 0x8000000, v3
	v_bfe_i32 v2, v2, 0, 16
	s_delay_alu instid0(VALU_DEP_4) | instskip(NEXT) | instid1(VALU_DEP_1)
	v_or_b32_e32 v5, 0x70000000, v5
	v_dual_add_f32 v6, -0.5, v6 :: v_dual_mul_f32 v5, 0x7800000, v5
	s_delay_alu instid0(VALU_DEP_1) | instskip(NEXT) | instid1(VALU_DEP_1)
	v_cndmask_b32_e32 v3, v5, v6, vcc_lo
	v_and_or_b32 v2, 0x80000000, v2, v3
	s_delay_alu instid0(VALU_DEP_1) | instskip(NEXT) | instid1(VALU_DEP_1)
	v_trunc_f32_e32 v2, v2
	v_mul_f32_e64 v3, 0x2f800000, |v2|
	s_delay_alu instid0(VALU_DEP_1) | instskip(NEXT) | instid1(VALU_DEP_1)
	v_floor_f32_e32 v3, v3
	v_fma_f32 v3, 0xcf800000, v3, |v2|
	v_ashrrev_i32_e32 v2, 31, v2
	s_delay_alu instid0(VALU_DEP_2) | instskip(NEXT) | instid1(VALU_DEP_1)
	v_cvt_u32_f32_e32 v3, v3
	v_xor_b32_e32 v3, v3, v2
	s_delay_alu instid0(VALU_DEP_1)
	v_sub_nc_u32_e32 v2, v3, v2
.LBB424_183:
	s_mov_b32 s12, 0
	s_mov_b32 s0, -1
.LBB424_184:
	s_and_not1_b32 vcc_lo, exec_lo, s12
	s_cbranch_vccnz .LBB424_197
; %bb.185:
	v_cmp_lt_i16_e32 vcc_lo, 14, v4
	s_cbranch_vccz .LBB424_188
; %bb.186:
	v_cmp_eq_u16_e32 vcc_lo, 15, v4
	s_cbranch_vccz .LBB424_191
; %bb.187:
	global_load_u16 v2, v[0:1], off
	s_mov_b32 s0, -1
	s_mov_b32 s14, 0
	s_waitcnt vmcnt(0)
	v_lshlrev_b32_e32 v2, 16, v2
	s_delay_alu instid0(VALU_DEP_1) | instskip(NEXT) | instid1(VALU_DEP_1)
	v_trunc_f32_e32 v2, v2
	v_mul_f32_e64 v3, 0x2f800000, |v2|
	s_delay_alu instid0(VALU_DEP_1) | instskip(NEXT) | instid1(VALU_DEP_1)
	v_floor_f32_e32 v3, v3
	v_fma_f32 v3, 0xcf800000, v3, |v2|
	v_ashrrev_i32_e32 v2, 31, v2
	s_delay_alu instid0(VALU_DEP_2) | instskip(NEXT) | instid1(VALU_DEP_1)
	v_cvt_u32_f32_e32 v3, v3
	v_xor_b32_e32 v3, v3, v2
	s_delay_alu instid0(VALU_DEP_1)
	v_sub_nc_u32_e32 v2, v3, v2
	s_branch .LBB424_192
.LBB424_188:
	s_mov_b32 s12, -1
                                        ; implicit-def: $vgpr2
	s_branch .LBB424_193
.LBB424_189:
	s_or_saveexec_b32 s0, s0
	v_mov_b32_e32 v2, s17
	s_xor_b32 exec_lo, exec_lo, s0
	s_cbranch_execz .LBB424_170
.LBB424_190:
	v_cmp_ne_u16_e32 vcc_lo, 0, v3
	v_mov_b32_e32 v2, 0
	s_and_not1_b32 s12, s12, exec_lo
	s_and_b32 s17, vcc_lo, exec_lo
	s_delay_alu instid0(SALU_CYCLE_1)
	s_or_b32 s12, s12, s17
	s_or_b32 exec_lo, exec_lo, s0
	s_and_saveexec_b32 s0, s12
	s_cbranch_execnz .LBB424_171
	s_branch .LBB424_172
.LBB424_191:
	s_mov_b32 s14, -1
                                        ; implicit-def: $vgpr2
.LBB424_192:
	s_mov_b32 s12, 0
.LBB424_193:
	s_delay_alu instid0(SALU_CYCLE_1)
	s_and_b32 vcc_lo, exec_lo, s12
	s_cbranch_vccz .LBB424_197
; %bb.194:
	v_cmp_eq_u16_e32 vcc_lo, 11, v4
	s_cbranch_vccz .LBB424_196
; %bb.195:
	global_load_u8 v2, v[0:1], off
	s_mov_b32 s14, 0
	s_mov_b32 s0, -1
	s_waitcnt vmcnt(0)
	v_cmp_ne_u16_e32 vcc_lo, 0, v2
	v_cndmask_b32_e64 v2, 0, 1, vcc_lo
	s_branch .LBB424_197
.LBB424_196:
	s_mov_b32 s14, -1
                                        ; implicit-def: $vgpr2
.LBB424_197:
	s_branch .LBB424_10
.LBB424_198:
	v_cmp_gt_i16_e32 vcc_lo, 5, v4
	s_cbranch_vccnz .LBB424_203
; %bb.199:
	v_cmp_gt_i16_e32 vcc_lo, 8, v4
	s_cbranch_vccnz .LBB424_204
; %bb.200:
	;; [unrolled: 3-line block ×3, first 2 shown]
	v_cmp_lt_i16_e32 vcc_lo, 9, v4
	s_cbranch_vccz .LBB424_206
; %bb.202:
	global_load_b64 v[2:3], v[0:1], off
	s_mov_b32 s0, 0
	s_waitcnt vmcnt(0)
	v_trunc_f64_e32 v[2:3], v[2:3]
	s_delay_alu instid0(VALU_DEP_1) | instskip(NEXT) | instid1(VALU_DEP_1)
	v_ldexp_f64 v[5:6], v[2:3], 0xffffffe0
	v_floor_f64_e32 v[5:6], v[5:6]
	s_delay_alu instid0(VALU_DEP_1) | instskip(NEXT) | instid1(VALU_DEP_1)
	v_fma_f64 v[2:3], 0xc1f00000, v[5:6], v[2:3]
	v_cvt_u32_f64_e32 v2, v[2:3]
	s_branch .LBB424_207
.LBB424_203:
                                        ; implicit-def: $vgpr2
	s_branch .LBB424_225
.LBB424_204:
	s_mov_b32 s0, -1
                                        ; implicit-def: $vgpr2
	s_branch .LBB424_213
.LBB424_205:
	s_mov_b32 s0, -1
                                        ; implicit-def: $vgpr2
	s_branch .LBB424_210
.LBB424_206:
	s_mov_b32 s0, -1
                                        ; implicit-def: $vgpr2
.LBB424_207:
	s_delay_alu instid0(SALU_CYCLE_1)
	s_and_not1_b32 vcc_lo, exec_lo, s0
	s_cbranch_vccnz .LBB424_209
; %bb.208:
	global_load_b32 v2, v[0:1], off
	s_waitcnt vmcnt(0)
	v_trunc_f32_e32 v2, v2
	s_delay_alu instid0(VALU_DEP_1) | instskip(NEXT) | instid1(VALU_DEP_1)
	v_mul_f32_e64 v3, 0x2f800000, |v2|
	v_floor_f32_e32 v3, v3
	s_delay_alu instid0(VALU_DEP_1) | instskip(SKIP_1) | instid1(VALU_DEP_2)
	v_fma_f32 v3, 0xcf800000, v3, |v2|
	v_ashrrev_i32_e32 v2, 31, v2
	v_cvt_u32_f32_e32 v3, v3
	s_delay_alu instid0(VALU_DEP_1) | instskip(NEXT) | instid1(VALU_DEP_1)
	v_xor_b32_e32 v3, v3, v2
	v_sub_nc_u32_e32 v2, v3, v2
.LBB424_209:
	s_mov_b32 s0, 0
.LBB424_210:
	s_delay_alu instid0(SALU_CYCLE_1)
	s_and_not1_b32 vcc_lo, exec_lo, s0
	s_cbranch_vccnz .LBB424_212
; %bb.211:
	global_load_b32 v2, v[0:1], off
	s_waitcnt vmcnt(0)
	v_cvt_f32_f16_e32 v2, v2
	s_delay_alu instid0(VALU_DEP_1)
	v_cvt_i32_f32_e32 v2, v2
.LBB424_212:
	s_mov_b32 s0, 0
.LBB424_213:
	s_delay_alu instid0(SALU_CYCLE_1)
	s_and_not1_b32 vcc_lo, exec_lo, s0
	s_cbranch_vccnz .LBB424_224
; %bb.214:
	v_cmp_gt_i16_e32 vcc_lo, 6, v4
	s_cbranch_vccnz .LBB424_217
; %bb.215:
	v_cmp_lt_i16_e32 vcc_lo, 6, v4
	s_cbranch_vccz .LBB424_218
; %bb.216:
	global_load_b64 v[2:3], v[0:1], off
	s_mov_b32 s0, 0
	s_waitcnt vmcnt(0)
	v_trunc_f64_e32 v[2:3], v[2:3]
	s_delay_alu instid0(VALU_DEP_1) | instskip(NEXT) | instid1(VALU_DEP_1)
	v_ldexp_f64 v[5:6], v[2:3], 0xffffffe0
	v_floor_f64_e32 v[5:6], v[5:6]
	s_delay_alu instid0(VALU_DEP_1) | instskip(NEXT) | instid1(VALU_DEP_1)
	v_fma_f64 v[2:3], 0xc1f00000, v[5:6], v[2:3]
	v_cvt_u32_f64_e32 v2, v[2:3]
	s_branch .LBB424_219
.LBB424_217:
	s_mov_b32 s0, -1
                                        ; implicit-def: $vgpr2
	s_branch .LBB424_222
.LBB424_218:
	s_mov_b32 s0, -1
                                        ; implicit-def: $vgpr2
.LBB424_219:
	s_delay_alu instid0(SALU_CYCLE_1)
	s_and_not1_b32 vcc_lo, exec_lo, s0
	s_cbranch_vccnz .LBB424_221
; %bb.220:
	global_load_b32 v2, v[0:1], off
	s_waitcnt vmcnt(0)
	v_trunc_f32_e32 v2, v2
	s_delay_alu instid0(VALU_DEP_1) | instskip(NEXT) | instid1(VALU_DEP_1)
	v_mul_f32_e64 v3, 0x2f800000, |v2|
	v_floor_f32_e32 v3, v3
	s_delay_alu instid0(VALU_DEP_1) | instskip(SKIP_1) | instid1(VALU_DEP_2)
	v_fma_f32 v3, 0xcf800000, v3, |v2|
	v_ashrrev_i32_e32 v2, 31, v2
	v_cvt_u32_f32_e32 v3, v3
	s_delay_alu instid0(VALU_DEP_1) | instskip(NEXT) | instid1(VALU_DEP_1)
	v_xor_b32_e32 v3, v3, v2
	v_sub_nc_u32_e32 v2, v3, v2
.LBB424_221:
	s_mov_b32 s0, 0
.LBB424_222:
	s_delay_alu instid0(SALU_CYCLE_1)
	s_and_not1_b32 vcc_lo, exec_lo, s0
	s_cbranch_vccnz .LBB424_224
; %bb.223:
	global_load_u16 v2, v[0:1], off
	s_waitcnt vmcnt(0)
	v_cvt_f32_f16_e32 v2, v2
	s_delay_alu instid0(VALU_DEP_1)
	v_cvt_i32_f32_e32 v2, v2
.LBB424_224:
	s_cbranch_execnz .LBB424_244
.LBB424_225:
	v_cmp_gt_i16_e32 vcc_lo, 2, v4
	s_cbranch_vccnz .LBB424_229
; %bb.226:
	v_cmp_gt_i16_e32 vcc_lo, 3, v4
	s_cbranch_vccnz .LBB424_230
; %bb.227:
	v_cmp_lt_i16_e32 vcc_lo, 3, v4
	s_cbranch_vccz .LBB424_231
; %bb.228:
	global_load_b64 v[2:3], v[0:1], off
	s_mov_b32 s0, 0
	s_branch .LBB424_232
.LBB424_229:
	s_mov_b32 s0, -1
                                        ; implicit-def: $vgpr2
	s_branch .LBB424_238
.LBB424_230:
	s_mov_b32 s0, -1
                                        ; implicit-def: $vgpr2
	s_branch .LBB424_235
.LBB424_231:
	s_mov_b32 s0, -1
                                        ; implicit-def: $vgpr2
.LBB424_232:
	s_delay_alu instid0(SALU_CYCLE_1)
	s_and_not1_b32 vcc_lo, exec_lo, s0
	s_cbranch_vccnz .LBB424_234
; %bb.233:
	global_load_b32 v2, v[0:1], off
.LBB424_234:
	s_mov_b32 s0, 0
.LBB424_235:
	s_delay_alu instid0(SALU_CYCLE_1)
	s_and_not1_b32 vcc_lo, exec_lo, s0
	s_cbranch_vccnz .LBB424_237
; %bb.236:
	global_load_u16 v2, v[0:1], off
.LBB424_237:
	s_mov_b32 s0, 0
.LBB424_238:
	s_delay_alu instid0(SALU_CYCLE_1)
	s_and_not1_b32 vcc_lo, exec_lo, s0
	s_cbranch_vccnz .LBB424_244
; %bb.239:
	v_cmp_lt_i16_e32 vcc_lo, 0, v4
	s_mov_b32 s0, 0
	s_cbranch_vccz .LBB424_241
; %bb.240:
	global_load_u8 v2, v[0:1], off
	s_branch .LBB424_242
.LBB424_241:
	s_mov_b32 s0, -1
                                        ; implicit-def: $vgpr2
.LBB424_242:
	s_delay_alu instid0(SALU_CYCLE_1)
	s_and_not1_b32 vcc_lo, exec_lo, s0
	s_cbranch_vccnz .LBB424_244
; %bb.243:
	global_load_u8 v2, v[0:1], off
.LBB424_244:
	s_branch .LBB424_11
.LBB424_245:
	s_mov_b32 s0, 0
.LBB424_246:
	s_mov_b32 s17, 0
                                        ; implicit-def: $vgpr7
.LBB424_247:
	s_and_b32 s12, s0, exec_lo
	s_and_b32 s14, s14, exec_lo
	s_or_not1_b32 s18, s17, exec_lo
.LBB424_248:
	s_or_b32 exec_lo, exec_lo, s15
	s_mov_b32 s17, 0
	s_mov_b32 s0, 0
                                        ; implicit-def: $vgpr4
                                        ; implicit-def: $vgpr0_vgpr1
                                        ; implicit-def: $vgpr2
	s_and_saveexec_b32 s15, s18
	s_cbranch_execz .LBB424_844
; %bb.249:
	s_mov_b32 s20, -1
	s_mov_b32 s16, s14
	s_mov_b32 s17, s12
	s_mov_b32 s18, exec_lo
	v_cmpx_gt_i32_e64 s13, v7
	s_cbranch_execz .LBB424_504
; %bb.250:
	v_mul_lo_u32 v0, v7, s3
	v_and_b32_e64 v4, 0xff, s10
	s_delay_alu instid0(VALU_DEP_1) | instskip(NEXT) | instid1(VALU_DEP_3)
	v_cmp_gt_i16_e32 vcc_lo, 11, v4
	v_ashrrev_i32_e32 v1, 31, v0
	v_add_co_u32 v0, s0, s6, v0
	s_delay_alu instid0(VALU_DEP_1)
	v_add_co_ci_u32_e64 v1, s0, s7, v1, s0
	s_cbranch_vccnz .LBB424_257
; %bb.251:
	v_cmp_lt_i16_e32 vcc_lo, 25, v4
	s_cbranch_vccz .LBB424_266
; %bb.252:
	v_cmp_lt_i16_e32 vcc_lo, 28, v4
	s_cbranch_vccz .LBB424_268
	;; [unrolled: 3-line block ×4, first 2 shown]
; %bb.255:
	v_cmp_eq_u16_e32 vcc_lo, 46, v4
	s_mov_b32 s17, 0
	s_cbranch_vccz .LBB424_278
; %bb.256:
	global_load_b32 v2, v[0:1], off
	s_mov_b32 s0, -1
	s_mov_b32 s16, 0
	s_waitcnt vmcnt(0)
	v_lshlrev_b32_e32 v2, 16, v2
	s_delay_alu instid0(VALU_DEP_1) | instskip(NEXT) | instid1(VALU_DEP_1)
	v_trunc_f32_e32 v2, v2
	v_mul_f32_e64 v3, 0x2f800000, |v2|
	s_delay_alu instid0(VALU_DEP_1) | instskip(NEXT) | instid1(VALU_DEP_1)
	v_floor_f32_e32 v3, v3
	v_fma_f32 v3, 0xcf800000, v3, |v2|
	v_ashrrev_i32_e32 v2, 31, v2
	s_delay_alu instid0(VALU_DEP_2) | instskip(NEXT) | instid1(VALU_DEP_1)
	v_cvt_u32_f32_e32 v3, v3
	v_xor_b32_e32 v3, v3, v2
	s_delay_alu instid0(VALU_DEP_1)
	v_sub_nc_u32_e32 v2, v3, v2
	s_branch .LBB424_280
.LBB424_257:
	s_mov_b32 s0, 0
	s_mov_b32 s16, s14
                                        ; implicit-def: $vgpr2
	s_cbranch_execnz .LBB424_453
.LBB424_258:
	s_and_not1_b32 vcc_lo, exec_lo, s0
	s_cbranch_vccnz .LBB424_501
.LBB424_259:
	v_mul_lo_u32 v0, v7, s2
	v_and_b32_e64 v1, 0xff, s8
	s_waitcnt vmcnt(0)
	s_delay_alu instid0(VALU_DEP_3) | instskip(SKIP_1) | instid1(VALU_DEP_2)
	v_and_b32_e32 v2, 0xff, v2
	v_and_b32_e64 v3, 0xff, s1
	v_min_u16 v2, v2, v1
	v_ashrrev_i32_e32 v1, 31, v0
	s_delay_alu instid0(VALU_DEP_3) | instskip(SKIP_1) | instid1(VALU_DEP_1)
	v_cmp_gt_i16_e32 vcc_lo, 11, v3
	v_add_co_u32 v0, s0, s4, v0
	v_add_co_ci_u32_e64 v1, s0, s5, v1, s0
	s_cbranch_vccnz .LBB424_267
; %bb.260:
	v_cmp_lt_i16_e32 vcc_lo, 25, v3
	s_cbranch_vccz .LBB424_269
; %bb.261:
	v_cmp_lt_i16_e32 vcc_lo, 28, v3
	s_cbranch_vccz .LBB424_271
	;; [unrolled: 3-line block ×4, first 2 shown]
; %bb.264:
	v_cmp_eq_u16_e32 vcc_lo, 46, v3
	s_mov_b32 s19, 0
	s_mov_b32 s0, -1
	s_mov_b32 s17, 0
	s_cbranch_vccz .LBB424_284
; %bb.265:
	v_cvt_f32_ubyte0_e32 v4, v2
	s_mov_b32 s17, -1
	s_mov_b32 s0, 0
	s_delay_alu instid0(VALU_DEP_1) | instskip(NEXT) | instid1(VALU_DEP_1)
	v_bfe_u32 v5, v4, 16, 1
	v_add3_u32 v4, v4, v5, 0x7fff
	s_delay_alu instid0(VALU_DEP_1)
	v_lshrrev_b32_e32 v4, 16, v4
	global_store_b32 v[0:1], v4, off
	s_branch .LBB424_284
.LBB424_266:
	s_mov_b32 s17, -1
	s_mov_b32 s0, 0
	s_mov_b32 s16, s14
                                        ; implicit-def: $vgpr2
	s_branch .LBB424_419
.LBB424_267:
	s_mov_b32 s19, -1
	s_mov_b32 s17, 0
	s_mov_b32 s0, s12
	s_branch .LBB424_353
.LBB424_268:
	s_mov_b32 s17, -1
	s_mov_b32 s0, 0
	s_mov_b32 s16, s14
                                        ; implicit-def: $vgpr2
	s_branch .LBB424_402
.LBB424_269:
	s_mov_b32 s19, -1
	s_mov_b32 s17, 0
	s_mov_b32 s0, s12
	s_branch .LBB424_311
.LBB424_270:
	s_mov_b32 s17, -1
	s_mov_b32 s0, 0
	s_mov_b32 s16, s14
                                        ; implicit-def: $vgpr2
	s_branch .LBB424_397
.LBB424_271:
	s_mov_b32 s19, -1
	s_mov_b32 s17, 0
	s_mov_b32 s0, s12
	s_branch .LBB424_294
.LBB424_272:
	s_or_saveexec_b32 s18, s18
                                        ; implicit-def: $sgpr19
	s_delay_alu instid0(SALU_CYCLE_1)
	s_xor_b32 exec_lo, exec_lo, s18
	s_cbranch_execz .LBB424_54
.LBB424_273:
	v_add_f32_e32 v4, 0x46000000, v5
	s_and_not1_b32 s17, s17, exec_lo
	s_mov_b32 s19, 0
	s_delay_alu instid0(VALU_DEP_1) | instskip(NEXT) | instid1(VALU_DEP_1)
	v_and_b32_e32 v4, 0xff, v4
	v_cmp_ne_u32_e32 vcc_lo, 0, v4
	s_and_b32 s20, vcc_lo, exec_lo
	s_delay_alu instid0(SALU_CYCLE_1)
	s_or_b32 s17, s17, s20
	s_or_b32 exec_lo, exec_lo, s18
	v_mov_b32_e32 v6, s19
	s_and_saveexec_b32 s18, s17
	s_cbranch_execnz .LBB424_55
	s_branch .LBB424_56
.LBB424_274:
	s_mov_b32 s17, -1
	s_mov_b32 s0, 0
	s_mov_b32 s16, s14
	s_branch .LBB424_279
.LBB424_275:
	s_mov_b32 s19, -1
	s_mov_b32 s17, 0
	s_mov_b32 s0, s12
	s_branch .LBB424_290
.LBB424_276:
	s_or_saveexec_b32 s18, s18
                                        ; implicit-def: $sgpr19
	s_delay_alu instid0(SALU_CYCLE_1)
	s_xor_b32 exec_lo, exec_lo, s18
	s_cbranch_execz .LBB424_67
.LBB424_277:
	v_add_f32_e32 v4, 0x42800000, v5
	s_and_not1_b32 s17, s17, exec_lo
	s_mov_b32 s19, 0
	s_delay_alu instid0(VALU_DEP_1) | instskip(NEXT) | instid1(VALU_DEP_1)
	v_and_b32_e32 v4, 0xff, v4
	v_cmp_ne_u32_e32 vcc_lo, 0, v4
	s_and_b32 s20, vcc_lo, exec_lo
	s_delay_alu instid0(SALU_CYCLE_1)
	s_or_b32 s17, s17, s20
	s_or_b32 exec_lo, exec_lo, s18
	v_mov_b32_e32 v6, s19
	s_and_saveexec_b32 s18, s17
	s_cbranch_execnz .LBB424_68
	s_branch .LBB424_69
.LBB424_278:
	s_mov_b32 s16, -1
	s_mov_b32 s0, 0
.LBB424_279:
                                        ; implicit-def: $vgpr2
.LBB424_280:
	s_and_b32 vcc_lo, exec_lo, s17
	s_cbranch_vccz .LBB424_396
; %bb.281:
	v_cmp_eq_u16_e32 vcc_lo, 44, v4
	s_cbranch_vccz .LBB424_395
; %bb.282:
	global_load_u8 v2, v[0:1], off
	s_mov_b32 s16, 0
	s_mov_b32 s0, -1
	s_waitcnt vmcnt(0)
	v_lshlrev_b32_e32 v3, 23, v2
	v_cmp_ne_u32_e32 vcc_lo, 0, v2
	s_delay_alu instid0(VALU_DEP_2) | instskip(NEXT) | instid1(VALU_DEP_1)
	v_trunc_f32_e32 v3, v3
	v_mul_f32_e64 v5, 0x2f800000, |v3|
	s_delay_alu instid0(VALU_DEP_1) | instskip(NEXT) | instid1(VALU_DEP_1)
	v_floor_f32_e32 v5, v5
	v_fma_f32 v5, 0xcf800000, v5, |v3|
	v_ashrrev_i32_e32 v3, 31, v3
	s_delay_alu instid0(VALU_DEP_2) | instskip(NEXT) | instid1(VALU_DEP_1)
	v_cvt_u32_f32_e32 v5, v5
	v_xor_b32_e32 v5, v5, v3
	s_delay_alu instid0(VALU_DEP_1) | instskip(NEXT) | instid1(VALU_DEP_1)
	v_sub_nc_u32_e32 v3, v5, v3
	v_cndmask_b32_e32 v2, 0, v3, vcc_lo
	s_branch .LBB424_396
.LBB424_283:
	s_mov_b32 s19, -1
	s_mov_b32 s17, 0
	s_mov_b32 s0, s12
.LBB424_284:
	s_and_b32 vcc_lo, exec_lo, s19
	s_cbranch_vccz .LBB424_289
; %bb.285:
	v_cmp_eq_u16_e32 vcc_lo, 44, v3
	s_mov_b32 s0, -1
	s_cbranch_vccz .LBB424_289
; %bb.286:
	v_cvt_f32_ubyte0_e32 v6, v2
	v_mov_b32_e32 v5, 0xff
	s_mov_b32 s17, exec_lo
	s_delay_alu instid0(VALU_DEP_2) | instskip(NEXT) | instid1(VALU_DEP_1)
	v_lshrrev_b32_e32 v4, 23, v6
	v_cmpx_ne_u32_e32 0xff, v4
; %bb.287:
	v_and_b32_e32 v5, 0x400000, v6
	v_and_or_b32 v6, 0x3fffff, v6, v4
	s_delay_alu instid0(VALU_DEP_2) | instskip(NEXT) | instid1(VALU_DEP_2)
	v_cmp_ne_u32_e32 vcc_lo, 0, v5
	v_cmp_ne_u32_e64 s0, 0, v6
	s_delay_alu instid0(VALU_DEP_1) | instskip(NEXT) | instid1(SALU_CYCLE_1)
	s_and_b32 s0, vcc_lo, s0
	v_cndmask_b32_e64 v5, 0, 1, s0
	s_delay_alu instid0(VALU_DEP_1)
	v_add_nc_u32_e32 v5, v4, v5
; %bb.288:
	s_or_b32 exec_lo, exec_lo, s17
	s_mov_b32 s17, -1
	s_mov_b32 s0, 0
	global_store_b8 v[0:1], v5, off
.LBB424_289:
	s_mov_b32 s19, 0
.LBB424_290:
	s_delay_alu instid0(SALU_CYCLE_1)
	s_and_b32 vcc_lo, exec_lo, s19
	s_cbranch_vccz .LBB424_293
; %bb.291:
	v_cmp_eq_u16_e32 vcc_lo, 29, v3
	s_mov_b32 s0, -1
	s_cbranch_vccz .LBB424_293
; %bb.292:
	s_mov_b32 s0, 0
	s_delay_alu instid0(SALU_CYCLE_1)
	v_dual_mov_b32 v5, s0 :: v_dual_and_b32 v4, 0xffff, v2
	s_mov_b32 s17, -1
	s_mov_b32 s19, 0
	global_store_b64 v[0:1], v[4:5], off
	s_branch .LBB424_294
.LBB424_293:
	s_mov_b32 s19, 0
.LBB424_294:
	s_delay_alu instid0(SALU_CYCLE_1)
	s_and_b32 vcc_lo, exec_lo, s19
	s_cbranch_vccz .LBB424_310
; %bb.295:
	v_cmp_gt_i16_e32 vcc_lo, 27, v3
	s_mov_b32 s17, -1
	s_cbranch_vccnz .LBB424_301
; %bb.296:
	v_cmp_lt_i16_e32 vcc_lo, 27, v3
	s_cbranch_vccz .LBB424_298
; %bb.297:
	v_and_b32_e32 v4, 0xffff, v2
	s_mov_b32 s17, 0
	global_store_b32 v[0:1], v4, off
.LBB424_298:
	s_and_not1_b32 vcc_lo, exec_lo, s17
	s_cbranch_vccnz .LBB424_300
; %bb.299:
	global_store_b16 v[0:1], v2, off
.LBB424_300:
	s_mov_b32 s17, 0
.LBB424_301:
	s_delay_alu instid0(SALU_CYCLE_1)
	s_and_not1_b32 vcc_lo, exec_lo, s17
	s_cbranch_vccnz .LBB424_309
; %bb.302:
	v_cvt_f32_ubyte0_e32 v5, v2
	v_mov_b32_e32 v6, 0x80
	s_mov_b32 s17, exec_lo
	s_delay_alu instid0(VALU_DEP_2)
	v_cmpx_gt_u32_e32 0x43800000, v5
	s_cbranch_execz .LBB424_308
; %bb.303:
	s_mov_b32 s19, 0
	s_mov_b32 s20, exec_lo
                                        ; implicit-def: $vgpr4
	v_cmpx_lt_u32_e32 0x3bffffff, v5
	s_xor_b32 s20, exec_lo, s20
	s_cbranch_execz .LBB424_517
; %bb.304:
	v_bfe_u32 v4, v5, 20, 1
	s_mov_b32 s19, exec_lo
	s_delay_alu instid0(VALU_DEP_1) | instskip(NEXT) | instid1(VALU_DEP_1)
	v_add3_u32 v4, v5, v4, 0x487ffff
                                        ; implicit-def: $vgpr5
	v_lshrrev_b32_e32 v4, 20, v4
	s_or_saveexec_b32 s20, s20
                                        ; implicit-def: $sgpr21
	s_delay_alu instid0(SALU_CYCLE_1)
	s_xor_b32 exec_lo, exec_lo, s20
	s_cbranch_execnz .LBB424_518
.LBB424_305:
	s_or_b32 exec_lo, exec_lo, s20
	v_mov_b32_e32 v6, s21
	s_and_saveexec_b32 s20, s19
.LBB424_306:
	v_mov_b32_e32 v6, v4
.LBB424_307:
	s_or_b32 exec_lo, exec_lo, s20
.LBB424_308:
	s_delay_alu instid0(SALU_CYCLE_1)
	s_or_b32 exec_lo, exec_lo, s17
	global_store_b8 v[0:1], v6, off
.LBB424_309:
	s_mov_b32 s17, -1
.LBB424_310:
	s_mov_b32 s19, 0
.LBB424_311:
	s_delay_alu instid0(SALU_CYCLE_1)
	s_and_b32 vcc_lo, exec_lo, s19
	s_cbranch_vccz .LBB424_352
; %bb.312:
	v_cmp_lt_i16_e32 vcc_lo, 22, v3
	s_mov_b32 s19, -1
	s_cbranch_vccz .LBB424_344
; %bb.313:
	v_cmp_gt_i16_e32 vcc_lo, 24, v3
	s_mov_b32 s17, -1
	s_cbranch_vccnz .LBB424_333
; %bb.314:
	v_cmp_lt_i16_e32 vcc_lo, 24, v3
	s_cbranch_vccz .LBB424_322
; %bb.315:
	v_cvt_f32_ubyte0_e32 v5, v2
	v_mov_b32_e32 v6, 0x80
	s_mov_b32 s17, exec_lo
	s_delay_alu instid0(VALU_DEP_2)
	v_cmpx_gt_u32_e32 0x47800000, v5
	s_cbranch_execz .LBB424_321
; %bb.316:
	s_mov_b32 s19, 0
	s_mov_b32 s20, exec_lo
                                        ; implicit-def: $vgpr4
	v_cmpx_lt_u32_e32 0x37ffffff, v5
	s_xor_b32 s20, exec_lo, s20
	s_cbranch_execz .LBB424_520
; %bb.317:
	v_bfe_u32 v4, v5, 21, 1
	s_mov_b32 s19, exec_lo
	s_delay_alu instid0(VALU_DEP_1) | instskip(NEXT) | instid1(VALU_DEP_1)
	v_add3_u32 v4, v5, v4, 0x88fffff
                                        ; implicit-def: $vgpr5
	v_lshrrev_b32_e32 v4, 21, v4
	s_or_saveexec_b32 s20, s20
                                        ; implicit-def: $sgpr21
	s_delay_alu instid0(SALU_CYCLE_1)
	s_xor_b32 exec_lo, exec_lo, s20
	s_cbranch_execnz .LBB424_521
.LBB424_318:
	s_or_b32 exec_lo, exec_lo, s20
	v_mov_b32_e32 v6, s21
	s_and_saveexec_b32 s20, s19
.LBB424_319:
	v_mov_b32_e32 v6, v4
.LBB424_320:
	s_or_b32 exec_lo, exec_lo, s20
.LBB424_321:
	s_delay_alu instid0(SALU_CYCLE_1)
	s_or_b32 exec_lo, exec_lo, s17
	s_mov_b32 s17, 0
	global_store_b8 v[0:1], v6, off
.LBB424_322:
	s_and_b32 vcc_lo, exec_lo, s17
	s_cbranch_vccz .LBB424_332
; %bb.323:
	v_cvt_f32_ubyte0_e32 v5, v2
	s_mov_b32 s17, exec_lo
                                        ; implicit-def: $vgpr4
	s_delay_alu instid0(VALU_DEP_1)
	v_cmpx_gt_u32_e32 0x43f00000, v5
	s_xor_b32 s17, exec_lo, s17
	s_cbranch_execz .LBB424_329
; %bb.324:
	s_mov_b32 s19, exec_lo
                                        ; implicit-def: $vgpr4
	v_cmpx_lt_u32_e32 0x3c7fffff, v5
	s_xor_b32 s19, exec_lo, s19
; %bb.325:
	v_bfe_u32 v4, v5, 20, 1
	s_delay_alu instid0(VALU_DEP_1) | instskip(NEXT) | instid1(VALU_DEP_1)
	v_add3_u32 v4, v5, v4, 0x407ffff
	v_and_b32_e32 v5, 0xff00000, v4
	v_lshrrev_b32_e32 v4, 20, v4
	s_delay_alu instid0(VALU_DEP_2) | instskip(NEXT) | instid1(VALU_DEP_2)
	v_cmp_ne_u32_e32 vcc_lo, 0x7f00000, v5
                                        ; implicit-def: $vgpr5
	v_cndmask_b32_e32 v4, 0x7e, v4, vcc_lo
; %bb.326:
	s_and_not1_saveexec_b32 s19, s19
; %bb.327:
	v_add_f32_e32 v4, 0x46800000, v5
; %bb.328:
	s_or_b32 exec_lo, exec_lo, s19
                                        ; implicit-def: $vgpr5
.LBB424_329:
	s_and_not1_saveexec_b32 s17, s17
; %bb.330:
	v_mov_b32_e32 v4, 0x7f
	v_cmp_lt_u32_e32 vcc_lo, 0x7f800000, v5
	s_delay_alu instid0(VALU_DEP_2)
	v_cndmask_b32_e32 v4, 0x7e, v4, vcc_lo
; %bb.331:
	s_or_b32 exec_lo, exec_lo, s17
	global_store_b8 v[0:1], v4, off
.LBB424_332:
	s_mov_b32 s17, 0
.LBB424_333:
	s_delay_alu instid0(SALU_CYCLE_1)
	s_and_not1_b32 vcc_lo, exec_lo, s17
	s_cbranch_vccnz .LBB424_343
; %bb.334:
	v_cvt_f32_ubyte0_e32 v5, v2
	s_mov_b32 s17, exec_lo
                                        ; implicit-def: $vgpr4
	s_delay_alu instid0(VALU_DEP_1)
	v_cmpx_gt_u32_e32 0x47800000, v5
	s_xor_b32 s17, exec_lo, s17
	s_cbranch_execz .LBB424_340
; %bb.335:
	s_mov_b32 s19, exec_lo
                                        ; implicit-def: $vgpr4
	v_cmpx_lt_u32_e32 0x387fffff, v5
	s_xor_b32 s19, exec_lo, s19
; %bb.336:
	v_bfe_u32 v4, v5, 21, 1
	s_delay_alu instid0(VALU_DEP_1) | instskip(NEXT) | instid1(VALU_DEP_1)
	v_add3_u32 v4, v5, v4, 0x80fffff
                                        ; implicit-def: $vgpr5
	v_lshrrev_b32_e32 v4, 21, v4
; %bb.337:
	s_and_not1_saveexec_b32 s19, s19
; %bb.338:
	v_add_f32_e32 v4, 0x43000000, v5
; %bb.339:
	s_or_b32 exec_lo, exec_lo, s19
                                        ; implicit-def: $vgpr5
.LBB424_340:
	s_and_not1_saveexec_b32 s17, s17
; %bb.341:
	v_mov_b32_e32 v4, 0x7f
	v_cmp_lt_u32_e32 vcc_lo, 0x7f800000, v5
	s_delay_alu instid0(VALU_DEP_2)
	v_cndmask_b32_e32 v4, 0x7c, v4, vcc_lo
; %bb.342:
	s_or_b32 exec_lo, exec_lo, s17
	global_store_b8 v[0:1], v4, off
.LBB424_343:
	s_mov_b32 s19, 0
	s_mov_b32 s17, -1
.LBB424_344:
	s_and_not1_b32 vcc_lo, exec_lo, s19
	s_cbranch_vccnz .LBB424_352
; %bb.345:
	v_cmp_lt_i16_e32 vcc_lo, 14, v3
	s_mov_b32 s19, -1
	s_cbranch_vccz .LBB424_349
; %bb.346:
	v_cmp_eq_u16_e32 vcc_lo, 15, v3
	s_mov_b32 s0, -1
	s_cbranch_vccz .LBB424_348
; %bb.347:
	v_cvt_f32_ubyte0_e32 v4, v2
	s_mov_b32 s17, -1
	s_mov_b32 s0, 0
	s_delay_alu instid0(VALU_DEP_1) | instskip(NEXT) | instid1(VALU_DEP_1)
	v_bfe_u32 v5, v4, 16, 1
	v_add3_u32 v4, v4, v5, 0x7fff
	global_store_d16_hi_b16 v[0:1], v4, off
.LBB424_348:
	s_mov_b32 s19, 0
.LBB424_349:
	s_delay_alu instid0(SALU_CYCLE_1)
	s_and_b32 vcc_lo, exec_lo, s19
	s_cbranch_vccz .LBB424_352
; %bb.350:
	v_cmp_eq_u16_e32 vcc_lo, 11, v3
	s_mov_b32 s0, -1
	s_cbranch_vccz .LBB424_352
; %bb.351:
	v_cmp_ne_u16_e32 vcc_lo, 0, v2
	s_mov_b32 s0, 0
	s_mov_b32 s17, -1
	v_cndmask_b32_e64 v4, 0, 1, vcc_lo
	global_store_b8 v[0:1], v4, off
.LBB424_352:
	s_mov_b32 s19, 0
.LBB424_353:
	s_delay_alu instid0(SALU_CYCLE_1)
	s_and_b32 vcc_lo, exec_lo, s19
	s_cbranch_vccz .LBB424_392
; %bb.354:
	v_cmp_gt_i16_e32 vcc_lo, 5, v3
	s_mov_b32 s17, -1
	s_cbranch_vccnz .LBB424_375
; %bb.355:
	v_cmp_gt_i16_e32 vcc_lo, 8, v3
	s_cbranch_vccnz .LBB424_365
; %bb.356:
	v_cmp_gt_i16_e32 vcc_lo, 9, v3
	s_cbranch_vccnz .LBB424_362
; %bb.357:
	v_cmp_lt_i16_e32 vcc_lo, 9, v3
	s_cbranch_vccz .LBB424_359
; %bb.358:
	v_mov_b32_e32 v10, 0
	v_and_b32_e32 v4, 0xffff, v2
	s_mov_b32 s17, 0
	s_delay_alu instid0(VALU_DEP_2) | instskip(NEXT) | instid1(VALU_DEP_2)
	v_mov_b32_e32 v11, v10
	v_cvt_f64_u32_e32 v[8:9], v4
	global_store_b128 v[0:1], v[8:11], off
.LBB424_359:
	s_and_not1_b32 vcc_lo, exec_lo, s17
	s_cbranch_vccnz .LBB424_361
; %bb.360:
	v_cvt_f32_ubyte0_e32 v4, v2
	v_mov_b32_e32 v5, 0
	global_store_b64 v[0:1], v[4:5], off
.LBB424_361:
	s_mov_b32 s17, 0
.LBB424_362:
	s_delay_alu instid0(SALU_CYCLE_1)
	s_and_not1_b32 vcc_lo, exec_lo, s17
	s_cbranch_vccnz .LBB424_364
; %bb.363:
	v_cvt_f16_u16_e32 v4, v2
	s_delay_alu instid0(VALU_DEP_1)
	v_and_b32_e32 v4, 0xffff, v4
	global_store_b32 v[0:1], v4, off
.LBB424_364:
	s_mov_b32 s17, 0
.LBB424_365:
	s_delay_alu instid0(SALU_CYCLE_1)
	s_and_not1_b32 vcc_lo, exec_lo, s17
	s_cbranch_vccnz .LBB424_374
; %bb.366:
	v_cmp_gt_i16_e32 vcc_lo, 6, v3
	s_mov_b32 s17, -1
	s_cbranch_vccnz .LBB424_372
; %bb.367:
	v_cmp_lt_i16_e32 vcc_lo, 6, v3
	s_cbranch_vccz .LBB424_369
; %bb.368:
	v_and_b32_e32 v4, 0xffff, v2
	s_mov_b32 s17, 0
	s_delay_alu instid0(VALU_DEP_1)
	v_cvt_f64_u32_e32 v[4:5], v4
	global_store_b64 v[0:1], v[4:5], off
.LBB424_369:
	s_and_not1_b32 vcc_lo, exec_lo, s17
	s_cbranch_vccnz .LBB424_371
; %bb.370:
	v_cvt_f32_ubyte0_e32 v4, v2
	global_store_b32 v[0:1], v4, off
.LBB424_371:
	s_mov_b32 s17, 0
.LBB424_372:
	s_delay_alu instid0(SALU_CYCLE_1)
	s_and_not1_b32 vcc_lo, exec_lo, s17
	s_cbranch_vccnz .LBB424_374
; %bb.373:
	v_cvt_f16_u16_e32 v4, v2
	global_store_b16 v[0:1], v4, off
.LBB424_374:
	s_mov_b32 s17, 0
.LBB424_375:
	s_delay_alu instid0(SALU_CYCLE_1)
	s_and_not1_b32 vcc_lo, exec_lo, s17
	s_cbranch_vccnz .LBB424_391
; %bb.376:
	v_cmp_gt_i16_e32 vcc_lo, 2, v3
	s_mov_b32 s17, -1
	s_cbranch_vccnz .LBB424_386
; %bb.377:
	v_cmp_gt_i16_e32 vcc_lo, 3, v3
	s_cbranch_vccnz .LBB424_383
; %bb.378:
	v_cmp_lt_i16_e32 vcc_lo, 3, v3
	s_cbranch_vccz .LBB424_380
; %bb.379:
	s_mov_b32 s17, 0
	s_delay_alu instid0(SALU_CYCLE_1)
	v_dual_mov_b32 v5, s17 :: v_dual_and_b32 v4, 0xffff, v2
	global_store_b64 v[0:1], v[4:5], off
.LBB424_380:
	s_and_not1_b32 vcc_lo, exec_lo, s17
	s_cbranch_vccnz .LBB424_382
; %bb.381:
	v_and_b32_e32 v4, 0xffff, v2
	global_store_b32 v[0:1], v4, off
.LBB424_382:
	s_mov_b32 s17, 0
.LBB424_383:
	s_delay_alu instid0(SALU_CYCLE_1)
	s_and_not1_b32 vcc_lo, exec_lo, s17
	s_cbranch_vccnz .LBB424_385
; %bb.384:
	global_store_b16 v[0:1], v2, off
.LBB424_385:
	s_mov_b32 s17, 0
.LBB424_386:
	s_delay_alu instid0(SALU_CYCLE_1)
	s_and_not1_b32 vcc_lo, exec_lo, s17
	s_cbranch_vccnz .LBB424_391
; %bb.387:
	v_cmp_lt_i16_e32 vcc_lo, 0, v3
	s_mov_b32 s17, -1
	s_cbranch_vccz .LBB424_389
; %bb.388:
	s_mov_b32 s17, 0
	global_store_b8 v[0:1], v2, off
.LBB424_389:
	s_and_not1_b32 vcc_lo, exec_lo, s17
	s_cbranch_vccnz .LBB424_391
; %bb.390:
	global_store_b8 v[0:1], v2, off
.LBB424_391:
	s_mov_b32 s17, -1
.LBB424_392:
	s_delay_alu instid0(SALU_CYCLE_1)
	s_and_not1_b32 vcc_lo, exec_lo, s17
	s_cbranch_vccnz .LBB424_394
; %bb.393:
	v_add_nc_u32_e32 v7, 0x80, v7
	s_mov_b32 s19, -1
	s_branch .LBB424_503
.LBB424_394:
	s_mov_b32 s19, 0
	s_branch .LBB424_502
.LBB424_395:
	s_mov_b32 s16, -1
                                        ; implicit-def: $vgpr2
.LBB424_396:
	s_mov_b32 s17, 0
.LBB424_397:
	s_delay_alu instid0(SALU_CYCLE_1)
	s_and_b32 vcc_lo, exec_lo, s17
	s_cbranch_vccz .LBB424_401
; %bb.398:
	v_cmp_eq_u16_e32 vcc_lo, 29, v4
	s_cbranch_vccz .LBB424_400
; %bb.399:
	global_load_b64 v[2:3], v[0:1], off
	s_mov_b32 s0, -1
	s_mov_b32 s16, 0
	s_branch .LBB424_401
.LBB424_400:
	s_mov_b32 s16, -1
                                        ; implicit-def: $vgpr2
.LBB424_401:
	s_mov_b32 s17, 0
.LBB424_402:
	s_delay_alu instid0(SALU_CYCLE_1)
	s_and_b32 vcc_lo, exec_lo, s17
	s_cbranch_vccz .LBB424_418
; %bb.403:
	v_cmp_gt_i16_e32 vcc_lo, 27, v4
	s_cbranch_vccnz .LBB424_406
; %bb.404:
	v_cmp_lt_i16_e32 vcc_lo, 27, v4
	s_cbranch_vccz .LBB424_407
; %bb.405:
	global_load_b32 v2, v[0:1], off
	s_mov_b32 s0, 0
	s_branch .LBB424_408
.LBB424_406:
	s_mov_b32 s0, -1
                                        ; implicit-def: $vgpr2
	s_branch .LBB424_411
.LBB424_407:
	s_mov_b32 s0, -1
                                        ; implicit-def: $vgpr2
.LBB424_408:
	s_delay_alu instid0(SALU_CYCLE_1)
	s_and_not1_b32 vcc_lo, exec_lo, s0
	s_cbranch_vccnz .LBB424_410
; %bb.409:
	global_load_u16 v2, v[0:1], off
.LBB424_410:
	s_mov_b32 s0, 0
.LBB424_411:
	s_delay_alu instid0(SALU_CYCLE_1)
	s_and_not1_b32 vcc_lo, exec_lo, s0
	s_cbranch_vccnz .LBB424_417
; %bb.412:
	global_load_u8 v3, v[0:1], off
	s_mov_b32 s17, 0
	s_mov_b32 s0, exec_lo
                                        ; implicit-def: $sgpr19
	s_waitcnt vmcnt(0)
	v_cmpx_lt_i16_e32 0x7f, v3
	s_xor_b32 s0, exec_lo, s0
	s_cbranch_execz .LBB424_429
; %bb.413:
	v_cmp_ne_u16_e32 vcc_lo, 0x80, v3
	s_mov_b32 s19, 0
	s_and_b32 s17, vcc_lo, exec_lo
	s_or_saveexec_b32 s0, s0
	v_mov_b32_e32 v2, s19
	s_xor_b32 exec_lo, exec_lo, s0
	s_cbranch_execnz .LBB424_430
.LBB424_414:
	s_or_b32 exec_lo, exec_lo, s0
	s_and_saveexec_b32 s0, s17
	s_cbranch_execz .LBB424_416
.LBB424_415:
	v_and_b32_e32 v2, 0xffff, v3
	s_delay_alu instid0(VALU_DEP_1) | instskip(NEXT) | instid1(VALU_DEP_1)
	v_and_b32_e32 v5, 7, v2
	v_clz_i32_u32_e32 v6, v5
	s_delay_alu instid0(VALU_DEP_1) | instskip(NEXT) | instid1(VALU_DEP_1)
	v_min_u32_e32 v6, 32, v6
	v_subrev_nc_u32_e32 v8, 28, v6
	v_sub_nc_u32_e32 v6, 29, v6
	s_delay_alu instid0(VALU_DEP_2) | instskip(SKIP_1) | instid1(VALU_DEP_2)
	v_lshlrev_b32_e32 v8, v8, v2
	v_bfe_u32 v2, v2, 3, 4
	v_and_b32_e32 v8, 7, v8
	s_delay_alu instid0(VALU_DEP_2) | instskip(SKIP_1) | instid1(VALU_DEP_3)
	v_cmp_eq_u32_e32 vcc_lo, 0, v2
	v_dual_cndmask_b32 v2, v2, v6 :: v_dual_lshlrev_b32 v3, 24, v3
	v_cndmask_b32_e32 v5, v5, v8, vcc_lo
	s_delay_alu instid0(VALU_DEP_2) | instskip(NEXT) | instid1(VALU_DEP_3)
	v_and_b32_e32 v3, 0x80000000, v3
	v_lshl_add_u32 v2, v2, 23, 0x3b800000
	s_delay_alu instid0(VALU_DEP_3) | instskip(NEXT) | instid1(VALU_DEP_1)
	v_lshlrev_b32_e32 v5, 20, v5
	v_or3_b32 v2, v3, v2, v5
	s_delay_alu instid0(VALU_DEP_1) | instskip(NEXT) | instid1(VALU_DEP_1)
	v_trunc_f32_e32 v2, v2
	v_mul_f32_e64 v3, 0x2f800000, |v2|
	s_delay_alu instid0(VALU_DEP_1) | instskip(NEXT) | instid1(VALU_DEP_1)
	v_floor_f32_e32 v3, v3
	v_fma_f32 v3, 0xcf800000, v3, |v2|
	v_ashrrev_i32_e32 v2, 31, v2
	s_delay_alu instid0(VALU_DEP_2) | instskip(NEXT) | instid1(VALU_DEP_1)
	v_cvt_u32_f32_e32 v3, v3
	v_xor_b32_e32 v3, v3, v2
	s_delay_alu instid0(VALU_DEP_1)
	v_sub_nc_u32_e32 v2, v3, v2
.LBB424_416:
	s_or_b32 exec_lo, exec_lo, s0
.LBB424_417:
	s_mov_b32 s0, -1
.LBB424_418:
	s_mov_b32 s17, 0
.LBB424_419:
	s_delay_alu instid0(SALU_CYCLE_1)
	s_and_b32 vcc_lo, exec_lo, s17
	s_cbranch_vccz .LBB424_452
; %bb.420:
	v_cmp_lt_i16_e32 vcc_lo, 22, v4
	s_cbranch_vccz .LBB424_428
; %bb.421:
	v_cmp_gt_i16_e32 vcc_lo, 24, v4
	s_cbranch_vccnz .LBB424_431
; %bb.422:
	v_cmp_lt_i16_e32 vcc_lo, 24, v4
	s_cbranch_vccz .LBB424_432
; %bb.423:
	global_load_u8 v3, v[0:1], off
	s_mov_b32 s17, 0
	s_mov_b32 s0, exec_lo
                                        ; implicit-def: $sgpr19
	s_waitcnt vmcnt(0)
	v_cmpx_lt_i16_e32 0x7f, v3
	s_xor_b32 s0, exec_lo, s0
	s_cbranch_execz .LBB424_444
; %bb.424:
	v_cmp_ne_u16_e32 vcc_lo, 0x80, v3
	s_mov_b32 s19, 0
	s_and_b32 s17, vcc_lo, exec_lo
	s_or_saveexec_b32 s0, s0
	v_mov_b32_e32 v2, s19
	s_xor_b32 exec_lo, exec_lo, s0
	s_cbranch_execnz .LBB424_445
.LBB424_425:
	s_or_b32 exec_lo, exec_lo, s0
	s_and_saveexec_b32 s0, s17
	s_cbranch_execz .LBB424_427
.LBB424_426:
	v_and_b32_e32 v2, 0xffff, v3
	s_delay_alu instid0(VALU_DEP_1) | instskip(NEXT) | instid1(VALU_DEP_1)
	v_and_b32_e32 v5, 3, v2
	v_clz_i32_u32_e32 v6, v5
	s_delay_alu instid0(VALU_DEP_1) | instskip(NEXT) | instid1(VALU_DEP_1)
	v_min_u32_e32 v6, 32, v6
	v_subrev_nc_u32_e32 v8, 29, v6
	v_sub_nc_u32_e32 v6, 30, v6
	s_delay_alu instid0(VALU_DEP_2) | instskip(SKIP_1) | instid1(VALU_DEP_2)
	v_lshlrev_b32_e32 v8, v8, v2
	v_bfe_u32 v2, v2, 2, 5
	v_and_b32_e32 v8, 3, v8
	s_delay_alu instid0(VALU_DEP_2) | instskip(SKIP_1) | instid1(VALU_DEP_3)
	v_cmp_eq_u32_e32 vcc_lo, 0, v2
	v_dual_cndmask_b32 v2, v2, v6 :: v_dual_lshlrev_b32 v3, 24, v3
	v_cndmask_b32_e32 v5, v5, v8, vcc_lo
	s_delay_alu instid0(VALU_DEP_2) | instskip(NEXT) | instid1(VALU_DEP_3)
	v_and_b32_e32 v3, 0x80000000, v3
	v_lshl_add_u32 v2, v2, 23, 0x37800000
	s_delay_alu instid0(VALU_DEP_3) | instskip(NEXT) | instid1(VALU_DEP_1)
	v_lshlrev_b32_e32 v5, 21, v5
	v_or3_b32 v2, v3, v2, v5
	s_delay_alu instid0(VALU_DEP_1) | instskip(NEXT) | instid1(VALU_DEP_1)
	v_trunc_f32_e32 v2, v2
	v_mul_f32_e64 v3, 0x2f800000, |v2|
	s_delay_alu instid0(VALU_DEP_1) | instskip(NEXT) | instid1(VALU_DEP_1)
	v_floor_f32_e32 v3, v3
	v_fma_f32 v3, 0xcf800000, v3, |v2|
	v_ashrrev_i32_e32 v2, 31, v2
	s_delay_alu instid0(VALU_DEP_2) | instskip(NEXT) | instid1(VALU_DEP_1)
	v_cvt_u32_f32_e32 v3, v3
	v_xor_b32_e32 v3, v3, v2
	s_delay_alu instid0(VALU_DEP_1)
	v_sub_nc_u32_e32 v2, v3, v2
.LBB424_427:
	s_or_b32 exec_lo, exec_lo, s0
	s_mov_b32 s0, 0
	s_branch .LBB424_433
.LBB424_428:
	s_mov_b32 s17, -1
                                        ; implicit-def: $vgpr2
	s_branch .LBB424_439
.LBB424_429:
	s_or_saveexec_b32 s0, s0
	v_mov_b32_e32 v2, s19
	s_xor_b32 exec_lo, exec_lo, s0
	s_cbranch_execz .LBB424_414
.LBB424_430:
	v_cmp_ne_u16_e32 vcc_lo, 0, v3
	v_mov_b32_e32 v2, 0
	s_and_not1_b32 s17, s17, exec_lo
	s_and_b32 s19, vcc_lo, exec_lo
	s_delay_alu instid0(SALU_CYCLE_1)
	s_or_b32 s17, s17, s19
	s_or_b32 exec_lo, exec_lo, s0
	s_and_saveexec_b32 s0, s17
	s_cbranch_execnz .LBB424_415
	s_branch .LBB424_416
.LBB424_431:
	s_mov_b32 s0, -1
                                        ; implicit-def: $vgpr2
	s_branch .LBB424_436
.LBB424_432:
	s_mov_b32 s0, -1
                                        ; implicit-def: $vgpr2
.LBB424_433:
	s_delay_alu instid0(SALU_CYCLE_1)
	s_and_b32 vcc_lo, exec_lo, s0
	s_cbranch_vccz .LBB424_435
; %bb.434:
	global_load_u8 v2, v[0:1], off
	s_waitcnt vmcnt(0)
	v_lshlrev_b32_e32 v2, 24, v2
	s_delay_alu instid0(VALU_DEP_1) | instskip(NEXT) | instid1(VALU_DEP_1)
	v_and_b32_e32 v3, 0x7f000000, v2
	v_clz_i32_u32_e32 v5, v3
	v_add_nc_u32_e32 v8, 0x1000000, v3
	v_cmp_ne_u32_e32 vcc_lo, 0, v3
	s_delay_alu instid0(VALU_DEP_3) | instskip(NEXT) | instid1(VALU_DEP_1)
	v_min_u32_e32 v5, 32, v5
	v_sub_nc_u32_e64 v5, v5, 4 clamp
	s_delay_alu instid0(VALU_DEP_1) | instskip(SKIP_1) | instid1(VALU_DEP_2)
	v_lshlrev_b32_e32 v6, v5, v3
	v_lshlrev_b32_e32 v5, 23, v5
	v_lshrrev_b32_e32 v6, 4, v6
	s_delay_alu instid0(VALU_DEP_1) | instskip(SKIP_1) | instid1(VALU_DEP_2)
	v_sub_nc_u32_e32 v5, v6, v5
	v_ashrrev_i32_e32 v6, 8, v8
	v_add_nc_u32_e32 v5, 0x3c000000, v5
	s_delay_alu instid0(VALU_DEP_1) | instskip(NEXT) | instid1(VALU_DEP_1)
	v_and_or_b32 v5, 0x7f800000, v6, v5
	v_cndmask_b32_e32 v3, 0, v5, vcc_lo
	s_delay_alu instid0(VALU_DEP_1) | instskip(NEXT) | instid1(VALU_DEP_1)
	v_and_or_b32 v2, 0x80000000, v2, v3
	v_trunc_f32_e32 v2, v2
	s_delay_alu instid0(VALU_DEP_1) | instskip(NEXT) | instid1(VALU_DEP_1)
	v_mul_f32_e64 v3, 0x2f800000, |v2|
	v_floor_f32_e32 v3, v3
	s_delay_alu instid0(VALU_DEP_1) | instskip(SKIP_1) | instid1(VALU_DEP_2)
	v_fma_f32 v3, 0xcf800000, v3, |v2|
	v_ashrrev_i32_e32 v2, 31, v2
	v_cvt_u32_f32_e32 v3, v3
	s_delay_alu instid0(VALU_DEP_1) | instskip(NEXT) | instid1(VALU_DEP_1)
	v_xor_b32_e32 v3, v3, v2
	v_sub_nc_u32_e32 v2, v3, v2
.LBB424_435:
	s_mov_b32 s0, 0
.LBB424_436:
	s_delay_alu instid0(SALU_CYCLE_1)
	s_and_not1_b32 vcc_lo, exec_lo, s0
	s_cbranch_vccnz .LBB424_438
; %bb.437:
	global_load_u8 v2, v[0:1], off
	s_waitcnt vmcnt(0)
	v_lshlrev_b32_e32 v3, 25, v2
	v_lshlrev_b16 v2, 8, v2
	s_delay_alu instid0(VALU_DEP_2) | instskip(NEXT) | instid1(VALU_DEP_2)
	v_lshrrev_b32_e32 v5, 4, v3
	v_and_or_b32 v6, 0x7f00, v2, 0.5
	v_cmp_gt_u32_e32 vcc_lo, 0x8000000, v3
	v_bfe_i32 v2, v2, 0, 16
	s_delay_alu instid0(VALU_DEP_4) | instskip(NEXT) | instid1(VALU_DEP_1)
	v_or_b32_e32 v5, 0x70000000, v5
	v_dual_add_f32 v6, -0.5, v6 :: v_dual_mul_f32 v5, 0x7800000, v5
	s_delay_alu instid0(VALU_DEP_1) | instskip(NEXT) | instid1(VALU_DEP_1)
	v_cndmask_b32_e32 v3, v5, v6, vcc_lo
	v_and_or_b32 v2, 0x80000000, v2, v3
	s_delay_alu instid0(VALU_DEP_1) | instskip(NEXT) | instid1(VALU_DEP_1)
	v_trunc_f32_e32 v2, v2
	v_mul_f32_e64 v3, 0x2f800000, |v2|
	s_delay_alu instid0(VALU_DEP_1) | instskip(NEXT) | instid1(VALU_DEP_1)
	v_floor_f32_e32 v3, v3
	v_fma_f32 v3, 0xcf800000, v3, |v2|
	v_ashrrev_i32_e32 v2, 31, v2
	s_delay_alu instid0(VALU_DEP_2) | instskip(NEXT) | instid1(VALU_DEP_1)
	v_cvt_u32_f32_e32 v3, v3
	v_xor_b32_e32 v3, v3, v2
	s_delay_alu instid0(VALU_DEP_1)
	v_sub_nc_u32_e32 v2, v3, v2
.LBB424_438:
	s_mov_b32 s17, 0
	s_mov_b32 s0, -1
.LBB424_439:
	s_and_not1_b32 vcc_lo, exec_lo, s17
	s_cbranch_vccnz .LBB424_452
; %bb.440:
	v_cmp_lt_i16_e32 vcc_lo, 14, v4
	s_cbranch_vccz .LBB424_443
; %bb.441:
	v_cmp_eq_u16_e32 vcc_lo, 15, v4
	s_cbranch_vccz .LBB424_446
; %bb.442:
	global_load_u16 v2, v[0:1], off
	s_mov_b32 s0, -1
	s_mov_b32 s16, 0
	s_waitcnt vmcnt(0)
	v_lshlrev_b32_e32 v2, 16, v2
	s_delay_alu instid0(VALU_DEP_1) | instskip(NEXT) | instid1(VALU_DEP_1)
	v_trunc_f32_e32 v2, v2
	v_mul_f32_e64 v3, 0x2f800000, |v2|
	s_delay_alu instid0(VALU_DEP_1) | instskip(NEXT) | instid1(VALU_DEP_1)
	v_floor_f32_e32 v3, v3
	v_fma_f32 v3, 0xcf800000, v3, |v2|
	v_ashrrev_i32_e32 v2, 31, v2
	s_delay_alu instid0(VALU_DEP_2) | instskip(NEXT) | instid1(VALU_DEP_1)
	v_cvt_u32_f32_e32 v3, v3
	v_xor_b32_e32 v3, v3, v2
	s_delay_alu instid0(VALU_DEP_1)
	v_sub_nc_u32_e32 v2, v3, v2
	s_branch .LBB424_447
.LBB424_443:
	s_mov_b32 s17, -1
                                        ; implicit-def: $vgpr2
	s_branch .LBB424_448
.LBB424_444:
	s_or_saveexec_b32 s0, s0
	v_mov_b32_e32 v2, s19
	s_xor_b32 exec_lo, exec_lo, s0
	s_cbranch_execz .LBB424_425
.LBB424_445:
	v_cmp_ne_u16_e32 vcc_lo, 0, v3
	v_mov_b32_e32 v2, 0
	s_and_not1_b32 s17, s17, exec_lo
	s_and_b32 s19, vcc_lo, exec_lo
	s_delay_alu instid0(SALU_CYCLE_1)
	s_or_b32 s17, s17, s19
	s_or_b32 exec_lo, exec_lo, s0
	s_and_saveexec_b32 s0, s17
	s_cbranch_execnz .LBB424_426
	s_branch .LBB424_427
.LBB424_446:
	s_mov_b32 s16, -1
                                        ; implicit-def: $vgpr2
.LBB424_447:
	s_mov_b32 s17, 0
.LBB424_448:
	s_delay_alu instid0(SALU_CYCLE_1)
	s_and_b32 vcc_lo, exec_lo, s17
	s_cbranch_vccz .LBB424_452
; %bb.449:
	v_cmp_eq_u16_e32 vcc_lo, 11, v4
	s_cbranch_vccz .LBB424_451
; %bb.450:
	global_load_u8 v2, v[0:1], off
	s_mov_b32 s16, 0
	s_mov_b32 s0, -1
	s_waitcnt vmcnt(0)
	v_cmp_ne_u16_e32 vcc_lo, 0, v2
	v_cndmask_b32_e64 v2, 0, 1, vcc_lo
	s_branch .LBB424_452
.LBB424_451:
	s_mov_b32 s16, -1
                                        ; implicit-def: $vgpr2
.LBB424_452:
	s_branch .LBB424_258
.LBB424_453:
	v_cmp_gt_i16_e32 vcc_lo, 5, v4
	s_cbranch_vccnz .LBB424_458
; %bb.454:
	v_cmp_gt_i16_e32 vcc_lo, 8, v4
	s_cbranch_vccnz .LBB424_459
; %bb.455:
	v_cmp_gt_i16_e32 vcc_lo, 9, v4
	s_cbranch_vccnz .LBB424_460
; %bb.456:
	v_cmp_lt_i16_e32 vcc_lo, 9, v4
	s_cbranch_vccz .LBB424_461
; %bb.457:
	global_load_b64 v[2:3], v[0:1], off
	s_mov_b32 s0, 0
	s_waitcnt vmcnt(0)
	v_trunc_f64_e32 v[2:3], v[2:3]
	s_delay_alu instid0(VALU_DEP_1) | instskip(NEXT) | instid1(VALU_DEP_1)
	v_ldexp_f64 v[5:6], v[2:3], 0xffffffe0
	v_floor_f64_e32 v[5:6], v[5:6]
	s_delay_alu instid0(VALU_DEP_1) | instskip(NEXT) | instid1(VALU_DEP_1)
	v_fma_f64 v[2:3], 0xc1f00000, v[5:6], v[2:3]
	v_cvt_u32_f64_e32 v2, v[2:3]
	s_branch .LBB424_462
.LBB424_458:
	s_mov_b32 s0, -1
                                        ; implicit-def: $vgpr2
	s_branch .LBB424_480
.LBB424_459:
	s_mov_b32 s0, -1
                                        ; implicit-def: $vgpr2
	s_branch .LBB424_468
.LBB424_460:
	s_mov_b32 s0, -1
                                        ; implicit-def: $vgpr2
	s_branch .LBB424_465
.LBB424_461:
	s_mov_b32 s0, -1
                                        ; implicit-def: $vgpr2
.LBB424_462:
	s_delay_alu instid0(SALU_CYCLE_1)
	s_and_not1_b32 vcc_lo, exec_lo, s0
	s_cbranch_vccnz .LBB424_464
; %bb.463:
	global_load_b32 v2, v[0:1], off
	s_waitcnt vmcnt(0)
	v_trunc_f32_e32 v2, v2
	s_delay_alu instid0(VALU_DEP_1) | instskip(NEXT) | instid1(VALU_DEP_1)
	v_mul_f32_e64 v3, 0x2f800000, |v2|
	v_floor_f32_e32 v3, v3
	s_delay_alu instid0(VALU_DEP_1) | instskip(SKIP_1) | instid1(VALU_DEP_2)
	v_fma_f32 v3, 0xcf800000, v3, |v2|
	v_ashrrev_i32_e32 v2, 31, v2
	v_cvt_u32_f32_e32 v3, v3
	s_delay_alu instid0(VALU_DEP_1) | instskip(NEXT) | instid1(VALU_DEP_1)
	v_xor_b32_e32 v3, v3, v2
	v_sub_nc_u32_e32 v2, v3, v2
.LBB424_464:
	s_mov_b32 s0, 0
.LBB424_465:
	s_delay_alu instid0(SALU_CYCLE_1)
	s_and_not1_b32 vcc_lo, exec_lo, s0
	s_cbranch_vccnz .LBB424_467
; %bb.466:
	global_load_b32 v2, v[0:1], off
	s_waitcnt vmcnt(0)
	v_cvt_f32_f16_e32 v2, v2
	s_delay_alu instid0(VALU_DEP_1)
	v_cvt_i32_f32_e32 v2, v2
.LBB424_467:
	s_mov_b32 s0, 0
.LBB424_468:
	s_delay_alu instid0(SALU_CYCLE_1)
	s_and_not1_b32 vcc_lo, exec_lo, s0
	s_cbranch_vccnz .LBB424_479
; %bb.469:
	v_cmp_gt_i16_e32 vcc_lo, 6, v4
	s_cbranch_vccnz .LBB424_472
; %bb.470:
	v_cmp_lt_i16_e32 vcc_lo, 6, v4
	s_cbranch_vccz .LBB424_473
; %bb.471:
	global_load_b64 v[2:3], v[0:1], off
	s_mov_b32 s0, 0
	s_waitcnt vmcnt(0)
	v_trunc_f64_e32 v[2:3], v[2:3]
	s_delay_alu instid0(VALU_DEP_1) | instskip(NEXT) | instid1(VALU_DEP_1)
	v_ldexp_f64 v[5:6], v[2:3], 0xffffffe0
	v_floor_f64_e32 v[5:6], v[5:6]
	s_delay_alu instid0(VALU_DEP_1) | instskip(NEXT) | instid1(VALU_DEP_1)
	v_fma_f64 v[2:3], 0xc1f00000, v[5:6], v[2:3]
	v_cvt_u32_f64_e32 v2, v[2:3]
	s_branch .LBB424_474
.LBB424_472:
	s_mov_b32 s0, -1
                                        ; implicit-def: $vgpr2
	s_branch .LBB424_477
.LBB424_473:
	s_mov_b32 s0, -1
                                        ; implicit-def: $vgpr2
.LBB424_474:
	s_delay_alu instid0(SALU_CYCLE_1)
	s_and_not1_b32 vcc_lo, exec_lo, s0
	s_cbranch_vccnz .LBB424_476
; %bb.475:
	global_load_b32 v2, v[0:1], off
	s_waitcnt vmcnt(0)
	v_trunc_f32_e32 v2, v2
	s_delay_alu instid0(VALU_DEP_1) | instskip(NEXT) | instid1(VALU_DEP_1)
	v_mul_f32_e64 v3, 0x2f800000, |v2|
	v_floor_f32_e32 v3, v3
	s_delay_alu instid0(VALU_DEP_1) | instskip(SKIP_1) | instid1(VALU_DEP_2)
	v_fma_f32 v3, 0xcf800000, v3, |v2|
	v_ashrrev_i32_e32 v2, 31, v2
	v_cvt_u32_f32_e32 v3, v3
	s_delay_alu instid0(VALU_DEP_1) | instskip(NEXT) | instid1(VALU_DEP_1)
	v_xor_b32_e32 v3, v3, v2
	v_sub_nc_u32_e32 v2, v3, v2
.LBB424_476:
	s_mov_b32 s0, 0
.LBB424_477:
	s_delay_alu instid0(SALU_CYCLE_1)
	s_and_not1_b32 vcc_lo, exec_lo, s0
	s_cbranch_vccnz .LBB424_479
; %bb.478:
	global_load_u16 v2, v[0:1], off
	s_waitcnt vmcnt(0)
	v_cvt_f32_f16_e32 v2, v2
	s_delay_alu instid0(VALU_DEP_1)
	v_cvt_i32_f32_e32 v2, v2
.LBB424_479:
	s_mov_b32 s0, 0
.LBB424_480:
	s_delay_alu instid0(SALU_CYCLE_1)
	s_and_not1_b32 vcc_lo, exec_lo, s0
	s_cbranch_vccnz .LBB424_500
; %bb.481:
	v_cmp_gt_i16_e32 vcc_lo, 2, v4
	s_cbranch_vccnz .LBB424_485
; %bb.482:
	v_cmp_gt_i16_e32 vcc_lo, 3, v4
	s_cbranch_vccnz .LBB424_486
; %bb.483:
	v_cmp_lt_i16_e32 vcc_lo, 3, v4
	s_cbranch_vccz .LBB424_487
; %bb.484:
	global_load_b64 v[2:3], v[0:1], off
	s_mov_b32 s0, 0
	s_branch .LBB424_488
.LBB424_485:
	s_mov_b32 s0, -1
                                        ; implicit-def: $vgpr2
	s_branch .LBB424_494
.LBB424_486:
	s_mov_b32 s0, -1
                                        ; implicit-def: $vgpr2
	s_branch .LBB424_491
.LBB424_487:
	s_mov_b32 s0, -1
                                        ; implicit-def: $vgpr2
.LBB424_488:
	s_delay_alu instid0(SALU_CYCLE_1)
	s_and_not1_b32 vcc_lo, exec_lo, s0
	s_cbranch_vccnz .LBB424_490
; %bb.489:
	global_load_b32 v2, v[0:1], off
.LBB424_490:
	s_mov_b32 s0, 0
.LBB424_491:
	s_delay_alu instid0(SALU_CYCLE_1)
	s_and_not1_b32 vcc_lo, exec_lo, s0
	s_cbranch_vccnz .LBB424_493
; %bb.492:
	global_load_u16 v2, v[0:1], off
.LBB424_493:
	s_mov_b32 s0, 0
.LBB424_494:
	s_delay_alu instid0(SALU_CYCLE_1)
	s_and_not1_b32 vcc_lo, exec_lo, s0
	s_cbranch_vccnz .LBB424_500
; %bb.495:
	v_cmp_lt_i16_e32 vcc_lo, 0, v4
	s_mov_b32 s0, 0
	s_cbranch_vccz .LBB424_497
; %bb.496:
	global_load_u8 v2, v[0:1], off
	s_branch .LBB424_498
.LBB424_497:
	s_mov_b32 s0, -1
                                        ; implicit-def: $vgpr2
.LBB424_498:
	s_delay_alu instid0(SALU_CYCLE_1)
	s_and_not1_b32 vcc_lo, exec_lo, s0
	s_cbranch_vccnz .LBB424_500
; %bb.499:
	global_load_u8 v2, v[0:1], off
.LBB424_500:
	s_branch .LBB424_259
.LBB424_501:
	s_mov_b32 s19, 0
	s_mov_b32 s0, s12
.LBB424_502:
                                        ; implicit-def: $vgpr7
.LBB424_503:
	s_and_not1_b32 s17, s12, exec_lo
	s_and_b32 s0, s0, exec_lo
	s_and_not1_b32 s20, s14, exec_lo
	s_and_b32 s16, s16, exec_lo
	s_or_b32 s17, s17, s0
	s_or_b32 s16, s20, s16
	s_or_not1_b32 s20, s19, exec_lo
.LBB424_504:
	s_or_b32 exec_lo, exec_lo, s18
	s_mov_b32 s19, 0
	s_mov_b32 s21, 0
	;; [unrolled: 1-line block ×3, first 2 shown]
                                        ; implicit-def: $vgpr4
                                        ; implicit-def: $vgpr0_vgpr1
                                        ; implicit-def: $vgpr2
	s_and_saveexec_b32 s18, s20
	s_cbranch_execz .LBB424_843
; %bb.505:
	s_mov_b32 s0, -1
	s_mov_b32 s20, s16
	s_mov_b32 s21, s17
	s_mov_b32 s19, exec_lo
	v_cmpx_gt_i32_e64 s13, v7
	s_cbranch_execz .LBB424_761
; %bb.506:
	v_mul_lo_u32 v0, v7, s3
	v_and_b32_e64 v4, 0xff, s10
	s_delay_alu instid0(VALU_DEP_1) | instskip(NEXT) | instid1(VALU_DEP_3)
	v_cmp_gt_i16_e32 vcc_lo, 11, v4
	v_ashrrev_i32_e32 v1, 31, v0
	v_add_co_u32 v0, s0, s6, v0
	s_delay_alu instid0(VALU_DEP_1)
	v_add_co_ci_u32_e64 v1, s0, s7, v1, s0
	s_cbranch_vccnz .LBB424_513
; %bb.507:
	v_cmp_lt_i16_e32 vcc_lo, 25, v4
	s_cbranch_vccz .LBB424_514
; %bb.508:
	v_cmp_lt_i16_e32 vcc_lo, 28, v4
	s_cbranch_vccz .LBB424_515
	;; [unrolled: 3-line block ×4, first 2 shown]
; %bb.511:
	v_cmp_eq_u16_e32 vcc_lo, 46, v4
	s_mov_b32 s21, 0
	s_cbranch_vccz .LBB424_522
; %bb.512:
	global_load_b32 v2, v[0:1], off
	s_mov_b32 s0, -1
	s_mov_b32 s20, 0
	s_waitcnt vmcnt(0)
	v_lshlrev_b32_e32 v2, 16, v2
	s_delay_alu instid0(VALU_DEP_1) | instskip(NEXT) | instid1(VALU_DEP_1)
	v_trunc_f32_e32 v2, v2
	v_mul_f32_e64 v3, 0x2f800000, |v2|
	s_delay_alu instid0(VALU_DEP_1) | instskip(NEXT) | instid1(VALU_DEP_1)
	v_floor_f32_e32 v3, v3
	v_fma_f32 v3, 0xcf800000, v3, |v2|
	v_ashrrev_i32_e32 v2, 31, v2
	s_delay_alu instid0(VALU_DEP_2) | instskip(NEXT) | instid1(VALU_DEP_1)
	v_cvt_u32_f32_e32 v3, v3
	v_xor_b32_e32 v3, v3, v2
	s_delay_alu instid0(VALU_DEP_1)
	v_sub_nc_u32_e32 v2, v3, v2
	s_branch .LBB424_524
.LBB424_513:
	s_mov_b32 s21, -1
	s_mov_b32 s0, 0
	s_mov_b32 s20, s16
                                        ; implicit-def: $vgpr2
	s_branch .LBB424_585
.LBB424_514:
	s_mov_b32 s21, -1
	s_mov_b32 s0, 0
	s_mov_b32 s20, s16
                                        ; implicit-def: $vgpr2
	s_branch .LBB424_551
.LBB424_515:
	s_mov_b32 s21, -1
	s_mov_b32 s0, 0
	s_mov_b32 s20, s16
                                        ; implicit-def: $vgpr2
	s_branch .LBB424_534
.LBB424_516:
	s_mov_b32 s21, -1
	s_mov_b32 s0, 0
	s_mov_b32 s20, s16
                                        ; implicit-def: $vgpr2
	s_branch .LBB424_529
.LBB424_517:
	s_or_saveexec_b32 s20, s20
                                        ; implicit-def: $sgpr21
	s_delay_alu instid0(SALU_CYCLE_1)
	s_xor_b32 exec_lo, exec_lo, s20
	s_cbranch_execz .LBB424_305
.LBB424_518:
	v_add_f32_e32 v4, 0x46000000, v5
	s_and_not1_b32 s19, s19, exec_lo
	s_mov_b32 s21, 0
	s_delay_alu instid0(VALU_DEP_1) | instskip(NEXT) | instid1(VALU_DEP_1)
	v_and_b32_e32 v4, 0xff, v4
	v_cmp_ne_u32_e32 vcc_lo, 0, v4
	s_and_b32 s22, vcc_lo, exec_lo
	s_delay_alu instid0(SALU_CYCLE_1)
	s_or_b32 s19, s19, s22
	s_or_b32 exec_lo, exec_lo, s20
	v_mov_b32_e32 v6, s21
	s_and_saveexec_b32 s20, s19
	s_cbranch_execnz .LBB424_306
	s_branch .LBB424_307
.LBB424_519:
	s_mov_b32 s21, -1
	s_mov_b32 s0, 0
	s_mov_b32 s20, s16
	s_branch .LBB424_523
.LBB424_520:
	s_or_saveexec_b32 s20, s20
                                        ; implicit-def: $sgpr21
	s_delay_alu instid0(SALU_CYCLE_1)
	s_xor_b32 exec_lo, exec_lo, s20
	s_cbranch_execz .LBB424_318
.LBB424_521:
	v_add_f32_e32 v4, 0x42800000, v5
	s_and_not1_b32 s19, s19, exec_lo
	s_mov_b32 s21, 0
	s_delay_alu instid0(VALU_DEP_1) | instskip(NEXT) | instid1(VALU_DEP_1)
	v_and_b32_e32 v4, 0xff, v4
	v_cmp_ne_u32_e32 vcc_lo, 0, v4
	s_and_b32 s22, vcc_lo, exec_lo
	s_delay_alu instid0(SALU_CYCLE_1)
	s_or_b32 s19, s19, s22
	s_or_b32 exec_lo, exec_lo, s20
	v_mov_b32_e32 v6, s21
	s_and_saveexec_b32 s20, s19
	s_cbranch_execnz .LBB424_319
	s_branch .LBB424_320
.LBB424_522:
	s_mov_b32 s20, -1
	s_mov_b32 s0, 0
.LBB424_523:
                                        ; implicit-def: $vgpr2
.LBB424_524:
	s_and_b32 vcc_lo, exec_lo, s21
	s_cbranch_vccz .LBB424_528
; %bb.525:
	v_cmp_eq_u16_e32 vcc_lo, 44, v4
	s_cbranch_vccz .LBB424_527
; %bb.526:
	global_load_u8 v2, v[0:1], off
	s_mov_b32 s20, 0
	s_mov_b32 s0, -1
	s_waitcnt vmcnt(0)
	v_lshlrev_b32_e32 v3, 23, v2
	v_cmp_ne_u32_e32 vcc_lo, 0, v2
	s_delay_alu instid0(VALU_DEP_2) | instskip(NEXT) | instid1(VALU_DEP_1)
	v_trunc_f32_e32 v3, v3
	v_mul_f32_e64 v5, 0x2f800000, |v3|
	s_delay_alu instid0(VALU_DEP_1) | instskip(NEXT) | instid1(VALU_DEP_1)
	v_floor_f32_e32 v5, v5
	v_fma_f32 v5, 0xcf800000, v5, |v3|
	v_ashrrev_i32_e32 v3, 31, v3
	s_delay_alu instid0(VALU_DEP_2) | instskip(NEXT) | instid1(VALU_DEP_1)
	v_cvt_u32_f32_e32 v5, v5
	v_xor_b32_e32 v5, v5, v3
	s_delay_alu instid0(VALU_DEP_1) | instskip(NEXT) | instid1(VALU_DEP_1)
	v_sub_nc_u32_e32 v3, v5, v3
	v_cndmask_b32_e32 v2, 0, v3, vcc_lo
	s_branch .LBB424_528
.LBB424_527:
	s_mov_b32 s20, -1
                                        ; implicit-def: $vgpr2
.LBB424_528:
	s_mov_b32 s21, 0
.LBB424_529:
	s_delay_alu instid0(SALU_CYCLE_1)
	s_and_b32 vcc_lo, exec_lo, s21
	s_cbranch_vccz .LBB424_533
; %bb.530:
	v_cmp_eq_u16_e32 vcc_lo, 29, v4
	s_cbranch_vccz .LBB424_532
; %bb.531:
	global_load_b64 v[2:3], v[0:1], off
	s_mov_b32 s0, -1
	s_mov_b32 s20, 0
	s_branch .LBB424_533
.LBB424_532:
	s_mov_b32 s20, -1
                                        ; implicit-def: $vgpr2
.LBB424_533:
	s_mov_b32 s21, 0
.LBB424_534:
	s_delay_alu instid0(SALU_CYCLE_1)
	s_and_b32 vcc_lo, exec_lo, s21
	s_cbranch_vccz .LBB424_550
; %bb.535:
	v_cmp_gt_i16_e32 vcc_lo, 27, v4
	s_cbranch_vccnz .LBB424_538
; %bb.536:
	v_cmp_lt_i16_e32 vcc_lo, 27, v4
	s_cbranch_vccz .LBB424_539
; %bb.537:
	global_load_b32 v2, v[0:1], off
	s_mov_b32 s0, 0
	s_branch .LBB424_540
.LBB424_538:
	s_mov_b32 s0, -1
                                        ; implicit-def: $vgpr2
	s_branch .LBB424_543
.LBB424_539:
	s_mov_b32 s0, -1
                                        ; implicit-def: $vgpr2
.LBB424_540:
	s_delay_alu instid0(SALU_CYCLE_1)
	s_and_not1_b32 vcc_lo, exec_lo, s0
	s_cbranch_vccnz .LBB424_542
; %bb.541:
	global_load_u16 v2, v[0:1], off
.LBB424_542:
	s_mov_b32 s0, 0
.LBB424_543:
	s_delay_alu instid0(SALU_CYCLE_1)
	s_and_not1_b32 vcc_lo, exec_lo, s0
	s_cbranch_vccnz .LBB424_549
; %bb.544:
	global_load_u8 v3, v[0:1], off
	s_mov_b32 s21, 0
	s_mov_b32 s0, exec_lo
                                        ; implicit-def: $sgpr22
	s_waitcnt vmcnt(0)
	v_cmpx_lt_i16_e32 0x7f, v3
	s_xor_b32 s0, exec_lo, s0
	s_cbranch_execz .LBB424_561
; %bb.545:
	v_cmp_ne_u16_e32 vcc_lo, 0x80, v3
	s_mov_b32 s22, 0
	s_and_b32 s21, vcc_lo, exec_lo
	s_or_saveexec_b32 s0, s0
	v_mov_b32_e32 v2, s22
	s_xor_b32 exec_lo, exec_lo, s0
	s_cbranch_execnz .LBB424_562
.LBB424_546:
	s_or_b32 exec_lo, exec_lo, s0
	s_and_saveexec_b32 s0, s21
	s_cbranch_execz .LBB424_548
.LBB424_547:
	v_and_b32_e32 v2, 0xffff, v3
	s_delay_alu instid0(VALU_DEP_1) | instskip(NEXT) | instid1(VALU_DEP_1)
	v_and_b32_e32 v5, 7, v2
	v_clz_i32_u32_e32 v6, v5
	s_delay_alu instid0(VALU_DEP_1) | instskip(NEXT) | instid1(VALU_DEP_1)
	v_min_u32_e32 v6, 32, v6
	v_subrev_nc_u32_e32 v8, 28, v6
	v_sub_nc_u32_e32 v6, 29, v6
	s_delay_alu instid0(VALU_DEP_2) | instskip(SKIP_1) | instid1(VALU_DEP_2)
	v_lshlrev_b32_e32 v8, v8, v2
	v_bfe_u32 v2, v2, 3, 4
	v_and_b32_e32 v8, 7, v8
	s_delay_alu instid0(VALU_DEP_2) | instskip(SKIP_1) | instid1(VALU_DEP_3)
	v_cmp_eq_u32_e32 vcc_lo, 0, v2
	v_dual_cndmask_b32 v2, v2, v6 :: v_dual_lshlrev_b32 v3, 24, v3
	v_cndmask_b32_e32 v5, v5, v8, vcc_lo
	s_delay_alu instid0(VALU_DEP_2) | instskip(NEXT) | instid1(VALU_DEP_3)
	v_and_b32_e32 v3, 0x80000000, v3
	v_lshl_add_u32 v2, v2, 23, 0x3b800000
	s_delay_alu instid0(VALU_DEP_3) | instskip(NEXT) | instid1(VALU_DEP_1)
	v_lshlrev_b32_e32 v5, 20, v5
	v_or3_b32 v2, v3, v2, v5
	s_delay_alu instid0(VALU_DEP_1) | instskip(NEXT) | instid1(VALU_DEP_1)
	v_trunc_f32_e32 v2, v2
	v_mul_f32_e64 v3, 0x2f800000, |v2|
	s_delay_alu instid0(VALU_DEP_1) | instskip(NEXT) | instid1(VALU_DEP_1)
	v_floor_f32_e32 v3, v3
	v_fma_f32 v3, 0xcf800000, v3, |v2|
	v_ashrrev_i32_e32 v2, 31, v2
	s_delay_alu instid0(VALU_DEP_2) | instskip(NEXT) | instid1(VALU_DEP_1)
	v_cvt_u32_f32_e32 v3, v3
	v_xor_b32_e32 v3, v3, v2
	s_delay_alu instid0(VALU_DEP_1)
	v_sub_nc_u32_e32 v2, v3, v2
.LBB424_548:
	s_or_b32 exec_lo, exec_lo, s0
.LBB424_549:
	s_mov_b32 s0, -1
.LBB424_550:
	s_mov_b32 s21, 0
.LBB424_551:
	s_delay_alu instid0(SALU_CYCLE_1)
	s_and_b32 vcc_lo, exec_lo, s21
	s_cbranch_vccz .LBB424_584
; %bb.552:
	v_cmp_lt_i16_e32 vcc_lo, 22, v4
	s_cbranch_vccz .LBB424_560
; %bb.553:
	v_cmp_gt_i16_e32 vcc_lo, 24, v4
	s_cbranch_vccnz .LBB424_563
; %bb.554:
	v_cmp_lt_i16_e32 vcc_lo, 24, v4
	s_cbranch_vccz .LBB424_564
; %bb.555:
	global_load_u8 v3, v[0:1], off
	s_mov_b32 s21, 0
	s_mov_b32 s0, exec_lo
                                        ; implicit-def: $sgpr22
	s_waitcnt vmcnt(0)
	v_cmpx_lt_i16_e32 0x7f, v3
	s_xor_b32 s0, exec_lo, s0
	s_cbranch_execz .LBB424_576
; %bb.556:
	v_cmp_ne_u16_e32 vcc_lo, 0x80, v3
	s_mov_b32 s22, 0
	s_and_b32 s21, vcc_lo, exec_lo
	s_or_saveexec_b32 s0, s0
	v_mov_b32_e32 v2, s22
	s_xor_b32 exec_lo, exec_lo, s0
	s_cbranch_execnz .LBB424_577
.LBB424_557:
	s_or_b32 exec_lo, exec_lo, s0
	s_and_saveexec_b32 s0, s21
	s_cbranch_execz .LBB424_559
.LBB424_558:
	v_and_b32_e32 v2, 0xffff, v3
	s_delay_alu instid0(VALU_DEP_1) | instskip(NEXT) | instid1(VALU_DEP_1)
	v_and_b32_e32 v5, 3, v2
	v_clz_i32_u32_e32 v6, v5
	s_delay_alu instid0(VALU_DEP_1) | instskip(NEXT) | instid1(VALU_DEP_1)
	v_min_u32_e32 v6, 32, v6
	v_subrev_nc_u32_e32 v8, 29, v6
	v_sub_nc_u32_e32 v6, 30, v6
	s_delay_alu instid0(VALU_DEP_2) | instskip(SKIP_1) | instid1(VALU_DEP_2)
	v_lshlrev_b32_e32 v8, v8, v2
	v_bfe_u32 v2, v2, 2, 5
	v_and_b32_e32 v8, 3, v8
	s_delay_alu instid0(VALU_DEP_2) | instskip(SKIP_1) | instid1(VALU_DEP_3)
	v_cmp_eq_u32_e32 vcc_lo, 0, v2
	v_dual_cndmask_b32 v2, v2, v6 :: v_dual_lshlrev_b32 v3, 24, v3
	v_cndmask_b32_e32 v5, v5, v8, vcc_lo
	s_delay_alu instid0(VALU_DEP_2) | instskip(NEXT) | instid1(VALU_DEP_3)
	v_and_b32_e32 v3, 0x80000000, v3
	v_lshl_add_u32 v2, v2, 23, 0x37800000
	s_delay_alu instid0(VALU_DEP_3) | instskip(NEXT) | instid1(VALU_DEP_1)
	v_lshlrev_b32_e32 v5, 21, v5
	v_or3_b32 v2, v3, v2, v5
	s_delay_alu instid0(VALU_DEP_1) | instskip(NEXT) | instid1(VALU_DEP_1)
	v_trunc_f32_e32 v2, v2
	v_mul_f32_e64 v3, 0x2f800000, |v2|
	s_delay_alu instid0(VALU_DEP_1) | instskip(NEXT) | instid1(VALU_DEP_1)
	v_floor_f32_e32 v3, v3
	v_fma_f32 v3, 0xcf800000, v3, |v2|
	v_ashrrev_i32_e32 v2, 31, v2
	s_delay_alu instid0(VALU_DEP_2) | instskip(NEXT) | instid1(VALU_DEP_1)
	v_cvt_u32_f32_e32 v3, v3
	v_xor_b32_e32 v3, v3, v2
	s_delay_alu instid0(VALU_DEP_1)
	v_sub_nc_u32_e32 v2, v3, v2
.LBB424_559:
	s_or_b32 exec_lo, exec_lo, s0
	s_mov_b32 s0, 0
	s_branch .LBB424_565
.LBB424_560:
	s_mov_b32 s21, -1
                                        ; implicit-def: $vgpr2
	s_branch .LBB424_571
.LBB424_561:
	s_or_saveexec_b32 s0, s0
	v_mov_b32_e32 v2, s22
	s_xor_b32 exec_lo, exec_lo, s0
	s_cbranch_execz .LBB424_546
.LBB424_562:
	v_cmp_ne_u16_e32 vcc_lo, 0, v3
	v_mov_b32_e32 v2, 0
	s_and_not1_b32 s21, s21, exec_lo
	s_and_b32 s22, vcc_lo, exec_lo
	s_delay_alu instid0(SALU_CYCLE_1)
	s_or_b32 s21, s21, s22
	s_or_b32 exec_lo, exec_lo, s0
	s_and_saveexec_b32 s0, s21
	s_cbranch_execnz .LBB424_547
	s_branch .LBB424_548
.LBB424_563:
	s_mov_b32 s0, -1
                                        ; implicit-def: $vgpr2
	s_branch .LBB424_568
.LBB424_564:
	s_mov_b32 s0, -1
                                        ; implicit-def: $vgpr2
.LBB424_565:
	s_delay_alu instid0(SALU_CYCLE_1)
	s_and_b32 vcc_lo, exec_lo, s0
	s_cbranch_vccz .LBB424_567
; %bb.566:
	global_load_u8 v2, v[0:1], off
	s_waitcnt vmcnt(0)
	v_lshlrev_b32_e32 v2, 24, v2
	s_delay_alu instid0(VALU_DEP_1) | instskip(NEXT) | instid1(VALU_DEP_1)
	v_and_b32_e32 v3, 0x7f000000, v2
	v_clz_i32_u32_e32 v5, v3
	v_add_nc_u32_e32 v8, 0x1000000, v3
	v_cmp_ne_u32_e32 vcc_lo, 0, v3
	s_delay_alu instid0(VALU_DEP_3) | instskip(NEXT) | instid1(VALU_DEP_1)
	v_min_u32_e32 v5, 32, v5
	v_sub_nc_u32_e64 v5, v5, 4 clamp
	s_delay_alu instid0(VALU_DEP_1) | instskip(SKIP_1) | instid1(VALU_DEP_2)
	v_lshlrev_b32_e32 v6, v5, v3
	v_lshlrev_b32_e32 v5, 23, v5
	v_lshrrev_b32_e32 v6, 4, v6
	s_delay_alu instid0(VALU_DEP_1) | instskip(SKIP_1) | instid1(VALU_DEP_2)
	v_sub_nc_u32_e32 v5, v6, v5
	v_ashrrev_i32_e32 v6, 8, v8
	v_add_nc_u32_e32 v5, 0x3c000000, v5
	s_delay_alu instid0(VALU_DEP_1) | instskip(NEXT) | instid1(VALU_DEP_1)
	v_and_or_b32 v5, 0x7f800000, v6, v5
	v_cndmask_b32_e32 v3, 0, v5, vcc_lo
	s_delay_alu instid0(VALU_DEP_1) | instskip(NEXT) | instid1(VALU_DEP_1)
	v_and_or_b32 v2, 0x80000000, v2, v3
	v_trunc_f32_e32 v2, v2
	s_delay_alu instid0(VALU_DEP_1) | instskip(NEXT) | instid1(VALU_DEP_1)
	v_mul_f32_e64 v3, 0x2f800000, |v2|
	v_floor_f32_e32 v3, v3
	s_delay_alu instid0(VALU_DEP_1) | instskip(SKIP_1) | instid1(VALU_DEP_2)
	v_fma_f32 v3, 0xcf800000, v3, |v2|
	v_ashrrev_i32_e32 v2, 31, v2
	v_cvt_u32_f32_e32 v3, v3
	s_delay_alu instid0(VALU_DEP_1) | instskip(NEXT) | instid1(VALU_DEP_1)
	v_xor_b32_e32 v3, v3, v2
	v_sub_nc_u32_e32 v2, v3, v2
.LBB424_567:
	s_mov_b32 s0, 0
.LBB424_568:
	s_delay_alu instid0(SALU_CYCLE_1)
	s_and_not1_b32 vcc_lo, exec_lo, s0
	s_cbranch_vccnz .LBB424_570
; %bb.569:
	global_load_u8 v2, v[0:1], off
	s_waitcnt vmcnt(0)
	v_lshlrev_b32_e32 v3, 25, v2
	v_lshlrev_b16 v2, 8, v2
	s_delay_alu instid0(VALU_DEP_2) | instskip(NEXT) | instid1(VALU_DEP_2)
	v_lshrrev_b32_e32 v5, 4, v3
	v_and_or_b32 v6, 0x7f00, v2, 0.5
	v_cmp_gt_u32_e32 vcc_lo, 0x8000000, v3
	v_bfe_i32 v2, v2, 0, 16
	s_delay_alu instid0(VALU_DEP_4) | instskip(NEXT) | instid1(VALU_DEP_1)
	v_or_b32_e32 v5, 0x70000000, v5
	v_dual_add_f32 v6, -0.5, v6 :: v_dual_mul_f32 v5, 0x7800000, v5
	s_delay_alu instid0(VALU_DEP_1) | instskip(NEXT) | instid1(VALU_DEP_1)
	v_cndmask_b32_e32 v3, v5, v6, vcc_lo
	v_and_or_b32 v2, 0x80000000, v2, v3
	s_delay_alu instid0(VALU_DEP_1) | instskip(NEXT) | instid1(VALU_DEP_1)
	v_trunc_f32_e32 v2, v2
	v_mul_f32_e64 v3, 0x2f800000, |v2|
	s_delay_alu instid0(VALU_DEP_1) | instskip(NEXT) | instid1(VALU_DEP_1)
	v_floor_f32_e32 v3, v3
	v_fma_f32 v3, 0xcf800000, v3, |v2|
	v_ashrrev_i32_e32 v2, 31, v2
	s_delay_alu instid0(VALU_DEP_2) | instskip(NEXT) | instid1(VALU_DEP_1)
	v_cvt_u32_f32_e32 v3, v3
	v_xor_b32_e32 v3, v3, v2
	s_delay_alu instid0(VALU_DEP_1)
	v_sub_nc_u32_e32 v2, v3, v2
.LBB424_570:
	s_mov_b32 s21, 0
	s_mov_b32 s0, -1
.LBB424_571:
	s_and_not1_b32 vcc_lo, exec_lo, s21
	s_cbranch_vccnz .LBB424_584
; %bb.572:
	v_cmp_lt_i16_e32 vcc_lo, 14, v4
	s_cbranch_vccz .LBB424_575
; %bb.573:
	v_cmp_eq_u16_e32 vcc_lo, 15, v4
	s_cbranch_vccz .LBB424_578
; %bb.574:
	global_load_u16 v2, v[0:1], off
	s_mov_b32 s0, -1
	s_mov_b32 s20, 0
	s_waitcnt vmcnt(0)
	v_lshlrev_b32_e32 v2, 16, v2
	s_delay_alu instid0(VALU_DEP_1) | instskip(NEXT) | instid1(VALU_DEP_1)
	v_trunc_f32_e32 v2, v2
	v_mul_f32_e64 v3, 0x2f800000, |v2|
	s_delay_alu instid0(VALU_DEP_1) | instskip(NEXT) | instid1(VALU_DEP_1)
	v_floor_f32_e32 v3, v3
	v_fma_f32 v3, 0xcf800000, v3, |v2|
	v_ashrrev_i32_e32 v2, 31, v2
	s_delay_alu instid0(VALU_DEP_2) | instskip(NEXT) | instid1(VALU_DEP_1)
	v_cvt_u32_f32_e32 v3, v3
	v_xor_b32_e32 v3, v3, v2
	s_delay_alu instid0(VALU_DEP_1)
	v_sub_nc_u32_e32 v2, v3, v2
	s_branch .LBB424_579
.LBB424_575:
	s_mov_b32 s21, -1
                                        ; implicit-def: $vgpr2
	s_branch .LBB424_580
.LBB424_576:
	s_or_saveexec_b32 s0, s0
	v_mov_b32_e32 v2, s22
	s_xor_b32 exec_lo, exec_lo, s0
	s_cbranch_execz .LBB424_557
.LBB424_577:
	v_cmp_ne_u16_e32 vcc_lo, 0, v3
	v_mov_b32_e32 v2, 0
	s_and_not1_b32 s21, s21, exec_lo
	s_and_b32 s22, vcc_lo, exec_lo
	s_delay_alu instid0(SALU_CYCLE_1)
	s_or_b32 s21, s21, s22
	s_or_b32 exec_lo, exec_lo, s0
	s_and_saveexec_b32 s0, s21
	s_cbranch_execnz .LBB424_558
	s_branch .LBB424_559
.LBB424_578:
	s_mov_b32 s20, -1
                                        ; implicit-def: $vgpr2
.LBB424_579:
	s_mov_b32 s21, 0
.LBB424_580:
	s_delay_alu instid0(SALU_CYCLE_1)
	s_and_b32 vcc_lo, exec_lo, s21
	s_cbranch_vccz .LBB424_584
; %bb.581:
	v_cmp_eq_u16_e32 vcc_lo, 11, v4
	s_cbranch_vccz .LBB424_583
; %bb.582:
	global_load_u8 v2, v[0:1], off
	s_mov_b32 s20, 0
	s_mov_b32 s0, -1
	s_waitcnt vmcnt(0)
	v_cmp_ne_u16_e32 vcc_lo, 0, v2
	v_cndmask_b32_e64 v2, 0, 1, vcc_lo
	s_branch .LBB424_584
.LBB424_583:
	s_mov_b32 s20, -1
                                        ; implicit-def: $vgpr2
.LBB424_584:
	s_mov_b32 s21, 0
.LBB424_585:
	s_delay_alu instid0(SALU_CYCLE_1)
	s_and_b32 vcc_lo, exec_lo, s21
	s_cbranch_vccz .LBB424_634
; %bb.586:
	v_cmp_gt_i16_e32 vcc_lo, 5, v4
	s_cbranch_vccnz .LBB424_591
; %bb.587:
	v_cmp_gt_i16_e32 vcc_lo, 8, v4
	s_cbranch_vccnz .LBB424_592
	;; [unrolled: 3-line block ×3, first 2 shown]
; %bb.589:
	v_cmp_lt_i16_e32 vcc_lo, 9, v4
	s_cbranch_vccz .LBB424_594
; %bb.590:
	global_load_b64 v[2:3], v[0:1], off
	s_mov_b32 s0, 0
	s_waitcnt vmcnt(0)
	v_trunc_f64_e32 v[2:3], v[2:3]
	s_delay_alu instid0(VALU_DEP_1) | instskip(NEXT) | instid1(VALU_DEP_1)
	v_ldexp_f64 v[5:6], v[2:3], 0xffffffe0
	v_floor_f64_e32 v[5:6], v[5:6]
	s_delay_alu instid0(VALU_DEP_1) | instskip(NEXT) | instid1(VALU_DEP_1)
	v_fma_f64 v[2:3], 0xc1f00000, v[5:6], v[2:3]
	v_cvt_u32_f64_e32 v2, v[2:3]
	s_branch .LBB424_595
.LBB424_591:
	s_mov_b32 s0, -1
                                        ; implicit-def: $vgpr2
	s_branch .LBB424_613
.LBB424_592:
	s_mov_b32 s0, -1
                                        ; implicit-def: $vgpr2
	s_branch .LBB424_601
.LBB424_593:
	s_mov_b32 s0, -1
                                        ; implicit-def: $vgpr2
	s_branch .LBB424_598
.LBB424_594:
	s_mov_b32 s0, -1
                                        ; implicit-def: $vgpr2
.LBB424_595:
	s_delay_alu instid0(SALU_CYCLE_1)
	s_and_not1_b32 vcc_lo, exec_lo, s0
	s_cbranch_vccnz .LBB424_597
; %bb.596:
	global_load_b32 v2, v[0:1], off
	s_waitcnt vmcnt(0)
	v_trunc_f32_e32 v2, v2
	s_delay_alu instid0(VALU_DEP_1) | instskip(NEXT) | instid1(VALU_DEP_1)
	v_mul_f32_e64 v3, 0x2f800000, |v2|
	v_floor_f32_e32 v3, v3
	s_delay_alu instid0(VALU_DEP_1) | instskip(SKIP_1) | instid1(VALU_DEP_2)
	v_fma_f32 v3, 0xcf800000, v3, |v2|
	v_ashrrev_i32_e32 v2, 31, v2
	v_cvt_u32_f32_e32 v3, v3
	s_delay_alu instid0(VALU_DEP_1) | instskip(NEXT) | instid1(VALU_DEP_1)
	v_xor_b32_e32 v3, v3, v2
	v_sub_nc_u32_e32 v2, v3, v2
.LBB424_597:
	s_mov_b32 s0, 0
.LBB424_598:
	s_delay_alu instid0(SALU_CYCLE_1)
	s_and_not1_b32 vcc_lo, exec_lo, s0
	s_cbranch_vccnz .LBB424_600
; %bb.599:
	global_load_b32 v2, v[0:1], off
	s_waitcnt vmcnt(0)
	v_cvt_f32_f16_e32 v2, v2
	s_delay_alu instid0(VALU_DEP_1)
	v_cvt_i32_f32_e32 v2, v2
.LBB424_600:
	s_mov_b32 s0, 0
.LBB424_601:
	s_delay_alu instid0(SALU_CYCLE_1)
	s_and_not1_b32 vcc_lo, exec_lo, s0
	s_cbranch_vccnz .LBB424_612
; %bb.602:
	v_cmp_gt_i16_e32 vcc_lo, 6, v4
	s_cbranch_vccnz .LBB424_605
; %bb.603:
	v_cmp_lt_i16_e32 vcc_lo, 6, v4
	s_cbranch_vccz .LBB424_606
; %bb.604:
	global_load_b64 v[2:3], v[0:1], off
	s_mov_b32 s0, 0
	s_waitcnt vmcnt(0)
	v_trunc_f64_e32 v[2:3], v[2:3]
	s_delay_alu instid0(VALU_DEP_1) | instskip(NEXT) | instid1(VALU_DEP_1)
	v_ldexp_f64 v[5:6], v[2:3], 0xffffffe0
	v_floor_f64_e32 v[5:6], v[5:6]
	s_delay_alu instid0(VALU_DEP_1) | instskip(NEXT) | instid1(VALU_DEP_1)
	v_fma_f64 v[2:3], 0xc1f00000, v[5:6], v[2:3]
	v_cvt_u32_f64_e32 v2, v[2:3]
	s_branch .LBB424_607
.LBB424_605:
	s_mov_b32 s0, -1
                                        ; implicit-def: $vgpr2
	s_branch .LBB424_610
.LBB424_606:
	s_mov_b32 s0, -1
                                        ; implicit-def: $vgpr2
.LBB424_607:
	s_delay_alu instid0(SALU_CYCLE_1)
	s_and_not1_b32 vcc_lo, exec_lo, s0
	s_cbranch_vccnz .LBB424_609
; %bb.608:
	global_load_b32 v2, v[0:1], off
	s_waitcnt vmcnt(0)
	v_trunc_f32_e32 v2, v2
	s_delay_alu instid0(VALU_DEP_1) | instskip(NEXT) | instid1(VALU_DEP_1)
	v_mul_f32_e64 v3, 0x2f800000, |v2|
	v_floor_f32_e32 v3, v3
	s_delay_alu instid0(VALU_DEP_1) | instskip(SKIP_1) | instid1(VALU_DEP_2)
	v_fma_f32 v3, 0xcf800000, v3, |v2|
	v_ashrrev_i32_e32 v2, 31, v2
	v_cvt_u32_f32_e32 v3, v3
	s_delay_alu instid0(VALU_DEP_1) | instskip(NEXT) | instid1(VALU_DEP_1)
	v_xor_b32_e32 v3, v3, v2
	v_sub_nc_u32_e32 v2, v3, v2
.LBB424_609:
	s_mov_b32 s0, 0
.LBB424_610:
	s_delay_alu instid0(SALU_CYCLE_1)
	s_and_not1_b32 vcc_lo, exec_lo, s0
	s_cbranch_vccnz .LBB424_612
; %bb.611:
	global_load_u16 v2, v[0:1], off
	s_waitcnt vmcnt(0)
	v_cvt_f32_f16_e32 v2, v2
	s_delay_alu instid0(VALU_DEP_1)
	v_cvt_i32_f32_e32 v2, v2
.LBB424_612:
	s_mov_b32 s0, 0
.LBB424_613:
	s_delay_alu instid0(SALU_CYCLE_1)
	s_and_not1_b32 vcc_lo, exec_lo, s0
	s_cbranch_vccnz .LBB424_633
; %bb.614:
	v_cmp_gt_i16_e32 vcc_lo, 2, v4
	s_cbranch_vccnz .LBB424_618
; %bb.615:
	v_cmp_gt_i16_e32 vcc_lo, 3, v4
	s_cbranch_vccnz .LBB424_619
; %bb.616:
	v_cmp_lt_i16_e32 vcc_lo, 3, v4
	s_cbranch_vccz .LBB424_620
; %bb.617:
	global_load_b64 v[2:3], v[0:1], off
	s_mov_b32 s0, 0
	s_branch .LBB424_621
.LBB424_618:
	s_mov_b32 s0, -1
                                        ; implicit-def: $vgpr2
	s_branch .LBB424_627
.LBB424_619:
	s_mov_b32 s0, -1
                                        ; implicit-def: $vgpr2
	s_branch .LBB424_624
.LBB424_620:
	s_mov_b32 s0, -1
                                        ; implicit-def: $vgpr2
.LBB424_621:
	s_delay_alu instid0(SALU_CYCLE_1)
	s_and_not1_b32 vcc_lo, exec_lo, s0
	s_cbranch_vccnz .LBB424_623
; %bb.622:
	global_load_b32 v2, v[0:1], off
.LBB424_623:
	s_mov_b32 s0, 0
.LBB424_624:
	s_delay_alu instid0(SALU_CYCLE_1)
	s_and_not1_b32 vcc_lo, exec_lo, s0
	s_cbranch_vccnz .LBB424_626
; %bb.625:
	global_load_u16 v2, v[0:1], off
.LBB424_626:
	s_mov_b32 s0, 0
.LBB424_627:
	s_delay_alu instid0(SALU_CYCLE_1)
	s_and_not1_b32 vcc_lo, exec_lo, s0
	s_cbranch_vccnz .LBB424_633
; %bb.628:
	v_cmp_lt_i16_e32 vcc_lo, 0, v4
	s_mov_b32 s0, 0
	s_cbranch_vccz .LBB424_630
; %bb.629:
	global_load_u8 v2, v[0:1], off
	s_branch .LBB424_631
.LBB424_630:
	s_mov_b32 s0, -1
                                        ; implicit-def: $vgpr2
.LBB424_631:
	s_delay_alu instid0(SALU_CYCLE_1)
	s_and_not1_b32 vcc_lo, exec_lo, s0
	s_cbranch_vccnz .LBB424_633
; %bb.632:
	global_load_u8 v2, v[0:1], off
.LBB424_633:
	s_mov_b32 s0, -1
.LBB424_634:
	s_delay_alu instid0(SALU_CYCLE_1)
	s_and_not1_b32 vcc_lo, exec_lo, s0
	s_cbranch_vccnz .LBB424_642
; %bb.635:
	v_mul_lo_u32 v0, v7, s2
	v_and_b32_e64 v1, 0xff, s8
	s_waitcnt vmcnt(0)
	s_delay_alu instid0(VALU_DEP_3) | instskip(SKIP_1) | instid1(VALU_DEP_2)
	v_and_b32_e32 v2, 0xff, v2
	v_and_b32_e64 v3, 0xff, s1
	v_min_u16 v2, v2, v1
	v_ashrrev_i32_e32 v1, 31, v0
	s_delay_alu instid0(VALU_DEP_3) | instskip(SKIP_1) | instid1(VALU_DEP_1)
	v_cmp_gt_i16_e32 vcc_lo, 11, v3
	v_add_co_u32 v0, s0, s4, v0
	v_add_co_ci_u32_e64 v1, s0, s5, v1, s0
	s_cbranch_vccnz .LBB424_643
; %bb.636:
	v_cmp_lt_i16_e32 vcc_lo, 25, v3
	s_cbranch_vccz .LBB424_644
; %bb.637:
	v_cmp_lt_i16_e32 vcc_lo, 28, v3
	s_cbranch_vccz .LBB424_645
	;; [unrolled: 3-line block ×4, first 2 shown]
; %bb.640:
	v_cmp_eq_u16_e32 vcc_lo, 46, v3
	s_mov_b32 s22, 0
	s_mov_b32 s0, -1
	s_mov_b32 s21, 0
	s_cbranch_vccz .LBB424_648
; %bb.641:
	v_cvt_f32_ubyte0_e32 v4, v2
	s_mov_b32 s21, -1
	s_mov_b32 s0, 0
	s_delay_alu instid0(VALU_DEP_1) | instskip(NEXT) | instid1(VALU_DEP_1)
	v_bfe_u32 v5, v4, 16, 1
	v_add3_u32 v4, v4, v5, 0x7fff
	s_delay_alu instid0(VALU_DEP_1)
	v_lshrrev_b32_e32 v4, 16, v4
	global_store_b32 v[0:1], v4, off
	s_branch .LBB424_648
.LBB424_642:
	s_mov_b32 s22, 0
	s_mov_b32 s0, s17
	s_branch .LBB424_759
.LBB424_643:
	s_mov_b32 s22, -1
	s_mov_b32 s21, 0
	s_mov_b32 s0, s17
	s_branch .LBB424_717
.LBB424_644:
	s_mov_b32 s22, -1
	s_mov_b32 s21, 0
	s_mov_b32 s0, s17
	s_branch .LBB424_675
.LBB424_645:
	s_mov_b32 s22, -1
	s_mov_b32 s21, 0
	s_mov_b32 s0, s17
	s_branch .LBB424_658
.LBB424_646:
	s_mov_b32 s22, -1
	s_mov_b32 s21, 0
	s_mov_b32 s0, s17
	s_branch .LBB424_654
.LBB424_647:
	s_mov_b32 s22, -1
	s_mov_b32 s21, 0
	s_mov_b32 s0, s17
.LBB424_648:
	s_and_b32 vcc_lo, exec_lo, s22
	s_cbranch_vccz .LBB424_653
; %bb.649:
	v_cmp_eq_u16_e32 vcc_lo, 44, v3
	s_mov_b32 s0, -1
	s_cbranch_vccz .LBB424_653
; %bb.650:
	v_cvt_f32_ubyte0_e32 v6, v2
	v_mov_b32_e32 v5, 0xff
	s_mov_b32 s21, exec_lo
	s_delay_alu instid0(VALU_DEP_2) | instskip(NEXT) | instid1(VALU_DEP_1)
	v_lshrrev_b32_e32 v4, 23, v6
	v_cmpx_ne_u32_e32 0xff, v4
; %bb.651:
	v_and_b32_e32 v5, 0x400000, v6
	v_and_or_b32 v6, 0x3fffff, v6, v4
	s_delay_alu instid0(VALU_DEP_2) | instskip(NEXT) | instid1(VALU_DEP_2)
	v_cmp_ne_u32_e32 vcc_lo, 0, v5
	v_cmp_ne_u32_e64 s0, 0, v6
	s_delay_alu instid0(VALU_DEP_1) | instskip(NEXT) | instid1(SALU_CYCLE_1)
	s_and_b32 s0, vcc_lo, s0
	v_cndmask_b32_e64 v5, 0, 1, s0
	s_delay_alu instid0(VALU_DEP_1)
	v_add_nc_u32_e32 v5, v4, v5
; %bb.652:
	s_or_b32 exec_lo, exec_lo, s21
	s_mov_b32 s21, -1
	s_mov_b32 s0, 0
	global_store_b8 v[0:1], v5, off
.LBB424_653:
	s_mov_b32 s22, 0
.LBB424_654:
	s_delay_alu instid0(SALU_CYCLE_1)
	s_and_b32 vcc_lo, exec_lo, s22
	s_cbranch_vccz .LBB424_657
; %bb.655:
	v_cmp_eq_u16_e32 vcc_lo, 29, v3
	s_mov_b32 s0, -1
	s_cbranch_vccz .LBB424_657
; %bb.656:
	s_mov_b32 s0, 0
	s_delay_alu instid0(SALU_CYCLE_1)
	v_dual_mov_b32 v5, s0 :: v_dual_and_b32 v4, 0xffff, v2
	s_mov_b32 s21, -1
	s_mov_b32 s22, 0
	global_store_b64 v[0:1], v[4:5], off
	s_branch .LBB424_658
.LBB424_657:
	s_mov_b32 s22, 0
.LBB424_658:
	s_delay_alu instid0(SALU_CYCLE_1)
	s_and_b32 vcc_lo, exec_lo, s22
	s_cbranch_vccz .LBB424_674
; %bb.659:
	v_cmp_gt_i16_e32 vcc_lo, 27, v3
	s_mov_b32 s21, -1
	s_cbranch_vccnz .LBB424_665
; %bb.660:
	v_cmp_lt_i16_e32 vcc_lo, 27, v3
	s_cbranch_vccz .LBB424_662
; %bb.661:
	v_and_b32_e32 v4, 0xffff, v2
	s_mov_b32 s21, 0
	global_store_b32 v[0:1], v4, off
.LBB424_662:
	s_and_not1_b32 vcc_lo, exec_lo, s21
	s_cbranch_vccnz .LBB424_664
; %bb.663:
	global_store_b16 v[0:1], v2, off
.LBB424_664:
	s_mov_b32 s21, 0
.LBB424_665:
	s_delay_alu instid0(SALU_CYCLE_1)
	s_and_not1_b32 vcc_lo, exec_lo, s21
	s_cbranch_vccnz .LBB424_673
; %bb.666:
	v_cvt_f32_ubyte0_e32 v5, v2
	v_mov_b32_e32 v6, 0x80
	s_mov_b32 s21, exec_lo
	s_delay_alu instid0(VALU_DEP_2)
	v_cmpx_gt_u32_e32 0x43800000, v5
	s_cbranch_execz .LBB424_672
; %bb.667:
	s_mov_b32 s22, 0
	s_mov_b32 s23, exec_lo
                                        ; implicit-def: $vgpr4
	v_cmpx_lt_u32_e32 0x3bffffff, v5
	s_xor_b32 s23, exec_lo, s23
	s_cbranch_execz .LBB424_774
; %bb.668:
	v_bfe_u32 v4, v5, 20, 1
	s_mov_b32 s22, exec_lo
	s_delay_alu instid0(VALU_DEP_1) | instskip(NEXT) | instid1(VALU_DEP_1)
	v_add3_u32 v4, v5, v4, 0x487ffff
                                        ; implicit-def: $vgpr5
	v_lshrrev_b32_e32 v4, 20, v4
	s_or_saveexec_b32 s23, s23
                                        ; implicit-def: $sgpr24
	s_delay_alu instid0(SALU_CYCLE_1)
	s_xor_b32 exec_lo, exec_lo, s23
	s_cbranch_execnz .LBB424_775
.LBB424_669:
	s_or_b32 exec_lo, exec_lo, s23
	v_mov_b32_e32 v6, s24
	s_and_saveexec_b32 s23, s22
.LBB424_670:
	v_mov_b32_e32 v6, v4
.LBB424_671:
	s_or_b32 exec_lo, exec_lo, s23
.LBB424_672:
	s_delay_alu instid0(SALU_CYCLE_1)
	s_or_b32 exec_lo, exec_lo, s21
	global_store_b8 v[0:1], v6, off
.LBB424_673:
	s_mov_b32 s21, -1
.LBB424_674:
	s_mov_b32 s22, 0
.LBB424_675:
	s_delay_alu instid0(SALU_CYCLE_1)
	s_and_b32 vcc_lo, exec_lo, s22
	s_cbranch_vccz .LBB424_716
; %bb.676:
	v_cmp_lt_i16_e32 vcc_lo, 22, v3
	s_mov_b32 s22, -1
	s_cbranch_vccz .LBB424_708
; %bb.677:
	v_cmp_gt_i16_e32 vcc_lo, 24, v3
	s_mov_b32 s21, -1
	s_cbranch_vccnz .LBB424_697
; %bb.678:
	v_cmp_lt_i16_e32 vcc_lo, 24, v3
	s_cbranch_vccz .LBB424_686
; %bb.679:
	v_cvt_f32_ubyte0_e32 v5, v2
	v_mov_b32_e32 v6, 0x80
	s_mov_b32 s21, exec_lo
	s_delay_alu instid0(VALU_DEP_2)
	v_cmpx_gt_u32_e32 0x47800000, v5
	s_cbranch_execz .LBB424_685
; %bb.680:
	s_mov_b32 s22, 0
	s_mov_b32 s23, exec_lo
                                        ; implicit-def: $vgpr4
	v_cmpx_lt_u32_e32 0x37ffffff, v5
	s_xor_b32 s23, exec_lo, s23
	s_cbranch_execz .LBB424_777
; %bb.681:
	v_bfe_u32 v4, v5, 21, 1
	s_mov_b32 s22, exec_lo
	s_delay_alu instid0(VALU_DEP_1) | instskip(NEXT) | instid1(VALU_DEP_1)
	v_add3_u32 v4, v5, v4, 0x88fffff
                                        ; implicit-def: $vgpr5
	v_lshrrev_b32_e32 v4, 21, v4
	s_or_saveexec_b32 s23, s23
                                        ; implicit-def: $sgpr24
	s_delay_alu instid0(SALU_CYCLE_1)
	s_xor_b32 exec_lo, exec_lo, s23
	s_cbranch_execnz .LBB424_778
.LBB424_682:
	s_or_b32 exec_lo, exec_lo, s23
	v_mov_b32_e32 v6, s24
	s_and_saveexec_b32 s23, s22
.LBB424_683:
	v_mov_b32_e32 v6, v4
.LBB424_684:
	s_or_b32 exec_lo, exec_lo, s23
.LBB424_685:
	s_delay_alu instid0(SALU_CYCLE_1)
	s_or_b32 exec_lo, exec_lo, s21
	s_mov_b32 s21, 0
	global_store_b8 v[0:1], v6, off
.LBB424_686:
	s_and_b32 vcc_lo, exec_lo, s21
	s_cbranch_vccz .LBB424_696
; %bb.687:
	v_cvt_f32_ubyte0_e32 v5, v2
	s_mov_b32 s21, exec_lo
                                        ; implicit-def: $vgpr4
	s_delay_alu instid0(VALU_DEP_1)
	v_cmpx_gt_u32_e32 0x43f00000, v5
	s_xor_b32 s21, exec_lo, s21
	s_cbranch_execz .LBB424_693
; %bb.688:
	s_mov_b32 s22, exec_lo
                                        ; implicit-def: $vgpr4
	v_cmpx_lt_u32_e32 0x3c7fffff, v5
	s_xor_b32 s22, exec_lo, s22
; %bb.689:
	v_bfe_u32 v4, v5, 20, 1
	s_delay_alu instid0(VALU_DEP_1) | instskip(NEXT) | instid1(VALU_DEP_1)
	v_add3_u32 v4, v5, v4, 0x407ffff
	v_and_b32_e32 v5, 0xff00000, v4
	v_lshrrev_b32_e32 v4, 20, v4
	s_delay_alu instid0(VALU_DEP_2) | instskip(NEXT) | instid1(VALU_DEP_2)
	v_cmp_ne_u32_e32 vcc_lo, 0x7f00000, v5
                                        ; implicit-def: $vgpr5
	v_cndmask_b32_e32 v4, 0x7e, v4, vcc_lo
; %bb.690:
	s_and_not1_saveexec_b32 s22, s22
; %bb.691:
	v_add_f32_e32 v4, 0x46800000, v5
; %bb.692:
	s_or_b32 exec_lo, exec_lo, s22
                                        ; implicit-def: $vgpr5
.LBB424_693:
	s_and_not1_saveexec_b32 s21, s21
; %bb.694:
	v_mov_b32_e32 v4, 0x7f
	v_cmp_lt_u32_e32 vcc_lo, 0x7f800000, v5
	s_delay_alu instid0(VALU_DEP_2)
	v_cndmask_b32_e32 v4, 0x7e, v4, vcc_lo
; %bb.695:
	s_or_b32 exec_lo, exec_lo, s21
	global_store_b8 v[0:1], v4, off
.LBB424_696:
	s_mov_b32 s21, 0
.LBB424_697:
	s_delay_alu instid0(SALU_CYCLE_1)
	s_and_not1_b32 vcc_lo, exec_lo, s21
	s_cbranch_vccnz .LBB424_707
; %bb.698:
	v_cvt_f32_ubyte0_e32 v5, v2
	s_mov_b32 s21, exec_lo
                                        ; implicit-def: $vgpr4
	s_delay_alu instid0(VALU_DEP_1)
	v_cmpx_gt_u32_e32 0x47800000, v5
	s_xor_b32 s21, exec_lo, s21
	s_cbranch_execz .LBB424_704
; %bb.699:
	s_mov_b32 s22, exec_lo
                                        ; implicit-def: $vgpr4
	v_cmpx_lt_u32_e32 0x387fffff, v5
	s_xor_b32 s22, exec_lo, s22
; %bb.700:
	v_bfe_u32 v4, v5, 21, 1
	s_delay_alu instid0(VALU_DEP_1) | instskip(NEXT) | instid1(VALU_DEP_1)
	v_add3_u32 v4, v5, v4, 0x80fffff
                                        ; implicit-def: $vgpr5
	v_lshrrev_b32_e32 v4, 21, v4
; %bb.701:
	s_and_not1_saveexec_b32 s22, s22
; %bb.702:
	v_add_f32_e32 v4, 0x43000000, v5
; %bb.703:
	s_or_b32 exec_lo, exec_lo, s22
                                        ; implicit-def: $vgpr5
.LBB424_704:
	s_and_not1_saveexec_b32 s21, s21
; %bb.705:
	v_mov_b32_e32 v4, 0x7f
	v_cmp_lt_u32_e32 vcc_lo, 0x7f800000, v5
	s_delay_alu instid0(VALU_DEP_2)
	v_cndmask_b32_e32 v4, 0x7c, v4, vcc_lo
; %bb.706:
	s_or_b32 exec_lo, exec_lo, s21
	global_store_b8 v[0:1], v4, off
.LBB424_707:
	s_mov_b32 s22, 0
	s_mov_b32 s21, -1
.LBB424_708:
	s_and_not1_b32 vcc_lo, exec_lo, s22
	s_cbranch_vccnz .LBB424_716
; %bb.709:
	v_cmp_lt_i16_e32 vcc_lo, 14, v3
	s_mov_b32 s22, -1
	s_cbranch_vccz .LBB424_713
; %bb.710:
	v_cmp_eq_u16_e32 vcc_lo, 15, v3
	s_mov_b32 s0, -1
	s_cbranch_vccz .LBB424_712
; %bb.711:
	v_cvt_f32_ubyte0_e32 v4, v2
	s_mov_b32 s21, -1
	s_mov_b32 s0, 0
	s_delay_alu instid0(VALU_DEP_1) | instskip(NEXT) | instid1(VALU_DEP_1)
	v_bfe_u32 v5, v4, 16, 1
	v_add3_u32 v4, v4, v5, 0x7fff
	global_store_d16_hi_b16 v[0:1], v4, off
.LBB424_712:
	s_mov_b32 s22, 0
.LBB424_713:
	s_delay_alu instid0(SALU_CYCLE_1)
	s_and_b32 vcc_lo, exec_lo, s22
	s_cbranch_vccz .LBB424_716
; %bb.714:
	v_cmp_eq_u16_e32 vcc_lo, 11, v3
	s_mov_b32 s0, -1
	s_cbranch_vccz .LBB424_716
; %bb.715:
	v_cmp_ne_u16_e32 vcc_lo, 0, v2
	s_mov_b32 s0, 0
	s_mov_b32 s21, -1
	v_cndmask_b32_e64 v4, 0, 1, vcc_lo
	global_store_b8 v[0:1], v4, off
.LBB424_716:
	s_mov_b32 s22, 0
.LBB424_717:
	s_delay_alu instid0(SALU_CYCLE_1)
	s_and_b32 vcc_lo, exec_lo, s22
	s_cbranch_vccz .LBB424_756
; %bb.718:
	v_cmp_gt_i16_e32 vcc_lo, 5, v3
	s_mov_b32 s21, -1
	s_cbranch_vccnz .LBB424_739
; %bb.719:
	v_cmp_gt_i16_e32 vcc_lo, 8, v3
	s_cbranch_vccnz .LBB424_729
; %bb.720:
	v_cmp_gt_i16_e32 vcc_lo, 9, v3
	s_cbranch_vccnz .LBB424_726
; %bb.721:
	v_cmp_lt_i16_e32 vcc_lo, 9, v3
	s_cbranch_vccz .LBB424_723
; %bb.722:
	v_mov_b32_e32 v10, 0
	v_and_b32_e32 v4, 0xffff, v2
	s_mov_b32 s21, 0
	s_delay_alu instid0(VALU_DEP_2) | instskip(NEXT) | instid1(VALU_DEP_2)
	v_mov_b32_e32 v11, v10
	v_cvt_f64_u32_e32 v[8:9], v4
	global_store_b128 v[0:1], v[8:11], off
.LBB424_723:
	s_and_not1_b32 vcc_lo, exec_lo, s21
	s_cbranch_vccnz .LBB424_725
; %bb.724:
	v_cvt_f32_ubyte0_e32 v4, v2
	v_mov_b32_e32 v5, 0
	global_store_b64 v[0:1], v[4:5], off
.LBB424_725:
	s_mov_b32 s21, 0
.LBB424_726:
	s_delay_alu instid0(SALU_CYCLE_1)
	s_and_not1_b32 vcc_lo, exec_lo, s21
	s_cbranch_vccnz .LBB424_728
; %bb.727:
	v_cvt_f16_u16_e32 v4, v2
	s_delay_alu instid0(VALU_DEP_1)
	v_and_b32_e32 v4, 0xffff, v4
	global_store_b32 v[0:1], v4, off
.LBB424_728:
	s_mov_b32 s21, 0
.LBB424_729:
	s_delay_alu instid0(SALU_CYCLE_1)
	s_and_not1_b32 vcc_lo, exec_lo, s21
	s_cbranch_vccnz .LBB424_738
; %bb.730:
	v_cmp_gt_i16_e32 vcc_lo, 6, v3
	s_mov_b32 s21, -1
	s_cbranch_vccnz .LBB424_736
; %bb.731:
	v_cmp_lt_i16_e32 vcc_lo, 6, v3
	s_cbranch_vccz .LBB424_733
; %bb.732:
	v_and_b32_e32 v4, 0xffff, v2
	s_mov_b32 s21, 0
	s_delay_alu instid0(VALU_DEP_1)
	v_cvt_f64_u32_e32 v[4:5], v4
	global_store_b64 v[0:1], v[4:5], off
.LBB424_733:
	s_and_not1_b32 vcc_lo, exec_lo, s21
	s_cbranch_vccnz .LBB424_735
; %bb.734:
	v_cvt_f32_ubyte0_e32 v4, v2
	global_store_b32 v[0:1], v4, off
.LBB424_735:
	s_mov_b32 s21, 0
.LBB424_736:
	s_delay_alu instid0(SALU_CYCLE_1)
	s_and_not1_b32 vcc_lo, exec_lo, s21
	s_cbranch_vccnz .LBB424_738
; %bb.737:
	v_cvt_f16_u16_e32 v4, v2
	global_store_b16 v[0:1], v4, off
.LBB424_738:
	s_mov_b32 s21, 0
.LBB424_739:
	s_delay_alu instid0(SALU_CYCLE_1)
	s_and_not1_b32 vcc_lo, exec_lo, s21
	s_cbranch_vccnz .LBB424_755
; %bb.740:
	v_cmp_gt_i16_e32 vcc_lo, 2, v3
	s_mov_b32 s21, -1
	s_cbranch_vccnz .LBB424_750
; %bb.741:
	v_cmp_gt_i16_e32 vcc_lo, 3, v3
	s_cbranch_vccnz .LBB424_747
; %bb.742:
	v_cmp_lt_i16_e32 vcc_lo, 3, v3
	s_cbranch_vccz .LBB424_744
; %bb.743:
	s_mov_b32 s21, 0
	s_delay_alu instid0(SALU_CYCLE_1)
	v_dual_mov_b32 v5, s21 :: v_dual_and_b32 v4, 0xffff, v2
	global_store_b64 v[0:1], v[4:5], off
.LBB424_744:
	s_and_not1_b32 vcc_lo, exec_lo, s21
	s_cbranch_vccnz .LBB424_746
; %bb.745:
	v_and_b32_e32 v4, 0xffff, v2
	global_store_b32 v[0:1], v4, off
.LBB424_746:
	s_mov_b32 s21, 0
.LBB424_747:
	s_delay_alu instid0(SALU_CYCLE_1)
	s_and_not1_b32 vcc_lo, exec_lo, s21
	s_cbranch_vccnz .LBB424_749
; %bb.748:
	global_store_b16 v[0:1], v2, off
.LBB424_749:
	s_mov_b32 s21, 0
.LBB424_750:
	s_delay_alu instid0(SALU_CYCLE_1)
	s_and_not1_b32 vcc_lo, exec_lo, s21
	s_cbranch_vccnz .LBB424_755
; %bb.751:
	v_cmp_lt_i16_e32 vcc_lo, 0, v3
	s_mov_b32 s21, -1
	s_cbranch_vccz .LBB424_753
; %bb.752:
	s_mov_b32 s21, 0
	global_store_b8 v[0:1], v2, off
.LBB424_753:
	s_and_not1_b32 vcc_lo, exec_lo, s21
	s_cbranch_vccnz .LBB424_755
; %bb.754:
	global_store_b8 v[0:1], v2, off
.LBB424_755:
	s_mov_b32 s21, -1
.LBB424_756:
	s_delay_alu instid0(SALU_CYCLE_1)
	s_and_not1_b32 vcc_lo, exec_lo, s21
	s_cbranch_vccnz .LBB424_758
; %bb.757:
	v_add_nc_u32_e32 v7, 0x80, v7
	s_mov_b32 s22, -1
	s_branch .LBB424_760
.LBB424_758:
	s_mov_b32 s22, 0
.LBB424_759:
                                        ; implicit-def: $vgpr7
.LBB424_760:
	s_and_not1_b32 s21, s17, exec_lo
	s_and_b32 s0, s0, exec_lo
	s_and_not1_b32 s23, s16, exec_lo
	s_and_b32 s20, s20, exec_lo
	s_or_b32 s21, s21, s0
	s_or_b32 s20, s23, s20
	s_or_not1_b32 s0, s22, exec_lo
.LBB424_761:
	s_or_b32 exec_lo, exec_lo, s19
	s_mov_b32 s22, 0
	s_mov_b32 s23, 0
	;; [unrolled: 1-line block ×3, first 2 shown]
                                        ; implicit-def: $vgpr4
                                        ; implicit-def: $vgpr0_vgpr1
                                        ; implicit-def: $vgpr2
	s_and_saveexec_b32 s19, s0
	s_cbranch_execz .LBB424_842
; %bb.762:
	v_cmp_gt_i32_e32 vcc_lo, s13, v7
	s_mov_b32 s0, 0
	s_mov_b32 s22, s20
                                        ; implicit-def: $vgpr4
                                        ; implicit-def: $vgpr0_vgpr1
                                        ; implicit-def: $vgpr2
	s_and_saveexec_b32 s13, vcc_lo
	s_cbranch_execz .LBB424_841
; %bb.763:
	v_mul_lo_u32 v0, v7, s3
	v_and_b32_e64 v4, 0xff, s10
	s_delay_alu instid0(VALU_DEP_1) | instskip(NEXT) | instid1(VALU_DEP_3)
	v_cmp_gt_i16_e32 vcc_lo, 11, v4
	v_ashrrev_i32_e32 v1, 31, v0
	v_add_co_u32 v0, s0, s6, v0
	s_delay_alu instid0(VALU_DEP_1)
	v_add_co_ci_u32_e64 v1, s0, s7, v1, s0
	s_cbranch_vccnz .LBB424_770
; %bb.764:
	v_cmp_lt_i16_e32 vcc_lo, 25, v4
	s_mov_b32 s22, 0
	s_cbranch_vccz .LBB424_771
; %bb.765:
	v_cmp_lt_i16_e32 vcc_lo, 28, v4
	s_cbranch_vccz .LBB424_772
; %bb.766:
	v_cmp_lt_i16_e32 vcc_lo, 43, v4
	;; [unrolled: 3-line block ×3, first 2 shown]
	s_cbranch_vccz .LBB424_776
; %bb.768:
	v_cmp_eq_u16_e32 vcc_lo, 46, v4
	s_cbranch_vccz .LBB424_779
; %bb.769:
	global_load_b32 v2, v[0:1], off
	s_mov_b32 s0, 0
	s_mov_b32 s23, -1
	s_waitcnt vmcnt(0)
	v_lshlrev_b32_e32 v2, 16, v2
	s_delay_alu instid0(VALU_DEP_1) | instskip(NEXT) | instid1(VALU_DEP_1)
	v_trunc_f32_e32 v2, v2
	v_mul_f32_e64 v3, 0x2f800000, |v2|
	s_delay_alu instid0(VALU_DEP_1) | instskip(NEXT) | instid1(VALU_DEP_1)
	v_floor_f32_e32 v3, v3
	v_fma_f32 v3, 0xcf800000, v3, |v2|
	v_ashrrev_i32_e32 v2, 31, v2
	s_delay_alu instid0(VALU_DEP_2) | instskip(NEXT) | instid1(VALU_DEP_1)
	v_cvt_u32_f32_e32 v3, v3
	v_xor_b32_e32 v3, v3, v2
	s_delay_alu instid0(VALU_DEP_1)
	v_sub_nc_u32_e32 v2, v3, v2
	s_branch .LBB424_781
.LBB424_770:
	s_mov_b32 s25, -1
	s_mov_b32 s22, 0
	s_mov_b32 s0, s20
                                        ; implicit-def: $vgpr2
	s_branch .LBB424_840
.LBB424_771:
	s_mov_b32 s24, -1
	s_mov_b32 s0, s20
                                        ; implicit-def: $vgpr2
	s_branch .LBB424_808
.LBB424_772:
	s_mov_b32 s24, -1
	s_mov_b32 s0, s20
                                        ; implicit-def: $vgpr2
	s_branch .LBB424_791
.LBB424_773:
	s_mov_b32 s24, -1
	s_mov_b32 s0, s20
                                        ; implicit-def: $vgpr2
	s_branch .LBB424_786
.LBB424_774:
	s_or_saveexec_b32 s23, s23
                                        ; implicit-def: $sgpr24
	s_delay_alu instid0(SALU_CYCLE_1)
	s_xor_b32 exec_lo, exec_lo, s23
	s_cbranch_execz .LBB424_669
.LBB424_775:
	v_add_f32_e32 v4, 0x46000000, v5
	s_and_not1_b32 s22, s22, exec_lo
	s_mov_b32 s24, 0
	s_delay_alu instid0(VALU_DEP_1) | instskip(NEXT) | instid1(VALU_DEP_1)
	v_and_b32_e32 v4, 0xff, v4
	v_cmp_ne_u32_e32 vcc_lo, 0, v4
	s_and_b32 s25, vcc_lo, exec_lo
	s_delay_alu instid0(SALU_CYCLE_1)
	s_or_b32 s22, s22, s25
	s_or_b32 exec_lo, exec_lo, s23
	v_mov_b32_e32 v6, s24
	s_and_saveexec_b32 s23, s22
	s_cbranch_execnz .LBB424_670
	s_branch .LBB424_671
.LBB424_776:
	s_mov_b32 s24, -1
	s_mov_b32 s0, s20
	s_branch .LBB424_780
.LBB424_777:
	s_or_saveexec_b32 s23, s23
                                        ; implicit-def: $sgpr24
	s_delay_alu instid0(SALU_CYCLE_1)
	s_xor_b32 exec_lo, exec_lo, s23
	s_cbranch_execz .LBB424_682
.LBB424_778:
	v_add_f32_e32 v4, 0x42800000, v5
	s_and_not1_b32 s22, s22, exec_lo
	s_mov_b32 s24, 0
	s_delay_alu instid0(VALU_DEP_1) | instskip(NEXT) | instid1(VALU_DEP_1)
	v_and_b32_e32 v4, 0xff, v4
	v_cmp_ne_u32_e32 vcc_lo, 0, v4
	s_and_b32 s25, vcc_lo, exec_lo
	s_delay_alu instid0(SALU_CYCLE_1)
	s_or_b32 s22, s22, s25
	s_or_b32 exec_lo, exec_lo, s23
	v_mov_b32_e32 v6, s24
	s_and_saveexec_b32 s23, s22
	s_cbranch_execnz .LBB424_683
	s_branch .LBB424_684
.LBB424_779:
	s_mov_b32 s0, -1
.LBB424_780:
                                        ; implicit-def: $vgpr2
.LBB424_781:
	s_and_b32 vcc_lo, exec_lo, s24
	s_cbranch_vccz .LBB424_785
; %bb.782:
	v_cmp_eq_u16_e32 vcc_lo, 44, v4
	s_cbranch_vccz .LBB424_784
; %bb.783:
	global_load_u8 v2, v[0:1], off
	s_mov_b32 s0, 0
	s_mov_b32 s23, -1
	s_waitcnt vmcnt(0)
	v_lshlrev_b32_e32 v3, 23, v2
	v_cmp_ne_u32_e32 vcc_lo, 0, v2
	s_delay_alu instid0(VALU_DEP_2) | instskip(NEXT) | instid1(VALU_DEP_1)
	v_trunc_f32_e32 v3, v3
	v_mul_f32_e64 v5, 0x2f800000, |v3|
	s_delay_alu instid0(VALU_DEP_1) | instskip(NEXT) | instid1(VALU_DEP_1)
	v_floor_f32_e32 v5, v5
	v_fma_f32 v5, 0xcf800000, v5, |v3|
	v_ashrrev_i32_e32 v3, 31, v3
	s_delay_alu instid0(VALU_DEP_2) | instskip(NEXT) | instid1(VALU_DEP_1)
	v_cvt_u32_f32_e32 v5, v5
	v_xor_b32_e32 v5, v5, v3
	s_delay_alu instid0(VALU_DEP_1) | instskip(NEXT) | instid1(VALU_DEP_1)
	v_sub_nc_u32_e32 v3, v5, v3
	v_cndmask_b32_e32 v2, 0, v3, vcc_lo
	s_branch .LBB424_785
.LBB424_784:
	s_mov_b32 s0, -1
                                        ; implicit-def: $vgpr2
.LBB424_785:
	s_mov_b32 s24, 0
.LBB424_786:
	s_delay_alu instid0(SALU_CYCLE_1)
	s_and_b32 vcc_lo, exec_lo, s24
	s_cbranch_vccz .LBB424_790
; %bb.787:
	v_cmp_eq_u16_e32 vcc_lo, 29, v4
	s_cbranch_vccz .LBB424_789
; %bb.788:
	global_load_b64 v[2:3], v[0:1], off
	s_mov_b32 s0, 0
	s_mov_b32 s23, -1
	s_branch .LBB424_790
.LBB424_789:
	s_mov_b32 s0, -1
                                        ; implicit-def: $vgpr2
.LBB424_790:
	s_mov_b32 s24, 0
.LBB424_791:
	s_delay_alu instid0(SALU_CYCLE_1)
	s_and_b32 vcc_lo, exec_lo, s24
	s_cbranch_vccz .LBB424_807
; %bb.792:
	v_cmp_gt_i16_e32 vcc_lo, 27, v4
	s_cbranch_vccnz .LBB424_795
; %bb.793:
	v_cmp_lt_i16_e32 vcc_lo, 27, v4
	s_cbranch_vccz .LBB424_796
; %bb.794:
	global_load_b32 v2, v[0:1], off
	s_mov_b32 s23, 0
	s_branch .LBB424_797
.LBB424_795:
	s_mov_b32 s23, -1
                                        ; implicit-def: $vgpr2
	s_branch .LBB424_800
.LBB424_796:
	s_mov_b32 s23, -1
                                        ; implicit-def: $vgpr2
.LBB424_797:
	s_delay_alu instid0(SALU_CYCLE_1)
	s_and_not1_b32 vcc_lo, exec_lo, s23
	s_cbranch_vccnz .LBB424_799
; %bb.798:
	global_load_u16 v2, v[0:1], off
.LBB424_799:
	s_mov_b32 s23, 0
.LBB424_800:
	s_delay_alu instid0(SALU_CYCLE_1)
	s_and_not1_b32 vcc_lo, exec_lo, s23
	s_cbranch_vccnz .LBB424_806
; %bb.801:
	global_load_u8 v3, v[0:1], off
	s_mov_b32 s24, 0
	s_mov_b32 s23, exec_lo
                                        ; implicit-def: $sgpr25
	s_waitcnt vmcnt(0)
	v_cmpx_lt_i16_e32 0x7f, v3
	s_xor_b32 s23, exec_lo, s23
	s_cbranch_execz .LBB424_818
; %bb.802:
	v_cmp_ne_u16_e32 vcc_lo, 0x80, v3
	s_mov_b32 s25, 0
	s_and_b32 s24, vcc_lo, exec_lo
	s_or_saveexec_b32 s23, s23
	v_mov_b32_e32 v2, s25
	s_xor_b32 exec_lo, exec_lo, s23
	s_cbranch_execnz .LBB424_819
.LBB424_803:
	s_or_b32 exec_lo, exec_lo, s23
	s_and_saveexec_b32 s23, s24
	s_cbranch_execz .LBB424_805
.LBB424_804:
	v_and_b32_e32 v2, 0xffff, v3
	s_delay_alu instid0(VALU_DEP_1) | instskip(NEXT) | instid1(VALU_DEP_1)
	v_and_b32_e32 v5, 7, v2
	v_clz_i32_u32_e32 v6, v5
	s_delay_alu instid0(VALU_DEP_1) | instskip(NEXT) | instid1(VALU_DEP_1)
	v_min_u32_e32 v6, 32, v6
	v_subrev_nc_u32_e32 v8, 28, v6
	v_sub_nc_u32_e32 v6, 29, v6
	s_delay_alu instid0(VALU_DEP_2) | instskip(SKIP_1) | instid1(VALU_DEP_2)
	v_lshlrev_b32_e32 v8, v8, v2
	v_bfe_u32 v2, v2, 3, 4
	v_and_b32_e32 v8, 7, v8
	s_delay_alu instid0(VALU_DEP_2) | instskip(SKIP_1) | instid1(VALU_DEP_3)
	v_cmp_eq_u32_e32 vcc_lo, 0, v2
	v_dual_cndmask_b32 v2, v2, v6 :: v_dual_lshlrev_b32 v3, 24, v3
	v_cndmask_b32_e32 v5, v5, v8, vcc_lo
	s_delay_alu instid0(VALU_DEP_2) | instskip(NEXT) | instid1(VALU_DEP_3)
	v_and_b32_e32 v3, 0x80000000, v3
	v_lshl_add_u32 v2, v2, 23, 0x3b800000
	s_delay_alu instid0(VALU_DEP_3) | instskip(NEXT) | instid1(VALU_DEP_1)
	v_lshlrev_b32_e32 v5, 20, v5
	v_or3_b32 v2, v3, v2, v5
	s_delay_alu instid0(VALU_DEP_1) | instskip(NEXT) | instid1(VALU_DEP_1)
	v_trunc_f32_e32 v2, v2
	v_mul_f32_e64 v3, 0x2f800000, |v2|
	s_delay_alu instid0(VALU_DEP_1) | instskip(NEXT) | instid1(VALU_DEP_1)
	v_floor_f32_e32 v3, v3
	v_fma_f32 v3, 0xcf800000, v3, |v2|
	v_ashrrev_i32_e32 v2, 31, v2
	s_delay_alu instid0(VALU_DEP_2) | instskip(NEXT) | instid1(VALU_DEP_1)
	v_cvt_u32_f32_e32 v3, v3
	v_xor_b32_e32 v3, v3, v2
	s_delay_alu instid0(VALU_DEP_1)
	v_sub_nc_u32_e32 v2, v3, v2
.LBB424_805:
	s_or_b32 exec_lo, exec_lo, s23
.LBB424_806:
	s_mov_b32 s23, -1
.LBB424_807:
	s_mov_b32 s24, 0
.LBB424_808:
	s_delay_alu instid0(SALU_CYCLE_1)
	s_and_b32 vcc_lo, exec_lo, s24
	s_cbranch_vccz .LBB424_839
; %bb.809:
	v_cmp_lt_i16_e32 vcc_lo, 22, v4
	s_cbranch_vccz .LBB424_817
; %bb.810:
	v_cmp_gt_i16_e32 vcc_lo, 24, v4
	s_cbranch_vccnz .LBB424_820
; %bb.811:
	v_cmp_lt_i16_e32 vcc_lo, 24, v4
	s_cbranch_vccz .LBB424_821
; %bb.812:
	global_load_u8 v3, v[0:1], off
	s_mov_b32 s23, 0
	s_mov_b32 s22, exec_lo
                                        ; implicit-def: $sgpr24
	s_waitcnt vmcnt(0)
	v_cmpx_lt_i16_e32 0x7f, v3
	s_xor_b32 s22, exec_lo, s22
	s_cbranch_execz .LBB424_833
; %bb.813:
	v_cmp_ne_u16_e32 vcc_lo, 0x80, v3
	s_mov_b32 s24, 0
	s_and_b32 s23, vcc_lo, exec_lo
	s_or_saveexec_b32 s22, s22
	v_mov_b32_e32 v2, s24
	s_xor_b32 exec_lo, exec_lo, s22
	s_cbranch_execnz .LBB424_834
.LBB424_814:
	s_or_b32 exec_lo, exec_lo, s22
	s_and_saveexec_b32 s22, s23
	s_cbranch_execz .LBB424_816
.LBB424_815:
	v_and_b32_e32 v2, 0xffff, v3
	s_delay_alu instid0(VALU_DEP_1) | instskip(NEXT) | instid1(VALU_DEP_1)
	v_and_b32_e32 v5, 3, v2
	v_clz_i32_u32_e32 v6, v5
	s_delay_alu instid0(VALU_DEP_1) | instskip(NEXT) | instid1(VALU_DEP_1)
	v_min_u32_e32 v6, 32, v6
	v_subrev_nc_u32_e32 v8, 29, v6
	v_sub_nc_u32_e32 v6, 30, v6
	s_delay_alu instid0(VALU_DEP_2) | instskip(SKIP_1) | instid1(VALU_DEP_2)
	v_lshlrev_b32_e32 v8, v8, v2
	v_bfe_u32 v2, v2, 2, 5
	v_and_b32_e32 v8, 3, v8
	s_delay_alu instid0(VALU_DEP_2) | instskip(SKIP_1) | instid1(VALU_DEP_3)
	v_cmp_eq_u32_e32 vcc_lo, 0, v2
	v_dual_cndmask_b32 v2, v2, v6 :: v_dual_lshlrev_b32 v3, 24, v3
	v_cndmask_b32_e32 v5, v5, v8, vcc_lo
	s_delay_alu instid0(VALU_DEP_2) | instskip(NEXT) | instid1(VALU_DEP_3)
	v_and_b32_e32 v3, 0x80000000, v3
	v_lshl_add_u32 v2, v2, 23, 0x37800000
	s_delay_alu instid0(VALU_DEP_3) | instskip(NEXT) | instid1(VALU_DEP_1)
	v_lshlrev_b32_e32 v5, 21, v5
	v_or3_b32 v2, v3, v2, v5
	s_delay_alu instid0(VALU_DEP_1) | instskip(NEXT) | instid1(VALU_DEP_1)
	v_trunc_f32_e32 v2, v2
	v_mul_f32_e64 v3, 0x2f800000, |v2|
	s_delay_alu instid0(VALU_DEP_1) | instskip(NEXT) | instid1(VALU_DEP_1)
	v_floor_f32_e32 v3, v3
	v_fma_f32 v3, 0xcf800000, v3, |v2|
	v_ashrrev_i32_e32 v2, 31, v2
	s_delay_alu instid0(VALU_DEP_2) | instskip(NEXT) | instid1(VALU_DEP_1)
	v_cvt_u32_f32_e32 v3, v3
	v_xor_b32_e32 v3, v3, v2
	s_delay_alu instid0(VALU_DEP_1)
	v_sub_nc_u32_e32 v2, v3, v2
.LBB424_816:
	s_or_b32 exec_lo, exec_lo, s22
	s_mov_b32 s22, 0
	s_branch .LBB424_822
.LBB424_817:
	s_mov_b32 s22, -1
                                        ; implicit-def: $vgpr2
	s_branch .LBB424_828
.LBB424_818:
	s_or_saveexec_b32 s23, s23
	v_mov_b32_e32 v2, s25
	s_xor_b32 exec_lo, exec_lo, s23
	s_cbranch_execz .LBB424_803
.LBB424_819:
	v_cmp_ne_u16_e32 vcc_lo, 0, v3
	v_mov_b32_e32 v2, 0
	s_and_not1_b32 s24, s24, exec_lo
	s_and_b32 s25, vcc_lo, exec_lo
	s_delay_alu instid0(SALU_CYCLE_1)
	s_or_b32 s24, s24, s25
	s_or_b32 exec_lo, exec_lo, s23
	s_and_saveexec_b32 s23, s24
	s_cbranch_execnz .LBB424_804
	s_branch .LBB424_805
.LBB424_820:
	s_mov_b32 s22, -1
                                        ; implicit-def: $vgpr2
	s_branch .LBB424_825
.LBB424_821:
	s_mov_b32 s22, -1
                                        ; implicit-def: $vgpr2
.LBB424_822:
	s_delay_alu instid0(SALU_CYCLE_1)
	s_and_b32 vcc_lo, exec_lo, s22
	s_cbranch_vccz .LBB424_824
; %bb.823:
	global_load_u8 v2, v[0:1], off
	s_waitcnt vmcnt(0)
	v_lshlrev_b32_e32 v2, 24, v2
	s_delay_alu instid0(VALU_DEP_1) | instskip(NEXT) | instid1(VALU_DEP_1)
	v_and_b32_e32 v3, 0x7f000000, v2
	v_clz_i32_u32_e32 v5, v3
	v_add_nc_u32_e32 v8, 0x1000000, v3
	v_cmp_ne_u32_e32 vcc_lo, 0, v3
	s_delay_alu instid0(VALU_DEP_3) | instskip(NEXT) | instid1(VALU_DEP_1)
	v_min_u32_e32 v5, 32, v5
	v_sub_nc_u32_e64 v5, v5, 4 clamp
	s_delay_alu instid0(VALU_DEP_1) | instskip(SKIP_1) | instid1(VALU_DEP_2)
	v_lshlrev_b32_e32 v6, v5, v3
	v_lshlrev_b32_e32 v5, 23, v5
	v_lshrrev_b32_e32 v6, 4, v6
	s_delay_alu instid0(VALU_DEP_1) | instskip(SKIP_1) | instid1(VALU_DEP_2)
	v_sub_nc_u32_e32 v5, v6, v5
	v_ashrrev_i32_e32 v6, 8, v8
	v_add_nc_u32_e32 v5, 0x3c000000, v5
	s_delay_alu instid0(VALU_DEP_1) | instskip(NEXT) | instid1(VALU_DEP_1)
	v_and_or_b32 v5, 0x7f800000, v6, v5
	v_cndmask_b32_e32 v3, 0, v5, vcc_lo
	s_delay_alu instid0(VALU_DEP_1) | instskip(NEXT) | instid1(VALU_DEP_1)
	v_and_or_b32 v2, 0x80000000, v2, v3
	v_trunc_f32_e32 v2, v2
	s_delay_alu instid0(VALU_DEP_1) | instskip(NEXT) | instid1(VALU_DEP_1)
	v_mul_f32_e64 v3, 0x2f800000, |v2|
	v_floor_f32_e32 v3, v3
	s_delay_alu instid0(VALU_DEP_1) | instskip(SKIP_1) | instid1(VALU_DEP_2)
	v_fma_f32 v3, 0xcf800000, v3, |v2|
	v_ashrrev_i32_e32 v2, 31, v2
	v_cvt_u32_f32_e32 v3, v3
	s_delay_alu instid0(VALU_DEP_1) | instskip(NEXT) | instid1(VALU_DEP_1)
	v_xor_b32_e32 v3, v3, v2
	v_sub_nc_u32_e32 v2, v3, v2
.LBB424_824:
	s_mov_b32 s22, 0
.LBB424_825:
	s_delay_alu instid0(SALU_CYCLE_1)
	s_and_not1_b32 vcc_lo, exec_lo, s22
	s_cbranch_vccnz .LBB424_827
; %bb.826:
	global_load_u8 v2, v[0:1], off
	s_waitcnt vmcnt(0)
	v_lshlrev_b32_e32 v3, 25, v2
	v_lshlrev_b16 v2, 8, v2
	s_delay_alu instid0(VALU_DEP_2) | instskip(NEXT) | instid1(VALU_DEP_2)
	v_lshrrev_b32_e32 v5, 4, v3
	v_and_or_b32 v6, 0x7f00, v2, 0.5
	v_cmp_gt_u32_e32 vcc_lo, 0x8000000, v3
	v_bfe_i32 v2, v2, 0, 16
	s_delay_alu instid0(VALU_DEP_4) | instskip(NEXT) | instid1(VALU_DEP_1)
	v_or_b32_e32 v5, 0x70000000, v5
	v_dual_add_f32 v6, -0.5, v6 :: v_dual_mul_f32 v5, 0x7800000, v5
	s_delay_alu instid0(VALU_DEP_1) | instskip(NEXT) | instid1(VALU_DEP_1)
	v_cndmask_b32_e32 v3, v5, v6, vcc_lo
	v_and_or_b32 v2, 0x80000000, v2, v3
	s_delay_alu instid0(VALU_DEP_1) | instskip(NEXT) | instid1(VALU_DEP_1)
	v_trunc_f32_e32 v2, v2
	v_mul_f32_e64 v3, 0x2f800000, |v2|
	s_delay_alu instid0(VALU_DEP_1) | instskip(NEXT) | instid1(VALU_DEP_1)
	v_floor_f32_e32 v3, v3
	v_fma_f32 v3, 0xcf800000, v3, |v2|
	v_ashrrev_i32_e32 v2, 31, v2
	s_delay_alu instid0(VALU_DEP_2) | instskip(NEXT) | instid1(VALU_DEP_1)
	v_cvt_u32_f32_e32 v3, v3
	v_xor_b32_e32 v3, v3, v2
	s_delay_alu instid0(VALU_DEP_1)
	v_sub_nc_u32_e32 v2, v3, v2
.LBB424_827:
	s_mov_b32 s22, 0
	s_mov_b32 s23, -1
.LBB424_828:
	s_and_not1_b32 vcc_lo, exec_lo, s22
	s_mov_b32 s22, 0
	s_cbranch_vccnz .LBB424_839
; %bb.829:
	v_cmp_lt_i16_e32 vcc_lo, 14, v4
	s_cbranch_vccz .LBB424_832
; %bb.830:
	v_cmp_eq_u16_e32 vcc_lo, 15, v4
	s_cbranch_vccz .LBB424_835
; %bb.831:
	global_load_u16 v2, v[0:1], off
	s_mov_b32 s0, 0
	s_mov_b32 s23, -1
	s_waitcnt vmcnt(0)
	v_lshlrev_b32_e32 v2, 16, v2
	s_delay_alu instid0(VALU_DEP_1) | instskip(NEXT) | instid1(VALU_DEP_1)
	v_trunc_f32_e32 v2, v2
	v_mul_f32_e64 v3, 0x2f800000, |v2|
	s_delay_alu instid0(VALU_DEP_1) | instskip(NEXT) | instid1(VALU_DEP_1)
	v_floor_f32_e32 v3, v3
	v_fma_f32 v3, 0xcf800000, v3, |v2|
	v_ashrrev_i32_e32 v2, 31, v2
	s_delay_alu instid0(VALU_DEP_2) | instskip(NEXT) | instid1(VALU_DEP_1)
	v_cvt_u32_f32_e32 v3, v3
	v_xor_b32_e32 v3, v3, v2
	s_delay_alu instid0(VALU_DEP_1)
	v_sub_nc_u32_e32 v2, v3, v2
	s_branch .LBB424_837
.LBB424_832:
	s_mov_b32 s22, -1
	s_branch .LBB424_836
.LBB424_833:
	s_or_saveexec_b32 s22, s22
	v_mov_b32_e32 v2, s24
	s_xor_b32 exec_lo, exec_lo, s22
	s_cbranch_execz .LBB424_814
.LBB424_834:
	v_cmp_ne_u16_e32 vcc_lo, 0, v3
	v_mov_b32_e32 v2, 0
	s_and_not1_b32 s23, s23, exec_lo
	s_and_b32 s24, vcc_lo, exec_lo
	s_delay_alu instid0(SALU_CYCLE_1)
	s_or_b32 s23, s23, s24
	s_or_b32 exec_lo, exec_lo, s22
	s_and_saveexec_b32 s22, s23
	s_cbranch_execnz .LBB424_815
	s_branch .LBB424_816
.LBB424_835:
	s_mov_b32 s0, -1
.LBB424_836:
                                        ; implicit-def: $vgpr2
.LBB424_837:
	s_and_b32 vcc_lo, exec_lo, s22
	s_mov_b32 s22, 0
	s_cbranch_vccz .LBB424_839
; %bb.838:
	v_cmp_ne_u16_e32 vcc_lo, 11, v4
	s_and_not1_b32 s0, s0, exec_lo
	s_mov_b32 s22, -1
                                        ; implicit-def: $vgpr2
	s_and_b32 s24, vcc_lo, exec_lo
	s_delay_alu instid0(SALU_CYCLE_1)
	s_or_b32 s0, s0, s24
.LBB424_839:
	s_mov_b32 s25, 0
.LBB424_840:
	s_and_b32 s24, s23, exec_lo
	s_and_b32 s23, s25, exec_lo
	s_and_not1_b32 s25, s20, exec_lo
	s_and_b32 s26, s0, exec_lo
	s_and_b32 s0, s22, exec_lo
	s_or_b32 s22, s25, s26
.LBB424_841:
	s_or_b32 exec_lo, exec_lo, s13
	s_delay_alu instid0(SALU_CYCLE_1)
	s_and_not1_b32 s13, s20, exec_lo
	s_and_b32 s20, s22, exec_lo
	s_and_b32 s24, s24, exec_lo
	s_and_b32 s23, s23, exec_lo
	s_and_b32 s22, s0, exec_lo
	s_or_b32 s20, s13, s20
.LBB424_842:
	s_or_b32 exec_lo, exec_lo, s19
	s_delay_alu instid0(SALU_CYCLE_1)
	s_and_not1_b32 s0, s17, exec_lo
	s_and_b32 s13, s21, exec_lo
	s_and_b32 s21, s23, exec_lo
	s_or_b32 s17, s0, s13
	s_and_not1_b32 s13, s16, exec_lo
	s_and_b32 s16, s20, exec_lo
	s_and_b32 s0, s24, exec_lo
	;; [unrolled: 1-line block ×3, first 2 shown]
	s_or_b32 s16, s13, s16
.LBB424_843:
	s_or_b32 exec_lo, exec_lo, s18
	s_delay_alu instid0(SALU_CYCLE_1)
	s_and_not1_b32 s12, s12, exec_lo
	s_and_b32 s13, s17, exec_lo
	s_and_b32 s0, s0, exec_lo
	s_or_b32 s12, s12, s13
	s_and_not1_b32 s13, s14, exec_lo
	s_and_b32 s14, s16, exec_lo
	s_and_b32 s17, s21, exec_lo
	;; [unrolled: 1-line block ×3, first 2 shown]
	s_or_b32 s14, s13, s14
.LBB424_844:
	s_or_b32 exec_lo, exec_lo, s15
	s_mov_b32 s13, 0
	s_and_saveexec_b32 s15, s14
	s_cbranch_execnz .LBB424_856
; %bb.845:
	s_or_b32 exec_lo, exec_lo, s15
	s_and_saveexec_b32 s14, s16
	s_delay_alu instid0(SALU_CYCLE_1)
	s_xor_b32 s14, exec_lo, s14
	s_cbranch_execz .LBB424_847
.LBB424_846:
	global_load_u8 v2, v[0:1], off
	s_or_b32 s0, s0, exec_lo
	s_waitcnt vmcnt(0)
	v_cmp_ne_u16_e32 vcc_lo, 0, v2
	v_cndmask_b32_e64 v2, 0, 1, vcc_lo
.LBB424_847:
	s_or_b32 exec_lo, exec_lo, s14
	s_and_saveexec_b32 s14, s17
	s_cbranch_execz .LBB424_895
; %bb.848:
	v_cmp_gt_i16_e32 vcc_lo, 5, v4
	s_cbranch_vccnz .LBB424_853
; %bb.849:
	v_cmp_gt_i16_e32 vcc_lo, 8, v4
	s_cbranch_vccnz .LBB424_854
	;; [unrolled: 3-line block ×3, first 2 shown]
; %bb.851:
	v_cmp_lt_i16_e32 vcc_lo, 9, v4
	s_cbranch_vccz .LBB424_858
; %bb.852:
	global_load_b64 v[2:3], v[0:1], off
	s_mov_b32 s15, 0
	s_waitcnt vmcnt(0)
	v_trunc_f64_e32 v[2:3], v[2:3]
	s_delay_alu instid0(VALU_DEP_1) | instskip(NEXT) | instid1(VALU_DEP_1)
	v_ldexp_f64 v[5:6], v[2:3], 0xffffffe0
	v_floor_f64_e32 v[5:6], v[5:6]
	s_delay_alu instid0(VALU_DEP_1) | instskip(NEXT) | instid1(VALU_DEP_1)
	v_fma_f64 v[2:3], 0xc1f00000, v[5:6], v[2:3]
	v_cvt_u32_f64_e32 v2, v[2:3]
	s_branch .LBB424_859
.LBB424_853:
                                        ; implicit-def: $vgpr2
	s_branch .LBB424_876
.LBB424_854:
                                        ; implicit-def: $vgpr2
	s_branch .LBB424_865
.LBB424_855:
	s_mov_b32 s15, -1
                                        ; implicit-def: $vgpr2
	s_branch .LBB424_862
.LBB424_856:
	s_cbranch_execnz .LBB424_904
; %bb.857:
	s_mov_b32 s13, exec_lo
	s_and_not1_b32 s16, s16, exec_lo
                                        ; implicit-def: $vgpr2
	s_or_b32 exec_lo, exec_lo, s15
	s_and_saveexec_b32 s14, s16
	s_delay_alu instid0(SALU_CYCLE_1)
	s_xor_b32 s14, exec_lo, s14
	s_cbranch_execnz .LBB424_846
	s_branch .LBB424_847
.LBB424_858:
	s_mov_b32 s15, -1
                                        ; implicit-def: $vgpr2
.LBB424_859:
	s_delay_alu instid0(SALU_CYCLE_1)
	s_and_not1_b32 vcc_lo, exec_lo, s15
	s_cbranch_vccnz .LBB424_861
; %bb.860:
	global_load_b32 v2, v[0:1], off
	s_waitcnt vmcnt(0)
	v_trunc_f32_e32 v2, v2
	s_delay_alu instid0(VALU_DEP_1) | instskip(NEXT) | instid1(VALU_DEP_1)
	v_mul_f32_e64 v3, 0x2f800000, |v2|
	v_floor_f32_e32 v3, v3
	s_delay_alu instid0(VALU_DEP_1) | instskip(SKIP_1) | instid1(VALU_DEP_2)
	v_fma_f32 v3, 0xcf800000, v3, |v2|
	v_ashrrev_i32_e32 v2, 31, v2
	v_cvt_u32_f32_e32 v3, v3
	s_delay_alu instid0(VALU_DEP_1) | instskip(NEXT) | instid1(VALU_DEP_1)
	v_xor_b32_e32 v3, v3, v2
	v_sub_nc_u32_e32 v2, v3, v2
.LBB424_861:
	s_mov_b32 s15, 0
.LBB424_862:
	s_delay_alu instid0(SALU_CYCLE_1)
	s_and_not1_b32 vcc_lo, exec_lo, s15
	s_cbranch_vccnz .LBB424_864
; %bb.863:
	global_load_b32 v2, v[0:1], off
	s_waitcnt vmcnt(0)
	v_cvt_f32_f16_e32 v2, v2
	s_delay_alu instid0(VALU_DEP_1)
	v_cvt_i32_f32_e32 v2, v2
.LBB424_864:
	s_cbranch_execnz .LBB424_875
.LBB424_865:
	v_cmp_gt_i16_e32 vcc_lo, 6, v4
	s_cbranch_vccnz .LBB424_868
; %bb.866:
	v_cmp_lt_i16_e32 vcc_lo, 6, v4
	s_cbranch_vccz .LBB424_869
; %bb.867:
	global_load_b64 v[2:3], v[0:1], off
	s_mov_b32 s15, 0
	s_waitcnt vmcnt(0)
	v_trunc_f64_e32 v[2:3], v[2:3]
	s_delay_alu instid0(VALU_DEP_1) | instskip(NEXT) | instid1(VALU_DEP_1)
	v_ldexp_f64 v[5:6], v[2:3], 0xffffffe0
	v_floor_f64_e32 v[5:6], v[5:6]
	s_delay_alu instid0(VALU_DEP_1) | instskip(NEXT) | instid1(VALU_DEP_1)
	v_fma_f64 v[2:3], 0xc1f00000, v[5:6], v[2:3]
	v_cvt_u32_f64_e32 v2, v[2:3]
	s_branch .LBB424_870
.LBB424_868:
	s_mov_b32 s15, -1
                                        ; implicit-def: $vgpr2
	s_branch .LBB424_873
.LBB424_869:
	s_mov_b32 s15, -1
                                        ; implicit-def: $vgpr2
.LBB424_870:
	s_delay_alu instid0(SALU_CYCLE_1)
	s_and_not1_b32 vcc_lo, exec_lo, s15
	s_cbranch_vccnz .LBB424_872
; %bb.871:
	global_load_b32 v2, v[0:1], off
	s_waitcnt vmcnt(0)
	v_trunc_f32_e32 v2, v2
	s_delay_alu instid0(VALU_DEP_1) | instskip(NEXT) | instid1(VALU_DEP_1)
	v_mul_f32_e64 v3, 0x2f800000, |v2|
	v_floor_f32_e32 v3, v3
	s_delay_alu instid0(VALU_DEP_1) | instskip(SKIP_1) | instid1(VALU_DEP_2)
	v_fma_f32 v3, 0xcf800000, v3, |v2|
	v_ashrrev_i32_e32 v2, 31, v2
	v_cvt_u32_f32_e32 v3, v3
	s_delay_alu instid0(VALU_DEP_1) | instskip(NEXT) | instid1(VALU_DEP_1)
	v_xor_b32_e32 v3, v3, v2
	v_sub_nc_u32_e32 v2, v3, v2
.LBB424_872:
	s_mov_b32 s15, 0
.LBB424_873:
	s_delay_alu instid0(SALU_CYCLE_1)
	s_and_not1_b32 vcc_lo, exec_lo, s15
	s_cbranch_vccnz .LBB424_875
; %bb.874:
	global_load_u16 v2, v[0:1], off
	s_waitcnt vmcnt(0)
	v_cvt_f32_f16_e32 v2, v2
	s_delay_alu instid0(VALU_DEP_1)
	v_cvt_i32_f32_e32 v2, v2
.LBB424_875:
	s_cbranch_execnz .LBB424_894
.LBB424_876:
	v_cmp_gt_i16_e32 vcc_lo, 2, v4
	s_cbranch_vccnz .LBB424_880
; %bb.877:
	v_cmp_gt_i16_e32 vcc_lo, 3, v4
	s_cbranch_vccnz .LBB424_881
; %bb.878:
	v_cmp_lt_i16_e32 vcc_lo, 3, v4
	s_cbranch_vccz .LBB424_882
; %bb.879:
	global_load_b64 v[2:3], v[0:1], off
	s_mov_b32 s15, 0
	s_branch .LBB424_883
.LBB424_880:
                                        ; implicit-def: $vgpr2
	s_branch .LBB424_889
.LBB424_881:
	s_mov_b32 s15, -1
                                        ; implicit-def: $vgpr2
	s_branch .LBB424_886
.LBB424_882:
	s_mov_b32 s15, -1
                                        ; implicit-def: $vgpr2
.LBB424_883:
	s_delay_alu instid0(SALU_CYCLE_1)
	s_and_not1_b32 vcc_lo, exec_lo, s15
	s_cbranch_vccnz .LBB424_885
; %bb.884:
	global_load_b32 v2, v[0:1], off
.LBB424_885:
	s_mov_b32 s15, 0
.LBB424_886:
	s_delay_alu instid0(SALU_CYCLE_1)
	s_and_not1_b32 vcc_lo, exec_lo, s15
	s_cbranch_vccnz .LBB424_888
; %bb.887:
	global_load_u16 v2, v[0:1], off
.LBB424_888:
	s_cbranch_execnz .LBB424_894
.LBB424_889:
	v_cmp_lt_i16_e32 vcc_lo, 0, v4
	s_mov_b32 s15, 0
	s_cbranch_vccz .LBB424_891
; %bb.890:
	global_load_u8 v2, v[0:1], off
	s_branch .LBB424_892
.LBB424_891:
	s_mov_b32 s15, -1
                                        ; implicit-def: $vgpr2
.LBB424_892:
	s_delay_alu instid0(SALU_CYCLE_1)
	s_and_not1_b32 vcc_lo, exec_lo, s15
	s_cbranch_vccnz .LBB424_894
; %bb.893:
	global_load_u8 v2, v[0:1], off
.LBB424_894:
	s_or_b32 s0, s0, exec_lo
.LBB424_895:
	s_or_b32 exec_lo, exec_lo, s14
	s_mov_b32 s16, 0
	s_mov_b32 s15, 0
                                        ; implicit-def: $vgpr4
                                        ; implicit-def: $vgpr0_vgpr1
                                        ; implicit-def: $vgpr3
	s_and_saveexec_b32 s14, s0
	s_cbranch_execz .LBB424_975
; %bb.896:
	v_mul_lo_u32 v0, v7, s2
	v_and_b32_e64 v1, 0xff, s8
	s_waitcnt vmcnt(0)
	s_delay_alu instid0(VALU_DEP_3) | instskip(SKIP_1) | instid1(VALU_DEP_2)
	v_and_b32_e32 v2, 0xff, v2
	v_and_b32_e64 v4, 0xff, s1
	v_min_u16 v3, v2, v1
	v_ashrrev_i32_e32 v1, 31, v0
	s_delay_alu instid0(VALU_DEP_3) | instskip(SKIP_1) | instid1(VALU_DEP_1)
	v_cmp_gt_i16_e32 vcc_lo, 11, v4
	v_add_co_u32 v0, s0, s4, v0
	v_add_co_ci_u32_e64 v1, s0, s5, v1, s0
	s_cbranch_vccnz .LBB424_903
; %bb.897:
	v_cmp_lt_i16_e32 vcc_lo, 25, v4
	s_mov_b32 s15, -1
	s_mov_b32 s0, s12
	s_cbranch_vccz .LBB424_933
; %bb.898:
	v_cmp_lt_i16_e32 vcc_lo, 28, v4
	s_mov_b32 s0, s12
	s_cbranch_vccz .LBB424_917
; %bb.899:
	v_cmp_lt_i16_e32 vcc_lo, 43, v4
	;; [unrolled: 4-line block ×3, first 2 shown]
	s_mov_b32 s0, s12
	s_cbranch_vccz .LBB424_907
; %bb.901:
	v_cmp_eq_u16_e32 vcc_lo, 46, v4
	s_mov_b32 s0, -1
	s_cbranch_vccz .LBB424_906
; %bb.902:
	v_cvt_f32_ubyte0_e32 v2, v3
	s_mov_b32 s0, 0
	s_mov_b32 s15, 0
	s_delay_alu instid0(VALU_DEP_1) | instskip(NEXT) | instid1(VALU_DEP_1)
	v_bfe_u32 v5, v2, 16, 1
	v_add3_u32 v2, v2, v5, 0x7fff
	s_delay_alu instid0(VALU_DEP_1)
	v_lshrrev_b32_e32 v2, 16, v2
	global_store_b32 v[0:1], v2, off
	s_branch .LBB424_907
.LBB424_903:
	s_mov_b32 s15, -1
	s_mov_b32 s0, s12
	s_branch .LBB424_974
.LBB424_904:
	s_trap 2
	s_sendmsg_rtn_b32 s0, sendmsg(MSG_RTN_GET_DOORBELL)
	s_mov_b32 ttmp2, m0
	s_waitcnt lgkmcnt(0)
	s_and_b32 s0, s0, 0x3ff
	s_delay_alu instid0(SALU_CYCLE_1) | instskip(NEXT) | instid1(SALU_CYCLE_1)
	s_bitset1_b32 s0, 10
	s_mov_b32 m0, s0
	s_sendmsg sendmsg(MSG_INTERRUPT)
	s_mov_b32 m0, ttmp2
.LBB424_905:                            ; =>This Inner Loop Header: Depth=1
	s_sethalt 5
	s_branch .LBB424_905
.LBB424_906:
	s_mov_b32 s15, 0
.LBB424_907:
	s_delay_alu instid0(SALU_CYCLE_1)
	s_and_b32 vcc_lo, exec_lo, s15
	s_cbranch_vccz .LBB424_912
; %bb.908:
	v_cmp_eq_u16_e32 vcc_lo, 44, v4
	s_mov_b32 s0, -1
	s_cbranch_vccz .LBB424_912
; %bb.909:
	v_cvt_f32_ubyte0_e32 v6, v3
	v_mov_b32_e32 v5, 0xff
	s_mov_b32 s15, exec_lo
	s_delay_alu instid0(VALU_DEP_2) | instskip(NEXT) | instid1(VALU_DEP_1)
	v_lshrrev_b32_e32 v2, 23, v6
	v_cmpx_ne_u32_e32 0xff, v2
; %bb.910:
	v_and_b32_e32 v5, 0x400000, v6
	v_and_or_b32 v6, 0x3fffff, v6, v2
	s_delay_alu instid0(VALU_DEP_2) | instskip(NEXT) | instid1(VALU_DEP_2)
	v_cmp_ne_u32_e32 vcc_lo, 0, v5
	v_cmp_ne_u32_e64 s0, 0, v6
	s_delay_alu instid0(VALU_DEP_1) | instskip(NEXT) | instid1(SALU_CYCLE_1)
	s_and_b32 s0, vcc_lo, s0
	v_cndmask_b32_e64 v5, 0, 1, s0
	s_delay_alu instid0(VALU_DEP_1)
	v_add_nc_u32_e32 v5, v2, v5
; %bb.911:
	s_or_b32 exec_lo, exec_lo, s15
	s_mov_b32 s0, 0
	global_store_b8 v[0:1], v5, off
.LBB424_912:
	s_mov_b32 s15, 0
.LBB424_913:
	s_delay_alu instid0(SALU_CYCLE_1)
	s_and_b32 vcc_lo, exec_lo, s15
	s_cbranch_vccz .LBB424_916
; %bb.914:
	v_cmp_eq_u16_e32 vcc_lo, 29, v4
	s_mov_b32 s0, -1
	s_cbranch_vccz .LBB424_916
; %bb.915:
	s_mov_b32 s0, 0
	s_delay_alu instid0(SALU_CYCLE_1)
	v_dual_mov_b32 v6, s0 :: v_dual_and_b32 v5, 0xffff, v3
	s_mov_b32 s15, 0
	global_store_b64 v[0:1], v[5:6], off
	s_branch .LBB424_917
.LBB424_916:
	s_mov_b32 s15, 0
.LBB424_917:
	s_delay_alu instid0(SALU_CYCLE_1)
	s_and_b32 vcc_lo, exec_lo, s15
	s_cbranch_vccz .LBB424_932
; %bb.918:
	v_cmp_gt_i16_e32 vcc_lo, 27, v4
	s_mov_b32 s15, -1
	s_cbranch_vccnz .LBB424_924
; %bb.919:
	v_cmp_lt_i16_e32 vcc_lo, 27, v4
	s_cbranch_vccz .LBB424_921
; %bb.920:
	v_and_b32_e32 v2, 0xffff, v3
	s_mov_b32 s15, 0
	global_store_b32 v[0:1], v2, off
.LBB424_921:
	s_and_not1_b32 vcc_lo, exec_lo, s15
	s_cbranch_vccnz .LBB424_923
; %bb.922:
	global_store_b16 v[0:1], v3, off
.LBB424_923:
	s_mov_b32 s15, 0
.LBB424_924:
	s_delay_alu instid0(SALU_CYCLE_1)
	s_and_not1_b32 vcc_lo, exec_lo, s15
	s_cbranch_vccnz .LBB424_932
; %bb.925:
	v_cvt_f32_ubyte0_e32 v5, v3
	v_mov_b32_e32 v6, 0x80
	s_mov_b32 s15, exec_lo
	s_delay_alu instid0(VALU_DEP_2)
	v_cmpx_gt_u32_e32 0x43800000, v5
	s_cbranch_execz .LBB424_931
; %bb.926:
	s_mov_b32 s17, exec_lo
                                        ; implicit-def: $vgpr2
	v_cmpx_lt_u32_e32 0x3bffffff, v5
	s_xor_b32 s17, exec_lo, s17
	s_cbranch_execz .LBB424_1161
; %bb.927:
	v_bfe_u32 v2, v5, 20, 1
	s_mov_b32 s16, exec_lo
	s_delay_alu instid0(VALU_DEP_1) | instskip(NEXT) | instid1(VALU_DEP_1)
	v_add3_u32 v2, v5, v2, 0x487ffff
                                        ; implicit-def: $vgpr5
	v_lshrrev_b32_e32 v2, 20, v2
	s_or_saveexec_b32 s17, s17
                                        ; implicit-def: $sgpr18
	s_delay_alu instid0(SALU_CYCLE_1)
	s_xor_b32 exec_lo, exec_lo, s17
	s_cbranch_execnz .LBB424_1162
.LBB424_928:
	s_or_b32 exec_lo, exec_lo, s17
	v_mov_b32_e32 v6, s18
	s_and_saveexec_b32 s17, s16
.LBB424_929:
	v_mov_b32_e32 v6, v2
.LBB424_930:
	s_or_b32 exec_lo, exec_lo, s17
.LBB424_931:
	s_delay_alu instid0(SALU_CYCLE_1)
	s_or_b32 exec_lo, exec_lo, s15
	global_store_b8 v[0:1], v6, off
.LBB424_932:
	s_mov_b32 s15, 0
.LBB424_933:
	s_delay_alu instid0(SALU_CYCLE_1)
	s_and_b32 vcc_lo, exec_lo, s15
	s_mov_b32 s15, 0
	s_cbranch_vccz .LBB424_973
; %bb.934:
	v_cmp_lt_i16_e32 vcc_lo, 22, v4
	s_mov_b32 s16, -1
	s_cbranch_vccz .LBB424_966
; %bb.935:
	v_cmp_gt_i16_e32 vcc_lo, 24, v4
	s_cbranch_vccnz .LBB424_955
; %bb.936:
	v_cmp_lt_i16_e32 vcc_lo, 24, v4
	s_cbranch_vccz .LBB424_944
; %bb.937:
	v_cvt_f32_ubyte0_e32 v5, v3
	v_mov_b32_e32 v6, 0x80
	s_mov_b32 s16, exec_lo
	s_delay_alu instid0(VALU_DEP_2)
	v_cmpx_gt_u32_e32 0x47800000, v5
	s_cbranch_execz .LBB424_943
; %bb.938:
	s_mov_b32 s17, 0
	s_mov_b32 s18, exec_lo
                                        ; implicit-def: $vgpr2
	v_cmpx_lt_u32_e32 0x37ffffff, v5
	s_xor_b32 s18, exec_lo, s18
	s_cbranch_execz .LBB424_1205
; %bb.939:
	v_bfe_u32 v2, v5, 21, 1
	s_mov_b32 s17, exec_lo
	s_delay_alu instid0(VALU_DEP_1) | instskip(NEXT) | instid1(VALU_DEP_1)
	v_add3_u32 v2, v5, v2, 0x88fffff
                                        ; implicit-def: $vgpr5
	v_lshrrev_b32_e32 v2, 21, v2
	s_or_saveexec_b32 s18, s18
                                        ; implicit-def: $sgpr19
	s_delay_alu instid0(SALU_CYCLE_1)
	s_xor_b32 exec_lo, exec_lo, s18
	s_cbranch_execnz .LBB424_1206
.LBB424_940:
	s_or_b32 exec_lo, exec_lo, s18
	v_mov_b32_e32 v6, s19
	s_and_saveexec_b32 s18, s17
.LBB424_941:
	v_mov_b32_e32 v6, v2
.LBB424_942:
	s_or_b32 exec_lo, exec_lo, s18
.LBB424_943:
	s_delay_alu instid0(SALU_CYCLE_1)
	s_or_b32 exec_lo, exec_lo, s16
	s_mov_b32 s16, 0
	global_store_b8 v[0:1], v6, off
.LBB424_944:
	s_and_b32 vcc_lo, exec_lo, s16
	s_cbranch_vccz .LBB424_954
; %bb.945:
	v_cvt_f32_ubyte0_e32 v5, v3
	s_mov_b32 s16, exec_lo
                                        ; implicit-def: $vgpr2
	s_delay_alu instid0(VALU_DEP_1)
	v_cmpx_gt_u32_e32 0x43f00000, v5
	s_xor_b32 s16, exec_lo, s16
	s_cbranch_execz .LBB424_951
; %bb.946:
	s_mov_b32 s17, exec_lo
                                        ; implicit-def: $vgpr2
	v_cmpx_lt_u32_e32 0x3c7fffff, v5
	s_xor_b32 s17, exec_lo, s17
; %bb.947:
	v_bfe_u32 v2, v5, 20, 1
	s_delay_alu instid0(VALU_DEP_1) | instskip(NEXT) | instid1(VALU_DEP_1)
	v_add3_u32 v2, v5, v2, 0x407ffff
	v_and_b32_e32 v5, 0xff00000, v2
	v_lshrrev_b32_e32 v2, 20, v2
	s_delay_alu instid0(VALU_DEP_2) | instskip(NEXT) | instid1(VALU_DEP_2)
	v_cmp_ne_u32_e32 vcc_lo, 0x7f00000, v5
                                        ; implicit-def: $vgpr5
	v_cndmask_b32_e32 v2, 0x7e, v2, vcc_lo
; %bb.948:
	s_and_not1_saveexec_b32 s17, s17
; %bb.949:
	v_add_f32_e32 v2, 0x46800000, v5
; %bb.950:
	s_or_b32 exec_lo, exec_lo, s17
                                        ; implicit-def: $vgpr5
.LBB424_951:
	s_and_not1_saveexec_b32 s16, s16
; %bb.952:
	v_mov_b32_e32 v2, 0x7f
	v_cmp_lt_u32_e32 vcc_lo, 0x7f800000, v5
	s_delay_alu instid0(VALU_DEP_2)
	v_cndmask_b32_e32 v2, 0x7e, v2, vcc_lo
; %bb.953:
	s_or_b32 exec_lo, exec_lo, s16
	global_store_b8 v[0:1], v2, off
.LBB424_954:
	s_mov_b32 s16, 0
.LBB424_955:
	s_delay_alu instid0(SALU_CYCLE_1)
	s_and_not1_b32 vcc_lo, exec_lo, s16
	s_cbranch_vccnz .LBB424_965
; %bb.956:
	v_cvt_f32_ubyte0_e32 v5, v3
	s_mov_b32 s16, exec_lo
                                        ; implicit-def: $vgpr2
	s_delay_alu instid0(VALU_DEP_1)
	v_cmpx_gt_u32_e32 0x47800000, v5
	s_xor_b32 s16, exec_lo, s16
	s_cbranch_execz .LBB424_962
; %bb.957:
	s_mov_b32 s17, exec_lo
                                        ; implicit-def: $vgpr2
	v_cmpx_lt_u32_e32 0x387fffff, v5
	s_xor_b32 s17, exec_lo, s17
; %bb.958:
	v_bfe_u32 v2, v5, 21, 1
	s_delay_alu instid0(VALU_DEP_1) | instskip(NEXT) | instid1(VALU_DEP_1)
	v_add3_u32 v2, v5, v2, 0x80fffff
                                        ; implicit-def: $vgpr5
	v_lshrrev_b32_e32 v2, 21, v2
; %bb.959:
	s_and_not1_saveexec_b32 s17, s17
; %bb.960:
	v_add_f32_e32 v2, 0x43000000, v5
; %bb.961:
	s_or_b32 exec_lo, exec_lo, s17
                                        ; implicit-def: $vgpr5
.LBB424_962:
	s_and_not1_saveexec_b32 s16, s16
; %bb.963:
	v_mov_b32_e32 v2, 0x7f
	v_cmp_lt_u32_e32 vcc_lo, 0x7f800000, v5
	s_delay_alu instid0(VALU_DEP_2)
	v_cndmask_b32_e32 v2, 0x7c, v2, vcc_lo
; %bb.964:
	s_or_b32 exec_lo, exec_lo, s16
	global_store_b8 v[0:1], v2, off
.LBB424_965:
	s_mov_b32 s16, 0
.LBB424_966:
	s_delay_alu instid0(SALU_CYCLE_1)
	s_and_not1_b32 vcc_lo, exec_lo, s16
	s_mov_b32 s16, 0
	s_cbranch_vccnz .LBB424_974
; %bb.967:
	v_cmp_lt_i16_e32 vcc_lo, 14, v4
	s_mov_b32 s16, -1
	s_cbranch_vccz .LBB424_971
; %bb.968:
	v_cmp_eq_u16_e32 vcc_lo, 15, v4
	s_mov_b32 s0, -1
	s_cbranch_vccz .LBB424_970
; %bb.969:
	v_cvt_f32_ubyte0_e32 v2, v3
	s_mov_b32 s0, 0
	s_delay_alu instid0(VALU_DEP_1) | instskip(NEXT) | instid1(VALU_DEP_1)
	v_bfe_u32 v5, v2, 16, 1
	v_add3_u32 v2, v2, v5, 0x7fff
	global_store_d16_hi_b16 v[0:1], v2, off
.LBB424_970:
	s_mov_b32 s16, 0
.LBB424_971:
	s_delay_alu instid0(SALU_CYCLE_1)
	s_and_b32 vcc_lo, exec_lo, s16
	s_mov_b32 s16, 0
	s_cbranch_vccz .LBB424_974
; %bb.972:
	v_cmp_ne_u16_e32 vcc_lo, 11, v4
	s_and_not1_b32 s0, s0, exec_lo
	s_mov_b32 s16, -1
	s_and_b32 s17, vcc_lo, exec_lo
	s_delay_alu instid0(SALU_CYCLE_1)
	s_or_b32 s0, s0, s17
	s_branch .LBB424_974
.LBB424_973:
	s_mov_b32 s16, 0
.LBB424_974:
	s_and_not1_b32 s12, s12, exec_lo
	s_and_b32 s0, s0, exec_lo
	s_and_b32 s15, s15, exec_lo
	;; [unrolled: 1-line block ×3, first 2 shown]
	s_or_b32 s12, s12, s0
.LBB424_975:
	s_or_b32 exec_lo, exec_lo, s14
	s_and_saveexec_b32 s0, s12
	s_cbranch_execnz .LBB424_1037
; %bb.976:
	s_or_b32 exec_lo, exec_lo, s0
	s_and_saveexec_b32 s0, s16
	s_delay_alu instid0(SALU_CYCLE_1)
	s_xor_b32 s0, exec_lo, s0
	s_cbranch_execz .LBB424_978
.LBB424_977:
	s_waitcnt vmcnt(0)
	v_and_b32_e32 v2, 0xff, v3
	s_delay_alu instid0(VALU_DEP_1)
	v_cmp_ne_u16_e32 vcc_lo, 0, v2
	v_cndmask_b32_e64 v2, 0, 1, vcc_lo
	global_store_b8 v[0:1], v2, off
.LBB424_978:
	s_or_b32 exec_lo, exec_lo, s0
	s_and_saveexec_b32 s0, s15
	s_delay_alu instid0(SALU_CYCLE_1)
	s_xor_b32 s0, exec_lo, s0
	s_cbranch_execz .LBB424_1016
; %bb.979:
	v_cmp_gt_i16_e32 vcc_lo, 5, v4
	s_mov_b32 s12, -1
	s_cbranch_vccnz .LBB424_1000
; %bb.980:
	v_cmp_gt_i16_e32 vcc_lo, 8, v4
	s_cbranch_vccnz .LBB424_990
; %bb.981:
	v_cmp_gt_i16_e32 vcc_lo, 9, v4
	s_cbranch_vccnz .LBB424_987
; %bb.982:
	v_cmp_lt_i16_e32 vcc_lo, 9, v4
	s_cbranch_vccz .LBB424_984
; %bb.983:
	s_waitcnt vmcnt(0)
	v_dual_mov_b32 v7, 0 :: v_dual_and_b32 v2, 0xff, v3
	s_mov_b32 s12, 0
	s_delay_alu instid0(VALU_DEP_1) | instskip(NEXT) | instid1(VALU_DEP_2)
	v_and_b32_e32 v2, 0xffff, v2
	v_mov_b32_e32 v8, v7
	s_delay_alu instid0(VALU_DEP_2)
	v_cvt_f64_u32_e32 v[5:6], v2
	global_store_b128 v[0:1], v[5:8], off
.LBB424_984:
	s_and_not1_b32 vcc_lo, exec_lo, s12
	s_cbranch_vccnz .LBB424_986
; %bb.985:
	s_waitcnt vmcnt(0)
	v_cvt_f32_ubyte0_e32 v5, v3
	v_mov_b32_e32 v6, 0
	global_store_b64 v[0:1], v[5:6], off
.LBB424_986:
	s_mov_b32 s12, 0
.LBB424_987:
	s_delay_alu instid0(SALU_CYCLE_1)
	s_and_not1_b32 vcc_lo, exec_lo, s12
	s_cbranch_vccnz .LBB424_989
; %bb.988:
	s_waitcnt vmcnt(0)
	v_and_b32_e32 v2, 0xff, v3
	s_delay_alu instid0(VALU_DEP_1) | instskip(NEXT) | instid1(VALU_DEP_1)
	v_cvt_f16_u16_e32 v2, v2
	v_and_b32_e32 v2, 0xffff, v2
	global_store_b32 v[0:1], v2, off
.LBB424_989:
	s_mov_b32 s12, 0
.LBB424_990:
	s_delay_alu instid0(SALU_CYCLE_1)
	s_and_not1_b32 vcc_lo, exec_lo, s12
	s_cbranch_vccnz .LBB424_999
; %bb.991:
	v_cmp_gt_i16_e32 vcc_lo, 6, v4
	s_mov_b32 s12, -1
	s_cbranch_vccnz .LBB424_997
; %bb.992:
	v_cmp_lt_i16_e32 vcc_lo, 6, v4
	s_cbranch_vccz .LBB424_994
; %bb.993:
	s_waitcnt vmcnt(0)
	v_and_b32_e32 v2, 0xff, v3
	s_mov_b32 s12, 0
	s_delay_alu instid0(VALU_DEP_1) | instskip(NEXT) | instid1(VALU_DEP_1)
	v_and_b32_e32 v2, 0xffff, v2
	v_cvt_f64_u32_e32 v[5:6], v2
	global_store_b64 v[0:1], v[5:6], off
.LBB424_994:
	s_and_not1_b32 vcc_lo, exec_lo, s12
	s_cbranch_vccnz .LBB424_996
; %bb.995:
	s_waitcnt vmcnt(0)
	v_cvt_f32_ubyte0_e32 v2, v3
	global_store_b32 v[0:1], v2, off
.LBB424_996:
	s_mov_b32 s12, 0
.LBB424_997:
	s_delay_alu instid0(SALU_CYCLE_1)
	s_and_not1_b32 vcc_lo, exec_lo, s12
	s_cbranch_vccnz .LBB424_999
; %bb.998:
	s_waitcnt vmcnt(0)
	v_and_b32_e32 v2, 0xff, v3
	s_delay_alu instid0(VALU_DEP_1)
	v_cvt_f16_u16_e32 v2, v2
	global_store_b16 v[0:1], v2, off
.LBB424_999:
	s_mov_b32 s12, 0
.LBB424_1000:
	s_delay_alu instid0(SALU_CYCLE_1)
	s_and_not1_b32 vcc_lo, exec_lo, s12
	s_cbranch_vccnz .LBB424_1016
; %bb.1001:
	v_cmp_gt_i16_e32 vcc_lo, 2, v4
	s_mov_b32 s12, -1
	s_cbranch_vccnz .LBB424_1011
; %bb.1002:
	v_cmp_gt_i16_e32 vcc_lo, 3, v4
	s_cbranch_vccnz .LBB424_1008
; %bb.1003:
	v_cmp_lt_i16_e32 vcc_lo, 3, v4
	s_cbranch_vccz .LBB424_1005
; %bb.1004:
	s_waitcnt vmcnt(0)
	v_dual_mov_b32 v6, 0 :: v_dual_and_b32 v5, 0xff, v3
	s_mov_b32 s12, 0
	global_store_b64 v[0:1], v[5:6], off
.LBB424_1005:
	s_and_not1_b32 vcc_lo, exec_lo, s12
	s_cbranch_vccnz .LBB424_1007
; %bb.1006:
	s_waitcnt vmcnt(0)
	v_and_b32_e32 v2, 0xff, v3
	global_store_b32 v[0:1], v2, off
.LBB424_1007:
	s_mov_b32 s12, 0
.LBB424_1008:
	s_delay_alu instid0(SALU_CYCLE_1)
	s_and_not1_b32 vcc_lo, exec_lo, s12
	s_cbranch_vccnz .LBB424_1010
; %bb.1009:
	s_waitcnt vmcnt(0)
	v_and_b32_e32 v2, 0xff, v3
	global_store_b16 v[0:1], v2, off
.LBB424_1010:
	s_mov_b32 s12, 0
.LBB424_1011:
	s_delay_alu instid0(SALU_CYCLE_1)
	s_and_not1_b32 vcc_lo, exec_lo, s12
	s_cbranch_vccnz .LBB424_1016
; %bb.1012:
	v_cmp_lt_i16_e32 vcc_lo, 0, v4
	s_mov_b32 s12, -1
	s_cbranch_vccz .LBB424_1014
; %bb.1013:
	s_mov_b32 s12, 0
	s_waitcnt vmcnt(0)
	global_store_b8 v[0:1], v3, off
.LBB424_1014:
	s_and_not1_b32 vcc_lo, exec_lo, s12
	s_cbranch_vccnz .LBB424_1016
; %bb.1015:
	s_waitcnt vmcnt(0)
	global_store_b8 v[0:1], v3, off
.LBB424_1016:
	s_or_b32 exec_lo, exec_lo, s0
	s_delay_alu instid0(SALU_CYCLE_1)
	s_and_b32 s12, s13, exec_lo
                                        ; implicit-def: $vgpr7
.LBB424_1017:
	s_or_saveexec_b32 s11, s11
	s_mov_b32 s0, 0
                                        ; implicit-def: $vgpr6
                                        ; implicit-def: $vgpr0_vgpr1
                                        ; implicit-def: $vgpr2
	s_xor_b32 exec_lo, exec_lo, s11
	s_cbranch_execz .LBB424_1965
; %bb.1018:
	v_mul_lo_u32 v4, s3, v7
	v_and_b32_e64 v8, 0xff, s10
	s_delay_alu instid0(VALU_DEP_1) | instskip(NEXT) | instid1(VALU_DEP_3)
	v_cmp_gt_i16_e32 vcc_lo, 11, v8
	v_ashrrev_i32_e32 v0, 31, v4
	s_waitcnt vmcnt(0)
	v_add_co_u32 v2, s0, s6, v4
	s_delay_alu instid0(VALU_DEP_1)
	v_add_co_ci_u32_e64 v3, s0, s7, v0, s0
	s_cbranch_vccnz .LBB424_1025
; %bb.1019:
	v_cmp_lt_i16_e32 vcc_lo, 25, v8
	s_mov_b32 s10, 0
	s_cbranch_vccz .LBB424_1031
; %bb.1020:
	v_cmp_lt_i16_e32 vcc_lo, 28, v8
	s_cbranch_vccz .LBB424_1033
; %bb.1021:
	v_cmp_lt_i16_e32 vcc_lo, 43, v8
	;; [unrolled: 3-line block ×3, first 2 shown]
	s_cbranch_vccz .LBB424_1039
; %bb.1023:
	v_cmp_eq_u16_e32 vcc_lo, 46, v8
	s_cbranch_vccz .LBB424_1079
; %bb.1024:
	global_load_b32 v0, v[2:3], off
	s_mov_b32 s0, 0
	s_mov_b32 s13, -1
	s_waitcnt vmcnt(0)
	v_lshlrev_b32_e32 v0, 16, v0
	s_delay_alu instid0(VALU_DEP_1) | instskip(NEXT) | instid1(VALU_DEP_1)
	v_trunc_f32_e32 v0, v0
	v_mul_f32_e64 v1, 0x2f800000, |v0|
	s_delay_alu instid0(VALU_DEP_1) | instskip(NEXT) | instid1(VALU_DEP_1)
	v_floor_f32_e32 v1, v1
	v_fma_f32 v1, 0xcf800000, v1, |v0|
	v_ashrrev_i32_e32 v0, 31, v0
	s_delay_alu instid0(VALU_DEP_2) | instskip(NEXT) | instid1(VALU_DEP_1)
	v_cvt_u32_f32_e32 v1, v1
	v_xor_b32_e32 v1, v1, v0
	s_delay_alu instid0(VALU_DEP_1)
	v_sub_nc_u32_e32 v0, v1, v0
	s_branch .LBB424_1081
.LBB424_1025:
	s_mov_b32 s13, 0
	s_mov_b32 s9, s12
                                        ; implicit-def: $vgpr0
	s_cbranch_execz .LBB424_1139
; %bb.1026:
	v_cmp_gt_i16_e32 vcc_lo, 5, v8
	s_cbranch_vccnz .LBB424_1032
; %bb.1027:
	v_cmp_gt_i16_e32 vcc_lo, 8, v8
	s_cbranch_vccnz .LBB424_1034
	;; [unrolled: 3-line block ×3, first 2 shown]
; %bb.1029:
	v_cmp_lt_i16_e32 vcc_lo, 9, v8
	s_cbranch_vccz .LBB424_1040
; %bb.1030:
	global_load_b64 v[0:1], v[2:3], off
	s_mov_b32 s0, 0
	s_waitcnt vmcnt(0)
	v_trunc_f64_e32 v[0:1], v[0:1]
	s_delay_alu instid0(VALU_DEP_1) | instskip(NEXT) | instid1(VALU_DEP_1)
	v_ldexp_f64 v[5:6], v[0:1], 0xffffffe0
	v_floor_f64_e32 v[5:6], v[5:6]
	s_delay_alu instid0(VALU_DEP_1) | instskip(NEXT) | instid1(VALU_DEP_1)
	v_fma_f64 v[0:1], 0xc1f00000, v[5:6], v[0:1]
	v_cvt_u32_f64_e32 v0, v[0:1]
	s_branch .LBB424_1041
.LBB424_1031:
	s_mov_b32 s13, 0
	s_mov_b32 s0, 0
                                        ; implicit-def: $vgpr0
	s_cbranch_execnz .LBB424_1106
	s_branch .LBB424_1135
.LBB424_1032:
                                        ; implicit-def: $vgpr0
	s_branch .LBB424_1058
.LBB424_1033:
	s_mov_b32 s13, 0
	s_mov_b32 s0, 0
                                        ; implicit-def: $vgpr0
	s_cbranch_execz .LBB424_1105
	s_branch .LBB424_1090
.LBB424_1034:
                                        ; implicit-def: $vgpr0
	s_branch .LBB424_1047
.LBB424_1035:
	s_mov_b32 s13, 0
	s_mov_b32 s0, 0
                                        ; implicit-def: $vgpr0
	s_cbranch_execnz .LBB424_1086
	s_branch .LBB424_1089
.LBB424_1036:
	s_mov_b32 s0, -1
                                        ; implicit-def: $vgpr0
	s_branch .LBB424_1044
.LBB424_1037:
	s_cbranch_execnz .LBB424_1077
; %bb.1038:
	s_or_b32 s13, s13, exec_lo
	s_and_not1_b32 s16, s16, exec_lo
	s_or_b32 exec_lo, exec_lo, s0
	s_and_saveexec_b32 s0, s16
	s_delay_alu instid0(SALU_CYCLE_1)
	s_xor_b32 s0, exec_lo, s0
	s_cbranch_execnz .LBB424_977
	s_branch .LBB424_978
.LBB424_1039:
	s_mov_b32 s9, -1
	s_mov_b32 s13, 0
	s_mov_b32 s0, 0
	s_branch .LBB424_1080
.LBB424_1040:
	s_mov_b32 s0, -1
                                        ; implicit-def: $vgpr0
.LBB424_1041:
	s_delay_alu instid0(SALU_CYCLE_1)
	s_and_not1_b32 vcc_lo, exec_lo, s0
	s_cbranch_vccnz .LBB424_1043
; %bb.1042:
	global_load_b32 v0, v[2:3], off
	s_waitcnt vmcnt(0)
	v_trunc_f32_e32 v0, v0
	s_delay_alu instid0(VALU_DEP_1) | instskip(NEXT) | instid1(VALU_DEP_1)
	v_mul_f32_e64 v1, 0x2f800000, |v0|
	v_floor_f32_e32 v1, v1
	s_delay_alu instid0(VALU_DEP_1) | instskip(SKIP_1) | instid1(VALU_DEP_2)
	v_fma_f32 v1, 0xcf800000, v1, |v0|
	v_ashrrev_i32_e32 v0, 31, v0
	v_cvt_u32_f32_e32 v1, v1
	s_delay_alu instid0(VALU_DEP_1) | instskip(NEXT) | instid1(VALU_DEP_1)
	v_xor_b32_e32 v1, v1, v0
	v_sub_nc_u32_e32 v0, v1, v0
.LBB424_1043:
	s_mov_b32 s0, 0
.LBB424_1044:
	s_delay_alu instid0(SALU_CYCLE_1)
	s_and_not1_b32 vcc_lo, exec_lo, s0
	s_cbranch_vccnz .LBB424_1046
; %bb.1045:
	global_load_b32 v0, v[2:3], off
	s_waitcnt vmcnt(0)
	v_cvt_f32_f16_e32 v0, v0
	s_delay_alu instid0(VALU_DEP_1)
	v_cvt_i32_f32_e32 v0, v0
.LBB424_1046:
	s_cbranch_execnz .LBB424_1057
.LBB424_1047:
	v_cmp_gt_i16_e32 vcc_lo, 6, v8
	s_cbranch_vccnz .LBB424_1050
; %bb.1048:
	v_cmp_lt_i16_e32 vcc_lo, 6, v8
	s_cbranch_vccz .LBB424_1051
; %bb.1049:
	global_load_b64 v[0:1], v[2:3], off
	s_mov_b32 s0, 0
	s_waitcnt vmcnt(0)
	v_trunc_f64_e32 v[0:1], v[0:1]
	s_delay_alu instid0(VALU_DEP_1) | instskip(NEXT) | instid1(VALU_DEP_1)
	v_ldexp_f64 v[5:6], v[0:1], 0xffffffe0
	v_floor_f64_e32 v[5:6], v[5:6]
	s_delay_alu instid0(VALU_DEP_1) | instskip(NEXT) | instid1(VALU_DEP_1)
	v_fma_f64 v[0:1], 0xc1f00000, v[5:6], v[0:1]
	v_cvt_u32_f64_e32 v0, v[0:1]
	s_branch .LBB424_1052
.LBB424_1050:
	s_mov_b32 s0, -1
                                        ; implicit-def: $vgpr0
	s_branch .LBB424_1055
.LBB424_1051:
	s_mov_b32 s0, -1
                                        ; implicit-def: $vgpr0
.LBB424_1052:
	s_delay_alu instid0(SALU_CYCLE_1)
	s_and_not1_b32 vcc_lo, exec_lo, s0
	s_cbranch_vccnz .LBB424_1054
; %bb.1053:
	global_load_b32 v0, v[2:3], off
	s_waitcnt vmcnt(0)
	v_trunc_f32_e32 v0, v0
	s_delay_alu instid0(VALU_DEP_1) | instskip(NEXT) | instid1(VALU_DEP_1)
	v_mul_f32_e64 v1, 0x2f800000, |v0|
	v_floor_f32_e32 v1, v1
	s_delay_alu instid0(VALU_DEP_1) | instskip(SKIP_1) | instid1(VALU_DEP_2)
	v_fma_f32 v1, 0xcf800000, v1, |v0|
	v_ashrrev_i32_e32 v0, 31, v0
	v_cvt_u32_f32_e32 v1, v1
	s_delay_alu instid0(VALU_DEP_1) | instskip(NEXT) | instid1(VALU_DEP_1)
	v_xor_b32_e32 v1, v1, v0
	v_sub_nc_u32_e32 v0, v1, v0
.LBB424_1054:
	s_mov_b32 s0, 0
.LBB424_1055:
	s_delay_alu instid0(SALU_CYCLE_1)
	s_and_not1_b32 vcc_lo, exec_lo, s0
	s_cbranch_vccnz .LBB424_1057
; %bb.1056:
	global_load_u16 v0, v[2:3], off
	s_waitcnt vmcnt(0)
	v_cvt_f32_f16_e32 v0, v0
	s_delay_alu instid0(VALU_DEP_1)
	v_cvt_i32_f32_e32 v0, v0
.LBB424_1057:
	s_cbranch_execnz .LBB424_1076
.LBB424_1058:
	v_cmp_gt_i16_e32 vcc_lo, 2, v8
	s_cbranch_vccnz .LBB424_1062
; %bb.1059:
	v_cmp_gt_i16_e32 vcc_lo, 3, v8
	s_cbranch_vccnz .LBB424_1063
; %bb.1060:
	v_cmp_lt_i16_e32 vcc_lo, 3, v8
	s_cbranch_vccz .LBB424_1064
; %bb.1061:
	global_load_b64 v[0:1], v[2:3], off
	s_mov_b32 s0, 0
	s_branch .LBB424_1065
.LBB424_1062:
                                        ; implicit-def: $vgpr0
	s_branch .LBB424_1071
.LBB424_1063:
	s_mov_b32 s0, -1
                                        ; implicit-def: $vgpr0
	s_branch .LBB424_1068
.LBB424_1064:
	s_mov_b32 s0, -1
                                        ; implicit-def: $vgpr0
.LBB424_1065:
	s_delay_alu instid0(SALU_CYCLE_1)
	s_and_not1_b32 vcc_lo, exec_lo, s0
	s_cbranch_vccnz .LBB424_1067
; %bb.1066:
	global_load_b32 v0, v[2:3], off
.LBB424_1067:
	s_mov_b32 s0, 0
.LBB424_1068:
	s_delay_alu instid0(SALU_CYCLE_1)
	s_and_not1_b32 vcc_lo, exec_lo, s0
	s_cbranch_vccnz .LBB424_1070
; %bb.1069:
	global_load_u16 v0, v[2:3], off
.LBB424_1070:
	s_cbranch_execnz .LBB424_1076
.LBB424_1071:
	v_cmp_lt_i16_e32 vcc_lo, 0, v8
	s_mov_b32 s0, 0
	s_cbranch_vccz .LBB424_1073
; %bb.1072:
	global_load_u8 v0, v[2:3], off
	s_branch .LBB424_1074
.LBB424_1073:
	s_mov_b32 s0, -1
                                        ; implicit-def: $vgpr0
.LBB424_1074:
	s_delay_alu instid0(SALU_CYCLE_1)
	s_and_not1_b32 vcc_lo, exec_lo, s0
	s_cbranch_vccnz .LBB424_1076
; %bb.1075:
	global_load_u8 v0, v[2:3], off
.LBB424_1076:
	s_branch .LBB424_1140
.LBB424_1077:
	s_trap 2
	s_sendmsg_rtn_b32 s0, sendmsg(MSG_RTN_GET_DOORBELL)
	s_mov_b32 ttmp2, m0
	s_waitcnt lgkmcnt(0)
	s_and_b32 s0, s0, 0x3ff
	s_delay_alu instid0(SALU_CYCLE_1) | instskip(NEXT) | instid1(SALU_CYCLE_1)
	s_bitset1_b32 s0, 10
	s_mov_b32 m0, s0
	s_sendmsg sendmsg(MSG_INTERRUPT)
	s_mov_b32 m0, ttmp2
.LBB424_1078:                           ; =>This Inner Loop Header: Depth=1
	s_sethalt 5
	s_branch .LBB424_1078
.LBB424_1079:
	s_mov_b32 s0, -1
	s_mov_b32 s13, 0
.LBB424_1080:
                                        ; implicit-def: $vgpr0
.LBB424_1081:
	s_and_b32 vcc_lo, exec_lo, s9
	s_cbranch_vccz .LBB424_1084
; %bb.1082:
	v_cmp_eq_u16_e32 vcc_lo, 44, v8
	s_cbranch_vccz .LBB424_1085
; %bb.1083:
	global_load_u8 v0, v[2:3], off
	s_mov_b32 s0, 0
	s_mov_b32 s13, -1
	s_waitcnt vmcnt(0)
	v_lshlrev_b32_e32 v1, 23, v0
	v_cmp_ne_u32_e32 vcc_lo, 0, v0
	s_delay_alu instid0(VALU_DEP_2) | instskip(NEXT) | instid1(VALU_DEP_1)
	v_trunc_f32_e32 v1, v1
	v_mul_f32_e64 v5, 0x2f800000, |v1|
	s_delay_alu instid0(VALU_DEP_1) | instskip(NEXT) | instid1(VALU_DEP_1)
	v_floor_f32_e32 v5, v5
	v_fma_f32 v5, 0xcf800000, v5, |v1|
	v_ashrrev_i32_e32 v1, 31, v1
	s_delay_alu instid0(VALU_DEP_2) | instskip(NEXT) | instid1(VALU_DEP_1)
	v_cvt_u32_f32_e32 v5, v5
	v_xor_b32_e32 v5, v5, v1
	s_delay_alu instid0(VALU_DEP_1) | instskip(NEXT) | instid1(VALU_DEP_1)
	v_sub_nc_u32_e32 v1, v5, v1
	v_cndmask_b32_e32 v0, 0, v1, vcc_lo
.LBB424_1084:
	s_branch .LBB424_1089
.LBB424_1085:
	s_mov_b32 s0, -1
                                        ; implicit-def: $vgpr0
	s_branch .LBB424_1089
.LBB424_1086:
	v_cmp_eq_u16_e32 vcc_lo, 29, v8
	s_cbranch_vccz .LBB424_1088
; %bb.1087:
	global_load_b64 v[0:1], v[2:3], off
	s_mov_b32 s0, 0
	s_mov_b32 s13, -1
	s_branch .LBB424_1089
.LBB424_1088:
	s_mov_b32 s0, -1
                                        ; implicit-def: $vgpr0
.LBB424_1089:
	s_branch .LBB424_1105
.LBB424_1090:
	v_cmp_gt_i16_e32 vcc_lo, 27, v8
	s_cbranch_vccnz .LBB424_1093
; %bb.1091:
	v_cmp_lt_i16_e32 vcc_lo, 27, v8
	s_cbranch_vccz .LBB424_1094
; %bb.1092:
	global_load_b32 v0, v[2:3], off
	s_mov_b32 s9, 0
	s_branch .LBB424_1095
.LBB424_1093:
	s_mov_b32 s9, -1
                                        ; implicit-def: $vgpr0
	s_branch .LBB424_1098
.LBB424_1094:
	s_mov_b32 s9, -1
                                        ; implicit-def: $vgpr0
.LBB424_1095:
	s_delay_alu instid0(SALU_CYCLE_1)
	s_and_not1_b32 vcc_lo, exec_lo, s9
	s_cbranch_vccnz .LBB424_1097
; %bb.1096:
	global_load_u16 v0, v[2:3], off
.LBB424_1097:
	s_mov_b32 s9, 0
.LBB424_1098:
	s_delay_alu instid0(SALU_CYCLE_1)
	s_and_not1_b32 vcc_lo, exec_lo, s9
	s_cbranch_vccnz .LBB424_1104
; %bb.1099:
	global_load_u8 v1, v[2:3], off
	s_mov_b32 s13, 0
	s_mov_b32 s9, exec_lo
                                        ; implicit-def: $sgpr14
	s_waitcnt vmcnt(0)
	v_cmpx_lt_i16_e32 0x7f, v1
	s_xor_b32 s9, exec_lo, s9
	s_cbranch_execz .LBB424_1115
; %bb.1100:
	v_cmp_ne_u16_e32 vcc_lo, 0x80, v1
	s_mov_b32 s14, 0
	s_and_b32 s13, vcc_lo, exec_lo
	s_or_saveexec_b32 s9, s9
	v_mov_b32_e32 v0, s14
	s_xor_b32 exec_lo, exec_lo, s9
	s_cbranch_execnz .LBB424_1116
.LBB424_1101:
	s_or_b32 exec_lo, exec_lo, s9
	s_and_saveexec_b32 s9, s13
	s_cbranch_execz .LBB424_1103
.LBB424_1102:
	v_and_b32_e32 v0, 0xffff, v1
	v_lshlrev_b32_e32 v1, 24, v1
	s_delay_alu instid0(VALU_DEP_2) | instskip(NEXT) | instid1(VALU_DEP_2)
	v_and_b32_e32 v5, 7, v0
	v_and_b32_e32 v1, 0x80000000, v1
	s_delay_alu instid0(VALU_DEP_2) | instskip(NEXT) | instid1(VALU_DEP_1)
	v_clz_i32_u32_e32 v6, v5
	v_min_u32_e32 v6, 32, v6
	s_delay_alu instid0(VALU_DEP_1) | instskip(SKIP_1) | instid1(VALU_DEP_2)
	v_subrev_nc_u32_e32 v9, 28, v6
	v_sub_nc_u32_e32 v6, 29, v6
	v_lshlrev_b32_e32 v9, v9, v0
	v_bfe_u32 v0, v0, 3, 4
	s_delay_alu instid0(VALU_DEP_2) | instskip(NEXT) | instid1(VALU_DEP_2)
	v_and_b32_e32 v9, 7, v9
	v_cmp_eq_u32_e32 vcc_lo, 0, v0
	s_delay_alu instid0(VALU_DEP_2) | instskip(NEXT) | instid1(VALU_DEP_1)
	v_dual_cndmask_b32 v0, v0, v6 :: v_dual_cndmask_b32 v5, v5, v9
	v_lshl_add_u32 v0, v0, 23, 0x3b800000
	s_delay_alu instid0(VALU_DEP_2) | instskip(NEXT) | instid1(VALU_DEP_1)
	v_lshlrev_b32_e32 v5, 20, v5
	v_or3_b32 v0, v1, v0, v5
	s_delay_alu instid0(VALU_DEP_1) | instskip(NEXT) | instid1(VALU_DEP_1)
	v_trunc_f32_e32 v0, v0
	v_mul_f32_e64 v1, 0x2f800000, |v0|
	s_delay_alu instid0(VALU_DEP_1) | instskip(NEXT) | instid1(VALU_DEP_1)
	v_floor_f32_e32 v1, v1
	v_fma_f32 v1, 0xcf800000, v1, |v0|
	v_ashrrev_i32_e32 v0, 31, v0
	s_delay_alu instid0(VALU_DEP_2) | instskip(NEXT) | instid1(VALU_DEP_1)
	v_cvt_u32_f32_e32 v1, v1
	v_xor_b32_e32 v1, v1, v0
	s_delay_alu instid0(VALU_DEP_1)
	v_sub_nc_u32_e32 v0, v1, v0
.LBB424_1103:
	s_or_b32 exec_lo, exec_lo, s9
.LBB424_1104:
	s_mov_b32 s13, -1
.LBB424_1105:
	s_branch .LBB424_1135
.LBB424_1106:
	v_cmp_lt_i16_e32 vcc_lo, 22, v8
	s_cbranch_vccz .LBB424_1114
; %bb.1107:
	v_cmp_gt_i16_e32 vcc_lo, 24, v8
	s_cbranch_vccnz .LBB424_1117
; %bb.1108:
	v_cmp_lt_i16_e32 vcc_lo, 24, v8
	s_cbranch_vccz .LBB424_1118
; %bb.1109:
	global_load_u8 v1, v[2:3], off
	s_mov_b32 s9, exec_lo
                                        ; implicit-def: $sgpr13
	s_waitcnt vmcnt(0)
	v_cmpx_lt_i16_e32 0x7f, v1
	s_xor_b32 s9, exec_lo, s9
	s_cbranch_execz .LBB424_1129
; %bb.1110:
	v_cmp_ne_u16_e32 vcc_lo, 0x80, v1
	s_mov_b32 s13, 0
	s_and_b32 s10, vcc_lo, exec_lo
	s_or_saveexec_b32 s9, s9
	v_mov_b32_e32 v0, s13
	s_xor_b32 exec_lo, exec_lo, s9
	s_cbranch_execnz .LBB424_1130
.LBB424_1111:
	s_or_b32 exec_lo, exec_lo, s9
	s_and_saveexec_b32 s9, s10
	s_cbranch_execz .LBB424_1113
.LBB424_1112:
	v_and_b32_e32 v0, 0xffff, v1
	v_lshlrev_b32_e32 v1, 24, v1
	s_delay_alu instid0(VALU_DEP_2) | instskip(NEXT) | instid1(VALU_DEP_2)
	v_and_b32_e32 v5, 3, v0
	v_and_b32_e32 v1, 0x80000000, v1
	s_delay_alu instid0(VALU_DEP_2) | instskip(NEXT) | instid1(VALU_DEP_1)
	v_clz_i32_u32_e32 v6, v5
	v_min_u32_e32 v6, 32, v6
	s_delay_alu instid0(VALU_DEP_1) | instskip(SKIP_1) | instid1(VALU_DEP_2)
	v_subrev_nc_u32_e32 v9, 29, v6
	v_sub_nc_u32_e32 v6, 30, v6
	v_lshlrev_b32_e32 v9, v9, v0
	v_bfe_u32 v0, v0, 2, 5
	s_delay_alu instid0(VALU_DEP_2) | instskip(NEXT) | instid1(VALU_DEP_2)
	v_and_b32_e32 v9, 3, v9
	v_cmp_eq_u32_e32 vcc_lo, 0, v0
	s_delay_alu instid0(VALU_DEP_2) | instskip(NEXT) | instid1(VALU_DEP_1)
	v_dual_cndmask_b32 v0, v0, v6 :: v_dual_cndmask_b32 v5, v5, v9
	v_lshl_add_u32 v0, v0, 23, 0x37800000
	s_delay_alu instid0(VALU_DEP_2) | instskip(NEXT) | instid1(VALU_DEP_1)
	v_lshlrev_b32_e32 v5, 21, v5
	v_or3_b32 v0, v1, v0, v5
	s_delay_alu instid0(VALU_DEP_1) | instskip(NEXT) | instid1(VALU_DEP_1)
	v_trunc_f32_e32 v0, v0
	v_mul_f32_e64 v1, 0x2f800000, |v0|
	s_delay_alu instid0(VALU_DEP_1) | instskip(NEXT) | instid1(VALU_DEP_1)
	v_floor_f32_e32 v1, v1
	v_fma_f32 v1, 0xcf800000, v1, |v0|
	v_ashrrev_i32_e32 v0, 31, v0
	s_delay_alu instid0(VALU_DEP_2) | instskip(NEXT) | instid1(VALU_DEP_1)
	v_cvt_u32_f32_e32 v1, v1
	v_xor_b32_e32 v1, v1, v0
	s_delay_alu instid0(VALU_DEP_1)
	v_sub_nc_u32_e32 v0, v1, v0
.LBB424_1113:
	s_or_b32 exec_lo, exec_lo, s9
	s_mov_b32 s9, 0
	s_branch .LBB424_1119
.LBB424_1114:
                                        ; implicit-def: $vgpr0
	s_mov_b32 s10, 0
	s_branch .LBB424_1125
.LBB424_1115:
	s_or_saveexec_b32 s9, s9
	v_mov_b32_e32 v0, s14
	s_xor_b32 exec_lo, exec_lo, s9
	s_cbranch_execz .LBB424_1101
.LBB424_1116:
	v_cmp_ne_u16_e32 vcc_lo, 0, v1
	v_mov_b32_e32 v0, 0
	s_and_not1_b32 s13, s13, exec_lo
	s_and_b32 s14, vcc_lo, exec_lo
	s_delay_alu instid0(SALU_CYCLE_1)
	s_or_b32 s13, s13, s14
	s_or_b32 exec_lo, exec_lo, s9
	s_and_saveexec_b32 s9, s13
	s_cbranch_execnz .LBB424_1102
	s_branch .LBB424_1103
.LBB424_1117:
	s_mov_b32 s9, -1
                                        ; implicit-def: $vgpr0
	s_branch .LBB424_1122
.LBB424_1118:
	s_mov_b32 s9, -1
                                        ; implicit-def: $vgpr0
.LBB424_1119:
	s_delay_alu instid0(SALU_CYCLE_1)
	s_and_b32 vcc_lo, exec_lo, s9
	s_cbranch_vccz .LBB424_1121
; %bb.1120:
	global_load_u8 v0, v[2:3], off
	s_waitcnt vmcnt(0)
	v_lshlrev_b32_e32 v0, 24, v0
	s_delay_alu instid0(VALU_DEP_1) | instskip(NEXT) | instid1(VALU_DEP_1)
	v_and_b32_e32 v1, 0x7f000000, v0
	v_clz_i32_u32_e32 v5, v1
	v_add_nc_u32_e32 v9, 0x1000000, v1
	v_cmp_ne_u32_e32 vcc_lo, 0, v1
	s_delay_alu instid0(VALU_DEP_3) | instskip(NEXT) | instid1(VALU_DEP_1)
	v_min_u32_e32 v5, 32, v5
	v_sub_nc_u32_e64 v5, v5, 4 clamp
	s_delay_alu instid0(VALU_DEP_1) | instskip(SKIP_1) | instid1(VALU_DEP_2)
	v_lshlrev_b32_e32 v6, v5, v1
	v_lshlrev_b32_e32 v5, 23, v5
	v_lshrrev_b32_e32 v6, 4, v6
	s_delay_alu instid0(VALU_DEP_1) | instskip(SKIP_1) | instid1(VALU_DEP_2)
	v_sub_nc_u32_e32 v5, v6, v5
	v_ashrrev_i32_e32 v6, 8, v9
	v_add_nc_u32_e32 v5, 0x3c000000, v5
	s_delay_alu instid0(VALU_DEP_1) | instskip(NEXT) | instid1(VALU_DEP_1)
	v_and_or_b32 v5, 0x7f800000, v6, v5
	v_cndmask_b32_e32 v1, 0, v5, vcc_lo
	s_delay_alu instid0(VALU_DEP_1) | instskip(NEXT) | instid1(VALU_DEP_1)
	v_and_or_b32 v0, 0x80000000, v0, v1
	v_trunc_f32_e32 v0, v0
	s_delay_alu instid0(VALU_DEP_1) | instskip(NEXT) | instid1(VALU_DEP_1)
	v_mul_f32_e64 v1, 0x2f800000, |v0|
	v_floor_f32_e32 v1, v1
	s_delay_alu instid0(VALU_DEP_1) | instskip(SKIP_1) | instid1(VALU_DEP_2)
	v_fma_f32 v1, 0xcf800000, v1, |v0|
	v_ashrrev_i32_e32 v0, 31, v0
	v_cvt_u32_f32_e32 v1, v1
	s_delay_alu instid0(VALU_DEP_1) | instskip(NEXT) | instid1(VALU_DEP_1)
	v_xor_b32_e32 v1, v1, v0
	v_sub_nc_u32_e32 v0, v1, v0
.LBB424_1121:
	s_mov_b32 s9, 0
.LBB424_1122:
	s_delay_alu instid0(SALU_CYCLE_1)
	s_and_not1_b32 vcc_lo, exec_lo, s9
	s_cbranch_vccnz .LBB424_1124
; %bb.1123:
	global_load_u8 v0, v[2:3], off
	s_waitcnt vmcnt(0)
	v_lshlrev_b32_e32 v1, 25, v0
	v_lshlrev_b16 v0, 8, v0
	s_delay_alu instid0(VALU_DEP_1) | instskip(SKIP_1) | instid1(VALU_DEP_2)
	v_and_or_b32 v6, 0x7f00, v0, 0.5
	v_bfe_i32 v0, v0, 0, 16
	v_add_f32_e32 v6, -0.5, v6
	v_lshrrev_b32_e32 v5, 4, v1
	v_cmp_gt_u32_e32 vcc_lo, 0x8000000, v1
	s_delay_alu instid0(VALU_DEP_2) | instskip(NEXT) | instid1(VALU_DEP_1)
	v_or_b32_e32 v5, 0x70000000, v5
	v_mul_f32_e32 v5, 0x7800000, v5
	s_delay_alu instid0(VALU_DEP_1) | instskip(NEXT) | instid1(VALU_DEP_1)
	v_cndmask_b32_e32 v1, v5, v6, vcc_lo
	v_and_or_b32 v0, 0x80000000, v0, v1
	s_delay_alu instid0(VALU_DEP_1) | instskip(NEXT) | instid1(VALU_DEP_1)
	v_trunc_f32_e32 v0, v0
	v_mul_f32_e64 v1, 0x2f800000, |v0|
	s_delay_alu instid0(VALU_DEP_1) | instskip(NEXT) | instid1(VALU_DEP_1)
	v_floor_f32_e32 v1, v1
	v_fma_f32 v1, 0xcf800000, v1, |v0|
	v_ashrrev_i32_e32 v0, 31, v0
	s_delay_alu instid0(VALU_DEP_2) | instskip(NEXT) | instid1(VALU_DEP_1)
	v_cvt_u32_f32_e32 v1, v1
	v_xor_b32_e32 v1, v1, v0
	s_delay_alu instid0(VALU_DEP_1)
	v_sub_nc_u32_e32 v0, v1, v0
.LBB424_1124:
	s_mov_b32 s13, -1
	s_mov_b32 s10, 0
	s_cbranch_execnz .LBB424_1135
.LBB424_1125:
	v_cmp_lt_i16_e32 vcc_lo, 14, v8
	s_cbranch_vccz .LBB424_1128
; %bb.1126:
	v_cmp_eq_u16_e32 vcc_lo, 15, v8
	s_cbranch_vccz .LBB424_1131
; %bb.1127:
	global_load_u16 v0, v[2:3], off
	s_mov_b32 s0, 0
	s_mov_b32 s13, -1
	s_waitcnt vmcnt(0)
	v_lshlrev_b32_e32 v0, 16, v0
	s_delay_alu instid0(VALU_DEP_1) | instskip(NEXT) | instid1(VALU_DEP_1)
	v_trunc_f32_e32 v0, v0
	v_mul_f32_e64 v1, 0x2f800000, |v0|
	s_delay_alu instid0(VALU_DEP_1) | instskip(NEXT) | instid1(VALU_DEP_1)
	v_floor_f32_e32 v1, v1
	v_fma_f32 v1, 0xcf800000, v1, |v0|
	v_ashrrev_i32_e32 v0, 31, v0
	s_delay_alu instid0(VALU_DEP_2) | instskip(NEXT) | instid1(VALU_DEP_1)
	v_cvt_u32_f32_e32 v1, v1
	v_xor_b32_e32 v1, v1, v0
	s_delay_alu instid0(VALU_DEP_1)
	v_sub_nc_u32_e32 v0, v1, v0
	s_branch .LBB424_1132
.LBB424_1128:
	s_mov_b32 s9, -1
                                        ; implicit-def: $vgpr0
	s_branch .LBB424_1133
.LBB424_1129:
	s_or_saveexec_b32 s9, s9
	v_mov_b32_e32 v0, s13
	s_xor_b32 exec_lo, exec_lo, s9
	s_cbranch_execz .LBB424_1111
.LBB424_1130:
	v_cmp_ne_u16_e32 vcc_lo, 0, v1
	v_mov_b32_e32 v0, 0
	s_and_not1_b32 s10, s10, exec_lo
	s_and_b32 s13, vcc_lo, exec_lo
	s_delay_alu instid0(SALU_CYCLE_1)
	s_or_b32 s10, s10, s13
	s_or_b32 exec_lo, exec_lo, s9
	s_and_saveexec_b32 s9, s10
	s_cbranch_execnz .LBB424_1112
	s_branch .LBB424_1113
.LBB424_1131:
	s_mov_b32 s0, -1
                                        ; implicit-def: $vgpr0
.LBB424_1132:
	s_mov_b32 s9, 0
.LBB424_1133:
	s_delay_alu instid0(SALU_CYCLE_1)
	s_and_b32 vcc_lo, exec_lo, s9
	s_cbranch_vccz .LBB424_1135
; %bb.1134:
	v_cmp_ne_u16_e64 s0, 11, v8
	s_mov_b32 s10, -1
                                        ; implicit-def: $vgpr0
.LBB424_1135:
	s_delay_alu instid0(VALU_DEP_1)
	s_and_b32 vcc_lo, exec_lo, s0
	s_mov_b32 s9, s12
	s_cbranch_vccnz .LBB424_1159
; %bb.1136:
	s_and_not1_b32 vcc_lo, exec_lo, s10
	s_cbranch_vccnz .LBB424_1138
.LBB424_1137:
	global_load_u8 v0, v[2:3], off
	s_mov_b32 s13, -1
	s_waitcnt vmcnt(0)
	v_cmp_ne_u16_e32 vcc_lo, 0, v0
	v_cndmask_b32_e64 v0, 0, 1, vcc_lo
.LBB424_1138:
.LBB424_1139:
	s_and_not1_b32 vcc_lo, exec_lo, s13
	s_cbranch_vccnz .LBB424_1963
.LBB424_1140:
	s_lshl_b32 s3, s3, 7
	v_cmp_gt_i16_e32 vcc_lo, 11, v8
	v_add_nc_u32_e32 v5, s3, v4
	s_and_b32 vcc_lo, exec_lo, vcc_lo
	s_waitcnt vmcnt(0)
	s_delay_alu instid0(VALU_DEP_1) | instskip(SKIP_1) | instid1(VALU_DEP_1)
	v_ashrrev_i32_e32 v1, 31, v5
	v_add_co_u32 v3, s0, s6, v5
	v_add_co_ci_u32_e64 v4, s0, s7, v1, s0
	s_cbranch_vccnz .LBB424_1147
; %bb.1141:
	v_cmp_lt_i16_e32 vcc_lo, 25, v8
	s_mov_b32 s10, 0
	s_cbranch_vccz .LBB424_1153
; %bb.1142:
	v_cmp_lt_i16_e32 vcc_lo, 28, v8
	s_cbranch_vccz .LBB424_1155
; %bb.1143:
	v_cmp_lt_i16_e32 vcc_lo, 43, v8
	;; [unrolled: 3-line block ×3, first 2 shown]
	s_cbranch_vccz .LBB424_1163
; %bb.1145:
	v_cmp_eq_u16_e32 vcc_lo, 46, v8
	s_mov_b32 s14, 0
	s_cbranch_vccz .LBB424_1207
; %bb.1146:
	global_load_b32 v1, v[3:4], off
	s_mov_b32 s0, 0
	s_mov_b32 s13, -1
	s_waitcnt vmcnt(0)
	v_lshlrev_b32_e32 v1, 16, v1
	s_delay_alu instid0(VALU_DEP_1) | instskip(NEXT) | instid1(VALU_DEP_1)
	v_trunc_f32_e32 v1, v1
	v_mul_f32_e64 v2, 0x2f800000, |v1|
	s_delay_alu instid0(VALU_DEP_1) | instskip(NEXT) | instid1(VALU_DEP_1)
	v_floor_f32_e32 v2, v2
	v_fma_f32 v2, 0xcf800000, v2, |v1|
	v_ashrrev_i32_e32 v1, 31, v1
	s_delay_alu instid0(VALU_DEP_2) | instskip(NEXT) | instid1(VALU_DEP_1)
	v_cvt_u32_f32_e32 v2, v2
	v_xor_b32_e32 v2, v2, v1
	s_delay_alu instid0(VALU_DEP_1)
	v_sub_nc_u32_e32 v1, v2, v1
	s_branch .LBB424_1209
.LBB424_1147:
	s_mov_b32 s13, 0
                                        ; implicit-def: $vgpr1
	s_cbranch_execz .LBB424_1270
; %bb.1148:
	v_cmp_gt_i16_e32 vcc_lo, 5, v8
	s_cbranch_vccnz .LBB424_1154
; %bb.1149:
	v_cmp_gt_i16_e32 vcc_lo, 8, v8
	s_cbranch_vccnz .LBB424_1156
; %bb.1150:
	v_cmp_gt_i16_e32 vcc_lo, 9, v8
	s_cbranch_vccnz .LBB424_1158
; %bb.1151:
	v_cmp_lt_i16_e32 vcc_lo, 9, v8
	s_cbranch_vccz .LBB424_1164
; %bb.1152:
	global_load_b64 v[1:2], v[3:4], off
	s_mov_b32 s0, 0
	s_waitcnt vmcnt(0)
	v_trunc_f64_e32 v[1:2], v[1:2]
	s_delay_alu instid0(VALU_DEP_1) | instskip(NEXT) | instid1(VALU_DEP_1)
	v_ldexp_f64 v[9:10], v[1:2], 0xffffffe0
	v_floor_f64_e32 v[9:10], v[9:10]
	s_delay_alu instid0(VALU_DEP_1) | instskip(NEXT) | instid1(VALU_DEP_1)
	v_fma_f64 v[1:2], 0xc1f00000, v[9:10], v[1:2]
	v_cvt_u32_f64_e32 v1, v[1:2]
	s_branch .LBB424_1165
.LBB424_1153:
	s_mov_b32 s13, 0
	s_mov_b32 s0, 0
                                        ; implicit-def: $vgpr1
	s_cbranch_execnz .LBB424_1236
	s_branch .LBB424_1266
.LBB424_1154:
                                        ; implicit-def: $vgpr1
	s_branch .LBB424_1183
.LBB424_1155:
	s_mov_b32 s14, -1
	s_mov_b32 s13, 0
	s_mov_b32 s0, 0
                                        ; implicit-def: $vgpr1
	s_branch .LBB424_1219
.LBB424_1156:
	s_mov_b32 s0, -1
                                        ; implicit-def: $vgpr1
	s_branch .LBB424_1171
.LBB424_1157:
	s_mov_b32 s14, -1
	s_mov_b32 s13, 0
	s_mov_b32 s0, 0
                                        ; implicit-def: $vgpr1
	s_branch .LBB424_1214
.LBB424_1158:
	s_mov_b32 s0, -1
                                        ; implicit-def: $vgpr1
	s_branch .LBB424_1168
.LBB424_1159:
	s_cbranch_execnz .LBB424_1203
; %bb.1160:
	s_or_b32 s9, s12, exec_lo
                                        ; implicit-def: $vgpr0
	s_cbranch_execz .LBB424_1137
	s_branch .LBB424_1138
.LBB424_1161:
	s_or_saveexec_b32 s17, s17
                                        ; implicit-def: $sgpr18
	s_delay_alu instid0(SALU_CYCLE_1)
	s_xor_b32 exec_lo, exec_lo, s17
	s_cbranch_execz .LBB424_928
.LBB424_1162:
	v_add_f32_e32 v2, 0x46000000, v5
	s_and_not1_b32 s16, s16, exec_lo
	s_mov_b32 s18, 0
	s_delay_alu instid0(VALU_DEP_1) | instskip(NEXT) | instid1(VALU_DEP_1)
	v_and_b32_e32 v2, 0xff, v2
	v_cmp_ne_u32_e32 vcc_lo, 0, v2
	s_and_b32 s19, vcc_lo, exec_lo
	s_delay_alu instid0(SALU_CYCLE_1)
	s_or_b32 s16, s16, s19
	s_or_b32 exec_lo, exec_lo, s17
	v_mov_b32_e32 v6, s18
	s_and_saveexec_b32 s17, s16
	s_cbranch_execnz .LBB424_929
	s_branch .LBB424_930
.LBB424_1163:
	s_mov_b32 s14, -1
	s_mov_b32 s13, 0
	s_mov_b32 s0, 0
	s_branch .LBB424_1208
.LBB424_1164:
	s_mov_b32 s0, -1
                                        ; implicit-def: $vgpr1
.LBB424_1165:
	s_delay_alu instid0(SALU_CYCLE_1)
	s_and_not1_b32 vcc_lo, exec_lo, s0
	s_cbranch_vccnz .LBB424_1167
; %bb.1166:
	global_load_b32 v1, v[3:4], off
	s_waitcnt vmcnt(0)
	v_trunc_f32_e32 v1, v1
	s_delay_alu instid0(VALU_DEP_1) | instskip(NEXT) | instid1(VALU_DEP_1)
	v_mul_f32_e64 v2, 0x2f800000, |v1|
	v_floor_f32_e32 v2, v2
	s_delay_alu instid0(VALU_DEP_1) | instskip(SKIP_1) | instid1(VALU_DEP_2)
	v_fma_f32 v2, 0xcf800000, v2, |v1|
	v_ashrrev_i32_e32 v1, 31, v1
	v_cvt_u32_f32_e32 v2, v2
	s_delay_alu instid0(VALU_DEP_1) | instskip(NEXT) | instid1(VALU_DEP_1)
	v_xor_b32_e32 v2, v2, v1
	v_sub_nc_u32_e32 v1, v2, v1
.LBB424_1167:
	s_mov_b32 s0, 0
.LBB424_1168:
	s_delay_alu instid0(SALU_CYCLE_1)
	s_and_not1_b32 vcc_lo, exec_lo, s0
	s_cbranch_vccnz .LBB424_1170
; %bb.1169:
	global_load_b32 v1, v[3:4], off
	s_waitcnt vmcnt(0)
	v_cvt_f32_f16_e32 v1, v1
	s_delay_alu instid0(VALU_DEP_1)
	v_cvt_i32_f32_e32 v1, v1
.LBB424_1170:
	s_mov_b32 s0, 0
.LBB424_1171:
	s_delay_alu instid0(SALU_CYCLE_1)
	s_and_not1_b32 vcc_lo, exec_lo, s0
	s_cbranch_vccnz .LBB424_1182
; %bb.1172:
	v_cmp_gt_i16_e32 vcc_lo, 6, v8
	s_cbranch_vccnz .LBB424_1175
; %bb.1173:
	v_cmp_lt_i16_e32 vcc_lo, 6, v8
	s_cbranch_vccz .LBB424_1176
; %bb.1174:
	global_load_b64 v[1:2], v[3:4], off
	s_mov_b32 s0, 0
	s_waitcnt vmcnt(0)
	v_trunc_f64_e32 v[1:2], v[1:2]
	s_delay_alu instid0(VALU_DEP_1) | instskip(NEXT) | instid1(VALU_DEP_1)
	v_ldexp_f64 v[9:10], v[1:2], 0xffffffe0
	v_floor_f64_e32 v[9:10], v[9:10]
	s_delay_alu instid0(VALU_DEP_1) | instskip(NEXT) | instid1(VALU_DEP_1)
	v_fma_f64 v[1:2], 0xc1f00000, v[9:10], v[1:2]
	v_cvt_u32_f64_e32 v1, v[1:2]
	s_branch .LBB424_1177
.LBB424_1175:
	s_mov_b32 s0, -1
                                        ; implicit-def: $vgpr1
	s_branch .LBB424_1180
.LBB424_1176:
	s_mov_b32 s0, -1
                                        ; implicit-def: $vgpr1
.LBB424_1177:
	s_delay_alu instid0(SALU_CYCLE_1)
	s_and_not1_b32 vcc_lo, exec_lo, s0
	s_cbranch_vccnz .LBB424_1179
; %bb.1178:
	global_load_b32 v1, v[3:4], off
	s_waitcnt vmcnt(0)
	v_trunc_f32_e32 v1, v1
	s_delay_alu instid0(VALU_DEP_1) | instskip(NEXT) | instid1(VALU_DEP_1)
	v_mul_f32_e64 v2, 0x2f800000, |v1|
	v_floor_f32_e32 v2, v2
	s_delay_alu instid0(VALU_DEP_1) | instskip(SKIP_1) | instid1(VALU_DEP_2)
	v_fma_f32 v2, 0xcf800000, v2, |v1|
	v_ashrrev_i32_e32 v1, 31, v1
	v_cvt_u32_f32_e32 v2, v2
	s_delay_alu instid0(VALU_DEP_1) | instskip(NEXT) | instid1(VALU_DEP_1)
	v_xor_b32_e32 v2, v2, v1
	v_sub_nc_u32_e32 v1, v2, v1
.LBB424_1179:
	s_mov_b32 s0, 0
.LBB424_1180:
	s_delay_alu instid0(SALU_CYCLE_1)
	s_and_not1_b32 vcc_lo, exec_lo, s0
	s_cbranch_vccnz .LBB424_1182
; %bb.1181:
	global_load_u16 v1, v[3:4], off
	s_waitcnt vmcnt(0)
	v_cvt_f32_f16_e32 v1, v1
	s_delay_alu instid0(VALU_DEP_1)
	v_cvt_i32_f32_e32 v1, v1
.LBB424_1182:
	s_cbranch_execnz .LBB424_1202
.LBB424_1183:
	v_cmp_gt_i16_e32 vcc_lo, 2, v8
	s_cbranch_vccnz .LBB424_1187
; %bb.1184:
	v_cmp_gt_i16_e32 vcc_lo, 3, v8
	s_cbranch_vccnz .LBB424_1188
; %bb.1185:
	v_cmp_lt_i16_e32 vcc_lo, 3, v8
	s_cbranch_vccz .LBB424_1189
; %bb.1186:
	global_load_b64 v[1:2], v[3:4], off
	s_mov_b32 s0, 0
	s_branch .LBB424_1190
.LBB424_1187:
	s_mov_b32 s0, -1
                                        ; implicit-def: $vgpr1
	s_branch .LBB424_1196
.LBB424_1188:
	s_mov_b32 s0, -1
                                        ; implicit-def: $vgpr1
	s_branch .LBB424_1193
.LBB424_1189:
	s_mov_b32 s0, -1
                                        ; implicit-def: $vgpr1
.LBB424_1190:
	s_delay_alu instid0(SALU_CYCLE_1)
	s_and_not1_b32 vcc_lo, exec_lo, s0
	s_cbranch_vccnz .LBB424_1192
; %bb.1191:
	global_load_b32 v1, v[3:4], off
.LBB424_1192:
	s_mov_b32 s0, 0
.LBB424_1193:
	s_delay_alu instid0(SALU_CYCLE_1)
	s_and_not1_b32 vcc_lo, exec_lo, s0
	s_cbranch_vccnz .LBB424_1195
; %bb.1194:
	global_load_u16 v1, v[3:4], off
.LBB424_1195:
	s_mov_b32 s0, 0
.LBB424_1196:
	s_delay_alu instid0(SALU_CYCLE_1)
	s_and_not1_b32 vcc_lo, exec_lo, s0
	s_cbranch_vccnz .LBB424_1202
; %bb.1197:
	v_cmp_lt_i16_e32 vcc_lo, 0, v8
	s_mov_b32 s0, 0
	s_cbranch_vccz .LBB424_1199
; %bb.1198:
	global_load_u8 v1, v[3:4], off
	s_branch .LBB424_1200
.LBB424_1199:
	s_mov_b32 s0, -1
                                        ; implicit-def: $vgpr1
.LBB424_1200:
	s_delay_alu instid0(SALU_CYCLE_1)
	s_and_not1_b32 vcc_lo, exec_lo, s0
	s_cbranch_vccnz .LBB424_1202
; %bb.1201:
	global_load_u8 v1, v[3:4], off
.LBB424_1202:
	s_branch .LBB424_1271
.LBB424_1203:
	s_trap 2
	s_sendmsg_rtn_b32 s0, sendmsg(MSG_RTN_GET_DOORBELL)
	s_mov_b32 ttmp2, m0
	s_waitcnt lgkmcnt(0)
	s_and_b32 s0, s0, 0x3ff
	s_delay_alu instid0(SALU_CYCLE_1) | instskip(NEXT) | instid1(SALU_CYCLE_1)
	s_bitset1_b32 s0, 10
	s_mov_b32 m0, s0
	s_sendmsg sendmsg(MSG_INTERRUPT)
	s_mov_b32 m0, ttmp2
.LBB424_1204:                           ; =>This Inner Loop Header: Depth=1
	s_sethalt 5
	s_branch .LBB424_1204
.LBB424_1205:
	s_or_saveexec_b32 s18, s18
                                        ; implicit-def: $sgpr19
	s_delay_alu instid0(SALU_CYCLE_1)
	s_xor_b32 exec_lo, exec_lo, s18
	s_cbranch_execz .LBB424_940
.LBB424_1206:
	v_add_f32_e32 v2, 0x42800000, v5
	s_and_not1_b32 s17, s17, exec_lo
	s_mov_b32 s19, 0
	s_delay_alu instid0(VALU_DEP_1) | instskip(NEXT) | instid1(VALU_DEP_1)
	v_and_b32_e32 v2, 0xff, v2
	v_cmp_ne_u32_e32 vcc_lo, 0, v2
	s_and_b32 s20, vcc_lo, exec_lo
	s_delay_alu instid0(SALU_CYCLE_1)
	s_or_b32 s17, s17, s20
	s_or_b32 exec_lo, exec_lo, s18
	v_mov_b32_e32 v6, s19
	s_and_saveexec_b32 s18, s17
	s_cbranch_execnz .LBB424_941
	s_branch .LBB424_942
.LBB424_1207:
	s_mov_b32 s0, -1
	s_mov_b32 s13, 0
.LBB424_1208:
                                        ; implicit-def: $vgpr1
.LBB424_1209:
	s_and_b32 vcc_lo, exec_lo, s14
	s_cbranch_vccz .LBB424_1213
; %bb.1210:
	v_cmp_eq_u16_e32 vcc_lo, 44, v8
	s_cbranch_vccz .LBB424_1212
; %bb.1211:
	global_load_u8 v1, v[3:4], off
	s_mov_b32 s0, 0
	s_mov_b32 s13, -1
	s_waitcnt vmcnt(0)
	v_lshlrev_b32_e32 v2, 23, v1
	v_cmp_ne_u32_e32 vcc_lo, 0, v1
	s_delay_alu instid0(VALU_DEP_2) | instskip(NEXT) | instid1(VALU_DEP_1)
	v_trunc_f32_e32 v2, v2
	v_mul_f32_e64 v6, 0x2f800000, |v2|
	s_delay_alu instid0(VALU_DEP_1) | instskip(NEXT) | instid1(VALU_DEP_1)
	v_floor_f32_e32 v6, v6
	v_fma_f32 v6, 0xcf800000, v6, |v2|
	v_ashrrev_i32_e32 v2, 31, v2
	s_delay_alu instid0(VALU_DEP_2) | instskip(NEXT) | instid1(VALU_DEP_1)
	v_cvt_u32_f32_e32 v6, v6
	v_xor_b32_e32 v6, v6, v2
	s_delay_alu instid0(VALU_DEP_1) | instskip(NEXT) | instid1(VALU_DEP_1)
	v_sub_nc_u32_e32 v2, v6, v2
	v_cndmask_b32_e32 v1, 0, v2, vcc_lo
	s_branch .LBB424_1213
.LBB424_1212:
	s_mov_b32 s0, -1
                                        ; implicit-def: $vgpr1
.LBB424_1213:
	s_mov_b32 s14, 0
.LBB424_1214:
	s_delay_alu instid0(SALU_CYCLE_1)
	s_and_b32 vcc_lo, exec_lo, s14
	s_cbranch_vccz .LBB424_1218
; %bb.1215:
	v_cmp_eq_u16_e32 vcc_lo, 29, v8
	s_cbranch_vccz .LBB424_1217
; %bb.1216:
	global_load_b64 v[1:2], v[3:4], off
	s_mov_b32 s0, 0
	s_mov_b32 s13, -1
	s_branch .LBB424_1218
.LBB424_1217:
	s_mov_b32 s0, -1
                                        ; implicit-def: $vgpr1
.LBB424_1218:
	s_mov_b32 s14, 0
.LBB424_1219:
	s_delay_alu instid0(SALU_CYCLE_1)
	s_and_b32 vcc_lo, exec_lo, s14
	s_cbranch_vccz .LBB424_1235
; %bb.1220:
	v_cmp_gt_i16_e32 vcc_lo, 27, v8
	s_cbranch_vccnz .LBB424_1223
; %bb.1221:
	v_cmp_lt_i16_e32 vcc_lo, 27, v8
	s_cbranch_vccz .LBB424_1224
; %bb.1222:
	global_load_b32 v1, v[3:4], off
	s_mov_b32 s13, 0
	s_branch .LBB424_1225
.LBB424_1223:
	s_mov_b32 s13, -1
                                        ; implicit-def: $vgpr1
	s_branch .LBB424_1228
.LBB424_1224:
	s_mov_b32 s13, -1
                                        ; implicit-def: $vgpr1
.LBB424_1225:
	s_delay_alu instid0(SALU_CYCLE_1)
	s_and_not1_b32 vcc_lo, exec_lo, s13
	s_cbranch_vccnz .LBB424_1227
; %bb.1226:
	global_load_u16 v1, v[3:4], off
.LBB424_1227:
	s_mov_b32 s13, 0
.LBB424_1228:
	s_delay_alu instid0(SALU_CYCLE_1)
	s_and_not1_b32 vcc_lo, exec_lo, s13
	s_cbranch_vccnz .LBB424_1234
; %bb.1229:
	global_load_u8 v2, v[3:4], off
	s_mov_b32 s14, 0
	s_mov_b32 s13, exec_lo
                                        ; implicit-def: $sgpr15
	s_waitcnt vmcnt(0)
	v_cmpx_lt_i16_e32 0x7f, v2
	s_xor_b32 s13, exec_lo, s13
	s_cbranch_execz .LBB424_1245
; %bb.1230:
	v_cmp_ne_u16_e32 vcc_lo, 0x80, v2
	s_mov_b32 s15, 0
	s_and_b32 s14, vcc_lo, exec_lo
	s_or_saveexec_b32 s13, s13
	v_mov_b32_e32 v1, s15
	s_xor_b32 exec_lo, exec_lo, s13
	s_cbranch_execnz .LBB424_1246
.LBB424_1231:
	s_or_b32 exec_lo, exec_lo, s13
	s_and_saveexec_b32 s13, s14
	s_cbranch_execz .LBB424_1233
.LBB424_1232:
	v_and_b32_e32 v1, 0xffff, v2
	v_lshlrev_b32_e32 v2, 24, v2
	s_delay_alu instid0(VALU_DEP_2) | instskip(NEXT) | instid1(VALU_DEP_2)
	v_and_b32_e32 v6, 7, v1
	v_and_b32_e32 v2, 0x80000000, v2
	s_delay_alu instid0(VALU_DEP_2) | instskip(NEXT) | instid1(VALU_DEP_1)
	v_clz_i32_u32_e32 v9, v6
	v_min_u32_e32 v9, 32, v9
	s_delay_alu instid0(VALU_DEP_1) | instskip(SKIP_1) | instid1(VALU_DEP_2)
	v_subrev_nc_u32_e32 v10, 28, v9
	v_sub_nc_u32_e32 v9, 29, v9
	v_lshlrev_b32_e32 v10, v10, v1
	v_bfe_u32 v1, v1, 3, 4
	s_delay_alu instid0(VALU_DEP_1) | instskip(NEXT) | instid1(VALU_DEP_3)
	v_cmp_eq_u32_e32 vcc_lo, 0, v1
	v_dual_cndmask_b32 v1, v1, v9 :: v_dual_and_b32 v10, 7, v10
	s_delay_alu instid0(VALU_DEP_1) | instskip(NEXT) | instid1(VALU_DEP_2)
	v_cndmask_b32_e32 v6, v6, v10, vcc_lo
	v_lshl_add_u32 v1, v1, 23, 0x3b800000
	s_delay_alu instid0(VALU_DEP_2) | instskip(NEXT) | instid1(VALU_DEP_1)
	v_lshlrev_b32_e32 v6, 20, v6
	v_or3_b32 v1, v2, v1, v6
	s_delay_alu instid0(VALU_DEP_1) | instskip(NEXT) | instid1(VALU_DEP_1)
	v_trunc_f32_e32 v1, v1
	v_mul_f32_e64 v2, 0x2f800000, |v1|
	s_delay_alu instid0(VALU_DEP_1) | instskip(NEXT) | instid1(VALU_DEP_1)
	v_floor_f32_e32 v2, v2
	v_fma_f32 v2, 0xcf800000, v2, |v1|
	v_ashrrev_i32_e32 v1, 31, v1
	s_delay_alu instid0(VALU_DEP_2) | instskip(NEXT) | instid1(VALU_DEP_1)
	v_cvt_u32_f32_e32 v2, v2
	v_xor_b32_e32 v2, v2, v1
	s_delay_alu instid0(VALU_DEP_1)
	v_sub_nc_u32_e32 v1, v2, v1
.LBB424_1233:
	s_or_b32 exec_lo, exec_lo, s13
.LBB424_1234:
	s_mov_b32 s13, -1
.LBB424_1235:
	s_branch .LBB424_1266
.LBB424_1236:
	v_cmp_lt_i16_e32 vcc_lo, 22, v8
	s_cbranch_vccz .LBB424_1244
; %bb.1237:
	v_cmp_gt_i16_e32 vcc_lo, 24, v8
	s_cbranch_vccnz .LBB424_1247
; %bb.1238:
	v_cmp_lt_i16_e32 vcc_lo, 24, v8
	s_cbranch_vccz .LBB424_1248
; %bb.1239:
	global_load_u8 v2, v[3:4], off
	s_mov_b32 s13, 0
	s_mov_b32 s10, exec_lo
                                        ; implicit-def: $sgpr14
	s_waitcnt vmcnt(0)
	v_cmpx_lt_i16_e32 0x7f, v2
	s_xor_b32 s10, exec_lo, s10
	s_cbranch_execz .LBB424_1260
; %bb.1240:
	v_cmp_ne_u16_e32 vcc_lo, 0x80, v2
	s_mov_b32 s14, 0
	s_and_b32 s13, vcc_lo, exec_lo
	s_or_saveexec_b32 s10, s10
	v_mov_b32_e32 v1, s14
	s_xor_b32 exec_lo, exec_lo, s10
	s_cbranch_execnz .LBB424_1261
.LBB424_1241:
	s_or_b32 exec_lo, exec_lo, s10
	s_and_saveexec_b32 s10, s13
	s_cbranch_execz .LBB424_1243
.LBB424_1242:
	v_and_b32_e32 v1, 0xffff, v2
	v_lshlrev_b32_e32 v2, 24, v2
	s_delay_alu instid0(VALU_DEP_2) | instskip(NEXT) | instid1(VALU_DEP_2)
	v_and_b32_e32 v6, 3, v1
	v_and_b32_e32 v2, 0x80000000, v2
	s_delay_alu instid0(VALU_DEP_2) | instskip(NEXT) | instid1(VALU_DEP_1)
	v_clz_i32_u32_e32 v9, v6
	v_min_u32_e32 v9, 32, v9
	s_delay_alu instid0(VALU_DEP_1) | instskip(SKIP_1) | instid1(VALU_DEP_2)
	v_subrev_nc_u32_e32 v10, 29, v9
	v_sub_nc_u32_e32 v9, 30, v9
	v_lshlrev_b32_e32 v10, v10, v1
	v_bfe_u32 v1, v1, 2, 5
	s_delay_alu instid0(VALU_DEP_1) | instskip(NEXT) | instid1(VALU_DEP_3)
	v_cmp_eq_u32_e32 vcc_lo, 0, v1
	v_dual_cndmask_b32 v1, v1, v9 :: v_dual_and_b32 v10, 3, v10
	s_delay_alu instid0(VALU_DEP_1) | instskip(NEXT) | instid1(VALU_DEP_2)
	v_cndmask_b32_e32 v6, v6, v10, vcc_lo
	v_lshl_add_u32 v1, v1, 23, 0x37800000
	s_delay_alu instid0(VALU_DEP_2) | instskip(NEXT) | instid1(VALU_DEP_1)
	v_lshlrev_b32_e32 v6, 21, v6
	v_or3_b32 v1, v2, v1, v6
	s_delay_alu instid0(VALU_DEP_1) | instskip(NEXT) | instid1(VALU_DEP_1)
	v_trunc_f32_e32 v1, v1
	v_mul_f32_e64 v2, 0x2f800000, |v1|
	s_delay_alu instid0(VALU_DEP_1) | instskip(NEXT) | instid1(VALU_DEP_1)
	v_floor_f32_e32 v2, v2
	v_fma_f32 v2, 0xcf800000, v2, |v1|
	v_ashrrev_i32_e32 v1, 31, v1
	s_delay_alu instid0(VALU_DEP_2) | instskip(NEXT) | instid1(VALU_DEP_1)
	v_cvt_u32_f32_e32 v2, v2
	v_xor_b32_e32 v2, v2, v1
	s_delay_alu instid0(VALU_DEP_1)
	v_sub_nc_u32_e32 v1, v2, v1
.LBB424_1243:
	s_or_b32 exec_lo, exec_lo, s10
	s_mov_b32 s10, 0
	s_branch .LBB424_1249
.LBB424_1244:
	s_mov_b32 s10, -1
                                        ; implicit-def: $vgpr1
	s_branch .LBB424_1255
.LBB424_1245:
	s_or_saveexec_b32 s13, s13
	v_mov_b32_e32 v1, s15
	s_xor_b32 exec_lo, exec_lo, s13
	s_cbranch_execz .LBB424_1231
.LBB424_1246:
	v_cmp_ne_u16_e32 vcc_lo, 0, v2
	v_mov_b32_e32 v1, 0
	s_and_not1_b32 s14, s14, exec_lo
	s_and_b32 s15, vcc_lo, exec_lo
	s_delay_alu instid0(SALU_CYCLE_1)
	s_or_b32 s14, s14, s15
	s_or_b32 exec_lo, exec_lo, s13
	s_and_saveexec_b32 s13, s14
	s_cbranch_execnz .LBB424_1232
	s_branch .LBB424_1233
.LBB424_1247:
	s_mov_b32 s10, -1
                                        ; implicit-def: $vgpr1
	s_branch .LBB424_1252
.LBB424_1248:
	s_mov_b32 s10, -1
                                        ; implicit-def: $vgpr1
.LBB424_1249:
	s_delay_alu instid0(SALU_CYCLE_1)
	s_and_b32 vcc_lo, exec_lo, s10
	s_cbranch_vccz .LBB424_1251
; %bb.1250:
	global_load_u8 v1, v[3:4], off
	s_waitcnt vmcnt(0)
	v_lshlrev_b32_e32 v1, 24, v1
	s_delay_alu instid0(VALU_DEP_1) | instskip(NEXT) | instid1(VALU_DEP_1)
	v_and_b32_e32 v2, 0x7f000000, v1
	v_clz_i32_u32_e32 v6, v2
	v_add_nc_u32_e32 v10, 0x1000000, v2
	v_cmp_ne_u32_e32 vcc_lo, 0, v2
	s_delay_alu instid0(VALU_DEP_3) | instskip(NEXT) | instid1(VALU_DEP_1)
	v_min_u32_e32 v6, 32, v6
	v_sub_nc_u32_e64 v6, v6, 4 clamp
	s_delay_alu instid0(VALU_DEP_1) | instskip(SKIP_1) | instid1(VALU_DEP_2)
	v_lshlrev_b32_e32 v9, v6, v2
	v_lshlrev_b32_e32 v6, 23, v6
	v_lshrrev_b32_e32 v9, 4, v9
	s_delay_alu instid0(VALU_DEP_1) | instskip(SKIP_1) | instid1(VALU_DEP_2)
	v_sub_nc_u32_e32 v6, v9, v6
	v_ashrrev_i32_e32 v9, 8, v10
	v_add_nc_u32_e32 v6, 0x3c000000, v6
	s_delay_alu instid0(VALU_DEP_1) | instskip(NEXT) | instid1(VALU_DEP_1)
	v_and_or_b32 v6, 0x7f800000, v9, v6
	v_cndmask_b32_e32 v2, 0, v6, vcc_lo
	s_delay_alu instid0(VALU_DEP_1) | instskip(NEXT) | instid1(VALU_DEP_1)
	v_and_or_b32 v1, 0x80000000, v1, v2
	v_trunc_f32_e32 v1, v1
	s_delay_alu instid0(VALU_DEP_1) | instskip(NEXT) | instid1(VALU_DEP_1)
	v_mul_f32_e64 v2, 0x2f800000, |v1|
	v_floor_f32_e32 v2, v2
	s_delay_alu instid0(VALU_DEP_1) | instskip(SKIP_1) | instid1(VALU_DEP_2)
	v_fma_f32 v2, 0xcf800000, v2, |v1|
	v_ashrrev_i32_e32 v1, 31, v1
	v_cvt_u32_f32_e32 v2, v2
	s_delay_alu instid0(VALU_DEP_1) | instskip(NEXT) | instid1(VALU_DEP_1)
	v_xor_b32_e32 v2, v2, v1
	v_sub_nc_u32_e32 v1, v2, v1
.LBB424_1251:
	s_mov_b32 s10, 0
.LBB424_1252:
	s_delay_alu instid0(SALU_CYCLE_1)
	s_and_not1_b32 vcc_lo, exec_lo, s10
	s_cbranch_vccnz .LBB424_1254
; %bb.1253:
	global_load_u8 v1, v[3:4], off
	s_waitcnt vmcnt(0)
	v_lshlrev_b32_e32 v2, 25, v1
	v_lshlrev_b16 v1, 8, v1
	s_delay_alu instid0(VALU_DEP_2) | instskip(NEXT) | instid1(VALU_DEP_2)
	v_lshrrev_b32_e32 v6, 4, v2
	v_and_or_b32 v9, 0x7f00, v1, 0.5
	v_cmp_gt_u32_e32 vcc_lo, 0x8000000, v2
	v_bfe_i32 v1, v1, 0, 16
	s_delay_alu instid0(VALU_DEP_4) | instskip(NEXT) | instid1(VALU_DEP_1)
	v_or_b32_e32 v6, 0x70000000, v6
	v_dual_add_f32 v9, -0.5, v9 :: v_dual_mul_f32 v6, 0x7800000, v6
	s_delay_alu instid0(VALU_DEP_1) | instskip(NEXT) | instid1(VALU_DEP_1)
	v_cndmask_b32_e32 v2, v6, v9, vcc_lo
	v_and_or_b32 v1, 0x80000000, v1, v2
	s_delay_alu instid0(VALU_DEP_1) | instskip(NEXT) | instid1(VALU_DEP_1)
	v_trunc_f32_e32 v1, v1
	v_mul_f32_e64 v2, 0x2f800000, |v1|
	s_delay_alu instid0(VALU_DEP_1) | instskip(NEXT) | instid1(VALU_DEP_1)
	v_floor_f32_e32 v2, v2
	v_fma_f32 v2, 0xcf800000, v2, |v1|
	v_ashrrev_i32_e32 v1, 31, v1
	s_delay_alu instid0(VALU_DEP_2) | instskip(NEXT) | instid1(VALU_DEP_1)
	v_cvt_u32_f32_e32 v2, v2
	v_xor_b32_e32 v2, v2, v1
	s_delay_alu instid0(VALU_DEP_1)
	v_sub_nc_u32_e32 v1, v2, v1
.LBB424_1254:
	s_mov_b32 s10, 0
	s_mov_b32 s13, -1
.LBB424_1255:
	s_and_not1_b32 vcc_lo, exec_lo, s10
	s_mov_b32 s10, 0
	s_cbranch_vccnz .LBB424_1266
; %bb.1256:
	v_cmp_lt_i16_e32 vcc_lo, 14, v8
	s_cbranch_vccz .LBB424_1259
; %bb.1257:
	v_cmp_eq_u16_e32 vcc_lo, 15, v8
	s_cbranch_vccz .LBB424_1262
; %bb.1258:
	global_load_u16 v1, v[3:4], off
	s_mov_b32 s0, 0
	s_mov_b32 s13, -1
	s_waitcnt vmcnt(0)
	v_lshlrev_b32_e32 v1, 16, v1
	s_delay_alu instid0(VALU_DEP_1) | instskip(NEXT) | instid1(VALU_DEP_1)
	v_trunc_f32_e32 v1, v1
	v_mul_f32_e64 v2, 0x2f800000, |v1|
	s_delay_alu instid0(VALU_DEP_1) | instskip(NEXT) | instid1(VALU_DEP_1)
	v_floor_f32_e32 v2, v2
	v_fma_f32 v2, 0xcf800000, v2, |v1|
	v_ashrrev_i32_e32 v1, 31, v1
	s_delay_alu instid0(VALU_DEP_2) | instskip(NEXT) | instid1(VALU_DEP_1)
	v_cvt_u32_f32_e32 v2, v2
	v_xor_b32_e32 v2, v2, v1
	s_delay_alu instid0(VALU_DEP_1)
	v_sub_nc_u32_e32 v1, v2, v1
	s_branch .LBB424_1264
.LBB424_1259:
	s_mov_b32 s10, -1
	s_branch .LBB424_1263
.LBB424_1260:
	s_or_saveexec_b32 s10, s10
	v_mov_b32_e32 v1, s14
	s_xor_b32 exec_lo, exec_lo, s10
	s_cbranch_execz .LBB424_1241
.LBB424_1261:
	v_cmp_ne_u16_e32 vcc_lo, 0, v2
	v_mov_b32_e32 v1, 0
	s_and_not1_b32 s13, s13, exec_lo
	s_and_b32 s14, vcc_lo, exec_lo
	s_delay_alu instid0(SALU_CYCLE_1)
	s_or_b32 s13, s13, s14
	s_or_b32 exec_lo, exec_lo, s10
	s_and_saveexec_b32 s10, s13
	s_cbranch_execnz .LBB424_1242
	s_branch .LBB424_1243
.LBB424_1262:
	s_mov_b32 s0, -1
.LBB424_1263:
                                        ; implicit-def: $vgpr1
.LBB424_1264:
	s_and_b32 vcc_lo, exec_lo, s10
	s_mov_b32 s10, 0
	s_cbranch_vccz .LBB424_1266
; %bb.1265:
	v_cmp_ne_u16_e64 s0, 11, v8
	s_mov_b32 s10, -1
                                        ; implicit-def: $vgpr1
.LBB424_1266:
	s_delay_alu instid0(VALU_DEP_1)
	s_and_b32 vcc_lo, exec_lo, s0
	s_cbranch_vccnz .LBB424_1290
; %bb.1267:
	s_and_not1_b32 vcc_lo, exec_lo, s10
	s_cbranch_vccnz .LBB424_1269
.LBB424_1268:
	global_load_u8 v1, v[3:4], off
	s_mov_b32 s13, -1
	s_waitcnt vmcnt(0)
	v_cmp_ne_u16_e32 vcc_lo, 0, v1
	v_cndmask_b32_e64 v1, 0, 1, vcc_lo
.LBB424_1269:
.LBB424_1270:
	s_and_not1_b32 vcc_lo, exec_lo, s13
	s_cbranch_vccnz .LBB424_1963
.LBB424_1271:
	v_add_nc_u32_e32 v6, s3, v5
	v_cmp_gt_i16_e32 vcc_lo, 11, v8
	s_waitcnt vmcnt(0)
	s_delay_alu instid0(VALU_DEP_2) | instskip(SKIP_1) | instid1(VALU_DEP_1)
	v_ashrrev_i32_e32 v2, 31, v6
	v_add_co_u32 v4, s0, s6, v6
	v_add_co_ci_u32_e64 v5, s0, s7, v2, s0
	s_cbranch_vccnz .LBB424_1278
; %bb.1272:
	v_cmp_lt_i16_e32 vcc_lo, 25, v8
	s_mov_b32 s10, 0
	s_cbranch_vccz .LBB424_1284
; %bb.1273:
	v_cmp_lt_i16_e32 vcc_lo, 28, v8
	s_cbranch_vccz .LBB424_1286
; %bb.1274:
	v_cmp_lt_i16_e32 vcc_lo, 43, v8
	;; [unrolled: 3-line block ×3, first 2 shown]
	s_cbranch_vccz .LBB424_1292
; %bb.1276:
	v_cmp_eq_u16_e32 vcc_lo, 46, v8
	s_mov_b32 s14, 0
	s_cbranch_vccz .LBB424_1335
; %bb.1277:
	global_load_b32 v2, v[4:5], off
	s_mov_b32 s0, 0
	s_mov_b32 s13, -1
	s_waitcnt vmcnt(0)
	v_lshlrev_b32_e32 v2, 16, v2
	s_delay_alu instid0(VALU_DEP_1) | instskip(NEXT) | instid1(VALU_DEP_1)
	v_trunc_f32_e32 v2, v2
	v_mul_f32_e64 v3, 0x2f800000, |v2|
	s_delay_alu instid0(VALU_DEP_1) | instskip(NEXT) | instid1(VALU_DEP_1)
	v_floor_f32_e32 v3, v3
	v_fma_f32 v3, 0xcf800000, v3, |v2|
	v_ashrrev_i32_e32 v2, 31, v2
	s_delay_alu instid0(VALU_DEP_2) | instskip(NEXT) | instid1(VALU_DEP_1)
	v_cvt_u32_f32_e32 v3, v3
	v_xor_b32_e32 v3, v3, v2
	s_delay_alu instid0(VALU_DEP_1)
	v_sub_nc_u32_e32 v2, v3, v2
	s_branch .LBB424_1337
.LBB424_1278:
	s_mov_b32 s13, 0
                                        ; implicit-def: $vgpr2
	s_cbranch_execz .LBB424_1399
; %bb.1279:
	v_cmp_gt_i16_e32 vcc_lo, 5, v8
	s_cbranch_vccnz .LBB424_1285
; %bb.1280:
	v_cmp_gt_i16_e32 vcc_lo, 8, v8
	s_cbranch_vccnz .LBB424_1287
	;; [unrolled: 3-line block ×3, first 2 shown]
; %bb.1282:
	v_cmp_lt_i16_e32 vcc_lo, 9, v8
	s_cbranch_vccz .LBB424_1293
; %bb.1283:
	global_load_b64 v[2:3], v[4:5], off
	s_mov_b32 s0, 0
	s_waitcnt vmcnt(0)
	v_trunc_f64_e32 v[2:3], v[2:3]
	s_delay_alu instid0(VALU_DEP_1) | instskip(NEXT) | instid1(VALU_DEP_1)
	v_ldexp_f64 v[9:10], v[2:3], 0xffffffe0
	v_floor_f64_e32 v[9:10], v[9:10]
	s_delay_alu instid0(VALU_DEP_1) | instskip(NEXT) | instid1(VALU_DEP_1)
	v_fma_f64 v[2:3], 0xc1f00000, v[9:10], v[2:3]
	v_cvt_u32_f64_e32 v2, v[2:3]
	s_branch .LBB424_1294
.LBB424_1284:
	s_mov_b32 s14, -1
	s_mov_b32 s13, 0
	s_mov_b32 s0, 0
                                        ; implicit-def: $vgpr2
	s_branch .LBB424_1364
.LBB424_1285:
	s_mov_b32 s0, -1
                                        ; implicit-def: $vgpr2
	s_branch .LBB424_1312
.LBB424_1286:
	s_mov_b32 s14, -1
	s_mov_b32 s13, 0
	s_mov_b32 s0, 0
                                        ; implicit-def: $vgpr2
	s_branch .LBB424_1347
.LBB424_1287:
	s_mov_b32 s0, -1
                                        ; implicit-def: $vgpr2
	s_branch .LBB424_1300
.LBB424_1288:
	s_mov_b32 s14, -1
	s_mov_b32 s13, 0
	s_mov_b32 s0, 0
                                        ; implicit-def: $vgpr2
	s_branch .LBB424_1342
.LBB424_1289:
	s_mov_b32 s0, -1
                                        ; implicit-def: $vgpr2
	s_branch .LBB424_1297
.LBB424_1290:
	s_cbranch_execnz .LBB424_1333
; %bb.1291:
	s_or_b32 s9, s9, exec_lo
                                        ; implicit-def: $vgpr1
	s_cbranch_execz .LBB424_1268
	s_branch .LBB424_1269
.LBB424_1292:
	s_mov_b32 s14, -1
	s_mov_b32 s13, 0
	s_mov_b32 s0, 0
	s_branch .LBB424_1336
.LBB424_1293:
	s_mov_b32 s0, -1
                                        ; implicit-def: $vgpr2
.LBB424_1294:
	s_delay_alu instid0(SALU_CYCLE_1)
	s_and_not1_b32 vcc_lo, exec_lo, s0
	s_cbranch_vccnz .LBB424_1296
; %bb.1295:
	global_load_b32 v2, v[4:5], off
	s_waitcnt vmcnt(0)
	v_trunc_f32_e32 v2, v2
	s_delay_alu instid0(VALU_DEP_1) | instskip(NEXT) | instid1(VALU_DEP_1)
	v_mul_f32_e64 v3, 0x2f800000, |v2|
	v_floor_f32_e32 v3, v3
	s_delay_alu instid0(VALU_DEP_1) | instskip(SKIP_1) | instid1(VALU_DEP_2)
	v_fma_f32 v3, 0xcf800000, v3, |v2|
	v_ashrrev_i32_e32 v2, 31, v2
	v_cvt_u32_f32_e32 v3, v3
	s_delay_alu instid0(VALU_DEP_1) | instskip(NEXT) | instid1(VALU_DEP_1)
	v_xor_b32_e32 v3, v3, v2
	v_sub_nc_u32_e32 v2, v3, v2
.LBB424_1296:
	s_mov_b32 s0, 0
.LBB424_1297:
	s_delay_alu instid0(SALU_CYCLE_1)
	s_and_not1_b32 vcc_lo, exec_lo, s0
	s_cbranch_vccnz .LBB424_1299
; %bb.1298:
	global_load_b32 v2, v[4:5], off
	s_waitcnt vmcnt(0)
	v_cvt_f32_f16_e32 v2, v2
	s_delay_alu instid0(VALU_DEP_1)
	v_cvt_i32_f32_e32 v2, v2
.LBB424_1299:
	s_mov_b32 s0, 0
.LBB424_1300:
	s_delay_alu instid0(SALU_CYCLE_1)
	s_and_not1_b32 vcc_lo, exec_lo, s0
	s_cbranch_vccnz .LBB424_1311
; %bb.1301:
	v_cmp_gt_i16_e32 vcc_lo, 6, v8
	s_cbranch_vccnz .LBB424_1304
; %bb.1302:
	v_cmp_lt_i16_e32 vcc_lo, 6, v8
	s_cbranch_vccz .LBB424_1305
; %bb.1303:
	global_load_b64 v[2:3], v[4:5], off
	s_mov_b32 s0, 0
	s_waitcnt vmcnt(0)
	v_trunc_f64_e32 v[2:3], v[2:3]
	s_delay_alu instid0(VALU_DEP_1) | instskip(NEXT) | instid1(VALU_DEP_1)
	v_ldexp_f64 v[9:10], v[2:3], 0xffffffe0
	v_floor_f64_e32 v[9:10], v[9:10]
	s_delay_alu instid0(VALU_DEP_1) | instskip(NEXT) | instid1(VALU_DEP_1)
	v_fma_f64 v[2:3], 0xc1f00000, v[9:10], v[2:3]
	v_cvt_u32_f64_e32 v2, v[2:3]
	s_branch .LBB424_1306
.LBB424_1304:
	s_mov_b32 s0, -1
                                        ; implicit-def: $vgpr2
	s_branch .LBB424_1309
.LBB424_1305:
	s_mov_b32 s0, -1
                                        ; implicit-def: $vgpr2
.LBB424_1306:
	s_delay_alu instid0(SALU_CYCLE_1)
	s_and_not1_b32 vcc_lo, exec_lo, s0
	s_cbranch_vccnz .LBB424_1308
; %bb.1307:
	global_load_b32 v2, v[4:5], off
	s_waitcnt vmcnt(0)
	v_trunc_f32_e32 v2, v2
	s_delay_alu instid0(VALU_DEP_1) | instskip(NEXT) | instid1(VALU_DEP_1)
	v_mul_f32_e64 v3, 0x2f800000, |v2|
	v_floor_f32_e32 v3, v3
	s_delay_alu instid0(VALU_DEP_1) | instskip(SKIP_1) | instid1(VALU_DEP_2)
	v_fma_f32 v3, 0xcf800000, v3, |v2|
	v_ashrrev_i32_e32 v2, 31, v2
	v_cvt_u32_f32_e32 v3, v3
	s_delay_alu instid0(VALU_DEP_1) | instskip(NEXT) | instid1(VALU_DEP_1)
	v_xor_b32_e32 v3, v3, v2
	v_sub_nc_u32_e32 v2, v3, v2
.LBB424_1308:
	s_mov_b32 s0, 0
.LBB424_1309:
	s_delay_alu instid0(SALU_CYCLE_1)
	s_and_not1_b32 vcc_lo, exec_lo, s0
	s_cbranch_vccnz .LBB424_1311
; %bb.1310:
	global_load_u16 v2, v[4:5], off
	s_waitcnt vmcnt(0)
	v_cvt_f32_f16_e32 v2, v2
	s_delay_alu instid0(VALU_DEP_1)
	v_cvt_i32_f32_e32 v2, v2
.LBB424_1311:
	s_mov_b32 s0, 0
.LBB424_1312:
	s_delay_alu instid0(SALU_CYCLE_1)
	s_and_not1_b32 vcc_lo, exec_lo, s0
	s_cbranch_vccnz .LBB424_1332
; %bb.1313:
	v_cmp_gt_i16_e32 vcc_lo, 2, v8
	s_cbranch_vccnz .LBB424_1317
; %bb.1314:
	v_cmp_gt_i16_e32 vcc_lo, 3, v8
	s_cbranch_vccnz .LBB424_1318
; %bb.1315:
	v_cmp_lt_i16_e32 vcc_lo, 3, v8
	s_cbranch_vccz .LBB424_1319
; %bb.1316:
	global_load_b64 v[2:3], v[4:5], off
	s_mov_b32 s0, 0
	s_branch .LBB424_1320
.LBB424_1317:
	s_mov_b32 s0, -1
                                        ; implicit-def: $vgpr2
	s_branch .LBB424_1326
.LBB424_1318:
	s_mov_b32 s0, -1
                                        ; implicit-def: $vgpr2
	s_branch .LBB424_1323
.LBB424_1319:
	s_mov_b32 s0, -1
                                        ; implicit-def: $vgpr2
.LBB424_1320:
	s_delay_alu instid0(SALU_CYCLE_1)
	s_and_not1_b32 vcc_lo, exec_lo, s0
	s_cbranch_vccnz .LBB424_1322
; %bb.1321:
	global_load_b32 v2, v[4:5], off
.LBB424_1322:
	s_mov_b32 s0, 0
.LBB424_1323:
	s_delay_alu instid0(SALU_CYCLE_1)
	s_and_not1_b32 vcc_lo, exec_lo, s0
	s_cbranch_vccnz .LBB424_1325
; %bb.1324:
	global_load_u16 v2, v[4:5], off
.LBB424_1325:
	s_mov_b32 s0, 0
.LBB424_1326:
	s_delay_alu instid0(SALU_CYCLE_1)
	s_and_not1_b32 vcc_lo, exec_lo, s0
	s_cbranch_vccnz .LBB424_1332
; %bb.1327:
	v_cmp_lt_i16_e32 vcc_lo, 0, v8
	s_mov_b32 s0, 0
	s_cbranch_vccz .LBB424_1329
; %bb.1328:
	global_load_u8 v2, v[4:5], off
	s_branch .LBB424_1330
.LBB424_1329:
	s_mov_b32 s0, -1
                                        ; implicit-def: $vgpr2
.LBB424_1330:
	s_delay_alu instid0(SALU_CYCLE_1)
	s_and_not1_b32 vcc_lo, exec_lo, s0
	s_cbranch_vccnz .LBB424_1332
; %bb.1331:
	global_load_u8 v2, v[4:5], off
.LBB424_1332:
	s_branch .LBB424_1400
.LBB424_1333:
	s_trap 2
	s_sendmsg_rtn_b32 s0, sendmsg(MSG_RTN_GET_DOORBELL)
	s_mov_b32 ttmp2, m0
	s_waitcnt lgkmcnt(0)
	s_and_b32 s0, s0, 0x3ff
	s_delay_alu instid0(SALU_CYCLE_1) | instskip(NEXT) | instid1(SALU_CYCLE_1)
	s_bitset1_b32 s0, 10
	s_mov_b32 m0, s0
	s_sendmsg sendmsg(MSG_INTERRUPT)
	s_mov_b32 m0, ttmp2
.LBB424_1334:                           ; =>This Inner Loop Header: Depth=1
	s_sethalt 5
	s_branch .LBB424_1334
.LBB424_1335:
	s_mov_b32 s0, -1
	s_mov_b32 s13, 0
.LBB424_1336:
                                        ; implicit-def: $vgpr2
.LBB424_1337:
	s_and_b32 vcc_lo, exec_lo, s14
	s_cbranch_vccz .LBB424_1341
; %bb.1338:
	v_cmp_eq_u16_e32 vcc_lo, 44, v8
	s_cbranch_vccz .LBB424_1340
; %bb.1339:
	global_load_u8 v2, v[4:5], off
	s_mov_b32 s0, 0
	s_mov_b32 s13, -1
	s_waitcnt vmcnt(0)
	v_lshlrev_b32_e32 v3, 23, v2
	v_cmp_ne_u32_e32 vcc_lo, 0, v2
	s_delay_alu instid0(VALU_DEP_2) | instskip(NEXT) | instid1(VALU_DEP_1)
	v_trunc_f32_e32 v3, v3
	v_mul_f32_e64 v9, 0x2f800000, |v3|
	s_delay_alu instid0(VALU_DEP_1) | instskip(NEXT) | instid1(VALU_DEP_1)
	v_floor_f32_e32 v9, v9
	v_fma_f32 v9, 0xcf800000, v9, |v3|
	v_ashrrev_i32_e32 v3, 31, v3
	s_delay_alu instid0(VALU_DEP_2) | instskip(NEXT) | instid1(VALU_DEP_1)
	v_cvt_u32_f32_e32 v9, v9
	v_xor_b32_e32 v9, v9, v3
	s_delay_alu instid0(VALU_DEP_1) | instskip(NEXT) | instid1(VALU_DEP_1)
	v_sub_nc_u32_e32 v3, v9, v3
	v_cndmask_b32_e32 v2, 0, v3, vcc_lo
	s_branch .LBB424_1341
.LBB424_1340:
	s_mov_b32 s0, -1
                                        ; implicit-def: $vgpr2
.LBB424_1341:
	s_mov_b32 s14, 0
.LBB424_1342:
	s_delay_alu instid0(SALU_CYCLE_1)
	s_and_b32 vcc_lo, exec_lo, s14
	s_cbranch_vccz .LBB424_1346
; %bb.1343:
	v_cmp_eq_u16_e32 vcc_lo, 29, v8
	s_cbranch_vccz .LBB424_1345
; %bb.1344:
	global_load_b64 v[2:3], v[4:5], off
	s_mov_b32 s0, 0
	s_mov_b32 s13, -1
	s_branch .LBB424_1346
.LBB424_1345:
	s_mov_b32 s0, -1
                                        ; implicit-def: $vgpr2
.LBB424_1346:
	s_mov_b32 s14, 0
.LBB424_1347:
	s_delay_alu instid0(SALU_CYCLE_1)
	s_and_b32 vcc_lo, exec_lo, s14
	s_cbranch_vccz .LBB424_1363
; %bb.1348:
	v_cmp_gt_i16_e32 vcc_lo, 27, v8
	s_cbranch_vccnz .LBB424_1351
; %bb.1349:
	v_cmp_lt_i16_e32 vcc_lo, 27, v8
	s_cbranch_vccz .LBB424_1352
; %bb.1350:
	global_load_b32 v2, v[4:5], off
	s_mov_b32 s13, 0
	s_branch .LBB424_1353
.LBB424_1351:
	s_mov_b32 s13, -1
                                        ; implicit-def: $vgpr2
	s_branch .LBB424_1356
.LBB424_1352:
	s_mov_b32 s13, -1
                                        ; implicit-def: $vgpr2
.LBB424_1353:
	s_delay_alu instid0(SALU_CYCLE_1)
	s_and_not1_b32 vcc_lo, exec_lo, s13
	s_cbranch_vccnz .LBB424_1355
; %bb.1354:
	global_load_u16 v2, v[4:5], off
.LBB424_1355:
	s_mov_b32 s13, 0
.LBB424_1356:
	s_delay_alu instid0(SALU_CYCLE_1)
	s_and_not1_b32 vcc_lo, exec_lo, s13
	s_cbranch_vccnz .LBB424_1362
; %bb.1357:
	global_load_u8 v3, v[4:5], off
	s_mov_b32 s14, 0
	s_mov_b32 s13, exec_lo
                                        ; implicit-def: $sgpr15
	s_waitcnt vmcnt(0)
	v_cmpx_lt_i16_e32 0x7f, v3
	s_xor_b32 s13, exec_lo, s13
	s_cbranch_execz .LBB424_1374
; %bb.1358:
	v_cmp_ne_u16_e32 vcc_lo, 0x80, v3
	s_mov_b32 s15, 0
	s_and_b32 s14, vcc_lo, exec_lo
	s_or_saveexec_b32 s13, s13
	v_mov_b32_e32 v2, s15
	s_xor_b32 exec_lo, exec_lo, s13
	s_cbranch_execnz .LBB424_1375
.LBB424_1359:
	s_or_b32 exec_lo, exec_lo, s13
	s_and_saveexec_b32 s13, s14
	s_cbranch_execz .LBB424_1361
.LBB424_1360:
	v_and_b32_e32 v2, 0xffff, v3
	v_lshlrev_b32_e32 v3, 24, v3
	s_delay_alu instid0(VALU_DEP_2) | instskip(NEXT) | instid1(VALU_DEP_2)
	v_and_b32_e32 v9, 7, v2
	v_and_b32_e32 v3, 0x80000000, v3
	s_delay_alu instid0(VALU_DEP_2) | instskip(NEXT) | instid1(VALU_DEP_1)
	v_clz_i32_u32_e32 v10, v9
	v_min_u32_e32 v10, 32, v10
	s_delay_alu instid0(VALU_DEP_1) | instskip(SKIP_1) | instid1(VALU_DEP_2)
	v_subrev_nc_u32_e32 v11, 28, v10
	v_sub_nc_u32_e32 v10, 29, v10
	v_lshlrev_b32_e32 v11, v11, v2
	v_bfe_u32 v2, v2, 3, 4
	s_delay_alu instid0(VALU_DEP_1) | instskip(NEXT) | instid1(VALU_DEP_3)
	v_cmp_eq_u32_e32 vcc_lo, 0, v2
	v_dual_cndmask_b32 v2, v2, v10 :: v_dual_and_b32 v11, 7, v11
	s_delay_alu instid0(VALU_DEP_1) | instskip(NEXT) | instid1(VALU_DEP_2)
	v_cndmask_b32_e32 v9, v9, v11, vcc_lo
	v_lshl_add_u32 v2, v2, 23, 0x3b800000
	s_delay_alu instid0(VALU_DEP_2) | instskip(NEXT) | instid1(VALU_DEP_1)
	v_lshlrev_b32_e32 v9, 20, v9
	v_or3_b32 v2, v3, v2, v9
	s_delay_alu instid0(VALU_DEP_1) | instskip(NEXT) | instid1(VALU_DEP_1)
	v_trunc_f32_e32 v2, v2
	v_mul_f32_e64 v3, 0x2f800000, |v2|
	s_delay_alu instid0(VALU_DEP_1) | instskip(NEXT) | instid1(VALU_DEP_1)
	v_floor_f32_e32 v3, v3
	v_fma_f32 v3, 0xcf800000, v3, |v2|
	v_ashrrev_i32_e32 v2, 31, v2
	s_delay_alu instid0(VALU_DEP_2) | instskip(NEXT) | instid1(VALU_DEP_1)
	v_cvt_u32_f32_e32 v3, v3
	v_xor_b32_e32 v3, v3, v2
	s_delay_alu instid0(VALU_DEP_1)
	v_sub_nc_u32_e32 v2, v3, v2
.LBB424_1361:
	s_or_b32 exec_lo, exec_lo, s13
.LBB424_1362:
	s_mov_b32 s13, -1
.LBB424_1363:
	s_mov_b32 s14, 0
.LBB424_1364:
	s_delay_alu instid0(SALU_CYCLE_1)
	s_and_b32 vcc_lo, exec_lo, s14
	s_cbranch_vccz .LBB424_1395
; %bb.1365:
	v_cmp_lt_i16_e32 vcc_lo, 22, v8
	s_cbranch_vccz .LBB424_1373
; %bb.1366:
	v_cmp_gt_i16_e32 vcc_lo, 24, v8
	s_cbranch_vccnz .LBB424_1376
; %bb.1367:
	v_cmp_lt_i16_e32 vcc_lo, 24, v8
	s_cbranch_vccz .LBB424_1377
; %bb.1368:
	global_load_u8 v3, v[4:5], off
	s_mov_b32 s13, 0
	s_mov_b32 s10, exec_lo
                                        ; implicit-def: $sgpr14
	s_waitcnt vmcnt(0)
	v_cmpx_lt_i16_e32 0x7f, v3
	s_xor_b32 s10, exec_lo, s10
	s_cbranch_execz .LBB424_1389
; %bb.1369:
	v_cmp_ne_u16_e32 vcc_lo, 0x80, v3
	s_mov_b32 s14, 0
	s_and_b32 s13, vcc_lo, exec_lo
	s_or_saveexec_b32 s10, s10
	v_mov_b32_e32 v2, s14
	s_xor_b32 exec_lo, exec_lo, s10
	s_cbranch_execnz .LBB424_1390
.LBB424_1370:
	s_or_b32 exec_lo, exec_lo, s10
	s_and_saveexec_b32 s10, s13
	s_cbranch_execz .LBB424_1372
.LBB424_1371:
	v_and_b32_e32 v2, 0xffff, v3
	v_lshlrev_b32_e32 v3, 24, v3
	s_delay_alu instid0(VALU_DEP_2) | instskip(NEXT) | instid1(VALU_DEP_2)
	v_and_b32_e32 v9, 3, v2
	v_and_b32_e32 v3, 0x80000000, v3
	s_delay_alu instid0(VALU_DEP_2) | instskip(NEXT) | instid1(VALU_DEP_1)
	v_clz_i32_u32_e32 v10, v9
	v_min_u32_e32 v10, 32, v10
	s_delay_alu instid0(VALU_DEP_1) | instskip(SKIP_1) | instid1(VALU_DEP_2)
	v_subrev_nc_u32_e32 v11, 29, v10
	v_sub_nc_u32_e32 v10, 30, v10
	v_lshlrev_b32_e32 v11, v11, v2
	v_bfe_u32 v2, v2, 2, 5
	s_delay_alu instid0(VALU_DEP_1) | instskip(NEXT) | instid1(VALU_DEP_3)
	v_cmp_eq_u32_e32 vcc_lo, 0, v2
	v_dual_cndmask_b32 v2, v2, v10 :: v_dual_and_b32 v11, 3, v11
	s_delay_alu instid0(VALU_DEP_1) | instskip(NEXT) | instid1(VALU_DEP_2)
	v_cndmask_b32_e32 v9, v9, v11, vcc_lo
	v_lshl_add_u32 v2, v2, 23, 0x37800000
	s_delay_alu instid0(VALU_DEP_2) | instskip(NEXT) | instid1(VALU_DEP_1)
	v_lshlrev_b32_e32 v9, 21, v9
	v_or3_b32 v2, v3, v2, v9
	s_delay_alu instid0(VALU_DEP_1) | instskip(NEXT) | instid1(VALU_DEP_1)
	v_trunc_f32_e32 v2, v2
	v_mul_f32_e64 v3, 0x2f800000, |v2|
	s_delay_alu instid0(VALU_DEP_1) | instskip(NEXT) | instid1(VALU_DEP_1)
	v_floor_f32_e32 v3, v3
	v_fma_f32 v3, 0xcf800000, v3, |v2|
	v_ashrrev_i32_e32 v2, 31, v2
	s_delay_alu instid0(VALU_DEP_2) | instskip(NEXT) | instid1(VALU_DEP_1)
	v_cvt_u32_f32_e32 v3, v3
	v_xor_b32_e32 v3, v3, v2
	s_delay_alu instid0(VALU_DEP_1)
	v_sub_nc_u32_e32 v2, v3, v2
.LBB424_1372:
	s_or_b32 exec_lo, exec_lo, s10
	s_mov_b32 s10, 0
	s_branch .LBB424_1378
.LBB424_1373:
	s_mov_b32 s10, -1
                                        ; implicit-def: $vgpr2
	s_branch .LBB424_1384
.LBB424_1374:
	s_or_saveexec_b32 s13, s13
	v_mov_b32_e32 v2, s15
	s_xor_b32 exec_lo, exec_lo, s13
	s_cbranch_execz .LBB424_1359
.LBB424_1375:
	v_cmp_ne_u16_e32 vcc_lo, 0, v3
	v_mov_b32_e32 v2, 0
	s_and_not1_b32 s14, s14, exec_lo
	s_and_b32 s15, vcc_lo, exec_lo
	s_delay_alu instid0(SALU_CYCLE_1)
	s_or_b32 s14, s14, s15
	s_or_b32 exec_lo, exec_lo, s13
	s_and_saveexec_b32 s13, s14
	s_cbranch_execnz .LBB424_1360
	s_branch .LBB424_1361
.LBB424_1376:
	s_mov_b32 s10, -1
                                        ; implicit-def: $vgpr2
	s_branch .LBB424_1381
.LBB424_1377:
	s_mov_b32 s10, -1
                                        ; implicit-def: $vgpr2
.LBB424_1378:
	s_delay_alu instid0(SALU_CYCLE_1)
	s_and_b32 vcc_lo, exec_lo, s10
	s_cbranch_vccz .LBB424_1380
; %bb.1379:
	global_load_u8 v2, v[4:5], off
	s_waitcnt vmcnt(0)
	v_lshlrev_b32_e32 v2, 24, v2
	s_delay_alu instid0(VALU_DEP_1) | instskip(NEXT) | instid1(VALU_DEP_1)
	v_and_b32_e32 v3, 0x7f000000, v2
	v_clz_i32_u32_e32 v9, v3
	v_add_nc_u32_e32 v11, 0x1000000, v3
	v_cmp_ne_u32_e32 vcc_lo, 0, v3
	s_delay_alu instid0(VALU_DEP_3) | instskip(NEXT) | instid1(VALU_DEP_1)
	v_min_u32_e32 v9, 32, v9
	v_sub_nc_u32_e64 v9, v9, 4 clamp
	s_delay_alu instid0(VALU_DEP_1) | instskip(SKIP_1) | instid1(VALU_DEP_2)
	v_lshlrev_b32_e32 v10, v9, v3
	v_lshlrev_b32_e32 v9, 23, v9
	v_lshrrev_b32_e32 v10, 4, v10
	s_delay_alu instid0(VALU_DEP_1) | instskip(SKIP_1) | instid1(VALU_DEP_2)
	v_sub_nc_u32_e32 v9, v10, v9
	v_ashrrev_i32_e32 v10, 8, v11
	v_add_nc_u32_e32 v9, 0x3c000000, v9
	s_delay_alu instid0(VALU_DEP_1) | instskip(NEXT) | instid1(VALU_DEP_1)
	v_and_or_b32 v9, 0x7f800000, v10, v9
	v_cndmask_b32_e32 v3, 0, v9, vcc_lo
	s_delay_alu instid0(VALU_DEP_1) | instskip(NEXT) | instid1(VALU_DEP_1)
	v_and_or_b32 v2, 0x80000000, v2, v3
	v_trunc_f32_e32 v2, v2
	s_delay_alu instid0(VALU_DEP_1) | instskip(NEXT) | instid1(VALU_DEP_1)
	v_mul_f32_e64 v3, 0x2f800000, |v2|
	v_floor_f32_e32 v3, v3
	s_delay_alu instid0(VALU_DEP_1) | instskip(SKIP_1) | instid1(VALU_DEP_2)
	v_fma_f32 v3, 0xcf800000, v3, |v2|
	v_ashrrev_i32_e32 v2, 31, v2
	v_cvt_u32_f32_e32 v3, v3
	s_delay_alu instid0(VALU_DEP_1) | instskip(NEXT) | instid1(VALU_DEP_1)
	v_xor_b32_e32 v3, v3, v2
	v_sub_nc_u32_e32 v2, v3, v2
.LBB424_1380:
	s_mov_b32 s10, 0
.LBB424_1381:
	s_delay_alu instid0(SALU_CYCLE_1)
	s_and_not1_b32 vcc_lo, exec_lo, s10
	s_cbranch_vccnz .LBB424_1383
; %bb.1382:
	global_load_u8 v2, v[4:5], off
	s_waitcnt vmcnt(0)
	v_lshlrev_b32_e32 v3, 25, v2
	v_lshlrev_b16 v2, 8, v2
	s_delay_alu instid0(VALU_DEP_2) | instskip(NEXT) | instid1(VALU_DEP_2)
	v_lshrrev_b32_e32 v9, 4, v3
	v_and_or_b32 v10, 0x7f00, v2, 0.5
	v_cmp_gt_u32_e32 vcc_lo, 0x8000000, v3
	v_bfe_i32 v2, v2, 0, 16
	s_delay_alu instid0(VALU_DEP_4) | instskip(NEXT) | instid1(VALU_DEP_1)
	v_or_b32_e32 v9, 0x70000000, v9
	v_dual_add_f32 v10, -0.5, v10 :: v_dual_mul_f32 v9, 0x7800000, v9
	s_delay_alu instid0(VALU_DEP_1) | instskip(NEXT) | instid1(VALU_DEP_1)
	v_cndmask_b32_e32 v3, v9, v10, vcc_lo
	v_and_or_b32 v2, 0x80000000, v2, v3
	s_delay_alu instid0(VALU_DEP_1) | instskip(NEXT) | instid1(VALU_DEP_1)
	v_trunc_f32_e32 v2, v2
	v_mul_f32_e64 v3, 0x2f800000, |v2|
	s_delay_alu instid0(VALU_DEP_1) | instskip(NEXT) | instid1(VALU_DEP_1)
	v_floor_f32_e32 v3, v3
	v_fma_f32 v3, 0xcf800000, v3, |v2|
	v_ashrrev_i32_e32 v2, 31, v2
	s_delay_alu instid0(VALU_DEP_2) | instskip(NEXT) | instid1(VALU_DEP_1)
	v_cvt_u32_f32_e32 v3, v3
	v_xor_b32_e32 v3, v3, v2
	s_delay_alu instid0(VALU_DEP_1)
	v_sub_nc_u32_e32 v2, v3, v2
.LBB424_1383:
	s_mov_b32 s10, 0
	s_mov_b32 s13, -1
.LBB424_1384:
	s_and_not1_b32 vcc_lo, exec_lo, s10
	s_mov_b32 s10, 0
	s_cbranch_vccnz .LBB424_1395
; %bb.1385:
	v_cmp_lt_i16_e32 vcc_lo, 14, v8
	s_cbranch_vccz .LBB424_1388
; %bb.1386:
	v_cmp_eq_u16_e32 vcc_lo, 15, v8
	s_cbranch_vccz .LBB424_1391
; %bb.1387:
	global_load_u16 v2, v[4:5], off
	s_mov_b32 s0, 0
	s_mov_b32 s13, -1
	s_waitcnt vmcnt(0)
	v_lshlrev_b32_e32 v2, 16, v2
	s_delay_alu instid0(VALU_DEP_1) | instskip(NEXT) | instid1(VALU_DEP_1)
	v_trunc_f32_e32 v2, v2
	v_mul_f32_e64 v3, 0x2f800000, |v2|
	s_delay_alu instid0(VALU_DEP_1) | instskip(NEXT) | instid1(VALU_DEP_1)
	v_floor_f32_e32 v3, v3
	v_fma_f32 v3, 0xcf800000, v3, |v2|
	v_ashrrev_i32_e32 v2, 31, v2
	s_delay_alu instid0(VALU_DEP_2) | instskip(NEXT) | instid1(VALU_DEP_1)
	v_cvt_u32_f32_e32 v3, v3
	v_xor_b32_e32 v3, v3, v2
	s_delay_alu instid0(VALU_DEP_1)
	v_sub_nc_u32_e32 v2, v3, v2
	s_branch .LBB424_1393
.LBB424_1388:
	s_mov_b32 s10, -1
	s_branch .LBB424_1392
.LBB424_1389:
	s_or_saveexec_b32 s10, s10
	v_mov_b32_e32 v2, s14
	s_xor_b32 exec_lo, exec_lo, s10
	s_cbranch_execz .LBB424_1370
.LBB424_1390:
	v_cmp_ne_u16_e32 vcc_lo, 0, v3
	v_mov_b32_e32 v2, 0
	s_and_not1_b32 s13, s13, exec_lo
	s_and_b32 s14, vcc_lo, exec_lo
	s_delay_alu instid0(SALU_CYCLE_1)
	s_or_b32 s13, s13, s14
	s_or_b32 exec_lo, exec_lo, s10
	s_and_saveexec_b32 s10, s13
	s_cbranch_execnz .LBB424_1371
	s_branch .LBB424_1372
.LBB424_1391:
	s_mov_b32 s0, -1
.LBB424_1392:
                                        ; implicit-def: $vgpr2
.LBB424_1393:
	s_and_b32 vcc_lo, exec_lo, s10
	s_mov_b32 s10, 0
	s_cbranch_vccz .LBB424_1395
; %bb.1394:
	v_cmp_ne_u16_e64 s0, 11, v8
	s_mov_b32 s10, -1
                                        ; implicit-def: $vgpr2
.LBB424_1395:
	s_delay_alu instid0(VALU_DEP_1)
	s_and_b32 vcc_lo, exec_lo, s0
	s_cbranch_vccnz .LBB424_1411
; %bb.1396:
	s_and_not1_b32 vcc_lo, exec_lo, s10
	s_cbranch_vccnz .LBB424_1398
.LBB424_1397:
	global_load_u8 v2, v[4:5], off
	s_mov_b32 s13, -1
	s_waitcnt vmcnt(0)
	v_cmp_ne_u16_e32 vcc_lo, 0, v2
	v_cndmask_b32_e64 v2, 0, 1, vcc_lo
.LBB424_1398:
.LBB424_1399:
	s_and_not1_b32 vcc_lo, exec_lo, s13
	s_cbranch_vccnz .LBB424_1963
.LBB424_1400:
	s_waitcnt vmcnt(0)
	v_add_nc_u32_e32 v3, s3, v6
	v_cmp_gt_i16_e32 vcc_lo, 11, v8
	s_delay_alu instid0(VALU_DEP_2) | instskip(SKIP_1) | instid1(VALU_DEP_1)
	v_ashrrev_i32_e32 v4, 31, v3
	v_add_co_u32 v5, s0, s6, v3
	v_add_co_ci_u32_e64 v6, s0, s7, v4, s0
	s_cbranch_vccnz .LBB424_1407
; %bb.1401:
	v_cmp_lt_i16_e32 vcc_lo, 25, v8
	s_mov_b32 s3, 0
	s_cbranch_vccz .LBB424_1408
; %bb.1402:
	v_cmp_lt_i16_e32 vcc_lo, 28, v8
	s_cbranch_vccz .LBB424_1409
; %bb.1403:
	v_cmp_lt_i16_e32 vcc_lo, 43, v8
	s_cbranch_vccz .LBB424_1410
; %bb.1404:
	v_cmp_lt_i16_e32 vcc_lo, 45, v8
	s_cbranch_vccz .LBB424_1413
; %bb.1405:
	v_cmp_eq_u16_e32 vcc_lo, 46, v8
	s_mov_b32 s7, 0
	s_cbranch_vccz .LBB424_1416
; %bb.1406:
	global_load_b32 v3, v[5:6], off
	s_mov_b32 s0, 0
	s_mov_b32 s6, -1
	s_waitcnt vmcnt(0)
	v_lshlrev_b32_e32 v3, 16, v3
	s_delay_alu instid0(VALU_DEP_1) | instskip(NEXT) | instid1(VALU_DEP_1)
	v_trunc_f32_e32 v3, v3
	v_mul_f32_e64 v4, 0x2f800000, |v3|
	s_delay_alu instid0(VALU_DEP_1) | instskip(NEXT) | instid1(VALU_DEP_1)
	v_floor_f32_e32 v4, v4
	v_fma_f32 v4, 0xcf800000, v4, |v3|
	v_ashrrev_i32_e32 v3, 31, v3
	s_delay_alu instid0(VALU_DEP_2) | instskip(NEXT) | instid1(VALU_DEP_1)
	v_cvt_u32_f32_e32 v4, v4
	v_xor_b32_e32 v4, v4, v3
	s_delay_alu instid0(VALU_DEP_1)
	v_sub_nc_u32_e32 v3, v4, v3
	s_branch .LBB424_1418
.LBB424_1407:
	s_mov_b32 s0, -1
	s_mov_b32 s6, 0
                                        ; implicit-def: $vgpr3
	s_branch .LBB424_1480
.LBB424_1408:
	s_mov_b32 s7, -1
	s_mov_b32 s6, 0
	s_mov_b32 s0, 0
                                        ; implicit-def: $vgpr3
	s_branch .LBB424_1445
.LBB424_1409:
	s_mov_b32 s7, -1
	s_mov_b32 s6, 0
	s_mov_b32 s0, 0
                                        ; implicit-def: $vgpr3
	s_branch .LBB424_1428
.LBB424_1410:
	s_mov_b32 s7, -1
	s_mov_b32 s6, 0
	s_mov_b32 s0, 0
                                        ; implicit-def: $vgpr3
	s_branch .LBB424_1423
.LBB424_1411:
	s_cbranch_execnz .LBB424_1414
; %bb.1412:
	s_or_b32 s9, s9, exec_lo
                                        ; implicit-def: $vgpr2
	s_cbranch_execz .LBB424_1397
	s_branch .LBB424_1398
.LBB424_1413:
	s_mov_b32 s7, -1
	s_mov_b32 s6, 0
	s_mov_b32 s0, 0
	s_branch .LBB424_1417
.LBB424_1414:
	s_trap 2
	s_sendmsg_rtn_b32 s0, sendmsg(MSG_RTN_GET_DOORBELL)
	s_mov_b32 ttmp2, m0
	s_waitcnt lgkmcnt(0)
	s_and_b32 s0, s0, 0x3ff
	s_delay_alu instid0(SALU_CYCLE_1) | instskip(NEXT) | instid1(SALU_CYCLE_1)
	s_bitset1_b32 s0, 10
	s_mov_b32 m0, s0
	s_sendmsg sendmsg(MSG_INTERRUPT)
	s_mov_b32 m0, ttmp2
.LBB424_1415:                           ; =>This Inner Loop Header: Depth=1
	s_sethalt 5
	s_branch .LBB424_1415
.LBB424_1416:
	s_mov_b32 s0, -1
	s_mov_b32 s6, 0
.LBB424_1417:
                                        ; implicit-def: $vgpr3
.LBB424_1418:
	s_and_b32 vcc_lo, exec_lo, s7
	s_cbranch_vccz .LBB424_1422
; %bb.1419:
	v_cmp_eq_u16_e32 vcc_lo, 44, v8
	s_cbranch_vccz .LBB424_1421
; %bb.1420:
	global_load_u8 v3, v[5:6], off
	s_mov_b32 s0, 0
	s_mov_b32 s6, -1
	s_waitcnt vmcnt(0)
	v_lshlrev_b32_e32 v4, 23, v3
	v_cmp_ne_u32_e32 vcc_lo, 0, v3
	s_delay_alu instid0(VALU_DEP_2) | instskip(NEXT) | instid1(VALU_DEP_1)
	v_trunc_f32_e32 v4, v4
	v_mul_f32_e64 v9, 0x2f800000, |v4|
	s_delay_alu instid0(VALU_DEP_1) | instskip(NEXT) | instid1(VALU_DEP_1)
	v_floor_f32_e32 v9, v9
	v_fma_f32 v9, 0xcf800000, v9, |v4|
	v_ashrrev_i32_e32 v4, 31, v4
	s_delay_alu instid0(VALU_DEP_2) | instskip(NEXT) | instid1(VALU_DEP_1)
	v_cvt_u32_f32_e32 v9, v9
	v_xor_b32_e32 v9, v9, v4
	s_delay_alu instid0(VALU_DEP_1) | instskip(NEXT) | instid1(VALU_DEP_1)
	v_sub_nc_u32_e32 v4, v9, v4
	v_cndmask_b32_e32 v3, 0, v4, vcc_lo
	s_branch .LBB424_1422
.LBB424_1421:
	s_mov_b32 s0, -1
                                        ; implicit-def: $vgpr3
.LBB424_1422:
	s_mov_b32 s7, 0
.LBB424_1423:
	s_delay_alu instid0(SALU_CYCLE_1)
	s_and_b32 vcc_lo, exec_lo, s7
	s_cbranch_vccz .LBB424_1427
; %bb.1424:
	v_cmp_eq_u16_e32 vcc_lo, 29, v8
	s_cbranch_vccz .LBB424_1426
; %bb.1425:
	global_load_b64 v[3:4], v[5:6], off
	s_mov_b32 s0, 0
	s_mov_b32 s6, -1
	s_branch .LBB424_1427
.LBB424_1426:
	s_mov_b32 s0, -1
                                        ; implicit-def: $vgpr3
.LBB424_1427:
	s_mov_b32 s7, 0
.LBB424_1428:
	s_delay_alu instid0(SALU_CYCLE_1)
	s_and_b32 vcc_lo, exec_lo, s7
	s_cbranch_vccz .LBB424_1444
; %bb.1429:
	v_cmp_gt_i16_e32 vcc_lo, 27, v8
	s_cbranch_vccnz .LBB424_1432
; %bb.1430:
	v_cmp_lt_i16_e32 vcc_lo, 27, v8
	s_cbranch_vccz .LBB424_1433
; %bb.1431:
	global_load_b32 v3, v[5:6], off
	s_mov_b32 s6, 0
	s_branch .LBB424_1434
.LBB424_1432:
	s_mov_b32 s6, -1
                                        ; implicit-def: $vgpr3
	s_branch .LBB424_1437
.LBB424_1433:
	s_mov_b32 s6, -1
                                        ; implicit-def: $vgpr3
.LBB424_1434:
	s_delay_alu instid0(SALU_CYCLE_1)
	s_and_not1_b32 vcc_lo, exec_lo, s6
	s_cbranch_vccnz .LBB424_1436
; %bb.1435:
	global_load_u16 v3, v[5:6], off
.LBB424_1436:
	s_mov_b32 s6, 0
.LBB424_1437:
	s_delay_alu instid0(SALU_CYCLE_1)
	s_and_not1_b32 vcc_lo, exec_lo, s6
	s_cbranch_vccnz .LBB424_1443
; %bb.1438:
	global_load_u8 v4, v[5:6], off
	s_mov_b32 s7, 0
	s_mov_b32 s6, exec_lo
                                        ; implicit-def: $sgpr10
	s_waitcnt vmcnt(0)
	v_cmpx_lt_i16_e32 0x7f, v4
	s_xor_b32 s6, exec_lo, s6
	s_cbranch_execz .LBB424_1455
; %bb.1439:
	v_cmp_ne_u16_e32 vcc_lo, 0x80, v4
	s_mov_b32 s10, 0
	s_and_b32 s7, vcc_lo, exec_lo
	s_or_saveexec_b32 s6, s6
	v_mov_b32_e32 v3, s10
	s_xor_b32 exec_lo, exec_lo, s6
	s_cbranch_execnz .LBB424_1456
.LBB424_1440:
	s_or_b32 exec_lo, exec_lo, s6
	s_and_saveexec_b32 s6, s7
	s_cbranch_execz .LBB424_1442
.LBB424_1441:
	v_and_b32_e32 v3, 0xffff, v4
	s_delay_alu instid0(VALU_DEP_1) | instskip(NEXT) | instid1(VALU_DEP_1)
	v_and_b32_e32 v9, 7, v3
	v_clz_i32_u32_e32 v10, v9
	s_delay_alu instid0(VALU_DEP_1) | instskip(NEXT) | instid1(VALU_DEP_1)
	v_min_u32_e32 v10, 32, v10
	v_subrev_nc_u32_e32 v11, 28, v10
	v_sub_nc_u32_e32 v10, 29, v10
	s_delay_alu instid0(VALU_DEP_2) | instskip(SKIP_1) | instid1(VALU_DEP_2)
	v_lshlrev_b32_e32 v11, v11, v3
	v_bfe_u32 v3, v3, 3, 4
	v_and_b32_e32 v11, 7, v11
	s_delay_alu instid0(VALU_DEP_2) | instskip(SKIP_1) | instid1(VALU_DEP_1)
	v_cmp_eq_u32_e32 vcc_lo, 0, v3
	v_dual_cndmask_b32 v3, v3, v10 :: v_dual_lshlrev_b32 v4, 24, v4
	v_dual_cndmask_b32 v9, v9, v11 :: v_dual_and_b32 v4, 0x80000000, v4
	s_delay_alu instid0(VALU_DEP_2) | instskip(NEXT) | instid1(VALU_DEP_2)
	v_lshl_add_u32 v3, v3, 23, 0x3b800000
	v_lshlrev_b32_e32 v9, 20, v9
	s_delay_alu instid0(VALU_DEP_1) | instskip(NEXT) | instid1(VALU_DEP_1)
	v_or3_b32 v3, v4, v3, v9
	v_trunc_f32_e32 v3, v3
	s_delay_alu instid0(VALU_DEP_1) | instskip(NEXT) | instid1(VALU_DEP_1)
	v_mul_f32_e64 v4, 0x2f800000, |v3|
	v_floor_f32_e32 v4, v4
	s_delay_alu instid0(VALU_DEP_1) | instskip(SKIP_1) | instid1(VALU_DEP_2)
	v_fma_f32 v4, 0xcf800000, v4, |v3|
	v_ashrrev_i32_e32 v3, 31, v3
	v_cvt_u32_f32_e32 v4, v4
	s_delay_alu instid0(VALU_DEP_1) | instskip(NEXT) | instid1(VALU_DEP_1)
	v_xor_b32_e32 v4, v4, v3
	v_sub_nc_u32_e32 v3, v4, v3
.LBB424_1442:
	s_or_b32 exec_lo, exec_lo, s6
.LBB424_1443:
	s_mov_b32 s6, -1
.LBB424_1444:
	s_mov_b32 s7, 0
.LBB424_1445:
	s_delay_alu instid0(SALU_CYCLE_1)
	s_and_b32 vcc_lo, exec_lo, s7
	s_cbranch_vccz .LBB424_1476
; %bb.1446:
	v_cmp_lt_i16_e32 vcc_lo, 22, v8
	s_cbranch_vccz .LBB424_1454
; %bb.1447:
	v_cmp_gt_i16_e32 vcc_lo, 24, v8
	s_cbranch_vccnz .LBB424_1457
; %bb.1448:
	v_cmp_lt_i16_e32 vcc_lo, 24, v8
	s_cbranch_vccz .LBB424_1458
; %bb.1449:
	global_load_u8 v4, v[5:6], off
	s_mov_b32 s6, 0
	s_mov_b32 s3, exec_lo
                                        ; implicit-def: $sgpr7
	s_waitcnt vmcnt(0)
	v_cmpx_lt_i16_e32 0x7f, v4
	s_xor_b32 s3, exec_lo, s3
	s_cbranch_execz .LBB424_1470
; %bb.1450:
	v_cmp_ne_u16_e32 vcc_lo, 0x80, v4
	s_mov_b32 s7, 0
	s_and_b32 s6, vcc_lo, exec_lo
	s_or_saveexec_b32 s3, s3
	v_mov_b32_e32 v3, s7
	s_xor_b32 exec_lo, exec_lo, s3
	s_cbranch_execnz .LBB424_1471
.LBB424_1451:
	s_or_b32 exec_lo, exec_lo, s3
	s_and_saveexec_b32 s3, s6
	s_cbranch_execz .LBB424_1453
.LBB424_1452:
	v_and_b32_e32 v3, 0xffff, v4
	s_delay_alu instid0(VALU_DEP_1) | instskip(NEXT) | instid1(VALU_DEP_1)
	v_and_b32_e32 v9, 3, v3
	v_clz_i32_u32_e32 v10, v9
	s_delay_alu instid0(VALU_DEP_1) | instskip(NEXT) | instid1(VALU_DEP_1)
	v_min_u32_e32 v10, 32, v10
	v_subrev_nc_u32_e32 v11, 29, v10
	v_sub_nc_u32_e32 v10, 30, v10
	s_delay_alu instid0(VALU_DEP_2) | instskip(SKIP_1) | instid1(VALU_DEP_2)
	v_lshlrev_b32_e32 v11, v11, v3
	v_bfe_u32 v3, v3, 2, 5
	v_and_b32_e32 v11, 3, v11
	s_delay_alu instid0(VALU_DEP_2) | instskip(SKIP_1) | instid1(VALU_DEP_1)
	v_cmp_eq_u32_e32 vcc_lo, 0, v3
	v_dual_cndmask_b32 v3, v3, v10 :: v_dual_lshlrev_b32 v4, 24, v4
	v_dual_cndmask_b32 v9, v9, v11 :: v_dual_and_b32 v4, 0x80000000, v4
	s_delay_alu instid0(VALU_DEP_2) | instskip(NEXT) | instid1(VALU_DEP_2)
	v_lshl_add_u32 v3, v3, 23, 0x37800000
	v_lshlrev_b32_e32 v9, 21, v9
	s_delay_alu instid0(VALU_DEP_1) | instskip(NEXT) | instid1(VALU_DEP_1)
	v_or3_b32 v3, v4, v3, v9
	v_trunc_f32_e32 v3, v3
	s_delay_alu instid0(VALU_DEP_1) | instskip(NEXT) | instid1(VALU_DEP_1)
	v_mul_f32_e64 v4, 0x2f800000, |v3|
	v_floor_f32_e32 v4, v4
	s_delay_alu instid0(VALU_DEP_1) | instskip(SKIP_1) | instid1(VALU_DEP_2)
	v_fma_f32 v4, 0xcf800000, v4, |v3|
	v_ashrrev_i32_e32 v3, 31, v3
	v_cvt_u32_f32_e32 v4, v4
	s_delay_alu instid0(VALU_DEP_1) | instskip(NEXT) | instid1(VALU_DEP_1)
	v_xor_b32_e32 v4, v4, v3
	v_sub_nc_u32_e32 v3, v4, v3
.LBB424_1453:
	s_or_b32 exec_lo, exec_lo, s3
	s_mov_b32 s3, 0
	s_branch .LBB424_1459
.LBB424_1454:
	s_mov_b32 s3, -1
                                        ; implicit-def: $vgpr3
	s_branch .LBB424_1465
.LBB424_1455:
	s_or_saveexec_b32 s6, s6
	v_mov_b32_e32 v3, s10
	s_xor_b32 exec_lo, exec_lo, s6
	s_cbranch_execz .LBB424_1440
.LBB424_1456:
	v_cmp_ne_u16_e32 vcc_lo, 0, v4
	v_mov_b32_e32 v3, 0
	s_and_not1_b32 s7, s7, exec_lo
	s_and_b32 s10, vcc_lo, exec_lo
	s_delay_alu instid0(SALU_CYCLE_1)
	s_or_b32 s7, s7, s10
	s_or_b32 exec_lo, exec_lo, s6
	s_and_saveexec_b32 s6, s7
	s_cbranch_execnz .LBB424_1441
	s_branch .LBB424_1442
.LBB424_1457:
	s_mov_b32 s3, -1
                                        ; implicit-def: $vgpr3
	s_branch .LBB424_1462
.LBB424_1458:
	s_mov_b32 s3, -1
                                        ; implicit-def: $vgpr3
.LBB424_1459:
	s_delay_alu instid0(SALU_CYCLE_1)
	s_and_b32 vcc_lo, exec_lo, s3
	s_cbranch_vccz .LBB424_1461
; %bb.1460:
	global_load_u8 v3, v[5:6], off
	s_waitcnt vmcnt(0)
	v_lshlrev_b32_e32 v3, 24, v3
	s_delay_alu instid0(VALU_DEP_1) | instskip(NEXT) | instid1(VALU_DEP_1)
	v_and_b32_e32 v4, 0x7f000000, v3
	v_clz_i32_u32_e32 v9, v4
	v_add_nc_u32_e32 v11, 0x1000000, v4
	v_cmp_ne_u32_e32 vcc_lo, 0, v4
	s_delay_alu instid0(VALU_DEP_3) | instskip(NEXT) | instid1(VALU_DEP_1)
	v_min_u32_e32 v9, 32, v9
	v_sub_nc_u32_e64 v9, v9, 4 clamp
	s_delay_alu instid0(VALU_DEP_1) | instskip(SKIP_1) | instid1(VALU_DEP_2)
	v_lshlrev_b32_e32 v10, v9, v4
	v_lshlrev_b32_e32 v9, 23, v9
	v_lshrrev_b32_e32 v10, 4, v10
	s_delay_alu instid0(VALU_DEP_1) | instskip(SKIP_1) | instid1(VALU_DEP_2)
	v_sub_nc_u32_e32 v9, v10, v9
	v_ashrrev_i32_e32 v10, 8, v11
	v_add_nc_u32_e32 v9, 0x3c000000, v9
	s_delay_alu instid0(VALU_DEP_1) | instskip(NEXT) | instid1(VALU_DEP_1)
	v_and_or_b32 v9, 0x7f800000, v10, v9
	v_cndmask_b32_e32 v4, 0, v9, vcc_lo
	s_delay_alu instid0(VALU_DEP_1) | instskip(NEXT) | instid1(VALU_DEP_1)
	v_and_or_b32 v3, 0x80000000, v3, v4
	v_trunc_f32_e32 v3, v3
	s_delay_alu instid0(VALU_DEP_1) | instskip(NEXT) | instid1(VALU_DEP_1)
	v_mul_f32_e64 v4, 0x2f800000, |v3|
	v_floor_f32_e32 v4, v4
	s_delay_alu instid0(VALU_DEP_1) | instskip(SKIP_1) | instid1(VALU_DEP_2)
	v_fma_f32 v4, 0xcf800000, v4, |v3|
	v_ashrrev_i32_e32 v3, 31, v3
	v_cvt_u32_f32_e32 v4, v4
	s_delay_alu instid0(VALU_DEP_1) | instskip(NEXT) | instid1(VALU_DEP_1)
	v_xor_b32_e32 v4, v4, v3
	v_sub_nc_u32_e32 v3, v4, v3
.LBB424_1461:
	s_mov_b32 s3, 0
.LBB424_1462:
	s_delay_alu instid0(SALU_CYCLE_1)
	s_and_not1_b32 vcc_lo, exec_lo, s3
	s_cbranch_vccnz .LBB424_1464
; %bb.1463:
	global_load_u8 v3, v[5:6], off
	s_waitcnt vmcnt(0)
	v_lshlrev_b32_e32 v4, 25, v3
	v_lshlrev_b16 v3, 8, v3
	s_delay_alu instid0(VALU_DEP_2) | instskip(NEXT) | instid1(VALU_DEP_2)
	v_lshrrev_b32_e32 v9, 4, v4
	v_and_or_b32 v10, 0x7f00, v3, 0.5
	v_bfe_i32 v3, v3, 0, 16
	s_delay_alu instid0(VALU_DEP_3) | instskip(NEXT) | instid1(VALU_DEP_1)
	v_or_b32_e32 v9, 0x70000000, v9
	v_dual_add_f32 v10, -0.5, v10 :: v_dual_mul_f32 v9, 0x7800000, v9
	v_cmp_gt_u32_e32 vcc_lo, 0x8000000, v4
	s_delay_alu instid0(VALU_DEP_2) | instskip(NEXT) | instid1(VALU_DEP_1)
	v_cndmask_b32_e32 v4, v9, v10, vcc_lo
	v_and_or_b32 v3, 0x80000000, v3, v4
	s_delay_alu instid0(VALU_DEP_1) | instskip(NEXT) | instid1(VALU_DEP_1)
	v_trunc_f32_e32 v3, v3
	v_mul_f32_e64 v4, 0x2f800000, |v3|
	s_delay_alu instid0(VALU_DEP_1) | instskip(NEXT) | instid1(VALU_DEP_1)
	v_floor_f32_e32 v4, v4
	v_fma_f32 v4, 0xcf800000, v4, |v3|
	v_ashrrev_i32_e32 v3, 31, v3
	s_delay_alu instid0(VALU_DEP_2) | instskip(NEXT) | instid1(VALU_DEP_1)
	v_cvt_u32_f32_e32 v4, v4
	v_xor_b32_e32 v4, v4, v3
	s_delay_alu instid0(VALU_DEP_1)
	v_sub_nc_u32_e32 v3, v4, v3
.LBB424_1464:
	s_mov_b32 s3, 0
	s_mov_b32 s6, -1
.LBB424_1465:
	s_and_not1_b32 vcc_lo, exec_lo, s3
	s_mov_b32 s3, 0
	s_cbranch_vccnz .LBB424_1476
; %bb.1466:
	v_cmp_lt_i16_e32 vcc_lo, 14, v8
	s_cbranch_vccz .LBB424_1469
; %bb.1467:
	v_cmp_eq_u16_e32 vcc_lo, 15, v8
	s_cbranch_vccz .LBB424_1472
; %bb.1468:
	global_load_u16 v3, v[5:6], off
	s_mov_b32 s0, 0
	s_mov_b32 s6, -1
	s_waitcnt vmcnt(0)
	v_lshlrev_b32_e32 v3, 16, v3
	s_delay_alu instid0(VALU_DEP_1) | instskip(NEXT) | instid1(VALU_DEP_1)
	v_trunc_f32_e32 v3, v3
	v_mul_f32_e64 v4, 0x2f800000, |v3|
	s_delay_alu instid0(VALU_DEP_1) | instskip(NEXT) | instid1(VALU_DEP_1)
	v_floor_f32_e32 v4, v4
	v_fma_f32 v4, 0xcf800000, v4, |v3|
	v_ashrrev_i32_e32 v3, 31, v3
	s_delay_alu instid0(VALU_DEP_2) | instskip(NEXT) | instid1(VALU_DEP_1)
	v_cvt_u32_f32_e32 v4, v4
	v_xor_b32_e32 v4, v4, v3
	s_delay_alu instid0(VALU_DEP_1)
	v_sub_nc_u32_e32 v3, v4, v3
	s_branch .LBB424_1474
.LBB424_1469:
	s_mov_b32 s3, -1
	s_branch .LBB424_1473
.LBB424_1470:
	s_or_saveexec_b32 s3, s3
	v_mov_b32_e32 v3, s7
	s_xor_b32 exec_lo, exec_lo, s3
	s_cbranch_execz .LBB424_1451
.LBB424_1471:
	v_cmp_ne_u16_e32 vcc_lo, 0, v4
	v_mov_b32_e32 v3, 0
	s_and_not1_b32 s6, s6, exec_lo
	s_and_b32 s7, vcc_lo, exec_lo
	s_delay_alu instid0(SALU_CYCLE_1)
	s_or_b32 s6, s6, s7
	s_or_b32 exec_lo, exec_lo, s3
	s_and_saveexec_b32 s3, s6
	s_cbranch_execnz .LBB424_1452
	s_branch .LBB424_1453
.LBB424_1472:
	s_mov_b32 s0, -1
.LBB424_1473:
                                        ; implicit-def: $vgpr3
.LBB424_1474:
	s_and_b32 vcc_lo, exec_lo, s3
	s_mov_b32 s3, 0
	s_cbranch_vccz .LBB424_1476
; %bb.1475:
	v_cmp_ne_u16_e64 s0, 11, v8
	s_mov_b32 s3, -1
                                        ; implicit-def: $vgpr3
.LBB424_1476:
	s_delay_alu instid0(VALU_DEP_1)
	s_and_b32 vcc_lo, exec_lo, s0
	s_cbranch_vccnz .LBB424_2009
; %bb.1477:
	s_and_not1_b32 vcc_lo, exec_lo, s3
	s_cbranch_vccnz .LBB424_1479
.LBB424_1478:
	global_load_u8 v3, v[5:6], off
	s_mov_b32 s6, -1
	s_waitcnt vmcnt(0)
	v_cmp_ne_u16_e32 vcc_lo, 0, v3
	v_cndmask_b32_e64 v3, 0, 1, vcc_lo
.LBB424_1479:
	s_mov_b32 s0, 0
.LBB424_1480:
	s_delay_alu instid0(SALU_CYCLE_1)
	s_and_b32 vcc_lo, exec_lo, s0
	s_cbranch_vccz .LBB424_1529
; %bb.1481:
	v_cmp_gt_i16_e32 vcc_lo, 5, v8
	s_cbranch_vccnz .LBB424_1486
; %bb.1482:
	v_cmp_gt_i16_e32 vcc_lo, 8, v8
	s_cbranch_vccnz .LBB424_1487
	;; [unrolled: 3-line block ×3, first 2 shown]
; %bb.1484:
	v_cmp_lt_i16_e32 vcc_lo, 9, v8
	s_cbranch_vccz .LBB424_1489
; %bb.1485:
	global_load_b64 v[3:4], v[5:6], off
	s_mov_b32 s0, 0
	s_waitcnt vmcnt(0)
	v_trunc_f64_e32 v[3:4], v[3:4]
	s_delay_alu instid0(VALU_DEP_1) | instskip(NEXT) | instid1(VALU_DEP_1)
	v_ldexp_f64 v[9:10], v[3:4], 0xffffffe0
	v_floor_f64_e32 v[9:10], v[9:10]
	s_delay_alu instid0(VALU_DEP_1) | instskip(NEXT) | instid1(VALU_DEP_1)
	v_fma_f64 v[3:4], 0xc1f00000, v[9:10], v[3:4]
	v_cvt_u32_f64_e32 v3, v[3:4]
	s_branch .LBB424_1490
.LBB424_1486:
	s_mov_b32 s0, -1
                                        ; implicit-def: $vgpr3
	s_branch .LBB424_1508
.LBB424_1487:
	s_mov_b32 s0, -1
                                        ; implicit-def: $vgpr3
	s_branch .LBB424_1496
.LBB424_1488:
	s_mov_b32 s0, -1
                                        ; implicit-def: $vgpr3
	s_branch .LBB424_1493
.LBB424_1489:
	s_mov_b32 s0, -1
                                        ; implicit-def: $vgpr3
.LBB424_1490:
	s_delay_alu instid0(SALU_CYCLE_1)
	s_and_not1_b32 vcc_lo, exec_lo, s0
	s_cbranch_vccnz .LBB424_1492
; %bb.1491:
	global_load_b32 v3, v[5:6], off
	s_waitcnt vmcnt(0)
	v_trunc_f32_e32 v3, v3
	s_delay_alu instid0(VALU_DEP_1) | instskip(NEXT) | instid1(VALU_DEP_1)
	v_mul_f32_e64 v4, 0x2f800000, |v3|
	v_floor_f32_e32 v4, v4
	s_delay_alu instid0(VALU_DEP_1) | instskip(SKIP_1) | instid1(VALU_DEP_2)
	v_fma_f32 v4, 0xcf800000, v4, |v3|
	v_ashrrev_i32_e32 v3, 31, v3
	v_cvt_u32_f32_e32 v4, v4
	s_delay_alu instid0(VALU_DEP_1) | instskip(NEXT) | instid1(VALU_DEP_1)
	v_xor_b32_e32 v4, v4, v3
	v_sub_nc_u32_e32 v3, v4, v3
.LBB424_1492:
	s_mov_b32 s0, 0
.LBB424_1493:
	s_delay_alu instid0(SALU_CYCLE_1)
	s_and_not1_b32 vcc_lo, exec_lo, s0
	s_cbranch_vccnz .LBB424_1495
; %bb.1494:
	global_load_b32 v3, v[5:6], off
	s_waitcnt vmcnt(0)
	v_cvt_f32_f16_e32 v3, v3
	s_delay_alu instid0(VALU_DEP_1)
	v_cvt_i32_f32_e32 v3, v3
.LBB424_1495:
	s_mov_b32 s0, 0
.LBB424_1496:
	s_delay_alu instid0(SALU_CYCLE_1)
	s_and_not1_b32 vcc_lo, exec_lo, s0
	s_cbranch_vccnz .LBB424_1507
; %bb.1497:
	v_cmp_gt_i16_e32 vcc_lo, 6, v8
	s_cbranch_vccnz .LBB424_1500
; %bb.1498:
	v_cmp_lt_i16_e32 vcc_lo, 6, v8
	s_cbranch_vccz .LBB424_1501
; %bb.1499:
	global_load_b64 v[3:4], v[5:6], off
	s_mov_b32 s0, 0
	s_waitcnt vmcnt(0)
	v_trunc_f64_e32 v[3:4], v[3:4]
	s_delay_alu instid0(VALU_DEP_1) | instskip(NEXT) | instid1(VALU_DEP_1)
	v_ldexp_f64 v[9:10], v[3:4], 0xffffffe0
	v_floor_f64_e32 v[9:10], v[9:10]
	s_delay_alu instid0(VALU_DEP_1) | instskip(NEXT) | instid1(VALU_DEP_1)
	v_fma_f64 v[3:4], 0xc1f00000, v[9:10], v[3:4]
	v_cvt_u32_f64_e32 v3, v[3:4]
	s_branch .LBB424_1502
.LBB424_1500:
	s_mov_b32 s0, -1
                                        ; implicit-def: $vgpr3
	s_branch .LBB424_1505
.LBB424_1501:
	s_mov_b32 s0, -1
                                        ; implicit-def: $vgpr3
.LBB424_1502:
	s_delay_alu instid0(SALU_CYCLE_1)
	s_and_not1_b32 vcc_lo, exec_lo, s0
	s_cbranch_vccnz .LBB424_1504
; %bb.1503:
	global_load_b32 v3, v[5:6], off
	s_waitcnt vmcnt(0)
	v_trunc_f32_e32 v3, v3
	s_delay_alu instid0(VALU_DEP_1) | instskip(NEXT) | instid1(VALU_DEP_1)
	v_mul_f32_e64 v4, 0x2f800000, |v3|
	v_floor_f32_e32 v4, v4
	s_delay_alu instid0(VALU_DEP_1) | instskip(SKIP_1) | instid1(VALU_DEP_2)
	v_fma_f32 v4, 0xcf800000, v4, |v3|
	v_ashrrev_i32_e32 v3, 31, v3
	v_cvt_u32_f32_e32 v4, v4
	s_delay_alu instid0(VALU_DEP_1) | instskip(NEXT) | instid1(VALU_DEP_1)
	v_xor_b32_e32 v4, v4, v3
	v_sub_nc_u32_e32 v3, v4, v3
.LBB424_1504:
	s_mov_b32 s0, 0
.LBB424_1505:
	s_delay_alu instid0(SALU_CYCLE_1)
	s_and_not1_b32 vcc_lo, exec_lo, s0
	s_cbranch_vccnz .LBB424_1507
; %bb.1506:
	global_load_u16 v3, v[5:6], off
	s_waitcnt vmcnt(0)
	v_cvt_f32_f16_e32 v3, v3
	s_delay_alu instid0(VALU_DEP_1)
	v_cvt_i32_f32_e32 v3, v3
.LBB424_1507:
	s_mov_b32 s0, 0
.LBB424_1508:
	s_delay_alu instid0(SALU_CYCLE_1)
	s_and_not1_b32 vcc_lo, exec_lo, s0
	s_cbranch_vccnz .LBB424_1528
; %bb.1509:
	v_cmp_gt_i16_e32 vcc_lo, 2, v8
	s_cbranch_vccnz .LBB424_1513
; %bb.1510:
	v_cmp_gt_i16_e32 vcc_lo, 3, v8
	s_cbranch_vccnz .LBB424_1514
; %bb.1511:
	v_cmp_lt_i16_e32 vcc_lo, 3, v8
	s_cbranch_vccz .LBB424_1515
; %bb.1512:
	global_load_b64 v[3:4], v[5:6], off
	s_mov_b32 s0, 0
	s_branch .LBB424_1516
.LBB424_1513:
	s_mov_b32 s0, -1
                                        ; implicit-def: $vgpr3
	s_branch .LBB424_1522
.LBB424_1514:
	s_mov_b32 s0, -1
                                        ; implicit-def: $vgpr3
	s_branch .LBB424_1519
.LBB424_1515:
	s_mov_b32 s0, -1
                                        ; implicit-def: $vgpr3
.LBB424_1516:
	s_delay_alu instid0(SALU_CYCLE_1)
	s_and_not1_b32 vcc_lo, exec_lo, s0
	s_cbranch_vccnz .LBB424_1518
; %bb.1517:
	global_load_b32 v3, v[5:6], off
.LBB424_1518:
	s_mov_b32 s0, 0
.LBB424_1519:
	s_delay_alu instid0(SALU_CYCLE_1)
	s_and_not1_b32 vcc_lo, exec_lo, s0
	s_cbranch_vccnz .LBB424_1521
; %bb.1520:
	global_load_u16 v3, v[5:6], off
.LBB424_1521:
	s_mov_b32 s0, 0
.LBB424_1522:
	s_delay_alu instid0(SALU_CYCLE_1)
	s_and_not1_b32 vcc_lo, exec_lo, s0
	s_cbranch_vccnz .LBB424_1528
; %bb.1523:
	v_cmp_lt_i16_e32 vcc_lo, 0, v8
	s_mov_b32 s0, 0
	s_cbranch_vccz .LBB424_1525
; %bb.1524:
	global_load_u8 v3, v[5:6], off
	s_branch .LBB424_1526
.LBB424_1525:
	s_mov_b32 s0, -1
                                        ; implicit-def: $vgpr3
.LBB424_1526:
	s_delay_alu instid0(SALU_CYCLE_1)
	s_and_not1_b32 vcc_lo, exec_lo, s0
	s_cbranch_vccnz .LBB424_1528
; %bb.1527:
	global_load_u8 v3, v[5:6], off
.LBB424_1528:
	s_mov_b32 s6, -1
.LBB424_1529:
	s_delay_alu instid0(SALU_CYCLE_1)
	s_and_not1_b32 vcc_lo, exec_lo, s6
	s_cbranch_vccnz .LBB424_1963
; %bb.1530:
	v_mul_lo_u32 v8, s2, v7
	v_and_b32_e64 v6, 0xff, s1
	v_and_b32_e64 v7, 0xff, s8
	v_and_b32_e32 v0, 0xff, v0
	s_delay_alu instid0(VALU_DEP_3) | instskip(NEXT) | instid1(VALU_DEP_2)
	v_cmp_gt_i16_e32 vcc_lo, 11, v6
	v_min_u16 v0, v0, v7
	v_ashrrev_i32_e32 v5, 31, v8
	s_waitcnt vmcnt(0)
	v_add_co_u32 v4, s0, s4, v8
	s_delay_alu instid0(VALU_DEP_1)
	v_add_co_ci_u32_e64 v5, s0, s5, v5, s0
	s_cbranch_vccnz .LBB424_1608
; %bb.1531:
	v_cmp_lt_i16_e32 vcc_lo, 25, v6
	s_mov_b32 s6, -1
	s_mov_b32 s1, 0
	s_mov_b32 s3, 0
	;; [unrolled: 1-line block ×3, first 2 shown]
	s_cbranch_vccz .LBB424_1564
; %bb.1532:
	v_cmp_lt_i16_e32 vcc_lo, 28, v6
	s_cbranch_vccz .LBB424_1547
; %bb.1533:
	v_cmp_lt_i16_e32 vcc_lo, 43, v6
	;; [unrolled: 3-line block ×3, first 2 shown]
	s_cbranch_vccz .LBB424_1537
; %bb.1535:
	v_cmp_eq_u16_e32 vcc_lo, 46, v6
	s_mov_b32 s0, -1
	s_mov_b32 s6, 0
	s_cbranch_vccz .LBB424_1537
; %bb.1536:
	v_cvt_f32_ubyte0_e32 v9, v0
	s_mov_b32 s0, 0
	s_mov_b32 s3, -1
	s_delay_alu instid0(VALU_DEP_1) | instskip(NEXT) | instid1(VALU_DEP_1)
	v_bfe_u32 v10, v9, 16, 1
	v_add3_u32 v9, v9, v10, 0x7fff
	s_delay_alu instid0(VALU_DEP_1)
	v_lshrrev_b32_e32 v9, 16, v9
	global_store_b32 v[4:5], v9, off
.LBB424_1537:
	s_and_b32 vcc_lo, exec_lo, s6
	s_cbranch_vccz .LBB424_1542
; %bb.1538:
	v_cmp_eq_u16_e32 vcc_lo, 44, v6
	s_mov_b32 s0, -1
	s_cbranch_vccz .LBB424_1542
; %bb.1539:
	v_cvt_f32_ubyte0_e32 v11, v0
	v_mov_b32_e32 v10, 0xff
	s_mov_b32 s3, exec_lo
	s_delay_alu instid0(VALU_DEP_2) | instskip(NEXT) | instid1(VALU_DEP_1)
	v_lshrrev_b32_e32 v9, 23, v11
	v_cmpx_ne_u32_e32 0xff, v9
; %bb.1540:
	v_and_b32_e32 v10, 0x400000, v11
	v_and_or_b32 v11, 0x3fffff, v11, v9
	s_delay_alu instid0(VALU_DEP_2) | instskip(NEXT) | instid1(VALU_DEP_2)
	v_cmp_ne_u32_e32 vcc_lo, 0, v10
	v_cmp_ne_u32_e64 s0, 0, v11
	s_delay_alu instid0(VALU_DEP_1) | instskip(NEXT) | instid1(SALU_CYCLE_1)
	s_and_b32 s0, vcc_lo, s0
	v_cndmask_b32_e64 v10, 0, 1, s0
	s_delay_alu instid0(VALU_DEP_1)
	v_add_nc_u32_e32 v10, v9, v10
; %bb.1541:
	s_or_b32 exec_lo, exec_lo, s3
	s_mov_b32 s0, 0
	s_mov_b32 s3, -1
	global_store_b8 v[4:5], v10, off
.LBB424_1542:
	s_mov_b32 s6, 0
.LBB424_1543:
	s_delay_alu instid0(SALU_CYCLE_1)
	s_and_b32 vcc_lo, exec_lo, s6
	s_cbranch_vccz .LBB424_1546
; %bb.1544:
	v_cmp_eq_u16_e32 vcc_lo, 29, v6
	s_mov_b32 s0, -1
	s_cbranch_vccz .LBB424_1546
; %bb.1545:
	s_mov_b32 s0, 0
	s_delay_alu instid0(SALU_CYCLE_1)
	v_dual_mov_b32 v10, s0 :: v_dual_and_b32 v9, 0xffff, v0
	s_mov_b32 s3, -1
	global_store_b64 v[4:5], v[9:10], off
.LBB424_1546:
	s_mov_b32 s6, 0
.LBB424_1547:
	s_delay_alu instid0(SALU_CYCLE_1)
	s_and_b32 vcc_lo, exec_lo, s6
	s_cbranch_vccz .LBB424_1563
; %bb.1548:
	v_cmp_gt_i16_e32 vcc_lo, 27, v6
	s_mov_b32 s3, -1
	s_cbranch_vccnz .LBB424_1554
; %bb.1549:
	v_cmp_lt_i16_e32 vcc_lo, 27, v6
	s_cbranch_vccz .LBB424_1551
; %bb.1550:
	v_and_b32_e32 v9, 0xffff, v0
	s_mov_b32 s3, 0
	global_store_b32 v[4:5], v9, off
.LBB424_1551:
	s_and_not1_b32 vcc_lo, exec_lo, s3
	s_cbranch_vccnz .LBB424_1553
; %bb.1552:
	global_store_b16 v[4:5], v0, off
.LBB424_1553:
	s_mov_b32 s3, 0
.LBB424_1554:
	s_delay_alu instid0(SALU_CYCLE_1)
	s_and_not1_b32 vcc_lo, exec_lo, s3
	s_cbranch_vccnz .LBB424_1562
; %bb.1555:
	v_cvt_f32_ubyte0_e32 v10, v0
	v_mov_b32_e32 v11, 0x80
	s_mov_b32 s3, exec_lo
	s_delay_alu instid0(VALU_DEP_2)
	v_cmpx_gt_u32_e32 0x43800000, v10
	s_cbranch_execz .LBB424_1561
; %bb.1556:
	s_mov_b32 s6, 0
	s_mov_b32 s7, exec_lo
                                        ; implicit-def: $vgpr9
	v_cmpx_lt_u32_e32 0x3bffffff, v10
	s_xor_b32 s7, exec_lo, s7
	s_cbranch_execz .LBB424_2011
; %bb.1557:
	v_bfe_u32 v9, v10, 20, 1
	s_mov_b32 s6, exec_lo
	s_delay_alu instid0(VALU_DEP_1) | instskip(NEXT) | instid1(VALU_DEP_1)
	v_add3_u32 v9, v10, v9, 0x487ffff
                                        ; implicit-def: $vgpr10
	v_lshrrev_b32_e32 v9, 20, v9
	s_or_saveexec_b32 s7, s7
                                        ; implicit-def: $sgpr8
	s_delay_alu instid0(SALU_CYCLE_1)
	s_xor_b32 exec_lo, exec_lo, s7
	s_cbranch_execnz .LBB424_2012
.LBB424_1558:
	s_or_b32 exec_lo, exec_lo, s7
	v_mov_b32_e32 v11, s8
	s_and_saveexec_b32 s7, s6
.LBB424_1559:
	v_mov_b32_e32 v11, v9
.LBB424_1560:
	s_or_b32 exec_lo, exec_lo, s7
.LBB424_1561:
	s_delay_alu instid0(SALU_CYCLE_1)
	s_or_b32 exec_lo, exec_lo, s3
	global_store_b8 v[4:5], v11, off
.LBB424_1562:
	s_mov_b32 s3, -1
.LBB424_1563:
	s_mov_b32 s6, 0
.LBB424_1564:
	s_delay_alu instid0(SALU_CYCLE_1)
	s_and_b32 vcc_lo, exec_lo, s6
	s_cbranch_vccz .LBB424_1604
; %bb.1565:
	v_cmp_lt_i16_e32 vcc_lo, 22, v6
	s_mov_b32 s1, -1
	s_cbranch_vccz .LBB424_1597
; %bb.1566:
	v_cmp_gt_i16_e32 vcc_lo, 24, v6
	s_cbranch_vccnz .LBB424_1586
; %bb.1567:
	v_cmp_lt_i16_e32 vcc_lo, 24, v6
	s_cbranch_vccz .LBB424_1575
; %bb.1568:
	v_cvt_f32_ubyte0_e32 v10, v0
	v_mov_b32_e32 v11, 0x80
	s_mov_b32 s1, exec_lo
	s_delay_alu instid0(VALU_DEP_2)
	v_cmpx_gt_u32_e32 0x47800000, v10
	s_cbranch_execz .LBB424_1574
; %bb.1569:
	s_mov_b32 s3, 0
	s_mov_b32 s6, exec_lo
                                        ; implicit-def: $vgpr9
	v_cmpx_lt_u32_e32 0x37ffffff, v10
	s_xor_b32 s6, exec_lo, s6
	s_cbranch_execz .LBB424_2017
; %bb.1570:
	v_bfe_u32 v9, v10, 21, 1
	s_mov_b32 s3, exec_lo
	s_delay_alu instid0(VALU_DEP_1) | instskip(NEXT) | instid1(VALU_DEP_1)
	v_add3_u32 v9, v10, v9, 0x88fffff
                                        ; implicit-def: $vgpr10
	v_lshrrev_b32_e32 v9, 21, v9
	s_or_saveexec_b32 s6, s6
                                        ; implicit-def: $sgpr7
	s_delay_alu instid0(SALU_CYCLE_1)
	s_xor_b32 exec_lo, exec_lo, s6
	s_cbranch_execnz .LBB424_2018
.LBB424_1571:
	s_or_b32 exec_lo, exec_lo, s6
	v_mov_b32_e32 v11, s7
	s_and_saveexec_b32 s6, s3
.LBB424_1572:
	v_mov_b32_e32 v11, v9
.LBB424_1573:
	s_or_b32 exec_lo, exec_lo, s6
.LBB424_1574:
	s_delay_alu instid0(SALU_CYCLE_1)
	s_or_b32 exec_lo, exec_lo, s1
	s_mov_b32 s1, 0
	global_store_b8 v[4:5], v11, off
.LBB424_1575:
	s_and_b32 vcc_lo, exec_lo, s1
	s_cbranch_vccz .LBB424_1585
; %bb.1576:
	v_cvt_f32_ubyte0_e32 v10, v0
	s_mov_b32 s1, exec_lo
                                        ; implicit-def: $vgpr9
	s_delay_alu instid0(VALU_DEP_1)
	v_cmpx_gt_u32_e32 0x43f00000, v10
	s_xor_b32 s1, exec_lo, s1
	s_cbranch_execz .LBB424_1582
; %bb.1577:
	s_mov_b32 s3, exec_lo
                                        ; implicit-def: $vgpr9
	v_cmpx_lt_u32_e32 0x3c7fffff, v10
	s_xor_b32 s3, exec_lo, s3
; %bb.1578:
	v_bfe_u32 v9, v10, 20, 1
	s_delay_alu instid0(VALU_DEP_1) | instskip(NEXT) | instid1(VALU_DEP_1)
	v_add3_u32 v9, v10, v9, 0x407ffff
	v_and_b32_e32 v10, 0xff00000, v9
	v_lshrrev_b32_e32 v9, 20, v9
	s_delay_alu instid0(VALU_DEP_2) | instskip(NEXT) | instid1(VALU_DEP_2)
	v_cmp_ne_u32_e32 vcc_lo, 0x7f00000, v10
                                        ; implicit-def: $vgpr10
	v_cndmask_b32_e32 v9, 0x7e, v9, vcc_lo
; %bb.1579:
	s_and_not1_saveexec_b32 s3, s3
; %bb.1580:
	v_add_f32_e32 v9, 0x46800000, v10
; %bb.1581:
	s_or_b32 exec_lo, exec_lo, s3
                                        ; implicit-def: $vgpr10
.LBB424_1582:
	s_and_not1_saveexec_b32 s1, s1
; %bb.1583:
	v_mov_b32_e32 v9, 0x7f
	v_cmp_lt_u32_e32 vcc_lo, 0x7f800000, v10
	s_delay_alu instid0(VALU_DEP_2)
	v_cndmask_b32_e32 v9, 0x7e, v9, vcc_lo
; %bb.1584:
	s_or_b32 exec_lo, exec_lo, s1
	global_store_b8 v[4:5], v9, off
.LBB424_1585:
	s_mov_b32 s1, 0
.LBB424_1586:
	s_delay_alu instid0(SALU_CYCLE_1)
	s_and_not1_b32 vcc_lo, exec_lo, s1
	s_cbranch_vccnz .LBB424_1596
; %bb.1587:
	v_cvt_f32_ubyte0_e32 v10, v0
	s_mov_b32 s1, exec_lo
                                        ; implicit-def: $vgpr9
	s_delay_alu instid0(VALU_DEP_1)
	v_cmpx_gt_u32_e32 0x47800000, v10
	s_xor_b32 s1, exec_lo, s1
	s_cbranch_execz .LBB424_1593
; %bb.1588:
	s_mov_b32 s3, exec_lo
                                        ; implicit-def: $vgpr9
	v_cmpx_lt_u32_e32 0x387fffff, v10
	s_xor_b32 s3, exec_lo, s3
; %bb.1589:
	v_bfe_u32 v9, v10, 21, 1
	s_delay_alu instid0(VALU_DEP_1) | instskip(NEXT) | instid1(VALU_DEP_1)
	v_add3_u32 v9, v10, v9, 0x80fffff
                                        ; implicit-def: $vgpr10
	v_lshrrev_b32_e32 v9, 21, v9
; %bb.1590:
	s_and_not1_saveexec_b32 s3, s3
; %bb.1591:
	v_add_f32_e32 v9, 0x43000000, v10
; %bb.1592:
	s_or_b32 exec_lo, exec_lo, s3
                                        ; implicit-def: $vgpr10
.LBB424_1593:
	s_and_not1_saveexec_b32 s1, s1
; %bb.1594:
	v_mov_b32_e32 v9, 0x7f
	v_cmp_lt_u32_e32 vcc_lo, 0x7f800000, v10
	s_delay_alu instid0(VALU_DEP_2)
	v_cndmask_b32_e32 v9, 0x7c, v9, vcc_lo
; %bb.1595:
	s_or_b32 exec_lo, exec_lo, s1
	global_store_b8 v[4:5], v9, off
.LBB424_1596:
	s_mov_b32 s1, 0
	s_mov_b32 s3, -1
.LBB424_1597:
	s_and_not1_b32 vcc_lo, exec_lo, s1
	s_mov_b32 s1, 0
	s_cbranch_vccnz .LBB424_1604
; %bb.1598:
	v_cmp_lt_i16_e32 vcc_lo, 14, v6
	s_mov_b32 s1, -1
	s_cbranch_vccz .LBB424_1602
; %bb.1599:
	v_cmp_eq_u16_e32 vcc_lo, 15, v6
	s_mov_b32 s0, -1
	s_cbranch_vccz .LBB424_1601
; %bb.1600:
	v_cvt_f32_ubyte0_e32 v9, v0
	s_mov_b32 s0, 0
	s_mov_b32 s3, -1
	s_delay_alu instid0(VALU_DEP_1) | instskip(NEXT) | instid1(VALU_DEP_1)
	v_bfe_u32 v10, v9, 16, 1
	v_add3_u32 v9, v9, v10, 0x7fff
	global_store_d16_hi_b16 v[4:5], v9, off
.LBB424_1601:
	s_mov_b32 s1, 0
.LBB424_1602:
	s_delay_alu instid0(SALU_CYCLE_1)
	s_and_b32 vcc_lo, exec_lo, s1
	s_mov_b32 s1, 0
	s_cbranch_vccz .LBB424_1604
; %bb.1603:
	v_cmp_ne_u16_e64 s0, 11, v6
	s_mov_b32 s1, -1
.LBB424_1604:
	s_delay_alu instid0(VALU_DEP_1)
	s_and_b32 vcc_lo, exec_lo, s0
	s_cbranch_vccnz .LBB424_2015
; %bb.1605:
	s_and_not1_b32 vcc_lo, exec_lo, s1
	s_cbranch_vccnz .LBB424_1607
.LBB424_1606:
	v_cmp_ne_u16_e32 vcc_lo, 0, v0
	s_mov_b32 s3, -1
	v_cndmask_b32_e64 v9, 0, 1, vcc_lo
	global_store_b8 v[4:5], v9, off
.LBB424_1607:
	s_mov_b32 s0, 0
	s_branch .LBB424_1609
.LBB424_1608:
	s_mov_b32 s0, -1
	s_mov_b32 s3, 0
.LBB424_1609:
	s_and_b32 vcc_lo, exec_lo, s0
	s_cbranch_vccz .LBB424_1648
; %bb.1610:
	v_cmp_gt_i16_e32 vcc_lo, 5, v6
	s_mov_b32 s0, -1
	s_cbranch_vccnz .LBB424_1631
; %bb.1611:
	v_cmp_gt_i16_e32 vcc_lo, 8, v6
	s_cbranch_vccnz .LBB424_1621
; %bb.1612:
	v_cmp_gt_i16_e32 vcc_lo, 9, v6
	s_cbranch_vccnz .LBB424_1618
; %bb.1613:
	v_cmp_lt_i16_e32 vcc_lo, 9, v6
	s_cbranch_vccz .LBB424_1615
; %bb.1614:
	v_mov_b32_e32 v11, 0
	v_and_b32_e32 v9, 0xffff, v0
	s_mov_b32 s0, 0
	s_delay_alu instid0(VALU_DEP_2) | instskip(NEXT) | instid1(VALU_DEP_2)
	v_mov_b32_e32 v12, v11
	v_cvt_f64_u32_e32 v[9:10], v9
	global_store_b128 v[4:5], v[9:12], off
.LBB424_1615:
	s_and_not1_b32 vcc_lo, exec_lo, s0
	s_cbranch_vccnz .LBB424_1617
; %bb.1616:
	v_cvt_f32_ubyte0_e32 v9, v0
	v_mov_b32_e32 v10, 0
	global_store_b64 v[4:5], v[9:10], off
.LBB424_1617:
	s_mov_b32 s0, 0
.LBB424_1618:
	s_delay_alu instid0(SALU_CYCLE_1)
	s_and_not1_b32 vcc_lo, exec_lo, s0
	s_cbranch_vccnz .LBB424_1620
; %bb.1619:
	v_cvt_f16_u16_e32 v9, v0
	s_delay_alu instid0(VALU_DEP_1)
	v_and_b32_e32 v9, 0xffff, v9
	global_store_b32 v[4:5], v9, off
.LBB424_1620:
	s_mov_b32 s0, 0
.LBB424_1621:
	s_delay_alu instid0(SALU_CYCLE_1)
	s_and_not1_b32 vcc_lo, exec_lo, s0
	s_cbranch_vccnz .LBB424_1630
; %bb.1622:
	v_cmp_gt_i16_e32 vcc_lo, 6, v6
	s_mov_b32 s0, -1
	s_cbranch_vccnz .LBB424_1628
; %bb.1623:
	v_cmp_lt_i16_e32 vcc_lo, 6, v6
	s_cbranch_vccz .LBB424_1625
; %bb.1624:
	v_and_b32_e32 v9, 0xffff, v0
	s_mov_b32 s0, 0
	s_delay_alu instid0(VALU_DEP_1)
	v_cvt_f64_u32_e32 v[9:10], v9
	global_store_b64 v[4:5], v[9:10], off
.LBB424_1625:
	s_and_not1_b32 vcc_lo, exec_lo, s0
	s_cbranch_vccnz .LBB424_1627
; %bb.1626:
	v_cvt_f32_ubyte0_e32 v9, v0
	global_store_b32 v[4:5], v9, off
.LBB424_1627:
	s_mov_b32 s0, 0
.LBB424_1628:
	s_delay_alu instid0(SALU_CYCLE_1)
	s_and_not1_b32 vcc_lo, exec_lo, s0
	s_cbranch_vccnz .LBB424_1630
; %bb.1629:
	v_cvt_f16_u16_e32 v9, v0
	global_store_b16 v[4:5], v9, off
.LBB424_1630:
	s_mov_b32 s0, 0
.LBB424_1631:
	s_delay_alu instid0(SALU_CYCLE_1)
	s_and_not1_b32 vcc_lo, exec_lo, s0
	s_cbranch_vccnz .LBB424_1647
; %bb.1632:
	v_cmp_gt_i16_e32 vcc_lo, 2, v6
	s_mov_b32 s0, -1
	s_cbranch_vccnz .LBB424_1642
; %bb.1633:
	v_cmp_gt_i16_e32 vcc_lo, 3, v6
	s_cbranch_vccnz .LBB424_1639
; %bb.1634:
	v_cmp_lt_i16_e32 vcc_lo, 3, v6
	s_cbranch_vccz .LBB424_1636
; %bb.1635:
	s_mov_b32 s0, 0
	s_delay_alu instid0(SALU_CYCLE_1)
	v_dual_mov_b32 v10, s0 :: v_dual_and_b32 v9, 0xffff, v0
	global_store_b64 v[4:5], v[9:10], off
.LBB424_1636:
	s_and_not1_b32 vcc_lo, exec_lo, s0
	s_cbranch_vccnz .LBB424_1638
; %bb.1637:
	v_and_b32_e32 v9, 0xffff, v0
	global_store_b32 v[4:5], v9, off
.LBB424_1638:
	s_mov_b32 s0, 0
.LBB424_1639:
	s_delay_alu instid0(SALU_CYCLE_1)
	s_and_not1_b32 vcc_lo, exec_lo, s0
	s_cbranch_vccnz .LBB424_1641
; %bb.1640:
	global_store_b16 v[4:5], v0, off
.LBB424_1641:
	s_mov_b32 s0, 0
.LBB424_1642:
	s_delay_alu instid0(SALU_CYCLE_1)
	s_and_not1_b32 vcc_lo, exec_lo, s0
	s_cbranch_vccnz .LBB424_1647
; %bb.1643:
	v_cmp_lt_i16_e32 vcc_lo, 0, v6
	s_mov_b32 s0, -1
	s_cbranch_vccz .LBB424_1645
; %bb.1644:
	s_mov_b32 s0, 0
	global_store_b8 v[4:5], v0, off
.LBB424_1645:
	s_and_not1_b32 vcc_lo, exec_lo, s0
	s_cbranch_vccnz .LBB424_1647
; %bb.1646:
	global_store_b8 v[4:5], v0, off
.LBB424_1647:
	s_mov_b32 s3, -1
.LBB424_1648:
	s_delay_alu instid0(SALU_CYCLE_1)
	s_and_not1_b32 vcc_lo, exec_lo, s3
	s_cbranch_vccnz .LBB424_1963
; %bb.1649:
	s_lshl_b32 s1, s2, 7
	v_and_b32_e32 v0, 0xff, v1
	v_add_nc_u32_e32 v8, s1, v8
	v_cmp_gt_i16_e32 vcc_lo, 11, v6
	s_delay_alu instid0(VALU_DEP_3) | instskip(NEXT) | instid1(VALU_DEP_3)
	v_min_u16 v9, v0, v7
	v_ashrrev_i32_e32 v1, 31, v8
	v_add_co_u32 v0, s0, s4, v8
	s_delay_alu instid0(VALU_DEP_1)
	v_add_co_ci_u32_e64 v1, s0, s5, v1, s0
	s_cbranch_vccnz .LBB424_1727
; %bb.1650:
	v_cmp_lt_i16_e32 vcc_lo, 25, v6
	s_mov_b32 s6, -1
	s_mov_b32 s2, 0
	s_mov_b32 s3, 0
	;; [unrolled: 1-line block ×3, first 2 shown]
	s_cbranch_vccz .LBB424_1683
; %bb.1651:
	v_cmp_lt_i16_e32 vcc_lo, 28, v6
	s_cbranch_vccz .LBB424_1666
; %bb.1652:
	v_cmp_lt_i16_e32 vcc_lo, 43, v6
	;; [unrolled: 3-line block ×3, first 2 shown]
	s_cbranch_vccz .LBB424_1656
; %bb.1654:
	v_cmp_eq_u16_e32 vcc_lo, 46, v6
	s_mov_b32 s0, -1
	s_mov_b32 s6, 0
	s_cbranch_vccz .LBB424_1656
; %bb.1655:
	v_cvt_f32_ubyte0_e32 v4, v9
	s_mov_b32 s0, 0
	s_mov_b32 s3, -1
	s_delay_alu instid0(VALU_DEP_1) | instskip(NEXT) | instid1(VALU_DEP_1)
	v_bfe_u32 v5, v4, 16, 1
	v_add3_u32 v4, v4, v5, 0x7fff
	s_delay_alu instid0(VALU_DEP_1)
	v_lshrrev_b32_e32 v4, 16, v4
	global_store_b32 v[0:1], v4, off
.LBB424_1656:
	s_and_b32 vcc_lo, exec_lo, s6
	s_cbranch_vccz .LBB424_1661
; %bb.1657:
	v_cmp_eq_u16_e32 vcc_lo, 44, v6
	s_mov_b32 s0, -1
	s_cbranch_vccz .LBB424_1661
; %bb.1658:
	v_cvt_f32_ubyte0_e32 v10, v9
	v_mov_b32_e32 v5, 0xff
	s_mov_b32 s3, exec_lo
	s_delay_alu instid0(VALU_DEP_2) | instskip(NEXT) | instid1(VALU_DEP_1)
	v_lshrrev_b32_e32 v4, 23, v10
	v_cmpx_ne_u32_e32 0xff, v4
; %bb.1659:
	v_and_b32_e32 v5, 0x400000, v10
	v_and_or_b32 v10, 0x3fffff, v10, v4
	s_delay_alu instid0(VALU_DEP_2) | instskip(NEXT) | instid1(VALU_DEP_2)
	v_cmp_ne_u32_e32 vcc_lo, 0, v5
	v_cmp_ne_u32_e64 s0, 0, v10
	s_delay_alu instid0(VALU_DEP_1) | instskip(NEXT) | instid1(SALU_CYCLE_1)
	s_and_b32 s0, vcc_lo, s0
	v_cndmask_b32_e64 v5, 0, 1, s0
	s_delay_alu instid0(VALU_DEP_1)
	v_add_nc_u32_e32 v5, v4, v5
; %bb.1660:
	s_or_b32 exec_lo, exec_lo, s3
	s_mov_b32 s0, 0
	s_mov_b32 s3, -1
	global_store_b8 v[0:1], v5, off
.LBB424_1661:
	s_mov_b32 s6, 0
.LBB424_1662:
	s_delay_alu instid0(SALU_CYCLE_1)
	s_and_b32 vcc_lo, exec_lo, s6
	s_cbranch_vccz .LBB424_1665
; %bb.1663:
	v_cmp_eq_u16_e32 vcc_lo, 29, v6
	s_mov_b32 s0, -1
	s_cbranch_vccz .LBB424_1665
; %bb.1664:
	s_mov_b32 s0, 0
	s_delay_alu instid0(SALU_CYCLE_1)
	v_dual_mov_b32 v5, s0 :: v_dual_and_b32 v4, 0xffff, v9
	s_mov_b32 s3, -1
	global_store_b64 v[0:1], v[4:5], off
.LBB424_1665:
	s_mov_b32 s6, 0
.LBB424_1666:
	s_delay_alu instid0(SALU_CYCLE_1)
	s_and_b32 vcc_lo, exec_lo, s6
	s_cbranch_vccz .LBB424_1682
; %bb.1667:
	v_cmp_gt_i16_e32 vcc_lo, 27, v6
	s_mov_b32 s3, -1
	s_cbranch_vccnz .LBB424_1673
; %bb.1668:
	v_cmp_lt_i16_e32 vcc_lo, 27, v6
	s_cbranch_vccz .LBB424_1670
; %bb.1669:
	v_and_b32_e32 v4, 0xffff, v9
	s_mov_b32 s3, 0
	global_store_b32 v[0:1], v4, off
.LBB424_1670:
	s_and_not1_b32 vcc_lo, exec_lo, s3
	s_cbranch_vccnz .LBB424_1672
; %bb.1671:
	global_store_b16 v[0:1], v9, off
.LBB424_1672:
	s_mov_b32 s3, 0
.LBB424_1673:
	s_delay_alu instid0(SALU_CYCLE_1)
	s_and_not1_b32 vcc_lo, exec_lo, s3
	s_cbranch_vccnz .LBB424_1681
; %bb.1674:
	v_cvt_f32_ubyte0_e32 v5, v9
	v_mov_b32_e32 v10, 0x80
	s_mov_b32 s3, exec_lo
	s_delay_alu instid0(VALU_DEP_2)
	v_cmpx_gt_u32_e32 0x43800000, v5
	s_cbranch_execz .LBB424_1680
; %bb.1675:
	s_mov_b32 s6, 0
	s_mov_b32 s7, exec_lo
                                        ; implicit-def: $vgpr4
	v_cmpx_lt_u32_e32 0x3bffffff, v5
	s_xor_b32 s7, exec_lo, s7
	s_cbranch_execz .LBB424_2019
; %bb.1676:
	v_bfe_u32 v4, v5, 20, 1
	s_mov_b32 s6, exec_lo
	s_delay_alu instid0(VALU_DEP_1) | instskip(NEXT) | instid1(VALU_DEP_1)
	v_add3_u32 v4, v5, v4, 0x487ffff
                                        ; implicit-def: $vgpr5
	v_lshrrev_b32_e32 v4, 20, v4
	s_or_saveexec_b32 s7, s7
                                        ; implicit-def: $sgpr8
	s_delay_alu instid0(SALU_CYCLE_1)
	s_xor_b32 exec_lo, exec_lo, s7
	s_cbranch_execnz .LBB424_2020
.LBB424_1677:
	s_or_b32 exec_lo, exec_lo, s7
	v_mov_b32_e32 v10, s8
	s_and_saveexec_b32 s7, s6
.LBB424_1678:
	v_mov_b32_e32 v10, v4
.LBB424_1679:
	s_or_b32 exec_lo, exec_lo, s7
.LBB424_1680:
	s_delay_alu instid0(SALU_CYCLE_1)
	s_or_b32 exec_lo, exec_lo, s3
	global_store_b8 v[0:1], v10, off
.LBB424_1681:
	s_mov_b32 s3, -1
.LBB424_1682:
	s_mov_b32 s6, 0
.LBB424_1683:
	s_delay_alu instid0(SALU_CYCLE_1)
	s_and_b32 vcc_lo, exec_lo, s6
	s_cbranch_vccz .LBB424_1723
; %bb.1684:
	v_cmp_lt_i16_e32 vcc_lo, 22, v6
	s_mov_b32 s2, -1
	s_cbranch_vccz .LBB424_1716
; %bb.1685:
	v_cmp_gt_i16_e32 vcc_lo, 24, v6
	s_cbranch_vccnz .LBB424_1705
; %bb.1686:
	v_cmp_lt_i16_e32 vcc_lo, 24, v6
	s_cbranch_vccz .LBB424_1694
; %bb.1687:
	v_cvt_f32_ubyte0_e32 v5, v9
	v_mov_b32_e32 v10, 0x80
	s_mov_b32 s2, exec_lo
	s_delay_alu instid0(VALU_DEP_2)
	v_cmpx_gt_u32_e32 0x47800000, v5
	s_cbranch_execz .LBB424_1693
; %bb.1688:
	s_mov_b32 s3, 0
	s_mov_b32 s6, exec_lo
                                        ; implicit-def: $vgpr4
	v_cmpx_lt_u32_e32 0x37ffffff, v5
	s_xor_b32 s6, exec_lo, s6
	s_cbranch_execz .LBB424_2025
; %bb.1689:
	v_bfe_u32 v4, v5, 21, 1
	s_mov_b32 s3, exec_lo
	s_delay_alu instid0(VALU_DEP_1) | instskip(NEXT) | instid1(VALU_DEP_1)
	v_add3_u32 v4, v5, v4, 0x88fffff
                                        ; implicit-def: $vgpr5
	v_lshrrev_b32_e32 v4, 21, v4
	s_or_saveexec_b32 s6, s6
                                        ; implicit-def: $sgpr7
	s_delay_alu instid0(SALU_CYCLE_1)
	s_xor_b32 exec_lo, exec_lo, s6
	s_cbranch_execnz .LBB424_2026
.LBB424_1690:
	s_or_b32 exec_lo, exec_lo, s6
	v_mov_b32_e32 v10, s7
	s_and_saveexec_b32 s6, s3
.LBB424_1691:
	v_mov_b32_e32 v10, v4
.LBB424_1692:
	s_or_b32 exec_lo, exec_lo, s6
.LBB424_1693:
	s_delay_alu instid0(SALU_CYCLE_1)
	s_or_b32 exec_lo, exec_lo, s2
	s_mov_b32 s2, 0
	global_store_b8 v[0:1], v10, off
.LBB424_1694:
	s_and_b32 vcc_lo, exec_lo, s2
	s_cbranch_vccz .LBB424_1704
; %bb.1695:
	v_cvt_f32_ubyte0_e32 v5, v9
	s_mov_b32 s2, exec_lo
                                        ; implicit-def: $vgpr4
	s_delay_alu instid0(VALU_DEP_1)
	v_cmpx_gt_u32_e32 0x43f00000, v5
	s_xor_b32 s2, exec_lo, s2
	s_cbranch_execz .LBB424_1701
; %bb.1696:
	s_mov_b32 s3, exec_lo
                                        ; implicit-def: $vgpr4
	v_cmpx_lt_u32_e32 0x3c7fffff, v5
	s_xor_b32 s3, exec_lo, s3
; %bb.1697:
	v_bfe_u32 v4, v5, 20, 1
	s_delay_alu instid0(VALU_DEP_1) | instskip(NEXT) | instid1(VALU_DEP_1)
	v_add3_u32 v4, v5, v4, 0x407ffff
	v_and_b32_e32 v5, 0xff00000, v4
	v_lshrrev_b32_e32 v4, 20, v4
	s_delay_alu instid0(VALU_DEP_2) | instskip(NEXT) | instid1(VALU_DEP_2)
	v_cmp_ne_u32_e32 vcc_lo, 0x7f00000, v5
                                        ; implicit-def: $vgpr5
	v_cndmask_b32_e32 v4, 0x7e, v4, vcc_lo
; %bb.1698:
	s_and_not1_saveexec_b32 s3, s3
; %bb.1699:
	v_add_f32_e32 v4, 0x46800000, v5
; %bb.1700:
	s_or_b32 exec_lo, exec_lo, s3
                                        ; implicit-def: $vgpr5
.LBB424_1701:
	s_and_not1_saveexec_b32 s2, s2
; %bb.1702:
	v_mov_b32_e32 v4, 0x7f
	v_cmp_lt_u32_e32 vcc_lo, 0x7f800000, v5
	s_delay_alu instid0(VALU_DEP_2)
	v_cndmask_b32_e32 v4, 0x7e, v4, vcc_lo
; %bb.1703:
	s_or_b32 exec_lo, exec_lo, s2
	global_store_b8 v[0:1], v4, off
.LBB424_1704:
	s_mov_b32 s2, 0
.LBB424_1705:
	s_delay_alu instid0(SALU_CYCLE_1)
	s_and_not1_b32 vcc_lo, exec_lo, s2
	s_cbranch_vccnz .LBB424_1715
; %bb.1706:
	v_cvt_f32_ubyte0_e32 v5, v9
	s_mov_b32 s2, exec_lo
                                        ; implicit-def: $vgpr4
	s_delay_alu instid0(VALU_DEP_1)
	v_cmpx_gt_u32_e32 0x47800000, v5
	s_xor_b32 s2, exec_lo, s2
	s_cbranch_execz .LBB424_1712
; %bb.1707:
	s_mov_b32 s3, exec_lo
                                        ; implicit-def: $vgpr4
	v_cmpx_lt_u32_e32 0x387fffff, v5
	s_xor_b32 s3, exec_lo, s3
; %bb.1708:
	v_bfe_u32 v4, v5, 21, 1
	s_delay_alu instid0(VALU_DEP_1) | instskip(NEXT) | instid1(VALU_DEP_1)
	v_add3_u32 v4, v5, v4, 0x80fffff
                                        ; implicit-def: $vgpr5
	v_lshrrev_b32_e32 v4, 21, v4
; %bb.1709:
	s_and_not1_saveexec_b32 s3, s3
; %bb.1710:
	v_add_f32_e32 v4, 0x43000000, v5
; %bb.1711:
	s_or_b32 exec_lo, exec_lo, s3
                                        ; implicit-def: $vgpr5
.LBB424_1712:
	s_and_not1_saveexec_b32 s2, s2
; %bb.1713:
	v_mov_b32_e32 v4, 0x7f
	v_cmp_lt_u32_e32 vcc_lo, 0x7f800000, v5
	s_delay_alu instid0(VALU_DEP_2)
	v_cndmask_b32_e32 v4, 0x7c, v4, vcc_lo
; %bb.1714:
	s_or_b32 exec_lo, exec_lo, s2
	global_store_b8 v[0:1], v4, off
.LBB424_1715:
	s_mov_b32 s2, 0
	s_mov_b32 s3, -1
.LBB424_1716:
	s_and_not1_b32 vcc_lo, exec_lo, s2
	s_mov_b32 s2, 0
	s_cbranch_vccnz .LBB424_1723
; %bb.1717:
	v_cmp_lt_i16_e32 vcc_lo, 14, v6
	s_mov_b32 s2, -1
	s_cbranch_vccz .LBB424_1721
; %bb.1718:
	v_cmp_eq_u16_e32 vcc_lo, 15, v6
	s_mov_b32 s0, -1
	s_cbranch_vccz .LBB424_1720
; %bb.1719:
	v_cvt_f32_ubyte0_e32 v4, v9
	s_mov_b32 s0, 0
	s_mov_b32 s3, -1
	s_delay_alu instid0(VALU_DEP_1) | instskip(NEXT) | instid1(VALU_DEP_1)
	v_bfe_u32 v5, v4, 16, 1
	v_add3_u32 v4, v4, v5, 0x7fff
	global_store_d16_hi_b16 v[0:1], v4, off
.LBB424_1720:
	s_mov_b32 s2, 0
.LBB424_1721:
	s_delay_alu instid0(SALU_CYCLE_1)
	s_and_b32 vcc_lo, exec_lo, s2
	s_mov_b32 s2, 0
	s_cbranch_vccz .LBB424_1723
; %bb.1722:
	v_cmp_ne_u16_e64 s0, 11, v6
	s_mov_b32 s2, -1
.LBB424_1723:
	s_delay_alu instid0(VALU_DEP_1)
	s_and_b32 vcc_lo, exec_lo, s0
	s_cbranch_vccnz .LBB424_2023
; %bb.1724:
	s_and_not1_b32 vcc_lo, exec_lo, s2
	s_cbranch_vccnz .LBB424_1726
.LBB424_1725:
	v_cmp_ne_u16_e32 vcc_lo, 0, v9
	s_mov_b32 s3, -1
	v_cndmask_b32_e64 v4, 0, 1, vcc_lo
	global_store_b8 v[0:1], v4, off
.LBB424_1726:
	s_mov_b32 s0, 0
	s_branch .LBB424_1728
.LBB424_1727:
	s_mov_b32 s0, -1
	s_mov_b32 s3, 0
.LBB424_1728:
	s_and_b32 vcc_lo, exec_lo, s0
	s_cbranch_vccz .LBB424_1767
; %bb.1729:
	v_cmp_gt_i16_e32 vcc_lo, 5, v6
	s_mov_b32 s0, -1
	s_cbranch_vccnz .LBB424_1750
; %bb.1730:
	v_cmp_gt_i16_e32 vcc_lo, 8, v6
	s_cbranch_vccnz .LBB424_1740
; %bb.1731:
	v_cmp_gt_i16_e32 vcc_lo, 9, v6
	s_cbranch_vccnz .LBB424_1737
; %bb.1732:
	v_cmp_lt_i16_e32 vcc_lo, 9, v6
	s_cbranch_vccz .LBB424_1734
; %bb.1733:
	v_mov_b32_e32 v12, 0
	v_and_b32_e32 v4, 0xffff, v9
	s_mov_b32 s0, 0
	s_delay_alu instid0(VALU_DEP_2) | instskip(NEXT) | instid1(VALU_DEP_2)
	v_mov_b32_e32 v13, v12
	v_cvt_f64_u32_e32 v[10:11], v4
	global_store_b128 v[0:1], v[10:13], off
.LBB424_1734:
	s_and_not1_b32 vcc_lo, exec_lo, s0
	s_cbranch_vccnz .LBB424_1736
; %bb.1735:
	v_cvt_f32_ubyte0_e32 v4, v9
	v_mov_b32_e32 v5, 0
	global_store_b64 v[0:1], v[4:5], off
.LBB424_1736:
	s_mov_b32 s0, 0
.LBB424_1737:
	s_delay_alu instid0(SALU_CYCLE_1)
	s_and_not1_b32 vcc_lo, exec_lo, s0
	s_cbranch_vccnz .LBB424_1739
; %bb.1738:
	v_cvt_f16_u16_e32 v4, v9
	s_delay_alu instid0(VALU_DEP_1)
	v_and_b32_e32 v4, 0xffff, v4
	global_store_b32 v[0:1], v4, off
.LBB424_1739:
	s_mov_b32 s0, 0
.LBB424_1740:
	s_delay_alu instid0(SALU_CYCLE_1)
	s_and_not1_b32 vcc_lo, exec_lo, s0
	s_cbranch_vccnz .LBB424_1749
; %bb.1741:
	v_cmp_gt_i16_e32 vcc_lo, 6, v6
	s_mov_b32 s0, -1
	s_cbranch_vccnz .LBB424_1747
; %bb.1742:
	v_cmp_lt_i16_e32 vcc_lo, 6, v6
	s_cbranch_vccz .LBB424_1744
; %bb.1743:
	v_and_b32_e32 v4, 0xffff, v9
	s_mov_b32 s0, 0
	s_delay_alu instid0(VALU_DEP_1)
	v_cvt_f64_u32_e32 v[4:5], v4
	global_store_b64 v[0:1], v[4:5], off
.LBB424_1744:
	s_and_not1_b32 vcc_lo, exec_lo, s0
	s_cbranch_vccnz .LBB424_1746
; %bb.1745:
	v_cvt_f32_ubyte0_e32 v4, v9
	global_store_b32 v[0:1], v4, off
.LBB424_1746:
	s_mov_b32 s0, 0
.LBB424_1747:
	s_delay_alu instid0(SALU_CYCLE_1)
	s_and_not1_b32 vcc_lo, exec_lo, s0
	s_cbranch_vccnz .LBB424_1749
; %bb.1748:
	v_cvt_f16_u16_e32 v4, v9
	global_store_b16 v[0:1], v4, off
.LBB424_1749:
	s_mov_b32 s0, 0
.LBB424_1750:
	s_delay_alu instid0(SALU_CYCLE_1)
	s_and_not1_b32 vcc_lo, exec_lo, s0
	s_cbranch_vccnz .LBB424_1766
; %bb.1751:
	v_cmp_gt_i16_e32 vcc_lo, 2, v6
	s_mov_b32 s0, -1
	s_cbranch_vccnz .LBB424_1761
; %bb.1752:
	v_cmp_gt_i16_e32 vcc_lo, 3, v6
	s_cbranch_vccnz .LBB424_1758
; %bb.1753:
	v_cmp_lt_i16_e32 vcc_lo, 3, v6
	v_and_b32_e32 v4, 0xffff, v9
	s_cbranch_vccz .LBB424_1755
; %bb.1754:
	s_mov_b32 s0, 0
	s_delay_alu instid0(SALU_CYCLE_1)
	v_mov_b32_e32 v5, s0
	global_store_b64 v[0:1], v[4:5], off
.LBB424_1755:
	s_and_not1_b32 vcc_lo, exec_lo, s0
	s_cbranch_vccnz .LBB424_1757
; %bb.1756:
	global_store_b32 v[0:1], v4, off
.LBB424_1757:
	s_mov_b32 s0, 0
.LBB424_1758:
	s_delay_alu instid0(SALU_CYCLE_1)
	s_and_not1_b32 vcc_lo, exec_lo, s0
	s_cbranch_vccnz .LBB424_1760
; %bb.1759:
	global_store_b16 v[0:1], v9, off
.LBB424_1760:
	s_mov_b32 s0, 0
.LBB424_1761:
	s_delay_alu instid0(SALU_CYCLE_1)
	s_and_not1_b32 vcc_lo, exec_lo, s0
	s_cbranch_vccnz .LBB424_1766
; %bb.1762:
	v_cmp_lt_i16_e32 vcc_lo, 0, v6
	s_mov_b32 s0, -1
	s_cbranch_vccz .LBB424_1764
; %bb.1763:
	s_mov_b32 s0, 0
	global_store_b8 v[0:1], v9, off
.LBB424_1764:
	s_and_not1_b32 vcc_lo, exec_lo, s0
	s_cbranch_vccnz .LBB424_1766
; %bb.1765:
	global_store_b8 v[0:1], v9, off
.LBB424_1766:
	s_mov_b32 s3, -1
.LBB424_1767:
	s_delay_alu instid0(SALU_CYCLE_1)
	s_and_not1_b32 vcc_lo, exec_lo, s3
	s_cbranch_vccnz .LBB424_1963
; %bb.1768:
	v_add_nc_u32_e32 v8, s1, v8
	v_and_b32_e32 v0, 0xff, v2
	v_cmp_gt_i16_e32 vcc_lo, 11, v6
	s_delay_alu instid0(VALU_DEP_3) | instskip(NEXT) | instid1(VALU_DEP_3)
	v_ashrrev_i32_e32 v1, 31, v8
	v_min_u16 v2, v0, v7
	v_add_co_u32 v0, s0, s4, v8
	s_delay_alu instid0(VALU_DEP_1)
	v_add_co_ci_u32_e64 v1, s0, s5, v1, s0
	s_cbranch_vccnz .LBB424_1846
; %bb.1769:
	v_cmp_lt_i16_e32 vcc_lo, 25, v6
	s_mov_b32 s6, -1
	s_mov_b32 s2, 0
	s_mov_b32 s3, 0
	;; [unrolled: 1-line block ×3, first 2 shown]
	s_cbranch_vccz .LBB424_1802
; %bb.1770:
	v_cmp_lt_i16_e32 vcc_lo, 28, v6
	s_cbranch_vccz .LBB424_1785
; %bb.1771:
	v_cmp_lt_i16_e32 vcc_lo, 43, v6
	;; [unrolled: 3-line block ×3, first 2 shown]
	s_cbranch_vccz .LBB424_1775
; %bb.1773:
	v_cmp_eq_u16_e32 vcc_lo, 46, v6
	s_mov_b32 s0, -1
	s_mov_b32 s6, 0
	s_cbranch_vccz .LBB424_1775
; %bb.1774:
	v_cvt_f32_ubyte0_e32 v4, v2
	s_mov_b32 s0, 0
	s_mov_b32 s3, -1
	s_delay_alu instid0(VALU_DEP_1) | instskip(NEXT) | instid1(VALU_DEP_1)
	v_bfe_u32 v5, v4, 16, 1
	v_add3_u32 v4, v4, v5, 0x7fff
	s_delay_alu instid0(VALU_DEP_1)
	v_lshrrev_b32_e32 v4, 16, v4
	global_store_b32 v[0:1], v4, off
.LBB424_1775:
	s_and_b32 vcc_lo, exec_lo, s6
	s_cbranch_vccz .LBB424_1780
; %bb.1776:
	v_cmp_eq_u16_e32 vcc_lo, 44, v6
	s_mov_b32 s0, -1
	s_cbranch_vccz .LBB424_1780
; %bb.1777:
	v_cvt_f32_ubyte0_e32 v9, v2
	v_mov_b32_e32 v5, 0xff
	s_mov_b32 s3, exec_lo
	s_delay_alu instid0(VALU_DEP_2) | instskip(NEXT) | instid1(VALU_DEP_1)
	v_lshrrev_b32_e32 v4, 23, v9
	v_cmpx_ne_u32_e32 0xff, v4
; %bb.1778:
	v_and_b32_e32 v5, 0x400000, v9
	v_and_or_b32 v9, 0x3fffff, v9, v4
	s_delay_alu instid0(VALU_DEP_2) | instskip(NEXT) | instid1(VALU_DEP_2)
	v_cmp_ne_u32_e32 vcc_lo, 0, v5
	v_cmp_ne_u32_e64 s0, 0, v9
	s_delay_alu instid0(VALU_DEP_1) | instskip(NEXT) | instid1(SALU_CYCLE_1)
	s_and_b32 s0, vcc_lo, s0
	v_cndmask_b32_e64 v5, 0, 1, s0
	s_delay_alu instid0(VALU_DEP_1)
	v_add_nc_u32_e32 v5, v4, v5
; %bb.1779:
	s_or_b32 exec_lo, exec_lo, s3
	s_mov_b32 s0, 0
	s_mov_b32 s3, -1
	global_store_b8 v[0:1], v5, off
.LBB424_1780:
	s_mov_b32 s6, 0
.LBB424_1781:
	s_delay_alu instid0(SALU_CYCLE_1)
	s_and_b32 vcc_lo, exec_lo, s6
	s_cbranch_vccz .LBB424_1784
; %bb.1782:
	v_cmp_eq_u16_e32 vcc_lo, 29, v6
	s_mov_b32 s0, -1
	s_cbranch_vccz .LBB424_1784
; %bb.1783:
	s_mov_b32 s0, 0
	s_delay_alu instid0(SALU_CYCLE_1)
	v_dual_mov_b32 v5, s0 :: v_dual_and_b32 v4, 0xffff, v2
	s_mov_b32 s3, -1
	global_store_b64 v[0:1], v[4:5], off
.LBB424_1784:
	s_mov_b32 s6, 0
.LBB424_1785:
	s_delay_alu instid0(SALU_CYCLE_1)
	s_and_b32 vcc_lo, exec_lo, s6
	s_cbranch_vccz .LBB424_1801
; %bb.1786:
	v_cmp_gt_i16_e32 vcc_lo, 27, v6
	s_mov_b32 s3, -1
	s_cbranch_vccnz .LBB424_1792
; %bb.1787:
	v_cmp_lt_i16_e32 vcc_lo, 27, v6
	s_cbranch_vccz .LBB424_1789
; %bb.1788:
	v_and_b32_e32 v4, 0xffff, v2
	s_mov_b32 s3, 0
	global_store_b32 v[0:1], v4, off
.LBB424_1789:
	s_and_not1_b32 vcc_lo, exec_lo, s3
	s_cbranch_vccnz .LBB424_1791
; %bb.1790:
	global_store_b16 v[0:1], v2, off
.LBB424_1791:
	s_mov_b32 s3, 0
.LBB424_1792:
	s_delay_alu instid0(SALU_CYCLE_1)
	s_and_not1_b32 vcc_lo, exec_lo, s3
	s_cbranch_vccnz .LBB424_1800
; %bb.1793:
	v_cvt_f32_ubyte0_e32 v5, v2
	v_mov_b32_e32 v9, 0x80
	s_mov_b32 s3, exec_lo
	s_delay_alu instid0(VALU_DEP_2)
	v_cmpx_gt_u32_e32 0x43800000, v5
	s_cbranch_execz .LBB424_1799
; %bb.1794:
	s_mov_b32 s6, 0
	s_mov_b32 s7, exec_lo
                                        ; implicit-def: $vgpr4
	v_cmpx_lt_u32_e32 0x3bffffff, v5
	s_xor_b32 s7, exec_lo, s7
	s_cbranch_execz .LBB424_2027
; %bb.1795:
	v_bfe_u32 v4, v5, 20, 1
	s_mov_b32 s6, exec_lo
	s_delay_alu instid0(VALU_DEP_1) | instskip(NEXT) | instid1(VALU_DEP_1)
	v_add3_u32 v4, v5, v4, 0x487ffff
                                        ; implicit-def: $vgpr5
	v_lshrrev_b32_e32 v4, 20, v4
	s_or_saveexec_b32 s7, s7
                                        ; implicit-def: $sgpr8
	s_delay_alu instid0(SALU_CYCLE_1)
	s_xor_b32 exec_lo, exec_lo, s7
	s_cbranch_execnz .LBB424_2028
.LBB424_1796:
	s_or_b32 exec_lo, exec_lo, s7
	v_mov_b32_e32 v9, s8
	s_and_saveexec_b32 s7, s6
.LBB424_1797:
	v_mov_b32_e32 v9, v4
.LBB424_1798:
	s_or_b32 exec_lo, exec_lo, s7
.LBB424_1799:
	s_delay_alu instid0(SALU_CYCLE_1)
	s_or_b32 exec_lo, exec_lo, s3
	global_store_b8 v[0:1], v9, off
.LBB424_1800:
	s_mov_b32 s3, -1
.LBB424_1801:
	s_mov_b32 s6, 0
.LBB424_1802:
	s_delay_alu instid0(SALU_CYCLE_1)
	s_and_b32 vcc_lo, exec_lo, s6
	s_cbranch_vccz .LBB424_1842
; %bb.1803:
	v_cmp_lt_i16_e32 vcc_lo, 22, v6
	s_mov_b32 s2, -1
	s_cbranch_vccz .LBB424_1835
; %bb.1804:
	v_cmp_gt_i16_e32 vcc_lo, 24, v6
	s_cbranch_vccnz .LBB424_1824
; %bb.1805:
	v_cmp_lt_i16_e32 vcc_lo, 24, v6
	s_cbranch_vccz .LBB424_1813
; %bb.1806:
	v_cvt_f32_ubyte0_e32 v5, v2
	v_mov_b32_e32 v9, 0x80
	s_mov_b32 s2, exec_lo
	s_delay_alu instid0(VALU_DEP_2)
	v_cmpx_gt_u32_e32 0x47800000, v5
	s_cbranch_execz .LBB424_1812
; %bb.1807:
	s_mov_b32 s3, 0
	s_mov_b32 s6, exec_lo
                                        ; implicit-def: $vgpr4
	v_cmpx_lt_u32_e32 0x37ffffff, v5
	s_xor_b32 s6, exec_lo, s6
	s_cbranch_execz .LBB424_2033
; %bb.1808:
	v_bfe_u32 v4, v5, 21, 1
	s_mov_b32 s3, exec_lo
	s_delay_alu instid0(VALU_DEP_1) | instskip(NEXT) | instid1(VALU_DEP_1)
	v_add3_u32 v4, v5, v4, 0x88fffff
                                        ; implicit-def: $vgpr5
	v_lshrrev_b32_e32 v4, 21, v4
	s_or_saveexec_b32 s6, s6
                                        ; implicit-def: $sgpr7
	s_delay_alu instid0(SALU_CYCLE_1)
	s_xor_b32 exec_lo, exec_lo, s6
	s_cbranch_execnz .LBB424_2034
.LBB424_1809:
	s_or_b32 exec_lo, exec_lo, s6
	v_mov_b32_e32 v9, s7
	s_and_saveexec_b32 s6, s3
.LBB424_1810:
	v_mov_b32_e32 v9, v4
.LBB424_1811:
	s_or_b32 exec_lo, exec_lo, s6
.LBB424_1812:
	s_delay_alu instid0(SALU_CYCLE_1)
	s_or_b32 exec_lo, exec_lo, s2
	s_mov_b32 s2, 0
	global_store_b8 v[0:1], v9, off
.LBB424_1813:
	s_and_b32 vcc_lo, exec_lo, s2
	s_cbranch_vccz .LBB424_1823
; %bb.1814:
	v_cvt_f32_ubyte0_e32 v5, v2
	s_mov_b32 s2, exec_lo
                                        ; implicit-def: $vgpr4
	s_delay_alu instid0(VALU_DEP_1)
	v_cmpx_gt_u32_e32 0x43f00000, v5
	s_xor_b32 s2, exec_lo, s2
	s_cbranch_execz .LBB424_1820
; %bb.1815:
	s_mov_b32 s3, exec_lo
                                        ; implicit-def: $vgpr4
	v_cmpx_lt_u32_e32 0x3c7fffff, v5
	s_xor_b32 s3, exec_lo, s3
; %bb.1816:
	v_bfe_u32 v4, v5, 20, 1
	s_delay_alu instid0(VALU_DEP_1) | instskip(NEXT) | instid1(VALU_DEP_1)
	v_add3_u32 v4, v5, v4, 0x407ffff
	v_and_b32_e32 v5, 0xff00000, v4
	v_lshrrev_b32_e32 v4, 20, v4
	s_delay_alu instid0(VALU_DEP_2) | instskip(NEXT) | instid1(VALU_DEP_2)
	v_cmp_ne_u32_e32 vcc_lo, 0x7f00000, v5
                                        ; implicit-def: $vgpr5
	v_cndmask_b32_e32 v4, 0x7e, v4, vcc_lo
; %bb.1817:
	s_and_not1_saveexec_b32 s3, s3
; %bb.1818:
	v_add_f32_e32 v4, 0x46800000, v5
; %bb.1819:
	s_or_b32 exec_lo, exec_lo, s3
                                        ; implicit-def: $vgpr5
.LBB424_1820:
	s_and_not1_saveexec_b32 s2, s2
; %bb.1821:
	v_mov_b32_e32 v4, 0x7f
	v_cmp_lt_u32_e32 vcc_lo, 0x7f800000, v5
	s_delay_alu instid0(VALU_DEP_2)
	v_cndmask_b32_e32 v4, 0x7e, v4, vcc_lo
; %bb.1822:
	s_or_b32 exec_lo, exec_lo, s2
	global_store_b8 v[0:1], v4, off
.LBB424_1823:
	s_mov_b32 s2, 0
.LBB424_1824:
	s_delay_alu instid0(SALU_CYCLE_1)
	s_and_not1_b32 vcc_lo, exec_lo, s2
	s_cbranch_vccnz .LBB424_1834
; %bb.1825:
	v_cvt_f32_ubyte0_e32 v5, v2
	s_mov_b32 s2, exec_lo
                                        ; implicit-def: $vgpr4
	s_delay_alu instid0(VALU_DEP_1)
	v_cmpx_gt_u32_e32 0x47800000, v5
	s_xor_b32 s2, exec_lo, s2
	s_cbranch_execz .LBB424_1831
; %bb.1826:
	s_mov_b32 s3, exec_lo
                                        ; implicit-def: $vgpr4
	v_cmpx_lt_u32_e32 0x387fffff, v5
	s_xor_b32 s3, exec_lo, s3
; %bb.1827:
	v_bfe_u32 v4, v5, 21, 1
	s_delay_alu instid0(VALU_DEP_1) | instskip(NEXT) | instid1(VALU_DEP_1)
	v_add3_u32 v4, v5, v4, 0x80fffff
                                        ; implicit-def: $vgpr5
	v_lshrrev_b32_e32 v4, 21, v4
; %bb.1828:
	s_and_not1_saveexec_b32 s3, s3
; %bb.1829:
	v_add_f32_e32 v4, 0x43000000, v5
; %bb.1830:
	s_or_b32 exec_lo, exec_lo, s3
                                        ; implicit-def: $vgpr5
.LBB424_1831:
	s_and_not1_saveexec_b32 s2, s2
; %bb.1832:
	v_mov_b32_e32 v4, 0x7f
	v_cmp_lt_u32_e32 vcc_lo, 0x7f800000, v5
	s_delay_alu instid0(VALU_DEP_2)
	v_cndmask_b32_e32 v4, 0x7c, v4, vcc_lo
; %bb.1833:
	s_or_b32 exec_lo, exec_lo, s2
	global_store_b8 v[0:1], v4, off
.LBB424_1834:
	s_mov_b32 s2, 0
	s_mov_b32 s3, -1
.LBB424_1835:
	s_and_not1_b32 vcc_lo, exec_lo, s2
	s_mov_b32 s2, 0
	s_cbranch_vccnz .LBB424_1842
; %bb.1836:
	v_cmp_lt_i16_e32 vcc_lo, 14, v6
	s_mov_b32 s2, -1
	s_cbranch_vccz .LBB424_1840
; %bb.1837:
	v_cmp_eq_u16_e32 vcc_lo, 15, v6
	s_mov_b32 s0, -1
	s_cbranch_vccz .LBB424_1839
; %bb.1838:
	v_cvt_f32_ubyte0_e32 v4, v2
	s_mov_b32 s0, 0
	s_mov_b32 s3, -1
	s_delay_alu instid0(VALU_DEP_1) | instskip(NEXT) | instid1(VALU_DEP_1)
	v_bfe_u32 v5, v4, 16, 1
	v_add3_u32 v4, v4, v5, 0x7fff
	global_store_d16_hi_b16 v[0:1], v4, off
.LBB424_1839:
	s_mov_b32 s2, 0
.LBB424_1840:
	s_delay_alu instid0(SALU_CYCLE_1)
	s_and_b32 vcc_lo, exec_lo, s2
	s_mov_b32 s2, 0
	s_cbranch_vccz .LBB424_1842
; %bb.1841:
	v_cmp_ne_u16_e64 s0, 11, v6
	s_mov_b32 s2, -1
.LBB424_1842:
	s_delay_alu instid0(VALU_DEP_1)
	s_and_b32 vcc_lo, exec_lo, s0
	s_cbranch_vccnz .LBB424_2031
; %bb.1843:
	s_and_not1_b32 vcc_lo, exec_lo, s2
	s_cbranch_vccnz .LBB424_1845
.LBB424_1844:
	v_cmp_ne_u16_e32 vcc_lo, 0, v2
	s_mov_b32 s3, -1
	v_cndmask_b32_e64 v4, 0, 1, vcc_lo
	global_store_b8 v[0:1], v4, off
.LBB424_1845:
	s_mov_b32 s0, 0
	s_branch .LBB424_1847
.LBB424_1846:
	s_mov_b32 s0, -1
	s_mov_b32 s3, 0
.LBB424_1847:
	s_and_b32 vcc_lo, exec_lo, s0
	s_cbranch_vccz .LBB424_1886
; %bb.1848:
	v_cmp_gt_i16_e32 vcc_lo, 5, v6
	s_mov_b32 s0, -1
	s_cbranch_vccnz .LBB424_1869
; %bb.1849:
	v_cmp_gt_i16_e32 vcc_lo, 8, v6
	s_cbranch_vccnz .LBB424_1859
; %bb.1850:
	v_cmp_gt_i16_e32 vcc_lo, 9, v6
	s_cbranch_vccnz .LBB424_1856
; %bb.1851:
	v_cmp_lt_i16_e32 vcc_lo, 9, v6
	s_cbranch_vccz .LBB424_1853
; %bb.1852:
	v_dual_mov_b32 v11, 0 :: v_dual_and_b32 v4, 0xffff, v2
	s_mov_b32 s0, 0
	s_delay_alu instid0(VALU_DEP_1) | instskip(NEXT) | instid1(VALU_DEP_2)
	v_cvt_f64_u32_e32 v[9:10], v4
	v_mov_b32_e32 v12, v11
	global_store_b128 v[0:1], v[9:12], off
.LBB424_1853:
	s_and_not1_b32 vcc_lo, exec_lo, s0
	s_cbranch_vccnz .LBB424_1855
; %bb.1854:
	v_cvt_f32_ubyte0_e32 v4, v2
	v_mov_b32_e32 v5, 0
	global_store_b64 v[0:1], v[4:5], off
.LBB424_1855:
	s_mov_b32 s0, 0
.LBB424_1856:
	s_delay_alu instid0(SALU_CYCLE_1)
	s_and_not1_b32 vcc_lo, exec_lo, s0
	s_cbranch_vccnz .LBB424_1858
; %bb.1857:
	v_cvt_f16_u16_e32 v4, v2
	s_delay_alu instid0(VALU_DEP_1)
	v_and_b32_e32 v4, 0xffff, v4
	global_store_b32 v[0:1], v4, off
.LBB424_1858:
	s_mov_b32 s0, 0
.LBB424_1859:
	s_delay_alu instid0(SALU_CYCLE_1)
	s_and_not1_b32 vcc_lo, exec_lo, s0
	s_cbranch_vccnz .LBB424_1868
; %bb.1860:
	v_cmp_gt_i16_e32 vcc_lo, 6, v6
	s_mov_b32 s0, -1
	s_cbranch_vccnz .LBB424_1866
; %bb.1861:
	v_cmp_lt_i16_e32 vcc_lo, 6, v6
	s_cbranch_vccz .LBB424_1863
; %bb.1862:
	v_and_b32_e32 v4, 0xffff, v2
	s_mov_b32 s0, 0
	s_delay_alu instid0(VALU_DEP_1)
	v_cvt_f64_u32_e32 v[4:5], v4
	global_store_b64 v[0:1], v[4:5], off
.LBB424_1863:
	s_and_not1_b32 vcc_lo, exec_lo, s0
	s_cbranch_vccnz .LBB424_1865
; %bb.1864:
	v_cvt_f32_ubyte0_e32 v4, v2
	global_store_b32 v[0:1], v4, off
.LBB424_1865:
	s_mov_b32 s0, 0
.LBB424_1866:
	s_delay_alu instid0(SALU_CYCLE_1)
	s_and_not1_b32 vcc_lo, exec_lo, s0
	s_cbranch_vccnz .LBB424_1868
; %bb.1867:
	v_cvt_f16_u16_e32 v4, v2
	global_store_b16 v[0:1], v4, off
.LBB424_1868:
	s_mov_b32 s0, 0
.LBB424_1869:
	s_delay_alu instid0(SALU_CYCLE_1)
	s_and_not1_b32 vcc_lo, exec_lo, s0
	s_cbranch_vccnz .LBB424_1885
; %bb.1870:
	v_cmp_gt_i16_e32 vcc_lo, 2, v6
	s_mov_b32 s0, -1
	s_cbranch_vccnz .LBB424_1880
; %bb.1871:
	v_cmp_gt_i16_e32 vcc_lo, 3, v6
	s_cbranch_vccnz .LBB424_1877
; %bb.1872:
	v_cmp_lt_i16_e32 vcc_lo, 3, v6
	v_and_b32_e32 v4, 0xffff, v2
	s_cbranch_vccz .LBB424_1874
; %bb.1873:
	s_mov_b32 s0, 0
	s_delay_alu instid0(SALU_CYCLE_1)
	v_mov_b32_e32 v5, s0
	global_store_b64 v[0:1], v[4:5], off
.LBB424_1874:
	s_and_not1_b32 vcc_lo, exec_lo, s0
	s_cbranch_vccnz .LBB424_1876
; %bb.1875:
	global_store_b32 v[0:1], v4, off
.LBB424_1876:
	s_mov_b32 s0, 0
.LBB424_1877:
	s_delay_alu instid0(SALU_CYCLE_1)
	s_and_not1_b32 vcc_lo, exec_lo, s0
	s_cbranch_vccnz .LBB424_1879
; %bb.1878:
	global_store_b16 v[0:1], v2, off
.LBB424_1879:
	s_mov_b32 s0, 0
.LBB424_1880:
	s_delay_alu instid0(SALU_CYCLE_1)
	s_and_not1_b32 vcc_lo, exec_lo, s0
	s_cbranch_vccnz .LBB424_1885
; %bb.1881:
	v_cmp_lt_i16_e32 vcc_lo, 0, v6
	s_mov_b32 s0, -1
	s_cbranch_vccz .LBB424_1883
; %bb.1882:
	s_mov_b32 s0, 0
	global_store_b8 v[0:1], v2, off
.LBB424_1883:
	s_and_not1_b32 vcc_lo, exec_lo, s0
	s_cbranch_vccnz .LBB424_1885
; %bb.1884:
	global_store_b8 v[0:1], v2, off
.LBB424_1885:
	s_mov_b32 s3, -1
.LBB424_1886:
	s_delay_alu instid0(SALU_CYCLE_1)
	s_and_not1_b32 vcc_lo, exec_lo, s3
	s_cbranch_vccnz .LBB424_1963
; %bb.1887:
	v_add_nc_u32_e32 v0, s1, v8
	v_and_b32_e32 v1, 0xff, v3
	v_cmp_gt_i16_e32 vcc_lo, 11, v6
	s_delay_alu instid0(VALU_DEP_3) | instskip(SKIP_1) | instid1(VALU_DEP_4)
	v_ashrrev_i32_e32 v3, 31, v0
	v_add_co_u32 v0, s0, s4, v0
	v_min_u16 v2, v1, v7
	s_delay_alu instid0(VALU_DEP_3)
	v_add_co_ci_u32_e64 v1, s0, s5, v3, s0
	s_cbranch_vccnz .LBB424_2008
; %bb.1888:
	v_cmp_lt_i16_e32 vcc_lo, 25, v6
	s_mov_b32 s2, -1
	s_mov_b32 s1, 0
	s_mov_b32 s0, 0
	s_cbranch_vccz .LBB424_1921
; %bb.1889:
	v_cmp_lt_i16_e32 vcc_lo, 28, v6
	s_cbranch_vccz .LBB424_1905
; %bb.1890:
	v_cmp_lt_i16_e32 vcc_lo, 43, v6
	;; [unrolled: 3-line block ×3, first 2 shown]
	s_cbranch_vccz .LBB424_1895
; %bb.1892:
	v_cmp_eq_u16_e32 vcc_lo, 46, v6
	s_mov_b32 s0, -1
	s_cbranch_vccz .LBB424_1894
; %bb.1893:
	v_cvt_f32_ubyte0_e32 v3, v2
	s_mov_b32 s0, 0
	s_delay_alu instid0(VALU_DEP_1) | instskip(NEXT) | instid1(VALU_DEP_1)
	v_bfe_u32 v4, v3, 16, 1
	v_add3_u32 v3, v3, v4, 0x7fff
	s_delay_alu instid0(VALU_DEP_1)
	v_lshrrev_b32_e32 v3, 16, v3
	global_store_b32 v[0:1], v3, off
.LBB424_1894:
	s_mov_b32 s2, 0
.LBB424_1895:
	s_delay_alu instid0(SALU_CYCLE_1)
	s_and_b32 vcc_lo, exec_lo, s2
	s_cbranch_vccz .LBB424_1900
; %bb.1896:
	v_cmp_eq_u16_e32 vcc_lo, 44, v6
	s_mov_b32 s0, -1
	s_cbranch_vccz .LBB424_1900
; %bb.1897:
	v_cvt_f32_ubyte0_e32 v5, v2
	v_mov_b32_e32 v4, 0xff
	s_mov_b32 s2, exec_lo
	s_delay_alu instid0(VALU_DEP_2) | instskip(NEXT) | instid1(VALU_DEP_1)
	v_lshrrev_b32_e32 v3, 23, v5
	v_cmpx_ne_u32_e32 0xff, v3
; %bb.1898:
	v_and_b32_e32 v4, 0x400000, v5
	v_and_or_b32 v5, 0x3fffff, v5, v3
	s_delay_alu instid0(VALU_DEP_2) | instskip(NEXT) | instid1(VALU_DEP_2)
	v_cmp_ne_u32_e32 vcc_lo, 0, v4
	v_cmp_ne_u32_e64 s0, 0, v5
	s_delay_alu instid0(VALU_DEP_1) | instskip(NEXT) | instid1(SALU_CYCLE_1)
	s_and_b32 s0, vcc_lo, s0
	v_cndmask_b32_e64 v4, 0, 1, s0
	s_delay_alu instid0(VALU_DEP_1)
	v_add_nc_u32_e32 v4, v3, v4
; %bb.1899:
	s_or_b32 exec_lo, exec_lo, s2
	s_mov_b32 s0, 0
	global_store_b8 v[0:1], v4, off
.LBB424_1900:
	s_mov_b32 s2, 0
.LBB424_1901:
	s_delay_alu instid0(SALU_CYCLE_1)
	s_and_b32 vcc_lo, exec_lo, s2
	s_cbranch_vccz .LBB424_1904
; %bb.1902:
	v_cmp_eq_u16_e32 vcc_lo, 29, v6
	s_mov_b32 s0, -1
	s_cbranch_vccz .LBB424_1904
; %bb.1903:
	s_mov_b32 s0, 0
	s_delay_alu instid0(SALU_CYCLE_1)
	v_dual_mov_b32 v4, s0 :: v_dual_and_b32 v3, 0xffff, v2
	global_store_b64 v[0:1], v[3:4], off
.LBB424_1904:
	s_mov_b32 s2, 0
.LBB424_1905:
	s_delay_alu instid0(SALU_CYCLE_1)
	s_and_b32 vcc_lo, exec_lo, s2
	s_cbranch_vccz .LBB424_1920
; %bb.1906:
	v_cmp_gt_i16_e32 vcc_lo, 27, v6
	s_mov_b32 s2, -1
	s_cbranch_vccnz .LBB424_1912
; %bb.1907:
	v_cmp_lt_i16_e32 vcc_lo, 27, v6
	s_cbranch_vccz .LBB424_1909
; %bb.1908:
	v_and_b32_e32 v3, 0xffff, v2
	s_mov_b32 s2, 0
	global_store_b32 v[0:1], v3, off
.LBB424_1909:
	s_and_not1_b32 vcc_lo, exec_lo, s2
	s_cbranch_vccnz .LBB424_1911
; %bb.1910:
	global_store_b16 v[0:1], v2, off
.LBB424_1911:
	s_mov_b32 s2, 0
.LBB424_1912:
	s_delay_alu instid0(SALU_CYCLE_1)
	s_and_not1_b32 vcc_lo, exec_lo, s2
	s_cbranch_vccnz .LBB424_1920
; %bb.1913:
	v_cvt_f32_ubyte0_e32 v4, v2
	v_mov_b32_e32 v5, 0x80
	s_mov_b32 s2, exec_lo
	s_delay_alu instid0(VALU_DEP_2)
	v_cmpx_gt_u32_e32 0x43800000, v4
	s_cbranch_execz .LBB424_1919
; %bb.1914:
	s_mov_b32 s3, 0
	s_mov_b32 s4, exec_lo
                                        ; implicit-def: $vgpr3
	v_cmpx_lt_u32_e32 0x3bffffff, v4
	s_xor_b32 s4, exec_lo, s4
	s_cbranch_execz .LBB424_2035
; %bb.1915:
	v_bfe_u32 v3, v4, 20, 1
	s_mov_b32 s3, exec_lo
	s_delay_alu instid0(VALU_DEP_1) | instskip(NEXT) | instid1(VALU_DEP_1)
	v_add3_u32 v3, v4, v3, 0x487ffff
                                        ; implicit-def: $vgpr4
	v_lshrrev_b32_e32 v3, 20, v3
	s_or_saveexec_b32 s4, s4
                                        ; implicit-def: $sgpr5
	s_delay_alu instid0(SALU_CYCLE_1)
	s_xor_b32 exec_lo, exec_lo, s4
	s_cbranch_execnz .LBB424_2036
.LBB424_1916:
	s_or_b32 exec_lo, exec_lo, s4
	v_mov_b32_e32 v5, s5
	s_and_saveexec_b32 s4, s3
.LBB424_1917:
	v_mov_b32_e32 v5, v3
.LBB424_1918:
	s_or_b32 exec_lo, exec_lo, s4
.LBB424_1919:
	s_delay_alu instid0(SALU_CYCLE_1)
	s_or_b32 exec_lo, exec_lo, s2
	global_store_b8 v[0:1], v5, off
.LBB424_1920:
	s_mov_b32 s2, 0
.LBB424_1921:
	s_delay_alu instid0(SALU_CYCLE_1)
	s_and_b32 vcc_lo, exec_lo, s2
	s_cbranch_vccz .LBB424_1961
; %bb.1922:
	v_cmp_lt_i16_e32 vcc_lo, 22, v6
	s_mov_b32 s1, -1
	s_cbranch_vccz .LBB424_1954
; %bb.1923:
	v_cmp_gt_i16_e32 vcc_lo, 24, v6
	s_cbranch_vccnz .LBB424_1943
; %bb.1924:
	v_cmp_lt_i16_e32 vcc_lo, 24, v6
	s_cbranch_vccz .LBB424_1932
; %bb.1925:
	v_cvt_f32_ubyte0_e32 v4, v2
	v_mov_b32_e32 v5, 0x80
	s_mov_b32 s1, exec_lo
	s_delay_alu instid0(VALU_DEP_2)
	v_cmpx_gt_u32_e32 0x47800000, v4
	s_cbranch_execz .LBB424_1931
; %bb.1926:
	s_mov_b32 s2, 0
	s_mov_b32 s3, exec_lo
                                        ; implicit-def: $vgpr3
	v_cmpx_lt_u32_e32 0x37ffffff, v4
	s_xor_b32 s3, exec_lo, s3
	s_cbranch_execz .LBB424_2041
; %bb.1927:
	v_bfe_u32 v3, v4, 21, 1
	s_mov_b32 s2, exec_lo
	s_delay_alu instid0(VALU_DEP_1) | instskip(NEXT) | instid1(VALU_DEP_1)
	v_add3_u32 v3, v4, v3, 0x88fffff
                                        ; implicit-def: $vgpr4
	v_lshrrev_b32_e32 v3, 21, v3
	s_or_saveexec_b32 s3, s3
                                        ; implicit-def: $sgpr4
	s_delay_alu instid0(SALU_CYCLE_1)
	s_xor_b32 exec_lo, exec_lo, s3
	s_cbranch_execnz .LBB424_2042
.LBB424_1928:
	s_or_b32 exec_lo, exec_lo, s3
	v_mov_b32_e32 v5, s4
	s_and_saveexec_b32 s3, s2
.LBB424_1929:
	v_mov_b32_e32 v5, v3
.LBB424_1930:
	s_or_b32 exec_lo, exec_lo, s3
.LBB424_1931:
	s_delay_alu instid0(SALU_CYCLE_1)
	s_or_b32 exec_lo, exec_lo, s1
	s_mov_b32 s1, 0
	global_store_b8 v[0:1], v5, off
.LBB424_1932:
	s_and_b32 vcc_lo, exec_lo, s1
	s_cbranch_vccz .LBB424_1942
; %bb.1933:
	v_cvt_f32_ubyte0_e32 v4, v2
	s_mov_b32 s1, exec_lo
                                        ; implicit-def: $vgpr3
	s_delay_alu instid0(VALU_DEP_1)
	v_cmpx_gt_u32_e32 0x43f00000, v4
	s_xor_b32 s1, exec_lo, s1
	s_cbranch_execz .LBB424_1939
; %bb.1934:
	s_mov_b32 s2, exec_lo
                                        ; implicit-def: $vgpr3
	v_cmpx_lt_u32_e32 0x3c7fffff, v4
	s_xor_b32 s2, exec_lo, s2
; %bb.1935:
	v_bfe_u32 v3, v4, 20, 1
	s_delay_alu instid0(VALU_DEP_1) | instskip(NEXT) | instid1(VALU_DEP_1)
	v_add3_u32 v3, v4, v3, 0x407ffff
	v_and_b32_e32 v4, 0xff00000, v3
	v_lshrrev_b32_e32 v3, 20, v3
	s_delay_alu instid0(VALU_DEP_2) | instskip(NEXT) | instid1(VALU_DEP_2)
	v_cmp_ne_u32_e32 vcc_lo, 0x7f00000, v4
                                        ; implicit-def: $vgpr4
	v_cndmask_b32_e32 v3, 0x7e, v3, vcc_lo
; %bb.1936:
	s_and_not1_saveexec_b32 s2, s2
; %bb.1937:
	v_add_f32_e32 v3, 0x46800000, v4
; %bb.1938:
	s_or_b32 exec_lo, exec_lo, s2
                                        ; implicit-def: $vgpr4
.LBB424_1939:
	s_and_not1_saveexec_b32 s1, s1
; %bb.1940:
	v_mov_b32_e32 v3, 0x7f
	v_cmp_lt_u32_e32 vcc_lo, 0x7f800000, v4
	s_delay_alu instid0(VALU_DEP_2)
	v_cndmask_b32_e32 v3, 0x7e, v3, vcc_lo
; %bb.1941:
	s_or_b32 exec_lo, exec_lo, s1
	global_store_b8 v[0:1], v3, off
.LBB424_1942:
	s_mov_b32 s1, 0
.LBB424_1943:
	s_delay_alu instid0(SALU_CYCLE_1)
	s_and_not1_b32 vcc_lo, exec_lo, s1
	s_cbranch_vccnz .LBB424_1953
; %bb.1944:
	v_cvt_f32_ubyte0_e32 v4, v2
	s_mov_b32 s1, exec_lo
                                        ; implicit-def: $vgpr3
	s_delay_alu instid0(VALU_DEP_1)
	v_cmpx_gt_u32_e32 0x47800000, v4
	s_xor_b32 s1, exec_lo, s1
	s_cbranch_execz .LBB424_1950
; %bb.1945:
	s_mov_b32 s2, exec_lo
                                        ; implicit-def: $vgpr3
	v_cmpx_lt_u32_e32 0x387fffff, v4
	s_xor_b32 s2, exec_lo, s2
; %bb.1946:
	v_bfe_u32 v3, v4, 21, 1
	s_delay_alu instid0(VALU_DEP_1) | instskip(NEXT) | instid1(VALU_DEP_1)
	v_add3_u32 v3, v4, v3, 0x80fffff
                                        ; implicit-def: $vgpr4
	v_lshrrev_b32_e32 v3, 21, v3
; %bb.1947:
	s_and_not1_saveexec_b32 s2, s2
; %bb.1948:
	v_add_f32_e32 v3, 0x43000000, v4
; %bb.1949:
	s_or_b32 exec_lo, exec_lo, s2
                                        ; implicit-def: $vgpr4
.LBB424_1950:
	s_and_not1_saveexec_b32 s1, s1
; %bb.1951:
	v_mov_b32_e32 v3, 0x7f
	v_cmp_lt_u32_e32 vcc_lo, 0x7f800000, v4
	s_delay_alu instid0(VALU_DEP_2)
	v_cndmask_b32_e32 v3, 0x7c, v3, vcc_lo
; %bb.1952:
	s_or_b32 exec_lo, exec_lo, s1
	global_store_b8 v[0:1], v3, off
.LBB424_1953:
	s_mov_b32 s1, 0
.LBB424_1954:
	s_delay_alu instid0(SALU_CYCLE_1)
	s_and_not1_b32 vcc_lo, exec_lo, s1
	s_mov_b32 s1, 0
	s_cbranch_vccnz .LBB424_1961
; %bb.1955:
	v_cmp_lt_i16_e32 vcc_lo, 14, v6
	s_mov_b32 s1, -1
	s_cbranch_vccz .LBB424_1959
; %bb.1956:
	v_cmp_eq_u16_e32 vcc_lo, 15, v6
	s_mov_b32 s0, -1
	s_cbranch_vccz .LBB424_1958
; %bb.1957:
	v_cvt_f32_ubyte0_e32 v3, v2
	s_mov_b32 s0, 0
	s_delay_alu instid0(VALU_DEP_1) | instskip(NEXT) | instid1(VALU_DEP_1)
	v_bfe_u32 v4, v3, 16, 1
	v_add3_u32 v3, v3, v4, 0x7fff
	global_store_d16_hi_b16 v[0:1], v3, off
.LBB424_1958:
	s_mov_b32 s1, 0
.LBB424_1959:
	s_delay_alu instid0(SALU_CYCLE_1)
	s_and_b32 vcc_lo, exec_lo, s1
	s_mov_b32 s1, 0
	s_cbranch_vccz .LBB424_1961
; %bb.1960:
	v_cmp_ne_u16_e64 s0, 11, v6
	s_mov_b32 s1, -1
.LBB424_1961:
	s_delay_alu instid0(VALU_DEP_1)
	s_and_b32 vcc_lo, exec_lo, s0
	s_cbranch_vccnz .LBB424_2039
.LBB424_1962:
	s_mov_b32 s0, 0
	s_branch .LBB424_1964
.LBB424_1963:
	s_mov_b32 s0, 0
	s_mov_b32 s1, 0
                                        ; implicit-def: $vgpr6
                                        ; implicit-def: $vgpr0_vgpr1
                                        ; implicit-def: $vgpr2
.LBB424_1964:
	s_and_not1_b32 s2, s12, exec_lo
	s_and_b32 s3, s9, exec_lo
	s_and_b32 s0, s0, exec_lo
	;; [unrolled: 1-line block ×3, first 2 shown]
	s_or_b32 s12, s2, s3
.LBB424_1965:
	s_or_b32 exec_lo, exec_lo, s11
	s_and_saveexec_b32 s1, s12
	s_cbranch_execz .LBB424_1968
; %bb.1966:
	; divergent unreachable
	s_or_b32 exec_lo, exec_lo, s1
	s_and_saveexec_b32 s1, s9
	s_delay_alu instid0(SALU_CYCLE_1)
	s_xor_b32 s1, exec_lo, s1
	s_cbranch_execnz .LBB424_1969
.LBB424_1967:
	s_or_b32 exec_lo, exec_lo, s1
	s_and_saveexec_b32 s1, s0
	s_cbranch_execnz .LBB424_1970
	s_branch .LBB424_2007
.LBB424_1968:
	s_or_b32 exec_lo, exec_lo, s1
	s_and_saveexec_b32 s1, s9
	s_delay_alu instid0(SALU_CYCLE_1)
	s_xor_b32 s1, exec_lo, s1
	s_cbranch_execz .LBB424_1967
.LBB424_1969:
	s_waitcnt vmcnt(0)
	v_and_b32_e32 v3, 0xff, v2
	s_delay_alu instid0(VALU_DEP_1)
	v_cmp_ne_u16_e32 vcc_lo, 0, v3
	v_cndmask_b32_e64 v3, 0, 1, vcc_lo
	global_store_b8 v[0:1], v3, off
	s_or_b32 exec_lo, exec_lo, s1
	s_and_saveexec_b32 s1, s0
	s_cbranch_execz .LBB424_2007
.LBB424_1970:
	v_cmp_gt_i16_e32 vcc_lo, 5, v6
	s_mov_b32 s0, -1
	s_cbranch_vccnz .LBB424_1991
; %bb.1971:
	v_cmp_gt_i16_e32 vcc_lo, 8, v6
	s_cbranch_vccnz .LBB424_1981
; %bb.1972:
	v_cmp_gt_i16_e32 vcc_lo, 9, v6
	s_cbranch_vccnz .LBB424_1978
; %bb.1973:
	v_cmp_lt_i16_e32 vcc_lo, 9, v6
	s_cbranch_vccz .LBB424_1975
; %bb.1974:
	v_mov_b32_e32 v9, 0
	s_waitcnt vmcnt(0)
	v_and_b32_e32 v3, 0xff, v2
	s_mov_b32 s0, 0
	s_delay_alu instid0(VALU_DEP_1) | instskip(NEXT) | instid1(VALU_DEP_1)
	v_dual_mov_b32 v10, v9 :: v_dual_and_b32 v3, 0xffff, v3
	v_cvt_f64_u32_e32 v[7:8], v3
	global_store_b128 v[0:1], v[7:10], off
.LBB424_1975:
	s_and_not1_b32 vcc_lo, exec_lo, s0
	s_cbranch_vccnz .LBB424_1977
; %bb.1976:
	s_waitcnt vmcnt(0)
	v_cvt_f32_ubyte0_e32 v3, v2
	v_mov_b32_e32 v4, 0
	global_store_b64 v[0:1], v[3:4], off
.LBB424_1977:
	s_mov_b32 s0, 0
.LBB424_1978:
	s_delay_alu instid0(SALU_CYCLE_1)
	s_and_not1_b32 vcc_lo, exec_lo, s0
	s_cbranch_vccnz .LBB424_1980
; %bb.1979:
	s_waitcnt vmcnt(0)
	v_and_b32_e32 v3, 0xff, v2
	s_delay_alu instid0(VALU_DEP_1) | instskip(NEXT) | instid1(VALU_DEP_1)
	v_cvt_f16_u16_e32 v3, v3
	v_and_b32_e32 v3, 0xffff, v3
	global_store_b32 v[0:1], v3, off
.LBB424_1980:
	s_mov_b32 s0, 0
.LBB424_1981:
	s_delay_alu instid0(SALU_CYCLE_1)
	s_and_not1_b32 vcc_lo, exec_lo, s0
	s_cbranch_vccnz .LBB424_1990
; %bb.1982:
	v_cmp_gt_i16_e32 vcc_lo, 6, v6
	s_mov_b32 s0, -1
	s_cbranch_vccnz .LBB424_1988
; %bb.1983:
	v_cmp_lt_i16_e32 vcc_lo, 6, v6
	s_cbranch_vccz .LBB424_1985
; %bb.1984:
	s_waitcnt vmcnt(0)
	v_and_b32_e32 v3, 0xff, v2
	s_mov_b32 s0, 0
	s_delay_alu instid0(VALU_DEP_1) | instskip(NEXT) | instid1(VALU_DEP_1)
	v_and_b32_e32 v3, 0xffff, v3
	v_cvt_f64_u32_e32 v[3:4], v3
	global_store_b64 v[0:1], v[3:4], off
.LBB424_1985:
	s_and_not1_b32 vcc_lo, exec_lo, s0
	s_cbranch_vccnz .LBB424_1987
; %bb.1986:
	s_waitcnt vmcnt(0)
	v_cvt_f32_ubyte0_e32 v3, v2
	global_store_b32 v[0:1], v3, off
.LBB424_1987:
	s_mov_b32 s0, 0
.LBB424_1988:
	s_delay_alu instid0(SALU_CYCLE_1)
	s_and_not1_b32 vcc_lo, exec_lo, s0
	s_cbranch_vccnz .LBB424_1990
; %bb.1989:
	s_waitcnt vmcnt(0)
	v_and_b32_e32 v3, 0xff, v2
	s_delay_alu instid0(VALU_DEP_1)
	v_cvt_f16_u16_e32 v3, v3
	global_store_b16 v[0:1], v3, off
.LBB424_1990:
	s_mov_b32 s0, 0
.LBB424_1991:
	s_delay_alu instid0(SALU_CYCLE_1)
	s_and_not1_b32 vcc_lo, exec_lo, s0
	s_cbranch_vccnz .LBB424_2007
; %bb.1992:
	v_cmp_gt_i16_e32 vcc_lo, 2, v6
	s_mov_b32 s0, -1
	s_cbranch_vccnz .LBB424_2002
; %bb.1993:
	v_cmp_gt_i16_e32 vcc_lo, 3, v6
	s_cbranch_vccnz .LBB424_1999
; %bb.1994:
	v_cmp_lt_i16_e32 vcc_lo, 3, v6
	s_cbranch_vccz .LBB424_1996
; %bb.1995:
	s_waitcnt vmcnt(0)
	v_dual_mov_b32 v4, 0 :: v_dual_and_b32 v3, 0xff, v2
	s_mov_b32 s0, 0
	global_store_b64 v[0:1], v[3:4], off
.LBB424_1996:
	s_and_not1_b32 vcc_lo, exec_lo, s0
	s_cbranch_vccnz .LBB424_1998
; %bb.1997:
	s_waitcnt vmcnt(0)
	v_and_b32_e32 v3, 0xff, v2
	global_store_b32 v[0:1], v3, off
.LBB424_1998:
	s_mov_b32 s0, 0
.LBB424_1999:
	s_delay_alu instid0(SALU_CYCLE_1)
	s_and_not1_b32 vcc_lo, exec_lo, s0
	s_cbranch_vccnz .LBB424_2001
; %bb.2000:
	s_waitcnt vmcnt(0)
	v_and_b32_e32 v3, 0xff, v2
	global_store_b16 v[0:1], v3, off
.LBB424_2001:
	s_mov_b32 s0, 0
.LBB424_2002:
	s_delay_alu instid0(SALU_CYCLE_1)
	s_and_not1_b32 vcc_lo, exec_lo, s0
	s_cbranch_vccnz .LBB424_2007
; %bb.2003:
	v_cmp_lt_i16_e32 vcc_lo, 0, v6
	s_mov_b32 s0, -1
	s_cbranch_vccz .LBB424_2005
; %bb.2004:
	s_mov_b32 s0, 0
	s_waitcnt vmcnt(0)
	global_store_b8 v[0:1], v2, off
.LBB424_2005:
	s_and_not1_b32 vcc_lo, exec_lo, s0
	s_cbranch_vccnz .LBB424_2007
; %bb.2006:
	s_waitcnt vmcnt(0)
	global_store_b8 v[0:1], v2, off
	s_nop 0
	s_sendmsg sendmsg(MSG_DEALLOC_VGPRS)
	s_endpgm
.LBB424_2007:
	s_nop 0
	s_sendmsg sendmsg(MSG_DEALLOC_VGPRS)
	s_endpgm
.LBB424_2008:
	s_mov_b32 s1, 0
	s_mov_b32 s0, -1
	s_branch .LBB424_1964
.LBB424_2009:
	s_cbranch_execnz .LBB424_2013
; %bb.2010:
	s_or_b32 s9, s9, exec_lo
                                        ; implicit-def: $vgpr3
	s_cbranch_execz .LBB424_1478
	s_branch .LBB424_1479
.LBB424_2011:
	s_or_saveexec_b32 s7, s7
                                        ; implicit-def: $sgpr8
	s_delay_alu instid0(SALU_CYCLE_1)
	s_xor_b32 exec_lo, exec_lo, s7
	s_cbranch_execz .LBB424_1558
.LBB424_2012:
	v_add_f32_e32 v9, 0x46000000, v10
	s_and_not1_b32 s6, s6, exec_lo
	s_mov_b32 s8, 0
	s_delay_alu instid0(VALU_DEP_1) | instskip(NEXT) | instid1(VALU_DEP_1)
	v_and_b32_e32 v9, 0xff, v9
	v_cmp_ne_u32_e32 vcc_lo, 0, v9
	s_and_b32 s10, vcc_lo, exec_lo
	s_delay_alu instid0(SALU_CYCLE_1)
	s_or_b32 s6, s6, s10
	s_or_b32 exec_lo, exec_lo, s7
	v_mov_b32_e32 v11, s8
	s_and_saveexec_b32 s7, s6
	s_cbranch_execnz .LBB424_1559
	s_branch .LBB424_1560
.LBB424_2013:
	s_trap 2
	s_sendmsg_rtn_b32 s0, sendmsg(MSG_RTN_GET_DOORBELL)
	s_mov_b32 ttmp2, m0
	s_waitcnt lgkmcnt(0)
	s_and_b32 s0, s0, 0x3ff
	s_delay_alu instid0(SALU_CYCLE_1) | instskip(NEXT) | instid1(SALU_CYCLE_1)
	s_bitset1_b32 s0, 10
	s_mov_b32 m0, s0
	s_sendmsg sendmsg(MSG_INTERRUPT)
	s_mov_b32 m0, ttmp2
.LBB424_2014:                           ; =>This Inner Loop Header: Depth=1
	s_sethalt 5
	s_branch .LBB424_2014
.LBB424_2015:
	s_cbranch_execnz .LBB424_2021
; %bb.2016:
	s_or_b32 s9, s9, exec_lo
	s_cbranch_execz .LBB424_1606
	s_branch .LBB424_1607
.LBB424_2017:
	s_or_saveexec_b32 s6, s6
                                        ; implicit-def: $sgpr7
	s_delay_alu instid0(SALU_CYCLE_1)
	s_xor_b32 exec_lo, exec_lo, s6
	s_cbranch_execz .LBB424_1571
.LBB424_2018:
	v_add_f32_e32 v9, 0x42800000, v10
	s_and_not1_b32 s3, s3, exec_lo
	s_mov_b32 s7, 0
	s_delay_alu instid0(VALU_DEP_1) | instskip(NEXT) | instid1(VALU_DEP_1)
	v_and_b32_e32 v9, 0xff, v9
	v_cmp_ne_u32_e32 vcc_lo, 0, v9
	s_and_b32 s8, vcc_lo, exec_lo
	s_delay_alu instid0(SALU_CYCLE_1)
	s_or_b32 s3, s3, s8
	s_or_b32 exec_lo, exec_lo, s6
	v_mov_b32_e32 v11, s7
	s_and_saveexec_b32 s6, s3
	s_cbranch_execnz .LBB424_1572
	s_branch .LBB424_1573
.LBB424_2019:
	s_or_saveexec_b32 s7, s7
                                        ; implicit-def: $sgpr8
	s_delay_alu instid0(SALU_CYCLE_1)
	s_xor_b32 exec_lo, exec_lo, s7
	s_cbranch_execz .LBB424_1677
.LBB424_2020:
	v_add_f32_e32 v4, 0x46000000, v5
	s_and_not1_b32 s6, s6, exec_lo
	s_mov_b32 s8, 0
	s_delay_alu instid0(VALU_DEP_1) | instskip(NEXT) | instid1(VALU_DEP_1)
	v_and_b32_e32 v4, 0xff, v4
	v_cmp_ne_u32_e32 vcc_lo, 0, v4
	s_and_b32 s10, vcc_lo, exec_lo
	s_delay_alu instid0(SALU_CYCLE_1)
	s_or_b32 s6, s6, s10
	s_or_b32 exec_lo, exec_lo, s7
	v_mov_b32_e32 v10, s8
	s_and_saveexec_b32 s7, s6
	s_cbranch_execnz .LBB424_1678
	s_branch .LBB424_1679
.LBB424_2021:
	s_trap 2
	s_sendmsg_rtn_b32 s0, sendmsg(MSG_RTN_GET_DOORBELL)
	s_mov_b32 ttmp2, m0
	s_waitcnt lgkmcnt(0)
	s_and_b32 s0, s0, 0x3ff
	s_delay_alu instid0(SALU_CYCLE_1) | instskip(NEXT) | instid1(SALU_CYCLE_1)
	s_bitset1_b32 s0, 10
	s_mov_b32 m0, s0
	s_sendmsg sendmsg(MSG_INTERRUPT)
	s_mov_b32 m0, ttmp2
.LBB424_2022:                           ; =>This Inner Loop Header: Depth=1
	s_sethalt 5
	s_branch .LBB424_2022
.LBB424_2023:
	s_cbranch_execnz .LBB424_2029
; %bb.2024:
	s_or_b32 s9, s9, exec_lo
	s_cbranch_execz .LBB424_1725
	s_branch .LBB424_1726
.LBB424_2025:
	s_or_saveexec_b32 s6, s6
                                        ; implicit-def: $sgpr7
	s_delay_alu instid0(SALU_CYCLE_1)
	s_xor_b32 exec_lo, exec_lo, s6
	s_cbranch_execz .LBB424_1690
.LBB424_2026:
	v_add_f32_e32 v4, 0x42800000, v5
	s_and_not1_b32 s3, s3, exec_lo
	s_mov_b32 s7, 0
	s_delay_alu instid0(VALU_DEP_1) | instskip(NEXT) | instid1(VALU_DEP_1)
	v_and_b32_e32 v4, 0xff, v4
	v_cmp_ne_u32_e32 vcc_lo, 0, v4
	s_and_b32 s8, vcc_lo, exec_lo
	s_delay_alu instid0(SALU_CYCLE_1)
	s_or_b32 s3, s3, s8
	s_or_b32 exec_lo, exec_lo, s6
	v_mov_b32_e32 v10, s7
	s_and_saveexec_b32 s6, s3
	s_cbranch_execnz .LBB424_1691
	s_branch .LBB424_1692
.LBB424_2027:
	s_or_saveexec_b32 s7, s7
                                        ; implicit-def: $sgpr8
	s_delay_alu instid0(SALU_CYCLE_1)
	s_xor_b32 exec_lo, exec_lo, s7
	s_cbranch_execz .LBB424_1796
.LBB424_2028:
	v_add_f32_e32 v4, 0x46000000, v5
	s_and_not1_b32 s6, s6, exec_lo
	s_mov_b32 s8, 0
	s_delay_alu instid0(VALU_DEP_1) | instskip(NEXT) | instid1(VALU_DEP_1)
	v_and_b32_e32 v4, 0xff, v4
	v_cmp_ne_u32_e32 vcc_lo, 0, v4
	s_and_b32 s10, vcc_lo, exec_lo
	s_delay_alu instid0(SALU_CYCLE_1)
	s_or_b32 s6, s6, s10
	s_or_b32 exec_lo, exec_lo, s7
	v_mov_b32_e32 v9, s8
	s_and_saveexec_b32 s7, s6
	s_cbranch_execnz .LBB424_1797
	s_branch .LBB424_1798
.LBB424_2029:
	s_trap 2
	s_sendmsg_rtn_b32 s0, sendmsg(MSG_RTN_GET_DOORBELL)
	s_mov_b32 ttmp2, m0
	s_waitcnt lgkmcnt(0)
	s_and_b32 s0, s0, 0x3ff
	s_delay_alu instid0(SALU_CYCLE_1) | instskip(NEXT) | instid1(SALU_CYCLE_1)
	s_bitset1_b32 s0, 10
	s_mov_b32 m0, s0
	s_sendmsg sendmsg(MSG_INTERRUPT)
	s_mov_b32 m0, ttmp2
.LBB424_2030:                           ; =>This Inner Loop Header: Depth=1
	s_sethalt 5
	s_branch .LBB424_2030
.LBB424_2031:
	s_cbranch_execnz .LBB424_2037
; %bb.2032:
	s_or_b32 s9, s9, exec_lo
	s_cbranch_execz .LBB424_1844
	s_branch .LBB424_1845
.LBB424_2033:
	s_or_saveexec_b32 s6, s6
                                        ; implicit-def: $sgpr7
	s_delay_alu instid0(SALU_CYCLE_1)
	s_xor_b32 exec_lo, exec_lo, s6
	s_cbranch_execz .LBB424_1809
.LBB424_2034:
	v_add_f32_e32 v4, 0x42800000, v5
	s_and_not1_b32 s3, s3, exec_lo
	s_mov_b32 s7, 0
	s_delay_alu instid0(VALU_DEP_1) | instskip(NEXT) | instid1(VALU_DEP_1)
	v_and_b32_e32 v4, 0xff, v4
	v_cmp_ne_u32_e32 vcc_lo, 0, v4
	s_and_b32 s8, vcc_lo, exec_lo
	s_delay_alu instid0(SALU_CYCLE_1)
	s_or_b32 s3, s3, s8
	s_or_b32 exec_lo, exec_lo, s6
	v_mov_b32_e32 v9, s7
	s_and_saveexec_b32 s6, s3
	s_cbranch_execnz .LBB424_1810
	s_branch .LBB424_1811
.LBB424_2035:
	s_or_saveexec_b32 s4, s4
                                        ; implicit-def: $sgpr5
	s_delay_alu instid0(SALU_CYCLE_1)
	s_xor_b32 exec_lo, exec_lo, s4
	s_cbranch_execz .LBB424_1916
.LBB424_2036:
	v_add_f32_e32 v3, 0x46000000, v4
	s_and_not1_b32 s3, s3, exec_lo
	s_mov_b32 s5, 0
	s_delay_alu instid0(VALU_DEP_1) | instskip(NEXT) | instid1(VALU_DEP_1)
	v_and_b32_e32 v3, 0xff, v3
	v_cmp_ne_u32_e32 vcc_lo, 0, v3
	s_and_b32 s6, vcc_lo, exec_lo
	s_delay_alu instid0(SALU_CYCLE_1)
	s_or_b32 s3, s3, s6
	s_or_b32 exec_lo, exec_lo, s4
	v_mov_b32_e32 v5, s5
	s_and_saveexec_b32 s4, s3
	s_cbranch_execnz .LBB424_1917
	s_branch .LBB424_1918
.LBB424_2037:
	s_trap 2
	s_sendmsg_rtn_b32 s0, sendmsg(MSG_RTN_GET_DOORBELL)
	s_mov_b32 ttmp2, m0
	s_waitcnt lgkmcnt(0)
	s_and_b32 s0, s0, 0x3ff
	s_delay_alu instid0(SALU_CYCLE_1) | instskip(NEXT) | instid1(SALU_CYCLE_1)
	s_bitset1_b32 s0, 10
	s_mov_b32 m0, s0
	s_sendmsg sendmsg(MSG_INTERRUPT)
	s_mov_b32 m0, ttmp2
.LBB424_2038:                           ; =>This Inner Loop Header: Depth=1
	s_sethalt 5
	s_branch .LBB424_2038
.LBB424_2039:
	s_cbranch_execnz .LBB424_2043
; %bb.2040:
	s_mov_b32 s1, 0
	s_or_b32 s9, s9, exec_lo
	s_branch .LBB424_1962
.LBB424_2041:
	s_or_saveexec_b32 s3, s3
                                        ; implicit-def: $sgpr4
	s_delay_alu instid0(SALU_CYCLE_1)
	s_xor_b32 exec_lo, exec_lo, s3
	s_cbranch_execz .LBB424_1928
.LBB424_2042:
	v_add_f32_e32 v3, 0x42800000, v4
	s_and_not1_b32 s2, s2, exec_lo
	s_mov_b32 s4, 0
	s_delay_alu instid0(VALU_DEP_1) | instskip(NEXT) | instid1(VALU_DEP_1)
	v_and_b32_e32 v3, 0xff, v3
	v_cmp_ne_u32_e32 vcc_lo, 0, v3
	s_and_b32 s5, vcc_lo, exec_lo
	s_delay_alu instid0(SALU_CYCLE_1)
	s_or_b32 s2, s2, s5
	s_or_b32 exec_lo, exec_lo, s3
	v_mov_b32_e32 v5, s4
	s_and_saveexec_b32 s3, s2
	s_cbranch_execnz .LBB424_1929
	s_branch .LBB424_1930
.LBB424_2043:
	s_trap 2
	s_sendmsg_rtn_b32 s0, sendmsg(MSG_RTN_GET_DOORBELL)
	s_mov_b32 ttmp2, m0
	s_waitcnt lgkmcnt(0)
	s_and_b32 s0, s0, 0x3ff
	s_delay_alu instid0(SALU_CYCLE_1) | instskip(NEXT) | instid1(SALU_CYCLE_1)
	s_bitset1_b32 s0, 10
	s_mov_b32 m0, s0
	s_sendmsg sendmsg(MSG_INTERRUPT)
	s_mov_b32 m0, ttmp2
.LBB424_2044:                           ; =>This Inner Loop Header: Depth=1
	s_sethalt 5
	s_branch .LBB424_2044
	.section	.rodata,"a",@progbits
	.p2align	6, 0x0
	.amdhsa_kernel _ZN2at6native32elementwise_kernel_manual_unrollILi128ELi4EZNS0_15gpu_kernel_implIZZZNS0_21clamp_max_kernel_cudaERNS_18TensorIteratorBaseERKN3c106ScalarEENKUlvE_clEvENKUlvE_clEvEUlhE_EEvS4_RKT_EUlibE_EEviT1_
		.amdhsa_group_segment_fixed_size 0
		.amdhsa_private_segment_fixed_size 0
		.amdhsa_kernarg_size 40
		.amdhsa_user_sgpr_count 15
		.amdhsa_user_sgpr_dispatch_ptr 0
		.amdhsa_user_sgpr_queue_ptr 0
		.amdhsa_user_sgpr_kernarg_segment_ptr 1
		.amdhsa_user_sgpr_dispatch_id 0
		.amdhsa_user_sgpr_private_segment_size 0
		.amdhsa_wavefront_size32 1
		.amdhsa_uses_dynamic_stack 0
		.amdhsa_enable_private_segment 0
		.amdhsa_system_sgpr_workgroup_id_x 1
		.amdhsa_system_sgpr_workgroup_id_y 0
		.amdhsa_system_sgpr_workgroup_id_z 0
		.amdhsa_system_sgpr_workgroup_info 0
		.amdhsa_system_vgpr_workitem_id 0
		.amdhsa_next_free_vgpr 14
		.amdhsa_next_free_sgpr 27
		.amdhsa_reserve_vcc 1
		.amdhsa_float_round_mode_32 0
		.amdhsa_float_round_mode_16_64 0
		.amdhsa_float_denorm_mode_32 3
		.amdhsa_float_denorm_mode_16_64 3
		.amdhsa_dx10_clamp 1
		.amdhsa_ieee_mode 1
		.amdhsa_fp16_overflow 0
		.amdhsa_workgroup_processor_mode 1
		.amdhsa_memory_ordered 1
		.amdhsa_forward_progress 0
		.amdhsa_shared_vgpr_count 0
		.amdhsa_exception_fp_ieee_invalid_op 0
		.amdhsa_exception_fp_denorm_src 0
		.amdhsa_exception_fp_ieee_div_zero 0
		.amdhsa_exception_fp_ieee_overflow 0
		.amdhsa_exception_fp_ieee_underflow 0
		.amdhsa_exception_fp_ieee_inexact 0
		.amdhsa_exception_int_div_zero 0
	.end_amdhsa_kernel
	.section	.text._ZN2at6native32elementwise_kernel_manual_unrollILi128ELi4EZNS0_15gpu_kernel_implIZZZNS0_21clamp_max_kernel_cudaERNS_18TensorIteratorBaseERKN3c106ScalarEENKUlvE_clEvENKUlvE_clEvEUlhE_EEvS4_RKT_EUlibE_EEviT1_,"axG",@progbits,_ZN2at6native32elementwise_kernel_manual_unrollILi128ELi4EZNS0_15gpu_kernel_implIZZZNS0_21clamp_max_kernel_cudaERNS_18TensorIteratorBaseERKN3c106ScalarEENKUlvE_clEvENKUlvE_clEvEUlhE_EEvS4_RKT_EUlibE_EEviT1_,comdat
.Lfunc_end424:
	.size	_ZN2at6native32elementwise_kernel_manual_unrollILi128ELi4EZNS0_15gpu_kernel_implIZZZNS0_21clamp_max_kernel_cudaERNS_18TensorIteratorBaseERKN3c106ScalarEENKUlvE_clEvENKUlvE_clEvEUlhE_EEvS4_RKT_EUlibE_EEviT1_, .Lfunc_end424-_ZN2at6native32elementwise_kernel_manual_unrollILi128ELi4EZNS0_15gpu_kernel_implIZZZNS0_21clamp_max_kernel_cudaERNS_18TensorIteratorBaseERKN3c106ScalarEENKUlvE_clEvENKUlvE_clEvEUlhE_EEvS4_RKT_EUlibE_EEviT1_
                                        ; -- End function
	.section	.AMDGPU.csdata,"",@progbits
; Kernel info:
; codeLenInByte = 37036
; NumSgprs: 29
; NumVgprs: 14
; ScratchSize: 0
; MemoryBound: 1
; FloatMode: 240
; IeeeMode: 1
; LDSByteSize: 0 bytes/workgroup (compile time only)
; SGPRBlocks: 3
; VGPRBlocks: 1
; NumSGPRsForWavesPerEU: 29
; NumVGPRsForWavesPerEU: 14
; Occupancy: 16
; WaveLimiterHint : 0
; COMPUTE_PGM_RSRC2:SCRATCH_EN: 0
; COMPUTE_PGM_RSRC2:USER_SGPR: 15
; COMPUTE_PGM_RSRC2:TRAP_HANDLER: 0
; COMPUTE_PGM_RSRC2:TGID_X_EN: 1
; COMPUTE_PGM_RSRC2:TGID_Y_EN: 0
; COMPUTE_PGM_RSRC2:TGID_Z_EN: 0
; COMPUTE_PGM_RSRC2:TIDIG_COMP_CNT: 0
	.section	.text._ZN2at6native32elementwise_kernel_manual_unrollILi128ELi4EZNS0_15gpu_kernel_implIZZZNS0_21clamp_max_kernel_cudaERNS_18TensorIteratorBaseERKN3c106ScalarEENKUlvE_clEvENKUlvE_clEvEUlhE_EEvS4_RKT_EUlibE0_EEviT1_,"axG",@progbits,_ZN2at6native32elementwise_kernel_manual_unrollILi128ELi4EZNS0_15gpu_kernel_implIZZZNS0_21clamp_max_kernel_cudaERNS_18TensorIteratorBaseERKN3c106ScalarEENKUlvE_clEvENKUlvE_clEvEUlhE_EEvS4_RKT_EUlibE0_EEviT1_,comdat
	.globl	_ZN2at6native32elementwise_kernel_manual_unrollILi128ELi4EZNS0_15gpu_kernel_implIZZZNS0_21clamp_max_kernel_cudaERNS_18TensorIteratorBaseERKN3c106ScalarEENKUlvE_clEvENKUlvE_clEvEUlhE_EEvS4_RKT_EUlibE0_EEviT1_ ; -- Begin function _ZN2at6native32elementwise_kernel_manual_unrollILi128ELi4EZNS0_15gpu_kernel_implIZZZNS0_21clamp_max_kernel_cudaERNS_18TensorIteratorBaseERKN3c106ScalarEENKUlvE_clEvENKUlvE_clEvEUlhE_EEvS4_RKT_EUlibE0_EEviT1_
	.p2align	8
	.type	_ZN2at6native32elementwise_kernel_manual_unrollILi128ELi4EZNS0_15gpu_kernel_implIZZZNS0_21clamp_max_kernel_cudaERNS_18TensorIteratorBaseERKN3c106ScalarEENKUlvE_clEvENKUlvE_clEvEUlhE_EEvS4_RKT_EUlibE0_EEviT1_,@function
_ZN2at6native32elementwise_kernel_manual_unrollILi128ELi4EZNS0_15gpu_kernel_implIZZZNS0_21clamp_max_kernel_cudaERNS_18TensorIteratorBaseERKN3c106ScalarEENKUlvE_clEvENKUlvE_clEvEUlhE_EEvS4_RKT_EUlibE0_EEviT1_: ; @_ZN2at6native32elementwise_kernel_manual_unrollILi128ELi4EZNS0_15gpu_kernel_implIZZZNS0_21clamp_max_kernel_cudaERNS_18TensorIteratorBaseERKN3c106ScalarEENKUlvE_clEvENKUlvE_clEvEUlhE_EEvS4_RKT_EUlibE0_EEviT1_
; %bb.0:
	s_clause 0x1
	s_load_b32 s24, s[0:1], 0x8
	s_load_b32 s34, s[0:1], 0x0
	v_lshl_or_b32 v5, s15, 9, v0
	s_or_b32 s16, s0, 8
	s_mov_b32 s3, -1
	s_mov_b32 s26, 0
	s_mov_b32 s17, s1
	v_or_b32_e32 v9, 0x180, v5
	s_mov_b32 s8, 0
	s_mov_b32 s2, exec_lo
	s_waitcnt lgkmcnt(0)
	s_add_i32 s25, s24, -1
	s_delay_alu instid0(SALU_CYCLE_1)
	s_cmp_gt_u32 s25, 1
	s_cselect_b32 s27, -1, 0
	v_cmpx_le_i32_e64 s34, v9
	s_xor_b32 s28, exec_lo, s2
	s_cbranch_execz .LBB425_1060
; %bb.1:
	s_clause 0x4
	s_load_b32 s29, s[16:17], 0x158
	s_load_b128 s[12:15], s[16:17], 0x4
	s_load_b64 s[18:19], s[16:17], 0x14
	s_load_b128 s[8:11], s[16:17], 0xc4
	s_load_b128 s[4:7], s[16:17], 0x148
	s_cmp_lg_u32 s24, 0
	s_mov_b32 s40, 0
	s_cselect_b32 s36, -1, 0
	s_add_u32 s20, s16, 0xc4
	s_addc_u32 s21, s17, 0
	s_min_u32 s35, s25, 15
	s_cmp_gt_u32 s24, 1
	s_mov_b32 s38, 0
	s_cselect_b32 s33, -1, 0
	s_mov_b32 s37, 0
	s_mov_b32 s39, exec_lo
	s_waitcnt lgkmcnt(0)
	s_lshr_b32 s30, s29, 8
	s_lshr_b32 s31, s29, 16
	v_cmpx_gt_i32_e64 s34, v5
	s_cbranch_execz .LBB425_259
; %bb.2:
	s_and_not1_b32 vcc_lo, exec_lo, s27
	s_cbranch_vccnz .LBB425_7
; %bb.3:
	v_dual_mov_b32 v0, 0 :: v_dual_mov_b32 v1, 0
	s_and_not1_b32 vcc_lo, exec_lo, s36
	s_cbranch_vccnz .LBB425_12
; %bb.4:
	v_mov_b32_e32 v0, 0
	s_add_i32 s41, s35, 1
	s_cmp_eq_u32 s25, 2
	s_cbranch_scc1 .LBB425_8
; %bb.5:
	v_dual_mov_b32 v1, 0 :: v_dual_mov_b32 v0, 0
	v_mov_b32_e32 v2, v5
	s_and_b32 s38, s41, 28
	s_mov_b32 s42, 0
	s_mov_b64 s[2:3], s[20:21]
	s_mov_b64 s[22:23], s[16:17]
.LBB425_6:                              ; =>This Inner Loop Header: Depth=1
	s_clause 0x1
	s_load_b256 s[44:51], s[22:23], 0x4
	s_load_b128 s[60:63], s[22:23], 0x24
	s_load_b256 s[52:59], s[2:3], 0x0
	s_add_u32 s22, s22, 48
	s_addc_u32 s23, s23, 0
	s_add_i32 s42, s42, 4
	s_add_u32 s2, s2, 32
	s_addc_u32 s3, s3, 0
	s_cmp_lg_u32 s38, s42
	s_waitcnt lgkmcnt(0)
	v_mul_hi_u32 v3, s45, v2
	s_delay_alu instid0(VALU_DEP_1) | instskip(NEXT) | instid1(VALU_DEP_1)
	v_add_nc_u32_e32 v3, v2, v3
	v_lshrrev_b32_e32 v3, s46, v3
	s_delay_alu instid0(VALU_DEP_1) | instskip(SKIP_1) | instid1(VALU_DEP_2)
	v_mul_hi_u32 v4, s48, v3
	v_mul_lo_u32 v7, v3, s44
	v_add_nc_u32_e32 v4, v3, v4
	s_delay_alu instid0(VALU_DEP_2) | instskip(NEXT) | instid1(VALU_DEP_2)
	v_sub_nc_u32_e32 v2, v2, v7
	v_lshrrev_b32_e32 v4, s49, v4
	s_delay_alu instid0(VALU_DEP_2) | instskip(SKIP_1) | instid1(VALU_DEP_3)
	v_mul_lo_u32 v7, v2, s52
	v_mul_lo_u32 v9, v2, s53
	v_mul_hi_u32 v6, s51, v4
	s_delay_alu instid0(VALU_DEP_1) | instskip(NEXT) | instid1(VALU_DEP_1)
	v_add_nc_u32_e32 v6, v4, v6
	v_lshrrev_b32_e32 v6, s60, v6
	s_delay_alu instid0(VALU_DEP_1) | instskip(SKIP_1) | instid1(VALU_DEP_2)
	v_mul_hi_u32 v8, s62, v6
	v_mul_lo_u32 v10, v6, s50
	v_add_nc_u32_e32 v2, v6, v8
	v_mul_lo_u32 v8, v4, s47
	s_delay_alu instid0(VALU_DEP_3) | instskip(NEXT) | instid1(VALU_DEP_3)
	v_sub_nc_u32_e32 v4, v4, v10
	v_lshrrev_b32_e32 v2, s63, v2
	s_delay_alu instid0(VALU_DEP_2) | instskip(SKIP_2) | instid1(VALU_DEP_4)
	v_mul_lo_u32 v10, v4, s56
	v_mul_lo_u32 v4, v4, s57
	v_sub_nc_u32_e32 v3, v3, v8
	v_mul_lo_u32 v11, v2, s61
	s_delay_alu instid0(VALU_DEP_2) | instskip(SKIP_1) | instid1(VALU_DEP_3)
	v_mul_lo_u32 v8, v3, s54
	v_mul_lo_u32 v3, v3, s55
	v_sub_nc_u32_e32 v6, v6, v11
	s_delay_alu instid0(VALU_DEP_3) | instskip(NEXT) | instid1(VALU_DEP_2)
	v_add3_u32 v0, v7, v0, v8
	v_mul_lo_u32 v11, v6, s58
	v_mul_lo_u32 v6, v6, s59
	v_add3_u32 v1, v9, v1, v3
	s_delay_alu instid0(VALU_DEP_3) | instskip(NEXT) | instid1(VALU_DEP_2)
	v_add3_u32 v0, v10, v0, v11
	v_add3_u32 v1, v4, v1, v6
	s_cbranch_scc1 .LBB425_6
	s_branch .LBB425_9
.LBB425_7:
	s_mov_b32 s37, -1
                                        ; implicit-def: $vgpr0
                                        ; implicit-def: $vgpr1
	s_branch .LBB425_12
.LBB425_8:
	v_dual_mov_b32 v2, v5 :: v_dual_mov_b32 v1, 0
.LBB425_9:
	s_and_b32 s41, s41, 3
	s_delay_alu instid0(SALU_CYCLE_1)
	s_cmp_eq_u32 s41, 0
	s_cbranch_scc1 .LBB425_12
; %bb.10:
	s_lshl_b32 s2, s38, 3
	s_mul_i32 s22, s38, 12
	s_add_u32 s2, s2, s16
	s_addc_u32 s3, s17, 0
	s_add_u32 s2, s2, 0xc4
	s_addc_u32 s3, s3, 0
	;; [unrolled: 2-line block ×3, first 2 shown]
	.p2align	6
.LBB425_11:                             ; =>This Inner Loop Header: Depth=1
	s_clause 0x1
	s_load_b64 s[42:43], s[22:23], 0x4
	s_load_b32 s38, s[22:23], 0xc
	s_load_b64 s[44:45], s[2:3], 0x0
	s_add_u32 s22, s22, 12
	s_addc_u32 s23, s23, 0
	s_add_u32 s2, s2, 8
	s_addc_u32 s3, s3, 0
	s_add_i32 s41, s41, -1
	s_delay_alu instid0(SALU_CYCLE_1) | instskip(SKIP_2) | instid1(VALU_DEP_1)
	s_cmp_lg_u32 s41, 0
	s_waitcnt lgkmcnt(0)
	v_mul_hi_u32 v3, s43, v2
	v_add_nc_u32_e32 v3, v2, v3
	s_delay_alu instid0(VALU_DEP_1) | instskip(NEXT) | instid1(VALU_DEP_1)
	v_lshrrev_b32_e32 v8, s38, v3
	v_mul_lo_u32 v3, v8, s42
	s_delay_alu instid0(VALU_DEP_1) | instskip(NEXT) | instid1(VALU_DEP_1)
	v_sub_nc_u32_e32 v2, v2, v3
	v_mad_u64_u32 v[3:4], null, v2, s44, v[0:1]
	v_mad_u64_u32 v[6:7], null, v2, s45, v[1:2]
	v_mov_b32_e32 v2, v8
	s_delay_alu instid0(VALU_DEP_2)
	v_dual_mov_b32 v0, v3 :: v_dual_mov_b32 v1, v6
	s_cbranch_scc1 .LBB425_11
.LBB425_12:
	s_and_not1_b32 vcc_lo, exec_lo, s37
	s_cbranch_vccnz .LBB425_15
; %bb.13:
	v_mul_hi_u32 v0, s13, v5
	s_and_not1_b32 vcc_lo, exec_lo, s33
	s_delay_alu instid0(VALU_DEP_1) | instskip(NEXT) | instid1(VALU_DEP_1)
	v_add_nc_u32_e32 v0, v5, v0
	v_lshrrev_b32_e32 v2, s14, v0
	s_delay_alu instid0(VALU_DEP_1) | instskip(NEXT) | instid1(VALU_DEP_1)
	v_mul_lo_u32 v0, v2, s12
	v_sub_nc_u32_e32 v1, v5, v0
	s_delay_alu instid0(VALU_DEP_1)
	v_mul_lo_u32 v0, v1, s8
	v_mul_lo_u32 v1, v1, s9
	s_cbranch_vccnz .LBB425_15
; %bb.14:
	v_mul_hi_u32 v3, s18, v2
	s_delay_alu instid0(VALU_DEP_1) | instskip(NEXT) | instid1(VALU_DEP_1)
	v_add_nc_u32_e32 v3, v2, v3
	v_lshrrev_b32_e32 v3, s19, v3
	s_delay_alu instid0(VALU_DEP_1) | instskip(NEXT) | instid1(VALU_DEP_1)
	v_mul_lo_u32 v3, v3, s15
	v_sub_nc_u32_e32 v6, v2, v3
	s_delay_alu instid0(VALU_DEP_1) | instskip(NEXT) | instid1(VALU_DEP_1)
	v_mad_u64_u32 v[2:3], null, v6, s10, v[0:1]
	v_mad_u64_u32 v[3:4], null, v6, s11, v[1:2]
	s_delay_alu instid0(VALU_DEP_1)
	v_dual_mov_b32 v0, v2 :: v_dual_mov_b32 v1, v3
.LBB425_15:
	v_and_b32_e64 v6, 0xff, s31
	s_delay_alu instid0(VALU_DEP_2) | instskip(NEXT) | instid1(VALU_DEP_1)
	v_add_co_u32 v1, s2, s6, v1
	v_add_co_ci_u32_e64 v2, null, s7, 0, s2
	s_delay_alu instid0(VALU_DEP_3)
	v_cmp_gt_i16_e32 vcc_lo, 11, v6
	s_mov_b32 s3, 0
	s_cbranch_vccnz .LBB425_22
; %bb.16:
	v_cmp_lt_i16_e32 vcc_lo, 25, v6
	s_cbranch_vccz .LBB425_141
; %bb.17:
	v_cmp_lt_i16_e32 vcc_lo, 28, v6
	s_cbranch_vccz .LBB425_142
	;; [unrolled: 3-line block ×4, first 2 shown]
; %bb.20:
	v_cmp_eq_u16_e32 vcc_lo, 46, v6
	s_mov_b32 s22, 0
	s_cbranch_vccz .LBB425_145
; %bb.21:
	global_load_b32 v3, v[1:2], off
	s_mov_b32 s2, -1
	s_waitcnt vmcnt(0)
	v_lshlrev_b32_e32 v3, 16, v3
	s_delay_alu instid0(VALU_DEP_1) | instskip(NEXT) | instid1(VALU_DEP_1)
	v_trunc_f32_e32 v3, v3
	v_mul_f32_e64 v4, 0x2f800000, |v3|
	s_delay_alu instid0(VALU_DEP_1) | instskip(NEXT) | instid1(VALU_DEP_1)
	v_floor_f32_e32 v4, v4
	v_fma_f32 v4, 0xcf800000, v4, |v3|
	v_ashrrev_i32_e32 v3, 31, v3
	s_delay_alu instid0(VALU_DEP_2) | instskip(NEXT) | instid1(VALU_DEP_1)
	v_cvt_u32_f32_e32 v4, v4
	v_xor_b32_e32 v4, v4, v3
	s_delay_alu instid0(VALU_DEP_1)
	v_sub_nc_u32_e32 v3, v4, v3
	s_branch .LBB425_147
.LBB425_22:
	s_mov_b32 s2, 0
                                        ; implicit-def: $vgpr3
	s_cbranch_execnz .LBB425_209
.LBB425_23:
	s_and_not1_b32 vcc_lo, exec_lo, s2
	s_cbranch_vccnz .LBB425_256
.LBB425_24:
	s_waitcnt vmcnt(0)
	s_delay_alu instid0(VALU_DEP_1) | instskip(SKIP_4) | instid1(VALU_DEP_3)
	v_and_b32_e32 v2, 0xff, v3
	v_and_b32_e64 v3, 0xff, s30
	v_and_b32_e64 v1, 0xff, s29
	v_add_co_u32 v0, s22, s4, v0
	s_mov_b32 s2, 0
	v_cmp_gt_i16_e32 vcc_lo, 11, v3
	s_delay_alu instid0(VALU_DEP_3)
	v_min_u16 v2, v2, v1
	v_add_co_ci_u32_e64 v1, null, s5, 0, s22
	s_mov_b32 s23, -1
	s_mov_b32 s22, 0
	s_cbranch_vccnz .LBB425_101
; %bb.25:
	v_cmp_lt_i16_e32 vcc_lo, 25, v3
	s_cbranch_vccz .LBB425_58
; %bb.26:
	v_cmp_lt_i16_e32 vcc_lo, 28, v3
	s_cbranch_vccz .LBB425_41
	;; [unrolled: 3-line block ×4, first 2 shown]
; %bb.29:
	v_cmp_eq_u16_e32 vcc_lo, 46, v3
	s_mov_b32 s23, 0
	s_mov_b32 s2, -1
	s_cbranch_vccz .LBB425_31
; %bb.30:
	v_cvt_f32_ubyte0_e32 v4, v2
	s_mov_b32 s22, -1
	s_mov_b32 s2, 0
	s_delay_alu instid0(VALU_DEP_1) | instskip(NEXT) | instid1(VALU_DEP_1)
	v_bfe_u32 v6, v4, 16, 1
	v_add3_u32 v4, v4, v6, 0x7fff
	s_delay_alu instid0(VALU_DEP_1)
	v_lshrrev_b32_e32 v4, 16, v4
	global_store_b32 v[0:1], v4, off
.LBB425_31:
	s_and_b32 vcc_lo, exec_lo, s23
	s_cbranch_vccz .LBB425_36
; %bb.32:
	v_cmp_eq_u16_e32 vcc_lo, 44, v3
	s_mov_b32 s2, -1
	s_cbranch_vccz .LBB425_36
; %bb.33:
	v_cvt_f32_ubyte0_e32 v7, v2
	v_mov_b32_e32 v6, 0xff
	s_mov_b32 s22, exec_lo
	s_delay_alu instid0(VALU_DEP_2) | instskip(NEXT) | instid1(VALU_DEP_1)
	v_lshrrev_b32_e32 v4, 23, v7
	v_cmpx_ne_u32_e32 0xff, v4
; %bb.34:
	v_and_b32_e32 v6, 0x400000, v7
	v_and_or_b32 v7, 0x3fffff, v7, v4
	s_delay_alu instid0(VALU_DEP_2) | instskip(NEXT) | instid1(VALU_DEP_2)
	v_cmp_ne_u32_e32 vcc_lo, 0, v6
	v_cmp_ne_u32_e64 s2, 0, v7
	s_delay_alu instid0(VALU_DEP_1) | instskip(NEXT) | instid1(SALU_CYCLE_1)
	s_and_b32 s2, vcc_lo, s2
	v_cndmask_b32_e64 v6, 0, 1, s2
	s_delay_alu instid0(VALU_DEP_1)
	v_add_nc_u32_e32 v6, v4, v6
; %bb.35:
	s_or_b32 exec_lo, exec_lo, s22
	s_mov_b32 s22, -1
	s_mov_b32 s2, 0
	global_store_b8 v[0:1], v6, off
.LBB425_36:
	s_mov_b32 s23, 0
.LBB425_37:
	s_delay_alu instid0(SALU_CYCLE_1)
	s_and_b32 vcc_lo, exec_lo, s23
	s_cbranch_vccz .LBB425_40
; %bb.38:
	v_cmp_eq_u16_e32 vcc_lo, 29, v3
	s_mov_b32 s2, -1
	s_cbranch_vccz .LBB425_40
; %bb.39:
	s_mov_b32 s2, 0
	s_delay_alu instid0(SALU_CYCLE_1)
	v_dual_mov_b32 v7, s2 :: v_dual_and_b32 v6, 0xffff, v2
	s_mov_b32 s22, -1
	global_store_b64 v[0:1], v[6:7], off
.LBB425_40:
	s_mov_b32 s23, 0
.LBB425_41:
	s_delay_alu instid0(SALU_CYCLE_1)
	s_and_b32 vcc_lo, exec_lo, s23
	s_cbranch_vccz .LBB425_57
; %bb.42:
	v_cmp_gt_i16_e32 vcc_lo, 27, v3
	s_mov_b32 s22, -1
	s_cbranch_vccnz .LBB425_48
; %bb.43:
	v_cmp_lt_i16_e32 vcc_lo, 27, v3
	s_cbranch_vccz .LBB425_45
; %bb.44:
	v_and_b32_e32 v4, 0xffff, v2
	s_mov_b32 s22, 0
	global_store_b32 v[0:1], v4, off
.LBB425_45:
	s_and_not1_b32 vcc_lo, exec_lo, s22
	s_cbranch_vccnz .LBB425_47
; %bb.46:
	global_store_b16 v[0:1], v2, off
.LBB425_47:
	s_mov_b32 s22, 0
.LBB425_48:
	s_delay_alu instid0(SALU_CYCLE_1)
	s_and_not1_b32 vcc_lo, exec_lo, s22
	s_cbranch_vccnz .LBB425_56
; %bb.49:
	v_cvt_f32_ubyte0_e32 v6, v2
	v_mov_b32_e32 v7, 0x80
	s_mov_b32 s22, exec_lo
	s_delay_alu instid0(VALU_DEP_2)
	v_cmpx_gt_u32_e32 0x43800000, v6
	s_cbranch_execz .LBB425_55
; %bb.50:
	s_mov_b32 s23, 0
	s_mov_b32 s37, exec_lo
                                        ; implicit-def: $vgpr4
	v_cmpx_lt_u32_e32 0x3bffffff, v6
	s_xor_b32 s37, exec_lo, s37
	s_cbranch_execz .LBB425_150
; %bb.51:
	v_bfe_u32 v4, v6, 20, 1
	s_mov_b32 s23, exec_lo
	s_delay_alu instid0(VALU_DEP_1) | instskip(NEXT) | instid1(VALU_DEP_1)
	v_add3_u32 v4, v6, v4, 0x487ffff
                                        ; implicit-def: $vgpr6
	v_lshrrev_b32_e32 v4, 20, v4
	s_or_saveexec_b32 s37, s37
                                        ; implicit-def: $sgpr38
	s_delay_alu instid0(SALU_CYCLE_1)
	s_xor_b32 exec_lo, exec_lo, s37
	s_cbranch_execnz .LBB425_151
.LBB425_52:
	s_or_b32 exec_lo, exec_lo, s37
	v_mov_b32_e32 v7, s38
	s_and_saveexec_b32 s37, s23
.LBB425_53:
	v_mov_b32_e32 v7, v4
.LBB425_54:
	s_or_b32 exec_lo, exec_lo, s37
.LBB425_55:
	s_delay_alu instid0(SALU_CYCLE_1)
	s_or_b32 exec_lo, exec_lo, s22
	global_store_b8 v[0:1], v7, off
.LBB425_56:
	s_mov_b32 s22, -1
.LBB425_57:
	s_mov_b32 s23, 0
.LBB425_58:
	s_delay_alu instid0(SALU_CYCLE_1)
	s_and_b32 vcc_lo, exec_lo, s23
	s_cbranch_vccz .LBB425_99
; %bb.59:
	v_cmp_lt_i16_e32 vcc_lo, 22, v3
	s_mov_b32 s23, -1
	s_cbranch_vccz .LBB425_91
; %bb.60:
	v_cmp_gt_i16_e32 vcc_lo, 24, v3
	s_mov_b32 s22, -1
	s_cbranch_vccnz .LBB425_80
; %bb.61:
	v_cmp_lt_i16_e32 vcc_lo, 24, v3
	s_cbranch_vccz .LBB425_69
; %bb.62:
	v_cvt_f32_ubyte0_e32 v6, v2
	v_mov_b32_e32 v7, 0x80
	s_mov_b32 s22, exec_lo
	s_delay_alu instid0(VALU_DEP_2)
	v_cmpx_gt_u32_e32 0x47800000, v6
	s_cbranch_execz .LBB425_68
; %bb.63:
	s_mov_b32 s23, 0
	s_mov_b32 s37, exec_lo
                                        ; implicit-def: $vgpr4
	v_cmpx_lt_u32_e32 0x37ffffff, v6
	s_xor_b32 s37, exec_lo, s37
	s_cbranch_execz .LBB425_337
; %bb.64:
	v_bfe_u32 v4, v6, 21, 1
	s_mov_b32 s23, exec_lo
	s_delay_alu instid0(VALU_DEP_1) | instskip(NEXT) | instid1(VALU_DEP_1)
	v_add3_u32 v4, v6, v4, 0x88fffff
                                        ; implicit-def: $vgpr6
	v_lshrrev_b32_e32 v4, 21, v4
	s_or_saveexec_b32 s37, s37
                                        ; implicit-def: $sgpr38
	s_delay_alu instid0(SALU_CYCLE_1)
	s_xor_b32 exec_lo, exec_lo, s37
	s_cbranch_execnz .LBB425_338
.LBB425_65:
	s_or_b32 exec_lo, exec_lo, s37
	v_mov_b32_e32 v7, s38
	s_and_saveexec_b32 s37, s23
.LBB425_66:
	v_mov_b32_e32 v7, v4
.LBB425_67:
	s_or_b32 exec_lo, exec_lo, s37
.LBB425_68:
	s_delay_alu instid0(SALU_CYCLE_1)
	s_or_b32 exec_lo, exec_lo, s22
	s_mov_b32 s22, 0
	global_store_b8 v[0:1], v7, off
.LBB425_69:
	s_and_b32 vcc_lo, exec_lo, s22
	s_cbranch_vccz .LBB425_79
; %bb.70:
	v_cvt_f32_ubyte0_e32 v6, v2
	s_mov_b32 s22, exec_lo
                                        ; implicit-def: $vgpr4
	s_delay_alu instid0(VALU_DEP_1)
	v_cmpx_gt_u32_e32 0x43f00000, v6
	s_xor_b32 s22, exec_lo, s22
	s_cbranch_execz .LBB425_76
; %bb.71:
	s_mov_b32 s23, exec_lo
                                        ; implicit-def: $vgpr4
	v_cmpx_lt_u32_e32 0x3c7fffff, v6
	s_xor_b32 s23, exec_lo, s23
; %bb.72:
	v_bfe_u32 v4, v6, 20, 1
	s_delay_alu instid0(VALU_DEP_1) | instskip(NEXT) | instid1(VALU_DEP_1)
	v_add3_u32 v4, v6, v4, 0x407ffff
	v_and_b32_e32 v6, 0xff00000, v4
	v_lshrrev_b32_e32 v4, 20, v4
	s_delay_alu instid0(VALU_DEP_2) | instskip(NEXT) | instid1(VALU_DEP_2)
	v_cmp_ne_u32_e32 vcc_lo, 0x7f00000, v6
                                        ; implicit-def: $vgpr6
	v_cndmask_b32_e32 v4, 0x7e, v4, vcc_lo
; %bb.73:
	s_and_not1_saveexec_b32 s23, s23
; %bb.74:
	v_add_f32_e32 v4, 0x46800000, v6
; %bb.75:
	s_or_b32 exec_lo, exec_lo, s23
                                        ; implicit-def: $vgpr6
.LBB425_76:
	s_and_not1_saveexec_b32 s22, s22
; %bb.77:
	v_mov_b32_e32 v4, 0x7f
	v_cmp_lt_u32_e32 vcc_lo, 0x7f800000, v6
	s_delay_alu instid0(VALU_DEP_2)
	v_cndmask_b32_e32 v4, 0x7e, v4, vcc_lo
; %bb.78:
	s_or_b32 exec_lo, exec_lo, s22
	global_store_b8 v[0:1], v4, off
.LBB425_79:
	s_mov_b32 s22, 0
.LBB425_80:
	s_delay_alu instid0(SALU_CYCLE_1)
	s_and_not1_b32 vcc_lo, exec_lo, s22
	s_cbranch_vccnz .LBB425_90
; %bb.81:
	v_cvt_f32_ubyte0_e32 v6, v2
	s_mov_b32 s22, exec_lo
                                        ; implicit-def: $vgpr4
	s_delay_alu instid0(VALU_DEP_1)
	v_cmpx_gt_u32_e32 0x47800000, v6
	s_xor_b32 s22, exec_lo, s22
	s_cbranch_execz .LBB425_87
; %bb.82:
	s_mov_b32 s23, exec_lo
                                        ; implicit-def: $vgpr4
	v_cmpx_lt_u32_e32 0x387fffff, v6
	s_xor_b32 s23, exec_lo, s23
; %bb.83:
	v_bfe_u32 v4, v6, 21, 1
	s_delay_alu instid0(VALU_DEP_1) | instskip(NEXT) | instid1(VALU_DEP_1)
	v_add3_u32 v4, v6, v4, 0x80fffff
                                        ; implicit-def: $vgpr6
	v_lshrrev_b32_e32 v4, 21, v4
; %bb.84:
	s_and_not1_saveexec_b32 s23, s23
; %bb.85:
	v_add_f32_e32 v4, 0x43000000, v6
; %bb.86:
	s_or_b32 exec_lo, exec_lo, s23
                                        ; implicit-def: $vgpr6
.LBB425_87:
	s_and_not1_saveexec_b32 s22, s22
; %bb.88:
	v_mov_b32_e32 v4, 0x7f
	v_cmp_lt_u32_e32 vcc_lo, 0x7f800000, v6
	s_delay_alu instid0(VALU_DEP_2)
	v_cndmask_b32_e32 v4, 0x7c, v4, vcc_lo
; %bb.89:
	s_or_b32 exec_lo, exec_lo, s22
	global_store_b8 v[0:1], v4, off
.LBB425_90:
	s_mov_b32 s23, 0
	s_mov_b32 s22, -1
.LBB425_91:
	s_and_not1_b32 vcc_lo, exec_lo, s23
	s_cbranch_vccnz .LBB425_99
; %bb.92:
	v_cmp_lt_i16_e32 vcc_lo, 14, v3
	s_mov_b32 s23, -1
	s_cbranch_vccz .LBB425_96
; %bb.93:
	v_cmp_eq_u16_e32 vcc_lo, 15, v3
	s_mov_b32 s2, -1
	s_cbranch_vccz .LBB425_95
; %bb.94:
	v_cvt_f32_ubyte0_e32 v4, v2
	s_mov_b32 s22, -1
	s_mov_b32 s2, 0
	s_delay_alu instid0(VALU_DEP_1) | instskip(NEXT) | instid1(VALU_DEP_1)
	v_bfe_u32 v6, v4, 16, 1
	v_add3_u32 v4, v4, v6, 0x7fff
	global_store_d16_hi_b16 v[0:1], v4, off
.LBB425_95:
	s_mov_b32 s23, 0
.LBB425_96:
	s_delay_alu instid0(SALU_CYCLE_1)
	s_and_b32 vcc_lo, exec_lo, s23
	s_cbranch_vccz .LBB425_99
; %bb.97:
	v_cmp_eq_u16_e32 vcc_lo, 11, v3
	s_mov_b32 s2, -1
	s_cbranch_vccz .LBB425_99
; %bb.98:
	v_cmp_ne_u16_e32 vcc_lo, 0, v2
	s_mov_b32 s2, 0
	s_mov_b32 s22, -1
	v_cndmask_b32_e64 v4, 0, 1, vcc_lo
	global_store_b8 v[0:1], v4, off
.LBB425_99:
.LBB425_100:
	s_and_not1_b32 vcc_lo, exec_lo, s22
	s_cbranch_vccz .LBB425_140
	s_branch .LBB425_257
.LBB425_101:
	s_and_b32 vcc_lo, exec_lo, s23
	s_cbranch_vccz .LBB425_100
; %bb.102:
	v_cmp_gt_i16_e32 vcc_lo, 5, v3
	s_mov_b32 s22, -1
	s_cbranch_vccnz .LBB425_123
; %bb.103:
	v_cmp_gt_i16_e32 vcc_lo, 8, v3
	s_cbranch_vccnz .LBB425_113
; %bb.104:
	v_cmp_gt_i16_e32 vcc_lo, 9, v3
	s_cbranch_vccnz .LBB425_110
; %bb.105:
	v_cmp_lt_i16_e32 vcc_lo, 9, v3
	s_cbranch_vccz .LBB425_107
; %bb.106:
	v_mov_b32_e32 v8, 0
	v_and_b32_e32 v4, 0xffff, v2
	s_mov_b32 s22, 0
	s_delay_alu instid0(VALU_DEP_2) | instskip(NEXT) | instid1(VALU_DEP_2)
	v_mov_b32_e32 v9, v8
	v_cvt_f64_u32_e32 v[6:7], v4
	global_store_b128 v[0:1], v[6:9], off
.LBB425_107:
	s_and_not1_b32 vcc_lo, exec_lo, s22
	s_cbranch_vccnz .LBB425_109
; %bb.108:
	v_cvt_f32_ubyte0_e32 v6, v2
	v_mov_b32_e32 v7, 0
	global_store_b64 v[0:1], v[6:7], off
.LBB425_109:
	s_mov_b32 s22, 0
.LBB425_110:
	s_delay_alu instid0(SALU_CYCLE_1)
	s_and_not1_b32 vcc_lo, exec_lo, s22
	s_cbranch_vccnz .LBB425_112
; %bb.111:
	v_cvt_f16_u16_e32 v4, v2
	s_delay_alu instid0(VALU_DEP_1)
	v_and_b32_e32 v4, 0xffff, v4
	global_store_b32 v[0:1], v4, off
.LBB425_112:
	s_mov_b32 s22, 0
.LBB425_113:
	s_delay_alu instid0(SALU_CYCLE_1)
	s_and_not1_b32 vcc_lo, exec_lo, s22
	s_cbranch_vccnz .LBB425_122
; %bb.114:
	v_cmp_gt_i16_e32 vcc_lo, 6, v3
	s_mov_b32 s22, -1
	s_cbranch_vccnz .LBB425_120
; %bb.115:
	v_cmp_lt_i16_e32 vcc_lo, 6, v3
	s_cbranch_vccz .LBB425_117
; %bb.116:
	v_and_b32_e32 v4, 0xffff, v2
	s_mov_b32 s22, 0
	s_delay_alu instid0(VALU_DEP_1)
	v_cvt_f64_u32_e32 v[6:7], v4
	global_store_b64 v[0:1], v[6:7], off
.LBB425_117:
	s_and_not1_b32 vcc_lo, exec_lo, s22
	s_cbranch_vccnz .LBB425_119
; %bb.118:
	v_cvt_f32_ubyte0_e32 v4, v2
	global_store_b32 v[0:1], v4, off
.LBB425_119:
	s_mov_b32 s22, 0
.LBB425_120:
	s_delay_alu instid0(SALU_CYCLE_1)
	s_and_not1_b32 vcc_lo, exec_lo, s22
	s_cbranch_vccnz .LBB425_122
; %bb.121:
	v_cvt_f16_u16_e32 v4, v2
	global_store_b16 v[0:1], v4, off
.LBB425_122:
	s_mov_b32 s22, 0
.LBB425_123:
	s_delay_alu instid0(SALU_CYCLE_1)
	s_and_not1_b32 vcc_lo, exec_lo, s22
	s_cbranch_vccnz .LBB425_139
; %bb.124:
	v_cmp_gt_i16_e32 vcc_lo, 2, v3
	s_mov_b32 s22, -1
	s_cbranch_vccnz .LBB425_134
; %bb.125:
	v_cmp_gt_i16_e32 vcc_lo, 3, v3
	s_cbranch_vccnz .LBB425_131
; %bb.126:
	v_cmp_lt_i16_e32 vcc_lo, 3, v3
	s_cbranch_vccz .LBB425_128
; %bb.127:
	s_mov_b32 s22, 0
	s_delay_alu instid0(SALU_CYCLE_1)
	v_dual_mov_b32 v7, s22 :: v_dual_and_b32 v6, 0xffff, v2
	global_store_b64 v[0:1], v[6:7], off
.LBB425_128:
	s_and_not1_b32 vcc_lo, exec_lo, s22
	s_cbranch_vccnz .LBB425_130
; %bb.129:
	v_and_b32_e32 v4, 0xffff, v2
	global_store_b32 v[0:1], v4, off
.LBB425_130:
	s_mov_b32 s22, 0
.LBB425_131:
	s_delay_alu instid0(SALU_CYCLE_1)
	s_and_not1_b32 vcc_lo, exec_lo, s22
	s_cbranch_vccnz .LBB425_133
; %bb.132:
	global_store_b16 v[0:1], v2, off
.LBB425_133:
	s_mov_b32 s22, 0
.LBB425_134:
	s_delay_alu instid0(SALU_CYCLE_1)
	s_and_not1_b32 vcc_lo, exec_lo, s22
	s_cbranch_vccnz .LBB425_139
; %bb.135:
	v_cmp_lt_i16_e32 vcc_lo, 0, v3
	s_mov_b32 s22, -1
	s_cbranch_vccz .LBB425_137
; %bb.136:
	s_mov_b32 s22, 0
	global_store_b8 v[0:1], v2, off
.LBB425_137:
	s_and_not1_b32 vcc_lo, exec_lo, s22
	s_cbranch_vccnz .LBB425_139
; %bb.138:
	global_store_b8 v[0:1], v2, off
.LBB425_139:
.LBB425_140:
	v_add_nc_u32_e32 v5, 0x80, v5
	s_mov_b32 s22, -1
	s_branch .LBB425_258
.LBB425_141:
	s_mov_b32 s2, 0
                                        ; implicit-def: $vgpr3
	s_cbranch_execnz .LBB425_176
	s_branch .LBB425_208
.LBB425_142:
	s_mov_b32 s22, -1
	s_mov_b32 s2, 0
                                        ; implicit-def: $vgpr3
	s_branch .LBB425_159
.LBB425_143:
	s_mov_b32 s22, -1
	s_mov_b32 s2, 0
                                        ; implicit-def: $vgpr3
	s_branch .LBB425_154
.LBB425_144:
	s_mov_b32 s22, -1
	s_branch .LBB425_146
.LBB425_145:
	s_mov_b32 s3, -1
.LBB425_146:
	s_mov_b32 s2, 0
                                        ; implicit-def: $vgpr3
.LBB425_147:
	s_and_b32 vcc_lo, exec_lo, s22
	s_cbranch_vccz .LBB425_153
; %bb.148:
	v_cmp_eq_u16_e32 vcc_lo, 44, v6
	s_cbranch_vccz .LBB425_152
; %bb.149:
	global_load_u8 v3, v[1:2], off
	s_mov_b32 s3, 0
	s_mov_b32 s2, -1
	s_waitcnt vmcnt(0)
	v_lshlrev_b32_e32 v4, 23, v3
	v_cmp_ne_u32_e32 vcc_lo, 0, v3
	s_delay_alu instid0(VALU_DEP_2) | instskip(NEXT) | instid1(VALU_DEP_1)
	v_trunc_f32_e32 v4, v4
	v_mul_f32_e64 v7, 0x2f800000, |v4|
	s_delay_alu instid0(VALU_DEP_1) | instskip(NEXT) | instid1(VALU_DEP_1)
	v_floor_f32_e32 v7, v7
	v_fma_f32 v7, 0xcf800000, v7, |v4|
	v_ashrrev_i32_e32 v4, 31, v4
	s_delay_alu instid0(VALU_DEP_2) | instskip(NEXT) | instid1(VALU_DEP_1)
	v_cvt_u32_f32_e32 v7, v7
	v_xor_b32_e32 v7, v7, v4
	s_delay_alu instid0(VALU_DEP_1) | instskip(NEXT) | instid1(VALU_DEP_1)
	v_sub_nc_u32_e32 v4, v7, v4
	v_cndmask_b32_e32 v3, 0, v4, vcc_lo
	s_branch .LBB425_153
.LBB425_150:
	s_or_saveexec_b32 s37, s37
                                        ; implicit-def: $sgpr38
	s_delay_alu instid0(SALU_CYCLE_1)
	s_xor_b32 exec_lo, exec_lo, s37
	s_cbranch_execz .LBB425_52
.LBB425_151:
	v_add_f32_e32 v4, 0x46000000, v6
	s_and_not1_b32 s23, s23, exec_lo
	s_mov_b32 s38, 0
	s_delay_alu instid0(VALU_DEP_1) | instskip(NEXT) | instid1(VALU_DEP_1)
	v_and_b32_e32 v4, 0xff, v4
	v_cmp_ne_u32_e32 vcc_lo, 0, v4
	s_and_b32 s41, vcc_lo, exec_lo
	s_delay_alu instid0(SALU_CYCLE_1)
	s_or_b32 s23, s23, s41
	s_or_b32 exec_lo, exec_lo, s37
	v_mov_b32_e32 v7, s38
	s_and_saveexec_b32 s37, s23
	s_cbranch_execnz .LBB425_53
	s_branch .LBB425_54
.LBB425_152:
	s_mov_b32 s3, -1
                                        ; implicit-def: $vgpr3
.LBB425_153:
	s_mov_b32 s22, 0
.LBB425_154:
	s_delay_alu instid0(SALU_CYCLE_1)
	s_and_b32 vcc_lo, exec_lo, s22
	s_cbranch_vccz .LBB425_158
; %bb.155:
	v_cmp_eq_u16_e32 vcc_lo, 29, v6
	s_cbranch_vccz .LBB425_157
; %bb.156:
	global_load_b64 v[3:4], v[1:2], off
	s_mov_b32 s2, -1
	s_mov_b32 s3, 0
	s_branch .LBB425_158
.LBB425_157:
	s_mov_b32 s3, -1
                                        ; implicit-def: $vgpr3
.LBB425_158:
	s_mov_b32 s22, 0
.LBB425_159:
	s_delay_alu instid0(SALU_CYCLE_1)
	s_and_b32 vcc_lo, exec_lo, s22
	s_cbranch_vccz .LBB425_175
; %bb.160:
	v_cmp_gt_i16_e32 vcc_lo, 27, v6
	s_cbranch_vccnz .LBB425_163
; %bb.161:
	v_cmp_lt_i16_e32 vcc_lo, 27, v6
	s_cbranch_vccz .LBB425_164
; %bb.162:
	global_load_b32 v3, v[1:2], off
	s_mov_b32 s2, 0
	s_branch .LBB425_165
.LBB425_163:
	s_mov_b32 s2, -1
                                        ; implicit-def: $vgpr3
	s_branch .LBB425_168
.LBB425_164:
	s_mov_b32 s2, -1
                                        ; implicit-def: $vgpr3
.LBB425_165:
	s_delay_alu instid0(SALU_CYCLE_1)
	s_and_not1_b32 vcc_lo, exec_lo, s2
	s_cbranch_vccnz .LBB425_167
; %bb.166:
	global_load_u16 v3, v[1:2], off
.LBB425_167:
	s_mov_b32 s2, 0
.LBB425_168:
	s_delay_alu instid0(SALU_CYCLE_1)
	s_and_not1_b32 vcc_lo, exec_lo, s2
	s_cbranch_vccnz .LBB425_174
; %bb.169:
	global_load_u8 v4, v[1:2], off
	s_mov_b32 s22, 0
	s_mov_b32 s2, exec_lo
                                        ; implicit-def: $sgpr23
	s_waitcnt vmcnt(0)
	v_cmpx_lt_i16_e32 0x7f, v4
	s_xor_b32 s2, exec_lo, s2
	s_cbranch_execz .LBB425_185
; %bb.170:
	v_cmp_ne_u16_e32 vcc_lo, 0x80, v4
	s_mov_b32 s23, 0
	s_and_b32 s22, vcc_lo, exec_lo
	s_or_saveexec_b32 s2, s2
	v_mov_b32_e32 v3, s23
	s_xor_b32 exec_lo, exec_lo, s2
	s_cbranch_execnz .LBB425_186
.LBB425_171:
	s_or_b32 exec_lo, exec_lo, s2
	s_and_saveexec_b32 s2, s22
	s_cbranch_execz .LBB425_173
.LBB425_172:
	v_and_b32_e32 v3, 0xffff, v4
	s_delay_alu instid0(VALU_DEP_1) | instskip(NEXT) | instid1(VALU_DEP_1)
	v_and_b32_e32 v7, 7, v3
	v_clz_i32_u32_e32 v8, v7
	s_delay_alu instid0(VALU_DEP_1) | instskip(NEXT) | instid1(VALU_DEP_1)
	v_min_u32_e32 v8, 32, v8
	v_subrev_nc_u32_e32 v9, 28, v8
	v_sub_nc_u32_e32 v8, 29, v8
	s_delay_alu instid0(VALU_DEP_2) | instskip(SKIP_1) | instid1(VALU_DEP_2)
	v_lshlrev_b32_e32 v9, v9, v3
	v_bfe_u32 v3, v3, 3, 4
	v_and_b32_e32 v9, 7, v9
	s_delay_alu instid0(VALU_DEP_2) | instskip(NEXT) | instid1(VALU_DEP_2)
	v_cmp_eq_u32_e32 vcc_lo, 0, v3
	v_dual_cndmask_b32 v7, v7, v9 :: v_dual_lshlrev_b32 v4, 24, v4
	v_cndmask_b32_e32 v3, v3, v8, vcc_lo
	s_delay_alu instid0(VALU_DEP_2) | instskip(NEXT) | instid1(VALU_DEP_3)
	v_and_b32_e32 v4, 0x80000000, v4
	v_lshlrev_b32_e32 v7, 20, v7
	s_delay_alu instid0(VALU_DEP_3) | instskip(NEXT) | instid1(VALU_DEP_1)
	v_lshl_add_u32 v3, v3, 23, 0x3b800000
	v_or3_b32 v3, v4, v3, v7
	s_delay_alu instid0(VALU_DEP_1) | instskip(NEXT) | instid1(VALU_DEP_1)
	v_trunc_f32_e32 v3, v3
	v_mul_f32_e64 v4, 0x2f800000, |v3|
	s_delay_alu instid0(VALU_DEP_1) | instskip(NEXT) | instid1(VALU_DEP_1)
	v_floor_f32_e32 v4, v4
	v_fma_f32 v4, 0xcf800000, v4, |v3|
	v_ashrrev_i32_e32 v3, 31, v3
	s_delay_alu instid0(VALU_DEP_2) | instskip(NEXT) | instid1(VALU_DEP_1)
	v_cvt_u32_f32_e32 v4, v4
	v_xor_b32_e32 v4, v4, v3
	s_delay_alu instid0(VALU_DEP_1)
	v_sub_nc_u32_e32 v3, v4, v3
.LBB425_173:
	s_or_b32 exec_lo, exec_lo, s2
.LBB425_174:
	s_mov_b32 s2, -1
.LBB425_175:
	s_branch .LBB425_208
.LBB425_176:
	v_cmp_lt_i16_e32 vcc_lo, 22, v6
	s_cbranch_vccz .LBB425_184
; %bb.177:
	v_cmp_gt_i16_e32 vcc_lo, 24, v6
	s_cbranch_vccnz .LBB425_187
; %bb.178:
	v_cmp_lt_i16_e32 vcc_lo, 24, v6
	s_cbranch_vccz .LBB425_188
; %bb.179:
	global_load_u8 v4, v[1:2], off
	s_mov_b32 s22, 0
	s_mov_b32 s2, exec_lo
                                        ; implicit-def: $sgpr23
	s_waitcnt vmcnt(0)
	v_cmpx_lt_i16_e32 0x7f, v4
	s_xor_b32 s2, exec_lo, s2
	s_cbranch_execz .LBB425_200
; %bb.180:
	v_cmp_ne_u16_e32 vcc_lo, 0x80, v4
	s_mov_b32 s23, 0
	s_and_b32 s22, vcc_lo, exec_lo
	s_or_saveexec_b32 s2, s2
	v_mov_b32_e32 v3, s23
	s_xor_b32 exec_lo, exec_lo, s2
	s_cbranch_execnz .LBB425_201
.LBB425_181:
	s_or_b32 exec_lo, exec_lo, s2
	s_and_saveexec_b32 s2, s22
	s_cbranch_execz .LBB425_183
.LBB425_182:
	v_and_b32_e32 v3, 0xffff, v4
	s_delay_alu instid0(VALU_DEP_1) | instskip(NEXT) | instid1(VALU_DEP_1)
	v_and_b32_e32 v7, 3, v3
	v_clz_i32_u32_e32 v8, v7
	s_delay_alu instid0(VALU_DEP_1) | instskip(NEXT) | instid1(VALU_DEP_1)
	v_min_u32_e32 v8, 32, v8
	v_subrev_nc_u32_e32 v9, 29, v8
	v_sub_nc_u32_e32 v8, 30, v8
	s_delay_alu instid0(VALU_DEP_2) | instskip(SKIP_1) | instid1(VALU_DEP_2)
	v_lshlrev_b32_e32 v9, v9, v3
	v_bfe_u32 v3, v3, 2, 5
	v_and_b32_e32 v9, 3, v9
	s_delay_alu instid0(VALU_DEP_2) | instskip(NEXT) | instid1(VALU_DEP_2)
	v_cmp_eq_u32_e32 vcc_lo, 0, v3
	v_dual_cndmask_b32 v7, v7, v9 :: v_dual_lshlrev_b32 v4, 24, v4
	v_cndmask_b32_e32 v3, v3, v8, vcc_lo
	s_delay_alu instid0(VALU_DEP_2) | instskip(NEXT) | instid1(VALU_DEP_3)
	v_and_b32_e32 v4, 0x80000000, v4
	v_lshlrev_b32_e32 v7, 21, v7
	s_delay_alu instid0(VALU_DEP_3) | instskip(NEXT) | instid1(VALU_DEP_1)
	v_lshl_add_u32 v3, v3, 23, 0x37800000
	v_or3_b32 v3, v4, v3, v7
	s_delay_alu instid0(VALU_DEP_1) | instskip(NEXT) | instid1(VALU_DEP_1)
	v_trunc_f32_e32 v3, v3
	v_mul_f32_e64 v4, 0x2f800000, |v3|
	s_delay_alu instid0(VALU_DEP_1) | instskip(NEXT) | instid1(VALU_DEP_1)
	v_floor_f32_e32 v4, v4
	v_fma_f32 v4, 0xcf800000, v4, |v3|
	v_ashrrev_i32_e32 v3, 31, v3
	s_delay_alu instid0(VALU_DEP_2) | instskip(NEXT) | instid1(VALU_DEP_1)
	v_cvt_u32_f32_e32 v4, v4
	v_xor_b32_e32 v4, v4, v3
	s_delay_alu instid0(VALU_DEP_1)
	v_sub_nc_u32_e32 v3, v4, v3
.LBB425_183:
	s_or_b32 exec_lo, exec_lo, s2
	s_mov_b32 s2, 0
	s_branch .LBB425_189
.LBB425_184:
	s_mov_b32 s22, -1
                                        ; implicit-def: $vgpr3
	s_branch .LBB425_195
.LBB425_185:
	s_or_saveexec_b32 s2, s2
	v_mov_b32_e32 v3, s23
	s_xor_b32 exec_lo, exec_lo, s2
	s_cbranch_execz .LBB425_171
.LBB425_186:
	v_cmp_ne_u16_e32 vcc_lo, 0, v4
	v_mov_b32_e32 v3, 0
	s_and_not1_b32 s22, s22, exec_lo
	s_and_b32 s23, vcc_lo, exec_lo
	s_delay_alu instid0(SALU_CYCLE_1)
	s_or_b32 s22, s22, s23
	s_or_b32 exec_lo, exec_lo, s2
	s_and_saveexec_b32 s2, s22
	s_cbranch_execnz .LBB425_172
	s_branch .LBB425_173
.LBB425_187:
	s_mov_b32 s2, -1
                                        ; implicit-def: $vgpr3
	s_branch .LBB425_192
.LBB425_188:
	s_mov_b32 s2, -1
                                        ; implicit-def: $vgpr3
.LBB425_189:
	s_delay_alu instid0(SALU_CYCLE_1)
	s_and_b32 vcc_lo, exec_lo, s2
	s_cbranch_vccz .LBB425_191
; %bb.190:
	global_load_u8 v3, v[1:2], off
	s_waitcnt vmcnt(0)
	v_lshlrev_b32_e32 v3, 24, v3
	s_delay_alu instid0(VALU_DEP_1) | instskip(NEXT) | instid1(VALU_DEP_1)
	v_and_b32_e32 v4, 0x7f000000, v3
	v_clz_i32_u32_e32 v7, v4
	v_cmp_ne_u32_e32 vcc_lo, 0, v4
	v_add_nc_u32_e32 v9, 0x1000000, v4
	s_delay_alu instid0(VALU_DEP_3) | instskip(NEXT) | instid1(VALU_DEP_1)
	v_min_u32_e32 v7, 32, v7
	v_sub_nc_u32_e64 v7, v7, 4 clamp
	s_delay_alu instid0(VALU_DEP_1) | instskip(SKIP_1) | instid1(VALU_DEP_2)
	v_lshlrev_b32_e32 v8, v7, v4
	v_lshlrev_b32_e32 v7, 23, v7
	v_lshrrev_b32_e32 v8, 4, v8
	s_delay_alu instid0(VALU_DEP_1) | instskip(SKIP_1) | instid1(VALU_DEP_2)
	v_sub_nc_u32_e32 v7, v8, v7
	v_ashrrev_i32_e32 v8, 8, v9
	v_add_nc_u32_e32 v7, 0x3c000000, v7
	s_delay_alu instid0(VALU_DEP_1) | instskip(NEXT) | instid1(VALU_DEP_1)
	v_and_or_b32 v7, 0x7f800000, v8, v7
	v_cndmask_b32_e32 v4, 0, v7, vcc_lo
	s_delay_alu instid0(VALU_DEP_1) | instskip(NEXT) | instid1(VALU_DEP_1)
	v_and_or_b32 v3, 0x80000000, v3, v4
	v_trunc_f32_e32 v3, v3
	s_delay_alu instid0(VALU_DEP_1) | instskip(NEXT) | instid1(VALU_DEP_1)
	v_mul_f32_e64 v4, 0x2f800000, |v3|
	v_floor_f32_e32 v4, v4
	s_delay_alu instid0(VALU_DEP_1) | instskip(SKIP_1) | instid1(VALU_DEP_2)
	v_fma_f32 v4, 0xcf800000, v4, |v3|
	v_ashrrev_i32_e32 v3, 31, v3
	v_cvt_u32_f32_e32 v4, v4
	s_delay_alu instid0(VALU_DEP_1) | instskip(NEXT) | instid1(VALU_DEP_1)
	v_xor_b32_e32 v4, v4, v3
	v_sub_nc_u32_e32 v3, v4, v3
.LBB425_191:
	s_mov_b32 s2, 0
.LBB425_192:
	s_delay_alu instid0(SALU_CYCLE_1)
	s_and_not1_b32 vcc_lo, exec_lo, s2
	s_cbranch_vccnz .LBB425_194
; %bb.193:
	global_load_u8 v3, v[1:2], off
	s_waitcnt vmcnt(0)
	v_lshlrev_b32_e32 v4, 25, v3
	v_lshlrev_b16 v3, 8, v3
	s_delay_alu instid0(VALU_DEP_2) | instskip(NEXT) | instid1(VALU_DEP_2)
	v_lshrrev_b32_e32 v7, 4, v4
	v_and_or_b32 v8, 0x7f00, v3, 0.5
	v_cmp_gt_u32_e32 vcc_lo, 0x8000000, v4
	v_bfe_i32 v3, v3, 0, 16
	s_delay_alu instid0(VALU_DEP_4) | instskip(NEXT) | instid1(VALU_DEP_1)
	v_or_b32_e32 v7, 0x70000000, v7
	v_dual_add_f32 v8, -0.5, v8 :: v_dual_mul_f32 v7, 0x7800000, v7
	s_delay_alu instid0(VALU_DEP_1) | instskip(NEXT) | instid1(VALU_DEP_1)
	v_cndmask_b32_e32 v4, v7, v8, vcc_lo
	v_and_or_b32 v3, 0x80000000, v3, v4
	s_delay_alu instid0(VALU_DEP_1) | instskip(NEXT) | instid1(VALU_DEP_1)
	v_trunc_f32_e32 v3, v3
	v_mul_f32_e64 v4, 0x2f800000, |v3|
	s_delay_alu instid0(VALU_DEP_1) | instskip(NEXT) | instid1(VALU_DEP_1)
	v_floor_f32_e32 v4, v4
	v_fma_f32 v4, 0xcf800000, v4, |v3|
	v_ashrrev_i32_e32 v3, 31, v3
	s_delay_alu instid0(VALU_DEP_2) | instskip(NEXT) | instid1(VALU_DEP_1)
	v_cvt_u32_f32_e32 v4, v4
	v_xor_b32_e32 v4, v4, v3
	s_delay_alu instid0(VALU_DEP_1)
	v_sub_nc_u32_e32 v3, v4, v3
.LBB425_194:
	s_mov_b32 s22, 0
	s_mov_b32 s2, -1
.LBB425_195:
	s_and_not1_b32 vcc_lo, exec_lo, s22
	s_cbranch_vccnz .LBB425_208
; %bb.196:
	v_cmp_lt_i16_e32 vcc_lo, 14, v6
	s_cbranch_vccz .LBB425_199
; %bb.197:
	v_cmp_eq_u16_e32 vcc_lo, 15, v6
	s_cbranch_vccz .LBB425_202
; %bb.198:
	global_load_u16 v3, v[1:2], off
	s_mov_b32 s2, -1
	s_mov_b32 s3, 0
	s_waitcnt vmcnt(0)
	v_lshlrev_b32_e32 v3, 16, v3
	s_delay_alu instid0(VALU_DEP_1) | instskip(NEXT) | instid1(VALU_DEP_1)
	v_trunc_f32_e32 v3, v3
	v_mul_f32_e64 v4, 0x2f800000, |v3|
	s_delay_alu instid0(VALU_DEP_1) | instskip(NEXT) | instid1(VALU_DEP_1)
	v_floor_f32_e32 v4, v4
	v_fma_f32 v4, 0xcf800000, v4, |v3|
	v_ashrrev_i32_e32 v3, 31, v3
	s_delay_alu instid0(VALU_DEP_2) | instskip(NEXT) | instid1(VALU_DEP_1)
	v_cvt_u32_f32_e32 v4, v4
	v_xor_b32_e32 v4, v4, v3
	s_delay_alu instid0(VALU_DEP_1)
	v_sub_nc_u32_e32 v3, v4, v3
	s_branch .LBB425_203
.LBB425_199:
	s_mov_b32 s22, -1
                                        ; implicit-def: $vgpr3
	s_branch .LBB425_204
.LBB425_200:
	s_or_saveexec_b32 s2, s2
	v_mov_b32_e32 v3, s23
	s_xor_b32 exec_lo, exec_lo, s2
	s_cbranch_execz .LBB425_181
.LBB425_201:
	v_cmp_ne_u16_e32 vcc_lo, 0, v4
	v_mov_b32_e32 v3, 0
	s_and_not1_b32 s22, s22, exec_lo
	s_and_b32 s23, vcc_lo, exec_lo
	s_delay_alu instid0(SALU_CYCLE_1)
	s_or_b32 s22, s22, s23
	s_or_b32 exec_lo, exec_lo, s2
	s_and_saveexec_b32 s2, s22
	s_cbranch_execnz .LBB425_182
	s_branch .LBB425_183
.LBB425_202:
	s_mov_b32 s3, -1
                                        ; implicit-def: $vgpr3
.LBB425_203:
	s_mov_b32 s22, 0
.LBB425_204:
	s_delay_alu instid0(SALU_CYCLE_1)
	s_and_b32 vcc_lo, exec_lo, s22
	s_cbranch_vccz .LBB425_208
; %bb.205:
	v_cmp_eq_u16_e32 vcc_lo, 11, v6
	s_cbranch_vccz .LBB425_207
; %bb.206:
	global_load_u8 v3, v[1:2], off
	s_mov_b32 s3, 0
	s_mov_b32 s2, -1
	s_waitcnt vmcnt(0)
	v_cmp_ne_u16_e32 vcc_lo, 0, v3
	v_cndmask_b32_e64 v3, 0, 1, vcc_lo
	s_branch .LBB425_208
.LBB425_207:
	s_mov_b32 s3, -1
                                        ; implicit-def: $vgpr3
.LBB425_208:
	s_branch .LBB425_23
.LBB425_209:
	v_cmp_gt_i16_e32 vcc_lo, 5, v6
	s_cbranch_vccnz .LBB425_214
; %bb.210:
	v_cmp_gt_i16_e32 vcc_lo, 8, v6
	s_cbranch_vccnz .LBB425_215
; %bb.211:
	;; [unrolled: 3-line block ×3, first 2 shown]
	v_cmp_lt_i16_e32 vcc_lo, 9, v6
	s_cbranch_vccz .LBB425_217
; %bb.213:
	global_load_b64 v[3:4], v[1:2], off
	s_mov_b32 s2, 0
	s_waitcnt vmcnt(0)
	v_trunc_f64_e32 v[3:4], v[3:4]
	s_delay_alu instid0(VALU_DEP_1) | instskip(NEXT) | instid1(VALU_DEP_1)
	v_ldexp_f64 v[7:8], v[3:4], 0xffffffe0
	v_floor_f64_e32 v[7:8], v[7:8]
	s_delay_alu instid0(VALU_DEP_1) | instskip(NEXT) | instid1(VALU_DEP_1)
	v_fma_f64 v[3:4], 0xc1f00000, v[7:8], v[3:4]
	v_cvt_u32_f64_e32 v3, v[3:4]
	s_branch .LBB425_218
.LBB425_214:
                                        ; implicit-def: $vgpr3
	s_branch .LBB425_236
.LBB425_215:
	s_mov_b32 s2, -1
                                        ; implicit-def: $vgpr3
	s_branch .LBB425_224
.LBB425_216:
	s_mov_b32 s2, -1
                                        ; implicit-def: $vgpr3
	s_branch .LBB425_221
.LBB425_217:
	s_mov_b32 s2, -1
                                        ; implicit-def: $vgpr3
.LBB425_218:
	s_delay_alu instid0(SALU_CYCLE_1)
	s_and_not1_b32 vcc_lo, exec_lo, s2
	s_cbranch_vccnz .LBB425_220
; %bb.219:
	global_load_b32 v3, v[1:2], off
	s_waitcnt vmcnt(0)
	v_trunc_f32_e32 v3, v3
	s_delay_alu instid0(VALU_DEP_1) | instskip(NEXT) | instid1(VALU_DEP_1)
	v_mul_f32_e64 v4, 0x2f800000, |v3|
	v_floor_f32_e32 v4, v4
	s_delay_alu instid0(VALU_DEP_1) | instskip(SKIP_1) | instid1(VALU_DEP_2)
	v_fma_f32 v4, 0xcf800000, v4, |v3|
	v_ashrrev_i32_e32 v3, 31, v3
	v_cvt_u32_f32_e32 v4, v4
	s_delay_alu instid0(VALU_DEP_1) | instskip(NEXT) | instid1(VALU_DEP_1)
	v_xor_b32_e32 v4, v4, v3
	v_sub_nc_u32_e32 v3, v4, v3
.LBB425_220:
	s_mov_b32 s2, 0
.LBB425_221:
	s_delay_alu instid0(SALU_CYCLE_1)
	s_and_not1_b32 vcc_lo, exec_lo, s2
	s_cbranch_vccnz .LBB425_223
; %bb.222:
	global_load_b32 v3, v[1:2], off
	s_waitcnt vmcnt(0)
	v_cvt_f32_f16_e32 v3, v3
	s_delay_alu instid0(VALU_DEP_1)
	v_cvt_i32_f32_e32 v3, v3
.LBB425_223:
	s_mov_b32 s2, 0
.LBB425_224:
	s_delay_alu instid0(SALU_CYCLE_1)
	s_and_not1_b32 vcc_lo, exec_lo, s2
	s_cbranch_vccnz .LBB425_235
; %bb.225:
	v_cmp_gt_i16_e32 vcc_lo, 6, v6
	s_cbranch_vccnz .LBB425_228
; %bb.226:
	v_cmp_lt_i16_e32 vcc_lo, 6, v6
	s_cbranch_vccz .LBB425_229
; %bb.227:
	global_load_b64 v[3:4], v[1:2], off
	s_mov_b32 s2, 0
	s_waitcnt vmcnt(0)
	v_trunc_f64_e32 v[3:4], v[3:4]
	s_delay_alu instid0(VALU_DEP_1) | instskip(NEXT) | instid1(VALU_DEP_1)
	v_ldexp_f64 v[7:8], v[3:4], 0xffffffe0
	v_floor_f64_e32 v[7:8], v[7:8]
	s_delay_alu instid0(VALU_DEP_1) | instskip(NEXT) | instid1(VALU_DEP_1)
	v_fma_f64 v[3:4], 0xc1f00000, v[7:8], v[3:4]
	v_cvt_u32_f64_e32 v3, v[3:4]
	s_branch .LBB425_230
.LBB425_228:
	s_mov_b32 s2, -1
                                        ; implicit-def: $vgpr3
	s_branch .LBB425_233
.LBB425_229:
	s_mov_b32 s2, -1
                                        ; implicit-def: $vgpr3
.LBB425_230:
	s_delay_alu instid0(SALU_CYCLE_1)
	s_and_not1_b32 vcc_lo, exec_lo, s2
	s_cbranch_vccnz .LBB425_232
; %bb.231:
	global_load_b32 v3, v[1:2], off
	s_waitcnt vmcnt(0)
	v_trunc_f32_e32 v3, v3
	s_delay_alu instid0(VALU_DEP_1) | instskip(NEXT) | instid1(VALU_DEP_1)
	v_mul_f32_e64 v4, 0x2f800000, |v3|
	v_floor_f32_e32 v4, v4
	s_delay_alu instid0(VALU_DEP_1) | instskip(SKIP_1) | instid1(VALU_DEP_2)
	v_fma_f32 v4, 0xcf800000, v4, |v3|
	v_ashrrev_i32_e32 v3, 31, v3
	v_cvt_u32_f32_e32 v4, v4
	s_delay_alu instid0(VALU_DEP_1) | instskip(NEXT) | instid1(VALU_DEP_1)
	v_xor_b32_e32 v4, v4, v3
	v_sub_nc_u32_e32 v3, v4, v3
.LBB425_232:
	s_mov_b32 s2, 0
.LBB425_233:
	s_delay_alu instid0(SALU_CYCLE_1)
	s_and_not1_b32 vcc_lo, exec_lo, s2
	s_cbranch_vccnz .LBB425_235
; %bb.234:
	global_load_u16 v3, v[1:2], off
	s_waitcnt vmcnt(0)
	v_cvt_f32_f16_e32 v3, v3
	s_delay_alu instid0(VALU_DEP_1)
	v_cvt_i32_f32_e32 v3, v3
.LBB425_235:
	s_cbranch_execnz .LBB425_255
.LBB425_236:
	v_cmp_gt_i16_e32 vcc_lo, 2, v6
	s_cbranch_vccnz .LBB425_240
; %bb.237:
	v_cmp_gt_i16_e32 vcc_lo, 3, v6
	s_cbranch_vccnz .LBB425_241
; %bb.238:
	v_cmp_lt_i16_e32 vcc_lo, 3, v6
	s_cbranch_vccz .LBB425_242
; %bb.239:
	global_load_b64 v[3:4], v[1:2], off
	s_mov_b32 s2, 0
	s_branch .LBB425_243
.LBB425_240:
	s_mov_b32 s2, -1
                                        ; implicit-def: $vgpr3
	s_branch .LBB425_249
.LBB425_241:
	s_mov_b32 s2, -1
                                        ; implicit-def: $vgpr3
	s_branch .LBB425_246
.LBB425_242:
	s_mov_b32 s2, -1
                                        ; implicit-def: $vgpr3
.LBB425_243:
	s_delay_alu instid0(SALU_CYCLE_1)
	s_and_not1_b32 vcc_lo, exec_lo, s2
	s_cbranch_vccnz .LBB425_245
; %bb.244:
	global_load_b32 v3, v[1:2], off
.LBB425_245:
	s_mov_b32 s2, 0
.LBB425_246:
	s_delay_alu instid0(SALU_CYCLE_1)
	s_and_not1_b32 vcc_lo, exec_lo, s2
	s_cbranch_vccnz .LBB425_248
; %bb.247:
	global_load_u16 v3, v[1:2], off
.LBB425_248:
	s_mov_b32 s2, 0
.LBB425_249:
	s_delay_alu instid0(SALU_CYCLE_1)
	s_and_not1_b32 vcc_lo, exec_lo, s2
	s_cbranch_vccnz .LBB425_255
; %bb.250:
	v_cmp_lt_i16_e32 vcc_lo, 0, v6
	s_mov_b32 s2, 0
	s_cbranch_vccz .LBB425_252
; %bb.251:
	global_load_u8 v3, v[1:2], off
	s_branch .LBB425_253
.LBB425_252:
	s_mov_b32 s2, -1
                                        ; implicit-def: $vgpr3
.LBB425_253:
	s_delay_alu instid0(SALU_CYCLE_1)
	s_and_not1_b32 vcc_lo, exec_lo, s2
	s_cbranch_vccnz .LBB425_255
; %bb.254:
	global_load_u8 v3, v[1:2], off
.LBB425_255:
	s_branch .LBB425_24
.LBB425_256:
	s_mov_b32 s2, 0
.LBB425_257:
	s_mov_b32 s22, 0
                                        ; implicit-def: $vgpr5
.LBB425_258:
	s_and_b32 s37, s2, exec_lo
	s_and_b32 s38, s3, exec_lo
	s_or_not1_b32 s3, s22, exec_lo
.LBB425_259:
	s_or_b32 exec_lo, exec_lo, s39
	s_mov_b32 s22, 0
	s_mov_b32 s2, 0
                                        ; implicit-def: $vgpr6
                                        ; implicit-def: $vgpr1_vgpr2
                                        ; implicit-def: $vgpr0
                                        ; implicit-def: $vgpr3
	s_and_saveexec_b32 s39, s3
	s_cbranch_execz .LBB425_890
; %bb.260:
	s_mov_b32 s2, -1
	s_mov_b32 s40, s38
	s_mov_b32 s41, s37
	s_mov_b32 s42, exec_lo
	v_cmpx_gt_i32_e64 s34, v5
	s_cbranch_execz .LBB425_525
; %bb.261:
	s_and_not1_b32 vcc_lo, exec_lo, s27
	s_cbranch_vccnz .LBB425_266
; %bb.262:
	v_dual_mov_b32 v0, 0 :: v_dual_mov_b32 v1, 0
	s_and_not1_b32 vcc_lo, exec_lo, s36
	s_mov_b32 s40, 0
	s_cbranch_vccnz .LBB425_271
; %bb.263:
	v_mov_b32_e32 v0, 0
	s_add_i32 s43, s35, 1
	s_cmp_eq_u32 s25, 2
	s_mov_b32 s41, 0
	s_cbranch_scc1 .LBB425_267
; %bb.264:
	v_dual_mov_b32 v1, 0 :: v_dual_mov_b32 v0, 0
	v_mov_b32_e32 v2, v5
	s_and_b32 s41, s43, 28
	s_mov_b32 s44, 0
	s_mov_b64 s[2:3], s[20:21]
	s_mov_b64 s[22:23], s[16:17]
.LBB425_265:                            ; =>This Inner Loop Header: Depth=1
	s_clause 0x1
	s_load_b256 s[48:55], s[22:23], 0x4
	s_load_b128 s[64:67], s[22:23], 0x24
	s_load_b256 s[56:63], s[2:3], 0x0
	s_add_u32 s22, s22, 48
	s_addc_u32 s23, s23, 0
	s_add_i32 s44, s44, 4
	s_add_u32 s2, s2, 32
	s_addc_u32 s3, s3, 0
	s_cmp_eq_u32 s41, s44
	s_waitcnt vmcnt(0) lgkmcnt(0)
	v_mul_hi_u32 v3, s49, v2
	s_delay_alu instid0(VALU_DEP_1) | instskip(NEXT) | instid1(VALU_DEP_1)
	v_add_nc_u32_e32 v3, v2, v3
	v_lshrrev_b32_e32 v3, s50, v3
	s_delay_alu instid0(VALU_DEP_1) | instskip(SKIP_1) | instid1(VALU_DEP_2)
	v_mul_hi_u32 v4, s52, v3
	v_mul_lo_u32 v7, v3, s48
	v_add_nc_u32_e32 v4, v3, v4
	s_delay_alu instid0(VALU_DEP_2) | instskip(NEXT) | instid1(VALU_DEP_2)
	v_sub_nc_u32_e32 v2, v2, v7
	v_lshrrev_b32_e32 v4, s53, v4
	s_delay_alu instid0(VALU_DEP_2) | instskip(SKIP_1) | instid1(VALU_DEP_3)
	v_mul_lo_u32 v7, v2, s56
	v_mul_lo_u32 v9, v2, s57
	v_mul_hi_u32 v6, s55, v4
	s_delay_alu instid0(VALU_DEP_1) | instskip(NEXT) | instid1(VALU_DEP_1)
	v_add_nc_u32_e32 v6, v4, v6
	v_lshrrev_b32_e32 v6, s64, v6
	s_delay_alu instid0(VALU_DEP_1) | instskip(SKIP_1) | instid1(VALU_DEP_2)
	v_mul_hi_u32 v8, s66, v6
	v_mul_lo_u32 v10, v6, s54
	v_add_nc_u32_e32 v2, v6, v8
	v_mul_lo_u32 v8, v4, s51
	s_delay_alu instid0(VALU_DEP_3) | instskip(NEXT) | instid1(VALU_DEP_3)
	v_sub_nc_u32_e32 v4, v4, v10
	v_lshrrev_b32_e32 v2, s67, v2
	s_delay_alu instid0(VALU_DEP_2) | instskip(SKIP_2) | instid1(VALU_DEP_4)
	v_mul_lo_u32 v10, v4, s60
	v_mul_lo_u32 v4, v4, s61
	v_sub_nc_u32_e32 v3, v3, v8
	v_mul_lo_u32 v11, v2, s65
	s_delay_alu instid0(VALU_DEP_2) | instskip(SKIP_1) | instid1(VALU_DEP_3)
	v_mul_lo_u32 v8, v3, s58
	v_mul_lo_u32 v3, v3, s59
	v_sub_nc_u32_e32 v6, v6, v11
	s_delay_alu instid0(VALU_DEP_3) | instskip(NEXT) | instid1(VALU_DEP_2)
	v_add3_u32 v0, v7, v0, v8
	v_mul_lo_u32 v11, v6, s62
	v_mul_lo_u32 v6, v6, s63
	v_add3_u32 v1, v9, v1, v3
	s_delay_alu instid0(VALU_DEP_3) | instskip(NEXT) | instid1(VALU_DEP_2)
	v_add3_u32 v0, v10, v0, v11
	v_add3_u32 v1, v4, v1, v6
	s_cbranch_scc0 .LBB425_265
	s_branch .LBB425_268
.LBB425_266:
	s_mov_b32 s40, -1
                                        ; implicit-def: $vgpr0
                                        ; implicit-def: $vgpr1
	s_branch .LBB425_271
.LBB425_267:
	v_dual_mov_b32 v2, v5 :: v_dual_mov_b32 v1, 0
.LBB425_268:
	s_and_b32 s43, s43, 3
	s_delay_alu instid0(SALU_CYCLE_1)
	s_cmp_eq_u32 s43, 0
	s_cbranch_scc1 .LBB425_271
; %bb.269:
	s_lshl_b32 s2, s41, 3
	s_mul_i32 s22, s41, 12
	s_add_u32 s2, s2, s16
	s_addc_u32 s3, s17, 0
	s_add_u32 s2, s2, 0xc4
	s_addc_u32 s3, s3, 0
	;; [unrolled: 2-line block ×3, first 2 shown]
	.p2align	6
.LBB425_270:                            ; =>This Inner Loop Header: Depth=1
	s_clause 0x1
	s_load_b64 s[44:45], s[22:23], 0x4
	s_load_b32 s41, s[22:23], 0xc
	s_load_b64 s[46:47], s[2:3], 0x0
	s_add_u32 s22, s22, 12
	s_addc_u32 s23, s23, 0
	s_add_u32 s2, s2, 8
	s_addc_u32 s3, s3, 0
	s_add_i32 s43, s43, -1
	s_delay_alu instid0(SALU_CYCLE_1) | instskip(SKIP_2) | instid1(VALU_DEP_1)
	s_cmp_lg_u32 s43, 0
	s_waitcnt vmcnt(0) lgkmcnt(0)
	v_mul_hi_u32 v3, s45, v2
	v_add_nc_u32_e32 v3, v2, v3
	s_delay_alu instid0(VALU_DEP_1) | instskip(NEXT) | instid1(VALU_DEP_1)
	v_lshrrev_b32_e32 v8, s41, v3
	v_mul_lo_u32 v3, v8, s44
	s_delay_alu instid0(VALU_DEP_1) | instskip(NEXT) | instid1(VALU_DEP_1)
	v_sub_nc_u32_e32 v2, v2, v3
	v_mad_u64_u32 v[3:4], null, v2, s46, v[0:1]
	v_mad_u64_u32 v[6:7], null, v2, s47, v[1:2]
	v_mov_b32_e32 v2, v8
	s_delay_alu instid0(VALU_DEP_2)
	v_dual_mov_b32 v0, v3 :: v_dual_mov_b32 v1, v6
	s_cbranch_scc1 .LBB425_270
.LBB425_271:
	s_and_not1_b32 vcc_lo, exec_lo, s40
	s_cbranch_vccnz .LBB425_274
; %bb.272:
	v_mul_hi_u32 v0, s13, v5
	s_and_not1_b32 vcc_lo, exec_lo, s33
	s_delay_alu instid0(VALU_DEP_1) | instskip(NEXT) | instid1(VALU_DEP_1)
	v_add_nc_u32_e32 v0, v5, v0
	v_lshrrev_b32_e32 v2, s14, v0
	s_delay_alu instid0(VALU_DEP_1) | instskip(NEXT) | instid1(VALU_DEP_1)
	v_mul_lo_u32 v0, v2, s12
	v_sub_nc_u32_e32 v1, v5, v0
	s_delay_alu instid0(VALU_DEP_1)
	v_mul_lo_u32 v0, v1, s8
	v_mul_lo_u32 v1, v1, s9
	s_cbranch_vccnz .LBB425_274
; %bb.273:
	s_waitcnt vmcnt(0)
	v_mul_hi_u32 v3, s18, v2
	s_delay_alu instid0(VALU_DEP_1) | instskip(NEXT) | instid1(VALU_DEP_1)
	v_add_nc_u32_e32 v3, v2, v3
	v_lshrrev_b32_e32 v3, s19, v3
	s_delay_alu instid0(VALU_DEP_1) | instskip(NEXT) | instid1(VALU_DEP_1)
	v_mul_lo_u32 v3, v3, s15
	v_sub_nc_u32_e32 v6, v2, v3
	s_delay_alu instid0(VALU_DEP_1) | instskip(NEXT) | instid1(VALU_DEP_1)
	v_mad_u64_u32 v[2:3], null, v6, s10, v[0:1]
	v_mad_u64_u32 v[3:4], null, v6, s11, v[1:2]
	s_delay_alu instid0(VALU_DEP_1)
	v_dual_mov_b32 v0, v2 :: v_dual_mov_b32 v1, v3
.LBB425_274:
	v_and_b32_e64 v6, 0xff, s31
	s_delay_alu instid0(VALU_DEP_2) | instskip(NEXT) | instid1(VALU_DEP_1)
	v_add_co_u32 v1, s2, s6, v1
	v_add_co_ci_u32_e64 v2, null, s7, 0, s2
	s_delay_alu instid0(VALU_DEP_3)
	v_cmp_gt_i16_e32 vcc_lo, 11, v6
	s_mov_b32 s2, 0
	s_cbranch_vccnz .LBB425_281
; %bb.275:
	v_cmp_lt_i16_e32 vcc_lo, 25, v6
	s_cbranch_vccz .LBB425_330
; %bb.276:
	v_cmp_lt_i16_e32 vcc_lo, 28, v6
	s_cbranch_vccz .LBB425_331
	;; [unrolled: 3-line block ×4, first 2 shown]
; %bb.279:
	v_cmp_eq_u16_e32 vcc_lo, 46, v6
	s_mov_b32 s22, 0
	s_cbranch_vccz .LBB425_339
; %bb.280:
	global_load_b32 v3, v[1:2], off
	s_mov_b32 s2, -1
	s_mov_b32 s3, 0
	s_waitcnt vmcnt(0)
	v_lshlrev_b32_e32 v3, 16, v3
	s_delay_alu instid0(VALU_DEP_1) | instskip(NEXT) | instid1(VALU_DEP_1)
	v_trunc_f32_e32 v3, v3
	v_mul_f32_e64 v4, 0x2f800000, |v3|
	s_delay_alu instid0(VALU_DEP_1) | instskip(NEXT) | instid1(VALU_DEP_1)
	v_floor_f32_e32 v4, v4
	v_fma_f32 v4, 0xcf800000, v4, |v3|
	v_ashrrev_i32_e32 v3, 31, v3
	s_delay_alu instid0(VALU_DEP_2) | instskip(NEXT) | instid1(VALU_DEP_1)
	v_cvt_u32_f32_e32 v4, v4
	v_xor_b32_e32 v4, v4, v3
	s_delay_alu instid0(VALU_DEP_1)
	v_sub_nc_u32_e32 v3, v4, v3
	s_branch .LBB425_341
.LBB425_281:
	s_mov_b32 s3, s38
                                        ; implicit-def: $vgpr3
	s_cbranch_execnz .LBB425_474
.LBB425_282:
	s_and_not1_b32 vcc_lo, exec_lo, s2
	s_cbranch_vccnz .LBB425_522
.LBB425_283:
	s_waitcnt vmcnt(0)
	s_delay_alu instid0(VALU_DEP_1) | instskip(SKIP_4) | instid1(VALU_DEP_3)
	v_and_b32_e32 v2, 0xff, v3
	v_and_b32_e64 v3, 0xff, s30
	v_and_b32_e64 v1, 0xff, s29
	v_add_co_u32 v0, s2, s4, v0
	s_mov_b32 s22, 0
	v_cmp_gt_i16_e32 vcc_lo, 11, v3
	s_delay_alu instid0(VALU_DEP_3)
	v_min_u16 v2, v2, v1
	v_add_co_ci_u32_e64 v1, null, s5, 0, s2
	s_mov_b32 s23, -1
	s_mov_b32 s2, s37
	s_cbranch_vccnz .LBB425_290
; %bb.284:
	v_cmp_lt_i16_e32 vcc_lo, 25, v3
	s_cbranch_vccz .LBB425_332
; %bb.285:
	v_cmp_lt_i16_e32 vcc_lo, 28, v3
	s_cbranch_vccz .LBB425_334
	;; [unrolled: 3-line block ×4, first 2 shown]
; %bb.288:
	v_cmp_eq_u16_e32 vcc_lo, 46, v3
	s_mov_b32 s23, 0
	s_mov_b32 s2, -1
	s_cbranch_vccz .LBB425_345
; %bb.289:
	v_cvt_f32_ubyte0_e32 v4, v2
	s_mov_b32 s22, -1
	s_mov_b32 s2, 0
	s_delay_alu instid0(VALU_DEP_1) | instskip(NEXT) | instid1(VALU_DEP_1)
	v_bfe_u32 v6, v4, 16, 1
	v_add3_u32 v4, v4, v6, 0x7fff
	s_delay_alu instid0(VALU_DEP_1)
	v_lshrrev_b32_e32 v4, 16, v4
	global_store_b32 v[0:1], v4, off
	s_branch .LBB425_345
.LBB425_290:
	s_and_b32 vcc_lo, exec_lo, s23
	s_cbranch_vccz .LBB425_414
; %bb.291:
	v_cmp_gt_i16_e32 vcc_lo, 5, v3
	s_mov_b32 s22, -1
	s_cbranch_vccnz .LBB425_312
; %bb.292:
	v_cmp_gt_i16_e32 vcc_lo, 8, v3
	s_cbranch_vccnz .LBB425_302
; %bb.293:
	v_cmp_gt_i16_e32 vcc_lo, 9, v3
	s_cbranch_vccnz .LBB425_299
; %bb.294:
	v_cmp_lt_i16_e32 vcc_lo, 9, v3
	s_cbranch_vccz .LBB425_296
; %bb.295:
	v_mov_b32_e32 v8, 0
	v_and_b32_e32 v4, 0xffff, v2
	s_mov_b32 s22, 0
	s_delay_alu instid0(VALU_DEP_2) | instskip(NEXT) | instid1(VALU_DEP_2)
	v_mov_b32_e32 v9, v8
	v_cvt_f64_u32_e32 v[6:7], v4
	global_store_b128 v[0:1], v[6:9], off
.LBB425_296:
	s_and_not1_b32 vcc_lo, exec_lo, s22
	s_cbranch_vccnz .LBB425_298
; %bb.297:
	v_cvt_f32_ubyte0_e32 v6, v2
	v_mov_b32_e32 v7, 0
	global_store_b64 v[0:1], v[6:7], off
.LBB425_298:
	s_mov_b32 s22, 0
.LBB425_299:
	s_delay_alu instid0(SALU_CYCLE_1)
	s_and_not1_b32 vcc_lo, exec_lo, s22
	s_cbranch_vccnz .LBB425_301
; %bb.300:
	v_cvt_f16_u16_e32 v4, v2
	s_delay_alu instid0(VALU_DEP_1)
	v_and_b32_e32 v4, 0xffff, v4
	global_store_b32 v[0:1], v4, off
.LBB425_301:
	s_mov_b32 s22, 0
.LBB425_302:
	s_delay_alu instid0(SALU_CYCLE_1)
	s_and_not1_b32 vcc_lo, exec_lo, s22
	s_cbranch_vccnz .LBB425_311
; %bb.303:
	v_cmp_gt_i16_e32 vcc_lo, 6, v3
	s_mov_b32 s22, -1
	s_cbranch_vccnz .LBB425_309
; %bb.304:
	v_cmp_lt_i16_e32 vcc_lo, 6, v3
	s_cbranch_vccz .LBB425_306
; %bb.305:
	v_and_b32_e32 v4, 0xffff, v2
	s_mov_b32 s22, 0
	s_delay_alu instid0(VALU_DEP_1)
	v_cvt_f64_u32_e32 v[6:7], v4
	global_store_b64 v[0:1], v[6:7], off
.LBB425_306:
	s_and_not1_b32 vcc_lo, exec_lo, s22
	s_cbranch_vccnz .LBB425_308
; %bb.307:
	v_cvt_f32_ubyte0_e32 v4, v2
	global_store_b32 v[0:1], v4, off
.LBB425_308:
	s_mov_b32 s22, 0
.LBB425_309:
	s_delay_alu instid0(SALU_CYCLE_1)
	s_and_not1_b32 vcc_lo, exec_lo, s22
	s_cbranch_vccnz .LBB425_311
; %bb.310:
	v_cvt_f16_u16_e32 v4, v2
	global_store_b16 v[0:1], v4, off
.LBB425_311:
	s_mov_b32 s22, 0
.LBB425_312:
	s_delay_alu instid0(SALU_CYCLE_1)
	s_and_not1_b32 vcc_lo, exec_lo, s22
	s_cbranch_vccnz .LBB425_328
; %bb.313:
	v_cmp_gt_i16_e32 vcc_lo, 2, v3
	s_mov_b32 s22, -1
	s_cbranch_vccnz .LBB425_323
; %bb.314:
	v_cmp_gt_i16_e32 vcc_lo, 3, v3
	s_cbranch_vccnz .LBB425_320
; %bb.315:
	v_cmp_lt_i16_e32 vcc_lo, 3, v3
	s_cbranch_vccz .LBB425_317
; %bb.316:
	s_mov_b32 s22, 0
	s_delay_alu instid0(SALU_CYCLE_1)
	v_dual_mov_b32 v7, s22 :: v_dual_and_b32 v6, 0xffff, v2
	global_store_b64 v[0:1], v[6:7], off
.LBB425_317:
	s_and_not1_b32 vcc_lo, exec_lo, s22
	s_cbranch_vccnz .LBB425_319
; %bb.318:
	v_and_b32_e32 v4, 0xffff, v2
	global_store_b32 v[0:1], v4, off
.LBB425_319:
	s_mov_b32 s22, 0
.LBB425_320:
	s_delay_alu instid0(SALU_CYCLE_1)
	s_and_not1_b32 vcc_lo, exec_lo, s22
	s_cbranch_vccnz .LBB425_322
; %bb.321:
	global_store_b16 v[0:1], v2, off
.LBB425_322:
	s_mov_b32 s22, 0
.LBB425_323:
	s_delay_alu instid0(SALU_CYCLE_1)
	s_and_not1_b32 vcc_lo, exec_lo, s22
	s_cbranch_vccnz .LBB425_328
; %bb.324:
	v_cmp_lt_i16_e32 vcc_lo, 0, v3
	s_mov_b32 s22, -1
	s_cbranch_vccz .LBB425_326
; %bb.325:
	s_mov_b32 s22, 0
	global_store_b8 v[0:1], v2, off
.LBB425_326:
	s_and_not1_b32 vcc_lo, exec_lo, s22
	s_cbranch_vccnz .LBB425_328
; %bb.327:
	global_store_b8 v[0:1], v2, off
.LBB425_328:
	s_branch .LBB425_415
.LBB425_329:
	s_mov_b32 s22, 0
	s_branch .LBB425_523
.LBB425_330:
	s_mov_b32 s22, -1
	s_mov_b32 s3, s38
                                        ; implicit-def: $vgpr3
	s_branch .LBB425_440
.LBB425_331:
	s_mov_b32 s22, -1
	s_mov_b32 s3, s38
                                        ; implicit-def: $vgpr3
	s_branch .LBB425_423
.LBB425_332:
	s_mov_b32 s2, s37
	s_branch .LBB425_372
.LBB425_333:
	s_mov_b32 s22, -1
	s_mov_b32 s3, s38
                                        ; implicit-def: $vgpr3
	s_branch .LBB425_418
.LBB425_334:
	s_mov_b32 s2, s37
	s_branch .LBB425_355
.LBB425_335:
	s_mov_b32 s22, -1
	s_mov_b32 s3, s38
	s_branch .LBB425_340
.LBB425_336:
	s_mov_b32 s2, s37
	s_branch .LBB425_351
.LBB425_337:
	s_or_saveexec_b32 s37, s37
                                        ; implicit-def: $sgpr38
	s_delay_alu instid0(SALU_CYCLE_1)
	s_xor_b32 exec_lo, exec_lo, s37
	s_cbranch_execz .LBB425_65
.LBB425_338:
	v_add_f32_e32 v4, 0x42800000, v6
	s_and_not1_b32 s23, s23, exec_lo
	s_mov_b32 s38, 0
	s_delay_alu instid0(VALU_DEP_1) | instskip(NEXT) | instid1(VALU_DEP_1)
	v_and_b32_e32 v4, 0xff, v4
	v_cmp_ne_u32_e32 vcc_lo, 0, v4
	s_and_b32 s41, vcc_lo, exec_lo
	s_delay_alu instid0(SALU_CYCLE_1)
	s_or_b32 s23, s23, s41
	s_or_b32 exec_lo, exec_lo, s37
	v_mov_b32_e32 v7, s38
	s_and_saveexec_b32 s37, s23
	s_cbranch_execnz .LBB425_66
	s_branch .LBB425_67
.LBB425_339:
	s_mov_b32 s3, -1
.LBB425_340:
                                        ; implicit-def: $vgpr3
.LBB425_341:
	s_and_b32 vcc_lo, exec_lo, s22
	s_cbranch_vccz .LBB425_417
; %bb.342:
	v_cmp_eq_u16_e32 vcc_lo, 44, v6
	s_cbranch_vccz .LBB425_416
; %bb.343:
	global_load_u8 v3, v[1:2], off
	s_mov_b32 s3, 0
	s_mov_b32 s2, -1
	s_waitcnt vmcnt(0)
	v_lshlrev_b32_e32 v4, 23, v3
	v_cmp_ne_u32_e32 vcc_lo, 0, v3
	s_delay_alu instid0(VALU_DEP_2) | instskip(NEXT) | instid1(VALU_DEP_1)
	v_trunc_f32_e32 v4, v4
	v_mul_f32_e64 v7, 0x2f800000, |v4|
	s_delay_alu instid0(VALU_DEP_1) | instskip(NEXT) | instid1(VALU_DEP_1)
	v_floor_f32_e32 v7, v7
	v_fma_f32 v7, 0xcf800000, v7, |v4|
	v_ashrrev_i32_e32 v4, 31, v4
	s_delay_alu instid0(VALU_DEP_2) | instskip(NEXT) | instid1(VALU_DEP_1)
	v_cvt_u32_f32_e32 v7, v7
	v_xor_b32_e32 v7, v7, v4
	s_delay_alu instid0(VALU_DEP_1) | instskip(NEXT) | instid1(VALU_DEP_1)
	v_sub_nc_u32_e32 v4, v7, v4
	v_cndmask_b32_e32 v3, 0, v4, vcc_lo
	s_branch .LBB425_417
.LBB425_344:
	s_mov_b32 s2, s37
.LBB425_345:
	s_and_b32 vcc_lo, exec_lo, s23
	s_cbranch_vccz .LBB425_350
; %bb.346:
	v_cmp_eq_u16_e32 vcc_lo, 44, v3
	s_mov_b32 s2, -1
	s_cbranch_vccz .LBB425_350
; %bb.347:
	v_cvt_f32_ubyte0_e32 v7, v2
	v_mov_b32_e32 v6, 0xff
	s_mov_b32 s22, exec_lo
	s_delay_alu instid0(VALU_DEP_2) | instskip(NEXT) | instid1(VALU_DEP_1)
	v_lshrrev_b32_e32 v4, 23, v7
	v_cmpx_ne_u32_e32 0xff, v4
; %bb.348:
	v_and_b32_e32 v6, 0x400000, v7
	v_and_or_b32 v7, 0x3fffff, v7, v4
	s_delay_alu instid0(VALU_DEP_2) | instskip(NEXT) | instid1(VALU_DEP_2)
	v_cmp_ne_u32_e32 vcc_lo, 0, v6
	v_cmp_ne_u32_e64 s2, 0, v7
	s_delay_alu instid0(VALU_DEP_1) | instskip(NEXT) | instid1(SALU_CYCLE_1)
	s_and_b32 s2, vcc_lo, s2
	v_cndmask_b32_e64 v6, 0, 1, s2
	s_delay_alu instid0(VALU_DEP_1)
	v_add_nc_u32_e32 v6, v4, v6
; %bb.349:
	s_or_b32 exec_lo, exec_lo, s22
	s_mov_b32 s22, -1
	s_mov_b32 s2, 0
	global_store_b8 v[0:1], v6, off
.LBB425_350:
	s_mov_b32 s23, 0
.LBB425_351:
	s_delay_alu instid0(SALU_CYCLE_1)
	s_and_b32 vcc_lo, exec_lo, s23
	s_cbranch_vccz .LBB425_354
; %bb.352:
	v_cmp_eq_u16_e32 vcc_lo, 29, v3
	s_mov_b32 s2, -1
	s_cbranch_vccz .LBB425_354
; %bb.353:
	s_mov_b32 s2, 0
	s_delay_alu instid0(SALU_CYCLE_1)
	v_dual_mov_b32 v7, s2 :: v_dual_and_b32 v6, 0xffff, v2
	s_mov_b32 s22, -1
	s_mov_b32 s23, 0
	global_store_b64 v[0:1], v[6:7], off
	s_branch .LBB425_355
.LBB425_354:
	s_mov_b32 s23, 0
.LBB425_355:
	s_delay_alu instid0(SALU_CYCLE_1)
	s_and_b32 vcc_lo, exec_lo, s23
	s_cbranch_vccz .LBB425_371
; %bb.356:
	v_cmp_gt_i16_e32 vcc_lo, 27, v3
	s_mov_b32 s22, -1
	s_cbranch_vccnz .LBB425_362
; %bb.357:
	v_cmp_lt_i16_e32 vcc_lo, 27, v3
	s_cbranch_vccz .LBB425_359
; %bb.358:
	v_and_b32_e32 v4, 0xffff, v2
	s_mov_b32 s22, 0
	global_store_b32 v[0:1], v4, off
.LBB425_359:
	s_and_not1_b32 vcc_lo, exec_lo, s22
	s_cbranch_vccnz .LBB425_361
; %bb.360:
	global_store_b16 v[0:1], v2, off
.LBB425_361:
	s_mov_b32 s22, 0
.LBB425_362:
	s_delay_alu instid0(SALU_CYCLE_1)
	s_and_not1_b32 vcc_lo, exec_lo, s22
	s_cbranch_vccnz .LBB425_370
; %bb.363:
	v_cvt_f32_ubyte0_e32 v6, v2
	v_mov_b32_e32 v7, 0x80
	s_mov_b32 s22, exec_lo
	s_delay_alu instid0(VALU_DEP_2)
	v_cmpx_gt_u32_e32 0x43800000, v6
	s_cbranch_execz .LBB425_369
; %bb.364:
	s_mov_b32 s23, 0
	s_mov_b32 s40, exec_lo
                                        ; implicit-def: $vgpr4
	v_cmpx_lt_u32_e32 0x3bffffff, v6
	s_xor_b32 s40, exec_lo, s40
	s_cbranch_execz .LBB425_551
; %bb.365:
	v_bfe_u32 v4, v6, 20, 1
	s_mov_b32 s23, exec_lo
	s_delay_alu instid0(VALU_DEP_1) | instskip(NEXT) | instid1(VALU_DEP_1)
	v_add3_u32 v4, v6, v4, 0x487ffff
                                        ; implicit-def: $vgpr6
	v_lshrrev_b32_e32 v4, 20, v4
	s_or_saveexec_b32 s40, s40
                                        ; implicit-def: $sgpr41
	s_delay_alu instid0(SALU_CYCLE_1)
	s_xor_b32 exec_lo, exec_lo, s40
	s_cbranch_execnz .LBB425_552
.LBB425_366:
	s_or_b32 exec_lo, exec_lo, s40
	v_mov_b32_e32 v7, s41
	s_and_saveexec_b32 s40, s23
.LBB425_367:
	v_mov_b32_e32 v7, v4
.LBB425_368:
	s_or_b32 exec_lo, exec_lo, s40
.LBB425_369:
	s_delay_alu instid0(SALU_CYCLE_1)
	s_or_b32 exec_lo, exec_lo, s22
	global_store_b8 v[0:1], v7, off
.LBB425_370:
	s_mov_b32 s22, -1
.LBB425_371:
	s_mov_b32 s23, 0
.LBB425_372:
	s_delay_alu instid0(SALU_CYCLE_1)
	s_and_b32 vcc_lo, exec_lo, s23
	s_cbranch_vccz .LBB425_413
; %bb.373:
	v_cmp_lt_i16_e32 vcc_lo, 22, v3
	s_mov_b32 s23, -1
	s_cbranch_vccz .LBB425_405
; %bb.374:
	v_cmp_gt_i16_e32 vcc_lo, 24, v3
	s_mov_b32 s22, -1
	s_cbranch_vccnz .LBB425_394
; %bb.375:
	v_cmp_lt_i16_e32 vcc_lo, 24, v3
	s_cbranch_vccz .LBB425_383
; %bb.376:
	v_cvt_f32_ubyte0_e32 v6, v2
	v_mov_b32_e32 v7, 0x80
	s_mov_b32 s22, exec_lo
	s_delay_alu instid0(VALU_DEP_2)
	v_cmpx_gt_u32_e32 0x47800000, v6
	s_cbranch_execz .LBB425_382
; %bb.377:
	s_mov_b32 s23, 0
	s_mov_b32 s40, exec_lo
                                        ; implicit-def: $vgpr4
	v_cmpx_lt_u32_e32 0x37ffffff, v6
	s_xor_b32 s40, exec_lo, s40
	s_cbranch_execz .LBB425_554
; %bb.378:
	v_bfe_u32 v4, v6, 21, 1
	s_mov_b32 s23, exec_lo
	s_delay_alu instid0(VALU_DEP_1) | instskip(NEXT) | instid1(VALU_DEP_1)
	v_add3_u32 v4, v6, v4, 0x88fffff
                                        ; implicit-def: $vgpr6
	v_lshrrev_b32_e32 v4, 21, v4
	s_or_saveexec_b32 s40, s40
                                        ; implicit-def: $sgpr41
	s_delay_alu instid0(SALU_CYCLE_1)
	s_xor_b32 exec_lo, exec_lo, s40
	s_cbranch_execnz .LBB425_555
.LBB425_379:
	s_or_b32 exec_lo, exec_lo, s40
	v_mov_b32_e32 v7, s41
	s_and_saveexec_b32 s40, s23
.LBB425_380:
	v_mov_b32_e32 v7, v4
.LBB425_381:
	s_or_b32 exec_lo, exec_lo, s40
.LBB425_382:
	s_delay_alu instid0(SALU_CYCLE_1)
	s_or_b32 exec_lo, exec_lo, s22
	s_mov_b32 s22, 0
	global_store_b8 v[0:1], v7, off
.LBB425_383:
	s_and_b32 vcc_lo, exec_lo, s22
	s_cbranch_vccz .LBB425_393
; %bb.384:
	v_cvt_f32_ubyte0_e32 v6, v2
	s_mov_b32 s22, exec_lo
                                        ; implicit-def: $vgpr4
	s_delay_alu instid0(VALU_DEP_1)
	v_cmpx_gt_u32_e32 0x43f00000, v6
	s_xor_b32 s22, exec_lo, s22
	s_cbranch_execz .LBB425_390
; %bb.385:
	s_mov_b32 s23, exec_lo
                                        ; implicit-def: $vgpr4
	v_cmpx_lt_u32_e32 0x3c7fffff, v6
	s_xor_b32 s23, exec_lo, s23
; %bb.386:
	v_bfe_u32 v4, v6, 20, 1
	s_delay_alu instid0(VALU_DEP_1) | instskip(NEXT) | instid1(VALU_DEP_1)
	v_add3_u32 v4, v6, v4, 0x407ffff
	v_and_b32_e32 v6, 0xff00000, v4
	v_lshrrev_b32_e32 v4, 20, v4
	s_delay_alu instid0(VALU_DEP_2) | instskip(NEXT) | instid1(VALU_DEP_2)
	v_cmp_ne_u32_e32 vcc_lo, 0x7f00000, v6
                                        ; implicit-def: $vgpr6
	v_cndmask_b32_e32 v4, 0x7e, v4, vcc_lo
; %bb.387:
	s_and_not1_saveexec_b32 s23, s23
; %bb.388:
	v_add_f32_e32 v4, 0x46800000, v6
; %bb.389:
	s_or_b32 exec_lo, exec_lo, s23
                                        ; implicit-def: $vgpr6
.LBB425_390:
	s_and_not1_saveexec_b32 s22, s22
; %bb.391:
	v_mov_b32_e32 v4, 0x7f
	v_cmp_lt_u32_e32 vcc_lo, 0x7f800000, v6
	s_delay_alu instid0(VALU_DEP_2)
	v_cndmask_b32_e32 v4, 0x7e, v4, vcc_lo
; %bb.392:
	s_or_b32 exec_lo, exec_lo, s22
	global_store_b8 v[0:1], v4, off
.LBB425_393:
	s_mov_b32 s22, 0
.LBB425_394:
	s_delay_alu instid0(SALU_CYCLE_1)
	s_and_not1_b32 vcc_lo, exec_lo, s22
	s_cbranch_vccnz .LBB425_404
; %bb.395:
	v_cvt_f32_ubyte0_e32 v6, v2
	s_mov_b32 s22, exec_lo
                                        ; implicit-def: $vgpr4
	s_delay_alu instid0(VALU_DEP_1)
	v_cmpx_gt_u32_e32 0x47800000, v6
	s_xor_b32 s22, exec_lo, s22
	s_cbranch_execz .LBB425_401
; %bb.396:
	s_mov_b32 s23, exec_lo
                                        ; implicit-def: $vgpr4
	v_cmpx_lt_u32_e32 0x387fffff, v6
	s_xor_b32 s23, exec_lo, s23
; %bb.397:
	v_bfe_u32 v4, v6, 21, 1
	s_delay_alu instid0(VALU_DEP_1) | instskip(NEXT) | instid1(VALU_DEP_1)
	v_add3_u32 v4, v6, v4, 0x80fffff
                                        ; implicit-def: $vgpr6
	v_lshrrev_b32_e32 v4, 21, v4
; %bb.398:
	s_and_not1_saveexec_b32 s23, s23
; %bb.399:
	v_add_f32_e32 v4, 0x43000000, v6
; %bb.400:
	s_or_b32 exec_lo, exec_lo, s23
                                        ; implicit-def: $vgpr6
.LBB425_401:
	s_and_not1_saveexec_b32 s22, s22
; %bb.402:
	v_mov_b32_e32 v4, 0x7f
	v_cmp_lt_u32_e32 vcc_lo, 0x7f800000, v6
	s_delay_alu instid0(VALU_DEP_2)
	v_cndmask_b32_e32 v4, 0x7c, v4, vcc_lo
; %bb.403:
	s_or_b32 exec_lo, exec_lo, s22
	global_store_b8 v[0:1], v4, off
.LBB425_404:
	s_mov_b32 s23, 0
	s_mov_b32 s22, -1
.LBB425_405:
	s_and_not1_b32 vcc_lo, exec_lo, s23
	s_cbranch_vccnz .LBB425_413
; %bb.406:
	v_cmp_lt_i16_e32 vcc_lo, 14, v3
	s_mov_b32 s23, -1
	s_cbranch_vccz .LBB425_410
; %bb.407:
	v_cmp_eq_u16_e32 vcc_lo, 15, v3
	s_mov_b32 s2, -1
	s_cbranch_vccz .LBB425_409
; %bb.408:
	v_cvt_f32_ubyte0_e32 v4, v2
	s_mov_b32 s22, -1
	s_mov_b32 s2, 0
	s_delay_alu instid0(VALU_DEP_1) | instskip(NEXT) | instid1(VALU_DEP_1)
	v_bfe_u32 v6, v4, 16, 1
	v_add3_u32 v4, v4, v6, 0x7fff
	global_store_d16_hi_b16 v[0:1], v4, off
.LBB425_409:
	s_mov_b32 s23, 0
.LBB425_410:
	s_delay_alu instid0(SALU_CYCLE_1)
	s_and_b32 vcc_lo, exec_lo, s23
	s_cbranch_vccz .LBB425_413
; %bb.411:
	v_cmp_eq_u16_e32 vcc_lo, 11, v3
	s_mov_b32 s2, -1
	s_cbranch_vccz .LBB425_413
; %bb.412:
	v_cmp_ne_u16_e32 vcc_lo, 0, v2
	s_mov_b32 s2, 0
	s_mov_b32 s22, -1
	v_cndmask_b32_e64 v4, 0, 1, vcc_lo
	global_store_b8 v[0:1], v4, off
.LBB425_413:
.LBB425_414:
	s_and_not1_b32 vcc_lo, exec_lo, s22
	s_cbranch_vccnz .LBB425_329
.LBB425_415:
	v_add_nc_u32_e32 v5, 0x80, v5
	s_mov_b32 s22, -1
	s_branch .LBB425_524
.LBB425_416:
	s_mov_b32 s3, -1
                                        ; implicit-def: $vgpr3
.LBB425_417:
	s_mov_b32 s22, 0
.LBB425_418:
	s_delay_alu instid0(SALU_CYCLE_1)
	s_and_b32 vcc_lo, exec_lo, s22
	s_cbranch_vccz .LBB425_422
; %bb.419:
	v_cmp_eq_u16_e32 vcc_lo, 29, v6
	s_cbranch_vccz .LBB425_421
; %bb.420:
	global_load_b64 v[3:4], v[1:2], off
	s_mov_b32 s2, -1
	s_mov_b32 s3, 0
	s_branch .LBB425_422
.LBB425_421:
	s_mov_b32 s3, -1
                                        ; implicit-def: $vgpr3
.LBB425_422:
	s_mov_b32 s22, 0
.LBB425_423:
	s_delay_alu instid0(SALU_CYCLE_1)
	s_and_b32 vcc_lo, exec_lo, s22
	s_cbranch_vccz .LBB425_439
; %bb.424:
	v_cmp_gt_i16_e32 vcc_lo, 27, v6
	s_cbranch_vccnz .LBB425_427
; %bb.425:
	v_cmp_lt_i16_e32 vcc_lo, 27, v6
	s_cbranch_vccz .LBB425_428
; %bb.426:
	global_load_b32 v3, v[1:2], off
	s_mov_b32 s2, 0
	s_branch .LBB425_429
.LBB425_427:
	s_mov_b32 s2, -1
                                        ; implicit-def: $vgpr3
	s_branch .LBB425_432
.LBB425_428:
	s_mov_b32 s2, -1
                                        ; implicit-def: $vgpr3
.LBB425_429:
	s_delay_alu instid0(SALU_CYCLE_1)
	s_and_not1_b32 vcc_lo, exec_lo, s2
	s_cbranch_vccnz .LBB425_431
; %bb.430:
	global_load_u16 v3, v[1:2], off
.LBB425_431:
	s_mov_b32 s2, 0
.LBB425_432:
	s_delay_alu instid0(SALU_CYCLE_1)
	s_and_not1_b32 vcc_lo, exec_lo, s2
	s_cbranch_vccnz .LBB425_438
; %bb.433:
	global_load_u8 v4, v[1:2], off
	s_mov_b32 s22, 0
	s_mov_b32 s2, exec_lo
                                        ; implicit-def: $sgpr23
	s_waitcnt vmcnt(0)
	v_cmpx_lt_i16_e32 0x7f, v4
	s_xor_b32 s2, exec_lo, s2
	s_cbranch_execz .LBB425_450
; %bb.434:
	v_cmp_ne_u16_e32 vcc_lo, 0x80, v4
	s_mov_b32 s23, 0
	s_and_b32 s22, vcc_lo, exec_lo
	s_or_saveexec_b32 s2, s2
	v_mov_b32_e32 v3, s23
	s_xor_b32 exec_lo, exec_lo, s2
	s_cbranch_execnz .LBB425_451
.LBB425_435:
	s_or_b32 exec_lo, exec_lo, s2
	s_and_saveexec_b32 s2, s22
	s_cbranch_execz .LBB425_437
.LBB425_436:
	v_and_b32_e32 v3, 0xffff, v4
	s_delay_alu instid0(VALU_DEP_1) | instskip(NEXT) | instid1(VALU_DEP_1)
	v_and_b32_e32 v7, 7, v3
	v_clz_i32_u32_e32 v8, v7
	s_delay_alu instid0(VALU_DEP_1) | instskip(NEXT) | instid1(VALU_DEP_1)
	v_min_u32_e32 v8, 32, v8
	v_subrev_nc_u32_e32 v9, 28, v8
	v_sub_nc_u32_e32 v8, 29, v8
	s_delay_alu instid0(VALU_DEP_2) | instskip(SKIP_1) | instid1(VALU_DEP_2)
	v_lshlrev_b32_e32 v9, v9, v3
	v_bfe_u32 v3, v3, 3, 4
	v_and_b32_e32 v9, 7, v9
	s_delay_alu instid0(VALU_DEP_2) | instskip(NEXT) | instid1(VALU_DEP_2)
	v_cmp_eq_u32_e32 vcc_lo, 0, v3
	v_dual_cndmask_b32 v7, v7, v9 :: v_dual_lshlrev_b32 v4, 24, v4
	v_cndmask_b32_e32 v3, v3, v8, vcc_lo
	s_delay_alu instid0(VALU_DEP_2) | instskip(NEXT) | instid1(VALU_DEP_3)
	v_and_b32_e32 v4, 0x80000000, v4
	v_lshlrev_b32_e32 v7, 20, v7
	s_delay_alu instid0(VALU_DEP_3) | instskip(NEXT) | instid1(VALU_DEP_1)
	v_lshl_add_u32 v3, v3, 23, 0x3b800000
	v_or3_b32 v3, v4, v3, v7
	s_delay_alu instid0(VALU_DEP_1) | instskip(NEXT) | instid1(VALU_DEP_1)
	v_trunc_f32_e32 v3, v3
	v_mul_f32_e64 v4, 0x2f800000, |v3|
	s_delay_alu instid0(VALU_DEP_1) | instskip(NEXT) | instid1(VALU_DEP_1)
	v_floor_f32_e32 v4, v4
	v_fma_f32 v4, 0xcf800000, v4, |v3|
	v_ashrrev_i32_e32 v3, 31, v3
	s_delay_alu instid0(VALU_DEP_2) | instskip(NEXT) | instid1(VALU_DEP_1)
	v_cvt_u32_f32_e32 v4, v4
	v_xor_b32_e32 v4, v4, v3
	s_delay_alu instid0(VALU_DEP_1)
	v_sub_nc_u32_e32 v3, v4, v3
.LBB425_437:
	s_or_b32 exec_lo, exec_lo, s2
.LBB425_438:
	s_mov_b32 s2, -1
.LBB425_439:
	s_mov_b32 s22, 0
.LBB425_440:
	s_delay_alu instid0(SALU_CYCLE_1)
	s_and_b32 vcc_lo, exec_lo, s22
	s_cbranch_vccz .LBB425_473
; %bb.441:
	v_cmp_lt_i16_e32 vcc_lo, 22, v6
	s_cbranch_vccz .LBB425_449
; %bb.442:
	v_cmp_gt_i16_e32 vcc_lo, 24, v6
	s_cbranch_vccnz .LBB425_452
; %bb.443:
	v_cmp_lt_i16_e32 vcc_lo, 24, v6
	s_cbranch_vccz .LBB425_453
; %bb.444:
	global_load_u8 v4, v[1:2], off
	s_mov_b32 s22, 0
	s_mov_b32 s2, exec_lo
                                        ; implicit-def: $sgpr23
	s_waitcnt vmcnt(0)
	v_cmpx_lt_i16_e32 0x7f, v4
	s_xor_b32 s2, exec_lo, s2
	s_cbranch_execz .LBB425_465
; %bb.445:
	v_cmp_ne_u16_e32 vcc_lo, 0x80, v4
	s_mov_b32 s23, 0
	s_and_b32 s22, vcc_lo, exec_lo
	s_or_saveexec_b32 s2, s2
	v_mov_b32_e32 v3, s23
	s_xor_b32 exec_lo, exec_lo, s2
	s_cbranch_execnz .LBB425_466
.LBB425_446:
	s_or_b32 exec_lo, exec_lo, s2
	s_and_saveexec_b32 s2, s22
	s_cbranch_execz .LBB425_448
.LBB425_447:
	v_and_b32_e32 v3, 0xffff, v4
	s_delay_alu instid0(VALU_DEP_1) | instskip(NEXT) | instid1(VALU_DEP_1)
	v_and_b32_e32 v7, 3, v3
	v_clz_i32_u32_e32 v8, v7
	s_delay_alu instid0(VALU_DEP_1) | instskip(NEXT) | instid1(VALU_DEP_1)
	v_min_u32_e32 v8, 32, v8
	v_subrev_nc_u32_e32 v9, 29, v8
	v_sub_nc_u32_e32 v8, 30, v8
	s_delay_alu instid0(VALU_DEP_2) | instskip(SKIP_1) | instid1(VALU_DEP_2)
	v_lshlrev_b32_e32 v9, v9, v3
	v_bfe_u32 v3, v3, 2, 5
	v_and_b32_e32 v9, 3, v9
	s_delay_alu instid0(VALU_DEP_2) | instskip(NEXT) | instid1(VALU_DEP_2)
	v_cmp_eq_u32_e32 vcc_lo, 0, v3
	v_dual_cndmask_b32 v7, v7, v9 :: v_dual_lshlrev_b32 v4, 24, v4
	v_cndmask_b32_e32 v3, v3, v8, vcc_lo
	s_delay_alu instid0(VALU_DEP_2) | instskip(NEXT) | instid1(VALU_DEP_3)
	v_and_b32_e32 v4, 0x80000000, v4
	v_lshlrev_b32_e32 v7, 21, v7
	s_delay_alu instid0(VALU_DEP_3) | instskip(NEXT) | instid1(VALU_DEP_1)
	v_lshl_add_u32 v3, v3, 23, 0x37800000
	v_or3_b32 v3, v4, v3, v7
	s_delay_alu instid0(VALU_DEP_1) | instskip(NEXT) | instid1(VALU_DEP_1)
	v_trunc_f32_e32 v3, v3
	v_mul_f32_e64 v4, 0x2f800000, |v3|
	s_delay_alu instid0(VALU_DEP_1) | instskip(NEXT) | instid1(VALU_DEP_1)
	v_floor_f32_e32 v4, v4
	v_fma_f32 v4, 0xcf800000, v4, |v3|
	v_ashrrev_i32_e32 v3, 31, v3
	s_delay_alu instid0(VALU_DEP_2) | instskip(NEXT) | instid1(VALU_DEP_1)
	v_cvt_u32_f32_e32 v4, v4
	v_xor_b32_e32 v4, v4, v3
	s_delay_alu instid0(VALU_DEP_1)
	v_sub_nc_u32_e32 v3, v4, v3
.LBB425_448:
	s_or_b32 exec_lo, exec_lo, s2
	s_mov_b32 s2, 0
	s_branch .LBB425_454
.LBB425_449:
	s_mov_b32 s22, -1
                                        ; implicit-def: $vgpr3
	s_branch .LBB425_460
.LBB425_450:
	s_or_saveexec_b32 s2, s2
	v_mov_b32_e32 v3, s23
	s_xor_b32 exec_lo, exec_lo, s2
	s_cbranch_execz .LBB425_435
.LBB425_451:
	v_cmp_ne_u16_e32 vcc_lo, 0, v4
	v_mov_b32_e32 v3, 0
	s_and_not1_b32 s22, s22, exec_lo
	s_and_b32 s23, vcc_lo, exec_lo
	s_delay_alu instid0(SALU_CYCLE_1)
	s_or_b32 s22, s22, s23
	s_or_b32 exec_lo, exec_lo, s2
	s_and_saveexec_b32 s2, s22
	s_cbranch_execnz .LBB425_436
	s_branch .LBB425_437
.LBB425_452:
	s_mov_b32 s2, -1
                                        ; implicit-def: $vgpr3
	s_branch .LBB425_457
.LBB425_453:
	s_mov_b32 s2, -1
                                        ; implicit-def: $vgpr3
.LBB425_454:
	s_delay_alu instid0(SALU_CYCLE_1)
	s_and_b32 vcc_lo, exec_lo, s2
	s_cbranch_vccz .LBB425_456
; %bb.455:
	global_load_u8 v3, v[1:2], off
	s_waitcnt vmcnt(0)
	v_lshlrev_b32_e32 v3, 24, v3
	s_delay_alu instid0(VALU_DEP_1) | instskip(NEXT) | instid1(VALU_DEP_1)
	v_and_b32_e32 v4, 0x7f000000, v3
	v_clz_i32_u32_e32 v7, v4
	v_cmp_ne_u32_e32 vcc_lo, 0, v4
	v_add_nc_u32_e32 v9, 0x1000000, v4
	s_delay_alu instid0(VALU_DEP_3) | instskip(NEXT) | instid1(VALU_DEP_1)
	v_min_u32_e32 v7, 32, v7
	v_sub_nc_u32_e64 v7, v7, 4 clamp
	s_delay_alu instid0(VALU_DEP_1) | instskip(SKIP_1) | instid1(VALU_DEP_2)
	v_lshlrev_b32_e32 v8, v7, v4
	v_lshlrev_b32_e32 v7, 23, v7
	v_lshrrev_b32_e32 v8, 4, v8
	s_delay_alu instid0(VALU_DEP_1) | instskip(SKIP_1) | instid1(VALU_DEP_2)
	v_sub_nc_u32_e32 v7, v8, v7
	v_ashrrev_i32_e32 v8, 8, v9
	v_add_nc_u32_e32 v7, 0x3c000000, v7
	s_delay_alu instid0(VALU_DEP_1) | instskip(NEXT) | instid1(VALU_DEP_1)
	v_and_or_b32 v7, 0x7f800000, v8, v7
	v_cndmask_b32_e32 v4, 0, v7, vcc_lo
	s_delay_alu instid0(VALU_DEP_1) | instskip(NEXT) | instid1(VALU_DEP_1)
	v_and_or_b32 v3, 0x80000000, v3, v4
	v_trunc_f32_e32 v3, v3
	s_delay_alu instid0(VALU_DEP_1) | instskip(NEXT) | instid1(VALU_DEP_1)
	v_mul_f32_e64 v4, 0x2f800000, |v3|
	v_floor_f32_e32 v4, v4
	s_delay_alu instid0(VALU_DEP_1) | instskip(SKIP_1) | instid1(VALU_DEP_2)
	v_fma_f32 v4, 0xcf800000, v4, |v3|
	v_ashrrev_i32_e32 v3, 31, v3
	v_cvt_u32_f32_e32 v4, v4
	s_delay_alu instid0(VALU_DEP_1) | instskip(NEXT) | instid1(VALU_DEP_1)
	v_xor_b32_e32 v4, v4, v3
	v_sub_nc_u32_e32 v3, v4, v3
.LBB425_456:
	s_mov_b32 s2, 0
.LBB425_457:
	s_delay_alu instid0(SALU_CYCLE_1)
	s_and_not1_b32 vcc_lo, exec_lo, s2
	s_cbranch_vccnz .LBB425_459
; %bb.458:
	global_load_u8 v3, v[1:2], off
	s_waitcnt vmcnt(0)
	v_lshlrev_b32_e32 v4, 25, v3
	v_lshlrev_b16 v3, 8, v3
	s_delay_alu instid0(VALU_DEP_2) | instskip(NEXT) | instid1(VALU_DEP_2)
	v_lshrrev_b32_e32 v7, 4, v4
	v_and_or_b32 v8, 0x7f00, v3, 0.5
	v_cmp_gt_u32_e32 vcc_lo, 0x8000000, v4
	v_bfe_i32 v3, v3, 0, 16
	s_delay_alu instid0(VALU_DEP_4) | instskip(NEXT) | instid1(VALU_DEP_1)
	v_or_b32_e32 v7, 0x70000000, v7
	v_dual_add_f32 v8, -0.5, v8 :: v_dual_mul_f32 v7, 0x7800000, v7
	s_delay_alu instid0(VALU_DEP_1) | instskip(NEXT) | instid1(VALU_DEP_1)
	v_cndmask_b32_e32 v4, v7, v8, vcc_lo
	v_and_or_b32 v3, 0x80000000, v3, v4
	s_delay_alu instid0(VALU_DEP_1) | instskip(NEXT) | instid1(VALU_DEP_1)
	v_trunc_f32_e32 v3, v3
	v_mul_f32_e64 v4, 0x2f800000, |v3|
	s_delay_alu instid0(VALU_DEP_1) | instskip(NEXT) | instid1(VALU_DEP_1)
	v_floor_f32_e32 v4, v4
	v_fma_f32 v4, 0xcf800000, v4, |v3|
	v_ashrrev_i32_e32 v3, 31, v3
	s_delay_alu instid0(VALU_DEP_2) | instskip(NEXT) | instid1(VALU_DEP_1)
	v_cvt_u32_f32_e32 v4, v4
	v_xor_b32_e32 v4, v4, v3
	s_delay_alu instid0(VALU_DEP_1)
	v_sub_nc_u32_e32 v3, v4, v3
.LBB425_459:
	s_mov_b32 s22, 0
	s_mov_b32 s2, -1
.LBB425_460:
	s_and_not1_b32 vcc_lo, exec_lo, s22
	s_cbranch_vccnz .LBB425_473
; %bb.461:
	v_cmp_lt_i16_e32 vcc_lo, 14, v6
	s_cbranch_vccz .LBB425_464
; %bb.462:
	v_cmp_eq_u16_e32 vcc_lo, 15, v6
	s_cbranch_vccz .LBB425_467
; %bb.463:
	global_load_u16 v3, v[1:2], off
	s_mov_b32 s2, -1
	s_mov_b32 s3, 0
	s_waitcnt vmcnt(0)
	v_lshlrev_b32_e32 v3, 16, v3
	s_delay_alu instid0(VALU_DEP_1) | instskip(NEXT) | instid1(VALU_DEP_1)
	v_trunc_f32_e32 v3, v3
	v_mul_f32_e64 v4, 0x2f800000, |v3|
	s_delay_alu instid0(VALU_DEP_1) | instskip(NEXT) | instid1(VALU_DEP_1)
	v_floor_f32_e32 v4, v4
	v_fma_f32 v4, 0xcf800000, v4, |v3|
	v_ashrrev_i32_e32 v3, 31, v3
	s_delay_alu instid0(VALU_DEP_2) | instskip(NEXT) | instid1(VALU_DEP_1)
	v_cvt_u32_f32_e32 v4, v4
	v_xor_b32_e32 v4, v4, v3
	s_delay_alu instid0(VALU_DEP_1)
	v_sub_nc_u32_e32 v3, v4, v3
	s_branch .LBB425_468
.LBB425_464:
	s_mov_b32 s22, -1
                                        ; implicit-def: $vgpr3
	s_branch .LBB425_469
.LBB425_465:
	s_or_saveexec_b32 s2, s2
	v_mov_b32_e32 v3, s23
	s_xor_b32 exec_lo, exec_lo, s2
	s_cbranch_execz .LBB425_446
.LBB425_466:
	v_cmp_ne_u16_e32 vcc_lo, 0, v4
	v_mov_b32_e32 v3, 0
	s_and_not1_b32 s22, s22, exec_lo
	s_and_b32 s23, vcc_lo, exec_lo
	s_delay_alu instid0(SALU_CYCLE_1)
	s_or_b32 s22, s22, s23
	s_or_b32 exec_lo, exec_lo, s2
	s_and_saveexec_b32 s2, s22
	s_cbranch_execnz .LBB425_447
	s_branch .LBB425_448
.LBB425_467:
	s_mov_b32 s3, -1
                                        ; implicit-def: $vgpr3
.LBB425_468:
	s_mov_b32 s22, 0
.LBB425_469:
	s_delay_alu instid0(SALU_CYCLE_1)
	s_and_b32 vcc_lo, exec_lo, s22
	s_cbranch_vccz .LBB425_473
; %bb.470:
	v_cmp_eq_u16_e32 vcc_lo, 11, v6
	s_cbranch_vccz .LBB425_472
; %bb.471:
	global_load_u8 v3, v[1:2], off
	s_mov_b32 s3, 0
	s_mov_b32 s2, -1
	s_waitcnt vmcnt(0)
	v_cmp_ne_u16_e32 vcc_lo, 0, v3
	v_cndmask_b32_e64 v3, 0, 1, vcc_lo
	s_branch .LBB425_473
.LBB425_472:
	s_mov_b32 s3, -1
                                        ; implicit-def: $vgpr3
.LBB425_473:
	s_branch .LBB425_282
.LBB425_474:
	v_cmp_gt_i16_e32 vcc_lo, 5, v6
	s_cbranch_vccnz .LBB425_479
; %bb.475:
	v_cmp_gt_i16_e32 vcc_lo, 8, v6
	s_cbranch_vccnz .LBB425_480
; %bb.476:
	;; [unrolled: 3-line block ×3, first 2 shown]
	v_cmp_lt_i16_e32 vcc_lo, 9, v6
	s_cbranch_vccz .LBB425_482
; %bb.478:
	global_load_b64 v[3:4], v[1:2], off
	s_mov_b32 s2, 0
	s_waitcnt vmcnt(0)
	v_trunc_f64_e32 v[3:4], v[3:4]
	s_delay_alu instid0(VALU_DEP_1) | instskip(NEXT) | instid1(VALU_DEP_1)
	v_ldexp_f64 v[7:8], v[3:4], 0xffffffe0
	v_floor_f64_e32 v[7:8], v[7:8]
	s_delay_alu instid0(VALU_DEP_1) | instskip(NEXT) | instid1(VALU_DEP_1)
	v_fma_f64 v[3:4], 0xc1f00000, v[7:8], v[3:4]
	v_cvt_u32_f64_e32 v3, v[3:4]
	s_branch .LBB425_483
.LBB425_479:
	s_mov_b32 s2, -1
                                        ; implicit-def: $vgpr3
	s_branch .LBB425_501
.LBB425_480:
	s_mov_b32 s2, -1
                                        ; implicit-def: $vgpr3
	s_branch .LBB425_489
.LBB425_481:
	s_mov_b32 s2, -1
                                        ; implicit-def: $vgpr3
	s_branch .LBB425_486
.LBB425_482:
	s_mov_b32 s2, -1
                                        ; implicit-def: $vgpr3
.LBB425_483:
	s_delay_alu instid0(SALU_CYCLE_1)
	s_and_not1_b32 vcc_lo, exec_lo, s2
	s_cbranch_vccnz .LBB425_485
; %bb.484:
	global_load_b32 v3, v[1:2], off
	s_waitcnt vmcnt(0)
	v_trunc_f32_e32 v3, v3
	s_delay_alu instid0(VALU_DEP_1) | instskip(NEXT) | instid1(VALU_DEP_1)
	v_mul_f32_e64 v4, 0x2f800000, |v3|
	v_floor_f32_e32 v4, v4
	s_delay_alu instid0(VALU_DEP_1) | instskip(SKIP_1) | instid1(VALU_DEP_2)
	v_fma_f32 v4, 0xcf800000, v4, |v3|
	v_ashrrev_i32_e32 v3, 31, v3
	v_cvt_u32_f32_e32 v4, v4
	s_delay_alu instid0(VALU_DEP_1) | instskip(NEXT) | instid1(VALU_DEP_1)
	v_xor_b32_e32 v4, v4, v3
	v_sub_nc_u32_e32 v3, v4, v3
.LBB425_485:
	s_mov_b32 s2, 0
.LBB425_486:
	s_delay_alu instid0(SALU_CYCLE_1)
	s_and_not1_b32 vcc_lo, exec_lo, s2
	s_cbranch_vccnz .LBB425_488
; %bb.487:
	global_load_b32 v3, v[1:2], off
	s_waitcnt vmcnt(0)
	v_cvt_f32_f16_e32 v3, v3
	s_delay_alu instid0(VALU_DEP_1)
	v_cvt_i32_f32_e32 v3, v3
.LBB425_488:
	s_mov_b32 s2, 0
.LBB425_489:
	s_delay_alu instid0(SALU_CYCLE_1)
	s_and_not1_b32 vcc_lo, exec_lo, s2
	s_cbranch_vccnz .LBB425_500
; %bb.490:
	v_cmp_gt_i16_e32 vcc_lo, 6, v6
	s_cbranch_vccnz .LBB425_493
; %bb.491:
	v_cmp_lt_i16_e32 vcc_lo, 6, v6
	s_cbranch_vccz .LBB425_494
; %bb.492:
	global_load_b64 v[3:4], v[1:2], off
	s_mov_b32 s2, 0
	s_waitcnt vmcnt(0)
	v_trunc_f64_e32 v[3:4], v[3:4]
	s_delay_alu instid0(VALU_DEP_1) | instskip(NEXT) | instid1(VALU_DEP_1)
	v_ldexp_f64 v[7:8], v[3:4], 0xffffffe0
	v_floor_f64_e32 v[7:8], v[7:8]
	s_delay_alu instid0(VALU_DEP_1) | instskip(NEXT) | instid1(VALU_DEP_1)
	v_fma_f64 v[3:4], 0xc1f00000, v[7:8], v[3:4]
	v_cvt_u32_f64_e32 v3, v[3:4]
	s_branch .LBB425_495
.LBB425_493:
	s_mov_b32 s2, -1
                                        ; implicit-def: $vgpr3
	s_branch .LBB425_498
.LBB425_494:
	s_mov_b32 s2, -1
                                        ; implicit-def: $vgpr3
.LBB425_495:
	s_delay_alu instid0(SALU_CYCLE_1)
	s_and_not1_b32 vcc_lo, exec_lo, s2
	s_cbranch_vccnz .LBB425_497
; %bb.496:
	global_load_b32 v3, v[1:2], off
	s_waitcnt vmcnt(0)
	v_trunc_f32_e32 v3, v3
	s_delay_alu instid0(VALU_DEP_1) | instskip(NEXT) | instid1(VALU_DEP_1)
	v_mul_f32_e64 v4, 0x2f800000, |v3|
	v_floor_f32_e32 v4, v4
	s_delay_alu instid0(VALU_DEP_1) | instskip(SKIP_1) | instid1(VALU_DEP_2)
	v_fma_f32 v4, 0xcf800000, v4, |v3|
	v_ashrrev_i32_e32 v3, 31, v3
	v_cvt_u32_f32_e32 v4, v4
	s_delay_alu instid0(VALU_DEP_1) | instskip(NEXT) | instid1(VALU_DEP_1)
	v_xor_b32_e32 v4, v4, v3
	v_sub_nc_u32_e32 v3, v4, v3
.LBB425_497:
	s_mov_b32 s2, 0
.LBB425_498:
	s_delay_alu instid0(SALU_CYCLE_1)
	s_and_not1_b32 vcc_lo, exec_lo, s2
	s_cbranch_vccnz .LBB425_500
; %bb.499:
	global_load_u16 v3, v[1:2], off
	s_waitcnt vmcnt(0)
	v_cvt_f32_f16_e32 v3, v3
	s_delay_alu instid0(VALU_DEP_1)
	v_cvt_i32_f32_e32 v3, v3
.LBB425_500:
	s_mov_b32 s2, 0
.LBB425_501:
	s_delay_alu instid0(SALU_CYCLE_1)
	s_and_not1_b32 vcc_lo, exec_lo, s2
	s_cbranch_vccnz .LBB425_521
; %bb.502:
	v_cmp_gt_i16_e32 vcc_lo, 2, v6
	s_cbranch_vccnz .LBB425_506
; %bb.503:
	v_cmp_gt_i16_e32 vcc_lo, 3, v6
	s_cbranch_vccnz .LBB425_507
; %bb.504:
	v_cmp_lt_i16_e32 vcc_lo, 3, v6
	s_cbranch_vccz .LBB425_508
; %bb.505:
	global_load_b64 v[3:4], v[1:2], off
	s_mov_b32 s2, 0
	s_branch .LBB425_509
.LBB425_506:
	s_mov_b32 s2, -1
                                        ; implicit-def: $vgpr3
	s_branch .LBB425_515
.LBB425_507:
	s_mov_b32 s2, -1
                                        ; implicit-def: $vgpr3
	s_branch .LBB425_512
.LBB425_508:
	s_mov_b32 s2, -1
                                        ; implicit-def: $vgpr3
.LBB425_509:
	s_delay_alu instid0(SALU_CYCLE_1)
	s_and_not1_b32 vcc_lo, exec_lo, s2
	s_cbranch_vccnz .LBB425_511
; %bb.510:
	global_load_b32 v3, v[1:2], off
.LBB425_511:
	s_mov_b32 s2, 0
.LBB425_512:
	s_delay_alu instid0(SALU_CYCLE_1)
	s_and_not1_b32 vcc_lo, exec_lo, s2
	s_cbranch_vccnz .LBB425_514
; %bb.513:
	global_load_u16 v3, v[1:2], off
.LBB425_514:
	s_mov_b32 s2, 0
.LBB425_515:
	s_delay_alu instid0(SALU_CYCLE_1)
	s_and_not1_b32 vcc_lo, exec_lo, s2
	s_cbranch_vccnz .LBB425_521
; %bb.516:
	v_cmp_lt_i16_e32 vcc_lo, 0, v6
	s_mov_b32 s2, 0
	s_cbranch_vccz .LBB425_518
; %bb.517:
	global_load_u8 v3, v[1:2], off
	s_branch .LBB425_519
.LBB425_518:
	s_mov_b32 s2, -1
                                        ; implicit-def: $vgpr3
.LBB425_519:
	s_delay_alu instid0(SALU_CYCLE_1)
	s_and_not1_b32 vcc_lo, exec_lo, s2
	s_cbranch_vccnz .LBB425_521
; %bb.520:
	global_load_u8 v3, v[1:2], off
.LBB425_521:
	s_branch .LBB425_283
.LBB425_522:
	s_mov_b32 s22, 0
	s_mov_b32 s2, s37
.LBB425_523:
                                        ; implicit-def: $vgpr5
.LBB425_524:
	s_and_not1_b32 s23, s37, exec_lo
	s_and_b32 s2, s2, exec_lo
	s_and_not1_b32 s40, s38, exec_lo
	s_and_b32 s3, s3, exec_lo
	s_or_b32 s41, s23, s2
	s_or_b32 s40, s40, s3
	s_or_not1_b32 s2, s22, exec_lo
.LBB425_525:
	s_or_b32 exec_lo, exec_lo, s42
	s_mov_b32 s3, 0
	s_mov_b32 s23, 0
	;; [unrolled: 1-line block ×3, first 2 shown]
                                        ; implicit-def: $vgpr6
                                        ; implicit-def: $vgpr1_vgpr2
                                        ; implicit-def: $vgpr0
                                        ; implicit-def: $vgpr3
	s_and_saveexec_b32 s42, s2
	s_cbranch_execz .LBB425_889
; %bb.526:
	s_mov_b32 s45, -1
	s_mov_b32 s22, s40
	s_mov_b32 s23, s41
	s_mov_b32 s43, exec_lo
	v_cmpx_gt_i32_e64 s34, v5
	s_cbranch_execz .LBB425_794
; %bb.527:
	s_and_not1_b32 vcc_lo, exec_lo, s27
	s_cbranch_vccnz .LBB425_532
; %bb.528:
	v_dual_mov_b32 v0, 0 :: v_dual_mov_b32 v1, 0
	s_and_not1_b32 vcc_lo, exec_lo, s36
	s_mov_b32 s44, 0
	s_cbranch_vccnz .LBB425_537
; %bb.529:
	v_mov_b32_e32 v0, 0
	s_add_i32 s46, s35, 1
	s_cmp_eq_u32 s25, 2
	s_mov_b32 s45, 0
	s_cbranch_scc1 .LBB425_533
; %bb.530:
	v_dual_mov_b32 v1, 0 :: v_dual_mov_b32 v0, 0
	v_mov_b32_e32 v2, v5
	s_and_b32 s45, s46, 28
	s_mov_b32 s47, 0
	s_mov_b64 s[2:3], s[20:21]
	s_mov_b64 s[22:23], s[16:17]
.LBB425_531:                            ; =>This Inner Loop Header: Depth=1
	s_clause 0x1
	s_load_b256 s[48:55], s[22:23], 0x4
	s_load_b128 s[64:67], s[22:23], 0x24
	s_load_b256 s[56:63], s[2:3], 0x0
	s_add_u32 s22, s22, 48
	s_addc_u32 s23, s23, 0
	s_add_i32 s47, s47, 4
	s_add_u32 s2, s2, 32
	s_addc_u32 s3, s3, 0
	s_cmp_eq_u32 s45, s47
	s_waitcnt vmcnt(0) lgkmcnt(0)
	v_mul_hi_u32 v3, s49, v2
	s_delay_alu instid0(VALU_DEP_1) | instskip(NEXT) | instid1(VALU_DEP_1)
	v_add_nc_u32_e32 v3, v2, v3
	v_lshrrev_b32_e32 v3, s50, v3
	s_delay_alu instid0(VALU_DEP_1) | instskip(SKIP_1) | instid1(VALU_DEP_2)
	v_mul_hi_u32 v4, s52, v3
	v_mul_lo_u32 v7, v3, s48
	v_add_nc_u32_e32 v4, v3, v4
	s_delay_alu instid0(VALU_DEP_2) | instskip(NEXT) | instid1(VALU_DEP_2)
	v_sub_nc_u32_e32 v2, v2, v7
	v_lshrrev_b32_e32 v4, s53, v4
	s_delay_alu instid0(VALU_DEP_2) | instskip(SKIP_1) | instid1(VALU_DEP_3)
	v_mul_lo_u32 v7, v2, s56
	v_mul_lo_u32 v9, v2, s57
	v_mul_hi_u32 v6, s55, v4
	s_delay_alu instid0(VALU_DEP_1) | instskip(NEXT) | instid1(VALU_DEP_1)
	v_add_nc_u32_e32 v6, v4, v6
	v_lshrrev_b32_e32 v6, s64, v6
	s_delay_alu instid0(VALU_DEP_1) | instskip(SKIP_1) | instid1(VALU_DEP_2)
	v_mul_hi_u32 v8, s66, v6
	v_mul_lo_u32 v10, v6, s54
	v_add_nc_u32_e32 v2, v6, v8
	v_mul_lo_u32 v8, v4, s51
	s_delay_alu instid0(VALU_DEP_3) | instskip(NEXT) | instid1(VALU_DEP_3)
	v_sub_nc_u32_e32 v4, v4, v10
	v_lshrrev_b32_e32 v2, s67, v2
	s_delay_alu instid0(VALU_DEP_2) | instskip(SKIP_2) | instid1(VALU_DEP_4)
	v_mul_lo_u32 v10, v4, s60
	v_mul_lo_u32 v4, v4, s61
	v_sub_nc_u32_e32 v3, v3, v8
	v_mul_lo_u32 v11, v2, s65
	s_delay_alu instid0(VALU_DEP_2) | instskip(SKIP_1) | instid1(VALU_DEP_3)
	v_mul_lo_u32 v8, v3, s58
	v_mul_lo_u32 v3, v3, s59
	v_sub_nc_u32_e32 v6, v6, v11
	s_delay_alu instid0(VALU_DEP_3) | instskip(NEXT) | instid1(VALU_DEP_2)
	v_add3_u32 v0, v7, v0, v8
	v_mul_lo_u32 v11, v6, s62
	v_mul_lo_u32 v6, v6, s63
	v_add3_u32 v1, v9, v1, v3
	s_delay_alu instid0(VALU_DEP_3) | instskip(NEXT) | instid1(VALU_DEP_2)
	v_add3_u32 v0, v10, v0, v11
	v_add3_u32 v1, v4, v1, v6
	s_cbranch_scc0 .LBB425_531
	s_branch .LBB425_534
.LBB425_532:
	s_mov_b32 s44, -1
                                        ; implicit-def: $vgpr0
                                        ; implicit-def: $vgpr1
	s_branch .LBB425_537
.LBB425_533:
	v_dual_mov_b32 v2, v5 :: v_dual_mov_b32 v1, 0
.LBB425_534:
	s_and_b32 s46, s46, 3
	s_delay_alu instid0(SALU_CYCLE_1)
	s_cmp_eq_u32 s46, 0
	s_cbranch_scc1 .LBB425_537
; %bb.535:
	s_lshl_b32 s2, s45, 3
	s_mul_i32 s22, s45, 12
	s_add_u32 s2, s2, s16
	s_addc_u32 s3, s17, 0
	s_add_u32 s2, s2, 0xc4
	s_addc_u32 s3, s3, 0
	;; [unrolled: 2-line block ×3, first 2 shown]
	.p2align	6
.LBB425_536:                            ; =>This Inner Loop Header: Depth=1
	s_clause 0x1
	s_load_b64 s[48:49], s[22:23], 0x4
	s_load_b32 s45, s[22:23], 0xc
	s_load_b64 s[50:51], s[2:3], 0x0
	s_add_u32 s22, s22, 12
	s_addc_u32 s23, s23, 0
	s_add_u32 s2, s2, 8
	s_addc_u32 s3, s3, 0
	s_add_i32 s46, s46, -1
	s_delay_alu instid0(SALU_CYCLE_1) | instskip(SKIP_2) | instid1(VALU_DEP_1)
	s_cmp_lg_u32 s46, 0
	s_waitcnt vmcnt(0) lgkmcnt(0)
	v_mul_hi_u32 v3, s49, v2
	v_add_nc_u32_e32 v3, v2, v3
	s_delay_alu instid0(VALU_DEP_1) | instskip(NEXT) | instid1(VALU_DEP_1)
	v_lshrrev_b32_e32 v8, s45, v3
	v_mul_lo_u32 v3, v8, s48
	s_delay_alu instid0(VALU_DEP_1) | instskip(NEXT) | instid1(VALU_DEP_1)
	v_sub_nc_u32_e32 v2, v2, v3
	v_mad_u64_u32 v[3:4], null, v2, s50, v[0:1]
	v_mad_u64_u32 v[6:7], null, v2, s51, v[1:2]
	v_mov_b32_e32 v2, v8
	s_delay_alu instid0(VALU_DEP_2)
	v_dual_mov_b32 v0, v3 :: v_dual_mov_b32 v1, v6
	s_cbranch_scc1 .LBB425_536
.LBB425_537:
	s_and_not1_b32 vcc_lo, exec_lo, s44
	s_cbranch_vccnz .LBB425_540
; %bb.538:
	v_mul_hi_u32 v0, s13, v5
	s_and_not1_b32 vcc_lo, exec_lo, s33
	s_delay_alu instid0(VALU_DEP_1) | instskip(NEXT) | instid1(VALU_DEP_1)
	v_add_nc_u32_e32 v0, v5, v0
	v_lshrrev_b32_e32 v2, s14, v0
	s_delay_alu instid0(VALU_DEP_1) | instskip(NEXT) | instid1(VALU_DEP_1)
	v_mul_lo_u32 v0, v2, s12
	v_sub_nc_u32_e32 v1, v5, v0
	s_delay_alu instid0(VALU_DEP_1)
	v_mul_lo_u32 v0, v1, s8
	v_mul_lo_u32 v1, v1, s9
	s_cbranch_vccnz .LBB425_540
; %bb.539:
	s_waitcnt vmcnt(0)
	v_mul_hi_u32 v3, s18, v2
	s_delay_alu instid0(VALU_DEP_1) | instskip(NEXT) | instid1(VALU_DEP_1)
	v_add_nc_u32_e32 v3, v2, v3
	v_lshrrev_b32_e32 v3, s19, v3
	s_delay_alu instid0(VALU_DEP_1) | instskip(NEXT) | instid1(VALU_DEP_1)
	v_mul_lo_u32 v3, v3, s15
	v_sub_nc_u32_e32 v6, v2, v3
	s_delay_alu instid0(VALU_DEP_1) | instskip(NEXT) | instid1(VALU_DEP_1)
	v_mad_u64_u32 v[2:3], null, v6, s10, v[0:1]
	v_mad_u64_u32 v[3:4], null, v6, s11, v[1:2]
	s_delay_alu instid0(VALU_DEP_1)
	v_dual_mov_b32 v0, v2 :: v_dual_mov_b32 v1, v3
.LBB425_540:
	v_and_b32_e64 v6, 0xff, s31
	s_delay_alu instid0(VALU_DEP_2) | instskip(NEXT) | instid1(VALU_DEP_1)
	v_add_co_u32 v1, s2, s6, v1
	v_add_co_ci_u32_e64 v2, null, s7, 0, s2
	s_delay_alu instid0(VALU_DEP_3)
	v_cmp_gt_i16_e32 vcc_lo, 11, v6
	s_mov_b32 s2, 0
	s_cbranch_vccnz .LBB425_547
; %bb.541:
	v_cmp_lt_i16_e32 vcc_lo, 25, v6
	s_cbranch_vccz .LBB425_548
; %bb.542:
	v_cmp_lt_i16_e32 vcc_lo, 28, v6
	s_cbranch_vccz .LBB425_549
	;; [unrolled: 3-line block ×4, first 2 shown]
; %bb.545:
	v_cmp_eq_u16_e32 vcc_lo, 46, v6
	s_mov_b32 s22, 0
	s_cbranch_vccz .LBB425_556
; %bb.546:
	global_load_b32 v3, v[1:2], off
	s_mov_b32 s2, -1
	s_mov_b32 s3, 0
	s_waitcnt vmcnt(0)
	v_lshlrev_b32_e32 v3, 16, v3
	s_delay_alu instid0(VALU_DEP_1) | instskip(NEXT) | instid1(VALU_DEP_1)
	v_trunc_f32_e32 v3, v3
	v_mul_f32_e64 v4, 0x2f800000, |v3|
	s_delay_alu instid0(VALU_DEP_1) | instskip(NEXT) | instid1(VALU_DEP_1)
	v_floor_f32_e32 v4, v4
	v_fma_f32 v4, 0xcf800000, v4, |v3|
	v_ashrrev_i32_e32 v3, 31, v3
	s_delay_alu instid0(VALU_DEP_2) | instskip(NEXT) | instid1(VALU_DEP_1)
	v_cvt_u32_f32_e32 v4, v4
	v_xor_b32_e32 v4, v4, v3
	s_delay_alu instid0(VALU_DEP_1)
	v_sub_nc_u32_e32 v3, v4, v3
	s_branch .LBB425_558
.LBB425_547:
	s_mov_b32 s22, -1
	s_mov_b32 s3, s40
                                        ; implicit-def: $vgpr3
	s_branch .LBB425_619
.LBB425_548:
	s_mov_b32 s22, -1
	s_mov_b32 s3, s40
                                        ; implicit-def: $vgpr3
	s_branch .LBB425_585
.LBB425_549:
	s_mov_b32 s22, -1
	s_mov_b32 s3, s40
                                        ; implicit-def: $vgpr3
	s_branch .LBB425_568
.LBB425_550:
	s_mov_b32 s22, -1
	s_mov_b32 s3, s40
                                        ; implicit-def: $vgpr3
	s_branch .LBB425_563
.LBB425_551:
	s_or_saveexec_b32 s40, s40
                                        ; implicit-def: $sgpr41
	s_delay_alu instid0(SALU_CYCLE_1)
	s_xor_b32 exec_lo, exec_lo, s40
	s_cbranch_execz .LBB425_366
.LBB425_552:
	v_add_f32_e32 v4, 0x46000000, v6
	s_and_not1_b32 s23, s23, exec_lo
	s_mov_b32 s41, 0
	s_delay_alu instid0(VALU_DEP_1) | instskip(NEXT) | instid1(VALU_DEP_1)
	v_and_b32_e32 v4, 0xff, v4
	v_cmp_ne_u32_e32 vcc_lo, 0, v4
	s_and_b32 s43, vcc_lo, exec_lo
	s_delay_alu instid0(SALU_CYCLE_1)
	s_or_b32 s23, s23, s43
	s_or_b32 exec_lo, exec_lo, s40
	v_mov_b32_e32 v7, s41
	s_and_saveexec_b32 s40, s23
	s_cbranch_execnz .LBB425_367
	s_branch .LBB425_368
.LBB425_553:
	s_mov_b32 s22, -1
	s_mov_b32 s3, s40
	s_branch .LBB425_557
.LBB425_554:
	s_or_saveexec_b32 s40, s40
                                        ; implicit-def: $sgpr41
	s_delay_alu instid0(SALU_CYCLE_1)
	s_xor_b32 exec_lo, exec_lo, s40
	s_cbranch_execz .LBB425_379
.LBB425_555:
	v_add_f32_e32 v4, 0x42800000, v6
	s_and_not1_b32 s23, s23, exec_lo
	s_mov_b32 s41, 0
	s_delay_alu instid0(VALU_DEP_1) | instskip(NEXT) | instid1(VALU_DEP_1)
	v_and_b32_e32 v4, 0xff, v4
	v_cmp_ne_u32_e32 vcc_lo, 0, v4
	s_and_b32 s43, vcc_lo, exec_lo
	s_delay_alu instid0(SALU_CYCLE_1)
	s_or_b32 s23, s23, s43
	s_or_b32 exec_lo, exec_lo, s40
	v_mov_b32_e32 v7, s41
	s_and_saveexec_b32 s40, s23
	s_cbranch_execnz .LBB425_380
	s_branch .LBB425_381
.LBB425_556:
	s_mov_b32 s3, -1
.LBB425_557:
                                        ; implicit-def: $vgpr3
.LBB425_558:
	s_and_b32 vcc_lo, exec_lo, s22
	s_cbranch_vccz .LBB425_562
; %bb.559:
	v_cmp_eq_u16_e32 vcc_lo, 44, v6
	s_cbranch_vccz .LBB425_561
; %bb.560:
	global_load_u8 v3, v[1:2], off
	s_mov_b32 s3, 0
	s_mov_b32 s2, -1
	s_waitcnt vmcnt(0)
	v_lshlrev_b32_e32 v4, 23, v3
	v_cmp_ne_u32_e32 vcc_lo, 0, v3
	s_delay_alu instid0(VALU_DEP_2) | instskip(NEXT) | instid1(VALU_DEP_1)
	v_trunc_f32_e32 v4, v4
	v_mul_f32_e64 v7, 0x2f800000, |v4|
	s_delay_alu instid0(VALU_DEP_1) | instskip(NEXT) | instid1(VALU_DEP_1)
	v_floor_f32_e32 v7, v7
	v_fma_f32 v7, 0xcf800000, v7, |v4|
	v_ashrrev_i32_e32 v4, 31, v4
	s_delay_alu instid0(VALU_DEP_2) | instskip(NEXT) | instid1(VALU_DEP_1)
	v_cvt_u32_f32_e32 v7, v7
	v_xor_b32_e32 v7, v7, v4
	s_delay_alu instid0(VALU_DEP_1) | instskip(NEXT) | instid1(VALU_DEP_1)
	v_sub_nc_u32_e32 v4, v7, v4
	v_cndmask_b32_e32 v3, 0, v4, vcc_lo
	s_branch .LBB425_562
.LBB425_561:
	s_mov_b32 s3, -1
                                        ; implicit-def: $vgpr3
.LBB425_562:
	s_mov_b32 s22, 0
.LBB425_563:
	s_delay_alu instid0(SALU_CYCLE_1)
	s_and_b32 vcc_lo, exec_lo, s22
	s_cbranch_vccz .LBB425_567
; %bb.564:
	v_cmp_eq_u16_e32 vcc_lo, 29, v6
	s_cbranch_vccz .LBB425_566
; %bb.565:
	global_load_b64 v[3:4], v[1:2], off
	s_mov_b32 s2, -1
	s_mov_b32 s3, 0
	s_branch .LBB425_567
.LBB425_566:
	s_mov_b32 s3, -1
                                        ; implicit-def: $vgpr3
.LBB425_567:
	s_mov_b32 s22, 0
.LBB425_568:
	s_delay_alu instid0(SALU_CYCLE_1)
	s_and_b32 vcc_lo, exec_lo, s22
	s_cbranch_vccz .LBB425_584
; %bb.569:
	v_cmp_gt_i16_e32 vcc_lo, 27, v6
	s_cbranch_vccnz .LBB425_572
; %bb.570:
	v_cmp_lt_i16_e32 vcc_lo, 27, v6
	s_cbranch_vccz .LBB425_573
; %bb.571:
	global_load_b32 v3, v[1:2], off
	s_mov_b32 s2, 0
	s_branch .LBB425_574
.LBB425_572:
	s_mov_b32 s2, -1
                                        ; implicit-def: $vgpr3
	s_branch .LBB425_577
.LBB425_573:
	s_mov_b32 s2, -1
                                        ; implicit-def: $vgpr3
.LBB425_574:
	s_delay_alu instid0(SALU_CYCLE_1)
	s_and_not1_b32 vcc_lo, exec_lo, s2
	s_cbranch_vccnz .LBB425_576
; %bb.575:
	global_load_u16 v3, v[1:2], off
.LBB425_576:
	s_mov_b32 s2, 0
.LBB425_577:
	s_delay_alu instid0(SALU_CYCLE_1)
	s_and_not1_b32 vcc_lo, exec_lo, s2
	s_cbranch_vccnz .LBB425_583
; %bb.578:
	global_load_u8 v4, v[1:2], off
	s_mov_b32 s22, 0
	s_mov_b32 s2, exec_lo
                                        ; implicit-def: $sgpr23
	s_waitcnt vmcnt(0)
	v_cmpx_lt_i16_e32 0x7f, v4
	s_xor_b32 s2, exec_lo, s2
	s_cbranch_execz .LBB425_595
; %bb.579:
	v_cmp_ne_u16_e32 vcc_lo, 0x80, v4
	s_mov_b32 s23, 0
	s_and_b32 s22, vcc_lo, exec_lo
	s_or_saveexec_b32 s2, s2
	v_mov_b32_e32 v3, s23
	s_xor_b32 exec_lo, exec_lo, s2
	s_cbranch_execnz .LBB425_596
.LBB425_580:
	s_or_b32 exec_lo, exec_lo, s2
	s_and_saveexec_b32 s2, s22
	s_cbranch_execz .LBB425_582
.LBB425_581:
	v_and_b32_e32 v3, 0xffff, v4
	s_delay_alu instid0(VALU_DEP_1) | instskip(NEXT) | instid1(VALU_DEP_1)
	v_and_b32_e32 v7, 7, v3
	v_clz_i32_u32_e32 v8, v7
	s_delay_alu instid0(VALU_DEP_1) | instskip(NEXT) | instid1(VALU_DEP_1)
	v_min_u32_e32 v8, 32, v8
	v_subrev_nc_u32_e32 v9, 28, v8
	v_sub_nc_u32_e32 v8, 29, v8
	s_delay_alu instid0(VALU_DEP_2) | instskip(SKIP_1) | instid1(VALU_DEP_2)
	v_lshlrev_b32_e32 v9, v9, v3
	v_bfe_u32 v3, v3, 3, 4
	v_and_b32_e32 v9, 7, v9
	s_delay_alu instid0(VALU_DEP_2) | instskip(NEXT) | instid1(VALU_DEP_2)
	v_cmp_eq_u32_e32 vcc_lo, 0, v3
	v_dual_cndmask_b32 v7, v7, v9 :: v_dual_lshlrev_b32 v4, 24, v4
	v_cndmask_b32_e32 v3, v3, v8, vcc_lo
	s_delay_alu instid0(VALU_DEP_2) | instskip(NEXT) | instid1(VALU_DEP_3)
	v_and_b32_e32 v4, 0x80000000, v4
	v_lshlrev_b32_e32 v7, 20, v7
	s_delay_alu instid0(VALU_DEP_3) | instskip(NEXT) | instid1(VALU_DEP_1)
	v_lshl_add_u32 v3, v3, 23, 0x3b800000
	v_or3_b32 v3, v4, v3, v7
	s_delay_alu instid0(VALU_DEP_1) | instskip(NEXT) | instid1(VALU_DEP_1)
	v_trunc_f32_e32 v3, v3
	v_mul_f32_e64 v4, 0x2f800000, |v3|
	s_delay_alu instid0(VALU_DEP_1) | instskip(NEXT) | instid1(VALU_DEP_1)
	v_floor_f32_e32 v4, v4
	v_fma_f32 v4, 0xcf800000, v4, |v3|
	v_ashrrev_i32_e32 v3, 31, v3
	s_delay_alu instid0(VALU_DEP_2) | instskip(NEXT) | instid1(VALU_DEP_1)
	v_cvt_u32_f32_e32 v4, v4
	v_xor_b32_e32 v4, v4, v3
	s_delay_alu instid0(VALU_DEP_1)
	v_sub_nc_u32_e32 v3, v4, v3
.LBB425_582:
	s_or_b32 exec_lo, exec_lo, s2
.LBB425_583:
	s_mov_b32 s2, -1
.LBB425_584:
	s_mov_b32 s22, 0
.LBB425_585:
	s_delay_alu instid0(SALU_CYCLE_1)
	s_and_b32 vcc_lo, exec_lo, s22
	s_cbranch_vccz .LBB425_618
; %bb.586:
	v_cmp_lt_i16_e32 vcc_lo, 22, v6
	s_cbranch_vccz .LBB425_594
; %bb.587:
	v_cmp_gt_i16_e32 vcc_lo, 24, v6
	s_cbranch_vccnz .LBB425_597
; %bb.588:
	v_cmp_lt_i16_e32 vcc_lo, 24, v6
	s_cbranch_vccz .LBB425_598
; %bb.589:
	global_load_u8 v4, v[1:2], off
	s_mov_b32 s22, 0
	s_mov_b32 s2, exec_lo
                                        ; implicit-def: $sgpr23
	s_waitcnt vmcnt(0)
	v_cmpx_lt_i16_e32 0x7f, v4
	s_xor_b32 s2, exec_lo, s2
	s_cbranch_execz .LBB425_610
; %bb.590:
	v_cmp_ne_u16_e32 vcc_lo, 0x80, v4
	s_mov_b32 s23, 0
	s_and_b32 s22, vcc_lo, exec_lo
	s_or_saveexec_b32 s2, s2
	v_mov_b32_e32 v3, s23
	s_xor_b32 exec_lo, exec_lo, s2
	s_cbranch_execnz .LBB425_611
.LBB425_591:
	s_or_b32 exec_lo, exec_lo, s2
	s_and_saveexec_b32 s2, s22
	s_cbranch_execz .LBB425_593
.LBB425_592:
	v_and_b32_e32 v3, 0xffff, v4
	s_delay_alu instid0(VALU_DEP_1) | instskip(NEXT) | instid1(VALU_DEP_1)
	v_and_b32_e32 v7, 3, v3
	v_clz_i32_u32_e32 v8, v7
	s_delay_alu instid0(VALU_DEP_1) | instskip(NEXT) | instid1(VALU_DEP_1)
	v_min_u32_e32 v8, 32, v8
	v_subrev_nc_u32_e32 v9, 29, v8
	v_sub_nc_u32_e32 v8, 30, v8
	s_delay_alu instid0(VALU_DEP_2) | instskip(SKIP_1) | instid1(VALU_DEP_2)
	v_lshlrev_b32_e32 v9, v9, v3
	v_bfe_u32 v3, v3, 2, 5
	v_and_b32_e32 v9, 3, v9
	s_delay_alu instid0(VALU_DEP_2) | instskip(NEXT) | instid1(VALU_DEP_2)
	v_cmp_eq_u32_e32 vcc_lo, 0, v3
	v_dual_cndmask_b32 v7, v7, v9 :: v_dual_lshlrev_b32 v4, 24, v4
	v_cndmask_b32_e32 v3, v3, v8, vcc_lo
	s_delay_alu instid0(VALU_DEP_2) | instskip(NEXT) | instid1(VALU_DEP_3)
	v_and_b32_e32 v4, 0x80000000, v4
	v_lshlrev_b32_e32 v7, 21, v7
	s_delay_alu instid0(VALU_DEP_3) | instskip(NEXT) | instid1(VALU_DEP_1)
	v_lshl_add_u32 v3, v3, 23, 0x37800000
	v_or3_b32 v3, v4, v3, v7
	s_delay_alu instid0(VALU_DEP_1) | instskip(NEXT) | instid1(VALU_DEP_1)
	v_trunc_f32_e32 v3, v3
	v_mul_f32_e64 v4, 0x2f800000, |v3|
	s_delay_alu instid0(VALU_DEP_1) | instskip(NEXT) | instid1(VALU_DEP_1)
	v_floor_f32_e32 v4, v4
	v_fma_f32 v4, 0xcf800000, v4, |v3|
	v_ashrrev_i32_e32 v3, 31, v3
	s_delay_alu instid0(VALU_DEP_2) | instskip(NEXT) | instid1(VALU_DEP_1)
	v_cvt_u32_f32_e32 v4, v4
	v_xor_b32_e32 v4, v4, v3
	s_delay_alu instid0(VALU_DEP_1)
	v_sub_nc_u32_e32 v3, v4, v3
.LBB425_593:
	s_or_b32 exec_lo, exec_lo, s2
	s_mov_b32 s2, 0
	s_branch .LBB425_599
.LBB425_594:
	s_mov_b32 s22, -1
                                        ; implicit-def: $vgpr3
	s_branch .LBB425_605
.LBB425_595:
	s_or_saveexec_b32 s2, s2
	v_mov_b32_e32 v3, s23
	s_xor_b32 exec_lo, exec_lo, s2
	s_cbranch_execz .LBB425_580
.LBB425_596:
	v_cmp_ne_u16_e32 vcc_lo, 0, v4
	v_mov_b32_e32 v3, 0
	s_and_not1_b32 s22, s22, exec_lo
	s_and_b32 s23, vcc_lo, exec_lo
	s_delay_alu instid0(SALU_CYCLE_1)
	s_or_b32 s22, s22, s23
	s_or_b32 exec_lo, exec_lo, s2
	s_and_saveexec_b32 s2, s22
	s_cbranch_execnz .LBB425_581
	s_branch .LBB425_582
.LBB425_597:
	s_mov_b32 s2, -1
                                        ; implicit-def: $vgpr3
	s_branch .LBB425_602
.LBB425_598:
	s_mov_b32 s2, -1
                                        ; implicit-def: $vgpr3
.LBB425_599:
	s_delay_alu instid0(SALU_CYCLE_1)
	s_and_b32 vcc_lo, exec_lo, s2
	s_cbranch_vccz .LBB425_601
; %bb.600:
	global_load_u8 v3, v[1:2], off
	s_waitcnt vmcnt(0)
	v_lshlrev_b32_e32 v3, 24, v3
	s_delay_alu instid0(VALU_DEP_1) | instskip(NEXT) | instid1(VALU_DEP_1)
	v_and_b32_e32 v4, 0x7f000000, v3
	v_clz_i32_u32_e32 v7, v4
	v_cmp_ne_u32_e32 vcc_lo, 0, v4
	v_add_nc_u32_e32 v9, 0x1000000, v4
	s_delay_alu instid0(VALU_DEP_3) | instskip(NEXT) | instid1(VALU_DEP_1)
	v_min_u32_e32 v7, 32, v7
	v_sub_nc_u32_e64 v7, v7, 4 clamp
	s_delay_alu instid0(VALU_DEP_1) | instskip(SKIP_1) | instid1(VALU_DEP_2)
	v_lshlrev_b32_e32 v8, v7, v4
	v_lshlrev_b32_e32 v7, 23, v7
	v_lshrrev_b32_e32 v8, 4, v8
	s_delay_alu instid0(VALU_DEP_1) | instskip(SKIP_1) | instid1(VALU_DEP_2)
	v_sub_nc_u32_e32 v7, v8, v7
	v_ashrrev_i32_e32 v8, 8, v9
	v_add_nc_u32_e32 v7, 0x3c000000, v7
	s_delay_alu instid0(VALU_DEP_1) | instskip(NEXT) | instid1(VALU_DEP_1)
	v_and_or_b32 v7, 0x7f800000, v8, v7
	v_cndmask_b32_e32 v4, 0, v7, vcc_lo
	s_delay_alu instid0(VALU_DEP_1) | instskip(NEXT) | instid1(VALU_DEP_1)
	v_and_or_b32 v3, 0x80000000, v3, v4
	v_trunc_f32_e32 v3, v3
	s_delay_alu instid0(VALU_DEP_1) | instskip(NEXT) | instid1(VALU_DEP_1)
	v_mul_f32_e64 v4, 0x2f800000, |v3|
	v_floor_f32_e32 v4, v4
	s_delay_alu instid0(VALU_DEP_1) | instskip(SKIP_1) | instid1(VALU_DEP_2)
	v_fma_f32 v4, 0xcf800000, v4, |v3|
	v_ashrrev_i32_e32 v3, 31, v3
	v_cvt_u32_f32_e32 v4, v4
	s_delay_alu instid0(VALU_DEP_1) | instskip(NEXT) | instid1(VALU_DEP_1)
	v_xor_b32_e32 v4, v4, v3
	v_sub_nc_u32_e32 v3, v4, v3
.LBB425_601:
	s_mov_b32 s2, 0
.LBB425_602:
	s_delay_alu instid0(SALU_CYCLE_1)
	s_and_not1_b32 vcc_lo, exec_lo, s2
	s_cbranch_vccnz .LBB425_604
; %bb.603:
	global_load_u8 v3, v[1:2], off
	s_waitcnt vmcnt(0)
	v_lshlrev_b32_e32 v4, 25, v3
	v_lshlrev_b16 v3, 8, v3
	s_delay_alu instid0(VALU_DEP_2) | instskip(NEXT) | instid1(VALU_DEP_2)
	v_lshrrev_b32_e32 v7, 4, v4
	v_and_or_b32 v8, 0x7f00, v3, 0.5
	v_cmp_gt_u32_e32 vcc_lo, 0x8000000, v4
	v_bfe_i32 v3, v3, 0, 16
	s_delay_alu instid0(VALU_DEP_4) | instskip(NEXT) | instid1(VALU_DEP_1)
	v_or_b32_e32 v7, 0x70000000, v7
	v_dual_add_f32 v8, -0.5, v8 :: v_dual_mul_f32 v7, 0x7800000, v7
	s_delay_alu instid0(VALU_DEP_1) | instskip(NEXT) | instid1(VALU_DEP_1)
	v_cndmask_b32_e32 v4, v7, v8, vcc_lo
	v_and_or_b32 v3, 0x80000000, v3, v4
	s_delay_alu instid0(VALU_DEP_1) | instskip(NEXT) | instid1(VALU_DEP_1)
	v_trunc_f32_e32 v3, v3
	v_mul_f32_e64 v4, 0x2f800000, |v3|
	s_delay_alu instid0(VALU_DEP_1) | instskip(NEXT) | instid1(VALU_DEP_1)
	v_floor_f32_e32 v4, v4
	v_fma_f32 v4, 0xcf800000, v4, |v3|
	v_ashrrev_i32_e32 v3, 31, v3
	s_delay_alu instid0(VALU_DEP_2) | instskip(NEXT) | instid1(VALU_DEP_1)
	v_cvt_u32_f32_e32 v4, v4
	v_xor_b32_e32 v4, v4, v3
	s_delay_alu instid0(VALU_DEP_1)
	v_sub_nc_u32_e32 v3, v4, v3
.LBB425_604:
	s_mov_b32 s22, 0
	s_mov_b32 s2, -1
.LBB425_605:
	s_and_not1_b32 vcc_lo, exec_lo, s22
	s_cbranch_vccnz .LBB425_618
; %bb.606:
	v_cmp_lt_i16_e32 vcc_lo, 14, v6
	s_cbranch_vccz .LBB425_609
; %bb.607:
	v_cmp_eq_u16_e32 vcc_lo, 15, v6
	s_cbranch_vccz .LBB425_612
; %bb.608:
	global_load_u16 v3, v[1:2], off
	s_mov_b32 s2, -1
	s_mov_b32 s3, 0
	s_waitcnt vmcnt(0)
	v_lshlrev_b32_e32 v3, 16, v3
	s_delay_alu instid0(VALU_DEP_1) | instskip(NEXT) | instid1(VALU_DEP_1)
	v_trunc_f32_e32 v3, v3
	v_mul_f32_e64 v4, 0x2f800000, |v3|
	s_delay_alu instid0(VALU_DEP_1) | instskip(NEXT) | instid1(VALU_DEP_1)
	v_floor_f32_e32 v4, v4
	v_fma_f32 v4, 0xcf800000, v4, |v3|
	v_ashrrev_i32_e32 v3, 31, v3
	s_delay_alu instid0(VALU_DEP_2) | instskip(NEXT) | instid1(VALU_DEP_1)
	v_cvt_u32_f32_e32 v4, v4
	v_xor_b32_e32 v4, v4, v3
	s_delay_alu instid0(VALU_DEP_1)
	v_sub_nc_u32_e32 v3, v4, v3
	s_branch .LBB425_613
.LBB425_609:
	s_mov_b32 s22, -1
                                        ; implicit-def: $vgpr3
	s_branch .LBB425_614
.LBB425_610:
	s_or_saveexec_b32 s2, s2
	v_mov_b32_e32 v3, s23
	s_xor_b32 exec_lo, exec_lo, s2
	s_cbranch_execz .LBB425_591
.LBB425_611:
	v_cmp_ne_u16_e32 vcc_lo, 0, v4
	v_mov_b32_e32 v3, 0
	s_and_not1_b32 s22, s22, exec_lo
	s_and_b32 s23, vcc_lo, exec_lo
	s_delay_alu instid0(SALU_CYCLE_1)
	s_or_b32 s22, s22, s23
	s_or_b32 exec_lo, exec_lo, s2
	s_and_saveexec_b32 s2, s22
	s_cbranch_execnz .LBB425_592
	s_branch .LBB425_593
.LBB425_612:
	s_mov_b32 s3, -1
                                        ; implicit-def: $vgpr3
.LBB425_613:
	s_mov_b32 s22, 0
.LBB425_614:
	s_delay_alu instid0(SALU_CYCLE_1)
	s_and_b32 vcc_lo, exec_lo, s22
	s_cbranch_vccz .LBB425_618
; %bb.615:
	v_cmp_eq_u16_e32 vcc_lo, 11, v6
	s_cbranch_vccz .LBB425_617
; %bb.616:
	global_load_u8 v3, v[1:2], off
	s_mov_b32 s3, 0
	s_mov_b32 s2, -1
	s_waitcnt vmcnt(0)
	v_cmp_ne_u16_e32 vcc_lo, 0, v3
	v_cndmask_b32_e64 v3, 0, 1, vcc_lo
	s_branch .LBB425_618
.LBB425_617:
	s_mov_b32 s3, -1
                                        ; implicit-def: $vgpr3
.LBB425_618:
	s_mov_b32 s22, 0
.LBB425_619:
	s_delay_alu instid0(SALU_CYCLE_1)
	s_and_b32 vcc_lo, exec_lo, s22
	s_cbranch_vccz .LBB425_668
; %bb.620:
	v_cmp_gt_i16_e32 vcc_lo, 5, v6
	s_cbranch_vccnz .LBB425_625
; %bb.621:
	v_cmp_gt_i16_e32 vcc_lo, 8, v6
	s_cbranch_vccnz .LBB425_626
	;; [unrolled: 3-line block ×3, first 2 shown]
; %bb.623:
	v_cmp_lt_i16_e32 vcc_lo, 9, v6
	s_cbranch_vccz .LBB425_628
; %bb.624:
	global_load_b64 v[3:4], v[1:2], off
	s_mov_b32 s2, 0
	s_waitcnt vmcnt(0)
	v_trunc_f64_e32 v[3:4], v[3:4]
	s_delay_alu instid0(VALU_DEP_1) | instskip(NEXT) | instid1(VALU_DEP_1)
	v_ldexp_f64 v[7:8], v[3:4], 0xffffffe0
	v_floor_f64_e32 v[7:8], v[7:8]
	s_delay_alu instid0(VALU_DEP_1) | instskip(NEXT) | instid1(VALU_DEP_1)
	v_fma_f64 v[3:4], 0xc1f00000, v[7:8], v[3:4]
	v_cvt_u32_f64_e32 v3, v[3:4]
	s_branch .LBB425_629
.LBB425_625:
	s_mov_b32 s2, -1
                                        ; implicit-def: $vgpr3
	s_branch .LBB425_647
.LBB425_626:
	s_mov_b32 s2, -1
                                        ; implicit-def: $vgpr3
	s_branch .LBB425_635
.LBB425_627:
	s_mov_b32 s2, -1
                                        ; implicit-def: $vgpr3
	s_branch .LBB425_632
.LBB425_628:
	s_mov_b32 s2, -1
                                        ; implicit-def: $vgpr3
.LBB425_629:
	s_delay_alu instid0(SALU_CYCLE_1)
	s_and_not1_b32 vcc_lo, exec_lo, s2
	s_cbranch_vccnz .LBB425_631
; %bb.630:
	global_load_b32 v3, v[1:2], off
	s_waitcnt vmcnt(0)
	v_trunc_f32_e32 v3, v3
	s_delay_alu instid0(VALU_DEP_1) | instskip(NEXT) | instid1(VALU_DEP_1)
	v_mul_f32_e64 v4, 0x2f800000, |v3|
	v_floor_f32_e32 v4, v4
	s_delay_alu instid0(VALU_DEP_1) | instskip(SKIP_1) | instid1(VALU_DEP_2)
	v_fma_f32 v4, 0xcf800000, v4, |v3|
	v_ashrrev_i32_e32 v3, 31, v3
	v_cvt_u32_f32_e32 v4, v4
	s_delay_alu instid0(VALU_DEP_1) | instskip(NEXT) | instid1(VALU_DEP_1)
	v_xor_b32_e32 v4, v4, v3
	v_sub_nc_u32_e32 v3, v4, v3
.LBB425_631:
	s_mov_b32 s2, 0
.LBB425_632:
	s_delay_alu instid0(SALU_CYCLE_1)
	s_and_not1_b32 vcc_lo, exec_lo, s2
	s_cbranch_vccnz .LBB425_634
; %bb.633:
	global_load_b32 v3, v[1:2], off
	s_waitcnt vmcnt(0)
	v_cvt_f32_f16_e32 v3, v3
	s_delay_alu instid0(VALU_DEP_1)
	v_cvt_i32_f32_e32 v3, v3
.LBB425_634:
	s_mov_b32 s2, 0
.LBB425_635:
	s_delay_alu instid0(SALU_CYCLE_1)
	s_and_not1_b32 vcc_lo, exec_lo, s2
	s_cbranch_vccnz .LBB425_646
; %bb.636:
	v_cmp_gt_i16_e32 vcc_lo, 6, v6
	s_cbranch_vccnz .LBB425_639
; %bb.637:
	v_cmp_lt_i16_e32 vcc_lo, 6, v6
	s_cbranch_vccz .LBB425_640
; %bb.638:
	global_load_b64 v[3:4], v[1:2], off
	s_mov_b32 s2, 0
	s_waitcnt vmcnt(0)
	v_trunc_f64_e32 v[3:4], v[3:4]
	s_delay_alu instid0(VALU_DEP_1) | instskip(NEXT) | instid1(VALU_DEP_1)
	v_ldexp_f64 v[7:8], v[3:4], 0xffffffe0
	v_floor_f64_e32 v[7:8], v[7:8]
	s_delay_alu instid0(VALU_DEP_1) | instskip(NEXT) | instid1(VALU_DEP_1)
	v_fma_f64 v[3:4], 0xc1f00000, v[7:8], v[3:4]
	v_cvt_u32_f64_e32 v3, v[3:4]
	s_branch .LBB425_641
.LBB425_639:
	s_mov_b32 s2, -1
                                        ; implicit-def: $vgpr3
	s_branch .LBB425_644
.LBB425_640:
	s_mov_b32 s2, -1
                                        ; implicit-def: $vgpr3
.LBB425_641:
	s_delay_alu instid0(SALU_CYCLE_1)
	s_and_not1_b32 vcc_lo, exec_lo, s2
	s_cbranch_vccnz .LBB425_643
; %bb.642:
	global_load_b32 v3, v[1:2], off
	s_waitcnt vmcnt(0)
	v_trunc_f32_e32 v3, v3
	s_delay_alu instid0(VALU_DEP_1) | instskip(NEXT) | instid1(VALU_DEP_1)
	v_mul_f32_e64 v4, 0x2f800000, |v3|
	v_floor_f32_e32 v4, v4
	s_delay_alu instid0(VALU_DEP_1) | instskip(SKIP_1) | instid1(VALU_DEP_2)
	v_fma_f32 v4, 0xcf800000, v4, |v3|
	v_ashrrev_i32_e32 v3, 31, v3
	v_cvt_u32_f32_e32 v4, v4
	s_delay_alu instid0(VALU_DEP_1) | instskip(NEXT) | instid1(VALU_DEP_1)
	v_xor_b32_e32 v4, v4, v3
	v_sub_nc_u32_e32 v3, v4, v3
.LBB425_643:
	s_mov_b32 s2, 0
.LBB425_644:
	s_delay_alu instid0(SALU_CYCLE_1)
	s_and_not1_b32 vcc_lo, exec_lo, s2
	s_cbranch_vccnz .LBB425_646
; %bb.645:
	global_load_u16 v3, v[1:2], off
	s_waitcnt vmcnt(0)
	v_cvt_f32_f16_e32 v3, v3
	s_delay_alu instid0(VALU_DEP_1)
	v_cvt_i32_f32_e32 v3, v3
.LBB425_646:
	s_mov_b32 s2, 0
.LBB425_647:
	s_delay_alu instid0(SALU_CYCLE_1)
	s_and_not1_b32 vcc_lo, exec_lo, s2
	s_cbranch_vccnz .LBB425_667
; %bb.648:
	v_cmp_gt_i16_e32 vcc_lo, 2, v6
	s_cbranch_vccnz .LBB425_652
; %bb.649:
	v_cmp_gt_i16_e32 vcc_lo, 3, v6
	s_cbranch_vccnz .LBB425_653
; %bb.650:
	v_cmp_lt_i16_e32 vcc_lo, 3, v6
	s_cbranch_vccz .LBB425_654
; %bb.651:
	global_load_b64 v[3:4], v[1:2], off
	s_mov_b32 s2, 0
	s_branch .LBB425_655
.LBB425_652:
	s_mov_b32 s2, -1
                                        ; implicit-def: $vgpr3
	s_branch .LBB425_661
.LBB425_653:
	s_mov_b32 s2, -1
                                        ; implicit-def: $vgpr3
	s_branch .LBB425_658
.LBB425_654:
	s_mov_b32 s2, -1
                                        ; implicit-def: $vgpr3
.LBB425_655:
	s_delay_alu instid0(SALU_CYCLE_1)
	s_and_not1_b32 vcc_lo, exec_lo, s2
	s_cbranch_vccnz .LBB425_657
; %bb.656:
	global_load_b32 v3, v[1:2], off
.LBB425_657:
	s_mov_b32 s2, 0
.LBB425_658:
	s_delay_alu instid0(SALU_CYCLE_1)
	s_and_not1_b32 vcc_lo, exec_lo, s2
	s_cbranch_vccnz .LBB425_660
; %bb.659:
	global_load_u16 v3, v[1:2], off
.LBB425_660:
	s_mov_b32 s2, 0
.LBB425_661:
	s_delay_alu instid0(SALU_CYCLE_1)
	s_and_not1_b32 vcc_lo, exec_lo, s2
	s_cbranch_vccnz .LBB425_667
; %bb.662:
	v_cmp_lt_i16_e32 vcc_lo, 0, v6
	s_mov_b32 s2, 0
	s_cbranch_vccz .LBB425_664
; %bb.663:
	global_load_u8 v3, v[1:2], off
	s_branch .LBB425_665
.LBB425_664:
	s_mov_b32 s2, -1
                                        ; implicit-def: $vgpr3
.LBB425_665:
	s_delay_alu instid0(SALU_CYCLE_1)
	s_and_not1_b32 vcc_lo, exec_lo, s2
	s_cbranch_vccnz .LBB425_667
; %bb.666:
	global_load_u8 v3, v[1:2], off
.LBB425_667:
	s_mov_b32 s2, -1
.LBB425_668:
	s_delay_alu instid0(SALU_CYCLE_1)
	s_and_not1_b32 vcc_lo, exec_lo, s2
	s_cbranch_vccnz .LBB425_676
; %bb.669:
	s_waitcnt vmcnt(0)
	s_delay_alu instid0(VALU_DEP_1) | instskip(SKIP_4) | instid1(VALU_DEP_3)
	v_and_b32_e32 v2, 0xff, v3
	v_and_b32_e64 v3, 0xff, s30
	v_and_b32_e64 v1, 0xff, s29
	v_add_co_u32 v0, s2, s4, v0
	s_mov_b32 s22, 0
	v_cmp_gt_i16_e32 vcc_lo, 11, v3
	s_delay_alu instid0(VALU_DEP_3)
	v_min_u16 v2, v2, v1
	v_add_co_ci_u32_e64 v1, null, s5, 0, s2
	s_mov_b32 s23, -1
	s_mov_b32 s2, s41
	s_cbranch_vccnz .LBB425_677
; %bb.670:
	v_cmp_lt_i16_e32 vcc_lo, 25, v3
	s_cbranch_vccz .LBB425_718
; %bb.671:
	v_cmp_lt_i16_e32 vcc_lo, 28, v3
	s_cbranch_vccz .LBB425_719
	;; [unrolled: 3-line block ×4, first 2 shown]
; %bb.674:
	v_cmp_eq_u16_e32 vcc_lo, 46, v3
	s_mov_b32 s23, 0
	s_mov_b32 s2, -1
	s_cbranch_vccz .LBB425_722
; %bb.675:
	v_cvt_f32_ubyte0_e32 v4, v2
	s_mov_b32 s22, -1
	s_mov_b32 s2, 0
	s_delay_alu instid0(VALU_DEP_1) | instskip(NEXT) | instid1(VALU_DEP_1)
	v_bfe_u32 v6, v4, 16, 1
	v_add3_u32 v4, v4, v6, 0x7fff
	s_delay_alu instid0(VALU_DEP_1)
	v_lshrrev_b32_e32 v4, 16, v4
	global_store_b32 v[0:1], v4, off
	s_branch .LBB425_722
.LBB425_676:
	s_mov_b32 s44, 0
	s_mov_b32 s2, s41
	s_branch .LBB425_717
.LBB425_677:
	s_and_b32 vcc_lo, exec_lo, s23
	s_cbranch_vccz .LBB425_791
; %bb.678:
	v_cmp_gt_i16_e32 vcc_lo, 5, v3
	s_mov_b32 s22, -1
	s_cbranch_vccnz .LBB425_699
; %bb.679:
	v_cmp_gt_i16_e32 vcc_lo, 8, v3
	s_cbranch_vccnz .LBB425_689
; %bb.680:
	v_cmp_gt_i16_e32 vcc_lo, 9, v3
	s_cbranch_vccnz .LBB425_686
; %bb.681:
	v_cmp_lt_i16_e32 vcc_lo, 9, v3
	s_cbranch_vccz .LBB425_683
; %bb.682:
	v_mov_b32_e32 v8, 0
	v_and_b32_e32 v4, 0xffff, v2
	s_mov_b32 s22, 0
	s_delay_alu instid0(VALU_DEP_2) | instskip(NEXT) | instid1(VALU_DEP_2)
	v_mov_b32_e32 v9, v8
	v_cvt_f64_u32_e32 v[6:7], v4
	global_store_b128 v[0:1], v[6:9], off
.LBB425_683:
	s_and_not1_b32 vcc_lo, exec_lo, s22
	s_cbranch_vccnz .LBB425_685
; %bb.684:
	v_cvt_f32_ubyte0_e32 v6, v2
	v_mov_b32_e32 v7, 0
	global_store_b64 v[0:1], v[6:7], off
.LBB425_685:
	s_mov_b32 s22, 0
.LBB425_686:
	s_delay_alu instid0(SALU_CYCLE_1)
	s_and_not1_b32 vcc_lo, exec_lo, s22
	s_cbranch_vccnz .LBB425_688
; %bb.687:
	v_cvt_f16_u16_e32 v4, v2
	s_delay_alu instid0(VALU_DEP_1)
	v_and_b32_e32 v4, 0xffff, v4
	global_store_b32 v[0:1], v4, off
.LBB425_688:
	s_mov_b32 s22, 0
.LBB425_689:
	s_delay_alu instid0(SALU_CYCLE_1)
	s_and_not1_b32 vcc_lo, exec_lo, s22
	s_cbranch_vccnz .LBB425_698
; %bb.690:
	v_cmp_gt_i16_e32 vcc_lo, 6, v3
	s_mov_b32 s22, -1
	s_cbranch_vccnz .LBB425_696
; %bb.691:
	v_cmp_lt_i16_e32 vcc_lo, 6, v3
	s_cbranch_vccz .LBB425_693
; %bb.692:
	v_and_b32_e32 v4, 0xffff, v2
	s_mov_b32 s22, 0
	s_delay_alu instid0(VALU_DEP_1)
	v_cvt_f64_u32_e32 v[6:7], v4
	global_store_b64 v[0:1], v[6:7], off
.LBB425_693:
	s_and_not1_b32 vcc_lo, exec_lo, s22
	s_cbranch_vccnz .LBB425_695
; %bb.694:
	v_cvt_f32_ubyte0_e32 v4, v2
	global_store_b32 v[0:1], v4, off
.LBB425_695:
	s_mov_b32 s22, 0
.LBB425_696:
	s_delay_alu instid0(SALU_CYCLE_1)
	s_and_not1_b32 vcc_lo, exec_lo, s22
	s_cbranch_vccnz .LBB425_698
; %bb.697:
	v_cvt_f16_u16_e32 v4, v2
	global_store_b16 v[0:1], v4, off
.LBB425_698:
	s_mov_b32 s22, 0
.LBB425_699:
	s_delay_alu instid0(SALU_CYCLE_1)
	s_and_not1_b32 vcc_lo, exec_lo, s22
	s_cbranch_vccnz .LBB425_715
; %bb.700:
	v_cmp_gt_i16_e32 vcc_lo, 2, v3
	s_mov_b32 s22, -1
	s_cbranch_vccnz .LBB425_710
; %bb.701:
	v_cmp_gt_i16_e32 vcc_lo, 3, v3
	s_cbranch_vccnz .LBB425_707
; %bb.702:
	v_cmp_lt_i16_e32 vcc_lo, 3, v3
	s_cbranch_vccz .LBB425_704
; %bb.703:
	s_mov_b32 s22, 0
	s_delay_alu instid0(SALU_CYCLE_1)
	v_dual_mov_b32 v7, s22 :: v_dual_and_b32 v6, 0xffff, v2
	global_store_b64 v[0:1], v[6:7], off
.LBB425_704:
	s_and_not1_b32 vcc_lo, exec_lo, s22
	s_cbranch_vccnz .LBB425_706
; %bb.705:
	v_and_b32_e32 v4, 0xffff, v2
	global_store_b32 v[0:1], v4, off
.LBB425_706:
	s_mov_b32 s22, 0
.LBB425_707:
	s_delay_alu instid0(SALU_CYCLE_1)
	s_and_not1_b32 vcc_lo, exec_lo, s22
	s_cbranch_vccnz .LBB425_709
; %bb.708:
	global_store_b16 v[0:1], v2, off
.LBB425_709:
	s_mov_b32 s22, 0
.LBB425_710:
	s_delay_alu instid0(SALU_CYCLE_1)
	s_and_not1_b32 vcc_lo, exec_lo, s22
	s_cbranch_vccnz .LBB425_715
; %bb.711:
	v_cmp_lt_i16_e32 vcc_lo, 0, v3
	s_mov_b32 s22, -1
	s_cbranch_vccz .LBB425_713
; %bb.712:
	s_mov_b32 s22, 0
	global_store_b8 v[0:1], v2, off
.LBB425_713:
	s_and_not1_b32 vcc_lo, exec_lo, s22
	s_cbranch_vccnz .LBB425_715
; %bb.714:
	global_store_b8 v[0:1], v2, off
.LBB425_715:
	s_branch .LBB425_792
.LBB425_716:
	s_mov_b32 s44, 0
.LBB425_717:
                                        ; implicit-def: $vgpr5
	s_branch .LBB425_793
.LBB425_718:
	s_mov_b32 s2, s41
	s_branch .LBB425_749
.LBB425_719:
	s_mov_b32 s2, s41
	s_branch .LBB425_732
.LBB425_720:
	s_mov_b32 s2, s41
	s_branch .LBB425_728
.LBB425_721:
	s_mov_b32 s2, s41
.LBB425_722:
	s_and_b32 vcc_lo, exec_lo, s23
	s_cbranch_vccz .LBB425_727
; %bb.723:
	v_cmp_eq_u16_e32 vcc_lo, 44, v3
	s_mov_b32 s2, -1
	s_cbranch_vccz .LBB425_727
; %bb.724:
	v_cvt_f32_ubyte0_e32 v7, v2
	v_mov_b32_e32 v6, 0xff
	s_mov_b32 s22, exec_lo
	s_delay_alu instid0(VALU_DEP_2) | instskip(NEXT) | instid1(VALU_DEP_1)
	v_lshrrev_b32_e32 v4, 23, v7
	v_cmpx_ne_u32_e32 0xff, v4
; %bb.725:
	v_and_b32_e32 v6, 0x400000, v7
	v_and_or_b32 v7, 0x3fffff, v7, v4
	s_delay_alu instid0(VALU_DEP_2) | instskip(NEXT) | instid1(VALU_DEP_2)
	v_cmp_ne_u32_e32 vcc_lo, 0, v6
	v_cmp_ne_u32_e64 s2, 0, v7
	s_delay_alu instid0(VALU_DEP_1) | instskip(NEXT) | instid1(SALU_CYCLE_1)
	s_and_b32 s2, vcc_lo, s2
	v_cndmask_b32_e64 v6, 0, 1, s2
	s_delay_alu instid0(VALU_DEP_1)
	v_add_nc_u32_e32 v6, v4, v6
; %bb.726:
	s_or_b32 exec_lo, exec_lo, s22
	s_mov_b32 s22, -1
	s_mov_b32 s2, 0
	global_store_b8 v[0:1], v6, off
.LBB425_727:
	s_mov_b32 s23, 0
.LBB425_728:
	s_delay_alu instid0(SALU_CYCLE_1)
	s_and_b32 vcc_lo, exec_lo, s23
	s_cbranch_vccz .LBB425_731
; %bb.729:
	v_cmp_eq_u16_e32 vcc_lo, 29, v3
	s_mov_b32 s2, -1
	s_cbranch_vccz .LBB425_731
; %bb.730:
	s_mov_b32 s2, 0
	s_delay_alu instid0(SALU_CYCLE_1)
	v_dual_mov_b32 v7, s2 :: v_dual_and_b32 v6, 0xffff, v2
	s_mov_b32 s22, -1
	s_mov_b32 s23, 0
	global_store_b64 v[0:1], v[6:7], off
	s_branch .LBB425_732
.LBB425_731:
	s_mov_b32 s23, 0
.LBB425_732:
	s_delay_alu instid0(SALU_CYCLE_1)
	s_and_b32 vcc_lo, exec_lo, s23
	s_cbranch_vccz .LBB425_748
; %bb.733:
	v_cmp_gt_i16_e32 vcc_lo, 27, v3
	s_mov_b32 s22, -1
	s_cbranch_vccnz .LBB425_739
; %bb.734:
	v_cmp_lt_i16_e32 vcc_lo, 27, v3
	s_cbranch_vccz .LBB425_736
; %bb.735:
	v_and_b32_e32 v4, 0xffff, v2
	s_mov_b32 s22, 0
	global_store_b32 v[0:1], v4, off
.LBB425_736:
	s_and_not1_b32 vcc_lo, exec_lo, s22
	s_cbranch_vccnz .LBB425_738
; %bb.737:
	global_store_b16 v[0:1], v2, off
.LBB425_738:
	s_mov_b32 s22, 0
.LBB425_739:
	s_delay_alu instid0(SALU_CYCLE_1)
	s_and_not1_b32 vcc_lo, exec_lo, s22
	s_cbranch_vccnz .LBB425_747
; %bb.740:
	v_cvt_f32_ubyte0_e32 v6, v2
	v_mov_b32_e32 v7, 0x80
	s_mov_b32 s22, exec_lo
	s_delay_alu instid0(VALU_DEP_2)
	v_cmpx_gt_u32_e32 0x43800000, v6
	s_cbranch_execz .LBB425_746
; %bb.741:
	s_mov_b32 s23, 0
	s_mov_b32 s44, exec_lo
                                        ; implicit-def: $vgpr4
	v_cmpx_lt_u32_e32 0x3bffffff, v6
	s_xor_b32 s44, exec_lo, s44
	s_cbranch_execz .LBB425_820
; %bb.742:
	v_bfe_u32 v4, v6, 20, 1
	s_mov_b32 s23, exec_lo
	s_delay_alu instid0(VALU_DEP_1) | instskip(NEXT) | instid1(VALU_DEP_1)
	v_add3_u32 v4, v6, v4, 0x487ffff
                                        ; implicit-def: $vgpr6
	v_lshrrev_b32_e32 v4, 20, v4
	s_or_saveexec_b32 s44, s44
                                        ; implicit-def: $sgpr45
	s_delay_alu instid0(SALU_CYCLE_1)
	s_xor_b32 exec_lo, exec_lo, s44
	s_cbranch_execnz .LBB425_821
.LBB425_743:
	s_or_b32 exec_lo, exec_lo, s44
	v_mov_b32_e32 v7, s45
	s_and_saveexec_b32 s44, s23
.LBB425_744:
	v_mov_b32_e32 v7, v4
.LBB425_745:
	s_or_b32 exec_lo, exec_lo, s44
.LBB425_746:
	s_delay_alu instid0(SALU_CYCLE_1)
	s_or_b32 exec_lo, exec_lo, s22
	global_store_b8 v[0:1], v7, off
.LBB425_747:
	s_mov_b32 s22, -1
.LBB425_748:
	s_mov_b32 s23, 0
.LBB425_749:
	s_delay_alu instid0(SALU_CYCLE_1)
	s_and_b32 vcc_lo, exec_lo, s23
	s_cbranch_vccz .LBB425_790
; %bb.750:
	v_cmp_lt_i16_e32 vcc_lo, 22, v3
	s_mov_b32 s23, -1
	s_cbranch_vccz .LBB425_782
; %bb.751:
	v_cmp_gt_i16_e32 vcc_lo, 24, v3
	s_mov_b32 s22, -1
	s_cbranch_vccnz .LBB425_771
; %bb.752:
	v_cmp_lt_i16_e32 vcc_lo, 24, v3
	s_cbranch_vccz .LBB425_760
; %bb.753:
	v_cvt_f32_ubyte0_e32 v6, v2
	v_mov_b32_e32 v7, 0x80
	s_mov_b32 s22, exec_lo
	s_delay_alu instid0(VALU_DEP_2)
	v_cmpx_gt_u32_e32 0x47800000, v6
	s_cbranch_execz .LBB425_759
; %bb.754:
	s_mov_b32 s23, 0
	s_mov_b32 s44, exec_lo
                                        ; implicit-def: $vgpr4
	v_cmpx_lt_u32_e32 0x37ffffff, v6
	s_xor_b32 s44, exec_lo, s44
	s_cbranch_execz .LBB425_823
; %bb.755:
	v_bfe_u32 v4, v6, 21, 1
	s_mov_b32 s23, exec_lo
	s_delay_alu instid0(VALU_DEP_1) | instskip(NEXT) | instid1(VALU_DEP_1)
	v_add3_u32 v4, v6, v4, 0x88fffff
                                        ; implicit-def: $vgpr6
	v_lshrrev_b32_e32 v4, 21, v4
	s_or_saveexec_b32 s44, s44
                                        ; implicit-def: $sgpr45
	s_delay_alu instid0(SALU_CYCLE_1)
	s_xor_b32 exec_lo, exec_lo, s44
	s_cbranch_execnz .LBB425_824
.LBB425_756:
	s_or_b32 exec_lo, exec_lo, s44
	v_mov_b32_e32 v7, s45
	s_and_saveexec_b32 s44, s23
.LBB425_757:
	v_mov_b32_e32 v7, v4
.LBB425_758:
	s_or_b32 exec_lo, exec_lo, s44
.LBB425_759:
	s_delay_alu instid0(SALU_CYCLE_1)
	s_or_b32 exec_lo, exec_lo, s22
	s_mov_b32 s22, 0
	global_store_b8 v[0:1], v7, off
.LBB425_760:
	s_and_b32 vcc_lo, exec_lo, s22
	s_cbranch_vccz .LBB425_770
; %bb.761:
	v_cvt_f32_ubyte0_e32 v6, v2
	s_mov_b32 s22, exec_lo
                                        ; implicit-def: $vgpr4
	s_delay_alu instid0(VALU_DEP_1)
	v_cmpx_gt_u32_e32 0x43f00000, v6
	s_xor_b32 s22, exec_lo, s22
	s_cbranch_execz .LBB425_767
; %bb.762:
	s_mov_b32 s23, exec_lo
                                        ; implicit-def: $vgpr4
	v_cmpx_lt_u32_e32 0x3c7fffff, v6
	s_xor_b32 s23, exec_lo, s23
; %bb.763:
	v_bfe_u32 v4, v6, 20, 1
	s_delay_alu instid0(VALU_DEP_1) | instskip(NEXT) | instid1(VALU_DEP_1)
	v_add3_u32 v4, v6, v4, 0x407ffff
	v_and_b32_e32 v6, 0xff00000, v4
	v_lshrrev_b32_e32 v4, 20, v4
	s_delay_alu instid0(VALU_DEP_2) | instskip(NEXT) | instid1(VALU_DEP_2)
	v_cmp_ne_u32_e32 vcc_lo, 0x7f00000, v6
                                        ; implicit-def: $vgpr6
	v_cndmask_b32_e32 v4, 0x7e, v4, vcc_lo
; %bb.764:
	s_and_not1_saveexec_b32 s23, s23
; %bb.765:
	v_add_f32_e32 v4, 0x46800000, v6
; %bb.766:
	s_or_b32 exec_lo, exec_lo, s23
                                        ; implicit-def: $vgpr6
.LBB425_767:
	s_and_not1_saveexec_b32 s22, s22
; %bb.768:
	v_mov_b32_e32 v4, 0x7f
	v_cmp_lt_u32_e32 vcc_lo, 0x7f800000, v6
	s_delay_alu instid0(VALU_DEP_2)
	v_cndmask_b32_e32 v4, 0x7e, v4, vcc_lo
; %bb.769:
	s_or_b32 exec_lo, exec_lo, s22
	global_store_b8 v[0:1], v4, off
.LBB425_770:
	s_mov_b32 s22, 0
.LBB425_771:
	s_delay_alu instid0(SALU_CYCLE_1)
	s_and_not1_b32 vcc_lo, exec_lo, s22
	s_cbranch_vccnz .LBB425_781
; %bb.772:
	v_cvt_f32_ubyte0_e32 v6, v2
	s_mov_b32 s22, exec_lo
                                        ; implicit-def: $vgpr4
	s_delay_alu instid0(VALU_DEP_1)
	v_cmpx_gt_u32_e32 0x47800000, v6
	s_xor_b32 s22, exec_lo, s22
	s_cbranch_execz .LBB425_778
; %bb.773:
	s_mov_b32 s23, exec_lo
                                        ; implicit-def: $vgpr4
	v_cmpx_lt_u32_e32 0x387fffff, v6
	s_xor_b32 s23, exec_lo, s23
; %bb.774:
	v_bfe_u32 v4, v6, 21, 1
	s_delay_alu instid0(VALU_DEP_1) | instskip(NEXT) | instid1(VALU_DEP_1)
	v_add3_u32 v4, v6, v4, 0x80fffff
                                        ; implicit-def: $vgpr6
	v_lshrrev_b32_e32 v4, 21, v4
; %bb.775:
	s_and_not1_saveexec_b32 s23, s23
; %bb.776:
	v_add_f32_e32 v4, 0x43000000, v6
; %bb.777:
	s_or_b32 exec_lo, exec_lo, s23
                                        ; implicit-def: $vgpr6
.LBB425_778:
	s_and_not1_saveexec_b32 s22, s22
; %bb.779:
	v_mov_b32_e32 v4, 0x7f
	v_cmp_lt_u32_e32 vcc_lo, 0x7f800000, v6
	s_delay_alu instid0(VALU_DEP_2)
	v_cndmask_b32_e32 v4, 0x7c, v4, vcc_lo
; %bb.780:
	s_or_b32 exec_lo, exec_lo, s22
	global_store_b8 v[0:1], v4, off
.LBB425_781:
	s_mov_b32 s23, 0
	s_mov_b32 s22, -1
.LBB425_782:
	s_and_not1_b32 vcc_lo, exec_lo, s23
	s_cbranch_vccnz .LBB425_790
; %bb.783:
	v_cmp_lt_i16_e32 vcc_lo, 14, v3
	s_mov_b32 s23, -1
	s_cbranch_vccz .LBB425_787
; %bb.784:
	v_cmp_eq_u16_e32 vcc_lo, 15, v3
	s_mov_b32 s2, -1
	s_cbranch_vccz .LBB425_786
; %bb.785:
	v_cvt_f32_ubyte0_e32 v4, v2
	s_mov_b32 s22, -1
	s_mov_b32 s2, 0
	s_delay_alu instid0(VALU_DEP_1) | instskip(NEXT) | instid1(VALU_DEP_1)
	v_bfe_u32 v6, v4, 16, 1
	v_add3_u32 v4, v4, v6, 0x7fff
	global_store_d16_hi_b16 v[0:1], v4, off
.LBB425_786:
	s_mov_b32 s23, 0
.LBB425_787:
	s_delay_alu instid0(SALU_CYCLE_1)
	s_and_b32 vcc_lo, exec_lo, s23
	s_cbranch_vccz .LBB425_790
; %bb.788:
	v_cmp_eq_u16_e32 vcc_lo, 11, v3
	s_mov_b32 s2, -1
	s_cbranch_vccz .LBB425_790
; %bb.789:
	v_cmp_ne_u16_e32 vcc_lo, 0, v2
	s_mov_b32 s2, 0
	s_mov_b32 s22, -1
	v_cndmask_b32_e64 v4, 0, 1, vcc_lo
	global_store_b8 v[0:1], v4, off
.LBB425_790:
.LBB425_791:
	s_and_not1_b32 vcc_lo, exec_lo, s22
	s_cbranch_vccnz .LBB425_716
.LBB425_792:
	v_add_nc_u32_e32 v5, 0x80, v5
	s_mov_b32 s44, -1
.LBB425_793:
	s_and_not1_b32 s22, s41, exec_lo
	s_and_b32 s2, s2, exec_lo
	s_and_not1_b32 s45, s40, exec_lo
	s_and_b32 s3, s3, exec_lo
	s_or_b32 s23, s22, s2
	s_or_b32 s22, s45, s3
	s_or_not1_b32 s45, s44, exec_lo
.LBB425_794:
	s_or_b32 exec_lo, exec_lo, s43
	s_mov_b32 s2, 0
	s_mov_b32 s3, 0
	;; [unrolled: 1-line block ×3, first 2 shown]
                                        ; implicit-def: $vgpr6
                                        ; implicit-def: $vgpr1_vgpr2
                                        ; implicit-def: $vgpr0
                                        ; implicit-def: $vgpr3
	s_and_saveexec_b32 s43, s45
	s_cbranch_execz .LBB425_888
; %bb.795:
	v_cmp_gt_i32_e32 vcc_lo, s34, v5
	s_mov_b32 s46, s22
	s_mov_b32 s45, 0
                                        ; implicit-def: $vgpr6
                                        ; implicit-def: $vgpr1_vgpr2
                                        ; implicit-def: $vgpr0
                                        ; implicit-def: $vgpr3
	s_and_saveexec_b32 s34, vcc_lo
	s_cbranch_execz .LBB425_887
; %bb.796:
	s_and_not1_b32 vcc_lo, exec_lo, s27
	s_cbranch_vccnz .LBB425_801
; %bb.797:
	v_dual_mov_b32 v0, 0 :: v_dual_mov_b32 v1, 0
	s_and_not1_b32 vcc_lo, exec_lo, s36
	s_mov_b32 s36, 0
	s_cbranch_vccnz .LBB425_806
; %bb.798:
	v_mov_b32_e32 v0, 0
	s_add_i32 s44, s35, 1
	s_cmp_eq_u32 s25, 2
	s_mov_b32 s35, 0
	s_cbranch_scc1 .LBB425_802
; %bb.799:
	v_dual_mov_b32 v1, 0 :: v_dual_mov_b32 v0, 0
	v_mov_b32_e32 v2, v5
	s_and_b32 s35, s44, 28
	s_mov_b64 s[2:3], s[16:17]
.LBB425_800:                            ; =>This Inner Loop Header: Depth=1
	s_clause 0x1
	s_load_b256 s[48:55], s[2:3], 0x4
	s_load_b128 s[64:67], s[2:3], 0x24
	s_load_b256 s[56:63], s[20:21], 0x0
	s_add_u32 s2, s2, 48
	s_addc_u32 s3, s3, 0
	s_add_i32 s45, s45, 4
	s_add_u32 s20, s20, 32
	s_addc_u32 s21, s21, 0
	s_cmp_eq_u32 s35, s45
	s_waitcnt vmcnt(0) lgkmcnt(0)
	v_mul_hi_u32 v3, s49, v2
	s_delay_alu instid0(VALU_DEP_1) | instskip(NEXT) | instid1(VALU_DEP_1)
	v_add_nc_u32_e32 v3, v2, v3
	v_lshrrev_b32_e32 v3, s50, v3
	s_delay_alu instid0(VALU_DEP_1) | instskip(SKIP_1) | instid1(VALU_DEP_2)
	v_mul_hi_u32 v4, s52, v3
	v_mul_lo_u32 v7, v3, s48
	v_add_nc_u32_e32 v4, v3, v4
	s_delay_alu instid0(VALU_DEP_2) | instskip(NEXT) | instid1(VALU_DEP_2)
	v_sub_nc_u32_e32 v2, v2, v7
	v_lshrrev_b32_e32 v4, s53, v4
	s_delay_alu instid0(VALU_DEP_2) | instskip(SKIP_1) | instid1(VALU_DEP_3)
	v_mul_lo_u32 v7, v2, s56
	v_mul_lo_u32 v9, v2, s57
	v_mul_hi_u32 v6, s55, v4
	s_delay_alu instid0(VALU_DEP_1) | instskip(NEXT) | instid1(VALU_DEP_1)
	v_add_nc_u32_e32 v6, v4, v6
	v_lshrrev_b32_e32 v6, s64, v6
	s_delay_alu instid0(VALU_DEP_1) | instskip(SKIP_1) | instid1(VALU_DEP_2)
	v_mul_hi_u32 v8, s66, v6
	v_mul_lo_u32 v10, v6, s54
	v_add_nc_u32_e32 v2, v6, v8
	v_mul_lo_u32 v8, v4, s51
	s_delay_alu instid0(VALU_DEP_3) | instskip(NEXT) | instid1(VALU_DEP_3)
	v_sub_nc_u32_e32 v4, v4, v10
	v_lshrrev_b32_e32 v2, s67, v2
	s_delay_alu instid0(VALU_DEP_2) | instskip(SKIP_2) | instid1(VALU_DEP_4)
	v_mul_lo_u32 v10, v4, s60
	v_mul_lo_u32 v4, v4, s61
	v_sub_nc_u32_e32 v3, v3, v8
	v_mul_lo_u32 v11, v2, s65
	s_delay_alu instid0(VALU_DEP_2) | instskip(SKIP_1) | instid1(VALU_DEP_3)
	v_mul_lo_u32 v8, v3, s58
	v_mul_lo_u32 v3, v3, s59
	v_sub_nc_u32_e32 v6, v6, v11
	s_delay_alu instid0(VALU_DEP_3) | instskip(NEXT) | instid1(VALU_DEP_2)
	v_add3_u32 v0, v7, v0, v8
	v_mul_lo_u32 v11, v6, s62
	v_mul_lo_u32 v6, v6, s63
	v_add3_u32 v1, v9, v1, v3
	s_delay_alu instid0(VALU_DEP_3) | instskip(NEXT) | instid1(VALU_DEP_2)
	v_add3_u32 v0, v10, v0, v11
	v_add3_u32 v1, v4, v1, v6
	s_cbranch_scc0 .LBB425_800
	s_branch .LBB425_803
.LBB425_801:
	s_mov_b32 s36, -1
                                        ; implicit-def: $vgpr0
                                        ; implicit-def: $vgpr1
	s_branch .LBB425_806
.LBB425_802:
	v_dual_mov_b32 v2, v5 :: v_dual_mov_b32 v1, 0
.LBB425_803:
	s_and_b32 s44, s44, 3
	s_delay_alu instid0(SALU_CYCLE_1)
	s_cmp_eq_u32 s44, 0
	s_cbranch_scc1 .LBB425_806
; %bb.804:
	s_lshl_b32 s2, s35, 3
	s_mul_i32 s20, s35, 12
	s_add_u32 s2, s2, s16
	s_addc_u32 s3, s17, 0
	s_add_u32 s2, s2, 0xc4
	s_addc_u32 s3, s3, 0
	;; [unrolled: 2-line block ×3, first 2 shown]
.LBB425_805:                            ; =>This Inner Loop Header: Depth=1
	s_clause 0x1
	s_load_b64 s[46:47], s[20:21], 0x4
	s_load_b32 s35, s[20:21], 0xc
	s_load_b64 s[48:49], s[2:3], 0x0
	s_add_u32 s20, s20, 12
	s_addc_u32 s21, s21, 0
	s_add_u32 s2, s2, 8
	s_addc_u32 s3, s3, 0
	s_add_i32 s44, s44, -1
	s_delay_alu instid0(SALU_CYCLE_1) | instskip(SKIP_2) | instid1(VALU_DEP_1)
	s_cmp_lg_u32 s44, 0
	s_waitcnt vmcnt(0) lgkmcnt(0)
	v_mul_hi_u32 v3, s47, v2
	v_add_nc_u32_e32 v3, v2, v3
	s_delay_alu instid0(VALU_DEP_1) | instskip(NEXT) | instid1(VALU_DEP_1)
	v_lshrrev_b32_e32 v8, s35, v3
	v_mul_lo_u32 v3, v8, s46
	s_delay_alu instid0(VALU_DEP_1) | instskip(NEXT) | instid1(VALU_DEP_1)
	v_sub_nc_u32_e32 v2, v2, v3
	v_mad_u64_u32 v[3:4], null, v2, s48, v[0:1]
	v_mad_u64_u32 v[6:7], null, v2, s49, v[1:2]
	v_mov_b32_e32 v2, v8
	s_delay_alu instid0(VALU_DEP_2)
	v_dual_mov_b32 v0, v3 :: v_dual_mov_b32 v1, v6
	s_cbranch_scc1 .LBB425_805
.LBB425_806:
	s_and_not1_b32 vcc_lo, exec_lo, s36
	s_cbranch_vccnz .LBB425_809
; %bb.807:
	v_mul_hi_u32 v0, s13, v5
	s_and_not1_b32 vcc_lo, exec_lo, s33
	s_delay_alu instid0(VALU_DEP_1) | instskip(NEXT) | instid1(VALU_DEP_1)
	v_add_nc_u32_e32 v0, v5, v0
	v_lshrrev_b32_e32 v2, s14, v0
	s_delay_alu instid0(VALU_DEP_1) | instskip(NEXT) | instid1(VALU_DEP_1)
	v_mul_lo_u32 v0, v2, s12
	v_sub_nc_u32_e32 v1, v5, v0
	s_delay_alu instid0(VALU_DEP_1)
	v_mul_lo_u32 v0, v1, s8
	v_mul_lo_u32 v1, v1, s9
	s_cbranch_vccnz .LBB425_809
; %bb.808:
	s_waitcnt vmcnt(0)
	v_mul_hi_u32 v3, s18, v2
	s_delay_alu instid0(VALU_DEP_1) | instskip(NEXT) | instid1(VALU_DEP_1)
	v_add_nc_u32_e32 v3, v2, v3
	v_lshrrev_b32_e32 v3, s19, v3
	s_delay_alu instid0(VALU_DEP_1) | instskip(NEXT) | instid1(VALU_DEP_1)
	v_mul_lo_u32 v3, v3, s15
	v_sub_nc_u32_e32 v5, v2, v3
	s_delay_alu instid0(VALU_DEP_1) | instskip(NEXT) | instid1(VALU_DEP_1)
	v_mad_u64_u32 v[2:3], null, v5, s10, v[0:1]
	v_mad_u64_u32 v[3:4], null, v5, s11, v[1:2]
	s_delay_alu instid0(VALU_DEP_1)
	v_dual_mov_b32 v0, v2 :: v_dual_mov_b32 v1, v3
.LBB425_809:
	v_and_b32_e64 v6, 0xff, s31
	s_delay_alu instid0(VALU_DEP_2) | instskip(NEXT) | instid1(VALU_DEP_1)
	v_add_co_u32 v1, s2, s6, v1
	v_add_co_ci_u32_e64 v2, null, s7, 0, s2
	s_delay_alu instid0(VALU_DEP_3)
	v_cmp_gt_i16_e32 vcc_lo, 11, v6
	s_mov_b32 s6, 0
	s_cbranch_vccnz .LBB425_816
; %bb.810:
	v_cmp_lt_i16_e32 vcc_lo, 25, v6
	s_mov_b32 s3, 0
	s_cbranch_vccz .LBB425_817
; %bb.811:
	v_cmp_lt_i16_e32 vcc_lo, 28, v6
	s_cbranch_vccz .LBB425_818
; %bb.812:
	v_cmp_lt_i16_e32 vcc_lo, 43, v6
	;; [unrolled: 3-line block ×3, first 2 shown]
	s_cbranch_vccz .LBB425_822
; %bb.814:
	v_cmp_eq_u16_e32 vcc_lo, 46, v6
	s_mov_b32 s7, 0
	s_cbranch_vccz .LBB425_825
; %bb.815:
	global_load_b32 v3, v[1:2], off
	s_mov_b32 s2, 0
	s_mov_b32 s6, -1
	s_waitcnt vmcnt(0)
	v_lshlrev_b32_e32 v3, 16, v3
	s_delay_alu instid0(VALU_DEP_1) | instskip(NEXT) | instid1(VALU_DEP_1)
	v_trunc_f32_e32 v3, v3
	v_mul_f32_e64 v4, 0x2f800000, |v3|
	s_delay_alu instid0(VALU_DEP_1) | instskip(NEXT) | instid1(VALU_DEP_1)
	v_floor_f32_e32 v4, v4
	v_fma_f32 v4, 0xcf800000, v4, |v3|
	v_ashrrev_i32_e32 v3, 31, v3
	s_delay_alu instid0(VALU_DEP_2) | instskip(NEXT) | instid1(VALU_DEP_1)
	v_cvt_u32_f32_e32 v4, v4
	v_xor_b32_e32 v4, v4, v3
	s_delay_alu instid0(VALU_DEP_1)
	v_sub_nc_u32_e32 v3, v4, v3
	s_branch .LBB425_827
.LBB425_816:
	s_mov_b32 s7, -1
	s_mov_b32 s3, 0
	s_mov_b32 s2, s22
                                        ; implicit-def: $vgpr3
	s_branch .LBB425_886
.LBB425_817:
	s_mov_b32 s7, -1
	s_mov_b32 s2, s22
                                        ; implicit-def: $vgpr3
	s_branch .LBB425_854
.LBB425_818:
	s_mov_b32 s7, -1
	s_mov_b32 s2, s22
                                        ; implicit-def: $vgpr3
	s_branch .LBB425_837
.LBB425_819:
	s_mov_b32 s7, -1
	s_mov_b32 s2, s22
                                        ; implicit-def: $vgpr3
	s_branch .LBB425_832
.LBB425_820:
	s_or_saveexec_b32 s44, s44
                                        ; implicit-def: $sgpr45
	s_delay_alu instid0(SALU_CYCLE_1)
	s_xor_b32 exec_lo, exec_lo, s44
	s_cbranch_execz .LBB425_743
.LBB425_821:
	v_add_f32_e32 v4, 0x46000000, v6
	s_and_not1_b32 s23, s23, exec_lo
	s_mov_b32 s45, 0
	s_delay_alu instid0(VALU_DEP_1) | instskip(NEXT) | instid1(VALU_DEP_1)
	v_and_b32_e32 v4, 0xff, v4
	v_cmp_ne_u32_e32 vcc_lo, 0, v4
	s_and_b32 s46, vcc_lo, exec_lo
	s_delay_alu instid0(SALU_CYCLE_1)
	s_or_b32 s23, s23, s46
	s_or_b32 exec_lo, exec_lo, s44
	v_mov_b32_e32 v7, s45
	s_and_saveexec_b32 s44, s23
	s_cbranch_execnz .LBB425_744
	s_branch .LBB425_745
.LBB425_822:
	s_mov_b32 s7, -1
	s_mov_b32 s2, s22
	s_branch .LBB425_826
.LBB425_823:
	s_or_saveexec_b32 s44, s44
                                        ; implicit-def: $sgpr45
	s_delay_alu instid0(SALU_CYCLE_1)
	s_xor_b32 exec_lo, exec_lo, s44
	s_cbranch_execz .LBB425_756
.LBB425_824:
	v_add_f32_e32 v4, 0x42800000, v6
	s_and_not1_b32 s23, s23, exec_lo
	s_mov_b32 s45, 0
	s_delay_alu instid0(VALU_DEP_1) | instskip(NEXT) | instid1(VALU_DEP_1)
	v_and_b32_e32 v4, 0xff, v4
	v_cmp_ne_u32_e32 vcc_lo, 0, v4
	s_and_b32 s46, vcc_lo, exec_lo
	s_delay_alu instid0(SALU_CYCLE_1)
	s_or_b32 s23, s23, s46
	s_or_b32 exec_lo, exec_lo, s44
	v_mov_b32_e32 v7, s45
	s_and_saveexec_b32 s44, s23
	s_cbranch_execnz .LBB425_757
	s_branch .LBB425_758
.LBB425_825:
	s_mov_b32 s2, -1
.LBB425_826:
                                        ; implicit-def: $vgpr3
.LBB425_827:
	s_and_b32 vcc_lo, exec_lo, s7
	s_cbranch_vccz .LBB425_831
; %bb.828:
	v_cmp_eq_u16_e32 vcc_lo, 44, v6
	s_cbranch_vccz .LBB425_830
; %bb.829:
	global_load_u8 v3, v[1:2], off
	s_mov_b32 s2, 0
	s_mov_b32 s6, -1
	s_waitcnt vmcnt(0)
	v_lshlrev_b32_e32 v4, 23, v3
	v_cmp_ne_u32_e32 vcc_lo, 0, v3
	s_delay_alu instid0(VALU_DEP_2) | instskip(NEXT) | instid1(VALU_DEP_1)
	v_trunc_f32_e32 v4, v4
	v_mul_f32_e64 v5, 0x2f800000, |v4|
	s_delay_alu instid0(VALU_DEP_1) | instskip(NEXT) | instid1(VALU_DEP_1)
	v_floor_f32_e32 v5, v5
	v_fma_f32 v5, 0xcf800000, v5, |v4|
	v_ashrrev_i32_e32 v4, 31, v4
	s_delay_alu instid0(VALU_DEP_2) | instskip(NEXT) | instid1(VALU_DEP_1)
	v_cvt_u32_f32_e32 v5, v5
	v_xor_b32_e32 v5, v5, v4
	s_delay_alu instid0(VALU_DEP_1) | instskip(NEXT) | instid1(VALU_DEP_1)
	v_sub_nc_u32_e32 v4, v5, v4
	v_cndmask_b32_e32 v3, 0, v4, vcc_lo
	s_branch .LBB425_831
.LBB425_830:
	s_mov_b32 s2, -1
                                        ; implicit-def: $vgpr3
.LBB425_831:
	s_mov_b32 s7, 0
.LBB425_832:
	s_delay_alu instid0(SALU_CYCLE_1)
	s_and_b32 vcc_lo, exec_lo, s7
	s_cbranch_vccz .LBB425_836
; %bb.833:
	v_cmp_eq_u16_e32 vcc_lo, 29, v6
	s_cbranch_vccz .LBB425_835
; %bb.834:
	global_load_b64 v[3:4], v[1:2], off
	s_mov_b32 s2, 0
	s_mov_b32 s6, -1
	s_branch .LBB425_836
.LBB425_835:
	s_mov_b32 s2, -1
                                        ; implicit-def: $vgpr3
.LBB425_836:
	s_mov_b32 s7, 0
.LBB425_837:
	s_delay_alu instid0(SALU_CYCLE_1)
	s_and_b32 vcc_lo, exec_lo, s7
	s_cbranch_vccz .LBB425_853
; %bb.838:
	v_cmp_gt_i16_e32 vcc_lo, 27, v6
	s_cbranch_vccnz .LBB425_841
; %bb.839:
	v_cmp_lt_i16_e32 vcc_lo, 27, v6
	s_cbranch_vccz .LBB425_842
; %bb.840:
	global_load_b32 v3, v[1:2], off
	s_mov_b32 s6, 0
	s_branch .LBB425_843
.LBB425_841:
	s_mov_b32 s6, -1
                                        ; implicit-def: $vgpr3
	s_branch .LBB425_846
.LBB425_842:
	s_mov_b32 s6, -1
                                        ; implicit-def: $vgpr3
.LBB425_843:
	s_delay_alu instid0(SALU_CYCLE_1)
	s_and_not1_b32 vcc_lo, exec_lo, s6
	s_cbranch_vccnz .LBB425_845
; %bb.844:
	global_load_u16 v3, v[1:2], off
.LBB425_845:
	s_mov_b32 s6, 0
.LBB425_846:
	s_delay_alu instid0(SALU_CYCLE_1)
	s_and_not1_b32 vcc_lo, exec_lo, s6
	s_cbranch_vccnz .LBB425_852
; %bb.847:
	global_load_u8 v4, v[1:2], off
	s_mov_b32 s7, 0
	s_mov_b32 s6, exec_lo
                                        ; implicit-def: $sgpr8
	s_waitcnt vmcnt(0)
	v_cmpx_lt_i16_e32 0x7f, v4
	s_xor_b32 s6, exec_lo, s6
	s_cbranch_execz .LBB425_864
; %bb.848:
	v_cmp_ne_u16_e32 vcc_lo, 0x80, v4
	s_mov_b32 s8, 0
	s_and_b32 s7, vcc_lo, exec_lo
	s_or_saveexec_b32 s6, s6
	v_mov_b32_e32 v3, s8
	s_xor_b32 exec_lo, exec_lo, s6
	s_cbranch_execnz .LBB425_865
.LBB425_849:
	s_or_b32 exec_lo, exec_lo, s6
	s_and_saveexec_b32 s6, s7
	s_cbranch_execz .LBB425_851
.LBB425_850:
	v_and_b32_e32 v3, 0xffff, v4
	v_lshlrev_b32_e32 v4, 24, v4
	s_delay_alu instid0(VALU_DEP_2) | instskip(NEXT) | instid1(VALU_DEP_2)
	v_and_b32_e32 v5, 7, v3
	v_and_b32_e32 v4, 0x80000000, v4
	s_delay_alu instid0(VALU_DEP_2) | instskip(NEXT) | instid1(VALU_DEP_1)
	v_clz_i32_u32_e32 v7, v5
	v_min_u32_e32 v7, 32, v7
	s_delay_alu instid0(VALU_DEP_1) | instskip(SKIP_1) | instid1(VALU_DEP_2)
	v_subrev_nc_u32_e32 v8, 28, v7
	v_sub_nc_u32_e32 v7, 29, v7
	v_lshlrev_b32_e32 v8, v8, v3
	v_bfe_u32 v3, v3, 3, 4
	s_delay_alu instid0(VALU_DEP_1) | instskip(NEXT) | instid1(VALU_DEP_3)
	v_cmp_eq_u32_e32 vcc_lo, 0, v3
	v_dual_cndmask_b32 v3, v3, v7 :: v_dual_and_b32 v8, 7, v8
	s_delay_alu instid0(VALU_DEP_1) | instskip(NEXT) | instid1(VALU_DEP_2)
	v_cndmask_b32_e32 v5, v5, v8, vcc_lo
	v_lshl_add_u32 v3, v3, 23, 0x3b800000
	s_delay_alu instid0(VALU_DEP_2) | instskip(NEXT) | instid1(VALU_DEP_1)
	v_lshlrev_b32_e32 v5, 20, v5
	v_or3_b32 v3, v4, v3, v5
	s_delay_alu instid0(VALU_DEP_1) | instskip(NEXT) | instid1(VALU_DEP_1)
	v_trunc_f32_e32 v3, v3
	v_mul_f32_e64 v4, 0x2f800000, |v3|
	s_delay_alu instid0(VALU_DEP_1) | instskip(NEXT) | instid1(VALU_DEP_1)
	v_floor_f32_e32 v4, v4
	v_fma_f32 v4, 0xcf800000, v4, |v3|
	v_ashrrev_i32_e32 v3, 31, v3
	s_delay_alu instid0(VALU_DEP_2) | instskip(NEXT) | instid1(VALU_DEP_1)
	v_cvt_u32_f32_e32 v4, v4
	v_xor_b32_e32 v4, v4, v3
	s_delay_alu instid0(VALU_DEP_1)
	v_sub_nc_u32_e32 v3, v4, v3
.LBB425_851:
	s_or_b32 exec_lo, exec_lo, s6
.LBB425_852:
	s_mov_b32 s6, -1
.LBB425_853:
	s_mov_b32 s7, 0
.LBB425_854:
	s_delay_alu instid0(SALU_CYCLE_1)
	s_and_b32 vcc_lo, exec_lo, s7
	s_cbranch_vccz .LBB425_885
; %bb.855:
	v_cmp_lt_i16_e32 vcc_lo, 22, v6
	s_cbranch_vccz .LBB425_863
; %bb.856:
	v_cmp_gt_i16_e32 vcc_lo, 24, v6
	s_cbranch_vccnz .LBB425_866
; %bb.857:
	v_cmp_lt_i16_e32 vcc_lo, 24, v6
	s_cbranch_vccz .LBB425_867
; %bb.858:
	global_load_u8 v4, v[1:2], off
	s_mov_b32 s6, 0
	s_mov_b32 s3, exec_lo
                                        ; implicit-def: $sgpr7
	s_waitcnt vmcnt(0)
	v_cmpx_lt_i16_e32 0x7f, v4
	s_xor_b32 s3, exec_lo, s3
	s_cbranch_execz .LBB425_879
; %bb.859:
	v_cmp_ne_u16_e32 vcc_lo, 0x80, v4
	s_mov_b32 s7, 0
	s_and_b32 s6, vcc_lo, exec_lo
	s_or_saveexec_b32 s3, s3
	v_mov_b32_e32 v3, s7
	s_xor_b32 exec_lo, exec_lo, s3
	s_cbranch_execnz .LBB425_880
.LBB425_860:
	s_or_b32 exec_lo, exec_lo, s3
	s_and_saveexec_b32 s3, s6
	s_cbranch_execz .LBB425_862
.LBB425_861:
	v_and_b32_e32 v3, 0xffff, v4
	v_lshlrev_b32_e32 v4, 24, v4
	s_delay_alu instid0(VALU_DEP_2) | instskip(NEXT) | instid1(VALU_DEP_2)
	v_and_b32_e32 v5, 3, v3
	v_and_b32_e32 v4, 0x80000000, v4
	s_delay_alu instid0(VALU_DEP_2) | instskip(NEXT) | instid1(VALU_DEP_1)
	v_clz_i32_u32_e32 v7, v5
	v_min_u32_e32 v7, 32, v7
	s_delay_alu instid0(VALU_DEP_1) | instskip(SKIP_1) | instid1(VALU_DEP_2)
	v_subrev_nc_u32_e32 v8, 29, v7
	v_sub_nc_u32_e32 v7, 30, v7
	v_lshlrev_b32_e32 v8, v8, v3
	v_bfe_u32 v3, v3, 2, 5
	s_delay_alu instid0(VALU_DEP_1) | instskip(NEXT) | instid1(VALU_DEP_3)
	v_cmp_eq_u32_e32 vcc_lo, 0, v3
	v_dual_cndmask_b32 v3, v3, v7 :: v_dual_and_b32 v8, 3, v8
	s_delay_alu instid0(VALU_DEP_1) | instskip(NEXT) | instid1(VALU_DEP_2)
	v_cndmask_b32_e32 v5, v5, v8, vcc_lo
	v_lshl_add_u32 v3, v3, 23, 0x37800000
	s_delay_alu instid0(VALU_DEP_2) | instskip(NEXT) | instid1(VALU_DEP_1)
	v_lshlrev_b32_e32 v5, 21, v5
	v_or3_b32 v3, v4, v3, v5
	s_delay_alu instid0(VALU_DEP_1) | instskip(NEXT) | instid1(VALU_DEP_1)
	v_trunc_f32_e32 v3, v3
	v_mul_f32_e64 v4, 0x2f800000, |v3|
	s_delay_alu instid0(VALU_DEP_1) | instskip(NEXT) | instid1(VALU_DEP_1)
	v_floor_f32_e32 v4, v4
	v_fma_f32 v4, 0xcf800000, v4, |v3|
	v_ashrrev_i32_e32 v3, 31, v3
	s_delay_alu instid0(VALU_DEP_2) | instskip(NEXT) | instid1(VALU_DEP_1)
	v_cvt_u32_f32_e32 v4, v4
	v_xor_b32_e32 v4, v4, v3
	s_delay_alu instid0(VALU_DEP_1)
	v_sub_nc_u32_e32 v3, v4, v3
.LBB425_862:
	s_or_b32 exec_lo, exec_lo, s3
	s_mov_b32 s3, 0
	s_branch .LBB425_868
.LBB425_863:
	s_mov_b32 s3, -1
                                        ; implicit-def: $vgpr3
	s_branch .LBB425_874
.LBB425_864:
	s_or_saveexec_b32 s6, s6
	v_mov_b32_e32 v3, s8
	s_xor_b32 exec_lo, exec_lo, s6
	s_cbranch_execz .LBB425_849
.LBB425_865:
	v_cmp_ne_u16_e32 vcc_lo, 0, v4
	v_mov_b32_e32 v3, 0
	s_and_not1_b32 s7, s7, exec_lo
	s_and_b32 s8, vcc_lo, exec_lo
	s_delay_alu instid0(SALU_CYCLE_1)
	s_or_b32 s7, s7, s8
	s_or_b32 exec_lo, exec_lo, s6
	s_and_saveexec_b32 s6, s7
	s_cbranch_execnz .LBB425_850
	s_branch .LBB425_851
.LBB425_866:
	s_mov_b32 s3, -1
                                        ; implicit-def: $vgpr3
	s_branch .LBB425_871
.LBB425_867:
	s_mov_b32 s3, -1
                                        ; implicit-def: $vgpr3
.LBB425_868:
	s_delay_alu instid0(SALU_CYCLE_1)
	s_and_b32 vcc_lo, exec_lo, s3
	s_cbranch_vccz .LBB425_870
; %bb.869:
	global_load_u8 v3, v[1:2], off
	s_waitcnt vmcnt(0)
	v_lshlrev_b32_e32 v3, 24, v3
	s_delay_alu instid0(VALU_DEP_1) | instskip(NEXT) | instid1(VALU_DEP_1)
	v_and_b32_e32 v4, 0x7f000000, v3
	v_clz_i32_u32_e32 v5, v4
	v_add_nc_u32_e32 v8, 0x1000000, v4
	v_cmp_ne_u32_e32 vcc_lo, 0, v4
	s_delay_alu instid0(VALU_DEP_3) | instskip(NEXT) | instid1(VALU_DEP_1)
	v_min_u32_e32 v5, 32, v5
	v_sub_nc_u32_e64 v5, v5, 4 clamp
	s_delay_alu instid0(VALU_DEP_1) | instskip(SKIP_1) | instid1(VALU_DEP_2)
	v_lshlrev_b32_e32 v7, v5, v4
	v_lshlrev_b32_e32 v5, 23, v5
	v_lshrrev_b32_e32 v7, 4, v7
	s_delay_alu instid0(VALU_DEP_1) | instskip(SKIP_1) | instid1(VALU_DEP_2)
	v_sub_nc_u32_e32 v5, v7, v5
	v_ashrrev_i32_e32 v7, 8, v8
	v_add_nc_u32_e32 v5, 0x3c000000, v5
	s_delay_alu instid0(VALU_DEP_1) | instskip(NEXT) | instid1(VALU_DEP_1)
	v_and_or_b32 v5, 0x7f800000, v7, v5
	v_cndmask_b32_e32 v4, 0, v5, vcc_lo
	s_delay_alu instid0(VALU_DEP_1) | instskip(NEXT) | instid1(VALU_DEP_1)
	v_and_or_b32 v3, 0x80000000, v3, v4
	v_trunc_f32_e32 v3, v3
	s_delay_alu instid0(VALU_DEP_1) | instskip(NEXT) | instid1(VALU_DEP_1)
	v_mul_f32_e64 v4, 0x2f800000, |v3|
	v_floor_f32_e32 v4, v4
	s_delay_alu instid0(VALU_DEP_1) | instskip(SKIP_1) | instid1(VALU_DEP_2)
	v_fma_f32 v4, 0xcf800000, v4, |v3|
	v_ashrrev_i32_e32 v3, 31, v3
	v_cvt_u32_f32_e32 v4, v4
	s_delay_alu instid0(VALU_DEP_1) | instskip(NEXT) | instid1(VALU_DEP_1)
	v_xor_b32_e32 v4, v4, v3
	v_sub_nc_u32_e32 v3, v4, v3
.LBB425_870:
	s_mov_b32 s3, 0
.LBB425_871:
	s_delay_alu instid0(SALU_CYCLE_1)
	s_and_not1_b32 vcc_lo, exec_lo, s3
	s_cbranch_vccnz .LBB425_873
; %bb.872:
	global_load_u8 v3, v[1:2], off
	s_waitcnt vmcnt(0)
	v_lshlrev_b32_e32 v4, 25, v3
	v_lshlrev_b16 v3, 8, v3
	s_delay_alu instid0(VALU_DEP_2) | instskip(NEXT) | instid1(VALU_DEP_2)
	v_lshrrev_b32_e32 v5, 4, v4
	v_and_or_b32 v7, 0x7f00, v3, 0.5
	v_bfe_i32 v3, v3, 0, 16
	s_delay_alu instid0(VALU_DEP_3) | instskip(NEXT) | instid1(VALU_DEP_3)
	v_or_b32_e32 v5, 0x70000000, v5
	v_add_f32_e32 v7, -0.5, v7
	s_delay_alu instid0(VALU_DEP_2) | instskip(SKIP_1) | instid1(VALU_DEP_2)
	v_mul_f32_e32 v5, 0x7800000, v5
	v_cmp_gt_u32_e32 vcc_lo, 0x8000000, v4
	v_cndmask_b32_e32 v4, v5, v7, vcc_lo
	s_delay_alu instid0(VALU_DEP_1) | instskip(NEXT) | instid1(VALU_DEP_1)
	v_and_or_b32 v3, 0x80000000, v3, v4
	v_trunc_f32_e32 v3, v3
	s_delay_alu instid0(VALU_DEP_1) | instskip(NEXT) | instid1(VALU_DEP_1)
	v_mul_f32_e64 v4, 0x2f800000, |v3|
	v_floor_f32_e32 v4, v4
	s_delay_alu instid0(VALU_DEP_1) | instskip(SKIP_1) | instid1(VALU_DEP_2)
	v_fma_f32 v4, 0xcf800000, v4, |v3|
	v_ashrrev_i32_e32 v3, 31, v3
	v_cvt_u32_f32_e32 v4, v4
	s_delay_alu instid0(VALU_DEP_1) | instskip(NEXT) | instid1(VALU_DEP_1)
	v_xor_b32_e32 v4, v4, v3
	v_sub_nc_u32_e32 v3, v4, v3
.LBB425_873:
	s_mov_b32 s3, 0
	s_mov_b32 s6, -1
.LBB425_874:
	s_and_not1_b32 vcc_lo, exec_lo, s3
	s_mov_b32 s3, 0
	s_cbranch_vccnz .LBB425_885
; %bb.875:
	v_cmp_lt_i16_e32 vcc_lo, 14, v6
	s_cbranch_vccz .LBB425_878
; %bb.876:
	v_cmp_eq_u16_e32 vcc_lo, 15, v6
	s_cbranch_vccz .LBB425_881
; %bb.877:
	global_load_u16 v3, v[1:2], off
	s_mov_b32 s2, 0
	s_mov_b32 s6, -1
	s_waitcnt vmcnt(0)
	v_lshlrev_b32_e32 v3, 16, v3
	s_delay_alu instid0(VALU_DEP_1) | instskip(NEXT) | instid1(VALU_DEP_1)
	v_trunc_f32_e32 v3, v3
	v_mul_f32_e64 v4, 0x2f800000, |v3|
	s_delay_alu instid0(VALU_DEP_1) | instskip(NEXT) | instid1(VALU_DEP_1)
	v_floor_f32_e32 v4, v4
	v_fma_f32 v4, 0xcf800000, v4, |v3|
	v_ashrrev_i32_e32 v3, 31, v3
	s_delay_alu instid0(VALU_DEP_2) | instskip(NEXT) | instid1(VALU_DEP_1)
	v_cvt_u32_f32_e32 v4, v4
	v_xor_b32_e32 v4, v4, v3
	s_delay_alu instid0(VALU_DEP_1)
	v_sub_nc_u32_e32 v3, v4, v3
	s_branch .LBB425_883
.LBB425_878:
	s_mov_b32 s3, -1
	s_branch .LBB425_882
.LBB425_879:
	s_or_saveexec_b32 s3, s3
	v_mov_b32_e32 v3, s7
	s_xor_b32 exec_lo, exec_lo, s3
	s_cbranch_execz .LBB425_860
.LBB425_880:
	v_cmp_ne_u16_e32 vcc_lo, 0, v4
	v_mov_b32_e32 v3, 0
	s_and_not1_b32 s6, s6, exec_lo
	s_and_b32 s7, vcc_lo, exec_lo
	s_delay_alu instid0(SALU_CYCLE_1)
	s_or_b32 s6, s6, s7
	s_or_b32 exec_lo, exec_lo, s3
	s_and_saveexec_b32 s3, s6
	s_cbranch_execnz .LBB425_861
	s_branch .LBB425_862
.LBB425_881:
	s_mov_b32 s2, -1
.LBB425_882:
                                        ; implicit-def: $vgpr3
.LBB425_883:
	s_and_b32 vcc_lo, exec_lo, s3
	s_mov_b32 s3, 0
	s_cbranch_vccz .LBB425_885
; %bb.884:
	v_cmp_ne_u16_e32 vcc_lo, 11, v6
	s_and_not1_b32 s2, s2, exec_lo
	s_mov_b32 s3, -1
                                        ; implicit-def: $vgpr3
	s_and_b32 s7, vcc_lo, exec_lo
	s_delay_alu instid0(SALU_CYCLE_1)
	s_or_b32 s2, s2, s7
.LBB425_885:
	s_mov_b32 s7, 0
.LBB425_886:
	s_and_b32 s44, s6, exec_lo
	s_and_b32 s45, s7, exec_lo
	s_and_not1_b32 s6, s22, exec_lo
	s_and_b32 s7, s2, exec_lo
	s_and_b32 s2, s3, exec_lo
	s_or_b32 s46, s6, s7
.LBB425_887:
	s_or_b32 exec_lo, exec_lo, s34
	s_delay_alu instid0(SALU_CYCLE_1)
	s_and_not1_b32 s6, s22, exec_lo
	s_and_b32 s7, s46, exec_lo
	s_and_b32 s44, s44, exec_lo
	;; [unrolled: 1-line block ×4, first 2 shown]
	s_or_b32 s22, s6, s7
.LBB425_888:
	s_or_b32 exec_lo, exec_lo, s43
	s_delay_alu instid0(SALU_CYCLE_1)
	s_and_not1_b32 s6, s41, exec_lo
	s_and_b32 s7, s23, exec_lo
	s_and_b32 s43, s44, exec_lo
	s_or_b32 s41, s6, s7
	s_and_not1_b32 s6, s40, exec_lo
	s_and_b32 s7, s22, exec_lo
	s_and_b32 s23, s3, exec_lo
	s_and_b32 s3, s2, exec_lo
	s_or_b32 s40, s6, s7
.LBB425_889:
	s_or_b32 exec_lo, exec_lo, s42
	s_delay_alu instid0(SALU_CYCLE_1)
	s_and_not1_b32 s2, s37, exec_lo
	s_and_b32 s6, s41, exec_lo
	s_and_b32 s7, s40, exec_lo
	s_or_b32 s37, s2, s6
	s_and_not1_b32 s6, s38, exec_lo
	s_and_b32 s2, s43, exec_lo
	s_and_b32 s22, s23, exec_lo
	;; [unrolled: 1-line block ×3, first 2 shown]
	s_or_b32 s38, s6, s7
.LBB425_890:
	s_or_b32 exec_lo, exec_lo, s39
	s_mov_b32 s3, 0
	s_and_saveexec_b32 s6, s38
	s_cbranch_execnz .LBB425_902
; %bb.891:
	s_or_b32 exec_lo, exec_lo, s6
	s_and_saveexec_b32 s6, s40
	s_delay_alu instid0(SALU_CYCLE_1)
	s_xor_b32 s6, exec_lo, s6
	s_cbranch_execz .LBB425_893
.LBB425_892:
	global_load_u8 v3, v[1:2], off
	s_or_b32 s2, s2, exec_lo
	s_waitcnt vmcnt(0)
	v_cmp_ne_u16_e32 vcc_lo, 0, v3
	v_cndmask_b32_e64 v3, 0, 1, vcc_lo
.LBB425_893:
	s_or_b32 exec_lo, exec_lo, s6
	s_and_saveexec_b32 s6, s22
	s_cbranch_execz .LBB425_941
; %bb.894:
	v_cmp_gt_i16_e32 vcc_lo, 5, v6
	s_cbranch_vccnz .LBB425_899
; %bb.895:
	v_cmp_gt_i16_e32 vcc_lo, 8, v6
	s_cbranch_vccnz .LBB425_900
; %bb.896:
	v_cmp_gt_i16_e32 vcc_lo, 9, v6
	s_cbranch_vccnz .LBB425_901
; %bb.897:
	v_cmp_lt_i16_e32 vcc_lo, 9, v6
	s_cbranch_vccz .LBB425_904
; %bb.898:
	global_load_b64 v[3:4], v[1:2], off
	s_mov_b32 s7, 0
	s_waitcnt vmcnt(0)
	v_trunc_f64_e32 v[3:4], v[3:4]
	s_delay_alu instid0(VALU_DEP_1) | instskip(NEXT) | instid1(VALU_DEP_1)
	v_ldexp_f64 v[7:8], v[3:4], 0xffffffe0
	v_floor_f64_e32 v[7:8], v[7:8]
	s_delay_alu instid0(VALU_DEP_1) | instskip(NEXT) | instid1(VALU_DEP_1)
	v_fma_f64 v[3:4], 0xc1f00000, v[7:8], v[3:4]
	v_cvt_u32_f64_e32 v3, v[3:4]
	s_branch .LBB425_905
.LBB425_899:
                                        ; implicit-def: $vgpr3
	s_branch .LBB425_922
.LBB425_900:
                                        ; implicit-def: $vgpr3
	s_branch .LBB425_911
.LBB425_901:
	s_mov_b32 s7, -1
                                        ; implicit-def: $vgpr3
	s_branch .LBB425_908
.LBB425_902:
	s_cbranch_execnz .LBB425_1172
; %bb.903:
	s_mov_b32 s3, exec_lo
	s_and_not1_b32 s40, s40, exec_lo
                                        ; implicit-def: $vgpr3
	s_or_b32 exec_lo, exec_lo, s6
	s_and_saveexec_b32 s6, s40
	s_delay_alu instid0(SALU_CYCLE_1)
	s_xor_b32 s6, exec_lo, s6
	s_cbranch_execnz .LBB425_892
	s_branch .LBB425_893
.LBB425_904:
	s_mov_b32 s7, -1
                                        ; implicit-def: $vgpr3
.LBB425_905:
	s_delay_alu instid0(SALU_CYCLE_1)
	s_and_not1_b32 vcc_lo, exec_lo, s7
	s_cbranch_vccnz .LBB425_907
; %bb.906:
	global_load_b32 v3, v[1:2], off
	s_waitcnt vmcnt(0)
	v_trunc_f32_e32 v3, v3
	s_delay_alu instid0(VALU_DEP_1) | instskip(NEXT) | instid1(VALU_DEP_1)
	v_mul_f32_e64 v4, 0x2f800000, |v3|
	v_floor_f32_e32 v4, v4
	s_delay_alu instid0(VALU_DEP_1) | instskip(SKIP_1) | instid1(VALU_DEP_2)
	v_fma_f32 v4, 0xcf800000, v4, |v3|
	v_ashrrev_i32_e32 v3, 31, v3
	v_cvt_u32_f32_e32 v4, v4
	s_delay_alu instid0(VALU_DEP_1) | instskip(NEXT) | instid1(VALU_DEP_1)
	v_xor_b32_e32 v4, v4, v3
	v_sub_nc_u32_e32 v3, v4, v3
.LBB425_907:
	s_mov_b32 s7, 0
.LBB425_908:
	s_delay_alu instid0(SALU_CYCLE_1)
	s_and_not1_b32 vcc_lo, exec_lo, s7
	s_cbranch_vccnz .LBB425_910
; %bb.909:
	global_load_b32 v3, v[1:2], off
	s_waitcnt vmcnt(0)
	v_cvt_f32_f16_e32 v3, v3
	s_delay_alu instid0(VALU_DEP_1)
	v_cvt_i32_f32_e32 v3, v3
.LBB425_910:
	s_cbranch_execnz .LBB425_921
.LBB425_911:
	v_cmp_gt_i16_e32 vcc_lo, 6, v6
	s_cbranch_vccnz .LBB425_914
; %bb.912:
	v_cmp_lt_i16_e32 vcc_lo, 6, v6
	s_cbranch_vccz .LBB425_915
; %bb.913:
	global_load_b64 v[3:4], v[1:2], off
	s_mov_b32 s7, 0
	s_waitcnt vmcnt(0)
	v_trunc_f64_e32 v[3:4], v[3:4]
	s_delay_alu instid0(VALU_DEP_1) | instskip(NEXT) | instid1(VALU_DEP_1)
	v_ldexp_f64 v[7:8], v[3:4], 0xffffffe0
	v_floor_f64_e32 v[7:8], v[7:8]
	s_delay_alu instid0(VALU_DEP_1) | instskip(NEXT) | instid1(VALU_DEP_1)
	v_fma_f64 v[3:4], 0xc1f00000, v[7:8], v[3:4]
	v_cvt_u32_f64_e32 v3, v[3:4]
	s_branch .LBB425_916
.LBB425_914:
	s_mov_b32 s7, -1
                                        ; implicit-def: $vgpr3
	s_branch .LBB425_919
.LBB425_915:
	s_mov_b32 s7, -1
                                        ; implicit-def: $vgpr3
.LBB425_916:
	s_delay_alu instid0(SALU_CYCLE_1)
	s_and_not1_b32 vcc_lo, exec_lo, s7
	s_cbranch_vccnz .LBB425_918
; %bb.917:
	global_load_b32 v3, v[1:2], off
	s_waitcnt vmcnt(0)
	v_trunc_f32_e32 v3, v3
	s_delay_alu instid0(VALU_DEP_1) | instskip(NEXT) | instid1(VALU_DEP_1)
	v_mul_f32_e64 v4, 0x2f800000, |v3|
	v_floor_f32_e32 v4, v4
	s_delay_alu instid0(VALU_DEP_1) | instskip(SKIP_1) | instid1(VALU_DEP_2)
	v_fma_f32 v4, 0xcf800000, v4, |v3|
	v_ashrrev_i32_e32 v3, 31, v3
	v_cvt_u32_f32_e32 v4, v4
	s_delay_alu instid0(VALU_DEP_1) | instskip(NEXT) | instid1(VALU_DEP_1)
	v_xor_b32_e32 v4, v4, v3
	v_sub_nc_u32_e32 v3, v4, v3
.LBB425_918:
	s_mov_b32 s7, 0
.LBB425_919:
	s_delay_alu instid0(SALU_CYCLE_1)
	s_and_not1_b32 vcc_lo, exec_lo, s7
	s_cbranch_vccnz .LBB425_921
; %bb.920:
	global_load_u16 v3, v[1:2], off
	s_waitcnt vmcnt(0)
	v_cvt_f32_f16_e32 v3, v3
	s_delay_alu instid0(VALU_DEP_1)
	v_cvt_i32_f32_e32 v3, v3
.LBB425_921:
	s_cbranch_execnz .LBB425_940
.LBB425_922:
	v_cmp_gt_i16_e32 vcc_lo, 2, v6
	s_cbranch_vccnz .LBB425_926
; %bb.923:
	v_cmp_gt_i16_e32 vcc_lo, 3, v6
	s_cbranch_vccnz .LBB425_927
; %bb.924:
	v_cmp_lt_i16_e32 vcc_lo, 3, v6
	s_cbranch_vccz .LBB425_928
; %bb.925:
	global_load_b64 v[3:4], v[1:2], off
	s_mov_b32 s7, 0
	s_branch .LBB425_929
.LBB425_926:
                                        ; implicit-def: $vgpr3
	s_branch .LBB425_935
.LBB425_927:
	s_mov_b32 s7, -1
                                        ; implicit-def: $vgpr3
	s_branch .LBB425_932
.LBB425_928:
	s_mov_b32 s7, -1
                                        ; implicit-def: $vgpr3
.LBB425_929:
	s_delay_alu instid0(SALU_CYCLE_1)
	s_and_not1_b32 vcc_lo, exec_lo, s7
	s_cbranch_vccnz .LBB425_931
; %bb.930:
	global_load_b32 v3, v[1:2], off
.LBB425_931:
	s_mov_b32 s7, 0
.LBB425_932:
	s_delay_alu instid0(SALU_CYCLE_1)
	s_and_not1_b32 vcc_lo, exec_lo, s7
	s_cbranch_vccnz .LBB425_934
; %bb.933:
	global_load_u16 v3, v[1:2], off
.LBB425_934:
	s_cbranch_execnz .LBB425_940
.LBB425_935:
	v_cmp_lt_i16_e32 vcc_lo, 0, v6
	s_mov_b32 s7, 0
	s_cbranch_vccz .LBB425_937
; %bb.936:
	global_load_u8 v3, v[1:2], off
	s_branch .LBB425_938
.LBB425_937:
	s_mov_b32 s7, -1
                                        ; implicit-def: $vgpr3
.LBB425_938:
	s_delay_alu instid0(SALU_CYCLE_1)
	s_and_not1_b32 vcc_lo, exec_lo, s7
	s_cbranch_vccnz .LBB425_940
; %bb.939:
	global_load_u8 v3, v[1:2], off
.LBB425_940:
	s_or_b32 s2, s2, exec_lo
.LBB425_941:
	s_or_b32 exec_lo, exec_lo, s6
	s_mov_b32 s8, 0
	s_mov_b32 s7, 0
                                        ; implicit-def: $vgpr5
                                        ; implicit-def: $vgpr1_vgpr2
                                        ; implicit-def: $vgpr4
	s_and_saveexec_b32 s6, s2
	s_cbranch_execz .LBB425_1018
; %bb.942:
	v_and_b32_e64 v1, 0xff, s29
	s_waitcnt vmcnt(0)
	s_delay_alu instid0(VALU_DEP_2) | instskip(SKIP_1) | instid1(VALU_DEP_2)
	v_and_b32_e32 v2, 0xff, v3
	v_and_b32_e64 v5, 0xff, s30
	v_min_u16 v4, v2, v1
	s_delay_alu instid0(VALU_DEP_2) | instskip(SKIP_1) | instid1(VALU_DEP_1)
	v_cmp_gt_i16_e32 vcc_lo, 11, v5
	v_add_co_u32 v1, s2, s4, v0
	v_add_co_ci_u32_e64 v2, null, s5, 0, s2
	s_mov_b32 s4, -1
	s_mov_b32 s2, s37
	s_cbranch_vccnz .LBB425_1017
; %bb.943:
	v_cmp_lt_i16_e32 vcc_lo, 25, v5
	s_mov_b32 s2, s37
	s_cbranch_vccz .LBB425_976
; %bb.944:
	v_cmp_lt_i16_e32 vcc_lo, 28, v5
	s_mov_b32 s2, s37
	s_cbranch_vccz .LBB425_960
	;; [unrolled: 4-line block ×4, first 2 shown]
; %bb.947:
	v_cmp_eq_u16_e32 vcc_lo, 46, v5
	s_mov_b32 s2, -1
	s_cbranch_vccz .LBB425_949
; %bb.948:
	v_cvt_f32_ubyte0_e32 v0, v4
	s_mov_b32 s2, 0
	s_delay_alu instid0(VALU_DEP_1) | instskip(NEXT) | instid1(VALU_DEP_1)
	v_bfe_u32 v3, v0, 16, 1
	v_add3_u32 v0, v0, v3, 0x7fff
	s_delay_alu instid0(VALU_DEP_1)
	v_lshrrev_b32_e32 v0, 16, v0
	global_store_b32 v[1:2], v0, off
.LBB425_949:
	s_mov_b32 s4, 0
.LBB425_950:
	s_delay_alu instid0(SALU_CYCLE_1)
	s_and_b32 vcc_lo, exec_lo, s4
	s_cbranch_vccz .LBB425_955
; %bb.951:
	v_cmp_eq_u16_e32 vcc_lo, 44, v5
	s_mov_b32 s2, -1
	s_cbranch_vccz .LBB425_955
; %bb.952:
	v_cvt_f32_ubyte0_e32 v6, v4
	v_mov_b32_e32 v3, 0xff
	s_mov_b32 s4, exec_lo
	s_delay_alu instid0(VALU_DEP_2) | instskip(NEXT) | instid1(VALU_DEP_1)
	v_lshrrev_b32_e32 v0, 23, v6
	v_cmpx_ne_u32_e32 0xff, v0
; %bb.953:
	v_and_b32_e32 v3, 0x400000, v6
	v_and_or_b32 v6, 0x3fffff, v6, v0
	s_delay_alu instid0(VALU_DEP_2) | instskip(NEXT) | instid1(VALU_DEP_2)
	v_cmp_ne_u32_e32 vcc_lo, 0, v3
	v_cmp_ne_u32_e64 s2, 0, v6
	s_delay_alu instid0(VALU_DEP_1) | instskip(NEXT) | instid1(SALU_CYCLE_1)
	s_and_b32 s2, vcc_lo, s2
	v_cndmask_b32_e64 v3, 0, 1, s2
	s_delay_alu instid0(VALU_DEP_1)
	v_add_nc_u32_e32 v3, v0, v3
; %bb.954:
	s_or_b32 exec_lo, exec_lo, s4
	s_mov_b32 s2, 0
	global_store_b8 v[1:2], v3, off
.LBB425_955:
	s_mov_b32 s4, 0
.LBB425_956:
	s_delay_alu instid0(SALU_CYCLE_1)
	s_and_b32 vcc_lo, exec_lo, s4
	s_cbranch_vccz .LBB425_959
; %bb.957:
	v_cmp_eq_u16_e32 vcc_lo, 29, v5
	s_mov_b32 s2, -1
	s_cbranch_vccz .LBB425_959
; %bb.958:
	s_mov_b32 s2, 0
	s_delay_alu instid0(SALU_CYCLE_1)
	v_dual_mov_b32 v7, s2 :: v_dual_and_b32 v6, 0xffff, v4
	global_store_b64 v[1:2], v[6:7], off
.LBB425_959:
	s_mov_b32 s4, 0
.LBB425_960:
	s_delay_alu instid0(SALU_CYCLE_1)
	s_and_b32 vcc_lo, exec_lo, s4
	s_cbranch_vccz .LBB425_975
; %bb.961:
	v_cmp_gt_i16_e32 vcc_lo, 27, v5
	s_mov_b32 s4, -1
	s_cbranch_vccnz .LBB425_967
; %bb.962:
	v_cmp_lt_i16_e32 vcc_lo, 27, v5
	s_cbranch_vccz .LBB425_964
; %bb.963:
	v_and_b32_e32 v0, 0xffff, v4
	s_mov_b32 s4, 0
	global_store_b32 v[1:2], v0, off
.LBB425_964:
	s_and_not1_b32 vcc_lo, exec_lo, s4
	s_cbranch_vccnz .LBB425_966
; %bb.965:
	global_store_b16 v[1:2], v4, off
.LBB425_966:
	s_mov_b32 s4, 0
.LBB425_967:
	s_delay_alu instid0(SALU_CYCLE_1)
	s_and_not1_b32 vcc_lo, exec_lo, s4
	s_cbranch_vccnz .LBB425_975
; %bb.968:
	v_cvt_f32_ubyte0_e32 v3, v4
	v_mov_b32_e32 v6, 0x80
	s_mov_b32 s4, exec_lo
	s_delay_alu instid0(VALU_DEP_2)
	v_cmpx_gt_u32_e32 0x43800000, v3
	s_cbranch_execz .LBB425_974
; %bb.969:
	s_mov_b32 s5, 0
	s_mov_b32 s7, exec_lo
                                        ; implicit-def: $vgpr0
	v_cmpx_lt_u32_e32 0x3bffffff, v3
	s_xor_b32 s7, exec_lo, s7
	s_cbranch_execz .LBB425_1258
; %bb.970:
	v_bfe_u32 v0, v3, 20, 1
	s_mov_b32 s5, exec_lo
	s_delay_alu instid0(VALU_DEP_1) | instskip(NEXT) | instid1(VALU_DEP_1)
	v_add3_u32 v0, v3, v0, 0x487ffff
                                        ; implicit-def: $vgpr3
	v_lshrrev_b32_e32 v0, 20, v0
	s_or_saveexec_b32 s7, s7
                                        ; implicit-def: $sgpr8
	s_delay_alu instid0(SALU_CYCLE_1)
	s_xor_b32 exec_lo, exec_lo, s7
	s_cbranch_execnz .LBB425_1259
.LBB425_971:
	s_or_b32 exec_lo, exec_lo, s7
	v_mov_b32_e32 v6, s8
	s_and_saveexec_b32 s7, s5
.LBB425_972:
	v_mov_b32_e32 v6, v0
.LBB425_973:
	s_or_b32 exec_lo, exec_lo, s7
.LBB425_974:
	s_delay_alu instid0(SALU_CYCLE_1)
	s_or_b32 exec_lo, exec_lo, s4
	global_store_b8 v[1:2], v6, off
.LBB425_975:
	s_mov_b32 s4, 0
.LBB425_976:
	s_delay_alu instid0(SALU_CYCLE_1)
	s_and_b32 vcc_lo, exec_lo, s4
	s_mov_b32 s4, 0
	s_cbranch_vccz .LBB425_1016
; %bb.977:
	v_cmp_lt_i16_e32 vcc_lo, 22, v5
	s_mov_b32 s5, -1
	s_cbranch_vccz .LBB425_1009
; %bb.978:
	v_cmp_gt_i16_e32 vcc_lo, 24, v5
	s_cbranch_vccnz .LBB425_998
; %bb.979:
	v_cmp_lt_i16_e32 vcc_lo, 24, v5
	s_cbranch_vccz .LBB425_987
; %bb.980:
	v_cvt_f32_ubyte0_e32 v3, v4
	v_mov_b32_e32 v6, 0x80
	s_mov_b32 s5, exec_lo
	s_delay_alu instid0(VALU_DEP_2)
	v_cmpx_gt_u32_e32 0x47800000, v3
	s_cbranch_execz .LBB425_986
; %bb.981:
	s_mov_b32 s7, 0
	s_mov_b32 s8, exec_lo
                                        ; implicit-def: $vgpr0
	v_cmpx_lt_u32_e32 0x37ffffff, v3
	s_xor_b32 s8, exec_lo, s8
	s_cbranch_execz .LBB425_1302
; %bb.982:
	v_bfe_u32 v0, v3, 21, 1
	s_mov_b32 s7, exec_lo
	s_delay_alu instid0(VALU_DEP_1) | instskip(NEXT) | instid1(VALU_DEP_1)
	v_add3_u32 v0, v3, v0, 0x88fffff
                                        ; implicit-def: $vgpr3
	v_lshrrev_b32_e32 v0, 21, v0
	s_or_saveexec_b32 s8, s8
                                        ; implicit-def: $sgpr9
	s_delay_alu instid0(SALU_CYCLE_1)
	s_xor_b32 exec_lo, exec_lo, s8
	s_cbranch_execnz .LBB425_1303
.LBB425_983:
	s_or_b32 exec_lo, exec_lo, s8
	v_mov_b32_e32 v6, s9
	s_and_saveexec_b32 s8, s7
.LBB425_984:
	v_mov_b32_e32 v6, v0
.LBB425_985:
	s_or_b32 exec_lo, exec_lo, s8
.LBB425_986:
	s_delay_alu instid0(SALU_CYCLE_1)
	s_or_b32 exec_lo, exec_lo, s5
	s_mov_b32 s5, 0
	global_store_b8 v[1:2], v6, off
.LBB425_987:
	s_and_b32 vcc_lo, exec_lo, s5
	s_cbranch_vccz .LBB425_997
; %bb.988:
	v_cvt_f32_ubyte0_e32 v3, v4
	s_mov_b32 s5, exec_lo
                                        ; implicit-def: $vgpr0
	s_delay_alu instid0(VALU_DEP_1)
	v_cmpx_gt_u32_e32 0x43f00000, v3
	s_xor_b32 s5, exec_lo, s5
	s_cbranch_execz .LBB425_994
; %bb.989:
	s_mov_b32 s7, exec_lo
                                        ; implicit-def: $vgpr0
	v_cmpx_lt_u32_e32 0x3c7fffff, v3
	s_xor_b32 s7, exec_lo, s7
; %bb.990:
	v_bfe_u32 v0, v3, 20, 1
	s_delay_alu instid0(VALU_DEP_1) | instskip(NEXT) | instid1(VALU_DEP_1)
	v_add3_u32 v0, v3, v0, 0x407ffff
	v_and_b32_e32 v3, 0xff00000, v0
	v_lshrrev_b32_e32 v0, 20, v0
	s_delay_alu instid0(VALU_DEP_2) | instskip(NEXT) | instid1(VALU_DEP_2)
	v_cmp_ne_u32_e32 vcc_lo, 0x7f00000, v3
                                        ; implicit-def: $vgpr3
	v_cndmask_b32_e32 v0, 0x7e, v0, vcc_lo
; %bb.991:
	s_and_not1_saveexec_b32 s7, s7
; %bb.992:
	v_add_f32_e32 v0, 0x46800000, v3
; %bb.993:
	s_or_b32 exec_lo, exec_lo, s7
                                        ; implicit-def: $vgpr3
.LBB425_994:
	s_and_not1_saveexec_b32 s5, s5
; %bb.995:
	v_mov_b32_e32 v0, 0x7f
	v_cmp_lt_u32_e32 vcc_lo, 0x7f800000, v3
	s_delay_alu instid0(VALU_DEP_2)
	v_cndmask_b32_e32 v0, 0x7e, v0, vcc_lo
; %bb.996:
	s_or_b32 exec_lo, exec_lo, s5
	global_store_b8 v[1:2], v0, off
.LBB425_997:
	s_mov_b32 s5, 0
.LBB425_998:
	s_delay_alu instid0(SALU_CYCLE_1)
	s_and_not1_b32 vcc_lo, exec_lo, s5
	s_cbranch_vccnz .LBB425_1008
; %bb.999:
	v_cvt_f32_ubyte0_e32 v3, v4
	s_mov_b32 s5, exec_lo
                                        ; implicit-def: $vgpr0
	s_delay_alu instid0(VALU_DEP_1)
	v_cmpx_gt_u32_e32 0x47800000, v3
	s_xor_b32 s5, exec_lo, s5
	s_cbranch_execz .LBB425_1005
; %bb.1000:
	s_mov_b32 s7, exec_lo
                                        ; implicit-def: $vgpr0
	v_cmpx_lt_u32_e32 0x387fffff, v3
	s_xor_b32 s7, exec_lo, s7
; %bb.1001:
	v_bfe_u32 v0, v3, 21, 1
	s_delay_alu instid0(VALU_DEP_1) | instskip(NEXT) | instid1(VALU_DEP_1)
	v_add3_u32 v0, v3, v0, 0x80fffff
                                        ; implicit-def: $vgpr3
	v_lshrrev_b32_e32 v0, 21, v0
; %bb.1002:
	s_and_not1_saveexec_b32 s7, s7
; %bb.1003:
	v_add_f32_e32 v0, 0x43000000, v3
; %bb.1004:
	s_or_b32 exec_lo, exec_lo, s7
                                        ; implicit-def: $vgpr3
.LBB425_1005:
	s_and_not1_saveexec_b32 s5, s5
; %bb.1006:
	v_mov_b32_e32 v0, 0x7f
	v_cmp_lt_u32_e32 vcc_lo, 0x7f800000, v3
	s_delay_alu instid0(VALU_DEP_2)
	v_cndmask_b32_e32 v0, 0x7c, v0, vcc_lo
; %bb.1007:
	s_or_b32 exec_lo, exec_lo, s5
	global_store_b8 v[1:2], v0, off
.LBB425_1008:
	s_mov_b32 s5, 0
.LBB425_1009:
	s_delay_alu instid0(SALU_CYCLE_1)
	s_and_not1_b32 vcc_lo, exec_lo, s5
	s_mov_b32 s8, 0
	s_cbranch_vccnz .LBB425_1017
; %bb.1010:
	v_cmp_lt_i16_e32 vcc_lo, 14, v5
	s_mov_b32 s5, -1
	s_cbranch_vccz .LBB425_1014
; %bb.1011:
	v_cmp_eq_u16_e32 vcc_lo, 15, v5
	s_mov_b32 s2, -1
	s_cbranch_vccz .LBB425_1013
; %bb.1012:
	v_cvt_f32_ubyte0_e32 v0, v4
	s_mov_b32 s2, 0
	s_delay_alu instid0(VALU_DEP_1) | instskip(NEXT) | instid1(VALU_DEP_1)
	v_bfe_u32 v3, v0, 16, 1
	v_add3_u32 v0, v0, v3, 0x7fff
	global_store_d16_hi_b16 v[1:2], v0, off
.LBB425_1013:
	s_mov_b32 s5, 0
.LBB425_1014:
	s_delay_alu instid0(SALU_CYCLE_1)
	s_and_b32 vcc_lo, exec_lo, s5
	s_cbranch_vccz .LBB425_1017
; %bb.1015:
	v_cmp_ne_u16_e32 vcc_lo, 11, v5
	s_and_not1_b32 s2, s2, exec_lo
	s_mov_b32 s8, -1
	s_and_b32 s5, vcc_lo, exec_lo
	s_delay_alu instid0(SALU_CYCLE_1)
	s_or_b32 s2, s2, s5
	s_branch .LBB425_1017
.LBB425_1016:
	s_mov_b32 s8, 0
.LBB425_1017:
	s_and_b32 s7, s4, exec_lo
	s_and_not1_b32 s4, s37, exec_lo
	s_and_b32 s2, s2, exec_lo
	s_and_b32 s8, s8, exec_lo
	s_or_b32 s37, s4, s2
.LBB425_1018:
	s_or_b32 exec_lo, exec_lo, s6
	s_and_saveexec_b32 s2, s37
	s_cbranch_execnz .LBB425_1132
; %bb.1019:
	s_or_b32 exec_lo, exec_lo, s2
	s_and_saveexec_b32 s2, s8
	s_delay_alu instid0(SALU_CYCLE_1)
	s_xor_b32 s2, exec_lo, s2
	s_cbranch_execz .LBB425_1021
.LBB425_1020:
	s_waitcnt vmcnt(0)
	v_and_b32_e32 v0, 0xff, v4
	s_delay_alu instid0(VALU_DEP_1)
	v_cmp_ne_u16_e32 vcc_lo, 0, v0
	v_cndmask_b32_e64 v0, 0, 1, vcc_lo
	global_store_b8 v[1:2], v0, off
.LBB425_1021:
	s_or_b32 exec_lo, exec_lo, s2
	s_and_saveexec_b32 s2, s7
	s_delay_alu instid0(SALU_CYCLE_1)
	s_xor_b32 s2, exec_lo, s2
	s_cbranch_execz .LBB425_1059
; %bb.1022:
	v_cmp_gt_i16_e32 vcc_lo, 5, v5
	s_mov_b32 s4, -1
	s_cbranch_vccnz .LBB425_1043
; %bb.1023:
	v_cmp_gt_i16_e32 vcc_lo, 8, v5
	s_cbranch_vccnz .LBB425_1033
; %bb.1024:
	v_cmp_gt_i16_e32 vcc_lo, 9, v5
	s_cbranch_vccnz .LBB425_1030
; %bb.1025:
	v_cmp_lt_i16_e32 vcc_lo, 9, v5
	s_cbranch_vccz .LBB425_1027
; %bb.1026:
	v_mov_b32_e32 v8, 0
	s_waitcnt vmcnt(0)
	v_and_b32_e32 v0, 0xff, v4
	s_mov_b32 s4, 0
	s_delay_alu instid0(VALU_DEP_1) | instskip(NEXT) | instid1(VALU_DEP_1)
	v_dual_mov_b32 v9, v8 :: v_dual_and_b32 v0, 0xffff, v0
	v_cvt_f64_u32_e32 v[6:7], v0
	global_store_b128 v[1:2], v[6:9], off
.LBB425_1027:
	s_and_not1_b32 vcc_lo, exec_lo, s4
	s_cbranch_vccnz .LBB425_1029
; %bb.1028:
	s_waitcnt vmcnt(0)
	v_cvt_f32_ubyte0_e32 v6, v4
	v_mov_b32_e32 v7, 0
	global_store_b64 v[1:2], v[6:7], off
.LBB425_1029:
	s_mov_b32 s4, 0
.LBB425_1030:
	s_delay_alu instid0(SALU_CYCLE_1)
	s_and_not1_b32 vcc_lo, exec_lo, s4
	s_cbranch_vccnz .LBB425_1032
; %bb.1031:
	s_waitcnt vmcnt(0)
	v_and_b32_e32 v0, 0xff, v4
	s_delay_alu instid0(VALU_DEP_1) | instskip(NEXT) | instid1(VALU_DEP_1)
	v_cvt_f16_u16_e32 v0, v0
	v_and_b32_e32 v0, 0xffff, v0
	global_store_b32 v[1:2], v0, off
.LBB425_1032:
	s_mov_b32 s4, 0
.LBB425_1033:
	s_delay_alu instid0(SALU_CYCLE_1)
	s_and_not1_b32 vcc_lo, exec_lo, s4
	s_cbranch_vccnz .LBB425_1042
; %bb.1034:
	v_cmp_gt_i16_e32 vcc_lo, 6, v5
	s_mov_b32 s4, -1
	s_cbranch_vccnz .LBB425_1040
; %bb.1035:
	v_cmp_lt_i16_e32 vcc_lo, 6, v5
	s_cbranch_vccz .LBB425_1037
; %bb.1036:
	s_waitcnt vmcnt(0)
	v_and_b32_e32 v0, 0xff, v4
	s_mov_b32 s4, 0
	s_delay_alu instid0(VALU_DEP_1) | instskip(NEXT) | instid1(VALU_DEP_1)
	v_and_b32_e32 v0, 0xffff, v0
	v_cvt_f64_u32_e32 v[6:7], v0
	global_store_b64 v[1:2], v[6:7], off
.LBB425_1037:
	s_and_not1_b32 vcc_lo, exec_lo, s4
	s_cbranch_vccnz .LBB425_1039
; %bb.1038:
	s_waitcnt vmcnt(0)
	v_cvt_f32_ubyte0_e32 v0, v4
	global_store_b32 v[1:2], v0, off
.LBB425_1039:
	s_mov_b32 s4, 0
.LBB425_1040:
	s_delay_alu instid0(SALU_CYCLE_1)
	s_and_not1_b32 vcc_lo, exec_lo, s4
	s_cbranch_vccnz .LBB425_1042
; %bb.1041:
	s_waitcnt vmcnt(0)
	v_and_b32_e32 v0, 0xff, v4
	s_delay_alu instid0(VALU_DEP_1)
	v_cvt_f16_u16_e32 v0, v0
	global_store_b16 v[1:2], v0, off
.LBB425_1042:
	s_mov_b32 s4, 0
.LBB425_1043:
	s_delay_alu instid0(SALU_CYCLE_1)
	s_and_not1_b32 vcc_lo, exec_lo, s4
	s_cbranch_vccnz .LBB425_1059
; %bb.1044:
	v_cmp_gt_i16_e32 vcc_lo, 2, v5
	s_mov_b32 s4, -1
	s_cbranch_vccnz .LBB425_1054
; %bb.1045:
	v_cmp_gt_i16_e32 vcc_lo, 3, v5
	s_cbranch_vccnz .LBB425_1051
; %bb.1046:
	v_cmp_lt_i16_e32 vcc_lo, 3, v5
	s_cbranch_vccz .LBB425_1048
; %bb.1047:
	s_waitcnt vmcnt(0)
	v_dual_mov_b32 v7, 0 :: v_dual_and_b32 v6, 0xff, v4
	s_mov_b32 s4, 0
	global_store_b64 v[1:2], v[6:7], off
.LBB425_1048:
	s_and_not1_b32 vcc_lo, exec_lo, s4
	s_cbranch_vccnz .LBB425_1050
; %bb.1049:
	s_waitcnt vmcnt(0)
	v_and_b32_e32 v0, 0xff, v4
	global_store_b32 v[1:2], v0, off
.LBB425_1050:
	s_mov_b32 s4, 0
.LBB425_1051:
	s_delay_alu instid0(SALU_CYCLE_1)
	s_and_not1_b32 vcc_lo, exec_lo, s4
	s_cbranch_vccnz .LBB425_1053
; %bb.1052:
	s_waitcnt vmcnt(0)
	v_and_b32_e32 v0, 0xff, v4
	global_store_b16 v[1:2], v0, off
.LBB425_1053:
	s_mov_b32 s4, 0
.LBB425_1054:
	s_delay_alu instid0(SALU_CYCLE_1)
	s_and_not1_b32 vcc_lo, exec_lo, s4
	s_cbranch_vccnz .LBB425_1059
; %bb.1055:
	v_cmp_lt_i16_e32 vcc_lo, 0, v5
	s_mov_b32 s4, -1
	s_cbranch_vccz .LBB425_1057
; %bb.1056:
	s_mov_b32 s4, 0
	s_waitcnt vmcnt(0)
	global_store_b8 v[1:2], v4, off
.LBB425_1057:
	s_and_not1_b32 vcc_lo, exec_lo, s4
	s_cbranch_vccnz .LBB425_1059
; %bb.1058:
	s_waitcnt vmcnt(0)
	global_store_b8 v[1:2], v4, off
.LBB425_1059:
	s_or_b32 exec_lo, exec_lo, s2
	s_delay_alu instid0(SALU_CYCLE_1)
	s_and_b32 s8, s3, exec_lo
                                        ; implicit-def: $vgpr9
                                        ; implicit-def: $vgpr5
.LBB425_1060:
	s_or_saveexec_b32 s9, s28
	s_mov_b32 s3, 0
                                        ; implicit-def: $vgpr0_vgpr1
                                        ; implicit-def: $vgpr8
                                        ; implicit-def: $vgpr2
	s_xor_b32 exec_lo, exec_lo, s9
	s_cbranch_execz .LBB425_2059
; %bb.1061:
	v_cndmask_b32_e64 v0, 0, 1, s27
	s_and_not1_b32 vcc_lo, exec_lo, s27
	s_cbranch_vccnz .LBB425_1067
; %bb.1062:
	s_waitcnt vmcnt(0)
	v_dual_mov_b32 v3, 0 :: v_dual_mov_b32 v4, 0
	s_cmp_lg_u32 s24, 0
	s_mov_b32 s6, 0
	s_cbranch_scc0 .LBB425_1071
; %bb.1063:
	s_min_u32 s7, s25, 15
	v_mov_b32_e32 v3, 0
	s_add_i32 s7, s7, 1
	s_cmp_eq_u32 s25, 2
	s_mov_b32 s10, 0
	s_cbranch_scc1 .LBB425_1068
; %bb.1064:
	v_dual_mov_b32 v4, 0 :: v_dual_mov_b32 v3, 0
	v_mov_b32_e32 v1, v5
	s_add_u32 s2, s16, 0xc4
	s_addc_u32 s3, s17, 0
	s_and_b32 s10, s7, 28
	s_mov_b32 s11, 0
	s_mov_b64 s[4:5], s[16:17]
.LBB425_1065:                           ; =>This Inner Loop Header: Depth=1
	s_clause 0x1
	s_load_b256 s[36:43], s[4:5], 0x4
	s_load_b128 s[12:15], s[4:5], 0x24
	s_load_b256 s[44:51], s[2:3], 0x0
	s_add_u32 s4, s4, 48
	s_addc_u32 s5, s5, 0
	s_add_i32 s11, s11, 4
	s_add_u32 s2, s2, 32
	s_addc_u32 s3, s3, 0
	s_cmp_lg_u32 s10, s11
	s_waitcnt lgkmcnt(0)
	v_mul_hi_u32 v2, s37, v1
	s_delay_alu instid0(VALU_DEP_1) | instskip(NEXT) | instid1(VALU_DEP_1)
	v_add_nc_u32_e32 v2, v1, v2
	v_lshrrev_b32_e32 v2, s38, v2
	s_delay_alu instid0(VALU_DEP_1) | instskip(SKIP_1) | instid1(VALU_DEP_2)
	v_mul_hi_u32 v6, s40, v2
	v_mul_lo_u32 v8, v2, s36
	v_add_nc_u32_e32 v6, v2, v6
	s_delay_alu instid0(VALU_DEP_2) | instskip(NEXT) | instid1(VALU_DEP_2)
	v_sub_nc_u32_e32 v1, v1, v8
	v_lshrrev_b32_e32 v6, s41, v6
	s_delay_alu instid0(VALU_DEP_2) | instskip(SKIP_1) | instid1(VALU_DEP_3)
	v_mul_lo_u32 v8, v1, s44
	v_mul_lo_u32 v11, v1, s45
	v_mul_hi_u32 v7, s43, v6
	s_delay_alu instid0(VALU_DEP_1) | instskip(NEXT) | instid1(VALU_DEP_1)
	v_add_nc_u32_e32 v7, v6, v7
	v_lshrrev_b32_e32 v7, s12, v7
	s_delay_alu instid0(VALU_DEP_1) | instskip(SKIP_1) | instid1(VALU_DEP_2)
	v_mul_hi_u32 v10, s14, v7
	v_mul_lo_u32 v12, v7, s42
	v_add_nc_u32_e32 v1, v7, v10
	v_mul_lo_u32 v10, v6, s39
	s_delay_alu instid0(VALU_DEP_3) | instskip(NEXT) | instid1(VALU_DEP_3)
	v_sub_nc_u32_e32 v6, v6, v12
	v_lshrrev_b32_e32 v1, s15, v1
	s_delay_alu instid0(VALU_DEP_2) | instskip(SKIP_2) | instid1(VALU_DEP_4)
	v_mul_lo_u32 v12, v6, s48
	v_mul_lo_u32 v6, v6, s49
	v_sub_nc_u32_e32 v2, v2, v10
	v_mul_lo_u32 v13, v1, s13
	s_delay_alu instid0(VALU_DEP_2) | instskip(SKIP_1) | instid1(VALU_DEP_3)
	v_mul_lo_u32 v10, v2, s46
	v_mul_lo_u32 v2, v2, s47
	v_sub_nc_u32_e32 v7, v7, v13
	s_delay_alu instid0(VALU_DEP_3) | instskip(NEXT) | instid1(VALU_DEP_2)
	v_add3_u32 v3, v8, v3, v10
	v_mul_lo_u32 v13, v7, s50
	v_mul_lo_u32 v7, v7, s51
	v_add3_u32 v2, v11, v4, v2
	s_delay_alu instid0(VALU_DEP_3) | instskip(NEXT) | instid1(VALU_DEP_2)
	v_add3_u32 v3, v12, v3, v13
	v_add3_u32 v4, v6, v2, v7
	s_cbranch_scc1 .LBB425_1065
; %bb.1066:
	s_and_b32 s7, s7, 3
	s_delay_alu instid0(SALU_CYCLE_1)
	s_cmp_eq_u32 s7, 0
	s_cbranch_scc0 .LBB425_1069
	s_branch .LBB425_1071
.LBB425_1067:
	s_mov_b32 s6, -1
                                        ; implicit-def: $vgpr3
                                        ; implicit-def: $vgpr4
	s_branch .LBB425_1071
.LBB425_1068:
	v_dual_mov_b32 v1, v5 :: v_dual_mov_b32 v4, 0
	s_and_b32 s7, s7, 3
	s_delay_alu instid0(SALU_CYCLE_1)
	s_cmp_eq_u32 s7, 0
	s_cbranch_scc1 .LBB425_1071
.LBB425_1069:
	s_lshl_b32 s2, s10, 3
	s_mul_i32 s4, s10, 12
	s_add_u32 s2, s2, s16
	s_addc_u32 s3, 0, s17
	s_add_u32 s2, s2, 0xc4
	s_addc_u32 s3, s3, 0
	s_add_u32 s4, s16, s4
	s_addc_u32 s5, 0, s17
	.p2align	6
.LBB425_1070:                           ; =>This Inner Loop Header: Depth=1
	s_clause 0x1
	s_load_b64 s[10:11], s[4:5], 0x4
	s_load_b32 s14, s[4:5], 0xc
	s_load_b64 s[12:13], s[2:3], 0x0
	s_add_u32 s4, s4, 12
	s_addc_u32 s5, s5, 0
	s_add_u32 s2, s2, 8
	s_addc_u32 s3, s3, 0
	s_add_i32 s7, s7, -1
	s_delay_alu instid0(SALU_CYCLE_1) | instskip(SKIP_2) | instid1(VALU_DEP_1)
	s_cmp_lg_u32 s7, 0
	s_waitcnt lgkmcnt(0)
	v_mul_hi_u32 v2, s11, v1
	v_add_nc_u32_e32 v2, v1, v2
	s_delay_alu instid0(VALU_DEP_1) | instskip(NEXT) | instid1(VALU_DEP_1)
	v_lshrrev_b32_e32 v8, s14, v2
	v_mul_lo_u32 v2, v8, s10
	s_delay_alu instid0(VALU_DEP_1) | instskip(NEXT) | instid1(VALU_DEP_1)
	v_sub_nc_u32_e32 v1, v1, v2
	v_mad_u64_u32 v[6:7], null, v1, s12, v[3:4]
	v_mad_u64_u32 v[2:3], null, v1, s13, v[4:5]
	v_mov_b32_e32 v1, v8
	s_delay_alu instid0(VALU_DEP_3) | instskip(NEXT) | instid1(VALU_DEP_3)
	v_mov_b32_e32 v3, v6
	v_mov_b32_e32 v4, v2
	s_cbranch_scc1 .LBB425_1070
.LBB425_1071:
	s_and_not1_b32 vcc_lo, exec_lo, s6
	s_cbranch_vccnz .LBB425_1074
; %bb.1072:
	s_clause 0x1
	s_load_b128 s[4:7], s[16:17], 0x4
	s_load_b64 s[2:3], s[16:17], 0xc4
	s_cmp_lt_u32 s24, 2
	s_waitcnt lgkmcnt(0)
	v_mul_hi_u32 v1, s5, v5
	s_delay_alu instid0(VALU_DEP_1) | instskip(NEXT) | instid1(VALU_DEP_1)
	v_add_nc_u32_e32 v1, v5, v1
	v_lshrrev_b32_e32 v1, s6, v1
	s_delay_alu instid0(VALU_DEP_1) | instskip(NEXT) | instid1(VALU_DEP_1)
	v_mul_lo_u32 v2, v1, s4
	v_sub_nc_u32_e32 v2, v5, v2
	s_waitcnt vmcnt(0)
	s_delay_alu instid0(VALU_DEP_1)
	v_mul_lo_u32 v3, v2, s2
	v_mul_lo_u32 v4, v2, s3
	s_cbranch_scc1 .LBB425_1074
; %bb.1073:
	s_clause 0x1
	s_load_b128 s[4:7], s[16:17], 0x10
	s_load_b64 s[2:3], s[16:17], 0xcc
	s_waitcnt lgkmcnt(0)
	v_mul_hi_u32 v2, s5, v1
	s_delay_alu instid0(VALU_DEP_1) | instskip(NEXT) | instid1(VALU_DEP_1)
	v_add_nc_u32_e32 v2, v1, v2
	v_lshrrev_b32_e32 v2, s6, v2
	s_delay_alu instid0(VALU_DEP_1) | instskip(NEXT) | instid1(VALU_DEP_1)
	v_mul_lo_u32 v2, v2, s4
	v_sub_nc_u32_e32 v6, v1, v2
	s_delay_alu instid0(VALU_DEP_1) | instskip(SKIP_1) | instid1(VALU_DEP_1)
	v_mad_u64_u32 v[1:2], null, v6, s2, v[3:4]
	v_mad_u64_u32 v[2:3], null, v6, s3, v[4:5]
	v_dual_mov_b32 v3, v1 :: v_dual_mov_b32 v4, v2
.LBB425_1074:
	v_cmp_ne_u32_e32 vcc_lo, 1, v0
	v_add_nc_u32_e32 v1, 0x80, v5
	s_cbranch_vccnz .LBB425_1080
; %bb.1075:
	v_mov_b32_e32 v2, 0
	v_mov_b32_e32 v6, 0
	s_cmp_lg_u32 s24, 0
	s_mov_b32 s6, 0
	s_cbranch_scc0 .LBB425_1084
; %bb.1076:
	s_min_u32 s7, s25, 15
	v_mov_b32_e32 v2, 0
	s_add_i32 s7, s7, 1
	s_cmp_eq_u32 s25, 2
	s_mov_b32 s10, 0
	s_cbranch_scc1 .LBB425_1081
; %bb.1077:
	v_dual_mov_b32 v6, 0 :: v_dual_mov_b32 v7, v1
	v_mov_b32_e32 v2, 0
	s_add_u32 s2, s16, 0xc4
	s_addc_u32 s3, s17, 0
	s_and_b32 s10, s7, 28
	s_mov_b32 s11, 0
	s_mov_b64 s[4:5], s[16:17]
.LBB425_1078:                           ; =>This Inner Loop Header: Depth=1
	s_clause 0x1
	s_load_b256 s[36:43], s[4:5], 0x4
	s_load_b128 s[12:15], s[4:5], 0x24
	s_load_b256 s[44:51], s[2:3], 0x0
	s_add_u32 s4, s4, 48
	s_addc_u32 s5, s5, 0
	s_add_i32 s11, s11, 4
	s_add_u32 s2, s2, 32
	s_addc_u32 s3, s3, 0
	s_cmp_lg_u32 s10, s11
	s_waitcnt lgkmcnt(0)
	v_mul_hi_u32 v8, s37, v7
	s_delay_alu instid0(VALU_DEP_1) | instskip(NEXT) | instid1(VALU_DEP_1)
	v_add_nc_u32_e32 v8, v7, v8
	v_lshrrev_b32_e32 v8, s38, v8
	s_delay_alu instid0(VALU_DEP_1) | instskip(SKIP_1) | instid1(VALU_DEP_2)
	v_mul_hi_u32 v10, s40, v8
	v_mul_lo_u32 v12, v8, s36
	v_add_nc_u32_e32 v10, v8, v10
	s_delay_alu instid0(VALU_DEP_2) | instskip(NEXT) | instid1(VALU_DEP_2)
	v_sub_nc_u32_e32 v7, v7, v12
	v_lshrrev_b32_e32 v10, s41, v10
	s_delay_alu instid0(VALU_DEP_2) | instskip(SKIP_1) | instid1(VALU_DEP_3)
	v_mul_lo_u32 v12, v7, s44
	v_mul_lo_u32 v14, v7, s45
	v_mul_hi_u32 v11, s43, v10
	s_delay_alu instid0(VALU_DEP_1) | instskip(NEXT) | instid1(VALU_DEP_1)
	v_add_nc_u32_e32 v11, v10, v11
	v_lshrrev_b32_e32 v11, s12, v11
	s_delay_alu instid0(VALU_DEP_1) | instskip(SKIP_1) | instid1(VALU_DEP_2)
	v_mul_hi_u32 v13, s14, v11
	v_mul_lo_u32 v15, v11, s42
	v_add_nc_u32_e32 v7, v11, v13
	v_mul_lo_u32 v13, v10, s39
	s_delay_alu instid0(VALU_DEP_3) | instskip(NEXT) | instid1(VALU_DEP_3)
	v_sub_nc_u32_e32 v10, v10, v15
	v_lshrrev_b32_e32 v7, s15, v7
	s_delay_alu instid0(VALU_DEP_2) | instskip(SKIP_2) | instid1(VALU_DEP_4)
	v_mul_lo_u32 v15, v10, s48
	v_mul_lo_u32 v10, v10, s49
	v_sub_nc_u32_e32 v8, v8, v13
	v_mul_lo_u32 v16, v7, s13
	s_delay_alu instid0(VALU_DEP_2) | instskip(SKIP_1) | instid1(VALU_DEP_3)
	v_mul_lo_u32 v13, v8, s46
	v_mul_lo_u32 v8, v8, s47
	v_sub_nc_u32_e32 v11, v11, v16
	s_delay_alu instid0(VALU_DEP_3) | instskip(NEXT) | instid1(VALU_DEP_2)
	v_add3_u32 v2, v12, v2, v13
	v_mul_lo_u32 v16, v11, s50
	v_mul_lo_u32 v11, v11, s51
	v_add3_u32 v6, v14, v6, v8
	s_delay_alu instid0(VALU_DEP_3) | instskip(NEXT) | instid1(VALU_DEP_2)
	v_add3_u32 v2, v15, v2, v16
	v_add3_u32 v6, v10, v6, v11
	s_cbranch_scc1 .LBB425_1078
; %bb.1079:
	s_and_b32 s7, s7, 3
	s_delay_alu instid0(SALU_CYCLE_1)
	s_cmp_eq_u32 s7, 0
	s_cbranch_scc0 .LBB425_1082
	s_branch .LBB425_1084
.LBB425_1080:
	s_mov_b32 s6, -1
                                        ; implicit-def: $vgpr2
                                        ; implicit-def: $vgpr6
	s_branch .LBB425_1084
.LBB425_1081:
	v_dual_mov_b32 v7, v1 :: v_dual_mov_b32 v6, 0
	s_and_b32 s7, s7, 3
	s_delay_alu instid0(SALU_CYCLE_1)
	s_cmp_eq_u32 s7, 0
	s_cbranch_scc1 .LBB425_1084
.LBB425_1082:
	s_lshl_b32 s2, s10, 3
	s_mul_i32 s4, s10, 12
	s_add_u32 s2, s2, s16
	s_addc_u32 s3, 0, s17
	s_add_u32 s2, s2, 0xc4
	s_addc_u32 s3, s3, 0
	;; [unrolled: 2-line block ×3, first 2 shown]
	.p2align	6
.LBB425_1083:                           ; =>This Inner Loop Header: Depth=1
	s_clause 0x1
	s_load_b64 s[10:11], s[4:5], 0x4
	s_load_b32 s14, s[4:5], 0xc
	s_load_b64 s[12:13], s[2:3], 0x0
	s_add_u32 s4, s4, 12
	s_addc_u32 s5, s5, 0
	s_add_u32 s2, s2, 8
	s_addc_u32 s3, s3, 0
	s_add_i32 s7, s7, -1
	s_delay_alu instid0(SALU_CYCLE_1) | instskip(SKIP_2) | instid1(VALU_DEP_1)
	s_cmp_lg_u32 s7, 0
	s_waitcnt lgkmcnt(0)
	v_mul_hi_u32 v8, s11, v7
	v_add_nc_u32_e32 v8, v7, v8
	s_delay_alu instid0(VALU_DEP_1) | instskip(NEXT) | instid1(VALU_DEP_1)
	v_lshrrev_b32_e32 v8, s14, v8
	v_mul_lo_u32 v10, v8, s10
	s_delay_alu instid0(VALU_DEP_1) | instskip(SKIP_1) | instid1(VALU_DEP_1)
	v_sub_nc_u32_e32 v7, v7, v10
	s_waitcnt vmcnt(0)
	v_mad_u64_u32 v[10:11], null, v7, s12, v[2:3]
	v_mad_u64_u32 v[11:12], null, v7, s13, v[6:7]
	s_delay_alu instid0(VALU_DEP_2) | instskip(NEXT) | instid1(VALU_DEP_2)
	v_dual_mov_b32 v7, v8 :: v_dual_mov_b32 v2, v10
	v_mov_b32_e32 v6, v11
	s_cbranch_scc1 .LBB425_1083
.LBB425_1084:
	s_and_not1_b32 vcc_lo, exec_lo, s6
	s_cbranch_vccnz .LBB425_1087
; %bb.1085:
	s_clause 0x1
	s_load_b128 s[4:7], s[16:17], 0x4
	s_load_b64 s[2:3], s[16:17], 0xc4
	s_cmp_lt_u32 s24, 2
	s_waitcnt lgkmcnt(0)
	v_mul_hi_u32 v2, s5, v1
	s_delay_alu instid0(VALU_DEP_1) | instskip(NEXT) | instid1(VALU_DEP_1)
	v_add_nc_u32_e32 v2, v1, v2
	v_lshrrev_b32_e32 v7, s6, v2
	s_delay_alu instid0(VALU_DEP_1) | instskip(NEXT) | instid1(VALU_DEP_1)
	v_mul_lo_u32 v2, v7, s4
	v_sub_nc_u32_e32 v1, v1, v2
	s_delay_alu instid0(VALU_DEP_1)
	v_mul_lo_u32 v2, v1, s2
	v_mul_lo_u32 v6, v1, s3
	s_cbranch_scc1 .LBB425_1087
; %bb.1086:
	s_clause 0x1
	s_load_b128 s[4:7], s[16:17], 0x10
	s_load_b64 s[2:3], s[16:17], 0xcc
	s_waitcnt lgkmcnt(0)
	v_mul_hi_u32 v1, s5, v7
	s_delay_alu instid0(VALU_DEP_1) | instskip(NEXT) | instid1(VALU_DEP_1)
	v_add_nc_u32_e32 v1, v7, v1
	v_lshrrev_b32_e32 v1, s6, v1
	s_delay_alu instid0(VALU_DEP_1) | instskip(NEXT) | instid1(VALU_DEP_1)
	v_mul_lo_u32 v1, v1, s4
	v_sub_nc_u32_e32 v10, v7, v1
	s_waitcnt vmcnt(0)
	s_delay_alu instid0(VALU_DEP_1) | instskip(NEXT) | instid1(VALU_DEP_1)
	v_mad_u64_u32 v[7:8], null, v10, s2, v[2:3]
	v_mad_u64_u32 v[1:2], null, v10, s3, v[6:7]
	v_mov_b32_e32 v2, v7
	s_delay_alu instid0(VALU_DEP_2)
	v_mov_b32_e32 v6, v1
.LBB425_1087:
	v_cmp_ne_u32_e32 vcc_lo, 1, v0
	v_add_nc_u32_e32 v5, 0x100, v5
	s_cbranch_vccnz .LBB425_1093
; %bb.1088:
	v_mov_b32_e32 v1, 0
	v_mov_b32_e32 v7, 0
	s_cmp_lg_u32 s24, 0
	s_mov_b32 s6, 0
	s_cbranch_scc0 .LBB425_1097
; %bb.1089:
	s_min_u32 s7, s25, 15
	v_mov_b32_e32 v1, 0
	s_add_i32 s7, s7, 1
	s_cmp_eq_u32 s25, 2
	s_mov_b32 s10, 0
	s_cbranch_scc1 .LBB425_1094
; %bb.1090:
	v_dual_mov_b32 v7, 0 :: v_dual_mov_b32 v8, v5
	v_mov_b32_e32 v1, 0
	s_add_u32 s2, s16, 0xc4
	s_addc_u32 s3, s17, 0
	s_and_b32 s10, s7, 28
	s_mov_b32 s11, 0
	s_mov_b64 s[4:5], s[16:17]
.LBB425_1091:                           ; =>This Inner Loop Header: Depth=1
	s_clause 0x1
	s_load_b256 s[36:43], s[4:5], 0x4
	s_load_b128 s[12:15], s[4:5], 0x24
	s_load_b256 s[44:51], s[2:3], 0x0
	s_add_u32 s4, s4, 48
	s_addc_u32 s5, s5, 0
	s_add_i32 s11, s11, 4
	s_add_u32 s2, s2, 32
	s_addc_u32 s3, s3, 0
	s_cmp_lg_u32 s10, s11
	s_waitcnt lgkmcnt(0)
	v_mul_hi_u32 v10, s37, v8
	s_delay_alu instid0(VALU_DEP_1) | instskip(NEXT) | instid1(VALU_DEP_1)
	v_add_nc_u32_e32 v10, v8, v10
	v_lshrrev_b32_e32 v10, s38, v10
	s_delay_alu instid0(VALU_DEP_1) | instskip(SKIP_1) | instid1(VALU_DEP_2)
	v_mul_hi_u32 v11, s40, v10
	v_mul_lo_u32 v13, v10, s36
	v_add_nc_u32_e32 v11, v10, v11
	s_delay_alu instid0(VALU_DEP_2) | instskip(NEXT) | instid1(VALU_DEP_2)
	v_sub_nc_u32_e32 v8, v8, v13
	v_lshrrev_b32_e32 v11, s41, v11
	s_delay_alu instid0(VALU_DEP_2) | instskip(SKIP_1) | instid1(VALU_DEP_3)
	v_mul_lo_u32 v13, v8, s44
	v_mul_lo_u32 v15, v8, s45
	v_mul_hi_u32 v12, s43, v11
	s_delay_alu instid0(VALU_DEP_1) | instskip(NEXT) | instid1(VALU_DEP_1)
	v_add_nc_u32_e32 v12, v11, v12
	v_lshrrev_b32_e32 v12, s12, v12
	s_delay_alu instid0(VALU_DEP_1) | instskip(SKIP_1) | instid1(VALU_DEP_2)
	v_mul_hi_u32 v14, s14, v12
	v_mul_lo_u32 v16, v12, s42
	v_add_nc_u32_e32 v8, v12, v14
	v_mul_lo_u32 v14, v11, s39
	s_delay_alu instid0(VALU_DEP_3) | instskip(NEXT) | instid1(VALU_DEP_3)
	v_sub_nc_u32_e32 v11, v11, v16
	v_lshrrev_b32_e32 v8, s15, v8
	s_delay_alu instid0(VALU_DEP_2) | instskip(SKIP_2) | instid1(VALU_DEP_4)
	v_mul_lo_u32 v16, v11, s48
	v_mul_lo_u32 v11, v11, s49
	v_sub_nc_u32_e32 v10, v10, v14
	v_mul_lo_u32 v17, v8, s13
	s_delay_alu instid0(VALU_DEP_2) | instskip(SKIP_1) | instid1(VALU_DEP_3)
	v_mul_lo_u32 v14, v10, s46
	v_mul_lo_u32 v10, v10, s47
	v_sub_nc_u32_e32 v12, v12, v17
	s_delay_alu instid0(VALU_DEP_3) | instskip(NEXT) | instid1(VALU_DEP_2)
	v_add3_u32 v1, v13, v1, v14
	v_mul_lo_u32 v17, v12, s50
	v_mul_lo_u32 v12, v12, s51
	v_add3_u32 v7, v15, v7, v10
	s_delay_alu instid0(VALU_DEP_3) | instskip(NEXT) | instid1(VALU_DEP_2)
	v_add3_u32 v1, v16, v1, v17
	v_add3_u32 v7, v11, v7, v12
	s_cbranch_scc1 .LBB425_1091
; %bb.1092:
	s_and_b32 s7, s7, 3
	s_delay_alu instid0(SALU_CYCLE_1)
	s_cmp_eq_u32 s7, 0
	s_cbranch_scc0 .LBB425_1095
	s_branch .LBB425_1097
.LBB425_1093:
	s_mov_b32 s6, -1
                                        ; implicit-def: $vgpr1
                                        ; implicit-def: $vgpr7
	s_branch .LBB425_1097
.LBB425_1094:
	v_dual_mov_b32 v8, v5 :: v_dual_mov_b32 v7, 0
	s_and_b32 s7, s7, 3
	s_delay_alu instid0(SALU_CYCLE_1)
	s_cmp_eq_u32 s7, 0
	s_cbranch_scc1 .LBB425_1097
.LBB425_1095:
	s_lshl_b32 s2, s10, 3
	s_mul_i32 s4, s10, 12
	s_add_u32 s2, s2, s16
	s_addc_u32 s3, 0, s17
	s_add_u32 s2, s2, 0xc4
	s_addc_u32 s3, s3, 0
	;; [unrolled: 2-line block ×3, first 2 shown]
	.p2align	6
.LBB425_1096:                           ; =>This Inner Loop Header: Depth=1
	s_clause 0x1
	s_load_b64 s[10:11], s[4:5], 0x4
	s_load_b32 s14, s[4:5], 0xc
	s_load_b64 s[12:13], s[2:3], 0x0
	s_add_u32 s4, s4, 12
	s_addc_u32 s5, s5, 0
	s_add_u32 s2, s2, 8
	s_addc_u32 s3, s3, 0
	s_add_i32 s7, s7, -1
	s_delay_alu instid0(SALU_CYCLE_1) | instskip(SKIP_2) | instid1(VALU_DEP_1)
	s_cmp_lg_u32 s7, 0
	s_waitcnt lgkmcnt(0)
	v_mul_hi_u32 v10, s11, v8
	v_add_nc_u32_e32 v10, v8, v10
	s_delay_alu instid0(VALU_DEP_1) | instskip(NEXT) | instid1(VALU_DEP_1)
	v_lshrrev_b32_e32 v13, s14, v10
	v_mul_lo_u32 v10, v13, s10
	s_delay_alu instid0(VALU_DEP_1) | instskip(NEXT) | instid1(VALU_DEP_1)
	v_sub_nc_u32_e32 v8, v8, v10
	v_mad_u64_u32 v[10:11], null, v8, s12, v[1:2]
	v_mad_u64_u32 v[11:12], null, v8, s13, v[7:8]
	s_delay_alu instid0(VALU_DEP_2) | instskip(NEXT) | instid1(VALU_DEP_2)
	v_dual_mov_b32 v8, v13 :: v_dual_mov_b32 v1, v10
	v_mov_b32_e32 v7, v11
	s_cbranch_scc1 .LBB425_1096
.LBB425_1097:
	s_and_not1_b32 vcc_lo, exec_lo, s6
	s_cbranch_vccnz .LBB425_1100
; %bb.1098:
	s_clause 0x1
	s_load_b128 s[4:7], s[16:17], 0x4
	s_load_b64 s[2:3], s[16:17], 0xc4
	s_cmp_lt_u32 s24, 2
	s_waitcnt lgkmcnt(0)
	v_mul_hi_u32 v1, s5, v5
	s_delay_alu instid0(VALU_DEP_1) | instskip(NEXT) | instid1(VALU_DEP_1)
	v_add_nc_u32_e32 v1, v5, v1
	v_lshrrev_b32_e32 v8, s6, v1
	s_delay_alu instid0(VALU_DEP_1) | instskip(NEXT) | instid1(VALU_DEP_1)
	v_mul_lo_u32 v1, v8, s4
	v_sub_nc_u32_e32 v5, v5, v1
	s_delay_alu instid0(VALU_DEP_1)
	v_mul_lo_u32 v1, v5, s2
	v_mul_lo_u32 v7, v5, s3
	s_cbranch_scc1 .LBB425_1100
; %bb.1099:
	s_clause 0x1
	s_load_b128 s[4:7], s[16:17], 0x10
	s_load_b64 s[2:3], s[16:17], 0xcc
	s_waitcnt lgkmcnt(0)
	v_mul_hi_u32 v5, s5, v8
	s_delay_alu instid0(VALU_DEP_1) | instskip(NEXT) | instid1(VALU_DEP_1)
	v_add_nc_u32_e32 v5, v8, v5
	v_lshrrev_b32_e32 v5, s6, v5
	s_delay_alu instid0(VALU_DEP_1) | instskip(NEXT) | instid1(VALU_DEP_1)
	v_mul_lo_u32 v5, v5, s4
	v_sub_nc_u32_e32 v5, v8, v5
	s_delay_alu instid0(VALU_DEP_1) | instskip(SKIP_1) | instid1(VALU_DEP_2)
	v_mad_u64_u32 v[10:11], null, v5, s2, v[1:2]
	v_mad_u64_u32 v[11:12], null, v5, s3, v[7:8]
	v_mov_b32_e32 v1, v10
	s_delay_alu instid0(VALU_DEP_2)
	v_mov_b32_e32 v7, v11
.LBB425_1100:
	v_cmp_ne_u32_e32 vcc_lo, 1, v0
	s_cbranch_vccnz .LBB425_1106
; %bb.1101:
	v_mov_b32_e32 v0, 0
	v_mov_b32_e32 v8, 0
	s_cmp_lg_u32 s24, 0
	s_mov_b32 s6, 0
	s_cbranch_scc0 .LBB425_1110
; %bb.1102:
	s_min_u32 s7, s25, 15
	v_mov_b32_e32 v0, 0
	s_add_i32 s7, s7, 1
	s_cmp_eq_u32 s25, 2
	s_mov_b32 s10, 0
	s_cbranch_scc1 .LBB425_1107
; %bb.1103:
	v_dual_mov_b32 v8, 0 :: v_dual_mov_b32 v5, v9
	v_mov_b32_e32 v0, 0
	s_add_u32 s2, s16, 0xc4
	s_addc_u32 s3, s17, 0
	s_and_b32 s10, s7, 28
	s_mov_b32 s11, 0
	s_mov_b64 s[4:5], s[16:17]
.LBB425_1104:                           ; =>This Inner Loop Header: Depth=1
	s_clause 0x1
	s_load_b256 s[36:43], s[4:5], 0x4
	s_load_b128 s[12:15], s[4:5], 0x24
	s_load_b256 s[44:51], s[2:3], 0x0
	s_add_u32 s4, s4, 48
	s_addc_u32 s5, s5, 0
	s_add_i32 s11, s11, 4
	s_add_u32 s2, s2, 32
	s_addc_u32 s3, s3, 0
	s_cmp_lg_u32 s10, s11
	s_waitcnt lgkmcnt(0)
	v_mul_hi_u32 v10, s37, v5
	s_delay_alu instid0(VALU_DEP_1) | instskip(NEXT) | instid1(VALU_DEP_1)
	v_add_nc_u32_e32 v10, v5, v10
	v_lshrrev_b32_e32 v10, s38, v10
	s_delay_alu instid0(VALU_DEP_1) | instskip(SKIP_1) | instid1(VALU_DEP_2)
	v_mul_hi_u32 v11, s40, v10
	v_mul_lo_u32 v13, v10, s36
	v_add_nc_u32_e32 v11, v10, v11
	s_delay_alu instid0(VALU_DEP_2) | instskip(NEXT) | instid1(VALU_DEP_2)
	v_sub_nc_u32_e32 v5, v5, v13
	v_lshrrev_b32_e32 v11, s41, v11
	s_delay_alu instid0(VALU_DEP_2) | instskip(SKIP_1) | instid1(VALU_DEP_3)
	v_mul_lo_u32 v13, v5, s44
	v_mul_lo_u32 v15, v5, s45
	v_mul_hi_u32 v12, s43, v11
	s_delay_alu instid0(VALU_DEP_1) | instskip(NEXT) | instid1(VALU_DEP_1)
	v_add_nc_u32_e32 v12, v11, v12
	v_lshrrev_b32_e32 v12, s12, v12
	s_delay_alu instid0(VALU_DEP_1) | instskip(SKIP_1) | instid1(VALU_DEP_2)
	v_mul_hi_u32 v14, s14, v12
	v_mul_lo_u32 v16, v12, s42
	v_add_nc_u32_e32 v5, v12, v14
	v_mul_lo_u32 v14, v11, s39
	s_delay_alu instid0(VALU_DEP_3) | instskip(NEXT) | instid1(VALU_DEP_3)
	v_sub_nc_u32_e32 v11, v11, v16
	v_lshrrev_b32_e32 v5, s15, v5
	s_delay_alu instid0(VALU_DEP_2) | instskip(SKIP_2) | instid1(VALU_DEP_4)
	v_mul_lo_u32 v16, v11, s48
	v_mul_lo_u32 v11, v11, s49
	v_sub_nc_u32_e32 v10, v10, v14
	v_mul_lo_u32 v17, v5, s13
	s_delay_alu instid0(VALU_DEP_2) | instskip(SKIP_1) | instid1(VALU_DEP_3)
	v_mul_lo_u32 v14, v10, s46
	v_mul_lo_u32 v10, v10, s47
	v_sub_nc_u32_e32 v12, v12, v17
	s_delay_alu instid0(VALU_DEP_3) | instskip(NEXT) | instid1(VALU_DEP_2)
	v_add3_u32 v0, v13, v0, v14
	v_mul_lo_u32 v17, v12, s50
	v_mul_lo_u32 v12, v12, s51
	v_add3_u32 v8, v15, v8, v10
	s_delay_alu instid0(VALU_DEP_3) | instskip(NEXT) | instid1(VALU_DEP_2)
	v_add3_u32 v0, v16, v0, v17
	v_add3_u32 v8, v11, v8, v12
	s_cbranch_scc1 .LBB425_1104
; %bb.1105:
	s_and_b32 s7, s7, 3
	s_delay_alu instid0(SALU_CYCLE_1)
	s_cmp_eq_u32 s7, 0
	s_cbranch_scc0 .LBB425_1108
	s_branch .LBB425_1110
.LBB425_1106:
	s_mov_b32 s6, -1
                                        ; implicit-def: $vgpr0
                                        ; implicit-def: $vgpr8
	s_branch .LBB425_1110
.LBB425_1107:
	v_dual_mov_b32 v5, v9 :: v_dual_mov_b32 v8, 0
	s_and_b32 s7, s7, 3
	s_delay_alu instid0(SALU_CYCLE_1)
	s_cmp_eq_u32 s7, 0
	s_cbranch_scc1 .LBB425_1110
.LBB425_1108:
	s_lshl_b32 s2, s10, 3
	s_mul_i32 s4, s10, 12
	s_add_u32 s2, s2, s16
	s_addc_u32 s3, 0, s17
	s_add_u32 s2, s2, 0xc4
	s_addc_u32 s3, s3, 0
	;; [unrolled: 2-line block ×3, first 2 shown]
	.p2align	6
.LBB425_1109:                           ; =>This Inner Loop Header: Depth=1
	s_clause 0x1
	s_load_b64 s[10:11], s[4:5], 0x4
	s_load_b32 s14, s[4:5], 0xc
	s_load_b64 s[12:13], s[2:3], 0x0
	s_add_u32 s4, s4, 12
	s_addc_u32 s5, s5, 0
	s_add_u32 s2, s2, 8
	s_addc_u32 s3, s3, 0
	s_add_i32 s7, s7, -1
	s_delay_alu instid0(SALU_CYCLE_1) | instskip(SKIP_2) | instid1(VALU_DEP_1)
	s_cmp_lg_u32 s7, 0
	s_waitcnt lgkmcnt(0)
	v_mul_hi_u32 v10, s11, v5
	v_add_nc_u32_e32 v10, v5, v10
	s_delay_alu instid0(VALU_DEP_1) | instskip(NEXT) | instid1(VALU_DEP_1)
	v_lshrrev_b32_e32 v13, s14, v10
	v_mul_lo_u32 v10, v13, s10
	s_delay_alu instid0(VALU_DEP_1) | instskip(NEXT) | instid1(VALU_DEP_1)
	v_sub_nc_u32_e32 v5, v5, v10
	v_mad_u64_u32 v[10:11], null, v5, s12, v[0:1]
	v_mad_u64_u32 v[11:12], null, v5, s13, v[8:9]
	s_delay_alu instid0(VALU_DEP_2) | instskip(NEXT) | instid1(VALU_DEP_2)
	v_dual_mov_b32 v5, v13 :: v_dual_mov_b32 v0, v10
	v_mov_b32_e32 v8, v11
	s_cbranch_scc1 .LBB425_1109
.LBB425_1110:
	s_and_not1_b32 vcc_lo, exec_lo, s6
	s_cbranch_vccnz .LBB425_1113
; %bb.1111:
	s_clause 0x1
	s_load_b128 s[4:7], s[16:17], 0x4
	s_load_b64 s[2:3], s[16:17], 0xc4
	s_cmp_lt_u32 s24, 2
	s_waitcnt lgkmcnt(0)
	v_mul_hi_u32 v0, s5, v9
	s_delay_alu instid0(VALU_DEP_1) | instskip(NEXT) | instid1(VALU_DEP_1)
	v_add_nc_u32_e32 v0, v9, v0
	v_lshrrev_b32_e32 v5, s6, v0
	s_delay_alu instid0(VALU_DEP_1) | instskip(NEXT) | instid1(VALU_DEP_1)
	v_mul_lo_u32 v0, v5, s4
	v_sub_nc_u32_e32 v8, v9, v0
	s_delay_alu instid0(VALU_DEP_1)
	v_mul_lo_u32 v0, v8, s2
	v_mul_lo_u32 v8, v8, s3
	s_cbranch_scc1 .LBB425_1113
; %bb.1112:
	s_clause 0x1
	s_load_b128 s[4:7], s[16:17], 0x10
	s_load_b64 s[2:3], s[16:17], 0xcc
	s_waitcnt lgkmcnt(0)
	v_mul_hi_u32 v9, s5, v5
	s_delay_alu instid0(VALU_DEP_1) | instskip(NEXT) | instid1(VALU_DEP_1)
	v_add_nc_u32_e32 v9, v5, v9
	v_lshrrev_b32_e32 v9, s6, v9
	s_delay_alu instid0(VALU_DEP_1) | instskip(NEXT) | instid1(VALU_DEP_1)
	v_mul_lo_u32 v9, v9, s4
	v_sub_nc_u32_e32 v5, v5, v9
	s_delay_alu instid0(VALU_DEP_1) | instskip(NEXT) | instid1(VALU_DEP_1)
	v_mad_u64_u32 v[9:10], null, v5, s2, v[0:1]
	v_mad_u64_u32 v[10:11], null, v5, s3, v[8:9]
	v_mov_b32_e32 v0, v9
	s_delay_alu instid0(VALU_DEP_2)
	v_mov_b32_e32 v8, v10
.LBB425_1113:
	s_clause 0x1
	s_load_b32 s0, s[0:1], 0x160
	s_load_b128 s[4:7], s[16:17], 0x148
	s_mov_b32 s3, 0
	s_waitcnt lgkmcnt(0)
	s_lshr_b32 s1, s0, 16
	s_delay_alu instid0(SALU_CYCLE_1) | instskip(SKIP_2) | instid1(VALU_DEP_1)
	v_and_b32_e64 v11, 0xff, s1
	s_waitcnt vmcnt(0)
	v_add_co_u32 v9, s1, s6, v4
	v_add_co_ci_u32_e64 v10, null, s7, 0, s1
	s_delay_alu instid0(VALU_DEP_3)
	v_cmp_gt_i16_e32 vcc_lo, 11, v11
	s_cbranch_vccnz .LBB425_1120
; %bb.1114:
	v_cmp_lt_i16_e32 vcc_lo, 25, v11
	s_mov_b32 s2, 0
	s_cbranch_vccz .LBB425_1126
; %bb.1115:
	v_cmp_lt_i16_e32 vcc_lo, 28, v11
	s_cbranch_vccz .LBB425_1128
; %bb.1116:
	v_cmp_lt_i16_e32 vcc_lo, 43, v11
	s_cbranch_vccz .LBB425_1130
; %bb.1117:
	v_cmp_lt_i16_e32 vcc_lo, 45, v11
	s_cbranch_vccz .LBB425_1134
; %bb.1118:
	v_cmp_eq_u16_e32 vcc_lo, 46, v11
	s_mov_b32 s10, 0
	s_cbranch_vccz .LBB425_1176
; %bb.1119:
	global_load_b32 v4, v[9:10], off
	s_mov_b32 s1, 0
	s_mov_b32 s3, -1
	s_waitcnt vmcnt(0)
	v_lshlrev_b32_e32 v4, 16, v4
	s_delay_alu instid0(VALU_DEP_1) | instskip(NEXT) | instid1(VALU_DEP_1)
	v_trunc_f32_e32 v4, v4
	v_mul_f32_e64 v5, 0x2f800000, |v4|
	s_delay_alu instid0(VALU_DEP_1) | instskip(NEXT) | instid1(VALU_DEP_1)
	v_floor_f32_e32 v5, v5
	v_fma_f32 v5, 0xcf800000, v5, |v4|
	v_ashrrev_i32_e32 v4, 31, v4
	s_delay_alu instid0(VALU_DEP_2) | instskip(NEXT) | instid1(VALU_DEP_1)
	v_cvt_u32_f32_e32 v5, v5
	v_xor_b32_e32 v5, v5, v4
	s_delay_alu instid0(VALU_DEP_1)
	v_sub_nc_u32_e32 v4, v5, v4
	s_branch .LBB425_1178
.LBB425_1120:
	s_mov_b32 s1, s8
                                        ; implicit-def: $vgpr4
	s_cbranch_execz .LBB425_1236
; %bb.1121:
	v_cmp_gt_i16_e32 vcc_lo, 5, v11
	s_cbranch_vccnz .LBB425_1127
; %bb.1122:
	v_cmp_gt_i16_e32 vcc_lo, 8, v11
	s_cbranch_vccnz .LBB425_1129
	;; [unrolled: 3-line block ×3, first 2 shown]
; %bb.1124:
	v_cmp_lt_i16_e32 vcc_lo, 9, v11
	s_cbranch_vccz .LBB425_1135
; %bb.1125:
	global_load_b64 v[4:5], v[9:10], off
	s_mov_b32 s2, 0
	s_waitcnt vmcnt(0)
	v_trunc_f64_e32 v[4:5], v[4:5]
	s_delay_alu instid0(VALU_DEP_1) | instskip(NEXT) | instid1(VALU_DEP_1)
	v_ldexp_f64 v[12:13], v[4:5], 0xffffffe0
	v_floor_f64_e32 v[12:13], v[12:13]
	s_delay_alu instid0(VALU_DEP_1) | instskip(NEXT) | instid1(VALU_DEP_1)
	v_fma_f64 v[4:5], 0xc1f00000, v[12:13], v[4:5]
	v_cvt_u32_f64_e32 v4, v[4:5]
	s_branch .LBB425_1136
.LBB425_1126:
	s_mov_b32 s1, 0
                                        ; implicit-def: $vgpr4
	s_cbranch_execnz .LBB425_1203
	s_branch .LBB425_1232
.LBB425_1127:
                                        ; implicit-def: $vgpr4
	s_branch .LBB425_1153
.LBB425_1128:
	s_mov_b32 s1, 0
                                        ; implicit-def: $vgpr4
	s_cbranch_execz .LBB425_1202
	s_branch .LBB425_1187
.LBB425_1129:
                                        ; implicit-def: $vgpr4
	s_branch .LBB425_1142
.LBB425_1130:
	s_mov_b32 s1, 0
                                        ; implicit-def: $vgpr4
	s_cbranch_execnz .LBB425_1183
	s_branch .LBB425_1186
.LBB425_1131:
	s_mov_b32 s2, -1
                                        ; implicit-def: $vgpr4
	s_branch .LBB425_1139
.LBB425_1132:
	s_cbranch_execnz .LBB425_1174
; %bb.1133:
	s_or_b32 s3, s3, exec_lo
	s_and_not1_b32 s8, s8, exec_lo
	s_or_b32 exec_lo, exec_lo, s2
	s_and_saveexec_b32 s2, s8
	s_delay_alu instid0(SALU_CYCLE_1)
	s_xor_b32 s2, exec_lo, s2
	s_cbranch_execnz .LBB425_1020
	s_branch .LBB425_1021
.LBB425_1134:
	s_mov_b32 s10, -1
	s_mov_b32 s1, 0
	s_branch .LBB425_1177
.LBB425_1135:
	s_mov_b32 s2, -1
                                        ; implicit-def: $vgpr4
.LBB425_1136:
	s_delay_alu instid0(SALU_CYCLE_1)
	s_and_not1_b32 vcc_lo, exec_lo, s2
	s_cbranch_vccnz .LBB425_1138
; %bb.1137:
	global_load_b32 v4, v[9:10], off
	s_waitcnt vmcnt(0)
	v_trunc_f32_e32 v4, v4
	s_delay_alu instid0(VALU_DEP_1) | instskip(NEXT) | instid1(VALU_DEP_1)
	v_mul_f32_e64 v5, 0x2f800000, |v4|
	v_floor_f32_e32 v5, v5
	s_delay_alu instid0(VALU_DEP_1) | instskip(SKIP_1) | instid1(VALU_DEP_2)
	v_fma_f32 v5, 0xcf800000, v5, |v4|
	v_ashrrev_i32_e32 v4, 31, v4
	v_cvt_u32_f32_e32 v5, v5
	s_delay_alu instid0(VALU_DEP_1) | instskip(NEXT) | instid1(VALU_DEP_1)
	v_xor_b32_e32 v5, v5, v4
	v_sub_nc_u32_e32 v4, v5, v4
.LBB425_1138:
	s_mov_b32 s2, 0
.LBB425_1139:
	s_delay_alu instid0(SALU_CYCLE_1)
	s_and_not1_b32 vcc_lo, exec_lo, s2
	s_cbranch_vccnz .LBB425_1141
; %bb.1140:
	global_load_b32 v4, v[9:10], off
	s_waitcnt vmcnt(0)
	v_cvt_f32_f16_e32 v4, v4
	s_delay_alu instid0(VALU_DEP_1)
	v_cvt_i32_f32_e32 v4, v4
.LBB425_1141:
	s_cbranch_execnz .LBB425_1152
.LBB425_1142:
	v_cmp_gt_i16_e32 vcc_lo, 6, v11
	s_cbranch_vccnz .LBB425_1145
; %bb.1143:
	v_cmp_lt_i16_e32 vcc_lo, 6, v11
	s_cbranch_vccz .LBB425_1146
; %bb.1144:
	global_load_b64 v[4:5], v[9:10], off
	s_mov_b32 s2, 0
	s_waitcnt vmcnt(0)
	v_trunc_f64_e32 v[4:5], v[4:5]
	s_delay_alu instid0(VALU_DEP_1) | instskip(NEXT) | instid1(VALU_DEP_1)
	v_ldexp_f64 v[12:13], v[4:5], 0xffffffe0
	v_floor_f64_e32 v[12:13], v[12:13]
	s_delay_alu instid0(VALU_DEP_1) | instskip(NEXT) | instid1(VALU_DEP_1)
	v_fma_f64 v[4:5], 0xc1f00000, v[12:13], v[4:5]
	v_cvt_u32_f64_e32 v4, v[4:5]
	s_branch .LBB425_1147
.LBB425_1145:
	s_mov_b32 s2, -1
                                        ; implicit-def: $vgpr4
	s_branch .LBB425_1150
.LBB425_1146:
	s_mov_b32 s2, -1
                                        ; implicit-def: $vgpr4
.LBB425_1147:
	s_delay_alu instid0(SALU_CYCLE_1)
	s_and_not1_b32 vcc_lo, exec_lo, s2
	s_cbranch_vccnz .LBB425_1149
; %bb.1148:
	global_load_b32 v4, v[9:10], off
	s_waitcnt vmcnt(0)
	v_trunc_f32_e32 v4, v4
	s_delay_alu instid0(VALU_DEP_1) | instskip(NEXT) | instid1(VALU_DEP_1)
	v_mul_f32_e64 v5, 0x2f800000, |v4|
	v_floor_f32_e32 v5, v5
	s_delay_alu instid0(VALU_DEP_1) | instskip(SKIP_1) | instid1(VALU_DEP_2)
	v_fma_f32 v5, 0xcf800000, v5, |v4|
	v_ashrrev_i32_e32 v4, 31, v4
	v_cvt_u32_f32_e32 v5, v5
	s_delay_alu instid0(VALU_DEP_1) | instskip(NEXT) | instid1(VALU_DEP_1)
	v_xor_b32_e32 v5, v5, v4
	v_sub_nc_u32_e32 v4, v5, v4
.LBB425_1149:
	s_mov_b32 s2, 0
.LBB425_1150:
	s_delay_alu instid0(SALU_CYCLE_1)
	s_and_not1_b32 vcc_lo, exec_lo, s2
	s_cbranch_vccnz .LBB425_1152
; %bb.1151:
	global_load_u16 v4, v[9:10], off
	s_waitcnt vmcnt(0)
	v_cvt_f32_f16_e32 v4, v4
	s_delay_alu instid0(VALU_DEP_1)
	v_cvt_i32_f32_e32 v4, v4
.LBB425_1152:
	s_cbranch_execnz .LBB425_1171
.LBB425_1153:
	v_cmp_gt_i16_e32 vcc_lo, 2, v11
	s_cbranch_vccnz .LBB425_1157
; %bb.1154:
	v_cmp_gt_i16_e32 vcc_lo, 3, v11
	s_cbranch_vccnz .LBB425_1158
; %bb.1155:
	v_cmp_lt_i16_e32 vcc_lo, 3, v11
	s_cbranch_vccz .LBB425_1159
; %bb.1156:
	global_load_b64 v[4:5], v[9:10], off
	s_mov_b32 s2, 0
	s_branch .LBB425_1160
.LBB425_1157:
                                        ; implicit-def: $vgpr4
	s_branch .LBB425_1166
.LBB425_1158:
	s_mov_b32 s2, -1
                                        ; implicit-def: $vgpr4
	s_branch .LBB425_1163
.LBB425_1159:
	s_mov_b32 s2, -1
                                        ; implicit-def: $vgpr4
.LBB425_1160:
	s_delay_alu instid0(SALU_CYCLE_1)
	s_and_not1_b32 vcc_lo, exec_lo, s2
	s_cbranch_vccnz .LBB425_1162
; %bb.1161:
	global_load_b32 v4, v[9:10], off
.LBB425_1162:
	s_mov_b32 s2, 0
.LBB425_1163:
	s_delay_alu instid0(SALU_CYCLE_1)
	s_and_not1_b32 vcc_lo, exec_lo, s2
	s_cbranch_vccnz .LBB425_1165
; %bb.1164:
	global_load_u16 v4, v[9:10], off
.LBB425_1165:
	s_cbranch_execnz .LBB425_1171
.LBB425_1166:
	v_cmp_lt_i16_e32 vcc_lo, 0, v11
	s_mov_b32 s2, 0
	s_cbranch_vccz .LBB425_1168
; %bb.1167:
	global_load_u8 v4, v[9:10], off
	s_branch .LBB425_1169
.LBB425_1168:
	s_mov_b32 s2, -1
                                        ; implicit-def: $vgpr4
.LBB425_1169:
	s_delay_alu instid0(SALU_CYCLE_1)
	s_and_not1_b32 vcc_lo, exec_lo, s2
	s_cbranch_vccnz .LBB425_1171
; %bb.1170:
	global_load_u8 v4, v[9:10], off
.LBB425_1171:
	s_branch .LBB425_1237
.LBB425_1172:
	s_trap 2
	s_sendmsg_rtn_b32 s0, sendmsg(MSG_RTN_GET_DOORBELL)
	s_mov_b32 ttmp2, m0
	s_waitcnt lgkmcnt(0)
	s_and_b32 s0, s0, 0x3ff
	s_delay_alu instid0(SALU_CYCLE_1) | instskip(NEXT) | instid1(SALU_CYCLE_1)
	s_bitset1_b32 s0, 10
	s_mov_b32 m0, s0
	s_sendmsg sendmsg(MSG_INTERRUPT)
	s_mov_b32 m0, ttmp2
.LBB425_1173:                           ; =>This Inner Loop Header: Depth=1
	s_sethalt 5
	s_branch .LBB425_1173
.LBB425_1174:
	s_trap 2
	s_sendmsg_rtn_b32 s0, sendmsg(MSG_RTN_GET_DOORBELL)
	s_mov_b32 ttmp2, m0
	s_waitcnt lgkmcnt(0)
	s_and_b32 s0, s0, 0x3ff
	s_delay_alu instid0(SALU_CYCLE_1) | instskip(NEXT) | instid1(SALU_CYCLE_1)
	s_bitset1_b32 s0, 10
	s_mov_b32 m0, s0
	s_sendmsg sendmsg(MSG_INTERRUPT)
	s_mov_b32 m0, ttmp2
.LBB425_1175:                           ; =>This Inner Loop Header: Depth=1
	s_sethalt 5
	s_branch .LBB425_1175
.LBB425_1176:
	s_mov_b32 s1, -1
.LBB425_1177:
                                        ; implicit-def: $vgpr4
.LBB425_1178:
	s_and_b32 vcc_lo, exec_lo, s10
	s_cbranch_vccz .LBB425_1181
; %bb.1179:
	v_cmp_eq_u16_e32 vcc_lo, 44, v11
	s_cbranch_vccz .LBB425_1182
; %bb.1180:
	global_load_u8 v4, v[9:10], off
	s_mov_b32 s1, 0
	s_mov_b32 s3, -1
	s_waitcnt vmcnt(0)
	v_lshlrev_b32_e32 v5, 23, v4
	v_cmp_ne_u32_e32 vcc_lo, 0, v4
	s_delay_alu instid0(VALU_DEP_2) | instskip(NEXT) | instid1(VALU_DEP_1)
	v_trunc_f32_e32 v5, v5
	v_mul_f32_e64 v12, 0x2f800000, |v5|
	s_delay_alu instid0(VALU_DEP_1) | instskip(NEXT) | instid1(VALU_DEP_1)
	v_floor_f32_e32 v12, v12
	v_fma_f32 v12, 0xcf800000, v12, |v5|
	v_ashrrev_i32_e32 v5, 31, v5
	s_delay_alu instid0(VALU_DEP_2) | instskip(NEXT) | instid1(VALU_DEP_1)
	v_cvt_u32_f32_e32 v12, v12
	v_xor_b32_e32 v12, v12, v5
	s_delay_alu instid0(VALU_DEP_1) | instskip(NEXT) | instid1(VALU_DEP_1)
	v_sub_nc_u32_e32 v5, v12, v5
	v_cndmask_b32_e32 v4, 0, v5, vcc_lo
.LBB425_1181:
	s_branch .LBB425_1186
.LBB425_1182:
	s_mov_b32 s1, -1
                                        ; implicit-def: $vgpr4
	s_branch .LBB425_1186
.LBB425_1183:
	v_cmp_eq_u16_e32 vcc_lo, 29, v11
	s_cbranch_vccz .LBB425_1185
; %bb.1184:
	global_load_b64 v[4:5], v[9:10], off
	s_mov_b32 s1, 0
	s_mov_b32 s3, -1
	s_branch .LBB425_1186
.LBB425_1185:
	s_mov_b32 s1, -1
                                        ; implicit-def: $vgpr4
.LBB425_1186:
	s_branch .LBB425_1202
.LBB425_1187:
	v_cmp_gt_i16_e32 vcc_lo, 27, v11
	s_cbranch_vccnz .LBB425_1190
; %bb.1188:
	v_cmp_lt_i16_e32 vcc_lo, 27, v11
	s_cbranch_vccz .LBB425_1191
; %bb.1189:
	global_load_b32 v4, v[9:10], off
	s_mov_b32 s3, 0
	s_branch .LBB425_1192
.LBB425_1190:
	s_mov_b32 s3, -1
                                        ; implicit-def: $vgpr4
	s_branch .LBB425_1195
.LBB425_1191:
	s_mov_b32 s3, -1
                                        ; implicit-def: $vgpr4
.LBB425_1192:
	s_delay_alu instid0(SALU_CYCLE_1)
	s_and_not1_b32 vcc_lo, exec_lo, s3
	s_cbranch_vccnz .LBB425_1194
; %bb.1193:
	global_load_u16 v4, v[9:10], off
.LBB425_1194:
	s_mov_b32 s3, 0
.LBB425_1195:
	s_delay_alu instid0(SALU_CYCLE_1)
	s_and_not1_b32 vcc_lo, exec_lo, s3
	s_cbranch_vccnz .LBB425_1201
; %bb.1196:
	global_load_u8 v5, v[9:10], off
	s_mov_b32 s10, 0
	s_mov_b32 s3, exec_lo
                                        ; implicit-def: $sgpr11
	s_waitcnt vmcnt(0)
	v_cmpx_lt_i16_e32 0x7f, v5
	s_xor_b32 s3, exec_lo, s3
	s_cbranch_execz .LBB425_1212
; %bb.1197:
	v_cmp_ne_u16_e32 vcc_lo, 0x80, v5
	s_mov_b32 s11, 0
	s_and_b32 s10, vcc_lo, exec_lo
	s_or_saveexec_b32 s3, s3
	v_mov_b32_e32 v4, s11
	s_xor_b32 exec_lo, exec_lo, s3
	s_cbranch_execnz .LBB425_1213
.LBB425_1198:
	s_or_b32 exec_lo, exec_lo, s3
	s_and_saveexec_b32 s3, s10
	s_cbranch_execz .LBB425_1200
.LBB425_1199:
	v_and_b32_e32 v4, 0xffff, v5
	s_delay_alu instid0(VALU_DEP_1) | instskip(NEXT) | instid1(VALU_DEP_1)
	v_and_b32_e32 v12, 7, v4
	v_clz_i32_u32_e32 v13, v12
	s_delay_alu instid0(VALU_DEP_1) | instskip(NEXT) | instid1(VALU_DEP_1)
	v_min_u32_e32 v13, 32, v13
	v_subrev_nc_u32_e32 v14, 28, v13
	v_sub_nc_u32_e32 v13, 29, v13
	s_delay_alu instid0(VALU_DEP_2) | instskip(SKIP_1) | instid1(VALU_DEP_2)
	v_lshlrev_b32_e32 v14, v14, v4
	v_bfe_u32 v4, v4, 3, 4
	v_and_b32_e32 v14, 7, v14
	s_delay_alu instid0(VALU_DEP_2) | instskip(NEXT) | instid1(VALU_DEP_2)
	v_cmp_eq_u32_e32 vcc_lo, 0, v4
	v_dual_cndmask_b32 v12, v12, v14 :: v_dual_lshlrev_b32 v5, 24, v5
	v_cndmask_b32_e32 v4, v4, v13, vcc_lo
	s_delay_alu instid0(VALU_DEP_2) | instskip(NEXT) | instid1(VALU_DEP_3)
	v_and_b32_e32 v5, 0x80000000, v5
	v_lshlrev_b32_e32 v12, 20, v12
	s_delay_alu instid0(VALU_DEP_3) | instskip(NEXT) | instid1(VALU_DEP_1)
	v_lshl_add_u32 v4, v4, 23, 0x3b800000
	v_or3_b32 v4, v5, v4, v12
	s_delay_alu instid0(VALU_DEP_1) | instskip(NEXT) | instid1(VALU_DEP_1)
	v_trunc_f32_e32 v4, v4
	v_mul_f32_e64 v5, 0x2f800000, |v4|
	s_delay_alu instid0(VALU_DEP_1) | instskip(NEXT) | instid1(VALU_DEP_1)
	v_floor_f32_e32 v5, v5
	v_fma_f32 v5, 0xcf800000, v5, |v4|
	v_ashrrev_i32_e32 v4, 31, v4
	s_delay_alu instid0(VALU_DEP_2) | instskip(NEXT) | instid1(VALU_DEP_1)
	v_cvt_u32_f32_e32 v5, v5
	v_xor_b32_e32 v5, v5, v4
	s_delay_alu instid0(VALU_DEP_1)
	v_sub_nc_u32_e32 v4, v5, v4
.LBB425_1200:
	s_or_b32 exec_lo, exec_lo, s3
.LBB425_1201:
	s_mov_b32 s3, -1
.LBB425_1202:
	s_branch .LBB425_1232
.LBB425_1203:
	v_cmp_lt_i16_e32 vcc_lo, 22, v11
	s_cbranch_vccz .LBB425_1211
; %bb.1204:
	v_cmp_gt_i16_e32 vcc_lo, 24, v11
	s_cbranch_vccnz .LBB425_1214
; %bb.1205:
	v_cmp_lt_i16_e32 vcc_lo, 24, v11
	s_cbranch_vccz .LBB425_1215
; %bb.1206:
	global_load_u8 v5, v[9:10], off
	s_mov_b32 s3, 0
	s_mov_b32 s2, exec_lo
                                        ; implicit-def: $sgpr10
	s_waitcnt vmcnt(0)
	v_cmpx_lt_i16_e32 0x7f, v5
	s_xor_b32 s2, exec_lo, s2
	s_cbranch_execz .LBB425_1226
; %bb.1207:
	v_cmp_ne_u16_e32 vcc_lo, 0x80, v5
	s_mov_b32 s10, 0
	s_and_b32 s3, vcc_lo, exec_lo
	s_or_saveexec_b32 s2, s2
	v_mov_b32_e32 v4, s10
	s_xor_b32 exec_lo, exec_lo, s2
	s_cbranch_execnz .LBB425_1227
.LBB425_1208:
	s_or_b32 exec_lo, exec_lo, s2
	s_and_saveexec_b32 s2, s3
	s_cbranch_execz .LBB425_1210
.LBB425_1209:
	v_and_b32_e32 v4, 0xffff, v5
	s_delay_alu instid0(VALU_DEP_1) | instskip(NEXT) | instid1(VALU_DEP_1)
	v_and_b32_e32 v12, 3, v4
	v_clz_i32_u32_e32 v13, v12
	s_delay_alu instid0(VALU_DEP_1) | instskip(NEXT) | instid1(VALU_DEP_1)
	v_min_u32_e32 v13, 32, v13
	v_subrev_nc_u32_e32 v14, 29, v13
	v_sub_nc_u32_e32 v13, 30, v13
	s_delay_alu instid0(VALU_DEP_2) | instskip(SKIP_1) | instid1(VALU_DEP_2)
	v_lshlrev_b32_e32 v14, v14, v4
	v_bfe_u32 v4, v4, 2, 5
	v_and_b32_e32 v14, 3, v14
	s_delay_alu instid0(VALU_DEP_2) | instskip(NEXT) | instid1(VALU_DEP_2)
	v_cmp_eq_u32_e32 vcc_lo, 0, v4
	v_dual_cndmask_b32 v12, v12, v14 :: v_dual_lshlrev_b32 v5, 24, v5
	v_cndmask_b32_e32 v4, v4, v13, vcc_lo
	s_delay_alu instid0(VALU_DEP_2) | instskip(NEXT) | instid1(VALU_DEP_3)
	v_and_b32_e32 v5, 0x80000000, v5
	v_lshlrev_b32_e32 v12, 21, v12
	s_delay_alu instid0(VALU_DEP_3) | instskip(NEXT) | instid1(VALU_DEP_1)
	v_lshl_add_u32 v4, v4, 23, 0x37800000
	v_or3_b32 v4, v5, v4, v12
	s_delay_alu instid0(VALU_DEP_1) | instskip(NEXT) | instid1(VALU_DEP_1)
	v_trunc_f32_e32 v4, v4
	v_mul_f32_e64 v5, 0x2f800000, |v4|
	s_delay_alu instid0(VALU_DEP_1) | instskip(NEXT) | instid1(VALU_DEP_1)
	v_floor_f32_e32 v5, v5
	v_fma_f32 v5, 0xcf800000, v5, |v4|
	v_ashrrev_i32_e32 v4, 31, v4
	s_delay_alu instid0(VALU_DEP_2) | instskip(NEXT) | instid1(VALU_DEP_1)
	v_cvt_u32_f32_e32 v5, v5
	v_xor_b32_e32 v5, v5, v4
	s_delay_alu instid0(VALU_DEP_1)
	v_sub_nc_u32_e32 v4, v5, v4
.LBB425_1210:
	s_or_b32 exec_lo, exec_lo, s2
	s_mov_b32 s2, 0
	s_branch .LBB425_1216
.LBB425_1211:
                                        ; implicit-def: $vgpr4
	s_mov_b32 s2, 0
	s_branch .LBB425_1222
.LBB425_1212:
	s_or_saveexec_b32 s3, s3
	v_mov_b32_e32 v4, s11
	s_xor_b32 exec_lo, exec_lo, s3
	s_cbranch_execz .LBB425_1198
.LBB425_1213:
	v_cmp_ne_u16_e32 vcc_lo, 0, v5
	v_mov_b32_e32 v4, 0
	s_and_not1_b32 s10, s10, exec_lo
	s_and_b32 s11, vcc_lo, exec_lo
	s_delay_alu instid0(SALU_CYCLE_1)
	s_or_b32 s10, s10, s11
	s_or_b32 exec_lo, exec_lo, s3
	s_and_saveexec_b32 s3, s10
	s_cbranch_execnz .LBB425_1199
	s_branch .LBB425_1200
.LBB425_1214:
	s_mov_b32 s2, -1
                                        ; implicit-def: $vgpr4
	s_branch .LBB425_1219
.LBB425_1215:
	s_mov_b32 s2, -1
                                        ; implicit-def: $vgpr4
.LBB425_1216:
	s_delay_alu instid0(SALU_CYCLE_1)
	s_and_b32 vcc_lo, exec_lo, s2
	s_cbranch_vccz .LBB425_1218
; %bb.1217:
	global_load_u8 v4, v[9:10], off
	s_waitcnt vmcnt(0)
	v_lshlrev_b32_e32 v4, 24, v4
	s_delay_alu instid0(VALU_DEP_1) | instskip(NEXT) | instid1(VALU_DEP_1)
	v_and_b32_e32 v5, 0x7f000000, v4
	v_clz_i32_u32_e32 v12, v5
	v_cmp_ne_u32_e32 vcc_lo, 0, v5
	v_add_nc_u32_e32 v14, 0x1000000, v5
	s_delay_alu instid0(VALU_DEP_3) | instskip(NEXT) | instid1(VALU_DEP_1)
	v_min_u32_e32 v12, 32, v12
	v_sub_nc_u32_e64 v12, v12, 4 clamp
	s_delay_alu instid0(VALU_DEP_1) | instskip(SKIP_1) | instid1(VALU_DEP_2)
	v_lshlrev_b32_e32 v13, v12, v5
	v_lshlrev_b32_e32 v12, 23, v12
	v_lshrrev_b32_e32 v13, 4, v13
	s_delay_alu instid0(VALU_DEP_1) | instskip(SKIP_1) | instid1(VALU_DEP_2)
	v_sub_nc_u32_e32 v12, v13, v12
	v_ashrrev_i32_e32 v13, 8, v14
	v_add_nc_u32_e32 v12, 0x3c000000, v12
	s_delay_alu instid0(VALU_DEP_1) | instskip(NEXT) | instid1(VALU_DEP_1)
	v_and_or_b32 v12, 0x7f800000, v13, v12
	v_cndmask_b32_e32 v5, 0, v12, vcc_lo
	s_delay_alu instid0(VALU_DEP_1) | instskip(NEXT) | instid1(VALU_DEP_1)
	v_and_or_b32 v4, 0x80000000, v4, v5
	v_trunc_f32_e32 v4, v4
	s_delay_alu instid0(VALU_DEP_1) | instskip(NEXT) | instid1(VALU_DEP_1)
	v_mul_f32_e64 v5, 0x2f800000, |v4|
	v_floor_f32_e32 v5, v5
	s_delay_alu instid0(VALU_DEP_1) | instskip(SKIP_1) | instid1(VALU_DEP_2)
	v_fma_f32 v5, 0xcf800000, v5, |v4|
	v_ashrrev_i32_e32 v4, 31, v4
	v_cvt_u32_f32_e32 v5, v5
	s_delay_alu instid0(VALU_DEP_1) | instskip(NEXT) | instid1(VALU_DEP_1)
	v_xor_b32_e32 v5, v5, v4
	v_sub_nc_u32_e32 v4, v5, v4
.LBB425_1218:
	s_mov_b32 s2, 0
.LBB425_1219:
	s_delay_alu instid0(SALU_CYCLE_1)
	s_and_not1_b32 vcc_lo, exec_lo, s2
	s_cbranch_vccnz .LBB425_1221
; %bb.1220:
	global_load_u8 v4, v[9:10], off
	s_waitcnt vmcnt(0)
	v_lshlrev_b32_e32 v5, 25, v4
	v_lshlrev_b16 v4, 8, v4
	s_delay_alu instid0(VALU_DEP_2) | instskip(NEXT) | instid1(VALU_DEP_2)
	v_lshrrev_b32_e32 v12, 4, v5
	v_and_or_b32 v13, 0x7f00, v4, 0.5
	v_cmp_gt_u32_e32 vcc_lo, 0x8000000, v5
	v_bfe_i32 v4, v4, 0, 16
	s_delay_alu instid0(VALU_DEP_4) | instskip(NEXT) | instid1(VALU_DEP_1)
	v_or_b32_e32 v12, 0x70000000, v12
	v_dual_add_f32 v13, -0.5, v13 :: v_dual_mul_f32 v12, 0x7800000, v12
	s_delay_alu instid0(VALU_DEP_1) | instskip(NEXT) | instid1(VALU_DEP_1)
	v_cndmask_b32_e32 v5, v12, v13, vcc_lo
	v_and_or_b32 v4, 0x80000000, v4, v5
	s_delay_alu instid0(VALU_DEP_1) | instskip(NEXT) | instid1(VALU_DEP_1)
	v_trunc_f32_e32 v4, v4
	v_mul_f32_e64 v5, 0x2f800000, |v4|
	s_delay_alu instid0(VALU_DEP_1) | instskip(NEXT) | instid1(VALU_DEP_1)
	v_floor_f32_e32 v5, v5
	v_fma_f32 v5, 0xcf800000, v5, |v4|
	v_ashrrev_i32_e32 v4, 31, v4
	s_delay_alu instid0(VALU_DEP_2) | instskip(NEXT) | instid1(VALU_DEP_1)
	v_cvt_u32_f32_e32 v5, v5
	v_xor_b32_e32 v5, v5, v4
	s_delay_alu instid0(VALU_DEP_1)
	v_sub_nc_u32_e32 v4, v5, v4
.LBB425_1221:
	s_mov_b32 s3, -1
	s_mov_b32 s2, 0
	s_cbranch_execnz .LBB425_1232
.LBB425_1222:
	v_cmp_lt_i16_e32 vcc_lo, 14, v11
	s_cbranch_vccz .LBB425_1225
; %bb.1223:
	v_cmp_eq_u16_e32 vcc_lo, 15, v11
	s_cbranch_vccz .LBB425_1228
; %bb.1224:
	global_load_u16 v4, v[9:10], off
	s_mov_b32 s1, 0
	s_mov_b32 s3, -1
	s_waitcnt vmcnt(0)
	v_lshlrev_b32_e32 v4, 16, v4
	s_delay_alu instid0(VALU_DEP_1) | instskip(NEXT) | instid1(VALU_DEP_1)
	v_trunc_f32_e32 v4, v4
	v_mul_f32_e64 v5, 0x2f800000, |v4|
	s_delay_alu instid0(VALU_DEP_1) | instskip(NEXT) | instid1(VALU_DEP_1)
	v_floor_f32_e32 v5, v5
	v_fma_f32 v5, 0xcf800000, v5, |v4|
	v_ashrrev_i32_e32 v4, 31, v4
	s_delay_alu instid0(VALU_DEP_2) | instskip(NEXT) | instid1(VALU_DEP_1)
	v_cvt_u32_f32_e32 v5, v5
	v_xor_b32_e32 v5, v5, v4
	s_delay_alu instid0(VALU_DEP_1)
	v_sub_nc_u32_e32 v4, v5, v4
	s_branch .LBB425_1230
.LBB425_1225:
	s_mov_b32 s2, -1
	s_branch .LBB425_1229
.LBB425_1226:
	s_or_saveexec_b32 s2, s2
	v_mov_b32_e32 v4, s10
	s_xor_b32 exec_lo, exec_lo, s2
	s_cbranch_execz .LBB425_1208
.LBB425_1227:
	v_cmp_ne_u16_e32 vcc_lo, 0, v5
	v_mov_b32_e32 v4, 0
	s_and_not1_b32 s3, s3, exec_lo
	s_and_b32 s10, vcc_lo, exec_lo
	s_delay_alu instid0(SALU_CYCLE_1)
	s_or_b32 s3, s3, s10
	s_or_b32 exec_lo, exec_lo, s2
	s_and_saveexec_b32 s2, s3
	s_cbranch_execnz .LBB425_1209
	s_branch .LBB425_1210
.LBB425_1228:
	s_mov_b32 s1, -1
.LBB425_1229:
                                        ; implicit-def: $vgpr4
.LBB425_1230:
	s_and_b32 vcc_lo, exec_lo, s2
	s_mov_b32 s2, 0
	s_cbranch_vccz .LBB425_1232
; %bb.1231:
	v_cmp_ne_u16_e64 s1, 11, v11
	s_mov_b32 s2, -1
                                        ; implicit-def: $vgpr4
.LBB425_1232:
	s_delay_alu instid0(VALU_DEP_1)
	s_and_b32 vcc_lo, exec_lo, s1
	s_mov_b32 s1, s8
	s_cbranch_vccnz .LBB425_1256
; %bb.1233:
	s_and_not1_b32 vcc_lo, exec_lo, s2
	s_cbranch_vccnz .LBB425_1235
.LBB425_1234:
	global_load_u8 v4, v[9:10], off
	s_mov_b32 s3, -1
	s_waitcnt vmcnt(0)
	v_cmp_ne_u16_e32 vcc_lo, 0, v4
	v_cndmask_b32_e64 v4, 0, 1, vcc_lo
.LBB425_1235:
.LBB425_1236:
	s_and_not1_b32 vcc_lo, exec_lo, s3
	s_cbranch_vccnz .LBB425_2057
.LBB425_1237:
	v_cmp_gt_i16_e32 vcc_lo, 11, v11
	v_add_co_u32 v9, s2, s6, v6
	s_delay_alu instid0(VALU_DEP_1)
	v_add_co_ci_u32_e64 v10, null, s7, 0, s2
	s_mov_b32 s10, 0
	s_cbranch_vccnz .LBB425_1244
; %bb.1238:
	v_cmp_lt_i16_e32 vcc_lo, 25, v11
	s_mov_b32 s3, 0
	s_cbranch_vccz .LBB425_1250
; %bb.1239:
	v_cmp_lt_i16_e32 vcc_lo, 28, v11
	s_cbranch_vccz .LBB425_1252
; %bb.1240:
	v_cmp_lt_i16_e32 vcc_lo, 43, v11
	;; [unrolled: 3-line block ×3, first 2 shown]
	s_cbranch_vccz .LBB425_1260
; %bb.1242:
	v_cmp_eq_u16_e32 vcc_lo, 46, v11
	s_mov_b32 s11, 0
	s_cbranch_vccz .LBB425_1304
; %bb.1243:
	global_load_b32 v5, v[9:10], off
	s_mov_b32 s2, 0
	s_mov_b32 s10, -1
	s_waitcnt vmcnt(0)
	v_lshlrev_b32_e32 v5, 16, v5
	s_delay_alu instid0(VALU_DEP_1) | instskip(NEXT) | instid1(VALU_DEP_1)
	v_trunc_f32_e32 v5, v5
	v_mul_f32_e64 v6, 0x2f800000, |v5|
	s_delay_alu instid0(VALU_DEP_1) | instskip(NEXT) | instid1(VALU_DEP_1)
	v_floor_f32_e32 v6, v6
	v_fma_f32 v6, 0xcf800000, v6, |v5|
	v_ashrrev_i32_e32 v5, 31, v5
	s_delay_alu instid0(VALU_DEP_2) | instskip(NEXT) | instid1(VALU_DEP_1)
	v_cvt_u32_f32_e32 v6, v6
	v_xor_b32_e32 v6, v6, v5
	s_delay_alu instid0(VALU_DEP_1)
	v_sub_nc_u32_e32 v5, v6, v5
	s_branch .LBB425_1306
.LBB425_1244:
                                        ; implicit-def: $vgpr5
	s_cbranch_execz .LBB425_1367
; %bb.1245:
	v_cmp_gt_i16_e32 vcc_lo, 5, v11
	s_cbranch_vccnz .LBB425_1251
; %bb.1246:
	v_cmp_gt_i16_e32 vcc_lo, 8, v11
	s_cbranch_vccnz .LBB425_1253
	;; [unrolled: 3-line block ×3, first 2 shown]
; %bb.1248:
	v_cmp_lt_i16_e32 vcc_lo, 9, v11
	s_cbranch_vccz .LBB425_1261
; %bb.1249:
	global_load_b64 v[5:6], v[9:10], off
	s_mov_b32 s2, 0
	s_waitcnt vmcnt(0)
	v_trunc_f64_e32 v[5:6], v[5:6]
	s_delay_alu instid0(VALU_DEP_1) | instskip(NEXT) | instid1(VALU_DEP_1)
	v_ldexp_f64 v[12:13], v[5:6], 0xffffffe0
	v_floor_f64_e32 v[12:13], v[12:13]
	s_delay_alu instid0(VALU_DEP_1) | instskip(NEXT) | instid1(VALU_DEP_1)
	v_fma_f64 v[5:6], 0xc1f00000, v[12:13], v[5:6]
	v_cvt_u32_f64_e32 v5, v[5:6]
	s_branch .LBB425_1262
.LBB425_1250:
	s_mov_b32 s2, 0
                                        ; implicit-def: $vgpr5
	s_cbranch_execnz .LBB425_1333
	s_branch .LBB425_1363
.LBB425_1251:
                                        ; implicit-def: $vgpr5
	s_branch .LBB425_1280
.LBB425_1252:
	s_mov_b32 s11, -1
	s_mov_b32 s2, 0
                                        ; implicit-def: $vgpr5
	s_branch .LBB425_1316
.LBB425_1253:
	s_mov_b32 s2, -1
                                        ; implicit-def: $vgpr5
	s_branch .LBB425_1268
.LBB425_1254:
	s_mov_b32 s11, -1
	s_mov_b32 s2, 0
                                        ; implicit-def: $vgpr5
	s_branch .LBB425_1311
.LBB425_1255:
	s_mov_b32 s2, -1
                                        ; implicit-def: $vgpr5
	s_branch .LBB425_1265
.LBB425_1256:
	s_cbranch_execnz .LBB425_1300
; %bb.1257:
	s_or_b32 s1, s8, exec_lo
                                        ; implicit-def: $vgpr4
	s_cbranch_execz .LBB425_1234
	s_branch .LBB425_1235
.LBB425_1258:
	s_or_saveexec_b32 s7, s7
                                        ; implicit-def: $sgpr8
	s_delay_alu instid0(SALU_CYCLE_1)
	s_xor_b32 exec_lo, exec_lo, s7
	s_cbranch_execz .LBB425_971
.LBB425_1259:
	v_add_f32_e32 v0, 0x46000000, v3
	s_and_not1_b32 s5, s5, exec_lo
	s_mov_b32 s8, 0
	s_delay_alu instid0(VALU_DEP_1) | instskip(NEXT) | instid1(VALU_DEP_1)
	v_and_b32_e32 v0, 0xff, v0
	v_cmp_ne_u32_e32 vcc_lo, 0, v0
	s_and_b32 s9, vcc_lo, exec_lo
	s_delay_alu instid0(SALU_CYCLE_1)
	s_or_b32 s5, s5, s9
	s_or_b32 exec_lo, exec_lo, s7
	v_mov_b32_e32 v6, s8
	s_and_saveexec_b32 s7, s5
	s_cbranch_execnz .LBB425_972
	s_branch .LBB425_973
.LBB425_1260:
	s_mov_b32 s11, -1
	s_mov_b32 s2, 0
	s_branch .LBB425_1305
.LBB425_1261:
	s_mov_b32 s2, -1
                                        ; implicit-def: $vgpr5
.LBB425_1262:
	s_delay_alu instid0(SALU_CYCLE_1)
	s_and_not1_b32 vcc_lo, exec_lo, s2
	s_cbranch_vccnz .LBB425_1264
; %bb.1263:
	global_load_b32 v5, v[9:10], off
	s_waitcnt vmcnt(0)
	v_trunc_f32_e32 v5, v5
	s_delay_alu instid0(VALU_DEP_1) | instskip(NEXT) | instid1(VALU_DEP_1)
	v_mul_f32_e64 v6, 0x2f800000, |v5|
	v_floor_f32_e32 v6, v6
	s_delay_alu instid0(VALU_DEP_1) | instskip(SKIP_1) | instid1(VALU_DEP_2)
	v_fma_f32 v6, 0xcf800000, v6, |v5|
	v_ashrrev_i32_e32 v5, 31, v5
	v_cvt_u32_f32_e32 v6, v6
	s_delay_alu instid0(VALU_DEP_1) | instskip(NEXT) | instid1(VALU_DEP_1)
	v_xor_b32_e32 v6, v6, v5
	v_sub_nc_u32_e32 v5, v6, v5
.LBB425_1264:
	s_mov_b32 s2, 0
.LBB425_1265:
	s_delay_alu instid0(SALU_CYCLE_1)
	s_and_not1_b32 vcc_lo, exec_lo, s2
	s_cbranch_vccnz .LBB425_1267
; %bb.1266:
	global_load_b32 v5, v[9:10], off
	s_waitcnt vmcnt(0)
	v_cvt_f32_f16_e32 v5, v5
	s_delay_alu instid0(VALU_DEP_1)
	v_cvt_i32_f32_e32 v5, v5
.LBB425_1267:
	s_mov_b32 s2, 0
.LBB425_1268:
	s_delay_alu instid0(SALU_CYCLE_1)
	s_and_not1_b32 vcc_lo, exec_lo, s2
	s_cbranch_vccnz .LBB425_1279
; %bb.1269:
	v_cmp_gt_i16_e32 vcc_lo, 6, v11
	s_cbranch_vccnz .LBB425_1272
; %bb.1270:
	v_cmp_lt_i16_e32 vcc_lo, 6, v11
	s_cbranch_vccz .LBB425_1273
; %bb.1271:
	global_load_b64 v[5:6], v[9:10], off
	s_mov_b32 s2, 0
	s_waitcnt vmcnt(0)
	v_trunc_f64_e32 v[5:6], v[5:6]
	s_delay_alu instid0(VALU_DEP_1) | instskip(NEXT) | instid1(VALU_DEP_1)
	v_ldexp_f64 v[12:13], v[5:6], 0xffffffe0
	v_floor_f64_e32 v[12:13], v[12:13]
	s_delay_alu instid0(VALU_DEP_1) | instskip(NEXT) | instid1(VALU_DEP_1)
	v_fma_f64 v[5:6], 0xc1f00000, v[12:13], v[5:6]
	v_cvt_u32_f64_e32 v5, v[5:6]
	s_branch .LBB425_1274
.LBB425_1272:
	s_mov_b32 s2, -1
                                        ; implicit-def: $vgpr5
	s_branch .LBB425_1277
.LBB425_1273:
	s_mov_b32 s2, -1
                                        ; implicit-def: $vgpr5
.LBB425_1274:
	s_delay_alu instid0(SALU_CYCLE_1)
	s_and_not1_b32 vcc_lo, exec_lo, s2
	s_cbranch_vccnz .LBB425_1276
; %bb.1275:
	global_load_b32 v5, v[9:10], off
	s_waitcnt vmcnt(0)
	v_trunc_f32_e32 v5, v5
	s_delay_alu instid0(VALU_DEP_1) | instskip(NEXT) | instid1(VALU_DEP_1)
	v_mul_f32_e64 v6, 0x2f800000, |v5|
	v_floor_f32_e32 v6, v6
	s_delay_alu instid0(VALU_DEP_1) | instskip(SKIP_1) | instid1(VALU_DEP_2)
	v_fma_f32 v6, 0xcf800000, v6, |v5|
	v_ashrrev_i32_e32 v5, 31, v5
	v_cvt_u32_f32_e32 v6, v6
	s_delay_alu instid0(VALU_DEP_1) | instskip(NEXT) | instid1(VALU_DEP_1)
	v_xor_b32_e32 v6, v6, v5
	v_sub_nc_u32_e32 v5, v6, v5
.LBB425_1276:
	s_mov_b32 s2, 0
.LBB425_1277:
	s_delay_alu instid0(SALU_CYCLE_1)
	s_and_not1_b32 vcc_lo, exec_lo, s2
	s_cbranch_vccnz .LBB425_1279
; %bb.1278:
	global_load_u16 v5, v[9:10], off
	s_waitcnt vmcnt(0)
	v_cvt_f32_f16_e32 v5, v5
	s_delay_alu instid0(VALU_DEP_1)
	v_cvt_i32_f32_e32 v5, v5
.LBB425_1279:
	s_cbranch_execnz .LBB425_1299
.LBB425_1280:
	v_cmp_gt_i16_e32 vcc_lo, 2, v11
	s_cbranch_vccnz .LBB425_1284
; %bb.1281:
	v_cmp_gt_i16_e32 vcc_lo, 3, v11
	s_cbranch_vccnz .LBB425_1285
; %bb.1282:
	v_cmp_lt_i16_e32 vcc_lo, 3, v11
	s_cbranch_vccz .LBB425_1286
; %bb.1283:
	global_load_b64 v[5:6], v[9:10], off
	s_mov_b32 s2, 0
	s_branch .LBB425_1287
.LBB425_1284:
	s_mov_b32 s2, -1
                                        ; implicit-def: $vgpr5
	s_branch .LBB425_1293
.LBB425_1285:
	s_mov_b32 s2, -1
                                        ; implicit-def: $vgpr5
	s_branch .LBB425_1290
.LBB425_1286:
	s_mov_b32 s2, -1
                                        ; implicit-def: $vgpr5
.LBB425_1287:
	s_delay_alu instid0(SALU_CYCLE_1)
	s_and_not1_b32 vcc_lo, exec_lo, s2
	s_cbranch_vccnz .LBB425_1289
; %bb.1288:
	global_load_b32 v5, v[9:10], off
.LBB425_1289:
	s_mov_b32 s2, 0
.LBB425_1290:
	s_delay_alu instid0(SALU_CYCLE_1)
	s_and_not1_b32 vcc_lo, exec_lo, s2
	s_cbranch_vccnz .LBB425_1292
; %bb.1291:
	global_load_u16 v5, v[9:10], off
.LBB425_1292:
	s_mov_b32 s2, 0
.LBB425_1293:
	s_delay_alu instid0(SALU_CYCLE_1)
	s_and_not1_b32 vcc_lo, exec_lo, s2
	s_cbranch_vccnz .LBB425_1299
; %bb.1294:
	v_cmp_lt_i16_e32 vcc_lo, 0, v11
	s_mov_b32 s2, 0
	s_cbranch_vccz .LBB425_1296
; %bb.1295:
	global_load_u8 v5, v[9:10], off
	s_branch .LBB425_1297
.LBB425_1296:
	s_mov_b32 s2, -1
                                        ; implicit-def: $vgpr5
.LBB425_1297:
	s_delay_alu instid0(SALU_CYCLE_1)
	s_and_not1_b32 vcc_lo, exec_lo, s2
	s_cbranch_vccnz .LBB425_1299
; %bb.1298:
	global_load_u8 v5, v[9:10], off
.LBB425_1299:
	s_branch .LBB425_1368
.LBB425_1300:
	s_trap 2
	s_sendmsg_rtn_b32 s0, sendmsg(MSG_RTN_GET_DOORBELL)
	s_mov_b32 ttmp2, m0
	s_waitcnt lgkmcnt(0)
	s_and_b32 s0, s0, 0x3ff
	s_delay_alu instid0(SALU_CYCLE_1) | instskip(NEXT) | instid1(SALU_CYCLE_1)
	s_bitset1_b32 s0, 10
	s_mov_b32 m0, s0
	s_sendmsg sendmsg(MSG_INTERRUPT)
	s_mov_b32 m0, ttmp2
.LBB425_1301:                           ; =>This Inner Loop Header: Depth=1
	s_sethalt 5
	s_branch .LBB425_1301
.LBB425_1302:
	s_or_saveexec_b32 s8, s8
                                        ; implicit-def: $sgpr9
	s_delay_alu instid0(SALU_CYCLE_1)
	s_xor_b32 exec_lo, exec_lo, s8
	s_cbranch_execz .LBB425_983
.LBB425_1303:
	v_add_f32_e32 v0, 0x42800000, v3
	s_and_not1_b32 s7, s7, exec_lo
	s_mov_b32 s9, 0
	s_delay_alu instid0(VALU_DEP_1) | instskip(NEXT) | instid1(VALU_DEP_1)
	v_and_b32_e32 v0, 0xff, v0
	v_cmp_ne_u32_e32 vcc_lo, 0, v0
	s_and_b32 s10, vcc_lo, exec_lo
	s_delay_alu instid0(SALU_CYCLE_1)
	s_or_b32 s7, s7, s10
	s_or_b32 exec_lo, exec_lo, s8
	v_mov_b32_e32 v6, s9
	s_and_saveexec_b32 s8, s7
	s_cbranch_execnz .LBB425_984
	s_branch .LBB425_985
.LBB425_1304:
	s_mov_b32 s2, -1
.LBB425_1305:
                                        ; implicit-def: $vgpr5
.LBB425_1306:
	s_and_b32 vcc_lo, exec_lo, s11
	s_cbranch_vccz .LBB425_1310
; %bb.1307:
	v_cmp_eq_u16_e32 vcc_lo, 44, v11
	s_cbranch_vccz .LBB425_1309
; %bb.1308:
	global_load_u8 v5, v[9:10], off
	s_mov_b32 s2, 0
	s_mov_b32 s10, -1
	s_waitcnt vmcnt(0)
	v_lshlrev_b32_e32 v6, 23, v5
	v_cmp_ne_u32_e32 vcc_lo, 0, v5
	s_delay_alu instid0(VALU_DEP_2) | instskip(NEXT) | instid1(VALU_DEP_1)
	v_trunc_f32_e32 v6, v6
	v_mul_f32_e64 v12, 0x2f800000, |v6|
	s_delay_alu instid0(VALU_DEP_1) | instskip(NEXT) | instid1(VALU_DEP_1)
	v_floor_f32_e32 v12, v12
	v_fma_f32 v12, 0xcf800000, v12, |v6|
	v_ashrrev_i32_e32 v6, 31, v6
	s_delay_alu instid0(VALU_DEP_2) | instskip(NEXT) | instid1(VALU_DEP_1)
	v_cvt_u32_f32_e32 v12, v12
	v_xor_b32_e32 v12, v12, v6
	s_delay_alu instid0(VALU_DEP_1) | instskip(NEXT) | instid1(VALU_DEP_1)
	v_sub_nc_u32_e32 v6, v12, v6
	v_cndmask_b32_e32 v5, 0, v6, vcc_lo
	s_branch .LBB425_1310
.LBB425_1309:
	s_mov_b32 s2, -1
                                        ; implicit-def: $vgpr5
.LBB425_1310:
	s_mov_b32 s11, 0
.LBB425_1311:
	s_delay_alu instid0(SALU_CYCLE_1)
	s_and_b32 vcc_lo, exec_lo, s11
	s_cbranch_vccz .LBB425_1315
; %bb.1312:
	v_cmp_eq_u16_e32 vcc_lo, 29, v11
	s_cbranch_vccz .LBB425_1314
; %bb.1313:
	global_load_b64 v[5:6], v[9:10], off
	s_mov_b32 s2, 0
	s_mov_b32 s10, -1
	s_branch .LBB425_1315
.LBB425_1314:
	s_mov_b32 s2, -1
                                        ; implicit-def: $vgpr5
.LBB425_1315:
	s_mov_b32 s11, 0
.LBB425_1316:
	s_delay_alu instid0(SALU_CYCLE_1)
	s_and_b32 vcc_lo, exec_lo, s11
	s_cbranch_vccz .LBB425_1332
; %bb.1317:
	v_cmp_gt_i16_e32 vcc_lo, 27, v11
	s_cbranch_vccnz .LBB425_1320
; %bb.1318:
	v_cmp_lt_i16_e32 vcc_lo, 27, v11
	s_cbranch_vccz .LBB425_1321
; %bb.1319:
	global_load_b32 v5, v[9:10], off
	s_mov_b32 s10, 0
	s_branch .LBB425_1322
.LBB425_1320:
	s_mov_b32 s10, -1
                                        ; implicit-def: $vgpr5
	s_branch .LBB425_1325
.LBB425_1321:
	s_mov_b32 s10, -1
                                        ; implicit-def: $vgpr5
.LBB425_1322:
	s_delay_alu instid0(SALU_CYCLE_1)
	s_and_not1_b32 vcc_lo, exec_lo, s10
	s_cbranch_vccnz .LBB425_1324
; %bb.1323:
	global_load_u16 v5, v[9:10], off
.LBB425_1324:
	s_mov_b32 s10, 0
.LBB425_1325:
	s_delay_alu instid0(SALU_CYCLE_1)
	s_and_not1_b32 vcc_lo, exec_lo, s10
	s_cbranch_vccnz .LBB425_1331
; %bb.1326:
	global_load_u8 v6, v[9:10], off
	s_mov_b32 s11, 0
	s_mov_b32 s10, exec_lo
                                        ; implicit-def: $sgpr12
	s_waitcnt vmcnt(0)
	v_cmpx_lt_i16_e32 0x7f, v6
	s_xor_b32 s10, exec_lo, s10
	s_cbranch_execz .LBB425_1342
; %bb.1327:
	v_cmp_ne_u16_e32 vcc_lo, 0x80, v6
	s_mov_b32 s12, 0
	s_and_b32 s11, vcc_lo, exec_lo
	s_or_saveexec_b32 s10, s10
	v_mov_b32_e32 v5, s12
	s_xor_b32 exec_lo, exec_lo, s10
	s_cbranch_execnz .LBB425_1343
.LBB425_1328:
	s_or_b32 exec_lo, exec_lo, s10
	s_and_saveexec_b32 s10, s11
	s_cbranch_execz .LBB425_1330
.LBB425_1329:
	v_and_b32_e32 v5, 0xffff, v6
	v_lshlrev_b32_e32 v6, 24, v6
	s_delay_alu instid0(VALU_DEP_2) | instskip(NEXT) | instid1(VALU_DEP_2)
	v_and_b32_e32 v12, 7, v5
	v_and_b32_e32 v6, 0x80000000, v6
	s_delay_alu instid0(VALU_DEP_2) | instskip(NEXT) | instid1(VALU_DEP_1)
	v_clz_i32_u32_e32 v13, v12
	v_min_u32_e32 v13, 32, v13
	s_delay_alu instid0(VALU_DEP_1) | instskip(SKIP_1) | instid1(VALU_DEP_2)
	v_subrev_nc_u32_e32 v14, 28, v13
	v_sub_nc_u32_e32 v13, 29, v13
	v_lshlrev_b32_e32 v14, v14, v5
	v_bfe_u32 v5, v5, 3, 4
	s_delay_alu instid0(VALU_DEP_1) | instskip(NEXT) | instid1(VALU_DEP_3)
	v_cmp_eq_u32_e32 vcc_lo, 0, v5
	v_dual_cndmask_b32 v5, v5, v13 :: v_dual_and_b32 v14, 7, v14
	s_delay_alu instid0(VALU_DEP_1) | instskip(NEXT) | instid1(VALU_DEP_2)
	v_cndmask_b32_e32 v12, v12, v14, vcc_lo
	v_lshl_add_u32 v5, v5, 23, 0x3b800000
	s_delay_alu instid0(VALU_DEP_2) | instskip(NEXT) | instid1(VALU_DEP_1)
	v_lshlrev_b32_e32 v12, 20, v12
	v_or3_b32 v5, v6, v5, v12
	s_delay_alu instid0(VALU_DEP_1) | instskip(NEXT) | instid1(VALU_DEP_1)
	v_trunc_f32_e32 v5, v5
	v_mul_f32_e64 v6, 0x2f800000, |v5|
	s_delay_alu instid0(VALU_DEP_1) | instskip(NEXT) | instid1(VALU_DEP_1)
	v_floor_f32_e32 v6, v6
	v_fma_f32 v6, 0xcf800000, v6, |v5|
	v_ashrrev_i32_e32 v5, 31, v5
	s_delay_alu instid0(VALU_DEP_2) | instskip(NEXT) | instid1(VALU_DEP_1)
	v_cvt_u32_f32_e32 v6, v6
	v_xor_b32_e32 v6, v6, v5
	s_delay_alu instid0(VALU_DEP_1)
	v_sub_nc_u32_e32 v5, v6, v5
.LBB425_1330:
	s_or_b32 exec_lo, exec_lo, s10
.LBB425_1331:
	s_mov_b32 s10, -1
.LBB425_1332:
	s_branch .LBB425_1363
.LBB425_1333:
	v_cmp_lt_i16_e32 vcc_lo, 22, v11
	s_cbranch_vccz .LBB425_1341
; %bb.1334:
	v_cmp_gt_i16_e32 vcc_lo, 24, v11
	s_cbranch_vccnz .LBB425_1344
; %bb.1335:
	v_cmp_lt_i16_e32 vcc_lo, 24, v11
	s_cbranch_vccz .LBB425_1345
; %bb.1336:
	global_load_u8 v6, v[9:10], off
	s_mov_b32 s10, 0
	s_mov_b32 s3, exec_lo
                                        ; implicit-def: $sgpr11
	s_waitcnt vmcnt(0)
	v_cmpx_lt_i16_e32 0x7f, v6
	s_xor_b32 s3, exec_lo, s3
	s_cbranch_execz .LBB425_1357
; %bb.1337:
	v_cmp_ne_u16_e32 vcc_lo, 0x80, v6
	s_mov_b32 s11, 0
	s_and_b32 s10, vcc_lo, exec_lo
	s_or_saveexec_b32 s3, s3
	v_mov_b32_e32 v5, s11
	s_xor_b32 exec_lo, exec_lo, s3
	s_cbranch_execnz .LBB425_1358
.LBB425_1338:
	s_or_b32 exec_lo, exec_lo, s3
	s_and_saveexec_b32 s3, s10
	s_cbranch_execz .LBB425_1340
.LBB425_1339:
	v_and_b32_e32 v5, 0xffff, v6
	v_lshlrev_b32_e32 v6, 24, v6
	s_delay_alu instid0(VALU_DEP_2) | instskip(NEXT) | instid1(VALU_DEP_2)
	v_and_b32_e32 v12, 3, v5
	v_and_b32_e32 v6, 0x80000000, v6
	s_delay_alu instid0(VALU_DEP_2) | instskip(NEXT) | instid1(VALU_DEP_1)
	v_clz_i32_u32_e32 v13, v12
	v_min_u32_e32 v13, 32, v13
	s_delay_alu instid0(VALU_DEP_1) | instskip(SKIP_1) | instid1(VALU_DEP_2)
	v_subrev_nc_u32_e32 v14, 29, v13
	v_sub_nc_u32_e32 v13, 30, v13
	v_lshlrev_b32_e32 v14, v14, v5
	v_bfe_u32 v5, v5, 2, 5
	s_delay_alu instid0(VALU_DEP_1) | instskip(NEXT) | instid1(VALU_DEP_3)
	v_cmp_eq_u32_e32 vcc_lo, 0, v5
	v_dual_cndmask_b32 v5, v5, v13 :: v_dual_and_b32 v14, 3, v14
	s_delay_alu instid0(VALU_DEP_1) | instskip(NEXT) | instid1(VALU_DEP_2)
	v_cndmask_b32_e32 v12, v12, v14, vcc_lo
	v_lshl_add_u32 v5, v5, 23, 0x37800000
	s_delay_alu instid0(VALU_DEP_2) | instskip(NEXT) | instid1(VALU_DEP_1)
	v_lshlrev_b32_e32 v12, 21, v12
	v_or3_b32 v5, v6, v5, v12
	s_delay_alu instid0(VALU_DEP_1) | instskip(NEXT) | instid1(VALU_DEP_1)
	v_trunc_f32_e32 v5, v5
	v_mul_f32_e64 v6, 0x2f800000, |v5|
	s_delay_alu instid0(VALU_DEP_1) | instskip(NEXT) | instid1(VALU_DEP_1)
	v_floor_f32_e32 v6, v6
	v_fma_f32 v6, 0xcf800000, v6, |v5|
	v_ashrrev_i32_e32 v5, 31, v5
	s_delay_alu instid0(VALU_DEP_2) | instskip(NEXT) | instid1(VALU_DEP_1)
	v_cvt_u32_f32_e32 v6, v6
	v_xor_b32_e32 v6, v6, v5
	s_delay_alu instid0(VALU_DEP_1)
	v_sub_nc_u32_e32 v5, v6, v5
.LBB425_1340:
	s_or_b32 exec_lo, exec_lo, s3
	s_mov_b32 s3, 0
	s_branch .LBB425_1346
.LBB425_1341:
	s_mov_b32 s3, -1
                                        ; implicit-def: $vgpr5
	s_branch .LBB425_1352
.LBB425_1342:
	s_or_saveexec_b32 s10, s10
	v_mov_b32_e32 v5, s12
	s_xor_b32 exec_lo, exec_lo, s10
	s_cbranch_execz .LBB425_1328
.LBB425_1343:
	v_cmp_ne_u16_e32 vcc_lo, 0, v6
	v_mov_b32_e32 v5, 0
	s_and_not1_b32 s11, s11, exec_lo
	s_and_b32 s12, vcc_lo, exec_lo
	s_delay_alu instid0(SALU_CYCLE_1)
	s_or_b32 s11, s11, s12
	s_or_b32 exec_lo, exec_lo, s10
	s_and_saveexec_b32 s10, s11
	s_cbranch_execnz .LBB425_1329
	s_branch .LBB425_1330
.LBB425_1344:
	s_mov_b32 s3, -1
                                        ; implicit-def: $vgpr5
	s_branch .LBB425_1349
.LBB425_1345:
	s_mov_b32 s3, -1
                                        ; implicit-def: $vgpr5
.LBB425_1346:
	s_delay_alu instid0(SALU_CYCLE_1)
	s_and_b32 vcc_lo, exec_lo, s3
	s_cbranch_vccz .LBB425_1348
; %bb.1347:
	global_load_u8 v5, v[9:10], off
	s_waitcnt vmcnt(0)
	v_lshlrev_b32_e32 v5, 24, v5
	s_delay_alu instid0(VALU_DEP_1) | instskip(NEXT) | instid1(VALU_DEP_1)
	v_and_b32_e32 v6, 0x7f000000, v5
	v_clz_i32_u32_e32 v12, v6
	v_add_nc_u32_e32 v14, 0x1000000, v6
	v_cmp_ne_u32_e32 vcc_lo, 0, v6
	s_delay_alu instid0(VALU_DEP_3) | instskip(NEXT) | instid1(VALU_DEP_1)
	v_min_u32_e32 v12, 32, v12
	v_sub_nc_u32_e64 v12, v12, 4 clamp
	s_delay_alu instid0(VALU_DEP_1) | instskip(SKIP_1) | instid1(VALU_DEP_2)
	v_lshlrev_b32_e32 v13, v12, v6
	v_lshlrev_b32_e32 v12, 23, v12
	v_lshrrev_b32_e32 v13, 4, v13
	s_delay_alu instid0(VALU_DEP_1) | instskip(SKIP_1) | instid1(VALU_DEP_2)
	v_sub_nc_u32_e32 v12, v13, v12
	v_ashrrev_i32_e32 v13, 8, v14
	v_add_nc_u32_e32 v12, 0x3c000000, v12
	s_delay_alu instid0(VALU_DEP_1) | instskip(NEXT) | instid1(VALU_DEP_1)
	v_and_or_b32 v12, 0x7f800000, v13, v12
	v_cndmask_b32_e32 v6, 0, v12, vcc_lo
	s_delay_alu instid0(VALU_DEP_1) | instskip(NEXT) | instid1(VALU_DEP_1)
	v_and_or_b32 v5, 0x80000000, v5, v6
	v_trunc_f32_e32 v5, v5
	s_delay_alu instid0(VALU_DEP_1) | instskip(NEXT) | instid1(VALU_DEP_1)
	v_mul_f32_e64 v6, 0x2f800000, |v5|
	v_floor_f32_e32 v6, v6
	s_delay_alu instid0(VALU_DEP_1) | instskip(SKIP_1) | instid1(VALU_DEP_2)
	v_fma_f32 v6, 0xcf800000, v6, |v5|
	v_ashrrev_i32_e32 v5, 31, v5
	v_cvt_u32_f32_e32 v6, v6
	s_delay_alu instid0(VALU_DEP_1) | instskip(NEXT) | instid1(VALU_DEP_1)
	v_xor_b32_e32 v6, v6, v5
	v_sub_nc_u32_e32 v5, v6, v5
.LBB425_1348:
	s_mov_b32 s3, 0
.LBB425_1349:
	s_delay_alu instid0(SALU_CYCLE_1)
	s_and_not1_b32 vcc_lo, exec_lo, s3
	s_cbranch_vccnz .LBB425_1351
; %bb.1350:
	global_load_u8 v5, v[9:10], off
	s_waitcnt vmcnt(0)
	v_lshlrev_b32_e32 v6, 25, v5
	v_lshlrev_b16 v5, 8, v5
	s_delay_alu instid0(VALU_DEP_2) | instskip(NEXT) | instid1(VALU_DEP_2)
	v_lshrrev_b32_e32 v12, 4, v6
	v_and_or_b32 v13, 0x7f00, v5, 0.5
	v_cmp_gt_u32_e32 vcc_lo, 0x8000000, v6
	v_bfe_i32 v5, v5, 0, 16
	s_delay_alu instid0(VALU_DEP_4) | instskip(NEXT) | instid1(VALU_DEP_1)
	v_or_b32_e32 v12, 0x70000000, v12
	v_dual_add_f32 v13, -0.5, v13 :: v_dual_mul_f32 v12, 0x7800000, v12
	s_delay_alu instid0(VALU_DEP_1) | instskip(NEXT) | instid1(VALU_DEP_1)
	v_cndmask_b32_e32 v6, v12, v13, vcc_lo
	v_and_or_b32 v5, 0x80000000, v5, v6
	s_delay_alu instid0(VALU_DEP_1) | instskip(NEXT) | instid1(VALU_DEP_1)
	v_trunc_f32_e32 v5, v5
	v_mul_f32_e64 v6, 0x2f800000, |v5|
	s_delay_alu instid0(VALU_DEP_1) | instskip(NEXT) | instid1(VALU_DEP_1)
	v_floor_f32_e32 v6, v6
	v_fma_f32 v6, 0xcf800000, v6, |v5|
	v_ashrrev_i32_e32 v5, 31, v5
	s_delay_alu instid0(VALU_DEP_2) | instskip(NEXT) | instid1(VALU_DEP_1)
	v_cvt_u32_f32_e32 v6, v6
	v_xor_b32_e32 v6, v6, v5
	s_delay_alu instid0(VALU_DEP_1)
	v_sub_nc_u32_e32 v5, v6, v5
.LBB425_1351:
	s_mov_b32 s3, 0
	s_mov_b32 s10, -1
.LBB425_1352:
	s_and_not1_b32 vcc_lo, exec_lo, s3
	s_mov_b32 s3, 0
	s_cbranch_vccnz .LBB425_1363
; %bb.1353:
	v_cmp_lt_i16_e32 vcc_lo, 14, v11
	s_cbranch_vccz .LBB425_1356
; %bb.1354:
	v_cmp_eq_u16_e32 vcc_lo, 15, v11
	s_cbranch_vccz .LBB425_1359
; %bb.1355:
	global_load_u16 v5, v[9:10], off
	s_mov_b32 s2, 0
	s_mov_b32 s10, -1
	s_waitcnt vmcnt(0)
	v_lshlrev_b32_e32 v5, 16, v5
	s_delay_alu instid0(VALU_DEP_1) | instskip(NEXT) | instid1(VALU_DEP_1)
	v_trunc_f32_e32 v5, v5
	v_mul_f32_e64 v6, 0x2f800000, |v5|
	s_delay_alu instid0(VALU_DEP_1) | instskip(NEXT) | instid1(VALU_DEP_1)
	v_floor_f32_e32 v6, v6
	v_fma_f32 v6, 0xcf800000, v6, |v5|
	v_ashrrev_i32_e32 v5, 31, v5
	s_delay_alu instid0(VALU_DEP_2) | instskip(NEXT) | instid1(VALU_DEP_1)
	v_cvt_u32_f32_e32 v6, v6
	v_xor_b32_e32 v6, v6, v5
	s_delay_alu instid0(VALU_DEP_1)
	v_sub_nc_u32_e32 v5, v6, v5
	s_branch .LBB425_1361
.LBB425_1356:
	s_mov_b32 s3, -1
	s_branch .LBB425_1360
.LBB425_1357:
	s_or_saveexec_b32 s3, s3
	v_mov_b32_e32 v5, s11
	s_xor_b32 exec_lo, exec_lo, s3
	s_cbranch_execz .LBB425_1338
.LBB425_1358:
	v_cmp_ne_u16_e32 vcc_lo, 0, v6
	v_mov_b32_e32 v5, 0
	s_and_not1_b32 s10, s10, exec_lo
	s_and_b32 s11, vcc_lo, exec_lo
	s_delay_alu instid0(SALU_CYCLE_1)
	s_or_b32 s10, s10, s11
	s_or_b32 exec_lo, exec_lo, s3
	s_and_saveexec_b32 s3, s10
	s_cbranch_execnz .LBB425_1339
	s_branch .LBB425_1340
.LBB425_1359:
	s_mov_b32 s2, -1
.LBB425_1360:
                                        ; implicit-def: $vgpr5
.LBB425_1361:
	s_and_b32 vcc_lo, exec_lo, s3
	s_mov_b32 s3, 0
	s_cbranch_vccz .LBB425_1363
; %bb.1362:
	v_cmp_ne_u16_e64 s2, 11, v11
	s_mov_b32 s3, -1
                                        ; implicit-def: $vgpr5
.LBB425_1363:
	s_delay_alu instid0(VALU_DEP_1)
	s_and_b32 vcc_lo, exec_lo, s2
	s_cbranch_vccnz .LBB425_1387
; %bb.1364:
	s_and_not1_b32 vcc_lo, exec_lo, s3
	s_cbranch_vccnz .LBB425_1366
.LBB425_1365:
	global_load_u8 v5, v[9:10], off
	s_mov_b32 s10, -1
	s_waitcnt vmcnt(0)
	v_cmp_ne_u16_e32 vcc_lo, 0, v5
	v_cndmask_b32_e64 v5, 0, 1, vcc_lo
.LBB425_1366:
.LBB425_1367:
	s_and_not1_b32 vcc_lo, exec_lo, s10
	s_cbranch_vccnz .LBB425_2057
.LBB425_1368:
	v_cmp_gt_i16_e32 vcc_lo, 11, v11
	v_add_co_u32 v9, s2, s6, v7
	s_delay_alu instid0(VALU_DEP_1)
	v_add_co_ci_u32_e64 v10, null, s7, 0, s2
	s_mov_b32 s10, 0
	s_cbranch_vccnz .LBB425_1375
; %bb.1369:
	v_cmp_lt_i16_e32 vcc_lo, 25, v11
	s_mov_b32 s3, 0
	s_cbranch_vccz .LBB425_1381
; %bb.1370:
	v_cmp_lt_i16_e32 vcc_lo, 28, v11
	s_cbranch_vccz .LBB425_1383
; %bb.1371:
	v_cmp_lt_i16_e32 vcc_lo, 43, v11
	;; [unrolled: 3-line block ×3, first 2 shown]
	s_cbranch_vccz .LBB425_1389
; %bb.1373:
	v_cmp_eq_u16_e32 vcc_lo, 46, v11
	s_mov_b32 s11, 0
	s_cbranch_vccz .LBB425_1432
; %bb.1374:
	global_load_b32 v6, v[9:10], off
	s_mov_b32 s2, 0
	s_mov_b32 s10, -1
	s_waitcnt vmcnt(0)
	v_lshlrev_b32_e32 v6, 16, v6
	s_delay_alu instid0(VALU_DEP_1) | instskip(NEXT) | instid1(VALU_DEP_1)
	v_trunc_f32_e32 v6, v6
	v_mul_f32_e64 v7, 0x2f800000, |v6|
	s_delay_alu instid0(VALU_DEP_1) | instskip(NEXT) | instid1(VALU_DEP_1)
	v_floor_f32_e32 v7, v7
	v_fma_f32 v7, 0xcf800000, v7, |v6|
	v_ashrrev_i32_e32 v6, 31, v6
	s_delay_alu instid0(VALU_DEP_2) | instskip(NEXT) | instid1(VALU_DEP_1)
	v_cvt_u32_f32_e32 v7, v7
	v_xor_b32_e32 v7, v7, v6
	s_delay_alu instid0(VALU_DEP_1)
	v_sub_nc_u32_e32 v6, v7, v6
	s_branch .LBB425_1434
.LBB425_1375:
                                        ; implicit-def: $vgpr6
	s_cbranch_execz .LBB425_1496
; %bb.1376:
	v_cmp_gt_i16_e32 vcc_lo, 5, v11
	s_cbranch_vccnz .LBB425_1382
; %bb.1377:
	v_cmp_gt_i16_e32 vcc_lo, 8, v11
	s_cbranch_vccnz .LBB425_1384
	;; [unrolled: 3-line block ×3, first 2 shown]
; %bb.1379:
	v_cmp_lt_i16_e32 vcc_lo, 9, v11
	s_cbranch_vccz .LBB425_1390
; %bb.1380:
	global_load_b64 v[6:7], v[9:10], off
	s_mov_b32 s2, 0
	s_waitcnt vmcnt(0)
	v_trunc_f64_e32 v[6:7], v[6:7]
	s_delay_alu instid0(VALU_DEP_1) | instskip(NEXT) | instid1(VALU_DEP_1)
	v_ldexp_f64 v[12:13], v[6:7], 0xffffffe0
	v_floor_f64_e32 v[12:13], v[12:13]
	s_delay_alu instid0(VALU_DEP_1) | instskip(NEXT) | instid1(VALU_DEP_1)
	v_fma_f64 v[6:7], 0xc1f00000, v[12:13], v[6:7]
	v_cvt_u32_f64_e32 v6, v[6:7]
	s_branch .LBB425_1391
.LBB425_1381:
	s_mov_b32 s11, -1
	s_mov_b32 s2, 0
                                        ; implicit-def: $vgpr6
	s_branch .LBB425_1461
.LBB425_1382:
	s_mov_b32 s2, -1
                                        ; implicit-def: $vgpr6
	s_branch .LBB425_1409
.LBB425_1383:
	s_mov_b32 s11, -1
	s_mov_b32 s2, 0
                                        ; implicit-def: $vgpr6
	s_branch .LBB425_1444
.LBB425_1384:
	s_mov_b32 s2, -1
                                        ; implicit-def: $vgpr6
	s_branch .LBB425_1397
.LBB425_1385:
	s_mov_b32 s11, -1
	s_mov_b32 s2, 0
                                        ; implicit-def: $vgpr6
	s_branch .LBB425_1439
.LBB425_1386:
	s_mov_b32 s2, -1
                                        ; implicit-def: $vgpr6
	s_branch .LBB425_1394
.LBB425_1387:
	s_cbranch_execnz .LBB425_1430
; %bb.1388:
	s_or_b32 s1, s1, exec_lo
                                        ; implicit-def: $vgpr5
	s_cbranch_execz .LBB425_1365
	s_branch .LBB425_1366
.LBB425_1389:
	s_mov_b32 s11, -1
	s_mov_b32 s2, 0
	s_branch .LBB425_1433
.LBB425_1390:
	s_mov_b32 s2, -1
                                        ; implicit-def: $vgpr6
.LBB425_1391:
	s_delay_alu instid0(SALU_CYCLE_1)
	s_and_not1_b32 vcc_lo, exec_lo, s2
	s_cbranch_vccnz .LBB425_1393
; %bb.1392:
	global_load_b32 v6, v[9:10], off
	s_waitcnt vmcnt(0)
	v_trunc_f32_e32 v6, v6
	s_delay_alu instid0(VALU_DEP_1) | instskip(NEXT) | instid1(VALU_DEP_1)
	v_mul_f32_e64 v7, 0x2f800000, |v6|
	v_floor_f32_e32 v7, v7
	s_delay_alu instid0(VALU_DEP_1) | instskip(SKIP_1) | instid1(VALU_DEP_2)
	v_fma_f32 v7, 0xcf800000, v7, |v6|
	v_ashrrev_i32_e32 v6, 31, v6
	v_cvt_u32_f32_e32 v7, v7
	s_delay_alu instid0(VALU_DEP_1) | instskip(NEXT) | instid1(VALU_DEP_1)
	v_xor_b32_e32 v7, v7, v6
	v_sub_nc_u32_e32 v6, v7, v6
.LBB425_1393:
	s_mov_b32 s2, 0
.LBB425_1394:
	s_delay_alu instid0(SALU_CYCLE_1)
	s_and_not1_b32 vcc_lo, exec_lo, s2
	s_cbranch_vccnz .LBB425_1396
; %bb.1395:
	global_load_b32 v6, v[9:10], off
	s_waitcnt vmcnt(0)
	v_cvt_f32_f16_e32 v6, v6
	s_delay_alu instid0(VALU_DEP_1)
	v_cvt_i32_f32_e32 v6, v6
.LBB425_1396:
	s_mov_b32 s2, 0
.LBB425_1397:
	s_delay_alu instid0(SALU_CYCLE_1)
	s_and_not1_b32 vcc_lo, exec_lo, s2
	s_cbranch_vccnz .LBB425_1408
; %bb.1398:
	v_cmp_gt_i16_e32 vcc_lo, 6, v11
	s_cbranch_vccnz .LBB425_1401
; %bb.1399:
	v_cmp_lt_i16_e32 vcc_lo, 6, v11
	s_cbranch_vccz .LBB425_1402
; %bb.1400:
	global_load_b64 v[6:7], v[9:10], off
	s_mov_b32 s2, 0
	s_waitcnt vmcnt(0)
	v_trunc_f64_e32 v[6:7], v[6:7]
	s_delay_alu instid0(VALU_DEP_1) | instskip(NEXT) | instid1(VALU_DEP_1)
	v_ldexp_f64 v[12:13], v[6:7], 0xffffffe0
	v_floor_f64_e32 v[12:13], v[12:13]
	s_delay_alu instid0(VALU_DEP_1) | instskip(NEXT) | instid1(VALU_DEP_1)
	v_fma_f64 v[6:7], 0xc1f00000, v[12:13], v[6:7]
	v_cvt_u32_f64_e32 v6, v[6:7]
	s_branch .LBB425_1403
.LBB425_1401:
	s_mov_b32 s2, -1
                                        ; implicit-def: $vgpr6
	s_branch .LBB425_1406
.LBB425_1402:
	s_mov_b32 s2, -1
                                        ; implicit-def: $vgpr6
.LBB425_1403:
	s_delay_alu instid0(SALU_CYCLE_1)
	s_and_not1_b32 vcc_lo, exec_lo, s2
	s_cbranch_vccnz .LBB425_1405
; %bb.1404:
	global_load_b32 v6, v[9:10], off
	s_waitcnt vmcnt(0)
	v_trunc_f32_e32 v6, v6
	s_delay_alu instid0(VALU_DEP_1) | instskip(NEXT) | instid1(VALU_DEP_1)
	v_mul_f32_e64 v7, 0x2f800000, |v6|
	v_floor_f32_e32 v7, v7
	s_delay_alu instid0(VALU_DEP_1) | instskip(SKIP_1) | instid1(VALU_DEP_2)
	v_fma_f32 v7, 0xcf800000, v7, |v6|
	v_ashrrev_i32_e32 v6, 31, v6
	v_cvt_u32_f32_e32 v7, v7
	s_delay_alu instid0(VALU_DEP_1) | instskip(NEXT) | instid1(VALU_DEP_1)
	v_xor_b32_e32 v7, v7, v6
	v_sub_nc_u32_e32 v6, v7, v6
.LBB425_1405:
	s_mov_b32 s2, 0
.LBB425_1406:
	s_delay_alu instid0(SALU_CYCLE_1)
	s_and_not1_b32 vcc_lo, exec_lo, s2
	s_cbranch_vccnz .LBB425_1408
; %bb.1407:
	global_load_u16 v6, v[9:10], off
	s_waitcnt vmcnt(0)
	v_cvt_f32_f16_e32 v6, v6
	s_delay_alu instid0(VALU_DEP_1)
	v_cvt_i32_f32_e32 v6, v6
.LBB425_1408:
	s_mov_b32 s2, 0
.LBB425_1409:
	s_delay_alu instid0(SALU_CYCLE_1)
	s_and_not1_b32 vcc_lo, exec_lo, s2
	s_cbranch_vccnz .LBB425_1429
; %bb.1410:
	v_cmp_gt_i16_e32 vcc_lo, 2, v11
	s_cbranch_vccnz .LBB425_1414
; %bb.1411:
	v_cmp_gt_i16_e32 vcc_lo, 3, v11
	s_cbranch_vccnz .LBB425_1415
; %bb.1412:
	v_cmp_lt_i16_e32 vcc_lo, 3, v11
	s_cbranch_vccz .LBB425_1416
; %bb.1413:
	global_load_b64 v[6:7], v[9:10], off
	s_mov_b32 s2, 0
	s_branch .LBB425_1417
.LBB425_1414:
	s_mov_b32 s2, -1
                                        ; implicit-def: $vgpr6
	s_branch .LBB425_1423
.LBB425_1415:
	s_mov_b32 s2, -1
                                        ; implicit-def: $vgpr6
	s_branch .LBB425_1420
.LBB425_1416:
	s_mov_b32 s2, -1
                                        ; implicit-def: $vgpr6
.LBB425_1417:
	s_delay_alu instid0(SALU_CYCLE_1)
	s_and_not1_b32 vcc_lo, exec_lo, s2
	s_cbranch_vccnz .LBB425_1419
; %bb.1418:
	global_load_b32 v6, v[9:10], off
.LBB425_1419:
	s_mov_b32 s2, 0
.LBB425_1420:
	s_delay_alu instid0(SALU_CYCLE_1)
	s_and_not1_b32 vcc_lo, exec_lo, s2
	s_cbranch_vccnz .LBB425_1422
; %bb.1421:
	global_load_u16 v6, v[9:10], off
.LBB425_1422:
	s_mov_b32 s2, 0
.LBB425_1423:
	s_delay_alu instid0(SALU_CYCLE_1)
	s_and_not1_b32 vcc_lo, exec_lo, s2
	s_cbranch_vccnz .LBB425_1429
; %bb.1424:
	v_cmp_lt_i16_e32 vcc_lo, 0, v11
	s_mov_b32 s2, 0
	s_cbranch_vccz .LBB425_1426
; %bb.1425:
	global_load_u8 v6, v[9:10], off
	s_branch .LBB425_1427
.LBB425_1426:
	s_mov_b32 s2, -1
                                        ; implicit-def: $vgpr6
.LBB425_1427:
	s_delay_alu instid0(SALU_CYCLE_1)
	s_and_not1_b32 vcc_lo, exec_lo, s2
	s_cbranch_vccnz .LBB425_1429
; %bb.1428:
	global_load_u8 v6, v[9:10], off
.LBB425_1429:
	s_branch .LBB425_1497
.LBB425_1430:
	s_trap 2
	s_sendmsg_rtn_b32 s0, sendmsg(MSG_RTN_GET_DOORBELL)
	s_mov_b32 ttmp2, m0
	s_waitcnt lgkmcnt(0)
	s_and_b32 s0, s0, 0x3ff
	s_delay_alu instid0(SALU_CYCLE_1) | instskip(NEXT) | instid1(SALU_CYCLE_1)
	s_bitset1_b32 s0, 10
	s_mov_b32 m0, s0
	s_sendmsg sendmsg(MSG_INTERRUPT)
	s_mov_b32 m0, ttmp2
.LBB425_1431:                           ; =>This Inner Loop Header: Depth=1
	s_sethalt 5
	s_branch .LBB425_1431
.LBB425_1432:
	s_mov_b32 s2, -1
.LBB425_1433:
                                        ; implicit-def: $vgpr6
.LBB425_1434:
	s_and_b32 vcc_lo, exec_lo, s11
	s_cbranch_vccz .LBB425_1438
; %bb.1435:
	v_cmp_eq_u16_e32 vcc_lo, 44, v11
	s_cbranch_vccz .LBB425_1437
; %bb.1436:
	global_load_u8 v6, v[9:10], off
	s_mov_b32 s2, 0
	s_mov_b32 s10, -1
	s_waitcnt vmcnt(0)
	v_lshlrev_b32_e32 v7, 23, v6
	v_cmp_ne_u32_e32 vcc_lo, 0, v6
	s_delay_alu instid0(VALU_DEP_2) | instskip(NEXT) | instid1(VALU_DEP_1)
	v_trunc_f32_e32 v7, v7
	v_mul_f32_e64 v12, 0x2f800000, |v7|
	s_delay_alu instid0(VALU_DEP_1) | instskip(NEXT) | instid1(VALU_DEP_1)
	v_floor_f32_e32 v12, v12
	v_fma_f32 v12, 0xcf800000, v12, |v7|
	v_ashrrev_i32_e32 v7, 31, v7
	s_delay_alu instid0(VALU_DEP_2) | instskip(NEXT) | instid1(VALU_DEP_1)
	v_cvt_u32_f32_e32 v12, v12
	v_xor_b32_e32 v12, v12, v7
	s_delay_alu instid0(VALU_DEP_1) | instskip(NEXT) | instid1(VALU_DEP_1)
	v_sub_nc_u32_e32 v7, v12, v7
	v_cndmask_b32_e32 v6, 0, v7, vcc_lo
	s_branch .LBB425_1438
.LBB425_1437:
	s_mov_b32 s2, -1
                                        ; implicit-def: $vgpr6
.LBB425_1438:
	s_mov_b32 s11, 0
.LBB425_1439:
	s_delay_alu instid0(SALU_CYCLE_1)
	s_and_b32 vcc_lo, exec_lo, s11
	s_cbranch_vccz .LBB425_1443
; %bb.1440:
	v_cmp_eq_u16_e32 vcc_lo, 29, v11
	s_cbranch_vccz .LBB425_1442
; %bb.1441:
	global_load_b64 v[6:7], v[9:10], off
	s_mov_b32 s2, 0
	s_mov_b32 s10, -1
	s_branch .LBB425_1443
.LBB425_1442:
	s_mov_b32 s2, -1
                                        ; implicit-def: $vgpr6
.LBB425_1443:
	s_mov_b32 s11, 0
.LBB425_1444:
	s_delay_alu instid0(SALU_CYCLE_1)
	s_and_b32 vcc_lo, exec_lo, s11
	s_cbranch_vccz .LBB425_1460
; %bb.1445:
	v_cmp_gt_i16_e32 vcc_lo, 27, v11
	s_cbranch_vccnz .LBB425_1448
; %bb.1446:
	v_cmp_lt_i16_e32 vcc_lo, 27, v11
	s_cbranch_vccz .LBB425_1449
; %bb.1447:
	global_load_b32 v6, v[9:10], off
	s_mov_b32 s10, 0
	s_branch .LBB425_1450
.LBB425_1448:
	s_mov_b32 s10, -1
                                        ; implicit-def: $vgpr6
	s_branch .LBB425_1453
.LBB425_1449:
	s_mov_b32 s10, -1
                                        ; implicit-def: $vgpr6
.LBB425_1450:
	s_delay_alu instid0(SALU_CYCLE_1)
	s_and_not1_b32 vcc_lo, exec_lo, s10
	s_cbranch_vccnz .LBB425_1452
; %bb.1451:
	global_load_u16 v6, v[9:10], off
.LBB425_1452:
	s_mov_b32 s10, 0
.LBB425_1453:
	s_delay_alu instid0(SALU_CYCLE_1)
	s_and_not1_b32 vcc_lo, exec_lo, s10
	s_cbranch_vccnz .LBB425_1459
; %bb.1454:
	global_load_u8 v7, v[9:10], off
	s_mov_b32 s11, 0
	s_mov_b32 s10, exec_lo
                                        ; implicit-def: $sgpr12
	s_waitcnt vmcnt(0)
	v_cmpx_lt_i16_e32 0x7f, v7
	s_xor_b32 s10, exec_lo, s10
	s_cbranch_execz .LBB425_1471
; %bb.1455:
	v_cmp_ne_u16_e32 vcc_lo, 0x80, v7
	s_mov_b32 s12, 0
	s_and_b32 s11, vcc_lo, exec_lo
	s_or_saveexec_b32 s10, s10
	v_mov_b32_e32 v6, s12
	s_xor_b32 exec_lo, exec_lo, s10
	s_cbranch_execnz .LBB425_1472
.LBB425_1456:
	s_or_b32 exec_lo, exec_lo, s10
	s_and_saveexec_b32 s10, s11
	s_cbranch_execz .LBB425_1458
.LBB425_1457:
	v_and_b32_e32 v6, 0xffff, v7
	s_delay_alu instid0(VALU_DEP_1) | instskip(NEXT) | instid1(VALU_DEP_1)
	v_and_b32_e32 v12, 7, v6
	v_clz_i32_u32_e32 v13, v12
	s_delay_alu instid0(VALU_DEP_1) | instskip(NEXT) | instid1(VALU_DEP_1)
	v_min_u32_e32 v13, 32, v13
	v_subrev_nc_u32_e32 v14, 28, v13
	v_sub_nc_u32_e32 v13, 29, v13
	s_delay_alu instid0(VALU_DEP_2) | instskip(SKIP_1) | instid1(VALU_DEP_2)
	v_lshlrev_b32_e32 v14, v14, v6
	v_bfe_u32 v6, v6, 3, 4
	v_and_b32_e32 v14, 7, v14
	s_delay_alu instid0(VALU_DEP_2) | instskip(SKIP_1) | instid1(VALU_DEP_1)
	v_cmp_eq_u32_e32 vcc_lo, 0, v6
	v_dual_cndmask_b32 v6, v6, v13 :: v_dual_lshlrev_b32 v7, 24, v7
	v_dual_cndmask_b32 v12, v12, v14 :: v_dual_and_b32 v7, 0x80000000, v7
	s_delay_alu instid0(VALU_DEP_2) | instskip(NEXT) | instid1(VALU_DEP_2)
	v_lshl_add_u32 v6, v6, 23, 0x3b800000
	v_lshlrev_b32_e32 v12, 20, v12
	s_delay_alu instid0(VALU_DEP_1) | instskip(NEXT) | instid1(VALU_DEP_1)
	v_or3_b32 v6, v7, v6, v12
	v_trunc_f32_e32 v6, v6
	s_delay_alu instid0(VALU_DEP_1) | instskip(NEXT) | instid1(VALU_DEP_1)
	v_mul_f32_e64 v7, 0x2f800000, |v6|
	v_floor_f32_e32 v7, v7
	s_delay_alu instid0(VALU_DEP_1) | instskip(SKIP_1) | instid1(VALU_DEP_2)
	v_fma_f32 v7, 0xcf800000, v7, |v6|
	v_ashrrev_i32_e32 v6, 31, v6
	v_cvt_u32_f32_e32 v7, v7
	s_delay_alu instid0(VALU_DEP_1) | instskip(NEXT) | instid1(VALU_DEP_1)
	v_xor_b32_e32 v7, v7, v6
	v_sub_nc_u32_e32 v6, v7, v6
.LBB425_1458:
	s_or_b32 exec_lo, exec_lo, s10
.LBB425_1459:
	s_mov_b32 s10, -1
.LBB425_1460:
	s_mov_b32 s11, 0
.LBB425_1461:
	s_delay_alu instid0(SALU_CYCLE_1)
	s_and_b32 vcc_lo, exec_lo, s11
	s_cbranch_vccz .LBB425_1492
; %bb.1462:
	v_cmp_lt_i16_e32 vcc_lo, 22, v11
	s_cbranch_vccz .LBB425_1470
; %bb.1463:
	v_cmp_gt_i16_e32 vcc_lo, 24, v11
	s_cbranch_vccnz .LBB425_1473
; %bb.1464:
	v_cmp_lt_i16_e32 vcc_lo, 24, v11
	s_cbranch_vccz .LBB425_1474
; %bb.1465:
	global_load_u8 v7, v[9:10], off
	s_mov_b32 s10, 0
	s_mov_b32 s3, exec_lo
                                        ; implicit-def: $sgpr11
	s_waitcnt vmcnt(0)
	v_cmpx_lt_i16_e32 0x7f, v7
	s_xor_b32 s3, exec_lo, s3
	s_cbranch_execz .LBB425_1486
; %bb.1466:
	v_cmp_ne_u16_e32 vcc_lo, 0x80, v7
	s_mov_b32 s11, 0
	s_and_b32 s10, vcc_lo, exec_lo
	s_or_saveexec_b32 s3, s3
	v_mov_b32_e32 v6, s11
	s_xor_b32 exec_lo, exec_lo, s3
	s_cbranch_execnz .LBB425_1487
.LBB425_1467:
	s_or_b32 exec_lo, exec_lo, s3
	s_and_saveexec_b32 s3, s10
	s_cbranch_execz .LBB425_1469
.LBB425_1468:
	v_and_b32_e32 v6, 0xffff, v7
	s_delay_alu instid0(VALU_DEP_1) | instskip(NEXT) | instid1(VALU_DEP_1)
	v_and_b32_e32 v12, 3, v6
	v_clz_i32_u32_e32 v13, v12
	s_delay_alu instid0(VALU_DEP_1) | instskip(NEXT) | instid1(VALU_DEP_1)
	v_min_u32_e32 v13, 32, v13
	v_subrev_nc_u32_e32 v14, 29, v13
	v_sub_nc_u32_e32 v13, 30, v13
	s_delay_alu instid0(VALU_DEP_2) | instskip(SKIP_1) | instid1(VALU_DEP_2)
	v_lshlrev_b32_e32 v14, v14, v6
	v_bfe_u32 v6, v6, 2, 5
	v_and_b32_e32 v14, 3, v14
	s_delay_alu instid0(VALU_DEP_2) | instskip(SKIP_1) | instid1(VALU_DEP_1)
	v_cmp_eq_u32_e32 vcc_lo, 0, v6
	v_dual_cndmask_b32 v6, v6, v13 :: v_dual_lshlrev_b32 v7, 24, v7
	v_dual_cndmask_b32 v12, v12, v14 :: v_dual_and_b32 v7, 0x80000000, v7
	s_delay_alu instid0(VALU_DEP_2) | instskip(NEXT) | instid1(VALU_DEP_2)
	v_lshl_add_u32 v6, v6, 23, 0x37800000
	v_lshlrev_b32_e32 v12, 21, v12
	s_delay_alu instid0(VALU_DEP_1) | instskip(NEXT) | instid1(VALU_DEP_1)
	v_or3_b32 v6, v7, v6, v12
	v_trunc_f32_e32 v6, v6
	s_delay_alu instid0(VALU_DEP_1) | instskip(NEXT) | instid1(VALU_DEP_1)
	v_mul_f32_e64 v7, 0x2f800000, |v6|
	v_floor_f32_e32 v7, v7
	s_delay_alu instid0(VALU_DEP_1) | instskip(SKIP_1) | instid1(VALU_DEP_2)
	v_fma_f32 v7, 0xcf800000, v7, |v6|
	v_ashrrev_i32_e32 v6, 31, v6
	v_cvt_u32_f32_e32 v7, v7
	s_delay_alu instid0(VALU_DEP_1) | instskip(NEXT) | instid1(VALU_DEP_1)
	v_xor_b32_e32 v7, v7, v6
	v_sub_nc_u32_e32 v6, v7, v6
.LBB425_1469:
	s_or_b32 exec_lo, exec_lo, s3
	s_mov_b32 s3, 0
	s_branch .LBB425_1475
.LBB425_1470:
	s_mov_b32 s3, -1
                                        ; implicit-def: $vgpr6
	s_branch .LBB425_1481
.LBB425_1471:
	s_or_saveexec_b32 s10, s10
	v_mov_b32_e32 v6, s12
	s_xor_b32 exec_lo, exec_lo, s10
	s_cbranch_execz .LBB425_1456
.LBB425_1472:
	v_cmp_ne_u16_e32 vcc_lo, 0, v7
	v_mov_b32_e32 v6, 0
	s_and_not1_b32 s11, s11, exec_lo
	s_and_b32 s12, vcc_lo, exec_lo
	s_delay_alu instid0(SALU_CYCLE_1)
	s_or_b32 s11, s11, s12
	s_or_b32 exec_lo, exec_lo, s10
	s_and_saveexec_b32 s10, s11
	s_cbranch_execnz .LBB425_1457
	s_branch .LBB425_1458
.LBB425_1473:
	s_mov_b32 s3, -1
                                        ; implicit-def: $vgpr6
	s_branch .LBB425_1478
.LBB425_1474:
	s_mov_b32 s3, -1
                                        ; implicit-def: $vgpr6
.LBB425_1475:
	s_delay_alu instid0(SALU_CYCLE_1)
	s_and_b32 vcc_lo, exec_lo, s3
	s_cbranch_vccz .LBB425_1477
; %bb.1476:
	global_load_u8 v6, v[9:10], off
	s_waitcnt vmcnt(0)
	v_lshlrev_b32_e32 v6, 24, v6
	s_delay_alu instid0(VALU_DEP_1) | instskip(NEXT) | instid1(VALU_DEP_1)
	v_and_b32_e32 v7, 0x7f000000, v6
	v_clz_i32_u32_e32 v12, v7
	v_add_nc_u32_e32 v14, 0x1000000, v7
	v_cmp_ne_u32_e32 vcc_lo, 0, v7
	s_delay_alu instid0(VALU_DEP_3) | instskip(NEXT) | instid1(VALU_DEP_1)
	v_min_u32_e32 v12, 32, v12
	v_sub_nc_u32_e64 v12, v12, 4 clamp
	s_delay_alu instid0(VALU_DEP_1) | instskip(SKIP_1) | instid1(VALU_DEP_2)
	v_lshlrev_b32_e32 v13, v12, v7
	v_lshlrev_b32_e32 v12, 23, v12
	v_lshrrev_b32_e32 v13, 4, v13
	s_delay_alu instid0(VALU_DEP_1) | instskip(SKIP_1) | instid1(VALU_DEP_2)
	v_sub_nc_u32_e32 v12, v13, v12
	v_ashrrev_i32_e32 v13, 8, v14
	v_add_nc_u32_e32 v12, 0x3c000000, v12
	s_delay_alu instid0(VALU_DEP_1) | instskip(NEXT) | instid1(VALU_DEP_1)
	v_and_or_b32 v12, 0x7f800000, v13, v12
	v_cndmask_b32_e32 v7, 0, v12, vcc_lo
	s_delay_alu instid0(VALU_DEP_1) | instskip(NEXT) | instid1(VALU_DEP_1)
	v_and_or_b32 v6, 0x80000000, v6, v7
	v_trunc_f32_e32 v6, v6
	s_delay_alu instid0(VALU_DEP_1) | instskip(NEXT) | instid1(VALU_DEP_1)
	v_mul_f32_e64 v7, 0x2f800000, |v6|
	v_floor_f32_e32 v7, v7
	s_delay_alu instid0(VALU_DEP_1) | instskip(SKIP_1) | instid1(VALU_DEP_2)
	v_fma_f32 v7, 0xcf800000, v7, |v6|
	v_ashrrev_i32_e32 v6, 31, v6
	v_cvt_u32_f32_e32 v7, v7
	s_delay_alu instid0(VALU_DEP_1) | instskip(NEXT) | instid1(VALU_DEP_1)
	v_xor_b32_e32 v7, v7, v6
	v_sub_nc_u32_e32 v6, v7, v6
.LBB425_1477:
	s_mov_b32 s3, 0
.LBB425_1478:
	s_delay_alu instid0(SALU_CYCLE_1)
	s_and_not1_b32 vcc_lo, exec_lo, s3
	s_cbranch_vccnz .LBB425_1480
; %bb.1479:
	global_load_u8 v6, v[9:10], off
	s_waitcnt vmcnt(0)
	v_lshlrev_b32_e32 v7, 25, v6
	v_lshlrev_b16 v6, 8, v6
	s_delay_alu instid0(VALU_DEP_2) | instskip(NEXT) | instid1(VALU_DEP_2)
	v_lshrrev_b32_e32 v12, 4, v7
	v_and_or_b32 v13, 0x7f00, v6, 0.5
	v_bfe_i32 v6, v6, 0, 16
	s_delay_alu instid0(VALU_DEP_3) | instskip(NEXT) | instid1(VALU_DEP_1)
	v_or_b32_e32 v12, 0x70000000, v12
	v_dual_add_f32 v13, -0.5, v13 :: v_dual_mul_f32 v12, 0x7800000, v12
	v_cmp_gt_u32_e32 vcc_lo, 0x8000000, v7
	s_delay_alu instid0(VALU_DEP_2) | instskip(NEXT) | instid1(VALU_DEP_1)
	v_cndmask_b32_e32 v7, v12, v13, vcc_lo
	v_and_or_b32 v6, 0x80000000, v6, v7
	s_delay_alu instid0(VALU_DEP_1) | instskip(NEXT) | instid1(VALU_DEP_1)
	v_trunc_f32_e32 v6, v6
	v_mul_f32_e64 v7, 0x2f800000, |v6|
	s_delay_alu instid0(VALU_DEP_1) | instskip(NEXT) | instid1(VALU_DEP_1)
	v_floor_f32_e32 v7, v7
	v_fma_f32 v7, 0xcf800000, v7, |v6|
	v_ashrrev_i32_e32 v6, 31, v6
	s_delay_alu instid0(VALU_DEP_2) | instskip(NEXT) | instid1(VALU_DEP_1)
	v_cvt_u32_f32_e32 v7, v7
	v_xor_b32_e32 v7, v7, v6
	s_delay_alu instid0(VALU_DEP_1)
	v_sub_nc_u32_e32 v6, v7, v6
.LBB425_1480:
	s_mov_b32 s3, 0
	s_mov_b32 s10, -1
.LBB425_1481:
	s_and_not1_b32 vcc_lo, exec_lo, s3
	s_mov_b32 s3, 0
	s_cbranch_vccnz .LBB425_1492
; %bb.1482:
	v_cmp_lt_i16_e32 vcc_lo, 14, v11
	s_cbranch_vccz .LBB425_1485
; %bb.1483:
	v_cmp_eq_u16_e32 vcc_lo, 15, v11
	s_cbranch_vccz .LBB425_1488
; %bb.1484:
	global_load_u16 v6, v[9:10], off
	s_mov_b32 s2, 0
	s_mov_b32 s10, -1
	s_waitcnt vmcnt(0)
	v_lshlrev_b32_e32 v6, 16, v6
	s_delay_alu instid0(VALU_DEP_1) | instskip(NEXT) | instid1(VALU_DEP_1)
	v_trunc_f32_e32 v6, v6
	v_mul_f32_e64 v7, 0x2f800000, |v6|
	s_delay_alu instid0(VALU_DEP_1) | instskip(NEXT) | instid1(VALU_DEP_1)
	v_floor_f32_e32 v7, v7
	v_fma_f32 v7, 0xcf800000, v7, |v6|
	v_ashrrev_i32_e32 v6, 31, v6
	s_delay_alu instid0(VALU_DEP_2) | instskip(NEXT) | instid1(VALU_DEP_1)
	v_cvt_u32_f32_e32 v7, v7
	v_xor_b32_e32 v7, v7, v6
	s_delay_alu instid0(VALU_DEP_1)
	v_sub_nc_u32_e32 v6, v7, v6
	s_branch .LBB425_1490
.LBB425_1485:
	s_mov_b32 s3, -1
	s_branch .LBB425_1489
.LBB425_1486:
	s_or_saveexec_b32 s3, s3
	v_mov_b32_e32 v6, s11
	s_xor_b32 exec_lo, exec_lo, s3
	s_cbranch_execz .LBB425_1467
.LBB425_1487:
	v_cmp_ne_u16_e32 vcc_lo, 0, v7
	v_mov_b32_e32 v6, 0
	s_and_not1_b32 s10, s10, exec_lo
	s_and_b32 s11, vcc_lo, exec_lo
	s_delay_alu instid0(SALU_CYCLE_1)
	s_or_b32 s10, s10, s11
	s_or_b32 exec_lo, exec_lo, s3
	s_and_saveexec_b32 s3, s10
	s_cbranch_execnz .LBB425_1468
	s_branch .LBB425_1469
.LBB425_1488:
	s_mov_b32 s2, -1
.LBB425_1489:
                                        ; implicit-def: $vgpr6
.LBB425_1490:
	s_and_b32 vcc_lo, exec_lo, s3
	s_mov_b32 s3, 0
	s_cbranch_vccz .LBB425_1492
; %bb.1491:
	v_cmp_ne_u16_e64 s2, 11, v11
	s_mov_b32 s3, -1
                                        ; implicit-def: $vgpr6
.LBB425_1492:
	s_delay_alu instid0(VALU_DEP_1)
	s_and_b32 vcc_lo, exec_lo, s2
	s_cbranch_vccnz .LBB425_1508
; %bb.1493:
	s_and_not1_b32 vcc_lo, exec_lo, s3
	s_cbranch_vccnz .LBB425_1495
.LBB425_1494:
	global_load_u8 v6, v[9:10], off
	s_mov_b32 s10, -1
	s_waitcnt vmcnt(0)
	v_cmp_ne_u16_e32 vcc_lo, 0, v6
	v_cndmask_b32_e64 v6, 0, 1, vcc_lo
.LBB425_1495:
.LBB425_1496:
	s_and_not1_b32 vcc_lo, exec_lo, s10
	s_cbranch_vccnz .LBB425_2057
.LBB425_1497:
	v_cmp_gt_i16_e32 vcc_lo, 11, v11
	v_add_co_u32 v9, s2, s6, v8
	s_delay_alu instid0(VALU_DEP_1)
	v_add_co_ci_u32_e64 v10, null, s7, 0, s2
	s_mov_b32 s6, 0
	s_cbranch_vccnz .LBB425_1504
; %bb.1498:
	v_cmp_lt_i16_e32 vcc_lo, 25, v11
	s_mov_b32 s3, 0
	s_cbranch_vccz .LBB425_1505
; %bb.1499:
	v_cmp_lt_i16_e32 vcc_lo, 28, v11
	s_cbranch_vccz .LBB425_1506
; %bb.1500:
	v_cmp_lt_i16_e32 vcc_lo, 43, v11
	;; [unrolled: 3-line block ×3, first 2 shown]
	s_cbranch_vccz .LBB425_1510
; %bb.1502:
	v_cmp_eq_u16_e32 vcc_lo, 46, v11
	s_mov_b32 s7, 0
	s_cbranch_vccz .LBB425_1513
; %bb.1503:
	global_load_b32 v7, v[9:10], off
	s_mov_b32 s2, 0
	s_mov_b32 s6, -1
	s_waitcnt vmcnt(0)
	v_lshlrev_b32_e32 v7, 16, v7
	s_delay_alu instid0(VALU_DEP_1) | instskip(NEXT) | instid1(VALU_DEP_1)
	v_trunc_f32_e32 v7, v7
	v_mul_f32_e64 v8, 0x2f800000, |v7|
	s_delay_alu instid0(VALU_DEP_1) | instskip(NEXT) | instid1(VALU_DEP_1)
	v_floor_f32_e32 v8, v8
	v_fma_f32 v8, 0xcf800000, v8, |v7|
	v_ashrrev_i32_e32 v7, 31, v7
	s_delay_alu instid0(VALU_DEP_2) | instskip(NEXT) | instid1(VALU_DEP_1)
	v_cvt_u32_f32_e32 v8, v8
	v_xor_b32_e32 v8, v8, v7
	s_delay_alu instid0(VALU_DEP_1)
	v_sub_nc_u32_e32 v7, v8, v7
	s_branch .LBB425_1515
.LBB425_1504:
	s_mov_b32 s2, -1
                                        ; implicit-def: $vgpr7
	s_branch .LBB425_1577
.LBB425_1505:
	s_mov_b32 s7, -1
	s_mov_b32 s2, 0
                                        ; implicit-def: $vgpr7
	s_branch .LBB425_1542
.LBB425_1506:
	s_mov_b32 s7, -1
	s_mov_b32 s2, 0
                                        ; implicit-def: $vgpr7
	s_branch .LBB425_1525
.LBB425_1507:
	s_mov_b32 s7, -1
	s_mov_b32 s2, 0
                                        ; implicit-def: $vgpr7
	s_branch .LBB425_1520
.LBB425_1508:
	s_cbranch_execnz .LBB425_1511
; %bb.1509:
	s_or_b32 s1, s1, exec_lo
                                        ; implicit-def: $vgpr6
	s_cbranch_execz .LBB425_1494
	s_branch .LBB425_1495
.LBB425_1510:
	s_mov_b32 s7, -1
	s_mov_b32 s2, 0
	s_branch .LBB425_1514
.LBB425_1511:
	s_trap 2
	s_sendmsg_rtn_b32 s0, sendmsg(MSG_RTN_GET_DOORBELL)
	s_mov_b32 ttmp2, m0
	s_waitcnt lgkmcnt(0)
	s_and_b32 s0, s0, 0x3ff
	s_delay_alu instid0(SALU_CYCLE_1) | instskip(NEXT) | instid1(SALU_CYCLE_1)
	s_bitset1_b32 s0, 10
	s_mov_b32 m0, s0
	s_sendmsg sendmsg(MSG_INTERRUPT)
	s_mov_b32 m0, ttmp2
.LBB425_1512:                           ; =>This Inner Loop Header: Depth=1
	s_sethalt 5
	s_branch .LBB425_1512
.LBB425_1513:
	s_mov_b32 s2, -1
.LBB425_1514:
                                        ; implicit-def: $vgpr7
.LBB425_1515:
	s_and_b32 vcc_lo, exec_lo, s7
	s_cbranch_vccz .LBB425_1519
; %bb.1516:
	v_cmp_eq_u16_e32 vcc_lo, 44, v11
	s_cbranch_vccz .LBB425_1518
; %bb.1517:
	global_load_u8 v7, v[9:10], off
	s_mov_b32 s2, 0
	s_mov_b32 s6, -1
	s_waitcnt vmcnt(0)
	v_lshlrev_b32_e32 v8, 23, v7
	v_cmp_ne_u32_e32 vcc_lo, 0, v7
	s_delay_alu instid0(VALU_DEP_2) | instskip(NEXT) | instid1(VALU_DEP_1)
	v_trunc_f32_e32 v8, v8
	v_mul_f32_e64 v12, 0x2f800000, |v8|
	s_delay_alu instid0(VALU_DEP_1) | instskip(NEXT) | instid1(VALU_DEP_1)
	v_floor_f32_e32 v12, v12
	v_fma_f32 v12, 0xcf800000, v12, |v8|
	v_ashrrev_i32_e32 v8, 31, v8
	s_delay_alu instid0(VALU_DEP_2) | instskip(NEXT) | instid1(VALU_DEP_1)
	v_cvt_u32_f32_e32 v12, v12
	v_xor_b32_e32 v12, v12, v8
	s_delay_alu instid0(VALU_DEP_1) | instskip(NEXT) | instid1(VALU_DEP_1)
	v_sub_nc_u32_e32 v8, v12, v8
	v_cndmask_b32_e32 v7, 0, v8, vcc_lo
	s_branch .LBB425_1519
.LBB425_1518:
	s_mov_b32 s2, -1
                                        ; implicit-def: $vgpr7
.LBB425_1519:
	s_mov_b32 s7, 0
.LBB425_1520:
	s_delay_alu instid0(SALU_CYCLE_1)
	s_and_b32 vcc_lo, exec_lo, s7
	s_cbranch_vccz .LBB425_1524
; %bb.1521:
	v_cmp_eq_u16_e32 vcc_lo, 29, v11
	s_cbranch_vccz .LBB425_1523
; %bb.1522:
	global_load_b64 v[7:8], v[9:10], off
	s_mov_b32 s2, 0
	s_mov_b32 s6, -1
	s_branch .LBB425_1524
.LBB425_1523:
	s_mov_b32 s2, -1
                                        ; implicit-def: $vgpr7
.LBB425_1524:
	s_mov_b32 s7, 0
.LBB425_1525:
	s_delay_alu instid0(SALU_CYCLE_1)
	s_and_b32 vcc_lo, exec_lo, s7
	s_cbranch_vccz .LBB425_1541
; %bb.1526:
	v_cmp_gt_i16_e32 vcc_lo, 27, v11
	s_cbranch_vccnz .LBB425_1529
; %bb.1527:
	v_cmp_lt_i16_e32 vcc_lo, 27, v11
	s_cbranch_vccz .LBB425_1530
; %bb.1528:
	global_load_b32 v7, v[9:10], off
	s_mov_b32 s6, 0
	s_branch .LBB425_1531
.LBB425_1529:
	s_mov_b32 s6, -1
                                        ; implicit-def: $vgpr7
	s_branch .LBB425_1534
.LBB425_1530:
	s_mov_b32 s6, -1
                                        ; implicit-def: $vgpr7
.LBB425_1531:
	s_delay_alu instid0(SALU_CYCLE_1)
	s_and_not1_b32 vcc_lo, exec_lo, s6
	s_cbranch_vccnz .LBB425_1533
; %bb.1532:
	global_load_u16 v7, v[9:10], off
.LBB425_1533:
	s_mov_b32 s6, 0
.LBB425_1534:
	s_delay_alu instid0(SALU_CYCLE_1)
	s_and_not1_b32 vcc_lo, exec_lo, s6
	s_cbranch_vccnz .LBB425_1540
; %bb.1535:
	global_load_u8 v8, v[9:10], off
	s_mov_b32 s7, 0
	s_mov_b32 s6, exec_lo
                                        ; implicit-def: $sgpr10
	s_waitcnt vmcnt(0)
	v_cmpx_lt_i16_e32 0x7f, v8
	s_xor_b32 s6, exec_lo, s6
	s_cbranch_execz .LBB425_1552
; %bb.1536:
	v_cmp_ne_u16_e32 vcc_lo, 0x80, v8
	s_mov_b32 s10, 0
	s_and_b32 s7, vcc_lo, exec_lo
	s_or_saveexec_b32 s6, s6
	v_mov_b32_e32 v7, s10
	s_xor_b32 exec_lo, exec_lo, s6
	s_cbranch_execnz .LBB425_1553
.LBB425_1537:
	s_or_b32 exec_lo, exec_lo, s6
	s_and_saveexec_b32 s6, s7
	s_cbranch_execz .LBB425_1539
.LBB425_1538:
	v_and_b32_e32 v7, 0xffff, v8
	v_lshlrev_b32_e32 v8, 24, v8
	s_delay_alu instid0(VALU_DEP_2) | instskip(NEXT) | instid1(VALU_DEP_2)
	v_and_b32_e32 v12, 7, v7
	v_and_b32_e32 v8, 0x80000000, v8
	s_delay_alu instid0(VALU_DEP_2) | instskip(NEXT) | instid1(VALU_DEP_1)
	v_clz_i32_u32_e32 v13, v12
	v_min_u32_e32 v13, 32, v13
	s_delay_alu instid0(VALU_DEP_1) | instskip(SKIP_1) | instid1(VALU_DEP_2)
	v_subrev_nc_u32_e32 v14, 28, v13
	v_sub_nc_u32_e32 v13, 29, v13
	v_lshlrev_b32_e32 v14, v14, v7
	v_bfe_u32 v7, v7, 3, 4
	s_delay_alu instid0(VALU_DEP_2) | instskip(NEXT) | instid1(VALU_DEP_2)
	v_and_b32_e32 v14, 7, v14
	v_cmp_eq_u32_e32 vcc_lo, 0, v7
	s_delay_alu instid0(VALU_DEP_2) | instskip(NEXT) | instid1(VALU_DEP_1)
	v_dual_cndmask_b32 v7, v7, v13 :: v_dual_cndmask_b32 v12, v12, v14
	v_lshl_add_u32 v7, v7, 23, 0x3b800000
	s_delay_alu instid0(VALU_DEP_2) | instskip(NEXT) | instid1(VALU_DEP_1)
	v_lshlrev_b32_e32 v12, 20, v12
	v_or3_b32 v7, v8, v7, v12
	s_delay_alu instid0(VALU_DEP_1) | instskip(NEXT) | instid1(VALU_DEP_1)
	v_trunc_f32_e32 v7, v7
	v_mul_f32_e64 v8, 0x2f800000, |v7|
	s_delay_alu instid0(VALU_DEP_1) | instskip(NEXT) | instid1(VALU_DEP_1)
	v_floor_f32_e32 v8, v8
	v_fma_f32 v8, 0xcf800000, v8, |v7|
	v_ashrrev_i32_e32 v7, 31, v7
	s_delay_alu instid0(VALU_DEP_2) | instskip(NEXT) | instid1(VALU_DEP_1)
	v_cvt_u32_f32_e32 v8, v8
	v_xor_b32_e32 v8, v8, v7
	s_delay_alu instid0(VALU_DEP_1)
	v_sub_nc_u32_e32 v7, v8, v7
.LBB425_1539:
	s_or_b32 exec_lo, exec_lo, s6
.LBB425_1540:
	s_mov_b32 s6, -1
.LBB425_1541:
	s_mov_b32 s7, 0
.LBB425_1542:
	s_delay_alu instid0(SALU_CYCLE_1)
	s_and_b32 vcc_lo, exec_lo, s7
	s_cbranch_vccz .LBB425_1573
; %bb.1543:
	v_cmp_lt_i16_e32 vcc_lo, 22, v11
	s_cbranch_vccz .LBB425_1551
; %bb.1544:
	v_cmp_gt_i16_e32 vcc_lo, 24, v11
	s_cbranch_vccnz .LBB425_1554
; %bb.1545:
	v_cmp_lt_i16_e32 vcc_lo, 24, v11
	s_cbranch_vccz .LBB425_1555
; %bb.1546:
	global_load_u8 v8, v[9:10], off
	s_mov_b32 s6, 0
	s_mov_b32 s3, exec_lo
                                        ; implicit-def: $sgpr7
	s_waitcnt vmcnt(0)
	v_cmpx_lt_i16_e32 0x7f, v8
	s_xor_b32 s3, exec_lo, s3
	s_cbranch_execz .LBB425_1567
; %bb.1547:
	v_cmp_ne_u16_e32 vcc_lo, 0x80, v8
	s_mov_b32 s7, 0
	s_and_b32 s6, vcc_lo, exec_lo
	s_or_saveexec_b32 s3, s3
	v_mov_b32_e32 v7, s7
	s_xor_b32 exec_lo, exec_lo, s3
	s_cbranch_execnz .LBB425_1568
.LBB425_1548:
	s_or_b32 exec_lo, exec_lo, s3
	s_and_saveexec_b32 s3, s6
	s_cbranch_execz .LBB425_1550
.LBB425_1549:
	v_and_b32_e32 v7, 0xffff, v8
	v_lshlrev_b32_e32 v8, 24, v8
	s_delay_alu instid0(VALU_DEP_2) | instskip(NEXT) | instid1(VALU_DEP_2)
	v_and_b32_e32 v12, 3, v7
	v_and_b32_e32 v8, 0x80000000, v8
	s_delay_alu instid0(VALU_DEP_2) | instskip(NEXT) | instid1(VALU_DEP_1)
	v_clz_i32_u32_e32 v13, v12
	v_min_u32_e32 v13, 32, v13
	s_delay_alu instid0(VALU_DEP_1) | instskip(SKIP_1) | instid1(VALU_DEP_2)
	v_subrev_nc_u32_e32 v14, 29, v13
	v_sub_nc_u32_e32 v13, 30, v13
	v_lshlrev_b32_e32 v14, v14, v7
	v_bfe_u32 v7, v7, 2, 5
	s_delay_alu instid0(VALU_DEP_2) | instskip(NEXT) | instid1(VALU_DEP_2)
	v_and_b32_e32 v14, 3, v14
	v_cmp_eq_u32_e32 vcc_lo, 0, v7
	s_delay_alu instid0(VALU_DEP_2) | instskip(NEXT) | instid1(VALU_DEP_1)
	v_dual_cndmask_b32 v7, v7, v13 :: v_dual_cndmask_b32 v12, v12, v14
	v_lshl_add_u32 v7, v7, 23, 0x37800000
	s_delay_alu instid0(VALU_DEP_2) | instskip(NEXT) | instid1(VALU_DEP_1)
	v_lshlrev_b32_e32 v12, 21, v12
	v_or3_b32 v7, v8, v7, v12
	s_delay_alu instid0(VALU_DEP_1) | instskip(NEXT) | instid1(VALU_DEP_1)
	v_trunc_f32_e32 v7, v7
	v_mul_f32_e64 v8, 0x2f800000, |v7|
	s_delay_alu instid0(VALU_DEP_1) | instskip(NEXT) | instid1(VALU_DEP_1)
	v_floor_f32_e32 v8, v8
	v_fma_f32 v8, 0xcf800000, v8, |v7|
	v_ashrrev_i32_e32 v7, 31, v7
	s_delay_alu instid0(VALU_DEP_2) | instskip(NEXT) | instid1(VALU_DEP_1)
	v_cvt_u32_f32_e32 v8, v8
	v_xor_b32_e32 v8, v8, v7
	s_delay_alu instid0(VALU_DEP_1)
	v_sub_nc_u32_e32 v7, v8, v7
.LBB425_1550:
	s_or_b32 exec_lo, exec_lo, s3
	s_mov_b32 s3, 0
	s_branch .LBB425_1556
.LBB425_1551:
	s_mov_b32 s3, -1
                                        ; implicit-def: $vgpr7
	s_branch .LBB425_1562
.LBB425_1552:
	s_or_saveexec_b32 s6, s6
	v_mov_b32_e32 v7, s10
	s_xor_b32 exec_lo, exec_lo, s6
	s_cbranch_execz .LBB425_1537
.LBB425_1553:
	v_cmp_ne_u16_e32 vcc_lo, 0, v8
	v_mov_b32_e32 v7, 0
	s_and_not1_b32 s7, s7, exec_lo
	s_and_b32 s10, vcc_lo, exec_lo
	s_delay_alu instid0(SALU_CYCLE_1)
	s_or_b32 s7, s7, s10
	s_or_b32 exec_lo, exec_lo, s6
	s_and_saveexec_b32 s6, s7
	s_cbranch_execnz .LBB425_1538
	s_branch .LBB425_1539
.LBB425_1554:
	s_mov_b32 s3, -1
                                        ; implicit-def: $vgpr7
	s_branch .LBB425_1559
.LBB425_1555:
	s_mov_b32 s3, -1
                                        ; implicit-def: $vgpr7
.LBB425_1556:
	s_delay_alu instid0(SALU_CYCLE_1)
	s_and_b32 vcc_lo, exec_lo, s3
	s_cbranch_vccz .LBB425_1558
; %bb.1557:
	global_load_u8 v7, v[9:10], off
	s_waitcnt vmcnt(0)
	v_lshlrev_b32_e32 v7, 24, v7
	s_delay_alu instid0(VALU_DEP_1) | instskip(NEXT) | instid1(VALU_DEP_1)
	v_and_b32_e32 v8, 0x7f000000, v7
	v_clz_i32_u32_e32 v12, v8
	v_add_nc_u32_e32 v14, 0x1000000, v8
	v_cmp_ne_u32_e32 vcc_lo, 0, v8
	s_delay_alu instid0(VALU_DEP_3) | instskip(NEXT) | instid1(VALU_DEP_1)
	v_min_u32_e32 v12, 32, v12
	v_sub_nc_u32_e64 v12, v12, 4 clamp
	s_delay_alu instid0(VALU_DEP_1) | instskip(SKIP_1) | instid1(VALU_DEP_2)
	v_lshlrev_b32_e32 v13, v12, v8
	v_lshlrev_b32_e32 v12, 23, v12
	v_lshrrev_b32_e32 v13, 4, v13
	s_delay_alu instid0(VALU_DEP_1) | instskip(SKIP_1) | instid1(VALU_DEP_2)
	v_sub_nc_u32_e32 v12, v13, v12
	v_ashrrev_i32_e32 v13, 8, v14
	v_add_nc_u32_e32 v12, 0x3c000000, v12
	s_delay_alu instid0(VALU_DEP_1) | instskip(NEXT) | instid1(VALU_DEP_1)
	v_and_or_b32 v12, 0x7f800000, v13, v12
	v_cndmask_b32_e32 v8, 0, v12, vcc_lo
	s_delay_alu instid0(VALU_DEP_1) | instskip(NEXT) | instid1(VALU_DEP_1)
	v_and_or_b32 v7, 0x80000000, v7, v8
	v_trunc_f32_e32 v7, v7
	s_delay_alu instid0(VALU_DEP_1) | instskip(NEXT) | instid1(VALU_DEP_1)
	v_mul_f32_e64 v8, 0x2f800000, |v7|
	v_floor_f32_e32 v8, v8
	s_delay_alu instid0(VALU_DEP_1) | instskip(SKIP_1) | instid1(VALU_DEP_2)
	v_fma_f32 v8, 0xcf800000, v8, |v7|
	v_ashrrev_i32_e32 v7, 31, v7
	v_cvt_u32_f32_e32 v8, v8
	s_delay_alu instid0(VALU_DEP_1) | instskip(NEXT) | instid1(VALU_DEP_1)
	v_xor_b32_e32 v8, v8, v7
	v_sub_nc_u32_e32 v7, v8, v7
.LBB425_1558:
	s_mov_b32 s3, 0
.LBB425_1559:
	s_delay_alu instid0(SALU_CYCLE_1)
	s_and_not1_b32 vcc_lo, exec_lo, s3
	s_cbranch_vccnz .LBB425_1561
; %bb.1560:
	global_load_u8 v7, v[9:10], off
	s_waitcnt vmcnt(0)
	v_lshlrev_b32_e32 v8, 25, v7
	v_lshlrev_b16 v7, 8, v7
	s_delay_alu instid0(VALU_DEP_1) | instskip(SKIP_1) | instid1(VALU_DEP_2)
	v_and_or_b32 v13, 0x7f00, v7, 0.5
	v_bfe_i32 v7, v7, 0, 16
	v_add_f32_e32 v13, -0.5, v13
	v_lshrrev_b32_e32 v12, 4, v8
	v_cmp_gt_u32_e32 vcc_lo, 0x8000000, v8
	s_delay_alu instid0(VALU_DEP_2) | instskip(NEXT) | instid1(VALU_DEP_1)
	v_or_b32_e32 v12, 0x70000000, v12
	v_mul_f32_e32 v12, 0x7800000, v12
	s_delay_alu instid0(VALU_DEP_1) | instskip(NEXT) | instid1(VALU_DEP_1)
	v_cndmask_b32_e32 v8, v12, v13, vcc_lo
	v_and_or_b32 v7, 0x80000000, v7, v8
	s_delay_alu instid0(VALU_DEP_1) | instskip(NEXT) | instid1(VALU_DEP_1)
	v_trunc_f32_e32 v7, v7
	v_mul_f32_e64 v8, 0x2f800000, |v7|
	s_delay_alu instid0(VALU_DEP_1) | instskip(NEXT) | instid1(VALU_DEP_1)
	v_floor_f32_e32 v8, v8
	v_fma_f32 v8, 0xcf800000, v8, |v7|
	v_ashrrev_i32_e32 v7, 31, v7
	s_delay_alu instid0(VALU_DEP_2) | instskip(NEXT) | instid1(VALU_DEP_1)
	v_cvt_u32_f32_e32 v8, v8
	v_xor_b32_e32 v8, v8, v7
	s_delay_alu instid0(VALU_DEP_1)
	v_sub_nc_u32_e32 v7, v8, v7
.LBB425_1561:
	s_mov_b32 s3, 0
	s_mov_b32 s6, -1
.LBB425_1562:
	s_and_not1_b32 vcc_lo, exec_lo, s3
	s_mov_b32 s3, 0
	s_cbranch_vccnz .LBB425_1573
; %bb.1563:
	v_cmp_lt_i16_e32 vcc_lo, 14, v11
	s_cbranch_vccz .LBB425_1566
; %bb.1564:
	v_cmp_eq_u16_e32 vcc_lo, 15, v11
	s_cbranch_vccz .LBB425_1569
; %bb.1565:
	global_load_u16 v7, v[9:10], off
	s_mov_b32 s2, 0
	s_mov_b32 s6, -1
	s_waitcnt vmcnt(0)
	v_lshlrev_b32_e32 v7, 16, v7
	s_delay_alu instid0(VALU_DEP_1) | instskip(NEXT) | instid1(VALU_DEP_1)
	v_trunc_f32_e32 v7, v7
	v_mul_f32_e64 v8, 0x2f800000, |v7|
	s_delay_alu instid0(VALU_DEP_1) | instskip(NEXT) | instid1(VALU_DEP_1)
	v_floor_f32_e32 v8, v8
	v_fma_f32 v8, 0xcf800000, v8, |v7|
	v_ashrrev_i32_e32 v7, 31, v7
	s_delay_alu instid0(VALU_DEP_2) | instskip(NEXT) | instid1(VALU_DEP_1)
	v_cvt_u32_f32_e32 v8, v8
	v_xor_b32_e32 v8, v8, v7
	s_delay_alu instid0(VALU_DEP_1)
	v_sub_nc_u32_e32 v7, v8, v7
	s_branch .LBB425_1571
.LBB425_1566:
	s_mov_b32 s3, -1
	s_branch .LBB425_1570
.LBB425_1567:
	s_or_saveexec_b32 s3, s3
	v_mov_b32_e32 v7, s7
	s_xor_b32 exec_lo, exec_lo, s3
	s_cbranch_execz .LBB425_1548
.LBB425_1568:
	v_cmp_ne_u16_e32 vcc_lo, 0, v8
	v_mov_b32_e32 v7, 0
	s_and_not1_b32 s6, s6, exec_lo
	s_and_b32 s7, vcc_lo, exec_lo
	s_delay_alu instid0(SALU_CYCLE_1)
	s_or_b32 s6, s6, s7
	s_or_b32 exec_lo, exec_lo, s3
	s_and_saveexec_b32 s3, s6
	s_cbranch_execnz .LBB425_1549
	s_branch .LBB425_1550
.LBB425_1569:
	s_mov_b32 s2, -1
.LBB425_1570:
                                        ; implicit-def: $vgpr7
.LBB425_1571:
	s_and_b32 vcc_lo, exec_lo, s3
	s_mov_b32 s3, 0
	s_cbranch_vccz .LBB425_1573
; %bb.1572:
	v_cmp_ne_u16_e64 s2, 11, v11
	s_mov_b32 s3, -1
                                        ; implicit-def: $vgpr7
.LBB425_1573:
	s_delay_alu instid0(VALU_DEP_1)
	s_and_b32 vcc_lo, exec_lo, s2
	s_cbranch_vccnz .LBB425_2102
; %bb.1574:
	s_and_not1_b32 vcc_lo, exec_lo, s3
	s_cbranch_vccnz .LBB425_1576
.LBB425_1575:
	global_load_u8 v7, v[9:10], off
	s_mov_b32 s6, -1
	s_waitcnt vmcnt(0)
	v_cmp_ne_u16_e32 vcc_lo, 0, v7
	v_cndmask_b32_e64 v7, 0, 1, vcc_lo
.LBB425_1576:
	s_mov_b32 s2, 0
.LBB425_1577:
	s_delay_alu instid0(SALU_CYCLE_1)
	s_and_b32 vcc_lo, exec_lo, s2
	s_cbranch_vccz .LBB425_1626
; %bb.1578:
	v_cmp_gt_i16_e32 vcc_lo, 5, v11
	s_cbranch_vccnz .LBB425_1583
; %bb.1579:
	v_cmp_gt_i16_e32 vcc_lo, 8, v11
	s_cbranch_vccnz .LBB425_1584
; %bb.1580:
	v_cmp_gt_i16_e32 vcc_lo, 9, v11
	s_cbranch_vccnz .LBB425_1585
; %bb.1581:
	v_cmp_lt_i16_e32 vcc_lo, 9, v11
	s_cbranch_vccz .LBB425_1586
; %bb.1582:
	global_load_b64 v[7:8], v[9:10], off
	s_mov_b32 s2, 0
	s_waitcnt vmcnt(0)
	v_trunc_f64_e32 v[7:8], v[7:8]
	s_delay_alu instid0(VALU_DEP_1) | instskip(NEXT) | instid1(VALU_DEP_1)
	v_ldexp_f64 v[12:13], v[7:8], 0xffffffe0
	v_floor_f64_e32 v[12:13], v[12:13]
	s_delay_alu instid0(VALU_DEP_1) | instskip(NEXT) | instid1(VALU_DEP_1)
	v_fma_f64 v[7:8], 0xc1f00000, v[12:13], v[7:8]
	v_cvt_u32_f64_e32 v7, v[7:8]
	s_branch .LBB425_1587
.LBB425_1583:
	s_mov_b32 s2, -1
                                        ; implicit-def: $vgpr7
	s_branch .LBB425_1605
.LBB425_1584:
	s_mov_b32 s2, -1
                                        ; implicit-def: $vgpr7
	s_branch .LBB425_1593
.LBB425_1585:
	s_mov_b32 s2, -1
                                        ; implicit-def: $vgpr7
	s_branch .LBB425_1590
.LBB425_1586:
	s_mov_b32 s2, -1
                                        ; implicit-def: $vgpr7
.LBB425_1587:
	s_delay_alu instid0(SALU_CYCLE_1)
	s_and_not1_b32 vcc_lo, exec_lo, s2
	s_cbranch_vccnz .LBB425_1589
; %bb.1588:
	global_load_b32 v7, v[9:10], off
	s_waitcnt vmcnt(0)
	v_trunc_f32_e32 v7, v7
	s_delay_alu instid0(VALU_DEP_1) | instskip(NEXT) | instid1(VALU_DEP_1)
	v_mul_f32_e64 v8, 0x2f800000, |v7|
	v_floor_f32_e32 v8, v8
	s_delay_alu instid0(VALU_DEP_1) | instskip(SKIP_1) | instid1(VALU_DEP_2)
	v_fma_f32 v8, 0xcf800000, v8, |v7|
	v_ashrrev_i32_e32 v7, 31, v7
	v_cvt_u32_f32_e32 v8, v8
	s_delay_alu instid0(VALU_DEP_1) | instskip(NEXT) | instid1(VALU_DEP_1)
	v_xor_b32_e32 v8, v8, v7
	v_sub_nc_u32_e32 v7, v8, v7
.LBB425_1589:
	s_mov_b32 s2, 0
.LBB425_1590:
	s_delay_alu instid0(SALU_CYCLE_1)
	s_and_not1_b32 vcc_lo, exec_lo, s2
	s_cbranch_vccnz .LBB425_1592
; %bb.1591:
	global_load_b32 v7, v[9:10], off
	s_waitcnt vmcnt(0)
	v_cvt_f32_f16_e32 v7, v7
	s_delay_alu instid0(VALU_DEP_1)
	v_cvt_i32_f32_e32 v7, v7
.LBB425_1592:
	s_mov_b32 s2, 0
.LBB425_1593:
	s_delay_alu instid0(SALU_CYCLE_1)
	s_and_not1_b32 vcc_lo, exec_lo, s2
	s_cbranch_vccnz .LBB425_1604
; %bb.1594:
	v_cmp_gt_i16_e32 vcc_lo, 6, v11
	s_cbranch_vccnz .LBB425_1597
; %bb.1595:
	v_cmp_lt_i16_e32 vcc_lo, 6, v11
	s_cbranch_vccz .LBB425_1598
; %bb.1596:
	global_load_b64 v[7:8], v[9:10], off
	s_mov_b32 s2, 0
	s_waitcnt vmcnt(0)
	v_trunc_f64_e32 v[7:8], v[7:8]
	s_delay_alu instid0(VALU_DEP_1) | instskip(NEXT) | instid1(VALU_DEP_1)
	v_ldexp_f64 v[12:13], v[7:8], 0xffffffe0
	v_floor_f64_e32 v[12:13], v[12:13]
	s_delay_alu instid0(VALU_DEP_1) | instskip(NEXT) | instid1(VALU_DEP_1)
	v_fma_f64 v[7:8], 0xc1f00000, v[12:13], v[7:8]
	v_cvt_u32_f64_e32 v7, v[7:8]
	s_branch .LBB425_1599
.LBB425_1597:
	s_mov_b32 s2, -1
                                        ; implicit-def: $vgpr7
	s_branch .LBB425_1602
.LBB425_1598:
	s_mov_b32 s2, -1
                                        ; implicit-def: $vgpr7
.LBB425_1599:
	s_delay_alu instid0(SALU_CYCLE_1)
	s_and_not1_b32 vcc_lo, exec_lo, s2
	s_cbranch_vccnz .LBB425_1601
; %bb.1600:
	global_load_b32 v7, v[9:10], off
	s_waitcnt vmcnt(0)
	v_trunc_f32_e32 v7, v7
	s_delay_alu instid0(VALU_DEP_1) | instskip(NEXT) | instid1(VALU_DEP_1)
	v_mul_f32_e64 v8, 0x2f800000, |v7|
	v_floor_f32_e32 v8, v8
	s_delay_alu instid0(VALU_DEP_1) | instskip(SKIP_1) | instid1(VALU_DEP_2)
	v_fma_f32 v8, 0xcf800000, v8, |v7|
	v_ashrrev_i32_e32 v7, 31, v7
	v_cvt_u32_f32_e32 v8, v8
	s_delay_alu instid0(VALU_DEP_1) | instskip(NEXT) | instid1(VALU_DEP_1)
	v_xor_b32_e32 v8, v8, v7
	v_sub_nc_u32_e32 v7, v8, v7
.LBB425_1601:
	s_mov_b32 s2, 0
.LBB425_1602:
	s_delay_alu instid0(SALU_CYCLE_1)
	s_and_not1_b32 vcc_lo, exec_lo, s2
	s_cbranch_vccnz .LBB425_1604
; %bb.1603:
	global_load_u16 v7, v[9:10], off
	s_waitcnt vmcnt(0)
	v_cvt_f32_f16_e32 v7, v7
	s_delay_alu instid0(VALU_DEP_1)
	v_cvt_i32_f32_e32 v7, v7
.LBB425_1604:
	s_mov_b32 s2, 0
.LBB425_1605:
	s_delay_alu instid0(SALU_CYCLE_1)
	s_and_not1_b32 vcc_lo, exec_lo, s2
	s_cbranch_vccnz .LBB425_1625
; %bb.1606:
	v_cmp_gt_i16_e32 vcc_lo, 2, v11
	s_cbranch_vccnz .LBB425_1610
; %bb.1607:
	v_cmp_gt_i16_e32 vcc_lo, 3, v11
	s_cbranch_vccnz .LBB425_1611
; %bb.1608:
	v_cmp_lt_i16_e32 vcc_lo, 3, v11
	s_cbranch_vccz .LBB425_1612
; %bb.1609:
	global_load_b64 v[7:8], v[9:10], off
	s_mov_b32 s2, 0
	s_branch .LBB425_1613
.LBB425_1610:
	s_mov_b32 s2, -1
                                        ; implicit-def: $vgpr7
	s_branch .LBB425_1619
.LBB425_1611:
	s_mov_b32 s2, -1
                                        ; implicit-def: $vgpr7
	s_branch .LBB425_1616
.LBB425_1612:
	s_mov_b32 s2, -1
                                        ; implicit-def: $vgpr7
.LBB425_1613:
	s_delay_alu instid0(SALU_CYCLE_1)
	s_and_not1_b32 vcc_lo, exec_lo, s2
	s_cbranch_vccnz .LBB425_1615
; %bb.1614:
	global_load_b32 v7, v[9:10], off
.LBB425_1615:
	s_mov_b32 s2, 0
.LBB425_1616:
	s_delay_alu instid0(SALU_CYCLE_1)
	s_and_not1_b32 vcc_lo, exec_lo, s2
	s_cbranch_vccnz .LBB425_1618
; %bb.1617:
	global_load_u16 v7, v[9:10], off
.LBB425_1618:
	s_mov_b32 s2, 0
.LBB425_1619:
	s_delay_alu instid0(SALU_CYCLE_1)
	s_and_not1_b32 vcc_lo, exec_lo, s2
	s_cbranch_vccnz .LBB425_1625
; %bb.1620:
	v_cmp_lt_i16_e32 vcc_lo, 0, v11
	s_mov_b32 s2, 0
	s_cbranch_vccz .LBB425_1622
; %bb.1621:
	global_load_u8 v7, v[9:10], off
	s_branch .LBB425_1623
.LBB425_1622:
	s_mov_b32 s2, -1
                                        ; implicit-def: $vgpr7
.LBB425_1623:
	s_delay_alu instid0(SALU_CYCLE_1)
	s_and_not1_b32 vcc_lo, exec_lo, s2
	s_cbranch_vccnz .LBB425_1625
; %bb.1624:
	global_load_u8 v7, v[9:10], off
.LBB425_1625:
	s_mov_b32 s6, -1
.LBB425_1626:
	s_delay_alu instid0(SALU_CYCLE_1)
	s_and_not1_b32 vcc_lo, exec_lo, s6
	s_cbranch_vccnz .LBB425_2057
; %bb.1627:
	s_load_b32 s2, s[16:17], 0x158
	s_lshr_b32 s0, s0, 8
	s_waitcnt vmcnt(0)
	v_and_b32_e32 v10, 0xff, v4
	v_and_b32_e64 v8, 0xff, s0
	v_add_co_u32 v3, s0, s4, v3
	s_delay_alu instid0(VALU_DEP_1) | instskip(NEXT) | instid1(VALU_DEP_3)
	v_add_co_ci_u32_e64 v4, null, s5, 0, s0
	v_cmp_gt_i16_e32 vcc_lo, 11, v8
	s_mov_b32 s3, 0
	s_mov_b32 s0, -1
	s_waitcnt lgkmcnt(0)
	v_and_b32_e64 v9, 0xff, s2
	s_delay_alu instid0(VALU_DEP_1)
	v_min_u16 v10, v10, v9
	s_cbranch_vccnz .LBB425_1705
; %bb.1628:
	v_cmp_lt_i16_e32 vcc_lo, 25, v8
	s_mov_b32 s6, -1
	s_mov_b32 s2, 0
	s_mov_b32 s0, 0
	s_cbranch_vccz .LBB425_1661
; %bb.1629:
	v_cmp_lt_i16_e32 vcc_lo, 28, v8
	s_cbranch_vccz .LBB425_1644
; %bb.1630:
	v_cmp_lt_i16_e32 vcc_lo, 43, v8
	;; [unrolled: 3-line block ×3, first 2 shown]
	s_cbranch_vccz .LBB425_1634
; %bb.1632:
	v_cmp_eq_u16_e32 vcc_lo, 46, v8
	s_mov_b32 s0, -1
	s_mov_b32 s6, 0
	s_cbranch_vccz .LBB425_1634
; %bb.1633:
	v_cvt_f32_ubyte0_e32 v11, v10
	s_mov_b32 s0, 0
	s_mov_b32 s3, -1
	s_delay_alu instid0(VALU_DEP_1) | instskip(NEXT) | instid1(VALU_DEP_1)
	v_bfe_u32 v12, v11, 16, 1
	v_add3_u32 v11, v11, v12, 0x7fff
	s_delay_alu instid0(VALU_DEP_1)
	v_lshrrev_b32_e32 v11, 16, v11
	global_store_b32 v[3:4], v11, off
.LBB425_1634:
	s_and_b32 vcc_lo, exec_lo, s6
	s_cbranch_vccz .LBB425_1639
; %bb.1635:
	v_cmp_eq_u16_e32 vcc_lo, 44, v8
	s_mov_b32 s0, -1
	s_cbranch_vccz .LBB425_1639
; %bb.1636:
	v_cvt_f32_ubyte0_e32 v13, v10
	v_mov_b32_e32 v12, 0xff
	s_mov_b32 s3, exec_lo
	s_delay_alu instid0(VALU_DEP_2) | instskip(NEXT) | instid1(VALU_DEP_1)
	v_lshrrev_b32_e32 v11, 23, v13
	v_cmpx_ne_u32_e32 0xff, v11
; %bb.1637:
	v_and_b32_e32 v12, 0x400000, v13
	v_and_or_b32 v13, 0x3fffff, v13, v11
	s_delay_alu instid0(VALU_DEP_2) | instskip(NEXT) | instid1(VALU_DEP_2)
	v_cmp_ne_u32_e32 vcc_lo, 0, v12
	v_cmp_ne_u32_e64 s0, 0, v13
	s_delay_alu instid0(VALU_DEP_1) | instskip(NEXT) | instid1(SALU_CYCLE_1)
	s_and_b32 s0, vcc_lo, s0
	v_cndmask_b32_e64 v12, 0, 1, s0
	s_delay_alu instid0(VALU_DEP_1)
	v_add_nc_u32_e32 v12, v11, v12
; %bb.1638:
	s_or_b32 exec_lo, exec_lo, s3
	s_mov_b32 s0, 0
	s_mov_b32 s3, -1
	global_store_b8 v[3:4], v12, off
.LBB425_1639:
	s_mov_b32 s6, 0
.LBB425_1640:
	s_delay_alu instid0(SALU_CYCLE_1)
	s_and_b32 vcc_lo, exec_lo, s6
	s_cbranch_vccz .LBB425_1643
; %bb.1641:
	v_cmp_eq_u16_e32 vcc_lo, 29, v8
	s_mov_b32 s0, -1
	s_cbranch_vccz .LBB425_1643
; %bb.1642:
	s_mov_b32 s0, 0
	s_delay_alu instid0(SALU_CYCLE_1)
	v_dual_mov_b32 v12, s0 :: v_dual_and_b32 v11, 0xffff, v10
	s_mov_b32 s3, -1
	global_store_b64 v[3:4], v[11:12], off
.LBB425_1643:
	s_mov_b32 s6, 0
.LBB425_1644:
	s_delay_alu instid0(SALU_CYCLE_1)
	s_and_b32 vcc_lo, exec_lo, s6
	s_cbranch_vccz .LBB425_1660
; %bb.1645:
	v_cmp_gt_i16_e32 vcc_lo, 27, v8
	s_mov_b32 s3, -1
	s_cbranch_vccnz .LBB425_1651
; %bb.1646:
	v_cmp_lt_i16_e32 vcc_lo, 27, v8
	s_cbranch_vccz .LBB425_1648
; %bb.1647:
	v_and_b32_e32 v11, 0xffff, v10
	s_mov_b32 s3, 0
	global_store_b32 v[3:4], v11, off
.LBB425_1648:
	s_and_not1_b32 vcc_lo, exec_lo, s3
	s_cbranch_vccnz .LBB425_1650
; %bb.1649:
	global_store_b16 v[3:4], v10, off
.LBB425_1650:
	s_mov_b32 s3, 0
.LBB425_1651:
	s_delay_alu instid0(SALU_CYCLE_1)
	s_and_not1_b32 vcc_lo, exec_lo, s3
	s_cbranch_vccnz .LBB425_1659
; %bb.1652:
	v_cvt_f32_ubyte0_e32 v12, v10
	v_mov_b32_e32 v13, 0x80
	s_mov_b32 s3, exec_lo
	s_delay_alu instid0(VALU_DEP_2)
	v_cmpx_gt_u32_e32 0x43800000, v12
	s_cbranch_execz .LBB425_1658
; %bb.1653:
	s_mov_b32 s6, 0
	s_mov_b32 s7, exec_lo
                                        ; implicit-def: $vgpr11
	v_cmpx_lt_u32_e32 0x3bffffff, v12
	s_xor_b32 s7, exec_lo, s7
	s_cbranch_execz .LBB425_2104
; %bb.1654:
	v_bfe_u32 v11, v12, 20, 1
	s_mov_b32 s6, exec_lo
	s_delay_alu instid0(VALU_DEP_1) | instskip(NEXT) | instid1(VALU_DEP_1)
	v_add3_u32 v11, v12, v11, 0x487ffff
                                        ; implicit-def: $vgpr12
	v_lshrrev_b32_e32 v11, 20, v11
	s_or_saveexec_b32 s7, s7
                                        ; implicit-def: $sgpr10
	s_delay_alu instid0(SALU_CYCLE_1)
	s_xor_b32 exec_lo, exec_lo, s7
	s_cbranch_execnz .LBB425_2105
.LBB425_1655:
	s_or_b32 exec_lo, exec_lo, s7
	v_mov_b32_e32 v13, s10
	s_and_saveexec_b32 s7, s6
.LBB425_1656:
	v_mov_b32_e32 v13, v11
.LBB425_1657:
	s_or_b32 exec_lo, exec_lo, s7
.LBB425_1658:
	s_delay_alu instid0(SALU_CYCLE_1)
	s_or_b32 exec_lo, exec_lo, s3
	global_store_b8 v[3:4], v13, off
.LBB425_1659:
	s_mov_b32 s3, -1
.LBB425_1660:
	s_mov_b32 s6, 0
.LBB425_1661:
	s_delay_alu instid0(SALU_CYCLE_1)
	s_and_b32 vcc_lo, exec_lo, s6
	s_cbranch_vccz .LBB425_1701
; %bb.1662:
	v_cmp_lt_i16_e32 vcc_lo, 22, v8
	s_mov_b32 s2, -1
	s_cbranch_vccz .LBB425_1694
; %bb.1663:
	v_cmp_gt_i16_e32 vcc_lo, 24, v8
	s_cbranch_vccnz .LBB425_1683
; %bb.1664:
	v_cmp_lt_i16_e32 vcc_lo, 24, v8
	s_cbranch_vccz .LBB425_1672
; %bb.1665:
	v_cvt_f32_ubyte0_e32 v12, v10
	v_mov_b32_e32 v13, 0x80
	s_mov_b32 s2, exec_lo
	s_delay_alu instid0(VALU_DEP_2)
	v_cmpx_gt_u32_e32 0x47800000, v12
	s_cbranch_execz .LBB425_1671
; %bb.1666:
	s_mov_b32 s3, 0
	s_mov_b32 s6, exec_lo
                                        ; implicit-def: $vgpr11
	v_cmpx_lt_u32_e32 0x37ffffff, v12
	s_xor_b32 s6, exec_lo, s6
	s_cbranch_execz .LBB425_2110
; %bb.1667:
	v_bfe_u32 v11, v12, 21, 1
	s_mov_b32 s3, exec_lo
	s_delay_alu instid0(VALU_DEP_1) | instskip(NEXT) | instid1(VALU_DEP_1)
	v_add3_u32 v11, v12, v11, 0x88fffff
                                        ; implicit-def: $vgpr12
	v_lshrrev_b32_e32 v11, 21, v11
	s_or_saveexec_b32 s6, s6
                                        ; implicit-def: $sgpr7
	s_delay_alu instid0(SALU_CYCLE_1)
	s_xor_b32 exec_lo, exec_lo, s6
	s_cbranch_execnz .LBB425_2111
.LBB425_1668:
	s_or_b32 exec_lo, exec_lo, s6
	v_mov_b32_e32 v13, s7
	s_and_saveexec_b32 s6, s3
.LBB425_1669:
	v_mov_b32_e32 v13, v11
.LBB425_1670:
	s_or_b32 exec_lo, exec_lo, s6
.LBB425_1671:
	s_delay_alu instid0(SALU_CYCLE_1)
	s_or_b32 exec_lo, exec_lo, s2
	s_mov_b32 s2, 0
	global_store_b8 v[3:4], v13, off
.LBB425_1672:
	s_and_b32 vcc_lo, exec_lo, s2
	s_cbranch_vccz .LBB425_1682
; %bb.1673:
	v_cvt_f32_ubyte0_e32 v12, v10
	s_mov_b32 s2, exec_lo
                                        ; implicit-def: $vgpr11
	s_delay_alu instid0(VALU_DEP_1)
	v_cmpx_gt_u32_e32 0x43f00000, v12
	s_xor_b32 s2, exec_lo, s2
	s_cbranch_execz .LBB425_1679
; %bb.1674:
	s_mov_b32 s3, exec_lo
                                        ; implicit-def: $vgpr11
	v_cmpx_lt_u32_e32 0x3c7fffff, v12
	s_xor_b32 s3, exec_lo, s3
; %bb.1675:
	v_bfe_u32 v11, v12, 20, 1
	s_delay_alu instid0(VALU_DEP_1) | instskip(NEXT) | instid1(VALU_DEP_1)
	v_add3_u32 v11, v12, v11, 0x407ffff
	v_and_b32_e32 v12, 0xff00000, v11
	v_lshrrev_b32_e32 v11, 20, v11
	s_delay_alu instid0(VALU_DEP_2) | instskip(NEXT) | instid1(VALU_DEP_2)
	v_cmp_ne_u32_e32 vcc_lo, 0x7f00000, v12
                                        ; implicit-def: $vgpr12
	v_cndmask_b32_e32 v11, 0x7e, v11, vcc_lo
; %bb.1676:
	s_and_not1_saveexec_b32 s3, s3
; %bb.1677:
	v_add_f32_e32 v11, 0x46800000, v12
; %bb.1678:
	s_or_b32 exec_lo, exec_lo, s3
                                        ; implicit-def: $vgpr12
.LBB425_1679:
	s_and_not1_saveexec_b32 s2, s2
; %bb.1680:
	v_mov_b32_e32 v11, 0x7f
	v_cmp_lt_u32_e32 vcc_lo, 0x7f800000, v12
	s_delay_alu instid0(VALU_DEP_2)
	v_cndmask_b32_e32 v11, 0x7e, v11, vcc_lo
; %bb.1681:
	s_or_b32 exec_lo, exec_lo, s2
	global_store_b8 v[3:4], v11, off
.LBB425_1682:
	s_mov_b32 s2, 0
.LBB425_1683:
	s_delay_alu instid0(SALU_CYCLE_1)
	s_and_not1_b32 vcc_lo, exec_lo, s2
	s_cbranch_vccnz .LBB425_1693
; %bb.1684:
	v_cvt_f32_ubyte0_e32 v12, v10
	s_mov_b32 s2, exec_lo
                                        ; implicit-def: $vgpr11
	s_delay_alu instid0(VALU_DEP_1)
	v_cmpx_gt_u32_e32 0x47800000, v12
	s_xor_b32 s2, exec_lo, s2
	s_cbranch_execz .LBB425_1690
; %bb.1685:
	s_mov_b32 s3, exec_lo
                                        ; implicit-def: $vgpr11
	v_cmpx_lt_u32_e32 0x387fffff, v12
	s_xor_b32 s3, exec_lo, s3
; %bb.1686:
	v_bfe_u32 v11, v12, 21, 1
	s_delay_alu instid0(VALU_DEP_1) | instskip(NEXT) | instid1(VALU_DEP_1)
	v_add3_u32 v11, v12, v11, 0x80fffff
                                        ; implicit-def: $vgpr12
	v_lshrrev_b32_e32 v11, 21, v11
; %bb.1687:
	s_and_not1_saveexec_b32 s3, s3
; %bb.1688:
	v_add_f32_e32 v11, 0x43000000, v12
; %bb.1689:
	s_or_b32 exec_lo, exec_lo, s3
                                        ; implicit-def: $vgpr12
.LBB425_1690:
	s_and_not1_saveexec_b32 s2, s2
; %bb.1691:
	v_mov_b32_e32 v11, 0x7f
	v_cmp_lt_u32_e32 vcc_lo, 0x7f800000, v12
	s_delay_alu instid0(VALU_DEP_2)
	v_cndmask_b32_e32 v11, 0x7c, v11, vcc_lo
; %bb.1692:
	s_or_b32 exec_lo, exec_lo, s2
	global_store_b8 v[3:4], v11, off
.LBB425_1693:
	s_mov_b32 s2, 0
	s_mov_b32 s3, -1
.LBB425_1694:
	s_and_not1_b32 vcc_lo, exec_lo, s2
	s_mov_b32 s2, 0
	s_cbranch_vccnz .LBB425_1701
; %bb.1695:
	v_cmp_lt_i16_e32 vcc_lo, 14, v8
	s_mov_b32 s2, -1
	s_cbranch_vccz .LBB425_1699
; %bb.1696:
	v_cmp_eq_u16_e32 vcc_lo, 15, v8
	s_mov_b32 s0, -1
	s_cbranch_vccz .LBB425_1698
; %bb.1697:
	v_cvt_f32_ubyte0_e32 v11, v10
	s_mov_b32 s0, 0
	s_mov_b32 s3, -1
	s_delay_alu instid0(VALU_DEP_1) | instskip(NEXT) | instid1(VALU_DEP_1)
	v_bfe_u32 v12, v11, 16, 1
	v_add3_u32 v11, v11, v12, 0x7fff
	global_store_d16_hi_b16 v[3:4], v11, off
.LBB425_1698:
	s_mov_b32 s2, 0
.LBB425_1699:
	s_delay_alu instid0(SALU_CYCLE_1)
	s_and_b32 vcc_lo, exec_lo, s2
	s_mov_b32 s2, 0
	s_cbranch_vccz .LBB425_1701
; %bb.1700:
	v_cmp_ne_u16_e64 s0, 11, v8
	s_mov_b32 s2, -1
.LBB425_1701:
	s_delay_alu instid0(VALU_DEP_1)
	s_and_b32 vcc_lo, exec_lo, s0
	s_cbranch_vccnz .LBB425_2108
; %bb.1702:
	s_and_not1_b32 vcc_lo, exec_lo, s2
	s_cbranch_vccnz .LBB425_1704
.LBB425_1703:
	v_cmp_ne_u16_e32 vcc_lo, 0, v10
	s_mov_b32 s3, -1
	v_cndmask_b32_e64 v11, 0, 1, vcc_lo
	global_store_b8 v[3:4], v11, off
.LBB425_1704:
	s_mov_b32 s0, 0
.LBB425_1705:
	s_delay_alu instid0(SALU_CYCLE_1)
	s_and_b32 vcc_lo, exec_lo, s0
	s_cbranch_vccz .LBB425_1744
; %bb.1706:
	v_cmp_gt_i16_e32 vcc_lo, 5, v8
	s_mov_b32 s0, -1
	s_cbranch_vccnz .LBB425_1727
; %bb.1707:
	v_cmp_gt_i16_e32 vcc_lo, 8, v8
	s_cbranch_vccnz .LBB425_1717
; %bb.1708:
	v_cmp_gt_i16_e32 vcc_lo, 9, v8
	s_cbranch_vccnz .LBB425_1714
; %bb.1709:
	v_cmp_lt_i16_e32 vcc_lo, 9, v8
	s_cbranch_vccz .LBB425_1711
; %bb.1710:
	v_mov_b32_e32 v13, 0
	v_and_b32_e32 v11, 0xffff, v10
	s_mov_b32 s0, 0
	s_delay_alu instid0(VALU_DEP_2) | instskip(NEXT) | instid1(VALU_DEP_2)
	v_mov_b32_e32 v14, v13
	v_cvt_f64_u32_e32 v[11:12], v11
	global_store_b128 v[3:4], v[11:14], off
.LBB425_1711:
	s_and_not1_b32 vcc_lo, exec_lo, s0
	s_cbranch_vccnz .LBB425_1713
; %bb.1712:
	v_cvt_f32_ubyte0_e32 v11, v10
	v_mov_b32_e32 v12, 0
	global_store_b64 v[3:4], v[11:12], off
.LBB425_1713:
	s_mov_b32 s0, 0
.LBB425_1714:
	s_delay_alu instid0(SALU_CYCLE_1)
	s_and_not1_b32 vcc_lo, exec_lo, s0
	s_cbranch_vccnz .LBB425_1716
; %bb.1715:
	v_cvt_f16_u16_e32 v11, v10
	s_delay_alu instid0(VALU_DEP_1)
	v_and_b32_e32 v11, 0xffff, v11
	global_store_b32 v[3:4], v11, off
.LBB425_1716:
	s_mov_b32 s0, 0
.LBB425_1717:
	s_delay_alu instid0(SALU_CYCLE_1)
	s_and_not1_b32 vcc_lo, exec_lo, s0
	s_cbranch_vccnz .LBB425_1726
; %bb.1718:
	v_cmp_gt_i16_e32 vcc_lo, 6, v8
	s_mov_b32 s0, -1
	s_cbranch_vccnz .LBB425_1724
; %bb.1719:
	v_cmp_lt_i16_e32 vcc_lo, 6, v8
	s_cbranch_vccz .LBB425_1721
; %bb.1720:
	v_and_b32_e32 v11, 0xffff, v10
	s_mov_b32 s0, 0
	s_delay_alu instid0(VALU_DEP_1)
	v_cvt_f64_u32_e32 v[11:12], v11
	global_store_b64 v[3:4], v[11:12], off
.LBB425_1721:
	s_and_not1_b32 vcc_lo, exec_lo, s0
	s_cbranch_vccnz .LBB425_1723
; %bb.1722:
	v_cvt_f32_ubyte0_e32 v11, v10
	global_store_b32 v[3:4], v11, off
.LBB425_1723:
	s_mov_b32 s0, 0
.LBB425_1724:
	s_delay_alu instid0(SALU_CYCLE_1)
	s_and_not1_b32 vcc_lo, exec_lo, s0
	s_cbranch_vccnz .LBB425_1726
; %bb.1725:
	v_cvt_f16_u16_e32 v11, v10
	global_store_b16 v[3:4], v11, off
.LBB425_1726:
	s_mov_b32 s0, 0
.LBB425_1727:
	s_delay_alu instid0(SALU_CYCLE_1)
	s_and_not1_b32 vcc_lo, exec_lo, s0
	s_cbranch_vccnz .LBB425_1743
; %bb.1728:
	v_cmp_gt_i16_e32 vcc_lo, 2, v8
	s_mov_b32 s0, -1
	s_cbranch_vccnz .LBB425_1738
; %bb.1729:
	v_cmp_gt_i16_e32 vcc_lo, 3, v8
	s_cbranch_vccnz .LBB425_1735
; %bb.1730:
	v_cmp_lt_i16_e32 vcc_lo, 3, v8
	s_cbranch_vccz .LBB425_1732
; %bb.1731:
	s_mov_b32 s0, 0
	s_delay_alu instid0(SALU_CYCLE_1)
	v_dual_mov_b32 v12, s0 :: v_dual_and_b32 v11, 0xffff, v10
	global_store_b64 v[3:4], v[11:12], off
.LBB425_1732:
	s_and_not1_b32 vcc_lo, exec_lo, s0
	s_cbranch_vccnz .LBB425_1734
; %bb.1733:
	v_and_b32_e32 v11, 0xffff, v10
	global_store_b32 v[3:4], v11, off
.LBB425_1734:
	s_mov_b32 s0, 0
.LBB425_1735:
	s_delay_alu instid0(SALU_CYCLE_1)
	s_and_not1_b32 vcc_lo, exec_lo, s0
	s_cbranch_vccnz .LBB425_1737
; %bb.1736:
	global_store_b16 v[3:4], v10, off
.LBB425_1737:
	s_mov_b32 s0, 0
.LBB425_1738:
	s_delay_alu instid0(SALU_CYCLE_1)
	s_and_not1_b32 vcc_lo, exec_lo, s0
	s_cbranch_vccnz .LBB425_1743
; %bb.1739:
	v_cmp_lt_i16_e32 vcc_lo, 0, v8
	s_mov_b32 s0, -1
	s_cbranch_vccz .LBB425_1741
; %bb.1740:
	s_mov_b32 s0, 0
	global_store_b8 v[3:4], v10, off
.LBB425_1741:
	s_and_not1_b32 vcc_lo, exec_lo, s0
	s_cbranch_vccnz .LBB425_1743
; %bb.1742:
	global_store_b8 v[3:4], v10, off
.LBB425_1743:
	s_mov_b32 s3, -1
.LBB425_1744:
	s_delay_alu instid0(SALU_CYCLE_1)
	s_and_not1_b32 vcc_lo, exec_lo, s3
	s_cbranch_vccnz .LBB425_2057
; %bb.1745:
	v_and_b32_e32 v3, 0xff, v5
	v_cmp_gt_i16_e32 vcc_lo, 11, v8
	v_add_co_u32 v2, s0, s4, v2
	s_mov_b32 s3, 0
	s_delay_alu instid0(VALU_DEP_3)
	v_min_u16 v10, v3, v9
	v_add_co_ci_u32_e64 v3, null, s5, 0, s0
	s_mov_b32 s0, -1
	s_cbranch_vccnz .LBB425_1823
; %bb.1746:
	v_cmp_lt_i16_e32 vcc_lo, 25, v8
	s_mov_b32 s6, -1
	s_mov_b32 s2, 0
	s_mov_b32 s0, 0
	s_cbranch_vccz .LBB425_1779
; %bb.1747:
	v_cmp_lt_i16_e32 vcc_lo, 28, v8
	s_cbranch_vccz .LBB425_1762
; %bb.1748:
	v_cmp_lt_i16_e32 vcc_lo, 43, v8
	;; [unrolled: 3-line block ×3, first 2 shown]
	s_cbranch_vccz .LBB425_1752
; %bb.1750:
	v_cmp_eq_u16_e32 vcc_lo, 46, v8
	s_mov_b32 s0, -1
	s_mov_b32 s6, 0
	s_cbranch_vccz .LBB425_1752
; %bb.1751:
	v_cvt_f32_ubyte0_e32 v4, v10
	s_mov_b32 s0, 0
	s_mov_b32 s3, -1
	s_delay_alu instid0(VALU_DEP_1) | instskip(NEXT) | instid1(VALU_DEP_1)
	v_bfe_u32 v5, v4, 16, 1
	v_add3_u32 v4, v4, v5, 0x7fff
	s_delay_alu instid0(VALU_DEP_1)
	v_lshrrev_b32_e32 v4, 16, v4
	global_store_b32 v[2:3], v4, off
.LBB425_1752:
	s_and_b32 vcc_lo, exec_lo, s6
	s_cbranch_vccz .LBB425_1757
; %bb.1753:
	v_cmp_eq_u16_e32 vcc_lo, 44, v8
	s_mov_b32 s0, -1
	s_cbranch_vccz .LBB425_1757
; %bb.1754:
	v_cvt_f32_ubyte0_e32 v11, v10
	v_mov_b32_e32 v5, 0xff
	s_mov_b32 s3, exec_lo
	s_delay_alu instid0(VALU_DEP_2) | instskip(NEXT) | instid1(VALU_DEP_1)
	v_lshrrev_b32_e32 v4, 23, v11
	v_cmpx_ne_u32_e32 0xff, v4
; %bb.1755:
	v_and_b32_e32 v5, 0x400000, v11
	v_and_or_b32 v11, 0x3fffff, v11, v4
	s_delay_alu instid0(VALU_DEP_2) | instskip(NEXT) | instid1(VALU_DEP_2)
	v_cmp_ne_u32_e32 vcc_lo, 0, v5
	v_cmp_ne_u32_e64 s0, 0, v11
	s_delay_alu instid0(VALU_DEP_1) | instskip(NEXT) | instid1(SALU_CYCLE_1)
	s_and_b32 s0, vcc_lo, s0
	v_cndmask_b32_e64 v5, 0, 1, s0
	s_delay_alu instid0(VALU_DEP_1)
	v_add_nc_u32_e32 v5, v4, v5
; %bb.1756:
	s_or_b32 exec_lo, exec_lo, s3
	s_mov_b32 s0, 0
	s_mov_b32 s3, -1
	global_store_b8 v[2:3], v5, off
.LBB425_1757:
	s_mov_b32 s6, 0
.LBB425_1758:
	s_delay_alu instid0(SALU_CYCLE_1)
	s_and_b32 vcc_lo, exec_lo, s6
	s_cbranch_vccz .LBB425_1761
; %bb.1759:
	v_cmp_eq_u16_e32 vcc_lo, 29, v8
	s_mov_b32 s0, -1
	s_cbranch_vccz .LBB425_1761
; %bb.1760:
	s_mov_b32 s0, 0
	s_delay_alu instid0(SALU_CYCLE_1)
	v_dual_mov_b32 v5, s0 :: v_dual_and_b32 v4, 0xffff, v10
	s_mov_b32 s3, -1
	global_store_b64 v[2:3], v[4:5], off
.LBB425_1761:
	s_mov_b32 s6, 0
.LBB425_1762:
	s_delay_alu instid0(SALU_CYCLE_1)
	s_and_b32 vcc_lo, exec_lo, s6
	s_cbranch_vccz .LBB425_1778
; %bb.1763:
	v_cmp_gt_i16_e32 vcc_lo, 27, v8
	s_mov_b32 s3, -1
	s_cbranch_vccnz .LBB425_1769
; %bb.1764:
	v_cmp_lt_i16_e32 vcc_lo, 27, v8
	s_cbranch_vccz .LBB425_1766
; %bb.1765:
	v_and_b32_e32 v4, 0xffff, v10
	s_mov_b32 s3, 0
	global_store_b32 v[2:3], v4, off
.LBB425_1766:
	s_and_not1_b32 vcc_lo, exec_lo, s3
	s_cbranch_vccnz .LBB425_1768
; %bb.1767:
	global_store_b16 v[2:3], v10, off
.LBB425_1768:
	s_mov_b32 s3, 0
.LBB425_1769:
	s_delay_alu instid0(SALU_CYCLE_1)
	s_and_not1_b32 vcc_lo, exec_lo, s3
	s_cbranch_vccnz .LBB425_1777
; %bb.1770:
	v_cvt_f32_ubyte0_e32 v5, v10
	v_mov_b32_e32 v11, 0x80
	s_mov_b32 s3, exec_lo
	s_delay_alu instid0(VALU_DEP_2)
	v_cmpx_gt_u32_e32 0x43800000, v5
	s_cbranch_execz .LBB425_1776
; %bb.1771:
	s_mov_b32 s6, 0
	s_mov_b32 s7, exec_lo
                                        ; implicit-def: $vgpr4
	v_cmpx_lt_u32_e32 0x3bffffff, v5
	s_xor_b32 s7, exec_lo, s7
	s_cbranch_execz .LBB425_2112
; %bb.1772:
	v_bfe_u32 v4, v5, 20, 1
	s_mov_b32 s6, exec_lo
	s_delay_alu instid0(VALU_DEP_1) | instskip(NEXT) | instid1(VALU_DEP_1)
	v_add3_u32 v4, v5, v4, 0x487ffff
                                        ; implicit-def: $vgpr5
	v_lshrrev_b32_e32 v4, 20, v4
	s_or_saveexec_b32 s7, s7
                                        ; implicit-def: $sgpr10
	s_delay_alu instid0(SALU_CYCLE_1)
	s_xor_b32 exec_lo, exec_lo, s7
	s_cbranch_execnz .LBB425_2113
.LBB425_1773:
	s_or_b32 exec_lo, exec_lo, s7
	v_mov_b32_e32 v11, s10
	s_and_saveexec_b32 s7, s6
.LBB425_1774:
	v_mov_b32_e32 v11, v4
.LBB425_1775:
	s_or_b32 exec_lo, exec_lo, s7
.LBB425_1776:
	s_delay_alu instid0(SALU_CYCLE_1)
	s_or_b32 exec_lo, exec_lo, s3
	global_store_b8 v[2:3], v11, off
.LBB425_1777:
	s_mov_b32 s3, -1
.LBB425_1778:
	s_mov_b32 s6, 0
.LBB425_1779:
	s_delay_alu instid0(SALU_CYCLE_1)
	s_and_b32 vcc_lo, exec_lo, s6
	s_cbranch_vccz .LBB425_1819
; %bb.1780:
	v_cmp_lt_i16_e32 vcc_lo, 22, v8
	s_mov_b32 s2, -1
	s_cbranch_vccz .LBB425_1812
; %bb.1781:
	v_cmp_gt_i16_e32 vcc_lo, 24, v8
	s_cbranch_vccnz .LBB425_1801
; %bb.1782:
	v_cmp_lt_i16_e32 vcc_lo, 24, v8
	s_cbranch_vccz .LBB425_1790
; %bb.1783:
	v_cvt_f32_ubyte0_e32 v5, v10
	v_mov_b32_e32 v11, 0x80
	s_mov_b32 s2, exec_lo
	s_delay_alu instid0(VALU_DEP_2)
	v_cmpx_gt_u32_e32 0x47800000, v5
	s_cbranch_execz .LBB425_1789
; %bb.1784:
	s_mov_b32 s3, 0
	s_mov_b32 s6, exec_lo
                                        ; implicit-def: $vgpr4
	v_cmpx_lt_u32_e32 0x37ffffff, v5
	s_xor_b32 s6, exec_lo, s6
	s_cbranch_execz .LBB425_2118
; %bb.1785:
	v_bfe_u32 v4, v5, 21, 1
	s_mov_b32 s3, exec_lo
	s_delay_alu instid0(VALU_DEP_1) | instskip(NEXT) | instid1(VALU_DEP_1)
	v_add3_u32 v4, v5, v4, 0x88fffff
                                        ; implicit-def: $vgpr5
	v_lshrrev_b32_e32 v4, 21, v4
	s_or_saveexec_b32 s6, s6
                                        ; implicit-def: $sgpr7
	s_delay_alu instid0(SALU_CYCLE_1)
	s_xor_b32 exec_lo, exec_lo, s6
	s_cbranch_execnz .LBB425_2119
.LBB425_1786:
	s_or_b32 exec_lo, exec_lo, s6
	v_mov_b32_e32 v11, s7
	s_and_saveexec_b32 s6, s3
.LBB425_1787:
	v_mov_b32_e32 v11, v4
.LBB425_1788:
	s_or_b32 exec_lo, exec_lo, s6
.LBB425_1789:
	s_delay_alu instid0(SALU_CYCLE_1)
	s_or_b32 exec_lo, exec_lo, s2
	s_mov_b32 s2, 0
	global_store_b8 v[2:3], v11, off
.LBB425_1790:
	s_and_b32 vcc_lo, exec_lo, s2
	s_cbranch_vccz .LBB425_1800
; %bb.1791:
	v_cvt_f32_ubyte0_e32 v5, v10
	s_mov_b32 s2, exec_lo
                                        ; implicit-def: $vgpr4
	s_delay_alu instid0(VALU_DEP_1)
	v_cmpx_gt_u32_e32 0x43f00000, v5
	s_xor_b32 s2, exec_lo, s2
	s_cbranch_execz .LBB425_1797
; %bb.1792:
	s_mov_b32 s3, exec_lo
                                        ; implicit-def: $vgpr4
	v_cmpx_lt_u32_e32 0x3c7fffff, v5
	s_xor_b32 s3, exec_lo, s3
; %bb.1793:
	v_bfe_u32 v4, v5, 20, 1
	s_delay_alu instid0(VALU_DEP_1) | instskip(NEXT) | instid1(VALU_DEP_1)
	v_add3_u32 v4, v5, v4, 0x407ffff
	v_and_b32_e32 v5, 0xff00000, v4
	v_lshrrev_b32_e32 v4, 20, v4
	s_delay_alu instid0(VALU_DEP_2) | instskip(NEXT) | instid1(VALU_DEP_2)
	v_cmp_ne_u32_e32 vcc_lo, 0x7f00000, v5
                                        ; implicit-def: $vgpr5
	v_cndmask_b32_e32 v4, 0x7e, v4, vcc_lo
; %bb.1794:
	s_and_not1_saveexec_b32 s3, s3
; %bb.1795:
	v_add_f32_e32 v4, 0x46800000, v5
; %bb.1796:
	s_or_b32 exec_lo, exec_lo, s3
                                        ; implicit-def: $vgpr5
.LBB425_1797:
	s_and_not1_saveexec_b32 s2, s2
; %bb.1798:
	v_mov_b32_e32 v4, 0x7f
	v_cmp_lt_u32_e32 vcc_lo, 0x7f800000, v5
	s_delay_alu instid0(VALU_DEP_2)
	v_cndmask_b32_e32 v4, 0x7e, v4, vcc_lo
; %bb.1799:
	s_or_b32 exec_lo, exec_lo, s2
	global_store_b8 v[2:3], v4, off
.LBB425_1800:
	s_mov_b32 s2, 0
.LBB425_1801:
	s_delay_alu instid0(SALU_CYCLE_1)
	s_and_not1_b32 vcc_lo, exec_lo, s2
	s_cbranch_vccnz .LBB425_1811
; %bb.1802:
	v_cvt_f32_ubyte0_e32 v5, v10
	s_mov_b32 s2, exec_lo
                                        ; implicit-def: $vgpr4
	s_delay_alu instid0(VALU_DEP_1)
	v_cmpx_gt_u32_e32 0x47800000, v5
	s_xor_b32 s2, exec_lo, s2
	s_cbranch_execz .LBB425_1808
; %bb.1803:
	s_mov_b32 s3, exec_lo
                                        ; implicit-def: $vgpr4
	v_cmpx_lt_u32_e32 0x387fffff, v5
	s_xor_b32 s3, exec_lo, s3
; %bb.1804:
	v_bfe_u32 v4, v5, 21, 1
	s_delay_alu instid0(VALU_DEP_1) | instskip(NEXT) | instid1(VALU_DEP_1)
	v_add3_u32 v4, v5, v4, 0x80fffff
                                        ; implicit-def: $vgpr5
	v_lshrrev_b32_e32 v4, 21, v4
; %bb.1805:
	s_and_not1_saveexec_b32 s3, s3
; %bb.1806:
	v_add_f32_e32 v4, 0x43000000, v5
; %bb.1807:
	s_or_b32 exec_lo, exec_lo, s3
                                        ; implicit-def: $vgpr5
.LBB425_1808:
	s_and_not1_saveexec_b32 s2, s2
; %bb.1809:
	v_mov_b32_e32 v4, 0x7f
	v_cmp_lt_u32_e32 vcc_lo, 0x7f800000, v5
	s_delay_alu instid0(VALU_DEP_2)
	v_cndmask_b32_e32 v4, 0x7c, v4, vcc_lo
; %bb.1810:
	s_or_b32 exec_lo, exec_lo, s2
	global_store_b8 v[2:3], v4, off
.LBB425_1811:
	s_mov_b32 s2, 0
	s_mov_b32 s3, -1
.LBB425_1812:
	s_and_not1_b32 vcc_lo, exec_lo, s2
	s_mov_b32 s2, 0
	s_cbranch_vccnz .LBB425_1819
; %bb.1813:
	v_cmp_lt_i16_e32 vcc_lo, 14, v8
	s_mov_b32 s2, -1
	s_cbranch_vccz .LBB425_1817
; %bb.1814:
	v_cmp_eq_u16_e32 vcc_lo, 15, v8
	s_mov_b32 s0, -1
	s_cbranch_vccz .LBB425_1816
; %bb.1815:
	v_cvt_f32_ubyte0_e32 v4, v10
	s_mov_b32 s0, 0
	s_mov_b32 s3, -1
	s_delay_alu instid0(VALU_DEP_1) | instskip(NEXT) | instid1(VALU_DEP_1)
	v_bfe_u32 v5, v4, 16, 1
	v_add3_u32 v4, v4, v5, 0x7fff
	global_store_d16_hi_b16 v[2:3], v4, off
.LBB425_1816:
	s_mov_b32 s2, 0
.LBB425_1817:
	s_delay_alu instid0(SALU_CYCLE_1)
	s_and_b32 vcc_lo, exec_lo, s2
	s_mov_b32 s2, 0
	s_cbranch_vccz .LBB425_1819
; %bb.1818:
	v_cmp_ne_u16_e64 s0, 11, v8
	s_mov_b32 s2, -1
.LBB425_1819:
	s_delay_alu instid0(VALU_DEP_1)
	s_and_b32 vcc_lo, exec_lo, s0
	s_cbranch_vccnz .LBB425_2116
; %bb.1820:
	s_and_not1_b32 vcc_lo, exec_lo, s2
	s_cbranch_vccnz .LBB425_1822
.LBB425_1821:
	v_cmp_ne_u16_e32 vcc_lo, 0, v10
	s_mov_b32 s3, -1
	v_cndmask_b32_e64 v4, 0, 1, vcc_lo
	global_store_b8 v[2:3], v4, off
.LBB425_1822:
	s_mov_b32 s0, 0
.LBB425_1823:
	s_delay_alu instid0(SALU_CYCLE_1)
	s_and_b32 vcc_lo, exec_lo, s0
	s_cbranch_vccz .LBB425_1862
; %bb.1824:
	v_cmp_gt_i16_e32 vcc_lo, 5, v8
	s_mov_b32 s0, -1
	s_cbranch_vccnz .LBB425_1845
; %bb.1825:
	v_cmp_gt_i16_e32 vcc_lo, 8, v8
	s_cbranch_vccnz .LBB425_1835
; %bb.1826:
	v_cmp_gt_i16_e32 vcc_lo, 9, v8
	s_cbranch_vccnz .LBB425_1832
; %bb.1827:
	v_cmp_lt_i16_e32 vcc_lo, 9, v8
	s_cbranch_vccz .LBB425_1829
; %bb.1828:
	v_dual_mov_b32 v13, 0 :: v_dual_and_b32 v4, 0xffff, v10
	s_mov_b32 s0, 0
	s_delay_alu instid0(VALU_DEP_1) | instskip(NEXT) | instid1(VALU_DEP_2)
	v_cvt_f64_u32_e32 v[11:12], v4
	v_mov_b32_e32 v14, v13
	global_store_b128 v[2:3], v[11:14], off
.LBB425_1829:
	s_and_not1_b32 vcc_lo, exec_lo, s0
	s_cbranch_vccnz .LBB425_1831
; %bb.1830:
	v_cvt_f32_ubyte0_e32 v4, v10
	v_mov_b32_e32 v5, 0
	global_store_b64 v[2:3], v[4:5], off
.LBB425_1831:
	s_mov_b32 s0, 0
.LBB425_1832:
	s_delay_alu instid0(SALU_CYCLE_1)
	s_and_not1_b32 vcc_lo, exec_lo, s0
	s_cbranch_vccnz .LBB425_1834
; %bb.1833:
	v_cvt_f16_u16_e32 v4, v10
	s_delay_alu instid0(VALU_DEP_1)
	v_and_b32_e32 v4, 0xffff, v4
	global_store_b32 v[2:3], v4, off
.LBB425_1834:
	s_mov_b32 s0, 0
.LBB425_1835:
	s_delay_alu instid0(SALU_CYCLE_1)
	s_and_not1_b32 vcc_lo, exec_lo, s0
	s_cbranch_vccnz .LBB425_1844
; %bb.1836:
	v_cmp_gt_i16_e32 vcc_lo, 6, v8
	s_mov_b32 s0, -1
	s_cbranch_vccnz .LBB425_1842
; %bb.1837:
	v_cmp_lt_i16_e32 vcc_lo, 6, v8
	s_cbranch_vccz .LBB425_1839
; %bb.1838:
	v_and_b32_e32 v4, 0xffff, v10
	s_mov_b32 s0, 0
	s_delay_alu instid0(VALU_DEP_1)
	v_cvt_f64_u32_e32 v[4:5], v4
	global_store_b64 v[2:3], v[4:5], off
.LBB425_1839:
	s_and_not1_b32 vcc_lo, exec_lo, s0
	s_cbranch_vccnz .LBB425_1841
; %bb.1840:
	v_cvt_f32_ubyte0_e32 v4, v10
	global_store_b32 v[2:3], v4, off
.LBB425_1841:
	s_mov_b32 s0, 0
.LBB425_1842:
	s_delay_alu instid0(SALU_CYCLE_1)
	s_and_not1_b32 vcc_lo, exec_lo, s0
	s_cbranch_vccnz .LBB425_1844
; %bb.1843:
	v_cvt_f16_u16_e32 v4, v10
	global_store_b16 v[2:3], v4, off
.LBB425_1844:
	s_mov_b32 s0, 0
.LBB425_1845:
	s_delay_alu instid0(SALU_CYCLE_1)
	s_and_not1_b32 vcc_lo, exec_lo, s0
	s_cbranch_vccnz .LBB425_1861
; %bb.1846:
	v_cmp_gt_i16_e32 vcc_lo, 2, v8
	s_mov_b32 s0, -1
	s_cbranch_vccnz .LBB425_1856
; %bb.1847:
	v_cmp_gt_i16_e32 vcc_lo, 3, v8
	s_cbranch_vccnz .LBB425_1853
; %bb.1848:
	v_cmp_lt_i16_e32 vcc_lo, 3, v8
	v_and_b32_e32 v4, 0xffff, v10
	s_cbranch_vccz .LBB425_1850
; %bb.1849:
	s_mov_b32 s0, 0
	s_delay_alu instid0(SALU_CYCLE_1)
	v_mov_b32_e32 v5, s0
	global_store_b64 v[2:3], v[4:5], off
.LBB425_1850:
	s_and_not1_b32 vcc_lo, exec_lo, s0
	s_cbranch_vccnz .LBB425_1852
; %bb.1851:
	global_store_b32 v[2:3], v4, off
.LBB425_1852:
	s_mov_b32 s0, 0
.LBB425_1853:
	s_delay_alu instid0(SALU_CYCLE_1)
	s_and_not1_b32 vcc_lo, exec_lo, s0
	s_cbranch_vccnz .LBB425_1855
; %bb.1854:
	global_store_b16 v[2:3], v10, off
.LBB425_1855:
	s_mov_b32 s0, 0
.LBB425_1856:
	s_delay_alu instid0(SALU_CYCLE_1)
	s_and_not1_b32 vcc_lo, exec_lo, s0
	s_cbranch_vccnz .LBB425_1861
; %bb.1857:
	v_cmp_lt_i16_e32 vcc_lo, 0, v8
	s_mov_b32 s0, -1
	s_cbranch_vccz .LBB425_1859
; %bb.1858:
	s_mov_b32 s0, 0
	global_store_b8 v[2:3], v10, off
.LBB425_1859:
	s_and_not1_b32 vcc_lo, exec_lo, s0
	s_cbranch_vccnz .LBB425_1861
; %bb.1860:
	global_store_b8 v[2:3], v10, off
.LBB425_1861:
	s_mov_b32 s3, -1
.LBB425_1862:
	s_delay_alu instid0(SALU_CYCLE_1)
	s_and_not1_b32 vcc_lo, exec_lo, s3
	s_cbranch_vccnz .LBB425_2057
; %bb.1863:
	v_and_b32_e32 v2, 0xff, v6
	v_cmp_gt_i16_e32 vcc_lo, 11, v8
	v_add_co_u32 v1, s0, s4, v1
	s_mov_b32 s3, 0
	s_delay_alu instid0(VALU_DEP_3)
	v_min_u16 v5, v2, v9
	v_add_co_ci_u32_e64 v2, null, s5, 0, s0
	s_mov_b32 s0, -1
	s_cbranch_vccnz .LBB425_1941
; %bb.1864:
	v_cmp_lt_i16_e32 vcc_lo, 25, v8
	s_mov_b32 s6, -1
	s_mov_b32 s2, 0
	s_mov_b32 s0, 0
	s_cbranch_vccz .LBB425_1897
; %bb.1865:
	v_cmp_lt_i16_e32 vcc_lo, 28, v8
	s_cbranch_vccz .LBB425_1880
; %bb.1866:
	v_cmp_lt_i16_e32 vcc_lo, 43, v8
	s_cbranch_vccz .LBB425_1876
; %bb.1867:
	v_cmp_lt_i16_e32 vcc_lo, 45, v8
	s_cbranch_vccz .LBB425_1870
; %bb.1868:
	v_cmp_eq_u16_e32 vcc_lo, 46, v8
	s_mov_b32 s0, -1
	s_mov_b32 s6, 0
	s_cbranch_vccz .LBB425_1870
; %bb.1869:
	v_cvt_f32_ubyte0_e32 v3, v5
	s_mov_b32 s0, 0
	s_mov_b32 s3, -1
	s_delay_alu instid0(VALU_DEP_1) | instskip(NEXT) | instid1(VALU_DEP_1)
	v_bfe_u32 v4, v3, 16, 1
	v_add3_u32 v3, v3, v4, 0x7fff
	s_delay_alu instid0(VALU_DEP_1)
	v_lshrrev_b32_e32 v3, 16, v3
	global_store_b32 v[1:2], v3, off
.LBB425_1870:
	s_and_b32 vcc_lo, exec_lo, s6
	s_cbranch_vccz .LBB425_1875
; %bb.1871:
	v_cmp_eq_u16_e32 vcc_lo, 44, v8
	s_mov_b32 s0, -1
	s_cbranch_vccz .LBB425_1875
; %bb.1872:
	v_cvt_f32_ubyte0_e32 v6, v5
	v_mov_b32_e32 v4, 0xff
	s_mov_b32 s3, exec_lo
	s_delay_alu instid0(VALU_DEP_2) | instskip(NEXT) | instid1(VALU_DEP_1)
	v_lshrrev_b32_e32 v3, 23, v6
	v_cmpx_ne_u32_e32 0xff, v3
; %bb.1873:
	v_and_b32_e32 v4, 0x400000, v6
	v_and_or_b32 v6, 0x3fffff, v6, v3
	s_delay_alu instid0(VALU_DEP_2) | instskip(NEXT) | instid1(VALU_DEP_2)
	v_cmp_ne_u32_e32 vcc_lo, 0, v4
	v_cmp_ne_u32_e64 s0, 0, v6
	s_delay_alu instid0(VALU_DEP_1) | instskip(NEXT) | instid1(SALU_CYCLE_1)
	s_and_b32 s0, vcc_lo, s0
	v_cndmask_b32_e64 v4, 0, 1, s0
	s_delay_alu instid0(VALU_DEP_1)
	v_add_nc_u32_e32 v4, v3, v4
; %bb.1874:
	s_or_b32 exec_lo, exec_lo, s3
	s_mov_b32 s0, 0
	s_mov_b32 s3, -1
	global_store_b8 v[1:2], v4, off
.LBB425_1875:
	s_mov_b32 s6, 0
.LBB425_1876:
	s_delay_alu instid0(SALU_CYCLE_1)
	s_and_b32 vcc_lo, exec_lo, s6
	s_cbranch_vccz .LBB425_1879
; %bb.1877:
	v_cmp_eq_u16_e32 vcc_lo, 29, v8
	s_mov_b32 s0, -1
	s_cbranch_vccz .LBB425_1879
; %bb.1878:
	s_mov_b32 s0, 0
	s_delay_alu instid0(SALU_CYCLE_1)
	v_dual_mov_b32 v4, s0 :: v_dual_and_b32 v3, 0xffff, v5
	s_mov_b32 s3, -1
	global_store_b64 v[1:2], v[3:4], off
.LBB425_1879:
	s_mov_b32 s6, 0
.LBB425_1880:
	s_delay_alu instid0(SALU_CYCLE_1)
	s_and_b32 vcc_lo, exec_lo, s6
	s_cbranch_vccz .LBB425_1896
; %bb.1881:
	v_cmp_gt_i16_e32 vcc_lo, 27, v8
	s_mov_b32 s3, -1
	s_cbranch_vccnz .LBB425_1887
; %bb.1882:
	v_cmp_lt_i16_e32 vcc_lo, 27, v8
	s_cbranch_vccz .LBB425_1884
; %bb.1883:
	v_and_b32_e32 v3, 0xffff, v5
	s_mov_b32 s3, 0
	global_store_b32 v[1:2], v3, off
.LBB425_1884:
	s_and_not1_b32 vcc_lo, exec_lo, s3
	s_cbranch_vccnz .LBB425_1886
; %bb.1885:
	global_store_b16 v[1:2], v5, off
.LBB425_1886:
	s_mov_b32 s3, 0
.LBB425_1887:
	s_delay_alu instid0(SALU_CYCLE_1)
	s_and_not1_b32 vcc_lo, exec_lo, s3
	s_cbranch_vccnz .LBB425_1895
; %bb.1888:
	v_cvt_f32_ubyte0_e32 v4, v5
	v_mov_b32_e32 v6, 0x80
	s_mov_b32 s3, exec_lo
	s_delay_alu instid0(VALU_DEP_2)
	v_cmpx_gt_u32_e32 0x43800000, v4
	s_cbranch_execz .LBB425_1894
; %bb.1889:
	s_mov_b32 s6, 0
	s_mov_b32 s7, exec_lo
                                        ; implicit-def: $vgpr3
	v_cmpx_lt_u32_e32 0x3bffffff, v4
	s_xor_b32 s7, exec_lo, s7
	s_cbranch_execz .LBB425_2120
; %bb.1890:
	v_bfe_u32 v3, v4, 20, 1
	s_mov_b32 s6, exec_lo
	s_delay_alu instid0(VALU_DEP_1) | instskip(NEXT) | instid1(VALU_DEP_1)
	v_add3_u32 v3, v4, v3, 0x487ffff
                                        ; implicit-def: $vgpr4
	v_lshrrev_b32_e32 v3, 20, v3
	s_or_saveexec_b32 s7, s7
                                        ; implicit-def: $sgpr10
	s_delay_alu instid0(SALU_CYCLE_1)
	s_xor_b32 exec_lo, exec_lo, s7
	s_cbranch_execnz .LBB425_2121
.LBB425_1891:
	s_or_b32 exec_lo, exec_lo, s7
	v_mov_b32_e32 v6, s10
	s_and_saveexec_b32 s7, s6
.LBB425_1892:
	v_mov_b32_e32 v6, v3
.LBB425_1893:
	s_or_b32 exec_lo, exec_lo, s7
.LBB425_1894:
	s_delay_alu instid0(SALU_CYCLE_1)
	s_or_b32 exec_lo, exec_lo, s3
	global_store_b8 v[1:2], v6, off
.LBB425_1895:
	s_mov_b32 s3, -1
.LBB425_1896:
	s_mov_b32 s6, 0
.LBB425_1897:
	s_delay_alu instid0(SALU_CYCLE_1)
	s_and_b32 vcc_lo, exec_lo, s6
	s_cbranch_vccz .LBB425_1937
; %bb.1898:
	v_cmp_lt_i16_e32 vcc_lo, 22, v8
	s_mov_b32 s2, -1
	s_cbranch_vccz .LBB425_1930
; %bb.1899:
	v_cmp_gt_i16_e32 vcc_lo, 24, v8
	s_cbranch_vccnz .LBB425_1919
; %bb.1900:
	v_cmp_lt_i16_e32 vcc_lo, 24, v8
	s_cbranch_vccz .LBB425_1908
; %bb.1901:
	v_cvt_f32_ubyte0_e32 v4, v5
	v_mov_b32_e32 v6, 0x80
	s_mov_b32 s2, exec_lo
	s_delay_alu instid0(VALU_DEP_2)
	v_cmpx_gt_u32_e32 0x47800000, v4
	s_cbranch_execz .LBB425_1907
; %bb.1902:
	s_mov_b32 s3, 0
	s_mov_b32 s6, exec_lo
                                        ; implicit-def: $vgpr3
	v_cmpx_lt_u32_e32 0x37ffffff, v4
	s_xor_b32 s6, exec_lo, s6
	s_cbranch_execz .LBB425_2126
; %bb.1903:
	v_bfe_u32 v3, v4, 21, 1
	s_mov_b32 s3, exec_lo
	s_delay_alu instid0(VALU_DEP_1) | instskip(NEXT) | instid1(VALU_DEP_1)
	v_add3_u32 v3, v4, v3, 0x88fffff
                                        ; implicit-def: $vgpr4
	v_lshrrev_b32_e32 v3, 21, v3
	s_or_saveexec_b32 s6, s6
                                        ; implicit-def: $sgpr7
	s_delay_alu instid0(SALU_CYCLE_1)
	s_xor_b32 exec_lo, exec_lo, s6
	s_cbranch_execnz .LBB425_2127
.LBB425_1904:
	s_or_b32 exec_lo, exec_lo, s6
	v_mov_b32_e32 v6, s7
	s_and_saveexec_b32 s6, s3
.LBB425_1905:
	v_mov_b32_e32 v6, v3
.LBB425_1906:
	s_or_b32 exec_lo, exec_lo, s6
.LBB425_1907:
	s_delay_alu instid0(SALU_CYCLE_1)
	s_or_b32 exec_lo, exec_lo, s2
	s_mov_b32 s2, 0
	global_store_b8 v[1:2], v6, off
.LBB425_1908:
	s_and_b32 vcc_lo, exec_lo, s2
	s_cbranch_vccz .LBB425_1918
; %bb.1909:
	v_cvt_f32_ubyte0_e32 v4, v5
	s_mov_b32 s2, exec_lo
                                        ; implicit-def: $vgpr3
	s_delay_alu instid0(VALU_DEP_1)
	v_cmpx_gt_u32_e32 0x43f00000, v4
	s_xor_b32 s2, exec_lo, s2
	s_cbranch_execz .LBB425_1915
; %bb.1910:
	s_mov_b32 s3, exec_lo
                                        ; implicit-def: $vgpr3
	v_cmpx_lt_u32_e32 0x3c7fffff, v4
	s_xor_b32 s3, exec_lo, s3
; %bb.1911:
	v_bfe_u32 v3, v4, 20, 1
	s_delay_alu instid0(VALU_DEP_1) | instskip(NEXT) | instid1(VALU_DEP_1)
	v_add3_u32 v3, v4, v3, 0x407ffff
	v_and_b32_e32 v4, 0xff00000, v3
	v_lshrrev_b32_e32 v3, 20, v3
	s_delay_alu instid0(VALU_DEP_2) | instskip(NEXT) | instid1(VALU_DEP_2)
	v_cmp_ne_u32_e32 vcc_lo, 0x7f00000, v4
                                        ; implicit-def: $vgpr4
	v_cndmask_b32_e32 v3, 0x7e, v3, vcc_lo
; %bb.1912:
	s_and_not1_saveexec_b32 s3, s3
; %bb.1913:
	v_add_f32_e32 v3, 0x46800000, v4
; %bb.1914:
	s_or_b32 exec_lo, exec_lo, s3
                                        ; implicit-def: $vgpr4
.LBB425_1915:
	s_and_not1_saveexec_b32 s2, s2
; %bb.1916:
	v_mov_b32_e32 v3, 0x7f
	v_cmp_lt_u32_e32 vcc_lo, 0x7f800000, v4
	s_delay_alu instid0(VALU_DEP_2)
	v_cndmask_b32_e32 v3, 0x7e, v3, vcc_lo
; %bb.1917:
	s_or_b32 exec_lo, exec_lo, s2
	global_store_b8 v[1:2], v3, off
.LBB425_1918:
	s_mov_b32 s2, 0
.LBB425_1919:
	s_delay_alu instid0(SALU_CYCLE_1)
	s_and_not1_b32 vcc_lo, exec_lo, s2
	s_cbranch_vccnz .LBB425_1929
; %bb.1920:
	v_cvt_f32_ubyte0_e32 v4, v5
	s_mov_b32 s2, exec_lo
                                        ; implicit-def: $vgpr3
	s_delay_alu instid0(VALU_DEP_1)
	v_cmpx_gt_u32_e32 0x47800000, v4
	s_xor_b32 s2, exec_lo, s2
	s_cbranch_execz .LBB425_1926
; %bb.1921:
	s_mov_b32 s3, exec_lo
                                        ; implicit-def: $vgpr3
	v_cmpx_lt_u32_e32 0x387fffff, v4
	s_xor_b32 s3, exec_lo, s3
; %bb.1922:
	v_bfe_u32 v3, v4, 21, 1
	s_delay_alu instid0(VALU_DEP_1) | instskip(NEXT) | instid1(VALU_DEP_1)
	v_add3_u32 v3, v4, v3, 0x80fffff
                                        ; implicit-def: $vgpr4
	v_lshrrev_b32_e32 v3, 21, v3
; %bb.1923:
	s_and_not1_saveexec_b32 s3, s3
; %bb.1924:
	v_add_f32_e32 v3, 0x43000000, v4
; %bb.1925:
	s_or_b32 exec_lo, exec_lo, s3
                                        ; implicit-def: $vgpr4
.LBB425_1926:
	s_and_not1_saveexec_b32 s2, s2
; %bb.1927:
	v_mov_b32_e32 v3, 0x7f
	v_cmp_lt_u32_e32 vcc_lo, 0x7f800000, v4
	s_delay_alu instid0(VALU_DEP_2)
	v_cndmask_b32_e32 v3, 0x7c, v3, vcc_lo
; %bb.1928:
	s_or_b32 exec_lo, exec_lo, s2
	global_store_b8 v[1:2], v3, off
.LBB425_1929:
	s_mov_b32 s2, 0
	s_mov_b32 s3, -1
.LBB425_1930:
	s_and_not1_b32 vcc_lo, exec_lo, s2
	s_mov_b32 s2, 0
	s_cbranch_vccnz .LBB425_1937
; %bb.1931:
	v_cmp_lt_i16_e32 vcc_lo, 14, v8
	s_mov_b32 s2, -1
	s_cbranch_vccz .LBB425_1935
; %bb.1932:
	v_cmp_eq_u16_e32 vcc_lo, 15, v8
	s_mov_b32 s0, -1
	s_cbranch_vccz .LBB425_1934
; %bb.1933:
	v_cvt_f32_ubyte0_e32 v3, v5
	s_mov_b32 s0, 0
	s_mov_b32 s3, -1
	s_delay_alu instid0(VALU_DEP_1) | instskip(NEXT) | instid1(VALU_DEP_1)
	v_bfe_u32 v4, v3, 16, 1
	v_add3_u32 v3, v3, v4, 0x7fff
	global_store_d16_hi_b16 v[1:2], v3, off
.LBB425_1934:
	s_mov_b32 s2, 0
.LBB425_1935:
	s_delay_alu instid0(SALU_CYCLE_1)
	s_and_b32 vcc_lo, exec_lo, s2
	s_mov_b32 s2, 0
	s_cbranch_vccz .LBB425_1937
; %bb.1936:
	v_cmp_ne_u16_e64 s0, 11, v8
	s_mov_b32 s2, -1
.LBB425_1937:
	s_delay_alu instid0(VALU_DEP_1)
	s_and_b32 vcc_lo, exec_lo, s0
	s_cbranch_vccnz .LBB425_2124
; %bb.1938:
	s_and_not1_b32 vcc_lo, exec_lo, s2
	s_cbranch_vccnz .LBB425_1940
.LBB425_1939:
	v_cmp_ne_u16_e32 vcc_lo, 0, v5
	s_mov_b32 s3, -1
	v_cndmask_b32_e64 v3, 0, 1, vcc_lo
	global_store_b8 v[1:2], v3, off
.LBB425_1940:
	s_mov_b32 s0, 0
.LBB425_1941:
	s_delay_alu instid0(SALU_CYCLE_1)
	s_and_b32 vcc_lo, exec_lo, s0
	s_cbranch_vccz .LBB425_1980
; %bb.1942:
	v_cmp_gt_i16_e32 vcc_lo, 5, v8
	s_mov_b32 s0, -1
	s_cbranch_vccnz .LBB425_1963
; %bb.1943:
	v_cmp_gt_i16_e32 vcc_lo, 8, v8
	s_cbranch_vccnz .LBB425_1953
; %bb.1944:
	v_cmp_gt_i16_e32 vcc_lo, 9, v8
	s_cbranch_vccnz .LBB425_1950
; %bb.1945:
	v_cmp_lt_i16_e32 vcc_lo, 9, v8
	s_cbranch_vccz .LBB425_1947
; %bb.1946:
	v_dual_mov_b32 v12, 0 :: v_dual_and_b32 v3, 0xffff, v5
	s_mov_b32 s0, 0
	s_delay_alu instid0(VALU_DEP_1) | instskip(NEXT) | instid1(VALU_DEP_2)
	v_cvt_f64_u32_e32 v[10:11], v3
	v_mov_b32_e32 v13, v12
	global_store_b128 v[1:2], v[10:13], off
.LBB425_1947:
	s_and_not1_b32 vcc_lo, exec_lo, s0
	s_cbranch_vccnz .LBB425_1949
; %bb.1948:
	v_cvt_f32_ubyte0_e32 v3, v5
	v_mov_b32_e32 v4, 0
	global_store_b64 v[1:2], v[3:4], off
.LBB425_1949:
	s_mov_b32 s0, 0
.LBB425_1950:
	s_delay_alu instid0(SALU_CYCLE_1)
	s_and_not1_b32 vcc_lo, exec_lo, s0
	s_cbranch_vccnz .LBB425_1952
; %bb.1951:
	v_cvt_f16_u16_e32 v3, v5
	s_delay_alu instid0(VALU_DEP_1)
	v_and_b32_e32 v3, 0xffff, v3
	global_store_b32 v[1:2], v3, off
.LBB425_1952:
	s_mov_b32 s0, 0
.LBB425_1953:
	s_delay_alu instid0(SALU_CYCLE_1)
	s_and_not1_b32 vcc_lo, exec_lo, s0
	s_cbranch_vccnz .LBB425_1962
; %bb.1954:
	v_cmp_gt_i16_e32 vcc_lo, 6, v8
	s_mov_b32 s0, -1
	s_cbranch_vccnz .LBB425_1960
; %bb.1955:
	v_cmp_lt_i16_e32 vcc_lo, 6, v8
	s_cbranch_vccz .LBB425_1957
; %bb.1956:
	v_and_b32_e32 v3, 0xffff, v5
	s_mov_b32 s0, 0
	s_delay_alu instid0(VALU_DEP_1)
	v_cvt_f64_u32_e32 v[3:4], v3
	global_store_b64 v[1:2], v[3:4], off
.LBB425_1957:
	s_and_not1_b32 vcc_lo, exec_lo, s0
	s_cbranch_vccnz .LBB425_1959
; %bb.1958:
	v_cvt_f32_ubyte0_e32 v3, v5
	global_store_b32 v[1:2], v3, off
.LBB425_1959:
	s_mov_b32 s0, 0
.LBB425_1960:
	s_delay_alu instid0(SALU_CYCLE_1)
	s_and_not1_b32 vcc_lo, exec_lo, s0
	s_cbranch_vccnz .LBB425_1962
; %bb.1961:
	v_cvt_f16_u16_e32 v3, v5
	global_store_b16 v[1:2], v3, off
.LBB425_1962:
	s_mov_b32 s0, 0
.LBB425_1963:
	s_delay_alu instid0(SALU_CYCLE_1)
	s_and_not1_b32 vcc_lo, exec_lo, s0
	s_cbranch_vccnz .LBB425_1979
; %bb.1964:
	v_cmp_gt_i16_e32 vcc_lo, 2, v8
	s_mov_b32 s0, -1
	s_cbranch_vccnz .LBB425_1974
; %bb.1965:
	v_cmp_gt_i16_e32 vcc_lo, 3, v8
	s_cbranch_vccnz .LBB425_1971
; %bb.1966:
	v_cmp_lt_i16_e32 vcc_lo, 3, v8
	v_and_b32_e32 v3, 0xffff, v5
	s_cbranch_vccz .LBB425_1968
; %bb.1967:
	s_mov_b32 s0, 0
	s_delay_alu instid0(SALU_CYCLE_1)
	v_mov_b32_e32 v4, s0
	global_store_b64 v[1:2], v[3:4], off
.LBB425_1968:
	s_and_not1_b32 vcc_lo, exec_lo, s0
	s_cbranch_vccnz .LBB425_1970
; %bb.1969:
	global_store_b32 v[1:2], v3, off
.LBB425_1970:
	s_mov_b32 s0, 0
.LBB425_1971:
	s_delay_alu instid0(SALU_CYCLE_1)
	s_and_not1_b32 vcc_lo, exec_lo, s0
	s_cbranch_vccnz .LBB425_1973
; %bb.1972:
	global_store_b16 v[1:2], v5, off
.LBB425_1973:
	s_mov_b32 s0, 0
.LBB425_1974:
	s_delay_alu instid0(SALU_CYCLE_1)
	s_and_not1_b32 vcc_lo, exec_lo, s0
	s_cbranch_vccnz .LBB425_1979
; %bb.1975:
	v_cmp_lt_i16_e32 vcc_lo, 0, v8
	s_mov_b32 s0, -1
	s_cbranch_vccz .LBB425_1977
; %bb.1976:
	s_mov_b32 s0, 0
	global_store_b8 v[1:2], v5, off
.LBB425_1977:
	s_and_not1_b32 vcc_lo, exec_lo, s0
	s_cbranch_vccnz .LBB425_1979
; %bb.1978:
	global_store_b8 v[1:2], v5, off
.LBB425_1979:
	s_mov_b32 s3, -1
.LBB425_1980:
	s_delay_alu instid0(SALU_CYCLE_1)
	s_and_not1_b32 vcc_lo, exec_lo, s3
	s_cbranch_vccnz .LBB425_2057
; %bb.1981:
	v_and_b32_e32 v1, 0xff, v7
	v_cmp_gt_i16_e32 vcc_lo, 11, v8
	v_add_co_u32 v0, s0, s4, v0
	s_mov_b32 s2, 0
	s_delay_alu instid0(VALU_DEP_3)
	v_min_u16 v2, v1, v9
	v_add_co_ci_u32_e64 v1, null, s5, 0, s0
	s_mov_b32 s0, -1
	s_cbranch_vccnz .LBB425_2058
; %bb.1982:
	v_cmp_lt_i16_e32 vcc_lo, 25, v8
	s_mov_b32 s3, -1
	s_mov_b32 s0, 0
	s_cbranch_vccz .LBB425_2015
; %bb.1983:
	v_cmp_lt_i16_e32 vcc_lo, 28, v8
	s_cbranch_vccz .LBB425_1999
; %bb.1984:
	v_cmp_lt_i16_e32 vcc_lo, 43, v8
	s_cbranch_vccz .LBB425_1995
; %bb.1985:
	v_cmp_lt_i16_e32 vcc_lo, 45, v8
	s_cbranch_vccz .LBB425_1989
; %bb.1986:
	v_cmp_eq_u16_e32 vcc_lo, 46, v8
	s_mov_b32 s0, -1
	s_cbranch_vccz .LBB425_1988
; %bb.1987:
	v_cvt_f32_ubyte0_e32 v3, v2
	s_mov_b32 s0, 0
	s_delay_alu instid0(VALU_DEP_1) | instskip(NEXT) | instid1(VALU_DEP_1)
	v_bfe_u32 v4, v3, 16, 1
	v_add3_u32 v3, v3, v4, 0x7fff
	s_delay_alu instid0(VALU_DEP_1)
	v_lshrrev_b32_e32 v3, 16, v3
	global_store_b32 v[0:1], v3, off
.LBB425_1988:
	s_mov_b32 s3, 0
.LBB425_1989:
	s_delay_alu instid0(SALU_CYCLE_1)
	s_and_b32 vcc_lo, exec_lo, s3
	s_cbranch_vccz .LBB425_1994
; %bb.1990:
	v_cmp_eq_u16_e32 vcc_lo, 44, v8
	s_mov_b32 s0, -1
	s_cbranch_vccz .LBB425_1994
; %bb.1991:
	v_cvt_f32_ubyte0_e32 v5, v2
	v_mov_b32_e32 v4, 0xff
	s_mov_b32 s3, exec_lo
	s_delay_alu instid0(VALU_DEP_2) | instskip(NEXT) | instid1(VALU_DEP_1)
	v_lshrrev_b32_e32 v3, 23, v5
	v_cmpx_ne_u32_e32 0xff, v3
; %bb.1992:
	v_and_b32_e32 v4, 0x400000, v5
	v_and_or_b32 v5, 0x3fffff, v5, v3
	s_delay_alu instid0(VALU_DEP_2) | instskip(NEXT) | instid1(VALU_DEP_2)
	v_cmp_ne_u32_e32 vcc_lo, 0, v4
	v_cmp_ne_u32_e64 s0, 0, v5
	s_delay_alu instid0(VALU_DEP_1) | instskip(NEXT) | instid1(SALU_CYCLE_1)
	s_and_b32 s0, vcc_lo, s0
	v_cndmask_b32_e64 v4, 0, 1, s0
	s_delay_alu instid0(VALU_DEP_1)
	v_add_nc_u32_e32 v4, v3, v4
; %bb.1993:
	s_or_b32 exec_lo, exec_lo, s3
	s_mov_b32 s0, 0
	global_store_b8 v[0:1], v4, off
.LBB425_1994:
	s_mov_b32 s3, 0
.LBB425_1995:
	s_delay_alu instid0(SALU_CYCLE_1)
	s_and_b32 vcc_lo, exec_lo, s3
	s_cbranch_vccz .LBB425_1998
; %bb.1996:
	v_cmp_eq_u16_e32 vcc_lo, 29, v8
	s_mov_b32 s0, -1
	s_cbranch_vccz .LBB425_1998
; %bb.1997:
	s_mov_b32 s0, 0
	s_delay_alu instid0(SALU_CYCLE_1)
	v_dual_mov_b32 v4, s0 :: v_dual_and_b32 v3, 0xffff, v2
	global_store_b64 v[0:1], v[3:4], off
.LBB425_1998:
	s_mov_b32 s3, 0
.LBB425_1999:
	s_delay_alu instid0(SALU_CYCLE_1)
	s_and_b32 vcc_lo, exec_lo, s3
	s_cbranch_vccz .LBB425_2014
; %bb.2000:
	v_cmp_gt_i16_e32 vcc_lo, 27, v8
	s_mov_b32 s3, -1
	s_cbranch_vccnz .LBB425_2006
; %bb.2001:
	v_cmp_lt_i16_e32 vcc_lo, 27, v8
	s_cbranch_vccz .LBB425_2003
; %bb.2002:
	v_and_b32_e32 v3, 0xffff, v2
	s_mov_b32 s3, 0
	global_store_b32 v[0:1], v3, off
.LBB425_2003:
	s_and_not1_b32 vcc_lo, exec_lo, s3
	s_cbranch_vccnz .LBB425_2005
; %bb.2004:
	global_store_b16 v[0:1], v2, off
.LBB425_2005:
	s_mov_b32 s3, 0
.LBB425_2006:
	s_delay_alu instid0(SALU_CYCLE_1)
	s_and_not1_b32 vcc_lo, exec_lo, s3
	s_cbranch_vccnz .LBB425_2014
; %bb.2007:
	v_cvt_f32_ubyte0_e32 v4, v2
	v_mov_b32_e32 v5, 0x80
	s_mov_b32 s3, exec_lo
	s_delay_alu instid0(VALU_DEP_2)
	v_cmpx_gt_u32_e32 0x43800000, v4
	s_cbranch_execz .LBB425_2013
; %bb.2008:
	s_mov_b32 s4, 0
	s_mov_b32 s5, exec_lo
                                        ; implicit-def: $vgpr3
	v_cmpx_lt_u32_e32 0x3bffffff, v4
	s_xor_b32 s5, exec_lo, s5
	s_cbranch_execz .LBB425_2128
; %bb.2009:
	v_bfe_u32 v3, v4, 20, 1
	s_mov_b32 s4, exec_lo
	s_delay_alu instid0(VALU_DEP_1) | instskip(NEXT) | instid1(VALU_DEP_1)
	v_add3_u32 v3, v4, v3, 0x487ffff
                                        ; implicit-def: $vgpr4
	v_lshrrev_b32_e32 v3, 20, v3
	s_or_saveexec_b32 s5, s5
                                        ; implicit-def: $sgpr6
	s_delay_alu instid0(SALU_CYCLE_1)
	s_xor_b32 exec_lo, exec_lo, s5
	s_cbranch_execnz .LBB425_2129
.LBB425_2010:
	s_or_b32 exec_lo, exec_lo, s5
	v_mov_b32_e32 v5, s6
	s_and_saveexec_b32 s5, s4
.LBB425_2011:
	v_mov_b32_e32 v5, v3
.LBB425_2012:
	s_or_b32 exec_lo, exec_lo, s5
.LBB425_2013:
	s_delay_alu instid0(SALU_CYCLE_1)
	s_or_b32 exec_lo, exec_lo, s3
	global_store_b8 v[0:1], v5, off
.LBB425_2014:
	s_mov_b32 s3, 0
.LBB425_2015:
	s_delay_alu instid0(SALU_CYCLE_1)
	s_and_b32 vcc_lo, exec_lo, s3
	s_cbranch_vccz .LBB425_2055
; %bb.2016:
	v_cmp_lt_i16_e32 vcc_lo, 22, v8
	s_mov_b32 s2, -1
	s_cbranch_vccz .LBB425_2048
; %bb.2017:
	v_cmp_gt_i16_e32 vcc_lo, 24, v8
	s_cbranch_vccnz .LBB425_2037
; %bb.2018:
	v_cmp_lt_i16_e32 vcc_lo, 24, v8
	s_cbranch_vccz .LBB425_2026
; %bb.2019:
	v_cvt_f32_ubyte0_e32 v4, v2
	v_mov_b32_e32 v5, 0x80
	s_mov_b32 s2, exec_lo
	s_delay_alu instid0(VALU_DEP_2)
	v_cmpx_gt_u32_e32 0x47800000, v4
	s_cbranch_execz .LBB425_2025
; %bb.2020:
	s_mov_b32 s3, 0
	s_mov_b32 s4, exec_lo
                                        ; implicit-def: $vgpr3
	v_cmpx_lt_u32_e32 0x37ffffff, v4
	s_xor_b32 s4, exec_lo, s4
	s_cbranch_execz .LBB425_2134
; %bb.2021:
	v_bfe_u32 v3, v4, 21, 1
	s_mov_b32 s3, exec_lo
	s_delay_alu instid0(VALU_DEP_1) | instskip(NEXT) | instid1(VALU_DEP_1)
	v_add3_u32 v3, v4, v3, 0x88fffff
                                        ; implicit-def: $vgpr4
	v_lshrrev_b32_e32 v3, 21, v3
	s_or_saveexec_b32 s4, s4
                                        ; implicit-def: $sgpr5
	s_delay_alu instid0(SALU_CYCLE_1)
	s_xor_b32 exec_lo, exec_lo, s4
	s_cbranch_execnz .LBB425_2135
.LBB425_2022:
	s_or_b32 exec_lo, exec_lo, s4
	v_mov_b32_e32 v5, s5
	s_and_saveexec_b32 s4, s3
.LBB425_2023:
	v_mov_b32_e32 v5, v3
.LBB425_2024:
	s_or_b32 exec_lo, exec_lo, s4
.LBB425_2025:
	s_delay_alu instid0(SALU_CYCLE_1)
	s_or_b32 exec_lo, exec_lo, s2
	s_mov_b32 s2, 0
	global_store_b8 v[0:1], v5, off
.LBB425_2026:
	s_and_b32 vcc_lo, exec_lo, s2
	s_cbranch_vccz .LBB425_2036
; %bb.2027:
	v_cvt_f32_ubyte0_e32 v4, v2
	s_mov_b32 s2, exec_lo
                                        ; implicit-def: $vgpr3
	s_delay_alu instid0(VALU_DEP_1)
	v_cmpx_gt_u32_e32 0x43f00000, v4
	s_xor_b32 s2, exec_lo, s2
	s_cbranch_execz .LBB425_2033
; %bb.2028:
	s_mov_b32 s3, exec_lo
                                        ; implicit-def: $vgpr3
	v_cmpx_lt_u32_e32 0x3c7fffff, v4
	s_xor_b32 s3, exec_lo, s3
; %bb.2029:
	v_bfe_u32 v3, v4, 20, 1
	s_delay_alu instid0(VALU_DEP_1) | instskip(NEXT) | instid1(VALU_DEP_1)
	v_add3_u32 v3, v4, v3, 0x407ffff
	v_and_b32_e32 v4, 0xff00000, v3
	v_lshrrev_b32_e32 v3, 20, v3
	s_delay_alu instid0(VALU_DEP_2) | instskip(NEXT) | instid1(VALU_DEP_2)
	v_cmp_ne_u32_e32 vcc_lo, 0x7f00000, v4
                                        ; implicit-def: $vgpr4
	v_cndmask_b32_e32 v3, 0x7e, v3, vcc_lo
; %bb.2030:
	s_and_not1_saveexec_b32 s3, s3
; %bb.2031:
	v_add_f32_e32 v3, 0x46800000, v4
; %bb.2032:
	s_or_b32 exec_lo, exec_lo, s3
                                        ; implicit-def: $vgpr4
.LBB425_2033:
	s_and_not1_saveexec_b32 s2, s2
; %bb.2034:
	v_mov_b32_e32 v3, 0x7f
	v_cmp_lt_u32_e32 vcc_lo, 0x7f800000, v4
	s_delay_alu instid0(VALU_DEP_2)
	v_cndmask_b32_e32 v3, 0x7e, v3, vcc_lo
; %bb.2035:
	s_or_b32 exec_lo, exec_lo, s2
	global_store_b8 v[0:1], v3, off
.LBB425_2036:
	s_mov_b32 s2, 0
.LBB425_2037:
	s_delay_alu instid0(SALU_CYCLE_1)
	s_and_not1_b32 vcc_lo, exec_lo, s2
	s_cbranch_vccnz .LBB425_2047
; %bb.2038:
	v_cvt_f32_ubyte0_e32 v4, v2
	s_mov_b32 s2, exec_lo
                                        ; implicit-def: $vgpr3
	s_delay_alu instid0(VALU_DEP_1)
	v_cmpx_gt_u32_e32 0x47800000, v4
	s_xor_b32 s2, exec_lo, s2
	s_cbranch_execz .LBB425_2044
; %bb.2039:
	s_mov_b32 s3, exec_lo
                                        ; implicit-def: $vgpr3
	v_cmpx_lt_u32_e32 0x387fffff, v4
	s_xor_b32 s3, exec_lo, s3
; %bb.2040:
	v_bfe_u32 v3, v4, 21, 1
	s_delay_alu instid0(VALU_DEP_1) | instskip(NEXT) | instid1(VALU_DEP_1)
	v_add3_u32 v3, v4, v3, 0x80fffff
                                        ; implicit-def: $vgpr4
	v_lshrrev_b32_e32 v3, 21, v3
; %bb.2041:
	s_and_not1_saveexec_b32 s3, s3
; %bb.2042:
	v_add_f32_e32 v3, 0x43000000, v4
; %bb.2043:
	s_or_b32 exec_lo, exec_lo, s3
                                        ; implicit-def: $vgpr4
.LBB425_2044:
	s_and_not1_saveexec_b32 s2, s2
; %bb.2045:
	v_mov_b32_e32 v3, 0x7f
	v_cmp_lt_u32_e32 vcc_lo, 0x7f800000, v4
	s_delay_alu instid0(VALU_DEP_2)
	v_cndmask_b32_e32 v3, 0x7c, v3, vcc_lo
; %bb.2046:
	s_or_b32 exec_lo, exec_lo, s2
	global_store_b8 v[0:1], v3, off
.LBB425_2047:
	s_mov_b32 s2, 0
.LBB425_2048:
	s_delay_alu instid0(SALU_CYCLE_1)
	s_and_not1_b32 vcc_lo, exec_lo, s2
	s_mov_b32 s2, 0
	s_cbranch_vccnz .LBB425_2055
; %bb.2049:
	v_cmp_lt_i16_e32 vcc_lo, 14, v8
	s_mov_b32 s2, -1
	s_cbranch_vccz .LBB425_2053
; %bb.2050:
	v_cmp_eq_u16_e32 vcc_lo, 15, v8
	s_mov_b32 s0, -1
	s_cbranch_vccz .LBB425_2052
; %bb.2051:
	v_cvt_f32_ubyte0_e32 v3, v2
	s_mov_b32 s0, 0
	s_delay_alu instid0(VALU_DEP_1) | instskip(NEXT) | instid1(VALU_DEP_1)
	v_bfe_u32 v4, v3, 16, 1
	v_add3_u32 v3, v3, v4, 0x7fff
	global_store_d16_hi_b16 v[0:1], v3, off
.LBB425_2052:
	s_mov_b32 s2, 0
.LBB425_2053:
	s_delay_alu instid0(SALU_CYCLE_1)
	s_and_b32 vcc_lo, exec_lo, s2
	s_mov_b32 s2, 0
	s_cbranch_vccz .LBB425_2055
; %bb.2054:
	v_cmp_ne_u16_e64 s0, 11, v8
	s_mov_b32 s2, -1
.LBB425_2055:
	s_delay_alu instid0(VALU_DEP_1)
	s_and_b32 vcc_lo, exec_lo, s0
	s_cbranch_vccnz .LBB425_2132
.LBB425_2056:
	s_mov_b32 s0, 0
	s_branch .LBB425_2058
.LBB425_2057:
	s_mov_b32 s0, 0
	s_mov_b32 s2, 0
                                        ; implicit-def: $vgpr0_vgpr1
                                        ; implicit-def: $vgpr8
                                        ; implicit-def: $vgpr2
.LBB425_2058:
	s_and_b32 s3, s0, exec_lo
	s_and_not1_b32 s0, s8, exec_lo
	s_and_b32 s1, s1, exec_lo
	s_and_b32 s26, s2, exec_lo
	s_or_b32 s8, s0, s1
.LBB425_2059:
	s_or_b32 exec_lo, exec_lo, s9
	s_and_saveexec_b32 s0, s8
	s_cbranch_execz .LBB425_2062
; %bb.2060:
	; divergent unreachable
	s_or_b32 exec_lo, exec_lo, s0
	s_and_saveexec_b32 s0, s26
	s_delay_alu instid0(SALU_CYCLE_1)
	s_xor_b32 s0, exec_lo, s0
	s_cbranch_execnz .LBB425_2063
.LBB425_2061:
	s_or_b32 exec_lo, exec_lo, s0
	s_and_saveexec_b32 s0, s3
	s_cbranch_execnz .LBB425_2064
	s_branch .LBB425_2101
.LBB425_2062:
	s_or_b32 exec_lo, exec_lo, s0
	s_and_saveexec_b32 s0, s26
	s_delay_alu instid0(SALU_CYCLE_1)
	s_xor_b32 s0, exec_lo, s0
	s_cbranch_execz .LBB425_2061
.LBB425_2063:
	s_waitcnt vmcnt(0)
	v_and_b32_e32 v3, 0xff, v2
	s_delay_alu instid0(VALU_DEP_1)
	v_cmp_ne_u16_e32 vcc_lo, 0, v3
	v_cndmask_b32_e64 v3, 0, 1, vcc_lo
	global_store_b8 v[0:1], v3, off
	s_or_b32 exec_lo, exec_lo, s0
	s_and_saveexec_b32 s0, s3
	s_cbranch_execz .LBB425_2101
.LBB425_2064:
	s_waitcnt vmcnt(0)
	v_cmp_gt_i16_e32 vcc_lo, 5, v8
	s_mov_b32 s0, -1
	s_cbranch_vccnz .LBB425_2085
; %bb.2065:
	v_cmp_gt_i16_e32 vcc_lo, 8, v8
	s_cbranch_vccnz .LBB425_2075
; %bb.2066:
	v_cmp_gt_i16_e32 vcc_lo, 9, v8
	s_cbranch_vccnz .LBB425_2072
; %bb.2067:
	v_cmp_lt_i16_e32 vcc_lo, 9, v8
	s_cbranch_vccz .LBB425_2069
; %bb.2068:
	v_mov_b32_e32 v5, 0
	v_and_b32_e32 v3, 0xff, v2
	s_mov_b32 s0, 0
	s_delay_alu instid0(VALU_DEP_1) | instskip(NEXT) | instid1(VALU_DEP_1)
	v_dual_mov_b32 v6, v5 :: v_dual_and_b32 v3, 0xffff, v3
	v_cvt_f64_u32_e32 v[3:4], v3
	global_store_b128 v[0:1], v[3:6], off
.LBB425_2069:
	s_and_not1_b32 vcc_lo, exec_lo, s0
	s_cbranch_vccnz .LBB425_2071
; %bb.2070:
	v_cvt_f32_ubyte0_e32 v3, v2
	v_mov_b32_e32 v4, 0
	global_store_b64 v[0:1], v[3:4], off
.LBB425_2071:
	s_mov_b32 s0, 0
.LBB425_2072:
	s_delay_alu instid0(SALU_CYCLE_1)
	s_and_not1_b32 vcc_lo, exec_lo, s0
	s_cbranch_vccnz .LBB425_2074
; %bb.2073:
	v_and_b32_e32 v3, 0xff, v2
	s_delay_alu instid0(VALU_DEP_1) | instskip(NEXT) | instid1(VALU_DEP_1)
	v_cvt_f16_u16_e32 v3, v3
	v_and_b32_e32 v3, 0xffff, v3
	global_store_b32 v[0:1], v3, off
.LBB425_2074:
	s_mov_b32 s0, 0
.LBB425_2075:
	s_delay_alu instid0(SALU_CYCLE_1)
	s_and_not1_b32 vcc_lo, exec_lo, s0
	s_cbranch_vccnz .LBB425_2084
; %bb.2076:
	v_cmp_gt_i16_e32 vcc_lo, 6, v8
	s_mov_b32 s0, -1
	s_cbranch_vccnz .LBB425_2082
; %bb.2077:
	v_cmp_lt_i16_e32 vcc_lo, 6, v8
	s_cbranch_vccz .LBB425_2079
; %bb.2078:
	v_and_b32_e32 v3, 0xff, v2
	s_mov_b32 s0, 0
	s_delay_alu instid0(VALU_DEP_1) | instskip(NEXT) | instid1(VALU_DEP_1)
	v_and_b32_e32 v3, 0xffff, v3
	v_cvt_f64_u32_e32 v[3:4], v3
	global_store_b64 v[0:1], v[3:4], off
.LBB425_2079:
	s_and_not1_b32 vcc_lo, exec_lo, s0
	s_cbranch_vccnz .LBB425_2081
; %bb.2080:
	v_cvt_f32_ubyte0_e32 v3, v2
	global_store_b32 v[0:1], v3, off
.LBB425_2081:
	s_mov_b32 s0, 0
.LBB425_2082:
	s_delay_alu instid0(SALU_CYCLE_1)
	s_and_not1_b32 vcc_lo, exec_lo, s0
	s_cbranch_vccnz .LBB425_2084
; %bb.2083:
	v_and_b32_e32 v3, 0xff, v2
	s_delay_alu instid0(VALU_DEP_1)
	v_cvt_f16_u16_e32 v3, v3
	global_store_b16 v[0:1], v3, off
.LBB425_2084:
	s_mov_b32 s0, 0
.LBB425_2085:
	s_delay_alu instid0(SALU_CYCLE_1)
	s_and_not1_b32 vcc_lo, exec_lo, s0
	s_cbranch_vccnz .LBB425_2101
; %bb.2086:
	v_cmp_gt_i16_e32 vcc_lo, 2, v8
	s_mov_b32 s0, -1
	s_cbranch_vccnz .LBB425_2096
; %bb.2087:
	v_cmp_gt_i16_e32 vcc_lo, 3, v8
	s_cbranch_vccnz .LBB425_2093
; %bb.2088:
	v_cmp_lt_i16_e32 vcc_lo, 3, v8
	s_cbranch_vccz .LBB425_2090
; %bb.2089:
	v_dual_mov_b32 v4, 0 :: v_dual_and_b32 v3, 0xff, v2
	s_mov_b32 s0, 0
	global_store_b64 v[0:1], v[3:4], off
.LBB425_2090:
	s_and_not1_b32 vcc_lo, exec_lo, s0
	s_cbranch_vccnz .LBB425_2092
; %bb.2091:
	v_and_b32_e32 v3, 0xff, v2
	global_store_b32 v[0:1], v3, off
.LBB425_2092:
	s_mov_b32 s0, 0
.LBB425_2093:
	s_delay_alu instid0(SALU_CYCLE_1)
	s_and_not1_b32 vcc_lo, exec_lo, s0
	s_cbranch_vccnz .LBB425_2095
; %bb.2094:
	v_and_b32_e32 v3, 0xff, v2
	global_store_b16 v[0:1], v3, off
.LBB425_2095:
	s_mov_b32 s0, 0
.LBB425_2096:
	s_delay_alu instid0(SALU_CYCLE_1)
	s_and_not1_b32 vcc_lo, exec_lo, s0
	s_cbranch_vccnz .LBB425_2101
; %bb.2097:
	v_cmp_lt_i16_e32 vcc_lo, 0, v8
	s_mov_b32 s0, -1
	s_cbranch_vccz .LBB425_2099
; %bb.2098:
	s_mov_b32 s0, 0
	global_store_b8 v[0:1], v2, off
.LBB425_2099:
	s_and_not1_b32 vcc_lo, exec_lo, s0
	s_cbranch_vccnz .LBB425_2101
; %bb.2100:
	global_store_b8 v[0:1], v2, off
	s_nop 0
	s_sendmsg sendmsg(MSG_DEALLOC_VGPRS)
	s_endpgm
.LBB425_2101:
	s_nop 0
	s_sendmsg sendmsg(MSG_DEALLOC_VGPRS)
	s_endpgm
.LBB425_2102:
	s_cbranch_execnz .LBB425_2106
; %bb.2103:
	s_or_b32 s1, s1, exec_lo
                                        ; implicit-def: $vgpr7
	s_cbranch_execz .LBB425_1575
	s_branch .LBB425_1576
.LBB425_2104:
	s_or_saveexec_b32 s7, s7
                                        ; implicit-def: $sgpr10
	s_delay_alu instid0(SALU_CYCLE_1)
	s_xor_b32 exec_lo, exec_lo, s7
	s_cbranch_execz .LBB425_1655
.LBB425_2105:
	v_add_f32_e32 v11, 0x46000000, v12
	s_and_not1_b32 s6, s6, exec_lo
	s_mov_b32 s10, 0
	s_delay_alu instid0(VALU_DEP_1) | instskip(NEXT) | instid1(VALU_DEP_1)
	v_and_b32_e32 v11, 0xff, v11
	v_cmp_ne_u32_e32 vcc_lo, 0, v11
	s_and_b32 s11, vcc_lo, exec_lo
	s_delay_alu instid0(SALU_CYCLE_1)
	s_or_b32 s6, s6, s11
	s_or_b32 exec_lo, exec_lo, s7
	v_mov_b32_e32 v13, s10
	s_and_saveexec_b32 s7, s6
	s_cbranch_execnz .LBB425_1656
	s_branch .LBB425_1657
.LBB425_2106:
	s_trap 2
	s_sendmsg_rtn_b32 s0, sendmsg(MSG_RTN_GET_DOORBELL)
	s_mov_b32 ttmp2, m0
	s_waitcnt lgkmcnt(0)
	s_and_b32 s0, s0, 0x3ff
	s_delay_alu instid0(SALU_CYCLE_1) | instskip(NEXT) | instid1(SALU_CYCLE_1)
	s_bitset1_b32 s0, 10
	s_mov_b32 m0, s0
	s_sendmsg sendmsg(MSG_INTERRUPT)
	s_mov_b32 m0, ttmp2
.LBB425_2107:                           ; =>This Inner Loop Header: Depth=1
	s_sethalt 5
	s_branch .LBB425_2107
.LBB425_2108:
	s_cbranch_execnz .LBB425_2114
; %bb.2109:
	s_or_b32 s1, s1, exec_lo
	s_cbranch_execz .LBB425_1703
	s_branch .LBB425_1704
.LBB425_2110:
	s_or_saveexec_b32 s6, s6
                                        ; implicit-def: $sgpr7
	s_delay_alu instid0(SALU_CYCLE_1)
	s_xor_b32 exec_lo, exec_lo, s6
	s_cbranch_execz .LBB425_1668
.LBB425_2111:
	v_add_f32_e32 v11, 0x42800000, v12
	s_and_not1_b32 s3, s3, exec_lo
	s_mov_b32 s7, 0
	s_delay_alu instid0(VALU_DEP_1) | instskip(NEXT) | instid1(VALU_DEP_1)
	v_and_b32_e32 v11, 0xff, v11
	v_cmp_ne_u32_e32 vcc_lo, 0, v11
	s_and_b32 s10, vcc_lo, exec_lo
	s_delay_alu instid0(SALU_CYCLE_1)
	s_or_b32 s3, s3, s10
	s_or_b32 exec_lo, exec_lo, s6
	v_mov_b32_e32 v13, s7
	s_and_saveexec_b32 s6, s3
	s_cbranch_execnz .LBB425_1669
	s_branch .LBB425_1670
.LBB425_2112:
	s_or_saveexec_b32 s7, s7
                                        ; implicit-def: $sgpr10
	s_delay_alu instid0(SALU_CYCLE_1)
	s_xor_b32 exec_lo, exec_lo, s7
	s_cbranch_execz .LBB425_1773
.LBB425_2113:
	v_add_f32_e32 v4, 0x46000000, v5
	s_and_not1_b32 s6, s6, exec_lo
	s_mov_b32 s10, 0
	s_delay_alu instid0(VALU_DEP_1) | instskip(NEXT) | instid1(VALU_DEP_1)
	v_and_b32_e32 v4, 0xff, v4
	v_cmp_ne_u32_e32 vcc_lo, 0, v4
	s_and_b32 s11, vcc_lo, exec_lo
	s_delay_alu instid0(SALU_CYCLE_1)
	s_or_b32 s6, s6, s11
	s_or_b32 exec_lo, exec_lo, s7
	v_mov_b32_e32 v11, s10
	s_and_saveexec_b32 s7, s6
	s_cbranch_execnz .LBB425_1774
	s_branch .LBB425_1775
.LBB425_2114:
	s_trap 2
	s_sendmsg_rtn_b32 s0, sendmsg(MSG_RTN_GET_DOORBELL)
	s_mov_b32 ttmp2, m0
	s_waitcnt lgkmcnt(0)
	s_and_b32 s0, s0, 0x3ff
	s_delay_alu instid0(SALU_CYCLE_1) | instskip(NEXT) | instid1(SALU_CYCLE_1)
	s_bitset1_b32 s0, 10
	s_mov_b32 m0, s0
	s_sendmsg sendmsg(MSG_INTERRUPT)
	s_mov_b32 m0, ttmp2
.LBB425_2115:                           ; =>This Inner Loop Header: Depth=1
	s_sethalt 5
	s_branch .LBB425_2115
.LBB425_2116:
	s_cbranch_execnz .LBB425_2122
; %bb.2117:
	s_or_b32 s1, s1, exec_lo
	s_cbranch_execz .LBB425_1821
	s_branch .LBB425_1822
.LBB425_2118:
	s_or_saveexec_b32 s6, s6
                                        ; implicit-def: $sgpr7
	s_delay_alu instid0(SALU_CYCLE_1)
	s_xor_b32 exec_lo, exec_lo, s6
	s_cbranch_execz .LBB425_1786
.LBB425_2119:
	v_add_f32_e32 v4, 0x42800000, v5
	s_and_not1_b32 s3, s3, exec_lo
	s_mov_b32 s7, 0
	s_delay_alu instid0(VALU_DEP_1) | instskip(NEXT) | instid1(VALU_DEP_1)
	v_and_b32_e32 v4, 0xff, v4
	v_cmp_ne_u32_e32 vcc_lo, 0, v4
	s_and_b32 s10, vcc_lo, exec_lo
	s_delay_alu instid0(SALU_CYCLE_1)
	s_or_b32 s3, s3, s10
	s_or_b32 exec_lo, exec_lo, s6
	v_mov_b32_e32 v11, s7
	s_and_saveexec_b32 s6, s3
	s_cbranch_execnz .LBB425_1787
	s_branch .LBB425_1788
.LBB425_2120:
	s_or_saveexec_b32 s7, s7
                                        ; implicit-def: $sgpr10
	s_delay_alu instid0(SALU_CYCLE_1)
	s_xor_b32 exec_lo, exec_lo, s7
	s_cbranch_execz .LBB425_1891
.LBB425_2121:
	v_add_f32_e32 v3, 0x46000000, v4
	s_and_not1_b32 s6, s6, exec_lo
	s_mov_b32 s10, 0
	s_delay_alu instid0(VALU_DEP_1) | instskip(NEXT) | instid1(VALU_DEP_1)
	v_and_b32_e32 v3, 0xff, v3
	v_cmp_ne_u32_e32 vcc_lo, 0, v3
	s_and_b32 s11, vcc_lo, exec_lo
	s_delay_alu instid0(SALU_CYCLE_1)
	s_or_b32 s6, s6, s11
	s_or_b32 exec_lo, exec_lo, s7
	v_mov_b32_e32 v6, s10
	s_and_saveexec_b32 s7, s6
	s_cbranch_execnz .LBB425_1892
	s_branch .LBB425_1893
.LBB425_2122:
	s_trap 2
	s_sendmsg_rtn_b32 s0, sendmsg(MSG_RTN_GET_DOORBELL)
	s_mov_b32 ttmp2, m0
	s_waitcnt lgkmcnt(0)
	s_and_b32 s0, s0, 0x3ff
	s_delay_alu instid0(SALU_CYCLE_1) | instskip(NEXT) | instid1(SALU_CYCLE_1)
	s_bitset1_b32 s0, 10
	s_mov_b32 m0, s0
	s_sendmsg sendmsg(MSG_INTERRUPT)
	s_mov_b32 m0, ttmp2
.LBB425_2123:                           ; =>This Inner Loop Header: Depth=1
	s_sethalt 5
	s_branch .LBB425_2123
.LBB425_2124:
	s_cbranch_execnz .LBB425_2130
; %bb.2125:
	s_or_b32 s1, s1, exec_lo
	s_cbranch_execz .LBB425_1939
	s_branch .LBB425_1940
.LBB425_2126:
	s_or_saveexec_b32 s6, s6
                                        ; implicit-def: $sgpr7
	s_delay_alu instid0(SALU_CYCLE_1)
	s_xor_b32 exec_lo, exec_lo, s6
	s_cbranch_execz .LBB425_1904
.LBB425_2127:
	v_add_f32_e32 v3, 0x42800000, v4
	s_and_not1_b32 s3, s3, exec_lo
	s_mov_b32 s7, 0
	s_delay_alu instid0(VALU_DEP_1) | instskip(NEXT) | instid1(VALU_DEP_1)
	v_and_b32_e32 v3, 0xff, v3
	v_cmp_ne_u32_e32 vcc_lo, 0, v3
	s_and_b32 s10, vcc_lo, exec_lo
	s_delay_alu instid0(SALU_CYCLE_1)
	s_or_b32 s3, s3, s10
	s_or_b32 exec_lo, exec_lo, s6
	v_mov_b32_e32 v6, s7
	s_and_saveexec_b32 s6, s3
	s_cbranch_execnz .LBB425_1905
	s_branch .LBB425_1906
.LBB425_2128:
	s_or_saveexec_b32 s5, s5
                                        ; implicit-def: $sgpr6
	s_delay_alu instid0(SALU_CYCLE_1)
	s_xor_b32 exec_lo, exec_lo, s5
	s_cbranch_execz .LBB425_2010
.LBB425_2129:
	v_add_f32_e32 v3, 0x46000000, v4
	s_and_not1_b32 s4, s4, exec_lo
	s_mov_b32 s6, 0
	s_delay_alu instid0(VALU_DEP_1) | instskip(NEXT) | instid1(VALU_DEP_1)
	v_and_b32_e32 v3, 0xff, v3
	v_cmp_ne_u32_e32 vcc_lo, 0, v3
	s_and_b32 s7, vcc_lo, exec_lo
	s_delay_alu instid0(SALU_CYCLE_1)
	s_or_b32 s4, s4, s7
	s_or_b32 exec_lo, exec_lo, s5
	v_mov_b32_e32 v5, s6
	s_and_saveexec_b32 s5, s4
	s_cbranch_execnz .LBB425_2011
	s_branch .LBB425_2012
.LBB425_2130:
	s_trap 2
	s_sendmsg_rtn_b32 s0, sendmsg(MSG_RTN_GET_DOORBELL)
	s_mov_b32 ttmp2, m0
	s_waitcnt lgkmcnt(0)
	s_and_b32 s0, s0, 0x3ff
	s_delay_alu instid0(SALU_CYCLE_1) | instskip(NEXT) | instid1(SALU_CYCLE_1)
	s_bitset1_b32 s0, 10
	s_mov_b32 m0, s0
	s_sendmsg sendmsg(MSG_INTERRUPT)
	s_mov_b32 m0, ttmp2
.LBB425_2131:                           ; =>This Inner Loop Header: Depth=1
	s_sethalt 5
	s_branch .LBB425_2131
.LBB425_2132:
	s_cbranch_execnz .LBB425_2136
; %bb.2133:
	s_mov_b32 s2, 0
	s_or_b32 s1, s1, exec_lo
	s_branch .LBB425_2056
.LBB425_2134:
	s_or_saveexec_b32 s4, s4
                                        ; implicit-def: $sgpr5
	s_delay_alu instid0(SALU_CYCLE_1)
	s_xor_b32 exec_lo, exec_lo, s4
	s_cbranch_execz .LBB425_2022
.LBB425_2135:
	v_add_f32_e32 v3, 0x42800000, v4
	s_and_not1_b32 s3, s3, exec_lo
	s_mov_b32 s5, 0
	s_delay_alu instid0(VALU_DEP_1) | instskip(NEXT) | instid1(VALU_DEP_1)
	v_and_b32_e32 v3, 0xff, v3
	v_cmp_ne_u32_e32 vcc_lo, 0, v3
	s_and_b32 s6, vcc_lo, exec_lo
	s_delay_alu instid0(SALU_CYCLE_1)
	s_or_b32 s3, s3, s6
	s_or_b32 exec_lo, exec_lo, s4
	v_mov_b32_e32 v5, s5
	s_and_saveexec_b32 s4, s3
	s_cbranch_execnz .LBB425_2023
	s_branch .LBB425_2024
.LBB425_2136:
	s_trap 2
	s_sendmsg_rtn_b32 s0, sendmsg(MSG_RTN_GET_DOORBELL)
	s_mov_b32 ttmp2, m0
	s_waitcnt lgkmcnt(0)
	s_and_b32 s0, s0, 0x3ff
	s_delay_alu instid0(SALU_CYCLE_1) | instskip(NEXT) | instid1(SALU_CYCLE_1)
	s_bitset1_b32 s0, 10
	s_mov_b32 m0, s0
	s_sendmsg sendmsg(MSG_INTERRUPT)
	s_mov_b32 m0, ttmp2
.LBB425_2137:                           ; =>This Inner Loop Header: Depth=1
	s_sethalt 5
	s_branch .LBB425_2137
	.section	.rodata,"a",@progbits
	.p2align	6, 0x0
	.amdhsa_kernel _ZN2at6native32elementwise_kernel_manual_unrollILi128ELi4EZNS0_15gpu_kernel_implIZZZNS0_21clamp_max_kernel_cudaERNS_18TensorIteratorBaseERKN3c106ScalarEENKUlvE_clEvENKUlvE_clEvEUlhE_EEvS4_RKT_EUlibE0_EEviT1_
		.amdhsa_group_segment_fixed_size 0
		.amdhsa_private_segment_fixed_size 0
		.amdhsa_kernarg_size 360
		.amdhsa_user_sgpr_count 15
		.amdhsa_user_sgpr_dispatch_ptr 0
		.amdhsa_user_sgpr_queue_ptr 0
		.amdhsa_user_sgpr_kernarg_segment_ptr 1
		.amdhsa_user_sgpr_dispatch_id 0
		.amdhsa_user_sgpr_private_segment_size 0
		.amdhsa_wavefront_size32 1
		.amdhsa_uses_dynamic_stack 0
		.amdhsa_enable_private_segment 0
		.amdhsa_system_sgpr_workgroup_id_x 1
		.amdhsa_system_sgpr_workgroup_id_y 0
		.amdhsa_system_sgpr_workgroup_id_z 0
		.amdhsa_system_sgpr_workgroup_info 0
		.amdhsa_system_vgpr_workitem_id 0
		.amdhsa_next_free_vgpr 18
		.amdhsa_next_free_sgpr 68
		.amdhsa_reserve_vcc 1
		.amdhsa_float_round_mode_32 0
		.amdhsa_float_round_mode_16_64 0
		.amdhsa_float_denorm_mode_32 3
		.amdhsa_float_denorm_mode_16_64 3
		.amdhsa_dx10_clamp 1
		.amdhsa_ieee_mode 1
		.amdhsa_fp16_overflow 0
		.amdhsa_workgroup_processor_mode 1
		.amdhsa_memory_ordered 1
		.amdhsa_forward_progress 0
		.amdhsa_shared_vgpr_count 0
		.amdhsa_exception_fp_ieee_invalid_op 0
		.amdhsa_exception_fp_denorm_src 0
		.amdhsa_exception_fp_ieee_div_zero 0
		.amdhsa_exception_fp_ieee_overflow 0
		.amdhsa_exception_fp_ieee_underflow 0
		.amdhsa_exception_fp_ieee_inexact 0
		.amdhsa_exception_int_div_zero 0
	.end_amdhsa_kernel
	.section	.text._ZN2at6native32elementwise_kernel_manual_unrollILi128ELi4EZNS0_15gpu_kernel_implIZZZNS0_21clamp_max_kernel_cudaERNS_18TensorIteratorBaseERKN3c106ScalarEENKUlvE_clEvENKUlvE_clEvEUlhE_EEvS4_RKT_EUlibE0_EEviT1_,"axG",@progbits,_ZN2at6native32elementwise_kernel_manual_unrollILi128ELi4EZNS0_15gpu_kernel_implIZZZNS0_21clamp_max_kernel_cudaERNS_18TensorIteratorBaseERKN3c106ScalarEENKUlvE_clEvENKUlvE_clEvEUlhE_EEvS4_RKT_EUlibE0_EEviT1_,comdat
.Lfunc_end425:
	.size	_ZN2at6native32elementwise_kernel_manual_unrollILi128ELi4EZNS0_15gpu_kernel_implIZZZNS0_21clamp_max_kernel_cudaERNS_18TensorIteratorBaseERKN3c106ScalarEENKUlvE_clEvENKUlvE_clEvEUlhE_EEvS4_RKT_EUlibE0_EEviT1_, .Lfunc_end425-_ZN2at6native32elementwise_kernel_manual_unrollILi128ELi4EZNS0_15gpu_kernel_implIZZZNS0_21clamp_max_kernel_cudaERNS_18TensorIteratorBaseERKN3c106ScalarEENKUlvE_clEvENKUlvE_clEvEUlhE_EEvS4_RKT_EUlibE0_EEviT1_
                                        ; -- End function
	.section	.AMDGPU.csdata,"",@progbits
; Kernel info:
; codeLenInByte = 42792
; NumSgprs: 70
; NumVgprs: 18
; ScratchSize: 0
; MemoryBound: 1
; FloatMode: 240
; IeeeMode: 1
; LDSByteSize: 0 bytes/workgroup (compile time only)
; SGPRBlocks: 8
; VGPRBlocks: 2
; NumSGPRsForWavesPerEU: 70
; NumVGPRsForWavesPerEU: 18
; Occupancy: 16
; WaveLimiterHint : 1
; COMPUTE_PGM_RSRC2:SCRATCH_EN: 0
; COMPUTE_PGM_RSRC2:USER_SGPR: 15
; COMPUTE_PGM_RSRC2:TRAP_HANDLER: 0
; COMPUTE_PGM_RSRC2:TGID_X_EN: 1
; COMPUTE_PGM_RSRC2:TGID_Y_EN: 0
; COMPUTE_PGM_RSRC2:TGID_Z_EN: 0
; COMPUTE_PGM_RSRC2:TIDIG_COMP_CNT: 0
	.section	.text._ZN2at6native29vectorized_elementwise_kernelILi16EZZZNS0_21clamp_max_kernel_cudaERNS_18TensorIteratorBaseERKN3c106ScalarEENKUlvE_clEvENKUlvE0_clEvEUlaE_St5arrayIPcLm2EEEEviT0_T1_,"axG",@progbits,_ZN2at6native29vectorized_elementwise_kernelILi16EZZZNS0_21clamp_max_kernel_cudaERNS_18TensorIteratorBaseERKN3c106ScalarEENKUlvE_clEvENKUlvE0_clEvEUlaE_St5arrayIPcLm2EEEEviT0_T1_,comdat
	.globl	_ZN2at6native29vectorized_elementwise_kernelILi16EZZZNS0_21clamp_max_kernel_cudaERNS_18TensorIteratorBaseERKN3c106ScalarEENKUlvE_clEvENKUlvE0_clEvEUlaE_St5arrayIPcLm2EEEEviT0_T1_ ; -- Begin function _ZN2at6native29vectorized_elementwise_kernelILi16EZZZNS0_21clamp_max_kernel_cudaERNS_18TensorIteratorBaseERKN3c106ScalarEENKUlvE_clEvENKUlvE0_clEvEUlaE_St5arrayIPcLm2EEEEviT0_T1_
	.p2align	8
	.type	_ZN2at6native29vectorized_elementwise_kernelILi16EZZZNS0_21clamp_max_kernel_cudaERNS_18TensorIteratorBaseERKN3c106ScalarEENKUlvE_clEvENKUlvE0_clEvEUlaE_St5arrayIPcLm2EEEEviT0_T1_,@function
_ZN2at6native29vectorized_elementwise_kernelILi16EZZZNS0_21clamp_max_kernel_cudaERNS_18TensorIteratorBaseERKN3c106ScalarEENKUlvE_clEvENKUlvE0_clEvEUlaE_St5arrayIPcLm2EEEEviT0_T1_: ; @_ZN2at6native29vectorized_elementwise_kernelILi16EZZZNS0_21clamp_max_kernel_cudaERNS_18TensorIteratorBaseERKN3c106ScalarEENKUlvE_clEvENKUlvE0_clEvEUlaE_St5arrayIPcLm2EEEEviT0_T1_
; %bb.0:
	s_clause 0x1
	s_load_b64 s[2:3], s[0:1], 0x0
	s_load_b128 s[4:7], s[0:1], 0x8
	s_lshl_b32 s1, s15, 12
	s_mov_b32 s0, -1
	s_waitcnt lgkmcnt(0)
	s_sub_i32 s2, s2, s1
	s_delay_alu instid0(SALU_CYCLE_1)
	s_cmpk_gt_i32 s2, 0xfff
	s_cbranch_scc0 .LBB426_2
; %bb.1:
	v_lshlrev_b32_e32 v5, 4, v0
	s_ashr_i32 s0, s1, 31
	s_add_u32 s8, s6, s1
	s_addc_u32 s9, s7, s0
	global_load_b128 v[1:4], v5, s[8:9]
	s_bfe_i32 s8, s3, 0x80000
	s_waitcnt vmcnt(0)
	v_bfe_i32 v6, v1, 0, 8
	v_lshrrev_b32_e32 v7, 8, v1
	v_lshrrev_b32_e32 v8, 16, v1
	v_lshrrev_b32_e32 v1, 24, v1
	v_bfe_i32 v9, v2, 0, 8
	v_lshrrev_b32_e32 v10, 8, v2
	v_lshrrev_b32_e32 v11, 16, v2
	v_lshrrev_b32_e32 v2, 24, v2
	;; [unrolled: 4-line block ×4, first 2 shown]
	v_bfe_i32 v7, v7, 0, 8
	v_bfe_i32 v8, v8, 0, 8
	;; [unrolled: 1-line block ×12, first 2 shown]
	v_min_i16 v6, v6, s8
	v_min_i16 v9, v9, s8
	;; [unrolled: 1-line block ×16, first 2 shown]
	v_and_b32_e32 v15, 0xff, v15
	v_and_b32_e32 v12, 0xff, v12
	v_and_b32_e32 v9, 0xff, v9
	v_and_b32_e32 v6, 0xff, v6
	v_lshlrev_b16 v16, 8, v16
	v_lshlrev_b16 v4, 8, v4
	v_and_b32_e32 v17, 0xff, v17
	v_lshlrev_b16 v13, 8, v13
	v_lshlrev_b16 v3, 8, v3
	v_and_b32_e32 v14, 0xff, v14
	v_lshlrev_b16 v10, 8, v10
	v_lshlrev_b16 v2, 8, v2
	v_and_b32_e32 v11, 0xff, v11
	v_lshlrev_b16 v7, 8, v7
	v_lshlrev_b16 v1, 8, v1
	v_and_b32_e32 v8, 0xff, v8
	v_or_b32_e32 v15, v15, v16
	v_or_b32_e32 v4, v17, v4
	;; [unrolled: 1-line block ×8, first 2 shown]
	v_and_b32_e32 v7, 0xffff, v15
	v_lshlrev_b32_e32 v4, 16, v4
	v_and_b32_e32 v8, 0xffff, v12
	v_lshlrev_b32_e32 v3, 16, v3
	;; [unrolled: 2-line block ×4, first 2 shown]
	v_or_b32_e32 v4, v7, v4
	v_or_b32_e32 v3, v8, v3
	;; [unrolled: 1-line block ×3, first 2 shown]
	s_add_u32 s8, s4, s1
	v_or_b32_e32 v1, v6, v1
	s_addc_u32 s9, s5, s0
	s_mov_b32 s0, 0
	global_store_b128 v5, v[1:4], s[8:9]
.LBB426_2:
	s_and_not1_b32 vcc_lo, exec_lo, s0
	s_cbranch_vccnz .LBB426_52
; %bb.3:
	v_cmp_gt_i32_e32 vcc_lo, s2, v0
	v_dual_mov_b32 v4, 0 :: v_dual_mov_b32 v5, 0
	v_or_b32_e32 v1, s1, v0
	v_or_b32_e32 v2, 0x100, v0
	v_mov_b32_e32 v7, v0
	s_and_saveexec_b32 s0, vcc_lo
	s_cbranch_execz .LBB426_5
; %bb.4:
	global_load_u8 v5, v1, s[6:7]
	v_or_b32_e32 v7, 0x100, v0
.LBB426_5:
	s_or_b32 exec_lo, exec_lo, s0
	s_delay_alu instid0(SALU_CYCLE_1) | instskip(NEXT) | instid1(VALU_DEP_1)
	s_mov_b32 s8, exec_lo
	v_cmpx_gt_i32_e64 s2, v7
	s_cbranch_execz .LBB426_7
; %bb.6:
	v_add_nc_u32_e32 v3, s1, v7
	v_add_nc_u32_e32 v7, 0x100, v7
	global_load_u8 v4, v3, s[6:7]
.LBB426_7:
	s_or_b32 exec_lo, exec_lo, s8
	v_dual_mov_b32 v6, 0 :: v_dual_mov_b32 v9, 0
	s_mov_b32 s8, exec_lo
	v_cmpx_gt_i32_e64 s2, v7
	s_cbranch_execz .LBB426_9
; %bb.8:
	v_add_nc_u32_e32 v3, s1, v7
	v_add_nc_u32_e32 v7, 0x100, v7
	global_load_u8 v9, v3, s[6:7]
.LBB426_9:
	s_or_b32 exec_lo, exec_lo, s8
	s_delay_alu instid0(SALU_CYCLE_1)
	s_mov_b32 s8, exec_lo
	v_cmpx_gt_i32_e64 s2, v7
	s_cbranch_execz .LBB426_11
; %bb.10:
	v_add_nc_u32_e32 v3, s1, v7
	v_add_nc_u32_e32 v7, 0x100, v7
	global_load_u8 v6, v3, s[6:7]
.LBB426_11:
	s_or_b32 exec_lo, exec_lo, s8
	v_mov_b32_e32 v10, 0
	v_mov_b32_e32 v12, 0
	s_mov_b32 s8, exec_lo
	v_cmpx_gt_i32_e64 s2, v7
	s_cbranch_execz .LBB426_13
; %bb.12:
	v_add_nc_u32_e32 v3, s1, v7
	v_add_nc_u32_e32 v7, 0x100, v7
	global_load_u8 v12, v3, s[6:7]
.LBB426_13:
	s_or_b32 exec_lo, exec_lo, s8
	s_delay_alu instid0(SALU_CYCLE_1)
	s_mov_b32 s8, exec_lo
	v_cmpx_gt_i32_e64 s2, v7
	s_cbranch_execz .LBB426_15
; %bb.14:
	v_add_nc_u32_e32 v3, s1, v7
	v_add_nc_u32_e32 v7, 0x100, v7
	global_load_u8 v10, v3, s[6:7]
.LBB426_15:
	s_or_b32 exec_lo, exec_lo, s8
	v_mov_b32_e32 v3, 0
	v_mov_b32_e32 v13, 0
	s_mov_b32 s8, exec_lo
	v_cmpx_gt_i32_e64 s2, v7
	s_cbranch_execz .LBB426_17
; %bb.16:
	v_add_nc_u32_e32 v8, s1, v7
	v_add_nc_u32_e32 v7, 0x100, v7
	global_load_u8 v13, v8, s[6:7]
.LBB426_17:
	s_or_b32 exec_lo, exec_lo, s8
	s_delay_alu instid0(SALU_CYCLE_1)
	s_mov_b32 s8, exec_lo
	v_cmpx_gt_i32_e64 s2, v7
	s_cbranch_execz .LBB426_19
; %bb.18:
	v_add_nc_u32_e32 v3, s1, v7
	v_add_nc_u32_e32 v7, 0x100, v7
	global_load_u8 v3, v3, s[6:7]
.LBB426_19:
	s_or_b32 exec_lo, exec_lo, s8
	v_dual_mov_b32 v14, 0 :: v_dual_mov_b32 v15, 0
	s_mov_b32 s8, exec_lo
	v_cmpx_gt_i32_e64 s2, v7
	s_cbranch_execz .LBB426_21
; %bb.20:
	v_add_nc_u32_e32 v8, s1, v7
	v_add_nc_u32_e32 v7, 0x100, v7
	global_load_u8 v15, v8, s[6:7]
.LBB426_21:
	s_or_b32 exec_lo, exec_lo, s8
	s_delay_alu instid0(SALU_CYCLE_1)
	s_mov_b32 s8, exec_lo
	v_cmpx_gt_i32_e64 s2, v7
	s_cbranch_execz .LBB426_23
; %bb.22:
	v_add_nc_u32_e32 v8, s1, v7
	v_add_nc_u32_e32 v7, 0x100, v7
	global_load_u8 v14, v8, s[6:7]
.LBB426_23:
	s_or_b32 exec_lo, exec_lo, s8
	v_dual_mov_b32 v8, 0 :: v_dual_mov_b32 v11, 0
	s_mov_b32 s8, exec_lo
	v_cmpx_gt_i32_e64 s2, v7
	s_cbranch_execz .LBB426_25
; %bb.24:
	v_add_nc_u32_e32 v11, s1, v7
	v_add_nc_u32_e32 v7, 0x100, v7
	global_load_u8 v11, v11, s[6:7]
.LBB426_25:
	s_or_b32 exec_lo, exec_lo, s8
	s_delay_alu instid0(SALU_CYCLE_1)
	s_mov_b32 s8, exec_lo
	v_cmpx_gt_i32_e64 s2, v7
	s_cbranch_execz .LBB426_27
; %bb.26:
	v_add_nc_u32_e32 v8, s1, v7
	v_add_nc_u32_e32 v7, 0x100, v7
	global_load_u8 v8, v8, s[6:7]
.LBB426_27:
	s_or_b32 exec_lo, exec_lo, s8
	v_mov_b32_e32 v17, 0
	v_mov_b32_e32 v19, 0
	s_mov_b32 s8, exec_lo
	v_cmpx_gt_i32_e64 s2, v7
	s_cbranch_execz .LBB426_29
; %bb.28:
	v_add_nc_u32_e32 v16, s1, v7
	v_add_nc_u32_e32 v7, 0x100, v7
	global_load_u8 v19, v16, s[6:7]
.LBB426_29:
	s_or_b32 exec_lo, exec_lo, s8
	s_delay_alu instid0(SALU_CYCLE_1)
	s_mov_b32 s8, exec_lo
	v_cmpx_gt_i32_e64 s2, v7
	s_cbranch_execz .LBB426_31
; %bb.30:
	v_add_nc_u32_e32 v16, s1, v7
	v_add_nc_u32_e32 v7, 0x100, v7
	global_load_u8 v17, v16, s[6:7]
.LBB426_31:
	s_or_b32 exec_lo, exec_lo, s8
	v_mov_b32_e32 v16, 0
	v_mov_b32_e32 v18, 0
	s_mov_b32 s8, exec_lo
	v_cmpx_gt_i32_e64 s2, v7
	s_cbranch_execz .LBB426_33
; %bb.32:
	v_add_nc_u32_e32 v18, s1, v7
	v_add_nc_u32_e32 v7, 0x100, v7
	global_load_u8 v18, v18, s[6:7]
.LBB426_33:
	s_or_b32 exec_lo, exec_lo, s8
	s_delay_alu instid0(SALU_CYCLE_1)
	s_mov_b32 s8, exec_lo
	v_cmpx_gt_i32_e64 s2, v7
	s_cbranch_execz .LBB426_35
; %bb.34:
	v_add_nc_u32_e32 v7, s1, v7
	global_load_u8 v16, v7, s[6:7]
.LBB426_35:
	s_or_b32 exec_lo, exec_lo, s8
	s_waitcnt vmcnt(0)
	v_bfe_i32 v5, v5, 0, 8
	v_bfe_i32 v4, v4, 0, 8
	s_bfe_i32 s3, s3, 0x80000
	v_bfe_i32 v12, v12, 0, 8
	v_or_b32_e32 v20, 0x400, v0
	v_min_i16 v5, v5, s3
	v_min_i16 v4, v4, s3
	v_bfe_i32 v9, v9, 0, 8
	v_min_i16 v12, v12, s3
	v_bfe_i32 v10, v10, 0, 8
	v_and_b32_e32 v5, 0xff, v5
	v_lshlrev_b16 v4, 8, v4
	v_cmp_gt_i32_e64 s0, s2, v20
	v_perm_b32 v12, v12, 0, 0x3020104
	v_min_i16 v9, v9, s3
	v_min_i16 v10, v10, s3
	v_or_b32_e32 v4, v5, v4
	v_and_b32_e32 v5, 0xffff, v5
	v_cndmask_b32_e64 v12, 0, v12, s0
	v_cmp_gt_i32_e64 s0, s2, v2
	v_and_b32_e32 v9, 0xff, v9
	v_and_b32_e32 v4, 0xffff, v4
	v_or_b32_e32 v7, 0x200, v0
	v_or_b32_e32 v20, 0x500, v0
	v_bfe_i32 v6, v6, 0, 8
	v_lshlrev_b32_e32 v9, 16, v9
	v_cndmask_b32_e64 v4, v5, v4, s0
	v_lshlrev_b16 v5, 8, v10
	v_and_b32_e32 v10, 0xff, v12
	v_cmp_gt_i32_e64 s0, s2, v7
	v_bfe_i32 v13, v13, 0, 8
	v_or_b32_e32 v9, v4, v9
	v_bfe_i32 v7, v14, 0, 8
	v_or_b32_e32 v5, v10, v5
	v_min_i16 v6, v6, s3
	v_or_b32_e32 v21, 0x600, v0
	v_cndmask_b32_e64 v4, v4, v9, s0
	v_bfe_i32 v9, v19, 0, 8
	v_and_b32_e32 v5, 0xffff, v5
	v_cmp_gt_i32_e64 s0, s2, v20
	v_min_i16 v13, v13, s3
	v_lshrrev_b32_e32 v14, 16, v4
	v_min_i16 v9, v9, s3
	v_and_or_b32 v5, 0xffff0000, v12, v5
	v_lshlrev_b16 v6, 8, v6
	v_bfe_i32 v10, v15, 0, 8
	v_and_b32_e32 v14, 0xff, v14
	v_perm_b32 v9, v9, 0, 0x3020104
	v_cndmask_b32_e64 v5, v12, v5, s0
	v_or_b32_e32 v12, 0xc00, v0
	v_min_i16 v10, v10, s3
	v_or_b32_e32 v6, v14, v6
	v_bfe_i32 v14, v17, 0, 8
	v_perm_b32 v13, v5, v13, 0x7000504
	v_cmp_gt_i32_e64 s0, s2, v12
	v_min_i16 v7, v7, s3
	v_and_b32_e32 v10, 0xff, v10
	v_min_i16 v12, v14, s3
	v_bfe_i32 v11, v11, 0, 8
	v_cndmask_b32_e64 v9, 0, v9, s0
	v_cmp_gt_i32_e64 s0, s2, v21
	v_lshlrev_b16 v7, 8, v7
	v_lshlrev_b16 v12, 8, v12
	v_min_i16 v11, v11, s3
	v_or_b32_e32 v15, 0xd00, v0
	v_cndmask_b32_e64 v5, v5, v13, s0
	v_and_b32_e32 v13, 0xff, v9
	v_or_b32_e32 v7, v10, v7
	v_and_b32_e32 v10, 0xffff, v10
	v_and_b32_e32 v11, 0xff, v11
	v_lshrrev_b32_e32 v14, 16, v5
	v_or_b32_e32 v12, v13, v12
	v_and_b32_e32 v7, 0xffff, v7
	v_bfe_i32 v17, v18, 0, 8
	v_bfe_i32 v3, v3, 0, 8
	v_and_b32_e32 v13, 0xff, v14
	v_or_b32_e32 v14, 0x900, v0
	v_and_b32_e32 v12, 0xffff, v12
	v_bfe_i32 v8, v8, 0, 8
	v_min_i16 v3, v3, s3
	v_lshlrev_b32_e32 v6, 16, v6
	v_cmp_gt_i32_e64 s0, s2, v14
	v_and_or_b32 v12, 0xffff0000, v9, v12
	v_or_b32_e32 v14, 0xe00, v0
	v_lshlrev_b16 v3, 8, v3
	v_min_i16 v8, v8, s3
	v_cndmask_b32_e64 v7, v10, v7, s0
	v_cmp_gt_i32_e64 s0, s2, v15
	v_lshlrev_b32_e32 v10, 16, v11
	v_min_i16 v11, v17, s3
	v_or_b32_e32 v3, v13, v3
	v_lshlrev_b16 v8, 8, v8
	v_cndmask_b32_e64 v9, v9, v12, s0
	v_or_b32_e32 v12, 0xa00, v0
	v_or_b32_e32 v10, v7, v10
	;; [unrolled: 1-line block ×3, first 2 shown]
	v_and_or_b32 v6, 0xffff, v4, v6
	v_perm_b32 v11, v9, v11, 0x7000504
	v_cmp_gt_i32_e64 s0, s2, v12
	v_lshlrev_b32_e32 v3, 16, v3
	s_delay_alu instid0(VALU_DEP_2) | instskip(SKIP_2) | instid1(VALU_DEP_4)
	v_cndmask_b32_e64 v7, v7, v10, s0
	v_cmp_gt_i32_e64 s0, s2, v14
	v_bfe_i32 v10, v16, 0, 8
	v_and_or_b32 v3, 0xffff, v5, v3
	s_delay_alu instid0(VALU_DEP_3) | instskip(SKIP_1) | instid1(VALU_DEP_4)
	v_cndmask_b32_e64 v9, v9, v11, s0
	v_lshrrev_b32_e32 v11, 16, v7
	v_min_i16 v10, v10, s3
	v_cmp_gt_i32_e64 s0, s2, v13
	s_delay_alu instid0(VALU_DEP_4) | instskip(NEXT) | instid1(VALU_DEP_4)
	v_lshrrev_b32_e32 v12, 16, v9
	v_and_b32_e32 v11, 0xff, v11
	s_delay_alu instid0(VALU_DEP_4) | instskip(NEXT) | instid1(VALU_DEP_4)
	v_lshlrev_b16 v10, 8, v10
	v_cndmask_b32_e64 v6, v4, v6, s0
	s_delay_alu instid0(VALU_DEP_4) | instskip(NEXT) | instid1(VALU_DEP_4)
	v_and_b32_e32 v12, 0xff, v12
	v_or_b32_e32 v8, v11, v8
	v_or_b32_e32 v11, 0xb00, v0
	s_delay_alu instid0(VALU_DEP_3) | instskip(NEXT) | instid1(VALU_DEP_3)
	v_or_b32_e32 v10, v12, v10
	v_lshlrev_b32_e32 v4, 16, v8
	v_or_b32_e32 v8, 0x700, v0
	v_or_b32_e32 v12, 0xf00, v0
	s_delay_alu instid0(VALU_DEP_4) | instskip(NEXT) | instid1(VALU_DEP_4)
	v_lshlrev_b32_e32 v10, 16, v10
	v_and_or_b32 v4, 0xffff, v7, v4
	s_delay_alu instid0(VALU_DEP_4) | instskip(NEXT) | instid1(VALU_DEP_3)
	v_cmp_gt_i32_e64 s0, s2, v8
	v_and_or_b32 v10, 0xffff, v9, v10
	s_delay_alu instid0(VALU_DEP_2) | instskip(SKIP_1) | instid1(VALU_DEP_1)
	v_cndmask_b32_e64 v5, v5, v3, s0
	v_cmp_gt_i32_e64 s0, s2, v11
	v_cndmask_b32_e64 v4, v7, v4, s0
	v_cmp_gt_i32_e64 s0, s2, v12
	s_delay_alu instid0(VALU_DEP_1)
	v_cndmask_b32_e64 v3, v9, v10, s0
	s_and_saveexec_b32 s0, vcc_lo
	s_cbranch_execnz .LBB426_53
; %bb.36:
	s_or_b32 exec_lo, exec_lo, s0
	s_delay_alu instid0(SALU_CYCLE_1)
	s_mov_b32 s0, exec_lo
	v_cmpx_gt_i32_e64 s2, v0
	s_cbranch_execnz .LBB426_54
.LBB426_37:
	s_or_b32 exec_lo, exec_lo, s0
	s_delay_alu instid0(SALU_CYCLE_1)
	s_mov_b32 s0, exec_lo
	v_cmpx_gt_i32_e64 s2, v0
	s_cbranch_execnz .LBB426_55
.LBB426_38:
	s_or_b32 exec_lo, exec_lo, s0
	s_delay_alu instid0(SALU_CYCLE_1)
	s_mov_b32 s0, exec_lo
	v_cmpx_gt_i32_e64 s2, v0
	s_cbranch_execnz .LBB426_56
.LBB426_39:
	s_or_b32 exec_lo, exec_lo, s0
	s_delay_alu instid0(SALU_CYCLE_1)
	s_mov_b32 s0, exec_lo
	v_cmpx_gt_i32_e64 s2, v0
	s_cbranch_execnz .LBB426_57
.LBB426_40:
	s_or_b32 exec_lo, exec_lo, s0
	s_delay_alu instid0(SALU_CYCLE_1)
	s_mov_b32 s0, exec_lo
	v_cmpx_gt_i32_e64 s2, v0
	s_cbranch_execnz .LBB426_58
.LBB426_41:
	s_or_b32 exec_lo, exec_lo, s0
	s_delay_alu instid0(SALU_CYCLE_1)
	s_mov_b32 s0, exec_lo
	v_cmpx_gt_i32_e64 s2, v0
	s_cbranch_execnz .LBB426_59
.LBB426_42:
	s_or_b32 exec_lo, exec_lo, s0
	s_delay_alu instid0(SALU_CYCLE_1)
	s_mov_b32 s0, exec_lo
	v_cmpx_gt_i32_e64 s2, v0
	s_cbranch_execnz .LBB426_60
.LBB426_43:
	s_or_b32 exec_lo, exec_lo, s0
	s_delay_alu instid0(SALU_CYCLE_1)
	s_mov_b32 s0, exec_lo
	v_cmpx_gt_i32_e64 s2, v0
	s_cbranch_execnz .LBB426_61
.LBB426_44:
	s_or_b32 exec_lo, exec_lo, s0
	s_delay_alu instid0(SALU_CYCLE_1)
	s_mov_b32 s0, exec_lo
	v_cmpx_gt_i32_e64 s2, v0
	s_cbranch_execnz .LBB426_62
.LBB426_45:
	s_or_b32 exec_lo, exec_lo, s0
	s_delay_alu instid0(SALU_CYCLE_1)
	s_mov_b32 s0, exec_lo
	v_cmpx_gt_i32_e64 s2, v0
	s_cbranch_execnz .LBB426_63
.LBB426_46:
	s_or_b32 exec_lo, exec_lo, s0
	s_delay_alu instid0(SALU_CYCLE_1)
	s_mov_b32 s0, exec_lo
	v_cmpx_gt_i32_e64 s2, v0
	s_cbranch_execnz .LBB426_64
.LBB426_47:
	s_or_b32 exec_lo, exec_lo, s0
	s_delay_alu instid0(SALU_CYCLE_1)
	s_mov_b32 s0, exec_lo
	v_cmpx_gt_i32_e64 s2, v0
	s_cbranch_execnz .LBB426_65
.LBB426_48:
	s_or_b32 exec_lo, exec_lo, s0
	s_delay_alu instid0(SALU_CYCLE_1)
	s_mov_b32 s0, exec_lo
	v_cmpx_gt_i32_e64 s2, v0
	s_cbranch_execnz .LBB426_66
.LBB426_49:
	s_or_b32 exec_lo, exec_lo, s0
	s_delay_alu instid0(SALU_CYCLE_1)
	s_mov_b32 s0, exec_lo
	v_cmpx_gt_i32_e64 s2, v0
	s_cbranch_execnz .LBB426_67
.LBB426_50:
	s_or_b32 exec_lo, exec_lo, s0
	s_delay_alu instid0(SALU_CYCLE_1)
	s_mov_b32 s0, exec_lo
	v_cmpx_gt_i32_e64 s2, v0
	s_cbranch_execz .LBB426_52
.LBB426_51:
	v_add_nc_u32_e32 v0, s1, v0
	v_lshrrev_b32_e32 v1, 24, v3
	global_store_b8 v0, v1, s[4:5]
.LBB426_52:
	s_nop 0
	s_sendmsg sendmsg(MSG_DEALLOC_VGPRS)
	s_endpgm
.LBB426_53:
	v_mov_b32_e32 v0, v2
	global_store_b8 v1, v6, s[4:5]
	s_or_b32 exec_lo, exec_lo, s0
	s_delay_alu instid0(SALU_CYCLE_1)
	s_mov_b32 s0, exec_lo
	v_cmpx_gt_i32_e64 s2, v0
	s_cbranch_execz .LBB426_37
.LBB426_54:
	v_add_nc_u32_e32 v1, s1, v0
	v_lshrrev_b32_e32 v2, 8, v6
	v_add_nc_u32_e32 v0, 0x100, v0
	global_store_b8 v1, v2, s[4:5]
	s_or_b32 exec_lo, exec_lo, s0
	s_delay_alu instid0(SALU_CYCLE_1)
	s_mov_b32 s0, exec_lo
	v_cmpx_gt_i32_e64 s2, v0
	s_cbranch_execz .LBB426_38
.LBB426_55:
	v_add_nc_u32_e32 v1, s1, v0
	v_add_nc_u32_e32 v0, 0x100, v0
	global_store_d16_hi_b8 v1, v6, s[4:5]
	s_or_b32 exec_lo, exec_lo, s0
	s_delay_alu instid0(SALU_CYCLE_1)
	s_mov_b32 s0, exec_lo
	v_cmpx_gt_i32_e64 s2, v0
	s_cbranch_execz .LBB426_39
.LBB426_56:
	v_add_nc_u32_e32 v1, s1, v0
	v_lshrrev_b32_e32 v2, 24, v6
	v_add_nc_u32_e32 v0, 0x100, v0
	global_store_b8 v1, v2, s[4:5]
	s_or_b32 exec_lo, exec_lo, s0
	s_delay_alu instid0(SALU_CYCLE_1)
	s_mov_b32 s0, exec_lo
	v_cmpx_gt_i32_e64 s2, v0
	s_cbranch_execz .LBB426_40
.LBB426_57:
	v_add_nc_u32_e32 v1, s1, v0
	v_add_nc_u32_e32 v0, 0x100, v0
	global_store_b8 v1, v5, s[4:5]
	s_or_b32 exec_lo, exec_lo, s0
	s_delay_alu instid0(SALU_CYCLE_1)
	s_mov_b32 s0, exec_lo
	v_cmpx_gt_i32_e64 s2, v0
	s_cbranch_execz .LBB426_41
.LBB426_58:
	v_add_nc_u32_e32 v1, s1, v0
	v_lshrrev_b32_e32 v2, 8, v5
	v_add_nc_u32_e32 v0, 0x100, v0
	global_store_b8 v1, v2, s[4:5]
	s_or_b32 exec_lo, exec_lo, s0
	s_delay_alu instid0(SALU_CYCLE_1)
	s_mov_b32 s0, exec_lo
	v_cmpx_gt_i32_e64 s2, v0
	s_cbranch_execz .LBB426_42
.LBB426_59:
	v_add_nc_u32_e32 v1, s1, v0
	v_add_nc_u32_e32 v0, 0x100, v0
	global_store_d16_hi_b8 v1, v5, s[4:5]
	s_or_b32 exec_lo, exec_lo, s0
	s_delay_alu instid0(SALU_CYCLE_1)
	s_mov_b32 s0, exec_lo
	v_cmpx_gt_i32_e64 s2, v0
	s_cbranch_execz .LBB426_43
.LBB426_60:
	v_add_nc_u32_e32 v1, s1, v0
	v_lshrrev_b32_e32 v2, 24, v5
	v_add_nc_u32_e32 v0, 0x100, v0
	global_store_b8 v1, v2, s[4:5]
	s_or_b32 exec_lo, exec_lo, s0
	s_delay_alu instid0(SALU_CYCLE_1)
	s_mov_b32 s0, exec_lo
	v_cmpx_gt_i32_e64 s2, v0
	s_cbranch_execz .LBB426_44
.LBB426_61:
	v_add_nc_u32_e32 v1, s1, v0
	v_add_nc_u32_e32 v0, 0x100, v0
	global_store_b8 v1, v4, s[4:5]
	s_or_b32 exec_lo, exec_lo, s0
	s_delay_alu instid0(SALU_CYCLE_1)
	s_mov_b32 s0, exec_lo
	v_cmpx_gt_i32_e64 s2, v0
	s_cbranch_execz .LBB426_45
.LBB426_62:
	v_add_nc_u32_e32 v1, s1, v0
	v_lshrrev_b32_e32 v2, 8, v4
	v_add_nc_u32_e32 v0, 0x100, v0
	global_store_b8 v1, v2, s[4:5]
	s_or_b32 exec_lo, exec_lo, s0
	s_delay_alu instid0(SALU_CYCLE_1)
	s_mov_b32 s0, exec_lo
	v_cmpx_gt_i32_e64 s2, v0
	s_cbranch_execz .LBB426_46
.LBB426_63:
	v_add_nc_u32_e32 v1, s1, v0
	v_add_nc_u32_e32 v0, 0x100, v0
	global_store_d16_hi_b8 v1, v4, s[4:5]
	s_or_b32 exec_lo, exec_lo, s0
	s_delay_alu instid0(SALU_CYCLE_1)
	s_mov_b32 s0, exec_lo
	v_cmpx_gt_i32_e64 s2, v0
	s_cbranch_execz .LBB426_47
.LBB426_64:
	v_add_nc_u32_e32 v1, s1, v0
	v_lshrrev_b32_e32 v2, 24, v4
	v_add_nc_u32_e32 v0, 0x100, v0
	global_store_b8 v1, v2, s[4:5]
	s_or_b32 exec_lo, exec_lo, s0
	s_delay_alu instid0(SALU_CYCLE_1)
	s_mov_b32 s0, exec_lo
	v_cmpx_gt_i32_e64 s2, v0
	s_cbranch_execz .LBB426_48
.LBB426_65:
	v_add_nc_u32_e32 v1, s1, v0
	v_add_nc_u32_e32 v0, 0x100, v0
	global_store_b8 v1, v3, s[4:5]
	s_or_b32 exec_lo, exec_lo, s0
	s_delay_alu instid0(SALU_CYCLE_1)
	s_mov_b32 s0, exec_lo
	v_cmpx_gt_i32_e64 s2, v0
	s_cbranch_execz .LBB426_49
.LBB426_66:
	v_add_nc_u32_e32 v1, s1, v0
	v_lshrrev_b32_e32 v2, 8, v3
	v_add_nc_u32_e32 v0, 0x100, v0
	global_store_b8 v1, v2, s[4:5]
	s_or_b32 exec_lo, exec_lo, s0
	s_delay_alu instid0(SALU_CYCLE_1)
	s_mov_b32 s0, exec_lo
	v_cmpx_gt_i32_e64 s2, v0
	s_cbranch_execz .LBB426_50
.LBB426_67:
	v_add_nc_u32_e32 v1, s1, v0
	v_add_nc_u32_e32 v0, 0x100, v0
	global_store_d16_hi_b8 v1, v3, s[4:5]
	s_or_b32 exec_lo, exec_lo, s0
	s_delay_alu instid0(SALU_CYCLE_1)
	s_mov_b32 s0, exec_lo
	v_cmpx_gt_i32_e64 s2, v0
	s_cbranch_execnz .LBB426_51
	s_branch .LBB426_52
	.section	.rodata,"a",@progbits
	.p2align	6, 0x0
	.amdhsa_kernel _ZN2at6native29vectorized_elementwise_kernelILi16EZZZNS0_21clamp_max_kernel_cudaERNS_18TensorIteratorBaseERKN3c106ScalarEENKUlvE_clEvENKUlvE0_clEvEUlaE_St5arrayIPcLm2EEEEviT0_T1_
		.amdhsa_group_segment_fixed_size 0
		.amdhsa_private_segment_fixed_size 0
		.amdhsa_kernarg_size 24
		.amdhsa_user_sgpr_count 15
		.amdhsa_user_sgpr_dispatch_ptr 0
		.amdhsa_user_sgpr_queue_ptr 0
		.amdhsa_user_sgpr_kernarg_segment_ptr 1
		.amdhsa_user_sgpr_dispatch_id 0
		.amdhsa_user_sgpr_private_segment_size 0
		.amdhsa_wavefront_size32 1
		.amdhsa_uses_dynamic_stack 0
		.amdhsa_enable_private_segment 0
		.amdhsa_system_sgpr_workgroup_id_x 1
		.amdhsa_system_sgpr_workgroup_id_y 0
		.amdhsa_system_sgpr_workgroup_id_z 0
		.amdhsa_system_sgpr_workgroup_info 0
		.amdhsa_system_vgpr_workitem_id 0
		.amdhsa_next_free_vgpr 22
		.amdhsa_next_free_sgpr 16
		.amdhsa_reserve_vcc 1
		.amdhsa_float_round_mode_32 0
		.amdhsa_float_round_mode_16_64 0
		.amdhsa_float_denorm_mode_32 3
		.amdhsa_float_denorm_mode_16_64 3
		.amdhsa_dx10_clamp 1
		.amdhsa_ieee_mode 1
		.amdhsa_fp16_overflow 0
		.amdhsa_workgroup_processor_mode 1
		.amdhsa_memory_ordered 1
		.amdhsa_forward_progress 0
		.amdhsa_shared_vgpr_count 0
		.amdhsa_exception_fp_ieee_invalid_op 0
		.amdhsa_exception_fp_denorm_src 0
		.amdhsa_exception_fp_ieee_div_zero 0
		.amdhsa_exception_fp_ieee_overflow 0
		.amdhsa_exception_fp_ieee_underflow 0
		.amdhsa_exception_fp_ieee_inexact 0
		.amdhsa_exception_int_div_zero 0
	.end_amdhsa_kernel
	.section	.text._ZN2at6native29vectorized_elementwise_kernelILi16EZZZNS0_21clamp_max_kernel_cudaERNS_18TensorIteratorBaseERKN3c106ScalarEENKUlvE_clEvENKUlvE0_clEvEUlaE_St5arrayIPcLm2EEEEviT0_T1_,"axG",@progbits,_ZN2at6native29vectorized_elementwise_kernelILi16EZZZNS0_21clamp_max_kernel_cudaERNS_18TensorIteratorBaseERKN3c106ScalarEENKUlvE_clEvENKUlvE0_clEvEUlaE_St5arrayIPcLm2EEEEviT0_T1_,comdat
.Lfunc_end426:
	.size	_ZN2at6native29vectorized_elementwise_kernelILi16EZZZNS0_21clamp_max_kernel_cudaERNS_18TensorIteratorBaseERKN3c106ScalarEENKUlvE_clEvENKUlvE0_clEvEUlaE_St5arrayIPcLm2EEEEviT0_T1_, .Lfunc_end426-_ZN2at6native29vectorized_elementwise_kernelILi16EZZZNS0_21clamp_max_kernel_cudaERNS_18TensorIteratorBaseERKN3c106ScalarEENKUlvE_clEvENKUlvE0_clEvEUlaE_St5arrayIPcLm2EEEEviT0_T1_
                                        ; -- End function
	.section	.AMDGPU.csdata,"",@progbits
; Kernel info:
; codeLenInByte = 3484
; NumSgprs: 18
; NumVgprs: 22
; ScratchSize: 0
; MemoryBound: 0
; FloatMode: 240
; IeeeMode: 1
; LDSByteSize: 0 bytes/workgroup (compile time only)
; SGPRBlocks: 2
; VGPRBlocks: 2
; NumSGPRsForWavesPerEU: 18
; NumVGPRsForWavesPerEU: 22
; Occupancy: 16
; WaveLimiterHint : 0
; COMPUTE_PGM_RSRC2:SCRATCH_EN: 0
; COMPUTE_PGM_RSRC2:USER_SGPR: 15
; COMPUTE_PGM_RSRC2:TRAP_HANDLER: 0
; COMPUTE_PGM_RSRC2:TGID_X_EN: 1
; COMPUTE_PGM_RSRC2:TGID_Y_EN: 0
; COMPUTE_PGM_RSRC2:TGID_Z_EN: 0
; COMPUTE_PGM_RSRC2:TIDIG_COMP_CNT: 0
	.section	.text._ZN2at6native29vectorized_elementwise_kernelILi8EZZZNS0_21clamp_max_kernel_cudaERNS_18TensorIteratorBaseERKN3c106ScalarEENKUlvE_clEvENKUlvE0_clEvEUlaE_St5arrayIPcLm2EEEEviT0_T1_,"axG",@progbits,_ZN2at6native29vectorized_elementwise_kernelILi8EZZZNS0_21clamp_max_kernel_cudaERNS_18TensorIteratorBaseERKN3c106ScalarEENKUlvE_clEvENKUlvE0_clEvEUlaE_St5arrayIPcLm2EEEEviT0_T1_,comdat
	.globl	_ZN2at6native29vectorized_elementwise_kernelILi8EZZZNS0_21clamp_max_kernel_cudaERNS_18TensorIteratorBaseERKN3c106ScalarEENKUlvE_clEvENKUlvE0_clEvEUlaE_St5arrayIPcLm2EEEEviT0_T1_ ; -- Begin function _ZN2at6native29vectorized_elementwise_kernelILi8EZZZNS0_21clamp_max_kernel_cudaERNS_18TensorIteratorBaseERKN3c106ScalarEENKUlvE_clEvENKUlvE0_clEvEUlaE_St5arrayIPcLm2EEEEviT0_T1_
	.p2align	8
	.type	_ZN2at6native29vectorized_elementwise_kernelILi8EZZZNS0_21clamp_max_kernel_cudaERNS_18TensorIteratorBaseERKN3c106ScalarEENKUlvE_clEvENKUlvE0_clEvEUlaE_St5arrayIPcLm2EEEEviT0_T1_,@function
_ZN2at6native29vectorized_elementwise_kernelILi8EZZZNS0_21clamp_max_kernel_cudaERNS_18TensorIteratorBaseERKN3c106ScalarEENKUlvE_clEvENKUlvE0_clEvEUlaE_St5arrayIPcLm2EEEEviT0_T1_: ; @_ZN2at6native29vectorized_elementwise_kernelILi8EZZZNS0_21clamp_max_kernel_cudaERNS_18TensorIteratorBaseERKN3c106ScalarEENKUlvE_clEvENKUlvE0_clEvEUlaE_St5arrayIPcLm2EEEEviT0_T1_
; %bb.0:
	s_clause 0x1
	s_load_b64 s[2:3], s[0:1], 0x0
	s_load_b128 s[4:7], s[0:1], 0x8
	s_lshl_b32 s1, s15, 12
	s_mov_b32 s0, -1
	s_waitcnt lgkmcnt(0)
	s_sub_i32 s2, s2, s1
	s_delay_alu instid0(SALU_CYCLE_1)
	s_cmpk_gt_i32 s2, 0xfff
	s_cbranch_scc0 .LBB427_2
; %bb.1:
	v_lshlrev_b32_e32 v5, 3, v0
	s_ashr_i32 s0, s1, 31
	s_add_u32 s8, s6, s1
	s_addc_u32 s9, s7, s0
	s_clause 0x1
	global_load_b64 v[1:2], v5, s[8:9]
	global_load_b64 v[3:4], v5, s[8:9] offset:2048
	s_bfe_i32 s8, s3, 0x80000
	s_waitcnt vmcnt(1)
	v_lshrrev_b32_e32 v7, 8, v1
	v_lshrrev_b32_e32 v8, 16, v1
	;; [unrolled: 1-line block ×3, first 2 shown]
	s_waitcnt vmcnt(0)
	v_lshrrev_b32_e32 v13, 8, v3
	v_lshrrev_b32_e32 v14, 16, v3
	;; [unrolled: 1-line block ×3, first 2 shown]
	v_bfe_i32 v6, v1, 0, 8
	v_lshrrev_b32_e32 v1, 24, v1
	v_bfe_i32 v9, v2, 0, 8
	v_lshrrev_b32_e32 v10, 8, v2
	v_lshrrev_b32_e32 v2, 24, v2
	v_bfe_i32 v7, v7, 0, 8
	v_bfe_i32 v8, v8, 0, 8
	;; [unrolled: 1-line block ×4, first 2 shown]
	v_lshrrev_b32_e32 v3, 24, v3
	v_bfe_i32 v15, v4, 0, 8
	v_lshrrev_b32_e32 v16, 8, v4
	v_lshrrev_b32_e32 v4, 24, v4
	v_bfe_i32 v13, v13, 0, 8
	v_bfe_i32 v14, v14, 0, 8
	;; [unrolled: 1-line block ×6, first 2 shown]
	v_min_i16 v7, v7, s8
	v_min_i16 v8, v8, s8
	;; [unrolled: 1-line block ×3, first 2 shown]
	v_bfe_i32 v3, v3, 0, 8
	v_bfe_i32 v16, v16, 0, 8
	;; [unrolled: 1-line block ×3, first 2 shown]
	v_min_i16 v13, v13, s8
	v_min_i16 v14, v14, s8
	;; [unrolled: 1-line block ×6, first 2 shown]
	v_and_b32_e32 v11, 0xff, v11
	v_and_b32_e32 v8, 0xff, v8
	;; [unrolled: 1-line block ×3, first 2 shown]
	v_min_i16 v3, v3, s8
	v_min_i16 v16, v16, s8
	;; [unrolled: 1-line block ×3, first 2 shown]
	v_and_b32_e32 v17, 0xff, v17
	v_and_b32_e32 v14, 0xff, v14
	v_and_b32_e32 v13, 0xff, v13
	v_min_i16 v6, v6, s8
	v_min_i16 v9, v9, s8
	v_lshlrev_b32_e32 v2, 24, v2
	v_and_b32_e32 v10, 0xff, v10
	v_lshlrev_b32_e32 v1, 24, v1
	v_lshlrev_b32_e32 v11, 16, v11
	;; [unrolled: 1-line block ×4, first 2 shown]
	v_min_i16 v12, v12, s8
	v_min_i16 v15, v15, s8
	v_lshlrev_b32_e32 v4, 24, v4
	v_and_b32_e32 v16, 0xff, v16
	v_lshlrev_b32_e32 v3, 24, v3
	v_lshlrev_b32_e32 v17, 16, v17
	;; [unrolled: 1-line block ×4, first 2 shown]
	v_and_b32_e32 v9, 0xff, v9
	v_and_b32_e32 v6, 0xff, v6
	v_lshlrev_b32_e32 v10, 8, v10
	v_or_b32_e32 v2, v2, v11
	v_or3_b32 v1, v1, v8, v7
	v_and_b32_e32 v15, 0xff, v15
	v_and_b32_e32 v12, 0xff, v12
	v_lshlrev_b32_e32 v16, 8, v16
	v_or_b32_e32 v4, v4, v17
	v_or3_b32 v3, v3, v14, v13
	v_or3_b32 v2, v2, v10, v9
	v_or_b32_e32 v1, v1, v6
	s_add_u32 s8, s4, s1
	v_or3_b32 v4, v4, v16, v15
	v_or_b32_e32 v3, v3, v12
	s_addc_u32 s9, s5, s0
	s_mov_b32 s0, 0
	s_clause 0x1
	global_store_b64 v5, v[1:2], s[8:9]
	global_store_b64 v5, v[3:4], s[8:9] offset:2048
.LBB427_2:
	s_and_not1_b32 vcc_lo, exec_lo, s0
	s_cbranch_vccnz .LBB427_52
; %bb.3:
	v_cmp_gt_i32_e32 vcc_lo, s2, v0
	v_dual_mov_b32 v4, 0 :: v_dual_mov_b32 v5, 0
	v_or_b32_e32 v1, s1, v0
	v_or_b32_e32 v2, 0x100, v0
	v_mov_b32_e32 v7, v0
	s_and_saveexec_b32 s0, vcc_lo
	s_cbranch_execz .LBB427_5
; %bb.4:
	global_load_u8 v5, v1, s[6:7]
	v_or_b32_e32 v7, 0x100, v0
.LBB427_5:
	s_or_b32 exec_lo, exec_lo, s0
	s_delay_alu instid0(SALU_CYCLE_1) | instskip(NEXT) | instid1(VALU_DEP_1)
	s_mov_b32 s8, exec_lo
	v_cmpx_gt_i32_e64 s2, v7
	s_cbranch_execz .LBB427_7
; %bb.6:
	v_add_nc_u32_e32 v3, s1, v7
	v_add_nc_u32_e32 v7, 0x100, v7
	global_load_u8 v4, v3, s[6:7]
.LBB427_7:
	s_or_b32 exec_lo, exec_lo, s8
	v_dual_mov_b32 v6, 0 :: v_dual_mov_b32 v9, 0
	s_mov_b32 s8, exec_lo
	v_cmpx_gt_i32_e64 s2, v7
	s_cbranch_execz .LBB427_9
; %bb.8:
	v_add_nc_u32_e32 v3, s1, v7
	v_add_nc_u32_e32 v7, 0x100, v7
	global_load_u8 v9, v3, s[6:7]
.LBB427_9:
	s_or_b32 exec_lo, exec_lo, s8
	s_delay_alu instid0(SALU_CYCLE_1)
	s_mov_b32 s8, exec_lo
	v_cmpx_gt_i32_e64 s2, v7
	s_cbranch_execz .LBB427_11
; %bb.10:
	v_add_nc_u32_e32 v3, s1, v7
	v_add_nc_u32_e32 v7, 0x100, v7
	global_load_u8 v6, v3, s[6:7]
.LBB427_11:
	s_or_b32 exec_lo, exec_lo, s8
	v_mov_b32_e32 v10, 0
	v_mov_b32_e32 v12, 0
	s_mov_b32 s8, exec_lo
	v_cmpx_gt_i32_e64 s2, v7
	s_cbranch_execz .LBB427_13
; %bb.12:
	v_add_nc_u32_e32 v3, s1, v7
	v_add_nc_u32_e32 v7, 0x100, v7
	global_load_u8 v12, v3, s[6:7]
.LBB427_13:
	s_or_b32 exec_lo, exec_lo, s8
	s_delay_alu instid0(SALU_CYCLE_1)
	s_mov_b32 s8, exec_lo
	v_cmpx_gt_i32_e64 s2, v7
	s_cbranch_execz .LBB427_15
; %bb.14:
	v_add_nc_u32_e32 v3, s1, v7
	v_add_nc_u32_e32 v7, 0x100, v7
	global_load_u8 v10, v3, s[6:7]
.LBB427_15:
	s_or_b32 exec_lo, exec_lo, s8
	v_mov_b32_e32 v3, 0
	v_mov_b32_e32 v13, 0
	s_mov_b32 s8, exec_lo
	v_cmpx_gt_i32_e64 s2, v7
	s_cbranch_execz .LBB427_17
; %bb.16:
	v_add_nc_u32_e32 v8, s1, v7
	v_add_nc_u32_e32 v7, 0x100, v7
	global_load_u8 v13, v8, s[6:7]
.LBB427_17:
	s_or_b32 exec_lo, exec_lo, s8
	s_delay_alu instid0(SALU_CYCLE_1)
	s_mov_b32 s8, exec_lo
	v_cmpx_gt_i32_e64 s2, v7
	s_cbranch_execz .LBB427_19
; %bb.18:
	v_add_nc_u32_e32 v3, s1, v7
	v_add_nc_u32_e32 v7, 0x100, v7
	global_load_u8 v3, v3, s[6:7]
.LBB427_19:
	s_or_b32 exec_lo, exec_lo, s8
	v_dual_mov_b32 v14, 0 :: v_dual_mov_b32 v15, 0
	s_mov_b32 s8, exec_lo
	v_cmpx_gt_i32_e64 s2, v7
	s_cbranch_execz .LBB427_21
; %bb.20:
	v_add_nc_u32_e32 v8, s1, v7
	v_add_nc_u32_e32 v7, 0x100, v7
	global_load_u8 v15, v8, s[6:7]
.LBB427_21:
	s_or_b32 exec_lo, exec_lo, s8
	s_delay_alu instid0(SALU_CYCLE_1)
	s_mov_b32 s8, exec_lo
	v_cmpx_gt_i32_e64 s2, v7
	s_cbranch_execz .LBB427_23
; %bb.22:
	v_add_nc_u32_e32 v8, s1, v7
	v_add_nc_u32_e32 v7, 0x100, v7
	global_load_u8 v14, v8, s[6:7]
.LBB427_23:
	s_or_b32 exec_lo, exec_lo, s8
	v_dual_mov_b32 v8, 0 :: v_dual_mov_b32 v11, 0
	s_mov_b32 s8, exec_lo
	v_cmpx_gt_i32_e64 s2, v7
	s_cbranch_execz .LBB427_25
; %bb.24:
	v_add_nc_u32_e32 v11, s1, v7
	v_add_nc_u32_e32 v7, 0x100, v7
	global_load_u8 v11, v11, s[6:7]
.LBB427_25:
	s_or_b32 exec_lo, exec_lo, s8
	s_delay_alu instid0(SALU_CYCLE_1)
	s_mov_b32 s8, exec_lo
	v_cmpx_gt_i32_e64 s2, v7
	s_cbranch_execz .LBB427_27
; %bb.26:
	v_add_nc_u32_e32 v8, s1, v7
	v_add_nc_u32_e32 v7, 0x100, v7
	global_load_u8 v8, v8, s[6:7]
.LBB427_27:
	s_or_b32 exec_lo, exec_lo, s8
	v_mov_b32_e32 v17, 0
	v_mov_b32_e32 v19, 0
	s_mov_b32 s8, exec_lo
	v_cmpx_gt_i32_e64 s2, v7
	s_cbranch_execz .LBB427_29
; %bb.28:
	v_add_nc_u32_e32 v16, s1, v7
	v_add_nc_u32_e32 v7, 0x100, v7
	global_load_u8 v19, v16, s[6:7]
.LBB427_29:
	s_or_b32 exec_lo, exec_lo, s8
	s_delay_alu instid0(SALU_CYCLE_1)
	s_mov_b32 s8, exec_lo
	v_cmpx_gt_i32_e64 s2, v7
	s_cbranch_execz .LBB427_31
; %bb.30:
	v_add_nc_u32_e32 v16, s1, v7
	v_add_nc_u32_e32 v7, 0x100, v7
	global_load_u8 v17, v16, s[6:7]
.LBB427_31:
	s_or_b32 exec_lo, exec_lo, s8
	v_mov_b32_e32 v16, 0
	v_mov_b32_e32 v18, 0
	s_mov_b32 s8, exec_lo
	v_cmpx_gt_i32_e64 s2, v7
	s_cbranch_execz .LBB427_33
; %bb.32:
	v_add_nc_u32_e32 v18, s1, v7
	v_add_nc_u32_e32 v7, 0x100, v7
	global_load_u8 v18, v18, s[6:7]
.LBB427_33:
	s_or_b32 exec_lo, exec_lo, s8
	s_delay_alu instid0(SALU_CYCLE_1)
	s_mov_b32 s8, exec_lo
	v_cmpx_gt_i32_e64 s2, v7
	s_cbranch_execz .LBB427_35
; %bb.34:
	v_add_nc_u32_e32 v7, s1, v7
	global_load_u8 v16, v7, s[6:7]
.LBB427_35:
	s_or_b32 exec_lo, exec_lo, s8
	s_waitcnt vmcnt(0)
	v_bfe_i32 v5, v5, 0, 8
	v_bfe_i32 v4, v4, 0, 8
	s_bfe_i32 s3, s3, 0x80000
	v_bfe_i32 v12, v12, 0, 8
	v_or_b32_e32 v20, 0x400, v0
	v_min_i16 v5, v5, s3
	v_min_i16 v4, v4, s3
	v_bfe_i32 v9, v9, 0, 8
	v_min_i16 v12, v12, s3
	v_bfe_i32 v10, v10, 0, 8
	v_and_b32_e32 v5, 0xff, v5
	v_lshlrev_b16 v4, 8, v4
	v_cmp_gt_i32_e64 s0, s2, v20
	v_perm_b32 v12, v12, 0, 0x3020104
	v_min_i16 v9, v9, s3
	v_min_i16 v10, v10, s3
	v_or_b32_e32 v4, v5, v4
	v_and_b32_e32 v5, 0xffff, v5
	v_cndmask_b32_e64 v12, 0, v12, s0
	v_cmp_gt_i32_e64 s0, s2, v2
	v_and_b32_e32 v9, 0xff, v9
	v_and_b32_e32 v4, 0xffff, v4
	v_or_b32_e32 v7, 0x200, v0
	v_or_b32_e32 v20, 0x500, v0
	v_bfe_i32 v6, v6, 0, 8
	v_lshlrev_b32_e32 v9, 16, v9
	v_cndmask_b32_e64 v4, v5, v4, s0
	v_lshlrev_b16 v5, 8, v10
	v_and_b32_e32 v10, 0xff, v12
	v_cmp_gt_i32_e64 s0, s2, v7
	v_bfe_i32 v13, v13, 0, 8
	v_or_b32_e32 v9, v4, v9
	v_bfe_i32 v7, v14, 0, 8
	v_or_b32_e32 v5, v10, v5
	v_min_i16 v6, v6, s3
	v_or_b32_e32 v21, 0x600, v0
	v_cndmask_b32_e64 v4, v4, v9, s0
	v_bfe_i32 v9, v19, 0, 8
	v_and_b32_e32 v5, 0xffff, v5
	v_cmp_gt_i32_e64 s0, s2, v20
	v_min_i16 v13, v13, s3
	v_lshrrev_b32_e32 v14, 16, v4
	v_min_i16 v9, v9, s3
	v_and_or_b32 v5, 0xffff0000, v12, v5
	v_lshlrev_b16 v6, 8, v6
	v_bfe_i32 v10, v15, 0, 8
	v_and_b32_e32 v14, 0xff, v14
	v_perm_b32 v9, v9, 0, 0x3020104
	v_cndmask_b32_e64 v5, v12, v5, s0
	v_or_b32_e32 v12, 0xc00, v0
	v_min_i16 v10, v10, s3
	v_or_b32_e32 v6, v14, v6
	v_bfe_i32 v14, v17, 0, 8
	v_perm_b32 v13, v5, v13, 0x7000504
	v_cmp_gt_i32_e64 s0, s2, v12
	v_min_i16 v7, v7, s3
	v_and_b32_e32 v10, 0xff, v10
	v_min_i16 v12, v14, s3
	v_bfe_i32 v11, v11, 0, 8
	v_cndmask_b32_e64 v9, 0, v9, s0
	v_cmp_gt_i32_e64 s0, s2, v21
	v_lshlrev_b16 v7, 8, v7
	v_lshlrev_b16 v12, 8, v12
	v_min_i16 v11, v11, s3
	v_or_b32_e32 v15, 0xd00, v0
	v_cndmask_b32_e64 v5, v5, v13, s0
	v_and_b32_e32 v13, 0xff, v9
	v_or_b32_e32 v7, v10, v7
	v_and_b32_e32 v10, 0xffff, v10
	v_and_b32_e32 v11, 0xff, v11
	v_lshrrev_b32_e32 v14, 16, v5
	v_or_b32_e32 v12, v13, v12
	v_and_b32_e32 v7, 0xffff, v7
	v_bfe_i32 v17, v18, 0, 8
	v_bfe_i32 v3, v3, 0, 8
	v_and_b32_e32 v13, 0xff, v14
	v_or_b32_e32 v14, 0x900, v0
	v_and_b32_e32 v12, 0xffff, v12
	v_bfe_i32 v8, v8, 0, 8
	v_min_i16 v3, v3, s3
	v_lshlrev_b32_e32 v6, 16, v6
	v_cmp_gt_i32_e64 s0, s2, v14
	v_and_or_b32 v12, 0xffff0000, v9, v12
	v_or_b32_e32 v14, 0xe00, v0
	v_lshlrev_b16 v3, 8, v3
	v_min_i16 v8, v8, s3
	v_cndmask_b32_e64 v7, v10, v7, s0
	v_cmp_gt_i32_e64 s0, s2, v15
	v_lshlrev_b32_e32 v10, 16, v11
	v_min_i16 v11, v17, s3
	v_or_b32_e32 v3, v13, v3
	v_lshlrev_b16 v8, 8, v8
	v_cndmask_b32_e64 v9, v9, v12, s0
	v_or_b32_e32 v12, 0xa00, v0
	v_or_b32_e32 v10, v7, v10
	;; [unrolled: 1-line block ×3, first 2 shown]
	v_and_or_b32 v6, 0xffff, v4, v6
	v_perm_b32 v11, v9, v11, 0x7000504
	v_cmp_gt_i32_e64 s0, s2, v12
	v_lshlrev_b32_e32 v3, 16, v3
	s_delay_alu instid0(VALU_DEP_2) | instskip(SKIP_2) | instid1(VALU_DEP_4)
	v_cndmask_b32_e64 v7, v7, v10, s0
	v_cmp_gt_i32_e64 s0, s2, v14
	v_bfe_i32 v10, v16, 0, 8
	v_and_or_b32 v3, 0xffff, v5, v3
	s_delay_alu instid0(VALU_DEP_3) | instskip(SKIP_1) | instid1(VALU_DEP_4)
	v_cndmask_b32_e64 v9, v9, v11, s0
	v_lshrrev_b32_e32 v11, 16, v7
	v_min_i16 v10, v10, s3
	v_cmp_gt_i32_e64 s0, s2, v13
	s_delay_alu instid0(VALU_DEP_4) | instskip(NEXT) | instid1(VALU_DEP_4)
	v_lshrrev_b32_e32 v12, 16, v9
	v_and_b32_e32 v11, 0xff, v11
	s_delay_alu instid0(VALU_DEP_4) | instskip(NEXT) | instid1(VALU_DEP_4)
	v_lshlrev_b16 v10, 8, v10
	v_cndmask_b32_e64 v6, v4, v6, s0
	s_delay_alu instid0(VALU_DEP_4) | instskip(NEXT) | instid1(VALU_DEP_4)
	v_and_b32_e32 v12, 0xff, v12
	v_or_b32_e32 v8, v11, v8
	v_or_b32_e32 v11, 0xb00, v0
	s_delay_alu instid0(VALU_DEP_3) | instskip(NEXT) | instid1(VALU_DEP_3)
	v_or_b32_e32 v10, v12, v10
	v_lshlrev_b32_e32 v4, 16, v8
	v_or_b32_e32 v8, 0x700, v0
	v_or_b32_e32 v12, 0xf00, v0
	s_delay_alu instid0(VALU_DEP_4) | instskip(NEXT) | instid1(VALU_DEP_4)
	v_lshlrev_b32_e32 v10, 16, v10
	v_and_or_b32 v4, 0xffff, v7, v4
	s_delay_alu instid0(VALU_DEP_4) | instskip(NEXT) | instid1(VALU_DEP_3)
	v_cmp_gt_i32_e64 s0, s2, v8
	v_and_or_b32 v10, 0xffff, v9, v10
	s_delay_alu instid0(VALU_DEP_2) | instskip(SKIP_1) | instid1(VALU_DEP_1)
	v_cndmask_b32_e64 v5, v5, v3, s0
	v_cmp_gt_i32_e64 s0, s2, v11
	v_cndmask_b32_e64 v4, v7, v4, s0
	v_cmp_gt_i32_e64 s0, s2, v12
	s_delay_alu instid0(VALU_DEP_1)
	v_cndmask_b32_e64 v3, v9, v10, s0
	s_and_saveexec_b32 s0, vcc_lo
	s_cbranch_execnz .LBB427_53
; %bb.36:
	s_or_b32 exec_lo, exec_lo, s0
	s_delay_alu instid0(SALU_CYCLE_1)
	s_mov_b32 s0, exec_lo
	v_cmpx_gt_i32_e64 s2, v0
	s_cbranch_execnz .LBB427_54
.LBB427_37:
	s_or_b32 exec_lo, exec_lo, s0
	s_delay_alu instid0(SALU_CYCLE_1)
	s_mov_b32 s0, exec_lo
	v_cmpx_gt_i32_e64 s2, v0
	s_cbranch_execnz .LBB427_55
.LBB427_38:
	s_or_b32 exec_lo, exec_lo, s0
	s_delay_alu instid0(SALU_CYCLE_1)
	s_mov_b32 s0, exec_lo
	v_cmpx_gt_i32_e64 s2, v0
	s_cbranch_execnz .LBB427_56
.LBB427_39:
	s_or_b32 exec_lo, exec_lo, s0
	s_delay_alu instid0(SALU_CYCLE_1)
	s_mov_b32 s0, exec_lo
	v_cmpx_gt_i32_e64 s2, v0
	s_cbranch_execnz .LBB427_57
.LBB427_40:
	s_or_b32 exec_lo, exec_lo, s0
	s_delay_alu instid0(SALU_CYCLE_1)
	s_mov_b32 s0, exec_lo
	v_cmpx_gt_i32_e64 s2, v0
	s_cbranch_execnz .LBB427_58
.LBB427_41:
	s_or_b32 exec_lo, exec_lo, s0
	s_delay_alu instid0(SALU_CYCLE_1)
	s_mov_b32 s0, exec_lo
	v_cmpx_gt_i32_e64 s2, v0
	s_cbranch_execnz .LBB427_59
.LBB427_42:
	s_or_b32 exec_lo, exec_lo, s0
	s_delay_alu instid0(SALU_CYCLE_1)
	s_mov_b32 s0, exec_lo
	v_cmpx_gt_i32_e64 s2, v0
	s_cbranch_execnz .LBB427_60
.LBB427_43:
	s_or_b32 exec_lo, exec_lo, s0
	s_delay_alu instid0(SALU_CYCLE_1)
	s_mov_b32 s0, exec_lo
	v_cmpx_gt_i32_e64 s2, v0
	s_cbranch_execnz .LBB427_61
.LBB427_44:
	s_or_b32 exec_lo, exec_lo, s0
	s_delay_alu instid0(SALU_CYCLE_1)
	s_mov_b32 s0, exec_lo
	v_cmpx_gt_i32_e64 s2, v0
	s_cbranch_execnz .LBB427_62
.LBB427_45:
	s_or_b32 exec_lo, exec_lo, s0
	s_delay_alu instid0(SALU_CYCLE_1)
	s_mov_b32 s0, exec_lo
	v_cmpx_gt_i32_e64 s2, v0
	s_cbranch_execnz .LBB427_63
.LBB427_46:
	s_or_b32 exec_lo, exec_lo, s0
	s_delay_alu instid0(SALU_CYCLE_1)
	s_mov_b32 s0, exec_lo
	v_cmpx_gt_i32_e64 s2, v0
	s_cbranch_execnz .LBB427_64
.LBB427_47:
	s_or_b32 exec_lo, exec_lo, s0
	s_delay_alu instid0(SALU_CYCLE_1)
	s_mov_b32 s0, exec_lo
	v_cmpx_gt_i32_e64 s2, v0
	s_cbranch_execnz .LBB427_65
.LBB427_48:
	s_or_b32 exec_lo, exec_lo, s0
	s_delay_alu instid0(SALU_CYCLE_1)
	s_mov_b32 s0, exec_lo
	v_cmpx_gt_i32_e64 s2, v0
	s_cbranch_execnz .LBB427_66
.LBB427_49:
	s_or_b32 exec_lo, exec_lo, s0
	s_delay_alu instid0(SALU_CYCLE_1)
	s_mov_b32 s0, exec_lo
	v_cmpx_gt_i32_e64 s2, v0
	s_cbranch_execnz .LBB427_67
.LBB427_50:
	s_or_b32 exec_lo, exec_lo, s0
	s_delay_alu instid0(SALU_CYCLE_1)
	s_mov_b32 s0, exec_lo
	v_cmpx_gt_i32_e64 s2, v0
	s_cbranch_execz .LBB427_52
.LBB427_51:
	v_add_nc_u32_e32 v0, s1, v0
	v_lshrrev_b32_e32 v1, 24, v3
	global_store_b8 v0, v1, s[4:5]
.LBB427_52:
	s_nop 0
	s_sendmsg sendmsg(MSG_DEALLOC_VGPRS)
	s_endpgm
.LBB427_53:
	v_mov_b32_e32 v0, v2
	global_store_b8 v1, v6, s[4:5]
	s_or_b32 exec_lo, exec_lo, s0
	s_delay_alu instid0(SALU_CYCLE_1)
	s_mov_b32 s0, exec_lo
	v_cmpx_gt_i32_e64 s2, v0
	s_cbranch_execz .LBB427_37
.LBB427_54:
	v_add_nc_u32_e32 v1, s1, v0
	v_lshrrev_b32_e32 v2, 8, v6
	v_add_nc_u32_e32 v0, 0x100, v0
	global_store_b8 v1, v2, s[4:5]
	s_or_b32 exec_lo, exec_lo, s0
	s_delay_alu instid0(SALU_CYCLE_1)
	s_mov_b32 s0, exec_lo
	v_cmpx_gt_i32_e64 s2, v0
	s_cbranch_execz .LBB427_38
.LBB427_55:
	v_add_nc_u32_e32 v1, s1, v0
	v_add_nc_u32_e32 v0, 0x100, v0
	global_store_d16_hi_b8 v1, v6, s[4:5]
	s_or_b32 exec_lo, exec_lo, s0
	s_delay_alu instid0(SALU_CYCLE_1)
	s_mov_b32 s0, exec_lo
	v_cmpx_gt_i32_e64 s2, v0
	s_cbranch_execz .LBB427_39
.LBB427_56:
	v_add_nc_u32_e32 v1, s1, v0
	v_lshrrev_b32_e32 v2, 24, v6
	v_add_nc_u32_e32 v0, 0x100, v0
	global_store_b8 v1, v2, s[4:5]
	s_or_b32 exec_lo, exec_lo, s0
	s_delay_alu instid0(SALU_CYCLE_1)
	s_mov_b32 s0, exec_lo
	v_cmpx_gt_i32_e64 s2, v0
	s_cbranch_execz .LBB427_40
.LBB427_57:
	v_add_nc_u32_e32 v1, s1, v0
	v_add_nc_u32_e32 v0, 0x100, v0
	global_store_b8 v1, v5, s[4:5]
	s_or_b32 exec_lo, exec_lo, s0
	s_delay_alu instid0(SALU_CYCLE_1)
	s_mov_b32 s0, exec_lo
	v_cmpx_gt_i32_e64 s2, v0
	s_cbranch_execz .LBB427_41
.LBB427_58:
	v_add_nc_u32_e32 v1, s1, v0
	v_lshrrev_b32_e32 v2, 8, v5
	v_add_nc_u32_e32 v0, 0x100, v0
	global_store_b8 v1, v2, s[4:5]
	s_or_b32 exec_lo, exec_lo, s0
	s_delay_alu instid0(SALU_CYCLE_1)
	s_mov_b32 s0, exec_lo
	v_cmpx_gt_i32_e64 s2, v0
	s_cbranch_execz .LBB427_42
.LBB427_59:
	v_add_nc_u32_e32 v1, s1, v0
	v_add_nc_u32_e32 v0, 0x100, v0
	global_store_d16_hi_b8 v1, v5, s[4:5]
	s_or_b32 exec_lo, exec_lo, s0
	s_delay_alu instid0(SALU_CYCLE_1)
	s_mov_b32 s0, exec_lo
	v_cmpx_gt_i32_e64 s2, v0
	s_cbranch_execz .LBB427_43
.LBB427_60:
	v_add_nc_u32_e32 v1, s1, v0
	v_lshrrev_b32_e32 v2, 24, v5
	v_add_nc_u32_e32 v0, 0x100, v0
	global_store_b8 v1, v2, s[4:5]
	s_or_b32 exec_lo, exec_lo, s0
	s_delay_alu instid0(SALU_CYCLE_1)
	s_mov_b32 s0, exec_lo
	v_cmpx_gt_i32_e64 s2, v0
	s_cbranch_execz .LBB427_44
.LBB427_61:
	v_add_nc_u32_e32 v1, s1, v0
	v_add_nc_u32_e32 v0, 0x100, v0
	global_store_b8 v1, v4, s[4:5]
	s_or_b32 exec_lo, exec_lo, s0
	s_delay_alu instid0(SALU_CYCLE_1)
	s_mov_b32 s0, exec_lo
	v_cmpx_gt_i32_e64 s2, v0
	s_cbranch_execz .LBB427_45
.LBB427_62:
	v_add_nc_u32_e32 v1, s1, v0
	v_lshrrev_b32_e32 v2, 8, v4
	v_add_nc_u32_e32 v0, 0x100, v0
	global_store_b8 v1, v2, s[4:5]
	s_or_b32 exec_lo, exec_lo, s0
	s_delay_alu instid0(SALU_CYCLE_1)
	s_mov_b32 s0, exec_lo
	v_cmpx_gt_i32_e64 s2, v0
	s_cbranch_execz .LBB427_46
.LBB427_63:
	v_add_nc_u32_e32 v1, s1, v0
	v_add_nc_u32_e32 v0, 0x100, v0
	global_store_d16_hi_b8 v1, v4, s[4:5]
	s_or_b32 exec_lo, exec_lo, s0
	s_delay_alu instid0(SALU_CYCLE_1)
	s_mov_b32 s0, exec_lo
	v_cmpx_gt_i32_e64 s2, v0
	s_cbranch_execz .LBB427_47
.LBB427_64:
	v_add_nc_u32_e32 v1, s1, v0
	v_lshrrev_b32_e32 v2, 24, v4
	v_add_nc_u32_e32 v0, 0x100, v0
	global_store_b8 v1, v2, s[4:5]
	s_or_b32 exec_lo, exec_lo, s0
	s_delay_alu instid0(SALU_CYCLE_1)
	s_mov_b32 s0, exec_lo
	v_cmpx_gt_i32_e64 s2, v0
	s_cbranch_execz .LBB427_48
.LBB427_65:
	v_add_nc_u32_e32 v1, s1, v0
	v_add_nc_u32_e32 v0, 0x100, v0
	global_store_b8 v1, v3, s[4:5]
	s_or_b32 exec_lo, exec_lo, s0
	s_delay_alu instid0(SALU_CYCLE_1)
	s_mov_b32 s0, exec_lo
	v_cmpx_gt_i32_e64 s2, v0
	s_cbranch_execz .LBB427_49
.LBB427_66:
	v_add_nc_u32_e32 v1, s1, v0
	v_lshrrev_b32_e32 v2, 8, v3
	v_add_nc_u32_e32 v0, 0x100, v0
	global_store_b8 v1, v2, s[4:5]
	s_or_b32 exec_lo, exec_lo, s0
	s_delay_alu instid0(SALU_CYCLE_1)
	s_mov_b32 s0, exec_lo
	v_cmpx_gt_i32_e64 s2, v0
	s_cbranch_execz .LBB427_50
.LBB427_67:
	v_add_nc_u32_e32 v1, s1, v0
	v_add_nc_u32_e32 v0, 0x100, v0
	global_store_d16_hi_b8 v1, v3, s[4:5]
	s_or_b32 exec_lo, exec_lo, s0
	s_delay_alu instid0(SALU_CYCLE_1)
	s_mov_b32 s0, exec_lo
	v_cmpx_gt_i32_e64 s2, v0
	s_cbranch_execnz .LBB427_51
	s_branch .LBB427_52
	.section	.rodata,"a",@progbits
	.p2align	6, 0x0
	.amdhsa_kernel _ZN2at6native29vectorized_elementwise_kernelILi8EZZZNS0_21clamp_max_kernel_cudaERNS_18TensorIteratorBaseERKN3c106ScalarEENKUlvE_clEvENKUlvE0_clEvEUlaE_St5arrayIPcLm2EEEEviT0_T1_
		.amdhsa_group_segment_fixed_size 0
		.amdhsa_private_segment_fixed_size 0
		.amdhsa_kernarg_size 24
		.amdhsa_user_sgpr_count 15
		.amdhsa_user_sgpr_dispatch_ptr 0
		.amdhsa_user_sgpr_queue_ptr 0
		.amdhsa_user_sgpr_kernarg_segment_ptr 1
		.amdhsa_user_sgpr_dispatch_id 0
		.amdhsa_user_sgpr_private_segment_size 0
		.amdhsa_wavefront_size32 1
		.amdhsa_uses_dynamic_stack 0
		.amdhsa_enable_private_segment 0
		.amdhsa_system_sgpr_workgroup_id_x 1
		.amdhsa_system_sgpr_workgroup_id_y 0
		.amdhsa_system_sgpr_workgroup_id_z 0
		.amdhsa_system_sgpr_workgroup_info 0
		.amdhsa_system_vgpr_workitem_id 0
		.amdhsa_next_free_vgpr 22
		.amdhsa_next_free_sgpr 16
		.amdhsa_reserve_vcc 1
		.amdhsa_float_round_mode_32 0
		.amdhsa_float_round_mode_16_64 0
		.amdhsa_float_denorm_mode_32 3
		.amdhsa_float_denorm_mode_16_64 3
		.amdhsa_dx10_clamp 1
		.amdhsa_ieee_mode 1
		.amdhsa_fp16_overflow 0
		.amdhsa_workgroup_processor_mode 1
		.amdhsa_memory_ordered 1
		.amdhsa_forward_progress 0
		.amdhsa_shared_vgpr_count 0
		.amdhsa_exception_fp_ieee_invalid_op 0
		.amdhsa_exception_fp_denorm_src 0
		.amdhsa_exception_fp_ieee_div_zero 0
		.amdhsa_exception_fp_ieee_overflow 0
		.amdhsa_exception_fp_ieee_underflow 0
		.amdhsa_exception_fp_ieee_inexact 0
		.amdhsa_exception_int_div_zero 0
	.end_amdhsa_kernel
	.section	.text._ZN2at6native29vectorized_elementwise_kernelILi8EZZZNS0_21clamp_max_kernel_cudaERNS_18TensorIteratorBaseERKN3c106ScalarEENKUlvE_clEvENKUlvE0_clEvEUlaE_St5arrayIPcLm2EEEEviT0_T1_,"axG",@progbits,_ZN2at6native29vectorized_elementwise_kernelILi8EZZZNS0_21clamp_max_kernel_cudaERNS_18TensorIteratorBaseERKN3c106ScalarEENKUlvE_clEvENKUlvE0_clEvEUlaE_St5arrayIPcLm2EEEEviT0_T1_,comdat
.Lfunc_end427:
	.size	_ZN2at6native29vectorized_elementwise_kernelILi8EZZZNS0_21clamp_max_kernel_cudaERNS_18TensorIteratorBaseERKN3c106ScalarEENKUlvE_clEvENKUlvE0_clEvEUlaE_St5arrayIPcLm2EEEEviT0_T1_, .Lfunc_end427-_ZN2at6native29vectorized_elementwise_kernelILi8EZZZNS0_21clamp_max_kernel_cudaERNS_18TensorIteratorBaseERKN3c106ScalarEENKUlvE_clEvENKUlvE0_clEvEUlaE_St5arrayIPcLm2EEEEviT0_T1_
                                        ; -- End function
	.section	.AMDGPU.csdata,"",@progbits
; Kernel info:
; codeLenInByte = 3480
; NumSgprs: 18
; NumVgprs: 22
; ScratchSize: 0
; MemoryBound: 0
; FloatMode: 240
; IeeeMode: 1
; LDSByteSize: 0 bytes/workgroup (compile time only)
; SGPRBlocks: 2
; VGPRBlocks: 2
; NumSGPRsForWavesPerEU: 18
; NumVGPRsForWavesPerEU: 22
; Occupancy: 16
; WaveLimiterHint : 1
; COMPUTE_PGM_RSRC2:SCRATCH_EN: 0
; COMPUTE_PGM_RSRC2:USER_SGPR: 15
; COMPUTE_PGM_RSRC2:TRAP_HANDLER: 0
; COMPUTE_PGM_RSRC2:TGID_X_EN: 1
; COMPUTE_PGM_RSRC2:TGID_Y_EN: 0
; COMPUTE_PGM_RSRC2:TGID_Z_EN: 0
; COMPUTE_PGM_RSRC2:TIDIG_COMP_CNT: 0
	.section	.text._ZN2at6native29vectorized_elementwise_kernelILi4EZZZNS0_21clamp_max_kernel_cudaERNS_18TensorIteratorBaseERKN3c106ScalarEENKUlvE_clEvENKUlvE0_clEvEUlaE_St5arrayIPcLm2EEEEviT0_T1_,"axG",@progbits,_ZN2at6native29vectorized_elementwise_kernelILi4EZZZNS0_21clamp_max_kernel_cudaERNS_18TensorIteratorBaseERKN3c106ScalarEENKUlvE_clEvENKUlvE0_clEvEUlaE_St5arrayIPcLm2EEEEviT0_T1_,comdat
	.globl	_ZN2at6native29vectorized_elementwise_kernelILi4EZZZNS0_21clamp_max_kernel_cudaERNS_18TensorIteratorBaseERKN3c106ScalarEENKUlvE_clEvENKUlvE0_clEvEUlaE_St5arrayIPcLm2EEEEviT0_T1_ ; -- Begin function _ZN2at6native29vectorized_elementwise_kernelILi4EZZZNS0_21clamp_max_kernel_cudaERNS_18TensorIteratorBaseERKN3c106ScalarEENKUlvE_clEvENKUlvE0_clEvEUlaE_St5arrayIPcLm2EEEEviT0_T1_
	.p2align	8
	.type	_ZN2at6native29vectorized_elementwise_kernelILi4EZZZNS0_21clamp_max_kernel_cudaERNS_18TensorIteratorBaseERKN3c106ScalarEENKUlvE_clEvENKUlvE0_clEvEUlaE_St5arrayIPcLm2EEEEviT0_T1_,@function
_ZN2at6native29vectorized_elementwise_kernelILi4EZZZNS0_21clamp_max_kernel_cudaERNS_18TensorIteratorBaseERKN3c106ScalarEENKUlvE_clEvENKUlvE0_clEvEUlaE_St5arrayIPcLm2EEEEviT0_T1_: ; @_ZN2at6native29vectorized_elementwise_kernelILi4EZZZNS0_21clamp_max_kernel_cudaERNS_18TensorIteratorBaseERKN3c106ScalarEENKUlvE_clEvENKUlvE0_clEvEUlaE_St5arrayIPcLm2EEEEviT0_T1_
; %bb.0:
	s_clause 0x1
	s_load_b64 s[2:3], s[0:1], 0x0
	s_load_b128 s[4:7], s[0:1], 0x8
	s_lshl_b32 s8, s15, 12
	s_mov_b32 s9, -1
	s_waitcnt lgkmcnt(0)
	s_sub_i32 s2, s2, s8
	s_delay_alu instid0(SALU_CYCLE_1)
	s_cmpk_gt_i32 s2, 0xfff
	s_cbranch_scc0 .LBB428_2
; %bb.1:
	v_lshlrev_b32_e32 v1, 2, v0
	s_ashr_i32 s9, s8, 31
	s_add_u32 s0, s6, s8
	s_addc_u32 s1, s7, s9
	s_clause 0x3
	global_load_b32 v2, v1, s[0:1]
	global_load_b32 v3, v1, s[0:1] offset:1024
	global_load_b32 v4, v1, s[0:1] offset:2048
	;; [unrolled: 1-line block ×3, first 2 shown]
	s_bfe_i32 s1, s3, 0x80000
	s_add_u32 s0, s4, s8
	s_waitcnt vmcnt(3)
	v_lshrrev_b32_e32 v8, 16, v2
	s_waitcnt vmcnt(2)
	v_lshrrev_b32_e32 v11, 16, v3
	;; [unrolled: 2-line block ×4, first 2 shown]
	v_lshrrev_b32_e32 v7, 8, v2
	v_bfe_i32 v8, v8, 0, 8
	v_lshrrev_b32_e32 v10, 8, v3
	v_bfe_i32 v11, v11, 0, 8
	;; [unrolled: 2-line block ×4, first 2 shown]
	v_bfe_i32 v6, v2, 0, 8
	v_lshrrev_b32_e32 v2, 24, v2
	v_bfe_i32 v7, v7, 0, 8
	v_min_i16 v8, v8, s1
	v_bfe_i32 v9, v3, 0, 8
	v_lshrrev_b32_e32 v3, 24, v3
	v_bfe_i32 v10, v10, 0, 8
	v_min_i16 v11, v11, s1
	;; [unrolled: 4-line block ×4, first 2 shown]
	v_bfe_i32 v2, v2, 0, 8
	v_min_i16 v7, v7, s1
	v_and_b32_e32 v8, 0xff, v8
	v_bfe_i32 v3, v3, 0, 8
	v_min_i16 v10, v10, s1
	v_and_b32_e32 v11, 0xff, v11
	;; [unrolled: 3-line block ×4, first 2 shown]
	v_min_i16 v6, v6, s1
	v_min_i16 v2, v2, s1
	v_and_b32_e32 v7, 0xff, v7
	v_lshlrev_b32_e32 v8, 16, v8
	v_min_i16 v9, v9, s1
	v_min_i16 v3, v3, s1
	v_and_b32_e32 v10, 0xff, v10
	v_lshlrev_b32_e32 v11, 16, v11
	;; [unrolled: 4-line block ×4, first 2 shown]
	v_and_b32_e32 v6, 0xff, v6
	v_lshlrev_b32_e32 v7, 8, v7
	v_lshl_or_b32 v2, v2, 24, v8
	v_and_b32_e32 v9, 0xff, v9
	v_lshlrev_b32_e32 v10, 8, v10
	v_lshl_or_b32 v3, v3, 24, v11
	;; [unrolled: 3-line block ×4, first 2 shown]
	v_or3_b32 v2, v2, v7, v6
	v_or3_b32 v3, v3, v10, v9
	;; [unrolled: 1-line block ×3, first 2 shown]
	s_addc_u32 s1, s5, s9
	v_or3_b32 v5, v5, v16, v15
	s_mov_b32 s9, 0
	s_clause 0x3
	global_store_b32 v1, v2, s[0:1]
	global_store_b32 v1, v3, s[0:1] offset:1024
	global_store_b32 v1, v4, s[0:1] offset:2048
	;; [unrolled: 1-line block ×3, first 2 shown]
.LBB428_2:
	s_and_not1_b32 vcc_lo, exec_lo, s9
	s_cbranch_vccnz .LBB428_52
; %bb.3:
	v_cmp_gt_i32_e32 vcc_lo, s2, v0
	v_dual_mov_b32 v4, 0 :: v_dual_mov_b32 v5, 0
	v_or_b32_e32 v1, s8, v0
	v_or_b32_e32 v2, 0x100, v0
	v_mov_b32_e32 v7, v0
	s_and_saveexec_b32 s0, vcc_lo
	s_cbranch_execz .LBB428_5
; %bb.4:
	global_load_u8 v5, v1, s[6:7]
	v_or_b32_e32 v7, 0x100, v0
.LBB428_5:
	s_or_b32 exec_lo, exec_lo, s0
	s_delay_alu instid0(SALU_CYCLE_1) | instskip(NEXT) | instid1(VALU_DEP_1)
	s_mov_b32 s1, exec_lo
	v_cmpx_gt_i32_e64 s2, v7
	s_cbranch_execz .LBB428_7
; %bb.6:
	v_add_nc_u32_e32 v3, s8, v7
	v_add_nc_u32_e32 v7, 0x100, v7
	global_load_u8 v4, v3, s[6:7]
.LBB428_7:
	s_or_b32 exec_lo, exec_lo, s1
	v_dual_mov_b32 v6, 0 :: v_dual_mov_b32 v9, 0
	s_mov_b32 s1, exec_lo
	v_cmpx_gt_i32_e64 s2, v7
	s_cbranch_execz .LBB428_9
; %bb.8:
	v_add_nc_u32_e32 v3, s8, v7
	v_add_nc_u32_e32 v7, 0x100, v7
	global_load_u8 v9, v3, s[6:7]
.LBB428_9:
	s_or_b32 exec_lo, exec_lo, s1
	s_delay_alu instid0(SALU_CYCLE_1)
	s_mov_b32 s1, exec_lo
	v_cmpx_gt_i32_e64 s2, v7
	s_cbranch_execz .LBB428_11
; %bb.10:
	v_add_nc_u32_e32 v3, s8, v7
	v_add_nc_u32_e32 v7, 0x100, v7
	global_load_u8 v6, v3, s[6:7]
.LBB428_11:
	s_or_b32 exec_lo, exec_lo, s1
	v_mov_b32_e32 v10, 0
	v_mov_b32_e32 v12, 0
	s_mov_b32 s1, exec_lo
	v_cmpx_gt_i32_e64 s2, v7
	s_cbranch_execz .LBB428_13
; %bb.12:
	v_add_nc_u32_e32 v3, s8, v7
	v_add_nc_u32_e32 v7, 0x100, v7
	global_load_u8 v12, v3, s[6:7]
.LBB428_13:
	s_or_b32 exec_lo, exec_lo, s1
	s_delay_alu instid0(SALU_CYCLE_1)
	s_mov_b32 s1, exec_lo
	v_cmpx_gt_i32_e64 s2, v7
	s_cbranch_execz .LBB428_15
; %bb.14:
	v_add_nc_u32_e32 v3, s8, v7
	v_add_nc_u32_e32 v7, 0x100, v7
	global_load_u8 v10, v3, s[6:7]
.LBB428_15:
	s_or_b32 exec_lo, exec_lo, s1
	v_mov_b32_e32 v3, 0
	v_mov_b32_e32 v13, 0
	s_mov_b32 s1, exec_lo
	v_cmpx_gt_i32_e64 s2, v7
	s_cbranch_execz .LBB428_17
; %bb.16:
	v_add_nc_u32_e32 v8, s8, v7
	v_add_nc_u32_e32 v7, 0x100, v7
	global_load_u8 v13, v8, s[6:7]
.LBB428_17:
	s_or_b32 exec_lo, exec_lo, s1
	s_delay_alu instid0(SALU_CYCLE_1)
	s_mov_b32 s1, exec_lo
	v_cmpx_gt_i32_e64 s2, v7
	s_cbranch_execz .LBB428_19
; %bb.18:
	v_add_nc_u32_e32 v3, s8, v7
	v_add_nc_u32_e32 v7, 0x100, v7
	global_load_u8 v3, v3, s[6:7]
.LBB428_19:
	s_or_b32 exec_lo, exec_lo, s1
	v_dual_mov_b32 v14, 0 :: v_dual_mov_b32 v15, 0
	s_mov_b32 s1, exec_lo
	v_cmpx_gt_i32_e64 s2, v7
	s_cbranch_execz .LBB428_21
; %bb.20:
	v_add_nc_u32_e32 v8, s8, v7
	v_add_nc_u32_e32 v7, 0x100, v7
	global_load_u8 v15, v8, s[6:7]
.LBB428_21:
	s_or_b32 exec_lo, exec_lo, s1
	s_delay_alu instid0(SALU_CYCLE_1)
	s_mov_b32 s1, exec_lo
	v_cmpx_gt_i32_e64 s2, v7
	s_cbranch_execz .LBB428_23
; %bb.22:
	v_add_nc_u32_e32 v8, s8, v7
	v_add_nc_u32_e32 v7, 0x100, v7
	global_load_u8 v14, v8, s[6:7]
.LBB428_23:
	s_or_b32 exec_lo, exec_lo, s1
	v_dual_mov_b32 v8, 0 :: v_dual_mov_b32 v11, 0
	s_mov_b32 s1, exec_lo
	v_cmpx_gt_i32_e64 s2, v7
	s_cbranch_execz .LBB428_25
; %bb.24:
	v_add_nc_u32_e32 v11, s8, v7
	v_add_nc_u32_e32 v7, 0x100, v7
	global_load_u8 v11, v11, s[6:7]
.LBB428_25:
	s_or_b32 exec_lo, exec_lo, s1
	s_delay_alu instid0(SALU_CYCLE_1)
	s_mov_b32 s1, exec_lo
	v_cmpx_gt_i32_e64 s2, v7
	s_cbranch_execz .LBB428_27
; %bb.26:
	v_add_nc_u32_e32 v8, s8, v7
	v_add_nc_u32_e32 v7, 0x100, v7
	global_load_u8 v8, v8, s[6:7]
.LBB428_27:
	s_or_b32 exec_lo, exec_lo, s1
	v_mov_b32_e32 v17, 0
	v_mov_b32_e32 v19, 0
	s_mov_b32 s1, exec_lo
	v_cmpx_gt_i32_e64 s2, v7
	s_cbranch_execz .LBB428_29
; %bb.28:
	v_add_nc_u32_e32 v16, s8, v7
	v_add_nc_u32_e32 v7, 0x100, v7
	global_load_u8 v19, v16, s[6:7]
.LBB428_29:
	s_or_b32 exec_lo, exec_lo, s1
	s_delay_alu instid0(SALU_CYCLE_1)
	s_mov_b32 s1, exec_lo
	v_cmpx_gt_i32_e64 s2, v7
	s_cbranch_execz .LBB428_31
; %bb.30:
	v_add_nc_u32_e32 v16, s8, v7
	v_add_nc_u32_e32 v7, 0x100, v7
	global_load_u8 v17, v16, s[6:7]
.LBB428_31:
	s_or_b32 exec_lo, exec_lo, s1
	v_mov_b32_e32 v16, 0
	v_mov_b32_e32 v18, 0
	s_mov_b32 s1, exec_lo
	v_cmpx_gt_i32_e64 s2, v7
	s_cbranch_execz .LBB428_33
; %bb.32:
	v_add_nc_u32_e32 v18, s8, v7
	v_add_nc_u32_e32 v7, 0x100, v7
	global_load_u8 v18, v18, s[6:7]
.LBB428_33:
	s_or_b32 exec_lo, exec_lo, s1
	s_delay_alu instid0(SALU_CYCLE_1)
	s_mov_b32 s1, exec_lo
	v_cmpx_gt_i32_e64 s2, v7
	s_cbranch_execz .LBB428_35
; %bb.34:
	v_add_nc_u32_e32 v7, s8, v7
	global_load_u8 v16, v7, s[6:7]
.LBB428_35:
	s_or_b32 exec_lo, exec_lo, s1
	s_waitcnt vmcnt(0)
	v_bfe_i32 v5, v5, 0, 8
	v_bfe_i32 v4, v4, 0, 8
	s_bfe_i32 s1, s3, 0x80000
	v_bfe_i32 v12, v12, 0, 8
	v_or_b32_e32 v20, 0x400, v0
	v_min_i16 v5, v5, s1
	v_min_i16 v4, v4, s1
	v_bfe_i32 v9, v9, 0, 8
	v_min_i16 v12, v12, s1
	v_bfe_i32 v10, v10, 0, 8
	v_and_b32_e32 v5, 0xff, v5
	v_lshlrev_b16 v4, 8, v4
	v_cmp_gt_i32_e64 s0, s2, v20
	v_perm_b32 v12, v12, 0, 0x3020104
	v_min_i16 v9, v9, s1
	v_min_i16 v10, v10, s1
	v_or_b32_e32 v4, v5, v4
	v_and_b32_e32 v5, 0xffff, v5
	v_cndmask_b32_e64 v12, 0, v12, s0
	v_cmp_gt_i32_e64 s0, s2, v2
	v_and_b32_e32 v9, 0xff, v9
	v_and_b32_e32 v4, 0xffff, v4
	v_or_b32_e32 v7, 0x200, v0
	v_or_b32_e32 v20, 0x500, v0
	v_bfe_i32 v6, v6, 0, 8
	v_lshlrev_b32_e32 v9, 16, v9
	v_cndmask_b32_e64 v4, v5, v4, s0
	v_lshlrev_b16 v5, 8, v10
	v_and_b32_e32 v10, 0xff, v12
	v_cmp_gt_i32_e64 s0, s2, v7
	v_bfe_i32 v13, v13, 0, 8
	v_or_b32_e32 v9, v4, v9
	v_bfe_i32 v7, v14, 0, 8
	v_or_b32_e32 v5, v10, v5
	v_min_i16 v6, v6, s1
	v_or_b32_e32 v21, 0x600, v0
	v_cndmask_b32_e64 v4, v4, v9, s0
	v_bfe_i32 v9, v19, 0, 8
	v_and_b32_e32 v5, 0xffff, v5
	v_cmp_gt_i32_e64 s0, s2, v20
	v_min_i16 v13, v13, s1
	v_lshrrev_b32_e32 v14, 16, v4
	v_min_i16 v9, v9, s1
	v_and_or_b32 v5, 0xffff0000, v12, v5
	v_lshlrev_b16 v6, 8, v6
	v_bfe_i32 v10, v15, 0, 8
	v_and_b32_e32 v14, 0xff, v14
	v_perm_b32 v9, v9, 0, 0x3020104
	v_cndmask_b32_e64 v5, v12, v5, s0
	v_or_b32_e32 v12, 0xc00, v0
	v_min_i16 v10, v10, s1
	v_or_b32_e32 v6, v14, v6
	v_bfe_i32 v14, v17, 0, 8
	v_perm_b32 v13, v5, v13, 0x7000504
	v_cmp_gt_i32_e64 s0, s2, v12
	v_min_i16 v7, v7, s1
	v_and_b32_e32 v10, 0xff, v10
	v_min_i16 v12, v14, s1
	v_bfe_i32 v11, v11, 0, 8
	v_cndmask_b32_e64 v9, 0, v9, s0
	v_cmp_gt_i32_e64 s0, s2, v21
	v_lshlrev_b16 v7, 8, v7
	v_lshlrev_b16 v12, 8, v12
	v_min_i16 v11, v11, s1
	v_or_b32_e32 v15, 0xd00, v0
	v_cndmask_b32_e64 v5, v5, v13, s0
	v_and_b32_e32 v13, 0xff, v9
	v_or_b32_e32 v7, v10, v7
	v_and_b32_e32 v10, 0xffff, v10
	v_and_b32_e32 v11, 0xff, v11
	v_lshrrev_b32_e32 v14, 16, v5
	v_or_b32_e32 v12, v13, v12
	v_and_b32_e32 v7, 0xffff, v7
	v_bfe_i32 v17, v18, 0, 8
	v_bfe_i32 v3, v3, 0, 8
	v_and_b32_e32 v13, 0xff, v14
	v_or_b32_e32 v14, 0x900, v0
	v_and_b32_e32 v12, 0xffff, v12
	v_bfe_i32 v8, v8, 0, 8
	v_min_i16 v3, v3, s1
	v_lshlrev_b32_e32 v6, 16, v6
	v_cmp_gt_i32_e64 s0, s2, v14
	v_and_or_b32 v12, 0xffff0000, v9, v12
	v_or_b32_e32 v14, 0xe00, v0
	v_lshlrev_b16 v3, 8, v3
	v_min_i16 v8, v8, s1
	v_cndmask_b32_e64 v7, v10, v7, s0
	v_cmp_gt_i32_e64 s0, s2, v15
	v_lshlrev_b32_e32 v10, 16, v11
	v_min_i16 v11, v17, s1
	v_or_b32_e32 v3, v13, v3
	v_lshlrev_b16 v8, 8, v8
	v_cndmask_b32_e64 v9, v9, v12, s0
	v_or_b32_e32 v12, 0xa00, v0
	v_or_b32_e32 v10, v7, v10
	;; [unrolled: 1-line block ×3, first 2 shown]
	v_and_or_b32 v6, 0xffff, v4, v6
	v_perm_b32 v11, v9, v11, 0x7000504
	v_cmp_gt_i32_e64 s0, s2, v12
	v_lshlrev_b32_e32 v3, 16, v3
	s_delay_alu instid0(VALU_DEP_2) | instskip(SKIP_2) | instid1(VALU_DEP_4)
	v_cndmask_b32_e64 v7, v7, v10, s0
	v_cmp_gt_i32_e64 s0, s2, v14
	v_bfe_i32 v10, v16, 0, 8
	v_and_or_b32 v3, 0xffff, v5, v3
	s_delay_alu instid0(VALU_DEP_3) | instskip(SKIP_1) | instid1(VALU_DEP_4)
	v_cndmask_b32_e64 v9, v9, v11, s0
	v_lshrrev_b32_e32 v11, 16, v7
	v_min_i16 v10, v10, s1
	v_cmp_gt_i32_e64 s0, s2, v13
	s_delay_alu instid0(VALU_DEP_4) | instskip(NEXT) | instid1(VALU_DEP_4)
	v_lshrrev_b32_e32 v12, 16, v9
	v_and_b32_e32 v11, 0xff, v11
	s_delay_alu instid0(VALU_DEP_4) | instskip(NEXT) | instid1(VALU_DEP_4)
	v_lshlrev_b16 v10, 8, v10
	v_cndmask_b32_e64 v6, v4, v6, s0
	s_delay_alu instid0(VALU_DEP_4) | instskip(NEXT) | instid1(VALU_DEP_4)
	v_and_b32_e32 v12, 0xff, v12
	v_or_b32_e32 v8, v11, v8
	v_or_b32_e32 v11, 0xb00, v0
	s_delay_alu instid0(VALU_DEP_3) | instskip(NEXT) | instid1(VALU_DEP_3)
	v_or_b32_e32 v10, v12, v10
	v_lshlrev_b32_e32 v4, 16, v8
	v_or_b32_e32 v8, 0x700, v0
	v_or_b32_e32 v12, 0xf00, v0
	s_delay_alu instid0(VALU_DEP_4) | instskip(NEXT) | instid1(VALU_DEP_4)
	v_lshlrev_b32_e32 v10, 16, v10
	v_and_or_b32 v4, 0xffff, v7, v4
	s_delay_alu instid0(VALU_DEP_4) | instskip(NEXT) | instid1(VALU_DEP_3)
	v_cmp_gt_i32_e64 s0, s2, v8
	v_and_or_b32 v10, 0xffff, v9, v10
	s_delay_alu instid0(VALU_DEP_2) | instskip(SKIP_1) | instid1(VALU_DEP_1)
	v_cndmask_b32_e64 v5, v5, v3, s0
	v_cmp_gt_i32_e64 s0, s2, v11
	v_cndmask_b32_e64 v4, v7, v4, s0
	v_cmp_gt_i32_e64 s0, s2, v12
	s_delay_alu instid0(VALU_DEP_1)
	v_cndmask_b32_e64 v3, v9, v10, s0
	s_and_saveexec_b32 s0, vcc_lo
	s_cbranch_execnz .LBB428_53
; %bb.36:
	s_or_b32 exec_lo, exec_lo, s0
	s_delay_alu instid0(SALU_CYCLE_1)
	s_mov_b32 s0, exec_lo
	v_cmpx_gt_i32_e64 s2, v0
	s_cbranch_execnz .LBB428_54
.LBB428_37:
	s_or_b32 exec_lo, exec_lo, s0
	s_delay_alu instid0(SALU_CYCLE_1)
	s_mov_b32 s0, exec_lo
	v_cmpx_gt_i32_e64 s2, v0
	s_cbranch_execnz .LBB428_55
.LBB428_38:
	s_or_b32 exec_lo, exec_lo, s0
	s_delay_alu instid0(SALU_CYCLE_1)
	s_mov_b32 s0, exec_lo
	v_cmpx_gt_i32_e64 s2, v0
	s_cbranch_execnz .LBB428_56
.LBB428_39:
	s_or_b32 exec_lo, exec_lo, s0
	s_delay_alu instid0(SALU_CYCLE_1)
	s_mov_b32 s0, exec_lo
	v_cmpx_gt_i32_e64 s2, v0
	s_cbranch_execnz .LBB428_57
.LBB428_40:
	s_or_b32 exec_lo, exec_lo, s0
	s_delay_alu instid0(SALU_CYCLE_1)
	s_mov_b32 s0, exec_lo
	v_cmpx_gt_i32_e64 s2, v0
	s_cbranch_execnz .LBB428_58
.LBB428_41:
	s_or_b32 exec_lo, exec_lo, s0
	s_delay_alu instid0(SALU_CYCLE_1)
	s_mov_b32 s0, exec_lo
	v_cmpx_gt_i32_e64 s2, v0
	s_cbranch_execnz .LBB428_59
.LBB428_42:
	s_or_b32 exec_lo, exec_lo, s0
	s_delay_alu instid0(SALU_CYCLE_1)
	s_mov_b32 s0, exec_lo
	v_cmpx_gt_i32_e64 s2, v0
	s_cbranch_execnz .LBB428_60
.LBB428_43:
	s_or_b32 exec_lo, exec_lo, s0
	s_delay_alu instid0(SALU_CYCLE_1)
	s_mov_b32 s0, exec_lo
	v_cmpx_gt_i32_e64 s2, v0
	s_cbranch_execnz .LBB428_61
.LBB428_44:
	s_or_b32 exec_lo, exec_lo, s0
	s_delay_alu instid0(SALU_CYCLE_1)
	s_mov_b32 s0, exec_lo
	v_cmpx_gt_i32_e64 s2, v0
	s_cbranch_execnz .LBB428_62
.LBB428_45:
	s_or_b32 exec_lo, exec_lo, s0
	s_delay_alu instid0(SALU_CYCLE_1)
	s_mov_b32 s0, exec_lo
	v_cmpx_gt_i32_e64 s2, v0
	s_cbranch_execnz .LBB428_63
.LBB428_46:
	s_or_b32 exec_lo, exec_lo, s0
	s_delay_alu instid0(SALU_CYCLE_1)
	s_mov_b32 s0, exec_lo
	v_cmpx_gt_i32_e64 s2, v0
	s_cbranch_execnz .LBB428_64
.LBB428_47:
	s_or_b32 exec_lo, exec_lo, s0
	s_delay_alu instid0(SALU_CYCLE_1)
	s_mov_b32 s0, exec_lo
	v_cmpx_gt_i32_e64 s2, v0
	s_cbranch_execnz .LBB428_65
.LBB428_48:
	s_or_b32 exec_lo, exec_lo, s0
	s_delay_alu instid0(SALU_CYCLE_1)
	s_mov_b32 s0, exec_lo
	v_cmpx_gt_i32_e64 s2, v0
	s_cbranch_execnz .LBB428_66
.LBB428_49:
	s_or_b32 exec_lo, exec_lo, s0
	s_delay_alu instid0(SALU_CYCLE_1)
	s_mov_b32 s0, exec_lo
	v_cmpx_gt_i32_e64 s2, v0
	s_cbranch_execnz .LBB428_67
.LBB428_50:
	s_or_b32 exec_lo, exec_lo, s0
	s_delay_alu instid0(SALU_CYCLE_1)
	s_mov_b32 s0, exec_lo
	v_cmpx_gt_i32_e64 s2, v0
	s_cbranch_execz .LBB428_52
.LBB428_51:
	v_add_nc_u32_e32 v0, s8, v0
	v_lshrrev_b32_e32 v1, 24, v3
	global_store_b8 v0, v1, s[4:5]
.LBB428_52:
	s_nop 0
	s_sendmsg sendmsg(MSG_DEALLOC_VGPRS)
	s_endpgm
.LBB428_53:
	v_mov_b32_e32 v0, v2
	global_store_b8 v1, v6, s[4:5]
	s_or_b32 exec_lo, exec_lo, s0
	s_delay_alu instid0(SALU_CYCLE_1)
	s_mov_b32 s0, exec_lo
	v_cmpx_gt_i32_e64 s2, v0
	s_cbranch_execz .LBB428_37
.LBB428_54:
	v_add_nc_u32_e32 v1, s8, v0
	v_lshrrev_b32_e32 v2, 8, v6
	v_add_nc_u32_e32 v0, 0x100, v0
	global_store_b8 v1, v2, s[4:5]
	s_or_b32 exec_lo, exec_lo, s0
	s_delay_alu instid0(SALU_CYCLE_1)
	s_mov_b32 s0, exec_lo
	v_cmpx_gt_i32_e64 s2, v0
	s_cbranch_execz .LBB428_38
.LBB428_55:
	v_add_nc_u32_e32 v1, s8, v0
	v_add_nc_u32_e32 v0, 0x100, v0
	global_store_d16_hi_b8 v1, v6, s[4:5]
	s_or_b32 exec_lo, exec_lo, s0
	s_delay_alu instid0(SALU_CYCLE_1)
	s_mov_b32 s0, exec_lo
	v_cmpx_gt_i32_e64 s2, v0
	s_cbranch_execz .LBB428_39
.LBB428_56:
	v_add_nc_u32_e32 v1, s8, v0
	v_lshrrev_b32_e32 v2, 24, v6
	v_add_nc_u32_e32 v0, 0x100, v0
	global_store_b8 v1, v2, s[4:5]
	s_or_b32 exec_lo, exec_lo, s0
	s_delay_alu instid0(SALU_CYCLE_1)
	s_mov_b32 s0, exec_lo
	v_cmpx_gt_i32_e64 s2, v0
	s_cbranch_execz .LBB428_40
.LBB428_57:
	v_add_nc_u32_e32 v1, s8, v0
	v_add_nc_u32_e32 v0, 0x100, v0
	global_store_b8 v1, v5, s[4:5]
	s_or_b32 exec_lo, exec_lo, s0
	s_delay_alu instid0(SALU_CYCLE_1)
	s_mov_b32 s0, exec_lo
	v_cmpx_gt_i32_e64 s2, v0
	s_cbranch_execz .LBB428_41
.LBB428_58:
	v_add_nc_u32_e32 v1, s8, v0
	v_lshrrev_b32_e32 v2, 8, v5
	v_add_nc_u32_e32 v0, 0x100, v0
	global_store_b8 v1, v2, s[4:5]
	s_or_b32 exec_lo, exec_lo, s0
	s_delay_alu instid0(SALU_CYCLE_1)
	s_mov_b32 s0, exec_lo
	v_cmpx_gt_i32_e64 s2, v0
	s_cbranch_execz .LBB428_42
.LBB428_59:
	v_add_nc_u32_e32 v1, s8, v0
	v_add_nc_u32_e32 v0, 0x100, v0
	global_store_d16_hi_b8 v1, v5, s[4:5]
	s_or_b32 exec_lo, exec_lo, s0
	s_delay_alu instid0(SALU_CYCLE_1)
	s_mov_b32 s0, exec_lo
	v_cmpx_gt_i32_e64 s2, v0
	s_cbranch_execz .LBB428_43
.LBB428_60:
	v_add_nc_u32_e32 v1, s8, v0
	v_lshrrev_b32_e32 v2, 24, v5
	v_add_nc_u32_e32 v0, 0x100, v0
	global_store_b8 v1, v2, s[4:5]
	s_or_b32 exec_lo, exec_lo, s0
	s_delay_alu instid0(SALU_CYCLE_1)
	s_mov_b32 s0, exec_lo
	v_cmpx_gt_i32_e64 s2, v0
	s_cbranch_execz .LBB428_44
.LBB428_61:
	v_add_nc_u32_e32 v1, s8, v0
	v_add_nc_u32_e32 v0, 0x100, v0
	global_store_b8 v1, v4, s[4:5]
	s_or_b32 exec_lo, exec_lo, s0
	s_delay_alu instid0(SALU_CYCLE_1)
	s_mov_b32 s0, exec_lo
	v_cmpx_gt_i32_e64 s2, v0
	s_cbranch_execz .LBB428_45
.LBB428_62:
	v_add_nc_u32_e32 v1, s8, v0
	v_lshrrev_b32_e32 v2, 8, v4
	v_add_nc_u32_e32 v0, 0x100, v0
	global_store_b8 v1, v2, s[4:5]
	s_or_b32 exec_lo, exec_lo, s0
	s_delay_alu instid0(SALU_CYCLE_1)
	s_mov_b32 s0, exec_lo
	v_cmpx_gt_i32_e64 s2, v0
	s_cbranch_execz .LBB428_46
.LBB428_63:
	v_add_nc_u32_e32 v1, s8, v0
	v_add_nc_u32_e32 v0, 0x100, v0
	global_store_d16_hi_b8 v1, v4, s[4:5]
	s_or_b32 exec_lo, exec_lo, s0
	s_delay_alu instid0(SALU_CYCLE_1)
	s_mov_b32 s0, exec_lo
	v_cmpx_gt_i32_e64 s2, v0
	s_cbranch_execz .LBB428_47
.LBB428_64:
	v_add_nc_u32_e32 v1, s8, v0
	v_lshrrev_b32_e32 v2, 24, v4
	v_add_nc_u32_e32 v0, 0x100, v0
	global_store_b8 v1, v2, s[4:5]
	s_or_b32 exec_lo, exec_lo, s0
	s_delay_alu instid0(SALU_CYCLE_1)
	s_mov_b32 s0, exec_lo
	v_cmpx_gt_i32_e64 s2, v0
	s_cbranch_execz .LBB428_48
.LBB428_65:
	v_add_nc_u32_e32 v1, s8, v0
	v_add_nc_u32_e32 v0, 0x100, v0
	global_store_b8 v1, v3, s[4:5]
	s_or_b32 exec_lo, exec_lo, s0
	s_delay_alu instid0(SALU_CYCLE_1)
	s_mov_b32 s0, exec_lo
	v_cmpx_gt_i32_e64 s2, v0
	s_cbranch_execz .LBB428_49
.LBB428_66:
	v_add_nc_u32_e32 v1, s8, v0
	v_lshrrev_b32_e32 v2, 8, v3
	v_add_nc_u32_e32 v0, 0x100, v0
	global_store_b8 v1, v2, s[4:5]
	s_or_b32 exec_lo, exec_lo, s0
	s_delay_alu instid0(SALU_CYCLE_1)
	s_mov_b32 s0, exec_lo
	v_cmpx_gt_i32_e64 s2, v0
	s_cbranch_execz .LBB428_50
.LBB428_67:
	v_add_nc_u32_e32 v1, s8, v0
	v_add_nc_u32_e32 v0, 0x100, v0
	global_store_d16_hi_b8 v1, v3, s[4:5]
	s_or_b32 exec_lo, exec_lo, s0
	s_delay_alu instid0(SALU_CYCLE_1)
	s_mov_b32 s0, exec_lo
	v_cmpx_gt_i32_e64 s2, v0
	s_cbranch_execnz .LBB428_51
	s_branch .LBB428_52
	.section	.rodata,"a",@progbits
	.p2align	6, 0x0
	.amdhsa_kernel _ZN2at6native29vectorized_elementwise_kernelILi4EZZZNS0_21clamp_max_kernel_cudaERNS_18TensorIteratorBaseERKN3c106ScalarEENKUlvE_clEvENKUlvE0_clEvEUlaE_St5arrayIPcLm2EEEEviT0_T1_
		.amdhsa_group_segment_fixed_size 0
		.amdhsa_private_segment_fixed_size 0
		.amdhsa_kernarg_size 24
		.amdhsa_user_sgpr_count 15
		.amdhsa_user_sgpr_dispatch_ptr 0
		.amdhsa_user_sgpr_queue_ptr 0
		.amdhsa_user_sgpr_kernarg_segment_ptr 1
		.amdhsa_user_sgpr_dispatch_id 0
		.amdhsa_user_sgpr_private_segment_size 0
		.amdhsa_wavefront_size32 1
		.amdhsa_uses_dynamic_stack 0
		.amdhsa_enable_private_segment 0
		.amdhsa_system_sgpr_workgroup_id_x 1
		.amdhsa_system_sgpr_workgroup_id_y 0
		.amdhsa_system_sgpr_workgroup_id_z 0
		.amdhsa_system_sgpr_workgroup_info 0
		.amdhsa_system_vgpr_workitem_id 0
		.amdhsa_next_free_vgpr 22
		.amdhsa_next_free_sgpr 16
		.amdhsa_reserve_vcc 1
		.amdhsa_float_round_mode_32 0
		.amdhsa_float_round_mode_16_64 0
		.amdhsa_float_denorm_mode_32 3
		.amdhsa_float_denorm_mode_16_64 3
		.amdhsa_dx10_clamp 1
		.amdhsa_ieee_mode 1
		.amdhsa_fp16_overflow 0
		.amdhsa_workgroup_processor_mode 1
		.amdhsa_memory_ordered 1
		.amdhsa_forward_progress 0
		.amdhsa_shared_vgpr_count 0
		.amdhsa_exception_fp_ieee_invalid_op 0
		.amdhsa_exception_fp_denorm_src 0
		.amdhsa_exception_fp_ieee_div_zero 0
		.amdhsa_exception_fp_ieee_overflow 0
		.amdhsa_exception_fp_ieee_underflow 0
		.amdhsa_exception_fp_ieee_inexact 0
		.amdhsa_exception_int_div_zero 0
	.end_amdhsa_kernel
	.section	.text._ZN2at6native29vectorized_elementwise_kernelILi4EZZZNS0_21clamp_max_kernel_cudaERNS_18TensorIteratorBaseERKN3c106ScalarEENKUlvE_clEvENKUlvE0_clEvEUlaE_St5arrayIPcLm2EEEEviT0_T1_,"axG",@progbits,_ZN2at6native29vectorized_elementwise_kernelILi4EZZZNS0_21clamp_max_kernel_cudaERNS_18TensorIteratorBaseERKN3c106ScalarEENKUlvE_clEvENKUlvE0_clEvEUlaE_St5arrayIPcLm2EEEEviT0_T1_,comdat
.Lfunc_end428:
	.size	_ZN2at6native29vectorized_elementwise_kernelILi4EZZZNS0_21clamp_max_kernel_cudaERNS_18TensorIteratorBaseERKN3c106ScalarEENKUlvE_clEvENKUlvE0_clEvEUlaE_St5arrayIPcLm2EEEEviT0_T1_, .Lfunc_end428-_ZN2at6native29vectorized_elementwise_kernelILi4EZZZNS0_21clamp_max_kernel_cudaERNS_18TensorIteratorBaseERKN3c106ScalarEENKUlvE_clEvENKUlvE0_clEvEUlaE_St5arrayIPcLm2EEEEviT0_T1_
                                        ; -- End function
	.section	.AMDGPU.csdata,"",@progbits
; Kernel info:
; codeLenInByte = 3520
; NumSgprs: 18
; NumVgprs: 22
; ScratchSize: 0
; MemoryBound: 0
; FloatMode: 240
; IeeeMode: 1
; LDSByteSize: 0 bytes/workgroup (compile time only)
; SGPRBlocks: 2
; VGPRBlocks: 2
; NumSGPRsForWavesPerEU: 18
; NumVGPRsForWavesPerEU: 22
; Occupancy: 16
; WaveLimiterHint : 1
; COMPUTE_PGM_RSRC2:SCRATCH_EN: 0
; COMPUTE_PGM_RSRC2:USER_SGPR: 15
; COMPUTE_PGM_RSRC2:TRAP_HANDLER: 0
; COMPUTE_PGM_RSRC2:TGID_X_EN: 1
; COMPUTE_PGM_RSRC2:TGID_Y_EN: 0
; COMPUTE_PGM_RSRC2:TGID_Z_EN: 0
; COMPUTE_PGM_RSRC2:TIDIG_COMP_CNT: 0
	.section	.text._ZN2at6native29vectorized_elementwise_kernelILi2EZZZNS0_21clamp_max_kernel_cudaERNS_18TensorIteratorBaseERKN3c106ScalarEENKUlvE_clEvENKUlvE0_clEvEUlaE_St5arrayIPcLm2EEEEviT0_T1_,"axG",@progbits,_ZN2at6native29vectorized_elementwise_kernelILi2EZZZNS0_21clamp_max_kernel_cudaERNS_18TensorIteratorBaseERKN3c106ScalarEENKUlvE_clEvENKUlvE0_clEvEUlaE_St5arrayIPcLm2EEEEviT0_T1_,comdat
	.globl	_ZN2at6native29vectorized_elementwise_kernelILi2EZZZNS0_21clamp_max_kernel_cudaERNS_18TensorIteratorBaseERKN3c106ScalarEENKUlvE_clEvENKUlvE0_clEvEUlaE_St5arrayIPcLm2EEEEviT0_T1_ ; -- Begin function _ZN2at6native29vectorized_elementwise_kernelILi2EZZZNS0_21clamp_max_kernel_cudaERNS_18TensorIteratorBaseERKN3c106ScalarEENKUlvE_clEvENKUlvE0_clEvEUlaE_St5arrayIPcLm2EEEEviT0_T1_
	.p2align	8
	.type	_ZN2at6native29vectorized_elementwise_kernelILi2EZZZNS0_21clamp_max_kernel_cudaERNS_18TensorIteratorBaseERKN3c106ScalarEENKUlvE_clEvENKUlvE0_clEvEUlaE_St5arrayIPcLm2EEEEviT0_T1_,@function
_ZN2at6native29vectorized_elementwise_kernelILi2EZZZNS0_21clamp_max_kernel_cudaERNS_18TensorIteratorBaseERKN3c106ScalarEENKUlvE_clEvENKUlvE0_clEvEUlaE_St5arrayIPcLm2EEEEviT0_T1_: ; @_ZN2at6native29vectorized_elementwise_kernelILi2EZZZNS0_21clamp_max_kernel_cudaERNS_18TensorIteratorBaseERKN3c106ScalarEENKUlvE_clEvENKUlvE0_clEvEUlaE_St5arrayIPcLm2EEEEviT0_T1_
; %bb.0:
	s_clause 0x1
	s_load_b64 s[2:3], s[0:1], 0x0
	s_load_b128 s[4:7], s[0:1], 0x8
	s_lshl_b32 s1, s15, 12
	s_mov_b32 s0, -1
	s_waitcnt lgkmcnt(0)
	s_sub_i32 s2, s2, s1
	s_delay_alu instid0(SALU_CYCLE_1)
	s_cmpk_gt_i32 s2, 0xfff
	s_cbranch_scc0 .LBB429_2
; %bb.1:
	v_lshlrev_b32_e32 v1, 1, v0
	s_ashr_i32 s10, s1, 31
	s_add_u32 s8, s6, s1
	s_addc_u32 s9, s7, s10
	s_bfe_i32 s11, s3, 0x80000
	s_clause 0x7
	global_load_u16 v2, v1, s[8:9]
	global_load_u16 v3, v1, s[8:9] offset:512
	global_load_u16 v4, v1, s[8:9] offset:1024
	;; [unrolled: 1-line block ×7, first 2 shown]
	s_add_u32 s8, s4, s1
	s_addc_u32 s9, s5, s10
	s_mov_b32 s0, 0
	s_waitcnt vmcnt(7)
	v_bfe_i32 v10, v2, 0, 8
	v_ashrrev_i16 v2, 8, v2
	s_waitcnt vmcnt(6)
	v_bfe_i32 v11, v3, 0, 8
	v_ashrrev_i16 v3, 8, v3
	;; [unrolled: 3-line block ×8, first 2 shown]
	v_min_i16 v10, v10, s11
	v_min_i16 v2, v2, s11
	;; [unrolled: 1-line block ×16, first 2 shown]
	v_lshlrev_b16 v2, 8, v2
	v_and_b32_e32 v10, 0xff, v10
	v_lshlrev_b16 v3, 8, v3
	v_and_b32_e32 v11, 0xff, v11
	;; [unrolled: 2-line block ×8, first 2 shown]
	v_or_b32_e32 v2, v2, v10
	v_or_b32_e32 v3, v3, v11
	;; [unrolled: 1-line block ×8, first 2 shown]
	s_clause 0x7
	global_store_b16 v1, v2, s[8:9]
	global_store_b16 v1, v3, s[8:9] offset:512
	global_store_b16 v1, v4, s[8:9] offset:1024
	;; [unrolled: 1-line block ×7, first 2 shown]
.LBB429_2:
	s_and_not1_b32 vcc_lo, exec_lo, s0
	s_cbranch_vccnz .LBB429_52
; %bb.3:
	v_cmp_gt_i32_e32 vcc_lo, s2, v0
	v_dual_mov_b32 v4, 0 :: v_dual_mov_b32 v5, 0
	v_or_b32_e32 v1, s1, v0
	v_or_b32_e32 v2, 0x100, v0
	v_mov_b32_e32 v7, v0
	s_and_saveexec_b32 s0, vcc_lo
	s_cbranch_execz .LBB429_5
; %bb.4:
	global_load_u8 v5, v1, s[6:7]
	v_or_b32_e32 v7, 0x100, v0
.LBB429_5:
	s_or_b32 exec_lo, exec_lo, s0
	s_delay_alu instid0(SALU_CYCLE_1) | instskip(NEXT) | instid1(VALU_DEP_1)
	s_mov_b32 s8, exec_lo
	v_cmpx_gt_i32_e64 s2, v7
	s_cbranch_execz .LBB429_7
; %bb.6:
	v_add_nc_u32_e32 v3, s1, v7
	v_add_nc_u32_e32 v7, 0x100, v7
	global_load_u8 v4, v3, s[6:7]
.LBB429_7:
	s_or_b32 exec_lo, exec_lo, s8
	v_dual_mov_b32 v6, 0 :: v_dual_mov_b32 v9, 0
	s_mov_b32 s8, exec_lo
	v_cmpx_gt_i32_e64 s2, v7
	s_cbranch_execz .LBB429_9
; %bb.8:
	v_add_nc_u32_e32 v3, s1, v7
	v_add_nc_u32_e32 v7, 0x100, v7
	global_load_u8 v9, v3, s[6:7]
.LBB429_9:
	s_or_b32 exec_lo, exec_lo, s8
	s_delay_alu instid0(SALU_CYCLE_1)
	s_mov_b32 s8, exec_lo
	v_cmpx_gt_i32_e64 s2, v7
	s_cbranch_execz .LBB429_11
; %bb.10:
	v_add_nc_u32_e32 v3, s1, v7
	v_add_nc_u32_e32 v7, 0x100, v7
	global_load_u8 v6, v3, s[6:7]
.LBB429_11:
	s_or_b32 exec_lo, exec_lo, s8
	v_mov_b32_e32 v10, 0
	v_mov_b32_e32 v12, 0
	s_mov_b32 s8, exec_lo
	v_cmpx_gt_i32_e64 s2, v7
	s_cbranch_execz .LBB429_13
; %bb.12:
	v_add_nc_u32_e32 v3, s1, v7
	v_add_nc_u32_e32 v7, 0x100, v7
	global_load_u8 v12, v3, s[6:7]
.LBB429_13:
	s_or_b32 exec_lo, exec_lo, s8
	s_delay_alu instid0(SALU_CYCLE_1)
	s_mov_b32 s8, exec_lo
	v_cmpx_gt_i32_e64 s2, v7
	s_cbranch_execz .LBB429_15
; %bb.14:
	v_add_nc_u32_e32 v3, s1, v7
	v_add_nc_u32_e32 v7, 0x100, v7
	global_load_u8 v10, v3, s[6:7]
.LBB429_15:
	s_or_b32 exec_lo, exec_lo, s8
	v_mov_b32_e32 v3, 0
	v_mov_b32_e32 v13, 0
	s_mov_b32 s8, exec_lo
	v_cmpx_gt_i32_e64 s2, v7
	s_cbranch_execz .LBB429_17
; %bb.16:
	v_add_nc_u32_e32 v8, s1, v7
	v_add_nc_u32_e32 v7, 0x100, v7
	global_load_u8 v13, v8, s[6:7]
.LBB429_17:
	s_or_b32 exec_lo, exec_lo, s8
	s_delay_alu instid0(SALU_CYCLE_1)
	s_mov_b32 s8, exec_lo
	v_cmpx_gt_i32_e64 s2, v7
	s_cbranch_execz .LBB429_19
; %bb.18:
	v_add_nc_u32_e32 v3, s1, v7
	v_add_nc_u32_e32 v7, 0x100, v7
	global_load_u8 v3, v3, s[6:7]
.LBB429_19:
	s_or_b32 exec_lo, exec_lo, s8
	v_dual_mov_b32 v14, 0 :: v_dual_mov_b32 v15, 0
	s_mov_b32 s8, exec_lo
	v_cmpx_gt_i32_e64 s2, v7
	s_cbranch_execz .LBB429_21
; %bb.20:
	v_add_nc_u32_e32 v8, s1, v7
	v_add_nc_u32_e32 v7, 0x100, v7
	global_load_u8 v15, v8, s[6:7]
.LBB429_21:
	s_or_b32 exec_lo, exec_lo, s8
	s_delay_alu instid0(SALU_CYCLE_1)
	s_mov_b32 s8, exec_lo
	v_cmpx_gt_i32_e64 s2, v7
	s_cbranch_execz .LBB429_23
; %bb.22:
	v_add_nc_u32_e32 v8, s1, v7
	v_add_nc_u32_e32 v7, 0x100, v7
	global_load_u8 v14, v8, s[6:7]
.LBB429_23:
	s_or_b32 exec_lo, exec_lo, s8
	v_dual_mov_b32 v8, 0 :: v_dual_mov_b32 v11, 0
	s_mov_b32 s8, exec_lo
	v_cmpx_gt_i32_e64 s2, v7
	s_cbranch_execz .LBB429_25
; %bb.24:
	v_add_nc_u32_e32 v11, s1, v7
	v_add_nc_u32_e32 v7, 0x100, v7
	global_load_u8 v11, v11, s[6:7]
.LBB429_25:
	s_or_b32 exec_lo, exec_lo, s8
	s_delay_alu instid0(SALU_CYCLE_1)
	s_mov_b32 s8, exec_lo
	v_cmpx_gt_i32_e64 s2, v7
	s_cbranch_execz .LBB429_27
; %bb.26:
	v_add_nc_u32_e32 v8, s1, v7
	v_add_nc_u32_e32 v7, 0x100, v7
	global_load_u8 v8, v8, s[6:7]
.LBB429_27:
	s_or_b32 exec_lo, exec_lo, s8
	v_mov_b32_e32 v17, 0
	v_mov_b32_e32 v19, 0
	s_mov_b32 s8, exec_lo
	v_cmpx_gt_i32_e64 s2, v7
	s_cbranch_execz .LBB429_29
; %bb.28:
	v_add_nc_u32_e32 v16, s1, v7
	v_add_nc_u32_e32 v7, 0x100, v7
	global_load_u8 v19, v16, s[6:7]
.LBB429_29:
	s_or_b32 exec_lo, exec_lo, s8
	s_delay_alu instid0(SALU_CYCLE_1)
	s_mov_b32 s8, exec_lo
	v_cmpx_gt_i32_e64 s2, v7
	s_cbranch_execz .LBB429_31
; %bb.30:
	v_add_nc_u32_e32 v16, s1, v7
	v_add_nc_u32_e32 v7, 0x100, v7
	global_load_u8 v17, v16, s[6:7]
.LBB429_31:
	s_or_b32 exec_lo, exec_lo, s8
	v_mov_b32_e32 v16, 0
	v_mov_b32_e32 v18, 0
	s_mov_b32 s8, exec_lo
	v_cmpx_gt_i32_e64 s2, v7
	s_cbranch_execz .LBB429_33
; %bb.32:
	v_add_nc_u32_e32 v18, s1, v7
	v_add_nc_u32_e32 v7, 0x100, v7
	global_load_u8 v18, v18, s[6:7]
.LBB429_33:
	s_or_b32 exec_lo, exec_lo, s8
	s_delay_alu instid0(SALU_CYCLE_1)
	s_mov_b32 s8, exec_lo
	v_cmpx_gt_i32_e64 s2, v7
	s_cbranch_execz .LBB429_35
; %bb.34:
	v_add_nc_u32_e32 v7, s1, v7
	global_load_u8 v16, v7, s[6:7]
.LBB429_35:
	s_or_b32 exec_lo, exec_lo, s8
	s_waitcnt vmcnt(0)
	v_bfe_i32 v5, v5, 0, 8
	v_bfe_i32 v4, v4, 0, 8
	s_bfe_i32 s3, s3, 0x80000
	v_bfe_i32 v12, v12, 0, 8
	v_or_b32_e32 v20, 0x400, v0
	v_min_i16 v5, v5, s3
	v_min_i16 v4, v4, s3
	v_bfe_i32 v9, v9, 0, 8
	v_min_i16 v12, v12, s3
	v_bfe_i32 v10, v10, 0, 8
	v_and_b32_e32 v5, 0xff, v5
	v_lshlrev_b16 v4, 8, v4
	v_cmp_gt_i32_e64 s0, s2, v20
	v_perm_b32 v12, v12, 0, 0x3020104
	v_min_i16 v9, v9, s3
	v_min_i16 v10, v10, s3
	v_or_b32_e32 v4, v5, v4
	v_and_b32_e32 v5, 0xffff, v5
	v_cndmask_b32_e64 v12, 0, v12, s0
	v_cmp_gt_i32_e64 s0, s2, v2
	v_and_b32_e32 v9, 0xff, v9
	v_and_b32_e32 v4, 0xffff, v4
	v_or_b32_e32 v7, 0x200, v0
	v_or_b32_e32 v20, 0x500, v0
	v_bfe_i32 v6, v6, 0, 8
	v_lshlrev_b32_e32 v9, 16, v9
	v_cndmask_b32_e64 v4, v5, v4, s0
	v_lshlrev_b16 v5, 8, v10
	v_and_b32_e32 v10, 0xff, v12
	v_cmp_gt_i32_e64 s0, s2, v7
	v_bfe_i32 v13, v13, 0, 8
	v_or_b32_e32 v9, v4, v9
	v_bfe_i32 v7, v14, 0, 8
	v_or_b32_e32 v5, v10, v5
	v_min_i16 v6, v6, s3
	v_or_b32_e32 v21, 0x600, v0
	v_cndmask_b32_e64 v4, v4, v9, s0
	v_bfe_i32 v9, v19, 0, 8
	v_and_b32_e32 v5, 0xffff, v5
	v_cmp_gt_i32_e64 s0, s2, v20
	v_min_i16 v13, v13, s3
	v_lshrrev_b32_e32 v14, 16, v4
	v_min_i16 v9, v9, s3
	v_and_or_b32 v5, 0xffff0000, v12, v5
	v_lshlrev_b16 v6, 8, v6
	v_bfe_i32 v10, v15, 0, 8
	v_and_b32_e32 v14, 0xff, v14
	v_perm_b32 v9, v9, 0, 0x3020104
	v_cndmask_b32_e64 v5, v12, v5, s0
	v_or_b32_e32 v12, 0xc00, v0
	v_min_i16 v10, v10, s3
	v_or_b32_e32 v6, v14, v6
	v_bfe_i32 v14, v17, 0, 8
	v_perm_b32 v13, v5, v13, 0x7000504
	v_cmp_gt_i32_e64 s0, s2, v12
	v_min_i16 v7, v7, s3
	v_and_b32_e32 v10, 0xff, v10
	v_min_i16 v12, v14, s3
	v_bfe_i32 v11, v11, 0, 8
	v_cndmask_b32_e64 v9, 0, v9, s0
	v_cmp_gt_i32_e64 s0, s2, v21
	v_lshlrev_b16 v7, 8, v7
	v_lshlrev_b16 v12, 8, v12
	v_min_i16 v11, v11, s3
	v_or_b32_e32 v15, 0xd00, v0
	v_cndmask_b32_e64 v5, v5, v13, s0
	v_and_b32_e32 v13, 0xff, v9
	v_or_b32_e32 v7, v10, v7
	v_and_b32_e32 v10, 0xffff, v10
	v_and_b32_e32 v11, 0xff, v11
	v_lshrrev_b32_e32 v14, 16, v5
	v_or_b32_e32 v12, v13, v12
	v_and_b32_e32 v7, 0xffff, v7
	v_bfe_i32 v17, v18, 0, 8
	v_bfe_i32 v3, v3, 0, 8
	v_and_b32_e32 v13, 0xff, v14
	v_or_b32_e32 v14, 0x900, v0
	v_and_b32_e32 v12, 0xffff, v12
	v_bfe_i32 v8, v8, 0, 8
	v_min_i16 v3, v3, s3
	v_lshlrev_b32_e32 v6, 16, v6
	v_cmp_gt_i32_e64 s0, s2, v14
	v_and_or_b32 v12, 0xffff0000, v9, v12
	v_or_b32_e32 v14, 0xe00, v0
	v_lshlrev_b16 v3, 8, v3
	v_min_i16 v8, v8, s3
	v_cndmask_b32_e64 v7, v10, v7, s0
	v_cmp_gt_i32_e64 s0, s2, v15
	v_lshlrev_b32_e32 v10, 16, v11
	v_min_i16 v11, v17, s3
	v_or_b32_e32 v3, v13, v3
	v_lshlrev_b16 v8, 8, v8
	v_cndmask_b32_e64 v9, v9, v12, s0
	v_or_b32_e32 v12, 0xa00, v0
	v_or_b32_e32 v10, v7, v10
	;; [unrolled: 1-line block ×3, first 2 shown]
	v_and_or_b32 v6, 0xffff, v4, v6
	v_perm_b32 v11, v9, v11, 0x7000504
	v_cmp_gt_i32_e64 s0, s2, v12
	v_lshlrev_b32_e32 v3, 16, v3
	s_delay_alu instid0(VALU_DEP_2) | instskip(SKIP_2) | instid1(VALU_DEP_4)
	v_cndmask_b32_e64 v7, v7, v10, s0
	v_cmp_gt_i32_e64 s0, s2, v14
	v_bfe_i32 v10, v16, 0, 8
	v_and_or_b32 v3, 0xffff, v5, v3
	s_delay_alu instid0(VALU_DEP_3) | instskip(SKIP_1) | instid1(VALU_DEP_4)
	v_cndmask_b32_e64 v9, v9, v11, s0
	v_lshrrev_b32_e32 v11, 16, v7
	v_min_i16 v10, v10, s3
	v_cmp_gt_i32_e64 s0, s2, v13
	s_delay_alu instid0(VALU_DEP_4) | instskip(NEXT) | instid1(VALU_DEP_4)
	v_lshrrev_b32_e32 v12, 16, v9
	v_and_b32_e32 v11, 0xff, v11
	s_delay_alu instid0(VALU_DEP_4) | instskip(NEXT) | instid1(VALU_DEP_4)
	v_lshlrev_b16 v10, 8, v10
	v_cndmask_b32_e64 v6, v4, v6, s0
	s_delay_alu instid0(VALU_DEP_4) | instskip(NEXT) | instid1(VALU_DEP_4)
	v_and_b32_e32 v12, 0xff, v12
	v_or_b32_e32 v8, v11, v8
	v_or_b32_e32 v11, 0xb00, v0
	s_delay_alu instid0(VALU_DEP_3) | instskip(NEXT) | instid1(VALU_DEP_3)
	v_or_b32_e32 v10, v12, v10
	v_lshlrev_b32_e32 v4, 16, v8
	v_or_b32_e32 v8, 0x700, v0
	v_or_b32_e32 v12, 0xf00, v0
	s_delay_alu instid0(VALU_DEP_4) | instskip(NEXT) | instid1(VALU_DEP_4)
	v_lshlrev_b32_e32 v10, 16, v10
	v_and_or_b32 v4, 0xffff, v7, v4
	s_delay_alu instid0(VALU_DEP_4) | instskip(NEXT) | instid1(VALU_DEP_3)
	v_cmp_gt_i32_e64 s0, s2, v8
	v_and_or_b32 v10, 0xffff, v9, v10
	s_delay_alu instid0(VALU_DEP_2) | instskip(SKIP_1) | instid1(VALU_DEP_1)
	v_cndmask_b32_e64 v5, v5, v3, s0
	v_cmp_gt_i32_e64 s0, s2, v11
	v_cndmask_b32_e64 v4, v7, v4, s0
	v_cmp_gt_i32_e64 s0, s2, v12
	s_delay_alu instid0(VALU_DEP_1)
	v_cndmask_b32_e64 v3, v9, v10, s0
	s_and_saveexec_b32 s0, vcc_lo
	s_cbranch_execnz .LBB429_53
; %bb.36:
	s_or_b32 exec_lo, exec_lo, s0
	s_delay_alu instid0(SALU_CYCLE_1)
	s_mov_b32 s0, exec_lo
	v_cmpx_gt_i32_e64 s2, v0
	s_cbranch_execnz .LBB429_54
.LBB429_37:
	s_or_b32 exec_lo, exec_lo, s0
	s_delay_alu instid0(SALU_CYCLE_1)
	s_mov_b32 s0, exec_lo
	v_cmpx_gt_i32_e64 s2, v0
	s_cbranch_execnz .LBB429_55
.LBB429_38:
	s_or_b32 exec_lo, exec_lo, s0
	s_delay_alu instid0(SALU_CYCLE_1)
	s_mov_b32 s0, exec_lo
	v_cmpx_gt_i32_e64 s2, v0
	s_cbranch_execnz .LBB429_56
.LBB429_39:
	s_or_b32 exec_lo, exec_lo, s0
	s_delay_alu instid0(SALU_CYCLE_1)
	s_mov_b32 s0, exec_lo
	v_cmpx_gt_i32_e64 s2, v0
	s_cbranch_execnz .LBB429_57
.LBB429_40:
	s_or_b32 exec_lo, exec_lo, s0
	s_delay_alu instid0(SALU_CYCLE_1)
	s_mov_b32 s0, exec_lo
	v_cmpx_gt_i32_e64 s2, v0
	s_cbranch_execnz .LBB429_58
.LBB429_41:
	s_or_b32 exec_lo, exec_lo, s0
	s_delay_alu instid0(SALU_CYCLE_1)
	s_mov_b32 s0, exec_lo
	v_cmpx_gt_i32_e64 s2, v0
	s_cbranch_execnz .LBB429_59
.LBB429_42:
	s_or_b32 exec_lo, exec_lo, s0
	s_delay_alu instid0(SALU_CYCLE_1)
	s_mov_b32 s0, exec_lo
	v_cmpx_gt_i32_e64 s2, v0
	s_cbranch_execnz .LBB429_60
.LBB429_43:
	s_or_b32 exec_lo, exec_lo, s0
	s_delay_alu instid0(SALU_CYCLE_1)
	s_mov_b32 s0, exec_lo
	v_cmpx_gt_i32_e64 s2, v0
	s_cbranch_execnz .LBB429_61
.LBB429_44:
	s_or_b32 exec_lo, exec_lo, s0
	s_delay_alu instid0(SALU_CYCLE_1)
	s_mov_b32 s0, exec_lo
	v_cmpx_gt_i32_e64 s2, v0
	s_cbranch_execnz .LBB429_62
.LBB429_45:
	s_or_b32 exec_lo, exec_lo, s0
	s_delay_alu instid0(SALU_CYCLE_1)
	s_mov_b32 s0, exec_lo
	v_cmpx_gt_i32_e64 s2, v0
	s_cbranch_execnz .LBB429_63
.LBB429_46:
	s_or_b32 exec_lo, exec_lo, s0
	s_delay_alu instid0(SALU_CYCLE_1)
	s_mov_b32 s0, exec_lo
	v_cmpx_gt_i32_e64 s2, v0
	s_cbranch_execnz .LBB429_64
.LBB429_47:
	s_or_b32 exec_lo, exec_lo, s0
	s_delay_alu instid0(SALU_CYCLE_1)
	s_mov_b32 s0, exec_lo
	v_cmpx_gt_i32_e64 s2, v0
	s_cbranch_execnz .LBB429_65
.LBB429_48:
	s_or_b32 exec_lo, exec_lo, s0
	s_delay_alu instid0(SALU_CYCLE_1)
	s_mov_b32 s0, exec_lo
	v_cmpx_gt_i32_e64 s2, v0
	s_cbranch_execnz .LBB429_66
.LBB429_49:
	s_or_b32 exec_lo, exec_lo, s0
	s_delay_alu instid0(SALU_CYCLE_1)
	s_mov_b32 s0, exec_lo
	v_cmpx_gt_i32_e64 s2, v0
	s_cbranch_execnz .LBB429_67
.LBB429_50:
	s_or_b32 exec_lo, exec_lo, s0
	s_delay_alu instid0(SALU_CYCLE_1)
	s_mov_b32 s0, exec_lo
	v_cmpx_gt_i32_e64 s2, v0
	s_cbranch_execz .LBB429_52
.LBB429_51:
	v_add_nc_u32_e32 v0, s1, v0
	v_lshrrev_b32_e32 v1, 24, v3
	global_store_b8 v0, v1, s[4:5]
.LBB429_52:
	s_nop 0
	s_sendmsg sendmsg(MSG_DEALLOC_VGPRS)
	s_endpgm
.LBB429_53:
	v_mov_b32_e32 v0, v2
	global_store_b8 v1, v6, s[4:5]
	s_or_b32 exec_lo, exec_lo, s0
	s_delay_alu instid0(SALU_CYCLE_1)
	s_mov_b32 s0, exec_lo
	v_cmpx_gt_i32_e64 s2, v0
	s_cbranch_execz .LBB429_37
.LBB429_54:
	v_add_nc_u32_e32 v1, s1, v0
	v_lshrrev_b32_e32 v2, 8, v6
	v_add_nc_u32_e32 v0, 0x100, v0
	global_store_b8 v1, v2, s[4:5]
	s_or_b32 exec_lo, exec_lo, s0
	s_delay_alu instid0(SALU_CYCLE_1)
	s_mov_b32 s0, exec_lo
	v_cmpx_gt_i32_e64 s2, v0
	s_cbranch_execz .LBB429_38
.LBB429_55:
	v_add_nc_u32_e32 v1, s1, v0
	v_add_nc_u32_e32 v0, 0x100, v0
	global_store_d16_hi_b8 v1, v6, s[4:5]
	s_or_b32 exec_lo, exec_lo, s0
	s_delay_alu instid0(SALU_CYCLE_1)
	s_mov_b32 s0, exec_lo
	v_cmpx_gt_i32_e64 s2, v0
	s_cbranch_execz .LBB429_39
.LBB429_56:
	v_add_nc_u32_e32 v1, s1, v0
	v_lshrrev_b32_e32 v2, 24, v6
	v_add_nc_u32_e32 v0, 0x100, v0
	global_store_b8 v1, v2, s[4:5]
	s_or_b32 exec_lo, exec_lo, s0
	s_delay_alu instid0(SALU_CYCLE_1)
	s_mov_b32 s0, exec_lo
	v_cmpx_gt_i32_e64 s2, v0
	s_cbranch_execz .LBB429_40
.LBB429_57:
	v_add_nc_u32_e32 v1, s1, v0
	v_add_nc_u32_e32 v0, 0x100, v0
	global_store_b8 v1, v5, s[4:5]
	s_or_b32 exec_lo, exec_lo, s0
	s_delay_alu instid0(SALU_CYCLE_1)
	s_mov_b32 s0, exec_lo
	v_cmpx_gt_i32_e64 s2, v0
	s_cbranch_execz .LBB429_41
.LBB429_58:
	v_add_nc_u32_e32 v1, s1, v0
	v_lshrrev_b32_e32 v2, 8, v5
	v_add_nc_u32_e32 v0, 0x100, v0
	global_store_b8 v1, v2, s[4:5]
	s_or_b32 exec_lo, exec_lo, s0
	s_delay_alu instid0(SALU_CYCLE_1)
	s_mov_b32 s0, exec_lo
	v_cmpx_gt_i32_e64 s2, v0
	s_cbranch_execz .LBB429_42
.LBB429_59:
	v_add_nc_u32_e32 v1, s1, v0
	v_add_nc_u32_e32 v0, 0x100, v0
	global_store_d16_hi_b8 v1, v5, s[4:5]
	s_or_b32 exec_lo, exec_lo, s0
	s_delay_alu instid0(SALU_CYCLE_1)
	s_mov_b32 s0, exec_lo
	v_cmpx_gt_i32_e64 s2, v0
	s_cbranch_execz .LBB429_43
.LBB429_60:
	v_add_nc_u32_e32 v1, s1, v0
	v_lshrrev_b32_e32 v2, 24, v5
	v_add_nc_u32_e32 v0, 0x100, v0
	global_store_b8 v1, v2, s[4:5]
	s_or_b32 exec_lo, exec_lo, s0
	s_delay_alu instid0(SALU_CYCLE_1)
	s_mov_b32 s0, exec_lo
	v_cmpx_gt_i32_e64 s2, v0
	s_cbranch_execz .LBB429_44
.LBB429_61:
	v_add_nc_u32_e32 v1, s1, v0
	v_add_nc_u32_e32 v0, 0x100, v0
	global_store_b8 v1, v4, s[4:5]
	s_or_b32 exec_lo, exec_lo, s0
	s_delay_alu instid0(SALU_CYCLE_1)
	s_mov_b32 s0, exec_lo
	v_cmpx_gt_i32_e64 s2, v0
	s_cbranch_execz .LBB429_45
.LBB429_62:
	v_add_nc_u32_e32 v1, s1, v0
	v_lshrrev_b32_e32 v2, 8, v4
	v_add_nc_u32_e32 v0, 0x100, v0
	global_store_b8 v1, v2, s[4:5]
	s_or_b32 exec_lo, exec_lo, s0
	s_delay_alu instid0(SALU_CYCLE_1)
	s_mov_b32 s0, exec_lo
	v_cmpx_gt_i32_e64 s2, v0
	s_cbranch_execz .LBB429_46
.LBB429_63:
	v_add_nc_u32_e32 v1, s1, v0
	v_add_nc_u32_e32 v0, 0x100, v0
	global_store_d16_hi_b8 v1, v4, s[4:5]
	s_or_b32 exec_lo, exec_lo, s0
	s_delay_alu instid0(SALU_CYCLE_1)
	s_mov_b32 s0, exec_lo
	v_cmpx_gt_i32_e64 s2, v0
	s_cbranch_execz .LBB429_47
.LBB429_64:
	v_add_nc_u32_e32 v1, s1, v0
	v_lshrrev_b32_e32 v2, 24, v4
	v_add_nc_u32_e32 v0, 0x100, v0
	global_store_b8 v1, v2, s[4:5]
	s_or_b32 exec_lo, exec_lo, s0
	s_delay_alu instid0(SALU_CYCLE_1)
	s_mov_b32 s0, exec_lo
	v_cmpx_gt_i32_e64 s2, v0
	s_cbranch_execz .LBB429_48
.LBB429_65:
	v_add_nc_u32_e32 v1, s1, v0
	v_add_nc_u32_e32 v0, 0x100, v0
	global_store_b8 v1, v3, s[4:5]
	s_or_b32 exec_lo, exec_lo, s0
	s_delay_alu instid0(SALU_CYCLE_1)
	s_mov_b32 s0, exec_lo
	v_cmpx_gt_i32_e64 s2, v0
	s_cbranch_execz .LBB429_49
.LBB429_66:
	v_add_nc_u32_e32 v1, s1, v0
	v_lshrrev_b32_e32 v2, 8, v3
	v_add_nc_u32_e32 v0, 0x100, v0
	global_store_b8 v1, v2, s[4:5]
	s_or_b32 exec_lo, exec_lo, s0
	s_delay_alu instid0(SALU_CYCLE_1)
	s_mov_b32 s0, exec_lo
	v_cmpx_gt_i32_e64 s2, v0
	s_cbranch_execz .LBB429_50
.LBB429_67:
	v_add_nc_u32_e32 v1, s1, v0
	v_add_nc_u32_e32 v0, 0x100, v0
	global_store_d16_hi_b8 v1, v3, s[4:5]
	s_or_b32 exec_lo, exec_lo, s0
	s_delay_alu instid0(SALU_CYCLE_1)
	s_mov_b32 s0, exec_lo
	v_cmpx_gt_i32_e64 s2, v0
	s_cbranch_execnz .LBB429_51
	s_branch .LBB429_52
	.section	.rodata,"a",@progbits
	.p2align	6, 0x0
	.amdhsa_kernel _ZN2at6native29vectorized_elementwise_kernelILi2EZZZNS0_21clamp_max_kernel_cudaERNS_18TensorIteratorBaseERKN3c106ScalarEENKUlvE_clEvENKUlvE0_clEvEUlaE_St5arrayIPcLm2EEEEviT0_T1_
		.amdhsa_group_segment_fixed_size 0
		.amdhsa_private_segment_fixed_size 0
		.amdhsa_kernarg_size 24
		.amdhsa_user_sgpr_count 15
		.amdhsa_user_sgpr_dispatch_ptr 0
		.amdhsa_user_sgpr_queue_ptr 0
		.amdhsa_user_sgpr_kernarg_segment_ptr 1
		.amdhsa_user_sgpr_dispatch_id 0
		.amdhsa_user_sgpr_private_segment_size 0
		.amdhsa_wavefront_size32 1
		.amdhsa_uses_dynamic_stack 0
		.amdhsa_enable_private_segment 0
		.amdhsa_system_sgpr_workgroup_id_x 1
		.amdhsa_system_sgpr_workgroup_id_y 0
		.amdhsa_system_sgpr_workgroup_id_z 0
		.amdhsa_system_sgpr_workgroup_info 0
		.amdhsa_system_vgpr_workitem_id 0
		.amdhsa_next_free_vgpr 22
		.amdhsa_next_free_sgpr 16
		.amdhsa_reserve_vcc 1
		.amdhsa_float_round_mode_32 0
		.amdhsa_float_round_mode_16_64 0
		.amdhsa_float_denorm_mode_32 3
		.amdhsa_float_denorm_mode_16_64 3
		.amdhsa_dx10_clamp 1
		.amdhsa_ieee_mode 1
		.amdhsa_fp16_overflow 0
		.amdhsa_workgroup_processor_mode 1
		.amdhsa_memory_ordered 1
		.amdhsa_forward_progress 0
		.amdhsa_shared_vgpr_count 0
		.amdhsa_exception_fp_ieee_invalid_op 0
		.amdhsa_exception_fp_denorm_src 0
		.amdhsa_exception_fp_ieee_div_zero 0
		.amdhsa_exception_fp_ieee_overflow 0
		.amdhsa_exception_fp_ieee_underflow 0
		.amdhsa_exception_fp_ieee_inexact 0
		.amdhsa_exception_int_div_zero 0
	.end_amdhsa_kernel
	.section	.text._ZN2at6native29vectorized_elementwise_kernelILi2EZZZNS0_21clamp_max_kernel_cudaERNS_18TensorIteratorBaseERKN3c106ScalarEENKUlvE_clEvENKUlvE0_clEvEUlaE_St5arrayIPcLm2EEEEviT0_T1_,"axG",@progbits,_ZN2at6native29vectorized_elementwise_kernelILi2EZZZNS0_21clamp_max_kernel_cudaERNS_18TensorIteratorBaseERKN3c106ScalarEENKUlvE_clEvENKUlvE0_clEvEUlaE_St5arrayIPcLm2EEEEviT0_T1_,comdat
.Lfunc_end429:
	.size	_ZN2at6native29vectorized_elementwise_kernelILi2EZZZNS0_21clamp_max_kernel_cudaERNS_18TensorIteratorBaseERKN3c106ScalarEENKUlvE_clEvENKUlvE0_clEvEUlaE_St5arrayIPcLm2EEEEviT0_T1_, .Lfunc_end429-_ZN2at6native29vectorized_elementwise_kernelILi2EZZZNS0_21clamp_max_kernel_cudaERNS_18TensorIteratorBaseERKN3c106ScalarEENKUlvE_clEvENKUlvE0_clEvEUlaE_St5arrayIPcLm2EEEEviT0_T1_
                                        ; -- End function
	.section	.AMDGPU.csdata,"",@progbits
; Kernel info:
; codeLenInByte = 3520
; NumSgprs: 18
; NumVgprs: 22
; ScratchSize: 0
; MemoryBound: 0
; FloatMode: 240
; IeeeMode: 1
; LDSByteSize: 0 bytes/workgroup (compile time only)
; SGPRBlocks: 2
; VGPRBlocks: 2
; NumSGPRsForWavesPerEU: 18
; NumVGPRsForWavesPerEU: 22
; Occupancy: 16
; WaveLimiterHint : 1
; COMPUTE_PGM_RSRC2:SCRATCH_EN: 0
; COMPUTE_PGM_RSRC2:USER_SGPR: 15
; COMPUTE_PGM_RSRC2:TRAP_HANDLER: 0
; COMPUTE_PGM_RSRC2:TGID_X_EN: 1
; COMPUTE_PGM_RSRC2:TGID_Y_EN: 0
; COMPUTE_PGM_RSRC2:TGID_Z_EN: 0
; COMPUTE_PGM_RSRC2:TIDIG_COMP_CNT: 0
	.section	.text._ZN2at6native27unrolled_elementwise_kernelIZZZNS0_21clamp_max_kernel_cudaERNS_18TensorIteratorBaseERKN3c106ScalarEENKUlvE_clEvENKUlvE0_clEvEUlaE_St5arrayIPcLm2EELi4E23TrivialOffsetCalculatorILi1EjESF_NS0_6memory15LoadWithoutCastENSG_16StoreWithoutCastEEEviT_T0_T2_T3_T4_T5_,"axG",@progbits,_ZN2at6native27unrolled_elementwise_kernelIZZZNS0_21clamp_max_kernel_cudaERNS_18TensorIteratorBaseERKN3c106ScalarEENKUlvE_clEvENKUlvE0_clEvEUlaE_St5arrayIPcLm2EELi4E23TrivialOffsetCalculatorILi1EjESF_NS0_6memory15LoadWithoutCastENSG_16StoreWithoutCastEEEviT_T0_T2_T3_T4_T5_,comdat
	.globl	_ZN2at6native27unrolled_elementwise_kernelIZZZNS0_21clamp_max_kernel_cudaERNS_18TensorIteratorBaseERKN3c106ScalarEENKUlvE_clEvENKUlvE0_clEvEUlaE_St5arrayIPcLm2EELi4E23TrivialOffsetCalculatorILi1EjESF_NS0_6memory15LoadWithoutCastENSG_16StoreWithoutCastEEEviT_T0_T2_T3_T4_T5_ ; -- Begin function _ZN2at6native27unrolled_elementwise_kernelIZZZNS0_21clamp_max_kernel_cudaERNS_18TensorIteratorBaseERKN3c106ScalarEENKUlvE_clEvENKUlvE0_clEvEUlaE_St5arrayIPcLm2EELi4E23TrivialOffsetCalculatorILi1EjESF_NS0_6memory15LoadWithoutCastENSG_16StoreWithoutCastEEEviT_T0_T2_T3_T4_T5_
	.p2align	8
	.type	_ZN2at6native27unrolled_elementwise_kernelIZZZNS0_21clamp_max_kernel_cudaERNS_18TensorIteratorBaseERKN3c106ScalarEENKUlvE_clEvENKUlvE0_clEvEUlaE_St5arrayIPcLm2EELi4E23TrivialOffsetCalculatorILi1EjESF_NS0_6memory15LoadWithoutCastENSG_16StoreWithoutCastEEEviT_T0_T2_T3_T4_T5_,@function
_ZN2at6native27unrolled_elementwise_kernelIZZZNS0_21clamp_max_kernel_cudaERNS_18TensorIteratorBaseERKN3c106ScalarEENKUlvE_clEvENKUlvE0_clEvEUlaE_St5arrayIPcLm2EELi4E23TrivialOffsetCalculatorILi1EjESF_NS0_6memory15LoadWithoutCastENSG_16StoreWithoutCastEEEviT_T0_T2_T3_T4_T5_: ; @_ZN2at6native27unrolled_elementwise_kernelIZZZNS0_21clamp_max_kernel_cudaERNS_18TensorIteratorBaseERKN3c106ScalarEENKUlvE_clEvENKUlvE0_clEvEUlaE_St5arrayIPcLm2EELi4E23TrivialOffsetCalculatorILi1EjESF_NS0_6memory15LoadWithoutCastENSG_16StoreWithoutCastEEEviT_T0_T2_T3_T4_T5_
; %bb.0:
	s_clause 0x1
	s_load_b64 s[2:3], s[0:1], 0x0
	s_load_b128 s[4:7], s[0:1], 0x8
	s_lshl_b32 s1, s15, 10
	v_dual_mov_b32 v3, 0 :: v_dual_mov_b32 v4, 0
	v_or_b32_e32 v1, s1, v0
	v_or_b32_e32 v2, 0x100, v0
	v_mov_b32_e32 v6, v0
	s_waitcnt lgkmcnt(0)
	s_sub_i32 s2, s2, s1
	s_delay_alu instid0(SALU_CYCLE_1)
	v_cmp_gt_i32_e32 vcc_lo, s2, v0
	s_and_saveexec_b32 s0, vcc_lo
	s_cbranch_execz .LBB430_2
; %bb.1:
	global_load_u8 v4, v1, s[6:7]
	v_or_b32_e32 v6, 0x100, v0
.LBB430_2:
	s_or_b32 exec_lo, exec_lo, s0
	s_delay_alu instid0(SALU_CYCLE_1) | instskip(NEXT) | instid1(VALU_DEP_1)
	s_mov_b32 s8, exec_lo
	v_cmpx_gt_i32_e64 s2, v6
	s_cbranch_execz .LBB430_4
; %bb.3:
	v_add_nc_u32_e32 v3, s1, v6
	v_add_nc_u32_e32 v6, 0x100, v6
	global_load_u8 v3, v3, s[6:7]
.LBB430_4:
	s_or_b32 exec_lo, exec_lo, s8
	v_mov_b32_e32 v5, 0
	v_mov_b32_e32 v7, 0
	s_mov_b32 s8, exec_lo
	v_cmpx_gt_i32_e64 s2, v6
	s_cbranch_execz .LBB430_6
; %bb.5:
	v_add_nc_u32_e32 v7, s1, v6
	v_add_nc_u32_e32 v6, 0x100, v6
	global_load_u8 v7, v7, s[6:7]
.LBB430_6:
	s_or_b32 exec_lo, exec_lo, s8
	s_delay_alu instid0(SALU_CYCLE_1)
	s_mov_b32 s8, exec_lo
	v_cmpx_gt_i32_e64 s2, v6
	s_cbranch_execz .LBB430_8
; %bb.7:
	v_add_nc_u32_e32 v5, s1, v6
	global_load_u8 v5, v5, s[6:7]
.LBB430_8:
	s_or_b32 exec_lo, exec_lo, s8
	s_waitcnt vmcnt(0)
	v_bfe_i32 v4, v4, 0, 8
	v_bfe_i32 v3, v3, 0, 8
	s_bfe_i32 s3, s3, 0x80000
	v_bfe_i32 v6, v7, 0, 8
	v_cmp_gt_i32_e64 s0, s2, v2
	v_min_i16 v4, v4, s3
	v_min_i16 v3, v3, s3
	s_delay_alu instid0(VALU_DEP_4) | instskip(NEXT) | instid1(VALU_DEP_3)
	v_min_i16 v6, v6, s3
	v_and_b32_e32 v4, 0xff, v4
	s_delay_alu instid0(VALU_DEP_3) | instskip(NEXT) | instid1(VALU_DEP_3)
	v_lshlrev_b16 v3, 8, v3
	v_and_b32_e32 v6, 0xff, v6
	s_delay_alu instid0(VALU_DEP_2) | instskip(SKIP_1) | instid1(VALU_DEP_3)
	v_or_b32_e32 v3, v4, v3
	v_and_b32_e32 v4, 0xffff, v4
	v_lshlrev_b32_e32 v6, 16, v6
	s_delay_alu instid0(VALU_DEP_3) | instskip(NEXT) | instid1(VALU_DEP_1)
	v_and_b32_e32 v3, 0xffff, v3
	v_cndmask_b32_e64 v3, v4, v3, s0
	v_or_b32_e32 v4, 0x200, v0
	s_delay_alu instid0(VALU_DEP_2) | instskip(NEXT) | instid1(VALU_DEP_2)
	v_or_b32_e32 v6, v3, v6
	v_cmp_gt_i32_e64 s0, s2, v4
	v_bfe_i32 v4, v5, 0, 8
	s_delay_alu instid0(VALU_DEP_2) | instskip(NEXT) | instid1(VALU_DEP_2)
	v_cndmask_b32_e64 v3, v3, v6, s0
	v_min_i16 v4, v4, s3
	s_delay_alu instid0(VALU_DEP_2) | instskip(NEXT) | instid1(VALU_DEP_2)
	v_lshrrev_b32_e32 v5, 16, v3
	v_lshlrev_b16 v4, 8, v4
	s_delay_alu instid0(VALU_DEP_2) | instskip(NEXT) | instid1(VALU_DEP_1)
	v_and_b32_e32 v5, 0xff, v5
	v_or_b32_e32 v4, v5, v4
	v_or_b32_e32 v5, 0x300, v0
	s_delay_alu instid0(VALU_DEP_2) | instskip(NEXT) | instid1(VALU_DEP_2)
	v_lshlrev_b32_e32 v4, 16, v4
	v_cmp_gt_i32_e64 s0, s2, v5
	s_delay_alu instid0(VALU_DEP_2) | instskip(NEXT) | instid1(VALU_DEP_1)
	v_and_or_b32 v4, 0xffff, v3, v4
	v_cndmask_b32_e64 v3, v3, v4, s0
	s_and_saveexec_b32 s0, vcc_lo
	s_cbranch_execnz .LBB430_13
; %bb.9:
	s_or_b32 exec_lo, exec_lo, s0
	s_delay_alu instid0(SALU_CYCLE_1)
	s_mov_b32 s0, exec_lo
	v_cmpx_gt_i32_e64 s2, v0
	s_cbranch_execnz .LBB430_14
.LBB430_10:
	s_or_b32 exec_lo, exec_lo, s0
	s_delay_alu instid0(SALU_CYCLE_1)
	s_mov_b32 s0, exec_lo
	v_cmpx_gt_i32_e64 s2, v0
	s_cbranch_execnz .LBB430_15
.LBB430_11:
	s_or_b32 exec_lo, exec_lo, s0
	s_delay_alu instid0(SALU_CYCLE_1)
	s_mov_b32 s0, exec_lo
	v_cmpx_gt_i32_e64 s2, v0
	s_cbranch_execnz .LBB430_16
.LBB430_12:
	s_nop 0
	s_sendmsg sendmsg(MSG_DEALLOC_VGPRS)
	s_endpgm
.LBB430_13:
	v_mov_b32_e32 v0, v2
	global_store_b8 v1, v3, s[4:5]
	s_or_b32 exec_lo, exec_lo, s0
	s_delay_alu instid0(SALU_CYCLE_1)
	s_mov_b32 s0, exec_lo
	v_cmpx_gt_i32_e64 s2, v0
	s_cbranch_execz .LBB430_10
.LBB430_14:
	v_add_nc_u32_e32 v1, 0x100, v0
	v_lshrrev_b32_e32 v2, 8, v3
	v_add_nc_u32_e32 v4, s1, v0
	s_delay_alu instid0(VALU_DEP_3) | instskip(SKIP_2) | instid1(SALU_CYCLE_1)
	v_mov_b32_e32 v0, v1
	global_store_b8 v4, v2, s[4:5]
	s_or_b32 exec_lo, exec_lo, s0
	s_mov_b32 s0, exec_lo
	v_cmpx_gt_i32_e64 s2, v0
	s_cbranch_execz .LBB430_11
.LBB430_15:
	v_add_nc_u32_e32 v1, 0x100, v0
	v_add_nc_u32_e32 v2, s1, v0
	s_delay_alu instid0(VALU_DEP_2) | instskip(SKIP_2) | instid1(SALU_CYCLE_1)
	v_mov_b32_e32 v0, v1
	global_store_d16_hi_b8 v2, v3, s[4:5]
	s_or_b32 exec_lo, exec_lo, s0
	s_mov_b32 s0, exec_lo
	v_cmpx_gt_i32_e64 s2, v0
	s_cbranch_execz .LBB430_12
.LBB430_16:
	v_lshrrev_b32_e32 v1, 24, v3
	v_add_nc_u32_e32 v0, s1, v0
	global_store_b8 v0, v1, s[4:5]
	s_nop 0
	s_sendmsg sendmsg(MSG_DEALLOC_VGPRS)
	s_endpgm
	.section	.rodata,"a",@progbits
	.p2align	6, 0x0
	.amdhsa_kernel _ZN2at6native27unrolled_elementwise_kernelIZZZNS0_21clamp_max_kernel_cudaERNS_18TensorIteratorBaseERKN3c106ScalarEENKUlvE_clEvENKUlvE0_clEvEUlaE_St5arrayIPcLm2EELi4E23TrivialOffsetCalculatorILi1EjESF_NS0_6memory15LoadWithoutCastENSG_16StoreWithoutCastEEEviT_T0_T2_T3_T4_T5_
		.amdhsa_group_segment_fixed_size 0
		.amdhsa_private_segment_fixed_size 0
		.amdhsa_kernarg_size 28
		.amdhsa_user_sgpr_count 15
		.amdhsa_user_sgpr_dispatch_ptr 0
		.amdhsa_user_sgpr_queue_ptr 0
		.amdhsa_user_sgpr_kernarg_segment_ptr 1
		.amdhsa_user_sgpr_dispatch_id 0
		.amdhsa_user_sgpr_private_segment_size 0
		.amdhsa_wavefront_size32 1
		.amdhsa_uses_dynamic_stack 0
		.amdhsa_enable_private_segment 0
		.amdhsa_system_sgpr_workgroup_id_x 1
		.amdhsa_system_sgpr_workgroup_id_y 0
		.amdhsa_system_sgpr_workgroup_id_z 0
		.amdhsa_system_sgpr_workgroup_info 0
		.amdhsa_system_vgpr_workitem_id 0
		.amdhsa_next_free_vgpr 8
		.amdhsa_next_free_sgpr 16
		.amdhsa_reserve_vcc 1
		.amdhsa_float_round_mode_32 0
		.amdhsa_float_round_mode_16_64 0
		.amdhsa_float_denorm_mode_32 3
		.amdhsa_float_denorm_mode_16_64 3
		.amdhsa_dx10_clamp 1
		.amdhsa_ieee_mode 1
		.amdhsa_fp16_overflow 0
		.amdhsa_workgroup_processor_mode 1
		.amdhsa_memory_ordered 1
		.amdhsa_forward_progress 0
		.amdhsa_shared_vgpr_count 0
		.amdhsa_exception_fp_ieee_invalid_op 0
		.amdhsa_exception_fp_denorm_src 0
		.amdhsa_exception_fp_ieee_div_zero 0
		.amdhsa_exception_fp_ieee_overflow 0
		.amdhsa_exception_fp_ieee_underflow 0
		.amdhsa_exception_fp_ieee_inexact 0
		.amdhsa_exception_int_div_zero 0
	.end_amdhsa_kernel
	.section	.text._ZN2at6native27unrolled_elementwise_kernelIZZZNS0_21clamp_max_kernel_cudaERNS_18TensorIteratorBaseERKN3c106ScalarEENKUlvE_clEvENKUlvE0_clEvEUlaE_St5arrayIPcLm2EELi4E23TrivialOffsetCalculatorILi1EjESF_NS0_6memory15LoadWithoutCastENSG_16StoreWithoutCastEEEviT_T0_T2_T3_T4_T5_,"axG",@progbits,_ZN2at6native27unrolled_elementwise_kernelIZZZNS0_21clamp_max_kernel_cudaERNS_18TensorIteratorBaseERKN3c106ScalarEENKUlvE_clEvENKUlvE0_clEvEUlaE_St5arrayIPcLm2EELi4E23TrivialOffsetCalculatorILi1EjESF_NS0_6memory15LoadWithoutCastENSG_16StoreWithoutCastEEEviT_T0_T2_T3_T4_T5_,comdat
.Lfunc_end430:
	.size	_ZN2at6native27unrolled_elementwise_kernelIZZZNS0_21clamp_max_kernel_cudaERNS_18TensorIteratorBaseERKN3c106ScalarEENKUlvE_clEvENKUlvE0_clEvEUlaE_St5arrayIPcLm2EELi4E23TrivialOffsetCalculatorILi1EjESF_NS0_6memory15LoadWithoutCastENSG_16StoreWithoutCastEEEviT_T0_T2_T3_T4_T5_, .Lfunc_end430-_ZN2at6native27unrolled_elementwise_kernelIZZZNS0_21clamp_max_kernel_cudaERNS_18TensorIteratorBaseERKN3c106ScalarEENKUlvE_clEvENKUlvE0_clEvEUlaE_St5arrayIPcLm2EELi4E23TrivialOffsetCalculatorILi1EjESF_NS0_6memory15LoadWithoutCastENSG_16StoreWithoutCastEEEviT_T0_T2_T3_T4_T5_
                                        ; -- End function
	.section	.AMDGPU.csdata,"",@progbits
; Kernel info:
; codeLenInByte = 748
; NumSgprs: 18
; NumVgprs: 8
; ScratchSize: 0
; MemoryBound: 0
; FloatMode: 240
; IeeeMode: 1
; LDSByteSize: 0 bytes/workgroup (compile time only)
; SGPRBlocks: 2
; VGPRBlocks: 0
; NumSGPRsForWavesPerEU: 18
; NumVGPRsForWavesPerEU: 8
; Occupancy: 16
; WaveLimiterHint : 0
; COMPUTE_PGM_RSRC2:SCRATCH_EN: 0
; COMPUTE_PGM_RSRC2:USER_SGPR: 15
; COMPUTE_PGM_RSRC2:TRAP_HANDLER: 0
; COMPUTE_PGM_RSRC2:TGID_X_EN: 1
; COMPUTE_PGM_RSRC2:TGID_Y_EN: 0
; COMPUTE_PGM_RSRC2:TGID_Z_EN: 0
; COMPUTE_PGM_RSRC2:TIDIG_COMP_CNT: 0
	.section	.text._ZN2at6native32elementwise_kernel_manual_unrollILi128ELi8EZNS0_22gpu_kernel_impl_nocastIZZZNS0_21clamp_max_kernel_cudaERNS_18TensorIteratorBaseERKN3c106ScalarEENKUlvE_clEvENKUlvE0_clEvEUlaE_EEvS4_RKT_EUlibE_EEviT1_,"axG",@progbits,_ZN2at6native32elementwise_kernel_manual_unrollILi128ELi8EZNS0_22gpu_kernel_impl_nocastIZZZNS0_21clamp_max_kernel_cudaERNS_18TensorIteratorBaseERKN3c106ScalarEENKUlvE_clEvENKUlvE0_clEvEUlaE_EEvS4_RKT_EUlibE_EEviT1_,comdat
	.globl	_ZN2at6native32elementwise_kernel_manual_unrollILi128ELi8EZNS0_22gpu_kernel_impl_nocastIZZZNS0_21clamp_max_kernel_cudaERNS_18TensorIteratorBaseERKN3c106ScalarEENKUlvE_clEvENKUlvE0_clEvEUlaE_EEvS4_RKT_EUlibE_EEviT1_ ; -- Begin function _ZN2at6native32elementwise_kernel_manual_unrollILi128ELi8EZNS0_22gpu_kernel_impl_nocastIZZZNS0_21clamp_max_kernel_cudaERNS_18TensorIteratorBaseERKN3c106ScalarEENKUlvE_clEvENKUlvE0_clEvEUlaE_EEvS4_RKT_EUlibE_EEviT1_
	.p2align	8
	.type	_ZN2at6native32elementwise_kernel_manual_unrollILi128ELi8EZNS0_22gpu_kernel_impl_nocastIZZZNS0_21clamp_max_kernel_cudaERNS_18TensorIteratorBaseERKN3c106ScalarEENKUlvE_clEvENKUlvE0_clEvEUlaE_EEvS4_RKT_EUlibE_EEviT1_,@function
_ZN2at6native32elementwise_kernel_manual_unrollILi128ELi8EZNS0_22gpu_kernel_impl_nocastIZZZNS0_21clamp_max_kernel_cudaERNS_18TensorIteratorBaseERKN3c106ScalarEENKUlvE_clEvENKUlvE0_clEvEUlaE_EEvS4_RKT_EUlibE_EEviT1_: ; @_ZN2at6native32elementwise_kernel_manual_unrollILi128ELi8EZNS0_22gpu_kernel_impl_nocastIZZZNS0_21clamp_max_kernel_cudaERNS_18TensorIteratorBaseERKN3c106ScalarEENKUlvE_clEvENKUlvE0_clEvEUlaE_EEvS4_RKT_EUlibE_EEviT1_
; %bb.0:
	s_clause 0x1
	s_load_b32 s22, s[0:1], 0x8
	s_load_b32 s28, s[0:1], 0x0
	v_lshl_or_b32 v12, s15, 10, v0
	s_or_b32 s0, s0, 8
	s_mov_b32 s2, exec_lo
	s_delay_alu instid0(VALU_DEP_1) | instskip(SKIP_2) | instid1(SALU_CYCLE_1)
	v_or_b32_e32 v16, 0x380, v12
	s_waitcnt lgkmcnt(0)
	s_add_i32 s23, s22, -1
	s_cmp_gt_u32 s23, 1
	s_cselect_b32 s24, -1, 0
	v_cmpx_le_i32_e64 s28, v16
	s_xor_b32 s25, exec_lo, s2
	s_cbranch_execz .LBB431_7
; %bb.1:
	s_clause 0x4
	s_load_b128 s[12:15], s[0:1], 0x4
	s_load_b64 s[2:3], s[0:1], 0x14
	s_load_b128 s[8:11], s[0:1], 0xc4
	s_load_b128 s[4:7], s[0:1], 0x148
	s_load_b32 s26, s[0:1], 0x158
	s_cmp_lg_u32 s22, 0
	s_mov_b32 s31, exec_lo
	s_cselect_b32 s30, -1, 0
	s_add_u32 s16, s0, 0xc4
	s_addc_u32 s17, s1, 0
	s_min_u32 s29, s23, 15
	s_cmp_gt_u32 s22, 1
	s_cselect_b32 s27, -1, 0
	v_cmpx_gt_i32_e64 s28, v12
	s_cbranch_execz .LBB431_14
; %bb.2:
	s_and_not1_b32 vcc_lo, exec_lo, s24
	s_cbranch_vccnz .LBB431_21
; %bb.3:
	v_dual_mov_b32 v0, 0 :: v_dual_mov_b32 v1, 0
	s_and_not1_b32 vcc_lo, exec_lo, s30
	s_mov_b32 s33, 0
	s_cbranch_vccnz .LBB431_125
; %bb.4:
	v_mov_b32_e32 v0, 0
	s_add_i32 s35, s29, 1
	s_cmp_eq_u32 s23, 2
	s_mov_b32 s34, 0
	s_cbranch_scc1 .LBB431_121
; %bb.5:
	v_dual_mov_b32 v1, 0 :: v_dual_mov_b32 v0, 0
	v_mov_b32_e32 v2, v12
	s_and_b32 s34, s35, 28
	s_mov_b32 s36, 0
	s_mov_b64 s[18:19], s[16:17]
	s_mov_b64 s[20:21], s[0:1]
.LBB431_6:                              ; =>This Inner Loop Header: Depth=1
	s_clause 0x1
	s_load_b256 s[40:47], s[20:21], 0x4
	s_load_b128 s[56:59], s[20:21], 0x24
	s_load_b256 s[48:55], s[18:19], 0x0
	s_add_u32 s20, s20, 48
	s_addc_u32 s21, s21, 0
	s_add_i32 s36, s36, 4
	s_add_u32 s18, s18, 32
	s_addc_u32 s19, s19, 0
	s_cmp_lg_u32 s34, s36
	s_waitcnt lgkmcnt(0)
	v_mul_hi_u32 v3, s41, v2
	s_delay_alu instid0(VALU_DEP_1) | instskip(NEXT) | instid1(VALU_DEP_1)
	v_add_nc_u32_e32 v3, v2, v3
	v_lshrrev_b32_e32 v3, s42, v3
	s_delay_alu instid0(VALU_DEP_1) | instskip(SKIP_1) | instid1(VALU_DEP_2)
	v_mul_hi_u32 v4, s44, v3
	v_mul_lo_u32 v6, v3, s40
	v_add_nc_u32_e32 v4, v3, v4
	s_delay_alu instid0(VALU_DEP_2) | instskip(NEXT) | instid1(VALU_DEP_2)
	v_sub_nc_u32_e32 v2, v2, v6
	v_lshrrev_b32_e32 v4, s45, v4
	s_delay_alu instid0(VALU_DEP_2) | instskip(SKIP_1) | instid1(VALU_DEP_3)
	v_mul_lo_u32 v6, v2, s48
	v_mul_lo_u32 v8, v2, s49
	v_mul_hi_u32 v5, s47, v4
	s_delay_alu instid0(VALU_DEP_1) | instskip(NEXT) | instid1(VALU_DEP_1)
	v_add_nc_u32_e32 v5, v4, v5
	v_lshrrev_b32_e32 v5, s56, v5
	s_delay_alu instid0(VALU_DEP_1) | instskip(SKIP_1) | instid1(VALU_DEP_2)
	v_mul_hi_u32 v7, s58, v5
	v_mul_lo_u32 v9, v5, s46
	v_add_nc_u32_e32 v2, v5, v7
	v_mul_lo_u32 v7, v4, s43
	s_delay_alu instid0(VALU_DEP_3) | instskip(NEXT) | instid1(VALU_DEP_3)
	v_sub_nc_u32_e32 v4, v4, v9
	v_lshrrev_b32_e32 v2, s59, v2
	s_delay_alu instid0(VALU_DEP_2) | instskip(SKIP_2) | instid1(VALU_DEP_4)
	v_mul_lo_u32 v9, v4, s52
	v_mul_lo_u32 v4, v4, s53
	v_sub_nc_u32_e32 v3, v3, v7
	v_mul_lo_u32 v10, v2, s57
	s_delay_alu instid0(VALU_DEP_2) | instskip(SKIP_1) | instid1(VALU_DEP_3)
	v_mul_lo_u32 v7, v3, s50
	v_mul_lo_u32 v3, v3, s51
	v_sub_nc_u32_e32 v5, v5, v10
	s_delay_alu instid0(VALU_DEP_3) | instskip(NEXT) | instid1(VALU_DEP_2)
	v_add3_u32 v0, v6, v0, v7
	v_mul_lo_u32 v10, v5, s54
	v_mul_lo_u32 v5, v5, s55
	v_add3_u32 v1, v8, v1, v3
	s_delay_alu instid0(VALU_DEP_3) | instskip(NEXT) | instid1(VALU_DEP_2)
	v_add3_u32 v0, v9, v0, v10
	v_add3_u32 v1, v4, v1, v5
	s_cbranch_scc1 .LBB431_6
	s_branch .LBB431_122
.LBB431_7:
	s_and_not1_saveexec_b32 s2, s25
	s_cbranch_execz .LBB431_206
.LBB431_8:
	v_cndmask_b32_e64 v14, 0, 1, s24
	s_and_not1_b32 vcc_lo, exec_lo, s24
	s_cbranch_vccnz .LBB431_20
; %bb.9:
	v_dual_mov_b32 v0, 0 :: v_dual_mov_b32 v1, 0
	s_cmp_lg_u32 s22, 0
	s_mov_b32 s6, 0
	s_cbranch_scc0 .LBB431_26
; %bb.10:
	s_min_u32 s7, s23, 15
	v_mov_b32_e32 v0, 0
	s_add_i32 s7, s7, 1
	s_cmp_eq_u32 s23, 2
	s_mov_b32 s8, 0
	s_cbranch_scc1 .LBB431_23
; %bb.11:
	v_dual_mov_b32 v1, 0 :: v_dual_mov_b32 v0, 0
	v_mov_b32_e32 v2, v12
	s_add_u32 s2, s0, 0xc4
	s_addc_u32 s3, s1, 0
	s_and_b32 s8, s7, 28
	s_mov_b32 s9, 0
	s_mov_b64 s[4:5], s[0:1]
.LBB431_12:                             ; =>This Inner Loop Header: Depth=1
	s_clause 0x1
	s_load_b256 s[12:19], s[4:5], 0x4
	s_load_b128 s[36:39], s[4:5], 0x24
	s_load_b256 s[24:31], s[2:3], 0x0
	s_add_u32 s4, s4, 48
	s_addc_u32 s5, s5, 0
	s_add_i32 s9, s9, 4
	s_add_u32 s2, s2, 32
	s_addc_u32 s3, s3, 0
	s_cmp_lg_u32 s8, s9
	s_waitcnt lgkmcnt(0)
	v_mul_hi_u32 v3, s13, v2
	s_delay_alu instid0(VALU_DEP_1) | instskip(NEXT) | instid1(VALU_DEP_1)
	v_add_nc_u32_e32 v3, v2, v3
	v_lshrrev_b32_e32 v3, s14, v3
	s_delay_alu instid0(VALU_DEP_1) | instskip(SKIP_1) | instid1(VALU_DEP_2)
	v_mul_hi_u32 v4, s16, v3
	v_mul_lo_u32 v6, v3, s12
	v_add_nc_u32_e32 v4, v3, v4
	s_delay_alu instid0(VALU_DEP_2) | instskip(NEXT) | instid1(VALU_DEP_2)
	v_sub_nc_u32_e32 v2, v2, v6
	v_lshrrev_b32_e32 v4, s17, v4
	s_delay_alu instid0(VALU_DEP_2) | instskip(SKIP_1) | instid1(VALU_DEP_3)
	v_mul_lo_u32 v6, v2, s24
	v_mul_lo_u32 v8, v2, s25
	v_mul_hi_u32 v5, s19, v4
	s_delay_alu instid0(VALU_DEP_1) | instskip(NEXT) | instid1(VALU_DEP_1)
	v_add_nc_u32_e32 v5, v4, v5
	v_lshrrev_b32_e32 v5, s36, v5
	s_delay_alu instid0(VALU_DEP_1) | instskip(SKIP_1) | instid1(VALU_DEP_2)
	v_mul_hi_u32 v7, s38, v5
	v_mul_lo_u32 v9, v5, s18
	v_add_nc_u32_e32 v2, v5, v7
	v_mul_lo_u32 v7, v4, s15
	s_delay_alu instid0(VALU_DEP_3) | instskip(NEXT) | instid1(VALU_DEP_3)
	v_sub_nc_u32_e32 v4, v4, v9
	v_lshrrev_b32_e32 v2, s39, v2
	s_delay_alu instid0(VALU_DEP_2) | instskip(SKIP_2) | instid1(VALU_DEP_4)
	v_mul_lo_u32 v9, v4, s28
	v_mul_lo_u32 v4, v4, s29
	v_sub_nc_u32_e32 v3, v3, v7
	v_mul_lo_u32 v10, v2, s37
	s_delay_alu instid0(VALU_DEP_2) | instskip(SKIP_1) | instid1(VALU_DEP_3)
	v_mul_lo_u32 v7, v3, s26
	v_mul_lo_u32 v3, v3, s27
	v_sub_nc_u32_e32 v5, v5, v10
	s_delay_alu instid0(VALU_DEP_3) | instskip(NEXT) | instid1(VALU_DEP_2)
	v_add3_u32 v0, v6, v0, v7
	v_mul_lo_u32 v10, v5, s30
	v_mul_lo_u32 v5, v5, s31
	v_add3_u32 v1, v8, v1, v3
	s_delay_alu instid0(VALU_DEP_3) | instskip(NEXT) | instid1(VALU_DEP_2)
	v_add3_u32 v0, v9, v0, v10
	v_add3_u32 v1, v4, v1, v5
	s_cbranch_scc1 .LBB431_12
; %bb.13:
	s_and_b32 s7, s7, 3
	s_delay_alu instid0(SALU_CYCLE_1)
	s_cmp_eq_u32 s7, 0
	s_cbranch_scc0 .LBB431_24
	s_branch .LBB431_26
.LBB431_14:
	s_or_b32 exec_lo, exec_lo, s31
	s_delay_alu instid0(SALU_CYCLE_1)
	s_mov_b32 s31, exec_lo
	v_cmpx_gt_i32_e64 s28, v12
	s_cbranch_execz .LBB431_129
.LBB431_15:
	s_and_not1_b32 vcc_lo, exec_lo, s24
	s_cbranch_vccnz .LBB431_22
; %bb.16:
	v_dual_mov_b32 v0, 0 :: v_dual_mov_b32 v1, 0
	s_and_not1_b32 vcc_lo, exec_lo, s30
	s_mov_b32 s33, 0
	s_cbranch_vccnz .LBB431_140
; %bb.17:
	v_mov_b32_e32 v0, 0
	s_add_i32 s35, s29, 1
	s_cmp_eq_u32 s23, 2
	s_mov_b32 s34, 0
	s_cbranch_scc1 .LBB431_136
; %bb.18:
	v_dual_mov_b32 v1, 0 :: v_dual_mov_b32 v0, 0
	v_mov_b32_e32 v2, v12
	s_and_b32 s34, s35, 28
	s_mov_b32 s36, 0
	s_mov_b64 s[18:19], s[16:17]
	s_mov_b64 s[20:21], s[0:1]
.LBB431_19:                             ; =>This Inner Loop Header: Depth=1
	s_clause 0x1
	s_load_b256 s[40:47], s[20:21], 0x4
	s_load_b128 s[56:59], s[20:21], 0x24
	s_load_b256 s[48:55], s[18:19], 0x0
	s_add_u32 s20, s20, 48
	s_addc_u32 s21, s21, 0
	s_add_i32 s36, s36, 4
	s_add_u32 s18, s18, 32
	s_addc_u32 s19, s19, 0
	s_cmp_eq_u32 s34, s36
	s_waitcnt lgkmcnt(0)
	v_mul_hi_u32 v3, s41, v2
	s_delay_alu instid0(VALU_DEP_1) | instskip(NEXT) | instid1(VALU_DEP_1)
	v_add_nc_u32_e32 v3, v2, v3
	v_lshrrev_b32_e32 v3, s42, v3
	s_delay_alu instid0(VALU_DEP_1) | instskip(SKIP_1) | instid1(VALU_DEP_2)
	v_mul_hi_u32 v4, s44, v3
	v_mul_lo_u32 v6, v3, s40
	v_add_nc_u32_e32 v4, v3, v4
	s_delay_alu instid0(VALU_DEP_2) | instskip(NEXT) | instid1(VALU_DEP_2)
	v_sub_nc_u32_e32 v2, v2, v6
	v_lshrrev_b32_e32 v4, s45, v4
	s_delay_alu instid0(VALU_DEP_2) | instskip(SKIP_1) | instid1(VALU_DEP_3)
	v_mul_lo_u32 v6, v2, s48
	v_mul_lo_u32 v8, v2, s49
	v_mul_hi_u32 v5, s47, v4
	s_delay_alu instid0(VALU_DEP_1) | instskip(NEXT) | instid1(VALU_DEP_1)
	v_add_nc_u32_e32 v5, v4, v5
	v_lshrrev_b32_e32 v5, s56, v5
	s_delay_alu instid0(VALU_DEP_1) | instskip(SKIP_1) | instid1(VALU_DEP_2)
	v_mul_hi_u32 v7, s58, v5
	v_mul_lo_u32 v9, v5, s46
	v_add_nc_u32_e32 v2, v5, v7
	v_mul_lo_u32 v7, v4, s43
	s_delay_alu instid0(VALU_DEP_3) | instskip(NEXT) | instid1(VALU_DEP_3)
	v_sub_nc_u32_e32 v4, v4, v9
	v_lshrrev_b32_e32 v2, s59, v2
	s_delay_alu instid0(VALU_DEP_2) | instskip(SKIP_2) | instid1(VALU_DEP_4)
	v_mul_lo_u32 v9, v4, s52
	v_mul_lo_u32 v4, v4, s53
	v_sub_nc_u32_e32 v3, v3, v7
	v_mul_lo_u32 v10, v2, s57
	s_delay_alu instid0(VALU_DEP_2) | instskip(SKIP_1) | instid1(VALU_DEP_3)
	v_mul_lo_u32 v7, v3, s50
	v_mul_lo_u32 v3, v3, s51
	v_sub_nc_u32_e32 v5, v5, v10
	s_delay_alu instid0(VALU_DEP_3) | instskip(NEXT) | instid1(VALU_DEP_2)
	v_add3_u32 v0, v6, v0, v7
	v_mul_lo_u32 v10, v5, s54
	v_mul_lo_u32 v5, v5, s55
	v_add3_u32 v1, v8, v1, v3
	s_delay_alu instid0(VALU_DEP_3) | instskip(NEXT) | instid1(VALU_DEP_2)
	v_add3_u32 v0, v9, v0, v10
	v_add3_u32 v1, v4, v1, v5
	s_cbranch_scc0 .LBB431_19
	s_branch .LBB431_137
.LBB431_20:
	s_mov_b32 s6, -1
                                        ; implicit-def: $vgpr0
                                        ; implicit-def: $vgpr1
	s_branch .LBB431_26
.LBB431_21:
	s_mov_b32 s33, -1
                                        ; implicit-def: $vgpr0
                                        ; implicit-def: $vgpr1
	s_branch .LBB431_125
.LBB431_22:
	s_mov_b32 s33, -1
                                        ; implicit-def: $vgpr0
                                        ; implicit-def: $vgpr1
	s_branch .LBB431_140
.LBB431_23:
	v_dual_mov_b32 v2, v12 :: v_dual_mov_b32 v1, 0
	s_and_b32 s7, s7, 3
	s_delay_alu instid0(SALU_CYCLE_1)
	s_cmp_eq_u32 s7, 0
	s_cbranch_scc1 .LBB431_26
.LBB431_24:
	s_lshl_b32 s2, s8, 3
	s_mul_i32 s4, s8, 12
	s_add_u32 s2, s2, s0
	s_addc_u32 s3, 0, s1
	s_add_u32 s2, s2, 0xc4
	s_addc_u32 s3, s3, 0
	;; [unrolled: 2-line block ×3, first 2 shown]
	.p2align	6
.LBB431_25:                             ; =>This Inner Loop Header: Depth=1
	s_clause 0x1
	s_load_b64 s[8:9], s[4:5], 0x4
	s_load_b32 s12, s[4:5], 0xc
	s_load_b64 s[10:11], s[2:3], 0x0
	s_add_u32 s4, s4, 12
	s_addc_u32 s5, s5, 0
	s_add_u32 s2, s2, 8
	s_addc_u32 s3, s3, 0
	s_add_i32 s7, s7, -1
	s_delay_alu instid0(SALU_CYCLE_1) | instskip(SKIP_2) | instid1(VALU_DEP_1)
	s_cmp_lg_u32 s7, 0
	s_waitcnt lgkmcnt(0)
	v_mul_hi_u32 v3, s9, v2
	v_add_nc_u32_e32 v3, v2, v3
	s_delay_alu instid0(VALU_DEP_1) | instskip(NEXT) | instid1(VALU_DEP_1)
	v_lshrrev_b32_e32 v6, s12, v3
	v_mul_lo_u32 v3, v6, s8
	s_delay_alu instid0(VALU_DEP_1) | instskip(NEXT) | instid1(VALU_DEP_1)
	v_sub_nc_u32_e32 v2, v2, v3
	v_mad_u64_u32 v[3:4], null, v2, s10, v[0:1]
	v_mad_u64_u32 v[4:5], null, v2, s11, v[1:2]
	v_mov_b32_e32 v2, v6
	s_delay_alu instid0(VALU_DEP_2)
	v_dual_mov_b32 v0, v3 :: v_dual_mov_b32 v1, v4
	s_cbranch_scc1 .LBB431_25
.LBB431_26:
	s_and_not1_b32 vcc_lo, exec_lo, s6
	s_cbranch_vccnz .LBB431_29
; %bb.27:
	s_clause 0x1
	s_load_b128 s[4:7], s[0:1], 0x4
	s_load_b64 s[2:3], s[0:1], 0xc4
	s_cmp_lt_u32 s22, 2
	s_waitcnt lgkmcnt(0)
	v_mul_hi_u32 v0, s5, v12
	s_delay_alu instid0(VALU_DEP_1) | instskip(NEXT) | instid1(VALU_DEP_1)
	v_add_nc_u32_e32 v0, v12, v0
	v_lshrrev_b32_e32 v2, s6, v0
	s_delay_alu instid0(VALU_DEP_1) | instskip(NEXT) | instid1(VALU_DEP_1)
	v_mul_lo_u32 v0, v2, s4
	v_sub_nc_u32_e32 v1, v12, v0
	s_delay_alu instid0(VALU_DEP_1)
	v_mul_lo_u32 v0, v1, s2
	v_mul_lo_u32 v1, v1, s3
	s_cbranch_scc1 .LBB431_29
; %bb.28:
	s_clause 0x1
	s_load_b128 s[4:7], s[0:1], 0x10
	s_load_b64 s[2:3], s[0:1], 0xcc
	s_waitcnt lgkmcnt(0)
	v_mul_hi_u32 v3, s5, v2
	s_delay_alu instid0(VALU_DEP_1) | instskip(NEXT) | instid1(VALU_DEP_1)
	v_add_nc_u32_e32 v3, v2, v3
	v_lshrrev_b32_e32 v3, s6, v3
	s_delay_alu instid0(VALU_DEP_1) | instskip(NEXT) | instid1(VALU_DEP_1)
	v_mul_lo_u32 v3, v3, s4
	v_sub_nc_u32_e32 v5, v2, v3
	s_delay_alu instid0(VALU_DEP_1) | instskip(NEXT) | instid1(VALU_DEP_1)
	v_mad_u64_u32 v[2:3], null, v5, s2, v[0:1]
	v_mad_u64_u32 v[3:4], null, v5, s3, v[1:2]
	s_delay_alu instid0(VALU_DEP_1)
	v_dual_mov_b32 v0, v2 :: v_dual_mov_b32 v1, v3
.LBB431_29:
	v_cmp_ne_u32_e32 vcc_lo, 1, v14
	v_add_nc_u32_e32 v4, 0x80, v12
	s_cbranch_vccnz .LBB431_35
; %bb.30:
	v_dual_mov_b32 v2, 0 :: v_dual_mov_b32 v3, 0
	s_cmp_lg_u32 s22, 0
	s_mov_b32 s6, 0
	s_cbranch_scc0 .LBB431_39
; %bb.31:
	s_min_u32 s7, s23, 15
	v_mov_b32_e32 v2, 0
	s_add_i32 s7, s7, 1
	s_cmp_eq_u32 s23, 2
	s_mov_b32 s8, 0
	s_cbranch_scc1 .LBB431_36
; %bb.32:
	v_dual_mov_b32 v3, 0 :: v_dual_mov_b32 v2, 0
	v_mov_b32_e32 v5, v4
	s_add_u32 s2, s0, 0xc4
	s_addc_u32 s3, s1, 0
	s_and_b32 s8, s7, 28
	s_mov_b32 s9, 0
	s_mov_b64 s[4:5], s[0:1]
.LBB431_33:                             ; =>This Inner Loop Header: Depth=1
	s_clause 0x1
	s_load_b256 s[12:19], s[4:5], 0x4
	s_load_b128 s[36:39], s[4:5], 0x24
	s_load_b256 s[24:31], s[2:3], 0x0
	s_add_u32 s4, s4, 48
	s_addc_u32 s5, s5, 0
	s_add_i32 s9, s9, 4
	s_add_u32 s2, s2, 32
	s_addc_u32 s3, s3, 0
	s_cmp_lg_u32 s8, s9
	s_waitcnt lgkmcnt(0)
	v_mul_hi_u32 v6, s13, v5
	s_delay_alu instid0(VALU_DEP_1) | instskip(NEXT) | instid1(VALU_DEP_1)
	v_add_nc_u32_e32 v6, v5, v6
	v_lshrrev_b32_e32 v6, s14, v6
	s_delay_alu instid0(VALU_DEP_1) | instskip(SKIP_1) | instid1(VALU_DEP_2)
	v_mul_hi_u32 v7, s16, v6
	v_mul_lo_u32 v9, v6, s12
	v_add_nc_u32_e32 v7, v6, v7
	s_delay_alu instid0(VALU_DEP_2) | instskip(NEXT) | instid1(VALU_DEP_2)
	v_sub_nc_u32_e32 v5, v5, v9
	v_lshrrev_b32_e32 v7, s17, v7
	s_delay_alu instid0(VALU_DEP_2) | instskip(SKIP_1) | instid1(VALU_DEP_3)
	v_mul_lo_u32 v9, v5, s24
	v_mul_lo_u32 v11, v5, s25
	v_mul_hi_u32 v8, s19, v7
	s_delay_alu instid0(VALU_DEP_1) | instskip(NEXT) | instid1(VALU_DEP_1)
	v_add_nc_u32_e32 v8, v7, v8
	v_lshrrev_b32_e32 v8, s36, v8
	s_delay_alu instid0(VALU_DEP_1) | instskip(SKIP_1) | instid1(VALU_DEP_2)
	v_mul_hi_u32 v10, s38, v8
	v_mul_lo_u32 v13, v8, s18
	v_add_nc_u32_e32 v5, v8, v10
	v_mul_lo_u32 v10, v7, s15
	s_delay_alu instid0(VALU_DEP_3) | instskip(NEXT) | instid1(VALU_DEP_3)
	v_sub_nc_u32_e32 v7, v7, v13
	v_lshrrev_b32_e32 v5, s39, v5
	s_delay_alu instid0(VALU_DEP_2) | instskip(SKIP_2) | instid1(VALU_DEP_4)
	v_mul_lo_u32 v13, v7, s28
	v_mul_lo_u32 v7, v7, s29
	v_sub_nc_u32_e32 v6, v6, v10
	v_mul_lo_u32 v15, v5, s37
	s_delay_alu instid0(VALU_DEP_2) | instskip(SKIP_1) | instid1(VALU_DEP_3)
	v_mul_lo_u32 v10, v6, s26
	v_mul_lo_u32 v6, v6, s27
	v_sub_nc_u32_e32 v8, v8, v15
	s_delay_alu instid0(VALU_DEP_3) | instskip(NEXT) | instid1(VALU_DEP_2)
	v_add3_u32 v2, v9, v2, v10
	v_mul_lo_u32 v15, v8, s30
	v_mul_lo_u32 v8, v8, s31
	v_add3_u32 v3, v11, v3, v6
	s_delay_alu instid0(VALU_DEP_3) | instskip(NEXT) | instid1(VALU_DEP_2)
	v_add3_u32 v2, v13, v2, v15
	v_add3_u32 v3, v7, v3, v8
	s_cbranch_scc1 .LBB431_33
; %bb.34:
	s_and_b32 s7, s7, 3
	s_delay_alu instid0(SALU_CYCLE_1)
	s_cmp_eq_u32 s7, 0
	s_cbranch_scc0 .LBB431_37
	s_branch .LBB431_39
.LBB431_35:
	s_mov_b32 s6, -1
                                        ; implicit-def: $vgpr2
                                        ; implicit-def: $vgpr3
	s_branch .LBB431_39
.LBB431_36:
	v_mov_b32_e32 v5, v4
	v_mov_b32_e32 v3, 0
	s_and_b32 s7, s7, 3
	s_delay_alu instid0(SALU_CYCLE_1)
	s_cmp_eq_u32 s7, 0
	s_cbranch_scc1 .LBB431_39
.LBB431_37:
	s_lshl_b32 s2, s8, 3
	s_mul_i32 s4, s8, 12
	s_add_u32 s2, s2, s0
	s_addc_u32 s3, 0, s1
	s_add_u32 s2, s2, 0xc4
	s_addc_u32 s3, s3, 0
	;; [unrolled: 2-line block ×3, first 2 shown]
	.p2align	6
.LBB431_38:                             ; =>This Inner Loop Header: Depth=1
	s_clause 0x1
	s_load_b64 s[8:9], s[4:5], 0x4
	s_load_b32 s12, s[4:5], 0xc
	s_load_b64 s[10:11], s[2:3], 0x0
	s_add_u32 s4, s4, 12
	s_addc_u32 s5, s5, 0
	s_add_u32 s2, s2, 8
	s_addc_u32 s3, s3, 0
	s_add_i32 s7, s7, -1
	s_delay_alu instid0(SALU_CYCLE_1) | instskip(SKIP_2) | instid1(VALU_DEP_1)
	s_cmp_lg_u32 s7, 0
	s_waitcnt lgkmcnt(0)
	v_mul_hi_u32 v6, s9, v5
	v_add_nc_u32_e32 v6, v5, v6
	s_delay_alu instid0(VALU_DEP_1) | instskip(NEXT) | instid1(VALU_DEP_1)
	v_lshrrev_b32_e32 v9, s12, v6
	v_mul_lo_u32 v6, v9, s8
	s_delay_alu instid0(VALU_DEP_1) | instskip(NEXT) | instid1(VALU_DEP_1)
	v_sub_nc_u32_e32 v5, v5, v6
	v_mad_u64_u32 v[6:7], null, v5, s10, v[2:3]
	v_mad_u64_u32 v[7:8], null, v5, s11, v[3:4]
	s_delay_alu instid0(VALU_DEP_2) | instskip(NEXT) | instid1(VALU_DEP_2)
	v_dual_mov_b32 v5, v9 :: v_dual_mov_b32 v2, v6
	v_mov_b32_e32 v3, v7
	s_cbranch_scc1 .LBB431_38
.LBB431_39:
	s_and_not1_b32 vcc_lo, exec_lo, s6
	s_cbranch_vccnz .LBB431_42
; %bb.40:
	s_clause 0x1
	s_load_b128 s[4:7], s[0:1], 0x4
	s_load_b64 s[2:3], s[0:1], 0xc4
	s_cmp_lt_u32 s22, 2
	s_waitcnt lgkmcnt(0)
	v_mul_hi_u32 v2, s5, v4
	s_delay_alu instid0(VALU_DEP_1) | instskip(NEXT) | instid1(VALU_DEP_1)
	v_add_nc_u32_e32 v2, v4, v2
	v_lshrrev_b32_e32 v5, s6, v2
	s_delay_alu instid0(VALU_DEP_1) | instskip(NEXT) | instid1(VALU_DEP_1)
	v_mul_lo_u32 v2, v5, s4
	v_sub_nc_u32_e32 v3, v4, v2
	s_delay_alu instid0(VALU_DEP_1)
	v_mul_lo_u32 v2, v3, s2
	v_mul_lo_u32 v3, v3, s3
	s_cbranch_scc1 .LBB431_42
; %bb.41:
	s_clause 0x1
	s_load_b128 s[4:7], s[0:1], 0x10
	s_load_b64 s[2:3], s[0:1], 0xcc
	s_waitcnt lgkmcnt(0)
	v_mul_hi_u32 v4, s5, v5
	s_delay_alu instid0(VALU_DEP_1) | instskip(NEXT) | instid1(VALU_DEP_1)
	v_add_nc_u32_e32 v4, v5, v4
	v_lshrrev_b32_e32 v4, s6, v4
	s_delay_alu instid0(VALU_DEP_1) | instskip(NEXT) | instid1(VALU_DEP_1)
	v_mul_lo_u32 v4, v4, s4
	v_sub_nc_u32_e32 v7, v5, v4
	s_delay_alu instid0(VALU_DEP_1) | instskip(NEXT) | instid1(VALU_DEP_1)
	v_mad_u64_u32 v[4:5], null, v7, s2, v[2:3]
	v_mad_u64_u32 v[5:6], null, v7, s3, v[3:4]
	s_delay_alu instid0(VALU_DEP_1)
	v_dual_mov_b32 v2, v4 :: v_dual_mov_b32 v3, v5
.LBB431_42:
	v_cmp_ne_u32_e32 vcc_lo, 1, v14
	v_add_nc_u32_e32 v6, 0x100, v12
	s_cbranch_vccnz .LBB431_48
; %bb.43:
	v_dual_mov_b32 v4, 0 :: v_dual_mov_b32 v5, 0
	s_cmp_lg_u32 s22, 0
	s_mov_b32 s6, 0
	s_cbranch_scc0 .LBB431_52
; %bb.44:
	s_min_u32 s7, s23, 15
	v_mov_b32_e32 v4, 0
	s_add_i32 s7, s7, 1
	s_cmp_eq_u32 s23, 2
	s_mov_b32 s8, 0
	s_cbranch_scc1 .LBB431_49
; %bb.45:
	v_dual_mov_b32 v5, 0 :: v_dual_mov_b32 v4, 0
	v_mov_b32_e32 v7, v6
	s_add_u32 s2, s0, 0xc4
	s_addc_u32 s3, s1, 0
	s_and_b32 s8, s7, 28
	s_mov_b32 s9, 0
	s_mov_b64 s[4:5], s[0:1]
.LBB431_46:                             ; =>This Inner Loop Header: Depth=1
	s_clause 0x1
	s_load_b256 s[12:19], s[4:5], 0x4
	s_load_b128 s[36:39], s[4:5], 0x24
	s_load_b256 s[24:31], s[2:3], 0x0
	s_add_u32 s4, s4, 48
	s_addc_u32 s5, s5, 0
	s_add_i32 s9, s9, 4
	s_add_u32 s2, s2, 32
	s_addc_u32 s3, s3, 0
	s_cmp_lg_u32 s8, s9
	s_waitcnt lgkmcnt(0)
	v_mul_hi_u32 v8, s13, v7
	s_delay_alu instid0(VALU_DEP_1) | instskip(NEXT) | instid1(VALU_DEP_1)
	v_add_nc_u32_e32 v8, v7, v8
	v_lshrrev_b32_e32 v8, s14, v8
	s_delay_alu instid0(VALU_DEP_1) | instskip(SKIP_1) | instid1(VALU_DEP_2)
	v_mul_hi_u32 v9, s16, v8
	v_mul_lo_u32 v11, v8, s12
	v_add_nc_u32_e32 v9, v8, v9
	s_delay_alu instid0(VALU_DEP_2) | instskip(NEXT) | instid1(VALU_DEP_2)
	v_sub_nc_u32_e32 v7, v7, v11
	v_lshrrev_b32_e32 v9, s17, v9
	s_delay_alu instid0(VALU_DEP_2) | instskip(SKIP_1) | instid1(VALU_DEP_3)
	v_mul_lo_u32 v11, v7, s24
	v_mul_lo_u32 v15, v7, s25
	v_mul_hi_u32 v10, s19, v9
	s_delay_alu instid0(VALU_DEP_1) | instskip(NEXT) | instid1(VALU_DEP_1)
	v_add_nc_u32_e32 v10, v9, v10
	v_lshrrev_b32_e32 v10, s36, v10
	s_delay_alu instid0(VALU_DEP_1) | instskip(SKIP_1) | instid1(VALU_DEP_2)
	v_mul_hi_u32 v13, s38, v10
	v_mul_lo_u32 v17, v10, s18
	v_add_nc_u32_e32 v7, v10, v13
	v_mul_lo_u32 v13, v9, s15
	s_delay_alu instid0(VALU_DEP_3) | instskip(NEXT) | instid1(VALU_DEP_3)
	v_sub_nc_u32_e32 v9, v9, v17
	v_lshrrev_b32_e32 v7, s39, v7
	s_delay_alu instid0(VALU_DEP_2) | instskip(SKIP_2) | instid1(VALU_DEP_4)
	v_mul_lo_u32 v17, v9, s28
	v_mul_lo_u32 v9, v9, s29
	v_sub_nc_u32_e32 v8, v8, v13
	v_mul_lo_u32 v18, v7, s37
	s_delay_alu instid0(VALU_DEP_2) | instskip(SKIP_1) | instid1(VALU_DEP_3)
	v_mul_lo_u32 v13, v8, s26
	v_mul_lo_u32 v8, v8, s27
	v_sub_nc_u32_e32 v10, v10, v18
	s_delay_alu instid0(VALU_DEP_3) | instskip(NEXT) | instid1(VALU_DEP_2)
	v_add3_u32 v4, v11, v4, v13
	v_mul_lo_u32 v18, v10, s30
	v_mul_lo_u32 v10, v10, s31
	v_add3_u32 v5, v15, v5, v8
	s_delay_alu instid0(VALU_DEP_3) | instskip(NEXT) | instid1(VALU_DEP_2)
	v_add3_u32 v4, v17, v4, v18
	v_add3_u32 v5, v9, v5, v10
	s_cbranch_scc1 .LBB431_46
; %bb.47:
	s_and_b32 s7, s7, 3
	s_delay_alu instid0(SALU_CYCLE_1)
	s_cmp_eq_u32 s7, 0
	s_cbranch_scc0 .LBB431_50
	s_branch .LBB431_52
.LBB431_48:
	s_mov_b32 s6, -1
                                        ; implicit-def: $vgpr4
                                        ; implicit-def: $vgpr5
	s_branch .LBB431_52
.LBB431_49:
	v_mov_b32_e32 v7, v6
	v_mov_b32_e32 v5, 0
	s_and_b32 s7, s7, 3
	s_delay_alu instid0(SALU_CYCLE_1)
	s_cmp_eq_u32 s7, 0
	s_cbranch_scc1 .LBB431_52
.LBB431_50:
	s_lshl_b32 s2, s8, 3
	s_mul_i32 s4, s8, 12
	s_add_u32 s2, s2, s0
	s_addc_u32 s3, 0, s1
	s_add_u32 s2, s2, 0xc4
	s_addc_u32 s3, s3, 0
	;; [unrolled: 2-line block ×3, first 2 shown]
	.p2align	6
.LBB431_51:                             ; =>This Inner Loop Header: Depth=1
	s_clause 0x1
	s_load_b64 s[8:9], s[4:5], 0x4
	s_load_b32 s12, s[4:5], 0xc
	s_load_b64 s[10:11], s[2:3], 0x0
	s_add_u32 s4, s4, 12
	s_addc_u32 s5, s5, 0
	s_add_u32 s2, s2, 8
	s_addc_u32 s3, s3, 0
	s_add_i32 s7, s7, -1
	s_delay_alu instid0(SALU_CYCLE_1) | instskip(SKIP_2) | instid1(VALU_DEP_1)
	s_cmp_lg_u32 s7, 0
	s_waitcnt lgkmcnt(0)
	v_mul_hi_u32 v8, s9, v7
	v_add_nc_u32_e32 v8, v7, v8
	s_delay_alu instid0(VALU_DEP_1) | instskip(NEXT) | instid1(VALU_DEP_1)
	v_lshrrev_b32_e32 v11, s12, v8
	v_mul_lo_u32 v8, v11, s8
	s_delay_alu instid0(VALU_DEP_1) | instskip(NEXT) | instid1(VALU_DEP_1)
	v_sub_nc_u32_e32 v7, v7, v8
	v_mad_u64_u32 v[8:9], null, v7, s10, v[4:5]
	v_mad_u64_u32 v[9:10], null, v7, s11, v[5:6]
	s_delay_alu instid0(VALU_DEP_2) | instskip(NEXT) | instid1(VALU_DEP_2)
	v_dual_mov_b32 v7, v11 :: v_dual_mov_b32 v4, v8
	v_mov_b32_e32 v5, v9
	s_cbranch_scc1 .LBB431_51
.LBB431_52:
	s_and_not1_b32 vcc_lo, exec_lo, s6
	s_cbranch_vccnz .LBB431_55
; %bb.53:
	s_clause 0x1
	s_load_b128 s[4:7], s[0:1], 0x4
	s_load_b64 s[2:3], s[0:1], 0xc4
	s_cmp_lt_u32 s22, 2
	s_waitcnt lgkmcnt(0)
	v_mul_hi_u32 v4, s5, v6
	s_delay_alu instid0(VALU_DEP_1) | instskip(NEXT) | instid1(VALU_DEP_1)
	v_add_nc_u32_e32 v4, v6, v4
	v_lshrrev_b32_e32 v7, s6, v4
	s_delay_alu instid0(VALU_DEP_1) | instskip(NEXT) | instid1(VALU_DEP_1)
	v_mul_lo_u32 v4, v7, s4
	v_sub_nc_u32_e32 v5, v6, v4
	s_delay_alu instid0(VALU_DEP_1)
	v_mul_lo_u32 v4, v5, s2
	v_mul_lo_u32 v5, v5, s3
	s_cbranch_scc1 .LBB431_55
; %bb.54:
	s_clause 0x1
	s_load_b128 s[4:7], s[0:1], 0x10
	s_load_b64 s[2:3], s[0:1], 0xcc
	s_waitcnt lgkmcnt(0)
	v_mul_hi_u32 v6, s5, v7
	s_delay_alu instid0(VALU_DEP_1) | instskip(NEXT) | instid1(VALU_DEP_1)
	v_add_nc_u32_e32 v6, v7, v6
	v_lshrrev_b32_e32 v6, s6, v6
	s_delay_alu instid0(VALU_DEP_1) | instskip(NEXT) | instid1(VALU_DEP_1)
	v_mul_lo_u32 v6, v6, s4
	v_sub_nc_u32_e32 v9, v7, v6
	s_delay_alu instid0(VALU_DEP_1) | instskip(NEXT) | instid1(VALU_DEP_1)
	v_mad_u64_u32 v[6:7], null, v9, s2, v[4:5]
	v_mad_u64_u32 v[7:8], null, v9, s3, v[5:6]
	s_delay_alu instid0(VALU_DEP_1)
	v_dual_mov_b32 v4, v6 :: v_dual_mov_b32 v5, v7
.LBB431_55:
	v_cmp_ne_u32_e32 vcc_lo, 1, v14
	v_add_nc_u32_e32 v8, 0x180, v12
	s_cbranch_vccnz .LBB431_61
; %bb.56:
	v_dual_mov_b32 v6, 0 :: v_dual_mov_b32 v7, 0
	s_cmp_lg_u32 s22, 0
	s_mov_b32 s6, 0
	s_cbranch_scc0 .LBB431_65
; %bb.57:
	s_min_u32 s7, s23, 15
	v_mov_b32_e32 v6, 0
	s_add_i32 s7, s7, 1
	s_cmp_eq_u32 s23, 2
	s_mov_b32 s8, 0
	s_cbranch_scc1 .LBB431_62
; %bb.58:
	v_dual_mov_b32 v7, 0 :: v_dual_mov_b32 v6, 0
	v_mov_b32_e32 v9, v8
	s_add_u32 s2, s0, 0xc4
	s_addc_u32 s3, s1, 0
	s_and_b32 s8, s7, 28
	s_mov_b32 s9, 0
	s_mov_b64 s[4:5], s[0:1]
.LBB431_59:                             ; =>This Inner Loop Header: Depth=1
	s_clause 0x1
	s_load_b256 s[12:19], s[4:5], 0x4
	s_load_b128 s[36:39], s[4:5], 0x24
	s_load_b256 s[24:31], s[2:3], 0x0
	s_add_u32 s4, s4, 48
	s_addc_u32 s5, s5, 0
	s_add_i32 s9, s9, 4
	s_add_u32 s2, s2, 32
	s_addc_u32 s3, s3, 0
	s_cmp_lg_u32 s8, s9
	s_waitcnt lgkmcnt(0)
	v_mul_hi_u32 v10, s13, v9
	s_delay_alu instid0(VALU_DEP_1) | instskip(NEXT) | instid1(VALU_DEP_1)
	v_add_nc_u32_e32 v10, v9, v10
	v_lshrrev_b32_e32 v10, s14, v10
	s_delay_alu instid0(VALU_DEP_1) | instskip(SKIP_1) | instid1(VALU_DEP_2)
	v_mul_hi_u32 v11, s16, v10
	v_mul_lo_u32 v15, v10, s12
	v_add_nc_u32_e32 v11, v10, v11
	s_delay_alu instid0(VALU_DEP_2) | instskip(NEXT) | instid1(VALU_DEP_2)
	v_sub_nc_u32_e32 v9, v9, v15
	v_lshrrev_b32_e32 v11, s17, v11
	s_delay_alu instid0(VALU_DEP_2) | instskip(SKIP_1) | instid1(VALU_DEP_3)
	v_mul_lo_u32 v15, v9, s24
	v_mul_lo_u32 v18, v9, s25
	v_mul_hi_u32 v13, s19, v11
	s_delay_alu instid0(VALU_DEP_1) | instskip(NEXT) | instid1(VALU_DEP_1)
	v_add_nc_u32_e32 v13, v11, v13
	v_lshrrev_b32_e32 v13, s36, v13
	s_delay_alu instid0(VALU_DEP_1) | instskip(SKIP_1) | instid1(VALU_DEP_2)
	v_mul_hi_u32 v17, s38, v13
	v_mul_lo_u32 v19, v13, s18
	v_add_nc_u32_e32 v9, v13, v17
	v_mul_lo_u32 v17, v11, s15
	s_delay_alu instid0(VALU_DEP_3) | instskip(NEXT) | instid1(VALU_DEP_3)
	v_sub_nc_u32_e32 v11, v11, v19
	v_lshrrev_b32_e32 v9, s39, v9
	s_delay_alu instid0(VALU_DEP_2) | instskip(SKIP_2) | instid1(VALU_DEP_4)
	v_mul_lo_u32 v19, v11, s28
	v_mul_lo_u32 v11, v11, s29
	v_sub_nc_u32_e32 v10, v10, v17
	v_mul_lo_u32 v20, v9, s37
	s_delay_alu instid0(VALU_DEP_2) | instskip(SKIP_1) | instid1(VALU_DEP_3)
	v_mul_lo_u32 v17, v10, s26
	v_mul_lo_u32 v10, v10, s27
	v_sub_nc_u32_e32 v13, v13, v20
	s_delay_alu instid0(VALU_DEP_3) | instskip(NEXT) | instid1(VALU_DEP_2)
	v_add3_u32 v6, v15, v6, v17
	v_mul_lo_u32 v20, v13, s30
	v_mul_lo_u32 v13, v13, s31
	v_add3_u32 v7, v18, v7, v10
	s_delay_alu instid0(VALU_DEP_3) | instskip(NEXT) | instid1(VALU_DEP_2)
	v_add3_u32 v6, v19, v6, v20
	v_add3_u32 v7, v11, v7, v13
	s_cbranch_scc1 .LBB431_59
; %bb.60:
	s_and_b32 s7, s7, 3
	s_delay_alu instid0(SALU_CYCLE_1)
	s_cmp_eq_u32 s7, 0
	s_cbranch_scc0 .LBB431_63
	s_branch .LBB431_65
.LBB431_61:
	s_mov_b32 s6, -1
                                        ; implicit-def: $vgpr6
                                        ; implicit-def: $vgpr7
	s_branch .LBB431_65
.LBB431_62:
	v_mov_b32_e32 v9, v8
	v_mov_b32_e32 v7, 0
	s_and_b32 s7, s7, 3
	s_delay_alu instid0(SALU_CYCLE_1)
	s_cmp_eq_u32 s7, 0
	s_cbranch_scc1 .LBB431_65
.LBB431_63:
	s_lshl_b32 s2, s8, 3
	s_mul_i32 s4, s8, 12
	s_add_u32 s2, s2, s0
	s_addc_u32 s3, 0, s1
	s_add_u32 s2, s2, 0xc4
	s_addc_u32 s3, s3, 0
	s_add_u32 s4, s0, s4
	s_addc_u32 s5, 0, s1
	.p2align	6
.LBB431_64:                             ; =>This Inner Loop Header: Depth=1
	s_clause 0x1
	s_load_b64 s[8:9], s[4:5], 0x4
	s_load_b32 s12, s[4:5], 0xc
	s_load_b64 s[10:11], s[2:3], 0x0
	s_add_u32 s4, s4, 12
	s_addc_u32 s5, s5, 0
	s_add_u32 s2, s2, 8
	s_addc_u32 s3, s3, 0
	s_add_i32 s7, s7, -1
	s_delay_alu instid0(SALU_CYCLE_1) | instskip(SKIP_2) | instid1(VALU_DEP_1)
	s_cmp_lg_u32 s7, 0
	s_waitcnt lgkmcnt(0)
	v_mul_hi_u32 v10, s9, v9
	v_add_nc_u32_e32 v10, v9, v10
	s_delay_alu instid0(VALU_DEP_1) | instskip(NEXT) | instid1(VALU_DEP_1)
	v_lshrrev_b32_e32 v13, s12, v10
	v_mul_lo_u32 v10, v13, s8
	s_delay_alu instid0(VALU_DEP_1) | instskip(NEXT) | instid1(VALU_DEP_1)
	v_sub_nc_u32_e32 v9, v9, v10
	v_mad_u64_u32 v[10:11], null, v9, s10, v[6:7]
	v_mad_u64_u32 v[17:18], null, v9, s11, v[7:8]
	s_delay_alu instid0(VALU_DEP_2) | instskip(NEXT) | instid1(VALU_DEP_2)
	v_dual_mov_b32 v9, v13 :: v_dual_mov_b32 v6, v10
	v_mov_b32_e32 v7, v17
	s_cbranch_scc1 .LBB431_64
.LBB431_65:
	s_and_not1_b32 vcc_lo, exec_lo, s6
	s_cbranch_vccnz .LBB431_68
; %bb.66:
	s_clause 0x1
	s_load_b128 s[4:7], s[0:1], 0x4
	s_load_b64 s[2:3], s[0:1], 0xc4
	s_cmp_lt_u32 s22, 2
	s_waitcnt lgkmcnt(0)
	v_mul_hi_u32 v6, s5, v8
	s_delay_alu instid0(VALU_DEP_1) | instskip(NEXT) | instid1(VALU_DEP_1)
	v_add_nc_u32_e32 v6, v8, v6
	v_lshrrev_b32_e32 v9, s6, v6
	s_delay_alu instid0(VALU_DEP_1) | instskip(NEXT) | instid1(VALU_DEP_1)
	v_mul_lo_u32 v6, v9, s4
	v_sub_nc_u32_e32 v7, v8, v6
	s_delay_alu instid0(VALU_DEP_1)
	v_mul_lo_u32 v6, v7, s2
	v_mul_lo_u32 v7, v7, s3
	s_cbranch_scc1 .LBB431_68
; %bb.67:
	s_clause 0x1
	s_load_b128 s[4:7], s[0:1], 0x10
	s_load_b64 s[2:3], s[0:1], 0xcc
	s_waitcnt lgkmcnt(0)
	v_mul_hi_u32 v8, s5, v9
	s_delay_alu instid0(VALU_DEP_1) | instskip(NEXT) | instid1(VALU_DEP_1)
	v_add_nc_u32_e32 v8, v9, v8
	v_lshrrev_b32_e32 v8, s6, v8
	s_delay_alu instid0(VALU_DEP_1) | instskip(NEXT) | instid1(VALU_DEP_1)
	v_mul_lo_u32 v8, v8, s4
	v_sub_nc_u32_e32 v11, v9, v8
	s_delay_alu instid0(VALU_DEP_1) | instskip(NEXT) | instid1(VALU_DEP_1)
	v_mad_u64_u32 v[8:9], null, v11, s2, v[6:7]
	v_mad_u64_u32 v[9:10], null, v11, s3, v[7:8]
	s_delay_alu instid0(VALU_DEP_1)
	v_dual_mov_b32 v6, v8 :: v_dual_mov_b32 v7, v9
.LBB431_68:
	v_cmp_ne_u32_e32 vcc_lo, 1, v14
	v_add_nc_u32_e32 v10, 0x200, v12
	s_cbranch_vccnz .LBB431_74
; %bb.69:
	v_dual_mov_b32 v8, 0 :: v_dual_mov_b32 v9, 0
	s_cmp_lg_u32 s22, 0
	s_mov_b32 s6, 0
	s_cbranch_scc0 .LBB431_78
; %bb.70:
	s_min_u32 s7, s23, 15
	v_mov_b32_e32 v8, 0
	s_add_i32 s7, s7, 1
	s_cmp_eq_u32 s23, 2
	s_mov_b32 s8, 0
	s_cbranch_scc1 .LBB431_75
; %bb.71:
	v_dual_mov_b32 v9, 0 :: v_dual_mov_b32 v8, 0
	v_mov_b32_e32 v11, v10
	s_add_u32 s2, s0, 0xc4
	s_addc_u32 s3, s1, 0
	s_and_b32 s8, s7, 28
	s_mov_b32 s9, 0
	s_mov_b64 s[4:5], s[0:1]
.LBB431_72:                             ; =>This Inner Loop Header: Depth=1
	s_clause 0x1
	s_load_b256 s[12:19], s[4:5], 0x4
	s_load_b128 s[36:39], s[4:5], 0x24
	s_load_b256 s[24:31], s[2:3], 0x0
	s_add_u32 s4, s4, 48
	s_addc_u32 s5, s5, 0
	s_add_i32 s9, s9, 4
	s_add_u32 s2, s2, 32
	s_addc_u32 s3, s3, 0
	s_cmp_lg_u32 s8, s9
	s_waitcnt lgkmcnt(0)
	v_mul_hi_u32 v13, s13, v11
	s_delay_alu instid0(VALU_DEP_1) | instskip(NEXT) | instid1(VALU_DEP_1)
	v_add_nc_u32_e32 v13, v11, v13
	v_lshrrev_b32_e32 v13, s14, v13
	s_delay_alu instid0(VALU_DEP_1) | instskip(SKIP_1) | instid1(VALU_DEP_2)
	v_mul_hi_u32 v15, s16, v13
	v_mul_lo_u32 v18, v13, s12
	v_add_nc_u32_e32 v15, v13, v15
	s_delay_alu instid0(VALU_DEP_2) | instskip(NEXT) | instid1(VALU_DEP_2)
	v_sub_nc_u32_e32 v11, v11, v18
	v_lshrrev_b32_e32 v15, s17, v15
	s_delay_alu instid0(VALU_DEP_2) | instskip(SKIP_1) | instid1(VALU_DEP_3)
	v_mul_lo_u32 v18, v11, s24
	v_mul_lo_u32 v20, v11, s25
	v_mul_hi_u32 v17, s19, v15
	s_delay_alu instid0(VALU_DEP_1) | instskip(NEXT) | instid1(VALU_DEP_1)
	v_add_nc_u32_e32 v17, v15, v17
	v_lshrrev_b32_e32 v17, s36, v17
	s_delay_alu instid0(VALU_DEP_1) | instskip(SKIP_1) | instid1(VALU_DEP_2)
	v_mul_hi_u32 v19, s38, v17
	v_mul_lo_u32 v21, v17, s18
	v_add_nc_u32_e32 v11, v17, v19
	v_mul_lo_u32 v19, v15, s15
	s_delay_alu instid0(VALU_DEP_3) | instskip(NEXT) | instid1(VALU_DEP_3)
	v_sub_nc_u32_e32 v15, v15, v21
	v_lshrrev_b32_e32 v11, s39, v11
	s_delay_alu instid0(VALU_DEP_2) | instskip(SKIP_2) | instid1(VALU_DEP_4)
	v_mul_lo_u32 v21, v15, s28
	v_mul_lo_u32 v15, v15, s29
	v_sub_nc_u32_e32 v13, v13, v19
	v_mul_lo_u32 v22, v11, s37
	s_delay_alu instid0(VALU_DEP_2) | instskip(SKIP_1) | instid1(VALU_DEP_3)
	v_mul_lo_u32 v19, v13, s26
	v_mul_lo_u32 v13, v13, s27
	v_sub_nc_u32_e32 v17, v17, v22
	s_delay_alu instid0(VALU_DEP_3) | instskip(NEXT) | instid1(VALU_DEP_2)
	v_add3_u32 v8, v18, v8, v19
	v_mul_lo_u32 v22, v17, s30
	v_mul_lo_u32 v17, v17, s31
	v_add3_u32 v9, v20, v9, v13
	s_delay_alu instid0(VALU_DEP_3) | instskip(NEXT) | instid1(VALU_DEP_2)
	v_add3_u32 v8, v21, v8, v22
	v_add3_u32 v9, v15, v9, v17
	s_cbranch_scc1 .LBB431_72
; %bb.73:
	s_and_b32 s7, s7, 3
	s_delay_alu instid0(SALU_CYCLE_1)
	s_cmp_eq_u32 s7, 0
	s_cbranch_scc0 .LBB431_76
	s_branch .LBB431_78
.LBB431_74:
	s_mov_b32 s6, -1
                                        ; implicit-def: $vgpr8
                                        ; implicit-def: $vgpr9
	s_branch .LBB431_78
.LBB431_75:
	v_mov_b32_e32 v11, v10
	v_mov_b32_e32 v9, 0
	s_and_b32 s7, s7, 3
	s_delay_alu instid0(SALU_CYCLE_1)
	s_cmp_eq_u32 s7, 0
	s_cbranch_scc1 .LBB431_78
.LBB431_76:
	s_lshl_b32 s2, s8, 3
	s_mul_i32 s4, s8, 12
	s_add_u32 s2, s2, s0
	s_addc_u32 s3, 0, s1
	s_add_u32 s2, s2, 0xc4
	s_addc_u32 s3, s3, 0
	;; [unrolled: 2-line block ×3, first 2 shown]
	.p2align	6
.LBB431_77:                             ; =>This Inner Loop Header: Depth=1
	s_clause 0x1
	s_load_b64 s[8:9], s[4:5], 0x4
	s_load_b32 s12, s[4:5], 0xc
	s_load_b64 s[10:11], s[2:3], 0x0
	s_add_u32 s4, s4, 12
	s_addc_u32 s5, s5, 0
	s_add_u32 s2, s2, 8
	s_addc_u32 s3, s3, 0
	s_add_i32 s7, s7, -1
	s_delay_alu instid0(SALU_CYCLE_1) | instskip(SKIP_2) | instid1(VALU_DEP_1)
	s_cmp_lg_u32 s7, 0
	s_waitcnt lgkmcnt(0)
	v_mul_hi_u32 v13, s9, v11
	v_add_nc_u32_e32 v13, v11, v13
	s_delay_alu instid0(VALU_DEP_1) | instskip(NEXT) | instid1(VALU_DEP_1)
	v_lshrrev_b32_e32 v13, s12, v13
	v_mul_lo_u32 v15, v13, s8
	s_delay_alu instid0(VALU_DEP_1) | instskip(NEXT) | instid1(VALU_DEP_1)
	v_sub_nc_u32_e32 v11, v11, v15
	v_mad_u64_u32 v[17:18], null, v11, s10, v[8:9]
	v_mad_u64_u32 v[18:19], null, v11, s11, v[9:10]
	v_mov_b32_e32 v11, v13
	s_delay_alu instid0(VALU_DEP_2)
	v_dual_mov_b32 v8, v17 :: v_dual_mov_b32 v9, v18
	s_cbranch_scc1 .LBB431_77
.LBB431_78:
	s_and_not1_b32 vcc_lo, exec_lo, s6
	s_cbranch_vccnz .LBB431_81
; %bb.79:
	s_clause 0x1
	s_load_b128 s[4:7], s[0:1], 0x4
	s_load_b64 s[2:3], s[0:1], 0xc4
	s_cmp_lt_u32 s22, 2
	s_waitcnt lgkmcnt(0)
	v_mul_hi_u32 v8, s5, v10
	s_delay_alu instid0(VALU_DEP_1) | instskip(NEXT) | instid1(VALU_DEP_1)
	v_add_nc_u32_e32 v8, v10, v8
	v_lshrrev_b32_e32 v11, s6, v8
	s_delay_alu instid0(VALU_DEP_1) | instskip(NEXT) | instid1(VALU_DEP_1)
	v_mul_lo_u32 v8, v11, s4
	v_sub_nc_u32_e32 v9, v10, v8
	s_delay_alu instid0(VALU_DEP_1)
	v_mul_lo_u32 v8, v9, s2
	v_mul_lo_u32 v9, v9, s3
	s_cbranch_scc1 .LBB431_81
; %bb.80:
	s_clause 0x1
	s_load_b128 s[4:7], s[0:1], 0x10
	s_load_b64 s[2:3], s[0:1], 0xcc
	s_waitcnt lgkmcnt(0)
	v_mul_hi_u32 v10, s5, v11
	s_delay_alu instid0(VALU_DEP_1) | instskip(NEXT) | instid1(VALU_DEP_1)
	v_add_nc_u32_e32 v10, v11, v10
	v_lshrrev_b32_e32 v10, s6, v10
	s_delay_alu instid0(VALU_DEP_1) | instskip(NEXT) | instid1(VALU_DEP_1)
	v_mul_lo_u32 v10, v10, s4
	v_sub_nc_u32_e32 v13, v11, v10
	s_delay_alu instid0(VALU_DEP_1) | instskip(NEXT) | instid1(VALU_DEP_1)
	v_mad_u64_u32 v[10:11], null, v13, s2, v[8:9]
	v_mad_u64_u32 v[17:18], null, v13, s3, v[9:10]
	s_delay_alu instid0(VALU_DEP_1)
	v_dual_mov_b32 v8, v10 :: v_dual_mov_b32 v9, v17
.LBB431_81:
	v_cmp_ne_u32_e32 vcc_lo, 1, v14
	v_add_nc_u32_e32 v13, 0x280, v12
	s_cbranch_vccnz .LBB431_87
; %bb.82:
	v_dual_mov_b32 v10, 0 :: v_dual_mov_b32 v11, 0
	s_cmp_lg_u32 s22, 0
	s_mov_b32 s6, 0
	s_cbranch_scc0 .LBB431_91
; %bb.83:
	s_min_u32 s7, s23, 15
	v_mov_b32_e32 v10, 0
	s_add_i32 s7, s7, 1
	s_cmp_eq_u32 s23, 2
	s_mov_b32 s8, 0
	s_cbranch_scc1 .LBB431_88
; %bb.84:
	v_dual_mov_b32 v11, 0 :: v_dual_mov_b32 v10, 0
	v_mov_b32_e32 v15, v13
	s_add_u32 s2, s0, 0xc4
	s_addc_u32 s3, s1, 0
	s_and_b32 s8, s7, 28
	s_mov_b32 s9, 0
	s_mov_b64 s[4:5], s[0:1]
.LBB431_85:                             ; =>This Inner Loop Header: Depth=1
	s_clause 0x1
	s_load_b256 s[12:19], s[4:5], 0x4
	s_load_b128 s[36:39], s[4:5], 0x24
	s_load_b256 s[24:31], s[2:3], 0x0
	s_add_u32 s4, s4, 48
	s_addc_u32 s5, s5, 0
	s_add_i32 s9, s9, 4
	s_add_u32 s2, s2, 32
	s_addc_u32 s3, s3, 0
	s_cmp_lg_u32 s8, s9
	s_waitcnt lgkmcnt(0)
	v_mul_hi_u32 v17, s13, v15
	s_delay_alu instid0(VALU_DEP_1) | instskip(NEXT) | instid1(VALU_DEP_1)
	v_add_nc_u32_e32 v17, v15, v17
	v_lshrrev_b32_e32 v17, s14, v17
	s_delay_alu instid0(VALU_DEP_1) | instskip(SKIP_1) | instid1(VALU_DEP_2)
	v_mul_hi_u32 v18, s16, v17
	v_mul_lo_u32 v20, v17, s12
	v_add_nc_u32_e32 v18, v17, v18
	s_delay_alu instid0(VALU_DEP_2) | instskip(NEXT) | instid1(VALU_DEP_2)
	v_sub_nc_u32_e32 v15, v15, v20
	v_lshrrev_b32_e32 v18, s17, v18
	s_delay_alu instid0(VALU_DEP_2) | instskip(SKIP_1) | instid1(VALU_DEP_3)
	v_mul_lo_u32 v20, v15, s24
	v_mul_lo_u32 v22, v15, s25
	v_mul_hi_u32 v19, s19, v18
	s_delay_alu instid0(VALU_DEP_1) | instskip(NEXT) | instid1(VALU_DEP_1)
	v_add_nc_u32_e32 v19, v18, v19
	v_lshrrev_b32_e32 v19, s36, v19
	s_delay_alu instid0(VALU_DEP_1) | instskip(SKIP_1) | instid1(VALU_DEP_2)
	v_mul_hi_u32 v21, s38, v19
	v_mul_lo_u32 v23, v19, s18
	v_add_nc_u32_e32 v15, v19, v21
	v_mul_lo_u32 v21, v18, s15
	s_delay_alu instid0(VALU_DEP_3) | instskip(NEXT) | instid1(VALU_DEP_3)
	v_sub_nc_u32_e32 v18, v18, v23
	v_lshrrev_b32_e32 v15, s39, v15
	s_delay_alu instid0(VALU_DEP_2) | instskip(SKIP_2) | instid1(VALU_DEP_4)
	v_mul_lo_u32 v23, v18, s28
	v_mul_lo_u32 v18, v18, s29
	v_sub_nc_u32_e32 v17, v17, v21
	v_mul_lo_u32 v24, v15, s37
	s_delay_alu instid0(VALU_DEP_2) | instskip(SKIP_1) | instid1(VALU_DEP_3)
	v_mul_lo_u32 v21, v17, s26
	v_mul_lo_u32 v17, v17, s27
	v_sub_nc_u32_e32 v19, v19, v24
	s_delay_alu instid0(VALU_DEP_3) | instskip(NEXT) | instid1(VALU_DEP_2)
	v_add3_u32 v10, v20, v10, v21
	v_mul_lo_u32 v24, v19, s30
	v_mul_lo_u32 v19, v19, s31
	v_add3_u32 v11, v22, v11, v17
	s_delay_alu instid0(VALU_DEP_3) | instskip(NEXT) | instid1(VALU_DEP_2)
	v_add3_u32 v10, v23, v10, v24
	v_add3_u32 v11, v18, v11, v19
	s_cbranch_scc1 .LBB431_85
; %bb.86:
	s_and_b32 s7, s7, 3
	s_delay_alu instid0(SALU_CYCLE_1)
	s_cmp_eq_u32 s7, 0
	s_cbranch_scc0 .LBB431_89
	s_branch .LBB431_91
.LBB431_87:
	s_mov_b32 s6, -1
                                        ; implicit-def: $vgpr10
                                        ; implicit-def: $vgpr11
	s_branch .LBB431_91
.LBB431_88:
	v_mov_b32_e32 v15, v13
	v_mov_b32_e32 v11, 0
	s_and_b32 s7, s7, 3
	s_delay_alu instid0(SALU_CYCLE_1)
	s_cmp_eq_u32 s7, 0
	s_cbranch_scc1 .LBB431_91
.LBB431_89:
	s_lshl_b32 s2, s8, 3
	s_mul_i32 s4, s8, 12
	s_add_u32 s2, s2, s0
	s_addc_u32 s3, 0, s1
	s_add_u32 s2, s2, 0xc4
	s_addc_u32 s3, s3, 0
	;; [unrolled: 2-line block ×3, first 2 shown]
	.p2align	6
.LBB431_90:                             ; =>This Inner Loop Header: Depth=1
	s_clause 0x1
	s_load_b64 s[8:9], s[4:5], 0x4
	s_load_b32 s12, s[4:5], 0xc
	s_load_b64 s[10:11], s[2:3], 0x0
	s_add_u32 s4, s4, 12
	s_addc_u32 s5, s5, 0
	s_add_u32 s2, s2, 8
	s_addc_u32 s3, s3, 0
	s_add_i32 s7, s7, -1
	s_delay_alu instid0(SALU_CYCLE_1) | instskip(SKIP_2) | instid1(VALU_DEP_1)
	s_cmp_lg_u32 s7, 0
	s_waitcnt lgkmcnt(0)
	v_mul_hi_u32 v17, s9, v15
	v_add_nc_u32_e32 v17, v15, v17
	s_delay_alu instid0(VALU_DEP_1) | instskip(NEXT) | instid1(VALU_DEP_1)
	v_lshrrev_b32_e32 v20, s12, v17
	v_mul_lo_u32 v17, v20, s8
	s_delay_alu instid0(VALU_DEP_1) | instskip(NEXT) | instid1(VALU_DEP_1)
	v_sub_nc_u32_e32 v15, v15, v17
	v_mad_u64_u32 v[17:18], null, v15, s10, v[10:11]
	v_mad_u64_u32 v[18:19], null, v15, s11, v[11:12]
	s_delay_alu instid0(VALU_DEP_2) | instskip(NEXT) | instid1(VALU_DEP_2)
	v_dual_mov_b32 v15, v20 :: v_dual_mov_b32 v10, v17
	v_mov_b32_e32 v11, v18
	s_cbranch_scc1 .LBB431_90
.LBB431_91:
	s_and_not1_b32 vcc_lo, exec_lo, s6
	s_cbranch_vccnz .LBB431_94
; %bb.92:
	s_clause 0x1
	s_load_b128 s[4:7], s[0:1], 0x4
	s_load_b64 s[2:3], s[0:1], 0xc4
	s_cmp_lt_u32 s22, 2
	s_waitcnt lgkmcnt(0)
	v_mul_hi_u32 v10, s5, v13
	s_delay_alu instid0(VALU_DEP_1) | instskip(NEXT) | instid1(VALU_DEP_1)
	v_add_nc_u32_e32 v10, v13, v10
	v_lshrrev_b32_e32 v15, s6, v10
	s_delay_alu instid0(VALU_DEP_1) | instskip(NEXT) | instid1(VALU_DEP_1)
	v_mul_lo_u32 v10, v15, s4
	v_sub_nc_u32_e32 v11, v13, v10
	s_delay_alu instid0(VALU_DEP_1)
	v_mul_lo_u32 v10, v11, s2
	v_mul_lo_u32 v11, v11, s3
	s_cbranch_scc1 .LBB431_94
; %bb.93:
	s_clause 0x1
	s_load_b128 s[4:7], s[0:1], 0x10
	s_load_b64 s[2:3], s[0:1], 0xcc
	s_waitcnt lgkmcnt(0)
	v_mul_hi_u32 v13, s5, v15
	s_delay_alu instid0(VALU_DEP_1) | instskip(NEXT) | instid1(VALU_DEP_1)
	v_add_nc_u32_e32 v13, v15, v13
	v_lshrrev_b32_e32 v13, s6, v13
	s_delay_alu instid0(VALU_DEP_1) | instskip(NEXT) | instid1(VALU_DEP_1)
	v_mul_lo_u32 v13, v13, s4
	v_sub_nc_u32_e32 v13, v15, v13
	s_delay_alu instid0(VALU_DEP_1) | instskip(SKIP_1) | instid1(VALU_DEP_1)
	v_mad_u64_u32 v[17:18], null, v13, s2, v[10:11]
	v_mad_u64_u32 v[18:19], null, v13, s3, v[11:12]
	v_dual_mov_b32 v10, v17 :: v_dual_mov_b32 v11, v18
.LBB431_94:
	v_cmp_ne_u32_e32 vcc_lo, 1, v14
	v_add_nc_u32_e32 v15, 0x300, v12
	s_cbranch_vccnz .LBB431_100
; %bb.95:
	v_dual_mov_b32 v12, 0 :: v_dual_mov_b32 v13, 0
	s_cmp_lg_u32 s22, 0
	s_mov_b32 s6, 0
	s_cbranch_scc0 .LBB431_104
; %bb.96:
	s_min_u32 s7, s23, 15
	v_mov_b32_e32 v12, 0
	s_add_i32 s7, s7, 1
	s_cmp_eq_u32 s23, 2
	s_mov_b32 s8, 0
	s_cbranch_scc1 .LBB431_101
; %bb.97:
	v_dual_mov_b32 v13, 0 :: v_dual_mov_b32 v12, 0
	v_mov_b32_e32 v17, v15
	s_add_u32 s2, s0, 0xc4
	s_addc_u32 s3, s1, 0
	s_and_b32 s8, s7, 28
	s_mov_b32 s9, 0
	s_mov_b64 s[4:5], s[0:1]
.LBB431_98:                             ; =>This Inner Loop Header: Depth=1
	s_clause 0x1
	s_load_b256 s[12:19], s[4:5], 0x4
	s_load_b128 s[36:39], s[4:5], 0x24
	s_load_b256 s[24:31], s[2:3], 0x0
	s_add_u32 s4, s4, 48
	s_addc_u32 s5, s5, 0
	s_add_i32 s9, s9, 4
	s_add_u32 s2, s2, 32
	s_addc_u32 s3, s3, 0
	s_cmp_lg_u32 s8, s9
	s_waitcnt lgkmcnt(0)
	v_mul_hi_u32 v18, s13, v17
	s_delay_alu instid0(VALU_DEP_1) | instskip(NEXT) | instid1(VALU_DEP_1)
	v_add_nc_u32_e32 v18, v17, v18
	v_lshrrev_b32_e32 v18, s14, v18
	s_delay_alu instid0(VALU_DEP_1) | instskip(SKIP_1) | instid1(VALU_DEP_2)
	v_mul_hi_u32 v19, s16, v18
	v_mul_lo_u32 v21, v18, s12
	v_add_nc_u32_e32 v19, v18, v19
	s_delay_alu instid0(VALU_DEP_2) | instskip(NEXT) | instid1(VALU_DEP_2)
	v_sub_nc_u32_e32 v17, v17, v21
	v_lshrrev_b32_e32 v19, s17, v19
	s_delay_alu instid0(VALU_DEP_2) | instskip(SKIP_1) | instid1(VALU_DEP_3)
	v_mul_lo_u32 v21, v17, s24
	v_mul_lo_u32 v23, v17, s25
	v_mul_hi_u32 v20, s19, v19
	s_delay_alu instid0(VALU_DEP_1) | instskip(NEXT) | instid1(VALU_DEP_1)
	v_add_nc_u32_e32 v20, v19, v20
	v_lshrrev_b32_e32 v20, s36, v20
	s_delay_alu instid0(VALU_DEP_1) | instskip(SKIP_1) | instid1(VALU_DEP_2)
	v_mul_hi_u32 v22, s38, v20
	v_mul_lo_u32 v24, v20, s18
	v_add_nc_u32_e32 v17, v20, v22
	v_mul_lo_u32 v22, v19, s15
	s_delay_alu instid0(VALU_DEP_3) | instskip(NEXT) | instid1(VALU_DEP_3)
	v_sub_nc_u32_e32 v19, v19, v24
	v_lshrrev_b32_e32 v17, s39, v17
	s_delay_alu instid0(VALU_DEP_2) | instskip(SKIP_2) | instid1(VALU_DEP_4)
	v_mul_lo_u32 v24, v19, s28
	v_mul_lo_u32 v19, v19, s29
	v_sub_nc_u32_e32 v18, v18, v22
	v_mul_lo_u32 v25, v17, s37
	s_delay_alu instid0(VALU_DEP_2) | instskip(SKIP_1) | instid1(VALU_DEP_3)
	v_mul_lo_u32 v22, v18, s26
	v_mul_lo_u32 v18, v18, s27
	v_sub_nc_u32_e32 v20, v20, v25
	s_delay_alu instid0(VALU_DEP_3) | instskip(NEXT) | instid1(VALU_DEP_2)
	v_add3_u32 v12, v21, v12, v22
	v_mul_lo_u32 v25, v20, s30
	v_mul_lo_u32 v20, v20, s31
	v_add3_u32 v13, v23, v13, v18
	s_delay_alu instid0(VALU_DEP_3) | instskip(NEXT) | instid1(VALU_DEP_2)
	v_add3_u32 v12, v24, v12, v25
	v_add3_u32 v13, v19, v13, v20
	s_cbranch_scc1 .LBB431_98
; %bb.99:
	s_and_b32 s7, s7, 3
	s_delay_alu instid0(SALU_CYCLE_1)
	s_cmp_eq_u32 s7, 0
	s_cbranch_scc0 .LBB431_102
	s_branch .LBB431_104
.LBB431_100:
	s_mov_b32 s6, -1
                                        ; implicit-def: $vgpr12
                                        ; implicit-def: $vgpr13
	s_branch .LBB431_104
.LBB431_101:
	v_mov_b32_e32 v17, v15
	v_mov_b32_e32 v13, 0
	s_and_b32 s7, s7, 3
	s_delay_alu instid0(SALU_CYCLE_1)
	s_cmp_eq_u32 s7, 0
	s_cbranch_scc1 .LBB431_104
.LBB431_102:
	s_lshl_b32 s2, s8, 3
	s_mul_i32 s4, s8, 12
	s_add_u32 s2, s2, s0
	s_addc_u32 s3, 0, s1
	s_add_u32 s2, s2, 0xc4
	s_addc_u32 s3, s3, 0
	;; [unrolled: 2-line block ×3, first 2 shown]
	.p2align	6
.LBB431_103:                            ; =>This Inner Loop Header: Depth=1
	s_clause 0x1
	s_load_b64 s[8:9], s[4:5], 0x4
	s_load_b32 s12, s[4:5], 0xc
	s_load_b64 s[10:11], s[2:3], 0x0
	s_add_u32 s4, s4, 12
	s_addc_u32 s5, s5, 0
	s_add_u32 s2, s2, 8
	s_addc_u32 s3, s3, 0
	s_add_i32 s7, s7, -1
	s_delay_alu instid0(SALU_CYCLE_1) | instskip(SKIP_2) | instid1(VALU_DEP_1)
	s_cmp_lg_u32 s7, 0
	s_waitcnt lgkmcnt(0)
	v_mul_hi_u32 v18, s9, v17
	v_add_nc_u32_e32 v18, v17, v18
	s_delay_alu instid0(VALU_DEP_1) | instskip(NEXT) | instid1(VALU_DEP_1)
	v_lshrrev_b32_e32 v21, s12, v18
	v_mul_lo_u32 v18, v21, s8
	s_delay_alu instid0(VALU_DEP_1) | instskip(NEXT) | instid1(VALU_DEP_1)
	v_sub_nc_u32_e32 v17, v17, v18
	v_mad_u64_u32 v[18:19], null, v17, s10, v[12:13]
	v_mad_u64_u32 v[19:20], null, v17, s11, v[13:14]
	s_delay_alu instid0(VALU_DEP_2) | instskip(NEXT) | instid1(VALU_DEP_2)
	v_dual_mov_b32 v17, v21 :: v_dual_mov_b32 v12, v18
	v_mov_b32_e32 v13, v19
	s_cbranch_scc1 .LBB431_103
.LBB431_104:
	s_and_not1_b32 vcc_lo, exec_lo, s6
	s_cbranch_vccnz .LBB431_107
; %bb.105:
	s_clause 0x1
	s_load_b128 s[4:7], s[0:1], 0x4
	s_load_b64 s[2:3], s[0:1], 0xc4
	s_cmp_lt_u32 s22, 2
	s_waitcnt lgkmcnt(0)
	v_mul_hi_u32 v12, s5, v15
	s_delay_alu instid0(VALU_DEP_1) | instskip(NEXT) | instid1(VALU_DEP_1)
	v_add_nc_u32_e32 v12, v15, v12
	v_lshrrev_b32_e32 v17, s6, v12
	s_delay_alu instid0(VALU_DEP_1) | instskip(NEXT) | instid1(VALU_DEP_1)
	v_mul_lo_u32 v12, v17, s4
	v_sub_nc_u32_e32 v13, v15, v12
	s_delay_alu instid0(VALU_DEP_1)
	v_mul_lo_u32 v12, v13, s2
	v_mul_lo_u32 v13, v13, s3
	s_cbranch_scc1 .LBB431_107
; %bb.106:
	s_clause 0x1
	s_load_b128 s[4:7], s[0:1], 0x10
	s_load_b64 s[2:3], s[0:1], 0xcc
	s_waitcnt lgkmcnt(0)
	v_mul_hi_u32 v15, s5, v17
	s_delay_alu instid0(VALU_DEP_1) | instskip(NEXT) | instid1(VALU_DEP_1)
	v_add_nc_u32_e32 v15, v17, v15
	v_lshrrev_b32_e32 v15, s6, v15
	s_delay_alu instid0(VALU_DEP_1) | instskip(NEXT) | instid1(VALU_DEP_1)
	v_mul_lo_u32 v15, v15, s4
	v_sub_nc_u32_e32 v15, v17, v15
	s_delay_alu instid0(VALU_DEP_1) | instskip(SKIP_1) | instid1(VALU_DEP_1)
	v_mad_u64_u32 v[17:18], null, v15, s2, v[12:13]
	v_mad_u64_u32 v[18:19], null, v15, s3, v[13:14]
	v_dual_mov_b32 v12, v17 :: v_dual_mov_b32 v13, v18
.LBB431_107:
	v_cmp_ne_u32_e32 vcc_lo, 1, v14
	s_cbranch_vccnz .LBB431_113
; %bb.108:
	v_dual_mov_b32 v14, 0 :: v_dual_mov_b32 v15, 0
	s_cmp_lg_u32 s22, 0
	s_mov_b32 s6, 0
	s_cbranch_scc0 .LBB431_117
; %bb.109:
	s_min_u32 s7, s23, 15
	v_mov_b32_e32 v14, 0
	s_add_i32 s7, s7, 1
	s_cmp_eq_u32 s23, 2
	s_mov_b32 s8, 0
	s_cbranch_scc1 .LBB431_114
; %bb.110:
	v_dual_mov_b32 v15, 0 :: v_dual_mov_b32 v14, 0
	v_mov_b32_e32 v17, v16
	s_add_u32 s2, s0, 0xc4
	s_addc_u32 s3, s1, 0
	s_and_b32 s8, s7, 28
	s_mov_b32 s9, 0
	s_mov_b64 s[4:5], s[0:1]
.LBB431_111:                            ; =>This Inner Loop Header: Depth=1
	s_clause 0x1
	s_load_b256 s[12:19], s[4:5], 0x4
	s_load_b128 s[36:39], s[4:5], 0x24
	s_load_b256 s[24:31], s[2:3], 0x0
	s_add_u32 s4, s4, 48
	s_addc_u32 s5, s5, 0
	s_add_i32 s9, s9, 4
	s_add_u32 s2, s2, 32
	s_addc_u32 s3, s3, 0
	s_cmp_lg_u32 s8, s9
	s_waitcnt lgkmcnt(0)
	v_mul_hi_u32 v18, s13, v17
	s_delay_alu instid0(VALU_DEP_1) | instskip(NEXT) | instid1(VALU_DEP_1)
	v_add_nc_u32_e32 v18, v17, v18
	v_lshrrev_b32_e32 v18, s14, v18
	s_delay_alu instid0(VALU_DEP_1) | instskip(SKIP_1) | instid1(VALU_DEP_2)
	v_mul_hi_u32 v19, s16, v18
	v_mul_lo_u32 v21, v18, s12
	v_add_nc_u32_e32 v19, v18, v19
	s_delay_alu instid0(VALU_DEP_2) | instskip(NEXT) | instid1(VALU_DEP_2)
	v_sub_nc_u32_e32 v17, v17, v21
	v_lshrrev_b32_e32 v19, s17, v19
	s_delay_alu instid0(VALU_DEP_2) | instskip(SKIP_1) | instid1(VALU_DEP_3)
	v_mul_lo_u32 v21, v17, s24
	v_mul_lo_u32 v23, v17, s25
	v_mul_hi_u32 v20, s19, v19
	s_delay_alu instid0(VALU_DEP_1) | instskip(NEXT) | instid1(VALU_DEP_1)
	v_add_nc_u32_e32 v20, v19, v20
	v_lshrrev_b32_e32 v20, s36, v20
	s_delay_alu instid0(VALU_DEP_1) | instskip(SKIP_1) | instid1(VALU_DEP_2)
	v_mul_hi_u32 v22, s38, v20
	v_mul_lo_u32 v24, v20, s18
	v_add_nc_u32_e32 v17, v20, v22
	v_mul_lo_u32 v22, v19, s15
	s_delay_alu instid0(VALU_DEP_3) | instskip(NEXT) | instid1(VALU_DEP_3)
	v_sub_nc_u32_e32 v19, v19, v24
	v_lshrrev_b32_e32 v17, s39, v17
	s_delay_alu instid0(VALU_DEP_2) | instskip(SKIP_2) | instid1(VALU_DEP_4)
	v_mul_lo_u32 v24, v19, s28
	v_mul_lo_u32 v19, v19, s29
	v_sub_nc_u32_e32 v18, v18, v22
	v_mul_lo_u32 v25, v17, s37
	s_delay_alu instid0(VALU_DEP_2) | instskip(SKIP_1) | instid1(VALU_DEP_3)
	v_mul_lo_u32 v22, v18, s26
	v_mul_lo_u32 v18, v18, s27
	v_sub_nc_u32_e32 v20, v20, v25
	s_delay_alu instid0(VALU_DEP_3) | instskip(NEXT) | instid1(VALU_DEP_2)
	v_add3_u32 v14, v21, v14, v22
	v_mul_lo_u32 v25, v20, s30
	v_mul_lo_u32 v20, v20, s31
	v_add3_u32 v15, v23, v15, v18
	s_delay_alu instid0(VALU_DEP_3) | instskip(NEXT) | instid1(VALU_DEP_2)
	v_add3_u32 v14, v24, v14, v25
	v_add3_u32 v15, v19, v15, v20
	s_cbranch_scc1 .LBB431_111
; %bb.112:
	s_and_b32 s7, s7, 3
	s_delay_alu instid0(SALU_CYCLE_1)
	s_cmp_eq_u32 s7, 0
	s_cbranch_scc0 .LBB431_115
	s_branch .LBB431_117
.LBB431_113:
	s_mov_b32 s6, -1
                                        ; implicit-def: $vgpr14
                                        ; implicit-def: $vgpr15
	s_branch .LBB431_117
.LBB431_114:
	v_mov_b32_e32 v17, v16
	v_mov_b32_e32 v15, 0
	s_and_b32 s7, s7, 3
	s_delay_alu instid0(SALU_CYCLE_1)
	s_cmp_eq_u32 s7, 0
	s_cbranch_scc1 .LBB431_117
.LBB431_115:
	s_lshl_b32 s2, s8, 3
	s_mul_i32 s4, s8, 12
	s_add_u32 s2, s2, s0
	s_addc_u32 s3, 0, s1
	s_add_u32 s2, s2, 0xc4
	s_addc_u32 s3, s3, 0
	;; [unrolled: 2-line block ×3, first 2 shown]
	.p2align	6
.LBB431_116:                            ; =>This Inner Loop Header: Depth=1
	s_clause 0x1
	s_load_b64 s[8:9], s[4:5], 0x4
	s_load_b32 s12, s[4:5], 0xc
	s_load_b64 s[10:11], s[2:3], 0x0
	s_add_u32 s4, s4, 12
	s_addc_u32 s5, s5, 0
	s_add_u32 s2, s2, 8
	s_addc_u32 s3, s3, 0
	s_add_i32 s7, s7, -1
	s_delay_alu instid0(SALU_CYCLE_1) | instskip(SKIP_2) | instid1(VALU_DEP_1)
	s_cmp_lg_u32 s7, 0
	s_waitcnt lgkmcnt(0)
	v_mul_hi_u32 v18, s9, v17
	v_add_nc_u32_e32 v18, v17, v18
	s_delay_alu instid0(VALU_DEP_1) | instskip(NEXT) | instid1(VALU_DEP_1)
	v_lshrrev_b32_e32 v21, s12, v18
	v_mul_lo_u32 v18, v21, s8
	s_delay_alu instid0(VALU_DEP_1) | instskip(NEXT) | instid1(VALU_DEP_1)
	v_sub_nc_u32_e32 v17, v17, v18
	v_mad_u64_u32 v[18:19], null, v17, s10, v[14:15]
	v_mad_u64_u32 v[19:20], null, v17, s11, v[15:16]
	s_delay_alu instid0(VALU_DEP_2) | instskip(NEXT) | instid1(VALU_DEP_2)
	v_dual_mov_b32 v17, v21 :: v_dual_mov_b32 v14, v18
	v_mov_b32_e32 v15, v19
	s_cbranch_scc1 .LBB431_116
.LBB431_117:
	s_and_not1_b32 vcc_lo, exec_lo, s6
	s_cbranch_vccnz .LBB431_120
; %bb.118:
	s_clause 0x1
	s_load_b128 s[4:7], s[0:1], 0x4
	s_load_b64 s[2:3], s[0:1], 0xc4
	s_cmp_lt_u32 s22, 2
	s_waitcnt lgkmcnt(0)
	v_mul_hi_u32 v14, s5, v16
	s_delay_alu instid0(VALU_DEP_1) | instskip(NEXT) | instid1(VALU_DEP_1)
	v_add_nc_u32_e32 v14, v16, v14
	v_lshrrev_b32_e32 v17, s6, v14
	s_delay_alu instid0(VALU_DEP_1) | instskip(NEXT) | instid1(VALU_DEP_1)
	v_mul_lo_u32 v14, v17, s4
	v_sub_nc_u32_e32 v15, v16, v14
	s_delay_alu instid0(VALU_DEP_1)
	v_mul_lo_u32 v14, v15, s2
	v_mul_lo_u32 v15, v15, s3
	s_cbranch_scc1 .LBB431_120
; %bb.119:
	s_clause 0x1
	s_load_b128 s[4:7], s[0:1], 0x10
	s_load_b64 s[2:3], s[0:1], 0xcc
	s_waitcnt lgkmcnt(0)
	v_mul_hi_u32 v16, s5, v17
	s_delay_alu instid0(VALU_DEP_1) | instskip(NEXT) | instid1(VALU_DEP_1)
	v_add_nc_u32_e32 v16, v17, v16
	v_lshrrev_b32_e32 v16, s6, v16
	s_delay_alu instid0(VALU_DEP_1) | instskip(NEXT) | instid1(VALU_DEP_1)
	v_mul_lo_u32 v16, v16, s4
	v_sub_nc_u32_e32 v19, v17, v16
	s_delay_alu instid0(VALU_DEP_1) | instskip(NEXT) | instid1(VALU_DEP_1)
	v_mad_u64_u32 v[16:17], null, v19, s2, v[14:15]
	v_mad_u64_u32 v[17:18], null, v19, s3, v[15:16]
	s_delay_alu instid0(VALU_DEP_1)
	v_dual_mov_b32 v14, v16 :: v_dual_mov_b32 v15, v17
.LBB431_120:
	s_clause 0x1
	s_load_b128 s[4:7], s[0:1], 0x148
	s_load_b32 s0, s[0:1], 0x158
	s_waitcnt lgkmcnt(0)
	s_clause 0x7
	global_load_i8 v1, v1, s[6:7]
	global_load_i8 v3, v3, s[6:7]
	;; [unrolled: 1-line block ×8, first 2 shown]
	s_sext_i32_i8 s0, s0
	s_waitcnt vmcnt(7)
	v_min_i16 v1, v1, s0
	s_waitcnt vmcnt(6)
	v_min_i16 v3, v3, s0
	;; [unrolled: 2-line block ×8, first 2 shown]
	s_clause 0x7
	global_store_b8 v0, v1, s[4:5]
	global_store_b8 v2, v3, s[4:5]
	;; [unrolled: 1-line block ×8, first 2 shown]
	s_nop 0
	s_sendmsg sendmsg(MSG_DEALLOC_VGPRS)
	s_endpgm
.LBB431_121:
	v_dual_mov_b32 v2, v12 :: v_dual_mov_b32 v1, 0
.LBB431_122:
	s_and_b32 s35, s35, 3
	s_delay_alu instid0(SALU_CYCLE_1)
	s_cmp_eq_u32 s35, 0
	s_cbranch_scc1 .LBB431_125
; %bb.123:
	s_lshl_b32 s18, s34, 3
	s_mul_i32 s20, s34, 12
	s_add_u32 s18, s18, s0
	s_addc_u32 s19, s1, 0
	s_add_u32 s18, s18, 0xc4
	s_addc_u32 s19, s19, 0
	;; [unrolled: 2-line block ×3, first 2 shown]
	.p2align	6
.LBB431_124:                            ; =>This Inner Loop Header: Depth=1
	s_clause 0x1
	s_load_b64 s[36:37], s[20:21], 0x4
	s_load_b32 s34, s[20:21], 0xc
	s_load_b64 s[38:39], s[18:19], 0x0
	s_add_u32 s20, s20, 12
	s_addc_u32 s21, s21, 0
	s_add_u32 s18, s18, 8
	s_addc_u32 s19, s19, 0
	s_add_i32 s35, s35, -1
	s_delay_alu instid0(SALU_CYCLE_1) | instskip(SKIP_2) | instid1(VALU_DEP_1)
	s_cmp_lg_u32 s35, 0
	s_waitcnt lgkmcnt(0)
	v_mul_hi_u32 v3, s37, v2
	v_add_nc_u32_e32 v3, v2, v3
	s_delay_alu instid0(VALU_DEP_1) | instskip(NEXT) | instid1(VALU_DEP_1)
	v_lshrrev_b32_e32 v6, s34, v3
	v_mul_lo_u32 v3, v6, s36
	s_delay_alu instid0(VALU_DEP_1) | instskip(NEXT) | instid1(VALU_DEP_1)
	v_sub_nc_u32_e32 v2, v2, v3
	v_mad_u64_u32 v[3:4], null, v2, s38, v[0:1]
	v_mad_u64_u32 v[4:5], null, v2, s39, v[1:2]
	v_mov_b32_e32 v2, v6
	s_delay_alu instid0(VALU_DEP_2)
	v_dual_mov_b32 v0, v3 :: v_dual_mov_b32 v1, v4
	s_cbranch_scc1 .LBB431_124
.LBB431_125:
	s_and_not1_b32 vcc_lo, exec_lo, s33
	s_cbranch_vccnz .LBB431_128
; %bb.126:
	s_waitcnt lgkmcnt(0)
	v_mul_hi_u32 v0, s13, v12
	s_and_not1_b32 vcc_lo, exec_lo, s27
	s_delay_alu instid0(VALU_DEP_1) | instskip(NEXT) | instid1(VALU_DEP_1)
	v_add_nc_u32_e32 v0, v12, v0
	v_lshrrev_b32_e32 v2, s14, v0
	s_delay_alu instid0(VALU_DEP_1) | instskip(NEXT) | instid1(VALU_DEP_1)
	v_mul_lo_u32 v0, v2, s12
	v_sub_nc_u32_e32 v1, v12, v0
	s_delay_alu instid0(VALU_DEP_1)
	v_mul_lo_u32 v0, v1, s8
	v_mul_lo_u32 v1, v1, s9
	s_cbranch_vccnz .LBB431_128
; %bb.127:
	v_mul_hi_u32 v3, s2, v2
	s_delay_alu instid0(VALU_DEP_1) | instskip(NEXT) | instid1(VALU_DEP_1)
	v_add_nc_u32_e32 v3, v2, v3
	v_lshrrev_b32_e32 v3, s3, v3
	s_delay_alu instid0(VALU_DEP_1) | instskip(NEXT) | instid1(VALU_DEP_1)
	v_mul_lo_u32 v3, v3, s15
	v_sub_nc_u32_e32 v5, v2, v3
	s_delay_alu instid0(VALU_DEP_1) | instskip(NEXT) | instid1(VALU_DEP_1)
	v_mad_u64_u32 v[2:3], null, v5, s10, v[0:1]
	v_mad_u64_u32 v[3:4], null, v5, s11, v[1:2]
	s_delay_alu instid0(VALU_DEP_1)
	v_dual_mov_b32 v0, v2 :: v_dual_mov_b32 v1, v3
.LBB431_128:
	s_waitcnt lgkmcnt(0)
	global_load_i8 v1, v1, s[6:7]
	s_bfe_i32 s18, s26, 0x80000
	v_add_nc_u32_e32 v12, 0x80, v12
	s_waitcnt vmcnt(0)
	v_min_i16 v1, v1, s18
	global_store_b8 v0, v1, s[4:5]
	s_or_b32 exec_lo, exec_lo, s31
	s_delay_alu instid0(SALU_CYCLE_1)
	s_mov_b32 s31, exec_lo
	v_cmpx_gt_i32_e64 s28, v12
	s_cbranch_execnz .LBB431_15
.LBB431_129:
	s_or_b32 exec_lo, exec_lo, s31
	s_delay_alu instid0(SALU_CYCLE_1)
	s_mov_b32 s31, exec_lo
	v_cmpx_gt_i32_e64 s28, v12
	s_cbranch_execz .LBB431_144
.LBB431_130:
	s_and_not1_b32 vcc_lo, exec_lo, s24
	s_cbranch_vccnz .LBB431_135
; %bb.131:
	v_dual_mov_b32 v0, 0 :: v_dual_mov_b32 v1, 0
	s_and_not1_b32 vcc_lo, exec_lo, s30
	s_mov_b32 s33, 0
	s_cbranch_vccnz .LBB431_155
; %bb.132:
	v_mov_b32_e32 v0, 0
	s_add_i32 s35, s29, 1
	s_cmp_eq_u32 s23, 2
	s_mov_b32 s34, 0
	s_cbranch_scc1 .LBB431_151
; %bb.133:
	v_dual_mov_b32 v1, 0 :: v_dual_mov_b32 v0, 0
	v_mov_b32_e32 v2, v12
	s_and_b32 s34, s35, 28
	s_mov_b32 s36, 0
	s_mov_b64 s[18:19], s[16:17]
	s_mov_b64 s[20:21], s[0:1]
.LBB431_134:                            ; =>This Inner Loop Header: Depth=1
	s_clause 0x1
	s_load_b256 s[40:47], s[20:21], 0x4
	s_load_b128 s[56:59], s[20:21], 0x24
	s_load_b256 s[48:55], s[18:19], 0x0
	s_add_u32 s20, s20, 48
	s_addc_u32 s21, s21, 0
	s_add_i32 s36, s36, 4
	s_add_u32 s18, s18, 32
	s_addc_u32 s19, s19, 0
	s_cmp_eq_u32 s34, s36
	s_waitcnt lgkmcnt(0)
	v_mul_hi_u32 v3, s41, v2
	s_delay_alu instid0(VALU_DEP_1) | instskip(NEXT) | instid1(VALU_DEP_1)
	v_add_nc_u32_e32 v3, v2, v3
	v_lshrrev_b32_e32 v3, s42, v3
	s_delay_alu instid0(VALU_DEP_1) | instskip(SKIP_1) | instid1(VALU_DEP_2)
	v_mul_hi_u32 v4, s44, v3
	v_mul_lo_u32 v6, v3, s40
	v_add_nc_u32_e32 v4, v3, v4
	s_delay_alu instid0(VALU_DEP_2) | instskip(NEXT) | instid1(VALU_DEP_2)
	v_sub_nc_u32_e32 v2, v2, v6
	v_lshrrev_b32_e32 v4, s45, v4
	s_delay_alu instid0(VALU_DEP_2) | instskip(SKIP_1) | instid1(VALU_DEP_3)
	v_mul_lo_u32 v6, v2, s48
	v_mul_lo_u32 v8, v2, s49
	v_mul_hi_u32 v5, s47, v4
	s_delay_alu instid0(VALU_DEP_1) | instskip(NEXT) | instid1(VALU_DEP_1)
	v_add_nc_u32_e32 v5, v4, v5
	v_lshrrev_b32_e32 v5, s56, v5
	s_delay_alu instid0(VALU_DEP_1) | instskip(SKIP_1) | instid1(VALU_DEP_2)
	v_mul_hi_u32 v7, s58, v5
	v_mul_lo_u32 v9, v5, s46
	v_add_nc_u32_e32 v2, v5, v7
	v_mul_lo_u32 v7, v4, s43
	s_delay_alu instid0(VALU_DEP_3) | instskip(NEXT) | instid1(VALU_DEP_3)
	v_sub_nc_u32_e32 v4, v4, v9
	v_lshrrev_b32_e32 v2, s59, v2
	s_delay_alu instid0(VALU_DEP_2) | instskip(SKIP_2) | instid1(VALU_DEP_4)
	v_mul_lo_u32 v9, v4, s52
	v_mul_lo_u32 v4, v4, s53
	v_sub_nc_u32_e32 v3, v3, v7
	v_mul_lo_u32 v10, v2, s57
	s_delay_alu instid0(VALU_DEP_2) | instskip(SKIP_1) | instid1(VALU_DEP_3)
	v_mul_lo_u32 v7, v3, s50
	v_mul_lo_u32 v3, v3, s51
	v_sub_nc_u32_e32 v5, v5, v10
	s_delay_alu instid0(VALU_DEP_3) | instskip(NEXT) | instid1(VALU_DEP_2)
	v_add3_u32 v0, v6, v0, v7
	v_mul_lo_u32 v10, v5, s54
	v_mul_lo_u32 v5, v5, s55
	v_add3_u32 v1, v8, v1, v3
	s_delay_alu instid0(VALU_DEP_3) | instskip(NEXT) | instid1(VALU_DEP_2)
	v_add3_u32 v0, v9, v0, v10
	v_add3_u32 v1, v4, v1, v5
	s_cbranch_scc0 .LBB431_134
	s_branch .LBB431_152
.LBB431_135:
	s_mov_b32 s33, -1
                                        ; implicit-def: $vgpr0
                                        ; implicit-def: $vgpr1
	s_branch .LBB431_155
.LBB431_136:
	v_dual_mov_b32 v2, v12 :: v_dual_mov_b32 v1, 0
.LBB431_137:
	s_and_b32 s35, s35, 3
	s_delay_alu instid0(SALU_CYCLE_1)
	s_cmp_eq_u32 s35, 0
	s_cbranch_scc1 .LBB431_140
; %bb.138:
	s_lshl_b32 s18, s34, 3
	s_mul_i32 s20, s34, 12
	s_add_u32 s18, s18, s0
	s_addc_u32 s19, s1, 0
	s_add_u32 s18, s18, 0xc4
	s_addc_u32 s19, s19, 0
	;; [unrolled: 2-line block ×3, first 2 shown]
	.p2align	6
.LBB431_139:                            ; =>This Inner Loop Header: Depth=1
	s_clause 0x1
	s_load_b64 s[36:37], s[20:21], 0x4
	s_load_b32 s34, s[20:21], 0xc
	s_load_b64 s[38:39], s[18:19], 0x0
	s_add_u32 s20, s20, 12
	s_addc_u32 s21, s21, 0
	s_add_u32 s18, s18, 8
	s_addc_u32 s19, s19, 0
	s_add_i32 s35, s35, -1
	s_delay_alu instid0(SALU_CYCLE_1) | instskip(SKIP_2) | instid1(VALU_DEP_1)
	s_cmp_lg_u32 s35, 0
	s_waitcnt lgkmcnt(0)
	v_mul_hi_u32 v3, s37, v2
	v_add_nc_u32_e32 v3, v2, v3
	s_delay_alu instid0(VALU_DEP_1) | instskip(NEXT) | instid1(VALU_DEP_1)
	v_lshrrev_b32_e32 v6, s34, v3
	v_mul_lo_u32 v3, v6, s36
	s_delay_alu instid0(VALU_DEP_1) | instskip(NEXT) | instid1(VALU_DEP_1)
	v_sub_nc_u32_e32 v2, v2, v3
	v_mad_u64_u32 v[3:4], null, v2, s38, v[0:1]
	v_mad_u64_u32 v[4:5], null, v2, s39, v[1:2]
	v_mov_b32_e32 v2, v6
	s_delay_alu instid0(VALU_DEP_2)
	v_dual_mov_b32 v0, v3 :: v_dual_mov_b32 v1, v4
	s_cbranch_scc1 .LBB431_139
.LBB431_140:
	s_and_not1_b32 vcc_lo, exec_lo, s33
	s_cbranch_vccnz .LBB431_143
; %bb.141:
	s_waitcnt lgkmcnt(0)
	v_mul_hi_u32 v0, s13, v12
	s_and_not1_b32 vcc_lo, exec_lo, s27
	s_delay_alu instid0(VALU_DEP_1) | instskip(NEXT) | instid1(VALU_DEP_1)
	v_add_nc_u32_e32 v0, v12, v0
	v_lshrrev_b32_e32 v2, s14, v0
	s_delay_alu instid0(VALU_DEP_1) | instskip(NEXT) | instid1(VALU_DEP_1)
	v_mul_lo_u32 v0, v2, s12
	v_sub_nc_u32_e32 v1, v12, v0
	s_delay_alu instid0(VALU_DEP_1)
	v_mul_lo_u32 v0, v1, s8
	v_mul_lo_u32 v1, v1, s9
	s_cbranch_vccnz .LBB431_143
; %bb.142:
	v_mul_hi_u32 v3, s2, v2
	s_delay_alu instid0(VALU_DEP_1) | instskip(NEXT) | instid1(VALU_DEP_1)
	v_add_nc_u32_e32 v3, v2, v3
	v_lshrrev_b32_e32 v3, s3, v3
	s_delay_alu instid0(VALU_DEP_1) | instskip(NEXT) | instid1(VALU_DEP_1)
	v_mul_lo_u32 v3, v3, s15
	v_sub_nc_u32_e32 v5, v2, v3
	s_delay_alu instid0(VALU_DEP_1) | instskip(NEXT) | instid1(VALU_DEP_1)
	v_mad_u64_u32 v[2:3], null, v5, s10, v[0:1]
	v_mad_u64_u32 v[3:4], null, v5, s11, v[1:2]
	s_delay_alu instid0(VALU_DEP_1)
	v_dual_mov_b32 v0, v2 :: v_dual_mov_b32 v1, v3
.LBB431_143:
	s_waitcnt lgkmcnt(0)
	global_load_i8 v1, v1, s[6:7]
	s_bfe_i32 s18, s26, 0x80000
	v_add_nc_u32_e32 v12, 0x80, v12
	s_waitcnt vmcnt(0)
	v_min_i16 v1, v1, s18
	global_store_b8 v0, v1, s[4:5]
	s_or_b32 exec_lo, exec_lo, s31
	s_delay_alu instid0(SALU_CYCLE_1)
	s_mov_b32 s31, exec_lo
	v_cmpx_gt_i32_e64 s28, v12
	s_cbranch_execnz .LBB431_130
.LBB431_144:
	s_or_b32 exec_lo, exec_lo, s31
	s_delay_alu instid0(SALU_CYCLE_1)
	s_mov_b32 s31, exec_lo
	v_cmpx_gt_i32_e64 s28, v12
	s_cbranch_execz .LBB431_159
.LBB431_145:
	s_and_not1_b32 vcc_lo, exec_lo, s24
	s_cbranch_vccnz .LBB431_150
; %bb.146:
	v_dual_mov_b32 v0, 0 :: v_dual_mov_b32 v1, 0
	s_and_not1_b32 vcc_lo, exec_lo, s30
	s_mov_b32 s33, 0
	s_cbranch_vccnz .LBB431_170
; %bb.147:
	v_mov_b32_e32 v0, 0
	s_add_i32 s35, s29, 1
	s_cmp_eq_u32 s23, 2
	s_mov_b32 s34, 0
	s_cbranch_scc1 .LBB431_166
; %bb.148:
	v_dual_mov_b32 v1, 0 :: v_dual_mov_b32 v0, 0
	v_mov_b32_e32 v2, v12
	s_and_b32 s34, s35, 28
	s_mov_b32 s36, 0
	s_mov_b64 s[18:19], s[16:17]
	s_mov_b64 s[20:21], s[0:1]
.LBB431_149:                            ; =>This Inner Loop Header: Depth=1
	s_clause 0x1
	s_load_b256 s[40:47], s[20:21], 0x4
	s_load_b128 s[56:59], s[20:21], 0x24
	s_load_b256 s[48:55], s[18:19], 0x0
	s_add_u32 s20, s20, 48
	s_addc_u32 s21, s21, 0
	s_add_i32 s36, s36, 4
	s_add_u32 s18, s18, 32
	s_addc_u32 s19, s19, 0
	s_cmp_eq_u32 s34, s36
	s_waitcnt lgkmcnt(0)
	v_mul_hi_u32 v3, s41, v2
	s_delay_alu instid0(VALU_DEP_1) | instskip(NEXT) | instid1(VALU_DEP_1)
	v_add_nc_u32_e32 v3, v2, v3
	v_lshrrev_b32_e32 v3, s42, v3
	s_delay_alu instid0(VALU_DEP_1) | instskip(SKIP_1) | instid1(VALU_DEP_2)
	v_mul_hi_u32 v4, s44, v3
	v_mul_lo_u32 v6, v3, s40
	v_add_nc_u32_e32 v4, v3, v4
	s_delay_alu instid0(VALU_DEP_2) | instskip(NEXT) | instid1(VALU_DEP_2)
	v_sub_nc_u32_e32 v2, v2, v6
	v_lshrrev_b32_e32 v4, s45, v4
	s_delay_alu instid0(VALU_DEP_2) | instskip(SKIP_1) | instid1(VALU_DEP_3)
	v_mul_lo_u32 v6, v2, s48
	v_mul_lo_u32 v8, v2, s49
	v_mul_hi_u32 v5, s47, v4
	s_delay_alu instid0(VALU_DEP_1) | instskip(NEXT) | instid1(VALU_DEP_1)
	v_add_nc_u32_e32 v5, v4, v5
	v_lshrrev_b32_e32 v5, s56, v5
	s_delay_alu instid0(VALU_DEP_1) | instskip(SKIP_1) | instid1(VALU_DEP_2)
	v_mul_hi_u32 v7, s58, v5
	v_mul_lo_u32 v9, v5, s46
	v_add_nc_u32_e32 v2, v5, v7
	v_mul_lo_u32 v7, v4, s43
	s_delay_alu instid0(VALU_DEP_3) | instskip(NEXT) | instid1(VALU_DEP_3)
	v_sub_nc_u32_e32 v4, v4, v9
	v_lshrrev_b32_e32 v2, s59, v2
	s_delay_alu instid0(VALU_DEP_2) | instskip(SKIP_2) | instid1(VALU_DEP_4)
	v_mul_lo_u32 v9, v4, s52
	v_mul_lo_u32 v4, v4, s53
	v_sub_nc_u32_e32 v3, v3, v7
	v_mul_lo_u32 v10, v2, s57
	s_delay_alu instid0(VALU_DEP_2) | instskip(SKIP_1) | instid1(VALU_DEP_3)
	v_mul_lo_u32 v7, v3, s50
	v_mul_lo_u32 v3, v3, s51
	v_sub_nc_u32_e32 v5, v5, v10
	s_delay_alu instid0(VALU_DEP_3) | instskip(NEXT) | instid1(VALU_DEP_2)
	v_add3_u32 v0, v6, v0, v7
	v_mul_lo_u32 v10, v5, s54
	v_mul_lo_u32 v5, v5, s55
	v_add3_u32 v1, v8, v1, v3
	s_delay_alu instid0(VALU_DEP_3) | instskip(NEXT) | instid1(VALU_DEP_2)
	v_add3_u32 v0, v9, v0, v10
	v_add3_u32 v1, v4, v1, v5
	s_cbranch_scc0 .LBB431_149
	s_branch .LBB431_167
.LBB431_150:
	s_mov_b32 s33, -1
                                        ; implicit-def: $vgpr0
                                        ; implicit-def: $vgpr1
	s_branch .LBB431_170
.LBB431_151:
	v_dual_mov_b32 v2, v12 :: v_dual_mov_b32 v1, 0
.LBB431_152:
	s_and_b32 s35, s35, 3
	s_delay_alu instid0(SALU_CYCLE_1)
	s_cmp_eq_u32 s35, 0
	s_cbranch_scc1 .LBB431_155
; %bb.153:
	s_lshl_b32 s18, s34, 3
	s_mul_i32 s20, s34, 12
	s_add_u32 s18, s18, s0
	s_addc_u32 s19, s1, 0
	s_add_u32 s18, s18, 0xc4
	s_addc_u32 s19, s19, 0
	;; [unrolled: 2-line block ×3, first 2 shown]
	.p2align	6
.LBB431_154:                            ; =>This Inner Loop Header: Depth=1
	s_clause 0x1
	s_load_b64 s[36:37], s[20:21], 0x4
	s_load_b32 s34, s[20:21], 0xc
	s_load_b64 s[38:39], s[18:19], 0x0
	s_add_u32 s20, s20, 12
	s_addc_u32 s21, s21, 0
	s_add_u32 s18, s18, 8
	s_addc_u32 s19, s19, 0
	s_add_i32 s35, s35, -1
	s_delay_alu instid0(SALU_CYCLE_1) | instskip(SKIP_2) | instid1(VALU_DEP_1)
	s_cmp_lg_u32 s35, 0
	s_waitcnt lgkmcnt(0)
	v_mul_hi_u32 v3, s37, v2
	v_add_nc_u32_e32 v3, v2, v3
	s_delay_alu instid0(VALU_DEP_1) | instskip(NEXT) | instid1(VALU_DEP_1)
	v_lshrrev_b32_e32 v6, s34, v3
	v_mul_lo_u32 v3, v6, s36
	s_delay_alu instid0(VALU_DEP_1) | instskip(NEXT) | instid1(VALU_DEP_1)
	v_sub_nc_u32_e32 v2, v2, v3
	v_mad_u64_u32 v[3:4], null, v2, s38, v[0:1]
	v_mad_u64_u32 v[4:5], null, v2, s39, v[1:2]
	v_mov_b32_e32 v2, v6
	s_delay_alu instid0(VALU_DEP_2)
	v_dual_mov_b32 v0, v3 :: v_dual_mov_b32 v1, v4
	s_cbranch_scc1 .LBB431_154
.LBB431_155:
	s_and_not1_b32 vcc_lo, exec_lo, s33
	s_cbranch_vccnz .LBB431_158
; %bb.156:
	s_waitcnt lgkmcnt(0)
	v_mul_hi_u32 v0, s13, v12
	s_and_not1_b32 vcc_lo, exec_lo, s27
	s_delay_alu instid0(VALU_DEP_1) | instskip(NEXT) | instid1(VALU_DEP_1)
	v_add_nc_u32_e32 v0, v12, v0
	v_lshrrev_b32_e32 v2, s14, v0
	s_delay_alu instid0(VALU_DEP_1) | instskip(NEXT) | instid1(VALU_DEP_1)
	v_mul_lo_u32 v0, v2, s12
	v_sub_nc_u32_e32 v1, v12, v0
	s_delay_alu instid0(VALU_DEP_1)
	v_mul_lo_u32 v0, v1, s8
	v_mul_lo_u32 v1, v1, s9
	s_cbranch_vccnz .LBB431_158
; %bb.157:
	v_mul_hi_u32 v3, s2, v2
	s_delay_alu instid0(VALU_DEP_1) | instskip(NEXT) | instid1(VALU_DEP_1)
	v_add_nc_u32_e32 v3, v2, v3
	v_lshrrev_b32_e32 v3, s3, v3
	s_delay_alu instid0(VALU_DEP_1) | instskip(NEXT) | instid1(VALU_DEP_1)
	v_mul_lo_u32 v3, v3, s15
	v_sub_nc_u32_e32 v5, v2, v3
	s_delay_alu instid0(VALU_DEP_1) | instskip(NEXT) | instid1(VALU_DEP_1)
	v_mad_u64_u32 v[2:3], null, v5, s10, v[0:1]
	v_mad_u64_u32 v[3:4], null, v5, s11, v[1:2]
	s_delay_alu instid0(VALU_DEP_1)
	v_dual_mov_b32 v0, v2 :: v_dual_mov_b32 v1, v3
.LBB431_158:
	s_waitcnt lgkmcnt(0)
	global_load_i8 v1, v1, s[6:7]
	s_bfe_i32 s18, s26, 0x80000
	v_add_nc_u32_e32 v12, 0x80, v12
	s_waitcnt vmcnt(0)
	v_min_i16 v1, v1, s18
	global_store_b8 v0, v1, s[4:5]
	s_or_b32 exec_lo, exec_lo, s31
	s_delay_alu instid0(SALU_CYCLE_1)
	s_mov_b32 s31, exec_lo
	v_cmpx_gt_i32_e64 s28, v12
	s_cbranch_execnz .LBB431_145
.LBB431_159:
	s_or_b32 exec_lo, exec_lo, s31
	s_delay_alu instid0(SALU_CYCLE_1)
	s_mov_b32 s31, exec_lo
	v_cmpx_gt_i32_e64 s28, v12
	s_cbranch_execz .LBB431_174
.LBB431_160:
	s_and_not1_b32 vcc_lo, exec_lo, s24
	s_cbranch_vccnz .LBB431_165
; %bb.161:
	v_dual_mov_b32 v0, 0 :: v_dual_mov_b32 v1, 0
	s_and_not1_b32 vcc_lo, exec_lo, s30
	s_mov_b32 s33, 0
	s_cbranch_vccnz .LBB431_185
; %bb.162:
	v_mov_b32_e32 v0, 0
	s_add_i32 s35, s29, 1
	s_cmp_eq_u32 s23, 2
	s_mov_b32 s34, 0
	s_cbranch_scc1 .LBB431_181
; %bb.163:
	v_dual_mov_b32 v1, 0 :: v_dual_mov_b32 v0, 0
	v_mov_b32_e32 v2, v12
	s_and_b32 s34, s35, 28
	s_mov_b32 s36, 0
	s_mov_b64 s[18:19], s[16:17]
	s_mov_b64 s[20:21], s[0:1]
.LBB431_164:                            ; =>This Inner Loop Header: Depth=1
	s_clause 0x1
	s_load_b256 s[40:47], s[20:21], 0x4
	s_load_b128 s[56:59], s[20:21], 0x24
	s_load_b256 s[48:55], s[18:19], 0x0
	s_add_u32 s20, s20, 48
	s_addc_u32 s21, s21, 0
	s_add_i32 s36, s36, 4
	s_add_u32 s18, s18, 32
	s_addc_u32 s19, s19, 0
	s_cmp_eq_u32 s34, s36
	s_waitcnt lgkmcnt(0)
	v_mul_hi_u32 v3, s41, v2
	s_delay_alu instid0(VALU_DEP_1) | instskip(NEXT) | instid1(VALU_DEP_1)
	v_add_nc_u32_e32 v3, v2, v3
	v_lshrrev_b32_e32 v3, s42, v3
	s_delay_alu instid0(VALU_DEP_1) | instskip(SKIP_1) | instid1(VALU_DEP_2)
	v_mul_hi_u32 v4, s44, v3
	v_mul_lo_u32 v6, v3, s40
	v_add_nc_u32_e32 v4, v3, v4
	s_delay_alu instid0(VALU_DEP_2) | instskip(NEXT) | instid1(VALU_DEP_2)
	v_sub_nc_u32_e32 v2, v2, v6
	v_lshrrev_b32_e32 v4, s45, v4
	s_delay_alu instid0(VALU_DEP_2) | instskip(SKIP_1) | instid1(VALU_DEP_3)
	v_mul_lo_u32 v6, v2, s48
	v_mul_lo_u32 v8, v2, s49
	v_mul_hi_u32 v5, s47, v4
	s_delay_alu instid0(VALU_DEP_1) | instskip(NEXT) | instid1(VALU_DEP_1)
	v_add_nc_u32_e32 v5, v4, v5
	v_lshrrev_b32_e32 v5, s56, v5
	s_delay_alu instid0(VALU_DEP_1) | instskip(SKIP_1) | instid1(VALU_DEP_2)
	v_mul_hi_u32 v7, s58, v5
	v_mul_lo_u32 v9, v5, s46
	v_add_nc_u32_e32 v2, v5, v7
	v_mul_lo_u32 v7, v4, s43
	s_delay_alu instid0(VALU_DEP_3) | instskip(NEXT) | instid1(VALU_DEP_3)
	v_sub_nc_u32_e32 v4, v4, v9
	v_lshrrev_b32_e32 v2, s59, v2
	s_delay_alu instid0(VALU_DEP_2) | instskip(SKIP_2) | instid1(VALU_DEP_4)
	v_mul_lo_u32 v9, v4, s52
	v_mul_lo_u32 v4, v4, s53
	v_sub_nc_u32_e32 v3, v3, v7
	v_mul_lo_u32 v10, v2, s57
	s_delay_alu instid0(VALU_DEP_2) | instskip(SKIP_1) | instid1(VALU_DEP_3)
	v_mul_lo_u32 v7, v3, s50
	v_mul_lo_u32 v3, v3, s51
	v_sub_nc_u32_e32 v5, v5, v10
	s_delay_alu instid0(VALU_DEP_3) | instskip(NEXT) | instid1(VALU_DEP_2)
	v_add3_u32 v0, v6, v0, v7
	v_mul_lo_u32 v10, v5, s54
	v_mul_lo_u32 v5, v5, s55
	v_add3_u32 v1, v8, v1, v3
	s_delay_alu instid0(VALU_DEP_3) | instskip(NEXT) | instid1(VALU_DEP_2)
	v_add3_u32 v0, v9, v0, v10
	v_add3_u32 v1, v4, v1, v5
	s_cbranch_scc0 .LBB431_164
	s_branch .LBB431_182
.LBB431_165:
	s_mov_b32 s33, -1
                                        ; implicit-def: $vgpr0
                                        ; implicit-def: $vgpr1
	s_branch .LBB431_185
.LBB431_166:
	v_dual_mov_b32 v2, v12 :: v_dual_mov_b32 v1, 0
.LBB431_167:
	s_and_b32 s35, s35, 3
	s_delay_alu instid0(SALU_CYCLE_1)
	s_cmp_eq_u32 s35, 0
	s_cbranch_scc1 .LBB431_170
; %bb.168:
	s_lshl_b32 s18, s34, 3
	s_mul_i32 s20, s34, 12
	s_add_u32 s18, s18, s0
	s_addc_u32 s19, s1, 0
	s_add_u32 s18, s18, 0xc4
	s_addc_u32 s19, s19, 0
	s_add_u32 s20, s0, s20
	s_addc_u32 s21, s1, 0
	.p2align	6
.LBB431_169:                            ; =>This Inner Loop Header: Depth=1
	s_clause 0x1
	s_load_b64 s[36:37], s[20:21], 0x4
	s_load_b32 s34, s[20:21], 0xc
	s_load_b64 s[38:39], s[18:19], 0x0
	s_add_u32 s20, s20, 12
	s_addc_u32 s21, s21, 0
	s_add_u32 s18, s18, 8
	s_addc_u32 s19, s19, 0
	s_add_i32 s35, s35, -1
	s_delay_alu instid0(SALU_CYCLE_1) | instskip(SKIP_2) | instid1(VALU_DEP_1)
	s_cmp_lg_u32 s35, 0
	s_waitcnt lgkmcnt(0)
	v_mul_hi_u32 v3, s37, v2
	v_add_nc_u32_e32 v3, v2, v3
	s_delay_alu instid0(VALU_DEP_1) | instskip(NEXT) | instid1(VALU_DEP_1)
	v_lshrrev_b32_e32 v6, s34, v3
	v_mul_lo_u32 v3, v6, s36
	s_delay_alu instid0(VALU_DEP_1) | instskip(NEXT) | instid1(VALU_DEP_1)
	v_sub_nc_u32_e32 v2, v2, v3
	v_mad_u64_u32 v[3:4], null, v2, s38, v[0:1]
	v_mad_u64_u32 v[4:5], null, v2, s39, v[1:2]
	v_mov_b32_e32 v2, v6
	s_delay_alu instid0(VALU_DEP_2)
	v_dual_mov_b32 v0, v3 :: v_dual_mov_b32 v1, v4
	s_cbranch_scc1 .LBB431_169
.LBB431_170:
	s_and_not1_b32 vcc_lo, exec_lo, s33
	s_cbranch_vccnz .LBB431_173
; %bb.171:
	s_waitcnt lgkmcnt(0)
	v_mul_hi_u32 v0, s13, v12
	s_and_not1_b32 vcc_lo, exec_lo, s27
	s_delay_alu instid0(VALU_DEP_1) | instskip(NEXT) | instid1(VALU_DEP_1)
	v_add_nc_u32_e32 v0, v12, v0
	v_lshrrev_b32_e32 v2, s14, v0
	s_delay_alu instid0(VALU_DEP_1) | instskip(NEXT) | instid1(VALU_DEP_1)
	v_mul_lo_u32 v0, v2, s12
	v_sub_nc_u32_e32 v1, v12, v0
	s_delay_alu instid0(VALU_DEP_1)
	v_mul_lo_u32 v0, v1, s8
	v_mul_lo_u32 v1, v1, s9
	s_cbranch_vccnz .LBB431_173
; %bb.172:
	v_mul_hi_u32 v3, s2, v2
	s_delay_alu instid0(VALU_DEP_1) | instskip(NEXT) | instid1(VALU_DEP_1)
	v_add_nc_u32_e32 v3, v2, v3
	v_lshrrev_b32_e32 v3, s3, v3
	s_delay_alu instid0(VALU_DEP_1) | instskip(NEXT) | instid1(VALU_DEP_1)
	v_mul_lo_u32 v3, v3, s15
	v_sub_nc_u32_e32 v5, v2, v3
	s_delay_alu instid0(VALU_DEP_1) | instskip(NEXT) | instid1(VALU_DEP_1)
	v_mad_u64_u32 v[2:3], null, v5, s10, v[0:1]
	v_mad_u64_u32 v[3:4], null, v5, s11, v[1:2]
	s_delay_alu instid0(VALU_DEP_1)
	v_dual_mov_b32 v0, v2 :: v_dual_mov_b32 v1, v3
.LBB431_173:
	s_waitcnt lgkmcnt(0)
	global_load_i8 v1, v1, s[6:7]
	s_bfe_i32 s18, s26, 0x80000
	v_add_nc_u32_e32 v12, 0x80, v12
	s_waitcnt vmcnt(0)
	v_min_i16 v1, v1, s18
	global_store_b8 v0, v1, s[4:5]
	s_or_b32 exec_lo, exec_lo, s31
	s_delay_alu instid0(SALU_CYCLE_1)
	s_mov_b32 s31, exec_lo
	v_cmpx_gt_i32_e64 s28, v12
	s_cbranch_execnz .LBB431_160
.LBB431_174:
	s_or_b32 exec_lo, exec_lo, s31
	s_delay_alu instid0(SALU_CYCLE_1)
	s_mov_b32 s31, exec_lo
	v_cmpx_gt_i32_e64 s28, v12
	s_cbranch_execz .LBB431_189
.LBB431_175:
	s_and_not1_b32 vcc_lo, exec_lo, s24
	s_cbranch_vccnz .LBB431_180
; %bb.176:
	v_dual_mov_b32 v0, 0 :: v_dual_mov_b32 v1, 0
	s_and_not1_b32 vcc_lo, exec_lo, s30
	s_mov_b32 s33, 0
	s_cbranch_vccnz .LBB431_200
; %bb.177:
	v_mov_b32_e32 v0, 0
	s_add_i32 s35, s29, 1
	s_cmp_eq_u32 s23, 2
	s_mov_b32 s34, 0
	s_cbranch_scc1 .LBB431_196
; %bb.178:
	v_dual_mov_b32 v1, 0 :: v_dual_mov_b32 v0, 0
	v_mov_b32_e32 v2, v12
	s_and_b32 s34, s35, 28
	s_mov_b32 s36, 0
	s_mov_b64 s[18:19], s[16:17]
	s_mov_b64 s[20:21], s[0:1]
.LBB431_179:                            ; =>This Inner Loop Header: Depth=1
	s_clause 0x1
	s_load_b256 s[40:47], s[20:21], 0x4
	s_load_b128 s[56:59], s[20:21], 0x24
	s_load_b256 s[48:55], s[18:19], 0x0
	s_add_u32 s20, s20, 48
	s_addc_u32 s21, s21, 0
	s_add_i32 s36, s36, 4
	s_add_u32 s18, s18, 32
	s_addc_u32 s19, s19, 0
	s_cmp_eq_u32 s34, s36
	s_waitcnt lgkmcnt(0)
	v_mul_hi_u32 v3, s41, v2
	s_delay_alu instid0(VALU_DEP_1) | instskip(NEXT) | instid1(VALU_DEP_1)
	v_add_nc_u32_e32 v3, v2, v3
	v_lshrrev_b32_e32 v3, s42, v3
	s_delay_alu instid0(VALU_DEP_1) | instskip(SKIP_1) | instid1(VALU_DEP_2)
	v_mul_hi_u32 v4, s44, v3
	v_mul_lo_u32 v6, v3, s40
	v_add_nc_u32_e32 v4, v3, v4
	s_delay_alu instid0(VALU_DEP_2) | instskip(NEXT) | instid1(VALU_DEP_2)
	v_sub_nc_u32_e32 v2, v2, v6
	v_lshrrev_b32_e32 v4, s45, v4
	s_delay_alu instid0(VALU_DEP_2) | instskip(SKIP_1) | instid1(VALU_DEP_3)
	v_mul_lo_u32 v6, v2, s48
	v_mul_lo_u32 v8, v2, s49
	v_mul_hi_u32 v5, s47, v4
	s_delay_alu instid0(VALU_DEP_1) | instskip(NEXT) | instid1(VALU_DEP_1)
	v_add_nc_u32_e32 v5, v4, v5
	v_lshrrev_b32_e32 v5, s56, v5
	s_delay_alu instid0(VALU_DEP_1) | instskip(SKIP_1) | instid1(VALU_DEP_2)
	v_mul_hi_u32 v7, s58, v5
	v_mul_lo_u32 v9, v5, s46
	v_add_nc_u32_e32 v2, v5, v7
	v_mul_lo_u32 v7, v4, s43
	s_delay_alu instid0(VALU_DEP_3) | instskip(NEXT) | instid1(VALU_DEP_3)
	v_sub_nc_u32_e32 v4, v4, v9
	v_lshrrev_b32_e32 v2, s59, v2
	s_delay_alu instid0(VALU_DEP_2) | instskip(SKIP_2) | instid1(VALU_DEP_4)
	v_mul_lo_u32 v9, v4, s52
	v_mul_lo_u32 v4, v4, s53
	v_sub_nc_u32_e32 v3, v3, v7
	v_mul_lo_u32 v10, v2, s57
	s_delay_alu instid0(VALU_DEP_2) | instskip(SKIP_1) | instid1(VALU_DEP_3)
	v_mul_lo_u32 v7, v3, s50
	v_mul_lo_u32 v3, v3, s51
	v_sub_nc_u32_e32 v5, v5, v10
	s_delay_alu instid0(VALU_DEP_3) | instskip(NEXT) | instid1(VALU_DEP_2)
	v_add3_u32 v0, v6, v0, v7
	v_mul_lo_u32 v10, v5, s54
	v_mul_lo_u32 v5, v5, s55
	v_add3_u32 v1, v8, v1, v3
	s_delay_alu instid0(VALU_DEP_3) | instskip(NEXT) | instid1(VALU_DEP_2)
	v_add3_u32 v0, v9, v0, v10
	v_add3_u32 v1, v4, v1, v5
	s_cbranch_scc0 .LBB431_179
	s_branch .LBB431_197
.LBB431_180:
	s_mov_b32 s33, -1
                                        ; implicit-def: $vgpr0
                                        ; implicit-def: $vgpr1
	s_branch .LBB431_200
.LBB431_181:
	v_dual_mov_b32 v2, v12 :: v_dual_mov_b32 v1, 0
.LBB431_182:
	s_and_b32 s35, s35, 3
	s_delay_alu instid0(SALU_CYCLE_1)
	s_cmp_eq_u32 s35, 0
	s_cbranch_scc1 .LBB431_185
; %bb.183:
	s_lshl_b32 s18, s34, 3
	s_mul_i32 s20, s34, 12
	s_add_u32 s18, s18, s0
	s_addc_u32 s19, s1, 0
	s_add_u32 s18, s18, 0xc4
	s_addc_u32 s19, s19, 0
	;; [unrolled: 2-line block ×3, first 2 shown]
	.p2align	6
.LBB431_184:                            ; =>This Inner Loop Header: Depth=1
	s_clause 0x1
	s_load_b64 s[36:37], s[20:21], 0x4
	s_load_b32 s34, s[20:21], 0xc
	s_load_b64 s[38:39], s[18:19], 0x0
	s_add_u32 s20, s20, 12
	s_addc_u32 s21, s21, 0
	s_add_u32 s18, s18, 8
	s_addc_u32 s19, s19, 0
	s_add_i32 s35, s35, -1
	s_delay_alu instid0(SALU_CYCLE_1) | instskip(SKIP_2) | instid1(VALU_DEP_1)
	s_cmp_lg_u32 s35, 0
	s_waitcnt lgkmcnt(0)
	v_mul_hi_u32 v3, s37, v2
	v_add_nc_u32_e32 v3, v2, v3
	s_delay_alu instid0(VALU_DEP_1) | instskip(NEXT) | instid1(VALU_DEP_1)
	v_lshrrev_b32_e32 v6, s34, v3
	v_mul_lo_u32 v3, v6, s36
	s_delay_alu instid0(VALU_DEP_1) | instskip(NEXT) | instid1(VALU_DEP_1)
	v_sub_nc_u32_e32 v2, v2, v3
	v_mad_u64_u32 v[3:4], null, v2, s38, v[0:1]
	v_mad_u64_u32 v[4:5], null, v2, s39, v[1:2]
	v_mov_b32_e32 v2, v6
	s_delay_alu instid0(VALU_DEP_2)
	v_dual_mov_b32 v0, v3 :: v_dual_mov_b32 v1, v4
	s_cbranch_scc1 .LBB431_184
.LBB431_185:
	s_and_not1_b32 vcc_lo, exec_lo, s33
	s_cbranch_vccnz .LBB431_188
; %bb.186:
	s_waitcnt lgkmcnt(0)
	v_mul_hi_u32 v0, s13, v12
	s_and_not1_b32 vcc_lo, exec_lo, s27
	s_delay_alu instid0(VALU_DEP_1) | instskip(NEXT) | instid1(VALU_DEP_1)
	v_add_nc_u32_e32 v0, v12, v0
	v_lshrrev_b32_e32 v2, s14, v0
	s_delay_alu instid0(VALU_DEP_1) | instskip(NEXT) | instid1(VALU_DEP_1)
	v_mul_lo_u32 v0, v2, s12
	v_sub_nc_u32_e32 v1, v12, v0
	s_delay_alu instid0(VALU_DEP_1)
	v_mul_lo_u32 v0, v1, s8
	v_mul_lo_u32 v1, v1, s9
	s_cbranch_vccnz .LBB431_188
; %bb.187:
	v_mul_hi_u32 v3, s2, v2
	s_delay_alu instid0(VALU_DEP_1) | instskip(NEXT) | instid1(VALU_DEP_1)
	v_add_nc_u32_e32 v3, v2, v3
	v_lshrrev_b32_e32 v3, s3, v3
	s_delay_alu instid0(VALU_DEP_1) | instskip(NEXT) | instid1(VALU_DEP_1)
	v_mul_lo_u32 v3, v3, s15
	v_sub_nc_u32_e32 v5, v2, v3
	s_delay_alu instid0(VALU_DEP_1) | instskip(NEXT) | instid1(VALU_DEP_1)
	v_mad_u64_u32 v[2:3], null, v5, s10, v[0:1]
	v_mad_u64_u32 v[3:4], null, v5, s11, v[1:2]
	s_delay_alu instid0(VALU_DEP_1)
	v_dual_mov_b32 v0, v2 :: v_dual_mov_b32 v1, v3
.LBB431_188:
	s_waitcnt lgkmcnt(0)
	global_load_i8 v1, v1, s[6:7]
	s_bfe_i32 s18, s26, 0x80000
	v_add_nc_u32_e32 v12, 0x80, v12
	s_waitcnt vmcnt(0)
	v_min_i16 v1, v1, s18
	global_store_b8 v0, v1, s[4:5]
	s_or_b32 exec_lo, exec_lo, s31
	s_delay_alu instid0(SALU_CYCLE_1)
	s_mov_b32 s31, exec_lo
	v_cmpx_gt_i32_e64 s28, v12
	s_cbranch_execnz .LBB431_175
.LBB431_189:
	s_or_b32 exec_lo, exec_lo, s31
	s_delay_alu instid0(SALU_CYCLE_1)
	s_mov_b32 s31, exec_lo
	v_cmpx_gt_i32_e64 s28, v12
	s_cbranch_execz .LBB431_204
.LBB431_190:
	s_and_not1_b32 vcc_lo, exec_lo, s24
	s_cbranch_vccnz .LBB431_195
; %bb.191:
	v_dual_mov_b32 v0, 0 :: v_dual_mov_b32 v1, 0
	s_and_not1_b32 vcc_lo, exec_lo, s30
	s_mov_b32 s33, 0
	s_cbranch_vccnz .LBB431_211
; %bb.192:
	v_mov_b32_e32 v0, 0
	s_add_i32 s35, s29, 1
	s_cmp_eq_u32 s23, 2
	s_mov_b32 s34, 0
	s_cbranch_scc1 .LBB431_207
; %bb.193:
	v_dual_mov_b32 v1, 0 :: v_dual_mov_b32 v0, 0
	v_mov_b32_e32 v2, v12
	s_and_b32 s34, s35, 28
	s_mov_b32 s36, 0
	s_mov_b64 s[18:19], s[16:17]
	s_mov_b64 s[20:21], s[0:1]
.LBB431_194:                            ; =>This Inner Loop Header: Depth=1
	s_clause 0x1
	s_load_b256 s[40:47], s[20:21], 0x4
	s_load_b128 s[56:59], s[20:21], 0x24
	s_load_b256 s[48:55], s[18:19], 0x0
	s_add_u32 s20, s20, 48
	s_addc_u32 s21, s21, 0
	s_add_i32 s36, s36, 4
	s_add_u32 s18, s18, 32
	s_addc_u32 s19, s19, 0
	s_cmp_eq_u32 s34, s36
	s_waitcnt lgkmcnt(0)
	v_mul_hi_u32 v3, s41, v2
	s_delay_alu instid0(VALU_DEP_1) | instskip(NEXT) | instid1(VALU_DEP_1)
	v_add_nc_u32_e32 v3, v2, v3
	v_lshrrev_b32_e32 v3, s42, v3
	s_delay_alu instid0(VALU_DEP_1) | instskip(SKIP_1) | instid1(VALU_DEP_2)
	v_mul_hi_u32 v4, s44, v3
	v_mul_lo_u32 v6, v3, s40
	v_add_nc_u32_e32 v4, v3, v4
	s_delay_alu instid0(VALU_DEP_2) | instskip(NEXT) | instid1(VALU_DEP_2)
	v_sub_nc_u32_e32 v2, v2, v6
	v_lshrrev_b32_e32 v4, s45, v4
	s_delay_alu instid0(VALU_DEP_2) | instskip(SKIP_1) | instid1(VALU_DEP_3)
	v_mul_lo_u32 v6, v2, s48
	v_mul_lo_u32 v8, v2, s49
	v_mul_hi_u32 v5, s47, v4
	s_delay_alu instid0(VALU_DEP_1) | instskip(NEXT) | instid1(VALU_DEP_1)
	v_add_nc_u32_e32 v5, v4, v5
	v_lshrrev_b32_e32 v5, s56, v5
	s_delay_alu instid0(VALU_DEP_1) | instskip(SKIP_1) | instid1(VALU_DEP_2)
	v_mul_hi_u32 v7, s58, v5
	v_mul_lo_u32 v9, v5, s46
	v_add_nc_u32_e32 v2, v5, v7
	v_mul_lo_u32 v7, v4, s43
	s_delay_alu instid0(VALU_DEP_3) | instskip(NEXT) | instid1(VALU_DEP_3)
	v_sub_nc_u32_e32 v4, v4, v9
	v_lshrrev_b32_e32 v2, s59, v2
	s_delay_alu instid0(VALU_DEP_2) | instskip(SKIP_2) | instid1(VALU_DEP_4)
	v_mul_lo_u32 v9, v4, s52
	v_mul_lo_u32 v4, v4, s53
	v_sub_nc_u32_e32 v3, v3, v7
	v_mul_lo_u32 v10, v2, s57
	s_delay_alu instid0(VALU_DEP_2) | instskip(SKIP_1) | instid1(VALU_DEP_3)
	v_mul_lo_u32 v7, v3, s50
	v_mul_lo_u32 v3, v3, s51
	v_sub_nc_u32_e32 v5, v5, v10
	s_delay_alu instid0(VALU_DEP_3) | instskip(NEXT) | instid1(VALU_DEP_2)
	v_add3_u32 v0, v6, v0, v7
	v_mul_lo_u32 v10, v5, s54
	v_mul_lo_u32 v5, v5, s55
	v_add3_u32 v1, v8, v1, v3
	s_delay_alu instid0(VALU_DEP_3) | instskip(NEXT) | instid1(VALU_DEP_2)
	v_add3_u32 v0, v9, v0, v10
	v_add3_u32 v1, v4, v1, v5
	s_cbranch_scc0 .LBB431_194
	s_branch .LBB431_208
.LBB431_195:
	s_mov_b32 s33, -1
                                        ; implicit-def: $vgpr0
                                        ; implicit-def: $vgpr1
	s_branch .LBB431_211
.LBB431_196:
	v_dual_mov_b32 v2, v12 :: v_dual_mov_b32 v1, 0
.LBB431_197:
	s_and_b32 s35, s35, 3
	s_delay_alu instid0(SALU_CYCLE_1)
	s_cmp_eq_u32 s35, 0
	s_cbranch_scc1 .LBB431_200
; %bb.198:
	s_lshl_b32 s18, s34, 3
	s_mul_i32 s20, s34, 12
	s_add_u32 s18, s18, s0
	s_addc_u32 s19, s1, 0
	s_add_u32 s18, s18, 0xc4
	s_addc_u32 s19, s19, 0
	;; [unrolled: 2-line block ×3, first 2 shown]
	.p2align	6
.LBB431_199:                            ; =>This Inner Loop Header: Depth=1
	s_clause 0x1
	s_load_b64 s[36:37], s[20:21], 0x4
	s_load_b32 s34, s[20:21], 0xc
	s_load_b64 s[38:39], s[18:19], 0x0
	s_add_u32 s20, s20, 12
	s_addc_u32 s21, s21, 0
	s_add_u32 s18, s18, 8
	s_addc_u32 s19, s19, 0
	s_add_i32 s35, s35, -1
	s_delay_alu instid0(SALU_CYCLE_1) | instskip(SKIP_2) | instid1(VALU_DEP_1)
	s_cmp_lg_u32 s35, 0
	s_waitcnt lgkmcnt(0)
	v_mul_hi_u32 v3, s37, v2
	v_add_nc_u32_e32 v3, v2, v3
	s_delay_alu instid0(VALU_DEP_1) | instskip(NEXT) | instid1(VALU_DEP_1)
	v_lshrrev_b32_e32 v6, s34, v3
	v_mul_lo_u32 v3, v6, s36
	s_delay_alu instid0(VALU_DEP_1) | instskip(NEXT) | instid1(VALU_DEP_1)
	v_sub_nc_u32_e32 v2, v2, v3
	v_mad_u64_u32 v[3:4], null, v2, s38, v[0:1]
	v_mad_u64_u32 v[4:5], null, v2, s39, v[1:2]
	v_mov_b32_e32 v2, v6
	s_delay_alu instid0(VALU_DEP_2)
	v_dual_mov_b32 v0, v3 :: v_dual_mov_b32 v1, v4
	s_cbranch_scc1 .LBB431_199
.LBB431_200:
	s_and_not1_b32 vcc_lo, exec_lo, s33
	s_cbranch_vccnz .LBB431_203
; %bb.201:
	s_waitcnt lgkmcnt(0)
	v_mul_hi_u32 v0, s13, v12
	s_and_not1_b32 vcc_lo, exec_lo, s27
	s_delay_alu instid0(VALU_DEP_1) | instskip(NEXT) | instid1(VALU_DEP_1)
	v_add_nc_u32_e32 v0, v12, v0
	v_lshrrev_b32_e32 v2, s14, v0
	s_delay_alu instid0(VALU_DEP_1) | instskip(NEXT) | instid1(VALU_DEP_1)
	v_mul_lo_u32 v0, v2, s12
	v_sub_nc_u32_e32 v1, v12, v0
	s_delay_alu instid0(VALU_DEP_1)
	v_mul_lo_u32 v0, v1, s8
	v_mul_lo_u32 v1, v1, s9
	s_cbranch_vccnz .LBB431_203
; %bb.202:
	v_mul_hi_u32 v3, s2, v2
	s_delay_alu instid0(VALU_DEP_1) | instskip(NEXT) | instid1(VALU_DEP_1)
	v_add_nc_u32_e32 v3, v2, v3
	v_lshrrev_b32_e32 v3, s3, v3
	s_delay_alu instid0(VALU_DEP_1) | instskip(NEXT) | instid1(VALU_DEP_1)
	v_mul_lo_u32 v3, v3, s15
	v_sub_nc_u32_e32 v5, v2, v3
	s_delay_alu instid0(VALU_DEP_1) | instskip(NEXT) | instid1(VALU_DEP_1)
	v_mad_u64_u32 v[2:3], null, v5, s10, v[0:1]
	v_mad_u64_u32 v[3:4], null, v5, s11, v[1:2]
	s_delay_alu instid0(VALU_DEP_1)
	v_dual_mov_b32 v0, v2 :: v_dual_mov_b32 v1, v3
.LBB431_203:
	s_waitcnt lgkmcnt(0)
	global_load_i8 v1, v1, s[6:7]
	s_bfe_i32 s18, s26, 0x80000
	v_add_nc_u32_e32 v12, 0x80, v12
	s_waitcnt vmcnt(0)
	v_min_i16 v1, v1, s18
	global_store_b8 v0, v1, s[4:5]
	s_or_b32 exec_lo, exec_lo, s31
	s_delay_alu instid0(SALU_CYCLE_1)
	s_mov_b32 s31, exec_lo
	v_cmpx_gt_i32_e64 s28, v12
	s_cbranch_execnz .LBB431_190
.LBB431_204:
	s_or_b32 exec_lo, exec_lo, s31
	s_delay_alu instid0(SALU_CYCLE_1)
	s_mov_b32 s20, exec_lo
	v_cmpx_gt_i32_e64 s28, v12
	s_cbranch_execnz .LBB431_215
.LBB431_205:
	s_or_b32 exec_lo, exec_lo, s20
                                        ; implicit-def: $vgpr16
                                        ; implicit-def: $vgpr12
	s_waitcnt lgkmcnt(0)
	s_and_not1_saveexec_b32 s2, s25
	s_cbranch_execnz .LBB431_8
.LBB431_206:
	s_nop 0
	s_sendmsg sendmsg(MSG_DEALLOC_VGPRS)
	s_endpgm
.LBB431_207:
	v_dual_mov_b32 v2, v12 :: v_dual_mov_b32 v1, 0
.LBB431_208:
	s_and_b32 s35, s35, 3
	s_delay_alu instid0(SALU_CYCLE_1)
	s_cmp_eq_u32 s35, 0
	s_cbranch_scc1 .LBB431_211
; %bb.209:
	s_lshl_b32 s18, s34, 3
	s_mul_i32 s20, s34, 12
	s_add_u32 s18, s18, s0
	s_addc_u32 s19, s1, 0
	s_add_u32 s18, s18, 0xc4
	s_addc_u32 s19, s19, 0
	;; [unrolled: 2-line block ×3, first 2 shown]
	.p2align	6
.LBB431_210:                            ; =>This Inner Loop Header: Depth=1
	s_clause 0x1
	s_load_b64 s[36:37], s[20:21], 0x4
	s_load_b32 s34, s[20:21], 0xc
	s_load_b64 s[38:39], s[18:19], 0x0
	s_add_u32 s20, s20, 12
	s_addc_u32 s21, s21, 0
	s_add_u32 s18, s18, 8
	s_addc_u32 s19, s19, 0
	s_add_i32 s35, s35, -1
	s_delay_alu instid0(SALU_CYCLE_1) | instskip(SKIP_2) | instid1(VALU_DEP_1)
	s_cmp_lg_u32 s35, 0
	s_waitcnt lgkmcnt(0)
	v_mul_hi_u32 v3, s37, v2
	v_add_nc_u32_e32 v3, v2, v3
	s_delay_alu instid0(VALU_DEP_1) | instskip(NEXT) | instid1(VALU_DEP_1)
	v_lshrrev_b32_e32 v6, s34, v3
	v_mul_lo_u32 v3, v6, s36
	s_delay_alu instid0(VALU_DEP_1) | instskip(NEXT) | instid1(VALU_DEP_1)
	v_sub_nc_u32_e32 v2, v2, v3
	v_mad_u64_u32 v[3:4], null, v2, s38, v[0:1]
	v_mad_u64_u32 v[4:5], null, v2, s39, v[1:2]
	v_mov_b32_e32 v2, v6
	s_delay_alu instid0(VALU_DEP_2)
	v_dual_mov_b32 v0, v3 :: v_dual_mov_b32 v1, v4
	s_cbranch_scc1 .LBB431_210
.LBB431_211:
	s_and_not1_b32 vcc_lo, exec_lo, s33
	s_cbranch_vccnz .LBB431_214
; %bb.212:
	s_waitcnt lgkmcnt(0)
	v_mul_hi_u32 v0, s13, v12
	s_and_not1_b32 vcc_lo, exec_lo, s27
	s_delay_alu instid0(VALU_DEP_1) | instskip(NEXT) | instid1(VALU_DEP_1)
	v_add_nc_u32_e32 v0, v12, v0
	v_lshrrev_b32_e32 v2, s14, v0
	s_delay_alu instid0(VALU_DEP_1) | instskip(NEXT) | instid1(VALU_DEP_1)
	v_mul_lo_u32 v0, v2, s12
	v_sub_nc_u32_e32 v1, v12, v0
	s_delay_alu instid0(VALU_DEP_1)
	v_mul_lo_u32 v0, v1, s8
	v_mul_lo_u32 v1, v1, s9
	s_cbranch_vccnz .LBB431_214
; %bb.213:
	v_mul_hi_u32 v3, s2, v2
	s_delay_alu instid0(VALU_DEP_1) | instskip(NEXT) | instid1(VALU_DEP_1)
	v_add_nc_u32_e32 v3, v2, v3
	v_lshrrev_b32_e32 v3, s3, v3
	s_delay_alu instid0(VALU_DEP_1) | instskip(NEXT) | instid1(VALU_DEP_1)
	v_mul_lo_u32 v3, v3, s15
	v_sub_nc_u32_e32 v5, v2, v3
	s_delay_alu instid0(VALU_DEP_1) | instskip(NEXT) | instid1(VALU_DEP_1)
	v_mad_u64_u32 v[2:3], null, v5, s10, v[0:1]
	v_mad_u64_u32 v[3:4], null, v5, s11, v[1:2]
	s_delay_alu instid0(VALU_DEP_1)
	v_dual_mov_b32 v0, v2 :: v_dual_mov_b32 v1, v3
.LBB431_214:
	s_waitcnt lgkmcnt(0)
	global_load_i8 v1, v1, s[6:7]
	s_bfe_i32 s18, s26, 0x80000
	v_add_nc_u32_e32 v12, 0x80, v12
	s_waitcnt vmcnt(0)
	v_min_i16 v1, v1, s18
	global_store_b8 v0, v1, s[4:5]
	s_or_b32 exec_lo, exec_lo, s31
	s_delay_alu instid0(SALU_CYCLE_1)
	s_mov_b32 s20, exec_lo
	v_cmpx_gt_i32_e64 s28, v12
	s_cbranch_execz .LBB431_205
.LBB431_215:
	s_and_not1_b32 vcc_lo, exec_lo, s24
	s_cbranch_vccnz .LBB431_220
; %bb.216:
	v_dual_mov_b32 v0, 0 :: v_dual_mov_b32 v1, 0
	s_and_not1_b32 vcc_lo, exec_lo, s30
	s_mov_b32 s21, 0
	s_cbranch_vccnz .LBB431_225
; %bb.217:
	v_mov_b32_e32 v0, 0
	s_add_i32 s29, s29, 1
	s_cmp_eq_u32 s23, 2
	s_mov_b32 s28, 0
	s_cbranch_scc1 .LBB431_221
; %bb.218:
	v_dual_mov_b32 v1, 0 :: v_dual_mov_b32 v0, 0
	v_mov_b32_e32 v2, v12
	s_and_b32 s28, s29, 28
	s_mov_b32 s30, 0
	s_mov_b64 s[18:19], s[0:1]
.LBB431_219:                            ; =>This Inner Loop Header: Depth=1
	s_clause 0x1
	s_load_b256 s[36:43], s[18:19], 0x4
	s_load_b128 s[52:55], s[18:19], 0x24
	s_load_b256 s[44:51], s[16:17], 0x0
	s_add_u32 s18, s18, 48
	s_addc_u32 s19, s19, 0
	s_add_i32 s30, s30, 4
	s_add_u32 s16, s16, 32
	s_addc_u32 s17, s17, 0
	s_cmp_eq_u32 s28, s30
	s_waitcnt lgkmcnt(0)
	v_mul_hi_u32 v3, s37, v2
	s_delay_alu instid0(VALU_DEP_1) | instskip(NEXT) | instid1(VALU_DEP_1)
	v_add_nc_u32_e32 v3, v2, v3
	v_lshrrev_b32_e32 v3, s38, v3
	s_delay_alu instid0(VALU_DEP_1) | instskip(SKIP_1) | instid1(VALU_DEP_2)
	v_mul_hi_u32 v4, s40, v3
	v_mul_lo_u32 v6, v3, s36
	v_add_nc_u32_e32 v4, v3, v4
	s_delay_alu instid0(VALU_DEP_2) | instskip(NEXT) | instid1(VALU_DEP_2)
	v_sub_nc_u32_e32 v2, v2, v6
	v_lshrrev_b32_e32 v4, s41, v4
	s_delay_alu instid0(VALU_DEP_2) | instskip(SKIP_1) | instid1(VALU_DEP_3)
	v_mul_lo_u32 v6, v2, s44
	v_mul_lo_u32 v8, v2, s45
	v_mul_hi_u32 v5, s43, v4
	s_delay_alu instid0(VALU_DEP_1) | instskip(NEXT) | instid1(VALU_DEP_1)
	v_add_nc_u32_e32 v5, v4, v5
	v_lshrrev_b32_e32 v5, s52, v5
	s_delay_alu instid0(VALU_DEP_1) | instskip(SKIP_1) | instid1(VALU_DEP_2)
	v_mul_hi_u32 v7, s54, v5
	v_mul_lo_u32 v9, v5, s42
	v_add_nc_u32_e32 v2, v5, v7
	v_mul_lo_u32 v7, v4, s39
	s_delay_alu instid0(VALU_DEP_3) | instskip(NEXT) | instid1(VALU_DEP_3)
	v_sub_nc_u32_e32 v4, v4, v9
	v_lshrrev_b32_e32 v2, s55, v2
	s_delay_alu instid0(VALU_DEP_2) | instskip(SKIP_2) | instid1(VALU_DEP_4)
	v_mul_lo_u32 v9, v4, s48
	v_mul_lo_u32 v4, v4, s49
	v_sub_nc_u32_e32 v3, v3, v7
	v_mul_lo_u32 v10, v2, s53
	s_delay_alu instid0(VALU_DEP_2) | instskip(SKIP_1) | instid1(VALU_DEP_3)
	v_mul_lo_u32 v7, v3, s46
	v_mul_lo_u32 v3, v3, s47
	v_sub_nc_u32_e32 v5, v5, v10
	s_delay_alu instid0(VALU_DEP_3) | instskip(NEXT) | instid1(VALU_DEP_2)
	v_add3_u32 v0, v6, v0, v7
	v_mul_lo_u32 v10, v5, s50
	v_mul_lo_u32 v5, v5, s51
	v_add3_u32 v1, v8, v1, v3
	s_delay_alu instid0(VALU_DEP_3) | instskip(NEXT) | instid1(VALU_DEP_2)
	v_add3_u32 v0, v9, v0, v10
	v_add3_u32 v1, v4, v1, v5
	s_cbranch_scc0 .LBB431_219
	s_branch .LBB431_222
.LBB431_220:
	s_mov_b32 s21, -1
                                        ; implicit-def: $vgpr0
                                        ; implicit-def: $vgpr1
	s_branch .LBB431_225
.LBB431_221:
	v_dual_mov_b32 v2, v12 :: v_dual_mov_b32 v1, 0
.LBB431_222:
	s_and_b32 s29, s29, 3
	s_delay_alu instid0(SALU_CYCLE_1)
	s_cmp_eq_u32 s29, 0
	s_cbranch_scc1 .LBB431_225
; %bb.223:
	s_lshl_b32 s16, s28, 3
	s_mul_i32 s18, s28, 12
	s_add_u32 s16, s16, s0
	s_addc_u32 s17, s1, 0
	s_add_u32 s16, s16, 0xc4
	s_addc_u32 s17, s17, 0
	;; [unrolled: 2-line block ×3, first 2 shown]
	.p2align	6
.LBB431_224:                            ; =>This Inner Loop Header: Depth=1
	s_clause 0x1
	s_load_b64 s[30:31], s[18:19], 0x4
	s_load_b32 s28, s[18:19], 0xc
	s_load_b64 s[34:35], s[16:17], 0x0
	s_add_u32 s18, s18, 12
	s_addc_u32 s19, s19, 0
	s_add_u32 s16, s16, 8
	s_addc_u32 s17, s17, 0
	s_add_i32 s29, s29, -1
	s_delay_alu instid0(SALU_CYCLE_1) | instskip(SKIP_2) | instid1(VALU_DEP_1)
	s_cmp_lg_u32 s29, 0
	s_waitcnt lgkmcnt(0)
	v_mul_hi_u32 v3, s31, v2
	v_add_nc_u32_e32 v3, v2, v3
	s_delay_alu instid0(VALU_DEP_1) | instskip(NEXT) | instid1(VALU_DEP_1)
	v_lshrrev_b32_e32 v6, s28, v3
	v_mul_lo_u32 v3, v6, s30
	s_delay_alu instid0(VALU_DEP_1) | instskip(NEXT) | instid1(VALU_DEP_1)
	v_sub_nc_u32_e32 v2, v2, v3
	v_mad_u64_u32 v[3:4], null, v2, s34, v[0:1]
	v_mad_u64_u32 v[4:5], null, v2, s35, v[1:2]
	v_mov_b32_e32 v2, v6
	s_delay_alu instid0(VALU_DEP_2)
	v_dual_mov_b32 v0, v3 :: v_dual_mov_b32 v1, v4
	s_cbranch_scc1 .LBB431_224
.LBB431_225:
	s_and_not1_b32 vcc_lo, exec_lo, s21
	s_cbranch_vccnz .LBB431_228
; %bb.226:
	s_waitcnt lgkmcnt(0)
	v_mul_hi_u32 v0, s13, v12
	s_and_not1_b32 vcc_lo, exec_lo, s27
	s_delay_alu instid0(VALU_DEP_1) | instskip(NEXT) | instid1(VALU_DEP_1)
	v_add_nc_u32_e32 v0, v12, v0
	v_lshrrev_b32_e32 v2, s14, v0
	s_delay_alu instid0(VALU_DEP_1) | instskip(NEXT) | instid1(VALU_DEP_1)
	v_mul_lo_u32 v0, v2, s12
	v_sub_nc_u32_e32 v1, v12, v0
	s_delay_alu instid0(VALU_DEP_1)
	v_mul_lo_u32 v0, v1, s8
	v_mul_lo_u32 v1, v1, s9
	s_cbranch_vccnz .LBB431_228
; %bb.227:
	v_mul_hi_u32 v3, s2, v2
	s_delay_alu instid0(VALU_DEP_1) | instskip(NEXT) | instid1(VALU_DEP_1)
	v_add_nc_u32_e32 v3, v2, v3
	v_lshrrev_b32_e32 v3, s3, v3
	s_delay_alu instid0(VALU_DEP_1) | instskip(NEXT) | instid1(VALU_DEP_1)
	v_mul_lo_u32 v3, v3, s15
	v_sub_nc_u32_e32 v5, v2, v3
	s_delay_alu instid0(VALU_DEP_1) | instskip(NEXT) | instid1(VALU_DEP_1)
	v_mad_u64_u32 v[2:3], null, v5, s10, v[0:1]
	v_mad_u64_u32 v[3:4], null, v5, s11, v[1:2]
	s_delay_alu instid0(VALU_DEP_1)
	v_dual_mov_b32 v0, v2 :: v_dual_mov_b32 v1, v3
.LBB431_228:
	s_waitcnt lgkmcnt(0)
	global_load_i8 v1, v1, s[6:7]
	s_bfe_i32 s2, s26, 0x80000
	s_waitcnt vmcnt(0)
	v_min_i16 v1, v1, s2
	global_store_b8 v0, v1, s[4:5]
	s_or_b32 exec_lo, exec_lo, s20
                                        ; implicit-def: $vgpr16
                                        ; implicit-def: $vgpr12
	s_and_not1_saveexec_b32 s2, s25
	s_cbranch_execz .LBB431_206
	s_branch .LBB431_8
	.section	.rodata,"a",@progbits
	.p2align	6, 0x0
	.amdhsa_kernel _ZN2at6native32elementwise_kernel_manual_unrollILi128ELi8EZNS0_22gpu_kernel_impl_nocastIZZZNS0_21clamp_max_kernel_cudaERNS_18TensorIteratorBaseERKN3c106ScalarEENKUlvE_clEvENKUlvE0_clEvEUlaE_EEvS4_RKT_EUlibE_EEviT1_
		.amdhsa_group_segment_fixed_size 0
		.amdhsa_private_segment_fixed_size 0
		.amdhsa_kernarg_size 360
		.amdhsa_user_sgpr_count 15
		.amdhsa_user_sgpr_dispatch_ptr 0
		.amdhsa_user_sgpr_queue_ptr 0
		.amdhsa_user_sgpr_kernarg_segment_ptr 1
		.amdhsa_user_sgpr_dispatch_id 0
		.amdhsa_user_sgpr_private_segment_size 0
		.amdhsa_wavefront_size32 1
		.amdhsa_uses_dynamic_stack 0
		.amdhsa_enable_private_segment 0
		.amdhsa_system_sgpr_workgroup_id_x 1
		.amdhsa_system_sgpr_workgroup_id_y 0
		.amdhsa_system_sgpr_workgroup_id_z 0
		.amdhsa_system_sgpr_workgroup_info 0
		.amdhsa_system_vgpr_workitem_id 0
		.amdhsa_next_free_vgpr 26
		.amdhsa_next_free_sgpr 60
		.amdhsa_reserve_vcc 1
		.amdhsa_float_round_mode_32 0
		.amdhsa_float_round_mode_16_64 0
		.amdhsa_float_denorm_mode_32 3
		.amdhsa_float_denorm_mode_16_64 3
		.amdhsa_dx10_clamp 1
		.amdhsa_ieee_mode 1
		.amdhsa_fp16_overflow 0
		.amdhsa_workgroup_processor_mode 1
		.amdhsa_memory_ordered 1
		.amdhsa_forward_progress 0
		.amdhsa_shared_vgpr_count 0
		.amdhsa_exception_fp_ieee_invalid_op 0
		.amdhsa_exception_fp_denorm_src 0
		.amdhsa_exception_fp_ieee_div_zero 0
		.amdhsa_exception_fp_ieee_overflow 0
		.amdhsa_exception_fp_ieee_underflow 0
		.amdhsa_exception_fp_ieee_inexact 0
		.amdhsa_exception_int_div_zero 0
	.end_amdhsa_kernel
	.section	.text._ZN2at6native32elementwise_kernel_manual_unrollILi128ELi8EZNS0_22gpu_kernel_impl_nocastIZZZNS0_21clamp_max_kernel_cudaERNS_18TensorIteratorBaseERKN3c106ScalarEENKUlvE_clEvENKUlvE0_clEvEUlaE_EEvS4_RKT_EUlibE_EEviT1_,"axG",@progbits,_ZN2at6native32elementwise_kernel_manual_unrollILi128ELi8EZNS0_22gpu_kernel_impl_nocastIZZZNS0_21clamp_max_kernel_cudaERNS_18TensorIteratorBaseERKN3c106ScalarEENKUlvE_clEvENKUlvE0_clEvEUlaE_EEvS4_RKT_EUlibE_EEviT1_,comdat
.Lfunc_end431:
	.size	_ZN2at6native32elementwise_kernel_manual_unrollILi128ELi8EZNS0_22gpu_kernel_impl_nocastIZZZNS0_21clamp_max_kernel_cudaERNS_18TensorIteratorBaseERKN3c106ScalarEENKUlvE_clEvENKUlvE0_clEvEUlaE_EEvS4_RKT_EUlibE_EEviT1_, .Lfunc_end431-_ZN2at6native32elementwise_kernel_manual_unrollILi128ELi8EZNS0_22gpu_kernel_impl_nocastIZZZNS0_21clamp_max_kernel_cudaERNS_18TensorIteratorBaseERKN3c106ScalarEENKUlvE_clEvENKUlvE0_clEvEUlaE_EEvS4_RKT_EUlibE_EEviT1_
                                        ; -- End function
	.section	.AMDGPU.csdata,"",@progbits
; Kernel info:
; codeLenInByte = 13604
; NumSgprs: 62
; NumVgprs: 26
; ScratchSize: 0
; MemoryBound: 0
; FloatMode: 240
; IeeeMode: 1
; LDSByteSize: 0 bytes/workgroup (compile time only)
; SGPRBlocks: 7
; VGPRBlocks: 3
; NumSGPRsForWavesPerEU: 62
; NumVGPRsForWavesPerEU: 26
; Occupancy: 16
; WaveLimiterHint : 1
; COMPUTE_PGM_RSRC2:SCRATCH_EN: 0
; COMPUTE_PGM_RSRC2:USER_SGPR: 15
; COMPUTE_PGM_RSRC2:TRAP_HANDLER: 0
; COMPUTE_PGM_RSRC2:TGID_X_EN: 1
; COMPUTE_PGM_RSRC2:TGID_Y_EN: 0
; COMPUTE_PGM_RSRC2:TGID_Z_EN: 0
; COMPUTE_PGM_RSRC2:TIDIG_COMP_CNT: 0
	.section	.text._ZN2at6native32elementwise_kernel_manual_unrollILi128ELi4EZNS0_15gpu_kernel_implIZZZNS0_21clamp_max_kernel_cudaERNS_18TensorIteratorBaseERKN3c106ScalarEENKUlvE_clEvENKUlvE0_clEvEUlaE_EEvS4_RKT_EUlibE_EEviT1_,"axG",@progbits,_ZN2at6native32elementwise_kernel_manual_unrollILi128ELi4EZNS0_15gpu_kernel_implIZZZNS0_21clamp_max_kernel_cudaERNS_18TensorIteratorBaseERKN3c106ScalarEENKUlvE_clEvENKUlvE0_clEvEUlaE_EEvS4_RKT_EUlibE_EEviT1_,comdat
	.globl	_ZN2at6native32elementwise_kernel_manual_unrollILi128ELi4EZNS0_15gpu_kernel_implIZZZNS0_21clamp_max_kernel_cudaERNS_18TensorIteratorBaseERKN3c106ScalarEENKUlvE_clEvENKUlvE0_clEvEUlaE_EEvS4_RKT_EUlibE_EEviT1_ ; -- Begin function _ZN2at6native32elementwise_kernel_manual_unrollILi128ELi4EZNS0_15gpu_kernel_implIZZZNS0_21clamp_max_kernel_cudaERNS_18TensorIteratorBaseERKN3c106ScalarEENKUlvE_clEvENKUlvE0_clEvEUlaE_EEvS4_RKT_EUlibE_EEviT1_
	.p2align	8
	.type	_ZN2at6native32elementwise_kernel_manual_unrollILi128ELi4EZNS0_15gpu_kernel_implIZZZNS0_21clamp_max_kernel_cudaERNS_18TensorIteratorBaseERKN3c106ScalarEENKUlvE_clEvENKUlvE0_clEvEUlaE_EEvS4_RKT_EUlibE_EEviT1_,@function
_ZN2at6native32elementwise_kernel_manual_unrollILi128ELi4EZNS0_15gpu_kernel_implIZZZNS0_21clamp_max_kernel_cudaERNS_18TensorIteratorBaseERKN3c106ScalarEENKUlvE_clEvENKUlvE0_clEvEUlaE_EEvS4_RKT_EUlibE_EEviT1_: ; @_ZN2at6native32elementwise_kernel_manual_unrollILi128ELi4EZNS0_15gpu_kernel_implIZZZNS0_21clamp_max_kernel_cudaERNS_18TensorIteratorBaseERKN3c106ScalarEENKUlvE_clEvENKUlvE0_clEvEUlaE_EEvS4_RKT_EUlibE_EEviT1_
; %bb.0:
	s_clause 0x3
	s_load_b32 s8, s[0:1], 0x20
	s_load_b32 s13, s[0:1], 0x0
	s_load_b64 s[2:3], s[0:1], 0x18
	s_load_b128 s[4:7], s[0:1], 0x8
	v_lshl_or_b32 v9, s15, 9, v0
	s_mov_b32 s9, 0
	s_mov_b32 s12, 0
	s_mov_b32 s0, exec_lo
	s_delay_alu instid0(VALU_DEP_1) | instskip(SKIP_3) | instid1(VALU_DEP_1)
	v_or_b32_e32 v0, 0x180, v9
	s_waitcnt lgkmcnt(0)
	s_lshr_b32 s1, s8, 8
	s_lshr_b32 s10, s8, 16
	v_cmpx_le_i32_e64 s13, v0
	s_xor_b32 s11, exec_lo, s0
	s_cbranch_execz .LBB432_1017
; %bb.1:
	s_mov_b32 s18, -1
	s_mov_b32 s16, 0
	s_mov_b32 s14, 0
	s_mov_b32 s15, exec_lo
	v_cmpx_gt_i32_e64 s13, v9
	s_cbranch_execz .LBB432_248
; %bb.2:
	v_mul_lo_u32 v0, v9, s3
	v_and_b32_e64 v4, 0xff, s10
	s_delay_alu instid0(VALU_DEP_1) | instskip(NEXT) | instid1(VALU_DEP_3)
	v_cmp_gt_i16_e32 vcc_lo, 11, v4
	v_ashrrev_i32_e32 v1, 31, v0
	v_add_co_u32 v0, s0, s6, v0
	s_delay_alu instid0(VALU_DEP_1)
	v_add_co_ci_u32_e64 v1, s0, s7, v1, s0
	s_cbranch_vccnz .LBB432_9
; %bb.3:
	v_cmp_lt_i16_e32 vcc_lo, 25, v4
	s_cbranch_vccz .LBB432_18
; %bb.4:
	v_cmp_lt_i16_e32 vcc_lo, 28, v4
	s_cbranch_vccz .LBB432_21
	;; [unrolled: 3-line block ×4, first 2 shown]
; %bb.7:
	v_cmp_eq_u16_e32 vcc_lo, 46, v4
	s_cbranch_vccz .LBB432_27
; %bb.8:
	global_load_b32 v2, v[0:1], off
	s_mov_b32 s0, -1
	s_waitcnt vmcnt(0)
	v_lshlrev_b32_e32 v2, 16, v2
	s_delay_alu instid0(VALU_DEP_1)
	v_cvt_i32_f32_e32 v2, v2
	s_branch .LBB432_29
.LBB432_9:
	s_mov_b32 s0, 0
                                        ; implicit-def: $vgpr2
	s_cbranch_execnz .LBB432_198
.LBB432_10:
	s_and_not1_b32 vcc_lo, exec_lo, s0
	s_cbranch_vccnz .LBB432_245
.LBB432_11:
	v_mul_lo_u32 v0, v9, s2
	s_waitcnt vmcnt(0)
	s_delay_alu instid0(VALU_DEP_2)
	v_bfe_i32 v1, v2, 0, 8
	v_and_b32_e64 v3, 0xff, s1
	s_bfe_i32 s0, s8, 0x80000
	s_delay_alu instid0(VALU_DEP_2) | instid1(SALU_CYCLE_1)
	v_min_i16 v2, v1, s0
	s_delay_alu instid0(VALU_DEP_2) | instskip(SKIP_2) | instid1(VALU_DEP_1)
	v_cmp_gt_i16_e32 vcc_lo, 11, v3
	v_ashrrev_i32_e32 v1, 31, v0
	v_add_co_u32 v0, s0, s4, v0
	v_add_co_ci_u32_e64 v1, s0, s5, v1, s0
	s_cbranch_vccnz .LBB432_19
; %bb.12:
	v_cmp_lt_i16_e32 vcc_lo, 25, v3
	s_cbranch_vccz .LBB432_22
; %bb.13:
	v_cmp_lt_i16_e32 vcc_lo, 28, v3
	s_cbranch_vccz .LBB432_24
	;; [unrolled: 3-line block ×4, first 2 shown]
; %bb.16:
	v_cmp_eq_u16_e32 vcc_lo, 46, v3
	s_mov_b32 s17, 0
	s_mov_b32 s0, -1
	s_mov_b32 s12, 0
	s_cbranch_vccz .LBB432_33
; %bb.17:
	v_bfe_i32 v4, v2, 0, 16
	s_mov_b32 s12, -1
	s_mov_b32 s0, 0
	s_delay_alu instid0(VALU_DEP_1) | instskip(NEXT) | instid1(VALU_DEP_1)
	v_cvt_f32_i32_e32 v4, v4
	v_bfe_u32 v5, v4, 16, 1
	s_delay_alu instid0(VALU_DEP_1) | instskip(NEXT) | instid1(VALU_DEP_1)
	v_add3_u32 v4, v4, v5, 0x7fff
	v_lshrrev_b32_e32 v4, 16, v4
	global_store_b32 v[0:1], v4, off
	s_branch .LBB432_33
.LBB432_18:
	s_mov_b32 s0, 0
                                        ; implicit-def: $vgpr2
	s_cbranch_execnz .LBB432_165
	s_branch .LBB432_197
.LBB432_19:
	s_mov_b32 s0, 0
	s_mov_b32 s12, 0
	s_cbranch_execnz .LBB432_102
.LBB432_20:
	s_and_not1_b32 vcc_lo, exec_lo, s12
	s_cbranch_vccnz .LBB432_246
	s_branch .LBB432_140
.LBB432_21:
	s_mov_b32 s12, -1
	s_mov_b32 s0, 0
                                        ; implicit-def: $vgpr2
	s_branch .LBB432_148
.LBB432_22:
	s_mov_b32 s17, -1
	s_mov_b32 s0, 0
	s_mov_b32 s12, 0
	s_branch .LBB432_60
.LBB432_23:
	s_mov_b32 s12, -1
	s_mov_b32 s0, 0
                                        ; implicit-def: $vgpr2
	s_branch .LBB432_143
.LBB432_24:
	s_mov_b32 s17, -1
	s_mov_b32 s0, 0
	s_mov_b32 s12, 0
	s_branch .LBB432_43
.LBB432_25:
	s_mov_b32 s12, -1
	s_branch .LBB432_28
.LBB432_26:
	s_mov_b32 s17, -1
	s_mov_b32 s0, 0
	s_mov_b32 s12, 0
	s_branch .LBB432_39
.LBB432_27:
	s_mov_b32 s14, -1
.LBB432_28:
	s_mov_b32 s0, 0
                                        ; implicit-def: $vgpr2
.LBB432_29:
	s_and_b32 vcc_lo, exec_lo, s12
	s_cbranch_vccz .LBB432_142
; %bb.30:
	v_cmp_eq_u16_e32 vcc_lo, 44, v4
	s_cbranch_vccz .LBB432_141
; %bb.31:
	global_load_u8 v2, v[0:1], off
	s_mov_b32 s14, 0
	s_mov_b32 s0, -1
	s_waitcnt vmcnt(0)
	v_lshlrev_b32_e32 v3, 23, v2
	v_cmp_ne_u32_e32 vcc_lo, 0, v2
	s_delay_alu instid0(VALU_DEP_2) | instskip(NEXT) | instid1(VALU_DEP_1)
	v_cvt_i32_f32_e32 v3, v3
	v_cndmask_b32_e32 v2, 0, v3, vcc_lo
	s_branch .LBB432_142
.LBB432_32:
	s_mov_b32 s17, -1
	s_mov_b32 s0, 0
	s_mov_b32 s12, 0
.LBB432_33:
	s_and_b32 vcc_lo, exec_lo, s17
	s_cbranch_vccz .LBB432_38
; %bb.34:
	v_cmp_eq_u16_e32 vcc_lo, 44, v3
	s_mov_b32 s0, -1
	s_cbranch_vccz .LBB432_38
; %bb.35:
	v_bfe_i32 v4, v2, 0, 16
	v_mov_b32_e32 v5, 0xff
	s_mov_b32 s12, exec_lo
	s_delay_alu instid0(VALU_DEP_2) | instskip(NEXT) | instid1(VALU_DEP_1)
	v_cvt_f32_i32_e32 v4, v4
	v_bfe_u32 v6, v4, 23, 8
	s_delay_alu instid0(VALU_DEP_1)
	v_cmpx_ne_u32_e32 0xff, v6
; %bb.36:
	v_and_b32_e32 v5, 0x400000, v4
	v_and_or_b32 v6, 0x3fffff, v4, v6
	v_lshrrev_b32_e32 v4, 23, v4
	s_delay_alu instid0(VALU_DEP_3) | instskip(NEXT) | instid1(VALU_DEP_3)
	v_cmp_ne_u32_e32 vcc_lo, 0, v5
	v_cmp_ne_u32_e64 s0, 0, v6
	s_delay_alu instid0(VALU_DEP_1) | instskip(NEXT) | instid1(SALU_CYCLE_1)
	s_and_b32 s0, vcc_lo, s0
	v_cndmask_b32_e64 v5, 0, 1, s0
	s_delay_alu instid0(VALU_DEP_1)
	v_add_nc_u32_e32 v5, v4, v5
; %bb.37:
	s_or_b32 exec_lo, exec_lo, s12
	s_mov_b32 s12, -1
	s_mov_b32 s0, 0
	global_store_b8 v[0:1], v5, off
.LBB432_38:
	s_mov_b32 s17, 0
.LBB432_39:
	s_delay_alu instid0(SALU_CYCLE_1)
	s_and_b32 vcc_lo, exec_lo, s17
	s_cbranch_vccz .LBB432_42
; %bb.40:
	v_cmp_eq_u16_e32 vcc_lo, 29, v3
	s_mov_b32 s0, -1
	s_cbranch_vccz .LBB432_42
; %bb.41:
	v_bfe_i32 v4, v2, 0, 16
	s_mov_b32 s0, 0
	s_mov_b32 s12, -1
	s_mov_b32 s17, 0
	s_delay_alu instid0(VALU_DEP_1)
	v_ashrrev_i32_e32 v5, 31, v4
	global_store_b64 v[0:1], v[4:5], off
	s_branch .LBB432_43
.LBB432_42:
	s_mov_b32 s17, 0
.LBB432_43:
	s_delay_alu instid0(SALU_CYCLE_1)
	s_and_b32 vcc_lo, exec_lo, s17
	s_cbranch_vccz .LBB432_59
; %bb.44:
	v_cmp_gt_i16_e32 vcc_lo, 27, v3
	s_mov_b32 s12, -1
	s_cbranch_vccnz .LBB432_50
; %bb.45:
	v_cmp_lt_i16_e32 vcc_lo, 27, v3
	s_cbranch_vccz .LBB432_47
; %bb.46:
	v_bfe_i32 v4, v2, 0, 16
	s_mov_b32 s12, 0
	global_store_b32 v[0:1], v4, off
.LBB432_47:
	s_and_not1_b32 vcc_lo, exec_lo, s12
	s_cbranch_vccnz .LBB432_49
; %bb.48:
	global_store_b16 v[0:1], v2, off
.LBB432_49:
	s_mov_b32 s12, 0
.LBB432_50:
	s_delay_alu instid0(SALU_CYCLE_1)
	s_and_not1_b32 vcc_lo, exec_lo, s12
	s_cbranch_vccnz .LBB432_58
; %bb.51:
	v_bfe_i32 v4, v2, 0, 16
	v_mov_b32_e32 v6, 0x80
	s_mov_b32 s12, exec_lo
	s_delay_alu instid0(VALU_DEP_2) | instskip(NEXT) | instid1(VALU_DEP_1)
	v_cvt_f32_i32_e32 v4, v4
	v_and_b32_e32 v5, 0x7fffffff, v4
	s_delay_alu instid0(VALU_DEP_1)
	v_cmpx_gt_u32_e32 0x43800000, v5
	s_cbranch_execz .LBB432_57
; %bb.52:
	v_cmp_lt_u32_e32 vcc_lo, 0x3bffffff, v5
	s_mov_b32 s17, 0
                                        ; implicit-def: $vgpr5
	s_and_saveexec_b32 s18, vcc_lo
	s_delay_alu instid0(SALU_CYCLE_1)
	s_xor_b32 s18, exec_lo, s18
	s_cbranch_execz .LBB432_272
; %bb.53:
	v_bfe_u32 v5, v4, 20, 1
	s_mov_b32 s17, exec_lo
	s_delay_alu instid0(VALU_DEP_1) | instskip(NEXT) | instid1(VALU_DEP_1)
	v_add3_u32 v5, v4, v5, 0x487ffff
	v_lshrrev_b32_e32 v5, 20, v5
	s_or_saveexec_b32 s18, s18
                                        ; implicit-def: $sgpr19
	s_delay_alu instid0(SALU_CYCLE_1)
	s_xor_b32 exec_lo, exec_lo, s18
	s_cbranch_execnz .LBB432_273
.LBB432_54:
	s_or_b32 exec_lo, exec_lo, s18
	v_mov_b32_e32 v6, s19
	s_and_saveexec_b32 s18, s17
.LBB432_55:
	v_lshrrev_b32_e32 v4, 24, v4
	s_delay_alu instid0(VALU_DEP_1)
	v_and_or_b32 v6, 0x80, v4, v5
.LBB432_56:
	s_or_b32 exec_lo, exec_lo, s18
.LBB432_57:
	s_delay_alu instid0(SALU_CYCLE_1)
	s_or_b32 exec_lo, exec_lo, s12
	global_store_b8 v[0:1], v6, off
.LBB432_58:
	s_mov_b32 s12, -1
.LBB432_59:
	s_mov_b32 s17, 0
.LBB432_60:
	s_delay_alu instid0(SALU_CYCLE_1)
	s_and_b32 vcc_lo, exec_lo, s17
	s_cbranch_vccz .LBB432_101
; %bb.61:
	v_cmp_lt_i16_e32 vcc_lo, 22, v3
	s_mov_b32 s17, -1
	s_cbranch_vccz .LBB432_93
; %bb.62:
	v_cmp_gt_i16_e32 vcc_lo, 24, v3
	s_mov_b32 s12, -1
	s_cbranch_vccnz .LBB432_82
; %bb.63:
	v_cmp_lt_i16_e32 vcc_lo, 24, v3
	s_cbranch_vccz .LBB432_71
; %bb.64:
	v_bfe_i32 v4, v2, 0, 16
	v_mov_b32_e32 v6, 0x80
	s_mov_b32 s12, exec_lo
	s_delay_alu instid0(VALU_DEP_2) | instskip(NEXT) | instid1(VALU_DEP_1)
	v_cvt_f32_i32_e32 v4, v4
	v_and_b32_e32 v5, 0x7fffffff, v4
	s_delay_alu instid0(VALU_DEP_1)
	v_cmpx_gt_u32_e32 0x47800000, v5
	s_cbranch_execz .LBB432_70
; %bb.65:
	v_cmp_lt_u32_e32 vcc_lo, 0x37ffffff, v5
	s_mov_b32 s17, 0
                                        ; implicit-def: $vgpr5
	s_and_saveexec_b32 s18, vcc_lo
	s_delay_alu instid0(SALU_CYCLE_1)
	s_xor_b32 s18, exec_lo, s18
	s_cbranch_execz .LBB432_276
; %bb.66:
	v_bfe_u32 v5, v4, 21, 1
	s_mov_b32 s17, exec_lo
	s_delay_alu instid0(VALU_DEP_1) | instskip(NEXT) | instid1(VALU_DEP_1)
	v_add3_u32 v5, v4, v5, 0x88fffff
	v_lshrrev_b32_e32 v5, 21, v5
	s_or_saveexec_b32 s18, s18
                                        ; implicit-def: $sgpr19
	s_delay_alu instid0(SALU_CYCLE_1)
	s_xor_b32 exec_lo, exec_lo, s18
	s_cbranch_execnz .LBB432_277
.LBB432_67:
	s_or_b32 exec_lo, exec_lo, s18
	v_mov_b32_e32 v6, s19
	s_and_saveexec_b32 s18, s17
.LBB432_68:
	v_lshrrev_b32_e32 v4, 24, v4
	s_delay_alu instid0(VALU_DEP_1)
	v_and_or_b32 v6, 0x80, v4, v5
.LBB432_69:
	s_or_b32 exec_lo, exec_lo, s18
.LBB432_70:
	s_delay_alu instid0(SALU_CYCLE_1)
	s_or_b32 exec_lo, exec_lo, s12
	s_mov_b32 s12, 0
	global_store_b8 v[0:1], v6, off
.LBB432_71:
	s_and_b32 vcc_lo, exec_lo, s12
	s_cbranch_vccz .LBB432_81
; %bb.72:
	v_bfe_i32 v4, v2, 0, 16
	s_mov_b32 s12, exec_lo
                                        ; implicit-def: $vgpr5
	s_delay_alu instid0(VALU_DEP_1) | instskip(NEXT) | instid1(VALU_DEP_1)
	v_cvt_f32_i32_e32 v4, v4
	v_and_b32_e32 v6, 0x7fffffff, v4
	s_delay_alu instid0(VALU_DEP_1)
	v_cmpx_gt_u32_e32 0x43f00000, v6
	s_xor_b32 s12, exec_lo, s12
	s_cbranch_execz .LBB432_78
; %bb.73:
	s_mov_b32 s17, exec_lo
                                        ; implicit-def: $vgpr5
	v_cmpx_lt_u32_e32 0x3c7fffff, v6
	s_xor_b32 s17, exec_lo, s17
; %bb.74:
	v_bfe_u32 v5, v4, 20, 1
	s_delay_alu instid0(VALU_DEP_1) | instskip(NEXT) | instid1(VALU_DEP_1)
	v_add3_u32 v5, v4, v5, 0x407ffff
	v_and_b32_e32 v6, 0xff00000, v5
	v_lshrrev_b32_e32 v5, 20, v5
	s_delay_alu instid0(VALU_DEP_2) | instskip(NEXT) | instid1(VALU_DEP_2)
	v_cmp_ne_u32_e32 vcc_lo, 0x7f00000, v6
	v_cndmask_b32_e32 v5, 0x7e, v5, vcc_lo
; %bb.75:
	s_and_not1_saveexec_b32 s17, s17
; %bb.76:
	v_add_f32_e64 v5, 0x46800000, |v4|
; %bb.77:
	s_or_b32 exec_lo, exec_lo, s17
                                        ; implicit-def: $vgpr6
.LBB432_78:
	s_and_not1_saveexec_b32 s12, s12
; %bb.79:
	v_mov_b32_e32 v5, 0x7f
	v_cmp_lt_u32_e32 vcc_lo, 0x7f800000, v6
	s_delay_alu instid0(VALU_DEP_2)
	v_cndmask_b32_e32 v5, 0x7e, v5, vcc_lo
; %bb.80:
	s_or_b32 exec_lo, exec_lo, s12
	v_lshrrev_b32_e32 v4, 24, v4
	s_delay_alu instid0(VALU_DEP_1)
	v_and_or_b32 v4, 0x80, v4, v5
	global_store_b8 v[0:1], v4, off
.LBB432_81:
	s_mov_b32 s12, 0
.LBB432_82:
	s_delay_alu instid0(SALU_CYCLE_1)
	s_and_not1_b32 vcc_lo, exec_lo, s12
	s_cbranch_vccnz .LBB432_92
; %bb.83:
	v_bfe_i32 v4, v2, 0, 16
	s_mov_b32 s12, exec_lo
                                        ; implicit-def: $vgpr5
	s_delay_alu instid0(VALU_DEP_1) | instskip(NEXT) | instid1(VALU_DEP_1)
	v_cvt_f32_i32_e32 v4, v4
	v_and_b32_e32 v6, 0x7fffffff, v4
	s_delay_alu instid0(VALU_DEP_1)
	v_cmpx_gt_u32_e32 0x47800000, v6
	s_xor_b32 s12, exec_lo, s12
	s_cbranch_execz .LBB432_89
; %bb.84:
	s_mov_b32 s17, exec_lo
                                        ; implicit-def: $vgpr5
	v_cmpx_lt_u32_e32 0x387fffff, v6
	s_xor_b32 s17, exec_lo, s17
; %bb.85:
	v_bfe_u32 v5, v4, 21, 1
	s_delay_alu instid0(VALU_DEP_1) | instskip(NEXT) | instid1(VALU_DEP_1)
	v_add3_u32 v5, v4, v5, 0x80fffff
	v_lshrrev_b32_e32 v5, 21, v5
; %bb.86:
	s_and_not1_saveexec_b32 s17, s17
; %bb.87:
	v_add_f32_e64 v5, 0x43000000, |v4|
; %bb.88:
	s_or_b32 exec_lo, exec_lo, s17
                                        ; implicit-def: $vgpr6
.LBB432_89:
	s_and_not1_saveexec_b32 s12, s12
; %bb.90:
	v_mov_b32_e32 v5, 0x7f
	v_cmp_lt_u32_e32 vcc_lo, 0x7f800000, v6
	s_delay_alu instid0(VALU_DEP_2)
	v_cndmask_b32_e32 v5, 0x7c, v5, vcc_lo
; %bb.91:
	s_or_b32 exec_lo, exec_lo, s12
	v_lshrrev_b32_e32 v4, 24, v4
	s_delay_alu instid0(VALU_DEP_1)
	v_and_or_b32 v4, 0x80, v4, v5
	global_store_b8 v[0:1], v4, off
.LBB432_92:
	s_mov_b32 s17, 0
	s_mov_b32 s12, -1
.LBB432_93:
	s_and_not1_b32 vcc_lo, exec_lo, s17
	s_cbranch_vccnz .LBB432_101
; %bb.94:
	v_cmp_lt_i16_e32 vcc_lo, 14, v3
	s_mov_b32 s17, -1
	s_cbranch_vccz .LBB432_98
; %bb.95:
	v_cmp_eq_u16_e32 vcc_lo, 15, v3
	s_mov_b32 s0, -1
	s_cbranch_vccz .LBB432_97
; %bb.96:
	v_bfe_i32 v4, v2, 0, 16
	s_mov_b32 s12, -1
	s_mov_b32 s0, 0
	s_delay_alu instid0(VALU_DEP_1) | instskip(NEXT) | instid1(VALU_DEP_1)
	v_cvt_f32_i32_e32 v4, v4
	v_bfe_u32 v5, v4, 16, 1
	s_delay_alu instid0(VALU_DEP_1)
	v_add3_u32 v4, v4, v5, 0x7fff
	global_store_d16_hi_b16 v[0:1], v4, off
.LBB432_97:
	s_mov_b32 s17, 0
.LBB432_98:
	s_delay_alu instid0(SALU_CYCLE_1)
	s_and_b32 vcc_lo, exec_lo, s17
	s_cbranch_vccz .LBB432_101
; %bb.99:
	v_cmp_eq_u16_e32 vcc_lo, 11, v3
	s_mov_b32 s0, -1
	s_cbranch_vccz .LBB432_101
; %bb.100:
	v_cmp_ne_u16_e32 vcc_lo, 0, v2
	s_mov_b32 s0, 0
	s_mov_b32 s12, -1
	v_cndmask_b32_e64 v4, 0, 1, vcc_lo
	global_store_b8 v[0:1], v4, off
.LBB432_101:
	s_branch .LBB432_20
.LBB432_102:
	v_cmp_gt_i16_e32 vcc_lo, 5, v3
	s_mov_b32 s12, -1
	s_cbranch_vccnz .LBB432_123
; %bb.103:
	v_cmp_gt_i16_e32 vcc_lo, 8, v3
	s_cbranch_vccnz .LBB432_113
; %bb.104:
	v_cmp_gt_i16_e32 vcc_lo, 9, v3
	s_cbranch_vccnz .LBB432_110
; %bb.105:
	v_cmp_lt_i16_e32 vcc_lo, 9, v3
	s_cbranch_vccz .LBB432_107
; %bb.106:
	v_bfe_i32 v4, v2, 0, 16
	v_mov_b32_e32 v6, 0
	s_mov_b32 s12, 0
	s_delay_alu instid0(VALU_DEP_2) | instskip(NEXT) | instid1(VALU_DEP_2)
	v_cvt_f64_i32_e32 v[4:5], v4
	v_mov_b32_e32 v7, v6
	global_store_b128 v[0:1], v[4:7], off
.LBB432_107:
	s_and_not1_b32 vcc_lo, exec_lo, s12
	s_cbranch_vccnz .LBB432_109
; %bb.108:
	v_bfe_i32 v4, v2, 0, 16
	v_mov_b32_e32 v5, 0
	s_delay_alu instid0(VALU_DEP_2)
	v_cvt_f32_i32_e32 v4, v4
	global_store_b64 v[0:1], v[4:5], off
.LBB432_109:
	s_mov_b32 s12, 0
.LBB432_110:
	s_delay_alu instid0(SALU_CYCLE_1)
	s_and_not1_b32 vcc_lo, exec_lo, s12
	s_cbranch_vccnz .LBB432_112
; %bb.111:
	v_cvt_f16_i16_e32 v4, v2
	s_delay_alu instid0(VALU_DEP_1)
	v_and_b32_e32 v4, 0xffff, v4
	global_store_b32 v[0:1], v4, off
.LBB432_112:
	s_mov_b32 s12, 0
.LBB432_113:
	s_delay_alu instid0(SALU_CYCLE_1)
	s_and_not1_b32 vcc_lo, exec_lo, s12
	s_cbranch_vccnz .LBB432_122
; %bb.114:
	v_cmp_gt_i16_e32 vcc_lo, 6, v3
	s_mov_b32 s12, -1
	s_cbranch_vccnz .LBB432_120
; %bb.115:
	v_cmp_lt_i16_e32 vcc_lo, 6, v3
	s_cbranch_vccz .LBB432_117
; %bb.116:
	v_bfe_i32 v4, v2, 0, 16
	s_mov_b32 s12, 0
	s_delay_alu instid0(VALU_DEP_1)
	v_cvt_f64_i32_e32 v[4:5], v4
	global_store_b64 v[0:1], v[4:5], off
.LBB432_117:
	s_and_not1_b32 vcc_lo, exec_lo, s12
	s_cbranch_vccnz .LBB432_119
; %bb.118:
	v_bfe_i32 v4, v2, 0, 16
	s_delay_alu instid0(VALU_DEP_1)
	v_cvt_f32_i32_e32 v4, v4
	global_store_b32 v[0:1], v4, off
.LBB432_119:
	s_mov_b32 s12, 0
.LBB432_120:
	s_delay_alu instid0(SALU_CYCLE_1)
	s_and_not1_b32 vcc_lo, exec_lo, s12
	s_cbranch_vccnz .LBB432_122
; %bb.121:
	v_cvt_f16_i16_e32 v4, v2
	global_store_b16 v[0:1], v4, off
.LBB432_122:
	s_mov_b32 s12, 0
.LBB432_123:
	s_delay_alu instid0(SALU_CYCLE_1)
	s_and_not1_b32 vcc_lo, exec_lo, s12
	s_cbranch_vccnz .LBB432_139
; %bb.124:
	v_cmp_gt_i16_e32 vcc_lo, 2, v3
	s_mov_b32 s12, -1
	s_cbranch_vccnz .LBB432_134
; %bb.125:
	v_cmp_gt_i16_e32 vcc_lo, 3, v3
	s_cbranch_vccnz .LBB432_131
; %bb.126:
	v_cmp_lt_i16_e32 vcc_lo, 3, v3
	s_cbranch_vccz .LBB432_128
; %bb.127:
	v_bfe_i32 v4, v2, 0, 16
	s_mov_b32 s12, 0
	s_delay_alu instid0(VALU_DEP_1)
	v_ashrrev_i32_e32 v5, 31, v4
	global_store_b64 v[0:1], v[4:5], off
.LBB432_128:
	s_and_not1_b32 vcc_lo, exec_lo, s12
	s_cbranch_vccnz .LBB432_130
; %bb.129:
	v_bfe_i32 v4, v2, 0, 16
	global_store_b32 v[0:1], v4, off
.LBB432_130:
	s_mov_b32 s12, 0
.LBB432_131:
	s_delay_alu instid0(SALU_CYCLE_1)
	s_and_not1_b32 vcc_lo, exec_lo, s12
	s_cbranch_vccnz .LBB432_133
; %bb.132:
	global_store_b16 v[0:1], v2, off
.LBB432_133:
	s_mov_b32 s12, 0
.LBB432_134:
	s_delay_alu instid0(SALU_CYCLE_1)
	s_and_not1_b32 vcc_lo, exec_lo, s12
	s_cbranch_vccnz .LBB432_139
; %bb.135:
	v_cmp_lt_i16_e32 vcc_lo, 0, v3
	s_mov_b32 s12, -1
	s_cbranch_vccz .LBB432_137
; %bb.136:
	s_mov_b32 s12, 0
	global_store_b8 v[0:1], v2, off
.LBB432_137:
	s_and_not1_b32 vcc_lo, exec_lo, s12
	s_cbranch_vccnz .LBB432_139
; %bb.138:
	global_store_b8 v[0:1], v2, off
.LBB432_139:
.LBB432_140:
	v_add_nc_u32_e32 v9, 0x80, v9
	s_mov_b32 s17, -1
	s_branch .LBB432_247
.LBB432_141:
	s_mov_b32 s14, -1
                                        ; implicit-def: $vgpr2
.LBB432_142:
	s_mov_b32 s12, 0
.LBB432_143:
	s_delay_alu instid0(SALU_CYCLE_1)
	s_and_b32 vcc_lo, exec_lo, s12
	s_cbranch_vccz .LBB432_147
; %bb.144:
	v_cmp_eq_u16_e32 vcc_lo, 29, v4
	s_cbranch_vccz .LBB432_146
; %bb.145:
	global_load_b64 v[2:3], v[0:1], off
	s_mov_b32 s0, -1
	s_mov_b32 s14, 0
	s_branch .LBB432_147
.LBB432_146:
	s_mov_b32 s14, -1
                                        ; implicit-def: $vgpr2
.LBB432_147:
	s_mov_b32 s12, 0
.LBB432_148:
	s_delay_alu instid0(SALU_CYCLE_1)
	s_and_b32 vcc_lo, exec_lo, s12
	s_cbranch_vccz .LBB432_164
; %bb.149:
	v_cmp_gt_i16_e32 vcc_lo, 27, v4
	s_cbranch_vccnz .LBB432_152
; %bb.150:
	v_cmp_lt_i16_e32 vcc_lo, 27, v4
	s_cbranch_vccz .LBB432_153
; %bb.151:
	global_load_b32 v2, v[0:1], off
	s_mov_b32 s0, 0
	s_branch .LBB432_154
.LBB432_152:
	s_mov_b32 s0, -1
                                        ; implicit-def: $vgpr2
	s_branch .LBB432_157
.LBB432_153:
	s_mov_b32 s0, -1
                                        ; implicit-def: $vgpr2
.LBB432_154:
	s_delay_alu instid0(SALU_CYCLE_1)
	s_and_not1_b32 vcc_lo, exec_lo, s0
	s_cbranch_vccnz .LBB432_156
; %bb.155:
	global_load_u16 v2, v[0:1], off
.LBB432_156:
	s_mov_b32 s0, 0
.LBB432_157:
	s_delay_alu instid0(SALU_CYCLE_1)
	s_and_not1_b32 vcc_lo, exec_lo, s0
	s_cbranch_vccnz .LBB432_163
; %bb.158:
	global_load_u8 v3, v[0:1], off
	s_mov_b32 s0, 0
	s_mov_b32 s12, exec_lo
                                        ; implicit-def: $sgpr17
	s_waitcnt vmcnt(0)
	v_cmpx_lt_i16_e32 0x7f, v3
	s_xor_b32 s12, exec_lo, s12
	s_cbranch_execz .LBB432_174
; %bb.159:
	v_cmp_ne_u16_e32 vcc_lo, 0x80, v3
	s_mov_b32 s17, 0
	s_and_b32 s0, vcc_lo, exec_lo
	s_or_saveexec_b32 s12, s12
	v_mov_b32_e32 v2, s17
	s_xor_b32 exec_lo, exec_lo, s12
	s_cbranch_execnz .LBB432_175
.LBB432_160:
	s_or_b32 exec_lo, exec_lo, s12
	s_and_saveexec_b32 s12, s0
	s_cbranch_execz .LBB432_162
.LBB432_161:
	v_and_b32_e32 v2, 0xffff, v3
	v_lshlrev_b32_e32 v3, 24, v3
	s_delay_alu instid0(VALU_DEP_2) | instskip(NEXT) | instid1(VALU_DEP_2)
	v_and_b32_e32 v5, 7, v2
	v_and_b32_e32 v3, 0x80000000, v3
	s_delay_alu instid0(VALU_DEP_2) | instskip(NEXT) | instid1(VALU_DEP_1)
	v_clz_i32_u32_e32 v6, v5
	v_min_u32_e32 v6, 32, v6
	s_delay_alu instid0(VALU_DEP_1) | instskip(SKIP_1) | instid1(VALU_DEP_2)
	v_subrev_nc_u32_e32 v7, 28, v6
	v_sub_nc_u32_e32 v6, 29, v6
	v_lshlrev_b32_e32 v7, v7, v2
	v_bfe_u32 v2, v2, 3, 4
	s_delay_alu instid0(VALU_DEP_1) | instskip(NEXT) | instid1(VALU_DEP_3)
	v_cmp_eq_u32_e32 vcc_lo, 0, v2
	v_dual_cndmask_b32 v2, v2, v6 :: v_dual_and_b32 v7, 7, v7
	s_delay_alu instid0(VALU_DEP_1) | instskip(NEXT) | instid1(VALU_DEP_2)
	v_cndmask_b32_e32 v5, v5, v7, vcc_lo
	v_lshl_add_u32 v2, v2, 23, 0x3b800000
	s_delay_alu instid0(VALU_DEP_2) | instskip(NEXT) | instid1(VALU_DEP_1)
	v_lshlrev_b32_e32 v5, 20, v5
	v_or3_b32 v2, v3, v2, v5
	s_delay_alu instid0(VALU_DEP_1)
	v_cvt_i32_f32_e32 v2, v2
.LBB432_162:
	s_or_b32 exec_lo, exec_lo, s12
.LBB432_163:
	s_mov_b32 s0, -1
.LBB432_164:
	s_branch .LBB432_197
.LBB432_165:
	v_cmp_lt_i16_e32 vcc_lo, 22, v4
	s_cbranch_vccz .LBB432_173
; %bb.166:
	v_cmp_gt_i16_e32 vcc_lo, 24, v4
	s_cbranch_vccnz .LBB432_176
; %bb.167:
	v_cmp_lt_i16_e32 vcc_lo, 24, v4
	s_cbranch_vccz .LBB432_177
; %bb.168:
	global_load_u8 v3, v[0:1], off
	s_mov_b32 s0, 0
	s_mov_b32 s12, exec_lo
                                        ; implicit-def: $sgpr17
	s_waitcnt vmcnt(0)
	v_cmpx_lt_i16_e32 0x7f, v3
	s_xor_b32 s12, exec_lo, s12
	s_cbranch_execz .LBB432_189
; %bb.169:
	v_cmp_ne_u16_e32 vcc_lo, 0x80, v3
	s_mov_b32 s17, 0
	s_and_b32 s0, vcc_lo, exec_lo
	s_or_saveexec_b32 s12, s12
	v_mov_b32_e32 v2, s17
	s_xor_b32 exec_lo, exec_lo, s12
	s_cbranch_execnz .LBB432_190
.LBB432_170:
	s_or_b32 exec_lo, exec_lo, s12
	s_and_saveexec_b32 s12, s0
	s_cbranch_execz .LBB432_172
.LBB432_171:
	v_and_b32_e32 v2, 0xffff, v3
	v_lshlrev_b32_e32 v3, 24, v3
	s_delay_alu instid0(VALU_DEP_2) | instskip(NEXT) | instid1(VALU_DEP_2)
	v_and_b32_e32 v5, 3, v2
	v_and_b32_e32 v3, 0x80000000, v3
	s_delay_alu instid0(VALU_DEP_2) | instskip(NEXT) | instid1(VALU_DEP_1)
	v_clz_i32_u32_e32 v6, v5
	v_min_u32_e32 v6, 32, v6
	s_delay_alu instid0(VALU_DEP_1) | instskip(SKIP_1) | instid1(VALU_DEP_2)
	v_subrev_nc_u32_e32 v7, 29, v6
	v_sub_nc_u32_e32 v6, 30, v6
	v_lshlrev_b32_e32 v7, v7, v2
	v_bfe_u32 v2, v2, 2, 5
	s_delay_alu instid0(VALU_DEP_1) | instskip(NEXT) | instid1(VALU_DEP_3)
	v_cmp_eq_u32_e32 vcc_lo, 0, v2
	v_dual_cndmask_b32 v2, v2, v6 :: v_dual_and_b32 v7, 3, v7
	s_delay_alu instid0(VALU_DEP_1) | instskip(NEXT) | instid1(VALU_DEP_2)
	v_cndmask_b32_e32 v5, v5, v7, vcc_lo
	v_lshl_add_u32 v2, v2, 23, 0x37800000
	s_delay_alu instid0(VALU_DEP_2) | instskip(NEXT) | instid1(VALU_DEP_1)
	v_lshlrev_b32_e32 v5, 21, v5
	v_or3_b32 v2, v3, v2, v5
	s_delay_alu instid0(VALU_DEP_1)
	v_cvt_i32_f32_e32 v2, v2
.LBB432_172:
	s_or_b32 exec_lo, exec_lo, s12
	s_mov_b32 s0, 0
	s_branch .LBB432_178
.LBB432_173:
	s_mov_b32 s12, -1
                                        ; implicit-def: $vgpr2
	s_branch .LBB432_184
.LBB432_174:
	s_or_saveexec_b32 s12, s12
	v_mov_b32_e32 v2, s17
	s_xor_b32 exec_lo, exec_lo, s12
	s_cbranch_execz .LBB432_160
.LBB432_175:
	v_cmp_ne_u16_e32 vcc_lo, 0, v3
	v_mov_b32_e32 v2, 0
	s_and_not1_b32 s0, s0, exec_lo
	s_and_b32 s17, vcc_lo, exec_lo
	s_delay_alu instid0(SALU_CYCLE_1)
	s_or_b32 s0, s0, s17
	s_or_b32 exec_lo, exec_lo, s12
	s_and_saveexec_b32 s12, s0
	s_cbranch_execnz .LBB432_161
	s_branch .LBB432_162
.LBB432_176:
	s_mov_b32 s0, -1
                                        ; implicit-def: $vgpr2
	s_branch .LBB432_181
.LBB432_177:
	s_mov_b32 s0, -1
                                        ; implicit-def: $vgpr2
.LBB432_178:
	s_delay_alu instid0(SALU_CYCLE_1)
	s_and_b32 vcc_lo, exec_lo, s0
	s_cbranch_vccz .LBB432_180
; %bb.179:
	global_load_u8 v2, v[0:1], off
	s_waitcnt vmcnt(0)
	v_lshlrev_b32_e32 v2, 24, v2
	s_delay_alu instid0(VALU_DEP_1) | instskip(NEXT) | instid1(VALU_DEP_1)
	v_and_b32_e32 v3, 0x7f000000, v2
	v_clz_i32_u32_e32 v5, v3
	v_add_nc_u32_e32 v7, 0x1000000, v3
	v_cmp_ne_u32_e32 vcc_lo, 0, v3
	s_delay_alu instid0(VALU_DEP_3) | instskip(NEXT) | instid1(VALU_DEP_1)
	v_min_u32_e32 v5, 32, v5
	v_sub_nc_u32_e64 v5, v5, 4 clamp
	s_delay_alu instid0(VALU_DEP_1) | instskip(SKIP_1) | instid1(VALU_DEP_2)
	v_lshlrev_b32_e32 v6, v5, v3
	v_lshlrev_b32_e32 v5, 23, v5
	v_lshrrev_b32_e32 v6, 4, v6
	s_delay_alu instid0(VALU_DEP_1) | instskip(SKIP_1) | instid1(VALU_DEP_2)
	v_sub_nc_u32_e32 v5, v6, v5
	v_ashrrev_i32_e32 v6, 8, v7
	v_add_nc_u32_e32 v5, 0x3c000000, v5
	s_delay_alu instid0(VALU_DEP_1) | instskip(NEXT) | instid1(VALU_DEP_1)
	v_and_or_b32 v5, 0x7f800000, v6, v5
	v_cndmask_b32_e32 v3, 0, v5, vcc_lo
	s_delay_alu instid0(VALU_DEP_1) | instskip(NEXT) | instid1(VALU_DEP_1)
	v_and_or_b32 v2, 0x80000000, v2, v3
	v_cvt_i32_f32_e32 v2, v2
.LBB432_180:
	s_mov_b32 s0, 0
.LBB432_181:
	s_delay_alu instid0(SALU_CYCLE_1)
	s_and_not1_b32 vcc_lo, exec_lo, s0
	s_cbranch_vccnz .LBB432_183
; %bb.182:
	global_load_u8 v2, v[0:1], off
	s_waitcnt vmcnt(0)
	v_lshlrev_b32_e32 v3, 25, v2
	v_lshlrev_b16 v2, 8, v2
	s_delay_alu instid0(VALU_DEP_2) | instskip(NEXT) | instid1(VALU_DEP_2)
	v_lshrrev_b32_e32 v5, 4, v3
	v_and_or_b32 v6, 0x7f00, v2, 0.5
	v_cmp_gt_u32_e32 vcc_lo, 0x8000000, v3
	v_bfe_i32 v2, v2, 0, 16
	s_delay_alu instid0(VALU_DEP_4) | instskip(NEXT) | instid1(VALU_DEP_1)
	v_or_b32_e32 v5, 0x70000000, v5
	v_dual_add_f32 v6, -0.5, v6 :: v_dual_mul_f32 v5, 0x7800000, v5
	s_delay_alu instid0(VALU_DEP_1) | instskip(NEXT) | instid1(VALU_DEP_1)
	v_cndmask_b32_e32 v3, v5, v6, vcc_lo
	v_and_or_b32 v2, 0x80000000, v2, v3
	s_delay_alu instid0(VALU_DEP_1)
	v_cvt_i32_f32_e32 v2, v2
.LBB432_183:
	s_mov_b32 s12, 0
	s_mov_b32 s0, -1
.LBB432_184:
	s_and_not1_b32 vcc_lo, exec_lo, s12
	s_cbranch_vccnz .LBB432_197
; %bb.185:
	v_cmp_lt_i16_e32 vcc_lo, 14, v4
	s_cbranch_vccz .LBB432_188
; %bb.186:
	v_cmp_eq_u16_e32 vcc_lo, 15, v4
	s_cbranch_vccz .LBB432_191
; %bb.187:
	global_load_u16 v2, v[0:1], off
	s_mov_b32 s0, -1
	s_mov_b32 s14, 0
	s_waitcnt vmcnt(0)
	v_lshlrev_b32_e32 v2, 16, v2
	s_delay_alu instid0(VALU_DEP_1)
	v_cvt_i32_f32_e32 v2, v2
	s_branch .LBB432_192
.LBB432_188:
	s_mov_b32 s12, -1
                                        ; implicit-def: $vgpr2
	s_branch .LBB432_193
.LBB432_189:
	s_or_saveexec_b32 s12, s12
	v_mov_b32_e32 v2, s17
	s_xor_b32 exec_lo, exec_lo, s12
	s_cbranch_execz .LBB432_170
.LBB432_190:
	v_cmp_ne_u16_e32 vcc_lo, 0, v3
	v_mov_b32_e32 v2, 0
	s_and_not1_b32 s0, s0, exec_lo
	s_and_b32 s17, vcc_lo, exec_lo
	s_delay_alu instid0(SALU_CYCLE_1)
	s_or_b32 s0, s0, s17
	s_or_b32 exec_lo, exec_lo, s12
	s_and_saveexec_b32 s12, s0
	s_cbranch_execnz .LBB432_171
	s_branch .LBB432_172
.LBB432_191:
	s_mov_b32 s14, -1
                                        ; implicit-def: $vgpr2
.LBB432_192:
	s_mov_b32 s12, 0
.LBB432_193:
	s_delay_alu instid0(SALU_CYCLE_1)
	s_and_b32 vcc_lo, exec_lo, s12
	s_cbranch_vccz .LBB432_197
; %bb.194:
	v_cmp_eq_u16_e32 vcc_lo, 11, v4
	s_cbranch_vccz .LBB432_196
; %bb.195:
	global_load_u8 v2, v[0:1], off
	s_mov_b32 s14, 0
	s_mov_b32 s0, -1
	s_waitcnt vmcnt(0)
	v_cmp_ne_u16_e32 vcc_lo, 0, v2
	v_cndmask_b32_e64 v2, 0, 1, vcc_lo
	s_branch .LBB432_197
.LBB432_196:
	s_mov_b32 s14, -1
                                        ; implicit-def: $vgpr2
.LBB432_197:
	s_branch .LBB432_10
.LBB432_198:
	v_cmp_gt_i16_e32 vcc_lo, 5, v4
	s_cbranch_vccnz .LBB432_203
; %bb.199:
	v_cmp_gt_i16_e32 vcc_lo, 8, v4
	s_cbranch_vccnz .LBB432_204
; %bb.200:
	;; [unrolled: 3-line block ×3, first 2 shown]
	v_cmp_lt_i16_e32 vcc_lo, 9, v4
	s_cbranch_vccz .LBB432_206
; %bb.202:
	global_load_b64 v[2:3], v[0:1], off
	s_mov_b32 s0, 0
	s_waitcnt vmcnt(0)
	v_cvt_i32_f64_e32 v2, v[2:3]
	s_branch .LBB432_207
.LBB432_203:
                                        ; implicit-def: $vgpr2
	s_branch .LBB432_225
.LBB432_204:
	s_mov_b32 s0, -1
                                        ; implicit-def: $vgpr2
	s_branch .LBB432_213
.LBB432_205:
	s_mov_b32 s0, -1
                                        ; implicit-def: $vgpr2
	s_branch .LBB432_210
.LBB432_206:
	s_mov_b32 s0, -1
                                        ; implicit-def: $vgpr2
.LBB432_207:
	s_delay_alu instid0(SALU_CYCLE_1)
	s_and_not1_b32 vcc_lo, exec_lo, s0
	s_cbranch_vccnz .LBB432_209
; %bb.208:
	global_load_b32 v2, v[0:1], off
	s_waitcnt vmcnt(0)
	v_cvt_i32_f32_e32 v2, v2
.LBB432_209:
	s_mov_b32 s0, 0
.LBB432_210:
	s_delay_alu instid0(SALU_CYCLE_1)
	s_and_not1_b32 vcc_lo, exec_lo, s0
	s_cbranch_vccnz .LBB432_212
; %bb.211:
	global_load_b32 v2, v[0:1], off
	s_waitcnt vmcnt(0)
	v_cvt_i16_f16_e32 v2, v2
.LBB432_212:
	s_mov_b32 s0, 0
.LBB432_213:
	s_delay_alu instid0(SALU_CYCLE_1)
	s_and_not1_b32 vcc_lo, exec_lo, s0
	s_cbranch_vccnz .LBB432_224
; %bb.214:
	v_cmp_gt_i16_e32 vcc_lo, 6, v4
	s_cbranch_vccnz .LBB432_217
; %bb.215:
	v_cmp_lt_i16_e32 vcc_lo, 6, v4
	s_cbranch_vccz .LBB432_218
; %bb.216:
	global_load_b64 v[2:3], v[0:1], off
	s_mov_b32 s0, 0
	s_waitcnt vmcnt(0)
	v_cvt_i32_f64_e32 v2, v[2:3]
	s_branch .LBB432_219
.LBB432_217:
	s_mov_b32 s0, -1
                                        ; implicit-def: $vgpr2
	s_branch .LBB432_222
.LBB432_218:
	s_mov_b32 s0, -1
                                        ; implicit-def: $vgpr2
.LBB432_219:
	s_delay_alu instid0(SALU_CYCLE_1)
	s_and_not1_b32 vcc_lo, exec_lo, s0
	s_cbranch_vccnz .LBB432_221
; %bb.220:
	global_load_b32 v2, v[0:1], off
	s_waitcnt vmcnt(0)
	v_cvt_i32_f32_e32 v2, v2
.LBB432_221:
	s_mov_b32 s0, 0
.LBB432_222:
	s_delay_alu instid0(SALU_CYCLE_1)
	s_and_not1_b32 vcc_lo, exec_lo, s0
	s_cbranch_vccnz .LBB432_224
; %bb.223:
	global_load_u16 v2, v[0:1], off
	s_waitcnt vmcnt(0)
	v_cvt_i16_f16_e32 v2, v2
.LBB432_224:
	s_cbranch_execnz .LBB432_244
.LBB432_225:
	v_cmp_gt_i16_e32 vcc_lo, 2, v4
	s_cbranch_vccnz .LBB432_229
; %bb.226:
	v_cmp_gt_i16_e32 vcc_lo, 3, v4
	s_cbranch_vccnz .LBB432_230
; %bb.227:
	v_cmp_lt_i16_e32 vcc_lo, 3, v4
	s_cbranch_vccz .LBB432_231
; %bb.228:
	global_load_b64 v[2:3], v[0:1], off
	s_mov_b32 s0, 0
	s_branch .LBB432_232
.LBB432_229:
	s_mov_b32 s0, -1
                                        ; implicit-def: $vgpr2
	s_branch .LBB432_238
.LBB432_230:
	s_mov_b32 s0, -1
                                        ; implicit-def: $vgpr2
	s_branch .LBB432_235
.LBB432_231:
	s_mov_b32 s0, -1
                                        ; implicit-def: $vgpr2
.LBB432_232:
	s_delay_alu instid0(SALU_CYCLE_1)
	s_and_not1_b32 vcc_lo, exec_lo, s0
	s_cbranch_vccnz .LBB432_234
; %bb.233:
	global_load_b32 v2, v[0:1], off
.LBB432_234:
	s_mov_b32 s0, 0
.LBB432_235:
	s_delay_alu instid0(SALU_CYCLE_1)
	s_and_not1_b32 vcc_lo, exec_lo, s0
	s_cbranch_vccnz .LBB432_237
; %bb.236:
	global_load_u16 v2, v[0:1], off
.LBB432_237:
	s_mov_b32 s0, 0
.LBB432_238:
	s_delay_alu instid0(SALU_CYCLE_1)
	s_and_not1_b32 vcc_lo, exec_lo, s0
	s_cbranch_vccnz .LBB432_244
; %bb.239:
	v_cmp_lt_i16_e32 vcc_lo, 0, v4
	s_mov_b32 s0, 0
	s_cbranch_vccz .LBB432_241
; %bb.240:
	global_load_u8 v2, v[0:1], off
	s_branch .LBB432_242
.LBB432_241:
	s_mov_b32 s0, -1
                                        ; implicit-def: $vgpr2
.LBB432_242:
	s_delay_alu instid0(SALU_CYCLE_1)
	s_and_not1_b32 vcc_lo, exec_lo, s0
	s_cbranch_vccnz .LBB432_244
; %bb.243:
	global_load_u8 v2, v[0:1], off
.LBB432_244:
	s_branch .LBB432_11
.LBB432_245:
	s_mov_b32 s0, 0
.LBB432_246:
	s_mov_b32 s17, 0
                                        ; implicit-def: $vgpr9
.LBB432_247:
	s_and_b32 s12, s0, exec_lo
	s_and_b32 s14, s14, exec_lo
	s_or_not1_b32 s18, s17, exec_lo
.LBB432_248:
	s_or_b32 exec_lo, exec_lo, s15
	s_mov_b32 s17, 0
	s_mov_b32 s0, 0
                                        ; implicit-def: $vgpr4
                                        ; implicit-def: $vgpr0_vgpr1
                                        ; implicit-def: $vgpr2
	s_and_saveexec_b32 s15, s18
	s_cbranch_execz .LBB432_844
; %bb.249:
	s_mov_b32 s20, -1
	s_mov_b32 s16, s14
	s_mov_b32 s17, s12
	s_mov_b32 s18, exec_lo
	v_cmpx_gt_i32_e64 s13, v9
	s_cbranch_execz .LBB432_504
; %bb.250:
	v_mul_lo_u32 v0, v9, s3
	v_and_b32_e64 v4, 0xff, s10
	s_delay_alu instid0(VALU_DEP_1) | instskip(NEXT) | instid1(VALU_DEP_3)
	v_cmp_gt_i16_e32 vcc_lo, 11, v4
	v_ashrrev_i32_e32 v1, 31, v0
	v_add_co_u32 v0, s0, s6, v0
	s_delay_alu instid0(VALU_DEP_1)
	v_add_co_ci_u32_e64 v1, s0, s7, v1, s0
	s_cbranch_vccnz .LBB432_257
; %bb.251:
	v_cmp_lt_i16_e32 vcc_lo, 25, v4
	s_cbranch_vccz .LBB432_266
; %bb.252:
	v_cmp_lt_i16_e32 vcc_lo, 28, v4
	s_cbranch_vccz .LBB432_268
	;; [unrolled: 3-line block ×4, first 2 shown]
; %bb.255:
	v_cmp_eq_u16_e32 vcc_lo, 46, v4
	s_mov_b32 s17, 0
	s_cbranch_vccz .LBB432_278
; %bb.256:
	global_load_b32 v2, v[0:1], off
	s_mov_b32 s0, -1
	s_mov_b32 s16, 0
	s_waitcnt vmcnt(0)
	v_lshlrev_b32_e32 v2, 16, v2
	s_delay_alu instid0(VALU_DEP_1)
	v_cvt_i32_f32_e32 v2, v2
	s_branch .LBB432_280
.LBB432_257:
	s_mov_b32 s0, 0
	s_mov_b32 s16, s14
                                        ; implicit-def: $vgpr2
	s_cbranch_execnz .LBB432_453
.LBB432_258:
	s_and_not1_b32 vcc_lo, exec_lo, s0
	s_cbranch_vccnz .LBB432_501
.LBB432_259:
	v_mul_lo_u32 v0, v9, s2
	s_waitcnt vmcnt(0)
	s_delay_alu instid0(VALU_DEP_2)
	v_bfe_i32 v1, v2, 0, 8
	v_and_b32_e64 v3, 0xff, s1
	s_bfe_i32 s0, s8, 0x80000
	s_delay_alu instid0(VALU_DEP_2) | instid1(SALU_CYCLE_1)
	v_min_i16 v2, v1, s0
	s_delay_alu instid0(VALU_DEP_2) | instskip(SKIP_2) | instid1(VALU_DEP_1)
	v_cmp_gt_i16_e32 vcc_lo, 11, v3
	v_ashrrev_i32_e32 v1, 31, v0
	v_add_co_u32 v0, s0, s4, v0
	v_add_co_ci_u32_e64 v1, s0, s5, v1, s0
	s_cbranch_vccnz .LBB432_267
; %bb.260:
	v_cmp_lt_i16_e32 vcc_lo, 25, v3
	s_cbranch_vccz .LBB432_269
; %bb.261:
	v_cmp_lt_i16_e32 vcc_lo, 28, v3
	s_cbranch_vccz .LBB432_271
	;; [unrolled: 3-line block ×4, first 2 shown]
; %bb.264:
	v_cmp_eq_u16_e32 vcc_lo, 46, v3
	s_mov_b32 s19, 0
	s_mov_b32 s0, -1
	s_mov_b32 s17, 0
	s_cbranch_vccz .LBB432_284
; %bb.265:
	v_bfe_i32 v4, v2, 0, 16
	s_mov_b32 s17, -1
	s_mov_b32 s0, 0
	s_delay_alu instid0(VALU_DEP_1) | instskip(NEXT) | instid1(VALU_DEP_1)
	v_cvt_f32_i32_e32 v4, v4
	v_bfe_u32 v5, v4, 16, 1
	s_delay_alu instid0(VALU_DEP_1) | instskip(NEXT) | instid1(VALU_DEP_1)
	v_add3_u32 v4, v4, v5, 0x7fff
	v_lshrrev_b32_e32 v4, 16, v4
	global_store_b32 v[0:1], v4, off
	s_branch .LBB432_284
.LBB432_266:
	s_mov_b32 s17, -1
	s_mov_b32 s0, 0
	s_mov_b32 s16, s14
                                        ; implicit-def: $vgpr2
	s_branch .LBB432_419
.LBB432_267:
	s_mov_b32 s19, -1
	s_mov_b32 s17, 0
	s_mov_b32 s0, s12
	s_branch .LBB432_353
.LBB432_268:
	s_mov_b32 s17, -1
	s_mov_b32 s0, 0
	s_mov_b32 s16, s14
                                        ; implicit-def: $vgpr2
	s_branch .LBB432_402
.LBB432_269:
	s_mov_b32 s19, -1
	s_mov_b32 s17, 0
	s_mov_b32 s0, s12
	s_branch .LBB432_311
.LBB432_270:
	s_mov_b32 s17, -1
	s_mov_b32 s0, 0
	s_mov_b32 s16, s14
                                        ; implicit-def: $vgpr2
	s_branch .LBB432_397
.LBB432_271:
	s_mov_b32 s19, -1
	s_mov_b32 s17, 0
	s_mov_b32 s0, s12
	s_branch .LBB432_294
.LBB432_272:
	s_or_saveexec_b32 s18, s18
                                        ; implicit-def: $sgpr19
	s_delay_alu instid0(SALU_CYCLE_1)
	s_xor_b32 exec_lo, exec_lo, s18
	s_cbranch_execz .LBB432_54
.LBB432_273:
	v_add_f32_e64 v5, 0x46000000, |v4|
	s_and_not1_b32 s17, s17, exec_lo
	s_mov_b32 s19, 0
	s_delay_alu instid0(VALU_DEP_1) | instskip(NEXT) | instid1(VALU_DEP_1)
	v_and_b32_e32 v5, 0xff, v5
	v_cmp_ne_u32_e32 vcc_lo, 0, v5
	s_and_b32 s20, vcc_lo, exec_lo
	s_delay_alu instid0(SALU_CYCLE_1)
	s_or_b32 s17, s17, s20
	s_or_b32 exec_lo, exec_lo, s18
	v_mov_b32_e32 v6, s19
	s_and_saveexec_b32 s18, s17
	s_cbranch_execnz .LBB432_55
	s_branch .LBB432_56
.LBB432_274:
	s_mov_b32 s17, -1
	s_mov_b32 s0, 0
	s_mov_b32 s16, s14
	s_branch .LBB432_279
.LBB432_275:
	s_mov_b32 s19, -1
	s_mov_b32 s17, 0
	s_mov_b32 s0, s12
	s_branch .LBB432_290
.LBB432_276:
	s_or_saveexec_b32 s18, s18
                                        ; implicit-def: $sgpr19
	s_delay_alu instid0(SALU_CYCLE_1)
	s_xor_b32 exec_lo, exec_lo, s18
	s_cbranch_execz .LBB432_67
.LBB432_277:
	v_add_f32_e64 v5, 0x42800000, |v4|
	s_and_not1_b32 s17, s17, exec_lo
	s_mov_b32 s19, 0
	s_delay_alu instid0(VALU_DEP_1) | instskip(NEXT) | instid1(VALU_DEP_1)
	v_and_b32_e32 v5, 0xff, v5
	v_cmp_ne_u32_e32 vcc_lo, 0, v5
	s_and_b32 s20, vcc_lo, exec_lo
	s_delay_alu instid0(SALU_CYCLE_1)
	s_or_b32 s17, s17, s20
	s_or_b32 exec_lo, exec_lo, s18
	v_mov_b32_e32 v6, s19
	s_and_saveexec_b32 s18, s17
	s_cbranch_execnz .LBB432_68
	s_branch .LBB432_69
.LBB432_278:
	s_mov_b32 s16, -1
	s_mov_b32 s0, 0
.LBB432_279:
                                        ; implicit-def: $vgpr2
.LBB432_280:
	s_and_b32 vcc_lo, exec_lo, s17
	s_cbranch_vccz .LBB432_396
; %bb.281:
	v_cmp_eq_u16_e32 vcc_lo, 44, v4
	s_cbranch_vccz .LBB432_395
; %bb.282:
	global_load_u8 v2, v[0:1], off
	s_mov_b32 s16, 0
	s_mov_b32 s0, -1
	s_waitcnt vmcnt(0)
	v_lshlrev_b32_e32 v3, 23, v2
	v_cmp_ne_u32_e32 vcc_lo, 0, v2
	s_delay_alu instid0(VALU_DEP_2) | instskip(NEXT) | instid1(VALU_DEP_1)
	v_cvt_i32_f32_e32 v3, v3
	v_cndmask_b32_e32 v2, 0, v3, vcc_lo
	s_branch .LBB432_396
.LBB432_283:
	s_mov_b32 s19, -1
	s_mov_b32 s17, 0
	s_mov_b32 s0, s12
.LBB432_284:
	s_and_b32 vcc_lo, exec_lo, s19
	s_cbranch_vccz .LBB432_289
; %bb.285:
	v_cmp_eq_u16_e32 vcc_lo, 44, v3
	s_mov_b32 s0, -1
	s_cbranch_vccz .LBB432_289
; %bb.286:
	v_bfe_i32 v4, v2, 0, 16
	v_mov_b32_e32 v5, 0xff
	s_mov_b32 s17, exec_lo
	s_delay_alu instid0(VALU_DEP_2) | instskip(NEXT) | instid1(VALU_DEP_1)
	v_cvt_f32_i32_e32 v4, v4
	v_bfe_u32 v6, v4, 23, 8
	s_delay_alu instid0(VALU_DEP_1)
	v_cmpx_ne_u32_e32 0xff, v6
; %bb.287:
	v_and_b32_e32 v5, 0x400000, v4
	v_and_or_b32 v6, 0x3fffff, v4, v6
	v_lshrrev_b32_e32 v4, 23, v4
	s_delay_alu instid0(VALU_DEP_3) | instskip(NEXT) | instid1(VALU_DEP_3)
	v_cmp_ne_u32_e32 vcc_lo, 0, v5
	v_cmp_ne_u32_e64 s0, 0, v6
	s_delay_alu instid0(VALU_DEP_1) | instskip(NEXT) | instid1(SALU_CYCLE_1)
	s_and_b32 s0, vcc_lo, s0
	v_cndmask_b32_e64 v5, 0, 1, s0
	s_delay_alu instid0(VALU_DEP_1)
	v_add_nc_u32_e32 v5, v4, v5
; %bb.288:
	s_or_b32 exec_lo, exec_lo, s17
	s_mov_b32 s17, -1
	s_mov_b32 s0, 0
	global_store_b8 v[0:1], v5, off
.LBB432_289:
	s_mov_b32 s19, 0
.LBB432_290:
	s_delay_alu instid0(SALU_CYCLE_1)
	s_and_b32 vcc_lo, exec_lo, s19
	s_cbranch_vccz .LBB432_293
; %bb.291:
	v_cmp_eq_u16_e32 vcc_lo, 29, v3
	s_mov_b32 s0, -1
	s_cbranch_vccz .LBB432_293
; %bb.292:
	v_bfe_i32 v4, v2, 0, 16
	s_mov_b32 s0, 0
	s_mov_b32 s17, -1
	s_mov_b32 s19, 0
	s_delay_alu instid0(VALU_DEP_1)
	v_ashrrev_i32_e32 v5, 31, v4
	global_store_b64 v[0:1], v[4:5], off
	s_branch .LBB432_294
.LBB432_293:
	s_mov_b32 s19, 0
.LBB432_294:
	s_delay_alu instid0(SALU_CYCLE_1)
	s_and_b32 vcc_lo, exec_lo, s19
	s_cbranch_vccz .LBB432_310
; %bb.295:
	v_cmp_gt_i16_e32 vcc_lo, 27, v3
	s_mov_b32 s17, -1
	s_cbranch_vccnz .LBB432_301
; %bb.296:
	v_cmp_lt_i16_e32 vcc_lo, 27, v3
	s_cbranch_vccz .LBB432_298
; %bb.297:
	v_bfe_i32 v4, v2, 0, 16
	s_mov_b32 s17, 0
	global_store_b32 v[0:1], v4, off
.LBB432_298:
	s_and_not1_b32 vcc_lo, exec_lo, s17
	s_cbranch_vccnz .LBB432_300
; %bb.299:
	global_store_b16 v[0:1], v2, off
.LBB432_300:
	s_mov_b32 s17, 0
.LBB432_301:
	s_delay_alu instid0(SALU_CYCLE_1)
	s_and_not1_b32 vcc_lo, exec_lo, s17
	s_cbranch_vccnz .LBB432_309
; %bb.302:
	v_bfe_i32 v4, v2, 0, 16
	v_mov_b32_e32 v6, 0x80
	s_mov_b32 s17, exec_lo
	s_delay_alu instid0(VALU_DEP_2) | instskip(NEXT) | instid1(VALU_DEP_1)
	v_cvt_f32_i32_e32 v4, v4
	v_and_b32_e32 v5, 0x7fffffff, v4
	s_delay_alu instid0(VALU_DEP_1)
	v_cmpx_gt_u32_e32 0x43800000, v5
	s_cbranch_execz .LBB432_308
; %bb.303:
	v_cmp_lt_u32_e32 vcc_lo, 0x3bffffff, v5
	s_mov_b32 s19, 0
                                        ; implicit-def: $vgpr5
	s_and_saveexec_b32 s20, vcc_lo
	s_delay_alu instid0(SALU_CYCLE_1)
	s_xor_b32 s20, exec_lo, s20
	s_cbranch_execz .LBB432_517
; %bb.304:
	v_bfe_u32 v5, v4, 20, 1
	s_mov_b32 s19, exec_lo
	s_delay_alu instid0(VALU_DEP_1) | instskip(NEXT) | instid1(VALU_DEP_1)
	v_add3_u32 v5, v4, v5, 0x487ffff
	v_lshrrev_b32_e32 v5, 20, v5
	s_or_saveexec_b32 s20, s20
                                        ; implicit-def: $sgpr21
	s_delay_alu instid0(SALU_CYCLE_1)
	s_xor_b32 exec_lo, exec_lo, s20
	s_cbranch_execnz .LBB432_518
.LBB432_305:
	s_or_b32 exec_lo, exec_lo, s20
	v_mov_b32_e32 v6, s21
	s_and_saveexec_b32 s20, s19
.LBB432_306:
	v_lshrrev_b32_e32 v4, 24, v4
	s_delay_alu instid0(VALU_DEP_1)
	v_and_or_b32 v6, 0x80, v4, v5
.LBB432_307:
	s_or_b32 exec_lo, exec_lo, s20
.LBB432_308:
	s_delay_alu instid0(SALU_CYCLE_1)
	s_or_b32 exec_lo, exec_lo, s17
	global_store_b8 v[0:1], v6, off
.LBB432_309:
	s_mov_b32 s17, -1
.LBB432_310:
	s_mov_b32 s19, 0
.LBB432_311:
	s_delay_alu instid0(SALU_CYCLE_1)
	s_and_b32 vcc_lo, exec_lo, s19
	s_cbranch_vccz .LBB432_352
; %bb.312:
	v_cmp_lt_i16_e32 vcc_lo, 22, v3
	s_mov_b32 s19, -1
	s_cbranch_vccz .LBB432_344
; %bb.313:
	v_cmp_gt_i16_e32 vcc_lo, 24, v3
	s_mov_b32 s17, -1
	s_cbranch_vccnz .LBB432_333
; %bb.314:
	v_cmp_lt_i16_e32 vcc_lo, 24, v3
	s_cbranch_vccz .LBB432_322
; %bb.315:
	v_bfe_i32 v4, v2, 0, 16
	v_mov_b32_e32 v6, 0x80
	s_mov_b32 s17, exec_lo
	s_delay_alu instid0(VALU_DEP_2) | instskip(NEXT) | instid1(VALU_DEP_1)
	v_cvt_f32_i32_e32 v4, v4
	v_and_b32_e32 v5, 0x7fffffff, v4
	s_delay_alu instid0(VALU_DEP_1)
	v_cmpx_gt_u32_e32 0x47800000, v5
	s_cbranch_execz .LBB432_321
; %bb.316:
	v_cmp_lt_u32_e32 vcc_lo, 0x37ffffff, v5
	s_mov_b32 s19, 0
                                        ; implicit-def: $vgpr5
	s_and_saveexec_b32 s20, vcc_lo
	s_delay_alu instid0(SALU_CYCLE_1)
	s_xor_b32 s20, exec_lo, s20
	s_cbranch_execz .LBB432_520
; %bb.317:
	v_bfe_u32 v5, v4, 21, 1
	s_mov_b32 s19, exec_lo
	s_delay_alu instid0(VALU_DEP_1) | instskip(NEXT) | instid1(VALU_DEP_1)
	v_add3_u32 v5, v4, v5, 0x88fffff
	v_lshrrev_b32_e32 v5, 21, v5
	s_or_saveexec_b32 s20, s20
                                        ; implicit-def: $sgpr21
	s_delay_alu instid0(SALU_CYCLE_1)
	s_xor_b32 exec_lo, exec_lo, s20
	s_cbranch_execnz .LBB432_521
.LBB432_318:
	s_or_b32 exec_lo, exec_lo, s20
	v_mov_b32_e32 v6, s21
	s_and_saveexec_b32 s20, s19
.LBB432_319:
	v_lshrrev_b32_e32 v4, 24, v4
	s_delay_alu instid0(VALU_DEP_1)
	v_and_or_b32 v6, 0x80, v4, v5
.LBB432_320:
	s_or_b32 exec_lo, exec_lo, s20
.LBB432_321:
	s_delay_alu instid0(SALU_CYCLE_1)
	s_or_b32 exec_lo, exec_lo, s17
	s_mov_b32 s17, 0
	global_store_b8 v[0:1], v6, off
.LBB432_322:
	s_and_b32 vcc_lo, exec_lo, s17
	s_cbranch_vccz .LBB432_332
; %bb.323:
	v_bfe_i32 v4, v2, 0, 16
	s_mov_b32 s17, exec_lo
                                        ; implicit-def: $vgpr5
	s_delay_alu instid0(VALU_DEP_1) | instskip(NEXT) | instid1(VALU_DEP_1)
	v_cvt_f32_i32_e32 v4, v4
	v_and_b32_e32 v6, 0x7fffffff, v4
	s_delay_alu instid0(VALU_DEP_1)
	v_cmpx_gt_u32_e32 0x43f00000, v6
	s_xor_b32 s17, exec_lo, s17
	s_cbranch_execz .LBB432_329
; %bb.324:
	s_mov_b32 s19, exec_lo
                                        ; implicit-def: $vgpr5
	v_cmpx_lt_u32_e32 0x3c7fffff, v6
	s_xor_b32 s19, exec_lo, s19
; %bb.325:
	v_bfe_u32 v5, v4, 20, 1
	s_delay_alu instid0(VALU_DEP_1) | instskip(NEXT) | instid1(VALU_DEP_1)
	v_add3_u32 v5, v4, v5, 0x407ffff
	v_and_b32_e32 v6, 0xff00000, v5
	v_lshrrev_b32_e32 v5, 20, v5
	s_delay_alu instid0(VALU_DEP_2) | instskip(NEXT) | instid1(VALU_DEP_2)
	v_cmp_ne_u32_e32 vcc_lo, 0x7f00000, v6
	v_cndmask_b32_e32 v5, 0x7e, v5, vcc_lo
; %bb.326:
	s_and_not1_saveexec_b32 s19, s19
; %bb.327:
	v_add_f32_e64 v5, 0x46800000, |v4|
; %bb.328:
	s_or_b32 exec_lo, exec_lo, s19
                                        ; implicit-def: $vgpr6
.LBB432_329:
	s_and_not1_saveexec_b32 s17, s17
; %bb.330:
	v_mov_b32_e32 v5, 0x7f
	v_cmp_lt_u32_e32 vcc_lo, 0x7f800000, v6
	s_delay_alu instid0(VALU_DEP_2)
	v_cndmask_b32_e32 v5, 0x7e, v5, vcc_lo
; %bb.331:
	s_or_b32 exec_lo, exec_lo, s17
	v_lshrrev_b32_e32 v4, 24, v4
	s_delay_alu instid0(VALU_DEP_1)
	v_and_or_b32 v4, 0x80, v4, v5
	global_store_b8 v[0:1], v4, off
.LBB432_332:
	s_mov_b32 s17, 0
.LBB432_333:
	s_delay_alu instid0(SALU_CYCLE_1)
	s_and_not1_b32 vcc_lo, exec_lo, s17
	s_cbranch_vccnz .LBB432_343
; %bb.334:
	v_bfe_i32 v4, v2, 0, 16
	s_mov_b32 s17, exec_lo
                                        ; implicit-def: $vgpr5
	s_delay_alu instid0(VALU_DEP_1) | instskip(NEXT) | instid1(VALU_DEP_1)
	v_cvt_f32_i32_e32 v4, v4
	v_and_b32_e32 v6, 0x7fffffff, v4
	s_delay_alu instid0(VALU_DEP_1)
	v_cmpx_gt_u32_e32 0x47800000, v6
	s_xor_b32 s17, exec_lo, s17
	s_cbranch_execz .LBB432_340
; %bb.335:
	s_mov_b32 s19, exec_lo
                                        ; implicit-def: $vgpr5
	v_cmpx_lt_u32_e32 0x387fffff, v6
	s_xor_b32 s19, exec_lo, s19
; %bb.336:
	v_bfe_u32 v5, v4, 21, 1
	s_delay_alu instid0(VALU_DEP_1) | instskip(NEXT) | instid1(VALU_DEP_1)
	v_add3_u32 v5, v4, v5, 0x80fffff
	v_lshrrev_b32_e32 v5, 21, v5
; %bb.337:
	s_and_not1_saveexec_b32 s19, s19
; %bb.338:
	v_add_f32_e64 v5, 0x43000000, |v4|
; %bb.339:
	s_or_b32 exec_lo, exec_lo, s19
                                        ; implicit-def: $vgpr6
.LBB432_340:
	s_and_not1_saveexec_b32 s17, s17
; %bb.341:
	v_mov_b32_e32 v5, 0x7f
	v_cmp_lt_u32_e32 vcc_lo, 0x7f800000, v6
	s_delay_alu instid0(VALU_DEP_2)
	v_cndmask_b32_e32 v5, 0x7c, v5, vcc_lo
; %bb.342:
	s_or_b32 exec_lo, exec_lo, s17
	v_lshrrev_b32_e32 v4, 24, v4
	s_delay_alu instid0(VALU_DEP_1)
	v_and_or_b32 v4, 0x80, v4, v5
	global_store_b8 v[0:1], v4, off
.LBB432_343:
	s_mov_b32 s19, 0
	s_mov_b32 s17, -1
.LBB432_344:
	s_and_not1_b32 vcc_lo, exec_lo, s19
	s_cbranch_vccnz .LBB432_352
; %bb.345:
	v_cmp_lt_i16_e32 vcc_lo, 14, v3
	s_mov_b32 s19, -1
	s_cbranch_vccz .LBB432_349
; %bb.346:
	v_cmp_eq_u16_e32 vcc_lo, 15, v3
	s_mov_b32 s0, -1
	s_cbranch_vccz .LBB432_348
; %bb.347:
	v_bfe_i32 v4, v2, 0, 16
	s_mov_b32 s17, -1
	s_mov_b32 s0, 0
	s_delay_alu instid0(VALU_DEP_1) | instskip(NEXT) | instid1(VALU_DEP_1)
	v_cvt_f32_i32_e32 v4, v4
	v_bfe_u32 v5, v4, 16, 1
	s_delay_alu instid0(VALU_DEP_1)
	v_add3_u32 v4, v4, v5, 0x7fff
	global_store_d16_hi_b16 v[0:1], v4, off
.LBB432_348:
	s_mov_b32 s19, 0
.LBB432_349:
	s_delay_alu instid0(SALU_CYCLE_1)
	s_and_b32 vcc_lo, exec_lo, s19
	s_cbranch_vccz .LBB432_352
; %bb.350:
	v_cmp_eq_u16_e32 vcc_lo, 11, v3
	s_mov_b32 s0, -1
	s_cbranch_vccz .LBB432_352
; %bb.351:
	v_cmp_ne_u16_e32 vcc_lo, 0, v2
	s_mov_b32 s0, 0
	s_mov_b32 s17, -1
	v_cndmask_b32_e64 v4, 0, 1, vcc_lo
	global_store_b8 v[0:1], v4, off
.LBB432_352:
	s_mov_b32 s19, 0
.LBB432_353:
	s_delay_alu instid0(SALU_CYCLE_1)
	s_and_b32 vcc_lo, exec_lo, s19
	s_cbranch_vccz .LBB432_392
; %bb.354:
	v_cmp_gt_i16_e32 vcc_lo, 5, v3
	s_mov_b32 s17, -1
	s_cbranch_vccnz .LBB432_375
; %bb.355:
	v_cmp_gt_i16_e32 vcc_lo, 8, v3
	s_cbranch_vccnz .LBB432_365
; %bb.356:
	v_cmp_gt_i16_e32 vcc_lo, 9, v3
	s_cbranch_vccnz .LBB432_362
; %bb.357:
	v_cmp_lt_i16_e32 vcc_lo, 9, v3
	s_cbranch_vccz .LBB432_359
; %bb.358:
	v_bfe_i32 v4, v2, 0, 16
	v_mov_b32_e32 v6, 0
	s_mov_b32 s17, 0
	s_delay_alu instid0(VALU_DEP_2) | instskip(NEXT) | instid1(VALU_DEP_2)
	v_cvt_f64_i32_e32 v[4:5], v4
	v_mov_b32_e32 v7, v6
	global_store_b128 v[0:1], v[4:7], off
.LBB432_359:
	s_and_not1_b32 vcc_lo, exec_lo, s17
	s_cbranch_vccnz .LBB432_361
; %bb.360:
	v_bfe_i32 v4, v2, 0, 16
	v_mov_b32_e32 v5, 0
	s_delay_alu instid0(VALU_DEP_2)
	v_cvt_f32_i32_e32 v4, v4
	global_store_b64 v[0:1], v[4:5], off
.LBB432_361:
	s_mov_b32 s17, 0
.LBB432_362:
	s_delay_alu instid0(SALU_CYCLE_1)
	s_and_not1_b32 vcc_lo, exec_lo, s17
	s_cbranch_vccnz .LBB432_364
; %bb.363:
	v_cvt_f16_i16_e32 v4, v2
	s_delay_alu instid0(VALU_DEP_1)
	v_and_b32_e32 v4, 0xffff, v4
	global_store_b32 v[0:1], v4, off
.LBB432_364:
	s_mov_b32 s17, 0
.LBB432_365:
	s_delay_alu instid0(SALU_CYCLE_1)
	s_and_not1_b32 vcc_lo, exec_lo, s17
	s_cbranch_vccnz .LBB432_374
; %bb.366:
	v_cmp_gt_i16_e32 vcc_lo, 6, v3
	s_mov_b32 s17, -1
	s_cbranch_vccnz .LBB432_372
; %bb.367:
	v_cmp_lt_i16_e32 vcc_lo, 6, v3
	s_cbranch_vccz .LBB432_369
; %bb.368:
	v_bfe_i32 v4, v2, 0, 16
	s_mov_b32 s17, 0
	s_delay_alu instid0(VALU_DEP_1)
	v_cvt_f64_i32_e32 v[4:5], v4
	global_store_b64 v[0:1], v[4:5], off
.LBB432_369:
	s_and_not1_b32 vcc_lo, exec_lo, s17
	s_cbranch_vccnz .LBB432_371
; %bb.370:
	v_bfe_i32 v4, v2, 0, 16
	s_delay_alu instid0(VALU_DEP_1)
	v_cvt_f32_i32_e32 v4, v4
	global_store_b32 v[0:1], v4, off
.LBB432_371:
	s_mov_b32 s17, 0
.LBB432_372:
	s_delay_alu instid0(SALU_CYCLE_1)
	s_and_not1_b32 vcc_lo, exec_lo, s17
	s_cbranch_vccnz .LBB432_374
; %bb.373:
	v_cvt_f16_i16_e32 v4, v2
	global_store_b16 v[0:1], v4, off
.LBB432_374:
	s_mov_b32 s17, 0
.LBB432_375:
	s_delay_alu instid0(SALU_CYCLE_1)
	s_and_not1_b32 vcc_lo, exec_lo, s17
	s_cbranch_vccnz .LBB432_391
; %bb.376:
	v_cmp_gt_i16_e32 vcc_lo, 2, v3
	s_mov_b32 s17, -1
	s_cbranch_vccnz .LBB432_386
; %bb.377:
	v_cmp_gt_i16_e32 vcc_lo, 3, v3
	s_cbranch_vccnz .LBB432_383
; %bb.378:
	v_cmp_lt_i16_e32 vcc_lo, 3, v3
	s_cbranch_vccz .LBB432_380
; %bb.379:
	v_bfe_i32 v4, v2, 0, 16
	s_mov_b32 s17, 0
	s_delay_alu instid0(VALU_DEP_1)
	v_ashrrev_i32_e32 v5, 31, v4
	global_store_b64 v[0:1], v[4:5], off
.LBB432_380:
	s_and_not1_b32 vcc_lo, exec_lo, s17
	s_cbranch_vccnz .LBB432_382
; %bb.381:
	v_bfe_i32 v4, v2, 0, 16
	global_store_b32 v[0:1], v4, off
.LBB432_382:
	s_mov_b32 s17, 0
.LBB432_383:
	s_delay_alu instid0(SALU_CYCLE_1)
	s_and_not1_b32 vcc_lo, exec_lo, s17
	s_cbranch_vccnz .LBB432_385
; %bb.384:
	global_store_b16 v[0:1], v2, off
.LBB432_385:
	s_mov_b32 s17, 0
.LBB432_386:
	s_delay_alu instid0(SALU_CYCLE_1)
	s_and_not1_b32 vcc_lo, exec_lo, s17
	s_cbranch_vccnz .LBB432_391
; %bb.387:
	v_cmp_lt_i16_e32 vcc_lo, 0, v3
	s_mov_b32 s17, -1
	s_cbranch_vccz .LBB432_389
; %bb.388:
	s_mov_b32 s17, 0
	global_store_b8 v[0:1], v2, off
.LBB432_389:
	s_and_not1_b32 vcc_lo, exec_lo, s17
	s_cbranch_vccnz .LBB432_391
; %bb.390:
	global_store_b8 v[0:1], v2, off
.LBB432_391:
	s_mov_b32 s17, -1
.LBB432_392:
	s_delay_alu instid0(SALU_CYCLE_1)
	s_and_not1_b32 vcc_lo, exec_lo, s17
	s_cbranch_vccnz .LBB432_394
; %bb.393:
	v_add_nc_u32_e32 v9, 0x80, v9
	s_mov_b32 s19, -1
	s_branch .LBB432_503
.LBB432_394:
	s_mov_b32 s19, 0
	s_branch .LBB432_502
.LBB432_395:
	s_mov_b32 s16, -1
                                        ; implicit-def: $vgpr2
.LBB432_396:
	s_mov_b32 s17, 0
.LBB432_397:
	s_delay_alu instid0(SALU_CYCLE_1)
	s_and_b32 vcc_lo, exec_lo, s17
	s_cbranch_vccz .LBB432_401
; %bb.398:
	v_cmp_eq_u16_e32 vcc_lo, 29, v4
	s_cbranch_vccz .LBB432_400
; %bb.399:
	global_load_b64 v[2:3], v[0:1], off
	s_mov_b32 s0, -1
	s_mov_b32 s16, 0
	s_branch .LBB432_401
.LBB432_400:
	s_mov_b32 s16, -1
                                        ; implicit-def: $vgpr2
.LBB432_401:
	s_mov_b32 s17, 0
.LBB432_402:
	s_delay_alu instid0(SALU_CYCLE_1)
	s_and_b32 vcc_lo, exec_lo, s17
	s_cbranch_vccz .LBB432_418
; %bb.403:
	v_cmp_gt_i16_e32 vcc_lo, 27, v4
	s_cbranch_vccnz .LBB432_406
; %bb.404:
	v_cmp_lt_i16_e32 vcc_lo, 27, v4
	s_cbranch_vccz .LBB432_407
; %bb.405:
	global_load_b32 v2, v[0:1], off
	s_mov_b32 s0, 0
	s_branch .LBB432_408
.LBB432_406:
	s_mov_b32 s0, -1
                                        ; implicit-def: $vgpr2
	s_branch .LBB432_411
.LBB432_407:
	s_mov_b32 s0, -1
                                        ; implicit-def: $vgpr2
.LBB432_408:
	s_delay_alu instid0(SALU_CYCLE_1)
	s_and_not1_b32 vcc_lo, exec_lo, s0
	s_cbranch_vccnz .LBB432_410
; %bb.409:
	global_load_u16 v2, v[0:1], off
.LBB432_410:
	s_mov_b32 s0, 0
.LBB432_411:
	s_delay_alu instid0(SALU_CYCLE_1)
	s_and_not1_b32 vcc_lo, exec_lo, s0
	s_cbranch_vccnz .LBB432_417
; %bb.412:
	global_load_u8 v3, v[0:1], off
	s_mov_b32 s0, 0
	s_mov_b32 s17, exec_lo
                                        ; implicit-def: $sgpr19
	s_waitcnt vmcnt(0)
	v_cmpx_lt_i16_e32 0x7f, v3
	s_xor_b32 s17, exec_lo, s17
	s_cbranch_execz .LBB432_429
; %bb.413:
	v_cmp_ne_u16_e32 vcc_lo, 0x80, v3
	s_mov_b32 s19, 0
	s_and_b32 s0, vcc_lo, exec_lo
	s_or_saveexec_b32 s17, s17
	v_mov_b32_e32 v2, s19
	s_xor_b32 exec_lo, exec_lo, s17
	s_cbranch_execnz .LBB432_430
.LBB432_414:
	s_or_b32 exec_lo, exec_lo, s17
	s_and_saveexec_b32 s17, s0
	s_cbranch_execz .LBB432_416
.LBB432_415:
	v_and_b32_e32 v2, 0xffff, v3
	v_lshlrev_b32_e32 v3, 24, v3
	s_delay_alu instid0(VALU_DEP_2) | instskip(NEXT) | instid1(VALU_DEP_2)
	v_and_b32_e32 v5, 7, v2
	v_and_b32_e32 v3, 0x80000000, v3
	s_delay_alu instid0(VALU_DEP_2) | instskip(NEXT) | instid1(VALU_DEP_1)
	v_clz_i32_u32_e32 v6, v5
	v_min_u32_e32 v6, 32, v6
	s_delay_alu instid0(VALU_DEP_1) | instskip(SKIP_1) | instid1(VALU_DEP_2)
	v_subrev_nc_u32_e32 v7, 28, v6
	v_sub_nc_u32_e32 v6, 29, v6
	v_lshlrev_b32_e32 v7, v7, v2
	v_bfe_u32 v2, v2, 3, 4
	s_delay_alu instid0(VALU_DEP_1) | instskip(NEXT) | instid1(VALU_DEP_3)
	v_cmp_eq_u32_e32 vcc_lo, 0, v2
	v_dual_cndmask_b32 v2, v2, v6 :: v_dual_and_b32 v7, 7, v7
	s_delay_alu instid0(VALU_DEP_1) | instskip(NEXT) | instid1(VALU_DEP_2)
	v_cndmask_b32_e32 v5, v5, v7, vcc_lo
	v_lshl_add_u32 v2, v2, 23, 0x3b800000
	s_delay_alu instid0(VALU_DEP_2) | instskip(NEXT) | instid1(VALU_DEP_1)
	v_lshlrev_b32_e32 v5, 20, v5
	v_or3_b32 v2, v3, v2, v5
	s_delay_alu instid0(VALU_DEP_1)
	v_cvt_i32_f32_e32 v2, v2
.LBB432_416:
	s_or_b32 exec_lo, exec_lo, s17
.LBB432_417:
	s_mov_b32 s0, -1
.LBB432_418:
	s_mov_b32 s17, 0
.LBB432_419:
	s_delay_alu instid0(SALU_CYCLE_1)
	s_and_b32 vcc_lo, exec_lo, s17
	s_cbranch_vccz .LBB432_452
; %bb.420:
	v_cmp_lt_i16_e32 vcc_lo, 22, v4
	s_cbranch_vccz .LBB432_428
; %bb.421:
	v_cmp_gt_i16_e32 vcc_lo, 24, v4
	s_cbranch_vccnz .LBB432_431
; %bb.422:
	v_cmp_lt_i16_e32 vcc_lo, 24, v4
	s_cbranch_vccz .LBB432_432
; %bb.423:
	global_load_u8 v3, v[0:1], off
	s_mov_b32 s0, 0
	s_mov_b32 s17, exec_lo
                                        ; implicit-def: $sgpr19
	s_waitcnt vmcnt(0)
	v_cmpx_lt_i16_e32 0x7f, v3
	s_xor_b32 s17, exec_lo, s17
	s_cbranch_execz .LBB432_444
; %bb.424:
	v_cmp_ne_u16_e32 vcc_lo, 0x80, v3
	s_mov_b32 s19, 0
	s_and_b32 s0, vcc_lo, exec_lo
	s_or_saveexec_b32 s17, s17
	v_mov_b32_e32 v2, s19
	s_xor_b32 exec_lo, exec_lo, s17
	s_cbranch_execnz .LBB432_445
.LBB432_425:
	s_or_b32 exec_lo, exec_lo, s17
	s_and_saveexec_b32 s17, s0
	s_cbranch_execz .LBB432_427
.LBB432_426:
	v_and_b32_e32 v2, 0xffff, v3
	v_lshlrev_b32_e32 v3, 24, v3
	s_delay_alu instid0(VALU_DEP_2) | instskip(NEXT) | instid1(VALU_DEP_2)
	v_and_b32_e32 v5, 3, v2
	v_and_b32_e32 v3, 0x80000000, v3
	s_delay_alu instid0(VALU_DEP_2) | instskip(NEXT) | instid1(VALU_DEP_1)
	v_clz_i32_u32_e32 v6, v5
	v_min_u32_e32 v6, 32, v6
	s_delay_alu instid0(VALU_DEP_1) | instskip(SKIP_1) | instid1(VALU_DEP_2)
	v_subrev_nc_u32_e32 v7, 29, v6
	v_sub_nc_u32_e32 v6, 30, v6
	v_lshlrev_b32_e32 v7, v7, v2
	v_bfe_u32 v2, v2, 2, 5
	s_delay_alu instid0(VALU_DEP_1) | instskip(NEXT) | instid1(VALU_DEP_3)
	v_cmp_eq_u32_e32 vcc_lo, 0, v2
	v_dual_cndmask_b32 v2, v2, v6 :: v_dual_and_b32 v7, 3, v7
	s_delay_alu instid0(VALU_DEP_1) | instskip(NEXT) | instid1(VALU_DEP_2)
	v_cndmask_b32_e32 v5, v5, v7, vcc_lo
	v_lshl_add_u32 v2, v2, 23, 0x37800000
	s_delay_alu instid0(VALU_DEP_2) | instskip(NEXT) | instid1(VALU_DEP_1)
	v_lshlrev_b32_e32 v5, 21, v5
	v_or3_b32 v2, v3, v2, v5
	s_delay_alu instid0(VALU_DEP_1)
	v_cvt_i32_f32_e32 v2, v2
.LBB432_427:
	s_or_b32 exec_lo, exec_lo, s17
	s_mov_b32 s0, 0
	s_branch .LBB432_433
.LBB432_428:
	s_mov_b32 s17, -1
                                        ; implicit-def: $vgpr2
	s_branch .LBB432_439
.LBB432_429:
	s_or_saveexec_b32 s17, s17
	v_mov_b32_e32 v2, s19
	s_xor_b32 exec_lo, exec_lo, s17
	s_cbranch_execz .LBB432_414
.LBB432_430:
	v_cmp_ne_u16_e32 vcc_lo, 0, v3
	v_mov_b32_e32 v2, 0
	s_and_not1_b32 s0, s0, exec_lo
	s_and_b32 s19, vcc_lo, exec_lo
	s_delay_alu instid0(SALU_CYCLE_1)
	s_or_b32 s0, s0, s19
	s_or_b32 exec_lo, exec_lo, s17
	s_and_saveexec_b32 s17, s0
	s_cbranch_execnz .LBB432_415
	s_branch .LBB432_416
.LBB432_431:
	s_mov_b32 s0, -1
                                        ; implicit-def: $vgpr2
	s_branch .LBB432_436
.LBB432_432:
	s_mov_b32 s0, -1
                                        ; implicit-def: $vgpr2
.LBB432_433:
	s_delay_alu instid0(SALU_CYCLE_1)
	s_and_b32 vcc_lo, exec_lo, s0
	s_cbranch_vccz .LBB432_435
; %bb.434:
	global_load_u8 v2, v[0:1], off
	s_waitcnt vmcnt(0)
	v_lshlrev_b32_e32 v2, 24, v2
	s_delay_alu instid0(VALU_DEP_1) | instskip(NEXT) | instid1(VALU_DEP_1)
	v_and_b32_e32 v3, 0x7f000000, v2
	v_clz_i32_u32_e32 v5, v3
	v_add_nc_u32_e32 v7, 0x1000000, v3
	v_cmp_ne_u32_e32 vcc_lo, 0, v3
	s_delay_alu instid0(VALU_DEP_3) | instskip(NEXT) | instid1(VALU_DEP_1)
	v_min_u32_e32 v5, 32, v5
	v_sub_nc_u32_e64 v5, v5, 4 clamp
	s_delay_alu instid0(VALU_DEP_1) | instskip(SKIP_1) | instid1(VALU_DEP_2)
	v_lshlrev_b32_e32 v6, v5, v3
	v_lshlrev_b32_e32 v5, 23, v5
	v_lshrrev_b32_e32 v6, 4, v6
	s_delay_alu instid0(VALU_DEP_1) | instskip(SKIP_1) | instid1(VALU_DEP_2)
	v_sub_nc_u32_e32 v5, v6, v5
	v_ashrrev_i32_e32 v6, 8, v7
	v_add_nc_u32_e32 v5, 0x3c000000, v5
	s_delay_alu instid0(VALU_DEP_1) | instskip(NEXT) | instid1(VALU_DEP_1)
	v_and_or_b32 v5, 0x7f800000, v6, v5
	v_cndmask_b32_e32 v3, 0, v5, vcc_lo
	s_delay_alu instid0(VALU_DEP_1) | instskip(NEXT) | instid1(VALU_DEP_1)
	v_and_or_b32 v2, 0x80000000, v2, v3
	v_cvt_i32_f32_e32 v2, v2
.LBB432_435:
	s_mov_b32 s0, 0
.LBB432_436:
	s_delay_alu instid0(SALU_CYCLE_1)
	s_and_not1_b32 vcc_lo, exec_lo, s0
	s_cbranch_vccnz .LBB432_438
; %bb.437:
	global_load_u8 v2, v[0:1], off
	s_waitcnt vmcnt(0)
	v_lshlrev_b32_e32 v3, 25, v2
	v_lshlrev_b16 v2, 8, v2
	s_delay_alu instid0(VALU_DEP_2) | instskip(NEXT) | instid1(VALU_DEP_2)
	v_lshrrev_b32_e32 v5, 4, v3
	v_and_or_b32 v6, 0x7f00, v2, 0.5
	v_cmp_gt_u32_e32 vcc_lo, 0x8000000, v3
	v_bfe_i32 v2, v2, 0, 16
	s_delay_alu instid0(VALU_DEP_4) | instskip(NEXT) | instid1(VALU_DEP_1)
	v_or_b32_e32 v5, 0x70000000, v5
	v_dual_add_f32 v6, -0.5, v6 :: v_dual_mul_f32 v5, 0x7800000, v5
	s_delay_alu instid0(VALU_DEP_1) | instskip(NEXT) | instid1(VALU_DEP_1)
	v_cndmask_b32_e32 v3, v5, v6, vcc_lo
	v_and_or_b32 v2, 0x80000000, v2, v3
	s_delay_alu instid0(VALU_DEP_1)
	v_cvt_i32_f32_e32 v2, v2
.LBB432_438:
	s_mov_b32 s17, 0
	s_mov_b32 s0, -1
.LBB432_439:
	s_and_not1_b32 vcc_lo, exec_lo, s17
	s_cbranch_vccnz .LBB432_452
; %bb.440:
	v_cmp_lt_i16_e32 vcc_lo, 14, v4
	s_cbranch_vccz .LBB432_443
; %bb.441:
	v_cmp_eq_u16_e32 vcc_lo, 15, v4
	s_cbranch_vccz .LBB432_446
; %bb.442:
	global_load_u16 v2, v[0:1], off
	s_mov_b32 s0, -1
	s_mov_b32 s16, 0
	s_waitcnt vmcnt(0)
	v_lshlrev_b32_e32 v2, 16, v2
	s_delay_alu instid0(VALU_DEP_1)
	v_cvt_i32_f32_e32 v2, v2
	s_branch .LBB432_447
.LBB432_443:
	s_mov_b32 s17, -1
                                        ; implicit-def: $vgpr2
	s_branch .LBB432_448
.LBB432_444:
	s_or_saveexec_b32 s17, s17
	v_mov_b32_e32 v2, s19
	s_xor_b32 exec_lo, exec_lo, s17
	s_cbranch_execz .LBB432_425
.LBB432_445:
	v_cmp_ne_u16_e32 vcc_lo, 0, v3
	v_mov_b32_e32 v2, 0
	s_and_not1_b32 s0, s0, exec_lo
	s_and_b32 s19, vcc_lo, exec_lo
	s_delay_alu instid0(SALU_CYCLE_1)
	s_or_b32 s0, s0, s19
	s_or_b32 exec_lo, exec_lo, s17
	s_and_saveexec_b32 s17, s0
	s_cbranch_execnz .LBB432_426
	s_branch .LBB432_427
.LBB432_446:
	s_mov_b32 s16, -1
                                        ; implicit-def: $vgpr2
.LBB432_447:
	s_mov_b32 s17, 0
.LBB432_448:
	s_delay_alu instid0(SALU_CYCLE_1)
	s_and_b32 vcc_lo, exec_lo, s17
	s_cbranch_vccz .LBB432_452
; %bb.449:
	v_cmp_eq_u16_e32 vcc_lo, 11, v4
	s_cbranch_vccz .LBB432_451
; %bb.450:
	global_load_u8 v2, v[0:1], off
	s_mov_b32 s16, 0
	s_mov_b32 s0, -1
	s_waitcnt vmcnt(0)
	v_cmp_ne_u16_e32 vcc_lo, 0, v2
	v_cndmask_b32_e64 v2, 0, 1, vcc_lo
	s_branch .LBB432_452
.LBB432_451:
	s_mov_b32 s16, -1
                                        ; implicit-def: $vgpr2
.LBB432_452:
	s_branch .LBB432_258
.LBB432_453:
	v_cmp_gt_i16_e32 vcc_lo, 5, v4
	s_cbranch_vccnz .LBB432_458
; %bb.454:
	v_cmp_gt_i16_e32 vcc_lo, 8, v4
	s_cbranch_vccnz .LBB432_459
; %bb.455:
	;; [unrolled: 3-line block ×3, first 2 shown]
	v_cmp_lt_i16_e32 vcc_lo, 9, v4
	s_cbranch_vccz .LBB432_461
; %bb.457:
	global_load_b64 v[2:3], v[0:1], off
	s_mov_b32 s0, 0
	s_waitcnt vmcnt(0)
	v_cvt_i32_f64_e32 v2, v[2:3]
	s_branch .LBB432_462
.LBB432_458:
	s_mov_b32 s0, -1
                                        ; implicit-def: $vgpr2
	s_branch .LBB432_480
.LBB432_459:
	s_mov_b32 s0, -1
                                        ; implicit-def: $vgpr2
	s_branch .LBB432_468
.LBB432_460:
	s_mov_b32 s0, -1
                                        ; implicit-def: $vgpr2
	s_branch .LBB432_465
.LBB432_461:
	s_mov_b32 s0, -1
                                        ; implicit-def: $vgpr2
.LBB432_462:
	s_delay_alu instid0(SALU_CYCLE_1)
	s_and_not1_b32 vcc_lo, exec_lo, s0
	s_cbranch_vccnz .LBB432_464
; %bb.463:
	global_load_b32 v2, v[0:1], off
	s_waitcnt vmcnt(0)
	v_cvt_i32_f32_e32 v2, v2
.LBB432_464:
	s_mov_b32 s0, 0
.LBB432_465:
	s_delay_alu instid0(SALU_CYCLE_1)
	s_and_not1_b32 vcc_lo, exec_lo, s0
	s_cbranch_vccnz .LBB432_467
; %bb.466:
	global_load_b32 v2, v[0:1], off
	s_waitcnt vmcnt(0)
	v_cvt_i16_f16_e32 v2, v2
.LBB432_467:
	s_mov_b32 s0, 0
.LBB432_468:
	s_delay_alu instid0(SALU_CYCLE_1)
	s_and_not1_b32 vcc_lo, exec_lo, s0
	s_cbranch_vccnz .LBB432_479
; %bb.469:
	v_cmp_gt_i16_e32 vcc_lo, 6, v4
	s_cbranch_vccnz .LBB432_472
; %bb.470:
	v_cmp_lt_i16_e32 vcc_lo, 6, v4
	s_cbranch_vccz .LBB432_473
; %bb.471:
	global_load_b64 v[2:3], v[0:1], off
	s_mov_b32 s0, 0
	s_waitcnt vmcnt(0)
	v_cvt_i32_f64_e32 v2, v[2:3]
	s_branch .LBB432_474
.LBB432_472:
	s_mov_b32 s0, -1
                                        ; implicit-def: $vgpr2
	s_branch .LBB432_477
.LBB432_473:
	s_mov_b32 s0, -1
                                        ; implicit-def: $vgpr2
.LBB432_474:
	s_delay_alu instid0(SALU_CYCLE_1)
	s_and_not1_b32 vcc_lo, exec_lo, s0
	s_cbranch_vccnz .LBB432_476
; %bb.475:
	global_load_b32 v2, v[0:1], off
	s_waitcnt vmcnt(0)
	v_cvt_i32_f32_e32 v2, v2
.LBB432_476:
	s_mov_b32 s0, 0
.LBB432_477:
	s_delay_alu instid0(SALU_CYCLE_1)
	s_and_not1_b32 vcc_lo, exec_lo, s0
	s_cbranch_vccnz .LBB432_479
; %bb.478:
	global_load_u16 v2, v[0:1], off
	s_waitcnt vmcnt(0)
	v_cvt_i16_f16_e32 v2, v2
.LBB432_479:
	s_mov_b32 s0, 0
.LBB432_480:
	s_delay_alu instid0(SALU_CYCLE_1)
	s_and_not1_b32 vcc_lo, exec_lo, s0
	s_cbranch_vccnz .LBB432_500
; %bb.481:
	v_cmp_gt_i16_e32 vcc_lo, 2, v4
	s_cbranch_vccnz .LBB432_485
; %bb.482:
	v_cmp_gt_i16_e32 vcc_lo, 3, v4
	s_cbranch_vccnz .LBB432_486
; %bb.483:
	v_cmp_lt_i16_e32 vcc_lo, 3, v4
	s_cbranch_vccz .LBB432_487
; %bb.484:
	global_load_b64 v[2:3], v[0:1], off
	s_mov_b32 s0, 0
	s_branch .LBB432_488
.LBB432_485:
	s_mov_b32 s0, -1
                                        ; implicit-def: $vgpr2
	s_branch .LBB432_494
.LBB432_486:
	s_mov_b32 s0, -1
                                        ; implicit-def: $vgpr2
	s_branch .LBB432_491
.LBB432_487:
	s_mov_b32 s0, -1
                                        ; implicit-def: $vgpr2
.LBB432_488:
	s_delay_alu instid0(SALU_CYCLE_1)
	s_and_not1_b32 vcc_lo, exec_lo, s0
	s_cbranch_vccnz .LBB432_490
; %bb.489:
	global_load_b32 v2, v[0:1], off
.LBB432_490:
	s_mov_b32 s0, 0
.LBB432_491:
	s_delay_alu instid0(SALU_CYCLE_1)
	s_and_not1_b32 vcc_lo, exec_lo, s0
	s_cbranch_vccnz .LBB432_493
; %bb.492:
	global_load_u16 v2, v[0:1], off
.LBB432_493:
	s_mov_b32 s0, 0
.LBB432_494:
	s_delay_alu instid0(SALU_CYCLE_1)
	s_and_not1_b32 vcc_lo, exec_lo, s0
	s_cbranch_vccnz .LBB432_500
; %bb.495:
	v_cmp_lt_i16_e32 vcc_lo, 0, v4
	s_mov_b32 s0, 0
	s_cbranch_vccz .LBB432_497
; %bb.496:
	global_load_u8 v2, v[0:1], off
	s_branch .LBB432_498
.LBB432_497:
	s_mov_b32 s0, -1
                                        ; implicit-def: $vgpr2
.LBB432_498:
	s_delay_alu instid0(SALU_CYCLE_1)
	s_and_not1_b32 vcc_lo, exec_lo, s0
	s_cbranch_vccnz .LBB432_500
; %bb.499:
	global_load_u8 v2, v[0:1], off
.LBB432_500:
	s_branch .LBB432_259
.LBB432_501:
	s_mov_b32 s19, 0
	s_mov_b32 s0, s12
.LBB432_502:
                                        ; implicit-def: $vgpr9
.LBB432_503:
	s_and_not1_b32 s17, s12, exec_lo
	s_and_b32 s0, s0, exec_lo
	s_and_not1_b32 s20, s14, exec_lo
	s_and_b32 s16, s16, exec_lo
	s_or_b32 s17, s17, s0
	s_or_b32 s16, s20, s16
	s_or_not1_b32 s20, s19, exec_lo
.LBB432_504:
	s_or_b32 exec_lo, exec_lo, s18
	s_mov_b32 s19, 0
	s_mov_b32 s21, 0
	;; [unrolled: 1-line block ×3, first 2 shown]
                                        ; implicit-def: $vgpr4
                                        ; implicit-def: $vgpr0_vgpr1
                                        ; implicit-def: $vgpr2
	s_and_saveexec_b32 s18, s20
	s_cbranch_execz .LBB432_843
; %bb.505:
	s_mov_b32 s0, -1
	s_mov_b32 s20, s16
	s_mov_b32 s21, s17
	s_mov_b32 s19, exec_lo
	v_cmpx_gt_i32_e64 s13, v9
	s_cbranch_execz .LBB432_761
; %bb.506:
	v_mul_lo_u32 v0, v9, s3
	v_and_b32_e64 v4, 0xff, s10
	s_delay_alu instid0(VALU_DEP_1) | instskip(NEXT) | instid1(VALU_DEP_3)
	v_cmp_gt_i16_e32 vcc_lo, 11, v4
	v_ashrrev_i32_e32 v1, 31, v0
	v_add_co_u32 v0, s0, s6, v0
	s_delay_alu instid0(VALU_DEP_1)
	v_add_co_ci_u32_e64 v1, s0, s7, v1, s0
	s_cbranch_vccnz .LBB432_513
; %bb.507:
	v_cmp_lt_i16_e32 vcc_lo, 25, v4
	s_cbranch_vccz .LBB432_514
; %bb.508:
	v_cmp_lt_i16_e32 vcc_lo, 28, v4
	s_cbranch_vccz .LBB432_515
; %bb.509:
	v_cmp_lt_i16_e32 vcc_lo, 43, v4
	s_cbranch_vccz .LBB432_516
; %bb.510:
	v_cmp_lt_i16_e32 vcc_lo, 45, v4
	s_cbranch_vccz .LBB432_519
; %bb.511:
	v_cmp_eq_u16_e32 vcc_lo, 46, v4
	s_mov_b32 s21, 0
	s_cbranch_vccz .LBB432_522
; %bb.512:
	global_load_b32 v2, v[0:1], off
	s_mov_b32 s0, -1
	s_mov_b32 s20, 0
	s_waitcnt vmcnt(0)
	v_lshlrev_b32_e32 v2, 16, v2
	s_delay_alu instid0(VALU_DEP_1)
	v_cvt_i32_f32_e32 v2, v2
	s_branch .LBB432_524
.LBB432_513:
	s_mov_b32 s21, -1
	s_mov_b32 s0, 0
	s_mov_b32 s20, s16
                                        ; implicit-def: $vgpr2
	s_branch .LBB432_585
.LBB432_514:
	s_mov_b32 s21, -1
	s_mov_b32 s0, 0
	s_mov_b32 s20, s16
                                        ; implicit-def: $vgpr2
	s_branch .LBB432_551
.LBB432_515:
	s_mov_b32 s21, -1
	s_mov_b32 s0, 0
	s_mov_b32 s20, s16
                                        ; implicit-def: $vgpr2
	s_branch .LBB432_534
.LBB432_516:
	s_mov_b32 s21, -1
	s_mov_b32 s0, 0
	s_mov_b32 s20, s16
                                        ; implicit-def: $vgpr2
	s_branch .LBB432_529
.LBB432_517:
	s_or_saveexec_b32 s20, s20
                                        ; implicit-def: $sgpr21
	s_delay_alu instid0(SALU_CYCLE_1)
	s_xor_b32 exec_lo, exec_lo, s20
	s_cbranch_execz .LBB432_305
.LBB432_518:
	v_add_f32_e64 v5, 0x46000000, |v4|
	s_and_not1_b32 s19, s19, exec_lo
	s_mov_b32 s21, 0
	s_delay_alu instid0(VALU_DEP_1) | instskip(NEXT) | instid1(VALU_DEP_1)
	v_and_b32_e32 v5, 0xff, v5
	v_cmp_ne_u32_e32 vcc_lo, 0, v5
	s_and_b32 s22, vcc_lo, exec_lo
	s_delay_alu instid0(SALU_CYCLE_1)
	s_or_b32 s19, s19, s22
	s_or_b32 exec_lo, exec_lo, s20
	v_mov_b32_e32 v6, s21
	s_and_saveexec_b32 s20, s19
	s_cbranch_execnz .LBB432_306
	s_branch .LBB432_307
.LBB432_519:
	s_mov_b32 s21, -1
	s_mov_b32 s0, 0
	s_mov_b32 s20, s16
	s_branch .LBB432_523
.LBB432_520:
	s_or_saveexec_b32 s20, s20
                                        ; implicit-def: $sgpr21
	s_delay_alu instid0(SALU_CYCLE_1)
	s_xor_b32 exec_lo, exec_lo, s20
	s_cbranch_execz .LBB432_318
.LBB432_521:
	v_add_f32_e64 v5, 0x42800000, |v4|
	s_and_not1_b32 s19, s19, exec_lo
	s_mov_b32 s21, 0
	s_delay_alu instid0(VALU_DEP_1) | instskip(NEXT) | instid1(VALU_DEP_1)
	v_and_b32_e32 v5, 0xff, v5
	v_cmp_ne_u32_e32 vcc_lo, 0, v5
	s_and_b32 s22, vcc_lo, exec_lo
	s_delay_alu instid0(SALU_CYCLE_1)
	s_or_b32 s19, s19, s22
	s_or_b32 exec_lo, exec_lo, s20
	v_mov_b32_e32 v6, s21
	s_and_saveexec_b32 s20, s19
	s_cbranch_execnz .LBB432_319
	s_branch .LBB432_320
.LBB432_522:
	s_mov_b32 s20, -1
	s_mov_b32 s0, 0
.LBB432_523:
                                        ; implicit-def: $vgpr2
.LBB432_524:
	s_and_b32 vcc_lo, exec_lo, s21
	s_cbranch_vccz .LBB432_528
; %bb.525:
	v_cmp_eq_u16_e32 vcc_lo, 44, v4
	s_cbranch_vccz .LBB432_527
; %bb.526:
	global_load_u8 v2, v[0:1], off
	s_mov_b32 s20, 0
	s_mov_b32 s0, -1
	s_waitcnt vmcnt(0)
	v_lshlrev_b32_e32 v3, 23, v2
	v_cmp_ne_u32_e32 vcc_lo, 0, v2
	s_delay_alu instid0(VALU_DEP_2) | instskip(NEXT) | instid1(VALU_DEP_1)
	v_cvt_i32_f32_e32 v3, v3
	v_cndmask_b32_e32 v2, 0, v3, vcc_lo
	s_branch .LBB432_528
.LBB432_527:
	s_mov_b32 s20, -1
                                        ; implicit-def: $vgpr2
.LBB432_528:
	s_mov_b32 s21, 0
.LBB432_529:
	s_delay_alu instid0(SALU_CYCLE_1)
	s_and_b32 vcc_lo, exec_lo, s21
	s_cbranch_vccz .LBB432_533
; %bb.530:
	v_cmp_eq_u16_e32 vcc_lo, 29, v4
	s_cbranch_vccz .LBB432_532
; %bb.531:
	global_load_b64 v[2:3], v[0:1], off
	s_mov_b32 s0, -1
	s_mov_b32 s20, 0
	s_branch .LBB432_533
.LBB432_532:
	s_mov_b32 s20, -1
                                        ; implicit-def: $vgpr2
.LBB432_533:
	s_mov_b32 s21, 0
.LBB432_534:
	s_delay_alu instid0(SALU_CYCLE_1)
	s_and_b32 vcc_lo, exec_lo, s21
	s_cbranch_vccz .LBB432_550
; %bb.535:
	v_cmp_gt_i16_e32 vcc_lo, 27, v4
	s_cbranch_vccnz .LBB432_538
; %bb.536:
	v_cmp_lt_i16_e32 vcc_lo, 27, v4
	s_cbranch_vccz .LBB432_539
; %bb.537:
	global_load_b32 v2, v[0:1], off
	s_mov_b32 s0, 0
	s_branch .LBB432_540
.LBB432_538:
	s_mov_b32 s0, -1
                                        ; implicit-def: $vgpr2
	s_branch .LBB432_543
.LBB432_539:
	s_mov_b32 s0, -1
                                        ; implicit-def: $vgpr2
.LBB432_540:
	s_delay_alu instid0(SALU_CYCLE_1)
	s_and_not1_b32 vcc_lo, exec_lo, s0
	s_cbranch_vccnz .LBB432_542
; %bb.541:
	global_load_u16 v2, v[0:1], off
.LBB432_542:
	s_mov_b32 s0, 0
.LBB432_543:
	s_delay_alu instid0(SALU_CYCLE_1)
	s_and_not1_b32 vcc_lo, exec_lo, s0
	s_cbranch_vccnz .LBB432_549
; %bb.544:
	global_load_u8 v3, v[0:1], off
	s_mov_b32 s0, 0
	s_mov_b32 s21, exec_lo
                                        ; implicit-def: $sgpr22
	s_waitcnt vmcnt(0)
	v_cmpx_lt_i16_e32 0x7f, v3
	s_xor_b32 s21, exec_lo, s21
	s_cbranch_execz .LBB432_561
; %bb.545:
	v_cmp_ne_u16_e32 vcc_lo, 0x80, v3
	s_mov_b32 s22, 0
	s_and_b32 s0, vcc_lo, exec_lo
	s_or_saveexec_b32 s21, s21
	v_mov_b32_e32 v2, s22
	s_xor_b32 exec_lo, exec_lo, s21
	s_cbranch_execnz .LBB432_562
.LBB432_546:
	s_or_b32 exec_lo, exec_lo, s21
	s_and_saveexec_b32 s21, s0
	s_cbranch_execz .LBB432_548
.LBB432_547:
	v_and_b32_e32 v2, 0xffff, v3
	v_lshlrev_b32_e32 v3, 24, v3
	s_delay_alu instid0(VALU_DEP_2) | instskip(NEXT) | instid1(VALU_DEP_2)
	v_and_b32_e32 v5, 7, v2
	v_and_b32_e32 v3, 0x80000000, v3
	s_delay_alu instid0(VALU_DEP_2) | instskip(NEXT) | instid1(VALU_DEP_1)
	v_clz_i32_u32_e32 v6, v5
	v_min_u32_e32 v6, 32, v6
	s_delay_alu instid0(VALU_DEP_1) | instskip(SKIP_1) | instid1(VALU_DEP_2)
	v_subrev_nc_u32_e32 v7, 28, v6
	v_sub_nc_u32_e32 v6, 29, v6
	v_lshlrev_b32_e32 v7, v7, v2
	v_bfe_u32 v2, v2, 3, 4
	s_delay_alu instid0(VALU_DEP_1) | instskip(NEXT) | instid1(VALU_DEP_3)
	v_cmp_eq_u32_e32 vcc_lo, 0, v2
	v_dual_cndmask_b32 v2, v2, v6 :: v_dual_and_b32 v7, 7, v7
	s_delay_alu instid0(VALU_DEP_1) | instskip(NEXT) | instid1(VALU_DEP_2)
	v_cndmask_b32_e32 v5, v5, v7, vcc_lo
	v_lshl_add_u32 v2, v2, 23, 0x3b800000
	s_delay_alu instid0(VALU_DEP_2) | instskip(NEXT) | instid1(VALU_DEP_1)
	v_lshlrev_b32_e32 v5, 20, v5
	v_or3_b32 v2, v3, v2, v5
	s_delay_alu instid0(VALU_DEP_1)
	v_cvt_i32_f32_e32 v2, v2
.LBB432_548:
	s_or_b32 exec_lo, exec_lo, s21
.LBB432_549:
	s_mov_b32 s0, -1
.LBB432_550:
	s_mov_b32 s21, 0
.LBB432_551:
	s_delay_alu instid0(SALU_CYCLE_1)
	s_and_b32 vcc_lo, exec_lo, s21
	s_cbranch_vccz .LBB432_584
; %bb.552:
	v_cmp_lt_i16_e32 vcc_lo, 22, v4
	s_cbranch_vccz .LBB432_560
; %bb.553:
	v_cmp_gt_i16_e32 vcc_lo, 24, v4
	s_cbranch_vccnz .LBB432_563
; %bb.554:
	v_cmp_lt_i16_e32 vcc_lo, 24, v4
	s_cbranch_vccz .LBB432_564
; %bb.555:
	global_load_u8 v3, v[0:1], off
	s_mov_b32 s0, 0
	s_mov_b32 s21, exec_lo
                                        ; implicit-def: $sgpr22
	s_waitcnt vmcnt(0)
	v_cmpx_lt_i16_e32 0x7f, v3
	s_xor_b32 s21, exec_lo, s21
	s_cbranch_execz .LBB432_576
; %bb.556:
	v_cmp_ne_u16_e32 vcc_lo, 0x80, v3
	s_mov_b32 s22, 0
	s_and_b32 s0, vcc_lo, exec_lo
	s_or_saveexec_b32 s21, s21
	v_mov_b32_e32 v2, s22
	s_xor_b32 exec_lo, exec_lo, s21
	s_cbranch_execnz .LBB432_577
.LBB432_557:
	s_or_b32 exec_lo, exec_lo, s21
	s_and_saveexec_b32 s21, s0
	s_cbranch_execz .LBB432_559
.LBB432_558:
	v_and_b32_e32 v2, 0xffff, v3
	v_lshlrev_b32_e32 v3, 24, v3
	s_delay_alu instid0(VALU_DEP_2) | instskip(NEXT) | instid1(VALU_DEP_2)
	v_and_b32_e32 v5, 3, v2
	v_and_b32_e32 v3, 0x80000000, v3
	s_delay_alu instid0(VALU_DEP_2) | instskip(NEXT) | instid1(VALU_DEP_1)
	v_clz_i32_u32_e32 v6, v5
	v_min_u32_e32 v6, 32, v6
	s_delay_alu instid0(VALU_DEP_1) | instskip(SKIP_1) | instid1(VALU_DEP_2)
	v_subrev_nc_u32_e32 v7, 29, v6
	v_sub_nc_u32_e32 v6, 30, v6
	v_lshlrev_b32_e32 v7, v7, v2
	v_bfe_u32 v2, v2, 2, 5
	s_delay_alu instid0(VALU_DEP_1) | instskip(NEXT) | instid1(VALU_DEP_3)
	v_cmp_eq_u32_e32 vcc_lo, 0, v2
	v_dual_cndmask_b32 v2, v2, v6 :: v_dual_and_b32 v7, 3, v7
	s_delay_alu instid0(VALU_DEP_1) | instskip(NEXT) | instid1(VALU_DEP_2)
	v_cndmask_b32_e32 v5, v5, v7, vcc_lo
	v_lshl_add_u32 v2, v2, 23, 0x37800000
	s_delay_alu instid0(VALU_DEP_2) | instskip(NEXT) | instid1(VALU_DEP_1)
	v_lshlrev_b32_e32 v5, 21, v5
	v_or3_b32 v2, v3, v2, v5
	s_delay_alu instid0(VALU_DEP_1)
	v_cvt_i32_f32_e32 v2, v2
.LBB432_559:
	s_or_b32 exec_lo, exec_lo, s21
	s_mov_b32 s0, 0
	s_branch .LBB432_565
.LBB432_560:
	s_mov_b32 s21, -1
                                        ; implicit-def: $vgpr2
	s_branch .LBB432_571
.LBB432_561:
	s_or_saveexec_b32 s21, s21
	v_mov_b32_e32 v2, s22
	s_xor_b32 exec_lo, exec_lo, s21
	s_cbranch_execz .LBB432_546
.LBB432_562:
	v_cmp_ne_u16_e32 vcc_lo, 0, v3
	v_mov_b32_e32 v2, 0
	s_and_not1_b32 s0, s0, exec_lo
	s_and_b32 s22, vcc_lo, exec_lo
	s_delay_alu instid0(SALU_CYCLE_1)
	s_or_b32 s0, s0, s22
	s_or_b32 exec_lo, exec_lo, s21
	s_and_saveexec_b32 s21, s0
	s_cbranch_execnz .LBB432_547
	s_branch .LBB432_548
.LBB432_563:
	s_mov_b32 s0, -1
                                        ; implicit-def: $vgpr2
	s_branch .LBB432_568
.LBB432_564:
	s_mov_b32 s0, -1
                                        ; implicit-def: $vgpr2
.LBB432_565:
	s_delay_alu instid0(SALU_CYCLE_1)
	s_and_b32 vcc_lo, exec_lo, s0
	s_cbranch_vccz .LBB432_567
; %bb.566:
	global_load_u8 v2, v[0:1], off
	s_waitcnt vmcnt(0)
	v_lshlrev_b32_e32 v2, 24, v2
	s_delay_alu instid0(VALU_DEP_1) | instskip(NEXT) | instid1(VALU_DEP_1)
	v_and_b32_e32 v3, 0x7f000000, v2
	v_clz_i32_u32_e32 v5, v3
	v_add_nc_u32_e32 v7, 0x1000000, v3
	v_cmp_ne_u32_e32 vcc_lo, 0, v3
	s_delay_alu instid0(VALU_DEP_3) | instskip(NEXT) | instid1(VALU_DEP_1)
	v_min_u32_e32 v5, 32, v5
	v_sub_nc_u32_e64 v5, v5, 4 clamp
	s_delay_alu instid0(VALU_DEP_1) | instskip(SKIP_1) | instid1(VALU_DEP_2)
	v_lshlrev_b32_e32 v6, v5, v3
	v_lshlrev_b32_e32 v5, 23, v5
	v_lshrrev_b32_e32 v6, 4, v6
	s_delay_alu instid0(VALU_DEP_1) | instskip(SKIP_1) | instid1(VALU_DEP_2)
	v_sub_nc_u32_e32 v5, v6, v5
	v_ashrrev_i32_e32 v6, 8, v7
	v_add_nc_u32_e32 v5, 0x3c000000, v5
	s_delay_alu instid0(VALU_DEP_1) | instskip(NEXT) | instid1(VALU_DEP_1)
	v_and_or_b32 v5, 0x7f800000, v6, v5
	v_cndmask_b32_e32 v3, 0, v5, vcc_lo
	s_delay_alu instid0(VALU_DEP_1) | instskip(NEXT) | instid1(VALU_DEP_1)
	v_and_or_b32 v2, 0x80000000, v2, v3
	v_cvt_i32_f32_e32 v2, v2
.LBB432_567:
	s_mov_b32 s0, 0
.LBB432_568:
	s_delay_alu instid0(SALU_CYCLE_1)
	s_and_not1_b32 vcc_lo, exec_lo, s0
	s_cbranch_vccnz .LBB432_570
; %bb.569:
	global_load_u8 v2, v[0:1], off
	s_waitcnt vmcnt(0)
	v_lshlrev_b32_e32 v3, 25, v2
	v_lshlrev_b16 v2, 8, v2
	s_delay_alu instid0(VALU_DEP_2) | instskip(NEXT) | instid1(VALU_DEP_2)
	v_lshrrev_b32_e32 v5, 4, v3
	v_and_or_b32 v6, 0x7f00, v2, 0.5
	v_cmp_gt_u32_e32 vcc_lo, 0x8000000, v3
	v_bfe_i32 v2, v2, 0, 16
	s_delay_alu instid0(VALU_DEP_4) | instskip(NEXT) | instid1(VALU_DEP_1)
	v_or_b32_e32 v5, 0x70000000, v5
	v_dual_add_f32 v6, -0.5, v6 :: v_dual_mul_f32 v5, 0x7800000, v5
	s_delay_alu instid0(VALU_DEP_1) | instskip(NEXT) | instid1(VALU_DEP_1)
	v_cndmask_b32_e32 v3, v5, v6, vcc_lo
	v_and_or_b32 v2, 0x80000000, v2, v3
	s_delay_alu instid0(VALU_DEP_1)
	v_cvt_i32_f32_e32 v2, v2
.LBB432_570:
	s_mov_b32 s21, 0
	s_mov_b32 s0, -1
.LBB432_571:
	s_and_not1_b32 vcc_lo, exec_lo, s21
	s_cbranch_vccnz .LBB432_584
; %bb.572:
	v_cmp_lt_i16_e32 vcc_lo, 14, v4
	s_cbranch_vccz .LBB432_575
; %bb.573:
	v_cmp_eq_u16_e32 vcc_lo, 15, v4
	s_cbranch_vccz .LBB432_578
; %bb.574:
	global_load_u16 v2, v[0:1], off
	s_mov_b32 s0, -1
	s_mov_b32 s20, 0
	s_waitcnt vmcnt(0)
	v_lshlrev_b32_e32 v2, 16, v2
	s_delay_alu instid0(VALU_DEP_1)
	v_cvt_i32_f32_e32 v2, v2
	s_branch .LBB432_579
.LBB432_575:
	s_mov_b32 s21, -1
                                        ; implicit-def: $vgpr2
	s_branch .LBB432_580
.LBB432_576:
	s_or_saveexec_b32 s21, s21
	v_mov_b32_e32 v2, s22
	s_xor_b32 exec_lo, exec_lo, s21
	s_cbranch_execz .LBB432_557
.LBB432_577:
	v_cmp_ne_u16_e32 vcc_lo, 0, v3
	v_mov_b32_e32 v2, 0
	s_and_not1_b32 s0, s0, exec_lo
	s_and_b32 s22, vcc_lo, exec_lo
	s_delay_alu instid0(SALU_CYCLE_1)
	s_or_b32 s0, s0, s22
	s_or_b32 exec_lo, exec_lo, s21
	s_and_saveexec_b32 s21, s0
	s_cbranch_execnz .LBB432_558
	s_branch .LBB432_559
.LBB432_578:
	s_mov_b32 s20, -1
                                        ; implicit-def: $vgpr2
.LBB432_579:
	s_mov_b32 s21, 0
.LBB432_580:
	s_delay_alu instid0(SALU_CYCLE_1)
	s_and_b32 vcc_lo, exec_lo, s21
	s_cbranch_vccz .LBB432_584
; %bb.581:
	v_cmp_eq_u16_e32 vcc_lo, 11, v4
	s_cbranch_vccz .LBB432_583
; %bb.582:
	global_load_u8 v2, v[0:1], off
	s_mov_b32 s20, 0
	s_mov_b32 s0, -1
	s_waitcnt vmcnt(0)
	v_cmp_ne_u16_e32 vcc_lo, 0, v2
	v_cndmask_b32_e64 v2, 0, 1, vcc_lo
	s_branch .LBB432_584
.LBB432_583:
	s_mov_b32 s20, -1
                                        ; implicit-def: $vgpr2
.LBB432_584:
	s_mov_b32 s21, 0
.LBB432_585:
	s_delay_alu instid0(SALU_CYCLE_1)
	s_and_b32 vcc_lo, exec_lo, s21
	s_cbranch_vccz .LBB432_634
; %bb.586:
	v_cmp_gt_i16_e32 vcc_lo, 5, v4
	s_cbranch_vccnz .LBB432_591
; %bb.587:
	v_cmp_gt_i16_e32 vcc_lo, 8, v4
	s_cbranch_vccnz .LBB432_592
	;; [unrolled: 3-line block ×3, first 2 shown]
; %bb.589:
	v_cmp_lt_i16_e32 vcc_lo, 9, v4
	s_cbranch_vccz .LBB432_594
; %bb.590:
	global_load_b64 v[2:3], v[0:1], off
	s_mov_b32 s0, 0
	s_waitcnt vmcnt(0)
	v_cvt_i32_f64_e32 v2, v[2:3]
	s_branch .LBB432_595
.LBB432_591:
	s_mov_b32 s0, -1
                                        ; implicit-def: $vgpr2
	s_branch .LBB432_613
.LBB432_592:
	s_mov_b32 s0, -1
                                        ; implicit-def: $vgpr2
	s_branch .LBB432_601
.LBB432_593:
	s_mov_b32 s0, -1
                                        ; implicit-def: $vgpr2
	s_branch .LBB432_598
.LBB432_594:
	s_mov_b32 s0, -1
                                        ; implicit-def: $vgpr2
.LBB432_595:
	s_delay_alu instid0(SALU_CYCLE_1)
	s_and_not1_b32 vcc_lo, exec_lo, s0
	s_cbranch_vccnz .LBB432_597
; %bb.596:
	global_load_b32 v2, v[0:1], off
	s_waitcnt vmcnt(0)
	v_cvt_i32_f32_e32 v2, v2
.LBB432_597:
	s_mov_b32 s0, 0
.LBB432_598:
	s_delay_alu instid0(SALU_CYCLE_1)
	s_and_not1_b32 vcc_lo, exec_lo, s0
	s_cbranch_vccnz .LBB432_600
; %bb.599:
	global_load_b32 v2, v[0:1], off
	s_waitcnt vmcnt(0)
	v_cvt_i16_f16_e32 v2, v2
.LBB432_600:
	s_mov_b32 s0, 0
.LBB432_601:
	s_delay_alu instid0(SALU_CYCLE_1)
	s_and_not1_b32 vcc_lo, exec_lo, s0
	s_cbranch_vccnz .LBB432_612
; %bb.602:
	v_cmp_gt_i16_e32 vcc_lo, 6, v4
	s_cbranch_vccnz .LBB432_605
; %bb.603:
	v_cmp_lt_i16_e32 vcc_lo, 6, v4
	s_cbranch_vccz .LBB432_606
; %bb.604:
	global_load_b64 v[2:3], v[0:1], off
	s_mov_b32 s0, 0
	s_waitcnt vmcnt(0)
	v_cvt_i32_f64_e32 v2, v[2:3]
	s_branch .LBB432_607
.LBB432_605:
	s_mov_b32 s0, -1
                                        ; implicit-def: $vgpr2
	s_branch .LBB432_610
.LBB432_606:
	s_mov_b32 s0, -1
                                        ; implicit-def: $vgpr2
.LBB432_607:
	s_delay_alu instid0(SALU_CYCLE_1)
	s_and_not1_b32 vcc_lo, exec_lo, s0
	s_cbranch_vccnz .LBB432_609
; %bb.608:
	global_load_b32 v2, v[0:1], off
	s_waitcnt vmcnt(0)
	v_cvt_i32_f32_e32 v2, v2
.LBB432_609:
	s_mov_b32 s0, 0
.LBB432_610:
	s_delay_alu instid0(SALU_CYCLE_1)
	s_and_not1_b32 vcc_lo, exec_lo, s0
	s_cbranch_vccnz .LBB432_612
; %bb.611:
	global_load_u16 v2, v[0:1], off
	s_waitcnt vmcnt(0)
	v_cvt_i16_f16_e32 v2, v2
.LBB432_612:
	s_mov_b32 s0, 0
.LBB432_613:
	s_delay_alu instid0(SALU_CYCLE_1)
	s_and_not1_b32 vcc_lo, exec_lo, s0
	s_cbranch_vccnz .LBB432_633
; %bb.614:
	v_cmp_gt_i16_e32 vcc_lo, 2, v4
	s_cbranch_vccnz .LBB432_618
; %bb.615:
	v_cmp_gt_i16_e32 vcc_lo, 3, v4
	s_cbranch_vccnz .LBB432_619
; %bb.616:
	v_cmp_lt_i16_e32 vcc_lo, 3, v4
	s_cbranch_vccz .LBB432_620
; %bb.617:
	global_load_b64 v[2:3], v[0:1], off
	s_mov_b32 s0, 0
	s_branch .LBB432_621
.LBB432_618:
	s_mov_b32 s0, -1
                                        ; implicit-def: $vgpr2
	s_branch .LBB432_627
.LBB432_619:
	s_mov_b32 s0, -1
                                        ; implicit-def: $vgpr2
	s_branch .LBB432_624
.LBB432_620:
	s_mov_b32 s0, -1
                                        ; implicit-def: $vgpr2
.LBB432_621:
	s_delay_alu instid0(SALU_CYCLE_1)
	s_and_not1_b32 vcc_lo, exec_lo, s0
	s_cbranch_vccnz .LBB432_623
; %bb.622:
	global_load_b32 v2, v[0:1], off
.LBB432_623:
	s_mov_b32 s0, 0
.LBB432_624:
	s_delay_alu instid0(SALU_CYCLE_1)
	s_and_not1_b32 vcc_lo, exec_lo, s0
	s_cbranch_vccnz .LBB432_626
; %bb.625:
	global_load_u16 v2, v[0:1], off
.LBB432_626:
	s_mov_b32 s0, 0
.LBB432_627:
	s_delay_alu instid0(SALU_CYCLE_1)
	s_and_not1_b32 vcc_lo, exec_lo, s0
	s_cbranch_vccnz .LBB432_633
; %bb.628:
	v_cmp_lt_i16_e32 vcc_lo, 0, v4
	s_mov_b32 s0, 0
	s_cbranch_vccz .LBB432_630
; %bb.629:
	global_load_u8 v2, v[0:1], off
	s_branch .LBB432_631
.LBB432_630:
	s_mov_b32 s0, -1
                                        ; implicit-def: $vgpr2
.LBB432_631:
	s_delay_alu instid0(SALU_CYCLE_1)
	s_and_not1_b32 vcc_lo, exec_lo, s0
	s_cbranch_vccnz .LBB432_633
; %bb.632:
	global_load_u8 v2, v[0:1], off
.LBB432_633:
	s_mov_b32 s0, -1
.LBB432_634:
	s_delay_alu instid0(SALU_CYCLE_1)
	s_and_not1_b32 vcc_lo, exec_lo, s0
	s_cbranch_vccnz .LBB432_642
; %bb.635:
	v_mul_lo_u32 v0, v9, s2
	s_waitcnt vmcnt(0)
	s_delay_alu instid0(VALU_DEP_2)
	v_bfe_i32 v1, v2, 0, 8
	v_and_b32_e64 v3, 0xff, s1
	s_bfe_i32 s0, s8, 0x80000
	s_delay_alu instid0(VALU_DEP_2) | instid1(SALU_CYCLE_1)
	v_min_i16 v2, v1, s0
	s_delay_alu instid0(VALU_DEP_2) | instskip(SKIP_2) | instid1(VALU_DEP_1)
	v_cmp_gt_i16_e32 vcc_lo, 11, v3
	v_ashrrev_i32_e32 v1, 31, v0
	v_add_co_u32 v0, s0, s4, v0
	v_add_co_ci_u32_e64 v1, s0, s5, v1, s0
	s_cbranch_vccnz .LBB432_643
; %bb.636:
	v_cmp_lt_i16_e32 vcc_lo, 25, v3
	s_cbranch_vccz .LBB432_644
; %bb.637:
	v_cmp_lt_i16_e32 vcc_lo, 28, v3
	s_cbranch_vccz .LBB432_645
	;; [unrolled: 3-line block ×4, first 2 shown]
; %bb.640:
	v_cmp_eq_u16_e32 vcc_lo, 46, v3
	s_mov_b32 s22, 0
	s_mov_b32 s0, -1
	s_mov_b32 s21, 0
	s_cbranch_vccz .LBB432_648
; %bb.641:
	v_bfe_i32 v4, v2, 0, 16
	s_mov_b32 s21, -1
	s_mov_b32 s0, 0
	s_delay_alu instid0(VALU_DEP_1) | instskip(NEXT) | instid1(VALU_DEP_1)
	v_cvt_f32_i32_e32 v4, v4
	v_bfe_u32 v5, v4, 16, 1
	s_delay_alu instid0(VALU_DEP_1) | instskip(NEXT) | instid1(VALU_DEP_1)
	v_add3_u32 v4, v4, v5, 0x7fff
	v_lshrrev_b32_e32 v4, 16, v4
	global_store_b32 v[0:1], v4, off
	s_branch .LBB432_648
.LBB432_642:
	s_mov_b32 s22, 0
	s_mov_b32 s0, s17
	s_branch .LBB432_759
.LBB432_643:
	s_mov_b32 s22, -1
	s_mov_b32 s21, 0
	s_mov_b32 s0, s17
	s_branch .LBB432_717
.LBB432_644:
	s_mov_b32 s22, -1
	s_mov_b32 s21, 0
	s_mov_b32 s0, s17
	s_branch .LBB432_675
.LBB432_645:
	s_mov_b32 s22, -1
	s_mov_b32 s21, 0
	s_mov_b32 s0, s17
	s_branch .LBB432_658
.LBB432_646:
	s_mov_b32 s22, -1
	s_mov_b32 s21, 0
	s_mov_b32 s0, s17
	s_branch .LBB432_654
.LBB432_647:
	s_mov_b32 s22, -1
	s_mov_b32 s21, 0
	s_mov_b32 s0, s17
.LBB432_648:
	s_and_b32 vcc_lo, exec_lo, s22
	s_cbranch_vccz .LBB432_653
; %bb.649:
	v_cmp_eq_u16_e32 vcc_lo, 44, v3
	s_mov_b32 s0, -1
	s_cbranch_vccz .LBB432_653
; %bb.650:
	v_bfe_i32 v4, v2, 0, 16
	v_mov_b32_e32 v5, 0xff
	s_mov_b32 s21, exec_lo
	s_delay_alu instid0(VALU_DEP_2) | instskip(NEXT) | instid1(VALU_DEP_1)
	v_cvt_f32_i32_e32 v4, v4
	v_bfe_u32 v6, v4, 23, 8
	s_delay_alu instid0(VALU_DEP_1)
	v_cmpx_ne_u32_e32 0xff, v6
; %bb.651:
	v_and_b32_e32 v5, 0x400000, v4
	v_and_or_b32 v6, 0x3fffff, v4, v6
	v_lshrrev_b32_e32 v4, 23, v4
	s_delay_alu instid0(VALU_DEP_3) | instskip(NEXT) | instid1(VALU_DEP_3)
	v_cmp_ne_u32_e32 vcc_lo, 0, v5
	v_cmp_ne_u32_e64 s0, 0, v6
	s_delay_alu instid0(VALU_DEP_1) | instskip(NEXT) | instid1(SALU_CYCLE_1)
	s_and_b32 s0, vcc_lo, s0
	v_cndmask_b32_e64 v5, 0, 1, s0
	s_delay_alu instid0(VALU_DEP_1)
	v_add_nc_u32_e32 v5, v4, v5
; %bb.652:
	s_or_b32 exec_lo, exec_lo, s21
	s_mov_b32 s21, -1
	s_mov_b32 s0, 0
	global_store_b8 v[0:1], v5, off
.LBB432_653:
	s_mov_b32 s22, 0
.LBB432_654:
	s_delay_alu instid0(SALU_CYCLE_1)
	s_and_b32 vcc_lo, exec_lo, s22
	s_cbranch_vccz .LBB432_657
; %bb.655:
	v_cmp_eq_u16_e32 vcc_lo, 29, v3
	s_mov_b32 s0, -1
	s_cbranch_vccz .LBB432_657
; %bb.656:
	v_bfe_i32 v4, v2, 0, 16
	s_mov_b32 s0, 0
	s_mov_b32 s21, -1
	s_mov_b32 s22, 0
	s_delay_alu instid0(VALU_DEP_1)
	v_ashrrev_i32_e32 v5, 31, v4
	global_store_b64 v[0:1], v[4:5], off
	s_branch .LBB432_658
.LBB432_657:
	s_mov_b32 s22, 0
.LBB432_658:
	s_delay_alu instid0(SALU_CYCLE_1)
	s_and_b32 vcc_lo, exec_lo, s22
	s_cbranch_vccz .LBB432_674
; %bb.659:
	v_cmp_gt_i16_e32 vcc_lo, 27, v3
	s_mov_b32 s21, -1
	s_cbranch_vccnz .LBB432_665
; %bb.660:
	v_cmp_lt_i16_e32 vcc_lo, 27, v3
	s_cbranch_vccz .LBB432_662
; %bb.661:
	v_bfe_i32 v4, v2, 0, 16
	s_mov_b32 s21, 0
	global_store_b32 v[0:1], v4, off
.LBB432_662:
	s_and_not1_b32 vcc_lo, exec_lo, s21
	s_cbranch_vccnz .LBB432_664
; %bb.663:
	global_store_b16 v[0:1], v2, off
.LBB432_664:
	s_mov_b32 s21, 0
.LBB432_665:
	s_delay_alu instid0(SALU_CYCLE_1)
	s_and_not1_b32 vcc_lo, exec_lo, s21
	s_cbranch_vccnz .LBB432_673
; %bb.666:
	v_bfe_i32 v4, v2, 0, 16
	v_mov_b32_e32 v6, 0x80
	s_mov_b32 s21, exec_lo
	s_delay_alu instid0(VALU_DEP_2) | instskip(NEXT) | instid1(VALU_DEP_1)
	v_cvt_f32_i32_e32 v4, v4
	v_and_b32_e32 v5, 0x7fffffff, v4
	s_delay_alu instid0(VALU_DEP_1)
	v_cmpx_gt_u32_e32 0x43800000, v5
	s_cbranch_execz .LBB432_672
; %bb.667:
	v_cmp_lt_u32_e32 vcc_lo, 0x3bffffff, v5
	s_mov_b32 s22, 0
                                        ; implicit-def: $vgpr5
	s_and_saveexec_b32 s23, vcc_lo
	s_delay_alu instid0(SALU_CYCLE_1)
	s_xor_b32 s23, exec_lo, s23
	s_cbranch_execz .LBB432_774
; %bb.668:
	v_bfe_u32 v5, v4, 20, 1
	s_mov_b32 s22, exec_lo
	s_delay_alu instid0(VALU_DEP_1) | instskip(NEXT) | instid1(VALU_DEP_1)
	v_add3_u32 v5, v4, v5, 0x487ffff
	v_lshrrev_b32_e32 v5, 20, v5
	s_or_saveexec_b32 s23, s23
                                        ; implicit-def: $sgpr24
	s_delay_alu instid0(SALU_CYCLE_1)
	s_xor_b32 exec_lo, exec_lo, s23
	s_cbranch_execnz .LBB432_775
.LBB432_669:
	s_or_b32 exec_lo, exec_lo, s23
	v_mov_b32_e32 v6, s24
	s_and_saveexec_b32 s23, s22
.LBB432_670:
	v_lshrrev_b32_e32 v4, 24, v4
	s_delay_alu instid0(VALU_DEP_1)
	v_and_or_b32 v6, 0x80, v4, v5
.LBB432_671:
	s_or_b32 exec_lo, exec_lo, s23
.LBB432_672:
	s_delay_alu instid0(SALU_CYCLE_1)
	s_or_b32 exec_lo, exec_lo, s21
	global_store_b8 v[0:1], v6, off
.LBB432_673:
	s_mov_b32 s21, -1
.LBB432_674:
	s_mov_b32 s22, 0
.LBB432_675:
	s_delay_alu instid0(SALU_CYCLE_1)
	s_and_b32 vcc_lo, exec_lo, s22
	s_cbranch_vccz .LBB432_716
; %bb.676:
	v_cmp_lt_i16_e32 vcc_lo, 22, v3
	s_mov_b32 s22, -1
	s_cbranch_vccz .LBB432_708
; %bb.677:
	v_cmp_gt_i16_e32 vcc_lo, 24, v3
	s_mov_b32 s21, -1
	s_cbranch_vccnz .LBB432_697
; %bb.678:
	v_cmp_lt_i16_e32 vcc_lo, 24, v3
	s_cbranch_vccz .LBB432_686
; %bb.679:
	v_bfe_i32 v4, v2, 0, 16
	v_mov_b32_e32 v6, 0x80
	s_mov_b32 s21, exec_lo
	s_delay_alu instid0(VALU_DEP_2) | instskip(NEXT) | instid1(VALU_DEP_1)
	v_cvt_f32_i32_e32 v4, v4
	v_and_b32_e32 v5, 0x7fffffff, v4
	s_delay_alu instid0(VALU_DEP_1)
	v_cmpx_gt_u32_e32 0x47800000, v5
	s_cbranch_execz .LBB432_685
; %bb.680:
	v_cmp_lt_u32_e32 vcc_lo, 0x37ffffff, v5
	s_mov_b32 s22, 0
                                        ; implicit-def: $vgpr5
	s_and_saveexec_b32 s23, vcc_lo
	s_delay_alu instid0(SALU_CYCLE_1)
	s_xor_b32 s23, exec_lo, s23
	s_cbranch_execz .LBB432_777
; %bb.681:
	v_bfe_u32 v5, v4, 21, 1
	s_mov_b32 s22, exec_lo
	s_delay_alu instid0(VALU_DEP_1) | instskip(NEXT) | instid1(VALU_DEP_1)
	v_add3_u32 v5, v4, v5, 0x88fffff
	v_lshrrev_b32_e32 v5, 21, v5
	s_or_saveexec_b32 s23, s23
                                        ; implicit-def: $sgpr24
	s_delay_alu instid0(SALU_CYCLE_1)
	s_xor_b32 exec_lo, exec_lo, s23
	s_cbranch_execnz .LBB432_778
.LBB432_682:
	s_or_b32 exec_lo, exec_lo, s23
	v_mov_b32_e32 v6, s24
	s_and_saveexec_b32 s23, s22
.LBB432_683:
	v_lshrrev_b32_e32 v4, 24, v4
	s_delay_alu instid0(VALU_DEP_1)
	v_and_or_b32 v6, 0x80, v4, v5
.LBB432_684:
	s_or_b32 exec_lo, exec_lo, s23
.LBB432_685:
	s_delay_alu instid0(SALU_CYCLE_1)
	s_or_b32 exec_lo, exec_lo, s21
	s_mov_b32 s21, 0
	global_store_b8 v[0:1], v6, off
.LBB432_686:
	s_and_b32 vcc_lo, exec_lo, s21
	s_cbranch_vccz .LBB432_696
; %bb.687:
	v_bfe_i32 v4, v2, 0, 16
	s_mov_b32 s21, exec_lo
                                        ; implicit-def: $vgpr5
	s_delay_alu instid0(VALU_DEP_1) | instskip(NEXT) | instid1(VALU_DEP_1)
	v_cvt_f32_i32_e32 v4, v4
	v_and_b32_e32 v6, 0x7fffffff, v4
	s_delay_alu instid0(VALU_DEP_1)
	v_cmpx_gt_u32_e32 0x43f00000, v6
	s_xor_b32 s21, exec_lo, s21
	s_cbranch_execz .LBB432_693
; %bb.688:
	s_mov_b32 s22, exec_lo
                                        ; implicit-def: $vgpr5
	v_cmpx_lt_u32_e32 0x3c7fffff, v6
	s_xor_b32 s22, exec_lo, s22
; %bb.689:
	v_bfe_u32 v5, v4, 20, 1
	s_delay_alu instid0(VALU_DEP_1) | instskip(NEXT) | instid1(VALU_DEP_1)
	v_add3_u32 v5, v4, v5, 0x407ffff
	v_and_b32_e32 v6, 0xff00000, v5
	v_lshrrev_b32_e32 v5, 20, v5
	s_delay_alu instid0(VALU_DEP_2) | instskip(NEXT) | instid1(VALU_DEP_2)
	v_cmp_ne_u32_e32 vcc_lo, 0x7f00000, v6
	v_cndmask_b32_e32 v5, 0x7e, v5, vcc_lo
; %bb.690:
	s_and_not1_saveexec_b32 s22, s22
; %bb.691:
	v_add_f32_e64 v5, 0x46800000, |v4|
; %bb.692:
	s_or_b32 exec_lo, exec_lo, s22
                                        ; implicit-def: $vgpr6
.LBB432_693:
	s_and_not1_saveexec_b32 s21, s21
; %bb.694:
	v_mov_b32_e32 v5, 0x7f
	v_cmp_lt_u32_e32 vcc_lo, 0x7f800000, v6
	s_delay_alu instid0(VALU_DEP_2)
	v_cndmask_b32_e32 v5, 0x7e, v5, vcc_lo
; %bb.695:
	s_or_b32 exec_lo, exec_lo, s21
	v_lshrrev_b32_e32 v4, 24, v4
	s_delay_alu instid0(VALU_DEP_1)
	v_and_or_b32 v4, 0x80, v4, v5
	global_store_b8 v[0:1], v4, off
.LBB432_696:
	s_mov_b32 s21, 0
.LBB432_697:
	s_delay_alu instid0(SALU_CYCLE_1)
	s_and_not1_b32 vcc_lo, exec_lo, s21
	s_cbranch_vccnz .LBB432_707
; %bb.698:
	v_bfe_i32 v4, v2, 0, 16
	s_mov_b32 s21, exec_lo
                                        ; implicit-def: $vgpr5
	s_delay_alu instid0(VALU_DEP_1) | instskip(NEXT) | instid1(VALU_DEP_1)
	v_cvt_f32_i32_e32 v4, v4
	v_and_b32_e32 v6, 0x7fffffff, v4
	s_delay_alu instid0(VALU_DEP_1)
	v_cmpx_gt_u32_e32 0x47800000, v6
	s_xor_b32 s21, exec_lo, s21
	s_cbranch_execz .LBB432_704
; %bb.699:
	s_mov_b32 s22, exec_lo
                                        ; implicit-def: $vgpr5
	v_cmpx_lt_u32_e32 0x387fffff, v6
	s_xor_b32 s22, exec_lo, s22
; %bb.700:
	v_bfe_u32 v5, v4, 21, 1
	s_delay_alu instid0(VALU_DEP_1) | instskip(NEXT) | instid1(VALU_DEP_1)
	v_add3_u32 v5, v4, v5, 0x80fffff
	v_lshrrev_b32_e32 v5, 21, v5
; %bb.701:
	s_and_not1_saveexec_b32 s22, s22
; %bb.702:
	v_add_f32_e64 v5, 0x43000000, |v4|
; %bb.703:
	s_or_b32 exec_lo, exec_lo, s22
                                        ; implicit-def: $vgpr6
.LBB432_704:
	s_and_not1_saveexec_b32 s21, s21
; %bb.705:
	v_mov_b32_e32 v5, 0x7f
	v_cmp_lt_u32_e32 vcc_lo, 0x7f800000, v6
	s_delay_alu instid0(VALU_DEP_2)
	v_cndmask_b32_e32 v5, 0x7c, v5, vcc_lo
; %bb.706:
	s_or_b32 exec_lo, exec_lo, s21
	v_lshrrev_b32_e32 v4, 24, v4
	s_delay_alu instid0(VALU_DEP_1)
	v_and_or_b32 v4, 0x80, v4, v5
	global_store_b8 v[0:1], v4, off
.LBB432_707:
	s_mov_b32 s22, 0
	s_mov_b32 s21, -1
.LBB432_708:
	s_and_not1_b32 vcc_lo, exec_lo, s22
	s_cbranch_vccnz .LBB432_716
; %bb.709:
	v_cmp_lt_i16_e32 vcc_lo, 14, v3
	s_mov_b32 s22, -1
	s_cbranch_vccz .LBB432_713
; %bb.710:
	v_cmp_eq_u16_e32 vcc_lo, 15, v3
	s_mov_b32 s0, -1
	s_cbranch_vccz .LBB432_712
; %bb.711:
	v_bfe_i32 v4, v2, 0, 16
	s_mov_b32 s21, -1
	s_mov_b32 s0, 0
	s_delay_alu instid0(VALU_DEP_1) | instskip(NEXT) | instid1(VALU_DEP_1)
	v_cvt_f32_i32_e32 v4, v4
	v_bfe_u32 v5, v4, 16, 1
	s_delay_alu instid0(VALU_DEP_1)
	v_add3_u32 v4, v4, v5, 0x7fff
	global_store_d16_hi_b16 v[0:1], v4, off
.LBB432_712:
	s_mov_b32 s22, 0
.LBB432_713:
	s_delay_alu instid0(SALU_CYCLE_1)
	s_and_b32 vcc_lo, exec_lo, s22
	s_cbranch_vccz .LBB432_716
; %bb.714:
	v_cmp_eq_u16_e32 vcc_lo, 11, v3
	s_mov_b32 s0, -1
	s_cbranch_vccz .LBB432_716
; %bb.715:
	v_cmp_ne_u16_e32 vcc_lo, 0, v2
	s_mov_b32 s0, 0
	s_mov_b32 s21, -1
	v_cndmask_b32_e64 v4, 0, 1, vcc_lo
	global_store_b8 v[0:1], v4, off
.LBB432_716:
	s_mov_b32 s22, 0
.LBB432_717:
	s_delay_alu instid0(SALU_CYCLE_1)
	s_and_b32 vcc_lo, exec_lo, s22
	s_cbranch_vccz .LBB432_756
; %bb.718:
	v_cmp_gt_i16_e32 vcc_lo, 5, v3
	s_mov_b32 s21, -1
	s_cbranch_vccnz .LBB432_739
; %bb.719:
	v_cmp_gt_i16_e32 vcc_lo, 8, v3
	s_cbranch_vccnz .LBB432_729
; %bb.720:
	v_cmp_gt_i16_e32 vcc_lo, 9, v3
	s_cbranch_vccnz .LBB432_726
; %bb.721:
	v_cmp_lt_i16_e32 vcc_lo, 9, v3
	s_cbranch_vccz .LBB432_723
; %bb.722:
	v_bfe_i32 v4, v2, 0, 16
	v_mov_b32_e32 v6, 0
	s_mov_b32 s21, 0
	s_delay_alu instid0(VALU_DEP_2) | instskip(NEXT) | instid1(VALU_DEP_2)
	v_cvt_f64_i32_e32 v[4:5], v4
	v_mov_b32_e32 v7, v6
	global_store_b128 v[0:1], v[4:7], off
.LBB432_723:
	s_and_not1_b32 vcc_lo, exec_lo, s21
	s_cbranch_vccnz .LBB432_725
; %bb.724:
	v_bfe_i32 v4, v2, 0, 16
	v_mov_b32_e32 v5, 0
	s_delay_alu instid0(VALU_DEP_2)
	v_cvt_f32_i32_e32 v4, v4
	global_store_b64 v[0:1], v[4:5], off
.LBB432_725:
	s_mov_b32 s21, 0
.LBB432_726:
	s_delay_alu instid0(SALU_CYCLE_1)
	s_and_not1_b32 vcc_lo, exec_lo, s21
	s_cbranch_vccnz .LBB432_728
; %bb.727:
	v_cvt_f16_i16_e32 v4, v2
	s_delay_alu instid0(VALU_DEP_1)
	v_and_b32_e32 v4, 0xffff, v4
	global_store_b32 v[0:1], v4, off
.LBB432_728:
	s_mov_b32 s21, 0
.LBB432_729:
	s_delay_alu instid0(SALU_CYCLE_1)
	s_and_not1_b32 vcc_lo, exec_lo, s21
	s_cbranch_vccnz .LBB432_738
; %bb.730:
	v_cmp_gt_i16_e32 vcc_lo, 6, v3
	s_mov_b32 s21, -1
	s_cbranch_vccnz .LBB432_736
; %bb.731:
	v_cmp_lt_i16_e32 vcc_lo, 6, v3
	s_cbranch_vccz .LBB432_733
; %bb.732:
	v_bfe_i32 v4, v2, 0, 16
	s_mov_b32 s21, 0
	s_delay_alu instid0(VALU_DEP_1)
	v_cvt_f64_i32_e32 v[4:5], v4
	global_store_b64 v[0:1], v[4:5], off
.LBB432_733:
	s_and_not1_b32 vcc_lo, exec_lo, s21
	s_cbranch_vccnz .LBB432_735
; %bb.734:
	v_bfe_i32 v4, v2, 0, 16
	s_delay_alu instid0(VALU_DEP_1)
	v_cvt_f32_i32_e32 v4, v4
	global_store_b32 v[0:1], v4, off
.LBB432_735:
	s_mov_b32 s21, 0
.LBB432_736:
	s_delay_alu instid0(SALU_CYCLE_1)
	s_and_not1_b32 vcc_lo, exec_lo, s21
	s_cbranch_vccnz .LBB432_738
; %bb.737:
	v_cvt_f16_i16_e32 v4, v2
	global_store_b16 v[0:1], v4, off
.LBB432_738:
	s_mov_b32 s21, 0
.LBB432_739:
	s_delay_alu instid0(SALU_CYCLE_1)
	s_and_not1_b32 vcc_lo, exec_lo, s21
	s_cbranch_vccnz .LBB432_755
; %bb.740:
	v_cmp_gt_i16_e32 vcc_lo, 2, v3
	s_mov_b32 s21, -1
	s_cbranch_vccnz .LBB432_750
; %bb.741:
	v_cmp_gt_i16_e32 vcc_lo, 3, v3
	s_cbranch_vccnz .LBB432_747
; %bb.742:
	v_cmp_lt_i16_e32 vcc_lo, 3, v3
	s_cbranch_vccz .LBB432_744
; %bb.743:
	v_bfe_i32 v4, v2, 0, 16
	s_mov_b32 s21, 0
	s_delay_alu instid0(VALU_DEP_1)
	v_ashrrev_i32_e32 v5, 31, v4
	global_store_b64 v[0:1], v[4:5], off
.LBB432_744:
	s_and_not1_b32 vcc_lo, exec_lo, s21
	s_cbranch_vccnz .LBB432_746
; %bb.745:
	v_bfe_i32 v4, v2, 0, 16
	global_store_b32 v[0:1], v4, off
.LBB432_746:
	s_mov_b32 s21, 0
.LBB432_747:
	s_delay_alu instid0(SALU_CYCLE_1)
	s_and_not1_b32 vcc_lo, exec_lo, s21
	s_cbranch_vccnz .LBB432_749
; %bb.748:
	global_store_b16 v[0:1], v2, off
.LBB432_749:
	s_mov_b32 s21, 0
.LBB432_750:
	s_delay_alu instid0(SALU_CYCLE_1)
	s_and_not1_b32 vcc_lo, exec_lo, s21
	s_cbranch_vccnz .LBB432_755
; %bb.751:
	v_cmp_lt_i16_e32 vcc_lo, 0, v3
	s_mov_b32 s21, -1
	s_cbranch_vccz .LBB432_753
; %bb.752:
	s_mov_b32 s21, 0
	global_store_b8 v[0:1], v2, off
.LBB432_753:
	s_and_not1_b32 vcc_lo, exec_lo, s21
	s_cbranch_vccnz .LBB432_755
; %bb.754:
	global_store_b8 v[0:1], v2, off
.LBB432_755:
	s_mov_b32 s21, -1
.LBB432_756:
	s_delay_alu instid0(SALU_CYCLE_1)
	s_and_not1_b32 vcc_lo, exec_lo, s21
	s_cbranch_vccnz .LBB432_758
; %bb.757:
	v_add_nc_u32_e32 v9, 0x80, v9
	s_mov_b32 s22, -1
	s_branch .LBB432_760
.LBB432_758:
	s_mov_b32 s22, 0
.LBB432_759:
                                        ; implicit-def: $vgpr9
.LBB432_760:
	s_and_not1_b32 s21, s17, exec_lo
	s_and_b32 s0, s0, exec_lo
	s_and_not1_b32 s23, s16, exec_lo
	s_and_b32 s20, s20, exec_lo
	s_or_b32 s21, s21, s0
	s_or_b32 s20, s23, s20
	s_or_not1_b32 s0, s22, exec_lo
.LBB432_761:
	s_or_b32 exec_lo, exec_lo, s19
	s_mov_b32 s22, 0
	s_mov_b32 s23, 0
	;; [unrolled: 1-line block ×3, first 2 shown]
                                        ; implicit-def: $vgpr4
                                        ; implicit-def: $vgpr0_vgpr1
                                        ; implicit-def: $vgpr2
	s_and_saveexec_b32 s19, s0
	s_cbranch_execz .LBB432_842
; %bb.762:
	v_cmp_gt_i32_e32 vcc_lo, s13, v9
	s_mov_b32 s0, 0
	s_mov_b32 s22, s20
                                        ; implicit-def: $vgpr4
                                        ; implicit-def: $vgpr0_vgpr1
                                        ; implicit-def: $vgpr2
	s_and_saveexec_b32 s13, vcc_lo
	s_cbranch_execz .LBB432_841
; %bb.763:
	v_mul_lo_u32 v0, v9, s3
	v_and_b32_e64 v4, 0xff, s10
	s_delay_alu instid0(VALU_DEP_1) | instskip(NEXT) | instid1(VALU_DEP_3)
	v_cmp_gt_i16_e32 vcc_lo, 11, v4
	v_ashrrev_i32_e32 v1, 31, v0
	v_add_co_u32 v0, s0, s6, v0
	s_delay_alu instid0(VALU_DEP_1)
	v_add_co_ci_u32_e64 v1, s0, s7, v1, s0
	s_cbranch_vccnz .LBB432_770
; %bb.764:
	v_cmp_lt_i16_e32 vcc_lo, 25, v4
	s_mov_b32 s22, 0
	s_cbranch_vccz .LBB432_771
; %bb.765:
	v_cmp_lt_i16_e32 vcc_lo, 28, v4
	s_cbranch_vccz .LBB432_772
; %bb.766:
	v_cmp_lt_i16_e32 vcc_lo, 43, v4
	s_cbranch_vccz .LBB432_773
; %bb.767:
	v_cmp_lt_i16_e32 vcc_lo, 45, v4
	s_cbranch_vccz .LBB432_776
; %bb.768:
	v_cmp_eq_u16_e32 vcc_lo, 46, v4
	s_cbranch_vccz .LBB432_779
; %bb.769:
	global_load_b32 v2, v[0:1], off
	s_mov_b32 s0, 0
	s_mov_b32 s23, -1
	s_waitcnt vmcnt(0)
	v_lshlrev_b32_e32 v2, 16, v2
	s_delay_alu instid0(VALU_DEP_1)
	v_cvt_i32_f32_e32 v2, v2
	s_branch .LBB432_781
.LBB432_770:
	s_mov_b32 s25, -1
	s_mov_b32 s22, 0
	s_mov_b32 s0, s20
                                        ; implicit-def: $vgpr2
	s_branch .LBB432_840
.LBB432_771:
	s_mov_b32 s24, -1
	s_mov_b32 s0, s20
                                        ; implicit-def: $vgpr2
	s_branch .LBB432_808
.LBB432_772:
	s_mov_b32 s24, -1
	s_mov_b32 s0, s20
                                        ; implicit-def: $vgpr2
	s_branch .LBB432_791
.LBB432_773:
	s_mov_b32 s24, -1
	s_mov_b32 s0, s20
                                        ; implicit-def: $vgpr2
	s_branch .LBB432_786
.LBB432_774:
	s_or_saveexec_b32 s23, s23
                                        ; implicit-def: $sgpr24
	s_delay_alu instid0(SALU_CYCLE_1)
	s_xor_b32 exec_lo, exec_lo, s23
	s_cbranch_execz .LBB432_669
.LBB432_775:
	v_add_f32_e64 v5, 0x46000000, |v4|
	s_and_not1_b32 s22, s22, exec_lo
	s_mov_b32 s24, 0
	s_delay_alu instid0(VALU_DEP_1) | instskip(NEXT) | instid1(VALU_DEP_1)
	v_and_b32_e32 v5, 0xff, v5
	v_cmp_ne_u32_e32 vcc_lo, 0, v5
	s_and_b32 s25, vcc_lo, exec_lo
	s_delay_alu instid0(SALU_CYCLE_1)
	s_or_b32 s22, s22, s25
	s_or_b32 exec_lo, exec_lo, s23
	v_mov_b32_e32 v6, s24
	s_and_saveexec_b32 s23, s22
	s_cbranch_execnz .LBB432_670
	s_branch .LBB432_671
.LBB432_776:
	s_mov_b32 s24, -1
	s_mov_b32 s0, s20
	s_branch .LBB432_780
.LBB432_777:
	s_or_saveexec_b32 s23, s23
                                        ; implicit-def: $sgpr24
	s_delay_alu instid0(SALU_CYCLE_1)
	s_xor_b32 exec_lo, exec_lo, s23
	s_cbranch_execz .LBB432_682
.LBB432_778:
	v_add_f32_e64 v5, 0x42800000, |v4|
	s_and_not1_b32 s22, s22, exec_lo
	s_mov_b32 s24, 0
	s_delay_alu instid0(VALU_DEP_1) | instskip(NEXT) | instid1(VALU_DEP_1)
	v_and_b32_e32 v5, 0xff, v5
	v_cmp_ne_u32_e32 vcc_lo, 0, v5
	s_and_b32 s25, vcc_lo, exec_lo
	s_delay_alu instid0(SALU_CYCLE_1)
	s_or_b32 s22, s22, s25
	s_or_b32 exec_lo, exec_lo, s23
	v_mov_b32_e32 v6, s24
	s_and_saveexec_b32 s23, s22
	s_cbranch_execnz .LBB432_683
	s_branch .LBB432_684
.LBB432_779:
	s_mov_b32 s0, -1
.LBB432_780:
                                        ; implicit-def: $vgpr2
.LBB432_781:
	s_and_b32 vcc_lo, exec_lo, s24
	s_cbranch_vccz .LBB432_785
; %bb.782:
	v_cmp_eq_u16_e32 vcc_lo, 44, v4
	s_cbranch_vccz .LBB432_784
; %bb.783:
	global_load_u8 v2, v[0:1], off
	s_mov_b32 s0, 0
	s_mov_b32 s23, -1
	s_waitcnt vmcnt(0)
	v_lshlrev_b32_e32 v3, 23, v2
	v_cmp_ne_u32_e32 vcc_lo, 0, v2
	s_delay_alu instid0(VALU_DEP_2) | instskip(NEXT) | instid1(VALU_DEP_1)
	v_cvt_i32_f32_e32 v3, v3
	v_cndmask_b32_e32 v2, 0, v3, vcc_lo
	s_branch .LBB432_785
.LBB432_784:
	s_mov_b32 s0, -1
                                        ; implicit-def: $vgpr2
.LBB432_785:
	s_mov_b32 s24, 0
.LBB432_786:
	s_delay_alu instid0(SALU_CYCLE_1)
	s_and_b32 vcc_lo, exec_lo, s24
	s_cbranch_vccz .LBB432_790
; %bb.787:
	v_cmp_eq_u16_e32 vcc_lo, 29, v4
	s_cbranch_vccz .LBB432_789
; %bb.788:
	global_load_b64 v[2:3], v[0:1], off
	s_mov_b32 s0, 0
	s_mov_b32 s23, -1
	s_branch .LBB432_790
.LBB432_789:
	s_mov_b32 s0, -1
                                        ; implicit-def: $vgpr2
.LBB432_790:
	s_mov_b32 s24, 0
.LBB432_791:
	s_delay_alu instid0(SALU_CYCLE_1)
	s_and_b32 vcc_lo, exec_lo, s24
	s_cbranch_vccz .LBB432_807
; %bb.792:
	v_cmp_gt_i16_e32 vcc_lo, 27, v4
	s_cbranch_vccnz .LBB432_795
; %bb.793:
	v_cmp_lt_i16_e32 vcc_lo, 27, v4
	s_cbranch_vccz .LBB432_796
; %bb.794:
	global_load_b32 v2, v[0:1], off
	s_mov_b32 s23, 0
	s_branch .LBB432_797
.LBB432_795:
	s_mov_b32 s23, -1
                                        ; implicit-def: $vgpr2
	s_branch .LBB432_800
.LBB432_796:
	s_mov_b32 s23, -1
                                        ; implicit-def: $vgpr2
.LBB432_797:
	s_delay_alu instid0(SALU_CYCLE_1)
	s_and_not1_b32 vcc_lo, exec_lo, s23
	s_cbranch_vccnz .LBB432_799
; %bb.798:
	global_load_u16 v2, v[0:1], off
.LBB432_799:
	s_mov_b32 s23, 0
.LBB432_800:
	s_delay_alu instid0(SALU_CYCLE_1)
	s_and_not1_b32 vcc_lo, exec_lo, s23
	s_cbranch_vccnz .LBB432_806
; %bb.801:
	global_load_u8 v3, v[0:1], off
	s_mov_b32 s23, 0
	s_mov_b32 s24, exec_lo
                                        ; implicit-def: $sgpr25
	s_waitcnt vmcnt(0)
	v_cmpx_lt_i16_e32 0x7f, v3
	s_xor_b32 s24, exec_lo, s24
	s_cbranch_execz .LBB432_818
; %bb.802:
	v_cmp_ne_u16_e32 vcc_lo, 0x80, v3
	s_mov_b32 s25, 0
	s_and_b32 s23, vcc_lo, exec_lo
	s_or_saveexec_b32 s24, s24
	v_mov_b32_e32 v2, s25
	s_xor_b32 exec_lo, exec_lo, s24
	s_cbranch_execnz .LBB432_819
.LBB432_803:
	s_or_b32 exec_lo, exec_lo, s24
	s_and_saveexec_b32 s24, s23
	s_cbranch_execz .LBB432_805
.LBB432_804:
	v_and_b32_e32 v2, 0xffff, v3
	v_lshlrev_b32_e32 v3, 24, v3
	s_delay_alu instid0(VALU_DEP_2) | instskip(NEXT) | instid1(VALU_DEP_2)
	v_and_b32_e32 v5, 7, v2
	v_and_b32_e32 v3, 0x80000000, v3
	s_delay_alu instid0(VALU_DEP_2) | instskip(NEXT) | instid1(VALU_DEP_1)
	v_clz_i32_u32_e32 v6, v5
	v_min_u32_e32 v6, 32, v6
	s_delay_alu instid0(VALU_DEP_1) | instskip(SKIP_1) | instid1(VALU_DEP_2)
	v_subrev_nc_u32_e32 v7, 28, v6
	v_sub_nc_u32_e32 v6, 29, v6
	v_lshlrev_b32_e32 v7, v7, v2
	v_bfe_u32 v2, v2, 3, 4
	s_delay_alu instid0(VALU_DEP_1) | instskip(NEXT) | instid1(VALU_DEP_3)
	v_cmp_eq_u32_e32 vcc_lo, 0, v2
	v_dual_cndmask_b32 v2, v2, v6 :: v_dual_and_b32 v7, 7, v7
	s_delay_alu instid0(VALU_DEP_1) | instskip(NEXT) | instid1(VALU_DEP_2)
	v_cndmask_b32_e32 v5, v5, v7, vcc_lo
	v_lshl_add_u32 v2, v2, 23, 0x3b800000
	s_delay_alu instid0(VALU_DEP_2) | instskip(NEXT) | instid1(VALU_DEP_1)
	v_lshlrev_b32_e32 v5, 20, v5
	v_or3_b32 v2, v3, v2, v5
	s_delay_alu instid0(VALU_DEP_1)
	v_cvt_i32_f32_e32 v2, v2
.LBB432_805:
	s_or_b32 exec_lo, exec_lo, s24
.LBB432_806:
	s_mov_b32 s23, -1
.LBB432_807:
	s_mov_b32 s24, 0
.LBB432_808:
	s_delay_alu instid0(SALU_CYCLE_1)
	s_and_b32 vcc_lo, exec_lo, s24
	s_cbranch_vccz .LBB432_839
; %bb.809:
	v_cmp_lt_i16_e32 vcc_lo, 22, v4
	s_cbranch_vccz .LBB432_817
; %bb.810:
	v_cmp_gt_i16_e32 vcc_lo, 24, v4
	s_cbranch_vccnz .LBB432_820
; %bb.811:
	v_cmp_lt_i16_e32 vcc_lo, 24, v4
	s_cbranch_vccz .LBB432_821
; %bb.812:
	global_load_u8 v3, v[0:1], off
	s_mov_b32 s23, exec_lo
                                        ; implicit-def: $sgpr24
	s_waitcnt vmcnt(0)
	v_cmpx_lt_i16_e32 0x7f, v3
	s_xor_b32 s23, exec_lo, s23
	s_cbranch_execz .LBB432_833
; %bb.813:
	v_cmp_ne_u16_e32 vcc_lo, 0x80, v3
	s_mov_b32 s24, 0
	s_and_b32 s22, vcc_lo, exec_lo
	s_or_saveexec_b32 s23, s23
	v_mov_b32_e32 v2, s24
	s_xor_b32 exec_lo, exec_lo, s23
	s_cbranch_execnz .LBB432_834
.LBB432_814:
	s_or_b32 exec_lo, exec_lo, s23
	s_and_saveexec_b32 s23, s22
	s_cbranch_execz .LBB432_816
.LBB432_815:
	v_and_b32_e32 v2, 0xffff, v3
	v_lshlrev_b32_e32 v3, 24, v3
	s_delay_alu instid0(VALU_DEP_2) | instskip(NEXT) | instid1(VALU_DEP_2)
	v_and_b32_e32 v5, 3, v2
	v_and_b32_e32 v3, 0x80000000, v3
	s_delay_alu instid0(VALU_DEP_2) | instskip(NEXT) | instid1(VALU_DEP_1)
	v_clz_i32_u32_e32 v6, v5
	v_min_u32_e32 v6, 32, v6
	s_delay_alu instid0(VALU_DEP_1) | instskip(SKIP_1) | instid1(VALU_DEP_2)
	v_subrev_nc_u32_e32 v7, 29, v6
	v_sub_nc_u32_e32 v6, 30, v6
	v_lshlrev_b32_e32 v7, v7, v2
	v_bfe_u32 v2, v2, 2, 5
	s_delay_alu instid0(VALU_DEP_1) | instskip(NEXT) | instid1(VALU_DEP_3)
	v_cmp_eq_u32_e32 vcc_lo, 0, v2
	v_dual_cndmask_b32 v2, v2, v6 :: v_dual_and_b32 v7, 3, v7
	s_delay_alu instid0(VALU_DEP_1) | instskip(NEXT) | instid1(VALU_DEP_2)
	v_cndmask_b32_e32 v5, v5, v7, vcc_lo
	v_lshl_add_u32 v2, v2, 23, 0x37800000
	s_delay_alu instid0(VALU_DEP_2) | instskip(NEXT) | instid1(VALU_DEP_1)
	v_lshlrev_b32_e32 v5, 21, v5
	v_or3_b32 v2, v3, v2, v5
	s_delay_alu instid0(VALU_DEP_1)
	v_cvt_i32_f32_e32 v2, v2
.LBB432_816:
	s_or_b32 exec_lo, exec_lo, s23
	s_mov_b32 s22, 0
	s_branch .LBB432_822
.LBB432_817:
	s_mov_b32 s22, -1
                                        ; implicit-def: $vgpr2
	s_branch .LBB432_828
.LBB432_818:
	s_or_saveexec_b32 s24, s24
	v_mov_b32_e32 v2, s25
	s_xor_b32 exec_lo, exec_lo, s24
	s_cbranch_execz .LBB432_803
.LBB432_819:
	v_cmp_ne_u16_e32 vcc_lo, 0, v3
	v_mov_b32_e32 v2, 0
	s_and_not1_b32 s23, s23, exec_lo
	s_and_b32 s25, vcc_lo, exec_lo
	s_delay_alu instid0(SALU_CYCLE_1)
	s_or_b32 s23, s23, s25
	s_or_b32 exec_lo, exec_lo, s24
	s_and_saveexec_b32 s24, s23
	s_cbranch_execnz .LBB432_804
	s_branch .LBB432_805
.LBB432_820:
	s_mov_b32 s22, -1
                                        ; implicit-def: $vgpr2
	s_branch .LBB432_825
.LBB432_821:
	s_mov_b32 s22, -1
                                        ; implicit-def: $vgpr2
.LBB432_822:
	s_delay_alu instid0(SALU_CYCLE_1)
	s_and_b32 vcc_lo, exec_lo, s22
	s_cbranch_vccz .LBB432_824
; %bb.823:
	global_load_u8 v2, v[0:1], off
	s_waitcnt vmcnt(0)
	v_lshlrev_b32_e32 v2, 24, v2
	s_delay_alu instid0(VALU_DEP_1) | instskip(NEXT) | instid1(VALU_DEP_1)
	v_and_b32_e32 v3, 0x7f000000, v2
	v_clz_i32_u32_e32 v5, v3
	v_add_nc_u32_e32 v7, 0x1000000, v3
	v_cmp_ne_u32_e32 vcc_lo, 0, v3
	s_delay_alu instid0(VALU_DEP_3) | instskip(NEXT) | instid1(VALU_DEP_1)
	v_min_u32_e32 v5, 32, v5
	v_sub_nc_u32_e64 v5, v5, 4 clamp
	s_delay_alu instid0(VALU_DEP_1) | instskip(SKIP_1) | instid1(VALU_DEP_2)
	v_lshlrev_b32_e32 v6, v5, v3
	v_lshlrev_b32_e32 v5, 23, v5
	v_lshrrev_b32_e32 v6, 4, v6
	s_delay_alu instid0(VALU_DEP_1) | instskip(SKIP_1) | instid1(VALU_DEP_2)
	v_sub_nc_u32_e32 v5, v6, v5
	v_ashrrev_i32_e32 v6, 8, v7
	v_add_nc_u32_e32 v5, 0x3c000000, v5
	s_delay_alu instid0(VALU_DEP_1) | instskip(NEXT) | instid1(VALU_DEP_1)
	v_and_or_b32 v5, 0x7f800000, v6, v5
	v_cndmask_b32_e32 v3, 0, v5, vcc_lo
	s_delay_alu instid0(VALU_DEP_1) | instskip(NEXT) | instid1(VALU_DEP_1)
	v_and_or_b32 v2, 0x80000000, v2, v3
	v_cvt_i32_f32_e32 v2, v2
.LBB432_824:
	s_mov_b32 s22, 0
.LBB432_825:
	s_delay_alu instid0(SALU_CYCLE_1)
	s_and_not1_b32 vcc_lo, exec_lo, s22
	s_cbranch_vccnz .LBB432_827
; %bb.826:
	global_load_u8 v2, v[0:1], off
	s_waitcnt vmcnt(0)
	v_lshlrev_b32_e32 v3, 25, v2
	v_lshlrev_b16 v2, 8, v2
	s_delay_alu instid0(VALU_DEP_2) | instskip(NEXT) | instid1(VALU_DEP_2)
	v_lshrrev_b32_e32 v5, 4, v3
	v_and_or_b32 v6, 0x7f00, v2, 0.5
	v_cmp_gt_u32_e32 vcc_lo, 0x8000000, v3
	v_bfe_i32 v2, v2, 0, 16
	s_delay_alu instid0(VALU_DEP_4) | instskip(NEXT) | instid1(VALU_DEP_1)
	v_or_b32_e32 v5, 0x70000000, v5
	v_dual_add_f32 v6, -0.5, v6 :: v_dual_mul_f32 v5, 0x7800000, v5
	s_delay_alu instid0(VALU_DEP_1) | instskip(NEXT) | instid1(VALU_DEP_1)
	v_cndmask_b32_e32 v3, v5, v6, vcc_lo
	v_and_or_b32 v2, 0x80000000, v2, v3
	s_delay_alu instid0(VALU_DEP_1)
	v_cvt_i32_f32_e32 v2, v2
.LBB432_827:
	s_mov_b32 s22, 0
	s_mov_b32 s23, -1
.LBB432_828:
	s_and_not1_b32 vcc_lo, exec_lo, s22
	s_mov_b32 s22, 0
	s_cbranch_vccnz .LBB432_839
; %bb.829:
	v_cmp_lt_i16_e32 vcc_lo, 14, v4
	s_cbranch_vccz .LBB432_832
; %bb.830:
	v_cmp_eq_u16_e32 vcc_lo, 15, v4
	s_cbranch_vccz .LBB432_835
; %bb.831:
	global_load_u16 v2, v[0:1], off
	s_mov_b32 s0, 0
	s_mov_b32 s23, -1
	s_waitcnt vmcnt(0)
	v_lshlrev_b32_e32 v2, 16, v2
	s_delay_alu instid0(VALU_DEP_1)
	v_cvt_i32_f32_e32 v2, v2
	s_branch .LBB432_837
.LBB432_832:
	s_mov_b32 s22, -1
	s_branch .LBB432_836
.LBB432_833:
	s_or_saveexec_b32 s23, s23
	v_mov_b32_e32 v2, s24
	s_xor_b32 exec_lo, exec_lo, s23
	s_cbranch_execz .LBB432_814
.LBB432_834:
	v_cmp_ne_u16_e32 vcc_lo, 0, v3
	v_mov_b32_e32 v2, 0
	s_and_not1_b32 s22, s22, exec_lo
	s_and_b32 s24, vcc_lo, exec_lo
	s_delay_alu instid0(SALU_CYCLE_1)
	s_or_b32 s22, s22, s24
	s_or_b32 exec_lo, exec_lo, s23
	s_and_saveexec_b32 s23, s22
	s_cbranch_execnz .LBB432_815
	s_branch .LBB432_816
.LBB432_835:
	s_mov_b32 s0, -1
.LBB432_836:
                                        ; implicit-def: $vgpr2
.LBB432_837:
	s_and_b32 vcc_lo, exec_lo, s22
	s_mov_b32 s22, 0
	s_cbranch_vccz .LBB432_839
; %bb.838:
	v_cmp_ne_u16_e32 vcc_lo, 11, v4
	s_and_not1_b32 s0, s0, exec_lo
	s_mov_b32 s22, -1
                                        ; implicit-def: $vgpr2
	s_and_b32 s24, vcc_lo, exec_lo
	s_delay_alu instid0(SALU_CYCLE_1)
	s_or_b32 s0, s0, s24
.LBB432_839:
	s_mov_b32 s25, 0
.LBB432_840:
	s_and_b32 s24, s23, exec_lo
	s_and_b32 s23, s25, exec_lo
	s_and_not1_b32 s25, s20, exec_lo
	s_and_b32 s26, s0, exec_lo
	s_and_b32 s0, s22, exec_lo
	s_or_b32 s22, s25, s26
.LBB432_841:
	s_or_b32 exec_lo, exec_lo, s13
	s_delay_alu instid0(SALU_CYCLE_1)
	s_and_not1_b32 s13, s20, exec_lo
	s_and_b32 s20, s22, exec_lo
	s_and_b32 s24, s24, exec_lo
	;; [unrolled: 1-line block ×4, first 2 shown]
	s_or_b32 s20, s13, s20
.LBB432_842:
	s_or_b32 exec_lo, exec_lo, s19
	s_delay_alu instid0(SALU_CYCLE_1)
	s_and_not1_b32 s0, s17, exec_lo
	s_and_b32 s13, s21, exec_lo
	s_and_b32 s21, s23, exec_lo
	s_or_b32 s17, s0, s13
	s_and_not1_b32 s13, s16, exec_lo
	s_and_b32 s16, s20, exec_lo
	s_and_b32 s0, s24, exec_lo
	;; [unrolled: 1-line block ×3, first 2 shown]
	s_or_b32 s16, s13, s16
.LBB432_843:
	s_or_b32 exec_lo, exec_lo, s18
	s_delay_alu instid0(SALU_CYCLE_1)
	s_and_not1_b32 s12, s12, exec_lo
	s_and_b32 s13, s17, exec_lo
	s_and_b32 s0, s0, exec_lo
	s_or_b32 s12, s12, s13
	s_and_not1_b32 s13, s14, exec_lo
	s_and_b32 s14, s16, exec_lo
	s_and_b32 s17, s21, exec_lo
	;; [unrolled: 1-line block ×3, first 2 shown]
	s_or_b32 s14, s13, s14
.LBB432_844:
	s_or_b32 exec_lo, exec_lo, s15
	s_mov_b32 s13, 0
	s_and_saveexec_b32 s15, s14
	s_cbranch_execnz .LBB432_856
; %bb.845:
	s_or_b32 exec_lo, exec_lo, s15
	s_and_saveexec_b32 s14, s16
	s_delay_alu instid0(SALU_CYCLE_1)
	s_xor_b32 s14, exec_lo, s14
	s_cbranch_execz .LBB432_847
.LBB432_846:
	global_load_u8 v2, v[0:1], off
	s_or_b32 s0, s0, exec_lo
	s_waitcnt vmcnt(0)
	v_cmp_ne_u16_e32 vcc_lo, 0, v2
	v_cndmask_b32_e64 v2, 0, 1, vcc_lo
.LBB432_847:
	s_or_b32 exec_lo, exec_lo, s14
	s_and_saveexec_b32 s14, s17
	s_cbranch_execz .LBB432_895
; %bb.848:
	v_cmp_gt_i16_e32 vcc_lo, 5, v4
	s_cbranch_vccnz .LBB432_853
; %bb.849:
	v_cmp_gt_i16_e32 vcc_lo, 8, v4
	s_cbranch_vccnz .LBB432_854
	;; [unrolled: 3-line block ×3, first 2 shown]
; %bb.851:
	v_cmp_lt_i16_e32 vcc_lo, 9, v4
	s_cbranch_vccz .LBB432_858
; %bb.852:
	global_load_b64 v[2:3], v[0:1], off
	s_mov_b32 s15, 0
	s_waitcnt vmcnt(0)
	v_cvt_i32_f64_e32 v2, v[2:3]
	s_branch .LBB432_859
.LBB432_853:
                                        ; implicit-def: $vgpr2
	s_branch .LBB432_876
.LBB432_854:
                                        ; implicit-def: $vgpr2
	s_branch .LBB432_865
.LBB432_855:
	s_mov_b32 s15, -1
                                        ; implicit-def: $vgpr2
	s_branch .LBB432_862
.LBB432_856:
	s_cbranch_execnz .LBB432_904
; %bb.857:
	s_mov_b32 s13, exec_lo
	s_and_not1_b32 s16, s16, exec_lo
                                        ; implicit-def: $vgpr2
	s_or_b32 exec_lo, exec_lo, s15
	s_and_saveexec_b32 s14, s16
	s_delay_alu instid0(SALU_CYCLE_1)
	s_xor_b32 s14, exec_lo, s14
	s_cbranch_execnz .LBB432_846
	s_branch .LBB432_847
.LBB432_858:
	s_mov_b32 s15, -1
                                        ; implicit-def: $vgpr2
.LBB432_859:
	s_delay_alu instid0(SALU_CYCLE_1)
	s_and_not1_b32 vcc_lo, exec_lo, s15
	s_cbranch_vccnz .LBB432_861
; %bb.860:
	global_load_b32 v2, v[0:1], off
	s_waitcnt vmcnt(0)
	v_cvt_i32_f32_e32 v2, v2
.LBB432_861:
	s_mov_b32 s15, 0
.LBB432_862:
	s_delay_alu instid0(SALU_CYCLE_1)
	s_and_not1_b32 vcc_lo, exec_lo, s15
	s_cbranch_vccnz .LBB432_864
; %bb.863:
	global_load_b32 v2, v[0:1], off
	s_waitcnt vmcnt(0)
	v_cvt_i16_f16_e32 v2, v2
.LBB432_864:
	s_cbranch_execnz .LBB432_875
.LBB432_865:
	v_cmp_gt_i16_e32 vcc_lo, 6, v4
	s_cbranch_vccnz .LBB432_868
; %bb.866:
	v_cmp_lt_i16_e32 vcc_lo, 6, v4
	s_cbranch_vccz .LBB432_869
; %bb.867:
	global_load_b64 v[2:3], v[0:1], off
	s_mov_b32 s15, 0
	s_waitcnt vmcnt(0)
	v_cvt_i32_f64_e32 v2, v[2:3]
	s_branch .LBB432_870
.LBB432_868:
	s_mov_b32 s15, -1
                                        ; implicit-def: $vgpr2
	s_branch .LBB432_873
.LBB432_869:
	s_mov_b32 s15, -1
                                        ; implicit-def: $vgpr2
.LBB432_870:
	s_delay_alu instid0(SALU_CYCLE_1)
	s_and_not1_b32 vcc_lo, exec_lo, s15
	s_cbranch_vccnz .LBB432_872
; %bb.871:
	global_load_b32 v2, v[0:1], off
	s_waitcnt vmcnt(0)
	v_cvt_i32_f32_e32 v2, v2
.LBB432_872:
	s_mov_b32 s15, 0
.LBB432_873:
	s_delay_alu instid0(SALU_CYCLE_1)
	s_and_not1_b32 vcc_lo, exec_lo, s15
	s_cbranch_vccnz .LBB432_875
; %bb.874:
	global_load_u16 v2, v[0:1], off
	s_waitcnt vmcnt(0)
	v_cvt_i16_f16_e32 v2, v2
.LBB432_875:
	s_cbranch_execnz .LBB432_894
.LBB432_876:
	v_cmp_gt_i16_e32 vcc_lo, 2, v4
	s_cbranch_vccnz .LBB432_880
; %bb.877:
	v_cmp_gt_i16_e32 vcc_lo, 3, v4
	s_cbranch_vccnz .LBB432_881
; %bb.878:
	v_cmp_lt_i16_e32 vcc_lo, 3, v4
	s_cbranch_vccz .LBB432_882
; %bb.879:
	global_load_b64 v[2:3], v[0:1], off
	s_mov_b32 s15, 0
	s_branch .LBB432_883
.LBB432_880:
                                        ; implicit-def: $vgpr2
	s_branch .LBB432_889
.LBB432_881:
	s_mov_b32 s15, -1
                                        ; implicit-def: $vgpr2
	s_branch .LBB432_886
.LBB432_882:
	s_mov_b32 s15, -1
                                        ; implicit-def: $vgpr2
.LBB432_883:
	s_delay_alu instid0(SALU_CYCLE_1)
	s_and_not1_b32 vcc_lo, exec_lo, s15
	s_cbranch_vccnz .LBB432_885
; %bb.884:
	global_load_b32 v2, v[0:1], off
.LBB432_885:
	s_mov_b32 s15, 0
.LBB432_886:
	s_delay_alu instid0(SALU_CYCLE_1)
	s_and_not1_b32 vcc_lo, exec_lo, s15
	s_cbranch_vccnz .LBB432_888
; %bb.887:
	global_load_u16 v2, v[0:1], off
.LBB432_888:
	s_cbranch_execnz .LBB432_894
.LBB432_889:
	v_cmp_lt_i16_e32 vcc_lo, 0, v4
	s_mov_b32 s15, 0
	s_cbranch_vccz .LBB432_891
; %bb.890:
	global_load_u8 v2, v[0:1], off
	s_branch .LBB432_892
.LBB432_891:
	s_mov_b32 s15, -1
                                        ; implicit-def: $vgpr2
.LBB432_892:
	s_delay_alu instid0(SALU_CYCLE_1)
	s_and_not1_b32 vcc_lo, exec_lo, s15
	s_cbranch_vccnz .LBB432_894
; %bb.893:
	global_load_u8 v2, v[0:1], off
.LBB432_894:
	s_or_b32 s0, s0, exec_lo
.LBB432_895:
	s_or_b32 exec_lo, exec_lo, s14
	s_mov_b32 s16, 0
	s_mov_b32 s15, 0
                                        ; implicit-def: $vgpr4
                                        ; implicit-def: $vgpr0_vgpr1
                                        ; implicit-def: $vgpr3
	s_and_saveexec_b32 s14, s0
	s_cbranch_execz .LBB432_975
; %bb.896:
	v_mul_lo_u32 v0, v9, s2
	s_waitcnt vmcnt(0)
	s_delay_alu instid0(VALU_DEP_2)
	v_bfe_i32 v1, v2, 0, 8
	v_and_b32_e64 v4, 0xff, s1
	s_bfe_i32 s0, s8, 0x80000
	s_delay_alu instid0(VALU_DEP_2) | instid1(SALU_CYCLE_1)
	v_min_i16 v3, v1, s0
	s_delay_alu instid0(VALU_DEP_2) | instskip(SKIP_2) | instid1(VALU_DEP_1)
	v_cmp_gt_i16_e32 vcc_lo, 11, v4
	v_ashrrev_i32_e32 v1, 31, v0
	v_add_co_u32 v0, s0, s4, v0
	v_add_co_ci_u32_e64 v1, s0, s5, v1, s0
	s_cbranch_vccnz .LBB432_903
; %bb.897:
	v_cmp_lt_i16_e32 vcc_lo, 25, v4
	s_mov_b32 s15, -1
	s_mov_b32 s0, s12
	s_cbranch_vccz .LBB432_933
; %bb.898:
	v_cmp_lt_i16_e32 vcc_lo, 28, v4
	s_mov_b32 s0, s12
	s_cbranch_vccz .LBB432_917
; %bb.899:
	v_cmp_lt_i16_e32 vcc_lo, 43, v4
	;; [unrolled: 4-line block ×3, first 2 shown]
	s_mov_b32 s0, s12
	s_cbranch_vccz .LBB432_907
; %bb.901:
	v_cmp_eq_u16_e32 vcc_lo, 46, v4
	s_mov_b32 s0, -1
	s_cbranch_vccz .LBB432_906
; %bb.902:
	v_bfe_i32 v2, v3, 0, 16
	s_mov_b32 s0, 0
	s_mov_b32 s15, 0
	s_delay_alu instid0(VALU_DEP_1) | instskip(NEXT) | instid1(VALU_DEP_1)
	v_cvt_f32_i32_e32 v2, v2
	v_bfe_u32 v5, v2, 16, 1
	s_delay_alu instid0(VALU_DEP_1) | instskip(NEXT) | instid1(VALU_DEP_1)
	v_add3_u32 v2, v2, v5, 0x7fff
	v_lshrrev_b32_e32 v2, 16, v2
	global_store_b32 v[0:1], v2, off
	s_branch .LBB432_907
.LBB432_903:
	s_mov_b32 s15, -1
	s_mov_b32 s0, s12
	s_branch .LBB432_974
.LBB432_904:
	s_trap 2
	s_sendmsg_rtn_b32 s0, sendmsg(MSG_RTN_GET_DOORBELL)
	s_mov_b32 ttmp2, m0
	s_waitcnt lgkmcnt(0)
	s_and_b32 s0, s0, 0x3ff
	s_delay_alu instid0(SALU_CYCLE_1) | instskip(NEXT) | instid1(SALU_CYCLE_1)
	s_bitset1_b32 s0, 10
	s_mov_b32 m0, s0
	s_sendmsg sendmsg(MSG_INTERRUPT)
	s_mov_b32 m0, ttmp2
.LBB432_905:                            ; =>This Inner Loop Header: Depth=1
	s_sethalt 5
	s_branch .LBB432_905
.LBB432_906:
	s_mov_b32 s15, 0
.LBB432_907:
	s_delay_alu instid0(SALU_CYCLE_1)
	s_and_b32 vcc_lo, exec_lo, s15
	s_cbranch_vccz .LBB432_912
; %bb.908:
	v_cmp_eq_u16_e32 vcc_lo, 44, v4
	s_mov_b32 s0, -1
	s_cbranch_vccz .LBB432_912
; %bb.909:
	v_bfe_i32 v2, v3, 0, 16
	v_mov_b32_e32 v5, 0xff
	s_mov_b32 s15, exec_lo
	s_delay_alu instid0(VALU_DEP_2) | instskip(NEXT) | instid1(VALU_DEP_1)
	v_cvt_f32_i32_e32 v2, v2
	v_bfe_u32 v6, v2, 23, 8
	s_delay_alu instid0(VALU_DEP_1)
	v_cmpx_ne_u32_e32 0xff, v6
; %bb.910:
	v_and_b32_e32 v5, 0x400000, v2
	v_and_or_b32 v6, 0x3fffff, v2, v6
	v_lshrrev_b32_e32 v2, 23, v2
	s_delay_alu instid0(VALU_DEP_3) | instskip(NEXT) | instid1(VALU_DEP_3)
	v_cmp_ne_u32_e32 vcc_lo, 0, v5
	v_cmp_ne_u32_e64 s0, 0, v6
	s_delay_alu instid0(VALU_DEP_1) | instskip(NEXT) | instid1(SALU_CYCLE_1)
	s_and_b32 s0, vcc_lo, s0
	v_cndmask_b32_e64 v5, 0, 1, s0
	s_delay_alu instid0(VALU_DEP_1)
	v_add_nc_u32_e32 v5, v2, v5
; %bb.911:
	s_or_b32 exec_lo, exec_lo, s15
	s_mov_b32 s0, 0
	global_store_b8 v[0:1], v5, off
.LBB432_912:
	s_mov_b32 s15, 0
.LBB432_913:
	s_delay_alu instid0(SALU_CYCLE_1)
	s_and_b32 vcc_lo, exec_lo, s15
	s_cbranch_vccz .LBB432_916
; %bb.914:
	v_cmp_eq_u16_e32 vcc_lo, 29, v4
	s_mov_b32 s0, -1
	s_cbranch_vccz .LBB432_916
; %bb.915:
	v_bfe_i32 v5, v3, 0, 16
	s_mov_b32 s0, 0
	s_mov_b32 s15, 0
	s_delay_alu instid0(VALU_DEP_1)
	v_ashrrev_i32_e32 v6, 31, v5
	global_store_b64 v[0:1], v[5:6], off
	s_branch .LBB432_917
.LBB432_916:
	s_mov_b32 s15, 0
.LBB432_917:
	s_delay_alu instid0(SALU_CYCLE_1)
	s_and_b32 vcc_lo, exec_lo, s15
	s_cbranch_vccz .LBB432_932
; %bb.918:
	v_cmp_gt_i16_e32 vcc_lo, 27, v4
	s_mov_b32 s15, -1
	s_cbranch_vccnz .LBB432_924
; %bb.919:
	v_cmp_lt_i16_e32 vcc_lo, 27, v4
	s_cbranch_vccz .LBB432_921
; %bb.920:
	v_bfe_i32 v2, v3, 0, 16
	s_mov_b32 s15, 0
	global_store_b32 v[0:1], v2, off
.LBB432_921:
	s_and_not1_b32 vcc_lo, exec_lo, s15
	s_cbranch_vccnz .LBB432_923
; %bb.922:
	global_store_b16 v[0:1], v3, off
.LBB432_923:
	s_mov_b32 s15, 0
.LBB432_924:
	s_delay_alu instid0(SALU_CYCLE_1)
	s_and_not1_b32 vcc_lo, exec_lo, s15
	s_cbranch_vccnz .LBB432_932
; %bb.925:
	v_bfe_i32 v2, v3, 0, 16
	v_mov_b32_e32 v6, 0x80
	s_mov_b32 s15, exec_lo
	s_delay_alu instid0(VALU_DEP_2) | instskip(NEXT) | instid1(VALU_DEP_1)
	v_cvt_f32_i32_e32 v2, v2
	v_and_b32_e32 v5, 0x7fffffff, v2
	s_delay_alu instid0(VALU_DEP_1)
	v_cmpx_gt_u32_e32 0x43800000, v5
	s_cbranch_execz .LBB432_931
; %bb.926:
	v_cmp_lt_u32_e32 vcc_lo, 0x3bffffff, v5
                                        ; implicit-def: $vgpr5
	s_and_saveexec_b32 s17, vcc_lo
	s_delay_alu instid0(SALU_CYCLE_1)
	s_xor_b32 s17, exec_lo, s17
	s_cbranch_execz .LBB432_1161
; %bb.927:
	v_bfe_u32 v5, v2, 20, 1
	s_mov_b32 s16, exec_lo
	s_delay_alu instid0(VALU_DEP_1) | instskip(NEXT) | instid1(VALU_DEP_1)
	v_add3_u32 v5, v2, v5, 0x487ffff
	v_lshrrev_b32_e32 v5, 20, v5
	s_or_saveexec_b32 s17, s17
                                        ; implicit-def: $sgpr18
	s_delay_alu instid0(SALU_CYCLE_1)
	s_xor_b32 exec_lo, exec_lo, s17
	s_cbranch_execnz .LBB432_1162
.LBB432_928:
	s_or_b32 exec_lo, exec_lo, s17
	v_mov_b32_e32 v6, s18
	s_and_saveexec_b32 s17, s16
.LBB432_929:
	v_lshrrev_b32_e32 v2, 24, v2
	s_delay_alu instid0(VALU_DEP_1)
	v_and_or_b32 v6, 0x80, v2, v5
.LBB432_930:
	s_or_b32 exec_lo, exec_lo, s17
.LBB432_931:
	s_delay_alu instid0(SALU_CYCLE_1)
	s_or_b32 exec_lo, exec_lo, s15
	global_store_b8 v[0:1], v6, off
.LBB432_932:
	s_mov_b32 s15, 0
.LBB432_933:
	s_delay_alu instid0(SALU_CYCLE_1)
	s_and_b32 vcc_lo, exec_lo, s15
	s_mov_b32 s15, 0
	s_cbranch_vccz .LBB432_973
; %bb.934:
	v_cmp_lt_i16_e32 vcc_lo, 22, v4
	s_mov_b32 s16, -1
	s_cbranch_vccz .LBB432_966
; %bb.935:
	v_cmp_gt_i16_e32 vcc_lo, 24, v4
	s_cbranch_vccnz .LBB432_955
; %bb.936:
	v_cmp_lt_i16_e32 vcc_lo, 24, v4
	s_cbranch_vccz .LBB432_944
; %bb.937:
	v_bfe_i32 v2, v3, 0, 16
	v_mov_b32_e32 v6, 0x80
	s_mov_b32 s16, exec_lo
	s_delay_alu instid0(VALU_DEP_2) | instskip(NEXT) | instid1(VALU_DEP_1)
	v_cvt_f32_i32_e32 v2, v2
	v_and_b32_e32 v5, 0x7fffffff, v2
	s_delay_alu instid0(VALU_DEP_1)
	v_cmpx_gt_u32_e32 0x47800000, v5
	s_cbranch_execz .LBB432_943
; %bb.938:
	v_cmp_lt_u32_e32 vcc_lo, 0x37ffffff, v5
	s_mov_b32 s17, 0
                                        ; implicit-def: $vgpr5
	s_and_saveexec_b32 s18, vcc_lo
	s_delay_alu instid0(SALU_CYCLE_1)
	s_xor_b32 s18, exec_lo, s18
	s_cbranch_execz .LBB432_1205
; %bb.939:
	v_bfe_u32 v5, v2, 21, 1
	s_mov_b32 s17, exec_lo
	s_delay_alu instid0(VALU_DEP_1) | instskip(NEXT) | instid1(VALU_DEP_1)
	v_add3_u32 v5, v2, v5, 0x88fffff
	v_lshrrev_b32_e32 v5, 21, v5
	s_or_saveexec_b32 s18, s18
                                        ; implicit-def: $sgpr19
	s_delay_alu instid0(SALU_CYCLE_1)
	s_xor_b32 exec_lo, exec_lo, s18
	s_cbranch_execnz .LBB432_1206
.LBB432_940:
	s_or_b32 exec_lo, exec_lo, s18
	v_mov_b32_e32 v6, s19
	s_and_saveexec_b32 s18, s17
.LBB432_941:
	v_lshrrev_b32_e32 v2, 24, v2
	s_delay_alu instid0(VALU_DEP_1)
	v_and_or_b32 v6, 0x80, v2, v5
.LBB432_942:
	s_or_b32 exec_lo, exec_lo, s18
.LBB432_943:
	s_delay_alu instid0(SALU_CYCLE_1)
	s_or_b32 exec_lo, exec_lo, s16
	s_mov_b32 s16, 0
	global_store_b8 v[0:1], v6, off
.LBB432_944:
	s_and_b32 vcc_lo, exec_lo, s16
	s_cbranch_vccz .LBB432_954
; %bb.945:
	v_bfe_i32 v2, v3, 0, 16
	s_mov_b32 s16, exec_lo
                                        ; implicit-def: $vgpr5
	s_delay_alu instid0(VALU_DEP_1) | instskip(NEXT) | instid1(VALU_DEP_1)
	v_cvt_f32_i32_e32 v2, v2
	v_and_b32_e32 v6, 0x7fffffff, v2
	s_delay_alu instid0(VALU_DEP_1)
	v_cmpx_gt_u32_e32 0x43f00000, v6
	s_xor_b32 s16, exec_lo, s16
	s_cbranch_execz .LBB432_951
; %bb.946:
	s_mov_b32 s17, exec_lo
                                        ; implicit-def: $vgpr5
	v_cmpx_lt_u32_e32 0x3c7fffff, v6
	s_xor_b32 s17, exec_lo, s17
; %bb.947:
	v_bfe_u32 v5, v2, 20, 1
	s_delay_alu instid0(VALU_DEP_1) | instskip(NEXT) | instid1(VALU_DEP_1)
	v_add3_u32 v5, v2, v5, 0x407ffff
	v_and_b32_e32 v6, 0xff00000, v5
	v_lshrrev_b32_e32 v5, 20, v5
	s_delay_alu instid0(VALU_DEP_2) | instskip(NEXT) | instid1(VALU_DEP_2)
	v_cmp_ne_u32_e32 vcc_lo, 0x7f00000, v6
	v_cndmask_b32_e32 v5, 0x7e, v5, vcc_lo
; %bb.948:
	s_and_not1_saveexec_b32 s17, s17
; %bb.949:
	v_add_f32_e64 v5, 0x46800000, |v2|
; %bb.950:
	s_or_b32 exec_lo, exec_lo, s17
                                        ; implicit-def: $vgpr6
.LBB432_951:
	s_and_not1_saveexec_b32 s16, s16
; %bb.952:
	v_mov_b32_e32 v5, 0x7f
	v_cmp_lt_u32_e32 vcc_lo, 0x7f800000, v6
	s_delay_alu instid0(VALU_DEP_2)
	v_cndmask_b32_e32 v5, 0x7e, v5, vcc_lo
; %bb.953:
	s_or_b32 exec_lo, exec_lo, s16
	v_lshrrev_b32_e32 v2, 24, v2
	s_delay_alu instid0(VALU_DEP_1)
	v_and_or_b32 v2, 0x80, v2, v5
	global_store_b8 v[0:1], v2, off
.LBB432_954:
	s_mov_b32 s16, 0
.LBB432_955:
	s_delay_alu instid0(SALU_CYCLE_1)
	s_and_not1_b32 vcc_lo, exec_lo, s16
	s_cbranch_vccnz .LBB432_965
; %bb.956:
	v_bfe_i32 v2, v3, 0, 16
	s_mov_b32 s16, exec_lo
                                        ; implicit-def: $vgpr5
	s_delay_alu instid0(VALU_DEP_1) | instskip(NEXT) | instid1(VALU_DEP_1)
	v_cvt_f32_i32_e32 v2, v2
	v_and_b32_e32 v6, 0x7fffffff, v2
	s_delay_alu instid0(VALU_DEP_1)
	v_cmpx_gt_u32_e32 0x47800000, v6
	s_xor_b32 s16, exec_lo, s16
	s_cbranch_execz .LBB432_962
; %bb.957:
	s_mov_b32 s17, exec_lo
                                        ; implicit-def: $vgpr5
	v_cmpx_lt_u32_e32 0x387fffff, v6
	s_xor_b32 s17, exec_lo, s17
; %bb.958:
	v_bfe_u32 v5, v2, 21, 1
	s_delay_alu instid0(VALU_DEP_1) | instskip(NEXT) | instid1(VALU_DEP_1)
	v_add3_u32 v5, v2, v5, 0x80fffff
	v_lshrrev_b32_e32 v5, 21, v5
; %bb.959:
	s_and_not1_saveexec_b32 s17, s17
; %bb.960:
	v_add_f32_e64 v5, 0x43000000, |v2|
; %bb.961:
	s_or_b32 exec_lo, exec_lo, s17
                                        ; implicit-def: $vgpr6
.LBB432_962:
	s_and_not1_saveexec_b32 s16, s16
; %bb.963:
	v_mov_b32_e32 v5, 0x7f
	v_cmp_lt_u32_e32 vcc_lo, 0x7f800000, v6
	s_delay_alu instid0(VALU_DEP_2)
	v_cndmask_b32_e32 v5, 0x7c, v5, vcc_lo
; %bb.964:
	s_or_b32 exec_lo, exec_lo, s16
	v_lshrrev_b32_e32 v2, 24, v2
	s_delay_alu instid0(VALU_DEP_1)
	v_and_or_b32 v2, 0x80, v2, v5
	global_store_b8 v[0:1], v2, off
.LBB432_965:
	s_mov_b32 s16, 0
.LBB432_966:
	s_delay_alu instid0(SALU_CYCLE_1)
	s_and_not1_b32 vcc_lo, exec_lo, s16
	s_mov_b32 s16, 0
	s_cbranch_vccnz .LBB432_974
; %bb.967:
	v_cmp_lt_i16_e32 vcc_lo, 14, v4
	s_mov_b32 s16, -1
	s_cbranch_vccz .LBB432_971
; %bb.968:
	v_cmp_eq_u16_e32 vcc_lo, 15, v4
	s_mov_b32 s0, -1
	s_cbranch_vccz .LBB432_970
; %bb.969:
	v_bfe_i32 v2, v3, 0, 16
	s_mov_b32 s0, 0
	s_delay_alu instid0(VALU_DEP_1) | instskip(NEXT) | instid1(VALU_DEP_1)
	v_cvt_f32_i32_e32 v2, v2
	v_bfe_u32 v5, v2, 16, 1
	s_delay_alu instid0(VALU_DEP_1)
	v_add3_u32 v2, v2, v5, 0x7fff
	global_store_d16_hi_b16 v[0:1], v2, off
.LBB432_970:
	s_mov_b32 s16, 0
.LBB432_971:
	s_delay_alu instid0(SALU_CYCLE_1)
	s_and_b32 vcc_lo, exec_lo, s16
	s_mov_b32 s16, 0
	s_cbranch_vccz .LBB432_974
; %bb.972:
	v_cmp_ne_u16_e32 vcc_lo, 11, v4
	s_and_not1_b32 s0, s0, exec_lo
	s_mov_b32 s16, -1
	s_and_b32 s17, vcc_lo, exec_lo
	s_delay_alu instid0(SALU_CYCLE_1)
	s_or_b32 s0, s0, s17
	s_branch .LBB432_974
.LBB432_973:
	s_mov_b32 s16, 0
.LBB432_974:
	s_and_not1_b32 s12, s12, exec_lo
	s_and_b32 s0, s0, exec_lo
	s_and_b32 s15, s15, exec_lo
	s_and_b32 s16, s16, exec_lo
	s_or_b32 s12, s12, s0
.LBB432_975:
	s_or_b32 exec_lo, exec_lo, s14
	s_and_saveexec_b32 s0, s12
	s_cbranch_execnz .LBB432_1037
; %bb.976:
	s_or_b32 exec_lo, exec_lo, s0
	s_and_saveexec_b32 s0, s16
	s_delay_alu instid0(SALU_CYCLE_1)
	s_xor_b32 s0, exec_lo, s0
	s_cbranch_execz .LBB432_978
.LBB432_977:
	s_waitcnt vmcnt(0)
	v_and_b32_e32 v2, 0xff, v3
	s_delay_alu instid0(VALU_DEP_1)
	v_cmp_ne_u16_e32 vcc_lo, 0, v2
	v_cndmask_b32_e64 v2, 0, 1, vcc_lo
	global_store_b8 v[0:1], v2, off
.LBB432_978:
	s_or_b32 exec_lo, exec_lo, s0
	s_and_saveexec_b32 s0, s15
	s_delay_alu instid0(SALU_CYCLE_1)
	s_xor_b32 s0, exec_lo, s0
	s_cbranch_execz .LBB432_1016
; %bb.979:
	v_cmp_gt_i16_e32 vcc_lo, 5, v4
	s_mov_b32 s12, -1
	s_cbranch_vccnz .LBB432_1000
; %bb.980:
	v_cmp_gt_i16_e32 vcc_lo, 8, v4
	s_cbranch_vccnz .LBB432_990
; %bb.981:
	v_cmp_gt_i16_e32 vcc_lo, 9, v4
	s_cbranch_vccnz .LBB432_987
; %bb.982:
	v_cmp_lt_i16_e32 vcc_lo, 9, v4
	s_cbranch_vccz .LBB432_984
; %bb.983:
	s_waitcnt vmcnt(0)
	v_bfe_i32 v2, v3, 0, 8
	v_mov_b32_e32 v7, 0
	s_mov_b32 s12, 0
	s_delay_alu instid0(VALU_DEP_2) | instskip(NEXT) | instid1(VALU_DEP_2)
	v_bfe_i32 v2, v2, 0, 16
	v_mov_b32_e32 v8, v7
	s_delay_alu instid0(VALU_DEP_2)
	v_cvt_f64_i32_e32 v[5:6], v2
	global_store_b128 v[0:1], v[5:8], off
.LBB432_984:
	s_and_not1_b32 vcc_lo, exec_lo, s12
	s_cbranch_vccnz .LBB432_986
; %bb.985:
	s_waitcnt vmcnt(0)
	v_bfe_i32 v2, v3, 0, 8
	v_mov_b32_e32 v6, 0
	s_delay_alu instid0(VALU_DEP_2) | instskip(NEXT) | instid1(VALU_DEP_1)
	v_bfe_i32 v2, v2, 0, 16
	v_cvt_f32_i32_e32 v5, v2
	global_store_b64 v[0:1], v[5:6], off
.LBB432_986:
	s_mov_b32 s12, 0
.LBB432_987:
	s_delay_alu instid0(SALU_CYCLE_1)
	s_and_not1_b32 vcc_lo, exec_lo, s12
	s_cbranch_vccnz .LBB432_989
; %bb.988:
	s_waitcnt vmcnt(0)
	v_bfe_i32 v2, v3, 0, 8
	s_delay_alu instid0(VALU_DEP_1) | instskip(NEXT) | instid1(VALU_DEP_1)
	v_cvt_f16_i16_e32 v2, v2
	v_and_b32_e32 v2, 0xffff, v2
	global_store_b32 v[0:1], v2, off
.LBB432_989:
	s_mov_b32 s12, 0
.LBB432_990:
	s_delay_alu instid0(SALU_CYCLE_1)
	s_and_not1_b32 vcc_lo, exec_lo, s12
	s_cbranch_vccnz .LBB432_999
; %bb.991:
	v_cmp_gt_i16_e32 vcc_lo, 6, v4
	s_mov_b32 s12, -1
	s_cbranch_vccnz .LBB432_997
; %bb.992:
	v_cmp_lt_i16_e32 vcc_lo, 6, v4
	s_cbranch_vccz .LBB432_994
; %bb.993:
	s_waitcnt vmcnt(0)
	v_bfe_i32 v2, v3, 0, 8
	s_mov_b32 s12, 0
	s_delay_alu instid0(VALU_DEP_1) | instskip(NEXT) | instid1(VALU_DEP_1)
	v_bfe_i32 v2, v2, 0, 16
	v_cvt_f64_i32_e32 v[5:6], v2
	global_store_b64 v[0:1], v[5:6], off
.LBB432_994:
	s_and_not1_b32 vcc_lo, exec_lo, s12
	s_cbranch_vccnz .LBB432_996
; %bb.995:
	s_waitcnt vmcnt(0)
	v_bfe_i32 v2, v3, 0, 8
	s_delay_alu instid0(VALU_DEP_1) | instskip(NEXT) | instid1(VALU_DEP_1)
	v_bfe_i32 v2, v2, 0, 16
	v_cvt_f32_i32_e32 v2, v2
	global_store_b32 v[0:1], v2, off
.LBB432_996:
	s_mov_b32 s12, 0
.LBB432_997:
	s_delay_alu instid0(SALU_CYCLE_1)
	s_and_not1_b32 vcc_lo, exec_lo, s12
	s_cbranch_vccnz .LBB432_999
; %bb.998:
	s_waitcnt vmcnt(0)
	v_bfe_i32 v2, v3, 0, 8
	s_delay_alu instid0(VALU_DEP_1)
	v_cvt_f16_i16_e32 v2, v2
	global_store_b16 v[0:1], v2, off
.LBB432_999:
	s_mov_b32 s12, 0
.LBB432_1000:
	s_delay_alu instid0(SALU_CYCLE_1)
	s_and_not1_b32 vcc_lo, exec_lo, s12
	s_cbranch_vccnz .LBB432_1016
; %bb.1001:
	v_cmp_gt_i16_e32 vcc_lo, 2, v4
	s_mov_b32 s12, -1
	s_cbranch_vccnz .LBB432_1011
; %bb.1002:
	v_cmp_gt_i16_e32 vcc_lo, 3, v4
	s_cbranch_vccnz .LBB432_1008
; %bb.1003:
	v_cmp_lt_i16_e32 vcc_lo, 3, v4
	s_cbranch_vccz .LBB432_1005
; %bb.1004:
	s_waitcnt vmcnt(0)
	v_bfe_i32 v5, v3, 0, 8
	s_mov_b32 s12, 0
	s_delay_alu instid0(VALU_DEP_1)
	v_ashrrev_i32_e32 v6, 31, v5
	global_store_b64 v[0:1], v[5:6], off
.LBB432_1005:
	s_and_not1_b32 vcc_lo, exec_lo, s12
	s_cbranch_vccnz .LBB432_1007
; %bb.1006:
	s_waitcnt vmcnt(0)
	v_bfe_i32 v2, v3, 0, 8
	global_store_b32 v[0:1], v2, off
.LBB432_1007:
	s_mov_b32 s12, 0
.LBB432_1008:
	s_delay_alu instid0(SALU_CYCLE_1)
	s_and_not1_b32 vcc_lo, exec_lo, s12
	s_cbranch_vccnz .LBB432_1010
; %bb.1009:
	s_waitcnt vmcnt(0)
	v_bfe_i32 v2, v3, 0, 8
	global_store_b16 v[0:1], v2, off
.LBB432_1010:
	s_mov_b32 s12, 0
.LBB432_1011:
	s_delay_alu instid0(SALU_CYCLE_1)
	s_and_not1_b32 vcc_lo, exec_lo, s12
	s_cbranch_vccnz .LBB432_1016
; %bb.1012:
	v_cmp_lt_i16_e32 vcc_lo, 0, v4
	s_mov_b32 s12, -1
	s_cbranch_vccz .LBB432_1014
; %bb.1013:
	s_mov_b32 s12, 0
	s_waitcnt vmcnt(0)
	global_store_b8 v[0:1], v3, off
.LBB432_1014:
	s_and_not1_b32 vcc_lo, exec_lo, s12
	s_cbranch_vccnz .LBB432_1016
; %bb.1015:
	s_waitcnt vmcnt(0)
	global_store_b8 v[0:1], v3, off
.LBB432_1016:
	s_or_b32 exec_lo, exec_lo, s0
	s_delay_alu instid0(SALU_CYCLE_1)
	s_and_b32 s12, s13, exec_lo
                                        ; implicit-def: $vgpr9
.LBB432_1017:
	s_or_saveexec_b32 s11, s11
	s_mov_b32 s0, 0
                                        ; implicit-def: $vgpr7
                                        ; implicit-def: $vgpr0_vgpr1
                                        ; implicit-def: $vgpr2
	s_xor_b32 exec_lo, exec_lo, s11
	s_cbranch_execz .LBB432_1965
; %bb.1018:
	s_waitcnt vmcnt(0)
	v_mul_lo_u32 v2, s3, v9
	v_and_b32_e64 v10, 0xff, s10
	s_delay_alu instid0(VALU_DEP_1) | instskip(NEXT) | instid1(VALU_DEP_3)
	v_cmp_gt_i16_e32 vcc_lo, 11, v10
	v_ashrrev_i32_e32 v1, 31, v2
	v_add_co_u32 v0, s0, s6, v2
	s_delay_alu instid0(VALU_DEP_1)
	v_add_co_ci_u32_e64 v1, s0, s7, v1, s0
	s_cbranch_vccnz .LBB432_1025
; %bb.1019:
	v_cmp_lt_i16_e32 vcc_lo, 25, v10
	s_mov_b32 s10, 0
	s_cbranch_vccz .LBB432_1031
; %bb.1020:
	v_cmp_lt_i16_e32 vcc_lo, 28, v10
	s_cbranch_vccz .LBB432_1033
; %bb.1021:
	v_cmp_lt_i16_e32 vcc_lo, 43, v10
	;; [unrolled: 3-line block ×3, first 2 shown]
	s_cbranch_vccz .LBB432_1039
; %bb.1023:
	v_cmp_eq_u16_e32 vcc_lo, 46, v10
	s_cbranch_vccz .LBB432_1079
; %bb.1024:
	global_load_b32 v3, v[0:1], off
	s_mov_b32 s0, 0
	s_mov_b32 s13, -1
	s_waitcnt vmcnt(0)
	v_lshlrev_b32_e32 v3, 16, v3
	s_delay_alu instid0(VALU_DEP_1)
	v_cvt_i32_f32_e32 v6, v3
	s_branch .LBB432_1081
.LBB432_1025:
	s_mov_b32 s13, 0
	s_mov_b32 s9, s12
                                        ; implicit-def: $vgpr6
	s_cbranch_execz .LBB432_1139
; %bb.1026:
	v_cmp_gt_i16_e32 vcc_lo, 5, v10
	s_cbranch_vccnz .LBB432_1032
; %bb.1027:
	v_cmp_gt_i16_e32 vcc_lo, 8, v10
	s_cbranch_vccnz .LBB432_1034
	;; [unrolled: 3-line block ×3, first 2 shown]
; %bb.1029:
	v_cmp_lt_i16_e32 vcc_lo, 9, v10
	s_cbranch_vccz .LBB432_1040
; %bb.1030:
	global_load_b64 v[3:4], v[0:1], off
	s_mov_b32 s0, 0
	s_waitcnt vmcnt(0)
	v_cvt_i32_f64_e32 v6, v[3:4]
	s_branch .LBB432_1041
.LBB432_1031:
	s_mov_b32 s13, 0
	s_mov_b32 s0, 0
                                        ; implicit-def: $vgpr6
	s_cbranch_execnz .LBB432_1106
	s_branch .LBB432_1135
.LBB432_1032:
                                        ; implicit-def: $vgpr6
	s_branch .LBB432_1058
.LBB432_1033:
	s_mov_b32 s13, 0
	s_mov_b32 s0, 0
                                        ; implicit-def: $vgpr6
	s_cbranch_execz .LBB432_1105
	s_branch .LBB432_1090
.LBB432_1034:
                                        ; implicit-def: $vgpr6
	s_branch .LBB432_1047
.LBB432_1035:
	s_mov_b32 s13, 0
	s_mov_b32 s0, 0
                                        ; implicit-def: $vgpr6
	s_cbranch_execnz .LBB432_1086
	s_branch .LBB432_1089
.LBB432_1036:
	s_mov_b32 s0, -1
                                        ; implicit-def: $vgpr6
	s_branch .LBB432_1044
.LBB432_1037:
	s_cbranch_execnz .LBB432_1077
; %bb.1038:
	s_or_b32 s13, s13, exec_lo
	s_and_not1_b32 s16, s16, exec_lo
	s_or_b32 exec_lo, exec_lo, s0
	s_and_saveexec_b32 s0, s16
	s_delay_alu instid0(SALU_CYCLE_1)
	s_xor_b32 s0, exec_lo, s0
	s_cbranch_execnz .LBB432_977
	s_branch .LBB432_978
.LBB432_1039:
	s_mov_b32 s9, -1
	s_mov_b32 s13, 0
	s_mov_b32 s0, 0
	s_branch .LBB432_1080
.LBB432_1040:
	s_mov_b32 s0, -1
                                        ; implicit-def: $vgpr6
.LBB432_1041:
	s_delay_alu instid0(SALU_CYCLE_1)
	s_and_not1_b32 vcc_lo, exec_lo, s0
	s_cbranch_vccnz .LBB432_1043
; %bb.1042:
	global_load_b32 v3, v[0:1], off
	s_waitcnt vmcnt(0)
	v_cvt_i32_f32_e32 v6, v3
.LBB432_1043:
	s_mov_b32 s0, 0
.LBB432_1044:
	s_delay_alu instid0(SALU_CYCLE_1)
	s_and_not1_b32 vcc_lo, exec_lo, s0
	s_cbranch_vccnz .LBB432_1046
; %bb.1045:
	global_load_b32 v3, v[0:1], off
	s_waitcnt vmcnt(0)
	v_cvt_i16_f16_e32 v6, v3
.LBB432_1046:
	s_cbranch_execnz .LBB432_1057
.LBB432_1047:
	v_cmp_gt_i16_e32 vcc_lo, 6, v10
	s_cbranch_vccnz .LBB432_1050
; %bb.1048:
	v_cmp_lt_i16_e32 vcc_lo, 6, v10
	s_cbranch_vccz .LBB432_1051
; %bb.1049:
	global_load_b64 v[3:4], v[0:1], off
	s_mov_b32 s0, 0
	s_waitcnt vmcnt(0)
	v_cvt_i32_f64_e32 v6, v[3:4]
	s_branch .LBB432_1052
.LBB432_1050:
	s_mov_b32 s0, -1
                                        ; implicit-def: $vgpr6
	s_branch .LBB432_1055
.LBB432_1051:
	s_mov_b32 s0, -1
                                        ; implicit-def: $vgpr6
.LBB432_1052:
	s_delay_alu instid0(SALU_CYCLE_1)
	s_and_not1_b32 vcc_lo, exec_lo, s0
	s_cbranch_vccnz .LBB432_1054
; %bb.1053:
	global_load_b32 v3, v[0:1], off
	s_waitcnt vmcnt(0)
	v_cvt_i32_f32_e32 v6, v3
.LBB432_1054:
	s_mov_b32 s0, 0
.LBB432_1055:
	s_delay_alu instid0(SALU_CYCLE_1)
	s_and_not1_b32 vcc_lo, exec_lo, s0
	s_cbranch_vccnz .LBB432_1057
; %bb.1056:
	global_load_u16 v3, v[0:1], off
	s_waitcnt vmcnt(0)
	v_cvt_i16_f16_e32 v6, v3
.LBB432_1057:
	s_cbranch_execnz .LBB432_1076
.LBB432_1058:
	v_cmp_gt_i16_e32 vcc_lo, 2, v10
	s_cbranch_vccnz .LBB432_1062
; %bb.1059:
	v_cmp_gt_i16_e32 vcc_lo, 3, v10
	s_cbranch_vccnz .LBB432_1063
; %bb.1060:
	v_cmp_lt_i16_e32 vcc_lo, 3, v10
	s_cbranch_vccz .LBB432_1064
; %bb.1061:
	global_load_b64 v[6:7], v[0:1], off
	s_mov_b32 s0, 0
	s_branch .LBB432_1065
.LBB432_1062:
                                        ; implicit-def: $vgpr6
	s_branch .LBB432_1071
.LBB432_1063:
	s_mov_b32 s0, -1
                                        ; implicit-def: $vgpr6
	s_branch .LBB432_1068
.LBB432_1064:
	s_mov_b32 s0, -1
                                        ; implicit-def: $vgpr6
.LBB432_1065:
	s_delay_alu instid0(SALU_CYCLE_1)
	s_and_not1_b32 vcc_lo, exec_lo, s0
	s_cbranch_vccnz .LBB432_1067
; %bb.1066:
	global_load_b32 v6, v[0:1], off
.LBB432_1067:
	s_mov_b32 s0, 0
.LBB432_1068:
	s_delay_alu instid0(SALU_CYCLE_1)
	s_and_not1_b32 vcc_lo, exec_lo, s0
	s_cbranch_vccnz .LBB432_1070
; %bb.1069:
	global_load_u16 v6, v[0:1], off
.LBB432_1070:
	s_cbranch_execnz .LBB432_1076
.LBB432_1071:
	v_cmp_lt_i16_e32 vcc_lo, 0, v10
	s_mov_b32 s0, 0
	s_cbranch_vccz .LBB432_1073
; %bb.1072:
	global_load_u8 v6, v[0:1], off
	s_branch .LBB432_1074
.LBB432_1073:
	s_mov_b32 s0, -1
                                        ; implicit-def: $vgpr6
.LBB432_1074:
	s_delay_alu instid0(SALU_CYCLE_1)
	s_and_not1_b32 vcc_lo, exec_lo, s0
	s_cbranch_vccnz .LBB432_1076
; %bb.1075:
	global_load_u8 v6, v[0:1], off
.LBB432_1076:
	s_branch .LBB432_1140
.LBB432_1077:
	s_trap 2
	s_sendmsg_rtn_b32 s0, sendmsg(MSG_RTN_GET_DOORBELL)
	s_mov_b32 ttmp2, m0
	s_waitcnt lgkmcnt(0)
	s_and_b32 s0, s0, 0x3ff
	s_delay_alu instid0(SALU_CYCLE_1) | instskip(NEXT) | instid1(SALU_CYCLE_1)
	s_bitset1_b32 s0, 10
	s_mov_b32 m0, s0
	s_sendmsg sendmsg(MSG_INTERRUPT)
	s_mov_b32 m0, ttmp2
.LBB432_1078:                           ; =>This Inner Loop Header: Depth=1
	s_sethalt 5
	s_branch .LBB432_1078
.LBB432_1079:
	s_mov_b32 s0, -1
	s_mov_b32 s13, 0
.LBB432_1080:
                                        ; implicit-def: $vgpr6
.LBB432_1081:
	s_and_b32 vcc_lo, exec_lo, s9
	s_cbranch_vccz .LBB432_1084
; %bb.1082:
	v_cmp_eq_u16_e32 vcc_lo, 44, v10
	s_cbranch_vccz .LBB432_1085
; %bb.1083:
	global_load_u8 v3, v[0:1], off
	s_mov_b32 s0, 0
	s_mov_b32 s13, -1
	s_waitcnt vmcnt(0)
	v_lshlrev_b32_e32 v4, 23, v3
	v_cmp_ne_u32_e32 vcc_lo, 0, v3
	s_delay_alu instid0(VALU_DEP_2) | instskip(NEXT) | instid1(VALU_DEP_1)
	v_cvt_i32_f32_e32 v4, v4
	v_cndmask_b32_e32 v6, 0, v4, vcc_lo
.LBB432_1084:
	s_branch .LBB432_1089
.LBB432_1085:
	s_mov_b32 s0, -1
                                        ; implicit-def: $vgpr6
	s_branch .LBB432_1089
.LBB432_1086:
	v_cmp_eq_u16_e32 vcc_lo, 29, v10
	s_cbranch_vccz .LBB432_1088
; %bb.1087:
	global_load_b64 v[6:7], v[0:1], off
	s_mov_b32 s0, 0
	s_mov_b32 s13, -1
	s_branch .LBB432_1089
.LBB432_1088:
	s_mov_b32 s0, -1
                                        ; implicit-def: $vgpr6
.LBB432_1089:
	s_branch .LBB432_1105
.LBB432_1090:
	v_cmp_gt_i16_e32 vcc_lo, 27, v10
	s_cbranch_vccnz .LBB432_1093
; %bb.1091:
	v_cmp_lt_i16_e32 vcc_lo, 27, v10
	s_cbranch_vccz .LBB432_1094
; %bb.1092:
	global_load_b32 v6, v[0:1], off
	s_mov_b32 s9, 0
	s_branch .LBB432_1095
.LBB432_1093:
	s_mov_b32 s9, -1
                                        ; implicit-def: $vgpr6
	s_branch .LBB432_1098
.LBB432_1094:
	s_mov_b32 s9, -1
                                        ; implicit-def: $vgpr6
.LBB432_1095:
	s_delay_alu instid0(SALU_CYCLE_1)
	s_and_not1_b32 vcc_lo, exec_lo, s9
	s_cbranch_vccnz .LBB432_1097
; %bb.1096:
	global_load_u16 v6, v[0:1], off
.LBB432_1097:
	s_mov_b32 s9, 0
.LBB432_1098:
	s_delay_alu instid0(SALU_CYCLE_1)
	s_and_not1_b32 vcc_lo, exec_lo, s9
	s_cbranch_vccnz .LBB432_1104
; %bb.1099:
	global_load_u8 v3, v[0:1], off
	s_mov_b32 s9, 0
	s_mov_b32 s13, exec_lo
                                        ; implicit-def: $sgpr14
	s_waitcnt vmcnt(0)
	v_cmpx_lt_i16_e32 0x7f, v3
	s_xor_b32 s13, exec_lo, s13
	s_cbranch_execz .LBB432_1115
; %bb.1100:
	v_cmp_ne_u16_e32 vcc_lo, 0x80, v3
	s_mov_b32 s14, 0
	s_and_b32 s9, vcc_lo, exec_lo
	s_or_saveexec_b32 s13, s13
	v_mov_b32_e32 v6, s14
	s_xor_b32 exec_lo, exec_lo, s13
	s_cbranch_execnz .LBB432_1116
.LBB432_1101:
	s_or_b32 exec_lo, exec_lo, s13
	s_and_saveexec_b32 s13, s9
	s_cbranch_execz .LBB432_1103
.LBB432_1102:
	v_and_b32_e32 v4, 0xffff, v3
	v_lshlrev_b32_e32 v3, 24, v3
	s_delay_alu instid0(VALU_DEP_2) | instskip(NEXT) | instid1(VALU_DEP_2)
	v_and_b32_e32 v5, 7, v4
	v_and_b32_e32 v3, 0x80000000, v3
	s_delay_alu instid0(VALU_DEP_2) | instskip(NEXT) | instid1(VALU_DEP_1)
	v_clz_i32_u32_e32 v6, v5
	v_min_u32_e32 v6, 32, v6
	s_delay_alu instid0(VALU_DEP_1) | instskip(SKIP_1) | instid1(VALU_DEP_2)
	v_subrev_nc_u32_e32 v7, 28, v6
	v_sub_nc_u32_e32 v6, 29, v6
	v_lshlrev_b32_e32 v7, v7, v4
	v_bfe_u32 v4, v4, 3, 4
	s_delay_alu instid0(VALU_DEP_2) | instskip(NEXT) | instid1(VALU_DEP_2)
	v_and_b32_e32 v7, 7, v7
	v_cmp_eq_u32_e32 vcc_lo, 0, v4
	s_delay_alu instid0(VALU_DEP_2) | instskip(NEXT) | instid1(VALU_DEP_1)
	v_dual_cndmask_b32 v4, v4, v6 :: v_dual_cndmask_b32 v5, v5, v7
	v_lshl_add_u32 v4, v4, 23, 0x3b800000
	s_delay_alu instid0(VALU_DEP_2) | instskip(NEXT) | instid1(VALU_DEP_1)
	v_lshlrev_b32_e32 v5, 20, v5
	v_or3_b32 v3, v3, v4, v5
	s_delay_alu instid0(VALU_DEP_1)
	v_cvt_i32_f32_e32 v6, v3
.LBB432_1103:
	s_or_b32 exec_lo, exec_lo, s13
.LBB432_1104:
	s_mov_b32 s13, -1
.LBB432_1105:
	s_branch .LBB432_1135
.LBB432_1106:
	v_cmp_lt_i16_e32 vcc_lo, 22, v10
	s_cbranch_vccz .LBB432_1114
; %bb.1107:
	v_cmp_gt_i16_e32 vcc_lo, 24, v10
	s_cbranch_vccnz .LBB432_1117
; %bb.1108:
	v_cmp_lt_i16_e32 vcc_lo, 24, v10
	s_cbranch_vccz .LBB432_1118
; %bb.1109:
	global_load_u8 v3, v[0:1], off
	s_mov_b32 s9, 0
	s_mov_b32 s10, exec_lo
                                        ; implicit-def: $sgpr13
	s_waitcnt vmcnt(0)
	v_cmpx_lt_i16_e32 0x7f, v3
	s_xor_b32 s10, exec_lo, s10
	s_cbranch_execz .LBB432_1129
; %bb.1110:
	v_cmp_ne_u16_e32 vcc_lo, 0x80, v3
	s_mov_b32 s13, 0
	s_and_b32 s9, vcc_lo, exec_lo
	s_or_saveexec_b32 s10, s10
	v_mov_b32_e32 v6, s13
	s_xor_b32 exec_lo, exec_lo, s10
	s_cbranch_execnz .LBB432_1130
.LBB432_1111:
	s_or_b32 exec_lo, exec_lo, s10
	s_and_saveexec_b32 s10, s9
	s_cbranch_execz .LBB432_1113
.LBB432_1112:
	v_and_b32_e32 v4, 0xffff, v3
	v_lshlrev_b32_e32 v3, 24, v3
	s_delay_alu instid0(VALU_DEP_2) | instskip(NEXT) | instid1(VALU_DEP_2)
	v_and_b32_e32 v5, 3, v4
	v_and_b32_e32 v3, 0x80000000, v3
	s_delay_alu instid0(VALU_DEP_2) | instskip(NEXT) | instid1(VALU_DEP_1)
	v_clz_i32_u32_e32 v6, v5
	v_min_u32_e32 v6, 32, v6
	s_delay_alu instid0(VALU_DEP_1) | instskip(SKIP_1) | instid1(VALU_DEP_2)
	v_subrev_nc_u32_e32 v7, 29, v6
	v_sub_nc_u32_e32 v6, 30, v6
	v_lshlrev_b32_e32 v7, v7, v4
	v_bfe_u32 v4, v4, 2, 5
	s_delay_alu instid0(VALU_DEP_2) | instskip(NEXT) | instid1(VALU_DEP_2)
	v_and_b32_e32 v7, 3, v7
	v_cmp_eq_u32_e32 vcc_lo, 0, v4
	s_delay_alu instid0(VALU_DEP_2) | instskip(NEXT) | instid1(VALU_DEP_1)
	v_dual_cndmask_b32 v4, v4, v6 :: v_dual_cndmask_b32 v5, v5, v7
	v_lshl_add_u32 v4, v4, 23, 0x37800000
	s_delay_alu instid0(VALU_DEP_2) | instskip(NEXT) | instid1(VALU_DEP_1)
	v_lshlrev_b32_e32 v5, 21, v5
	v_or3_b32 v3, v3, v4, v5
	s_delay_alu instid0(VALU_DEP_1)
	v_cvt_i32_f32_e32 v6, v3
.LBB432_1113:
	s_or_b32 exec_lo, exec_lo, s10
	s_mov_b32 s9, 0
	s_branch .LBB432_1119
.LBB432_1114:
                                        ; implicit-def: $vgpr6
	s_mov_b32 s10, 0
	s_branch .LBB432_1125
.LBB432_1115:
	s_or_saveexec_b32 s13, s13
	v_mov_b32_e32 v6, s14
	s_xor_b32 exec_lo, exec_lo, s13
	s_cbranch_execz .LBB432_1101
.LBB432_1116:
	v_cmp_ne_u16_e32 vcc_lo, 0, v3
	v_mov_b32_e32 v6, 0
	s_and_not1_b32 s9, s9, exec_lo
	s_and_b32 s14, vcc_lo, exec_lo
	s_delay_alu instid0(SALU_CYCLE_1)
	s_or_b32 s9, s9, s14
	s_or_b32 exec_lo, exec_lo, s13
	s_and_saveexec_b32 s13, s9
	s_cbranch_execnz .LBB432_1102
	s_branch .LBB432_1103
.LBB432_1117:
	s_mov_b32 s9, -1
                                        ; implicit-def: $vgpr6
	s_branch .LBB432_1122
.LBB432_1118:
	s_mov_b32 s9, -1
                                        ; implicit-def: $vgpr6
.LBB432_1119:
	s_delay_alu instid0(SALU_CYCLE_1)
	s_and_b32 vcc_lo, exec_lo, s9
	s_cbranch_vccz .LBB432_1121
; %bb.1120:
	global_load_u8 v3, v[0:1], off
	s_waitcnt vmcnt(0)
	v_lshlrev_b32_e32 v3, 24, v3
	s_delay_alu instid0(VALU_DEP_1) | instskip(NEXT) | instid1(VALU_DEP_1)
	v_and_b32_e32 v4, 0x7f000000, v3
	v_clz_i32_u32_e32 v5, v4
	v_add_nc_u32_e32 v7, 0x1000000, v4
	v_cmp_ne_u32_e32 vcc_lo, 0, v4
	s_delay_alu instid0(VALU_DEP_3) | instskip(NEXT) | instid1(VALU_DEP_1)
	v_min_u32_e32 v5, 32, v5
	v_sub_nc_u32_e64 v5, v5, 4 clamp
	s_delay_alu instid0(VALU_DEP_1) | instskip(SKIP_1) | instid1(VALU_DEP_2)
	v_lshlrev_b32_e32 v6, v5, v4
	v_lshlrev_b32_e32 v5, 23, v5
	v_lshrrev_b32_e32 v6, 4, v6
	s_delay_alu instid0(VALU_DEP_1) | instskip(SKIP_1) | instid1(VALU_DEP_2)
	v_sub_nc_u32_e32 v5, v6, v5
	v_ashrrev_i32_e32 v6, 8, v7
	v_add_nc_u32_e32 v5, 0x3c000000, v5
	s_delay_alu instid0(VALU_DEP_1) | instskip(NEXT) | instid1(VALU_DEP_1)
	v_and_or_b32 v5, 0x7f800000, v6, v5
	v_cndmask_b32_e32 v4, 0, v5, vcc_lo
	s_delay_alu instid0(VALU_DEP_1) | instskip(NEXT) | instid1(VALU_DEP_1)
	v_and_or_b32 v3, 0x80000000, v3, v4
	v_cvt_i32_f32_e32 v6, v3
.LBB432_1121:
	s_mov_b32 s9, 0
.LBB432_1122:
	s_delay_alu instid0(SALU_CYCLE_1)
	s_and_not1_b32 vcc_lo, exec_lo, s9
	s_cbranch_vccnz .LBB432_1124
; %bb.1123:
	global_load_u8 v3, v[0:1], off
	s_waitcnt vmcnt(0)
	v_lshlrev_b32_e32 v4, 25, v3
	v_lshlrev_b16 v3, 8, v3
	s_delay_alu instid0(VALU_DEP_2) | instskip(NEXT) | instid1(VALU_DEP_2)
	v_lshrrev_b32_e32 v5, 4, v4
	v_and_or_b32 v6, 0x7f00, v3, 0.5
	v_bfe_i32 v3, v3, 0, 16
	s_delay_alu instid0(VALU_DEP_3) | instskip(NEXT) | instid1(VALU_DEP_1)
	v_or_b32_e32 v5, 0x70000000, v5
	v_dual_add_f32 v6, -0.5, v6 :: v_dual_mul_f32 v5, 0x7800000, v5
	v_cmp_gt_u32_e32 vcc_lo, 0x8000000, v4
	s_delay_alu instid0(VALU_DEP_2) | instskip(NEXT) | instid1(VALU_DEP_1)
	v_cndmask_b32_e32 v4, v5, v6, vcc_lo
	v_and_or_b32 v3, 0x80000000, v3, v4
	s_delay_alu instid0(VALU_DEP_1)
	v_cvt_i32_f32_e32 v6, v3
.LBB432_1124:
	s_mov_b32 s13, -1
	s_mov_b32 s10, 0
	s_cbranch_execnz .LBB432_1135
.LBB432_1125:
	v_cmp_lt_i16_e32 vcc_lo, 14, v10
	s_cbranch_vccz .LBB432_1128
; %bb.1126:
	v_cmp_eq_u16_e32 vcc_lo, 15, v10
	s_cbranch_vccz .LBB432_1131
; %bb.1127:
	global_load_u16 v3, v[0:1], off
	s_mov_b32 s0, 0
	s_mov_b32 s13, -1
	s_waitcnt vmcnt(0)
	v_lshlrev_b32_e32 v3, 16, v3
	s_delay_alu instid0(VALU_DEP_1)
	v_cvt_i32_f32_e32 v6, v3
	s_branch .LBB432_1132
.LBB432_1128:
	s_mov_b32 s9, -1
                                        ; implicit-def: $vgpr6
	s_branch .LBB432_1133
.LBB432_1129:
	s_or_saveexec_b32 s10, s10
	v_mov_b32_e32 v6, s13
	s_xor_b32 exec_lo, exec_lo, s10
	s_cbranch_execz .LBB432_1111
.LBB432_1130:
	v_cmp_ne_u16_e32 vcc_lo, 0, v3
	v_mov_b32_e32 v6, 0
	s_and_not1_b32 s9, s9, exec_lo
	s_and_b32 s13, vcc_lo, exec_lo
	s_delay_alu instid0(SALU_CYCLE_1)
	s_or_b32 s9, s9, s13
	s_or_b32 exec_lo, exec_lo, s10
	s_and_saveexec_b32 s10, s9
	s_cbranch_execnz .LBB432_1112
	s_branch .LBB432_1113
.LBB432_1131:
	s_mov_b32 s0, -1
                                        ; implicit-def: $vgpr6
.LBB432_1132:
	s_mov_b32 s9, 0
.LBB432_1133:
	s_delay_alu instid0(SALU_CYCLE_1)
	s_and_b32 vcc_lo, exec_lo, s9
	s_cbranch_vccz .LBB432_1135
; %bb.1134:
	v_cmp_ne_u16_e64 s0, 11, v10
	s_mov_b32 s10, -1
                                        ; implicit-def: $vgpr6
.LBB432_1135:
	s_delay_alu instid0(VALU_DEP_1)
	s_and_b32 vcc_lo, exec_lo, s0
	s_mov_b32 s9, s12
	s_cbranch_vccnz .LBB432_1159
; %bb.1136:
	s_and_not1_b32 vcc_lo, exec_lo, s10
	s_cbranch_vccnz .LBB432_1138
.LBB432_1137:
	global_load_u8 v3, v[0:1], off
	s_mov_b32 s13, -1
	s_waitcnt vmcnt(0)
	v_cmp_ne_u16_e32 vcc_lo, 0, v3
	v_cndmask_b32_e64 v6, 0, 1, vcc_lo
.LBB432_1138:
.LBB432_1139:
	s_and_not1_b32 vcc_lo, exec_lo, s13
	s_cbranch_vccnz .LBB432_1963
.LBB432_1140:
	s_lshl_b32 s3, s3, 7
	v_cmp_gt_i16_e32 vcc_lo, 11, v10
	v_add_nc_u32_e32 v2, s3, v2
	s_delay_alu instid0(VALU_DEP_1) | instskip(SKIP_1) | instid1(VALU_DEP_1)
	v_ashrrev_i32_e32 v1, 31, v2
	v_add_co_u32 v0, s0, s6, v2
	v_add_co_ci_u32_e64 v1, s0, s7, v1, s0
	s_cbranch_vccnz .LBB432_1147
; %bb.1141:
	v_cmp_lt_i16_e32 vcc_lo, 25, v10
	s_mov_b32 s10, 0
	s_cbranch_vccz .LBB432_1153
; %bb.1142:
	v_cmp_lt_i16_e32 vcc_lo, 28, v10
	s_cbranch_vccz .LBB432_1155
; %bb.1143:
	v_cmp_lt_i16_e32 vcc_lo, 43, v10
	;; [unrolled: 3-line block ×3, first 2 shown]
	s_cbranch_vccz .LBB432_1163
; %bb.1145:
	v_cmp_eq_u16_e32 vcc_lo, 46, v10
	s_mov_b32 s14, 0
	s_cbranch_vccz .LBB432_1207
; %bb.1146:
	global_load_b32 v3, v[0:1], off
	s_mov_b32 s0, 0
	s_mov_b32 s13, -1
	s_waitcnt vmcnt(0)
	v_lshlrev_b32_e32 v3, 16, v3
	s_delay_alu instid0(VALU_DEP_1)
	v_cvt_i32_f32_e32 v4, v3
	s_branch .LBB432_1209
.LBB432_1147:
	s_mov_b32 s13, 0
                                        ; implicit-def: $vgpr4
	s_cbranch_execz .LBB432_1270
; %bb.1148:
	v_cmp_gt_i16_e32 vcc_lo, 5, v10
	s_cbranch_vccnz .LBB432_1154
; %bb.1149:
	v_cmp_gt_i16_e32 vcc_lo, 8, v10
	s_cbranch_vccnz .LBB432_1156
	;; [unrolled: 3-line block ×3, first 2 shown]
; %bb.1151:
	v_cmp_lt_i16_e32 vcc_lo, 9, v10
	s_cbranch_vccz .LBB432_1164
; %bb.1152:
	global_load_b64 v[3:4], v[0:1], off
	s_mov_b32 s0, 0
	s_waitcnt vmcnt(0)
	v_cvt_i32_f64_e32 v4, v[3:4]
	s_branch .LBB432_1165
.LBB432_1153:
	s_mov_b32 s13, 0
	s_mov_b32 s0, 0
                                        ; implicit-def: $vgpr4
	s_cbranch_execnz .LBB432_1236
	s_branch .LBB432_1266
.LBB432_1154:
                                        ; implicit-def: $vgpr4
	s_branch .LBB432_1183
.LBB432_1155:
	s_mov_b32 s14, -1
	s_mov_b32 s13, 0
	s_mov_b32 s0, 0
                                        ; implicit-def: $vgpr4
	s_branch .LBB432_1219
.LBB432_1156:
	s_mov_b32 s0, -1
                                        ; implicit-def: $vgpr4
	s_branch .LBB432_1171
.LBB432_1157:
	s_mov_b32 s14, -1
	s_mov_b32 s13, 0
	s_mov_b32 s0, 0
                                        ; implicit-def: $vgpr4
	s_branch .LBB432_1214
.LBB432_1158:
	s_mov_b32 s0, -1
                                        ; implicit-def: $vgpr4
	s_branch .LBB432_1168
.LBB432_1159:
	s_cbranch_execnz .LBB432_1203
; %bb.1160:
	s_or_b32 s9, s12, exec_lo
                                        ; implicit-def: $vgpr6
	s_cbranch_execz .LBB432_1137
	s_branch .LBB432_1138
.LBB432_1161:
	s_or_saveexec_b32 s17, s17
                                        ; implicit-def: $sgpr18
	s_delay_alu instid0(SALU_CYCLE_1)
	s_xor_b32 exec_lo, exec_lo, s17
	s_cbranch_execz .LBB432_928
.LBB432_1162:
	v_add_f32_e64 v5, 0x46000000, |v2|
	s_and_not1_b32 s16, s16, exec_lo
	s_mov_b32 s18, 0
	s_delay_alu instid0(VALU_DEP_1) | instskip(NEXT) | instid1(VALU_DEP_1)
	v_and_b32_e32 v5, 0xff, v5
	v_cmp_ne_u32_e32 vcc_lo, 0, v5
	s_and_b32 s19, vcc_lo, exec_lo
	s_delay_alu instid0(SALU_CYCLE_1)
	s_or_b32 s16, s16, s19
	s_or_b32 exec_lo, exec_lo, s17
	v_mov_b32_e32 v6, s18
	s_and_saveexec_b32 s17, s16
	s_cbranch_execnz .LBB432_929
	s_branch .LBB432_930
.LBB432_1163:
	s_mov_b32 s14, -1
	s_mov_b32 s13, 0
	s_mov_b32 s0, 0
	s_branch .LBB432_1208
.LBB432_1164:
	s_mov_b32 s0, -1
                                        ; implicit-def: $vgpr4
.LBB432_1165:
	s_delay_alu instid0(SALU_CYCLE_1)
	s_and_not1_b32 vcc_lo, exec_lo, s0
	s_cbranch_vccnz .LBB432_1167
; %bb.1166:
	global_load_b32 v3, v[0:1], off
	s_waitcnt vmcnt(0)
	v_cvt_i32_f32_e32 v4, v3
.LBB432_1167:
	s_mov_b32 s0, 0
.LBB432_1168:
	s_delay_alu instid0(SALU_CYCLE_1)
	s_and_not1_b32 vcc_lo, exec_lo, s0
	s_cbranch_vccnz .LBB432_1170
; %bb.1169:
	global_load_b32 v3, v[0:1], off
	s_waitcnt vmcnt(0)
	v_cvt_i16_f16_e32 v4, v3
.LBB432_1170:
	s_mov_b32 s0, 0
.LBB432_1171:
	s_delay_alu instid0(SALU_CYCLE_1)
	s_and_not1_b32 vcc_lo, exec_lo, s0
	s_cbranch_vccnz .LBB432_1182
; %bb.1172:
	v_cmp_gt_i16_e32 vcc_lo, 6, v10
	s_cbranch_vccnz .LBB432_1175
; %bb.1173:
	v_cmp_lt_i16_e32 vcc_lo, 6, v10
	s_cbranch_vccz .LBB432_1176
; %bb.1174:
	global_load_b64 v[3:4], v[0:1], off
	s_mov_b32 s0, 0
	s_waitcnt vmcnt(0)
	v_cvt_i32_f64_e32 v4, v[3:4]
	s_branch .LBB432_1177
.LBB432_1175:
	s_mov_b32 s0, -1
                                        ; implicit-def: $vgpr4
	s_branch .LBB432_1180
.LBB432_1176:
	s_mov_b32 s0, -1
                                        ; implicit-def: $vgpr4
.LBB432_1177:
	s_delay_alu instid0(SALU_CYCLE_1)
	s_and_not1_b32 vcc_lo, exec_lo, s0
	s_cbranch_vccnz .LBB432_1179
; %bb.1178:
	global_load_b32 v3, v[0:1], off
	s_waitcnt vmcnt(0)
	v_cvt_i32_f32_e32 v4, v3
.LBB432_1179:
	s_mov_b32 s0, 0
.LBB432_1180:
	s_delay_alu instid0(SALU_CYCLE_1)
	s_and_not1_b32 vcc_lo, exec_lo, s0
	s_cbranch_vccnz .LBB432_1182
; %bb.1181:
	global_load_u16 v3, v[0:1], off
	s_waitcnt vmcnt(0)
	v_cvt_i16_f16_e32 v4, v3
.LBB432_1182:
	s_cbranch_execnz .LBB432_1202
.LBB432_1183:
	v_cmp_gt_i16_e32 vcc_lo, 2, v10
	s_cbranch_vccnz .LBB432_1187
; %bb.1184:
	v_cmp_gt_i16_e32 vcc_lo, 3, v10
	s_cbranch_vccnz .LBB432_1188
; %bb.1185:
	v_cmp_lt_i16_e32 vcc_lo, 3, v10
	s_cbranch_vccz .LBB432_1189
; %bb.1186:
	global_load_b64 v[4:5], v[0:1], off
	s_mov_b32 s0, 0
	s_branch .LBB432_1190
.LBB432_1187:
	s_mov_b32 s0, -1
                                        ; implicit-def: $vgpr4
	s_branch .LBB432_1196
.LBB432_1188:
	s_mov_b32 s0, -1
                                        ; implicit-def: $vgpr4
	s_branch .LBB432_1193
.LBB432_1189:
	s_mov_b32 s0, -1
                                        ; implicit-def: $vgpr4
.LBB432_1190:
	s_delay_alu instid0(SALU_CYCLE_1)
	s_and_not1_b32 vcc_lo, exec_lo, s0
	s_cbranch_vccnz .LBB432_1192
; %bb.1191:
	global_load_b32 v4, v[0:1], off
.LBB432_1192:
	s_mov_b32 s0, 0
.LBB432_1193:
	s_delay_alu instid0(SALU_CYCLE_1)
	s_and_not1_b32 vcc_lo, exec_lo, s0
	s_cbranch_vccnz .LBB432_1195
; %bb.1194:
	global_load_u16 v4, v[0:1], off
.LBB432_1195:
	s_mov_b32 s0, 0
.LBB432_1196:
	s_delay_alu instid0(SALU_CYCLE_1)
	s_and_not1_b32 vcc_lo, exec_lo, s0
	s_cbranch_vccnz .LBB432_1202
; %bb.1197:
	v_cmp_lt_i16_e32 vcc_lo, 0, v10
	s_mov_b32 s0, 0
	s_cbranch_vccz .LBB432_1199
; %bb.1198:
	global_load_u8 v4, v[0:1], off
	s_branch .LBB432_1200
.LBB432_1199:
	s_mov_b32 s0, -1
                                        ; implicit-def: $vgpr4
.LBB432_1200:
	s_delay_alu instid0(SALU_CYCLE_1)
	s_and_not1_b32 vcc_lo, exec_lo, s0
	s_cbranch_vccnz .LBB432_1202
; %bb.1201:
	global_load_u8 v4, v[0:1], off
.LBB432_1202:
	s_branch .LBB432_1271
.LBB432_1203:
	s_trap 2
	s_sendmsg_rtn_b32 s0, sendmsg(MSG_RTN_GET_DOORBELL)
	s_mov_b32 ttmp2, m0
	s_waitcnt lgkmcnt(0)
	s_and_b32 s0, s0, 0x3ff
	s_delay_alu instid0(SALU_CYCLE_1) | instskip(NEXT) | instid1(SALU_CYCLE_1)
	s_bitset1_b32 s0, 10
	s_mov_b32 m0, s0
	s_sendmsg sendmsg(MSG_INTERRUPT)
	s_mov_b32 m0, ttmp2
.LBB432_1204:                           ; =>This Inner Loop Header: Depth=1
	s_sethalt 5
	s_branch .LBB432_1204
.LBB432_1205:
	s_or_saveexec_b32 s18, s18
                                        ; implicit-def: $sgpr19
	s_delay_alu instid0(SALU_CYCLE_1)
	s_xor_b32 exec_lo, exec_lo, s18
	s_cbranch_execz .LBB432_940
.LBB432_1206:
	v_add_f32_e64 v5, 0x42800000, |v2|
	s_and_not1_b32 s17, s17, exec_lo
	s_mov_b32 s19, 0
	s_delay_alu instid0(VALU_DEP_1) | instskip(NEXT) | instid1(VALU_DEP_1)
	v_and_b32_e32 v5, 0xff, v5
	v_cmp_ne_u32_e32 vcc_lo, 0, v5
	s_and_b32 s20, vcc_lo, exec_lo
	s_delay_alu instid0(SALU_CYCLE_1)
	s_or_b32 s17, s17, s20
	s_or_b32 exec_lo, exec_lo, s18
	v_mov_b32_e32 v6, s19
	s_and_saveexec_b32 s18, s17
	s_cbranch_execnz .LBB432_941
	s_branch .LBB432_942
.LBB432_1207:
	s_mov_b32 s0, -1
	s_mov_b32 s13, 0
.LBB432_1208:
                                        ; implicit-def: $vgpr4
.LBB432_1209:
	s_and_b32 vcc_lo, exec_lo, s14
	s_cbranch_vccz .LBB432_1213
; %bb.1210:
	v_cmp_eq_u16_e32 vcc_lo, 44, v10
	s_cbranch_vccz .LBB432_1212
; %bb.1211:
	global_load_u8 v3, v[0:1], off
	s_mov_b32 s0, 0
	s_mov_b32 s13, -1
	s_waitcnt vmcnt(0)
	v_lshlrev_b32_e32 v4, 23, v3
	v_cmp_ne_u32_e32 vcc_lo, 0, v3
	s_delay_alu instid0(VALU_DEP_2) | instskip(NEXT) | instid1(VALU_DEP_1)
	v_cvt_i32_f32_e32 v4, v4
	v_cndmask_b32_e32 v4, 0, v4, vcc_lo
	s_branch .LBB432_1213
.LBB432_1212:
	s_mov_b32 s0, -1
                                        ; implicit-def: $vgpr4
.LBB432_1213:
	s_mov_b32 s14, 0
.LBB432_1214:
	s_delay_alu instid0(SALU_CYCLE_1)
	s_and_b32 vcc_lo, exec_lo, s14
	s_cbranch_vccz .LBB432_1218
; %bb.1215:
	v_cmp_eq_u16_e32 vcc_lo, 29, v10
	s_cbranch_vccz .LBB432_1217
; %bb.1216:
	global_load_b64 v[4:5], v[0:1], off
	s_mov_b32 s0, 0
	s_mov_b32 s13, -1
	s_branch .LBB432_1218
.LBB432_1217:
	s_mov_b32 s0, -1
                                        ; implicit-def: $vgpr4
.LBB432_1218:
	s_mov_b32 s14, 0
.LBB432_1219:
	s_delay_alu instid0(SALU_CYCLE_1)
	s_and_b32 vcc_lo, exec_lo, s14
	s_cbranch_vccz .LBB432_1235
; %bb.1220:
	v_cmp_gt_i16_e32 vcc_lo, 27, v10
	s_cbranch_vccnz .LBB432_1223
; %bb.1221:
	v_cmp_lt_i16_e32 vcc_lo, 27, v10
	s_cbranch_vccz .LBB432_1224
; %bb.1222:
	global_load_b32 v4, v[0:1], off
	s_mov_b32 s13, 0
	s_branch .LBB432_1225
.LBB432_1223:
	s_mov_b32 s13, -1
                                        ; implicit-def: $vgpr4
	s_branch .LBB432_1228
.LBB432_1224:
	s_mov_b32 s13, -1
                                        ; implicit-def: $vgpr4
.LBB432_1225:
	s_delay_alu instid0(SALU_CYCLE_1)
	s_and_not1_b32 vcc_lo, exec_lo, s13
	s_cbranch_vccnz .LBB432_1227
; %bb.1226:
	global_load_u16 v4, v[0:1], off
.LBB432_1227:
	s_mov_b32 s13, 0
.LBB432_1228:
	s_delay_alu instid0(SALU_CYCLE_1)
	s_and_not1_b32 vcc_lo, exec_lo, s13
	s_cbranch_vccnz .LBB432_1234
; %bb.1229:
	global_load_u8 v3, v[0:1], off
	s_mov_b32 s13, 0
	s_mov_b32 s14, exec_lo
                                        ; implicit-def: $sgpr15
	s_waitcnt vmcnt(0)
	v_cmpx_lt_i16_e32 0x7f, v3
	s_xor_b32 s14, exec_lo, s14
	s_cbranch_execz .LBB432_1245
; %bb.1230:
	v_cmp_ne_u16_e32 vcc_lo, 0x80, v3
	s_mov_b32 s15, 0
	s_and_b32 s13, vcc_lo, exec_lo
	s_or_saveexec_b32 s14, s14
	v_mov_b32_e32 v4, s15
	s_xor_b32 exec_lo, exec_lo, s14
	s_cbranch_execnz .LBB432_1246
.LBB432_1231:
	s_or_b32 exec_lo, exec_lo, s14
	s_and_saveexec_b32 s14, s13
	s_cbranch_execz .LBB432_1233
.LBB432_1232:
	v_and_b32_e32 v4, 0xffff, v3
	v_lshlrev_b32_e32 v3, 24, v3
	s_delay_alu instid0(VALU_DEP_2) | instskip(NEXT) | instid1(VALU_DEP_2)
	v_and_b32_e32 v5, 7, v4
	v_and_b32_e32 v3, 0x80000000, v3
	s_delay_alu instid0(VALU_DEP_2) | instskip(NEXT) | instid1(VALU_DEP_1)
	v_clz_i32_u32_e32 v7, v5
	v_min_u32_e32 v7, 32, v7
	s_delay_alu instid0(VALU_DEP_1) | instskip(SKIP_1) | instid1(VALU_DEP_2)
	v_subrev_nc_u32_e32 v8, 28, v7
	v_sub_nc_u32_e32 v7, 29, v7
	v_lshlrev_b32_e32 v8, v8, v4
	v_bfe_u32 v4, v4, 3, 4
	s_delay_alu instid0(VALU_DEP_2) | instskip(NEXT) | instid1(VALU_DEP_2)
	v_and_b32_e32 v8, 7, v8
	v_cmp_eq_u32_e32 vcc_lo, 0, v4
	s_delay_alu instid0(VALU_DEP_2) | instskip(NEXT) | instid1(VALU_DEP_1)
	v_dual_cndmask_b32 v4, v4, v7 :: v_dual_cndmask_b32 v5, v5, v8
	v_lshl_add_u32 v4, v4, 23, 0x3b800000
	s_delay_alu instid0(VALU_DEP_2) | instskip(NEXT) | instid1(VALU_DEP_1)
	v_lshlrev_b32_e32 v5, 20, v5
	v_or3_b32 v3, v3, v4, v5
	s_delay_alu instid0(VALU_DEP_1)
	v_cvt_i32_f32_e32 v4, v3
.LBB432_1233:
	s_or_b32 exec_lo, exec_lo, s14
.LBB432_1234:
	s_mov_b32 s13, -1
.LBB432_1235:
	s_branch .LBB432_1266
.LBB432_1236:
	v_cmp_lt_i16_e32 vcc_lo, 22, v10
	s_cbranch_vccz .LBB432_1244
; %bb.1237:
	v_cmp_gt_i16_e32 vcc_lo, 24, v10
	s_cbranch_vccnz .LBB432_1247
; %bb.1238:
	v_cmp_lt_i16_e32 vcc_lo, 24, v10
	s_cbranch_vccz .LBB432_1248
; %bb.1239:
	global_load_u8 v3, v[0:1], off
	s_mov_b32 s13, exec_lo
                                        ; implicit-def: $sgpr14
	s_waitcnt vmcnt(0)
	v_cmpx_lt_i16_e32 0x7f, v3
	s_xor_b32 s13, exec_lo, s13
	s_cbranch_execz .LBB432_1260
; %bb.1240:
	v_cmp_ne_u16_e32 vcc_lo, 0x80, v3
	s_mov_b32 s14, 0
	s_and_b32 s10, vcc_lo, exec_lo
	s_or_saveexec_b32 s13, s13
	v_mov_b32_e32 v4, s14
	s_xor_b32 exec_lo, exec_lo, s13
	s_cbranch_execnz .LBB432_1261
.LBB432_1241:
	s_or_b32 exec_lo, exec_lo, s13
	s_and_saveexec_b32 s13, s10
	s_cbranch_execz .LBB432_1243
.LBB432_1242:
	v_and_b32_e32 v4, 0xffff, v3
	v_lshlrev_b32_e32 v3, 24, v3
	s_delay_alu instid0(VALU_DEP_2) | instskip(NEXT) | instid1(VALU_DEP_2)
	v_and_b32_e32 v5, 3, v4
	v_and_b32_e32 v3, 0x80000000, v3
	s_delay_alu instid0(VALU_DEP_2) | instskip(NEXT) | instid1(VALU_DEP_1)
	v_clz_i32_u32_e32 v7, v5
	v_min_u32_e32 v7, 32, v7
	s_delay_alu instid0(VALU_DEP_1) | instskip(SKIP_1) | instid1(VALU_DEP_2)
	v_subrev_nc_u32_e32 v8, 29, v7
	v_sub_nc_u32_e32 v7, 30, v7
	v_lshlrev_b32_e32 v8, v8, v4
	v_bfe_u32 v4, v4, 2, 5
	s_delay_alu instid0(VALU_DEP_2) | instskip(NEXT) | instid1(VALU_DEP_2)
	v_and_b32_e32 v8, 3, v8
	v_cmp_eq_u32_e32 vcc_lo, 0, v4
	s_delay_alu instid0(VALU_DEP_2) | instskip(NEXT) | instid1(VALU_DEP_1)
	v_dual_cndmask_b32 v4, v4, v7 :: v_dual_cndmask_b32 v5, v5, v8
	v_lshl_add_u32 v4, v4, 23, 0x37800000
	s_delay_alu instid0(VALU_DEP_2) | instskip(NEXT) | instid1(VALU_DEP_1)
	v_lshlrev_b32_e32 v5, 21, v5
	v_or3_b32 v3, v3, v4, v5
	s_delay_alu instid0(VALU_DEP_1)
	v_cvt_i32_f32_e32 v4, v3
.LBB432_1243:
	s_or_b32 exec_lo, exec_lo, s13
	s_mov_b32 s10, 0
	s_branch .LBB432_1249
.LBB432_1244:
	s_mov_b32 s10, -1
                                        ; implicit-def: $vgpr4
	s_branch .LBB432_1255
.LBB432_1245:
	s_or_saveexec_b32 s14, s14
	v_mov_b32_e32 v4, s15
	s_xor_b32 exec_lo, exec_lo, s14
	s_cbranch_execz .LBB432_1231
.LBB432_1246:
	v_cmp_ne_u16_e32 vcc_lo, 0, v3
	v_mov_b32_e32 v4, 0
	s_and_not1_b32 s13, s13, exec_lo
	s_and_b32 s15, vcc_lo, exec_lo
	s_delay_alu instid0(SALU_CYCLE_1)
	s_or_b32 s13, s13, s15
	s_or_b32 exec_lo, exec_lo, s14
	s_and_saveexec_b32 s14, s13
	s_cbranch_execnz .LBB432_1232
	s_branch .LBB432_1233
.LBB432_1247:
	s_mov_b32 s10, -1
                                        ; implicit-def: $vgpr4
	s_branch .LBB432_1252
.LBB432_1248:
	s_mov_b32 s10, -1
                                        ; implicit-def: $vgpr4
.LBB432_1249:
	s_delay_alu instid0(SALU_CYCLE_1)
	s_and_b32 vcc_lo, exec_lo, s10
	s_cbranch_vccz .LBB432_1251
; %bb.1250:
	global_load_u8 v3, v[0:1], off
	s_waitcnt vmcnt(0)
	v_lshlrev_b32_e32 v3, 24, v3
	s_delay_alu instid0(VALU_DEP_1) | instskip(NEXT) | instid1(VALU_DEP_1)
	v_and_b32_e32 v4, 0x7f000000, v3
	v_clz_i32_u32_e32 v5, v4
	v_add_nc_u32_e32 v8, 0x1000000, v4
	v_cmp_ne_u32_e32 vcc_lo, 0, v4
	s_delay_alu instid0(VALU_DEP_3) | instskip(NEXT) | instid1(VALU_DEP_1)
	v_min_u32_e32 v5, 32, v5
	v_sub_nc_u32_e64 v5, v5, 4 clamp
	s_delay_alu instid0(VALU_DEP_1) | instskip(SKIP_1) | instid1(VALU_DEP_2)
	v_lshlrev_b32_e32 v7, v5, v4
	v_lshlrev_b32_e32 v5, 23, v5
	v_lshrrev_b32_e32 v7, 4, v7
	s_delay_alu instid0(VALU_DEP_1) | instskip(SKIP_1) | instid1(VALU_DEP_2)
	v_sub_nc_u32_e32 v5, v7, v5
	v_ashrrev_i32_e32 v7, 8, v8
	v_add_nc_u32_e32 v5, 0x3c000000, v5
	s_delay_alu instid0(VALU_DEP_1) | instskip(NEXT) | instid1(VALU_DEP_1)
	v_and_or_b32 v5, 0x7f800000, v7, v5
	v_cndmask_b32_e32 v4, 0, v5, vcc_lo
	s_delay_alu instid0(VALU_DEP_1) | instskip(NEXT) | instid1(VALU_DEP_1)
	v_and_or_b32 v3, 0x80000000, v3, v4
	v_cvt_i32_f32_e32 v4, v3
.LBB432_1251:
	s_mov_b32 s10, 0
.LBB432_1252:
	s_delay_alu instid0(SALU_CYCLE_1)
	s_and_not1_b32 vcc_lo, exec_lo, s10
	s_cbranch_vccnz .LBB432_1254
; %bb.1253:
	global_load_u8 v3, v[0:1], off
	s_waitcnt vmcnt(0)
	v_lshlrev_b32_e32 v4, 25, v3
	v_lshlrev_b16 v3, 8, v3
	s_delay_alu instid0(VALU_DEP_2) | instskip(NEXT) | instid1(VALU_DEP_2)
	v_lshrrev_b32_e32 v5, 4, v4
	v_and_or_b32 v7, 0x7f00, v3, 0.5
	v_bfe_i32 v3, v3, 0, 16
	s_delay_alu instid0(VALU_DEP_3) | instskip(NEXT) | instid1(VALU_DEP_3)
	v_or_b32_e32 v5, 0x70000000, v5
	v_add_f32_e32 v7, -0.5, v7
	s_delay_alu instid0(VALU_DEP_2) | instskip(SKIP_1) | instid1(VALU_DEP_2)
	v_mul_f32_e32 v5, 0x7800000, v5
	v_cmp_gt_u32_e32 vcc_lo, 0x8000000, v4
	v_cndmask_b32_e32 v4, v5, v7, vcc_lo
	s_delay_alu instid0(VALU_DEP_1) | instskip(NEXT) | instid1(VALU_DEP_1)
	v_and_or_b32 v3, 0x80000000, v3, v4
	v_cvt_i32_f32_e32 v4, v3
.LBB432_1254:
	s_mov_b32 s10, 0
	s_mov_b32 s13, -1
.LBB432_1255:
	s_and_not1_b32 vcc_lo, exec_lo, s10
	s_mov_b32 s10, 0
	s_cbranch_vccnz .LBB432_1266
; %bb.1256:
	v_cmp_lt_i16_e32 vcc_lo, 14, v10
	s_cbranch_vccz .LBB432_1259
; %bb.1257:
	v_cmp_eq_u16_e32 vcc_lo, 15, v10
	s_cbranch_vccz .LBB432_1262
; %bb.1258:
	global_load_u16 v3, v[0:1], off
	s_mov_b32 s0, 0
	s_mov_b32 s13, -1
	s_waitcnt vmcnt(0)
	v_lshlrev_b32_e32 v3, 16, v3
	s_delay_alu instid0(VALU_DEP_1)
	v_cvt_i32_f32_e32 v4, v3
	s_branch .LBB432_1264
.LBB432_1259:
	s_mov_b32 s10, -1
	s_branch .LBB432_1263
.LBB432_1260:
	s_or_saveexec_b32 s13, s13
	v_mov_b32_e32 v4, s14
	s_xor_b32 exec_lo, exec_lo, s13
	s_cbranch_execz .LBB432_1241
.LBB432_1261:
	v_cmp_ne_u16_e32 vcc_lo, 0, v3
	v_mov_b32_e32 v4, 0
	s_and_not1_b32 s10, s10, exec_lo
	s_and_b32 s14, vcc_lo, exec_lo
	s_delay_alu instid0(SALU_CYCLE_1)
	s_or_b32 s10, s10, s14
	s_or_b32 exec_lo, exec_lo, s13
	s_and_saveexec_b32 s13, s10
	s_cbranch_execnz .LBB432_1242
	s_branch .LBB432_1243
.LBB432_1262:
	s_mov_b32 s0, -1
.LBB432_1263:
                                        ; implicit-def: $vgpr4
.LBB432_1264:
	s_and_b32 vcc_lo, exec_lo, s10
	s_mov_b32 s10, 0
	s_cbranch_vccz .LBB432_1266
; %bb.1265:
	v_cmp_ne_u16_e64 s0, 11, v10
	s_mov_b32 s10, -1
                                        ; implicit-def: $vgpr4
.LBB432_1266:
	s_delay_alu instid0(VALU_DEP_1)
	s_and_b32 vcc_lo, exec_lo, s0
	s_cbranch_vccnz .LBB432_1290
; %bb.1267:
	s_and_not1_b32 vcc_lo, exec_lo, s10
	s_cbranch_vccnz .LBB432_1269
.LBB432_1268:
	global_load_u8 v3, v[0:1], off
	s_mov_b32 s13, -1
	s_waitcnt vmcnt(0)
	v_cmp_ne_u16_e32 vcc_lo, 0, v3
	v_cndmask_b32_e64 v4, 0, 1, vcc_lo
.LBB432_1269:
.LBB432_1270:
	s_and_not1_b32 vcc_lo, exec_lo, s13
	s_cbranch_vccnz .LBB432_1963
.LBB432_1271:
	s_waitcnt vmcnt(0)
	v_add_nc_u32_e32 v5, s3, v2
	v_cmp_gt_i16_e32 vcc_lo, 11, v10
	s_delay_alu instid0(VALU_DEP_2) | instskip(SKIP_1) | instid1(VALU_DEP_1)
	v_ashrrev_i32_e32 v1, 31, v5
	v_add_co_u32 v0, s0, s6, v5
	v_add_co_ci_u32_e64 v1, s0, s7, v1, s0
	s_cbranch_vccnz .LBB432_1278
; %bb.1272:
	v_cmp_lt_i16_e32 vcc_lo, 25, v10
	s_mov_b32 s10, 0
	s_cbranch_vccz .LBB432_1284
; %bb.1273:
	v_cmp_lt_i16_e32 vcc_lo, 28, v10
	s_cbranch_vccz .LBB432_1286
; %bb.1274:
	v_cmp_lt_i16_e32 vcc_lo, 43, v10
	;; [unrolled: 3-line block ×3, first 2 shown]
	s_cbranch_vccz .LBB432_1292
; %bb.1276:
	v_cmp_eq_u16_e32 vcc_lo, 46, v10
	s_mov_b32 s14, 0
	s_cbranch_vccz .LBB432_1335
; %bb.1277:
	global_load_b32 v2, v[0:1], off
	s_mov_b32 s0, 0
	s_mov_b32 s13, -1
	s_waitcnt vmcnt(0)
	v_lshlrev_b32_e32 v2, 16, v2
	s_delay_alu instid0(VALU_DEP_1)
	v_cvt_i32_f32_e32 v2, v2
	s_branch .LBB432_1337
.LBB432_1278:
	s_mov_b32 s13, 0
                                        ; implicit-def: $vgpr2
	s_cbranch_execz .LBB432_1399
; %bb.1279:
	v_cmp_gt_i16_e32 vcc_lo, 5, v10
	s_cbranch_vccnz .LBB432_1285
; %bb.1280:
	v_cmp_gt_i16_e32 vcc_lo, 8, v10
	s_cbranch_vccnz .LBB432_1287
	;; [unrolled: 3-line block ×3, first 2 shown]
; %bb.1282:
	v_cmp_lt_i16_e32 vcc_lo, 9, v10
	s_cbranch_vccz .LBB432_1293
; %bb.1283:
	global_load_b64 v[2:3], v[0:1], off
	s_mov_b32 s0, 0
	s_waitcnt vmcnt(0)
	v_cvt_i32_f64_e32 v2, v[2:3]
	s_branch .LBB432_1294
.LBB432_1284:
	s_mov_b32 s14, -1
	s_mov_b32 s13, 0
	s_mov_b32 s0, 0
                                        ; implicit-def: $vgpr2
	s_branch .LBB432_1364
.LBB432_1285:
	s_mov_b32 s0, -1
                                        ; implicit-def: $vgpr2
	s_branch .LBB432_1312
.LBB432_1286:
	s_mov_b32 s14, -1
	s_mov_b32 s13, 0
	s_mov_b32 s0, 0
                                        ; implicit-def: $vgpr2
	s_branch .LBB432_1347
.LBB432_1287:
	s_mov_b32 s0, -1
                                        ; implicit-def: $vgpr2
	s_branch .LBB432_1300
.LBB432_1288:
	s_mov_b32 s14, -1
	s_mov_b32 s13, 0
	s_mov_b32 s0, 0
                                        ; implicit-def: $vgpr2
	s_branch .LBB432_1342
.LBB432_1289:
	s_mov_b32 s0, -1
                                        ; implicit-def: $vgpr2
	s_branch .LBB432_1297
.LBB432_1290:
	s_cbranch_execnz .LBB432_1333
; %bb.1291:
	s_or_b32 s9, s9, exec_lo
                                        ; implicit-def: $vgpr4
	s_cbranch_execz .LBB432_1268
	s_branch .LBB432_1269
.LBB432_1292:
	s_mov_b32 s14, -1
	s_mov_b32 s13, 0
	s_mov_b32 s0, 0
	s_branch .LBB432_1336
.LBB432_1293:
	s_mov_b32 s0, -1
                                        ; implicit-def: $vgpr2
.LBB432_1294:
	s_delay_alu instid0(SALU_CYCLE_1)
	s_and_not1_b32 vcc_lo, exec_lo, s0
	s_cbranch_vccnz .LBB432_1296
; %bb.1295:
	global_load_b32 v2, v[0:1], off
	s_waitcnt vmcnt(0)
	v_cvt_i32_f32_e32 v2, v2
.LBB432_1296:
	s_mov_b32 s0, 0
.LBB432_1297:
	s_delay_alu instid0(SALU_CYCLE_1)
	s_and_not1_b32 vcc_lo, exec_lo, s0
	s_cbranch_vccnz .LBB432_1299
; %bb.1298:
	global_load_b32 v2, v[0:1], off
	s_waitcnt vmcnt(0)
	v_cvt_i16_f16_e32 v2, v2
.LBB432_1299:
	s_mov_b32 s0, 0
.LBB432_1300:
	s_delay_alu instid0(SALU_CYCLE_1)
	s_and_not1_b32 vcc_lo, exec_lo, s0
	s_cbranch_vccnz .LBB432_1311
; %bb.1301:
	v_cmp_gt_i16_e32 vcc_lo, 6, v10
	s_cbranch_vccnz .LBB432_1304
; %bb.1302:
	v_cmp_lt_i16_e32 vcc_lo, 6, v10
	s_cbranch_vccz .LBB432_1305
; %bb.1303:
	global_load_b64 v[2:3], v[0:1], off
	s_mov_b32 s0, 0
	s_waitcnt vmcnt(0)
	v_cvt_i32_f64_e32 v2, v[2:3]
	s_branch .LBB432_1306
.LBB432_1304:
	s_mov_b32 s0, -1
                                        ; implicit-def: $vgpr2
	s_branch .LBB432_1309
.LBB432_1305:
	s_mov_b32 s0, -1
                                        ; implicit-def: $vgpr2
.LBB432_1306:
	s_delay_alu instid0(SALU_CYCLE_1)
	s_and_not1_b32 vcc_lo, exec_lo, s0
	s_cbranch_vccnz .LBB432_1308
; %bb.1307:
	global_load_b32 v2, v[0:1], off
	s_waitcnt vmcnt(0)
	v_cvt_i32_f32_e32 v2, v2
.LBB432_1308:
	s_mov_b32 s0, 0
.LBB432_1309:
	s_delay_alu instid0(SALU_CYCLE_1)
	s_and_not1_b32 vcc_lo, exec_lo, s0
	s_cbranch_vccnz .LBB432_1311
; %bb.1310:
	global_load_u16 v2, v[0:1], off
	s_waitcnt vmcnt(0)
	v_cvt_i16_f16_e32 v2, v2
.LBB432_1311:
	s_mov_b32 s0, 0
.LBB432_1312:
	s_delay_alu instid0(SALU_CYCLE_1)
	s_and_not1_b32 vcc_lo, exec_lo, s0
	s_cbranch_vccnz .LBB432_1332
; %bb.1313:
	v_cmp_gt_i16_e32 vcc_lo, 2, v10
	s_cbranch_vccnz .LBB432_1317
; %bb.1314:
	v_cmp_gt_i16_e32 vcc_lo, 3, v10
	s_cbranch_vccnz .LBB432_1318
; %bb.1315:
	v_cmp_lt_i16_e32 vcc_lo, 3, v10
	s_cbranch_vccz .LBB432_1319
; %bb.1316:
	global_load_b64 v[2:3], v[0:1], off
	s_mov_b32 s0, 0
	s_branch .LBB432_1320
.LBB432_1317:
	s_mov_b32 s0, -1
                                        ; implicit-def: $vgpr2
	s_branch .LBB432_1326
.LBB432_1318:
	s_mov_b32 s0, -1
                                        ; implicit-def: $vgpr2
	s_branch .LBB432_1323
.LBB432_1319:
	s_mov_b32 s0, -1
                                        ; implicit-def: $vgpr2
.LBB432_1320:
	s_delay_alu instid0(SALU_CYCLE_1)
	s_and_not1_b32 vcc_lo, exec_lo, s0
	s_cbranch_vccnz .LBB432_1322
; %bb.1321:
	global_load_b32 v2, v[0:1], off
.LBB432_1322:
	s_mov_b32 s0, 0
.LBB432_1323:
	s_delay_alu instid0(SALU_CYCLE_1)
	s_and_not1_b32 vcc_lo, exec_lo, s0
	s_cbranch_vccnz .LBB432_1325
; %bb.1324:
	global_load_u16 v2, v[0:1], off
.LBB432_1325:
	s_mov_b32 s0, 0
.LBB432_1326:
	s_delay_alu instid0(SALU_CYCLE_1)
	s_and_not1_b32 vcc_lo, exec_lo, s0
	s_cbranch_vccnz .LBB432_1332
; %bb.1327:
	v_cmp_lt_i16_e32 vcc_lo, 0, v10
	s_mov_b32 s0, 0
	s_cbranch_vccz .LBB432_1329
; %bb.1328:
	global_load_u8 v2, v[0:1], off
	s_branch .LBB432_1330
.LBB432_1329:
	s_mov_b32 s0, -1
                                        ; implicit-def: $vgpr2
.LBB432_1330:
	s_delay_alu instid0(SALU_CYCLE_1)
	s_and_not1_b32 vcc_lo, exec_lo, s0
	s_cbranch_vccnz .LBB432_1332
; %bb.1331:
	global_load_u8 v2, v[0:1], off
.LBB432_1332:
	s_branch .LBB432_1400
.LBB432_1333:
	s_trap 2
	s_sendmsg_rtn_b32 s0, sendmsg(MSG_RTN_GET_DOORBELL)
	s_mov_b32 ttmp2, m0
	s_waitcnt lgkmcnt(0)
	s_and_b32 s0, s0, 0x3ff
	s_delay_alu instid0(SALU_CYCLE_1) | instskip(NEXT) | instid1(SALU_CYCLE_1)
	s_bitset1_b32 s0, 10
	s_mov_b32 m0, s0
	s_sendmsg sendmsg(MSG_INTERRUPT)
	s_mov_b32 m0, ttmp2
.LBB432_1334:                           ; =>This Inner Loop Header: Depth=1
	s_sethalt 5
	s_branch .LBB432_1334
.LBB432_1335:
	s_mov_b32 s0, -1
	s_mov_b32 s13, 0
.LBB432_1336:
                                        ; implicit-def: $vgpr2
.LBB432_1337:
	s_and_b32 vcc_lo, exec_lo, s14
	s_cbranch_vccz .LBB432_1341
; %bb.1338:
	v_cmp_eq_u16_e32 vcc_lo, 44, v10
	s_cbranch_vccz .LBB432_1340
; %bb.1339:
	global_load_u8 v2, v[0:1], off
	s_mov_b32 s0, 0
	s_mov_b32 s13, -1
	s_waitcnt vmcnt(0)
	v_lshlrev_b32_e32 v3, 23, v2
	v_cmp_ne_u32_e32 vcc_lo, 0, v2
	s_delay_alu instid0(VALU_DEP_2) | instskip(NEXT) | instid1(VALU_DEP_1)
	v_cvt_i32_f32_e32 v3, v3
	v_cndmask_b32_e32 v2, 0, v3, vcc_lo
	s_branch .LBB432_1341
.LBB432_1340:
	s_mov_b32 s0, -1
                                        ; implicit-def: $vgpr2
.LBB432_1341:
	s_mov_b32 s14, 0
.LBB432_1342:
	s_delay_alu instid0(SALU_CYCLE_1)
	s_and_b32 vcc_lo, exec_lo, s14
	s_cbranch_vccz .LBB432_1346
; %bb.1343:
	v_cmp_eq_u16_e32 vcc_lo, 29, v10
	s_cbranch_vccz .LBB432_1345
; %bb.1344:
	global_load_b64 v[2:3], v[0:1], off
	s_mov_b32 s0, 0
	s_mov_b32 s13, -1
	s_branch .LBB432_1346
.LBB432_1345:
	s_mov_b32 s0, -1
                                        ; implicit-def: $vgpr2
.LBB432_1346:
	s_mov_b32 s14, 0
.LBB432_1347:
	s_delay_alu instid0(SALU_CYCLE_1)
	s_and_b32 vcc_lo, exec_lo, s14
	s_cbranch_vccz .LBB432_1363
; %bb.1348:
	v_cmp_gt_i16_e32 vcc_lo, 27, v10
	s_cbranch_vccnz .LBB432_1351
; %bb.1349:
	v_cmp_lt_i16_e32 vcc_lo, 27, v10
	s_cbranch_vccz .LBB432_1352
; %bb.1350:
	global_load_b32 v2, v[0:1], off
	s_mov_b32 s13, 0
	s_branch .LBB432_1353
.LBB432_1351:
	s_mov_b32 s13, -1
                                        ; implicit-def: $vgpr2
	s_branch .LBB432_1356
.LBB432_1352:
	s_mov_b32 s13, -1
                                        ; implicit-def: $vgpr2
.LBB432_1353:
	s_delay_alu instid0(SALU_CYCLE_1)
	s_and_not1_b32 vcc_lo, exec_lo, s13
	s_cbranch_vccnz .LBB432_1355
; %bb.1354:
	global_load_u16 v2, v[0:1], off
.LBB432_1355:
	s_mov_b32 s13, 0
.LBB432_1356:
	s_delay_alu instid0(SALU_CYCLE_1)
	s_and_not1_b32 vcc_lo, exec_lo, s13
	s_cbranch_vccnz .LBB432_1362
; %bb.1357:
	global_load_u8 v3, v[0:1], off
	s_mov_b32 s13, 0
	s_mov_b32 s14, exec_lo
                                        ; implicit-def: $sgpr15
	s_waitcnt vmcnt(0)
	v_cmpx_lt_i16_e32 0x7f, v3
	s_xor_b32 s14, exec_lo, s14
	s_cbranch_execz .LBB432_1374
; %bb.1358:
	v_cmp_ne_u16_e32 vcc_lo, 0x80, v3
	s_mov_b32 s15, 0
	s_and_b32 s13, vcc_lo, exec_lo
	s_or_saveexec_b32 s14, s14
	v_mov_b32_e32 v2, s15
	s_xor_b32 exec_lo, exec_lo, s14
	s_cbranch_execnz .LBB432_1375
.LBB432_1359:
	s_or_b32 exec_lo, exec_lo, s14
	s_and_saveexec_b32 s14, s13
	s_cbranch_execz .LBB432_1361
.LBB432_1360:
	v_and_b32_e32 v2, 0xffff, v3
	v_lshlrev_b32_e32 v3, 24, v3
	s_delay_alu instid0(VALU_DEP_2) | instskip(NEXT) | instid1(VALU_DEP_2)
	v_and_b32_e32 v7, 7, v2
	v_and_b32_e32 v3, 0x80000000, v3
	s_delay_alu instid0(VALU_DEP_2) | instskip(NEXT) | instid1(VALU_DEP_1)
	v_clz_i32_u32_e32 v8, v7
	v_min_u32_e32 v8, 32, v8
	s_delay_alu instid0(VALU_DEP_1) | instskip(SKIP_1) | instid1(VALU_DEP_2)
	v_subrev_nc_u32_e32 v11, 28, v8
	v_sub_nc_u32_e32 v8, 29, v8
	v_lshlrev_b32_e32 v11, v11, v2
	v_bfe_u32 v2, v2, 3, 4
	s_delay_alu instid0(VALU_DEP_2) | instskip(NEXT) | instid1(VALU_DEP_2)
	v_and_b32_e32 v11, 7, v11
	v_cmp_eq_u32_e32 vcc_lo, 0, v2
	s_delay_alu instid0(VALU_DEP_2) | instskip(NEXT) | instid1(VALU_DEP_1)
	v_dual_cndmask_b32 v2, v2, v8 :: v_dual_cndmask_b32 v7, v7, v11
	v_lshl_add_u32 v2, v2, 23, 0x3b800000
	s_delay_alu instid0(VALU_DEP_2) | instskip(NEXT) | instid1(VALU_DEP_1)
	v_lshlrev_b32_e32 v7, 20, v7
	v_or3_b32 v2, v3, v2, v7
	s_delay_alu instid0(VALU_DEP_1)
	v_cvt_i32_f32_e32 v2, v2
.LBB432_1361:
	s_or_b32 exec_lo, exec_lo, s14
.LBB432_1362:
	s_mov_b32 s13, -1
.LBB432_1363:
	s_mov_b32 s14, 0
.LBB432_1364:
	s_delay_alu instid0(SALU_CYCLE_1)
	s_and_b32 vcc_lo, exec_lo, s14
	s_cbranch_vccz .LBB432_1395
; %bb.1365:
	v_cmp_lt_i16_e32 vcc_lo, 22, v10
	s_cbranch_vccz .LBB432_1373
; %bb.1366:
	v_cmp_gt_i16_e32 vcc_lo, 24, v10
	s_cbranch_vccnz .LBB432_1376
; %bb.1367:
	v_cmp_lt_i16_e32 vcc_lo, 24, v10
	s_cbranch_vccz .LBB432_1377
; %bb.1368:
	global_load_u8 v3, v[0:1], off
	s_mov_b32 s13, exec_lo
                                        ; implicit-def: $sgpr14
	s_waitcnt vmcnt(0)
	v_cmpx_lt_i16_e32 0x7f, v3
	s_xor_b32 s13, exec_lo, s13
	s_cbranch_execz .LBB432_1389
; %bb.1369:
	v_cmp_ne_u16_e32 vcc_lo, 0x80, v3
	s_mov_b32 s14, 0
	s_and_b32 s10, vcc_lo, exec_lo
	s_or_saveexec_b32 s13, s13
	v_mov_b32_e32 v2, s14
	s_xor_b32 exec_lo, exec_lo, s13
	s_cbranch_execnz .LBB432_1390
.LBB432_1370:
	s_or_b32 exec_lo, exec_lo, s13
	s_and_saveexec_b32 s13, s10
	s_cbranch_execz .LBB432_1372
.LBB432_1371:
	v_and_b32_e32 v2, 0xffff, v3
	v_lshlrev_b32_e32 v3, 24, v3
	s_delay_alu instid0(VALU_DEP_2) | instskip(NEXT) | instid1(VALU_DEP_2)
	v_and_b32_e32 v7, 3, v2
	v_and_b32_e32 v3, 0x80000000, v3
	s_delay_alu instid0(VALU_DEP_2) | instskip(NEXT) | instid1(VALU_DEP_1)
	v_clz_i32_u32_e32 v8, v7
	v_min_u32_e32 v8, 32, v8
	s_delay_alu instid0(VALU_DEP_1) | instskip(SKIP_1) | instid1(VALU_DEP_2)
	v_subrev_nc_u32_e32 v11, 29, v8
	v_sub_nc_u32_e32 v8, 30, v8
	v_lshlrev_b32_e32 v11, v11, v2
	v_bfe_u32 v2, v2, 2, 5
	s_delay_alu instid0(VALU_DEP_2) | instskip(NEXT) | instid1(VALU_DEP_2)
	v_and_b32_e32 v11, 3, v11
	v_cmp_eq_u32_e32 vcc_lo, 0, v2
	s_delay_alu instid0(VALU_DEP_2) | instskip(NEXT) | instid1(VALU_DEP_1)
	v_dual_cndmask_b32 v2, v2, v8 :: v_dual_cndmask_b32 v7, v7, v11
	v_lshl_add_u32 v2, v2, 23, 0x37800000
	s_delay_alu instid0(VALU_DEP_2) | instskip(NEXT) | instid1(VALU_DEP_1)
	v_lshlrev_b32_e32 v7, 21, v7
	v_or3_b32 v2, v3, v2, v7
	s_delay_alu instid0(VALU_DEP_1)
	v_cvt_i32_f32_e32 v2, v2
.LBB432_1372:
	s_or_b32 exec_lo, exec_lo, s13
	s_mov_b32 s10, 0
	s_branch .LBB432_1378
.LBB432_1373:
	s_mov_b32 s10, -1
                                        ; implicit-def: $vgpr2
	s_branch .LBB432_1384
.LBB432_1374:
	s_or_saveexec_b32 s14, s14
	v_mov_b32_e32 v2, s15
	s_xor_b32 exec_lo, exec_lo, s14
	s_cbranch_execz .LBB432_1359
.LBB432_1375:
	v_cmp_ne_u16_e32 vcc_lo, 0, v3
	v_mov_b32_e32 v2, 0
	s_and_not1_b32 s13, s13, exec_lo
	s_and_b32 s15, vcc_lo, exec_lo
	s_delay_alu instid0(SALU_CYCLE_1)
	s_or_b32 s13, s13, s15
	s_or_b32 exec_lo, exec_lo, s14
	s_and_saveexec_b32 s14, s13
	s_cbranch_execnz .LBB432_1360
	s_branch .LBB432_1361
.LBB432_1376:
	s_mov_b32 s10, -1
                                        ; implicit-def: $vgpr2
	s_branch .LBB432_1381
.LBB432_1377:
	s_mov_b32 s10, -1
                                        ; implicit-def: $vgpr2
.LBB432_1378:
	s_delay_alu instid0(SALU_CYCLE_1)
	s_and_b32 vcc_lo, exec_lo, s10
	s_cbranch_vccz .LBB432_1380
; %bb.1379:
	global_load_u8 v2, v[0:1], off
	s_waitcnt vmcnt(0)
	v_lshlrev_b32_e32 v2, 24, v2
	s_delay_alu instid0(VALU_DEP_1) | instskip(NEXT) | instid1(VALU_DEP_1)
	v_and_b32_e32 v3, 0x7f000000, v2
	v_clz_i32_u32_e32 v7, v3
	v_add_nc_u32_e32 v11, 0x1000000, v3
	v_cmp_ne_u32_e32 vcc_lo, 0, v3
	s_delay_alu instid0(VALU_DEP_3) | instskip(NEXT) | instid1(VALU_DEP_1)
	v_min_u32_e32 v7, 32, v7
	v_sub_nc_u32_e64 v7, v7, 4 clamp
	s_delay_alu instid0(VALU_DEP_1) | instskip(SKIP_1) | instid1(VALU_DEP_2)
	v_lshlrev_b32_e32 v8, v7, v3
	v_lshlrev_b32_e32 v7, 23, v7
	v_lshrrev_b32_e32 v8, 4, v8
	s_delay_alu instid0(VALU_DEP_1) | instskip(SKIP_1) | instid1(VALU_DEP_2)
	v_sub_nc_u32_e32 v7, v8, v7
	v_ashrrev_i32_e32 v8, 8, v11
	v_add_nc_u32_e32 v7, 0x3c000000, v7
	s_delay_alu instid0(VALU_DEP_1) | instskip(NEXT) | instid1(VALU_DEP_1)
	v_and_or_b32 v7, 0x7f800000, v8, v7
	v_cndmask_b32_e32 v3, 0, v7, vcc_lo
	s_delay_alu instid0(VALU_DEP_1) | instskip(NEXT) | instid1(VALU_DEP_1)
	v_and_or_b32 v2, 0x80000000, v2, v3
	v_cvt_i32_f32_e32 v2, v2
.LBB432_1380:
	s_mov_b32 s10, 0
.LBB432_1381:
	s_delay_alu instid0(SALU_CYCLE_1)
	s_and_not1_b32 vcc_lo, exec_lo, s10
	s_cbranch_vccnz .LBB432_1383
; %bb.1382:
	global_load_u8 v2, v[0:1], off
	s_waitcnt vmcnt(0)
	v_lshlrev_b32_e32 v3, 25, v2
	v_lshlrev_b16 v2, 8, v2
	s_delay_alu instid0(VALU_DEP_1) | instskip(SKIP_1) | instid1(VALU_DEP_2)
	v_and_or_b32 v8, 0x7f00, v2, 0.5
	v_bfe_i32 v2, v2, 0, 16
	v_add_f32_e32 v8, -0.5, v8
	v_lshrrev_b32_e32 v7, 4, v3
	v_cmp_gt_u32_e32 vcc_lo, 0x8000000, v3
	s_delay_alu instid0(VALU_DEP_2) | instskip(NEXT) | instid1(VALU_DEP_1)
	v_or_b32_e32 v7, 0x70000000, v7
	v_mul_f32_e32 v7, 0x7800000, v7
	s_delay_alu instid0(VALU_DEP_1) | instskip(NEXT) | instid1(VALU_DEP_1)
	v_cndmask_b32_e32 v3, v7, v8, vcc_lo
	v_and_or_b32 v2, 0x80000000, v2, v3
	s_delay_alu instid0(VALU_DEP_1)
	v_cvt_i32_f32_e32 v2, v2
.LBB432_1383:
	s_mov_b32 s10, 0
	s_mov_b32 s13, -1
.LBB432_1384:
	s_and_not1_b32 vcc_lo, exec_lo, s10
	s_mov_b32 s10, 0
	s_cbranch_vccnz .LBB432_1395
; %bb.1385:
	v_cmp_lt_i16_e32 vcc_lo, 14, v10
	s_cbranch_vccz .LBB432_1388
; %bb.1386:
	v_cmp_eq_u16_e32 vcc_lo, 15, v10
	s_cbranch_vccz .LBB432_1391
; %bb.1387:
	global_load_u16 v2, v[0:1], off
	s_mov_b32 s0, 0
	s_mov_b32 s13, -1
	s_waitcnt vmcnt(0)
	v_lshlrev_b32_e32 v2, 16, v2
	s_delay_alu instid0(VALU_DEP_1)
	v_cvt_i32_f32_e32 v2, v2
	s_branch .LBB432_1393
.LBB432_1388:
	s_mov_b32 s10, -1
	s_branch .LBB432_1392
.LBB432_1389:
	s_or_saveexec_b32 s13, s13
	v_mov_b32_e32 v2, s14
	s_xor_b32 exec_lo, exec_lo, s13
	s_cbranch_execz .LBB432_1370
.LBB432_1390:
	v_cmp_ne_u16_e32 vcc_lo, 0, v3
	v_mov_b32_e32 v2, 0
	s_and_not1_b32 s10, s10, exec_lo
	s_and_b32 s14, vcc_lo, exec_lo
	s_delay_alu instid0(SALU_CYCLE_1)
	s_or_b32 s10, s10, s14
	s_or_b32 exec_lo, exec_lo, s13
	s_and_saveexec_b32 s13, s10
	s_cbranch_execnz .LBB432_1371
	s_branch .LBB432_1372
.LBB432_1391:
	s_mov_b32 s0, -1
.LBB432_1392:
                                        ; implicit-def: $vgpr2
.LBB432_1393:
	s_and_b32 vcc_lo, exec_lo, s10
	s_mov_b32 s10, 0
	s_cbranch_vccz .LBB432_1395
; %bb.1394:
	v_cmp_ne_u16_e64 s0, 11, v10
	s_mov_b32 s10, -1
                                        ; implicit-def: $vgpr2
.LBB432_1395:
	s_delay_alu instid0(VALU_DEP_1)
	s_and_b32 vcc_lo, exec_lo, s0
	s_cbranch_vccnz .LBB432_1411
; %bb.1396:
	s_and_not1_b32 vcc_lo, exec_lo, s10
	s_cbranch_vccnz .LBB432_1398
.LBB432_1397:
	global_load_u8 v2, v[0:1], off
	s_mov_b32 s13, -1
	s_waitcnt vmcnt(0)
	v_cmp_ne_u16_e32 vcc_lo, 0, v2
	v_cndmask_b32_e64 v2, 0, 1, vcc_lo
.LBB432_1398:
.LBB432_1399:
	s_and_not1_b32 vcc_lo, exec_lo, s13
	s_cbranch_vccnz .LBB432_1963
.LBB432_1400:
	v_add_nc_u32_e32 v0, s3, v5
	v_cmp_gt_i16_e32 vcc_lo, 11, v10
	s_delay_alu instid0(VALU_DEP_2) | instskip(SKIP_1) | instid1(VALU_DEP_1)
	v_ashrrev_i32_e32 v1, 31, v0
	v_add_co_u32 v7, s0, s6, v0
	v_add_co_ci_u32_e64 v8, s0, s7, v1, s0
	s_cbranch_vccnz .LBB432_1407
; %bb.1401:
	v_cmp_lt_i16_e32 vcc_lo, 25, v10
	s_mov_b32 s3, 0
	s_cbranch_vccz .LBB432_1408
; %bb.1402:
	v_cmp_lt_i16_e32 vcc_lo, 28, v10
	s_cbranch_vccz .LBB432_1409
; %bb.1403:
	v_cmp_lt_i16_e32 vcc_lo, 43, v10
	;; [unrolled: 3-line block ×3, first 2 shown]
	s_cbranch_vccz .LBB432_1413
; %bb.1405:
	v_cmp_eq_u16_e32 vcc_lo, 46, v10
	s_mov_b32 s7, 0
	s_cbranch_vccz .LBB432_1416
; %bb.1406:
	global_load_b32 v0, v[7:8], off
	s_mov_b32 s0, 0
	s_mov_b32 s6, -1
	s_waitcnt vmcnt(0)
	v_lshlrev_b32_e32 v0, 16, v0
	s_delay_alu instid0(VALU_DEP_1)
	v_cvt_i32_f32_e32 v0, v0
	s_branch .LBB432_1418
.LBB432_1407:
	s_mov_b32 s0, -1
	s_mov_b32 s6, 0
                                        ; implicit-def: $vgpr0
	s_branch .LBB432_1480
.LBB432_1408:
	s_mov_b32 s7, -1
	s_mov_b32 s6, 0
	s_mov_b32 s0, 0
                                        ; implicit-def: $vgpr0
	s_branch .LBB432_1445
.LBB432_1409:
	s_mov_b32 s7, -1
	s_mov_b32 s6, 0
	s_mov_b32 s0, 0
                                        ; implicit-def: $vgpr0
	s_branch .LBB432_1428
.LBB432_1410:
	s_mov_b32 s7, -1
	s_mov_b32 s6, 0
	s_mov_b32 s0, 0
                                        ; implicit-def: $vgpr0
	s_branch .LBB432_1423
.LBB432_1411:
	s_cbranch_execnz .LBB432_1414
; %bb.1412:
	s_or_b32 s9, s9, exec_lo
                                        ; implicit-def: $vgpr2
	s_cbranch_execz .LBB432_1397
	s_branch .LBB432_1398
.LBB432_1413:
	s_mov_b32 s7, -1
	s_mov_b32 s6, 0
	s_mov_b32 s0, 0
	s_branch .LBB432_1417
.LBB432_1414:
	s_trap 2
	s_sendmsg_rtn_b32 s0, sendmsg(MSG_RTN_GET_DOORBELL)
	s_mov_b32 ttmp2, m0
	s_waitcnt lgkmcnt(0)
	s_and_b32 s0, s0, 0x3ff
	s_delay_alu instid0(SALU_CYCLE_1) | instskip(NEXT) | instid1(SALU_CYCLE_1)
	s_bitset1_b32 s0, 10
	s_mov_b32 m0, s0
	s_sendmsg sendmsg(MSG_INTERRUPT)
	s_mov_b32 m0, ttmp2
.LBB432_1415:                           ; =>This Inner Loop Header: Depth=1
	s_sethalt 5
	s_branch .LBB432_1415
.LBB432_1416:
	s_mov_b32 s0, -1
	s_mov_b32 s6, 0
.LBB432_1417:
                                        ; implicit-def: $vgpr0
.LBB432_1418:
	s_and_b32 vcc_lo, exec_lo, s7
	s_cbranch_vccz .LBB432_1422
; %bb.1419:
	v_cmp_eq_u16_e32 vcc_lo, 44, v10
	s_cbranch_vccz .LBB432_1421
; %bb.1420:
	global_load_u8 v0, v[7:8], off
	s_mov_b32 s0, 0
	s_mov_b32 s6, -1
	s_waitcnt vmcnt(0)
	v_lshlrev_b32_e32 v1, 23, v0
	v_cmp_ne_u32_e32 vcc_lo, 0, v0
	s_delay_alu instid0(VALU_DEP_2) | instskip(NEXT) | instid1(VALU_DEP_1)
	v_cvt_i32_f32_e32 v1, v1
	v_cndmask_b32_e32 v0, 0, v1, vcc_lo
	s_branch .LBB432_1422
.LBB432_1421:
	s_mov_b32 s0, -1
                                        ; implicit-def: $vgpr0
.LBB432_1422:
	s_mov_b32 s7, 0
.LBB432_1423:
	s_delay_alu instid0(SALU_CYCLE_1)
	s_and_b32 vcc_lo, exec_lo, s7
	s_cbranch_vccz .LBB432_1427
; %bb.1424:
	v_cmp_eq_u16_e32 vcc_lo, 29, v10
	s_cbranch_vccz .LBB432_1426
; %bb.1425:
	global_load_b64 v[0:1], v[7:8], off
	s_mov_b32 s0, 0
	s_mov_b32 s6, -1
	s_branch .LBB432_1427
.LBB432_1426:
	s_mov_b32 s0, -1
                                        ; implicit-def: $vgpr0
.LBB432_1427:
	s_mov_b32 s7, 0
.LBB432_1428:
	s_delay_alu instid0(SALU_CYCLE_1)
	s_and_b32 vcc_lo, exec_lo, s7
	s_cbranch_vccz .LBB432_1444
; %bb.1429:
	v_cmp_gt_i16_e32 vcc_lo, 27, v10
	s_cbranch_vccnz .LBB432_1432
; %bb.1430:
	v_cmp_lt_i16_e32 vcc_lo, 27, v10
	s_cbranch_vccz .LBB432_1433
; %bb.1431:
	global_load_b32 v0, v[7:8], off
	s_mov_b32 s6, 0
	s_branch .LBB432_1434
.LBB432_1432:
	s_mov_b32 s6, -1
                                        ; implicit-def: $vgpr0
	s_branch .LBB432_1437
.LBB432_1433:
	s_mov_b32 s6, -1
                                        ; implicit-def: $vgpr0
.LBB432_1434:
	s_delay_alu instid0(SALU_CYCLE_1)
	s_and_not1_b32 vcc_lo, exec_lo, s6
	s_cbranch_vccnz .LBB432_1436
; %bb.1435:
	global_load_u16 v0, v[7:8], off
.LBB432_1436:
	s_mov_b32 s6, 0
.LBB432_1437:
	s_delay_alu instid0(SALU_CYCLE_1)
	s_and_not1_b32 vcc_lo, exec_lo, s6
	s_cbranch_vccnz .LBB432_1443
; %bb.1438:
	global_load_u8 v1, v[7:8], off
	s_mov_b32 s6, 0
	s_mov_b32 s7, exec_lo
                                        ; implicit-def: $sgpr10
	s_waitcnt vmcnt(0)
	v_cmpx_lt_i16_e32 0x7f, v1
	s_xor_b32 s7, exec_lo, s7
	s_cbranch_execz .LBB432_1455
; %bb.1439:
	v_cmp_ne_u16_e32 vcc_lo, 0x80, v1
	s_mov_b32 s10, 0
	s_and_b32 s6, vcc_lo, exec_lo
	s_or_saveexec_b32 s7, s7
	v_mov_b32_e32 v0, s10
	s_xor_b32 exec_lo, exec_lo, s7
	s_cbranch_execnz .LBB432_1456
.LBB432_1440:
	s_or_b32 exec_lo, exec_lo, s7
	s_and_saveexec_b32 s7, s6
	s_cbranch_execz .LBB432_1442
.LBB432_1441:
	v_and_b32_e32 v0, 0xffff, v1
	v_lshlrev_b32_e32 v1, 24, v1
	s_delay_alu instid0(VALU_DEP_2) | instskip(NEXT) | instid1(VALU_DEP_2)
	v_and_b32_e32 v3, 7, v0
	v_and_b32_e32 v1, 0x80000000, v1
	s_delay_alu instid0(VALU_DEP_2) | instskip(NEXT) | instid1(VALU_DEP_1)
	v_clz_i32_u32_e32 v5, v3
	v_min_u32_e32 v5, 32, v5
	s_delay_alu instid0(VALU_DEP_1) | instskip(SKIP_1) | instid1(VALU_DEP_2)
	v_subrev_nc_u32_e32 v11, 28, v5
	v_sub_nc_u32_e32 v5, 29, v5
	v_lshlrev_b32_e32 v11, v11, v0
	v_bfe_u32 v0, v0, 3, 4
	s_delay_alu instid0(VALU_DEP_2) | instskip(NEXT) | instid1(VALU_DEP_2)
	v_and_b32_e32 v11, 7, v11
	v_cmp_eq_u32_e32 vcc_lo, 0, v0
	s_delay_alu instid0(VALU_DEP_2) | instskip(NEXT) | instid1(VALU_DEP_1)
	v_dual_cndmask_b32 v0, v0, v5 :: v_dual_cndmask_b32 v3, v3, v11
	v_lshl_add_u32 v0, v0, 23, 0x3b800000
	s_delay_alu instid0(VALU_DEP_2) | instskip(NEXT) | instid1(VALU_DEP_1)
	v_lshlrev_b32_e32 v3, 20, v3
	v_or3_b32 v0, v1, v0, v3
	s_delay_alu instid0(VALU_DEP_1)
	v_cvt_i32_f32_e32 v0, v0
.LBB432_1442:
	s_or_b32 exec_lo, exec_lo, s7
.LBB432_1443:
	s_mov_b32 s6, -1
.LBB432_1444:
	s_mov_b32 s7, 0
.LBB432_1445:
	s_delay_alu instid0(SALU_CYCLE_1)
	s_and_b32 vcc_lo, exec_lo, s7
	s_cbranch_vccz .LBB432_1476
; %bb.1446:
	v_cmp_lt_i16_e32 vcc_lo, 22, v10
	s_cbranch_vccz .LBB432_1454
; %bb.1447:
	v_cmp_gt_i16_e32 vcc_lo, 24, v10
	s_cbranch_vccnz .LBB432_1457
; %bb.1448:
	v_cmp_lt_i16_e32 vcc_lo, 24, v10
	s_cbranch_vccz .LBB432_1458
; %bb.1449:
	global_load_u8 v1, v[7:8], off
	s_mov_b32 s6, exec_lo
                                        ; implicit-def: $sgpr7
	s_waitcnt vmcnt(0)
	v_cmpx_lt_i16_e32 0x7f, v1
	s_xor_b32 s6, exec_lo, s6
	s_cbranch_execz .LBB432_1470
; %bb.1450:
	v_cmp_ne_u16_e32 vcc_lo, 0x80, v1
	s_mov_b32 s7, 0
	s_and_b32 s3, vcc_lo, exec_lo
	s_or_saveexec_b32 s6, s6
	v_mov_b32_e32 v0, s7
	s_xor_b32 exec_lo, exec_lo, s6
	s_cbranch_execnz .LBB432_1471
.LBB432_1451:
	s_or_b32 exec_lo, exec_lo, s6
	s_and_saveexec_b32 s6, s3
	s_cbranch_execz .LBB432_1453
.LBB432_1452:
	v_and_b32_e32 v0, 0xffff, v1
	v_lshlrev_b32_e32 v1, 24, v1
	s_delay_alu instid0(VALU_DEP_2) | instskip(NEXT) | instid1(VALU_DEP_2)
	v_and_b32_e32 v3, 3, v0
	v_and_b32_e32 v1, 0x80000000, v1
	s_delay_alu instid0(VALU_DEP_2) | instskip(NEXT) | instid1(VALU_DEP_1)
	v_clz_i32_u32_e32 v5, v3
	v_min_u32_e32 v5, 32, v5
	s_delay_alu instid0(VALU_DEP_1) | instskip(SKIP_1) | instid1(VALU_DEP_2)
	v_subrev_nc_u32_e32 v11, 29, v5
	v_sub_nc_u32_e32 v5, 30, v5
	v_lshlrev_b32_e32 v11, v11, v0
	v_bfe_u32 v0, v0, 2, 5
	s_delay_alu instid0(VALU_DEP_2) | instskip(NEXT) | instid1(VALU_DEP_2)
	v_and_b32_e32 v11, 3, v11
	v_cmp_eq_u32_e32 vcc_lo, 0, v0
	s_delay_alu instid0(VALU_DEP_2) | instskip(NEXT) | instid1(VALU_DEP_1)
	v_dual_cndmask_b32 v0, v0, v5 :: v_dual_cndmask_b32 v3, v3, v11
	v_lshl_add_u32 v0, v0, 23, 0x37800000
	s_delay_alu instid0(VALU_DEP_2) | instskip(NEXT) | instid1(VALU_DEP_1)
	v_lshlrev_b32_e32 v3, 21, v3
	v_or3_b32 v0, v1, v0, v3
	s_delay_alu instid0(VALU_DEP_1)
	v_cvt_i32_f32_e32 v0, v0
.LBB432_1453:
	s_or_b32 exec_lo, exec_lo, s6
	s_mov_b32 s3, 0
	s_branch .LBB432_1459
.LBB432_1454:
	s_mov_b32 s3, -1
                                        ; implicit-def: $vgpr0
	s_branch .LBB432_1465
.LBB432_1455:
	s_or_saveexec_b32 s7, s7
	v_mov_b32_e32 v0, s10
	s_xor_b32 exec_lo, exec_lo, s7
	s_cbranch_execz .LBB432_1440
.LBB432_1456:
	v_cmp_ne_u16_e32 vcc_lo, 0, v1
	v_mov_b32_e32 v0, 0
	s_and_not1_b32 s6, s6, exec_lo
	s_and_b32 s10, vcc_lo, exec_lo
	s_delay_alu instid0(SALU_CYCLE_1)
	s_or_b32 s6, s6, s10
	s_or_b32 exec_lo, exec_lo, s7
	s_and_saveexec_b32 s7, s6
	s_cbranch_execnz .LBB432_1441
	s_branch .LBB432_1442
.LBB432_1457:
	s_mov_b32 s3, -1
                                        ; implicit-def: $vgpr0
	s_branch .LBB432_1462
.LBB432_1458:
	s_mov_b32 s3, -1
                                        ; implicit-def: $vgpr0
.LBB432_1459:
	s_delay_alu instid0(SALU_CYCLE_1)
	s_and_b32 vcc_lo, exec_lo, s3
	s_cbranch_vccz .LBB432_1461
; %bb.1460:
	global_load_u8 v0, v[7:8], off
	s_waitcnt vmcnt(0)
	v_lshlrev_b32_e32 v0, 24, v0
	s_delay_alu instid0(VALU_DEP_1) | instskip(NEXT) | instid1(VALU_DEP_1)
	v_and_b32_e32 v1, 0x7f000000, v0
	v_clz_i32_u32_e32 v3, v1
	v_add_nc_u32_e32 v11, 0x1000000, v1
	v_cmp_ne_u32_e32 vcc_lo, 0, v1
	s_delay_alu instid0(VALU_DEP_3) | instskip(NEXT) | instid1(VALU_DEP_1)
	v_min_u32_e32 v3, 32, v3
	v_sub_nc_u32_e64 v3, v3, 4 clamp
	s_delay_alu instid0(VALU_DEP_1) | instskip(SKIP_1) | instid1(VALU_DEP_2)
	v_lshlrev_b32_e32 v5, v3, v1
	v_lshlrev_b32_e32 v3, 23, v3
	v_lshrrev_b32_e32 v5, 4, v5
	s_delay_alu instid0(VALU_DEP_1) | instskip(SKIP_1) | instid1(VALU_DEP_2)
	v_sub_nc_u32_e32 v3, v5, v3
	v_ashrrev_i32_e32 v5, 8, v11
	v_add_nc_u32_e32 v3, 0x3c000000, v3
	s_delay_alu instid0(VALU_DEP_1) | instskip(NEXT) | instid1(VALU_DEP_1)
	v_and_or_b32 v3, 0x7f800000, v5, v3
	v_cndmask_b32_e32 v1, 0, v3, vcc_lo
	s_delay_alu instid0(VALU_DEP_1) | instskip(NEXT) | instid1(VALU_DEP_1)
	v_and_or_b32 v0, 0x80000000, v0, v1
	v_cvt_i32_f32_e32 v0, v0
.LBB432_1461:
	s_mov_b32 s3, 0
.LBB432_1462:
	s_delay_alu instid0(SALU_CYCLE_1)
	s_and_not1_b32 vcc_lo, exec_lo, s3
	s_cbranch_vccnz .LBB432_1464
; %bb.1463:
	global_load_u8 v0, v[7:8], off
	s_waitcnt vmcnt(0)
	v_lshlrev_b32_e32 v1, 25, v0
	v_lshlrev_b16 v0, 8, v0
	s_delay_alu instid0(VALU_DEP_2) | instskip(NEXT) | instid1(VALU_DEP_2)
	v_lshrrev_b32_e32 v3, 4, v1
	v_and_or_b32 v5, 0x7f00, v0, 0.5
	v_cmp_gt_u32_e32 vcc_lo, 0x8000000, v1
	v_bfe_i32 v0, v0, 0, 16
	s_delay_alu instid0(VALU_DEP_4) | instskip(NEXT) | instid1(VALU_DEP_4)
	v_or_b32_e32 v3, 0x70000000, v3
	v_add_f32_e32 v5, -0.5, v5
	s_delay_alu instid0(VALU_DEP_2) | instskip(NEXT) | instid1(VALU_DEP_1)
	v_mul_f32_e32 v3, 0x7800000, v3
	v_cndmask_b32_e32 v1, v3, v5, vcc_lo
	s_delay_alu instid0(VALU_DEP_1) | instskip(NEXT) | instid1(VALU_DEP_1)
	v_and_or_b32 v0, 0x80000000, v0, v1
	v_cvt_i32_f32_e32 v0, v0
.LBB432_1464:
	s_mov_b32 s3, 0
	s_mov_b32 s6, -1
.LBB432_1465:
	s_and_not1_b32 vcc_lo, exec_lo, s3
	s_mov_b32 s3, 0
	s_cbranch_vccnz .LBB432_1476
; %bb.1466:
	v_cmp_lt_i16_e32 vcc_lo, 14, v10
	s_cbranch_vccz .LBB432_1469
; %bb.1467:
	v_cmp_eq_u16_e32 vcc_lo, 15, v10
	s_cbranch_vccz .LBB432_1472
; %bb.1468:
	global_load_u16 v0, v[7:8], off
	s_mov_b32 s0, 0
	s_mov_b32 s6, -1
	s_waitcnt vmcnt(0)
	v_lshlrev_b32_e32 v0, 16, v0
	s_delay_alu instid0(VALU_DEP_1)
	v_cvt_i32_f32_e32 v0, v0
	s_branch .LBB432_1474
.LBB432_1469:
	s_mov_b32 s3, -1
	s_branch .LBB432_1473
.LBB432_1470:
	s_or_saveexec_b32 s6, s6
	v_mov_b32_e32 v0, s7
	s_xor_b32 exec_lo, exec_lo, s6
	s_cbranch_execz .LBB432_1451
.LBB432_1471:
	v_cmp_ne_u16_e32 vcc_lo, 0, v1
	v_mov_b32_e32 v0, 0
	s_and_not1_b32 s3, s3, exec_lo
	s_and_b32 s7, vcc_lo, exec_lo
	s_delay_alu instid0(SALU_CYCLE_1)
	s_or_b32 s3, s3, s7
	s_or_b32 exec_lo, exec_lo, s6
	s_and_saveexec_b32 s6, s3
	s_cbranch_execnz .LBB432_1452
	s_branch .LBB432_1453
.LBB432_1472:
	s_mov_b32 s0, -1
.LBB432_1473:
                                        ; implicit-def: $vgpr0
.LBB432_1474:
	s_and_b32 vcc_lo, exec_lo, s3
	s_mov_b32 s3, 0
	s_cbranch_vccz .LBB432_1476
; %bb.1475:
	v_cmp_ne_u16_e64 s0, 11, v10
	s_mov_b32 s3, -1
                                        ; implicit-def: $vgpr0
.LBB432_1476:
	s_delay_alu instid0(VALU_DEP_1)
	s_and_b32 vcc_lo, exec_lo, s0
	s_cbranch_vccnz .LBB432_2009
; %bb.1477:
	s_and_not1_b32 vcc_lo, exec_lo, s3
	s_cbranch_vccnz .LBB432_1479
.LBB432_1478:
	global_load_u8 v0, v[7:8], off
	s_mov_b32 s6, -1
	s_waitcnt vmcnt(0)
	v_cmp_ne_u16_e32 vcc_lo, 0, v0
	v_cndmask_b32_e64 v0, 0, 1, vcc_lo
.LBB432_1479:
	s_mov_b32 s0, 0
.LBB432_1480:
	s_delay_alu instid0(SALU_CYCLE_1)
	s_and_b32 vcc_lo, exec_lo, s0
	s_cbranch_vccz .LBB432_1529
; %bb.1481:
	v_cmp_gt_i16_e32 vcc_lo, 5, v10
	s_cbranch_vccnz .LBB432_1486
; %bb.1482:
	v_cmp_gt_i16_e32 vcc_lo, 8, v10
	s_cbranch_vccnz .LBB432_1487
	;; [unrolled: 3-line block ×3, first 2 shown]
; %bb.1484:
	v_cmp_lt_i16_e32 vcc_lo, 9, v10
	s_cbranch_vccz .LBB432_1489
; %bb.1485:
	global_load_b64 v[0:1], v[7:8], off
	s_mov_b32 s0, 0
	s_waitcnt vmcnt(0)
	v_cvt_i32_f64_e32 v0, v[0:1]
	s_branch .LBB432_1490
.LBB432_1486:
	s_mov_b32 s0, -1
                                        ; implicit-def: $vgpr0
	s_branch .LBB432_1508
.LBB432_1487:
	s_mov_b32 s0, -1
                                        ; implicit-def: $vgpr0
	s_branch .LBB432_1496
.LBB432_1488:
	s_mov_b32 s0, -1
                                        ; implicit-def: $vgpr0
	s_branch .LBB432_1493
.LBB432_1489:
	s_mov_b32 s0, -1
                                        ; implicit-def: $vgpr0
.LBB432_1490:
	s_delay_alu instid0(SALU_CYCLE_1)
	s_and_not1_b32 vcc_lo, exec_lo, s0
	s_cbranch_vccnz .LBB432_1492
; %bb.1491:
	global_load_b32 v0, v[7:8], off
	s_waitcnt vmcnt(0)
	v_cvt_i32_f32_e32 v0, v0
.LBB432_1492:
	s_mov_b32 s0, 0
.LBB432_1493:
	s_delay_alu instid0(SALU_CYCLE_1)
	s_and_not1_b32 vcc_lo, exec_lo, s0
	s_cbranch_vccnz .LBB432_1495
; %bb.1494:
	global_load_b32 v0, v[7:8], off
	s_waitcnt vmcnt(0)
	v_cvt_i16_f16_e32 v0, v0
.LBB432_1495:
	s_mov_b32 s0, 0
.LBB432_1496:
	s_delay_alu instid0(SALU_CYCLE_1)
	s_and_not1_b32 vcc_lo, exec_lo, s0
	s_cbranch_vccnz .LBB432_1507
; %bb.1497:
	v_cmp_gt_i16_e32 vcc_lo, 6, v10
	s_cbranch_vccnz .LBB432_1500
; %bb.1498:
	v_cmp_lt_i16_e32 vcc_lo, 6, v10
	s_cbranch_vccz .LBB432_1501
; %bb.1499:
	global_load_b64 v[0:1], v[7:8], off
	s_mov_b32 s0, 0
	s_waitcnt vmcnt(0)
	v_cvt_i32_f64_e32 v0, v[0:1]
	s_branch .LBB432_1502
.LBB432_1500:
	s_mov_b32 s0, -1
                                        ; implicit-def: $vgpr0
	s_branch .LBB432_1505
.LBB432_1501:
	s_mov_b32 s0, -1
                                        ; implicit-def: $vgpr0
.LBB432_1502:
	s_delay_alu instid0(SALU_CYCLE_1)
	s_and_not1_b32 vcc_lo, exec_lo, s0
	s_cbranch_vccnz .LBB432_1504
; %bb.1503:
	global_load_b32 v0, v[7:8], off
	s_waitcnt vmcnt(0)
	v_cvt_i32_f32_e32 v0, v0
.LBB432_1504:
	s_mov_b32 s0, 0
.LBB432_1505:
	s_delay_alu instid0(SALU_CYCLE_1)
	s_and_not1_b32 vcc_lo, exec_lo, s0
	s_cbranch_vccnz .LBB432_1507
; %bb.1506:
	global_load_u16 v0, v[7:8], off
	s_waitcnt vmcnt(0)
	v_cvt_i16_f16_e32 v0, v0
.LBB432_1507:
	s_mov_b32 s0, 0
.LBB432_1508:
	s_delay_alu instid0(SALU_CYCLE_1)
	s_and_not1_b32 vcc_lo, exec_lo, s0
	s_cbranch_vccnz .LBB432_1528
; %bb.1509:
	v_cmp_gt_i16_e32 vcc_lo, 2, v10
	s_cbranch_vccnz .LBB432_1513
; %bb.1510:
	v_cmp_gt_i16_e32 vcc_lo, 3, v10
	s_cbranch_vccnz .LBB432_1514
; %bb.1511:
	v_cmp_lt_i16_e32 vcc_lo, 3, v10
	s_cbranch_vccz .LBB432_1515
; %bb.1512:
	global_load_b64 v[0:1], v[7:8], off
	s_mov_b32 s0, 0
	s_branch .LBB432_1516
.LBB432_1513:
	s_mov_b32 s0, -1
                                        ; implicit-def: $vgpr0
	s_branch .LBB432_1522
.LBB432_1514:
	s_mov_b32 s0, -1
                                        ; implicit-def: $vgpr0
	s_branch .LBB432_1519
.LBB432_1515:
	s_mov_b32 s0, -1
                                        ; implicit-def: $vgpr0
.LBB432_1516:
	s_delay_alu instid0(SALU_CYCLE_1)
	s_and_not1_b32 vcc_lo, exec_lo, s0
	s_cbranch_vccnz .LBB432_1518
; %bb.1517:
	global_load_b32 v0, v[7:8], off
.LBB432_1518:
	s_mov_b32 s0, 0
.LBB432_1519:
	s_delay_alu instid0(SALU_CYCLE_1)
	s_and_not1_b32 vcc_lo, exec_lo, s0
	s_cbranch_vccnz .LBB432_1521
; %bb.1520:
	global_load_u16 v0, v[7:8], off
.LBB432_1521:
	s_mov_b32 s0, 0
.LBB432_1522:
	s_delay_alu instid0(SALU_CYCLE_1)
	s_and_not1_b32 vcc_lo, exec_lo, s0
	s_cbranch_vccnz .LBB432_1528
; %bb.1523:
	v_cmp_lt_i16_e32 vcc_lo, 0, v10
	s_mov_b32 s0, 0
	s_cbranch_vccz .LBB432_1525
; %bb.1524:
	global_load_u8 v0, v[7:8], off
	s_branch .LBB432_1526
.LBB432_1525:
	s_mov_b32 s0, -1
                                        ; implicit-def: $vgpr0
.LBB432_1526:
	s_delay_alu instid0(SALU_CYCLE_1)
	s_and_not1_b32 vcc_lo, exec_lo, s0
	s_cbranch_vccnz .LBB432_1528
; %bb.1527:
	global_load_u8 v0, v[7:8], off
.LBB432_1528:
	s_mov_b32 s6, -1
.LBB432_1529:
	s_delay_alu instid0(SALU_CYCLE_1)
	s_and_not1_b32 vcc_lo, exec_lo, s6
	s_cbranch_vccnz .LBB432_1963
; %bb.1530:
	s_waitcnt vmcnt(0)
	v_mul_lo_u32 v1, s2, v9
	v_and_b32_e64 v7, 0xff, s1
	v_bfe_i32 v3, v6, 0, 8
	s_bfe_i32 s1, s8, 0x80000
	s_delay_alu instid0(VALU_DEP_2) | instskip(NEXT) | instid1(VALU_DEP_2)
	v_cmp_gt_i16_e32 vcc_lo, 11, v7
	v_min_i16 v3, v3, s1
	v_ashrrev_i32_e32 v6, 31, v1
	v_add_co_u32 v5, s0, s4, v1
	s_delay_alu instid0(VALU_DEP_1)
	v_add_co_ci_u32_e64 v6, s0, s5, v6, s0
	s_cbranch_vccnz .LBB432_1608
; %bb.1531:
	v_cmp_lt_i16_e32 vcc_lo, 25, v7
	s_mov_b32 s7, -1
	s_mov_b32 s3, 0
	s_mov_b32 s6, 0
	;; [unrolled: 1-line block ×3, first 2 shown]
	s_cbranch_vccz .LBB432_1564
; %bb.1532:
	v_cmp_lt_i16_e32 vcc_lo, 28, v7
	s_cbranch_vccz .LBB432_1547
; %bb.1533:
	v_cmp_lt_i16_e32 vcc_lo, 43, v7
	;; [unrolled: 3-line block ×3, first 2 shown]
	s_cbranch_vccz .LBB432_1537
; %bb.1535:
	v_cmp_eq_u16_e32 vcc_lo, 46, v7
	s_mov_b32 s0, -1
	s_mov_b32 s7, 0
	s_cbranch_vccz .LBB432_1537
; %bb.1536:
	v_bfe_i32 v8, v3, 0, 16
	s_mov_b32 s0, 0
	s_mov_b32 s6, -1
	s_delay_alu instid0(VALU_DEP_1) | instskip(NEXT) | instid1(VALU_DEP_1)
	v_cvt_f32_i32_e32 v8, v8
	v_bfe_u32 v9, v8, 16, 1
	s_delay_alu instid0(VALU_DEP_1) | instskip(NEXT) | instid1(VALU_DEP_1)
	v_add3_u32 v8, v8, v9, 0x7fff
	v_lshrrev_b32_e32 v8, 16, v8
	global_store_b32 v[5:6], v8, off
.LBB432_1537:
	s_and_b32 vcc_lo, exec_lo, s7
	s_cbranch_vccz .LBB432_1542
; %bb.1538:
	v_cmp_eq_u16_e32 vcc_lo, 44, v7
	s_mov_b32 s0, -1
	s_cbranch_vccz .LBB432_1542
; %bb.1539:
	v_bfe_i32 v8, v3, 0, 16
	v_mov_b32_e32 v9, 0xff
	s_mov_b32 s6, exec_lo
	s_delay_alu instid0(VALU_DEP_2) | instskip(NEXT) | instid1(VALU_DEP_1)
	v_cvt_f32_i32_e32 v8, v8
	v_bfe_u32 v10, v8, 23, 8
	s_delay_alu instid0(VALU_DEP_1)
	v_cmpx_ne_u32_e32 0xff, v10
; %bb.1540:
	v_and_b32_e32 v9, 0x400000, v8
	v_and_or_b32 v10, 0x3fffff, v8, v10
	v_lshrrev_b32_e32 v8, 23, v8
	s_delay_alu instid0(VALU_DEP_3) | instskip(NEXT) | instid1(VALU_DEP_3)
	v_cmp_ne_u32_e32 vcc_lo, 0, v9
	v_cmp_ne_u32_e64 s0, 0, v10
	s_delay_alu instid0(VALU_DEP_1) | instskip(NEXT) | instid1(SALU_CYCLE_1)
	s_and_b32 s0, vcc_lo, s0
	v_cndmask_b32_e64 v9, 0, 1, s0
	s_delay_alu instid0(VALU_DEP_1)
	v_add_nc_u32_e32 v9, v8, v9
; %bb.1541:
	s_or_b32 exec_lo, exec_lo, s6
	s_mov_b32 s0, 0
	s_mov_b32 s6, -1
	global_store_b8 v[5:6], v9, off
.LBB432_1542:
	s_mov_b32 s7, 0
.LBB432_1543:
	s_delay_alu instid0(SALU_CYCLE_1)
	s_and_b32 vcc_lo, exec_lo, s7
	s_cbranch_vccz .LBB432_1546
; %bb.1544:
	v_cmp_eq_u16_e32 vcc_lo, 29, v7
	s_mov_b32 s0, -1
	s_cbranch_vccz .LBB432_1546
; %bb.1545:
	v_bfe_i32 v8, v3, 0, 16
	s_mov_b32 s0, 0
	s_mov_b32 s6, -1
	s_delay_alu instid0(VALU_DEP_1)
	v_ashrrev_i32_e32 v9, 31, v8
	global_store_b64 v[5:6], v[8:9], off
.LBB432_1546:
	s_mov_b32 s7, 0
.LBB432_1547:
	s_delay_alu instid0(SALU_CYCLE_1)
	s_and_b32 vcc_lo, exec_lo, s7
	s_cbranch_vccz .LBB432_1563
; %bb.1548:
	v_cmp_gt_i16_e32 vcc_lo, 27, v7
	s_mov_b32 s6, -1
	s_cbranch_vccnz .LBB432_1554
; %bb.1549:
	v_cmp_lt_i16_e32 vcc_lo, 27, v7
	s_cbranch_vccz .LBB432_1551
; %bb.1550:
	v_bfe_i32 v8, v3, 0, 16
	s_mov_b32 s6, 0
	global_store_b32 v[5:6], v8, off
.LBB432_1551:
	s_and_not1_b32 vcc_lo, exec_lo, s6
	s_cbranch_vccnz .LBB432_1553
; %bb.1552:
	global_store_b16 v[5:6], v3, off
.LBB432_1553:
	s_mov_b32 s6, 0
.LBB432_1554:
	s_delay_alu instid0(SALU_CYCLE_1)
	s_and_not1_b32 vcc_lo, exec_lo, s6
	s_cbranch_vccnz .LBB432_1562
; %bb.1555:
	v_bfe_i32 v8, v3, 0, 16
	v_mov_b32_e32 v10, 0x80
	s_mov_b32 s6, exec_lo
	s_delay_alu instid0(VALU_DEP_2) | instskip(NEXT) | instid1(VALU_DEP_1)
	v_cvt_f32_i32_e32 v8, v8
	v_and_b32_e32 v9, 0x7fffffff, v8
	s_delay_alu instid0(VALU_DEP_1)
	v_cmpx_gt_u32_e32 0x43800000, v9
	s_cbranch_execz .LBB432_1561
; %bb.1556:
	v_cmp_lt_u32_e32 vcc_lo, 0x3bffffff, v9
	s_mov_b32 s7, 0
                                        ; implicit-def: $vgpr9
	s_and_saveexec_b32 s8, vcc_lo
	s_delay_alu instid0(SALU_CYCLE_1)
	s_xor_b32 s8, exec_lo, s8
	s_cbranch_execz .LBB432_2011
; %bb.1557:
	v_bfe_u32 v9, v8, 20, 1
	s_mov_b32 s7, exec_lo
	s_delay_alu instid0(VALU_DEP_1) | instskip(NEXT) | instid1(VALU_DEP_1)
	v_add3_u32 v9, v8, v9, 0x487ffff
	v_lshrrev_b32_e32 v9, 20, v9
	s_or_saveexec_b32 s8, s8
                                        ; implicit-def: $sgpr10
	s_delay_alu instid0(SALU_CYCLE_1)
	s_xor_b32 exec_lo, exec_lo, s8
	s_cbranch_execnz .LBB432_2012
.LBB432_1558:
	s_or_b32 exec_lo, exec_lo, s8
	v_mov_b32_e32 v10, s10
	s_and_saveexec_b32 s8, s7
.LBB432_1559:
	v_lshrrev_b32_e32 v8, 24, v8
	s_delay_alu instid0(VALU_DEP_1)
	v_and_or_b32 v10, 0x80, v8, v9
.LBB432_1560:
	s_or_b32 exec_lo, exec_lo, s8
.LBB432_1561:
	s_delay_alu instid0(SALU_CYCLE_1)
	s_or_b32 exec_lo, exec_lo, s6
	global_store_b8 v[5:6], v10, off
.LBB432_1562:
	s_mov_b32 s6, -1
.LBB432_1563:
	s_mov_b32 s7, 0
.LBB432_1564:
	s_delay_alu instid0(SALU_CYCLE_1)
	s_and_b32 vcc_lo, exec_lo, s7
	s_cbranch_vccz .LBB432_1604
; %bb.1565:
	v_cmp_lt_i16_e32 vcc_lo, 22, v7
	s_mov_b32 s3, -1
	s_cbranch_vccz .LBB432_1597
; %bb.1566:
	v_cmp_gt_i16_e32 vcc_lo, 24, v7
	s_cbranch_vccnz .LBB432_1586
; %bb.1567:
	v_cmp_lt_i16_e32 vcc_lo, 24, v7
	s_cbranch_vccz .LBB432_1575
; %bb.1568:
	v_bfe_i32 v8, v3, 0, 16
	v_mov_b32_e32 v10, 0x80
	s_mov_b32 s3, exec_lo
	s_delay_alu instid0(VALU_DEP_2) | instskip(NEXT) | instid1(VALU_DEP_1)
	v_cvt_f32_i32_e32 v8, v8
	v_and_b32_e32 v9, 0x7fffffff, v8
	s_delay_alu instid0(VALU_DEP_1)
	v_cmpx_gt_u32_e32 0x47800000, v9
	s_cbranch_execz .LBB432_1574
; %bb.1569:
	v_cmp_lt_u32_e32 vcc_lo, 0x37ffffff, v9
	s_mov_b32 s6, 0
                                        ; implicit-def: $vgpr9
	s_and_saveexec_b32 s7, vcc_lo
	s_delay_alu instid0(SALU_CYCLE_1)
	s_xor_b32 s7, exec_lo, s7
	s_cbranch_execz .LBB432_2017
; %bb.1570:
	v_bfe_u32 v9, v8, 21, 1
	s_mov_b32 s6, exec_lo
	s_delay_alu instid0(VALU_DEP_1) | instskip(NEXT) | instid1(VALU_DEP_1)
	v_add3_u32 v9, v8, v9, 0x88fffff
	v_lshrrev_b32_e32 v9, 21, v9
	s_or_saveexec_b32 s7, s7
                                        ; implicit-def: $sgpr8
	s_delay_alu instid0(SALU_CYCLE_1)
	s_xor_b32 exec_lo, exec_lo, s7
	s_cbranch_execnz .LBB432_2018
.LBB432_1571:
	s_or_b32 exec_lo, exec_lo, s7
	v_mov_b32_e32 v10, s8
	s_and_saveexec_b32 s7, s6
.LBB432_1572:
	v_lshrrev_b32_e32 v8, 24, v8
	s_delay_alu instid0(VALU_DEP_1)
	v_and_or_b32 v10, 0x80, v8, v9
.LBB432_1573:
	s_or_b32 exec_lo, exec_lo, s7
.LBB432_1574:
	s_delay_alu instid0(SALU_CYCLE_1)
	s_or_b32 exec_lo, exec_lo, s3
	s_mov_b32 s3, 0
	global_store_b8 v[5:6], v10, off
.LBB432_1575:
	s_and_b32 vcc_lo, exec_lo, s3
	s_cbranch_vccz .LBB432_1585
; %bb.1576:
	v_bfe_i32 v8, v3, 0, 16
	s_mov_b32 s3, exec_lo
                                        ; implicit-def: $vgpr9
	s_delay_alu instid0(VALU_DEP_1) | instskip(NEXT) | instid1(VALU_DEP_1)
	v_cvt_f32_i32_e32 v8, v8
	v_and_b32_e32 v10, 0x7fffffff, v8
	s_delay_alu instid0(VALU_DEP_1)
	v_cmpx_gt_u32_e32 0x43f00000, v10
	s_xor_b32 s3, exec_lo, s3
	s_cbranch_execz .LBB432_1582
; %bb.1577:
	s_mov_b32 s6, exec_lo
                                        ; implicit-def: $vgpr9
	v_cmpx_lt_u32_e32 0x3c7fffff, v10
	s_xor_b32 s6, exec_lo, s6
; %bb.1578:
	v_bfe_u32 v9, v8, 20, 1
	s_delay_alu instid0(VALU_DEP_1) | instskip(NEXT) | instid1(VALU_DEP_1)
	v_add3_u32 v9, v8, v9, 0x407ffff
	v_and_b32_e32 v10, 0xff00000, v9
	v_lshrrev_b32_e32 v9, 20, v9
	s_delay_alu instid0(VALU_DEP_2) | instskip(NEXT) | instid1(VALU_DEP_2)
	v_cmp_ne_u32_e32 vcc_lo, 0x7f00000, v10
	v_cndmask_b32_e32 v9, 0x7e, v9, vcc_lo
; %bb.1579:
	s_and_not1_saveexec_b32 s6, s6
; %bb.1580:
	v_add_f32_e64 v9, 0x46800000, |v8|
; %bb.1581:
	s_or_b32 exec_lo, exec_lo, s6
                                        ; implicit-def: $vgpr10
.LBB432_1582:
	s_and_not1_saveexec_b32 s3, s3
; %bb.1583:
	v_mov_b32_e32 v9, 0x7f
	v_cmp_lt_u32_e32 vcc_lo, 0x7f800000, v10
	s_delay_alu instid0(VALU_DEP_2)
	v_cndmask_b32_e32 v9, 0x7e, v9, vcc_lo
; %bb.1584:
	s_or_b32 exec_lo, exec_lo, s3
	v_lshrrev_b32_e32 v8, 24, v8
	s_delay_alu instid0(VALU_DEP_1)
	v_and_or_b32 v8, 0x80, v8, v9
	global_store_b8 v[5:6], v8, off
.LBB432_1585:
	s_mov_b32 s3, 0
.LBB432_1586:
	s_delay_alu instid0(SALU_CYCLE_1)
	s_and_not1_b32 vcc_lo, exec_lo, s3
	s_cbranch_vccnz .LBB432_1596
; %bb.1587:
	v_bfe_i32 v8, v3, 0, 16
	s_mov_b32 s3, exec_lo
                                        ; implicit-def: $vgpr9
	s_delay_alu instid0(VALU_DEP_1) | instskip(NEXT) | instid1(VALU_DEP_1)
	v_cvt_f32_i32_e32 v8, v8
	v_and_b32_e32 v10, 0x7fffffff, v8
	s_delay_alu instid0(VALU_DEP_1)
	v_cmpx_gt_u32_e32 0x47800000, v10
	s_xor_b32 s3, exec_lo, s3
	s_cbranch_execz .LBB432_1593
; %bb.1588:
	s_mov_b32 s6, exec_lo
                                        ; implicit-def: $vgpr9
	v_cmpx_lt_u32_e32 0x387fffff, v10
	s_xor_b32 s6, exec_lo, s6
; %bb.1589:
	v_bfe_u32 v9, v8, 21, 1
	s_delay_alu instid0(VALU_DEP_1) | instskip(NEXT) | instid1(VALU_DEP_1)
	v_add3_u32 v9, v8, v9, 0x80fffff
	v_lshrrev_b32_e32 v9, 21, v9
; %bb.1590:
	s_and_not1_saveexec_b32 s6, s6
; %bb.1591:
	v_add_f32_e64 v9, 0x43000000, |v8|
; %bb.1592:
	s_or_b32 exec_lo, exec_lo, s6
                                        ; implicit-def: $vgpr10
.LBB432_1593:
	s_and_not1_saveexec_b32 s3, s3
; %bb.1594:
	v_mov_b32_e32 v9, 0x7f
	v_cmp_lt_u32_e32 vcc_lo, 0x7f800000, v10
	s_delay_alu instid0(VALU_DEP_2)
	v_cndmask_b32_e32 v9, 0x7c, v9, vcc_lo
; %bb.1595:
	s_or_b32 exec_lo, exec_lo, s3
	v_lshrrev_b32_e32 v8, 24, v8
	s_delay_alu instid0(VALU_DEP_1)
	v_and_or_b32 v8, 0x80, v8, v9
	global_store_b8 v[5:6], v8, off
.LBB432_1596:
	s_mov_b32 s3, 0
	s_mov_b32 s6, -1
.LBB432_1597:
	s_and_not1_b32 vcc_lo, exec_lo, s3
	s_mov_b32 s3, 0
	s_cbranch_vccnz .LBB432_1604
; %bb.1598:
	v_cmp_lt_i16_e32 vcc_lo, 14, v7
	s_mov_b32 s3, -1
	s_cbranch_vccz .LBB432_1602
; %bb.1599:
	v_cmp_eq_u16_e32 vcc_lo, 15, v7
	s_mov_b32 s0, -1
	s_cbranch_vccz .LBB432_1601
; %bb.1600:
	v_bfe_i32 v8, v3, 0, 16
	s_mov_b32 s0, 0
	s_mov_b32 s6, -1
	s_delay_alu instid0(VALU_DEP_1) | instskip(NEXT) | instid1(VALU_DEP_1)
	v_cvt_f32_i32_e32 v8, v8
	v_bfe_u32 v9, v8, 16, 1
	s_delay_alu instid0(VALU_DEP_1)
	v_add3_u32 v8, v8, v9, 0x7fff
	global_store_d16_hi_b16 v[5:6], v8, off
.LBB432_1601:
	s_mov_b32 s3, 0
.LBB432_1602:
	s_delay_alu instid0(SALU_CYCLE_1)
	s_and_b32 vcc_lo, exec_lo, s3
	s_mov_b32 s3, 0
	s_cbranch_vccz .LBB432_1604
; %bb.1603:
	v_cmp_ne_u16_e64 s0, 11, v7
	s_mov_b32 s3, -1
.LBB432_1604:
	s_delay_alu instid0(VALU_DEP_1)
	s_and_b32 vcc_lo, exec_lo, s0
	s_cbranch_vccnz .LBB432_2015
; %bb.1605:
	s_and_not1_b32 vcc_lo, exec_lo, s3
	s_cbranch_vccnz .LBB432_1607
.LBB432_1606:
	v_cmp_ne_u16_e32 vcc_lo, 0, v3
	s_mov_b32 s6, -1
	v_cndmask_b32_e64 v8, 0, 1, vcc_lo
	global_store_b8 v[5:6], v8, off
.LBB432_1607:
	s_mov_b32 s0, 0
	s_branch .LBB432_1609
.LBB432_1608:
	s_mov_b32 s0, -1
	s_mov_b32 s6, 0
.LBB432_1609:
	s_and_b32 vcc_lo, exec_lo, s0
	s_cbranch_vccz .LBB432_1648
; %bb.1610:
	v_cmp_gt_i16_e32 vcc_lo, 5, v7
	s_mov_b32 s0, -1
	s_cbranch_vccnz .LBB432_1631
; %bb.1611:
	v_cmp_gt_i16_e32 vcc_lo, 8, v7
	s_cbranch_vccnz .LBB432_1621
; %bb.1612:
	v_cmp_gt_i16_e32 vcc_lo, 9, v7
	s_cbranch_vccnz .LBB432_1618
; %bb.1613:
	v_cmp_lt_i16_e32 vcc_lo, 9, v7
	s_cbranch_vccz .LBB432_1615
; %bb.1614:
	v_bfe_i32 v8, v3, 0, 16
	v_mov_b32_e32 v10, 0
	s_mov_b32 s0, 0
	s_delay_alu instid0(VALU_DEP_2) | instskip(NEXT) | instid1(VALU_DEP_2)
	v_cvt_f64_i32_e32 v[8:9], v8
	v_mov_b32_e32 v11, v10
	global_store_b128 v[5:6], v[8:11], off
.LBB432_1615:
	s_and_not1_b32 vcc_lo, exec_lo, s0
	s_cbranch_vccnz .LBB432_1617
; %bb.1616:
	v_bfe_i32 v8, v3, 0, 16
	v_mov_b32_e32 v9, 0
	s_delay_alu instid0(VALU_DEP_2)
	v_cvt_f32_i32_e32 v8, v8
	global_store_b64 v[5:6], v[8:9], off
.LBB432_1617:
	s_mov_b32 s0, 0
.LBB432_1618:
	s_delay_alu instid0(SALU_CYCLE_1)
	s_and_not1_b32 vcc_lo, exec_lo, s0
	s_cbranch_vccnz .LBB432_1620
; %bb.1619:
	v_cvt_f16_i16_e32 v8, v3
	s_delay_alu instid0(VALU_DEP_1)
	v_and_b32_e32 v8, 0xffff, v8
	global_store_b32 v[5:6], v8, off
.LBB432_1620:
	s_mov_b32 s0, 0
.LBB432_1621:
	s_delay_alu instid0(SALU_CYCLE_1)
	s_and_not1_b32 vcc_lo, exec_lo, s0
	s_cbranch_vccnz .LBB432_1630
; %bb.1622:
	v_cmp_gt_i16_e32 vcc_lo, 6, v7
	s_mov_b32 s0, -1
	s_cbranch_vccnz .LBB432_1628
; %bb.1623:
	v_cmp_lt_i16_e32 vcc_lo, 6, v7
	s_cbranch_vccz .LBB432_1625
; %bb.1624:
	v_bfe_i32 v8, v3, 0, 16
	s_mov_b32 s0, 0
	s_delay_alu instid0(VALU_DEP_1)
	v_cvt_f64_i32_e32 v[8:9], v8
	global_store_b64 v[5:6], v[8:9], off
.LBB432_1625:
	s_and_not1_b32 vcc_lo, exec_lo, s0
	s_cbranch_vccnz .LBB432_1627
; %bb.1626:
	v_bfe_i32 v8, v3, 0, 16
	s_delay_alu instid0(VALU_DEP_1)
	v_cvt_f32_i32_e32 v8, v8
	global_store_b32 v[5:6], v8, off
.LBB432_1627:
	s_mov_b32 s0, 0
.LBB432_1628:
	s_delay_alu instid0(SALU_CYCLE_1)
	s_and_not1_b32 vcc_lo, exec_lo, s0
	s_cbranch_vccnz .LBB432_1630
; %bb.1629:
	v_cvt_f16_i16_e32 v8, v3
	global_store_b16 v[5:6], v8, off
.LBB432_1630:
	s_mov_b32 s0, 0
.LBB432_1631:
	s_delay_alu instid0(SALU_CYCLE_1)
	s_and_not1_b32 vcc_lo, exec_lo, s0
	s_cbranch_vccnz .LBB432_1647
; %bb.1632:
	v_cmp_gt_i16_e32 vcc_lo, 2, v7
	s_mov_b32 s0, -1
	s_cbranch_vccnz .LBB432_1642
; %bb.1633:
	v_cmp_gt_i16_e32 vcc_lo, 3, v7
	s_cbranch_vccnz .LBB432_1639
; %bb.1634:
	v_cmp_lt_i16_e32 vcc_lo, 3, v7
	s_cbranch_vccz .LBB432_1636
; %bb.1635:
	v_bfe_i32 v8, v3, 0, 16
	s_mov_b32 s0, 0
	s_delay_alu instid0(VALU_DEP_1)
	v_ashrrev_i32_e32 v9, 31, v8
	global_store_b64 v[5:6], v[8:9], off
.LBB432_1636:
	s_and_not1_b32 vcc_lo, exec_lo, s0
	s_cbranch_vccnz .LBB432_1638
; %bb.1637:
	v_bfe_i32 v8, v3, 0, 16
	global_store_b32 v[5:6], v8, off
.LBB432_1638:
	s_mov_b32 s0, 0
.LBB432_1639:
	s_delay_alu instid0(SALU_CYCLE_1)
	s_and_not1_b32 vcc_lo, exec_lo, s0
	s_cbranch_vccnz .LBB432_1641
; %bb.1640:
	global_store_b16 v[5:6], v3, off
.LBB432_1641:
	s_mov_b32 s0, 0
.LBB432_1642:
	s_delay_alu instid0(SALU_CYCLE_1)
	s_and_not1_b32 vcc_lo, exec_lo, s0
	s_cbranch_vccnz .LBB432_1647
; %bb.1643:
	v_cmp_lt_i16_e32 vcc_lo, 0, v7
	s_mov_b32 s0, -1
	s_cbranch_vccz .LBB432_1645
; %bb.1644:
	s_mov_b32 s0, 0
	global_store_b8 v[5:6], v3, off
.LBB432_1645:
	s_and_not1_b32 vcc_lo, exec_lo, s0
	s_cbranch_vccnz .LBB432_1647
; %bb.1646:
	global_store_b8 v[5:6], v3, off
.LBB432_1647:
	s_mov_b32 s6, -1
.LBB432_1648:
	s_delay_alu instid0(SALU_CYCLE_1)
	s_and_not1_b32 vcc_lo, exec_lo, s6
	s_cbranch_vccnz .LBB432_1963
; %bb.1649:
	s_lshl_b32 s2, s2, 7
	v_bfe_i32 v3, v4, 0, 8
	v_add_nc_u32_e32 v1, s2, v1
	v_cmp_gt_i16_e32 vcc_lo, 11, v7
	s_delay_alu instid0(VALU_DEP_3) | instskip(NEXT) | instid1(VALU_DEP_3)
	v_min_i16 v8, v3, s1
	v_ashrrev_i32_e32 v4, 31, v1
	v_add_co_u32 v3, s0, s4, v1
	s_delay_alu instid0(VALU_DEP_1)
	v_add_co_ci_u32_e64 v4, s0, s5, v4, s0
	s_cbranch_vccnz .LBB432_1727
; %bb.1650:
	v_cmp_lt_i16_e32 vcc_lo, 25, v7
	s_mov_b32 s7, -1
	s_mov_b32 s3, 0
	s_mov_b32 s6, 0
	;; [unrolled: 1-line block ×3, first 2 shown]
	s_cbranch_vccz .LBB432_1683
; %bb.1651:
	v_cmp_lt_i16_e32 vcc_lo, 28, v7
	s_cbranch_vccz .LBB432_1666
; %bb.1652:
	v_cmp_lt_i16_e32 vcc_lo, 43, v7
	;; [unrolled: 3-line block ×3, first 2 shown]
	s_cbranch_vccz .LBB432_1656
; %bb.1654:
	v_cmp_eq_u16_e32 vcc_lo, 46, v7
	s_mov_b32 s0, -1
	s_mov_b32 s7, 0
	s_cbranch_vccz .LBB432_1656
; %bb.1655:
	v_bfe_i32 v5, v8, 0, 16
	s_mov_b32 s0, 0
	s_mov_b32 s6, -1
	s_delay_alu instid0(VALU_DEP_1) | instskip(NEXT) | instid1(VALU_DEP_1)
	v_cvt_f32_i32_e32 v5, v5
	v_bfe_u32 v6, v5, 16, 1
	s_delay_alu instid0(VALU_DEP_1) | instskip(NEXT) | instid1(VALU_DEP_1)
	v_add3_u32 v5, v5, v6, 0x7fff
	v_lshrrev_b32_e32 v5, 16, v5
	global_store_b32 v[3:4], v5, off
.LBB432_1656:
	s_and_b32 vcc_lo, exec_lo, s7
	s_cbranch_vccz .LBB432_1661
; %bb.1657:
	v_cmp_eq_u16_e32 vcc_lo, 44, v7
	s_mov_b32 s0, -1
	s_cbranch_vccz .LBB432_1661
; %bb.1658:
	v_bfe_i32 v5, v8, 0, 16
	v_mov_b32_e32 v6, 0xff
	s_mov_b32 s6, exec_lo
	s_delay_alu instid0(VALU_DEP_2) | instskip(NEXT) | instid1(VALU_DEP_1)
	v_cvt_f32_i32_e32 v5, v5
	v_bfe_u32 v9, v5, 23, 8
	s_delay_alu instid0(VALU_DEP_1)
	v_cmpx_ne_u32_e32 0xff, v9
; %bb.1659:
	v_and_b32_e32 v6, 0x400000, v5
	v_and_or_b32 v9, 0x3fffff, v5, v9
	v_lshrrev_b32_e32 v5, 23, v5
	s_delay_alu instid0(VALU_DEP_3) | instskip(NEXT) | instid1(VALU_DEP_3)
	v_cmp_ne_u32_e32 vcc_lo, 0, v6
	v_cmp_ne_u32_e64 s0, 0, v9
	s_delay_alu instid0(VALU_DEP_1) | instskip(NEXT) | instid1(SALU_CYCLE_1)
	s_and_b32 s0, vcc_lo, s0
	v_cndmask_b32_e64 v6, 0, 1, s0
	s_delay_alu instid0(VALU_DEP_1)
	v_add_nc_u32_e32 v6, v5, v6
; %bb.1660:
	s_or_b32 exec_lo, exec_lo, s6
	s_mov_b32 s0, 0
	s_mov_b32 s6, -1
	global_store_b8 v[3:4], v6, off
.LBB432_1661:
	s_mov_b32 s7, 0
.LBB432_1662:
	s_delay_alu instid0(SALU_CYCLE_1)
	s_and_b32 vcc_lo, exec_lo, s7
	s_cbranch_vccz .LBB432_1665
; %bb.1663:
	v_cmp_eq_u16_e32 vcc_lo, 29, v7
	s_mov_b32 s0, -1
	s_cbranch_vccz .LBB432_1665
; %bb.1664:
	v_bfe_i32 v5, v8, 0, 16
	s_mov_b32 s0, 0
	s_mov_b32 s6, -1
	s_delay_alu instid0(VALU_DEP_1)
	v_ashrrev_i32_e32 v6, 31, v5
	global_store_b64 v[3:4], v[5:6], off
.LBB432_1665:
	s_mov_b32 s7, 0
.LBB432_1666:
	s_delay_alu instid0(SALU_CYCLE_1)
	s_and_b32 vcc_lo, exec_lo, s7
	s_cbranch_vccz .LBB432_1682
; %bb.1667:
	v_cmp_gt_i16_e32 vcc_lo, 27, v7
	s_mov_b32 s6, -1
	s_cbranch_vccnz .LBB432_1673
; %bb.1668:
	v_cmp_lt_i16_e32 vcc_lo, 27, v7
	s_cbranch_vccz .LBB432_1670
; %bb.1669:
	v_bfe_i32 v5, v8, 0, 16
	s_mov_b32 s6, 0
	global_store_b32 v[3:4], v5, off
.LBB432_1670:
	s_and_not1_b32 vcc_lo, exec_lo, s6
	s_cbranch_vccnz .LBB432_1672
; %bb.1671:
	global_store_b16 v[3:4], v8, off
.LBB432_1672:
	s_mov_b32 s6, 0
.LBB432_1673:
	s_delay_alu instid0(SALU_CYCLE_1)
	s_and_not1_b32 vcc_lo, exec_lo, s6
	s_cbranch_vccnz .LBB432_1681
; %bb.1674:
	v_bfe_i32 v5, v8, 0, 16
	v_mov_b32_e32 v9, 0x80
	s_mov_b32 s6, exec_lo
	s_delay_alu instid0(VALU_DEP_2) | instskip(NEXT) | instid1(VALU_DEP_1)
	v_cvt_f32_i32_e32 v5, v5
	v_and_b32_e32 v6, 0x7fffffff, v5
	s_delay_alu instid0(VALU_DEP_1)
	v_cmpx_gt_u32_e32 0x43800000, v6
	s_cbranch_execz .LBB432_1680
; %bb.1675:
	v_cmp_lt_u32_e32 vcc_lo, 0x3bffffff, v6
	s_mov_b32 s7, 0
                                        ; implicit-def: $vgpr6
	s_and_saveexec_b32 s8, vcc_lo
	s_delay_alu instid0(SALU_CYCLE_1)
	s_xor_b32 s8, exec_lo, s8
	s_cbranch_execz .LBB432_2019
; %bb.1676:
	v_bfe_u32 v6, v5, 20, 1
	s_mov_b32 s7, exec_lo
	s_delay_alu instid0(VALU_DEP_1) | instskip(NEXT) | instid1(VALU_DEP_1)
	v_add3_u32 v6, v5, v6, 0x487ffff
	v_lshrrev_b32_e32 v6, 20, v6
	s_or_saveexec_b32 s8, s8
                                        ; implicit-def: $sgpr10
	s_delay_alu instid0(SALU_CYCLE_1)
	s_xor_b32 exec_lo, exec_lo, s8
	s_cbranch_execnz .LBB432_2020
.LBB432_1677:
	s_or_b32 exec_lo, exec_lo, s8
	v_mov_b32_e32 v9, s10
	s_and_saveexec_b32 s8, s7
.LBB432_1678:
	v_lshrrev_b32_e32 v5, 24, v5
	s_delay_alu instid0(VALU_DEP_1)
	v_and_or_b32 v9, 0x80, v5, v6
.LBB432_1679:
	s_or_b32 exec_lo, exec_lo, s8
.LBB432_1680:
	s_delay_alu instid0(SALU_CYCLE_1)
	s_or_b32 exec_lo, exec_lo, s6
	global_store_b8 v[3:4], v9, off
.LBB432_1681:
	s_mov_b32 s6, -1
.LBB432_1682:
	s_mov_b32 s7, 0
.LBB432_1683:
	s_delay_alu instid0(SALU_CYCLE_1)
	s_and_b32 vcc_lo, exec_lo, s7
	s_cbranch_vccz .LBB432_1723
; %bb.1684:
	v_cmp_lt_i16_e32 vcc_lo, 22, v7
	s_mov_b32 s3, -1
	s_cbranch_vccz .LBB432_1716
; %bb.1685:
	v_cmp_gt_i16_e32 vcc_lo, 24, v7
	s_cbranch_vccnz .LBB432_1705
; %bb.1686:
	v_cmp_lt_i16_e32 vcc_lo, 24, v7
	s_cbranch_vccz .LBB432_1694
; %bb.1687:
	v_bfe_i32 v5, v8, 0, 16
	v_mov_b32_e32 v9, 0x80
	s_mov_b32 s3, exec_lo
	s_delay_alu instid0(VALU_DEP_2) | instskip(NEXT) | instid1(VALU_DEP_1)
	v_cvt_f32_i32_e32 v5, v5
	v_and_b32_e32 v6, 0x7fffffff, v5
	s_delay_alu instid0(VALU_DEP_1)
	v_cmpx_gt_u32_e32 0x47800000, v6
	s_cbranch_execz .LBB432_1693
; %bb.1688:
	v_cmp_lt_u32_e32 vcc_lo, 0x37ffffff, v6
	s_mov_b32 s6, 0
                                        ; implicit-def: $vgpr6
	s_and_saveexec_b32 s7, vcc_lo
	s_delay_alu instid0(SALU_CYCLE_1)
	s_xor_b32 s7, exec_lo, s7
	s_cbranch_execz .LBB432_2025
; %bb.1689:
	v_bfe_u32 v6, v5, 21, 1
	s_mov_b32 s6, exec_lo
	s_delay_alu instid0(VALU_DEP_1) | instskip(NEXT) | instid1(VALU_DEP_1)
	v_add3_u32 v6, v5, v6, 0x88fffff
	v_lshrrev_b32_e32 v6, 21, v6
	s_or_saveexec_b32 s7, s7
                                        ; implicit-def: $sgpr8
	s_delay_alu instid0(SALU_CYCLE_1)
	s_xor_b32 exec_lo, exec_lo, s7
	s_cbranch_execnz .LBB432_2026
.LBB432_1690:
	s_or_b32 exec_lo, exec_lo, s7
	v_mov_b32_e32 v9, s8
	s_and_saveexec_b32 s7, s6
.LBB432_1691:
	v_lshrrev_b32_e32 v5, 24, v5
	s_delay_alu instid0(VALU_DEP_1)
	v_and_or_b32 v9, 0x80, v5, v6
.LBB432_1692:
	s_or_b32 exec_lo, exec_lo, s7
.LBB432_1693:
	s_delay_alu instid0(SALU_CYCLE_1)
	s_or_b32 exec_lo, exec_lo, s3
	s_mov_b32 s3, 0
	global_store_b8 v[3:4], v9, off
.LBB432_1694:
	s_and_b32 vcc_lo, exec_lo, s3
	s_cbranch_vccz .LBB432_1704
; %bb.1695:
	v_bfe_i32 v5, v8, 0, 16
	s_mov_b32 s3, exec_lo
                                        ; implicit-def: $vgpr6
	s_delay_alu instid0(VALU_DEP_1) | instskip(NEXT) | instid1(VALU_DEP_1)
	v_cvt_f32_i32_e32 v5, v5
	v_and_b32_e32 v9, 0x7fffffff, v5
	s_delay_alu instid0(VALU_DEP_1)
	v_cmpx_gt_u32_e32 0x43f00000, v9
	s_xor_b32 s3, exec_lo, s3
	s_cbranch_execz .LBB432_1701
; %bb.1696:
	s_mov_b32 s6, exec_lo
                                        ; implicit-def: $vgpr6
	v_cmpx_lt_u32_e32 0x3c7fffff, v9
	s_xor_b32 s6, exec_lo, s6
; %bb.1697:
	v_bfe_u32 v6, v5, 20, 1
	s_delay_alu instid0(VALU_DEP_1) | instskip(NEXT) | instid1(VALU_DEP_1)
	v_add3_u32 v6, v5, v6, 0x407ffff
	v_and_b32_e32 v9, 0xff00000, v6
	v_lshrrev_b32_e32 v6, 20, v6
	s_delay_alu instid0(VALU_DEP_2) | instskip(NEXT) | instid1(VALU_DEP_2)
	v_cmp_ne_u32_e32 vcc_lo, 0x7f00000, v9
	v_cndmask_b32_e32 v6, 0x7e, v6, vcc_lo
; %bb.1698:
	s_and_not1_saveexec_b32 s6, s6
; %bb.1699:
	v_add_f32_e64 v6, 0x46800000, |v5|
; %bb.1700:
	s_or_b32 exec_lo, exec_lo, s6
                                        ; implicit-def: $vgpr9
.LBB432_1701:
	s_and_not1_saveexec_b32 s3, s3
; %bb.1702:
	v_mov_b32_e32 v6, 0x7f
	v_cmp_lt_u32_e32 vcc_lo, 0x7f800000, v9
	s_delay_alu instid0(VALU_DEP_2)
	v_cndmask_b32_e32 v6, 0x7e, v6, vcc_lo
; %bb.1703:
	s_or_b32 exec_lo, exec_lo, s3
	v_lshrrev_b32_e32 v5, 24, v5
	s_delay_alu instid0(VALU_DEP_1)
	v_and_or_b32 v5, 0x80, v5, v6
	global_store_b8 v[3:4], v5, off
.LBB432_1704:
	s_mov_b32 s3, 0
.LBB432_1705:
	s_delay_alu instid0(SALU_CYCLE_1)
	s_and_not1_b32 vcc_lo, exec_lo, s3
	s_cbranch_vccnz .LBB432_1715
; %bb.1706:
	v_bfe_i32 v5, v8, 0, 16
	s_mov_b32 s3, exec_lo
                                        ; implicit-def: $vgpr6
	s_delay_alu instid0(VALU_DEP_1) | instskip(NEXT) | instid1(VALU_DEP_1)
	v_cvt_f32_i32_e32 v5, v5
	v_and_b32_e32 v9, 0x7fffffff, v5
	s_delay_alu instid0(VALU_DEP_1)
	v_cmpx_gt_u32_e32 0x47800000, v9
	s_xor_b32 s3, exec_lo, s3
	s_cbranch_execz .LBB432_1712
; %bb.1707:
	s_mov_b32 s6, exec_lo
                                        ; implicit-def: $vgpr6
	v_cmpx_lt_u32_e32 0x387fffff, v9
	s_xor_b32 s6, exec_lo, s6
; %bb.1708:
	v_bfe_u32 v6, v5, 21, 1
	s_delay_alu instid0(VALU_DEP_1) | instskip(NEXT) | instid1(VALU_DEP_1)
	v_add3_u32 v6, v5, v6, 0x80fffff
	v_lshrrev_b32_e32 v6, 21, v6
; %bb.1709:
	s_and_not1_saveexec_b32 s6, s6
; %bb.1710:
	v_add_f32_e64 v6, 0x43000000, |v5|
; %bb.1711:
	s_or_b32 exec_lo, exec_lo, s6
                                        ; implicit-def: $vgpr9
.LBB432_1712:
	s_and_not1_saveexec_b32 s3, s3
; %bb.1713:
	v_mov_b32_e32 v6, 0x7f
	v_cmp_lt_u32_e32 vcc_lo, 0x7f800000, v9
	s_delay_alu instid0(VALU_DEP_2)
	v_cndmask_b32_e32 v6, 0x7c, v6, vcc_lo
; %bb.1714:
	s_or_b32 exec_lo, exec_lo, s3
	v_lshrrev_b32_e32 v5, 24, v5
	s_delay_alu instid0(VALU_DEP_1)
	v_and_or_b32 v5, 0x80, v5, v6
	global_store_b8 v[3:4], v5, off
.LBB432_1715:
	s_mov_b32 s3, 0
	s_mov_b32 s6, -1
.LBB432_1716:
	s_and_not1_b32 vcc_lo, exec_lo, s3
	s_mov_b32 s3, 0
	s_cbranch_vccnz .LBB432_1723
; %bb.1717:
	v_cmp_lt_i16_e32 vcc_lo, 14, v7
	s_mov_b32 s3, -1
	s_cbranch_vccz .LBB432_1721
; %bb.1718:
	v_cmp_eq_u16_e32 vcc_lo, 15, v7
	s_mov_b32 s0, -1
	s_cbranch_vccz .LBB432_1720
; %bb.1719:
	v_bfe_i32 v5, v8, 0, 16
	s_mov_b32 s0, 0
	s_mov_b32 s6, -1
	s_delay_alu instid0(VALU_DEP_1) | instskip(NEXT) | instid1(VALU_DEP_1)
	v_cvt_f32_i32_e32 v5, v5
	v_bfe_u32 v6, v5, 16, 1
	s_delay_alu instid0(VALU_DEP_1)
	v_add3_u32 v5, v5, v6, 0x7fff
	global_store_d16_hi_b16 v[3:4], v5, off
.LBB432_1720:
	s_mov_b32 s3, 0
.LBB432_1721:
	s_delay_alu instid0(SALU_CYCLE_1)
	s_and_b32 vcc_lo, exec_lo, s3
	s_mov_b32 s3, 0
	s_cbranch_vccz .LBB432_1723
; %bb.1722:
	v_cmp_ne_u16_e64 s0, 11, v7
	s_mov_b32 s3, -1
.LBB432_1723:
	s_delay_alu instid0(VALU_DEP_1)
	s_and_b32 vcc_lo, exec_lo, s0
	s_cbranch_vccnz .LBB432_2023
; %bb.1724:
	s_and_not1_b32 vcc_lo, exec_lo, s3
	s_cbranch_vccnz .LBB432_1726
.LBB432_1725:
	v_cmp_ne_u16_e32 vcc_lo, 0, v8
	s_mov_b32 s6, -1
	v_cndmask_b32_e64 v5, 0, 1, vcc_lo
	global_store_b8 v[3:4], v5, off
.LBB432_1726:
	s_mov_b32 s0, 0
	s_branch .LBB432_1728
.LBB432_1727:
	s_mov_b32 s0, -1
	s_mov_b32 s6, 0
.LBB432_1728:
	s_and_b32 vcc_lo, exec_lo, s0
	s_cbranch_vccz .LBB432_1767
; %bb.1729:
	v_cmp_gt_i16_e32 vcc_lo, 5, v7
	s_mov_b32 s0, -1
	s_cbranch_vccnz .LBB432_1750
; %bb.1730:
	v_cmp_gt_i16_e32 vcc_lo, 8, v7
	s_cbranch_vccnz .LBB432_1740
; %bb.1731:
	v_cmp_gt_i16_e32 vcc_lo, 9, v7
	s_cbranch_vccnz .LBB432_1737
; %bb.1732:
	v_cmp_lt_i16_e32 vcc_lo, 9, v7
	s_cbranch_vccz .LBB432_1734
; %bb.1733:
	v_bfe_i32 v5, v8, 0, 16
	v_mov_b32_e32 v11, 0
	s_mov_b32 s0, 0
	s_delay_alu instid0(VALU_DEP_2) | instskip(NEXT) | instid1(VALU_DEP_2)
	v_cvt_f64_i32_e32 v[9:10], v5
	v_mov_b32_e32 v12, v11
	global_store_b128 v[3:4], v[9:12], off
.LBB432_1734:
	s_and_not1_b32 vcc_lo, exec_lo, s0
	s_cbranch_vccnz .LBB432_1736
; %bb.1735:
	v_bfe_i32 v5, v8, 0, 16
	v_mov_b32_e32 v6, 0
	s_delay_alu instid0(VALU_DEP_2)
	v_cvt_f32_i32_e32 v5, v5
	global_store_b64 v[3:4], v[5:6], off
.LBB432_1736:
	s_mov_b32 s0, 0
.LBB432_1737:
	s_delay_alu instid0(SALU_CYCLE_1)
	s_and_not1_b32 vcc_lo, exec_lo, s0
	s_cbranch_vccnz .LBB432_1739
; %bb.1738:
	v_cvt_f16_i16_e32 v5, v8
	s_delay_alu instid0(VALU_DEP_1)
	v_and_b32_e32 v5, 0xffff, v5
	global_store_b32 v[3:4], v5, off
.LBB432_1739:
	s_mov_b32 s0, 0
.LBB432_1740:
	s_delay_alu instid0(SALU_CYCLE_1)
	s_and_not1_b32 vcc_lo, exec_lo, s0
	s_cbranch_vccnz .LBB432_1749
; %bb.1741:
	v_cmp_gt_i16_e32 vcc_lo, 6, v7
	s_mov_b32 s0, -1
	s_cbranch_vccnz .LBB432_1747
; %bb.1742:
	v_cmp_lt_i16_e32 vcc_lo, 6, v7
	s_cbranch_vccz .LBB432_1744
; %bb.1743:
	v_bfe_i32 v5, v8, 0, 16
	s_mov_b32 s0, 0
	s_delay_alu instid0(VALU_DEP_1)
	v_cvt_f64_i32_e32 v[5:6], v5
	global_store_b64 v[3:4], v[5:6], off
.LBB432_1744:
	s_and_not1_b32 vcc_lo, exec_lo, s0
	s_cbranch_vccnz .LBB432_1746
; %bb.1745:
	v_bfe_i32 v5, v8, 0, 16
	s_delay_alu instid0(VALU_DEP_1)
	v_cvt_f32_i32_e32 v5, v5
	global_store_b32 v[3:4], v5, off
.LBB432_1746:
	s_mov_b32 s0, 0
.LBB432_1747:
	s_delay_alu instid0(SALU_CYCLE_1)
	s_and_not1_b32 vcc_lo, exec_lo, s0
	s_cbranch_vccnz .LBB432_1749
; %bb.1748:
	v_cvt_f16_i16_e32 v5, v8
	global_store_b16 v[3:4], v5, off
.LBB432_1749:
	s_mov_b32 s0, 0
.LBB432_1750:
	s_delay_alu instid0(SALU_CYCLE_1)
	s_and_not1_b32 vcc_lo, exec_lo, s0
	s_cbranch_vccnz .LBB432_1766
; %bb.1751:
	v_cmp_gt_i16_e32 vcc_lo, 2, v7
	s_mov_b32 s0, -1
	s_cbranch_vccnz .LBB432_1761
; %bb.1752:
	v_cmp_gt_i16_e32 vcc_lo, 3, v7
	s_cbranch_vccnz .LBB432_1758
; %bb.1753:
	v_cmp_lt_i16_e32 vcc_lo, 3, v7
	v_bfe_i32 v5, v8, 0, 16
	s_cbranch_vccz .LBB432_1755
; %bb.1754:
	s_delay_alu instid0(VALU_DEP_1)
	v_ashrrev_i32_e32 v6, 31, v5
	s_mov_b32 s0, 0
	global_store_b64 v[3:4], v[5:6], off
.LBB432_1755:
	s_and_not1_b32 vcc_lo, exec_lo, s0
	s_cbranch_vccnz .LBB432_1757
; %bb.1756:
	global_store_b32 v[3:4], v5, off
.LBB432_1757:
	s_mov_b32 s0, 0
.LBB432_1758:
	s_delay_alu instid0(SALU_CYCLE_1)
	s_and_not1_b32 vcc_lo, exec_lo, s0
	s_cbranch_vccnz .LBB432_1760
; %bb.1759:
	global_store_b16 v[3:4], v8, off
.LBB432_1760:
	s_mov_b32 s0, 0
.LBB432_1761:
	s_delay_alu instid0(SALU_CYCLE_1)
	s_and_not1_b32 vcc_lo, exec_lo, s0
	s_cbranch_vccnz .LBB432_1766
; %bb.1762:
	v_cmp_lt_i16_e32 vcc_lo, 0, v7
	s_mov_b32 s0, -1
	s_cbranch_vccz .LBB432_1764
; %bb.1763:
	s_mov_b32 s0, 0
	global_store_b8 v[3:4], v8, off
.LBB432_1764:
	s_and_not1_b32 vcc_lo, exec_lo, s0
	s_cbranch_vccnz .LBB432_1766
; %bb.1765:
	global_store_b8 v[3:4], v8, off
.LBB432_1766:
	s_mov_b32 s6, -1
.LBB432_1767:
	s_delay_alu instid0(SALU_CYCLE_1)
	s_and_not1_b32 vcc_lo, exec_lo, s6
	s_cbranch_vccnz .LBB432_1963
; %bb.1768:
	v_add_nc_u32_e32 v5, s2, v1
	v_bfe_i32 v1, v2, 0, 8
	v_cmp_gt_i16_e32 vcc_lo, 11, v7
	s_delay_alu instid0(VALU_DEP_3) | instskip(NEXT) | instid1(VALU_DEP_3)
	v_ashrrev_i32_e32 v2, 31, v5
	v_min_i16 v6, v1, s1
	v_add_co_u32 v1, s0, s4, v5
	s_delay_alu instid0(VALU_DEP_1)
	v_add_co_ci_u32_e64 v2, s0, s5, v2, s0
	s_cbranch_vccnz .LBB432_1846
; %bb.1769:
	v_cmp_lt_i16_e32 vcc_lo, 25, v7
	s_mov_b32 s7, -1
	s_mov_b32 s3, 0
	s_mov_b32 s6, 0
	;; [unrolled: 1-line block ×3, first 2 shown]
	s_cbranch_vccz .LBB432_1802
; %bb.1770:
	v_cmp_lt_i16_e32 vcc_lo, 28, v7
	s_cbranch_vccz .LBB432_1785
; %bb.1771:
	v_cmp_lt_i16_e32 vcc_lo, 43, v7
	s_cbranch_vccz .LBB432_1781
; %bb.1772:
	v_cmp_lt_i16_e32 vcc_lo, 45, v7
	s_cbranch_vccz .LBB432_1775
; %bb.1773:
	v_cmp_eq_u16_e32 vcc_lo, 46, v7
	s_mov_b32 s0, -1
	s_mov_b32 s7, 0
	s_cbranch_vccz .LBB432_1775
; %bb.1774:
	v_bfe_i32 v3, v6, 0, 16
	s_mov_b32 s0, 0
	s_mov_b32 s6, -1
	s_delay_alu instid0(VALU_DEP_1) | instskip(NEXT) | instid1(VALU_DEP_1)
	v_cvt_f32_i32_e32 v3, v3
	v_bfe_u32 v4, v3, 16, 1
	s_delay_alu instid0(VALU_DEP_1) | instskip(NEXT) | instid1(VALU_DEP_1)
	v_add3_u32 v3, v3, v4, 0x7fff
	v_lshrrev_b32_e32 v3, 16, v3
	global_store_b32 v[1:2], v3, off
.LBB432_1775:
	s_and_b32 vcc_lo, exec_lo, s7
	s_cbranch_vccz .LBB432_1780
; %bb.1776:
	v_cmp_eq_u16_e32 vcc_lo, 44, v7
	s_mov_b32 s0, -1
	s_cbranch_vccz .LBB432_1780
; %bb.1777:
	v_bfe_i32 v3, v6, 0, 16
	v_mov_b32_e32 v4, 0xff
	s_mov_b32 s6, exec_lo
	s_delay_alu instid0(VALU_DEP_2) | instskip(NEXT) | instid1(VALU_DEP_1)
	v_cvt_f32_i32_e32 v3, v3
	v_bfe_u32 v8, v3, 23, 8
	s_delay_alu instid0(VALU_DEP_1)
	v_cmpx_ne_u32_e32 0xff, v8
; %bb.1778:
	v_and_b32_e32 v4, 0x400000, v3
	v_and_or_b32 v8, 0x3fffff, v3, v8
	v_lshrrev_b32_e32 v3, 23, v3
	s_delay_alu instid0(VALU_DEP_3) | instskip(NEXT) | instid1(VALU_DEP_3)
	v_cmp_ne_u32_e32 vcc_lo, 0, v4
	v_cmp_ne_u32_e64 s0, 0, v8
	s_delay_alu instid0(VALU_DEP_1) | instskip(NEXT) | instid1(SALU_CYCLE_1)
	s_and_b32 s0, vcc_lo, s0
	v_cndmask_b32_e64 v4, 0, 1, s0
	s_delay_alu instid0(VALU_DEP_1)
	v_add_nc_u32_e32 v4, v3, v4
; %bb.1779:
	s_or_b32 exec_lo, exec_lo, s6
	s_mov_b32 s0, 0
	s_mov_b32 s6, -1
	global_store_b8 v[1:2], v4, off
.LBB432_1780:
	s_mov_b32 s7, 0
.LBB432_1781:
	s_delay_alu instid0(SALU_CYCLE_1)
	s_and_b32 vcc_lo, exec_lo, s7
	s_cbranch_vccz .LBB432_1784
; %bb.1782:
	v_cmp_eq_u16_e32 vcc_lo, 29, v7
	s_mov_b32 s0, -1
	s_cbranch_vccz .LBB432_1784
; %bb.1783:
	v_bfe_i32 v3, v6, 0, 16
	s_mov_b32 s0, 0
	s_mov_b32 s6, -1
	s_delay_alu instid0(VALU_DEP_1)
	v_ashrrev_i32_e32 v4, 31, v3
	global_store_b64 v[1:2], v[3:4], off
.LBB432_1784:
	s_mov_b32 s7, 0
.LBB432_1785:
	s_delay_alu instid0(SALU_CYCLE_1)
	s_and_b32 vcc_lo, exec_lo, s7
	s_cbranch_vccz .LBB432_1801
; %bb.1786:
	v_cmp_gt_i16_e32 vcc_lo, 27, v7
	s_mov_b32 s6, -1
	s_cbranch_vccnz .LBB432_1792
; %bb.1787:
	v_cmp_lt_i16_e32 vcc_lo, 27, v7
	s_cbranch_vccz .LBB432_1789
; %bb.1788:
	v_bfe_i32 v3, v6, 0, 16
	s_mov_b32 s6, 0
	global_store_b32 v[1:2], v3, off
.LBB432_1789:
	s_and_not1_b32 vcc_lo, exec_lo, s6
	s_cbranch_vccnz .LBB432_1791
; %bb.1790:
	global_store_b16 v[1:2], v6, off
.LBB432_1791:
	s_mov_b32 s6, 0
.LBB432_1792:
	s_delay_alu instid0(SALU_CYCLE_1)
	s_and_not1_b32 vcc_lo, exec_lo, s6
	s_cbranch_vccnz .LBB432_1800
; %bb.1793:
	v_bfe_i32 v3, v6, 0, 16
	v_mov_b32_e32 v8, 0x80
	s_mov_b32 s6, exec_lo
	s_delay_alu instid0(VALU_DEP_2) | instskip(NEXT) | instid1(VALU_DEP_1)
	v_cvt_f32_i32_e32 v3, v3
	v_and_b32_e32 v4, 0x7fffffff, v3
	s_delay_alu instid0(VALU_DEP_1)
	v_cmpx_gt_u32_e32 0x43800000, v4
	s_cbranch_execz .LBB432_1799
; %bb.1794:
	v_cmp_lt_u32_e32 vcc_lo, 0x3bffffff, v4
	s_mov_b32 s7, 0
                                        ; implicit-def: $vgpr4
	s_and_saveexec_b32 s8, vcc_lo
	s_delay_alu instid0(SALU_CYCLE_1)
	s_xor_b32 s8, exec_lo, s8
	s_cbranch_execz .LBB432_2027
; %bb.1795:
	v_bfe_u32 v4, v3, 20, 1
	s_mov_b32 s7, exec_lo
	s_delay_alu instid0(VALU_DEP_1) | instskip(NEXT) | instid1(VALU_DEP_1)
	v_add3_u32 v4, v3, v4, 0x487ffff
	v_lshrrev_b32_e32 v4, 20, v4
	s_or_saveexec_b32 s8, s8
                                        ; implicit-def: $sgpr10
	s_delay_alu instid0(SALU_CYCLE_1)
	s_xor_b32 exec_lo, exec_lo, s8
	s_cbranch_execnz .LBB432_2028
.LBB432_1796:
	s_or_b32 exec_lo, exec_lo, s8
	v_mov_b32_e32 v8, s10
	s_and_saveexec_b32 s8, s7
.LBB432_1797:
	v_lshrrev_b32_e32 v3, 24, v3
	s_delay_alu instid0(VALU_DEP_1)
	v_and_or_b32 v8, 0x80, v3, v4
.LBB432_1798:
	s_or_b32 exec_lo, exec_lo, s8
.LBB432_1799:
	s_delay_alu instid0(SALU_CYCLE_1)
	s_or_b32 exec_lo, exec_lo, s6
	global_store_b8 v[1:2], v8, off
.LBB432_1800:
	s_mov_b32 s6, -1
.LBB432_1801:
	s_mov_b32 s7, 0
.LBB432_1802:
	s_delay_alu instid0(SALU_CYCLE_1)
	s_and_b32 vcc_lo, exec_lo, s7
	s_cbranch_vccz .LBB432_1842
; %bb.1803:
	v_cmp_lt_i16_e32 vcc_lo, 22, v7
	s_mov_b32 s3, -1
	s_cbranch_vccz .LBB432_1835
; %bb.1804:
	v_cmp_gt_i16_e32 vcc_lo, 24, v7
	s_cbranch_vccnz .LBB432_1824
; %bb.1805:
	v_cmp_lt_i16_e32 vcc_lo, 24, v7
	s_cbranch_vccz .LBB432_1813
; %bb.1806:
	v_bfe_i32 v3, v6, 0, 16
	v_mov_b32_e32 v8, 0x80
	s_mov_b32 s3, exec_lo
	s_delay_alu instid0(VALU_DEP_2) | instskip(NEXT) | instid1(VALU_DEP_1)
	v_cvt_f32_i32_e32 v3, v3
	v_and_b32_e32 v4, 0x7fffffff, v3
	s_delay_alu instid0(VALU_DEP_1)
	v_cmpx_gt_u32_e32 0x47800000, v4
	s_cbranch_execz .LBB432_1812
; %bb.1807:
	v_cmp_lt_u32_e32 vcc_lo, 0x37ffffff, v4
	s_mov_b32 s6, 0
                                        ; implicit-def: $vgpr4
	s_and_saveexec_b32 s7, vcc_lo
	s_delay_alu instid0(SALU_CYCLE_1)
	s_xor_b32 s7, exec_lo, s7
	s_cbranch_execz .LBB432_2033
; %bb.1808:
	v_bfe_u32 v4, v3, 21, 1
	s_mov_b32 s6, exec_lo
	s_delay_alu instid0(VALU_DEP_1) | instskip(NEXT) | instid1(VALU_DEP_1)
	v_add3_u32 v4, v3, v4, 0x88fffff
	v_lshrrev_b32_e32 v4, 21, v4
	s_or_saveexec_b32 s7, s7
                                        ; implicit-def: $sgpr8
	s_delay_alu instid0(SALU_CYCLE_1)
	s_xor_b32 exec_lo, exec_lo, s7
	s_cbranch_execnz .LBB432_2034
.LBB432_1809:
	s_or_b32 exec_lo, exec_lo, s7
	v_mov_b32_e32 v8, s8
	s_and_saveexec_b32 s7, s6
.LBB432_1810:
	v_lshrrev_b32_e32 v3, 24, v3
	s_delay_alu instid0(VALU_DEP_1)
	v_and_or_b32 v8, 0x80, v3, v4
.LBB432_1811:
	s_or_b32 exec_lo, exec_lo, s7
.LBB432_1812:
	s_delay_alu instid0(SALU_CYCLE_1)
	s_or_b32 exec_lo, exec_lo, s3
	s_mov_b32 s3, 0
	global_store_b8 v[1:2], v8, off
.LBB432_1813:
	s_and_b32 vcc_lo, exec_lo, s3
	s_cbranch_vccz .LBB432_1823
; %bb.1814:
	v_bfe_i32 v3, v6, 0, 16
	s_mov_b32 s3, exec_lo
                                        ; implicit-def: $vgpr4
	s_delay_alu instid0(VALU_DEP_1) | instskip(NEXT) | instid1(VALU_DEP_1)
	v_cvt_f32_i32_e32 v3, v3
	v_and_b32_e32 v8, 0x7fffffff, v3
	s_delay_alu instid0(VALU_DEP_1)
	v_cmpx_gt_u32_e32 0x43f00000, v8
	s_xor_b32 s3, exec_lo, s3
	s_cbranch_execz .LBB432_1820
; %bb.1815:
	s_mov_b32 s6, exec_lo
                                        ; implicit-def: $vgpr4
	v_cmpx_lt_u32_e32 0x3c7fffff, v8
	s_xor_b32 s6, exec_lo, s6
; %bb.1816:
	v_bfe_u32 v4, v3, 20, 1
	s_delay_alu instid0(VALU_DEP_1) | instskip(NEXT) | instid1(VALU_DEP_1)
	v_add3_u32 v4, v3, v4, 0x407ffff
	v_and_b32_e32 v8, 0xff00000, v4
	v_lshrrev_b32_e32 v4, 20, v4
	s_delay_alu instid0(VALU_DEP_2) | instskip(NEXT) | instid1(VALU_DEP_2)
	v_cmp_ne_u32_e32 vcc_lo, 0x7f00000, v8
	v_cndmask_b32_e32 v4, 0x7e, v4, vcc_lo
; %bb.1817:
	s_and_not1_saveexec_b32 s6, s6
; %bb.1818:
	v_add_f32_e64 v4, 0x46800000, |v3|
; %bb.1819:
	s_or_b32 exec_lo, exec_lo, s6
                                        ; implicit-def: $vgpr8
.LBB432_1820:
	s_and_not1_saveexec_b32 s3, s3
; %bb.1821:
	v_mov_b32_e32 v4, 0x7f
	v_cmp_lt_u32_e32 vcc_lo, 0x7f800000, v8
	s_delay_alu instid0(VALU_DEP_2)
	v_cndmask_b32_e32 v4, 0x7e, v4, vcc_lo
; %bb.1822:
	s_or_b32 exec_lo, exec_lo, s3
	v_lshrrev_b32_e32 v3, 24, v3
	s_delay_alu instid0(VALU_DEP_1)
	v_and_or_b32 v3, 0x80, v3, v4
	global_store_b8 v[1:2], v3, off
.LBB432_1823:
	s_mov_b32 s3, 0
.LBB432_1824:
	s_delay_alu instid0(SALU_CYCLE_1)
	s_and_not1_b32 vcc_lo, exec_lo, s3
	s_cbranch_vccnz .LBB432_1834
; %bb.1825:
	v_bfe_i32 v3, v6, 0, 16
	s_mov_b32 s3, exec_lo
                                        ; implicit-def: $vgpr4
	s_delay_alu instid0(VALU_DEP_1) | instskip(NEXT) | instid1(VALU_DEP_1)
	v_cvt_f32_i32_e32 v3, v3
	v_and_b32_e32 v8, 0x7fffffff, v3
	s_delay_alu instid0(VALU_DEP_1)
	v_cmpx_gt_u32_e32 0x47800000, v8
	s_xor_b32 s3, exec_lo, s3
	s_cbranch_execz .LBB432_1831
; %bb.1826:
	s_mov_b32 s6, exec_lo
                                        ; implicit-def: $vgpr4
	v_cmpx_lt_u32_e32 0x387fffff, v8
	s_xor_b32 s6, exec_lo, s6
; %bb.1827:
	v_bfe_u32 v4, v3, 21, 1
	s_delay_alu instid0(VALU_DEP_1) | instskip(NEXT) | instid1(VALU_DEP_1)
	v_add3_u32 v4, v3, v4, 0x80fffff
	v_lshrrev_b32_e32 v4, 21, v4
; %bb.1828:
	s_and_not1_saveexec_b32 s6, s6
; %bb.1829:
	v_add_f32_e64 v4, 0x43000000, |v3|
; %bb.1830:
	s_or_b32 exec_lo, exec_lo, s6
                                        ; implicit-def: $vgpr8
.LBB432_1831:
	s_and_not1_saveexec_b32 s3, s3
; %bb.1832:
	v_mov_b32_e32 v4, 0x7f
	v_cmp_lt_u32_e32 vcc_lo, 0x7f800000, v8
	s_delay_alu instid0(VALU_DEP_2)
	v_cndmask_b32_e32 v4, 0x7c, v4, vcc_lo
; %bb.1833:
	s_or_b32 exec_lo, exec_lo, s3
	v_lshrrev_b32_e32 v3, 24, v3
	s_delay_alu instid0(VALU_DEP_1)
	v_and_or_b32 v3, 0x80, v3, v4
	global_store_b8 v[1:2], v3, off
.LBB432_1834:
	s_mov_b32 s3, 0
	s_mov_b32 s6, -1
.LBB432_1835:
	s_and_not1_b32 vcc_lo, exec_lo, s3
	s_mov_b32 s3, 0
	s_cbranch_vccnz .LBB432_1842
; %bb.1836:
	v_cmp_lt_i16_e32 vcc_lo, 14, v7
	s_mov_b32 s3, -1
	s_cbranch_vccz .LBB432_1840
; %bb.1837:
	v_cmp_eq_u16_e32 vcc_lo, 15, v7
	s_mov_b32 s0, -1
	s_cbranch_vccz .LBB432_1839
; %bb.1838:
	v_bfe_i32 v3, v6, 0, 16
	s_mov_b32 s0, 0
	s_mov_b32 s6, -1
	s_delay_alu instid0(VALU_DEP_1) | instskip(NEXT) | instid1(VALU_DEP_1)
	v_cvt_f32_i32_e32 v3, v3
	v_bfe_u32 v4, v3, 16, 1
	s_delay_alu instid0(VALU_DEP_1)
	v_add3_u32 v3, v3, v4, 0x7fff
	global_store_d16_hi_b16 v[1:2], v3, off
.LBB432_1839:
	s_mov_b32 s3, 0
.LBB432_1840:
	s_delay_alu instid0(SALU_CYCLE_1)
	s_and_b32 vcc_lo, exec_lo, s3
	s_mov_b32 s3, 0
	s_cbranch_vccz .LBB432_1842
; %bb.1841:
	v_cmp_ne_u16_e64 s0, 11, v7
	s_mov_b32 s3, -1
.LBB432_1842:
	s_delay_alu instid0(VALU_DEP_1)
	s_and_b32 vcc_lo, exec_lo, s0
	s_cbranch_vccnz .LBB432_2031
; %bb.1843:
	s_and_not1_b32 vcc_lo, exec_lo, s3
	s_cbranch_vccnz .LBB432_1845
.LBB432_1844:
	v_cmp_ne_u16_e32 vcc_lo, 0, v6
	s_mov_b32 s6, -1
	v_cndmask_b32_e64 v3, 0, 1, vcc_lo
	global_store_b8 v[1:2], v3, off
.LBB432_1845:
	s_mov_b32 s0, 0
	s_branch .LBB432_1847
.LBB432_1846:
	s_mov_b32 s0, -1
	s_mov_b32 s6, 0
.LBB432_1847:
	s_and_b32 vcc_lo, exec_lo, s0
	s_cbranch_vccz .LBB432_1886
; %bb.1848:
	v_cmp_gt_i16_e32 vcc_lo, 5, v7
	s_mov_b32 s0, -1
	s_cbranch_vccnz .LBB432_1869
; %bb.1849:
	v_cmp_gt_i16_e32 vcc_lo, 8, v7
	s_cbranch_vccnz .LBB432_1859
; %bb.1850:
	v_cmp_gt_i16_e32 vcc_lo, 9, v7
	s_cbranch_vccnz .LBB432_1856
; %bb.1851:
	v_cmp_lt_i16_e32 vcc_lo, 9, v7
	s_cbranch_vccz .LBB432_1853
; %bb.1852:
	v_bfe_i32 v3, v6, 0, 16
	v_mov_b32_e32 v10, 0
	s_mov_b32 s0, 0
	s_delay_alu instid0(VALU_DEP_2) | instskip(NEXT) | instid1(VALU_DEP_2)
	v_cvt_f64_i32_e32 v[8:9], v3
	v_mov_b32_e32 v11, v10
	global_store_b128 v[1:2], v[8:11], off
.LBB432_1853:
	s_and_not1_b32 vcc_lo, exec_lo, s0
	s_cbranch_vccnz .LBB432_1855
; %bb.1854:
	v_bfe_i32 v3, v6, 0, 16
	v_mov_b32_e32 v4, 0
	s_delay_alu instid0(VALU_DEP_2)
	v_cvt_f32_i32_e32 v3, v3
	global_store_b64 v[1:2], v[3:4], off
.LBB432_1855:
	s_mov_b32 s0, 0
.LBB432_1856:
	s_delay_alu instid0(SALU_CYCLE_1)
	s_and_not1_b32 vcc_lo, exec_lo, s0
	s_cbranch_vccnz .LBB432_1858
; %bb.1857:
	v_cvt_f16_i16_e32 v3, v6
	s_delay_alu instid0(VALU_DEP_1)
	v_and_b32_e32 v3, 0xffff, v3
	global_store_b32 v[1:2], v3, off
.LBB432_1858:
	s_mov_b32 s0, 0
.LBB432_1859:
	s_delay_alu instid0(SALU_CYCLE_1)
	s_and_not1_b32 vcc_lo, exec_lo, s0
	s_cbranch_vccnz .LBB432_1868
; %bb.1860:
	v_cmp_gt_i16_e32 vcc_lo, 6, v7
	s_mov_b32 s0, -1
	s_cbranch_vccnz .LBB432_1866
; %bb.1861:
	v_cmp_lt_i16_e32 vcc_lo, 6, v7
	s_cbranch_vccz .LBB432_1863
; %bb.1862:
	v_bfe_i32 v3, v6, 0, 16
	s_mov_b32 s0, 0
	s_delay_alu instid0(VALU_DEP_1)
	v_cvt_f64_i32_e32 v[3:4], v3
	global_store_b64 v[1:2], v[3:4], off
.LBB432_1863:
	s_and_not1_b32 vcc_lo, exec_lo, s0
	s_cbranch_vccnz .LBB432_1865
; %bb.1864:
	v_bfe_i32 v3, v6, 0, 16
	s_delay_alu instid0(VALU_DEP_1)
	v_cvt_f32_i32_e32 v3, v3
	global_store_b32 v[1:2], v3, off
.LBB432_1865:
	s_mov_b32 s0, 0
.LBB432_1866:
	s_delay_alu instid0(SALU_CYCLE_1)
	s_and_not1_b32 vcc_lo, exec_lo, s0
	s_cbranch_vccnz .LBB432_1868
; %bb.1867:
	v_cvt_f16_i16_e32 v3, v6
	global_store_b16 v[1:2], v3, off
.LBB432_1868:
	s_mov_b32 s0, 0
.LBB432_1869:
	s_delay_alu instid0(SALU_CYCLE_1)
	s_and_not1_b32 vcc_lo, exec_lo, s0
	s_cbranch_vccnz .LBB432_1885
; %bb.1870:
	v_cmp_gt_i16_e32 vcc_lo, 2, v7
	s_mov_b32 s0, -1
	s_cbranch_vccnz .LBB432_1880
; %bb.1871:
	v_cmp_gt_i16_e32 vcc_lo, 3, v7
	s_cbranch_vccnz .LBB432_1877
; %bb.1872:
	v_cmp_lt_i16_e32 vcc_lo, 3, v7
	v_bfe_i32 v3, v6, 0, 16
	s_cbranch_vccz .LBB432_1874
; %bb.1873:
	s_delay_alu instid0(VALU_DEP_1)
	v_ashrrev_i32_e32 v4, 31, v3
	s_mov_b32 s0, 0
	global_store_b64 v[1:2], v[3:4], off
.LBB432_1874:
	s_and_not1_b32 vcc_lo, exec_lo, s0
	s_cbranch_vccnz .LBB432_1876
; %bb.1875:
	global_store_b32 v[1:2], v3, off
.LBB432_1876:
	s_mov_b32 s0, 0
.LBB432_1877:
	s_delay_alu instid0(SALU_CYCLE_1)
	s_and_not1_b32 vcc_lo, exec_lo, s0
	s_cbranch_vccnz .LBB432_1879
; %bb.1878:
	global_store_b16 v[1:2], v6, off
.LBB432_1879:
	s_mov_b32 s0, 0
.LBB432_1880:
	s_delay_alu instid0(SALU_CYCLE_1)
	s_and_not1_b32 vcc_lo, exec_lo, s0
	s_cbranch_vccnz .LBB432_1885
; %bb.1881:
	v_cmp_lt_i16_e32 vcc_lo, 0, v7
	s_mov_b32 s0, -1
	s_cbranch_vccz .LBB432_1883
; %bb.1882:
	s_mov_b32 s0, 0
	global_store_b8 v[1:2], v6, off
.LBB432_1883:
	s_and_not1_b32 vcc_lo, exec_lo, s0
	s_cbranch_vccnz .LBB432_1885
; %bb.1884:
	global_store_b8 v[1:2], v6, off
.LBB432_1885:
	s_mov_b32 s6, -1
.LBB432_1886:
	s_delay_alu instid0(SALU_CYCLE_1)
	s_and_not1_b32 vcc_lo, exec_lo, s6
	s_cbranch_vccnz .LBB432_1963
; %bb.1887:
	v_add_nc_u32_e32 v1, s2, v5
	v_bfe_i32 v0, v0, 0, 8
	v_cmp_gt_i16_e32 vcc_lo, 11, v7
	s_delay_alu instid0(VALU_DEP_3) | instskip(NEXT) | instid1(VALU_DEP_3)
	v_ashrrev_i32_e32 v3, 31, v1
	v_min_i16 v2, v0, s1
	v_add_co_u32 v0, s0, s4, v1
	s_delay_alu instid0(VALU_DEP_1)
	v_add_co_ci_u32_e64 v1, s0, s5, v3, s0
	s_cbranch_vccnz .LBB432_2008
; %bb.1888:
	v_cmp_lt_i16_e32 vcc_lo, 25, v7
	s_mov_b32 s2, -1
	s_mov_b32 s1, 0
	s_mov_b32 s0, 0
	s_cbranch_vccz .LBB432_1921
; %bb.1889:
	v_cmp_lt_i16_e32 vcc_lo, 28, v7
	s_cbranch_vccz .LBB432_1905
; %bb.1890:
	v_cmp_lt_i16_e32 vcc_lo, 43, v7
	;; [unrolled: 3-line block ×3, first 2 shown]
	s_cbranch_vccz .LBB432_1895
; %bb.1892:
	v_cmp_eq_u16_e32 vcc_lo, 46, v7
	s_mov_b32 s0, -1
	s_cbranch_vccz .LBB432_1894
; %bb.1893:
	v_bfe_i32 v3, v2, 0, 16
	s_mov_b32 s0, 0
	s_delay_alu instid0(VALU_DEP_1) | instskip(NEXT) | instid1(VALU_DEP_1)
	v_cvt_f32_i32_e32 v3, v3
	v_bfe_u32 v4, v3, 16, 1
	s_delay_alu instid0(VALU_DEP_1) | instskip(NEXT) | instid1(VALU_DEP_1)
	v_add3_u32 v3, v3, v4, 0x7fff
	v_lshrrev_b32_e32 v3, 16, v3
	global_store_b32 v[0:1], v3, off
.LBB432_1894:
	s_mov_b32 s2, 0
.LBB432_1895:
	s_delay_alu instid0(SALU_CYCLE_1)
	s_and_b32 vcc_lo, exec_lo, s2
	s_cbranch_vccz .LBB432_1900
; %bb.1896:
	v_cmp_eq_u16_e32 vcc_lo, 44, v7
	s_mov_b32 s0, -1
	s_cbranch_vccz .LBB432_1900
; %bb.1897:
	v_bfe_i32 v3, v2, 0, 16
	v_mov_b32_e32 v4, 0xff
	s_mov_b32 s2, exec_lo
	s_delay_alu instid0(VALU_DEP_2) | instskip(NEXT) | instid1(VALU_DEP_1)
	v_cvt_f32_i32_e32 v3, v3
	v_bfe_u32 v5, v3, 23, 8
	s_delay_alu instid0(VALU_DEP_1)
	v_cmpx_ne_u32_e32 0xff, v5
; %bb.1898:
	v_and_b32_e32 v4, 0x400000, v3
	v_and_or_b32 v5, 0x3fffff, v3, v5
	v_lshrrev_b32_e32 v3, 23, v3
	s_delay_alu instid0(VALU_DEP_3) | instskip(NEXT) | instid1(VALU_DEP_3)
	v_cmp_ne_u32_e32 vcc_lo, 0, v4
	v_cmp_ne_u32_e64 s0, 0, v5
	s_delay_alu instid0(VALU_DEP_1) | instskip(NEXT) | instid1(SALU_CYCLE_1)
	s_and_b32 s0, vcc_lo, s0
	v_cndmask_b32_e64 v4, 0, 1, s0
	s_delay_alu instid0(VALU_DEP_1)
	v_add_nc_u32_e32 v4, v3, v4
; %bb.1899:
	s_or_b32 exec_lo, exec_lo, s2
	s_mov_b32 s0, 0
	global_store_b8 v[0:1], v4, off
.LBB432_1900:
	s_mov_b32 s2, 0
.LBB432_1901:
	s_delay_alu instid0(SALU_CYCLE_1)
	s_and_b32 vcc_lo, exec_lo, s2
	s_cbranch_vccz .LBB432_1904
; %bb.1902:
	v_cmp_eq_u16_e32 vcc_lo, 29, v7
	s_mov_b32 s0, -1
	s_cbranch_vccz .LBB432_1904
; %bb.1903:
	v_bfe_i32 v3, v2, 0, 16
	s_mov_b32 s0, 0
	s_delay_alu instid0(VALU_DEP_1)
	v_ashrrev_i32_e32 v4, 31, v3
	global_store_b64 v[0:1], v[3:4], off
.LBB432_1904:
	s_mov_b32 s2, 0
.LBB432_1905:
	s_delay_alu instid0(SALU_CYCLE_1)
	s_and_b32 vcc_lo, exec_lo, s2
	s_cbranch_vccz .LBB432_1920
; %bb.1906:
	v_cmp_gt_i16_e32 vcc_lo, 27, v7
	s_mov_b32 s2, -1
	s_cbranch_vccnz .LBB432_1912
; %bb.1907:
	v_cmp_lt_i16_e32 vcc_lo, 27, v7
	s_cbranch_vccz .LBB432_1909
; %bb.1908:
	v_bfe_i32 v3, v2, 0, 16
	s_mov_b32 s2, 0
	global_store_b32 v[0:1], v3, off
.LBB432_1909:
	s_and_not1_b32 vcc_lo, exec_lo, s2
	s_cbranch_vccnz .LBB432_1911
; %bb.1910:
	global_store_b16 v[0:1], v2, off
.LBB432_1911:
	s_mov_b32 s2, 0
.LBB432_1912:
	s_delay_alu instid0(SALU_CYCLE_1)
	s_and_not1_b32 vcc_lo, exec_lo, s2
	s_cbranch_vccnz .LBB432_1920
; %bb.1913:
	v_bfe_i32 v3, v2, 0, 16
	v_mov_b32_e32 v5, 0x80
	s_mov_b32 s2, exec_lo
	s_delay_alu instid0(VALU_DEP_2) | instskip(NEXT) | instid1(VALU_DEP_1)
	v_cvt_f32_i32_e32 v3, v3
	v_and_b32_e32 v4, 0x7fffffff, v3
	s_delay_alu instid0(VALU_DEP_1)
	v_cmpx_gt_u32_e32 0x43800000, v4
	s_cbranch_execz .LBB432_1919
; %bb.1914:
	v_cmp_lt_u32_e32 vcc_lo, 0x3bffffff, v4
	s_mov_b32 s3, 0
                                        ; implicit-def: $vgpr4
	s_and_saveexec_b32 s4, vcc_lo
	s_delay_alu instid0(SALU_CYCLE_1)
	s_xor_b32 s4, exec_lo, s4
	s_cbranch_execz .LBB432_2035
; %bb.1915:
	v_bfe_u32 v4, v3, 20, 1
	s_mov_b32 s3, exec_lo
	s_delay_alu instid0(VALU_DEP_1) | instskip(NEXT) | instid1(VALU_DEP_1)
	v_add3_u32 v4, v3, v4, 0x487ffff
	v_lshrrev_b32_e32 v4, 20, v4
	s_or_saveexec_b32 s4, s4
                                        ; implicit-def: $sgpr5
	s_delay_alu instid0(SALU_CYCLE_1)
	s_xor_b32 exec_lo, exec_lo, s4
	s_cbranch_execnz .LBB432_2036
.LBB432_1916:
	s_or_b32 exec_lo, exec_lo, s4
	v_mov_b32_e32 v5, s5
	s_and_saveexec_b32 s4, s3
.LBB432_1917:
	v_lshrrev_b32_e32 v3, 24, v3
	s_delay_alu instid0(VALU_DEP_1)
	v_and_or_b32 v5, 0x80, v3, v4
.LBB432_1918:
	s_or_b32 exec_lo, exec_lo, s4
.LBB432_1919:
	s_delay_alu instid0(SALU_CYCLE_1)
	s_or_b32 exec_lo, exec_lo, s2
	global_store_b8 v[0:1], v5, off
.LBB432_1920:
	s_mov_b32 s2, 0
.LBB432_1921:
	s_delay_alu instid0(SALU_CYCLE_1)
	s_and_b32 vcc_lo, exec_lo, s2
	s_cbranch_vccz .LBB432_1961
; %bb.1922:
	v_cmp_lt_i16_e32 vcc_lo, 22, v7
	s_mov_b32 s1, -1
	s_cbranch_vccz .LBB432_1954
; %bb.1923:
	v_cmp_gt_i16_e32 vcc_lo, 24, v7
	s_cbranch_vccnz .LBB432_1943
; %bb.1924:
	v_cmp_lt_i16_e32 vcc_lo, 24, v7
	s_cbranch_vccz .LBB432_1932
; %bb.1925:
	v_bfe_i32 v3, v2, 0, 16
	v_mov_b32_e32 v5, 0x80
	s_mov_b32 s1, exec_lo
	s_delay_alu instid0(VALU_DEP_2) | instskip(NEXT) | instid1(VALU_DEP_1)
	v_cvt_f32_i32_e32 v3, v3
	v_and_b32_e32 v4, 0x7fffffff, v3
	s_delay_alu instid0(VALU_DEP_1)
	v_cmpx_gt_u32_e32 0x47800000, v4
	s_cbranch_execz .LBB432_1931
; %bb.1926:
	v_cmp_lt_u32_e32 vcc_lo, 0x37ffffff, v4
	s_mov_b32 s2, 0
                                        ; implicit-def: $vgpr4
	s_and_saveexec_b32 s3, vcc_lo
	s_delay_alu instid0(SALU_CYCLE_1)
	s_xor_b32 s3, exec_lo, s3
	s_cbranch_execz .LBB432_2041
; %bb.1927:
	v_bfe_u32 v4, v3, 21, 1
	s_mov_b32 s2, exec_lo
	s_delay_alu instid0(VALU_DEP_1) | instskip(NEXT) | instid1(VALU_DEP_1)
	v_add3_u32 v4, v3, v4, 0x88fffff
	v_lshrrev_b32_e32 v4, 21, v4
	s_or_saveexec_b32 s3, s3
                                        ; implicit-def: $sgpr4
	s_delay_alu instid0(SALU_CYCLE_1)
	s_xor_b32 exec_lo, exec_lo, s3
	s_cbranch_execnz .LBB432_2042
.LBB432_1928:
	s_or_b32 exec_lo, exec_lo, s3
	v_mov_b32_e32 v5, s4
	s_and_saveexec_b32 s3, s2
.LBB432_1929:
	v_lshrrev_b32_e32 v3, 24, v3
	s_delay_alu instid0(VALU_DEP_1)
	v_and_or_b32 v5, 0x80, v3, v4
.LBB432_1930:
	s_or_b32 exec_lo, exec_lo, s3
.LBB432_1931:
	s_delay_alu instid0(SALU_CYCLE_1)
	s_or_b32 exec_lo, exec_lo, s1
	s_mov_b32 s1, 0
	global_store_b8 v[0:1], v5, off
.LBB432_1932:
	s_and_b32 vcc_lo, exec_lo, s1
	s_cbranch_vccz .LBB432_1942
; %bb.1933:
	v_bfe_i32 v3, v2, 0, 16
	s_mov_b32 s1, exec_lo
                                        ; implicit-def: $vgpr4
	s_delay_alu instid0(VALU_DEP_1) | instskip(NEXT) | instid1(VALU_DEP_1)
	v_cvt_f32_i32_e32 v3, v3
	v_and_b32_e32 v5, 0x7fffffff, v3
	s_delay_alu instid0(VALU_DEP_1)
	v_cmpx_gt_u32_e32 0x43f00000, v5
	s_xor_b32 s1, exec_lo, s1
	s_cbranch_execz .LBB432_1939
; %bb.1934:
	s_mov_b32 s2, exec_lo
                                        ; implicit-def: $vgpr4
	v_cmpx_lt_u32_e32 0x3c7fffff, v5
	s_xor_b32 s2, exec_lo, s2
; %bb.1935:
	v_bfe_u32 v4, v3, 20, 1
	s_delay_alu instid0(VALU_DEP_1) | instskip(NEXT) | instid1(VALU_DEP_1)
	v_add3_u32 v4, v3, v4, 0x407ffff
	v_and_b32_e32 v5, 0xff00000, v4
	v_lshrrev_b32_e32 v4, 20, v4
	s_delay_alu instid0(VALU_DEP_2) | instskip(NEXT) | instid1(VALU_DEP_2)
	v_cmp_ne_u32_e32 vcc_lo, 0x7f00000, v5
	v_cndmask_b32_e32 v4, 0x7e, v4, vcc_lo
; %bb.1936:
	s_and_not1_saveexec_b32 s2, s2
; %bb.1937:
	v_add_f32_e64 v4, 0x46800000, |v3|
; %bb.1938:
	s_or_b32 exec_lo, exec_lo, s2
                                        ; implicit-def: $vgpr5
.LBB432_1939:
	s_and_not1_saveexec_b32 s1, s1
; %bb.1940:
	v_mov_b32_e32 v4, 0x7f
	v_cmp_lt_u32_e32 vcc_lo, 0x7f800000, v5
	s_delay_alu instid0(VALU_DEP_2)
	v_cndmask_b32_e32 v4, 0x7e, v4, vcc_lo
; %bb.1941:
	s_or_b32 exec_lo, exec_lo, s1
	v_lshrrev_b32_e32 v3, 24, v3
	s_delay_alu instid0(VALU_DEP_1)
	v_and_or_b32 v3, 0x80, v3, v4
	global_store_b8 v[0:1], v3, off
.LBB432_1942:
	s_mov_b32 s1, 0
.LBB432_1943:
	s_delay_alu instid0(SALU_CYCLE_1)
	s_and_not1_b32 vcc_lo, exec_lo, s1
	s_cbranch_vccnz .LBB432_1953
; %bb.1944:
	v_bfe_i32 v3, v2, 0, 16
	s_mov_b32 s1, exec_lo
                                        ; implicit-def: $vgpr4
	s_delay_alu instid0(VALU_DEP_1) | instskip(NEXT) | instid1(VALU_DEP_1)
	v_cvt_f32_i32_e32 v3, v3
	v_and_b32_e32 v5, 0x7fffffff, v3
	s_delay_alu instid0(VALU_DEP_1)
	v_cmpx_gt_u32_e32 0x47800000, v5
	s_xor_b32 s1, exec_lo, s1
	s_cbranch_execz .LBB432_1950
; %bb.1945:
	s_mov_b32 s2, exec_lo
                                        ; implicit-def: $vgpr4
	v_cmpx_lt_u32_e32 0x387fffff, v5
	s_xor_b32 s2, exec_lo, s2
; %bb.1946:
	v_bfe_u32 v4, v3, 21, 1
	s_delay_alu instid0(VALU_DEP_1) | instskip(NEXT) | instid1(VALU_DEP_1)
	v_add3_u32 v4, v3, v4, 0x80fffff
	v_lshrrev_b32_e32 v4, 21, v4
; %bb.1947:
	s_and_not1_saveexec_b32 s2, s2
; %bb.1948:
	v_add_f32_e64 v4, 0x43000000, |v3|
; %bb.1949:
	s_or_b32 exec_lo, exec_lo, s2
                                        ; implicit-def: $vgpr5
.LBB432_1950:
	s_and_not1_saveexec_b32 s1, s1
; %bb.1951:
	v_mov_b32_e32 v4, 0x7f
	v_cmp_lt_u32_e32 vcc_lo, 0x7f800000, v5
	s_delay_alu instid0(VALU_DEP_2)
	v_cndmask_b32_e32 v4, 0x7c, v4, vcc_lo
; %bb.1952:
	s_or_b32 exec_lo, exec_lo, s1
	v_lshrrev_b32_e32 v3, 24, v3
	s_delay_alu instid0(VALU_DEP_1)
	v_and_or_b32 v3, 0x80, v3, v4
	global_store_b8 v[0:1], v3, off
.LBB432_1953:
	s_mov_b32 s1, 0
.LBB432_1954:
	s_delay_alu instid0(SALU_CYCLE_1)
	s_and_not1_b32 vcc_lo, exec_lo, s1
	s_mov_b32 s1, 0
	s_cbranch_vccnz .LBB432_1961
; %bb.1955:
	v_cmp_lt_i16_e32 vcc_lo, 14, v7
	s_mov_b32 s1, -1
	s_cbranch_vccz .LBB432_1959
; %bb.1956:
	v_cmp_eq_u16_e32 vcc_lo, 15, v7
	s_mov_b32 s0, -1
	s_cbranch_vccz .LBB432_1958
; %bb.1957:
	v_bfe_i32 v3, v2, 0, 16
	s_mov_b32 s0, 0
	s_delay_alu instid0(VALU_DEP_1) | instskip(NEXT) | instid1(VALU_DEP_1)
	v_cvt_f32_i32_e32 v3, v3
	v_bfe_u32 v4, v3, 16, 1
	s_delay_alu instid0(VALU_DEP_1)
	v_add3_u32 v3, v3, v4, 0x7fff
	global_store_d16_hi_b16 v[0:1], v3, off
.LBB432_1958:
	s_mov_b32 s1, 0
.LBB432_1959:
	s_delay_alu instid0(SALU_CYCLE_1)
	s_and_b32 vcc_lo, exec_lo, s1
	s_mov_b32 s1, 0
	s_cbranch_vccz .LBB432_1961
; %bb.1960:
	v_cmp_ne_u16_e64 s0, 11, v7
	s_mov_b32 s1, -1
.LBB432_1961:
	s_delay_alu instid0(VALU_DEP_1)
	s_and_b32 vcc_lo, exec_lo, s0
	s_cbranch_vccnz .LBB432_2039
.LBB432_1962:
	s_mov_b32 s0, 0
	s_branch .LBB432_1964
.LBB432_1963:
	s_mov_b32 s0, 0
	s_mov_b32 s1, 0
                                        ; implicit-def: $vgpr7
                                        ; implicit-def: $vgpr0_vgpr1
                                        ; implicit-def: $vgpr2
.LBB432_1964:
	s_and_not1_b32 s2, s12, exec_lo
	s_and_b32 s3, s9, exec_lo
	s_and_b32 s0, s0, exec_lo
	;; [unrolled: 1-line block ×3, first 2 shown]
	s_or_b32 s12, s2, s3
.LBB432_1965:
	s_or_b32 exec_lo, exec_lo, s11
	s_and_saveexec_b32 s1, s12
	s_cbranch_execz .LBB432_1968
; %bb.1966:
	; divergent unreachable
	s_or_b32 exec_lo, exec_lo, s1
	s_and_saveexec_b32 s1, s9
	s_delay_alu instid0(SALU_CYCLE_1)
	s_xor_b32 s1, exec_lo, s1
	s_cbranch_execnz .LBB432_1969
.LBB432_1967:
	s_or_b32 exec_lo, exec_lo, s1
	s_and_saveexec_b32 s1, s0
	s_cbranch_execnz .LBB432_1970
	s_branch .LBB432_2007
.LBB432_1968:
	s_or_b32 exec_lo, exec_lo, s1
	s_and_saveexec_b32 s1, s9
	s_delay_alu instid0(SALU_CYCLE_1)
	s_xor_b32 s1, exec_lo, s1
	s_cbranch_execz .LBB432_1967
.LBB432_1969:
	s_waitcnt vmcnt(0)
	v_and_b32_e32 v3, 0xff, v2
	s_delay_alu instid0(VALU_DEP_1)
	v_cmp_ne_u16_e32 vcc_lo, 0, v3
	v_cndmask_b32_e64 v3, 0, 1, vcc_lo
	global_store_b8 v[0:1], v3, off
	s_or_b32 exec_lo, exec_lo, s1
	s_and_saveexec_b32 s1, s0
	s_cbranch_execz .LBB432_2007
.LBB432_1970:
	s_waitcnt vmcnt(0)
	v_cmp_gt_i16_e32 vcc_lo, 5, v7
	s_mov_b32 s0, -1
	s_cbranch_vccnz .LBB432_1991
; %bb.1971:
	v_cmp_gt_i16_e32 vcc_lo, 8, v7
	s_cbranch_vccnz .LBB432_1981
; %bb.1972:
	v_cmp_gt_i16_e32 vcc_lo, 9, v7
	s_cbranch_vccnz .LBB432_1978
; %bb.1973:
	v_cmp_lt_i16_e32 vcc_lo, 9, v7
	s_cbranch_vccz .LBB432_1975
; %bb.1974:
	v_bfe_i32 v3, v2, 0, 8
	v_mov_b32_e32 v5, 0
	s_mov_b32 s0, 0
	s_delay_alu instid0(VALU_DEP_2) | instskip(NEXT) | instid1(VALU_DEP_2)
	v_bfe_i32 v3, v3, 0, 16
	v_mov_b32_e32 v6, v5
	s_delay_alu instid0(VALU_DEP_2)
	v_cvt_f64_i32_e32 v[3:4], v3
	global_store_b128 v[0:1], v[3:6], off
.LBB432_1975:
	s_and_not1_b32 vcc_lo, exec_lo, s0
	s_cbranch_vccnz .LBB432_1977
; %bb.1976:
	v_bfe_i32 v3, v2, 0, 8
	v_mov_b32_e32 v4, 0
	s_delay_alu instid0(VALU_DEP_2) | instskip(NEXT) | instid1(VALU_DEP_1)
	v_bfe_i32 v3, v3, 0, 16
	v_cvt_f32_i32_e32 v3, v3
	global_store_b64 v[0:1], v[3:4], off
.LBB432_1977:
	s_mov_b32 s0, 0
.LBB432_1978:
	s_delay_alu instid0(SALU_CYCLE_1)
	s_and_not1_b32 vcc_lo, exec_lo, s0
	s_cbranch_vccnz .LBB432_1980
; %bb.1979:
	v_bfe_i32 v3, v2, 0, 8
	s_delay_alu instid0(VALU_DEP_1) | instskip(NEXT) | instid1(VALU_DEP_1)
	v_cvt_f16_i16_e32 v3, v3
	v_and_b32_e32 v3, 0xffff, v3
	global_store_b32 v[0:1], v3, off
.LBB432_1980:
	s_mov_b32 s0, 0
.LBB432_1981:
	s_delay_alu instid0(SALU_CYCLE_1)
	s_and_not1_b32 vcc_lo, exec_lo, s0
	s_cbranch_vccnz .LBB432_1990
; %bb.1982:
	v_cmp_gt_i16_e32 vcc_lo, 6, v7
	s_mov_b32 s0, -1
	s_cbranch_vccnz .LBB432_1988
; %bb.1983:
	v_cmp_lt_i16_e32 vcc_lo, 6, v7
	s_cbranch_vccz .LBB432_1985
; %bb.1984:
	v_bfe_i32 v3, v2, 0, 8
	s_mov_b32 s0, 0
	s_delay_alu instid0(VALU_DEP_1) | instskip(NEXT) | instid1(VALU_DEP_1)
	v_bfe_i32 v3, v3, 0, 16
	v_cvt_f64_i32_e32 v[3:4], v3
	global_store_b64 v[0:1], v[3:4], off
.LBB432_1985:
	s_and_not1_b32 vcc_lo, exec_lo, s0
	s_cbranch_vccnz .LBB432_1987
; %bb.1986:
	v_bfe_i32 v3, v2, 0, 8
	s_delay_alu instid0(VALU_DEP_1) | instskip(NEXT) | instid1(VALU_DEP_1)
	v_bfe_i32 v3, v3, 0, 16
	v_cvt_f32_i32_e32 v3, v3
	global_store_b32 v[0:1], v3, off
.LBB432_1987:
	s_mov_b32 s0, 0
.LBB432_1988:
	s_delay_alu instid0(SALU_CYCLE_1)
	s_and_not1_b32 vcc_lo, exec_lo, s0
	s_cbranch_vccnz .LBB432_1990
; %bb.1989:
	v_bfe_i32 v3, v2, 0, 8
	s_delay_alu instid0(VALU_DEP_1)
	v_cvt_f16_i16_e32 v3, v3
	global_store_b16 v[0:1], v3, off
.LBB432_1990:
	s_mov_b32 s0, 0
.LBB432_1991:
	s_delay_alu instid0(SALU_CYCLE_1)
	s_and_not1_b32 vcc_lo, exec_lo, s0
	s_cbranch_vccnz .LBB432_2007
; %bb.1992:
	v_cmp_gt_i16_e32 vcc_lo, 2, v7
	s_mov_b32 s0, -1
	s_cbranch_vccnz .LBB432_2002
; %bb.1993:
	v_cmp_gt_i16_e32 vcc_lo, 3, v7
	s_cbranch_vccnz .LBB432_1999
; %bb.1994:
	v_cmp_lt_i16_e32 vcc_lo, 3, v7
	s_cbranch_vccz .LBB432_1996
; %bb.1995:
	v_bfe_i32 v3, v2, 0, 8
	s_mov_b32 s0, 0
	s_delay_alu instid0(VALU_DEP_1)
	v_ashrrev_i32_e32 v4, 31, v3
	global_store_b64 v[0:1], v[3:4], off
.LBB432_1996:
	s_and_not1_b32 vcc_lo, exec_lo, s0
	s_cbranch_vccnz .LBB432_1998
; %bb.1997:
	v_bfe_i32 v3, v2, 0, 8
	global_store_b32 v[0:1], v3, off
.LBB432_1998:
	s_mov_b32 s0, 0
.LBB432_1999:
	s_delay_alu instid0(SALU_CYCLE_1)
	s_and_not1_b32 vcc_lo, exec_lo, s0
	s_cbranch_vccnz .LBB432_2001
; %bb.2000:
	v_bfe_i32 v3, v2, 0, 8
	global_store_b16 v[0:1], v3, off
.LBB432_2001:
	s_mov_b32 s0, 0
.LBB432_2002:
	s_delay_alu instid0(SALU_CYCLE_1)
	s_and_not1_b32 vcc_lo, exec_lo, s0
	s_cbranch_vccnz .LBB432_2007
; %bb.2003:
	v_cmp_lt_i16_e32 vcc_lo, 0, v7
	s_mov_b32 s0, -1
	s_cbranch_vccz .LBB432_2005
; %bb.2004:
	s_mov_b32 s0, 0
	global_store_b8 v[0:1], v2, off
.LBB432_2005:
	s_and_not1_b32 vcc_lo, exec_lo, s0
	s_cbranch_vccnz .LBB432_2007
; %bb.2006:
	global_store_b8 v[0:1], v2, off
	s_nop 0
	s_sendmsg sendmsg(MSG_DEALLOC_VGPRS)
	s_endpgm
.LBB432_2007:
	s_nop 0
	s_sendmsg sendmsg(MSG_DEALLOC_VGPRS)
	s_endpgm
.LBB432_2008:
	s_mov_b32 s1, 0
	s_mov_b32 s0, -1
	s_branch .LBB432_1964
.LBB432_2009:
	s_cbranch_execnz .LBB432_2013
; %bb.2010:
	s_or_b32 s9, s9, exec_lo
                                        ; implicit-def: $vgpr0
	s_cbranch_execz .LBB432_1478
	s_branch .LBB432_1479
.LBB432_2011:
	s_or_saveexec_b32 s8, s8
                                        ; implicit-def: $sgpr10
	s_delay_alu instid0(SALU_CYCLE_1)
	s_xor_b32 exec_lo, exec_lo, s8
	s_cbranch_execz .LBB432_1558
.LBB432_2012:
	v_add_f32_e64 v9, 0x46000000, |v8|
	s_and_not1_b32 s7, s7, exec_lo
	s_mov_b32 s10, 0
	s_delay_alu instid0(VALU_DEP_1) | instskip(NEXT) | instid1(VALU_DEP_1)
	v_and_b32_e32 v9, 0xff, v9
	v_cmp_ne_u32_e32 vcc_lo, 0, v9
	s_and_b32 s13, vcc_lo, exec_lo
	s_delay_alu instid0(SALU_CYCLE_1)
	s_or_b32 s7, s7, s13
	s_or_b32 exec_lo, exec_lo, s8
	v_mov_b32_e32 v10, s10
	s_and_saveexec_b32 s8, s7
	s_cbranch_execnz .LBB432_1559
	s_branch .LBB432_1560
.LBB432_2013:
	s_trap 2
	s_sendmsg_rtn_b32 s0, sendmsg(MSG_RTN_GET_DOORBELL)
	s_mov_b32 ttmp2, m0
	s_waitcnt lgkmcnt(0)
	s_and_b32 s0, s0, 0x3ff
	s_delay_alu instid0(SALU_CYCLE_1) | instskip(NEXT) | instid1(SALU_CYCLE_1)
	s_bitset1_b32 s0, 10
	s_mov_b32 m0, s0
	s_sendmsg sendmsg(MSG_INTERRUPT)
	s_mov_b32 m0, ttmp2
.LBB432_2014:                           ; =>This Inner Loop Header: Depth=1
	s_sethalt 5
	s_branch .LBB432_2014
.LBB432_2015:
	s_cbranch_execnz .LBB432_2021
; %bb.2016:
	s_or_b32 s9, s9, exec_lo
	s_cbranch_execz .LBB432_1606
	s_branch .LBB432_1607
.LBB432_2017:
	s_or_saveexec_b32 s7, s7
                                        ; implicit-def: $sgpr8
	s_delay_alu instid0(SALU_CYCLE_1)
	s_xor_b32 exec_lo, exec_lo, s7
	s_cbranch_execz .LBB432_1571
.LBB432_2018:
	v_add_f32_e64 v9, 0x42800000, |v8|
	s_and_not1_b32 s6, s6, exec_lo
	s_mov_b32 s8, 0
	s_delay_alu instid0(VALU_DEP_1) | instskip(NEXT) | instid1(VALU_DEP_1)
	v_and_b32_e32 v9, 0xff, v9
	v_cmp_ne_u32_e32 vcc_lo, 0, v9
	s_and_b32 s10, vcc_lo, exec_lo
	s_delay_alu instid0(SALU_CYCLE_1)
	s_or_b32 s6, s6, s10
	s_or_b32 exec_lo, exec_lo, s7
	v_mov_b32_e32 v10, s8
	s_and_saveexec_b32 s7, s6
	s_cbranch_execnz .LBB432_1572
	s_branch .LBB432_1573
.LBB432_2019:
	s_or_saveexec_b32 s8, s8
                                        ; implicit-def: $sgpr10
	s_delay_alu instid0(SALU_CYCLE_1)
	s_xor_b32 exec_lo, exec_lo, s8
	s_cbranch_execz .LBB432_1677
.LBB432_2020:
	v_add_f32_e64 v6, 0x46000000, |v5|
	s_and_not1_b32 s7, s7, exec_lo
	s_mov_b32 s10, 0
	s_delay_alu instid0(VALU_DEP_1) | instskip(NEXT) | instid1(VALU_DEP_1)
	v_and_b32_e32 v6, 0xff, v6
	v_cmp_ne_u32_e32 vcc_lo, 0, v6
	s_and_b32 s13, vcc_lo, exec_lo
	s_delay_alu instid0(SALU_CYCLE_1)
	s_or_b32 s7, s7, s13
	s_or_b32 exec_lo, exec_lo, s8
	v_mov_b32_e32 v9, s10
	s_and_saveexec_b32 s8, s7
	s_cbranch_execnz .LBB432_1678
	s_branch .LBB432_1679
.LBB432_2021:
	s_trap 2
	s_sendmsg_rtn_b32 s0, sendmsg(MSG_RTN_GET_DOORBELL)
	s_mov_b32 ttmp2, m0
	s_waitcnt lgkmcnt(0)
	s_and_b32 s0, s0, 0x3ff
	s_delay_alu instid0(SALU_CYCLE_1) | instskip(NEXT) | instid1(SALU_CYCLE_1)
	s_bitset1_b32 s0, 10
	s_mov_b32 m0, s0
	s_sendmsg sendmsg(MSG_INTERRUPT)
	s_mov_b32 m0, ttmp2
.LBB432_2022:                           ; =>This Inner Loop Header: Depth=1
	s_sethalt 5
	s_branch .LBB432_2022
.LBB432_2023:
	s_cbranch_execnz .LBB432_2029
; %bb.2024:
	s_or_b32 s9, s9, exec_lo
	s_cbranch_execz .LBB432_1725
	s_branch .LBB432_1726
.LBB432_2025:
	s_or_saveexec_b32 s7, s7
                                        ; implicit-def: $sgpr8
	s_delay_alu instid0(SALU_CYCLE_1)
	s_xor_b32 exec_lo, exec_lo, s7
	s_cbranch_execz .LBB432_1690
.LBB432_2026:
	v_add_f32_e64 v6, 0x42800000, |v5|
	s_and_not1_b32 s6, s6, exec_lo
	s_mov_b32 s8, 0
	s_delay_alu instid0(VALU_DEP_1) | instskip(NEXT) | instid1(VALU_DEP_1)
	v_and_b32_e32 v6, 0xff, v6
	v_cmp_ne_u32_e32 vcc_lo, 0, v6
	s_and_b32 s10, vcc_lo, exec_lo
	s_delay_alu instid0(SALU_CYCLE_1)
	s_or_b32 s6, s6, s10
	s_or_b32 exec_lo, exec_lo, s7
	v_mov_b32_e32 v9, s8
	s_and_saveexec_b32 s7, s6
	s_cbranch_execnz .LBB432_1691
	s_branch .LBB432_1692
.LBB432_2027:
	s_or_saveexec_b32 s8, s8
                                        ; implicit-def: $sgpr10
	s_delay_alu instid0(SALU_CYCLE_1)
	s_xor_b32 exec_lo, exec_lo, s8
	s_cbranch_execz .LBB432_1796
.LBB432_2028:
	v_add_f32_e64 v4, 0x46000000, |v3|
	s_and_not1_b32 s7, s7, exec_lo
	s_mov_b32 s10, 0
	s_delay_alu instid0(VALU_DEP_1) | instskip(NEXT) | instid1(VALU_DEP_1)
	v_and_b32_e32 v4, 0xff, v4
	v_cmp_ne_u32_e32 vcc_lo, 0, v4
	s_and_b32 s13, vcc_lo, exec_lo
	s_delay_alu instid0(SALU_CYCLE_1)
	s_or_b32 s7, s7, s13
	s_or_b32 exec_lo, exec_lo, s8
	v_mov_b32_e32 v8, s10
	s_and_saveexec_b32 s8, s7
	s_cbranch_execnz .LBB432_1797
	s_branch .LBB432_1798
.LBB432_2029:
	s_trap 2
	s_sendmsg_rtn_b32 s0, sendmsg(MSG_RTN_GET_DOORBELL)
	s_mov_b32 ttmp2, m0
	s_waitcnt lgkmcnt(0)
	s_and_b32 s0, s0, 0x3ff
	s_delay_alu instid0(SALU_CYCLE_1) | instskip(NEXT) | instid1(SALU_CYCLE_1)
	s_bitset1_b32 s0, 10
	s_mov_b32 m0, s0
	s_sendmsg sendmsg(MSG_INTERRUPT)
	s_mov_b32 m0, ttmp2
.LBB432_2030:                           ; =>This Inner Loop Header: Depth=1
	s_sethalt 5
	s_branch .LBB432_2030
.LBB432_2031:
	s_cbranch_execnz .LBB432_2037
; %bb.2032:
	s_or_b32 s9, s9, exec_lo
	s_cbranch_execz .LBB432_1844
	s_branch .LBB432_1845
.LBB432_2033:
	s_or_saveexec_b32 s7, s7
                                        ; implicit-def: $sgpr8
	s_delay_alu instid0(SALU_CYCLE_1)
	s_xor_b32 exec_lo, exec_lo, s7
	s_cbranch_execz .LBB432_1809
.LBB432_2034:
	v_add_f32_e64 v4, 0x42800000, |v3|
	s_and_not1_b32 s6, s6, exec_lo
	s_mov_b32 s8, 0
	s_delay_alu instid0(VALU_DEP_1) | instskip(NEXT) | instid1(VALU_DEP_1)
	v_and_b32_e32 v4, 0xff, v4
	v_cmp_ne_u32_e32 vcc_lo, 0, v4
	s_and_b32 s10, vcc_lo, exec_lo
	s_delay_alu instid0(SALU_CYCLE_1)
	s_or_b32 s6, s6, s10
	s_or_b32 exec_lo, exec_lo, s7
	v_mov_b32_e32 v8, s8
	s_and_saveexec_b32 s7, s6
	s_cbranch_execnz .LBB432_1810
	s_branch .LBB432_1811
.LBB432_2035:
	s_or_saveexec_b32 s4, s4
                                        ; implicit-def: $sgpr5
	s_delay_alu instid0(SALU_CYCLE_1)
	s_xor_b32 exec_lo, exec_lo, s4
	s_cbranch_execz .LBB432_1916
.LBB432_2036:
	v_add_f32_e64 v4, 0x46000000, |v3|
	s_and_not1_b32 s3, s3, exec_lo
	s_mov_b32 s5, 0
	s_delay_alu instid0(VALU_DEP_1) | instskip(NEXT) | instid1(VALU_DEP_1)
	v_and_b32_e32 v4, 0xff, v4
	v_cmp_ne_u32_e32 vcc_lo, 0, v4
	s_and_b32 s6, vcc_lo, exec_lo
	s_delay_alu instid0(SALU_CYCLE_1)
	s_or_b32 s3, s3, s6
	s_or_b32 exec_lo, exec_lo, s4
	v_mov_b32_e32 v5, s5
	s_and_saveexec_b32 s4, s3
	s_cbranch_execnz .LBB432_1917
	s_branch .LBB432_1918
.LBB432_2037:
	s_trap 2
	s_sendmsg_rtn_b32 s0, sendmsg(MSG_RTN_GET_DOORBELL)
	s_mov_b32 ttmp2, m0
	s_waitcnt lgkmcnt(0)
	s_and_b32 s0, s0, 0x3ff
	s_delay_alu instid0(SALU_CYCLE_1) | instskip(NEXT) | instid1(SALU_CYCLE_1)
	s_bitset1_b32 s0, 10
	s_mov_b32 m0, s0
	s_sendmsg sendmsg(MSG_INTERRUPT)
	s_mov_b32 m0, ttmp2
.LBB432_2038:                           ; =>This Inner Loop Header: Depth=1
	s_sethalt 5
	s_branch .LBB432_2038
.LBB432_2039:
	s_cbranch_execnz .LBB432_2043
; %bb.2040:
	s_mov_b32 s1, 0
	s_or_b32 s9, s9, exec_lo
	s_branch .LBB432_1962
.LBB432_2041:
	s_or_saveexec_b32 s3, s3
                                        ; implicit-def: $sgpr4
	s_delay_alu instid0(SALU_CYCLE_1)
	s_xor_b32 exec_lo, exec_lo, s3
	s_cbranch_execz .LBB432_1928
.LBB432_2042:
	v_add_f32_e64 v4, 0x42800000, |v3|
	s_and_not1_b32 s2, s2, exec_lo
	s_mov_b32 s4, 0
	s_delay_alu instid0(VALU_DEP_1) | instskip(NEXT) | instid1(VALU_DEP_1)
	v_and_b32_e32 v4, 0xff, v4
	v_cmp_ne_u32_e32 vcc_lo, 0, v4
	s_and_b32 s5, vcc_lo, exec_lo
	s_delay_alu instid0(SALU_CYCLE_1)
	s_or_b32 s2, s2, s5
	s_or_b32 exec_lo, exec_lo, s3
	v_mov_b32_e32 v5, s4
	s_and_saveexec_b32 s3, s2
	s_cbranch_execnz .LBB432_1929
	s_branch .LBB432_1930
.LBB432_2043:
	s_trap 2
	s_sendmsg_rtn_b32 s0, sendmsg(MSG_RTN_GET_DOORBELL)
	s_mov_b32 ttmp2, m0
	s_waitcnt lgkmcnt(0)
	s_and_b32 s0, s0, 0x3ff
	s_delay_alu instid0(SALU_CYCLE_1) | instskip(NEXT) | instid1(SALU_CYCLE_1)
	s_bitset1_b32 s0, 10
	s_mov_b32 m0, s0
	s_sendmsg sendmsg(MSG_INTERRUPT)
	s_mov_b32 m0, ttmp2
.LBB432_2044:                           ; =>This Inner Loop Header: Depth=1
	s_sethalt 5
	s_branch .LBB432_2044
	.section	.rodata,"a",@progbits
	.p2align	6, 0x0
	.amdhsa_kernel _ZN2at6native32elementwise_kernel_manual_unrollILi128ELi4EZNS0_15gpu_kernel_implIZZZNS0_21clamp_max_kernel_cudaERNS_18TensorIteratorBaseERKN3c106ScalarEENKUlvE_clEvENKUlvE0_clEvEUlaE_EEvS4_RKT_EUlibE_EEviT1_
		.amdhsa_group_segment_fixed_size 0
		.amdhsa_private_segment_fixed_size 0
		.amdhsa_kernarg_size 40
		.amdhsa_user_sgpr_count 15
		.amdhsa_user_sgpr_dispatch_ptr 0
		.amdhsa_user_sgpr_queue_ptr 0
		.amdhsa_user_sgpr_kernarg_segment_ptr 1
		.amdhsa_user_sgpr_dispatch_id 0
		.amdhsa_user_sgpr_private_segment_size 0
		.amdhsa_wavefront_size32 1
		.amdhsa_uses_dynamic_stack 0
		.amdhsa_enable_private_segment 0
		.amdhsa_system_sgpr_workgroup_id_x 1
		.amdhsa_system_sgpr_workgroup_id_y 0
		.amdhsa_system_sgpr_workgroup_id_z 0
		.amdhsa_system_sgpr_workgroup_info 0
		.amdhsa_system_vgpr_workitem_id 0
		.amdhsa_next_free_vgpr 13
		.amdhsa_next_free_sgpr 27
		.amdhsa_reserve_vcc 1
		.amdhsa_float_round_mode_32 0
		.amdhsa_float_round_mode_16_64 0
		.amdhsa_float_denorm_mode_32 3
		.amdhsa_float_denorm_mode_16_64 3
		.amdhsa_dx10_clamp 1
		.amdhsa_ieee_mode 1
		.amdhsa_fp16_overflow 0
		.amdhsa_workgroup_processor_mode 1
		.amdhsa_memory_ordered 1
		.amdhsa_forward_progress 0
		.amdhsa_shared_vgpr_count 0
		.amdhsa_exception_fp_ieee_invalid_op 0
		.amdhsa_exception_fp_denorm_src 0
		.amdhsa_exception_fp_ieee_div_zero 0
		.amdhsa_exception_fp_ieee_overflow 0
		.amdhsa_exception_fp_ieee_underflow 0
		.amdhsa_exception_fp_ieee_inexact 0
		.amdhsa_exception_int_div_zero 0
	.end_amdhsa_kernel
	.section	.text._ZN2at6native32elementwise_kernel_manual_unrollILi128ELi4EZNS0_15gpu_kernel_implIZZZNS0_21clamp_max_kernel_cudaERNS_18TensorIteratorBaseERKN3c106ScalarEENKUlvE_clEvENKUlvE0_clEvEUlaE_EEvS4_RKT_EUlibE_EEviT1_,"axG",@progbits,_ZN2at6native32elementwise_kernel_manual_unrollILi128ELi4EZNS0_15gpu_kernel_implIZZZNS0_21clamp_max_kernel_cudaERNS_18TensorIteratorBaseERKN3c106ScalarEENKUlvE_clEvENKUlvE0_clEvEUlaE_EEvS4_RKT_EUlibE_EEviT1_,comdat
.Lfunc_end432:
	.size	_ZN2at6native32elementwise_kernel_manual_unrollILi128ELi4EZNS0_15gpu_kernel_implIZZZNS0_21clamp_max_kernel_cudaERNS_18TensorIteratorBaseERKN3c106ScalarEENKUlvE_clEvENKUlvE0_clEvEUlaE_EEvS4_RKT_EUlibE_EEviT1_, .Lfunc_end432-_ZN2at6native32elementwise_kernel_manual_unrollILi128ELi4EZNS0_15gpu_kernel_implIZZZNS0_21clamp_max_kernel_cudaERNS_18TensorIteratorBaseERKN3c106ScalarEENKUlvE_clEvENKUlvE0_clEvEUlaE_EEvS4_RKT_EUlibE_EEviT1_
                                        ; -- End function
	.section	.AMDGPU.csdata,"",@progbits
; Kernel info:
; codeLenInByte = 34140
; NumSgprs: 29
; NumVgprs: 13
; ScratchSize: 0
; MemoryBound: 1
; FloatMode: 240
; IeeeMode: 1
; LDSByteSize: 0 bytes/workgroup (compile time only)
; SGPRBlocks: 3
; VGPRBlocks: 1
; NumSGPRsForWavesPerEU: 29
; NumVGPRsForWavesPerEU: 13
; Occupancy: 16
; WaveLimiterHint : 0
; COMPUTE_PGM_RSRC2:SCRATCH_EN: 0
; COMPUTE_PGM_RSRC2:USER_SGPR: 15
; COMPUTE_PGM_RSRC2:TRAP_HANDLER: 0
; COMPUTE_PGM_RSRC2:TGID_X_EN: 1
; COMPUTE_PGM_RSRC2:TGID_Y_EN: 0
; COMPUTE_PGM_RSRC2:TGID_Z_EN: 0
; COMPUTE_PGM_RSRC2:TIDIG_COMP_CNT: 0
	.section	.text._ZN2at6native32elementwise_kernel_manual_unrollILi128ELi4EZNS0_15gpu_kernel_implIZZZNS0_21clamp_max_kernel_cudaERNS_18TensorIteratorBaseERKN3c106ScalarEENKUlvE_clEvENKUlvE0_clEvEUlaE_EEvS4_RKT_EUlibE0_EEviT1_,"axG",@progbits,_ZN2at6native32elementwise_kernel_manual_unrollILi128ELi4EZNS0_15gpu_kernel_implIZZZNS0_21clamp_max_kernel_cudaERNS_18TensorIteratorBaseERKN3c106ScalarEENKUlvE_clEvENKUlvE0_clEvEUlaE_EEvS4_RKT_EUlibE0_EEviT1_,comdat
	.globl	_ZN2at6native32elementwise_kernel_manual_unrollILi128ELi4EZNS0_15gpu_kernel_implIZZZNS0_21clamp_max_kernel_cudaERNS_18TensorIteratorBaseERKN3c106ScalarEENKUlvE_clEvENKUlvE0_clEvEUlaE_EEvS4_RKT_EUlibE0_EEviT1_ ; -- Begin function _ZN2at6native32elementwise_kernel_manual_unrollILi128ELi4EZNS0_15gpu_kernel_implIZZZNS0_21clamp_max_kernel_cudaERNS_18TensorIteratorBaseERKN3c106ScalarEENKUlvE_clEvENKUlvE0_clEvEUlaE_EEvS4_RKT_EUlibE0_EEviT1_
	.p2align	8
	.type	_ZN2at6native32elementwise_kernel_manual_unrollILi128ELi4EZNS0_15gpu_kernel_implIZZZNS0_21clamp_max_kernel_cudaERNS_18TensorIteratorBaseERKN3c106ScalarEENKUlvE_clEvENKUlvE0_clEvEUlaE_EEvS4_RKT_EUlibE0_EEviT1_,@function
_ZN2at6native32elementwise_kernel_manual_unrollILi128ELi4EZNS0_15gpu_kernel_implIZZZNS0_21clamp_max_kernel_cudaERNS_18TensorIteratorBaseERKN3c106ScalarEENKUlvE_clEvENKUlvE0_clEvEUlaE_EEvS4_RKT_EUlibE0_EEviT1_: ; @_ZN2at6native32elementwise_kernel_manual_unrollILi128ELi4EZNS0_15gpu_kernel_implIZZZNS0_21clamp_max_kernel_cudaERNS_18TensorIteratorBaseERKN3c106ScalarEENKUlvE_clEvENKUlvE0_clEvEUlaE_EEvS4_RKT_EUlibE0_EEviT1_
; %bb.0:
	s_clause 0x1
	s_load_b32 s24, s[0:1], 0x8
	s_load_b32 s34, s[0:1], 0x0
	v_lshl_or_b32 v5, s15, 9, v0
	s_or_b32 s16, s0, 8
	s_mov_b32 s3, -1
	s_mov_b32 s26, 0
	s_mov_b32 s17, s1
	v_or_b32_e32 v8, 0x180, v5
	s_mov_b32 s8, 0
	s_mov_b32 s2, exec_lo
	s_waitcnt lgkmcnt(0)
	s_add_i32 s25, s24, -1
	s_delay_alu instid0(SALU_CYCLE_1)
	s_cmp_gt_u32 s25, 1
	s_cselect_b32 s27, -1, 0
	v_cmpx_le_i32_e64 s34, v8
	s_xor_b32 s28, exec_lo, s2
	s_cbranch_execz .LBB433_1060
; %bb.1:
	s_clause 0x4
	s_load_b32 s29, s[16:17], 0x158
	s_load_b128 s[12:15], s[16:17], 0x4
	s_load_b64 s[18:19], s[16:17], 0x14
	s_load_b128 s[8:11], s[16:17], 0xc4
	s_load_b128 s[4:7], s[16:17], 0x148
	s_cmp_lg_u32 s24, 0
	s_mov_b32 s40, 0
	s_cselect_b32 s36, -1, 0
	s_add_u32 s20, s16, 0xc4
	s_addc_u32 s21, s17, 0
	s_min_u32 s35, s25, 15
	s_cmp_gt_u32 s24, 1
	s_mov_b32 s38, 0
	s_cselect_b32 s33, -1, 0
	s_mov_b32 s37, 0
	s_mov_b32 s39, exec_lo
	s_waitcnt lgkmcnt(0)
	s_lshr_b32 s30, s29, 8
	s_lshr_b32 s31, s29, 16
	v_cmpx_gt_i32_e64 s34, v5
	s_cbranch_execz .LBB433_259
; %bb.2:
	s_and_not1_b32 vcc_lo, exec_lo, s27
	s_cbranch_vccnz .LBB433_7
; %bb.3:
	v_dual_mov_b32 v0, 0 :: v_dual_mov_b32 v1, 0
	s_and_not1_b32 vcc_lo, exec_lo, s36
	s_cbranch_vccnz .LBB433_12
; %bb.4:
	v_mov_b32_e32 v0, 0
	s_add_i32 s41, s35, 1
	s_cmp_eq_u32 s25, 2
	s_cbranch_scc1 .LBB433_8
; %bb.5:
	v_dual_mov_b32 v1, 0 :: v_dual_mov_b32 v0, 0
	v_mov_b32_e32 v2, v5
	s_and_b32 s38, s41, 28
	s_mov_b32 s42, 0
	s_mov_b64 s[2:3], s[20:21]
	s_mov_b64 s[22:23], s[16:17]
.LBB433_6:                              ; =>This Inner Loop Header: Depth=1
	s_clause 0x1
	s_load_b256 s[44:51], s[22:23], 0x4
	s_load_b128 s[60:63], s[22:23], 0x24
	s_load_b256 s[52:59], s[2:3], 0x0
	s_add_u32 s22, s22, 48
	s_addc_u32 s23, s23, 0
	s_add_i32 s42, s42, 4
	s_add_u32 s2, s2, 32
	s_addc_u32 s3, s3, 0
	s_cmp_lg_u32 s38, s42
	s_waitcnt lgkmcnt(0)
	v_mul_hi_u32 v3, s45, v2
	s_delay_alu instid0(VALU_DEP_1) | instskip(NEXT) | instid1(VALU_DEP_1)
	v_add_nc_u32_e32 v3, v2, v3
	v_lshrrev_b32_e32 v3, s46, v3
	s_delay_alu instid0(VALU_DEP_1) | instskip(SKIP_1) | instid1(VALU_DEP_2)
	v_mul_hi_u32 v4, s48, v3
	v_mul_lo_u32 v7, v3, s44
	v_add_nc_u32_e32 v4, v3, v4
	s_delay_alu instid0(VALU_DEP_2) | instskip(NEXT) | instid1(VALU_DEP_2)
	v_sub_nc_u32_e32 v2, v2, v7
	v_lshrrev_b32_e32 v4, s49, v4
	s_delay_alu instid0(VALU_DEP_2) | instskip(SKIP_1) | instid1(VALU_DEP_3)
	v_mul_lo_u32 v7, v2, s52
	v_mul_lo_u32 v9, v2, s53
	v_mul_hi_u32 v6, s51, v4
	s_delay_alu instid0(VALU_DEP_1) | instskip(NEXT) | instid1(VALU_DEP_1)
	v_add_nc_u32_e32 v6, v4, v6
	v_lshrrev_b32_e32 v6, s60, v6
	s_delay_alu instid0(VALU_DEP_1) | instskip(SKIP_1) | instid1(VALU_DEP_2)
	v_mul_hi_u32 v8, s62, v6
	v_mul_lo_u32 v10, v6, s50
	v_add_nc_u32_e32 v2, v6, v8
	v_mul_lo_u32 v8, v4, s47
	s_delay_alu instid0(VALU_DEP_3) | instskip(NEXT) | instid1(VALU_DEP_3)
	v_sub_nc_u32_e32 v4, v4, v10
	v_lshrrev_b32_e32 v2, s63, v2
	s_delay_alu instid0(VALU_DEP_2) | instskip(SKIP_2) | instid1(VALU_DEP_4)
	v_mul_lo_u32 v10, v4, s56
	v_mul_lo_u32 v4, v4, s57
	v_sub_nc_u32_e32 v3, v3, v8
	v_mul_lo_u32 v11, v2, s61
	s_delay_alu instid0(VALU_DEP_2) | instskip(SKIP_1) | instid1(VALU_DEP_3)
	v_mul_lo_u32 v8, v3, s54
	v_mul_lo_u32 v3, v3, s55
	v_sub_nc_u32_e32 v6, v6, v11
	s_delay_alu instid0(VALU_DEP_3) | instskip(NEXT) | instid1(VALU_DEP_2)
	v_add3_u32 v0, v7, v0, v8
	v_mul_lo_u32 v11, v6, s58
	v_mul_lo_u32 v6, v6, s59
	v_add3_u32 v1, v9, v1, v3
	s_delay_alu instid0(VALU_DEP_3) | instskip(NEXT) | instid1(VALU_DEP_2)
	v_add3_u32 v0, v10, v0, v11
	v_add3_u32 v1, v4, v1, v6
	s_cbranch_scc1 .LBB433_6
	s_branch .LBB433_9
.LBB433_7:
	s_mov_b32 s37, -1
                                        ; implicit-def: $vgpr0
                                        ; implicit-def: $vgpr1
	s_branch .LBB433_12
.LBB433_8:
	v_dual_mov_b32 v2, v5 :: v_dual_mov_b32 v1, 0
.LBB433_9:
	s_and_b32 s41, s41, 3
	s_delay_alu instid0(SALU_CYCLE_1)
	s_cmp_eq_u32 s41, 0
	s_cbranch_scc1 .LBB433_12
; %bb.10:
	s_lshl_b32 s2, s38, 3
	s_mul_i32 s22, s38, 12
	s_add_u32 s2, s2, s16
	s_addc_u32 s3, s17, 0
	s_add_u32 s2, s2, 0xc4
	s_addc_u32 s3, s3, 0
	;; [unrolled: 2-line block ×3, first 2 shown]
	.p2align	6
.LBB433_11:                             ; =>This Inner Loop Header: Depth=1
	s_clause 0x1
	s_load_b64 s[42:43], s[22:23], 0x4
	s_load_b32 s38, s[22:23], 0xc
	s_load_b64 s[44:45], s[2:3], 0x0
	s_add_u32 s22, s22, 12
	s_addc_u32 s23, s23, 0
	s_add_u32 s2, s2, 8
	s_addc_u32 s3, s3, 0
	s_add_i32 s41, s41, -1
	s_delay_alu instid0(SALU_CYCLE_1) | instskip(SKIP_2) | instid1(VALU_DEP_1)
	s_cmp_lg_u32 s41, 0
	s_waitcnt lgkmcnt(0)
	v_mul_hi_u32 v3, s43, v2
	v_add_nc_u32_e32 v3, v2, v3
	s_delay_alu instid0(VALU_DEP_1) | instskip(NEXT) | instid1(VALU_DEP_1)
	v_lshrrev_b32_e32 v8, s38, v3
	v_mul_lo_u32 v3, v8, s42
	s_delay_alu instid0(VALU_DEP_1) | instskip(NEXT) | instid1(VALU_DEP_1)
	v_sub_nc_u32_e32 v2, v2, v3
	v_mad_u64_u32 v[3:4], null, v2, s44, v[0:1]
	v_mad_u64_u32 v[6:7], null, v2, s45, v[1:2]
	v_mov_b32_e32 v2, v8
	s_delay_alu instid0(VALU_DEP_2)
	v_dual_mov_b32 v0, v3 :: v_dual_mov_b32 v1, v6
	s_cbranch_scc1 .LBB433_11
.LBB433_12:
	s_and_not1_b32 vcc_lo, exec_lo, s37
	s_cbranch_vccnz .LBB433_15
; %bb.13:
	v_mul_hi_u32 v0, s13, v5
	s_and_not1_b32 vcc_lo, exec_lo, s33
	s_delay_alu instid0(VALU_DEP_1) | instskip(NEXT) | instid1(VALU_DEP_1)
	v_add_nc_u32_e32 v0, v5, v0
	v_lshrrev_b32_e32 v2, s14, v0
	s_delay_alu instid0(VALU_DEP_1) | instskip(NEXT) | instid1(VALU_DEP_1)
	v_mul_lo_u32 v0, v2, s12
	v_sub_nc_u32_e32 v1, v5, v0
	s_delay_alu instid0(VALU_DEP_1)
	v_mul_lo_u32 v0, v1, s8
	v_mul_lo_u32 v1, v1, s9
	s_cbranch_vccnz .LBB433_15
; %bb.14:
	v_mul_hi_u32 v3, s18, v2
	s_delay_alu instid0(VALU_DEP_1) | instskip(NEXT) | instid1(VALU_DEP_1)
	v_add_nc_u32_e32 v3, v2, v3
	v_lshrrev_b32_e32 v3, s19, v3
	s_delay_alu instid0(VALU_DEP_1) | instskip(NEXT) | instid1(VALU_DEP_1)
	v_mul_lo_u32 v3, v3, s15
	v_sub_nc_u32_e32 v6, v2, v3
	s_delay_alu instid0(VALU_DEP_1) | instskip(NEXT) | instid1(VALU_DEP_1)
	v_mad_u64_u32 v[2:3], null, v6, s10, v[0:1]
	v_mad_u64_u32 v[3:4], null, v6, s11, v[1:2]
	s_delay_alu instid0(VALU_DEP_1)
	v_dual_mov_b32 v0, v2 :: v_dual_mov_b32 v1, v3
.LBB433_15:
	v_and_b32_e64 v6, 0xff, s31
	s_delay_alu instid0(VALU_DEP_2) | instskip(NEXT) | instid1(VALU_DEP_1)
	v_add_co_u32 v1, s2, s6, v1
	v_add_co_ci_u32_e64 v2, null, s7, 0, s2
	s_delay_alu instid0(VALU_DEP_3)
	v_cmp_gt_i16_e32 vcc_lo, 11, v6
	s_mov_b32 s3, 0
	s_cbranch_vccnz .LBB433_22
; %bb.16:
	v_cmp_lt_i16_e32 vcc_lo, 25, v6
	s_cbranch_vccz .LBB433_141
; %bb.17:
	v_cmp_lt_i16_e32 vcc_lo, 28, v6
	s_cbranch_vccz .LBB433_142
	;; [unrolled: 3-line block ×4, first 2 shown]
; %bb.20:
	v_cmp_eq_u16_e32 vcc_lo, 46, v6
	s_mov_b32 s22, 0
	s_cbranch_vccz .LBB433_145
; %bb.21:
	global_load_b32 v3, v[1:2], off
	s_mov_b32 s2, -1
	s_waitcnt vmcnt(0)
	v_lshlrev_b32_e32 v3, 16, v3
	s_delay_alu instid0(VALU_DEP_1)
	v_cvt_i32_f32_e32 v3, v3
	s_branch .LBB433_147
.LBB433_22:
	s_mov_b32 s2, 0
                                        ; implicit-def: $vgpr3
	s_cbranch_execnz .LBB433_209
.LBB433_23:
	s_and_not1_b32 vcc_lo, exec_lo, s2
	s_cbranch_vccnz .LBB433_256
.LBB433_24:
	s_waitcnt vmcnt(0)
	s_delay_alu instid0(VALU_DEP_1)
	v_bfe_i32 v1, v3, 0, 8
	v_and_b32_e64 v3, 0xff, s30
	s_bfe_i32 s22, s29, 0x80000
	s_mov_b32 s2, 0
	s_mov_b32 s23, -1
	v_min_i16 v2, v1, s22
	v_cmp_gt_i16_e32 vcc_lo, 11, v3
	v_add_co_u32 v0, s22, s4, v0
	s_delay_alu instid0(VALU_DEP_1)
	v_add_co_ci_u32_e64 v1, null, s5, 0, s22
	s_mov_b32 s22, 0
	s_cbranch_vccnz .LBB433_101
; %bb.25:
	v_cmp_lt_i16_e32 vcc_lo, 25, v3
	s_cbranch_vccz .LBB433_58
; %bb.26:
	v_cmp_lt_i16_e32 vcc_lo, 28, v3
	s_cbranch_vccz .LBB433_41
	;; [unrolled: 3-line block ×4, first 2 shown]
; %bb.29:
	v_cmp_eq_u16_e32 vcc_lo, 46, v3
	s_mov_b32 s23, 0
	s_mov_b32 s2, -1
	s_cbranch_vccz .LBB433_31
; %bb.30:
	v_bfe_i32 v4, v2, 0, 16
	s_mov_b32 s22, -1
	s_mov_b32 s2, 0
	s_delay_alu instid0(VALU_DEP_1) | instskip(NEXT) | instid1(VALU_DEP_1)
	v_cvt_f32_i32_e32 v4, v4
	v_bfe_u32 v6, v4, 16, 1
	s_delay_alu instid0(VALU_DEP_1) | instskip(NEXT) | instid1(VALU_DEP_1)
	v_add3_u32 v4, v4, v6, 0x7fff
	v_lshrrev_b32_e32 v4, 16, v4
	global_store_b32 v[0:1], v4, off
.LBB433_31:
	s_and_b32 vcc_lo, exec_lo, s23
	s_cbranch_vccz .LBB433_36
; %bb.32:
	v_cmp_eq_u16_e32 vcc_lo, 44, v3
	s_mov_b32 s2, -1
	s_cbranch_vccz .LBB433_36
; %bb.33:
	v_bfe_i32 v4, v2, 0, 16
	v_mov_b32_e32 v6, 0xff
	s_mov_b32 s22, exec_lo
	s_delay_alu instid0(VALU_DEP_2) | instskip(NEXT) | instid1(VALU_DEP_1)
	v_cvt_f32_i32_e32 v4, v4
	v_bfe_u32 v7, v4, 23, 8
	s_delay_alu instid0(VALU_DEP_1)
	v_cmpx_ne_u32_e32 0xff, v7
; %bb.34:
	v_and_b32_e32 v6, 0x400000, v4
	v_and_or_b32 v7, 0x3fffff, v4, v7
	v_lshrrev_b32_e32 v4, 23, v4
	s_delay_alu instid0(VALU_DEP_3) | instskip(NEXT) | instid1(VALU_DEP_3)
	v_cmp_ne_u32_e32 vcc_lo, 0, v6
	v_cmp_ne_u32_e64 s2, 0, v7
	s_delay_alu instid0(VALU_DEP_1) | instskip(NEXT) | instid1(SALU_CYCLE_1)
	s_and_b32 s2, vcc_lo, s2
	v_cndmask_b32_e64 v6, 0, 1, s2
	s_delay_alu instid0(VALU_DEP_1)
	v_add_nc_u32_e32 v6, v4, v6
; %bb.35:
	s_or_b32 exec_lo, exec_lo, s22
	s_mov_b32 s22, -1
	s_mov_b32 s2, 0
	global_store_b8 v[0:1], v6, off
.LBB433_36:
	s_mov_b32 s23, 0
.LBB433_37:
	s_delay_alu instid0(SALU_CYCLE_1)
	s_and_b32 vcc_lo, exec_lo, s23
	s_cbranch_vccz .LBB433_40
; %bb.38:
	v_cmp_eq_u16_e32 vcc_lo, 29, v3
	s_mov_b32 s2, -1
	s_cbranch_vccz .LBB433_40
; %bb.39:
	v_bfe_i32 v6, v2, 0, 16
	s_mov_b32 s2, 0
	s_mov_b32 s22, -1
	s_delay_alu instid0(VALU_DEP_1)
	v_ashrrev_i32_e32 v7, 31, v6
	global_store_b64 v[0:1], v[6:7], off
.LBB433_40:
	s_mov_b32 s23, 0
.LBB433_41:
	s_delay_alu instid0(SALU_CYCLE_1)
	s_and_b32 vcc_lo, exec_lo, s23
	s_cbranch_vccz .LBB433_57
; %bb.42:
	v_cmp_gt_i16_e32 vcc_lo, 27, v3
	s_mov_b32 s22, -1
	s_cbranch_vccnz .LBB433_48
; %bb.43:
	v_cmp_lt_i16_e32 vcc_lo, 27, v3
	s_cbranch_vccz .LBB433_45
; %bb.44:
	v_bfe_i32 v4, v2, 0, 16
	s_mov_b32 s22, 0
	global_store_b32 v[0:1], v4, off
.LBB433_45:
	s_and_not1_b32 vcc_lo, exec_lo, s22
	s_cbranch_vccnz .LBB433_47
; %bb.46:
	global_store_b16 v[0:1], v2, off
.LBB433_47:
	s_mov_b32 s22, 0
.LBB433_48:
	s_delay_alu instid0(SALU_CYCLE_1)
	s_and_not1_b32 vcc_lo, exec_lo, s22
	s_cbranch_vccnz .LBB433_56
; %bb.49:
	v_bfe_i32 v4, v2, 0, 16
	v_mov_b32_e32 v7, 0x80
	s_mov_b32 s22, exec_lo
	s_delay_alu instid0(VALU_DEP_2) | instskip(NEXT) | instid1(VALU_DEP_1)
	v_cvt_f32_i32_e32 v4, v4
	v_and_b32_e32 v6, 0x7fffffff, v4
	s_delay_alu instid0(VALU_DEP_1)
	v_cmpx_gt_u32_e32 0x43800000, v6
	s_cbranch_execz .LBB433_55
; %bb.50:
	v_cmp_lt_u32_e32 vcc_lo, 0x3bffffff, v6
	s_mov_b32 s23, 0
                                        ; implicit-def: $vgpr6
	s_and_saveexec_b32 s37, vcc_lo
	s_delay_alu instid0(SALU_CYCLE_1)
	s_xor_b32 s37, exec_lo, s37
	s_cbranch_execz .LBB433_150
; %bb.51:
	v_bfe_u32 v6, v4, 20, 1
	s_mov_b32 s23, exec_lo
	s_delay_alu instid0(VALU_DEP_1) | instskip(NEXT) | instid1(VALU_DEP_1)
	v_add3_u32 v6, v4, v6, 0x487ffff
	v_lshrrev_b32_e32 v6, 20, v6
	s_or_saveexec_b32 s37, s37
                                        ; implicit-def: $sgpr38
	s_delay_alu instid0(SALU_CYCLE_1)
	s_xor_b32 exec_lo, exec_lo, s37
	s_cbranch_execnz .LBB433_151
.LBB433_52:
	s_or_b32 exec_lo, exec_lo, s37
	v_mov_b32_e32 v7, s38
	s_and_saveexec_b32 s37, s23
.LBB433_53:
	v_lshrrev_b32_e32 v4, 24, v4
	s_delay_alu instid0(VALU_DEP_1)
	v_and_or_b32 v7, 0x80, v4, v6
.LBB433_54:
	s_or_b32 exec_lo, exec_lo, s37
.LBB433_55:
	s_delay_alu instid0(SALU_CYCLE_1)
	s_or_b32 exec_lo, exec_lo, s22
	global_store_b8 v[0:1], v7, off
.LBB433_56:
	s_mov_b32 s22, -1
.LBB433_57:
	s_mov_b32 s23, 0
.LBB433_58:
	s_delay_alu instid0(SALU_CYCLE_1)
	s_and_b32 vcc_lo, exec_lo, s23
	s_cbranch_vccz .LBB433_99
; %bb.59:
	v_cmp_lt_i16_e32 vcc_lo, 22, v3
	s_mov_b32 s23, -1
	s_cbranch_vccz .LBB433_91
; %bb.60:
	v_cmp_gt_i16_e32 vcc_lo, 24, v3
	s_mov_b32 s22, -1
	s_cbranch_vccnz .LBB433_80
; %bb.61:
	v_cmp_lt_i16_e32 vcc_lo, 24, v3
	s_cbranch_vccz .LBB433_69
; %bb.62:
	v_bfe_i32 v4, v2, 0, 16
	v_mov_b32_e32 v7, 0x80
	s_mov_b32 s22, exec_lo
	s_delay_alu instid0(VALU_DEP_2) | instskip(NEXT) | instid1(VALU_DEP_1)
	v_cvt_f32_i32_e32 v4, v4
	v_and_b32_e32 v6, 0x7fffffff, v4
	s_delay_alu instid0(VALU_DEP_1)
	v_cmpx_gt_u32_e32 0x47800000, v6
	s_cbranch_execz .LBB433_68
; %bb.63:
	v_cmp_lt_u32_e32 vcc_lo, 0x37ffffff, v6
	s_mov_b32 s23, 0
                                        ; implicit-def: $vgpr6
	s_and_saveexec_b32 s37, vcc_lo
	s_delay_alu instid0(SALU_CYCLE_1)
	s_xor_b32 s37, exec_lo, s37
	s_cbranch_execz .LBB433_337
; %bb.64:
	v_bfe_u32 v6, v4, 21, 1
	s_mov_b32 s23, exec_lo
	s_delay_alu instid0(VALU_DEP_1) | instskip(NEXT) | instid1(VALU_DEP_1)
	v_add3_u32 v6, v4, v6, 0x88fffff
	v_lshrrev_b32_e32 v6, 21, v6
	s_or_saveexec_b32 s37, s37
                                        ; implicit-def: $sgpr38
	s_delay_alu instid0(SALU_CYCLE_1)
	s_xor_b32 exec_lo, exec_lo, s37
	s_cbranch_execnz .LBB433_338
.LBB433_65:
	s_or_b32 exec_lo, exec_lo, s37
	v_mov_b32_e32 v7, s38
	s_and_saveexec_b32 s37, s23
.LBB433_66:
	v_lshrrev_b32_e32 v4, 24, v4
	s_delay_alu instid0(VALU_DEP_1)
	v_and_or_b32 v7, 0x80, v4, v6
.LBB433_67:
	s_or_b32 exec_lo, exec_lo, s37
.LBB433_68:
	s_delay_alu instid0(SALU_CYCLE_1)
	s_or_b32 exec_lo, exec_lo, s22
	s_mov_b32 s22, 0
	global_store_b8 v[0:1], v7, off
.LBB433_69:
	s_and_b32 vcc_lo, exec_lo, s22
	s_cbranch_vccz .LBB433_79
; %bb.70:
	v_bfe_i32 v4, v2, 0, 16
	s_mov_b32 s22, exec_lo
                                        ; implicit-def: $vgpr6
	s_delay_alu instid0(VALU_DEP_1) | instskip(NEXT) | instid1(VALU_DEP_1)
	v_cvt_f32_i32_e32 v4, v4
	v_and_b32_e32 v7, 0x7fffffff, v4
	s_delay_alu instid0(VALU_DEP_1)
	v_cmpx_gt_u32_e32 0x43f00000, v7
	s_xor_b32 s22, exec_lo, s22
	s_cbranch_execz .LBB433_76
; %bb.71:
	s_mov_b32 s23, exec_lo
                                        ; implicit-def: $vgpr6
	v_cmpx_lt_u32_e32 0x3c7fffff, v7
	s_xor_b32 s23, exec_lo, s23
; %bb.72:
	v_bfe_u32 v6, v4, 20, 1
	s_delay_alu instid0(VALU_DEP_1) | instskip(NEXT) | instid1(VALU_DEP_1)
	v_add3_u32 v6, v4, v6, 0x407ffff
	v_and_b32_e32 v7, 0xff00000, v6
	v_lshrrev_b32_e32 v6, 20, v6
	s_delay_alu instid0(VALU_DEP_2) | instskip(NEXT) | instid1(VALU_DEP_2)
	v_cmp_ne_u32_e32 vcc_lo, 0x7f00000, v7
	v_cndmask_b32_e32 v6, 0x7e, v6, vcc_lo
; %bb.73:
	s_and_not1_saveexec_b32 s23, s23
; %bb.74:
	v_add_f32_e64 v6, 0x46800000, |v4|
; %bb.75:
	s_or_b32 exec_lo, exec_lo, s23
                                        ; implicit-def: $vgpr7
.LBB433_76:
	s_and_not1_saveexec_b32 s22, s22
; %bb.77:
	v_mov_b32_e32 v6, 0x7f
	v_cmp_lt_u32_e32 vcc_lo, 0x7f800000, v7
	s_delay_alu instid0(VALU_DEP_2)
	v_cndmask_b32_e32 v6, 0x7e, v6, vcc_lo
; %bb.78:
	s_or_b32 exec_lo, exec_lo, s22
	v_lshrrev_b32_e32 v4, 24, v4
	s_delay_alu instid0(VALU_DEP_1)
	v_and_or_b32 v4, 0x80, v4, v6
	global_store_b8 v[0:1], v4, off
.LBB433_79:
	s_mov_b32 s22, 0
.LBB433_80:
	s_delay_alu instid0(SALU_CYCLE_1)
	s_and_not1_b32 vcc_lo, exec_lo, s22
	s_cbranch_vccnz .LBB433_90
; %bb.81:
	v_bfe_i32 v4, v2, 0, 16
	s_mov_b32 s22, exec_lo
                                        ; implicit-def: $vgpr6
	s_delay_alu instid0(VALU_DEP_1) | instskip(NEXT) | instid1(VALU_DEP_1)
	v_cvt_f32_i32_e32 v4, v4
	v_and_b32_e32 v7, 0x7fffffff, v4
	s_delay_alu instid0(VALU_DEP_1)
	v_cmpx_gt_u32_e32 0x47800000, v7
	s_xor_b32 s22, exec_lo, s22
	s_cbranch_execz .LBB433_87
; %bb.82:
	s_mov_b32 s23, exec_lo
                                        ; implicit-def: $vgpr6
	v_cmpx_lt_u32_e32 0x387fffff, v7
	s_xor_b32 s23, exec_lo, s23
; %bb.83:
	v_bfe_u32 v6, v4, 21, 1
	s_delay_alu instid0(VALU_DEP_1) | instskip(NEXT) | instid1(VALU_DEP_1)
	v_add3_u32 v6, v4, v6, 0x80fffff
	v_lshrrev_b32_e32 v6, 21, v6
; %bb.84:
	s_and_not1_saveexec_b32 s23, s23
; %bb.85:
	v_add_f32_e64 v6, 0x43000000, |v4|
; %bb.86:
	s_or_b32 exec_lo, exec_lo, s23
                                        ; implicit-def: $vgpr7
.LBB433_87:
	s_and_not1_saveexec_b32 s22, s22
; %bb.88:
	v_mov_b32_e32 v6, 0x7f
	v_cmp_lt_u32_e32 vcc_lo, 0x7f800000, v7
	s_delay_alu instid0(VALU_DEP_2)
	v_cndmask_b32_e32 v6, 0x7c, v6, vcc_lo
; %bb.89:
	s_or_b32 exec_lo, exec_lo, s22
	v_lshrrev_b32_e32 v4, 24, v4
	s_delay_alu instid0(VALU_DEP_1)
	v_and_or_b32 v4, 0x80, v4, v6
	global_store_b8 v[0:1], v4, off
.LBB433_90:
	s_mov_b32 s23, 0
	s_mov_b32 s22, -1
.LBB433_91:
	s_and_not1_b32 vcc_lo, exec_lo, s23
	s_cbranch_vccnz .LBB433_99
; %bb.92:
	v_cmp_lt_i16_e32 vcc_lo, 14, v3
	s_mov_b32 s23, -1
	s_cbranch_vccz .LBB433_96
; %bb.93:
	v_cmp_eq_u16_e32 vcc_lo, 15, v3
	s_mov_b32 s2, -1
	s_cbranch_vccz .LBB433_95
; %bb.94:
	v_bfe_i32 v4, v2, 0, 16
	s_mov_b32 s22, -1
	s_mov_b32 s2, 0
	s_delay_alu instid0(VALU_DEP_1) | instskip(NEXT) | instid1(VALU_DEP_1)
	v_cvt_f32_i32_e32 v4, v4
	v_bfe_u32 v6, v4, 16, 1
	s_delay_alu instid0(VALU_DEP_1)
	v_add3_u32 v4, v4, v6, 0x7fff
	global_store_d16_hi_b16 v[0:1], v4, off
.LBB433_95:
	s_mov_b32 s23, 0
.LBB433_96:
	s_delay_alu instid0(SALU_CYCLE_1)
	s_and_b32 vcc_lo, exec_lo, s23
	s_cbranch_vccz .LBB433_99
; %bb.97:
	v_cmp_eq_u16_e32 vcc_lo, 11, v3
	s_mov_b32 s2, -1
	s_cbranch_vccz .LBB433_99
; %bb.98:
	v_cmp_ne_u16_e32 vcc_lo, 0, v2
	s_mov_b32 s2, 0
	s_mov_b32 s22, -1
	v_cndmask_b32_e64 v4, 0, 1, vcc_lo
	global_store_b8 v[0:1], v4, off
.LBB433_99:
.LBB433_100:
	s_and_not1_b32 vcc_lo, exec_lo, s22
	s_cbranch_vccz .LBB433_140
	s_branch .LBB433_257
.LBB433_101:
	s_and_b32 vcc_lo, exec_lo, s23
	s_cbranch_vccz .LBB433_100
; %bb.102:
	v_cmp_gt_i16_e32 vcc_lo, 5, v3
	s_mov_b32 s22, -1
	s_cbranch_vccnz .LBB433_123
; %bb.103:
	v_cmp_gt_i16_e32 vcc_lo, 8, v3
	s_cbranch_vccnz .LBB433_113
; %bb.104:
	v_cmp_gt_i16_e32 vcc_lo, 9, v3
	s_cbranch_vccnz .LBB433_110
; %bb.105:
	v_cmp_lt_i16_e32 vcc_lo, 9, v3
	s_cbranch_vccz .LBB433_107
; %bb.106:
	v_bfe_i32 v4, v2, 0, 16
	v_mov_b32_e32 v8, 0
	s_mov_b32 s22, 0
	s_delay_alu instid0(VALU_DEP_2) | instskip(NEXT) | instid1(VALU_DEP_2)
	v_cvt_f64_i32_e32 v[6:7], v4
	v_mov_b32_e32 v9, v8
	global_store_b128 v[0:1], v[6:9], off
.LBB433_107:
	s_and_not1_b32 vcc_lo, exec_lo, s22
	s_cbranch_vccnz .LBB433_109
; %bb.108:
	v_bfe_i32 v4, v2, 0, 16
	v_mov_b32_e32 v7, 0
	s_delay_alu instid0(VALU_DEP_2)
	v_cvt_f32_i32_e32 v6, v4
	global_store_b64 v[0:1], v[6:7], off
.LBB433_109:
	s_mov_b32 s22, 0
.LBB433_110:
	s_delay_alu instid0(SALU_CYCLE_1)
	s_and_not1_b32 vcc_lo, exec_lo, s22
	s_cbranch_vccnz .LBB433_112
; %bb.111:
	v_cvt_f16_i16_e32 v4, v2
	s_delay_alu instid0(VALU_DEP_1)
	v_and_b32_e32 v4, 0xffff, v4
	global_store_b32 v[0:1], v4, off
.LBB433_112:
	s_mov_b32 s22, 0
.LBB433_113:
	s_delay_alu instid0(SALU_CYCLE_1)
	s_and_not1_b32 vcc_lo, exec_lo, s22
	s_cbranch_vccnz .LBB433_122
; %bb.114:
	v_cmp_gt_i16_e32 vcc_lo, 6, v3
	s_mov_b32 s22, -1
	s_cbranch_vccnz .LBB433_120
; %bb.115:
	v_cmp_lt_i16_e32 vcc_lo, 6, v3
	s_cbranch_vccz .LBB433_117
; %bb.116:
	v_bfe_i32 v4, v2, 0, 16
	s_mov_b32 s22, 0
	s_delay_alu instid0(VALU_DEP_1)
	v_cvt_f64_i32_e32 v[6:7], v4
	global_store_b64 v[0:1], v[6:7], off
.LBB433_117:
	s_and_not1_b32 vcc_lo, exec_lo, s22
	s_cbranch_vccnz .LBB433_119
; %bb.118:
	v_bfe_i32 v4, v2, 0, 16
	s_delay_alu instid0(VALU_DEP_1)
	v_cvt_f32_i32_e32 v4, v4
	global_store_b32 v[0:1], v4, off
.LBB433_119:
	s_mov_b32 s22, 0
.LBB433_120:
	s_delay_alu instid0(SALU_CYCLE_1)
	s_and_not1_b32 vcc_lo, exec_lo, s22
	s_cbranch_vccnz .LBB433_122
; %bb.121:
	v_cvt_f16_i16_e32 v4, v2
	global_store_b16 v[0:1], v4, off
.LBB433_122:
	s_mov_b32 s22, 0
.LBB433_123:
	s_delay_alu instid0(SALU_CYCLE_1)
	s_and_not1_b32 vcc_lo, exec_lo, s22
	s_cbranch_vccnz .LBB433_139
; %bb.124:
	v_cmp_gt_i16_e32 vcc_lo, 2, v3
	s_mov_b32 s22, -1
	s_cbranch_vccnz .LBB433_134
; %bb.125:
	v_cmp_gt_i16_e32 vcc_lo, 3, v3
	s_cbranch_vccnz .LBB433_131
; %bb.126:
	v_cmp_lt_i16_e32 vcc_lo, 3, v3
	s_cbranch_vccz .LBB433_128
; %bb.127:
	v_bfe_i32 v6, v2, 0, 16
	s_mov_b32 s22, 0
	s_delay_alu instid0(VALU_DEP_1)
	v_ashrrev_i32_e32 v7, 31, v6
	global_store_b64 v[0:1], v[6:7], off
.LBB433_128:
	s_and_not1_b32 vcc_lo, exec_lo, s22
	s_cbranch_vccnz .LBB433_130
; %bb.129:
	v_bfe_i32 v4, v2, 0, 16
	global_store_b32 v[0:1], v4, off
.LBB433_130:
	s_mov_b32 s22, 0
.LBB433_131:
	s_delay_alu instid0(SALU_CYCLE_1)
	s_and_not1_b32 vcc_lo, exec_lo, s22
	s_cbranch_vccnz .LBB433_133
; %bb.132:
	global_store_b16 v[0:1], v2, off
.LBB433_133:
	s_mov_b32 s22, 0
.LBB433_134:
	s_delay_alu instid0(SALU_CYCLE_1)
	s_and_not1_b32 vcc_lo, exec_lo, s22
	s_cbranch_vccnz .LBB433_139
; %bb.135:
	v_cmp_lt_i16_e32 vcc_lo, 0, v3
	s_mov_b32 s22, -1
	s_cbranch_vccz .LBB433_137
; %bb.136:
	s_mov_b32 s22, 0
	global_store_b8 v[0:1], v2, off
.LBB433_137:
	s_and_not1_b32 vcc_lo, exec_lo, s22
	s_cbranch_vccnz .LBB433_139
; %bb.138:
	global_store_b8 v[0:1], v2, off
.LBB433_139:
.LBB433_140:
	v_add_nc_u32_e32 v5, 0x80, v5
	s_mov_b32 s22, -1
	s_branch .LBB433_258
.LBB433_141:
	s_mov_b32 s2, 0
                                        ; implicit-def: $vgpr3
	s_cbranch_execnz .LBB433_176
	s_branch .LBB433_208
.LBB433_142:
	s_mov_b32 s22, -1
	s_mov_b32 s2, 0
                                        ; implicit-def: $vgpr3
	s_branch .LBB433_159
.LBB433_143:
	s_mov_b32 s22, -1
	s_mov_b32 s2, 0
                                        ; implicit-def: $vgpr3
	s_branch .LBB433_154
.LBB433_144:
	s_mov_b32 s22, -1
	s_branch .LBB433_146
.LBB433_145:
	s_mov_b32 s3, -1
.LBB433_146:
	s_mov_b32 s2, 0
                                        ; implicit-def: $vgpr3
.LBB433_147:
	s_and_b32 vcc_lo, exec_lo, s22
	s_cbranch_vccz .LBB433_153
; %bb.148:
	v_cmp_eq_u16_e32 vcc_lo, 44, v6
	s_cbranch_vccz .LBB433_152
; %bb.149:
	global_load_u8 v3, v[1:2], off
	s_mov_b32 s3, 0
	s_mov_b32 s2, -1
	s_waitcnt vmcnt(0)
	v_lshlrev_b32_e32 v4, 23, v3
	v_cmp_ne_u32_e32 vcc_lo, 0, v3
	s_delay_alu instid0(VALU_DEP_2) | instskip(NEXT) | instid1(VALU_DEP_1)
	v_cvt_i32_f32_e32 v4, v4
	v_cndmask_b32_e32 v3, 0, v4, vcc_lo
	s_branch .LBB433_153
.LBB433_150:
	s_or_saveexec_b32 s37, s37
                                        ; implicit-def: $sgpr38
	s_delay_alu instid0(SALU_CYCLE_1)
	s_xor_b32 exec_lo, exec_lo, s37
	s_cbranch_execz .LBB433_52
.LBB433_151:
	v_add_f32_e64 v6, 0x46000000, |v4|
	s_and_not1_b32 s23, s23, exec_lo
	s_mov_b32 s38, 0
	s_delay_alu instid0(VALU_DEP_1) | instskip(NEXT) | instid1(VALU_DEP_1)
	v_and_b32_e32 v6, 0xff, v6
	v_cmp_ne_u32_e32 vcc_lo, 0, v6
	s_and_b32 s41, vcc_lo, exec_lo
	s_delay_alu instid0(SALU_CYCLE_1)
	s_or_b32 s23, s23, s41
	s_or_b32 exec_lo, exec_lo, s37
	v_mov_b32_e32 v7, s38
	s_and_saveexec_b32 s37, s23
	s_cbranch_execnz .LBB433_53
	s_branch .LBB433_54
.LBB433_152:
	s_mov_b32 s3, -1
                                        ; implicit-def: $vgpr3
.LBB433_153:
	s_mov_b32 s22, 0
.LBB433_154:
	s_delay_alu instid0(SALU_CYCLE_1)
	s_and_b32 vcc_lo, exec_lo, s22
	s_cbranch_vccz .LBB433_158
; %bb.155:
	v_cmp_eq_u16_e32 vcc_lo, 29, v6
	s_cbranch_vccz .LBB433_157
; %bb.156:
	global_load_b64 v[3:4], v[1:2], off
	s_mov_b32 s2, -1
	s_mov_b32 s3, 0
	s_branch .LBB433_158
.LBB433_157:
	s_mov_b32 s3, -1
                                        ; implicit-def: $vgpr3
.LBB433_158:
	s_mov_b32 s22, 0
.LBB433_159:
	s_delay_alu instid0(SALU_CYCLE_1)
	s_and_b32 vcc_lo, exec_lo, s22
	s_cbranch_vccz .LBB433_175
; %bb.160:
	v_cmp_gt_i16_e32 vcc_lo, 27, v6
	s_cbranch_vccnz .LBB433_163
; %bb.161:
	v_cmp_lt_i16_e32 vcc_lo, 27, v6
	s_cbranch_vccz .LBB433_164
; %bb.162:
	global_load_b32 v3, v[1:2], off
	s_mov_b32 s2, 0
	s_branch .LBB433_165
.LBB433_163:
	s_mov_b32 s2, -1
                                        ; implicit-def: $vgpr3
	s_branch .LBB433_168
.LBB433_164:
	s_mov_b32 s2, -1
                                        ; implicit-def: $vgpr3
.LBB433_165:
	s_delay_alu instid0(SALU_CYCLE_1)
	s_and_not1_b32 vcc_lo, exec_lo, s2
	s_cbranch_vccnz .LBB433_167
; %bb.166:
	global_load_u16 v3, v[1:2], off
.LBB433_167:
	s_mov_b32 s2, 0
.LBB433_168:
	s_delay_alu instid0(SALU_CYCLE_1)
	s_and_not1_b32 vcc_lo, exec_lo, s2
	s_cbranch_vccnz .LBB433_174
; %bb.169:
	global_load_u8 v4, v[1:2], off
	s_mov_b32 s2, 0
	s_mov_b32 s22, exec_lo
                                        ; implicit-def: $sgpr23
	s_waitcnt vmcnt(0)
	v_cmpx_lt_i16_e32 0x7f, v4
	s_xor_b32 s22, exec_lo, s22
	s_cbranch_execz .LBB433_185
; %bb.170:
	v_cmp_ne_u16_e32 vcc_lo, 0x80, v4
	s_mov_b32 s23, 0
	s_and_b32 s2, vcc_lo, exec_lo
	s_or_saveexec_b32 s22, s22
	v_mov_b32_e32 v3, s23
	s_xor_b32 exec_lo, exec_lo, s22
	s_cbranch_execnz .LBB433_186
.LBB433_171:
	s_or_b32 exec_lo, exec_lo, s22
	s_and_saveexec_b32 s22, s2
	s_cbranch_execz .LBB433_173
.LBB433_172:
	v_and_b32_e32 v3, 0xffff, v4
	s_delay_alu instid0(VALU_DEP_1) | instskip(NEXT) | instid1(VALU_DEP_1)
	v_and_b32_e32 v7, 7, v3
	v_clz_i32_u32_e32 v8, v7
	s_delay_alu instid0(VALU_DEP_1) | instskip(NEXT) | instid1(VALU_DEP_1)
	v_min_u32_e32 v8, 32, v8
	v_subrev_nc_u32_e32 v9, 28, v8
	v_sub_nc_u32_e32 v8, 29, v8
	s_delay_alu instid0(VALU_DEP_2) | instskip(SKIP_1) | instid1(VALU_DEP_2)
	v_lshlrev_b32_e32 v9, v9, v3
	v_bfe_u32 v3, v3, 3, 4
	v_and_b32_e32 v9, 7, v9
	s_delay_alu instid0(VALU_DEP_2) | instskip(NEXT) | instid1(VALU_DEP_2)
	v_cmp_eq_u32_e32 vcc_lo, 0, v3
	v_dual_cndmask_b32 v7, v7, v9 :: v_dual_lshlrev_b32 v4, 24, v4
	v_cndmask_b32_e32 v3, v3, v8, vcc_lo
	s_delay_alu instid0(VALU_DEP_2) | instskip(NEXT) | instid1(VALU_DEP_3)
	v_and_b32_e32 v4, 0x80000000, v4
	v_lshlrev_b32_e32 v7, 20, v7
	s_delay_alu instid0(VALU_DEP_3) | instskip(NEXT) | instid1(VALU_DEP_1)
	v_lshl_add_u32 v3, v3, 23, 0x3b800000
	v_or3_b32 v3, v4, v3, v7
	s_delay_alu instid0(VALU_DEP_1)
	v_cvt_i32_f32_e32 v3, v3
.LBB433_173:
	s_or_b32 exec_lo, exec_lo, s22
.LBB433_174:
	s_mov_b32 s2, -1
.LBB433_175:
	s_branch .LBB433_208
.LBB433_176:
	v_cmp_lt_i16_e32 vcc_lo, 22, v6
	s_cbranch_vccz .LBB433_184
; %bb.177:
	v_cmp_gt_i16_e32 vcc_lo, 24, v6
	s_cbranch_vccnz .LBB433_187
; %bb.178:
	v_cmp_lt_i16_e32 vcc_lo, 24, v6
	s_cbranch_vccz .LBB433_188
; %bb.179:
	global_load_u8 v4, v[1:2], off
	s_mov_b32 s2, 0
	s_mov_b32 s22, exec_lo
                                        ; implicit-def: $sgpr23
	s_waitcnt vmcnt(0)
	v_cmpx_lt_i16_e32 0x7f, v4
	s_xor_b32 s22, exec_lo, s22
	s_cbranch_execz .LBB433_200
; %bb.180:
	v_cmp_ne_u16_e32 vcc_lo, 0x80, v4
	s_mov_b32 s23, 0
	s_and_b32 s2, vcc_lo, exec_lo
	s_or_saveexec_b32 s22, s22
	v_mov_b32_e32 v3, s23
	s_xor_b32 exec_lo, exec_lo, s22
	s_cbranch_execnz .LBB433_201
.LBB433_181:
	s_or_b32 exec_lo, exec_lo, s22
	s_and_saveexec_b32 s22, s2
	s_cbranch_execz .LBB433_183
.LBB433_182:
	v_and_b32_e32 v3, 0xffff, v4
	s_delay_alu instid0(VALU_DEP_1) | instskip(NEXT) | instid1(VALU_DEP_1)
	v_and_b32_e32 v7, 3, v3
	v_clz_i32_u32_e32 v8, v7
	s_delay_alu instid0(VALU_DEP_1) | instskip(NEXT) | instid1(VALU_DEP_1)
	v_min_u32_e32 v8, 32, v8
	v_subrev_nc_u32_e32 v9, 29, v8
	v_sub_nc_u32_e32 v8, 30, v8
	s_delay_alu instid0(VALU_DEP_2) | instskip(SKIP_1) | instid1(VALU_DEP_2)
	v_lshlrev_b32_e32 v9, v9, v3
	v_bfe_u32 v3, v3, 2, 5
	v_and_b32_e32 v9, 3, v9
	s_delay_alu instid0(VALU_DEP_2) | instskip(NEXT) | instid1(VALU_DEP_2)
	v_cmp_eq_u32_e32 vcc_lo, 0, v3
	v_dual_cndmask_b32 v7, v7, v9 :: v_dual_lshlrev_b32 v4, 24, v4
	v_cndmask_b32_e32 v3, v3, v8, vcc_lo
	s_delay_alu instid0(VALU_DEP_2) | instskip(NEXT) | instid1(VALU_DEP_3)
	v_and_b32_e32 v4, 0x80000000, v4
	v_lshlrev_b32_e32 v7, 21, v7
	s_delay_alu instid0(VALU_DEP_3) | instskip(NEXT) | instid1(VALU_DEP_1)
	v_lshl_add_u32 v3, v3, 23, 0x37800000
	v_or3_b32 v3, v4, v3, v7
	s_delay_alu instid0(VALU_DEP_1)
	v_cvt_i32_f32_e32 v3, v3
.LBB433_183:
	s_or_b32 exec_lo, exec_lo, s22
	s_mov_b32 s2, 0
	s_branch .LBB433_189
.LBB433_184:
	s_mov_b32 s22, -1
                                        ; implicit-def: $vgpr3
	s_branch .LBB433_195
.LBB433_185:
	s_or_saveexec_b32 s22, s22
	v_mov_b32_e32 v3, s23
	s_xor_b32 exec_lo, exec_lo, s22
	s_cbranch_execz .LBB433_171
.LBB433_186:
	v_cmp_ne_u16_e32 vcc_lo, 0, v4
	v_mov_b32_e32 v3, 0
	s_and_not1_b32 s2, s2, exec_lo
	s_and_b32 s23, vcc_lo, exec_lo
	s_delay_alu instid0(SALU_CYCLE_1)
	s_or_b32 s2, s2, s23
	s_or_b32 exec_lo, exec_lo, s22
	s_and_saveexec_b32 s22, s2
	s_cbranch_execnz .LBB433_172
	s_branch .LBB433_173
.LBB433_187:
	s_mov_b32 s2, -1
                                        ; implicit-def: $vgpr3
	s_branch .LBB433_192
.LBB433_188:
	s_mov_b32 s2, -1
                                        ; implicit-def: $vgpr3
.LBB433_189:
	s_delay_alu instid0(SALU_CYCLE_1)
	s_and_b32 vcc_lo, exec_lo, s2
	s_cbranch_vccz .LBB433_191
; %bb.190:
	global_load_u8 v3, v[1:2], off
	s_waitcnt vmcnt(0)
	v_lshlrev_b32_e32 v3, 24, v3
	s_delay_alu instid0(VALU_DEP_1) | instskip(NEXT) | instid1(VALU_DEP_1)
	v_and_b32_e32 v4, 0x7f000000, v3
	v_clz_i32_u32_e32 v7, v4
	v_cmp_ne_u32_e32 vcc_lo, 0, v4
	v_add_nc_u32_e32 v9, 0x1000000, v4
	s_delay_alu instid0(VALU_DEP_3) | instskip(NEXT) | instid1(VALU_DEP_1)
	v_min_u32_e32 v7, 32, v7
	v_sub_nc_u32_e64 v7, v7, 4 clamp
	s_delay_alu instid0(VALU_DEP_1) | instskip(SKIP_1) | instid1(VALU_DEP_2)
	v_lshlrev_b32_e32 v8, v7, v4
	v_lshlrev_b32_e32 v7, 23, v7
	v_lshrrev_b32_e32 v8, 4, v8
	s_delay_alu instid0(VALU_DEP_1) | instskip(SKIP_1) | instid1(VALU_DEP_2)
	v_sub_nc_u32_e32 v7, v8, v7
	v_ashrrev_i32_e32 v8, 8, v9
	v_add_nc_u32_e32 v7, 0x3c000000, v7
	s_delay_alu instid0(VALU_DEP_1) | instskip(NEXT) | instid1(VALU_DEP_1)
	v_and_or_b32 v7, 0x7f800000, v8, v7
	v_cndmask_b32_e32 v4, 0, v7, vcc_lo
	s_delay_alu instid0(VALU_DEP_1) | instskip(NEXT) | instid1(VALU_DEP_1)
	v_and_or_b32 v3, 0x80000000, v3, v4
	v_cvt_i32_f32_e32 v3, v3
.LBB433_191:
	s_mov_b32 s2, 0
.LBB433_192:
	s_delay_alu instid0(SALU_CYCLE_1)
	s_and_not1_b32 vcc_lo, exec_lo, s2
	s_cbranch_vccnz .LBB433_194
; %bb.193:
	global_load_u8 v3, v[1:2], off
	s_waitcnt vmcnt(0)
	v_lshlrev_b32_e32 v4, 25, v3
	v_lshlrev_b16 v3, 8, v3
	s_delay_alu instid0(VALU_DEP_2) | instskip(NEXT) | instid1(VALU_DEP_2)
	v_lshrrev_b32_e32 v7, 4, v4
	v_and_or_b32 v8, 0x7f00, v3, 0.5
	v_cmp_gt_u32_e32 vcc_lo, 0x8000000, v4
	v_bfe_i32 v3, v3, 0, 16
	s_delay_alu instid0(VALU_DEP_4) | instskip(NEXT) | instid1(VALU_DEP_1)
	v_or_b32_e32 v7, 0x70000000, v7
	v_dual_add_f32 v8, -0.5, v8 :: v_dual_mul_f32 v7, 0x7800000, v7
	s_delay_alu instid0(VALU_DEP_1) | instskip(NEXT) | instid1(VALU_DEP_1)
	v_cndmask_b32_e32 v4, v7, v8, vcc_lo
	v_and_or_b32 v3, 0x80000000, v3, v4
	s_delay_alu instid0(VALU_DEP_1)
	v_cvt_i32_f32_e32 v3, v3
.LBB433_194:
	s_mov_b32 s22, 0
	s_mov_b32 s2, -1
.LBB433_195:
	s_and_not1_b32 vcc_lo, exec_lo, s22
	s_cbranch_vccnz .LBB433_208
; %bb.196:
	v_cmp_lt_i16_e32 vcc_lo, 14, v6
	s_cbranch_vccz .LBB433_199
; %bb.197:
	v_cmp_eq_u16_e32 vcc_lo, 15, v6
	s_cbranch_vccz .LBB433_202
; %bb.198:
	global_load_u16 v3, v[1:2], off
	s_mov_b32 s2, -1
	s_mov_b32 s3, 0
	s_waitcnt vmcnt(0)
	v_lshlrev_b32_e32 v3, 16, v3
	s_delay_alu instid0(VALU_DEP_1)
	v_cvt_i32_f32_e32 v3, v3
	s_branch .LBB433_203
.LBB433_199:
	s_mov_b32 s22, -1
                                        ; implicit-def: $vgpr3
	s_branch .LBB433_204
.LBB433_200:
	s_or_saveexec_b32 s22, s22
	v_mov_b32_e32 v3, s23
	s_xor_b32 exec_lo, exec_lo, s22
	s_cbranch_execz .LBB433_181
.LBB433_201:
	v_cmp_ne_u16_e32 vcc_lo, 0, v4
	v_mov_b32_e32 v3, 0
	s_and_not1_b32 s2, s2, exec_lo
	s_and_b32 s23, vcc_lo, exec_lo
	s_delay_alu instid0(SALU_CYCLE_1)
	s_or_b32 s2, s2, s23
	s_or_b32 exec_lo, exec_lo, s22
	s_and_saveexec_b32 s22, s2
	s_cbranch_execnz .LBB433_182
	s_branch .LBB433_183
.LBB433_202:
	s_mov_b32 s3, -1
                                        ; implicit-def: $vgpr3
.LBB433_203:
	s_mov_b32 s22, 0
.LBB433_204:
	s_delay_alu instid0(SALU_CYCLE_1)
	s_and_b32 vcc_lo, exec_lo, s22
	s_cbranch_vccz .LBB433_208
; %bb.205:
	v_cmp_eq_u16_e32 vcc_lo, 11, v6
	s_cbranch_vccz .LBB433_207
; %bb.206:
	global_load_u8 v3, v[1:2], off
	s_mov_b32 s3, 0
	s_mov_b32 s2, -1
	s_waitcnt vmcnt(0)
	v_cmp_ne_u16_e32 vcc_lo, 0, v3
	v_cndmask_b32_e64 v3, 0, 1, vcc_lo
	s_branch .LBB433_208
.LBB433_207:
	s_mov_b32 s3, -1
                                        ; implicit-def: $vgpr3
.LBB433_208:
	s_branch .LBB433_23
.LBB433_209:
	v_cmp_gt_i16_e32 vcc_lo, 5, v6
	s_cbranch_vccnz .LBB433_214
; %bb.210:
	v_cmp_gt_i16_e32 vcc_lo, 8, v6
	s_cbranch_vccnz .LBB433_215
; %bb.211:
	;; [unrolled: 3-line block ×3, first 2 shown]
	v_cmp_lt_i16_e32 vcc_lo, 9, v6
	s_cbranch_vccz .LBB433_217
; %bb.213:
	global_load_b64 v[3:4], v[1:2], off
	s_mov_b32 s2, 0
	s_waitcnt vmcnt(0)
	v_cvt_i32_f64_e32 v3, v[3:4]
	s_branch .LBB433_218
.LBB433_214:
                                        ; implicit-def: $vgpr3
	s_branch .LBB433_236
.LBB433_215:
	s_mov_b32 s2, -1
                                        ; implicit-def: $vgpr3
	s_branch .LBB433_224
.LBB433_216:
	s_mov_b32 s2, -1
                                        ; implicit-def: $vgpr3
	s_branch .LBB433_221
.LBB433_217:
	s_mov_b32 s2, -1
                                        ; implicit-def: $vgpr3
.LBB433_218:
	s_delay_alu instid0(SALU_CYCLE_1)
	s_and_not1_b32 vcc_lo, exec_lo, s2
	s_cbranch_vccnz .LBB433_220
; %bb.219:
	global_load_b32 v3, v[1:2], off
	s_waitcnt vmcnt(0)
	v_cvt_i32_f32_e32 v3, v3
.LBB433_220:
	s_mov_b32 s2, 0
.LBB433_221:
	s_delay_alu instid0(SALU_CYCLE_1)
	s_and_not1_b32 vcc_lo, exec_lo, s2
	s_cbranch_vccnz .LBB433_223
; %bb.222:
	global_load_b32 v3, v[1:2], off
	s_waitcnt vmcnt(0)
	v_cvt_i16_f16_e32 v3, v3
.LBB433_223:
	s_mov_b32 s2, 0
.LBB433_224:
	s_delay_alu instid0(SALU_CYCLE_1)
	s_and_not1_b32 vcc_lo, exec_lo, s2
	s_cbranch_vccnz .LBB433_235
; %bb.225:
	v_cmp_gt_i16_e32 vcc_lo, 6, v6
	s_cbranch_vccnz .LBB433_228
; %bb.226:
	v_cmp_lt_i16_e32 vcc_lo, 6, v6
	s_cbranch_vccz .LBB433_229
; %bb.227:
	global_load_b64 v[3:4], v[1:2], off
	s_mov_b32 s2, 0
	s_waitcnt vmcnt(0)
	v_cvt_i32_f64_e32 v3, v[3:4]
	s_branch .LBB433_230
.LBB433_228:
	s_mov_b32 s2, -1
                                        ; implicit-def: $vgpr3
	s_branch .LBB433_233
.LBB433_229:
	s_mov_b32 s2, -1
                                        ; implicit-def: $vgpr3
.LBB433_230:
	s_delay_alu instid0(SALU_CYCLE_1)
	s_and_not1_b32 vcc_lo, exec_lo, s2
	s_cbranch_vccnz .LBB433_232
; %bb.231:
	global_load_b32 v3, v[1:2], off
	s_waitcnt vmcnt(0)
	v_cvt_i32_f32_e32 v3, v3
.LBB433_232:
	s_mov_b32 s2, 0
.LBB433_233:
	s_delay_alu instid0(SALU_CYCLE_1)
	s_and_not1_b32 vcc_lo, exec_lo, s2
	s_cbranch_vccnz .LBB433_235
; %bb.234:
	global_load_u16 v3, v[1:2], off
	s_waitcnt vmcnt(0)
	v_cvt_i16_f16_e32 v3, v3
.LBB433_235:
	s_cbranch_execnz .LBB433_255
.LBB433_236:
	v_cmp_gt_i16_e32 vcc_lo, 2, v6
	s_cbranch_vccnz .LBB433_240
; %bb.237:
	v_cmp_gt_i16_e32 vcc_lo, 3, v6
	s_cbranch_vccnz .LBB433_241
; %bb.238:
	v_cmp_lt_i16_e32 vcc_lo, 3, v6
	s_cbranch_vccz .LBB433_242
; %bb.239:
	global_load_b64 v[3:4], v[1:2], off
	s_mov_b32 s2, 0
	s_branch .LBB433_243
.LBB433_240:
	s_mov_b32 s2, -1
                                        ; implicit-def: $vgpr3
	s_branch .LBB433_249
.LBB433_241:
	s_mov_b32 s2, -1
                                        ; implicit-def: $vgpr3
	s_branch .LBB433_246
.LBB433_242:
	s_mov_b32 s2, -1
                                        ; implicit-def: $vgpr3
.LBB433_243:
	s_delay_alu instid0(SALU_CYCLE_1)
	s_and_not1_b32 vcc_lo, exec_lo, s2
	s_cbranch_vccnz .LBB433_245
; %bb.244:
	global_load_b32 v3, v[1:2], off
.LBB433_245:
	s_mov_b32 s2, 0
.LBB433_246:
	s_delay_alu instid0(SALU_CYCLE_1)
	s_and_not1_b32 vcc_lo, exec_lo, s2
	s_cbranch_vccnz .LBB433_248
; %bb.247:
	global_load_u16 v3, v[1:2], off
.LBB433_248:
	s_mov_b32 s2, 0
.LBB433_249:
	s_delay_alu instid0(SALU_CYCLE_1)
	s_and_not1_b32 vcc_lo, exec_lo, s2
	s_cbranch_vccnz .LBB433_255
; %bb.250:
	v_cmp_lt_i16_e32 vcc_lo, 0, v6
	s_mov_b32 s2, 0
	s_cbranch_vccz .LBB433_252
; %bb.251:
	global_load_u8 v3, v[1:2], off
	s_branch .LBB433_253
.LBB433_252:
	s_mov_b32 s2, -1
                                        ; implicit-def: $vgpr3
.LBB433_253:
	s_delay_alu instid0(SALU_CYCLE_1)
	s_and_not1_b32 vcc_lo, exec_lo, s2
	s_cbranch_vccnz .LBB433_255
; %bb.254:
	global_load_u8 v3, v[1:2], off
.LBB433_255:
	s_branch .LBB433_24
.LBB433_256:
	s_mov_b32 s2, 0
.LBB433_257:
	s_mov_b32 s22, 0
                                        ; implicit-def: $vgpr5
.LBB433_258:
	s_and_b32 s37, s2, exec_lo
	s_and_b32 s38, s3, exec_lo
	s_or_not1_b32 s3, s22, exec_lo
.LBB433_259:
	s_or_b32 exec_lo, exec_lo, s39
	s_mov_b32 s22, 0
	s_mov_b32 s2, 0
                                        ; implicit-def: $vgpr6
                                        ; implicit-def: $vgpr1_vgpr2
                                        ; implicit-def: $vgpr0
                                        ; implicit-def: $vgpr3
	s_and_saveexec_b32 s39, s3
	s_cbranch_execz .LBB433_890
; %bb.260:
	s_mov_b32 s2, -1
	s_mov_b32 s40, s38
	s_mov_b32 s41, s37
	s_mov_b32 s42, exec_lo
	v_cmpx_gt_i32_e64 s34, v5
	s_cbranch_execz .LBB433_525
; %bb.261:
	s_and_not1_b32 vcc_lo, exec_lo, s27
	s_cbranch_vccnz .LBB433_266
; %bb.262:
	v_dual_mov_b32 v0, 0 :: v_dual_mov_b32 v1, 0
	s_and_not1_b32 vcc_lo, exec_lo, s36
	s_mov_b32 s40, 0
	s_cbranch_vccnz .LBB433_271
; %bb.263:
	v_mov_b32_e32 v0, 0
	s_add_i32 s43, s35, 1
	s_cmp_eq_u32 s25, 2
	s_mov_b32 s41, 0
	s_cbranch_scc1 .LBB433_267
; %bb.264:
	v_dual_mov_b32 v1, 0 :: v_dual_mov_b32 v0, 0
	v_mov_b32_e32 v2, v5
	s_and_b32 s41, s43, 28
	s_mov_b32 s44, 0
	s_mov_b64 s[2:3], s[20:21]
	s_mov_b64 s[22:23], s[16:17]
.LBB433_265:                            ; =>This Inner Loop Header: Depth=1
	s_clause 0x1
	s_load_b256 s[48:55], s[22:23], 0x4
	s_load_b128 s[64:67], s[22:23], 0x24
	s_load_b256 s[56:63], s[2:3], 0x0
	s_add_u32 s22, s22, 48
	s_addc_u32 s23, s23, 0
	s_add_i32 s44, s44, 4
	s_add_u32 s2, s2, 32
	s_addc_u32 s3, s3, 0
	s_cmp_eq_u32 s41, s44
	s_waitcnt vmcnt(0) lgkmcnt(0)
	v_mul_hi_u32 v3, s49, v2
	s_delay_alu instid0(VALU_DEP_1) | instskip(NEXT) | instid1(VALU_DEP_1)
	v_add_nc_u32_e32 v3, v2, v3
	v_lshrrev_b32_e32 v3, s50, v3
	s_delay_alu instid0(VALU_DEP_1) | instskip(SKIP_1) | instid1(VALU_DEP_2)
	v_mul_hi_u32 v4, s52, v3
	v_mul_lo_u32 v7, v3, s48
	v_add_nc_u32_e32 v4, v3, v4
	s_delay_alu instid0(VALU_DEP_2) | instskip(NEXT) | instid1(VALU_DEP_2)
	v_sub_nc_u32_e32 v2, v2, v7
	v_lshrrev_b32_e32 v4, s53, v4
	s_delay_alu instid0(VALU_DEP_2) | instskip(SKIP_1) | instid1(VALU_DEP_3)
	v_mul_lo_u32 v7, v2, s56
	v_mul_lo_u32 v9, v2, s57
	v_mul_hi_u32 v6, s55, v4
	s_delay_alu instid0(VALU_DEP_1) | instskip(NEXT) | instid1(VALU_DEP_1)
	v_add_nc_u32_e32 v6, v4, v6
	v_lshrrev_b32_e32 v6, s64, v6
	s_delay_alu instid0(VALU_DEP_1) | instskip(SKIP_1) | instid1(VALU_DEP_2)
	v_mul_hi_u32 v8, s66, v6
	v_mul_lo_u32 v10, v6, s54
	v_add_nc_u32_e32 v2, v6, v8
	v_mul_lo_u32 v8, v4, s51
	s_delay_alu instid0(VALU_DEP_3) | instskip(NEXT) | instid1(VALU_DEP_3)
	v_sub_nc_u32_e32 v4, v4, v10
	v_lshrrev_b32_e32 v2, s67, v2
	s_delay_alu instid0(VALU_DEP_2) | instskip(SKIP_2) | instid1(VALU_DEP_4)
	v_mul_lo_u32 v10, v4, s60
	v_mul_lo_u32 v4, v4, s61
	v_sub_nc_u32_e32 v3, v3, v8
	v_mul_lo_u32 v11, v2, s65
	s_delay_alu instid0(VALU_DEP_2) | instskip(SKIP_1) | instid1(VALU_DEP_3)
	v_mul_lo_u32 v8, v3, s58
	v_mul_lo_u32 v3, v3, s59
	v_sub_nc_u32_e32 v6, v6, v11
	s_delay_alu instid0(VALU_DEP_3) | instskip(NEXT) | instid1(VALU_DEP_2)
	v_add3_u32 v0, v7, v0, v8
	v_mul_lo_u32 v11, v6, s62
	v_mul_lo_u32 v6, v6, s63
	v_add3_u32 v1, v9, v1, v3
	s_delay_alu instid0(VALU_DEP_3) | instskip(NEXT) | instid1(VALU_DEP_2)
	v_add3_u32 v0, v10, v0, v11
	v_add3_u32 v1, v4, v1, v6
	s_cbranch_scc0 .LBB433_265
	s_branch .LBB433_268
.LBB433_266:
	s_mov_b32 s40, -1
                                        ; implicit-def: $vgpr0
                                        ; implicit-def: $vgpr1
	s_branch .LBB433_271
.LBB433_267:
	v_dual_mov_b32 v2, v5 :: v_dual_mov_b32 v1, 0
.LBB433_268:
	s_and_b32 s43, s43, 3
	s_delay_alu instid0(SALU_CYCLE_1)
	s_cmp_eq_u32 s43, 0
	s_cbranch_scc1 .LBB433_271
; %bb.269:
	s_lshl_b32 s2, s41, 3
	s_mul_i32 s22, s41, 12
	s_add_u32 s2, s2, s16
	s_addc_u32 s3, s17, 0
	s_add_u32 s2, s2, 0xc4
	s_addc_u32 s3, s3, 0
	;; [unrolled: 2-line block ×3, first 2 shown]
	.p2align	6
.LBB433_270:                            ; =>This Inner Loop Header: Depth=1
	s_clause 0x1
	s_load_b64 s[44:45], s[22:23], 0x4
	s_load_b32 s41, s[22:23], 0xc
	s_load_b64 s[46:47], s[2:3], 0x0
	s_add_u32 s22, s22, 12
	s_addc_u32 s23, s23, 0
	s_add_u32 s2, s2, 8
	s_addc_u32 s3, s3, 0
	s_add_i32 s43, s43, -1
	s_delay_alu instid0(SALU_CYCLE_1) | instskip(SKIP_2) | instid1(VALU_DEP_1)
	s_cmp_lg_u32 s43, 0
	s_waitcnt vmcnt(0) lgkmcnt(0)
	v_mul_hi_u32 v3, s45, v2
	v_add_nc_u32_e32 v3, v2, v3
	s_delay_alu instid0(VALU_DEP_1) | instskip(NEXT) | instid1(VALU_DEP_1)
	v_lshrrev_b32_e32 v8, s41, v3
	v_mul_lo_u32 v3, v8, s44
	s_delay_alu instid0(VALU_DEP_1) | instskip(NEXT) | instid1(VALU_DEP_1)
	v_sub_nc_u32_e32 v2, v2, v3
	v_mad_u64_u32 v[3:4], null, v2, s46, v[0:1]
	v_mad_u64_u32 v[6:7], null, v2, s47, v[1:2]
	v_mov_b32_e32 v2, v8
	s_delay_alu instid0(VALU_DEP_2)
	v_dual_mov_b32 v0, v3 :: v_dual_mov_b32 v1, v6
	s_cbranch_scc1 .LBB433_270
.LBB433_271:
	s_and_not1_b32 vcc_lo, exec_lo, s40
	s_cbranch_vccnz .LBB433_274
; %bb.272:
	v_mul_hi_u32 v0, s13, v5
	s_and_not1_b32 vcc_lo, exec_lo, s33
	s_delay_alu instid0(VALU_DEP_1) | instskip(NEXT) | instid1(VALU_DEP_1)
	v_add_nc_u32_e32 v0, v5, v0
	v_lshrrev_b32_e32 v2, s14, v0
	s_delay_alu instid0(VALU_DEP_1) | instskip(NEXT) | instid1(VALU_DEP_1)
	v_mul_lo_u32 v0, v2, s12
	v_sub_nc_u32_e32 v1, v5, v0
	s_delay_alu instid0(VALU_DEP_1)
	v_mul_lo_u32 v0, v1, s8
	v_mul_lo_u32 v1, v1, s9
	s_cbranch_vccnz .LBB433_274
; %bb.273:
	s_waitcnt vmcnt(0)
	v_mul_hi_u32 v3, s18, v2
	s_delay_alu instid0(VALU_DEP_1) | instskip(NEXT) | instid1(VALU_DEP_1)
	v_add_nc_u32_e32 v3, v2, v3
	v_lshrrev_b32_e32 v3, s19, v3
	s_delay_alu instid0(VALU_DEP_1) | instskip(NEXT) | instid1(VALU_DEP_1)
	v_mul_lo_u32 v3, v3, s15
	v_sub_nc_u32_e32 v6, v2, v3
	s_delay_alu instid0(VALU_DEP_1) | instskip(NEXT) | instid1(VALU_DEP_1)
	v_mad_u64_u32 v[2:3], null, v6, s10, v[0:1]
	v_mad_u64_u32 v[3:4], null, v6, s11, v[1:2]
	s_delay_alu instid0(VALU_DEP_1)
	v_dual_mov_b32 v0, v2 :: v_dual_mov_b32 v1, v3
.LBB433_274:
	v_and_b32_e64 v6, 0xff, s31
	s_delay_alu instid0(VALU_DEP_2) | instskip(NEXT) | instid1(VALU_DEP_1)
	v_add_co_u32 v1, s2, s6, v1
	v_add_co_ci_u32_e64 v2, null, s7, 0, s2
	s_delay_alu instid0(VALU_DEP_3)
	v_cmp_gt_i16_e32 vcc_lo, 11, v6
	s_mov_b32 s2, 0
	s_cbranch_vccnz .LBB433_281
; %bb.275:
	v_cmp_lt_i16_e32 vcc_lo, 25, v6
	s_cbranch_vccz .LBB433_330
; %bb.276:
	v_cmp_lt_i16_e32 vcc_lo, 28, v6
	s_cbranch_vccz .LBB433_331
	;; [unrolled: 3-line block ×4, first 2 shown]
; %bb.279:
	v_cmp_eq_u16_e32 vcc_lo, 46, v6
	s_mov_b32 s22, 0
	s_cbranch_vccz .LBB433_339
; %bb.280:
	global_load_b32 v3, v[1:2], off
	s_mov_b32 s2, -1
	s_mov_b32 s3, 0
	s_waitcnt vmcnt(0)
	v_lshlrev_b32_e32 v3, 16, v3
	s_delay_alu instid0(VALU_DEP_1)
	v_cvt_i32_f32_e32 v3, v3
	s_branch .LBB433_341
.LBB433_281:
	s_mov_b32 s3, s38
                                        ; implicit-def: $vgpr3
	s_cbranch_execnz .LBB433_474
.LBB433_282:
	s_and_not1_b32 vcc_lo, exec_lo, s2
	s_cbranch_vccnz .LBB433_522
.LBB433_283:
	s_waitcnt vmcnt(0)
	s_delay_alu instid0(VALU_DEP_1)
	v_bfe_i32 v1, v3, 0, 8
	v_and_b32_e64 v3, 0xff, s30
	s_bfe_i32 s2, s29, 0x80000
	s_mov_b32 s22, 0
	s_mov_b32 s23, -1
	v_min_i16 v2, v1, s2
	v_cmp_gt_i16_e32 vcc_lo, 11, v3
	v_add_co_u32 v0, s2, s4, v0
	s_delay_alu instid0(VALU_DEP_1)
	v_add_co_ci_u32_e64 v1, null, s5, 0, s2
	s_mov_b32 s2, s37
	s_cbranch_vccnz .LBB433_290
; %bb.284:
	v_cmp_lt_i16_e32 vcc_lo, 25, v3
	s_cbranch_vccz .LBB433_332
; %bb.285:
	v_cmp_lt_i16_e32 vcc_lo, 28, v3
	s_cbranch_vccz .LBB433_334
	;; [unrolled: 3-line block ×4, first 2 shown]
; %bb.288:
	v_cmp_eq_u16_e32 vcc_lo, 46, v3
	s_mov_b32 s23, 0
	s_mov_b32 s2, -1
	s_cbranch_vccz .LBB433_345
; %bb.289:
	v_bfe_i32 v4, v2, 0, 16
	s_mov_b32 s22, -1
	s_mov_b32 s2, 0
	s_delay_alu instid0(VALU_DEP_1) | instskip(NEXT) | instid1(VALU_DEP_1)
	v_cvt_f32_i32_e32 v4, v4
	v_bfe_u32 v6, v4, 16, 1
	s_delay_alu instid0(VALU_DEP_1) | instskip(NEXT) | instid1(VALU_DEP_1)
	v_add3_u32 v4, v4, v6, 0x7fff
	v_lshrrev_b32_e32 v4, 16, v4
	global_store_b32 v[0:1], v4, off
	s_branch .LBB433_345
.LBB433_290:
	s_and_b32 vcc_lo, exec_lo, s23
	s_cbranch_vccz .LBB433_414
; %bb.291:
	v_cmp_gt_i16_e32 vcc_lo, 5, v3
	s_mov_b32 s22, -1
	s_cbranch_vccnz .LBB433_312
; %bb.292:
	v_cmp_gt_i16_e32 vcc_lo, 8, v3
	s_cbranch_vccnz .LBB433_302
; %bb.293:
	v_cmp_gt_i16_e32 vcc_lo, 9, v3
	s_cbranch_vccnz .LBB433_299
; %bb.294:
	v_cmp_lt_i16_e32 vcc_lo, 9, v3
	s_cbranch_vccz .LBB433_296
; %bb.295:
	v_bfe_i32 v4, v2, 0, 16
	v_mov_b32_e32 v8, 0
	s_mov_b32 s22, 0
	s_delay_alu instid0(VALU_DEP_2) | instskip(NEXT) | instid1(VALU_DEP_2)
	v_cvt_f64_i32_e32 v[6:7], v4
	v_mov_b32_e32 v9, v8
	global_store_b128 v[0:1], v[6:9], off
.LBB433_296:
	s_and_not1_b32 vcc_lo, exec_lo, s22
	s_cbranch_vccnz .LBB433_298
; %bb.297:
	v_bfe_i32 v4, v2, 0, 16
	v_mov_b32_e32 v7, 0
	s_delay_alu instid0(VALU_DEP_2)
	v_cvt_f32_i32_e32 v6, v4
	global_store_b64 v[0:1], v[6:7], off
.LBB433_298:
	s_mov_b32 s22, 0
.LBB433_299:
	s_delay_alu instid0(SALU_CYCLE_1)
	s_and_not1_b32 vcc_lo, exec_lo, s22
	s_cbranch_vccnz .LBB433_301
; %bb.300:
	v_cvt_f16_i16_e32 v4, v2
	s_delay_alu instid0(VALU_DEP_1)
	v_and_b32_e32 v4, 0xffff, v4
	global_store_b32 v[0:1], v4, off
.LBB433_301:
	s_mov_b32 s22, 0
.LBB433_302:
	s_delay_alu instid0(SALU_CYCLE_1)
	s_and_not1_b32 vcc_lo, exec_lo, s22
	s_cbranch_vccnz .LBB433_311
; %bb.303:
	v_cmp_gt_i16_e32 vcc_lo, 6, v3
	s_mov_b32 s22, -1
	s_cbranch_vccnz .LBB433_309
; %bb.304:
	v_cmp_lt_i16_e32 vcc_lo, 6, v3
	s_cbranch_vccz .LBB433_306
; %bb.305:
	v_bfe_i32 v4, v2, 0, 16
	s_mov_b32 s22, 0
	s_delay_alu instid0(VALU_DEP_1)
	v_cvt_f64_i32_e32 v[6:7], v4
	global_store_b64 v[0:1], v[6:7], off
.LBB433_306:
	s_and_not1_b32 vcc_lo, exec_lo, s22
	s_cbranch_vccnz .LBB433_308
; %bb.307:
	v_bfe_i32 v4, v2, 0, 16
	s_delay_alu instid0(VALU_DEP_1)
	v_cvt_f32_i32_e32 v4, v4
	global_store_b32 v[0:1], v4, off
.LBB433_308:
	s_mov_b32 s22, 0
.LBB433_309:
	s_delay_alu instid0(SALU_CYCLE_1)
	s_and_not1_b32 vcc_lo, exec_lo, s22
	s_cbranch_vccnz .LBB433_311
; %bb.310:
	v_cvt_f16_i16_e32 v4, v2
	global_store_b16 v[0:1], v4, off
.LBB433_311:
	s_mov_b32 s22, 0
.LBB433_312:
	s_delay_alu instid0(SALU_CYCLE_1)
	s_and_not1_b32 vcc_lo, exec_lo, s22
	s_cbranch_vccnz .LBB433_328
; %bb.313:
	v_cmp_gt_i16_e32 vcc_lo, 2, v3
	s_mov_b32 s22, -1
	s_cbranch_vccnz .LBB433_323
; %bb.314:
	v_cmp_gt_i16_e32 vcc_lo, 3, v3
	s_cbranch_vccnz .LBB433_320
; %bb.315:
	v_cmp_lt_i16_e32 vcc_lo, 3, v3
	s_cbranch_vccz .LBB433_317
; %bb.316:
	v_bfe_i32 v6, v2, 0, 16
	s_mov_b32 s22, 0
	s_delay_alu instid0(VALU_DEP_1)
	v_ashrrev_i32_e32 v7, 31, v6
	global_store_b64 v[0:1], v[6:7], off
.LBB433_317:
	s_and_not1_b32 vcc_lo, exec_lo, s22
	s_cbranch_vccnz .LBB433_319
; %bb.318:
	v_bfe_i32 v4, v2, 0, 16
	global_store_b32 v[0:1], v4, off
.LBB433_319:
	s_mov_b32 s22, 0
.LBB433_320:
	s_delay_alu instid0(SALU_CYCLE_1)
	s_and_not1_b32 vcc_lo, exec_lo, s22
	s_cbranch_vccnz .LBB433_322
; %bb.321:
	global_store_b16 v[0:1], v2, off
.LBB433_322:
	s_mov_b32 s22, 0
.LBB433_323:
	s_delay_alu instid0(SALU_CYCLE_1)
	s_and_not1_b32 vcc_lo, exec_lo, s22
	s_cbranch_vccnz .LBB433_328
; %bb.324:
	v_cmp_lt_i16_e32 vcc_lo, 0, v3
	s_mov_b32 s22, -1
	s_cbranch_vccz .LBB433_326
; %bb.325:
	s_mov_b32 s22, 0
	global_store_b8 v[0:1], v2, off
.LBB433_326:
	s_and_not1_b32 vcc_lo, exec_lo, s22
	s_cbranch_vccnz .LBB433_328
; %bb.327:
	global_store_b8 v[0:1], v2, off
.LBB433_328:
	s_branch .LBB433_415
.LBB433_329:
	s_mov_b32 s22, 0
	s_branch .LBB433_523
.LBB433_330:
	s_mov_b32 s22, -1
	s_mov_b32 s3, s38
                                        ; implicit-def: $vgpr3
	s_branch .LBB433_440
.LBB433_331:
	s_mov_b32 s22, -1
	s_mov_b32 s3, s38
                                        ; implicit-def: $vgpr3
	s_branch .LBB433_423
.LBB433_332:
	s_mov_b32 s2, s37
	s_branch .LBB433_372
.LBB433_333:
	s_mov_b32 s22, -1
	s_mov_b32 s3, s38
                                        ; implicit-def: $vgpr3
	s_branch .LBB433_418
.LBB433_334:
	s_mov_b32 s2, s37
	s_branch .LBB433_355
.LBB433_335:
	s_mov_b32 s22, -1
	s_mov_b32 s3, s38
	s_branch .LBB433_340
.LBB433_336:
	s_mov_b32 s2, s37
	s_branch .LBB433_351
.LBB433_337:
	s_or_saveexec_b32 s37, s37
                                        ; implicit-def: $sgpr38
	s_delay_alu instid0(SALU_CYCLE_1)
	s_xor_b32 exec_lo, exec_lo, s37
	s_cbranch_execz .LBB433_65
.LBB433_338:
	v_add_f32_e64 v6, 0x42800000, |v4|
	s_and_not1_b32 s23, s23, exec_lo
	s_mov_b32 s38, 0
	s_delay_alu instid0(VALU_DEP_1) | instskip(NEXT) | instid1(VALU_DEP_1)
	v_and_b32_e32 v6, 0xff, v6
	v_cmp_ne_u32_e32 vcc_lo, 0, v6
	s_and_b32 s41, vcc_lo, exec_lo
	s_delay_alu instid0(SALU_CYCLE_1)
	s_or_b32 s23, s23, s41
	s_or_b32 exec_lo, exec_lo, s37
	v_mov_b32_e32 v7, s38
	s_and_saveexec_b32 s37, s23
	s_cbranch_execnz .LBB433_66
	s_branch .LBB433_67
.LBB433_339:
	s_mov_b32 s3, -1
.LBB433_340:
                                        ; implicit-def: $vgpr3
.LBB433_341:
	s_and_b32 vcc_lo, exec_lo, s22
	s_cbranch_vccz .LBB433_417
; %bb.342:
	v_cmp_eq_u16_e32 vcc_lo, 44, v6
	s_cbranch_vccz .LBB433_416
; %bb.343:
	global_load_u8 v3, v[1:2], off
	s_mov_b32 s3, 0
	s_mov_b32 s2, -1
	s_waitcnt vmcnt(0)
	v_lshlrev_b32_e32 v4, 23, v3
	v_cmp_ne_u32_e32 vcc_lo, 0, v3
	s_delay_alu instid0(VALU_DEP_2) | instskip(NEXT) | instid1(VALU_DEP_1)
	v_cvt_i32_f32_e32 v4, v4
	v_cndmask_b32_e32 v3, 0, v4, vcc_lo
	s_branch .LBB433_417
.LBB433_344:
	s_mov_b32 s2, s37
.LBB433_345:
	s_and_b32 vcc_lo, exec_lo, s23
	s_cbranch_vccz .LBB433_350
; %bb.346:
	v_cmp_eq_u16_e32 vcc_lo, 44, v3
	s_mov_b32 s2, -1
	s_cbranch_vccz .LBB433_350
; %bb.347:
	v_bfe_i32 v4, v2, 0, 16
	v_mov_b32_e32 v6, 0xff
	s_mov_b32 s22, exec_lo
	s_delay_alu instid0(VALU_DEP_2) | instskip(NEXT) | instid1(VALU_DEP_1)
	v_cvt_f32_i32_e32 v4, v4
	v_bfe_u32 v7, v4, 23, 8
	s_delay_alu instid0(VALU_DEP_1)
	v_cmpx_ne_u32_e32 0xff, v7
; %bb.348:
	v_and_b32_e32 v6, 0x400000, v4
	v_and_or_b32 v7, 0x3fffff, v4, v7
	v_lshrrev_b32_e32 v4, 23, v4
	s_delay_alu instid0(VALU_DEP_3) | instskip(NEXT) | instid1(VALU_DEP_3)
	v_cmp_ne_u32_e32 vcc_lo, 0, v6
	v_cmp_ne_u32_e64 s2, 0, v7
	s_delay_alu instid0(VALU_DEP_1) | instskip(NEXT) | instid1(SALU_CYCLE_1)
	s_and_b32 s2, vcc_lo, s2
	v_cndmask_b32_e64 v6, 0, 1, s2
	s_delay_alu instid0(VALU_DEP_1)
	v_add_nc_u32_e32 v6, v4, v6
; %bb.349:
	s_or_b32 exec_lo, exec_lo, s22
	s_mov_b32 s22, -1
	s_mov_b32 s2, 0
	global_store_b8 v[0:1], v6, off
.LBB433_350:
	s_mov_b32 s23, 0
.LBB433_351:
	s_delay_alu instid0(SALU_CYCLE_1)
	s_and_b32 vcc_lo, exec_lo, s23
	s_cbranch_vccz .LBB433_354
; %bb.352:
	v_cmp_eq_u16_e32 vcc_lo, 29, v3
	s_mov_b32 s2, -1
	s_cbranch_vccz .LBB433_354
; %bb.353:
	v_bfe_i32 v6, v2, 0, 16
	s_mov_b32 s2, 0
	s_mov_b32 s22, -1
	s_mov_b32 s23, 0
	s_delay_alu instid0(VALU_DEP_1)
	v_ashrrev_i32_e32 v7, 31, v6
	global_store_b64 v[0:1], v[6:7], off
	s_branch .LBB433_355
.LBB433_354:
	s_mov_b32 s23, 0
.LBB433_355:
	s_delay_alu instid0(SALU_CYCLE_1)
	s_and_b32 vcc_lo, exec_lo, s23
	s_cbranch_vccz .LBB433_371
; %bb.356:
	v_cmp_gt_i16_e32 vcc_lo, 27, v3
	s_mov_b32 s22, -1
	s_cbranch_vccnz .LBB433_362
; %bb.357:
	v_cmp_lt_i16_e32 vcc_lo, 27, v3
	s_cbranch_vccz .LBB433_359
; %bb.358:
	v_bfe_i32 v4, v2, 0, 16
	s_mov_b32 s22, 0
	global_store_b32 v[0:1], v4, off
.LBB433_359:
	s_and_not1_b32 vcc_lo, exec_lo, s22
	s_cbranch_vccnz .LBB433_361
; %bb.360:
	global_store_b16 v[0:1], v2, off
.LBB433_361:
	s_mov_b32 s22, 0
.LBB433_362:
	s_delay_alu instid0(SALU_CYCLE_1)
	s_and_not1_b32 vcc_lo, exec_lo, s22
	s_cbranch_vccnz .LBB433_370
; %bb.363:
	v_bfe_i32 v4, v2, 0, 16
	v_mov_b32_e32 v7, 0x80
	s_mov_b32 s22, exec_lo
	s_delay_alu instid0(VALU_DEP_2) | instskip(NEXT) | instid1(VALU_DEP_1)
	v_cvt_f32_i32_e32 v4, v4
	v_and_b32_e32 v6, 0x7fffffff, v4
	s_delay_alu instid0(VALU_DEP_1)
	v_cmpx_gt_u32_e32 0x43800000, v6
	s_cbranch_execz .LBB433_369
; %bb.364:
	v_cmp_lt_u32_e32 vcc_lo, 0x3bffffff, v6
	s_mov_b32 s23, 0
                                        ; implicit-def: $vgpr6
	s_and_saveexec_b32 s40, vcc_lo
	s_delay_alu instid0(SALU_CYCLE_1)
	s_xor_b32 s40, exec_lo, s40
	s_cbranch_execz .LBB433_551
; %bb.365:
	v_bfe_u32 v6, v4, 20, 1
	s_mov_b32 s23, exec_lo
	s_delay_alu instid0(VALU_DEP_1) | instskip(NEXT) | instid1(VALU_DEP_1)
	v_add3_u32 v6, v4, v6, 0x487ffff
	v_lshrrev_b32_e32 v6, 20, v6
	s_or_saveexec_b32 s40, s40
                                        ; implicit-def: $sgpr41
	s_delay_alu instid0(SALU_CYCLE_1)
	s_xor_b32 exec_lo, exec_lo, s40
	s_cbranch_execnz .LBB433_552
.LBB433_366:
	s_or_b32 exec_lo, exec_lo, s40
	v_mov_b32_e32 v7, s41
	s_and_saveexec_b32 s40, s23
.LBB433_367:
	v_lshrrev_b32_e32 v4, 24, v4
	s_delay_alu instid0(VALU_DEP_1)
	v_and_or_b32 v7, 0x80, v4, v6
.LBB433_368:
	s_or_b32 exec_lo, exec_lo, s40
.LBB433_369:
	s_delay_alu instid0(SALU_CYCLE_1)
	s_or_b32 exec_lo, exec_lo, s22
	global_store_b8 v[0:1], v7, off
.LBB433_370:
	s_mov_b32 s22, -1
.LBB433_371:
	s_mov_b32 s23, 0
.LBB433_372:
	s_delay_alu instid0(SALU_CYCLE_1)
	s_and_b32 vcc_lo, exec_lo, s23
	s_cbranch_vccz .LBB433_413
; %bb.373:
	v_cmp_lt_i16_e32 vcc_lo, 22, v3
	s_mov_b32 s23, -1
	s_cbranch_vccz .LBB433_405
; %bb.374:
	v_cmp_gt_i16_e32 vcc_lo, 24, v3
	s_mov_b32 s22, -1
	s_cbranch_vccnz .LBB433_394
; %bb.375:
	v_cmp_lt_i16_e32 vcc_lo, 24, v3
	s_cbranch_vccz .LBB433_383
; %bb.376:
	v_bfe_i32 v4, v2, 0, 16
	v_mov_b32_e32 v7, 0x80
	s_mov_b32 s22, exec_lo
	s_delay_alu instid0(VALU_DEP_2) | instskip(NEXT) | instid1(VALU_DEP_1)
	v_cvt_f32_i32_e32 v4, v4
	v_and_b32_e32 v6, 0x7fffffff, v4
	s_delay_alu instid0(VALU_DEP_1)
	v_cmpx_gt_u32_e32 0x47800000, v6
	s_cbranch_execz .LBB433_382
; %bb.377:
	v_cmp_lt_u32_e32 vcc_lo, 0x37ffffff, v6
	s_mov_b32 s23, 0
                                        ; implicit-def: $vgpr6
	s_and_saveexec_b32 s40, vcc_lo
	s_delay_alu instid0(SALU_CYCLE_1)
	s_xor_b32 s40, exec_lo, s40
	s_cbranch_execz .LBB433_554
; %bb.378:
	v_bfe_u32 v6, v4, 21, 1
	s_mov_b32 s23, exec_lo
	s_delay_alu instid0(VALU_DEP_1) | instskip(NEXT) | instid1(VALU_DEP_1)
	v_add3_u32 v6, v4, v6, 0x88fffff
	v_lshrrev_b32_e32 v6, 21, v6
	s_or_saveexec_b32 s40, s40
                                        ; implicit-def: $sgpr41
	s_delay_alu instid0(SALU_CYCLE_1)
	s_xor_b32 exec_lo, exec_lo, s40
	s_cbranch_execnz .LBB433_555
.LBB433_379:
	s_or_b32 exec_lo, exec_lo, s40
	v_mov_b32_e32 v7, s41
	s_and_saveexec_b32 s40, s23
.LBB433_380:
	v_lshrrev_b32_e32 v4, 24, v4
	s_delay_alu instid0(VALU_DEP_1)
	v_and_or_b32 v7, 0x80, v4, v6
.LBB433_381:
	s_or_b32 exec_lo, exec_lo, s40
.LBB433_382:
	s_delay_alu instid0(SALU_CYCLE_1)
	s_or_b32 exec_lo, exec_lo, s22
	s_mov_b32 s22, 0
	global_store_b8 v[0:1], v7, off
.LBB433_383:
	s_and_b32 vcc_lo, exec_lo, s22
	s_cbranch_vccz .LBB433_393
; %bb.384:
	v_bfe_i32 v4, v2, 0, 16
	s_mov_b32 s22, exec_lo
                                        ; implicit-def: $vgpr6
	s_delay_alu instid0(VALU_DEP_1) | instskip(NEXT) | instid1(VALU_DEP_1)
	v_cvt_f32_i32_e32 v4, v4
	v_and_b32_e32 v7, 0x7fffffff, v4
	s_delay_alu instid0(VALU_DEP_1)
	v_cmpx_gt_u32_e32 0x43f00000, v7
	s_xor_b32 s22, exec_lo, s22
	s_cbranch_execz .LBB433_390
; %bb.385:
	s_mov_b32 s23, exec_lo
                                        ; implicit-def: $vgpr6
	v_cmpx_lt_u32_e32 0x3c7fffff, v7
	s_xor_b32 s23, exec_lo, s23
; %bb.386:
	v_bfe_u32 v6, v4, 20, 1
	s_delay_alu instid0(VALU_DEP_1) | instskip(NEXT) | instid1(VALU_DEP_1)
	v_add3_u32 v6, v4, v6, 0x407ffff
	v_and_b32_e32 v7, 0xff00000, v6
	v_lshrrev_b32_e32 v6, 20, v6
	s_delay_alu instid0(VALU_DEP_2) | instskip(NEXT) | instid1(VALU_DEP_2)
	v_cmp_ne_u32_e32 vcc_lo, 0x7f00000, v7
	v_cndmask_b32_e32 v6, 0x7e, v6, vcc_lo
; %bb.387:
	s_and_not1_saveexec_b32 s23, s23
; %bb.388:
	v_add_f32_e64 v6, 0x46800000, |v4|
; %bb.389:
	s_or_b32 exec_lo, exec_lo, s23
                                        ; implicit-def: $vgpr7
.LBB433_390:
	s_and_not1_saveexec_b32 s22, s22
; %bb.391:
	v_mov_b32_e32 v6, 0x7f
	v_cmp_lt_u32_e32 vcc_lo, 0x7f800000, v7
	s_delay_alu instid0(VALU_DEP_2)
	v_cndmask_b32_e32 v6, 0x7e, v6, vcc_lo
; %bb.392:
	s_or_b32 exec_lo, exec_lo, s22
	v_lshrrev_b32_e32 v4, 24, v4
	s_delay_alu instid0(VALU_DEP_1)
	v_and_or_b32 v4, 0x80, v4, v6
	global_store_b8 v[0:1], v4, off
.LBB433_393:
	s_mov_b32 s22, 0
.LBB433_394:
	s_delay_alu instid0(SALU_CYCLE_1)
	s_and_not1_b32 vcc_lo, exec_lo, s22
	s_cbranch_vccnz .LBB433_404
; %bb.395:
	v_bfe_i32 v4, v2, 0, 16
	s_mov_b32 s22, exec_lo
                                        ; implicit-def: $vgpr6
	s_delay_alu instid0(VALU_DEP_1) | instskip(NEXT) | instid1(VALU_DEP_1)
	v_cvt_f32_i32_e32 v4, v4
	v_and_b32_e32 v7, 0x7fffffff, v4
	s_delay_alu instid0(VALU_DEP_1)
	v_cmpx_gt_u32_e32 0x47800000, v7
	s_xor_b32 s22, exec_lo, s22
	s_cbranch_execz .LBB433_401
; %bb.396:
	s_mov_b32 s23, exec_lo
                                        ; implicit-def: $vgpr6
	v_cmpx_lt_u32_e32 0x387fffff, v7
	s_xor_b32 s23, exec_lo, s23
; %bb.397:
	v_bfe_u32 v6, v4, 21, 1
	s_delay_alu instid0(VALU_DEP_1) | instskip(NEXT) | instid1(VALU_DEP_1)
	v_add3_u32 v6, v4, v6, 0x80fffff
	v_lshrrev_b32_e32 v6, 21, v6
; %bb.398:
	s_and_not1_saveexec_b32 s23, s23
; %bb.399:
	v_add_f32_e64 v6, 0x43000000, |v4|
; %bb.400:
	s_or_b32 exec_lo, exec_lo, s23
                                        ; implicit-def: $vgpr7
.LBB433_401:
	s_and_not1_saveexec_b32 s22, s22
; %bb.402:
	v_mov_b32_e32 v6, 0x7f
	v_cmp_lt_u32_e32 vcc_lo, 0x7f800000, v7
	s_delay_alu instid0(VALU_DEP_2)
	v_cndmask_b32_e32 v6, 0x7c, v6, vcc_lo
; %bb.403:
	s_or_b32 exec_lo, exec_lo, s22
	v_lshrrev_b32_e32 v4, 24, v4
	s_delay_alu instid0(VALU_DEP_1)
	v_and_or_b32 v4, 0x80, v4, v6
	global_store_b8 v[0:1], v4, off
.LBB433_404:
	s_mov_b32 s23, 0
	s_mov_b32 s22, -1
.LBB433_405:
	s_and_not1_b32 vcc_lo, exec_lo, s23
	s_cbranch_vccnz .LBB433_413
; %bb.406:
	v_cmp_lt_i16_e32 vcc_lo, 14, v3
	s_mov_b32 s23, -1
	s_cbranch_vccz .LBB433_410
; %bb.407:
	v_cmp_eq_u16_e32 vcc_lo, 15, v3
	s_mov_b32 s2, -1
	s_cbranch_vccz .LBB433_409
; %bb.408:
	v_bfe_i32 v4, v2, 0, 16
	s_mov_b32 s22, -1
	s_mov_b32 s2, 0
	s_delay_alu instid0(VALU_DEP_1) | instskip(NEXT) | instid1(VALU_DEP_1)
	v_cvt_f32_i32_e32 v4, v4
	v_bfe_u32 v6, v4, 16, 1
	s_delay_alu instid0(VALU_DEP_1)
	v_add3_u32 v4, v4, v6, 0x7fff
	global_store_d16_hi_b16 v[0:1], v4, off
.LBB433_409:
	s_mov_b32 s23, 0
.LBB433_410:
	s_delay_alu instid0(SALU_CYCLE_1)
	s_and_b32 vcc_lo, exec_lo, s23
	s_cbranch_vccz .LBB433_413
; %bb.411:
	v_cmp_eq_u16_e32 vcc_lo, 11, v3
	s_mov_b32 s2, -1
	s_cbranch_vccz .LBB433_413
; %bb.412:
	v_cmp_ne_u16_e32 vcc_lo, 0, v2
	s_mov_b32 s2, 0
	s_mov_b32 s22, -1
	v_cndmask_b32_e64 v4, 0, 1, vcc_lo
	global_store_b8 v[0:1], v4, off
.LBB433_413:
.LBB433_414:
	s_and_not1_b32 vcc_lo, exec_lo, s22
	s_cbranch_vccnz .LBB433_329
.LBB433_415:
	v_add_nc_u32_e32 v5, 0x80, v5
	s_mov_b32 s22, -1
	s_branch .LBB433_524
.LBB433_416:
	s_mov_b32 s3, -1
                                        ; implicit-def: $vgpr3
.LBB433_417:
	s_mov_b32 s22, 0
.LBB433_418:
	s_delay_alu instid0(SALU_CYCLE_1)
	s_and_b32 vcc_lo, exec_lo, s22
	s_cbranch_vccz .LBB433_422
; %bb.419:
	v_cmp_eq_u16_e32 vcc_lo, 29, v6
	s_cbranch_vccz .LBB433_421
; %bb.420:
	global_load_b64 v[3:4], v[1:2], off
	s_mov_b32 s2, -1
	s_mov_b32 s3, 0
	s_branch .LBB433_422
.LBB433_421:
	s_mov_b32 s3, -1
                                        ; implicit-def: $vgpr3
.LBB433_422:
	s_mov_b32 s22, 0
.LBB433_423:
	s_delay_alu instid0(SALU_CYCLE_1)
	s_and_b32 vcc_lo, exec_lo, s22
	s_cbranch_vccz .LBB433_439
; %bb.424:
	v_cmp_gt_i16_e32 vcc_lo, 27, v6
	s_cbranch_vccnz .LBB433_427
; %bb.425:
	v_cmp_lt_i16_e32 vcc_lo, 27, v6
	s_cbranch_vccz .LBB433_428
; %bb.426:
	global_load_b32 v3, v[1:2], off
	s_mov_b32 s2, 0
	s_branch .LBB433_429
.LBB433_427:
	s_mov_b32 s2, -1
                                        ; implicit-def: $vgpr3
	s_branch .LBB433_432
.LBB433_428:
	s_mov_b32 s2, -1
                                        ; implicit-def: $vgpr3
.LBB433_429:
	s_delay_alu instid0(SALU_CYCLE_1)
	s_and_not1_b32 vcc_lo, exec_lo, s2
	s_cbranch_vccnz .LBB433_431
; %bb.430:
	global_load_u16 v3, v[1:2], off
.LBB433_431:
	s_mov_b32 s2, 0
.LBB433_432:
	s_delay_alu instid0(SALU_CYCLE_1)
	s_and_not1_b32 vcc_lo, exec_lo, s2
	s_cbranch_vccnz .LBB433_438
; %bb.433:
	global_load_u8 v4, v[1:2], off
	s_mov_b32 s2, 0
	s_mov_b32 s22, exec_lo
                                        ; implicit-def: $sgpr23
	s_waitcnt vmcnt(0)
	v_cmpx_lt_i16_e32 0x7f, v4
	s_xor_b32 s22, exec_lo, s22
	s_cbranch_execz .LBB433_450
; %bb.434:
	v_cmp_ne_u16_e32 vcc_lo, 0x80, v4
	s_mov_b32 s23, 0
	s_and_b32 s2, vcc_lo, exec_lo
	s_or_saveexec_b32 s22, s22
	v_mov_b32_e32 v3, s23
	s_xor_b32 exec_lo, exec_lo, s22
	s_cbranch_execnz .LBB433_451
.LBB433_435:
	s_or_b32 exec_lo, exec_lo, s22
	s_and_saveexec_b32 s22, s2
	s_cbranch_execz .LBB433_437
.LBB433_436:
	v_and_b32_e32 v3, 0xffff, v4
	s_delay_alu instid0(VALU_DEP_1) | instskip(NEXT) | instid1(VALU_DEP_1)
	v_and_b32_e32 v7, 7, v3
	v_clz_i32_u32_e32 v8, v7
	s_delay_alu instid0(VALU_DEP_1) | instskip(NEXT) | instid1(VALU_DEP_1)
	v_min_u32_e32 v8, 32, v8
	v_subrev_nc_u32_e32 v9, 28, v8
	v_sub_nc_u32_e32 v8, 29, v8
	s_delay_alu instid0(VALU_DEP_2) | instskip(SKIP_1) | instid1(VALU_DEP_2)
	v_lshlrev_b32_e32 v9, v9, v3
	v_bfe_u32 v3, v3, 3, 4
	v_and_b32_e32 v9, 7, v9
	s_delay_alu instid0(VALU_DEP_2) | instskip(NEXT) | instid1(VALU_DEP_2)
	v_cmp_eq_u32_e32 vcc_lo, 0, v3
	v_dual_cndmask_b32 v7, v7, v9 :: v_dual_lshlrev_b32 v4, 24, v4
	v_cndmask_b32_e32 v3, v3, v8, vcc_lo
	s_delay_alu instid0(VALU_DEP_2) | instskip(NEXT) | instid1(VALU_DEP_3)
	v_and_b32_e32 v4, 0x80000000, v4
	v_lshlrev_b32_e32 v7, 20, v7
	s_delay_alu instid0(VALU_DEP_3) | instskip(NEXT) | instid1(VALU_DEP_1)
	v_lshl_add_u32 v3, v3, 23, 0x3b800000
	v_or3_b32 v3, v4, v3, v7
	s_delay_alu instid0(VALU_DEP_1)
	v_cvt_i32_f32_e32 v3, v3
.LBB433_437:
	s_or_b32 exec_lo, exec_lo, s22
.LBB433_438:
	s_mov_b32 s2, -1
.LBB433_439:
	s_mov_b32 s22, 0
.LBB433_440:
	s_delay_alu instid0(SALU_CYCLE_1)
	s_and_b32 vcc_lo, exec_lo, s22
	s_cbranch_vccz .LBB433_473
; %bb.441:
	v_cmp_lt_i16_e32 vcc_lo, 22, v6
	s_cbranch_vccz .LBB433_449
; %bb.442:
	v_cmp_gt_i16_e32 vcc_lo, 24, v6
	s_cbranch_vccnz .LBB433_452
; %bb.443:
	v_cmp_lt_i16_e32 vcc_lo, 24, v6
	s_cbranch_vccz .LBB433_453
; %bb.444:
	global_load_u8 v4, v[1:2], off
	s_mov_b32 s2, 0
	s_mov_b32 s22, exec_lo
                                        ; implicit-def: $sgpr23
	s_waitcnt vmcnt(0)
	v_cmpx_lt_i16_e32 0x7f, v4
	s_xor_b32 s22, exec_lo, s22
	s_cbranch_execz .LBB433_465
; %bb.445:
	v_cmp_ne_u16_e32 vcc_lo, 0x80, v4
	s_mov_b32 s23, 0
	s_and_b32 s2, vcc_lo, exec_lo
	s_or_saveexec_b32 s22, s22
	v_mov_b32_e32 v3, s23
	s_xor_b32 exec_lo, exec_lo, s22
	s_cbranch_execnz .LBB433_466
.LBB433_446:
	s_or_b32 exec_lo, exec_lo, s22
	s_and_saveexec_b32 s22, s2
	s_cbranch_execz .LBB433_448
.LBB433_447:
	v_and_b32_e32 v3, 0xffff, v4
	s_delay_alu instid0(VALU_DEP_1) | instskip(NEXT) | instid1(VALU_DEP_1)
	v_and_b32_e32 v7, 3, v3
	v_clz_i32_u32_e32 v8, v7
	s_delay_alu instid0(VALU_DEP_1) | instskip(NEXT) | instid1(VALU_DEP_1)
	v_min_u32_e32 v8, 32, v8
	v_subrev_nc_u32_e32 v9, 29, v8
	v_sub_nc_u32_e32 v8, 30, v8
	s_delay_alu instid0(VALU_DEP_2) | instskip(SKIP_1) | instid1(VALU_DEP_2)
	v_lshlrev_b32_e32 v9, v9, v3
	v_bfe_u32 v3, v3, 2, 5
	v_and_b32_e32 v9, 3, v9
	s_delay_alu instid0(VALU_DEP_2) | instskip(NEXT) | instid1(VALU_DEP_2)
	v_cmp_eq_u32_e32 vcc_lo, 0, v3
	v_dual_cndmask_b32 v7, v7, v9 :: v_dual_lshlrev_b32 v4, 24, v4
	v_cndmask_b32_e32 v3, v3, v8, vcc_lo
	s_delay_alu instid0(VALU_DEP_2) | instskip(NEXT) | instid1(VALU_DEP_3)
	v_and_b32_e32 v4, 0x80000000, v4
	v_lshlrev_b32_e32 v7, 21, v7
	s_delay_alu instid0(VALU_DEP_3) | instskip(NEXT) | instid1(VALU_DEP_1)
	v_lshl_add_u32 v3, v3, 23, 0x37800000
	v_or3_b32 v3, v4, v3, v7
	s_delay_alu instid0(VALU_DEP_1)
	v_cvt_i32_f32_e32 v3, v3
.LBB433_448:
	s_or_b32 exec_lo, exec_lo, s22
	s_mov_b32 s2, 0
	s_branch .LBB433_454
.LBB433_449:
	s_mov_b32 s22, -1
                                        ; implicit-def: $vgpr3
	s_branch .LBB433_460
.LBB433_450:
	s_or_saveexec_b32 s22, s22
	v_mov_b32_e32 v3, s23
	s_xor_b32 exec_lo, exec_lo, s22
	s_cbranch_execz .LBB433_435
.LBB433_451:
	v_cmp_ne_u16_e32 vcc_lo, 0, v4
	v_mov_b32_e32 v3, 0
	s_and_not1_b32 s2, s2, exec_lo
	s_and_b32 s23, vcc_lo, exec_lo
	s_delay_alu instid0(SALU_CYCLE_1)
	s_or_b32 s2, s2, s23
	s_or_b32 exec_lo, exec_lo, s22
	s_and_saveexec_b32 s22, s2
	s_cbranch_execnz .LBB433_436
	s_branch .LBB433_437
.LBB433_452:
	s_mov_b32 s2, -1
                                        ; implicit-def: $vgpr3
	s_branch .LBB433_457
.LBB433_453:
	s_mov_b32 s2, -1
                                        ; implicit-def: $vgpr3
.LBB433_454:
	s_delay_alu instid0(SALU_CYCLE_1)
	s_and_b32 vcc_lo, exec_lo, s2
	s_cbranch_vccz .LBB433_456
; %bb.455:
	global_load_u8 v3, v[1:2], off
	s_waitcnt vmcnt(0)
	v_lshlrev_b32_e32 v3, 24, v3
	s_delay_alu instid0(VALU_DEP_1) | instskip(NEXT) | instid1(VALU_DEP_1)
	v_and_b32_e32 v4, 0x7f000000, v3
	v_clz_i32_u32_e32 v7, v4
	v_cmp_ne_u32_e32 vcc_lo, 0, v4
	v_add_nc_u32_e32 v9, 0x1000000, v4
	s_delay_alu instid0(VALU_DEP_3) | instskip(NEXT) | instid1(VALU_DEP_1)
	v_min_u32_e32 v7, 32, v7
	v_sub_nc_u32_e64 v7, v7, 4 clamp
	s_delay_alu instid0(VALU_DEP_1) | instskip(SKIP_1) | instid1(VALU_DEP_2)
	v_lshlrev_b32_e32 v8, v7, v4
	v_lshlrev_b32_e32 v7, 23, v7
	v_lshrrev_b32_e32 v8, 4, v8
	s_delay_alu instid0(VALU_DEP_1) | instskip(SKIP_1) | instid1(VALU_DEP_2)
	v_sub_nc_u32_e32 v7, v8, v7
	v_ashrrev_i32_e32 v8, 8, v9
	v_add_nc_u32_e32 v7, 0x3c000000, v7
	s_delay_alu instid0(VALU_DEP_1) | instskip(NEXT) | instid1(VALU_DEP_1)
	v_and_or_b32 v7, 0x7f800000, v8, v7
	v_cndmask_b32_e32 v4, 0, v7, vcc_lo
	s_delay_alu instid0(VALU_DEP_1) | instskip(NEXT) | instid1(VALU_DEP_1)
	v_and_or_b32 v3, 0x80000000, v3, v4
	v_cvt_i32_f32_e32 v3, v3
.LBB433_456:
	s_mov_b32 s2, 0
.LBB433_457:
	s_delay_alu instid0(SALU_CYCLE_1)
	s_and_not1_b32 vcc_lo, exec_lo, s2
	s_cbranch_vccnz .LBB433_459
; %bb.458:
	global_load_u8 v3, v[1:2], off
	s_waitcnt vmcnt(0)
	v_lshlrev_b32_e32 v4, 25, v3
	v_lshlrev_b16 v3, 8, v3
	s_delay_alu instid0(VALU_DEP_2) | instskip(NEXT) | instid1(VALU_DEP_2)
	v_lshrrev_b32_e32 v7, 4, v4
	v_and_or_b32 v8, 0x7f00, v3, 0.5
	v_cmp_gt_u32_e32 vcc_lo, 0x8000000, v4
	v_bfe_i32 v3, v3, 0, 16
	s_delay_alu instid0(VALU_DEP_4) | instskip(NEXT) | instid1(VALU_DEP_1)
	v_or_b32_e32 v7, 0x70000000, v7
	v_dual_add_f32 v8, -0.5, v8 :: v_dual_mul_f32 v7, 0x7800000, v7
	s_delay_alu instid0(VALU_DEP_1) | instskip(NEXT) | instid1(VALU_DEP_1)
	v_cndmask_b32_e32 v4, v7, v8, vcc_lo
	v_and_or_b32 v3, 0x80000000, v3, v4
	s_delay_alu instid0(VALU_DEP_1)
	v_cvt_i32_f32_e32 v3, v3
.LBB433_459:
	s_mov_b32 s22, 0
	s_mov_b32 s2, -1
.LBB433_460:
	s_and_not1_b32 vcc_lo, exec_lo, s22
	s_cbranch_vccnz .LBB433_473
; %bb.461:
	v_cmp_lt_i16_e32 vcc_lo, 14, v6
	s_cbranch_vccz .LBB433_464
; %bb.462:
	v_cmp_eq_u16_e32 vcc_lo, 15, v6
	s_cbranch_vccz .LBB433_467
; %bb.463:
	global_load_u16 v3, v[1:2], off
	s_mov_b32 s2, -1
	s_mov_b32 s3, 0
	s_waitcnt vmcnt(0)
	v_lshlrev_b32_e32 v3, 16, v3
	s_delay_alu instid0(VALU_DEP_1)
	v_cvt_i32_f32_e32 v3, v3
	s_branch .LBB433_468
.LBB433_464:
	s_mov_b32 s22, -1
                                        ; implicit-def: $vgpr3
	s_branch .LBB433_469
.LBB433_465:
	s_or_saveexec_b32 s22, s22
	v_mov_b32_e32 v3, s23
	s_xor_b32 exec_lo, exec_lo, s22
	s_cbranch_execz .LBB433_446
.LBB433_466:
	v_cmp_ne_u16_e32 vcc_lo, 0, v4
	v_mov_b32_e32 v3, 0
	s_and_not1_b32 s2, s2, exec_lo
	s_and_b32 s23, vcc_lo, exec_lo
	s_delay_alu instid0(SALU_CYCLE_1)
	s_or_b32 s2, s2, s23
	s_or_b32 exec_lo, exec_lo, s22
	s_and_saveexec_b32 s22, s2
	s_cbranch_execnz .LBB433_447
	s_branch .LBB433_448
.LBB433_467:
	s_mov_b32 s3, -1
                                        ; implicit-def: $vgpr3
.LBB433_468:
	s_mov_b32 s22, 0
.LBB433_469:
	s_delay_alu instid0(SALU_CYCLE_1)
	s_and_b32 vcc_lo, exec_lo, s22
	s_cbranch_vccz .LBB433_473
; %bb.470:
	v_cmp_eq_u16_e32 vcc_lo, 11, v6
	s_cbranch_vccz .LBB433_472
; %bb.471:
	global_load_u8 v3, v[1:2], off
	s_mov_b32 s3, 0
	s_mov_b32 s2, -1
	s_waitcnt vmcnt(0)
	v_cmp_ne_u16_e32 vcc_lo, 0, v3
	v_cndmask_b32_e64 v3, 0, 1, vcc_lo
	s_branch .LBB433_473
.LBB433_472:
	s_mov_b32 s3, -1
                                        ; implicit-def: $vgpr3
.LBB433_473:
	s_branch .LBB433_282
.LBB433_474:
	v_cmp_gt_i16_e32 vcc_lo, 5, v6
	s_cbranch_vccnz .LBB433_479
; %bb.475:
	v_cmp_gt_i16_e32 vcc_lo, 8, v6
	s_cbranch_vccnz .LBB433_480
; %bb.476:
	v_cmp_gt_i16_e32 vcc_lo, 9, v6
	s_cbranch_vccnz .LBB433_481
; %bb.477:
	v_cmp_lt_i16_e32 vcc_lo, 9, v6
	s_cbranch_vccz .LBB433_482
; %bb.478:
	global_load_b64 v[3:4], v[1:2], off
	s_mov_b32 s2, 0
	s_waitcnt vmcnt(0)
	v_cvt_i32_f64_e32 v3, v[3:4]
	s_branch .LBB433_483
.LBB433_479:
	s_mov_b32 s2, -1
                                        ; implicit-def: $vgpr3
	s_branch .LBB433_501
.LBB433_480:
	s_mov_b32 s2, -1
                                        ; implicit-def: $vgpr3
	s_branch .LBB433_489
.LBB433_481:
	s_mov_b32 s2, -1
                                        ; implicit-def: $vgpr3
	s_branch .LBB433_486
.LBB433_482:
	s_mov_b32 s2, -1
                                        ; implicit-def: $vgpr3
.LBB433_483:
	s_delay_alu instid0(SALU_CYCLE_1)
	s_and_not1_b32 vcc_lo, exec_lo, s2
	s_cbranch_vccnz .LBB433_485
; %bb.484:
	global_load_b32 v3, v[1:2], off
	s_waitcnt vmcnt(0)
	v_cvt_i32_f32_e32 v3, v3
.LBB433_485:
	s_mov_b32 s2, 0
.LBB433_486:
	s_delay_alu instid0(SALU_CYCLE_1)
	s_and_not1_b32 vcc_lo, exec_lo, s2
	s_cbranch_vccnz .LBB433_488
; %bb.487:
	global_load_b32 v3, v[1:2], off
	s_waitcnt vmcnt(0)
	v_cvt_i16_f16_e32 v3, v3
.LBB433_488:
	s_mov_b32 s2, 0
.LBB433_489:
	s_delay_alu instid0(SALU_CYCLE_1)
	s_and_not1_b32 vcc_lo, exec_lo, s2
	s_cbranch_vccnz .LBB433_500
; %bb.490:
	v_cmp_gt_i16_e32 vcc_lo, 6, v6
	s_cbranch_vccnz .LBB433_493
; %bb.491:
	v_cmp_lt_i16_e32 vcc_lo, 6, v6
	s_cbranch_vccz .LBB433_494
; %bb.492:
	global_load_b64 v[3:4], v[1:2], off
	s_mov_b32 s2, 0
	s_waitcnt vmcnt(0)
	v_cvt_i32_f64_e32 v3, v[3:4]
	s_branch .LBB433_495
.LBB433_493:
	s_mov_b32 s2, -1
                                        ; implicit-def: $vgpr3
	s_branch .LBB433_498
.LBB433_494:
	s_mov_b32 s2, -1
                                        ; implicit-def: $vgpr3
.LBB433_495:
	s_delay_alu instid0(SALU_CYCLE_1)
	s_and_not1_b32 vcc_lo, exec_lo, s2
	s_cbranch_vccnz .LBB433_497
; %bb.496:
	global_load_b32 v3, v[1:2], off
	s_waitcnt vmcnt(0)
	v_cvt_i32_f32_e32 v3, v3
.LBB433_497:
	s_mov_b32 s2, 0
.LBB433_498:
	s_delay_alu instid0(SALU_CYCLE_1)
	s_and_not1_b32 vcc_lo, exec_lo, s2
	s_cbranch_vccnz .LBB433_500
; %bb.499:
	global_load_u16 v3, v[1:2], off
	s_waitcnt vmcnt(0)
	v_cvt_i16_f16_e32 v3, v3
.LBB433_500:
	s_mov_b32 s2, 0
.LBB433_501:
	s_delay_alu instid0(SALU_CYCLE_1)
	s_and_not1_b32 vcc_lo, exec_lo, s2
	s_cbranch_vccnz .LBB433_521
; %bb.502:
	v_cmp_gt_i16_e32 vcc_lo, 2, v6
	s_cbranch_vccnz .LBB433_506
; %bb.503:
	v_cmp_gt_i16_e32 vcc_lo, 3, v6
	s_cbranch_vccnz .LBB433_507
; %bb.504:
	v_cmp_lt_i16_e32 vcc_lo, 3, v6
	s_cbranch_vccz .LBB433_508
; %bb.505:
	global_load_b64 v[3:4], v[1:2], off
	s_mov_b32 s2, 0
	s_branch .LBB433_509
.LBB433_506:
	s_mov_b32 s2, -1
                                        ; implicit-def: $vgpr3
	s_branch .LBB433_515
.LBB433_507:
	s_mov_b32 s2, -1
                                        ; implicit-def: $vgpr3
	s_branch .LBB433_512
.LBB433_508:
	s_mov_b32 s2, -1
                                        ; implicit-def: $vgpr3
.LBB433_509:
	s_delay_alu instid0(SALU_CYCLE_1)
	s_and_not1_b32 vcc_lo, exec_lo, s2
	s_cbranch_vccnz .LBB433_511
; %bb.510:
	global_load_b32 v3, v[1:2], off
.LBB433_511:
	s_mov_b32 s2, 0
.LBB433_512:
	s_delay_alu instid0(SALU_CYCLE_1)
	s_and_not1_b32 vcc_lo, exec_lo, s2
	s_cbranch_vccnz .LBB433_514
; %bb.513:
	global_load_u16 v3, v[1:2], off
.LBB433_514:
	s_mov_b32 s2, 0
.LBB433_515:
	s_delay_alu instid0(SALU_CYCLE_1)
	s_and_not1_b32 vcc_lo, exec_lo, s2
	s_cbranch_vccnz .LBB433_521
; %bb.516:
	v_cmp_lt_i16_e32 vcc_lo, 0, v6
	s_mov_b32 s2, 0
	s_cbranch_vccz .LBB433_518
; %bb.517:
	global_load_u8 v3, v[1:2], off
	s_branch .LBB433_519
.LBB433_518:
	s_mov_b32 s2, -1
                                        ; implicit-def: $vgpr3
.LBB433_519:
	s_delay_alu instid0(SALU_CYCLE_1)
	s_and_not1_b32 vcc_lo, exec_lo, s2
	s_cbranch_vccnz .LBB433_521
; %bb.520:
	global_load_u8 v3, v[1:2], off
.LBB433_521:
	s_branch .LBB433_283
.LBB433_522:
	s_mov_b32 s22, 0
	s_mov_b32 s2, s37
.LBB433_523:
                                        ; implicit-def: $vgpr5
.LBB433_524:
	s_and_not1_b32 s23, s37, exec_lo
	s_and_b32 s2, s2, exec_lo
	s_and_not1_b32 s40, s38, exec_lo
	s_and_b32 s3, s3, exec_lo
	s_or_b32 s41, s23, s2
	s_or_b32 s40, s40, s3
	s_or_not1_b32 s2, s22, exec_lo
.LBB433_525:
	s_or_b32 exec_lo, exec_lo, s42
	s_mov_b32 s3, 0
	s_mov_b32 s23, 0
	s_mov_b32 s43, 0
                                        ; implicit-def: $vgpr6
                                        ; implicit-def: $vgpr1_vgpr2
                                        ; implicit-def: $vgpr0
                                        ; implicit-def: $vgpr3
	s_and_saveexec_b32 s42, s2
	s_cbranch_execz .LBB433_889
; %bb.526:
	s_mov_b32 s45, -1
	s_mov_b32 s22, s40
	s_mov_b32 s23, s41
	s_mov_b32 s43, exec_lo
	v_cmpx_gt_i32_e64 s34, v5
	s_cbranch_execz .LBB433_794
; %bb.527:
	s_and_not1_b32 vcc_lo, exec_lo, s27
	s_cbranch_vccnz .LBB433_532
; %bb.528:
	v_dual_mov_b32 v0, 0 :: v_dual_mov_b32 v1, 0
	s_and_not1_b32 vcc_lo, exec_lo, s36
	s_mov_b32 s44, 0
	s_cbranch_vccnz .LBB433_537
; %bb.529:
	v_mov_b32_e32 v0, 0
	s_add_i32 s46, s35, 1
	s_cmp_eq_u32 s25, 2
	s_mov_b32 s45, 0
	s_cbranch_scc1 .LBB433_533
; %bb.530:
	v_dual_mov_b32 v1, 0 :: v_dual_mov_b32 v0, 0
	v_mov_b32_e32 v2, v5
	s_and_b32 s45, s46, 28
	s_mov_b32 s47, 0
	s_mov_b64 s[2:3], s[20:21]
	s_mov_b64 s[22:23], s[16:17]
.LBB433_531:                            ; =>This Inner Loop Header: Depth=1
	s_clause 0x1
	s_load_b256 s[48:55], s[22:23], 0x4
	s_load_b128 s[64:67], s[22:23], 0x24
	s_load_b256 s[56:63], s[2:3], 0x0
	s_add_u32 s22, s22, 48
	s_addc_u32 s23, s23, 0
	s_add_i32 s47, s47, 4
	s_add_u32 s2, s2, 32
	s_addc_u32 s3, s3, 0
	s_cmp_eq_u32 s45, s47
	s_waitcnt vmcnt(0) lgkmcnt(0)
	v_mul_hi_u32 v3, s49, v2
	s_delay_alu instid0(VALU_DEP_1) | instskip(NEXT) | instid1(VALU_DEP_1)
	v_add_nc_u32_e32 v3, v2, v3
	v_lshrrev_b32_e32 v3, s50, v3
	s_delay_alu instid0(VALU_DEP_1) | instskip(SKIP_1) | instid1(VALU_DEP_2)
	v_mul_hi_u32 v4, s52, v3
	v_mul_lo_u32 v7, v3, s48
	v_add_nc_u32_e32 v4, v3, v4
	s_delay_alu instid0(VALU_DEP_2) | instskip(NEXT) | instid1(VALU_DEP_2)
	v_sub_nc_u32_e32 v2, v2, v7
	v_lshrrev_b32_e32 v4, s53, v4
	s_delay_alu instid0(VALU_DEP_2) | instskip(SKIP_1) | instid1(VALU_DEP_3)
	v_mul_lo_u32 v7, v2, s56
	v_mul_lo_u32 v9, v2, s57
	v_mul_hi_u32 v6, s55, v4
	s_delay_alu instid0(VALU_DEP_1) | instskip(NEXT) | instid1(VALU_DEP_1)
	v_add_nc_u32_e32 v6, v4, v6
	v_lshrrev_b32_e32 v6, s64, v6
	s_delay_alu instid0(VALU_DEP_1) | instskip(SKIP_1) | instid1(VALU_DEP_2)
	v_mul_hi_u32 v8, s66, v6
	v_mul_lo_u32 v10, v6, s54
	v_add_nc_u32_e32 v2, v6, v8
	v_mul_lo_u32 v8, v4, s51
	s_delay_alu instid0(VALU_DEP_3) | instskip(NEXT) | instid1(VALU_DEP_3)
	v_sub_nc_u32_e32 v4, v4, v10
	v_lshrrev_b32_e32 v2, s67, v2
	s_delay_alu instid0(VALU_DEP_2) | instskip(SKIP_2) | instid1(VALU_DEP_4)
	v_mul_lo_u32 v10, v4, s60
	v_mul_lo_u32 v4, v4, s61
	v_sub_nc_u32_e32 v3, v3, v8
	v_mul_lo_u32 v11, v2, s65
	s_delay_alu instid0(VALU_DEP_2) | instskip(SKIP_1) | instid1(VALU_DEP_3)
	v_mul_lo_u32 v8, v3, s58
	v_mul_lo_u32 v3, v3, s59
	v_sub_nc_u32_e32 v6, v6, v11
	s_delay_alu instid0(VALU_DEP_3) | instskip(NEXT) | instid1(VALU_DEP_2)
	v_add3_u32 v0, v7, v0, v8
	v_mul_lo_u32 v11, v6, s62
	v_mul_lo_u32 v6, v6, s63
	v_add3_u32 v1, v9, v1, v3
	s_delay_alu instid0(VALU_DEP_3) | instskip(NEXT) | instid1(VALU_DEP_2)
	v_add3_u32 v0, v10, v0, v11
	v_add3_u32 v1, v4, v1, v6
	s_cbranch_scc0 .LBB433_531
	s_branch .LBB433_534
.LBB433_532:
	s_mov_b32 s44, -1
                                        ; implicit-def: $vgpr0
                                        ; implicit-def: $vgpr1
	s_branch .LBB433_537
.LBB433_533:
	v_dual_mov_b32 v2, v5 :: v_dual_mov_b32 v1, 0
.LBB433_534:
	s_and_b32 s46, s46, 3
	s_delay_alu instid0(SALU_CYCLE_1)
	s_cmp_eq_u32 s46, 0
	s_cbranch_scc1 .LBB433_537
; %bb.535:
	s_lshl_b32 s2, s45, 3
	s_mul_i32 s22, s45, 12
	s_add_u32 s2, s2, s16
	s_addc_u32 s3, s17, 0
	s_add_u32 s2, s2, 0xc4
	s_addc_u32 s3, s3, 0
	;; [unrolled: 2-line block ×3, first 2 shown]
	.p2align	6
.LBB433_536:                            ; =>This Inner Loop Header: Depth=1
	s_clause 0x1
	s_load_b64 s[48:49], s[22:23], 0x4
	s_load_b32 s45, s[22:23], 0xc
	s_load_b64 s[50:51], s[2:3], 0x0
	s_add_u32 s22, s22, 12
	s_addc_u32 s23, s23, 0
	s_add_u32 s2, s2, 8
	s_addc_u32 s3, s3, 0
	s_add_i32 s46, s46, -1
	s_delay_alu instid0(SALU_CYCLE_1) | instskip(SKIP_2) | instid1(VALU_DEP_1)
	s_cmp_lg_u32 s46, 0
	s_waitcnt vmcnt(0) lgkmcnt(0)
	v_mul_hi_u32 v3, s49, v2
	v_add_nc_u32_e32 v3, v2, v3
	s_delay_alu instid0(VALU_DEP_1) | instskip(NEXT) | instid1(VALU_DEP_1)
	v_lshrrev_b32_e32 v8, s45, v3
	v_mul_lo_u32 v3, v8, s48
	s_delay_alu instid0(VALU_DEP_1) | instskip(NEXT) | instid1(VALU_DEP_1)
	v_sub_nc_u32_e32 v2, v2, v3
	v_mad_u64_u32 v[3:4], null, v2, s50, v[0:1]
	v_mad_u64_u32 v[6:7], null, v2, s51, v[1:2]
	v_mov_b32_e32 v2, v8
	s_delay_alu instid0(VALU_DEP_2)
	v_dual_mov_b32 v0, v3 :: v_dual_mov_b32 v1, v6
	s_cbranch_scc1 .LBB433_536
.LBB433_537:
	s_and_not1_b32 vcc_lo, exec_lo, s44
	s_cbranch_vccnz .LBB433_540
; %bb.538:
	v_mul_hi_u32 v0, s13, v5
	s_and_not1_b32 vcc_lo, exec_lo, s33
	s_delay_alu instid0(VALU_DEP_1) | instskip(NEXT) | instid1(VALU_DEP_1)
	v_add_nc_u32_e32 v0, v5, v0
	v_lshrrev_b32_e32 v2, s14, v0
	s_delay_alu instid0(VALU_DEP_1) | instskip(NEXT) | instid1(VALU_DEP_1)
	v_mul_lo_u32 v0, v2, s12
	v_sub_nc_u32_e32 v1, v5, v0
	s_delay_alu instid0(VALU_DEP_1)
	v_mul_lo_u32 v0, v1, s8
	v_mul_lo_u32 v1, v1, s9
	s_cbranch_vccnz .LBB433_540
; %bb.539:
	s_waitcnt vmcnt(0)
	v_mul_hi_u32 v3, s18, v2
	s_delay_alu instid0(VALU_DEP_1) | instskip(NEXT) | instid1(VALU_DEP_1)
	v_add_nc_u32_e32 v3, v2, v3
	v_lshrrev_b32_e32 v3, s19, v3
	s_delay_alu instid0(VALU_DEP_1) | instskip(NEXT) | instid1(VALU_DEP_1)
	v_mul_lo_u32 v3, v3, s15
	v_sub_nc_u32_e32 v6, v2, v3
	s_delay_alu instid0(VALU_DEP_1) | instskip(NEXT) | instid1(VALU_DEP_1)
	v_mad_u64_u32 v[2:3], null, v6, s10, v[0:1]
	v_mad_u64_u32 v[3:4], null, v6, s11, v[1:2]
	s_delay_alu instid0(VALU_DEP_1)
	v_dual_mov_b32 v0, v2 :: v_dual_mov_b32 v1, v3
.LBB433_540:
	v_and_b32_e64 v6, 0xff, s31
	s_delay_alu instid0(VALU_DEP_2) | instskip(NEXT) | instid1(VALU_DEP_1)
	v_add_co_u32 v1, s2, s6, v1
	v_add_co_ci_u32_e64 v2, null, s7, 0, s2
	s_delay_alu instid0(VALU_DEP_3)
	v_cmp_gt_i16_e32 vcc_lo, 11, v6
	s_mov_b32 s2, 0
	s_cbranch_vccnz .LBB433_547
; %bb.541:
	v_cmp_lt_i16_e32 vcc_lo, 25, v6
	s_cbranch_vccz .LBB433_548
; %bb.542:
	v_cmp_lt_i16_e32 vcc_lo, 28, v6
	s_cbranch_vccz .LBB433_549
	;; [unrolled: 3-line block ×4, first 2 shown]
; %bb.545:
	v_cmp_eq_u16_e32 vcc_lo, 46, v6
	s_mov_b32 s22, 0
	s_cbranch_vccz .LBB433_556
; %bb.546:
	global_load_b32 v3, v[1:2], off
	s_mov_b32 s2, -1
	s_mov_b32 s3, 0
	s_waitcnt vmcnt(0)
	v_lshlrev_b32_e32 v3, 16, v3
	s_delay_alu instid0(VALU_DEP_1)
	v_cvt_i32_f32_e32 v3, v3
	s_branch .LBB433_558
.LBB433_547:
	s_mov_b32 s22, -1
	s_mov_b32 s3, s40
                                        ; implicit-def: $vgpr3
	s_branch .LBB433_619
.LBB433_548:
	s_mov_b32 s22, -1
	s_mov_b32 s3, s40
                                        ; implicit-def: $vgpr3
	s_branch .LBB433_585
.LBB433_549:
	s_mov_b32 s22, -1
	s_mov_b32 s3, s40
                                        ; implicit-def: $vgpr3
	s_branch .LBB433_568
.LBB433_550:
	s_mov_b32 s22, -1
	s_mov_b32 s3, s40
                                        ; implicit-def: $vgpr3
	s_branch .LBB433_563
.LBB433_551:
	s_or_saveexec_b32 s40, s40
                                        ; implicit-def: $sgpr41
	s_delay_alu instid0(SALU_CYCLE_1)
	s_xor_b32 exec_lo, exec_lo, s40
	s_cbranch_execz .LBB433_366
.LBB433_552:
	v_add_f32_e64 v6, 0x46000000, |v4|
	s_and_not1_b32 s23, s23, exec_lo
	s_mov_b32 s41, 0
	s_delay_alu instid0(VALU_DEP_1) | instskip(NEXT) | instid1(VALU_DEP_1)
	v_and_b32_e32 v6, 0xff, v6
	v_cmp_ne_u32_e32 vcc_lo, 0, v6
	s_and_b32 s43, vcc_lo, exec_lo
	s_delay_alu instid0(SALU_CYCLE_1)
	s_or_b32 s23, s23, s43
	s_or_b32 exec_lo, exec_lo, s40
	v_mov_b32_e32 v7, s41
	s_and_saveexec_b32 s40, s23
	s_cbranch_execnz .LBB433_367
	s_branch .LBB433_368
.LBB433_553:
	s_mov_b32 s22, -1
	s_mov_b32 s3, s40
	s_branch .LBB433_557
.LBB433_554:
	s_or_saveexec_b32 s40, s40
                                        ; implicit-def: $sgpr41
	s_delay_alu instid0(SALU_CYCLE_1)
	s_xor_b32 exec_lo, exec_lo, s40
	s_cbranch_execz .LBB433_379
.LBB433_555:
	v_add_f32_e64 v6, 0x42800000, |v4|
	s_and_not1_b32 s23, s23, exec_lo
	s_mov_b32 s41, 0
	s_delay_alu instid0(VALU_DEP_1) | instskip(NEXT) | instid1(VALU_DEP_1)
	v_and_b32_e32 v6, 0xff, v6
	v_cmp_ne_u32_e32 vcc_lo, 0, v6
	s_and_b32 s43, vcc_lo, exec_lo
	s_delay_alu instid0(SALU_CYCLE_1)
	s_or_b32 s23, s23, s43
	s_or_b32 exec_lo, exec_lo, s40
	v_mov_b32_e32 v7, s41
	s_and_saveexec_b32 s40, s23
	s_cbranch_execnz .LBB433_380
	s_branch .LBB433_381
.LBB433_556:
	s_mov_b32 s3, -1
.LBB433_557:
                                        ; implicit-def: $vgpr3
.LBB433_558:
	s_and_b32 vcc_lo, exec_lo, s22
	s_cbranch_vccz .LBB433_562
; %bb.559:
	v_cmp_eq_u16_e32 vcc_lo, 44, v6
	s_cbranch_vccz .LBB433_561
; %bb.560:
	global_load_u8 v3, v[1:2], off
	s_mov_b32 s3, 0
	s_mov_b32 s2, -1
	s_waitcnt vmcnt(0)
	v_lshlrev_b32_e32 v4, 23, v3
	v_cmp_ne_u32_e32 vcc_lo, 0, v3
	s_delay_alu instid0(VALU_DEP_2) | instskip(NEXT) | instid1(VALU_DEP_1)
	v_cvt_i32_f32_e32 v4, v4
	v_cndmask_b32_e32 v3, 0, v4, vcc_lo
	s_branch .LBB433_562
.LBB433_561:
	s_mov_b32 s3, -1
                                        ; implicit-def: $vgpr3
.LBB433_562:
	s_mov_b32 s22, 0
.LBB433_563:
	s_delay_alu instid0(SALU_CYCLE_1)
	s_and_b32 vcc_lo, exec_lo, s22
	s_cbranch_vccz .LBB433_567
; %bb.564:
	v_cmp_eq_u16_e32 vcc_lo, 29, v6
	s_cbranch_vccz .LBB433_566
; %bb.565:
	global_load_b64 v[3:4], v[1:2], off
	s_mov_b32 s2, -1
	s_mov_b32 s3, 0
	s_branch .LBB433_567
.LBB433_566:
	s_mov_b32 s3, -1
                                        ; implicit-def: $vgpr3
.LBB433_567:
	s_mov_b32 s22, 0
.LBB433_568:
	s_delay_alu instid0(SALU_CYCLE_1)
	s_and_b32 vcc_lo, exec_lo, s22
	s_cbranch_vccz .LBB433_584
; %bb.569:
	v_cmp_gt_i16_e32 vcc_lo, 27, v6
	s_cbranch_vccnz .LBB433_572
; %bb.570:
	v_cmp_lt_i16_e32 vcc_lo, 27, v6
	s_cbranch_vccz .LBB433_573
; %bb.571:
	global_load_b32 v3, v[1:2], off
	s_mov_b32 s2, 0
	s_branch .LBB433_574
.LBB433_572:
	s_mov_b32 s2, -1
                                        ; implicit-def: $vgpr3
	s_branch .LBB433_577
.LBB433_573:
	s_mov_b32 s2, -1
                                        ; implicit-def: $vgpr3
.LBB433_574:
	s_delay_alu instid0(SALU_CYCLE_1)
	s_and_not1_b32 vcc_lo, exec_lo, s2
	s_cbranch_vccnz .LBB433_576
; %bb.575:
	global_load_u16 v3, v[1:2], off
.LBB433_576:
	s_mov_b32 s2, 0
.LBB433_577:
	s_delay_alu instid0(SALU_CYCLE_1)
	s_and_not1_b32 vcc_lo, exec_lo, s2
	s_cbranch_vccnz .LBB433_583
; %bb.578:
	global_load_u8 v4, v[1:2], off
	s_mov_b32 s2, 0
	s_mov_b32 s22, exec_lo
                                        ; implicit-def: $sgpr23
	s_waitcnt vmcnt(0)
	v_cmpx_lt_i16_e32 0x7f, v4
	s_xor_b32 s22, exec_lo, s22
	s_cbranch_execz .LBB433_595
; %bb.579:
	v_cmp_ne_u16_e32 vcc_lo, 0x80, v4
	s_mov_b32 s23, 0
	s_and_b32 s2, vcc_lo, exec_lo
	s_or_saveexec_b32 s22, s22
	v_mov_b32_e32 v3, s23
	s_xor_b32 exec_lo, exec_lo, s22
	s_cbranch_execnz .LBB433_596
.LBB433_580:
	s_or_b32 exec_lo, exec_lo, s22
	s_and_saveexec_b32 s22, s2
	s_cbranch_execz .LBB433_582
.LBB433_581:
	v_and_b32_e32 v3, 0xffff, v4
	s_delay_alu instid0(VALU_DEP_1) | instskip(NEXT) | instid1(VALU_DEP_1)
	v_and_b32_e32 v7, 7, v3
	v_clz_i32_u32_e32 v8, v7
	s_delay_alu instid0(VALU_DEP_1) | instskip(NEXT) | instid1(VALU_DEP_1)
	v_min_u32_e32 v8, 32, v8
	v_subrev_nc_u32_e32 v9, 28, v8
	v_sub_nc_u32_e32 v8, 29, v8
	s_delay_alu instid0(VALU_DEP_2) | instskip(SKIP_1) | instid1(VALU_DEP_2)
	v_lshlrev_b32_e32 v9, v9, v3
	v_bfe_u32 v3, v3, 3, 4
	v_and_b32_e32 v9, 7, v9
	s_delay_alu instid0(VALU_DEP_2) | instskip(NEXT) | instid1(VALU_DEP_2)
	v_cmp_eq_u32_e32 vcc_lo, 0, v3
	v_dual_cndmask_b32 v7, v7, v9 :: v_dual_lshlrev_b32 v4, 24, v4
	v_cndmask_b32_e32 v3, v3, v8, vcc_lo
	s_delay_alu instid0(VALU_DEP_2) | instskip(NEXT) | instid1(VALU_DEP_3)
	v_and_b32_e32 v4, 0x80000000, v4
	v_lshlrev_b32_e32 v7, 20, v7
	s_delay_alu instid0(VALU_DEP_3) | instskip(NEXT) | instid1(VALU_DEP_1)
	v_lshl_add_u32 v3, v3, 23, 0x3b800000
	v_or3_b32 v3, v4, v3, v7
	s_delay_alu instid0(VALU_DEP_1)
	v_cvt_i32_f32_e32 v3, v3
.LBB433_582:
	s_or_b32 exec_lo, exec_lo, s22
.LBB433_583:
	s_mov_b32 s2, -1
.LBB433_584:
	s_mov_b32 s22, 0
.LBB433_585:
	s_delay_alu instid0(SALU_CYCLE_1)
	s_and_b32 vcc_lo, exec_lo, s22
	s_cbranch_vccz .LBB433_618
; %bb.586:
	v_cmp_lt_i16_e32 vcc_lo, 22, v6
	s_cbranch_vccz .LBB433_594
; %bb.587:
	v_cmp_gt_i16_e32 vcc_lo, 24, v6
	s_cbranch_vccnz .LBB433_597
; %bb.588:
	v_cmp_lt_i16_e32 vcc_lo, 24, v6
	s_cbranch_vccz .LBB433_598
; %bb.589:
	global_load_u8 v4, v[1:2], off
	s_mov_b32 s2, 0
	s_mov_b32 s22, exec_lo
                                        ; implicit-def: $sgpr23
	s_waitcnt vmcnt(0)
	v_cmpx_lt_i16_e32 0x7f, v4
	s_xor_b32 s22, exec_lo, s22
	s_cbranch_execz .LBB433_610
; %bb.590:
	v_cmp_ne_u16_e32 vcc_lo, 0x80, v4
	s_mov_b32 s23, 0
	s_and_b32 s2, vcc_lo, exec_lo
	s_or_saveexec_b32 s22, s22
	v_mov_b32_e32 v3, s23
	s_xor_b32 exec_lo, exec_lo, s22
	s_cbranch_execnz .LBB433_611
.LBB433_591:
	s_or_b32 exec_lo, exec_lo, s22
	s_and_saveexec_b32 s22, s2
	s_cbranch_execz .LBB433_593
.LBB433_592:
	v_and_b32_e32 v3, 0xffff, v4
	s_delay_alu instid0(VALU_DEP_1) | instskip(NEXT) | instid1(VALU_DEP_1)
	v_and_b32_e32 v7, 3, v3
	v_clz_i32_u32_e32 v8, v7
	s_delay_alu instid0(VALU_DEP_1) | instskip(NEXT) | instid1(VALU_DEP_1)
	v_min_u32_e32 v8, 32, v8
	v_subrev_nc_u32_e32 v9, 29, v8
	v_sub_nc_u32_e32 v8, 30, v8
	s_delay_alu instid0(VALU_DEP_2) | instskip(SKIP_1) | instid1(VALU_DEP_2)
	v_lshlrev_b32_e32 v9, v9, v3
	v_bfe_u32 v3, v3, 2, 5
	v_and_b32_e32 v9, 3, v9
	s_delay_alu instid0(VALU_DEP_2) | instskip(NEXT) | instid1(VALU_DEP_2)
	v_cmp_eq_u32_e32 vcc_lo, 0, v3
	v_dual_cndmask_b32 v7, v7, v9 :: v_dual_lshlrev_b32 v4, 24, v4
	v_cndmask_b32_e32 v3, v3, v8, vcc_lo
	s_delay_alu instid0(VALU_DEP_2) | instskip(NEXT) | instid1(VALU_DEP_3)
	v_and_b32_e32 v4, 0x80000000, v4
	v_lshlrev_b32_e32 v7, 21, v7
	s_delay_alu instid0(VALU_DEP_3) | instskip(NEXT) | instid1(VALU_DEP_1)
	v_lshl_add_u32 v3, v3, 23, 0x37800000
	v_or3_b32 v3, v4, v3, v7
	s_delay_alu instid0(VALU_DEP_1)
	v_cvt_i32_f32_e32 v3, v3
.LBB433_593:
	s_or_b32 exec_lo, exec_lo, s22
	s_mov_b32 s2, 0
	s_branch .LBB433_599
.LBB433_594:
	s_mov_b32 s22, -1
                                        ; implicit-def: $vgpr3
	s_branch .LBB433_605
.LBB433_595:
	s_or_saveexec_b32 s22, s22
	v_mov_b32_e32 v3, s23
	s_xor_b32 exec_lo, exec_lo, s22
	s_cbranch_execz .LBB433_580
.LBB433_596:
	v_cmp_ne_u16_e32 vcc_lo, 0, v4
	v_mov_b32_e32 v3, 0
	s_and_not1_b32 s2, s2, exec_lo
	s_and_b32 s23, vcc_lo, exec_lo
	s_delay_alu instid0(SALU_CYCLE_1)
	s_or_b32 s2, s2, s23
	s_or_b32 exec_lo, exec_lo, s22
	s_and_saveexec_b32 s22, s2
	s_cbranch_execnz .LBB433_581
	s_branch .LBB433_582
.LBB433_597:
	s_mov_b32 s2, -1
                                        ; implicit-def: $vgpr3
	s_branch .LBB433_602
.LBB433_598:
	s_mov_b32 s2, -1
                                        ; implicit-def: $vgpr3
.LBB433_599:
	s_delay_alu instid0(SALU_CYCLE_1)
	s_and_b32 vcc_lo, exec_lo, s2
	s_cbranch_vccz .LBB433_601
; %bb.600:
	global_load_u8 v3, v[1:2], off
	s_waitcnt vmcnt(0)
	v_lshlrev_b32_e32 v3, 24, v3
	s_delay_alu instid0(VALU_DEP_1) | instskip(NEXT) | instid1(VALU_DEP_1)
	v_and_b32_e32 v4, 0x7f000000, v3
	v_clz_i32_u32_e32 v7, v4
	v_cmp_ne_u32_e32 vcc_lo, 0, v4
	v_add_nc_u32_e32 v9, 0x1000000, v4
	s_delay_alu instid0(VALU_DEP_3) | instskip(NEXT) | instid1(VALU_DEP_1)
	v_min_u32_e32 v7, 32, v7
	v_sub_nc_u32_e64 v7, v7, 4 clamp
	s_delay_alu instid0(VALU_DEP_1) | instskip(SKIP_1) | instid1(VALU_DEP_2)
	v_lshlrev_b32_e32 v8, v7, v4
	v_lshlrev_b32_e32 v7, 23, v7
	v_lshrrev_b32_e32 v8, 4, v8
	s_delay_alu instid0(VALU_DEP_1) | instskip(SKIP_1) | instid1(VALU_DEP_2)
	v_sub_nc_u32_e32 v7, v8, v7
	v_ashrrev_i32_e32 v8, 8, v9
	v_add_nc_u32_e32 v7, 0x3c000000, v7
	s_delay_alu instid0(VALU_DEP_1) | instskip(NEXT) | instid1(VALU_DEP_1)
	v_and_or_b32 v7, 0x7f800000, v8, v7
	v_cndmask_b32_e32 v4, 0, v7, vcc_lo
	s_delay_alu instid0(VALU_DEP_1) | instskip(NEXT) | instid1(VALU_DEP_1)
	v_and_or_b32 v3, 0x80000000, v3, v4
	v_cvt_i32_f32_e32 v3, v3
.LBB433_601:
	s_mov_b32 s2, 0
.LBB433_602:
	s_delay_alu instid0(SALU_CYCLE_1)
	s_and_not1_b32 vcc_lo, exec_lo, s2
	s_cbranch_vccnz .LBB433_604
; %bb.603:
	global_load_u8 v3, v[1:2], off
	s_waitcnt vmcnt(0)
	v_lshlrev_b32_e32 v4, 25, v3
	v_lshlrev_b16 v3, 8, v3
	s_delay_alu instid0(VALU_DEP_2) | instskip(NEXT) | instid1(VALU_DEP_2)
	v_lshrrev_b32_e32 v7, 4, v4
	v_and_or_b32 v8, 0x7f00, v3, 0.5
	v_cmp_gt_u32_e32 vcc_lo, 0x8000000, v4
	v_bfe_i32 v3, v3, 0, 16
	s_delay_alu instid0(VALU_DEP_4) | instskip(NEXT) | instid1(VALU_DEP_1)
	v_or_b32_e32 v7, 0x70000000, v7
	v_dual_add_f32 v8, -0.5, v8 :: v_dual_mul_f32 v7, 0x7800000, v7
	s_delay_alu instid0(VALU_DEP_1) | instskip(NEXT) | instid1(VALU_DEP_1)
	v_cndmask_b32_e32 v4, v7, v8, vcc_lo
	v_and_or_b32 v3, 0x80000000, v3, v4
	s_delay_alu instid0(VALU_DEP_1)
	v_cvt_i32_f32_e32 v3, v3
.LBB433_604:
	s_mov_b32 s22, 0
	s_mov_b32 s2, -1
.LBB433_605:
	s_and_not1_b32 vcc_lo, exec_lo, s22
	s_cbranch_vccnz .LBB433_618
; %bb.606:
	v_cmp_lt_i16_e32 vcc_lo, 14, v6
	s_cbranch_vccz .LBB433_609
; %bb.607:
	v_cmp_eq_u16_e32 vcc_lo, 15, v6
	s_cbranch_vccz .LBB433_612
; %bb.608:
	global_load_u16 v3, v[1:2], off
	s_mov_b32 s2, -1
	s_mov_b32 s3, 0
	s_waitcnt vmcnt(0)
	v_lshlrev_b32_e32 v3, 16, v3
	s_delay_alu instid0(VALU_DEP_1)
	v_cvt_i32_f32_e32 v3, v3
	s_branch .LBB433_613
.LBB433_609:
	s_mov_b32 s22, -1
                                        ; implicit-def: $vgpr3
	s_branch .LBB433_614
.LBB433_610:
	s_or_saveexec_b32 s22, s22
	v_mov_b32_e32 v3, s23
	s_xor_b32 exec_lo, exec_lo, s22
	s_cbranch_execz .LBB433_591
.LBB433_611:
	v_cmp_ne_u16_e32 vcc_lo, 0, v4
	v_mov_b32_e32 v3, 0
	s_and_not1_b32 s2, s2, exec_lo
	s_and_b32 s23, vcc_lo, exec_lo
	s_delay_alu instid0(SALU_CYCLE_1)
	s_or_b32 s2, s2, s23
	s_or_b32 exec_lo, exec_lo, s22
	s_and_saveexec_b32 s22, s2
	s_cbranch_execnz .LBB433_592
	s_branch .LBB433_593
.LBB433_612:
	s_mov_b32 s3, -1
                                        ; implicit-def: $vgpr3
.LBB433_613:
	s_mov_b32 s22, 0
.LBB433_614:
	s_delay_alu instid0(SALU_CYCLE_1)
	s_and_b32 vcc_lo, exec_lo, s22
	s_cbranch_vccz .LBB433_618
; %bb.615:
	v_cmp_eq_u16_e32 vcc_lo, 11, v6
	s_cbranch_vccz .LBB433_617
; %bb.616:
	global_load_u8 v3, v[1:2], off
	s_mov_b32 s3, 0
	s_mov_b32 s2, -1
	s_waitcnt vmcnt(0)
	v_cmp_ne_u16_e32 vcc_lo, 0, v3
	v_cndmask_b32_e64 v3, 0, 1, vcc_lo
	s_branch .LBB433_618
.LBB433_617:
	s_mov_b32 s3, -1
                                        ; implicit-def: $vgpr3
.LBB433_618:
	s_mov_b32 s22, 0
.LBB433_619:
	s_delay_alu instid0(SALU_CYCLE_1)
	s_and_b32 vcc_lo, exec_lo, s22
	s_cbranch_vccz .LBB433_668
; %bb.620:
	v_cmp_gt_i16_e32 vcc_lo, 5, v6
	s_cbranch_vccnz .LBB433_625
; %bb.621:
	v_cmp_gt_i16_e32 vcc_lo, 8, v6
	s_cbranch_vccnz .LBB433_626
	;; [unrolled: 3-line block ×3, first 2 shown]
; %bb.623:
	v_cmp_lt_i16_e32 vcc_lo, 9, v6
	s_cbranch_vccz .LBB433_628
; %bb.624:
	global_load_b64 v[3:4], v[1:2], off
	s_mov_b32 s2, 0
	s_waitcnt vmcnt(0)
	v_cvt_i32_f64_e32 v3, v[3:4]
	s_branch .LBB433_629
.LBB433_625:
	s_mov_b32 s2, -1
                                        ; implicit-def: $vgpr3
	s_branch .LBB433_647
.LBB433_626:
	s_mov_b32 s2, -1
                                        ; implicit-def: $vgpr3
	s_branch .LBB433_635
.LBB433_627:
	s_mov_b32 s2, -1
                                        ; implicit-def: $vgpr3
	s_branch .LBB433_632
.LBB433_628:
	s_mov_b32 s2, -1
                                        ; implicit-def: $vgpr3
.LBB433_629:
	s_delay_alu instid0(SALU_CYCLE_1)
	s_and_not1_b32 vcc_lo, exec_lo, s2
	s_cbranch_vccnz .LBB433_631
; %bb.630:
	global_load_b32 v3, v[1:2], off
	s_waitcnt vmcnt(0)
	v_cvt_i32_f32_e32 v3, v3
.LBB433_631:
	s_mov_b32 s2, 0
.LBB433_632:
	s_delay_alu instid0(SALU_CYCLE_1)
	s_and_not1_b32 vcc_lo, exec_lo, s2
	s_cbranch_vccnz .LBB433_634
; %bb.633:
	global_load_b32 v3, v[1:2], off
	s_waitcnt vmcnt(0)
	v_cvt_i16_f16_e32 v3, v3
.LBB433_634:
	s_mov_b32 s2, 0
.LBB433_635:
	s_delay_alu instid0(SALU_CYCLE_1)
	s_and_not1_b32 vcc_lo, exec_lo, s2
	s_cbranch_vccnz .LBB433_646
; %bb.636:
	v_cmp_gt_i16_e32 vcc_lo, 6, v6
	s_cbranch_vccnz .LBB433_639
; %bb.637:
	v_cmp_lt_i16_e32 vcc_lo, 6, v6
	s_cbranch_vccz .LBB433_640
; %bb.638:
	global_load_b64 v[3:4], v[1:2], off
	s_mov_b32 s2, 0
	s_waitcnt vmcnt(0)
	v_cvt_i32_f64_e32 v3, v[3:4]
	s_branch .LBB433_641
.LBB433_639:
	s_mov_b32 s2, -1
                                        ; implicit-def: $vgpr3
	s_branch .LBB433_644
.LBB433_640:
	s_mov_b32 s2, -1
                                        ; implicit-def: $vgpr3
.LBB433_641:
	s_delay_alu instid0(SALU_CYCLE_1)
	s_and_not1_b32 vcc_lo, exec_lo, s2
	s_cbranch_vccnz .LBB433_643
; %bb.642:
	global_load_b32 v3, v[1:2], off
	s_waitcnt vmcnt(0)
	v_cvt_i32_f32_e32 v3, v3
.LBB433_643:
	s_mov_b32 s2, 0
.LBB433_644:
	s_delay_alu instid0(SALU_CYCLE_1)
	s_and_not1_b32 vcc_lo, exec_lo, s2
	s_cbranch_vccnz .LBB433_646
; %bb.645:
	global_load_u16 v3, v[1:2], off
	s_waitcnt vmcnt(0)
	v_cvt_i16_f16_e32 v3, v3
.LBB433_646:
	s_mov_b32 s2, 0
.LBB433_647:
	s_delay_alu instid0(SALU_CYCLE_1)
	s_and_not1_b32 vcc_lo, exec_lo, s2
	s_cbranch_vccnz .LBB433_667
; %bb.648:
	v_cmp_gt_i16_e32 vcc_lo, 2, v6
	s_cbranch_vccnz .LBB433_652
; %bb.649:
	v_cmp_gt_i16_e32 vcc_lo, 3, v6
	s_cbranch_vccnz .LBB433_653
; %bb.650:
	v_cmp_lt_i16_e32 vcc_lo, 3, v6
	s_cbranch_vccz .LBB433_654
; %bb.651:
	global_load_b64 v[3:4], v[1:2], off
	s_mov_b32 s2, 0
	s_branch .LBB433_655
.LBB433_652:
	s_mov_b32 s2, -1
                                        ; implicit-def: $vgpr3
	s_branch .LBB433_661
.LBB433_653:
	s_mov_b32 s2, -1
                                        ; implicit-def: $vgpr3
	s_branch .LBB433_658
.LBB433_654:
	s_mov_b32 s2, -1
                                        ; implicit-def: $vgpr3
.LBB433_655:
	s_delay_alu instid0(SALU_CYCLE_1)
	s_and_not1_b32 vcc_lo, exec_lo, s2
	s_cbranch_vccnz .LBB433_657
; %bb.656:
	global_load_b32 v3, v[1:2], off
.LBB433_657:
	s_mov_b32 s2, 0
.LBB433_658:
	s_delay_alu instid0(SALU_CYCLE_1)
	s_and_not1_b32 vcc_lo, exec_lo, s2
	s_cbranch_vccnz .LBB433_660
; %bb.659:
	global_load_u16 v3, v[1:2], off
.LBB433_660:
	s_mov_b32 s2, 0
.LBB433_661:
	s_delay_alu instid0(SALU_CYCLE_1)
	s_and_not1_b32 vcc_lo, exec_lo, s2
	s_cbranch_vccnz .LBB433_667
; %bb.662:
	v_cmp_lt_i16_e32 vcc_lo, 0, v6
	s_mov_b32 s2, 0
	s_cbranch_vccz .LBB433_664
; %bb.663:
	global_load_u8 v3, v[1:2], off
	s_branch .LBB433_665
.LBB433_664:
	s_mov_b32 s2, -1
                                        ; implicit-def: $vgpr3
.LBB433_665:
	s_delay_alu instid0(SALU_CYCLE_1)
	s_and_not1_b32 vcc_lo, exec_lo, s2
	s_cbranch_vccnz .LBB433_667
; %bb.666:
	global_load_u8 v3, v[1:2], off
.LBB433_667:
	s_mov_b32 s2, -1
.LBB433_668:
	s_delay_alu instid0(SALU_CYCLE_1)
	s_and_not1_b32 vcc_lo, exec_lo, s2
	s_cbranch_vccnz .LBB433_676
; %bb.669:
	s_waitcnt vmcnt(0)
	s_delay_alu instid0(VALU_DEP_1)
	v_bfe_i32 v1, v3, 0, 8
	v_and_b32_e64 v3, 0xff, s30
	s_bfe_i32 s2, s29, 0x80000
	s_mov_b32 s22, 0
	s_mov_b32 s23, -1
	v_min_i16 v2, v1, s2
	v_cmp_gt_i16_e32 vcc_lo, 11, v3
	v_add_co_u32 v0, s2, s4, v0
	s_delay_alu instid0(VALU_DEP_1)
	v_add_co_ci_u32_e64 v1, null, s5, 0, s2
	s_mov_b32 s2, s41
	s_cbranch_vccnz .LBB433_677
; %bb.670:
	v_cmp_lt_i16_e32 vcc_lo, 25, v3
	s_cbranch_vccz .LBB433_718
; %bb.671:
	v_cmp_lt_i16_e32 vcc_lo, 28, v3
	s_cbranch_vccz .LBB433_719
	;; [unrolled: 3-line block ×4, first 2 shown]
; %bb.674:
	v_cmp_eq_u16_e32 vcc_lo, 46, v3
	s_mov_b32 s23, 0
	s_mov_b32 s2, -1
	s_cbranch_vccz .LBB433_722
; %bb.675:
	v_bfe_i32 v4, v2, 0, 16
	s_mov_b32 s22, -1
	s_mov_b32 s2, 0
	s_delay_alu instid0(VALU_DEP_1) | instskip(NEXT) | instid1(VALU_DEP_1)
	v_cvt_f32_i32_e32 v4, v4
	v_bfe_u32 v6, v4, 16, 1
	s_delay_alu instid0(VALU_DEP_1) | instskip(NEXT) | instid1(VALU_DEP_1)
	v_add3_u32 v4, v4, v6, 0x7fff
	v_lshrrev_b32_e32 v4, 16, v4
	global_store_b32 v[0:1], v4, off
	s_branch .LBB433_722
.LBB433_676:
	s_mov_b32 s44, 0
	s_mov_b32 s2, s41
	s_branch .LBB433_717
.LBB433_677:
	s_and_b32 vcc_lo, exec_lo, s23
	s_cbranch_vccz .LBB433_791
; %bb.678:
	v_cmp_gt_i16_e32 vcc_lo, 5, v3
	s_mov_b32 s22, -1
	s_cbranch_vccnz .LBB433_699
; %bb.679:
	v_cmp_gt_i16_e32 vcc_lo, 8, v3
	s_cbranch_vccnz .LBB433_689
; %bb.680:
	v_cmp_gt_i16_e32 vcc_lo, 9, v3
	s_cbranch_vccnz .LBB433_686
; %bb.681:
	v_cmp_lt_i16_e32 vcc_lo, 9, v3
	s_cbranch_vccz .LBB433_683
; %bb.682:
	v_bfe_i32 v4, v2, 0, 16
	v_mov_b32_e32 v8, 0
	s_mov_b32 s22, 0
	s_delay_alu instid0(VALU_DEP_2) | instskip(NEXT) | instid1(VALU_DEP_2)
	v_cvt_f64_i32_e32 v[6:7], v4
	v_mov_b32_e32 v9, v8
	global_store_b128 v[0:1], v[6:9], off
.LBB433_683:
	s_and_not1_b32 vcc_lo, exec_lo, s22
	s_cbranch_vccnz .LBB433_685
; %bb.684:
	v_bfe_i32 v4, v2, 0, 16
	v_mov_b32_e32 v7, 0
	s_delay_alu instid0(VALU_DEP_2)
	v_cvt_f32_i32_e32 v6, v4
	global_store_b64 v[0:1], v[6:7], off
.LBB433_685:
	s_mov_b32 s22, 0
.LBB433_686:
	s_delay_alu instid0(SALU_CYCLE_1)
	s_and_not1_b32 vcc_lo, exec_lo, s22
	s_cbranch_vccnz .LBB433_688
; %bb.687:
	v_cvt_f16_i16_e32 v4, v2
	s_delay_alu instid0(VALU_DEP_1)
	v_and_b32_e32 v4, 0xffff, v4
	global_store_b32 v[0:1], v4, off
.LBB433_688:
	s_mov_b32 s22, 0
.LBB433_689:
	s_delay_alu instid0(SALU_CYCLE_1)
	s_and_not1_b32 vcc_lo, exec_lo, s22
	s_cbranch_vccnz .LBB433_698
; %bb.690:
	v_cmp_gt_i16_e32 vcc_lo, 6, v3
	s_mov_b32 s22, -1
	s_cbranch_vccnz .LBB433_696
; %bb.691:
	v_cmp_lt_i16_e32 vcc_lo, 6, v3
	s_cbranch_vccz .LBB433_693
; %bb.692:
	v_bfe_i32 v4, v2, 0, 16
	s_mov_b32 s22, 0
	s_delay_alu instid0(VALU_DEP_1)
	v_cvt_f64_i32_e32 v[6:7], v4
	global_store_b64 v[0:1], v[6:7], off
.LBB433_693:
	s_and_not1_b32 vcc_lo, exec_lo, s22
	s_cbranch_vccnz .LBB433_695
; %bb.694:
	v_bfe_i32 v4, v2, 0, 16
	s_delay_alu instid0(VALU_DEP_1)
	v_cvt_f32_i32_e32 v4, v4
	global_store_b32 v[0:1], v4, off
.LBB433_695:
	s_mov_b32 s22, 0
.LBB433_696:
	s_delay_alu instid0(SALU_CYCLE_1)
	s_and_not1_b32 vcc_lo, exec_lo, s22
	s_cbranch_vccnz .LBB433_698
; %bb.697:
	v_cvt_f16_i16_e32 v4, v2
	global_store_b16 v[0:1], v4, off
.LBB433_698:
	s_mov_b32 s22, 0
.LBB433_699:
	s_delay_alu instid0(SALU_CYCLE_1)
	s_and_not1_b32 vcc_lo, exec_lo, s22
	s_cbranch_vccnz .LBB433_715
; %bb.700:
	v_cmp_gt_i16_e32 vcc_lo, 2, v3
	s_mov_b32 s22, -1
	s_cbranch_vccnz .LBB433_710
; %bb.701:
	v_cmp_gt_i16_e32 vcc_lo, 3, v3
	s_cbranch_vccnz .LBB433_707
; %bb.702:
	v_cmp_lt_i16_e32 vcc_lo, 3, v3
	s_cbranch_vccz .LBB433_704
; %bb.703:
	v_bfe_i32 v6, v2, 0, 16
	s_mov_b32 s22, 0
	s_delay_alu instid0(VALU_DEP_1)
	v_ashrrev_i32_e32 v7, 31, v6
	global_store_b64 v[0:1], v[6:7], off
.LBB433_704:
	s_and_not1_b32 vcc_lo, exec_lo, s22
	s_cbranch_vccnz .LBB433_706
; %bb.705:
	v_bfe_i32 v4, v2, 0, 16
	global_store_b32 v[0:1], v4, off
.LBB433_706:
	s_mov_b32 s22, 0
.LBB433_707:
	s_delay_alu instid0(SALU_CYCLE_1)
	s_and_not1_b32 vcc_lo, exec_lo, s22
	s_cbranch_vccnz .LBB433_709
; %bb.708:
	global_store_b16 v[0:1], v2, off
.LBB433_709:
	s_mov_b32 s22, 0
.LBB433_710:
	s_delay_alu instid0(SALU_CYCLE_1)
	s_and_not1_b32 vcc_lo, exec_lo, s22
	s_cbranch_vccnz .LBB433_715
; %bb.711:
	v_cmp_lt_i16_e32 vcc_lo, 0, v3
	s_mov_b32 s22, -1
	s_cbranch_vccz .LBB433_713
; %bb.712:
	s_mov_b32 s22, 0
	global_store_b8 v[0:1], v2, off
.LBB433_713:
	s_and_not1_b32 vcc_lo, exec_lo, s22
	s_cbranch_vccnz .LBB433_715
; %bb.714:
	global_store_b8 v[0:1], v2, off
.LBB433_715:
	s_branch .LBB433_792
.LBB433_716:
	s_mov_b32 s44, 0
.LBB433_717:
                                        ; implicit-def: $vgpr5
	s_branch .LBB433_793
.LBB433_718:
	s_mov_b32 s2, s41
	s_branch .LBB433_749
.LBB433_719:
	s_mov_b32 s2, s41
	s_branch .LBB433_732
.LBB433_720:
	s_mov_b32 s2, s41
	s_branch .LBB433_728
.LBB433_721:
	s_mov_b32 s2, s41
.LBB433_722:
	s_and_b32 vcc_lo, exec_lo, s23
	s_cbranch_vccz .LBB433_727
; %bb.723:
	v_cmp_eq_u16_e32 vcc_lo, 44, v3
	s_mov_b32 s2, -1
	s_cbranch_vccz .LBB433_727
; %bb.724:
	v_bfe_i32 v4, v2, 0, 16
	v_mov_b32_e32 v6, 0xff
	s_mov_b32 s22, exec_lo
	s_delay_alu instid0(VALU_DEP_2) | instskip(NEXT) | instid1(VALU_DEP_1)
	v_cvt_f32_i32_e32 v4, v4
	v_bfe_u32 v7, v4, 23, 8
	s_delay_alu instid0(VALU_DEP_1)
	v_cmpx_ne_u32_e32 0xff, v7
; %bb.725:
	v_and_b32_e32 v6, 0x400000, v4
	v_and_or_b32 v7, 0x3fffff, v4, v7
	v_lshrrev_b32_e32 v4, 23, v4
	s_delay_alu instid0(VALU_DEP_3) | instskip(NEXT) | instid1(VALU_DEP_3)
	v_cmp_ne_u32_e32 vcc_lo, 0, v6
	v_cmp_ne_u32_e64 s2, 0, v7
	s_delay_alu instid0(VALU_DEP_1) | instskip(NEXT) | instid1(SALU_CYCLE_1)
	s_and_b32 s2, vcc_lo, s2
	v_cndmask_b32_e64 v6, 0, 1, s2
	s_delay_alu instid0(VALU_DEP_1)
	v_add_nc_u32_e32 v6, v4, v6
; %bb.726:
	s_or_b32 exec_lo, exec_lo, s22
	s_mov_b32 s22, -1
	s_mov_b32 s2, 0
	global_store_b8 v[0:1], v6, off
.LBB433_727:
	s_mov_b32 s23, 0
.LBB433_728:
	s_delay_alu instid0(SALU_CYCLE_1)
	s_and_b32 vcc_lo, exec_lo, s23
	s_cbranch_vccz .LBB433_731
; %bb.729:
	v_cmp_eq_u16_e32 vcc_lo, 29, v3
	s_mov_b32 s2, -1
	s_cbranch_vccz .LBB433_731
; %bb.730:
	v_bfe_i32 v6, v2, 0, 16
	s_mov_b32 s2, 0
	s_mov_b32 s22, -1
	s_mov_b32 s23, 0
	s_delay_alu instid0(VALU_DEP_1)
	v_ashrrev_i32_e32 v7, 31, v6
	global_store_b64 v[0:1], v[6:7], off
	s_branch .LBB433_732
.LBB433_731:
	s_mov_b32 s23, 0
.LBB433_732:
	s_delay_alu instid0(SALU_CYCLE_1)
	s_and_b32 vcc_lo, exec_lo, s23
	s_cbranch_vccz .LBB433_748
; %bb.733:
	v_cmp_gt_i16_e32 vcc_lo, 27, v3
	s_mov_b32 s22, -1
	s_cbranch_vccnz .LBB433_739
; %bb.734:
	v_cmp_lt_i16_e32 vcc_lo, 27, v3
	s_cbranch_vccz .LBB433_736
; %bb.735:
	v_bfe_i32 v4, v2, 0, 16
	s_mov_b32 s22, 0
	global_store_b32 v[0:1], v4, off
.LBB433_736:
	s_and_not1_b32 vcc_lo, exec_lo, s22
	s_cbranch_vccnz .LBB433_738
; %bb.737:
	global_store_b16 v[0:1], v2, off
.LBB433_738:
	s_mov_b32 s22, 0
.LBB433_739:
	s_delay_alu instid0(SALU_CYCLE_1)
	s_and_not1_b32 vcc_lo, exec_lo, s22
	s_cbranch_vccnz .LBB433_747
; %bb.740:
	v_bfe_i32 v4, v2, 0, 16
	v_mov_b32_e32 v7, 0x80
	s_mov_b32 s22, exec_lo
	s_delay_alu instid0(VALU_DEP_2) | instskip(NEXT) | instid1(VALU_DEP_1)
	v_cvt_f32_i32_e32 v4, v4
	v_and_b32_e32 v6, 0x7fffffff, v4
	s_delay_alu instid0(VALU_DEP_1)
	v_cmpx_gt_u32_e32 0x43800000, v6
	s_cbranch_execz .LBB433_746
; %bb.741:
	v_cmp_lt_u32_e32 vcc_lo, 0x3bffffff, v6
	s_mov_b32 s23, 0
                                        ; implicit-def: $vgpr6
	s_and_saveexec_b32 s44, vcc_lo
	s_delay_alu instid0(SALU_CYCLE_1)
	s_xor_b32 s44, exec_lo, s44
	s_cbranch_execz .LBB433_820
; %bb.742:
	v_bfe_u32 v6, v4, 20, 1
	s_mov_b32 s23, exec_lo
	s_delay_alu instid0(VALU_DEP_1) | instskip(NEXT) | instid1(VALU_DEP_1)
	v_add3_u32 v6, v4, v6, 0x487ffff
	v_lshrrev_b32_e32 v6, 20, v6
	s_or_saveexec_b32 s44, s44
                                        ; implicit-def: $sgpr45
	s_delay_alu instid0(SALU_CYCLE_1)
	s_xor_b32 exec_lo, exec_lo, s44
	s_cbranch_execnz .LBB433_821
.LBB433_743:
	s_or_b32 exec_lo, exec_lo, s44
	v_mov_b32_e32 v7, s45
	s_and_saveexec_b32 s44, s23
.LBB433_744:
	v_lshrrev_b32_e32 v4, 24, v4
	s_delay_alu instid0(VALU_DEP_1)
	v_and_or_b32 v7, 0x80, v4, v6
.LBB433_745:
	s_or_b32 exec_lo, exec_lo, s44
.LBB433_746:
	s_delay_alu instid0(SALU_CYCLE_1)
	s_or_b32 exec_lo, exec_lo, s22
	global_store_b8 v[0:1], v7, off
.LBB433_747:
	s_mov_b32 s22, -1
.LBB433_748:
	s_mov_b32 s23, 0
.LBB433_749:
	s_delay_alu instid0(SALU_CYCLE_1)
	s_and_b32 vcc_lo, exec_lo, s23
	s_cbranch_vccz .LBB433_790
; %bb.750:
	v_cmp_lt_i16_e32 vcc_lo, 22, v3
	s_mov_b32 s23, -1
	s_cbranch_vccz .LBB433_782
; %bb.751:
	v_cmp_gt_i16_e32 vcc_lo, 24, v3
	s_mov_b32 s22, -1
	s_cbranch_vccnz .LBB433_771
; %bb.752:
	v_cmp_lt_i16_e32 vcc_lo, 24, v3
	s_cbranch_vccz .LBB433_760
; %bb.753:
	v_bfe_i32 v4, v2, 0, 16
	v_mov_b32_e32 v7, 0x80
	s_mov_b32 s22, exec_lo
	s_delay_alu instid0(VALU_DEP_2) | instskip(NEXT) | instid1(VALU_DEP_1)
	v_cvt_f32_i32_e32 v4, v4
	v_and_b32_e32 v6, 0x7fffffff, v4
	s_delay_alu instid0(VALU_DEP_1)
	v_cmpx_gt_u32_e32 0x47800000, v6
	s_cbranch_execz .LBB433_759
; %bb.754:
	v_cmp_lt_u32_e32 vcc_lo, 0x37ffffff, v6
	s_mov_b32 s23, 0
                                        ; implicit-def: $vgpr6
	s_and_saveexec_b32 s44, vcc_lo
	s_delay_alu instid0(SALU_CYCLE_1)
	s_xor_b32 s44, exec_lo, s44
	s_cbranch_execz .LBB433_823
; %bb.755:
	v_bfe_u32 v6, v4, 21, 1
	s_mov_b32 s23, exec_lo
	s_delay_alu instid0(VALU_DEP_1) | instskip(NEXT) | instid1(VALU_DEP_1)
	v_add3_u32 v6, v4, v6, 0x88fffff
	v_lshrrev_b32_e32 v6, 21, v6
	s_or_saveexec_b32 s44, s44
                                        ; implicit-def: $sgpr45
	s_delay_alu instid0(SALU_CYCLE_1)
	s_xor_b32 exec_lo, exec_lo, s44
	s_cbranch_execnz .LBB433_824
.LBB433_756:
	s_or_b32 exec_lo, exec_lo, s44
	v_mov_b32_e32 v7, s45
	s_and_saveexec_b32 s44, s23
.LBB433_757:
	v_lshrrev_b32_e32 v4, 24, v4
	s_delay_alu instid0(VALU_DEP_1)
	v_and_or_b32 v7, 0x80, v4, v6
.LBB433_758:
	s_or_b32 exec_lo, exec_lo, s44
.LBB433_759:
	s_delay_alu instid0(SALU_CYCLE_1)
	s_or_b32 exec_lo, exec_lo, s22
	s_mov_b32 s22, 0
	global_store_b8 v[0:1], v7, off
.LBB433_760:
	s_and_b32 vcc_lo, exec_lo, s22
	s_cbranch_vccz .LBB433_770
; %bb.761:
	v_bfe_i32 v4, v2, 0, 16
	s_mov_b32 s22, exec_lo
                                        ; implicit-def: $vgpr6
	s_delay_alu instid0(VALU_DEP_1) | instskip(NEXT) | instid1(VALU_DEP_1)
	v_cvt_f32_i32_e32 v4, v4
	v_and_b32_e32 v7, 0x7fffffff, v4
	s_delay_alu instid0(VALU_DEP_1)
	v_cmpx_gt_u32_e32 0x43f00000, v7
	s_xor_b32 s22, exec_lo, s22
	s_cbranch_execz .LBB433_767
; %bb.762:
	s_mov_b32 s23, exec_lo
                                        ; implicit-def: $vgpr6
	v_cmpx_lt_u32_e32 0x3c7fffff, v7
	s_xor_b32 s23, exec_lo, s23
; %bb.763:
	v_bfe_u32 v6, v4, 20, 1
	s_delay_alu instid0(VALU_DEP_1) | instskip(NEXT) | instid1(VALU_DEP_1)
	v_add3_u32 v6, v4, v6, 0x407ffff
	v_and_b32_e32 v7, 0xff00000, v6
	v_lshrrev_b32_e32 v6, 20, v6
	s_delay_alu instid0(VALU_DEP_2) | instskip(NEXT) | instid1(VALU_DEP_2)
	v_cmp_ne_u32_e32 vcc_lo, 0x7f00000, v7
	v_cndmask_b32_e32 v6, 0x7e, v6, vcc_lo
; %bb.764:
	s_and_not1_saveexec_b32 s23, s23
; %bb.765:
	v_add_f32_e64 v6, 0x46800000, |v4|
; %bb.766:
	s_or_b32 exec_lo, exec_lo, s23
                                        ; implicit-def: $vgpr7
.LBB433_767:
	s_and_not1_saveexec_b32 s22, s22
; %bb.768:
	v_mov_b32_e32 v6, 0x7f
	v_cmp_lt_u32_e32 vcc_lo, 0x7f800000, v7
	s_delay_alu instid0(VALU_DEP_2)
	v_cndmask_b32_e32 v6, 0x7e, v6, vcc_lo
; %bb.769:
	s_or_b32 exec_lo, exec_lo, s22
	v_lshrrev_b32_e32 v4, 24, v4
	s_delay_alu instid0(VALU_DEP_1)
	v_and_or_b32 v4, 0x80, v4, v6
	global_store_b8 v[0:1], v4, off
.LBB433_770:
	s_mov_b32 s22, 0
.LBB433_771:
	s_delay_alu instid0(SALU_CYCLE_1)
	s_and_not1_b32 vcc_lo, exec_lo, s22
	s_cbranch_vccnz .LBB433_781
; %bb.772:
	v_bfe_i32 v4, v2, 0, 16
	s_mov_b32 s22, exec_lo
                                        ; implicit-def: $vgpr6
	s_delay_alu instid0(VALU_DEP_1) | instskip(NEXT) | instid1(VALU_DEP_1)
	v_cvt_f32_i32_e32 v4, v4
	v_and_b32_e32 v7, 0x7fffffff, v4
	s_delay_alu instid0(VALU_DEP_1)
	v_cmpx_gt_u32_e32 0x47800000, v7
	s_xor_b32 s22, exec_lo, s22
	s_cbranch_execz .LBB433_778
; %bb.773:
	s_mov_b32 s23, exec_lo
                                        ; implicit-def: $vgpr6
	v_cmpx_lt_u32_e32 0x387fffff, v7
	s_xor_b32 s23, exec_lo, s23
; %bb.774:
	v_bfe_u32 v6, v4, 21, 1
	s_delay_alu instid0(VALU_DEP_1) | instskip(NEXT) | instid1(VALU_DEP_1)
	v_add3_u32 v6, v4, v6, 0x80fffff
	v_lshrrev_b32_e32 v6, 21, v6
; %bb.775:
	s_and_not1_saveexec_b32 s23, s23
; %bb.776:
	v_add_f32_e64 v6, 0x43000000, |v4|
; %bb.777:
	s_or_b32 exec_lo, exec_lo, s23
                                        ; implicit-def: $vgpr7
.LBB433_778:
	s_and_not1_saveexec_b32 s22, s22
; %bb.779:
	v_mov_b32_e32 v6, 0x7f
	v_cmp_lt_u32_e32 vcc_lo, 0x7f800000, v7
	s_delay_alu instid0(VALU_DEP_2)
	v_cndmask_b32_e32 v6, 0x7c, v6, vcc_lo
; %bb.780:
	s_or_b32 exec_lo, exec_lo, s22
	v_lshrrev_b32_e32 v4, 24, v4
	s_delay_alu instid0(VALU_DEP_1)
	v_and_or_b32 v4, 0x80, v4, v6
	global_store_b8 v[0:1], v4, off
.LBB433_781:
	s_mov_b32 s23, 0
	s_mov_b32 s22, -1
.LBB433_782:
	s_and_not1_b32 vcc_lo, exec_lo, s23
	s_cbranch_vccnz .LBB433_790
; %bb.783:
	v_cmp_lt_i16_e32 vcc_lo, 14, v3
	s_mov_b32 s23, -1
	s_cbranch_vccz .LBB433_787
; %bb.784:
	v_cmp_eq_u16_e32 vcc_lo, 15, v3
	s_mov_b32 s2, -1
	s_cbranch_vccz .LBB433_786
; %bb.785:
	v_bfe_i32 v4, v2, 0, 16
	s_mov_b32 s22, -1
	s_mov_b32 s2, 0
	s_delay_alu instid0(VALU_DEP_1) | instskip(NEXT) | instid1(VALU_DEP_1)
	v_cvt_f32_i32_e32 v4, v4
	v_bfe_u32 v6, v4, 16, 1
	s_delay_alu instid0(VALU_DEP_1)
	v_add3_u32 v4, v4, v6, 0x7fff
	global_store_d16_hi_b16 v[0:1], v4, off
.LBB433_786:
	s_mov_b32 s23, 0
.LBB433_787:
	s_delay_alu instid0(SALU_CYCLE_1)
	s_and_b32 vcc_lo, exec_lo, s23
	s_cbranch_vccz .LBB433_790
; %bb.788:
	v_cmp_eq_u16_e32 vcc_lo, 11, v3
	s_mov_b32 s2, -1
	s_cbranch_vccz .LBB433_790
; %bb.789:
	v_cmp_ne_u16_e32 vcc_lo, 0, v2
	s_mov_b32 s2, 0
	s_mov_b32 s22, -1
	v_cndmask_b32_e64 v4, 0, 1, vcc_lo
	global_store_b8 v[0:1], v4, off
.LBB433_790:
.LBB433_791:
	s_and_not1_b32 vcc_lo, exec_lo, s22
	s_cbranch_vccnz .LBB433_716
.LBB433_792:
	v_add_nc_u32_e32 v5, 0x80, v5
	s_mov_b32 s44, -1
.LBB433_793:
	s_and_not1_b32 s22, s41, exec_lo
	s_and_b32 s2, s2, exec_lo
	s_and_not1_b32 s45, s40, exec_lo
	s_and_b32 s3, s3, exec_lo
	s_or_b32 s23, s22, s2
	s_or_b32 s22, s45, s3
	s_or_not1_b32 s45, s44, exec_lo
.LBB433_794:
	s_or_b32 exec_lo, exec_lo, s43
	s_mov_b32 s2, 0
	s_mov_b32 s3, 0
	;; [unrolled: 1-line block ×3, first 2 shown]
                                        ; implicit-def: $vgpr6
                                        ; implicit-def: $vgpr1_vgpr2
                                        ; implicit-def: $vgpr0
                                        ; implicit-def: $vgpr3
	s_and_saveexec_b32 s43, s45
	s_cbranch_execz .LBB433_888
; %bb.795:
	v_cmp_gt_i32_e32 vcc_lo, s34, v5
	s_mov_b32 s46, s22
	s_mov_b32 s45, 0
                                        ; implicit-def: $vgpr6
                                        ; implicit-def: $vgpr1_vgpr2
                                        ; implicit-def: $vgpr0
                                        ; implicit-def: $vgpr3
	s_and_saveexec_b32 s34, vcc_lo
	s_cbranch_execz .LBB433_887
; %bb.796:
	s_and_not1_b32 vcc_lo, exec_lo, s27
	s_cbranch_vccnz .LBB433_801
; %bb.797:
	v_dual_mov_b32 v0, 0 :: v_dual_mov_b32 v1, 0
	s_and_not1_b32 vcc_lo, exec_lo, s36
	s_mov_b32 s36, 0
	s_cbranch_vccnz .LBB433_806
; %bb.798:
	v_mov_b32_e32 v0, 0
	s_add_i32 s44, s35, 1
	s_cmp_eq_u32 s25, 2
	s_mov_b32 s35, 0
	s_cbranch_scc1 .LBB433_802
; %bb.799:
	v_dual_mov_b32 v1, 0 :: v_dual_mov_b32 v0, 0
	v_mov_b32_e32 v2, v5
	s_and_b32 s35, s44, 28
	s_mov_b64 s[2:3], s[16:17]
.LBB433_800:                            ; =>This Inner Loop Header: Depth=1
	s_clause 0x1
	s_load_b256 s[48:55], s[2:3], 0x4
	s_load_b128 s[64:67], s[2:3], 0x24
	s_load_b256 s[56:63], s[20:21], 0x0
	s_add_u32 s2, s2, 48
	s_addc_u32 s3, s3, 0
	s_add_i32 s45, s45, 4
	s_add_u32 s20, s20, 32
	s_addc_u32 s21, s21, 0
	s_cmp_eq_u32 s35, s45
	s_waitcnt vmcnt(0) lgkmcnt(0)
	v_mul_hi_u32 v3, s49, v2
	s_delay_alu instid0(VALU_DEP_1) | instskip(NEXT) | instid1(VALU_DEP_1)
	v_add_nc_u32_e32 v3, v2, v3
	v_lshrrev_b32_e32 v3, s50, v3
	s_delay_alu instid0(VALU_DEP_1) | instskip(SKIP_1) | instid1(VALU_DEP_2)
	v_mul_hi_u32 v4, s52, v3
	v_mul_lo_u32 v7, v3, s48
	v_add_nc_u32_e32 v4, v3, v4
	s_delay_alu instid0(VALU_DEP_2) | instskip(NEXT) | instid1(VALU_DEP_2)
	v_sub_nc_u32_e32 v2, v2, v7
	v_lshrrev_b32_e32 v4, s53, v4
	s_delay_alu instid0(VALU_DEP_2) | instskip(SKIP_1) | instid1(VALU_DEP_3)
	v_mul_lo_u32 v7, v2, s56
	v_mul_lo_u32 v9, v2, s57
	v_mul_hi_u32 v6, s55, v4
	s_delay_alu instid0(VALU_DEP_1) | instskip(NEXT) | instid1(VALU_DEP_1)
	v_add_nc_u32_e32 v6, v4, v6
	v_lshrrev_b32_e32 v6, s64, v6
	s_delay_alu instid0(VALU_DEP_1) | instskip(SKIP_1) | instid1(VALU_DEP_2)
	v_mul_hi_u32 v8, s66, v6
	v_mul_lo_u32 v10, v6, s54
	v_add_nc_u32_e32 v2, v6, v8
	v_mul_lo_u32 v8, v4, s51
	s_delay_alu instid0(VALU_DEP_3) | instskip(NEXT) | instid1(VALU_DEP_3)
	v_sub_nc_u32_e32 v4, v4, v10
	v_lshrrev_b32_e32 v2, s67, v2
	s_delay_alu instid0(VALU_DEP_2) | instskip(SKIP_2) | instid1(VALU_DEP_4)
	v_mul_lo_u32 v10, v4, s60
	v_mul_lo_u32 v4, v4, s61
	v_sub_nc_u32_e32 v3, v3, v8
	v_mul_lo_u32 v11, v2, s65
	s_delay_alu instid0(VALU_DEP_2) | instskip(SKIP_1) | instid1(VALU_DEP_3)
	v_mul_lo_u32 v8, v3, s58
	v_mul_lo_u32 v3, v3, s59
	v_sub_nc_u32_e32 v6, v6, v11
	s_delay_alu instid0(VALU_DEP_3) | instskip(NEXT) | instid1(VALU_DEP_2)
	v_add3_u32 v0, v7, v0, v8
	v_mul_lo_u32 v11, v6, s62
	v_mul_lo_u32 v6, v6, s63
	v_add3_u32 v1, v9, v1, v3
	s_delay_alu instid0(VALU_DEP_3) | instskip(NEXT) | instid1(VALU_DEP_2)
	v_add3_u32 v0, v10, v0, v11
	v_add3_u32 v1, v4, v1, v6
	s_cbranch_scc0 .LBB433_800
	s_branch .LBB433_803
.LBB433_801:
	s_mov_b32 s36, -1
                                        ; implicit-def: $vgpr0
                                        ; implicit-def: $vgpr1
	s_branch .LBB433_806
.LBB433_802:
	v_dual_mov_b32 v2, v5 :: v_dual_mov_b32 v1, 0
.LBB433_803:
	s_and_b32 s44, s44, 3
	s_delay_alu instid0(SALU_CYCLE_1)
	s_cmp_eq_u32 s44, 0
	s_cbranch_scc1 .LBB433_806
; %bb.804:
	s_lshl_b32 s2, s35, 3
	s_mul_i32 s20, s35, 12
	s_add_u32 s2, s2, s16
	s_addc_u32 s3, s17, 0
	s_add_u32 s2, s2, 0xc4
	s_addc_u32 s3, s3, 0
	;; [unrolled: 2-line block ×3, first 2 shown]
.LBB433_805:                            ; =>This Inner Loop Header: Depth=1
	s_clause 0x1
	s_load_b64 s[46:47], s[20:21], 0x4
	s_load_b32 s35, s[20:21], 0xc
	s_load_b64 s[48:49], s[2:3], 0x0
	s_add_u32 s20, s20, 12
	s_addc_u32 s21, s21, 0
	s_add_u32 s2, s2, 8
	s_addc_u32 s3, s3, 0
	s_add_i32 s44, s44, -1
	s_delay_alu instid0(SALU_CYCLE_1) | instskip(SKIP_2) | instid1(VALU_DEP_1)
	s_cmp_lg_u32 s44, 0
	s_waitcnt vmcnt(0) lgkmcnt(0)
	v_mul_hi_u32 v3, s47, v2
	v_add_nc_u32_e32 v3, v2, v3
	s_delay_alu instid0(VALU_DEP_1) | instskip(NEXT) | instid1(VALU_DEP_1)
	v_lshrrev_b32_e32 v8, s35, v3
	v_mul_lo_u32 v3, v8, s46
	s_delay_alu instid0(VALU_DEP_1) | instskip(NEXT) | instid1(VALU_DEP_1)
	v_sub_nc_u32_e32 v2, v2, v3
	v_mad_u64_u32 v[3:4], null, v2, s48, v[0:1]
	v_mad_u64_u32 v[6:7], null, v2, s49, v[1:2]
	v_mov_b32_e32 v2, v8
	s_delay_alu instid0(VALU_DEP_2)
	v_dual_mov_b32 v0, v3 :: v_dual_mov_b32 v1, v6
	s_cbranch_scc1 .LBB433_805
.LBB433_806:
	s_and_not1_b32 vcc_lo, exec_lo, s36
	s_cbranch_vccnz .LBB433_809
; %bb.807:
	v_mul_hi_u32 v0, s13, v5
	s_and_not1_b32 vcc_lo, exec_lo, s33
	s_delay_alu instid0(VALU_DEP_1) | instskip(NEXT) | instid1(VALU_DEP_1)
	v_add_nc_u32_e32 v0, v5, v0
	v_lshrrev_b32_e32 v2, s14, v0
	s_delay_alu instid0(VALU_DEP_1) | instskip(NEXT) | instid1(VALU_DEP_1)
	v_mul_lo_u32 v0, v2, s12
	v_sub_nc_u32_e32 v1, v5, v0
	s_delay_alu instid0(VALU_DEP_1)
	v_mul_lo_u32 v0, v1, s8
	v_mul_lo_u32 v1, v1, s9
	s_cbranch_vccnz .LBB433_809
; %bb.808:
	s_waitcnt vmcnt(0)
	v_mul_hi_u32 v3, s18, v2
	s_delay_alu instid0(VALU_DEP_1) | instskip(NEXT) | instid1(VALU_DEP_1)
	v_add_nc_u32_e32 v3, v2, v3
	v_lshrrev_b32_e32 v3, s19, v3
	s_delay_alu instid0(VALU_DEP_1) | instskip(NEXT) | instid1(VALU_DEP_1)
	v_mul_lo_u32 v3, v3, s15
	v_sub_nc_u32_e32 v5, v2, v3
	s_delay_alu instid0(VALU_DEP_1) | instskip(NEXT) | instid1(VALU_DEP_1)
	v_mad_u64_u32 v[2:3], null, v5, s10, v[0:1]
	v_mad_u64_u32 v[3:4], null, v5, s11, v[1:2]
	s_delay_alu instid0(VALU_DEP_1)
	v_dual_mov_b32 v0, v2 :: v_dual_mov_b32 v1, v3
.LBB433_809:
	v_and_b32_e64 v6, 0xff, s31
	s_delay_alu instid0(VALU_DEP_2) | instskip(NEXT) | instid1(VALU_DEP_1)
	v_add_co_u32 v1, s2, s6, v1
	v_add_co_ci_u32_e64 v2, null, s7, 0, s2
	s_delay_alu instid0(VALU_DEP_3)
	v_cmp_gt_i16_e32 vcc_lo, 11, v6
	s_mov_b32 s6, 0
	s_cbranch_vccnz .LBB433_816
; %bb.810:
	v_cmp_lt_i16_e32 vcc_lo, 25, v6
	s_mov_b32 s3, 0
	s_cbranch_vccz .LBB433_817
; %bb.811:
	v_cmp_lt_i16_e32 vcc_lo, 28, v6
	s_cbranch_vccz .LBB433_818
; %bb.812:
	v_cmp_lt_i16_e32 vcc_lo, 43, v6
	;; [unrolled: 3-line block ×3, first 2 shown]
	s_cbranch_vccz .LBB433_822
; %bb.814:
	v_cmp_eq_u16_e32 vcc_lo, 46, v6
	s_mov_b32 s7, 0
	s_cbranch_vccz .LBB433_825
; %bb.815:
	global_load_b32 v3, v[1:2], off
	s_mov_b32 s2, 0
	s_mov_b32 s6, -1
	s_waitcnt vmcnt(0)
	v_lshlrev_b32_e32 v3, 16, v3
	s_delay_alu instid0(VALU_DEP_1)
	v_cvt_i32_f32_e32 v3, v3
	s_branch .LBB433_827
.LBB433_816:
	s_mov_b32 s7, -1
	s_mov_b32 s3, 0
	s_mov_b32 s2, s22
                                        ; implicit-def: $vgpr3
	s_branch .LBB433_886
.LBB433_817:
	s_mov_b32 s7, -1
	s_mov_b32 s2, s22
                                        ; implicit-def: $vgpr3
	s_branch .LBB433_854
.LBB433_818:
	s_mov_b32 s7, -1
	s_mov_b32 s2, s22
                                        ; implicit-def: $vgpr3
	s_branch .LBB433_837
.LBB433_819:
	s_mov_b32 s7, -1
	s_mov_b32 s2, s22
                                        ; implicit-def: $vgpr3
	s_branch .LBB433_832
.LBB433_820:
	s_or_saveexec_b32 s44, s44
                                        ; implicit-def: $sgpr45
	s_delay_alu instid0(SALU_CYCLE_1)
	s_xor_b32 exec_lo, exec_lo, s44
	s_cbranch_execz .LBB433_743
.LBB433_821:
	v_add_f32_e64 v6, 0x46000000, |v4|
	s_and_not1_b32 s23, s23, exec_lo
	s_mov_b32 s45, 0
	s_delay_alu instid0(VALU_DEP_1) | instskip(NEXT) | instid1(VALU_DEP_1)
	v_and_b32_e32 v6, 0xff, v6
	v_cmp_ne_u32_e32 vcc_lo, 0, v6
	s_and_b32 s46, vcc_lo, exec_lo
	s_delay_alu instid0(SALU_CYCLE_1)
	s_or_b32 s23, s23, s46
	s_or_b32 exec_lo, exec_lo, s44
	v_mov_b32_e32 v7, s45
	s_and_saveexec_b32 s44, s23
	s_cbranch_execnz .LBB433_744
	s_branch .LBB433_745
.LBB433_822:
	s_mov_b32 s7, -1
	s_mov_b32 s2, s22
	s_branch .LBB433_826
.LBB433_823:
	s_or_saveexec_b32 s44, s44
                                        ; implicit-def: $sgpr45
	s_delay_alu instid0(SALU_CYCLE_1)
	s_xor_b32 exec_lo, exec_lo, s44
	s_cbranch_execz .LBB433_756
.LBB433_824:
	v_add_f32_e64 v6, 0x42800000, |v4|
	s_and_not1_b32 s23, s23, exec_lo
	s_mov_b32 s45, 0
	s_delay_alu instid0(VALU_DEP_1) | instskip(NEXT) | instid1(VALU_DEP_1)
	v_and_b32_e32 v6, 0xff, v6
	v_cmp_ne_u32_e32 vcc_lo, 0, v6
	s_and_b32 s46, vcc_lo, exec_lo
	s_delay_alu instid0(SALU_CYCLE_1)
	s_or_b32 s23, s23, s46
	s_or_b32 exec_lo, exec_lo, s44
	v_mov_b32_e32 v7, s45
	s_and_saveexec_b32 s44, s23
	s_cbranch_execnz .LBB433_757
	s_branch .LBB433_758
.LBB433_825:
	s_mov_b32 s2, -1
.LBB433_826:
                                        ; implicit-def: $vgpr3
.LBB433_827:
	s_and_b32 vcc_lo, exec_lo, s7
	s_cbranch_vccz .LBB433_831
; %bb.828:
	v_cmp_eq_u16_e32 vcc_lo, 44, v6
	s_cbranch_vccz .LBB433_830
; %bb.829:
	global_load_u8 v3, v[1:2], off
	s_mov_b32 s2, 0
	s_mov_b32 s6, -1
	s_waitcnt vmcnt(0)
	v_lshlrev_b32_e32 v4, 23, v3
	v_cmp_ne_u32_e32 vcc_lo, 0, v3
	s_delay_alu instid0(VALU_DEP_2) | instskip(NEXT) | instid1(VALU_DEP_1)
	v_cvt_i32_f32_e32 v4, v4
	v_cndmask_b32_e32 v3, 0, v4, vcc_lo
	s_branch .LBB433_831
.LBB433_830:
	s_mov_b32 s2, -1
                                        ; implicit-def: $vgpr3
.LBB433_831:
	s_mov_b32 s7, 0
.LBB433_832:
	s_delay_alu instid0(SALU_CYCLE_1)
	s_and_b32 vcc_lo, exec_lo, s7
	s_cbranch_vccz .LBB433_836
; %bb.833:
	v_cmp_eq_u16_e32 vcc_lo, 29, v6
	s_cbranch_vccz .LBB433_835
; %bb.834:
	global_load_b64 v[3:4], v[1:2], off
	s_mov_b32 s2, 0
	s_mov_b32 s6, -1
	s_branch .LBB433_836
.LBB433_835:
	s_mov_b32 s2, -1
                                        ; implicit-def: $vgpr3
.LBB433_836:
	s_mov_b32 s7, 0
.LBB433_837:
	s_delay_alu instid0(SALU_CYCLE_1)
	s_and_b32 vcc_lo, exec_lo, s7
	s_cbranch_vccz .LBB433_853
; %bb.838:
	v_cmp_gt_i16_e32 vcc_lo, 27, v6
	s_cbranch_vccnz .LBB433_841
; %bb.839:
	v_cmp_lt_i16_e32 vcc_lo, 27, v6
	s_cbranch_vccz .LBB433_842
; %bb.840:
	global_load_b32 v3, v[1:2], off
	s_mov_b32 s6, 0
	s_branch .LBB433_843
.LBB433_841:
	s_mov_b32 s6, -1
                                        ; implicit-def: $vgpr3
	s_branch .LBB433_846
.LBB433_842:
	s_mov_b32 s6, -1
                                        ; implicit-def: $vgpr3
.LBB433_843:
	s_delay_alu instid0(SALU_CYCLE_1)
	s_and_not1_b32 vcc_lo, exec_lo, s6
	s_cbranch_vccnz .LBB433_845
; %bb.844:
	global_load_u16 v3, v[1:2], off
.LBB433_845:
	s_mov_b32 s6, 0
.LBB433_846:
	s_delay_alu instid0(SALU_CYCLE_1)
	s_and_not1_b32 vcc_lo, exec_lo, s6
	s_cbranch_vccnz .LBB433_852
; %bb.847:
	global_load_u8 v4, v[1:2], off
	s_mov_b32 s6, 0
	s_mov_b32 s7, exec_lo
                                        ; implicit-def: $sgpr8
	s_waitcnt vmcnt(0)
	v_cmpx_lt_i16_e32 0x7f, v4
	s_xor_b32 s7, exec_lo, s7
	s_cbranch_execz .LBB433_864
; %bb.848:
	v_cmp_ne_u16_e32 vcc_lo, 0x80, v4
	s_mov_b32 s8, 0
	s_and_b32 s6, vcc_lo, exec_lo
	s_or_saveexec_b32 s7, s7
	v_mov_b32_e32 v3, s8
	s_xor_b32 exec_lo, exec_lo, s7
	s_cbranch_execnz .LBB433_865
.LBB433_849:
	s_or_b32 exec_lo, exec_lo, s7
	s_and_saveexec_b32 s7, s6
	s_cbranch_execz .LBB433_851
.LBB433_850:
	v_and_b32_e32 v3, 0xffff, v4
	v_lshlrev_b32_e32 v4, 24, v4
	s_delay_alu instid0(VALU_DEP_2) | instskip(NEXT) | instid1(VALU_DEP_2)
	v_and_b32_e32 v5, 7, v3
	v_and_b32_e32 v4, 0x80000000, v4
	s_delay_alu instid0(VALU_DEP_2) | instskip(NEXT) | instid1(VALU_DEP_1)
	v_clz_i32_u32_e32 v7, v5
	v_min_u32_e32 v7, 32, v7
	s_delay_alu instid0(VALU_DEP_1) | instskip(SKIP_1) | instid1(VALU_DEP_2)
	v_subrev_nc_u32_e32 v8, 28, v7
	v_sub_nc_u32_e32 v7, 29, v7
	v_lshlrev_b32_e32 v8, v8, v3
	v_bfe_u32 v3, v3, 3, 4
	s_delay_alu instid0(VALU_DEP_1) | instskip(NEXT) | instid1(VALU_DEP_3)
	v_cmp_eq_u32_e32 vcc_lo, 0, v3
	v_dual_cndmask_b32 v3, v3, v7 :: v_dual_and_b32 v8, 7, v8
	s_delay_alu instid0(VALU_DEP_1) | instskip(NEXT) | instid1(VALU_DEP_2)
	v_cndmask_b32_e32 v5, v5, v8, vcc_lo
	v_lshl_add_u32 v3, v3, 23, 0x3b800000
	s_delay_alu instid0(VALU_DEP_2) | instskip(NEXT) | instid1(VALU_DEP_1)
	v_lshlrev_b32_e32 v5, 20, v5
	v_or3_b32 v3, v4, v3, v5
	s_delay_alu instid0(VALU_DEP_1)
	v_cvt_i32_f32_e32 v3, v3
.LBB433_851:
	s_or_b32 exec_lo, exec_lo, s7
.LBB433_852:
	s_mov_b32 s6, -1
.LBB433_853:
	s_mov_b32 s7, 0
.LBB433_854:
	s_delay_alu instid0(SALU_CYCLE_1)
	s_and_b32 vcc_lo, exec_lo, s7
	s_cbranch_vccz .LBB433_885
; %bb.855:
	v_cmp_lt_i16_e32 vcc_lo, 22, v6
	s_cbranch_vccz .LBB433_863
; %bb.856:
	v_cmp_gt_i16_e32 vcc_lo, 24, v6
	s_cbranch_vccnz .LBB433_866
; %bb.857:
	v_cmp_lt_i16_e32 vcc_lo, 24, v6
	s_cbranch_vccz .LBB433_867
; %bb.858:
	global_load_u8 v4, v[1:2], off
	s_mov_b32 s6, exec_lo
                                        ; implicit-def: $sgpr7
	s_waitcnt vmcnt(0)
	v_cmpx_lt_i16_e32 0x7f, v4
	s_xor_b32 s6, exec_lo, s6
	s_cbranch_execz .LBB433_879
; %bb.859:
	v_cmp_ne_u16_e32 vcc_lo, 0x80, v4
	s_mov_b32 s7, 0
	s_and_b32 s3, vcc_lo, exec_lo
	s_or_saveexec_b32 s6, s6
	v_mov_b32_e32 v3, s7
	s_xor_b32 exec_lo, exec_lo, s6
	s_cbranch_execnz .LBB433_880
.LBB433_860:
	s_or_b32 exec_lo, exec_lo, s6
	s_and_saveexec_b32 s6, s3
	s_cbranch_execz .LBB433_862
.LBB433_861:
	v_and_b32_e32 v3, 0xffff, v4
	v_lshlrev_b32_e32 v4, 24, v4
	s_delay_alu instid0(VALU_DEP_2) | instskip(NEXT) | instid1(VALU_DEP_2)
	v_and_b32_e32 v5, 3, v3
	v_and_b32_e32 v4, 0x80000000, v4
	s_delay_alu instid0(VALU_DEP_2) | instskip(NEXT) | instid1(VALU_DEP_1)
	v_clz_i32_u32_e32 v7, v5
	v_min_u32_e32 v7, 32, v7
	s_delay_alu instid0(VALU_DEP_1) | instskip(SKIP_1) | instid1(VALU_DEP_2)
	v_subrev_nc_u32_e32 v8, 29, v7
	v_sub_nc_u32_e32 v7, 30, v7
	v_lshlrev_b32_e32 v8, v8, v3
	v_bfe_u32 v3, v3, 2, 5
	s_delay_alu instid0(VALU_DEP_1) | instskip(NEXT) | instid1(VALU_DEP_3)
	v_cmp_eq_u32_e32 vcc_lo, 0, v3
	v_dual_cndmask_b32 v3, v3, v7 :: v_dual_and_b32 v8, 3, v8
	s_delay_alu instid0(VALU_DEP_1) | instskip(NEXT) | instid1(VALU_DEP_2)
	v_cndmask_b32_e32 v5, v5, v8, vcc_lo
	v_lshl_add_u32 v3, v3, 23, 0x37800000
	s_delay_alu instid0(VALU_DEP_2) | instskip(NEXT) | instid1(VALU_DEP_1)
	v_lshlrev_b32_e32 v5, 21, v5
	v_or3_b32 v3, v4, v3, v5
	s_delay_alu instid0(VALU_DEP_1)
	v_cvt_i32_f32_e32 v3, v3
.LBB433_862:
	s_or_b32 exec_lo, exec_lo, s6
	s_mov_b32 s3, 0
	s_branch .LBB433_868
.LBB433_863:
	s_mov_b32 s3, -1
                                        ; implicit-def: $vgpr3
	s_branch .LBB433_874
.LBB433_864:
	s_or_saveexec_b32 s7, s7
	v_mov_b32_e32 v3, s8
	s_xor_b32 exec_lo, exec_lo, s7
	s_cbranch_execz .LBB433_849
.LBB433_865:
	v_cmp_ne_u16_e32 vcc_lo, 0, v4
	v_mov_b32_e32 v3, 0
	s_and_not1_b32 s6, s6, exec_lo
	s_and_b32 s8, vcc_lo, exec_lo
	s_delay_alu instid0(SALU_CYCLE_1)
	s_or_b32 s6, s6, s8
	s_or_b32 exec_lo, exec_lo, s7
	s_and_saveexec_b32 s7, s6
	s_cbranch_execnz .LBB433_850
	s_branch .LBB433_851
.LBB433_866:
	s_mov_b32 s3, -1
                                        ; implicit-def: $vgpr3
	s_branch .LBB433_871
.LBB433_867:
	s_mov_b32 s3, -1
                                        ; implicit-def: $vgpr3
.LBB433_868:
	s_delay_alu instid0(SALU_CYCLE_1)
	s_and_b32 vcc_lo, exec_lo, s3
	s_cbranch_vccz .LBB433_870
; %bb.869:
	global_load_u8 v3, v[1:2], off
	s_waitcnt vmcnt(0)
	v_lshlrev_b32_e32 v3, 24, v3
	s_delay_alu instid0(VALU_DEP_1) | instskip(NEXT) | instid1(VALU_DEP_1)
	v_and_b32_e32 v4, 0x7f000000, v3
	v_clz_i32_u32_e32 v5, v4
	v_add_nc_u32_e32 v8, 0x1000000, v4
	v_cmp_ne_u32_e32 vcc_lo, 0, v4
	s_delay_alu instid0(VALU_DEP_3) | instskip(NEXT) | instid1(VALU_DEP_1)
	v_min_u32_e32 v5, 32, v5
	v_sub_nc_u32_e64 v5, v5, 4 clamp
	s_delay_alu instid0(VALU_DEP_1) | instskip(SKIP_1) | instid1(VALU_DEP_2)
	v_lshlrev_b32_e32 v7, v5, v4
	v_lshlrev_b32_e32 v5, 23, v5
	v_lshrrev_b32_e32 v7, 4, v7
	s_delay_alu instid0(VALU_DEP_1) | instskip(SKIP_1) | instid1(VALU_DEP_2)
	v_sub_nc_u32_e32 v5, v7, v5
	v_ashrrev_i32_e32 v7, 8, v8
	v_add_nc_u32_e32 v5, 0x3c000000, v5
	s_delay_alu instid0(VALU_DEP_1) | instskip(NEXT) | instid1(VALU_DEP_1)
	v_and_or_b32 v5, 0x7f800000, v7, v5
	v_cndmask_b32_e32 v4, 0, v5, vcc_lo
	s_delay_alu instid0(VALU_DEP_1) | instskip(NEXT) | instid1(VALU_DEP_1)
	v_and_or_b32 v3, 0x80000000, v3, v4
	v_cvt_i32_f32_e32 v3, v3
.LBB433_870:
	s_mov_b32 s3, 0
.LBB433_871:
	s_delay_alu instid0(SALU_CYCLE_1)
	s_and_not1_b32 vcc_lo, exec_lo, s3
	s_cbranch_vccnz .LBB433_873
; %bb.872:
	global_load_u8 v3, v[1:2], off
	s_waitcnt vmcnt(0)
	v_lshlrev_b32_e32 v4, 25, v3
	v_lshlrev_b16 v3, 8, v3
	s_delay_alu instid0(VALU_DEP_2) | instskip(NEXT) | instid1(VALU_DEP_2)
	v_lshrrev_b32_e32 v5, 4, v4
	v_and_or_b32 v7, 0x7f00, v3, 0.5
	v_bfe_i32 v3, v3, 0, 16
	s_delay_alu instid0(VALU_DEP_3) | instskip(NEXT) | instid1(VALU_DEP_3)
	v_or_b32_e32 v5, 0x70000000, v5
	v_add_f32_e32 v7, -0.5, v7
	s_delay_alu instid0(VALU_DEP_2) | instskip(SKIP_1) | instid1(VALU_DEP_2)
	v_mul_f32_e32 v5, 0x7800000, v5
	v_cmp_gt_u32_e32 vcc_lo, 0x8000000, v4
	v_cndmask_b32_e32 v4, v5, v7, vcc_lo
	s_delay_alu instid0(VALU_DEP_1) | instskip(NEXT) | instid1(VALU_DEP_1)
	v_and_or_b32 v3, 0x80000000, v3, v4
	v_cvt_i32_f32_e32 v3, v3
.LBB433_873:
	s_mov_b32 s3, 0
	s_mov_b32 s6, -1
.LBB433_874:
	s_and_not1_b32 vcc_lo, exec_lo, s3
	s_mov_b32 s3, 0
	s_cbranch_vccnz .LBB433_885
; %bb.875:
	v_cmp_lt_i16_e32 vcc_lo, 14, v6
	s_cbranch_vccz .LBB433_878
; %bb.876:
	v_cmp_eq_u16_e32 vcc_lo, 15, v6
	s_cbranch_vccz .LBB433_881
; %bb.877:
	global_load_u16 v3, v[1:2], off
	s_mov_b32 s2, 0
	s_mov_b32 s6, -1
	s_waitcnt vmcnt(0)
	v_lshlrev_b32_e32 v3, 16, v3
	s_delay_alu instid0(VALU_DEP_1)
	v_cvt_i32_f32_e32 v3, v3
	s_branch .LBB433_883
.LBB433_878:
	s_mov_b32 s3, -1
	s_branch .LBB433_882
.LBB433_879:
	s_or_saveexec_b32 s6, s6
	v_mov_b32_e32 v3, s7
	s_xor_b32 exec_lo, exec_lo, s6
	s_cbranch_execz .LBB433_860
.LBB433_880:
	v_cmp_ne_u16_e32 vcc_lo, 0, v4
	v_mov_b32_e32 v3, 0
	s_and_not1_b32 s3, s3, exec_lo
	s_and_b32 s7, vcc_lo, exec_lo
	s_delay_alu instid0(SALU_CYCLE_1)
	s_or_b32 s3, s3, s7
	s_or_b32 exec_lo, exec_lo, s6
	s_and_saveexec_b32 s6, s3
	s_cbranch_execnz .LBB433_861
	s_branch .LBB433_862
.LBB433_881:
	s_mov_b32 s2, -1
.LBB433_882:
                                        ; implicit-def: $vgpr3
.LBB433_883:
	s_and_b32 vcc_lo, exec_lo, s3
	s_mov_b32 s3, 0
	s_cbranch_vccz .LBB433_885
; %bb.884:
	v_cmp_ne_u16_e32 vcc_lo, 11, v6
	s_and_not1_b32 s2, s2, exec_lo
	s_mov_b32 s3, -1
                                        ; implicit-def: $vgpr3
	s_and_b32 s7, vcc_lo, exec_lo
	s_delay_alu instid0(SALU_CYCLE_1)
	s_or_b32 s2, s2, s7
.LBB433_885:
	s_mov_b32 s7, 0
.LBB433_886:
	s_and_b32 s44, s6, exec_lo
	s_and_b32 s45, s7, exec_lo
	s_and_not1_b32 s6, s22, exec_lo
	s_and_b32 s7, s2, exec_lo
	s_and_b32 s2, s3, exec_lo
	s_or_b32 s46, s6, s7
.LBB433_887:
	s_or_b32 exec_lo, exec_lo, s34
	s_delay_alu instid0(SALU_CYCLE_1)
	s_and_not1_b32 s6, s22, exec_lo
	s_and_b32 s7, s46, exec_lo
	s_and_b32 s44, s44, exec_lo
	;; [unrolled: 1-line block ×4, first 2 shown]
	s_or_b32 s22, s6, s7
.LBB433_888:
	s_or_b32 exec_lo, exec_lo, s43
	s_delay_alu instid0(SALU_CYCLE_1)
	s_and_not1_b32 s6, s41, exec_lo
	s_and_b32 s7, s23, exec_lo
	s_and_b32 s43, s44, exec_lo
	s_or_b32 s41, s6, s7
	s_and_not1_b32 s6, s40, exec_lo
	s_and_b32 s7, s22, exec_lo
	s_and_b32 s23, s3, exec_lo
	;; [unrolled: 1-line block ×3, first 2 shown]
	s_or_b32 s40, s6, s7
.LBB433_889:
	s_or_b32 exec_lo, exec_lo, s42
	s_delay_alu instid0(SALU_CYCLE_1)
	s_and_not1_b32 s2, s37, exec_lo
	s_and_b32 s6, s41, exec_lo
	s_and_b32 s7, s40, exec_lo
	s_or_b32 s37, s2, s6
	s_and_not1_b32 s6, s38, exec_lo
	s_and_b32 s2, s43, exec_lo
	s_and_b32 s22, s23, exec_lo
	;; [unrolled: 1-line block ×3, first 2 shown]
	s_or_b32 s38, s6, s7
.LBB433_890:
	s_or_b32 exec_lo, exec_lo, s39
	s_mov_b32 s3, 0
	s_and_saveexec_b32 s6, s38
	s_cbranch_execnz .LBB433_902
; %bb.891:
	s_or_b32 exec_lo, exec_lo, s6
	s_and_saveexec_b32 s6, s40
	s_delay_alu instid0(SALU_CYCLE_1)
	s_xor_b32 s6, exec_lo, s6
	s_cbranch_execz .LBB433_893
.LBB433_892:
	global_load_u8 v3, v[1:2], off
	s_or_b32 s2, s2, exec_lo
	s_waitcnt vmcnt(0)
	v_cmp_ne_u16_e32 vcc_lo, 0, v3
	v_cndmask_b32_e64 v3, 0, 1, vcc_lo
.LBB433_893:
	s_or_b32 exec_lo, exec_lo, s6
	s_and_saveexec_b32 s6, s22
	s_cbranch_execz .LBB433_941
; %bb.894:
	v_cmp_gt_i16_e32 vcc_lo, 5, v6
	s_cbranch_vccnz .LBB433_899
; %bb.895:
	v_cmp_gt_i16_e32 vcc_lo, 8, v6
	s_cbranch_vccnz .LBB433_900
	;; [unrolled: 3-line block ×3, first 2 shown]
; %bb.897:
	v_cmp_lt_i16_e32 vcc_lo, 9, v6
	s_cbranch_vccz .LBB433_904
; %bb.898:
	global_load_b64 v[3:4], v[1:2], off
	s_mov_b32 s7, 0
	s_waitcnt vmcnt(0)
	v_cvt_i32_f64_e32 v3, v[3:4]
	s_branch .LBB433_905
.LBB433_899:
                                        ; implicit-def: $vgpr3
	s_branch .LBB433_922
.LBB433_900:
                                        ; implicit-def: $vgpr3
	s_branch .LBB433_911
.LBB433_901:
	s_mov_b32 s7, -1
                                        ; implicit-def: $vgpr3
	s_branch .LBB433_908
.LBB433_902:
	s_cbranch_execnz .LBB433_1172
; %bb.903:
	s_mov_b32 s3, exec_lo
	s_and_not1_b32 s40, s40, exec_lo
                                        ; implicit-def: $vgpr3
	s_or_b32 exec_lo, exec_lo, s6
	s_and_saveexec_b32 s6, s40
	s_delay_alu instid0(SALU_CYCLE_1)
	s_xor_b32 s6, exec_lo, s6
	s_cbranch_execnz .LBB433_892
	s_branch .LBB433_893
.LBB433_904:
	s_mov_b32 s7, -1
                                        ; implicit-def: $vgpr3
.LBB433_905:
	s_delay_alu instid0(SALU_CYCLE_1)
	s_and_not1_b32 vcc_lo, exec_lo, s7
	s_cbranch_vccnz .LBB433_907
; %bb.906:
	global_load_b32 v3, v[1:2], off
	s_waitcnt vmcnt(0)
	v_cvt_i32_f32_e32 v3, v3
.LBB433_907:
	s_mov_b32 s7, 0
.LBB433_908:
	s_delay_alu instid0(SALU_CYCLE_1)
	s_and_not1_b32 vcc_lo, exec_lo, s7
	s_cbranch_vccnz .LBB433_910
; %bb.909:
	global_load_b32 v3, v[1:2], off
	s_waitcnt vmcnt(0)
	v_cvt_i16_f16_e32 v3, v3
.LBB433_910:
	s_cbranch_execnz .LBB433_921
.LBB433_911:
	v_cmp_gt_i16_e32 vcc_lo, 6, v6
	s_cbranch_vccnz .LBB433_914
; %bb.912:
	v_cmp_lt_i16_e32 vcc_lo, 6, v6
	s_cbranch_vccz .LBB433_915
; %bb.913:
	global_load_b64 v[3:4], v[1:2], off
	s_mov_b32 s7, 0
	s_waitcnt vmcnt(0)
	v_cvt_i32_f64_e32 v3, v[3:4]
	s_branch .LBB433_916
.LBB433_914:
	s_mov_b32 s7, -1
                                        ; implicit-def: $vgpr3
	s_branch .LBB433_919
.LBB433_915:
	s_mov_b32 s7, -1
                                        ; implicit-def: $vgpr3
.LBB433_916:
	s_delay_alu instid0(SALU_CYCLE_1)
	s_and_not1_b32 vcc_lo, exec_lo, s7
	s_cbranch_vccnz .LBB433_918
; %bb.917:
	global_load_b32 v3, v[1:2], off
	s_waitcnt vmcnt(0)
	v_cvt_i32_f32_e32 v3, v3
.LBB433_918:
	s_mov_b32 s7, 0
.LBB433_919:
	s_delay_alu instid0(SALU_CYCLE_1)
	s_and_not1_b32 vcc_lo, exec_lo, s7
	s_cbranch_vccnz .LBB433_921
; %bb.920:
	global_load_u16 v3, v[1:2], off
	s_waitcnt vmcnt(0)
	v_cvt_i16_f16_e32 v3, v3
.LBB433_921:
	s_cbranch_execnz .LBB433_940
.LBB433_922:
	v_cmp_gt_i16_e32 vcc_lo, 2, v6
	s_cbranch_vccnz .LBB433_926
; %bb.923:
	v_cmp_gt_i16_e32 vcc_lo, 3, v6
	s_cbranch_vccnz .LBB433_927
; %bb.924:
	v_cmp_lt_i16_e32 vcc_lo, 3, v6
	s_cbranch_vccz .LBB433_928
; %bb.925:
	global_load_b64 v[3:4], v[1:2], off
	s_mov_b32 s7, 0
	s_branch .LBB433_929
.LBB433_926:
                                        ; implicit-def: $vgpr3
	s_branch .LBB433_935
.LBB433_927:
	s_mov_b32 s7, -1
                                        ; implicit-def: $vgpr3
	s_branch .LBB433_932
.LBB433_928:
	s_mov_b32 s7, -1
                                        ; implicit-def: $vgpr3
.LBB433_929:
	s_delay_alu instid0(SALU_CYCLE_1)
	s_and_not1_b32 vcc_lo, exec_lo, s7
	s_cbranch_vccnz .LBB433_931
; %bb.930:
	global_load_b32 v3, v[1:2], off
.LBB433_931:
	s_mov_b32 s7, 0
.LBB433_932:
	s_delay_alu instid0(SALU_CYCLE_1)
	s_and_not1_b32 vcc_lo, exec_lo, s7
	s_cbranch_vccnz .LBB433_934
; %bb.933:
	global_load_u16 v3, v[1:2], off
.LBB433_934:
	s_cbranch_execnz .LBB433_940
.LBB433_935:
	v_cmp_lt_i16_e32 vcc_lo, 0, v6
	s_mov_b32 s7, 0
	s_cbranch_vccz .LBB433_937
; %bb.936:
	global_load_u8 v3, v[1:2], off
	s_branch .LBB433_938
.LBB433_937:
	s_mov_b32 s7, -1
                                        ; implicit-def: $vgpr3
.LBB433_938:
	s_delay_alu instid0(SALU_CYCLE_1)
	s_and_not1_b32 vcc_lo, exec_lo, s7
	s_cbranch_vccnz .LBB433_940
; %bb.939:
	global_load_u8 v3, v[1:2], off
.LBB433_940:
	s_or_b32 s2, s2, exec_lo
.LBB433_941:
	s_or_b32 exec_lo, exec_lo, s6
	s_mov_b32 s8, 0
	s_mov_b32 s7, 0
                                        ; implicit-def: $vgpr5
                                        ; implicit-def: $vgpr1_vgpr2
                                        ; implicit-def: $vgpr4
	s_and_saveexec_b32 s6, s2
	s_cbranch_execz .LBB433_1018
; %bb.942:
	s_waitcnt vmcnt(0)
	s_delay_alu instid0(VALU_DEP_1)
	v_bfe_i32 v1, v3, 0, 8
	v_and_b32_e64 v5, 0xff, s30
	s_bfe_i32 s2, s29, 0x80000
	s_delay_alu instid0(VALU_DEP_2) | instid1(SALU_CYCLE_1)
	v_min_i16 v4, v1, s2
	s_delay_alu instid0(VALU_DEP_2) | instskip(SKIP_1) | instid1(VALU_DEP_1)
	v_cmp_gt_i16_e32 vcc_lo, 11, v5
	v_add_co_u32 v1, s2, s4, v0
	v_add_co_ci_u32_e64 v2, null, s5, 0, s2
	s_mov_b32 s4, -1
	s_mov_b32 s2, s37
	s_cbranch_vccnz .LBB433_1017
; %bb.943:
	v_cmp_lt_i16_e32 vcc_lo, 25, v5
	s_mov_b32 s2, s37
	s_cbranch_vccz .LBB433_976
; %bb.944:
	v_cmp_lt_i16_e32 vcc_lo, 28, v5
	s_mov_b32 s2, s37
	s_cbranch_vccz .LBB433_960
	;; [unrolled: 4-line block ×4, first 2 shown]
; %bb.947:
	v_cmp_eq_u16_e32 vcc_lo, 46, v5
	s_mov_b32 s2, -1
	s_cbranch_vccz .LBB433_949
; %bb.948:
	v_bfe_i32 v0, v4, 0, 16
	s_mov_b32 s2, 0
	s_delay_alu instid0(VALU_DEP_1) | instskip(NEXT) | instid1(VALU_DEP_1)
	v_cvt_f32_i32_e32 v0, v0
	v_bfe_u32 v3, v0, 16, 1
	s_delay_alu instid0(VALU_DEP_1) | instskip(NEXT) | instid1(VALU_DEP_1)
	v_add3_u32 v0, v0, v3, 0x7fff
	v_lshrrev_b32_e32 v0, 16, v0
	global_store_b32 v[1:2], v0, off
.LBB433_949:
	s_mov_b32 s4, 0
.LBB433_950:
	s_delay_alu instid0(SALU_CYCLE_1)
	s_and_b32 vcc_lo, exec_lo, s4
	s_cbranch_vccz .LBB433_955
; %bb.951:
	v_cmp_eq_u16_e32 vcc_lo, 44, v5
	s_mov_b32 s2, -1
	s_cbranch_vccz .LBB433_955
; %bb.952:
	v_bfe_i32 v0, v4, 0, 16
	v_mov_b32_e32 v3, 0xff
	s_mov_b32 s4, exec_lo
	s_delay_alu instid0(VALU_DEP_2) | instskip(NEXT) | instid1(VALU_DEP_1)
	v_cvt_f32_i32_e32 v0, v0
	v_bfe_u32 v6, v0, 23, 8
	s_delay_alu instid0(VALU_DEP_1)
	v_cmpx_ne_u32_e32 0xff, v6
; %bb.953:
	v_and_b32_e32 v3, 0x400000, v0
	v_and_or_b32 v6, 0x3fffff, v0, v6
	v_lshrrev_b32_e32 v0, 23, v0
	s_delay_alu instid0(VALU_DEP_3) | instskip(NEXT) | instid1(VALU_DEP_3)
	v_cmp_ne_u32_e32 vcc_lo, 0, v3
	v_cmp_ne_u32_e64 s2, 0, v6
	s_delay_alu instid0(VALU_DEP_1) | instskip(NEXT) | instid1(SALU_CYCLE_1)
	s_and_b32 s2, vcc_lo, s2
	v_cndmask_b32_e64 v3, 0, 1, s2
	s_delay_alu instid0(VALU_DEP_1)
	v_add_nc_u32_e32 v3, v0, v3
; %bb.954:
	s_or_b32 exec_lo, exec_lo, s4
	s_mov_b32 s2, 0
	global_store_b8 v[1:2], v3, off
.LBB433_955:
	s_mov_b32 s4, 0
.LBB433_956:
	s_delay_alu instid0(SALU_CYCLE_1)
	s_and_b32 vcc_lo, exec_lo, s4
	s_cbranch_vccz .LBB433_959
; %bb.957:
	v_cmp_eq_u16_e32 vcc_lo, 29, v5
	s_mov_b32 s2, -1
	s_cbranch_vccz .LBB433_959
; %bb.958:
	v_bfe_i32 v6, v4, 0, 16
	s_mov_b32 s2, 0
	s_delay_alu instid0(VALU_DEP_1)
	v_ashrrev_i32_e32 v7, 31, v6
	global_store_b64 v[1:2], v[6:7], off
.LBB433_959:
	s_mov_b32 s4, 0
.LBB433_960:
	s_delay_alu instid0(SALU_CYCLE_1)
	s_and_b32 vcc_lo, exec_lo, s4
	s_cbranch_vccz .LBB433_975
; %bb.961:
	v_cmp_gt_i16_e32 vcc_lo, 27, v5
	s_mov_b32 s4, -1
	s_cbranch_vccnz .LBB433_967
; %bb.962:
	v_cmp_lt_i16_e32 vcc_lo, 27, v5
	s_cbranch_vccz .LBB433_964
; %bb.963:
	v_bfe_i32 v0, v4, 0, 16
	s_mov_b32 s4, 0
	global_store_b32 v[1:2], v0, off
.LBB433_964:
	s_and_not1_b32 vcc_lo, exec_lo, s4
	s_cbranch_vccnz .LBB433_966
; %bb.965:
	global_store_b16 v[1:2], v4, off
.LBB433_966:
	s_mov_b32 s4, 0
.LBB433_967:
	s_delay_alu instid0(SALU_CYCLE_1)
	s_and_not1_b32 vcc_lo, exec_lo, s4
	s_cbranch_vccnz .LBB433_975
; %bb.968:
	v_bfe_i32 v0, v4, 0, 16
	v_mov_b32_e32 v6, 0x80
	s_mov_b32 s4, exec_lo
	s_delay_alu instid0(VALU_DEP_2) | instskip(NEXT) | instid1(VALU_DEP_1)
	v_cvt_f32_i32_e32 v0, v0
	v_and_b32_e32 v3, 0x7fffffff, v0
	s_delay_alu instid0(VALU_DEP_1)
	v_cmpx_gt_u32_e32 0x43800000, v3
	s_cbranch_execz .LBB433_974
; %bb.969:
	v_cmp_lt_u32_e32 vcc_lo, 0x3bffffff, v3
	s_mov_b32 s5, 0
                                        ; implicit-def: $vgpr3
	s_and_saveexec_b32 s7, vcc_lo
	s_delay_alu instid0(SALU_CYCLE_1)
	s_xor_b32 s7, exec_lo, s7
	s_cbranch_execz .LBB433_1258
; %bb.970:
	v_bfe_u32 v3, v0, 20, 1
	s_mov_b32 s5, exec_lo
	s_delay_alu instid0(VALU_DEP_1) | instskip(NEXT) | instid1(VALU_DEP_1)
	v_add3_u32 v3, v0, v3, 0x487ffff
	v_lshrrev_b32_e32 v3, 20, v3
	s_or_saveexec_b32 s7, s7
                                        ; implicit-def: $sgpr8
	s_delay_alu instid0(SALU_CYCLE_1)
	s_xor_b32 exec_lo, exec_lo, s7
	s_cbranch_execnz .LBB433_1259
.LBB433_971:
	s_or_b32 exec_lo, exec_lo, s7
	v_mov_b32_e32 v6, s8
	s_and_saveexec_b32 s7, s5
.LBB433_972:
	v_lshrrev_b32_e32 v0, 24, v0
	s_delay_alu instid0(VALU_DEP_1)
	v_and_or_b32 v6, 0x80, v0, v3
.LBB433_973:
	s_or_b32 exec_lo, exec_lo, s7
.LBB433_974:
	s_delay_alu instid0(SALU_CYCLE_1)
	s_or_b32 exec_lo, exec_lo, s4
	global_store_b8 v[1:2], v6, off
.LBB433_975:
	s_mov_b32 s4, 0
.LBB433_976:
	s_delay_alu instid0(SALU_CYCLE_1)
	s_and_b32 vcc_lo, exec_lo, s4
	s_mov_b32 s4, 0
	s_cbranch_vccz .LBB433_1016
; %bb.977:
	v_cmp_lt_i16_e32 vcc_lo, 22, v5
	s_mov_b32 s5, -1
	s_cbranch_vccz .LBB433_1009
; %bb.978:
	v_cmp_gt_i16_e32 vcc_lo, 24, v5
	s_cbranch_vccnz .LBB433_998
; %bb.979:
	v_cmp_lt_i16_e32 vcc_lo, 24, v5
	s_cbranch_vccz .LBB433_987
; %bb.980:
	v_bfe_i32 v0, v4, 0, 16
	v_mov_b32_e32 v6, 0x80
	s_mov_b32 s5, exec_lo
	s_delay_alu instid0(VALU_DEP_2) | instskip(NEXT) | instid1(VALU_DEP_1)
	v_cvt_f32_i32_e32 v0, v0
	v_and_b32_e32 v3, 0x7fffffff, v0
	s_delay_alu instid0(VALU_DEP_1)
	v_cmpx_gt_u32_e32 0x47800000, v3
	s_cbranch_execz .LBB433_986
; %bb.981:
	v_cmp_lt_u32_e32 vcc_lo, 0x37ffffff, v3
	s_mov_b32 s7, 0
                                        ; implicit-def: $vgpr3
	s_and_saveexec_b32 s8, vcc_lo
	s_delay_alu instid0(SALU_CYCLE_1)
	s_xor_b32 s8, exec_lo, s8
	s_cbranch_execz .LBB433_1302
; %bb.982:
	v_bfe_u32 v3, v0, 21, 1
	s_mov_b32 s7, exec_lo
	s_delay_alu instid0(VALU_DEP_1) | instskip(NEXT) | instid1(VALU_DEP_1)
	v_add3_u32 v3, v0, v3, 0x88fffff
	v_lshrrev_b32_e32 v3, 21, v3
	s_or_saveexec_b32 s8, s8
                                        ; implicit-def: $sgpr9
	s_delay_alu instid0(SALU_CYCLE_1)
	s_xor_b32 exec_lo, exec_lo, s8
	s_cbranch_execnz .LBB433_1303
.LBB433_983:
	s_or_b32 exec_lo, exec_lo, s8
	v_mov_b32_e32 v6, s9
	s_and_saveexec_b32 s8, s7
.LBB433_984:
	v_lshrrev_b32_e32 v0, 24, v0
	s_delay_alu instid0(VALU_DEP_1)
	v_and_or_b32 v6, 0x80, v0, v3
.LBB433_985:
	s_or_b32 exec_lo, exec_lo, s8
.LBB433_986:
	s_delay_alu instid0(SALU_CYCLE_1)
	s_or_b32 exec_lo, exec_lo, s5
	s_mov_b32 s5, 0
	global_store_b8 v[1:2], v6, off
.LBB433_987:
	s_and_b32 vcc_lo, exec_lo, s5
	s_cbranch_vccz .LBB433_997
; %bb.988:
	v_bfe_i32 v0, v4, 0, 16
	s_mov_b32 s5, exec_lo
                                        ; implicit-def: $vgpr3
	s_delay_alu instid0(VALU_DEP_1) | instskip(NEXT) | instid1(VALU_DEP_1)
	v_cvt_f32_i32_e32 v0, v0
	v_and_b32_e32 v6, 0x7fffffff, v0
	s_delay_alu instid0(VALU_DEP_1)
	v_cmpx_gt_u32_e32 0x43f00000, v6
	s_xor_b32 s5, exec_lo, s5
	s_cbranch_execz .LBB433_994
; %bb.989:
	s_mov_b32 s7, exec_lo
                                        ; implicit-def: $vgpr3
	v_cmpx_lt_u32_e32 0x3c7fffff, v6
	s_xor_b32 s7, exec_lo, s7
; %bb.990:
	v_bfe_u32 v3, v0, 20, 1
	s_delay_alu instid0(VALU_DEP_1) | instskip(NEXT) | instid1(VALU_DEP_1)
	v_add3_u32 v3, v0, v3, 0x407ffff
	v_and_b32_e32 v6, 0xff00000, v3
	v_lshrrev_b32_e32 v3, 20, v3
	s_delay_alu instid0(VALU_DEP_2) | instskip(NEXT) | instid1(VALU_DEP_2)
	v_cmp_ne_u32_e32 vcc_lo, 0x7f00000, v6
	v_cndmask_b32_e32 v3, 0x7e, v3, vcc_lo
; %bb.991:
	s_and_not1_saveexec_b32 s7, s7
; %bb.992:
	v_add_f32_e64 v3, 0x46800000, |v0|
; %bb.993:
	s_or_b32 exec_lo, exec_lo, s7
                                        ; implicit-def: $vgpr6
.LBB433_994:
	s_and_not1_saveexec_b32 s5, s5
; %bb.995:
	v_mov_b32_e32 v3, 0x7f
	v_cmp_lt_u32_e32 vcc_lo, 0x7f800000, v6
	s_delay_alu instid0(VALU_DEP_2)
	v_cndmask_b32_e32 v3, 0x7e, v3, vcc_lo
; %bb.996:
	s_or_b32 exec_lo, exec_lo, s5
	v_lshrrev_b32_e32 v0, 24, v0
	s_delay_alu instid0(VALU_DEP_1)
	v_and_or_b32 v0, 0x80, v0, v3
	global_store_b8 v[1:2], v0, off
.LBB433_997:
	s_mov_b32 s5, 0
.LBB433_998:
	s_delay_alu instid0(SALU_CYCLE_1)
	s_and_not1_b32 vcc_lo, exec_lo, s5
	s_cbranch_vccnz .LBB433_1008
; %bb.999:
	v_bfe_i32 v0, v4, 0, 16
	s_mov_b32 s5, exec_lo
                                        ; implicit-def: $vgpr3
	s_delay_alu instid0(VALU_DEP_1) | instskip(NEXT) | instid1(VALU_DEP_1)
	v_cvt_f32_i32_e32 v0, v0
	v_and_b32_e32 v6, 0x7fffffff, v0
	s_delay_alu instid0(VALU_DEP_1)
	v_cmpx_gt_u32_e32 0x47800000, v6
	s_xor_b32 s5, exec_lo, s5
	s_cbranch_execz .LBB433_1005
; %bb.1000:
	s_mov_b32 s7, exec_lo
                                        ; implicit-def: $vgpr3
	v_cmpx_lt_u32_e32 0x387fffff, v6
	s_xor_b32 s7, exec_lo, s7
; %bb.1001:
	v_bfe_u32 v3, v0, 21, 1
	s_delay_alu instid0(VALU_DEP_1) | instskip(NEXT) | instid1(VALU_DEP_1)
	v_add3_u32 v3, v0, v3, 0x80fffff
	v_lshrrev_b32_e32 v3, 21, v3
; %bb.1002:
	s_and_not1_saveexec_b32 s7, s7
; %bb.1003:
	v_add_f32_e64 v3, 0x43000000, |v0|
; %bb.1004:
	s_or_b32 exec_lo, exec_lo, s7
                                        ; implicit-def: $vgpr6
.LBB433_1005:
	s_and_not1_saveexec_b32 s5, s5
; %bb.1006:
	v_mov_b32_e32 v3, 0x7f
	v_cmp_lt_u32_e32 vcc_lo, 0x7f800000, v6
	s_delay_alu instid0(VALU_DEP_2)
	v_cndmask_b32_e32 v3, 0x7c, v3, vcc_lo
; %bb.1007:
	s_or_b32 exec_lo, exec_lo, s5
	v_lshrrev_b32_e32 v0, 24, v0
	s_delay_alu instid0(VALU_DEP_1)
	v_and_or_b32 v0, 0x80, v0, v3
	global_store_b8 v[1:2], v0, off
.LBB433_1008:
	s_mov_b32 s5, 0
.LBB433_1009:
	s_delay_alu instid0(SALU_CYCLE_1)
	s_and_not1_b32 vcc_lo, exec_lo, s5
	s_mov_b32 s8, 0
	s_cbranch_vccnz .LBB433_1017
; %bb.1010:
	v_cmp_lt_i16_e32 vcc_lo, 14, v5
	s_mov_b32 s5, -1
	s_cbranch_vccz .LBB433_1014
; %bb.1011:
	v_cmp_eq_u16_e32 vcc_lo, 15, v5
	s_mov_b32 s2, -1
	s_cbranch_vccz .LBB433_1013
; %bb.1012:
	v_bfe_i32 v0, v4, 0, 16
	s_mov_b32 s2, 0
	s_delay_alu instid0(VALU_DEP_1) | instskip(NEXT) | instid1(VALU_DEP_1)
	v_cvt_f32_i32_e32 v0, v0
	v_bfe_u32 v3, v0, 16, 1
	s_delay_alu instid0(VALU_DEP_1)
	v_add3_u32 v0, v0, v3, 0x7fff
	global_store_d16_hi_b16 v[1:2], v0, off
.LBB433_1013:
	s_mov_b32 s5, 0
.LBB433_1014:
	s_delay_alu instid0(SALU_CYCLE_1)
	s_and_b32 vcc_lo, exec_lo, s5
	s_cbranch_vccz .LBB433_1017
; %bb.1015:
	v_cmp_ne_u16_e32 vcc_lo, 11, v5
	s_and_not1_b32 s2, s2, exec_lo
	s_mov_b32 s8, -1
	s_and_b32 s5, vcc_lo, exec_lo
	s_delay_alu instid0(SALU_CYCLE_1)
	s_or_b32 s2, s2, s5
	s_branch .LBB433_1017
.LBB433_1016:
	s_mov_b32 s8, 0
.LBB433_1017:
	s_and_b32 s7, s4, exec_lo
	s_and_not1_b32 s4, s37, exec_lo
	s_and_b32 s2, s2, exec_lo
	s_and_b32 s8, s8, exec_lo
	s_or_b32 s37, s4, s2
.LBB433_1018:
	s_or_b32 exec_lo, exec_lo, s6
	s_and_saveexec_b32 s2, s37
	s_cbranch_execnz .LBB433_1132
; %bb.1019:
	s_or_b32 exec_lo, exec_lo, s2
	s_and_saveexec_b32 s2, s8
	s_delay_alu instid0(SALU_CYCLE_1)
	s_xor_b32 s2, exec_lo, s2
	s_cbranch_execz .LBB433_1021
.LBB433_1020:
	s_waitcnt vmcnt(0)
	v_and_b32_e32 v0, 0xff, v4
	s_delay_alu instid0(VALU_DEP_1)
	v_cmp_ne_u16_e32 vcc_lo, 0, v0
	v_cndmask_b32_e64 v0, 0, 1, vcc_lo
	global_store_b8 v[1:2], v0, off
.LBB433_1021:
	s_or_b32 exec_lo, exec_lo, s2
	s_and_saveexec_b32 s2, s7
	s_delay_alu instid0(SALU_CYCLE_1)
	s_xor_b32 s2, exec_lo, s2
	s_cbranch_execz .LBB433_1059
; %bb.1022:
	v_cmp_gt_i16_e32 vcc_lo, 5, v5
	s_mov_b32 s4, -1
	s_cbranch_vccnz .LBB433_1043
; %bb.1023:
	v_cmp_gt_i16_e32 vcc_lo, 8, v5
	s_cbranch_vccnz .LBB433_1033
; %bb.1024:
	v_cmp_gt_i16_e32 vcc_lo, 9, v5
	s_cbranch_vccnz .LBB433_1030
; %bb.1025:
	v_cmp_lt_i16_e32 vcc_lo, 9, v5
	s_cbranch_vccz .LBB433_1027
; %bb.1026:
	s_waitcnt vmcnt(0)
	v_bfe_i32 v0, v4, 0, 8
	v_mov_b32_e32 v8, 0
	s_mov_b32 s4, 0
	s_delay_alu instid0(VALU_DEP_2) | instskip(NEXT) | instid1(VALU_DEP_2)
	v_bfe_i32 v0, v0, 0, 16
	v_mov_b32_e32 v9, v8
	s_delay_alu instid0(VALU_DEP_2)
	v_cvt_f64_i32_e32 v[6:7], v0
	global_store_b128 v[1:2], v[6:9], off
.LBB433_1027:
	s_and_not1_b32 vcc_lo, exec_lo, s4
	s_cbranch_vccnz .LBB433_1029
; %bb.1028:
	s_waitcnt vmcnt(0)
	v_bfe_i32 v0, v4, 0, 8
	v_mov_b32_e32 v7, 0
	s_delay_alu instid0(VALU_DEP_2) | instskip(NEXT) | instid1(VALU_DEP_1)
	v_bfe_i32 v0, v0, 0, 16
	v_cvt_f32_i32_e32 v6, v0
	global_store_b64 v[1:2], v[6:7], off
.LBB433_1029:
	s_mov_b32 s4, 0
.LBB433_1030:
	s_delay_alu instid0(SALU_CYCLE_1)
	s_and_not1_b32 vcc_lo, exec_lo, s4
	s_cbranch_vccnz .LBB433_1032
; %bb.1031:
	s_waitcnt vmcnt(0)
	v_bfe_i32 v0, v4, 0, 8
	s_delay_alu instid0(VALU_DEP_1) | instskip(NEXT) | instid1(VALU_DEP_1)
	v_cvt_f16_i16_e32 v0, v0
	v_and_b32_e32 v0, 0xffff, v0
	global_store_b32 v[1:2], v0, off
.LBB433_1032:
	s_mov_b32 s4, 0
.LBB433_1033:
	s_delay_alu instid0(SALU_CYCLE_1)
	s_and_not1_b32 vcc_lo, exec_lo, s4
	s_cbranch_vccnz .LBB433_1042
; %bb.1034:
	v_cmp_gt_i16_e32 vcc_lo, 6, v5
	s_mov_b32 s4, -1
	s_cbranch_vccnz .LBB433_1040
; %bb.1035:
	v_cmp_lt_i16_e32 vcc_lo, 6, v5
	s_cbranch_vccz .LBB433_1037
; %bb.1036:
	s_waitcnt vmcnt(0)
	v_bfe_i32 v0, v4, 0, 8
	s_mov_b32 s4, 0
	s_delay_alu instid0(VALU_DEP_1) | instskip(NEXT) | instid1(VALU_DEP_1)
	v_bfe_i32 v0, v0, 0, 16
	v_cvt_f64_i32_e32 v[6:7], v0
	global_store_b64 v[1:2], v[6:7], off
.LBB433_1037:
	s_and_not1_b32 vcc_lo, exec_lo, s4
	s_cbranch_vccnz .LBB433_1039
; %bb.1038:
	s_waitcnt vmcnt(0)
	v_bfe_i32 v0, v4, 0, 8
	s_delay_alu instid0(VALU_DEP_1) | instskip(NEXT) | instid1(VALU_DEP_1)
	v_bfe_i32 v0, v0, 0, 16
	v_cvt_f32_i32_e32 v0, v0
	global_store_b32 v[1:2], v0, off
.LBB433_1039:
	s_mov_b32 s4, 0
.LBB433_1040:
	s_delay_alu instid0(SALU_CYCLE_1)
	s_and_not1_b32 vcc_lo, exec_lo, s4
	s_cbranch_vccnz .LBB433_1042
; %bb.1041:
	s_waitcnt vmcnt(0)
	v_bfe_i32 v0, v4, 0, 8
	s_delay_alu instid0(VALU_DEP_1)
	v_cvt_f16_i16_e32 v0, v0
	global_store_b16 v[1:2], v0, off
.LBB433_1042:
	s_mov_b32 s4, 0
.LBB433_1043:
	s_delay_alu instid0(SALU_CYCLE_1)
	s_and_not1_b32 vcc_lo, exec_lo, s4
	s_cbranch_vccnz .LBB433_1059
; %bb.1044:
	v_cmp_gt_i16_e32 vcc_lo, 2, v5
	s_mov_b32 s4, -1
	s_cbranch_vccnz .LBB433_1054
; %bb.1045:
	v_cmp_gt_i16_e32 vcc_lo, 3, v5
	s_cbranch_vccnz .LBB433_1051
; %bb.1046:
	v_cmp_lt_i16_e32 vcc_lo, 3, v5
	s_cbranch_vccz .LBB433_1048
; %bb.1047:
	s_waitcnt vmcnt(0)
	v_bfe_i32 v6, v4, 0, 8
	s_mov_b32 s4, 0
	s_delay_alu instid0(VALU_DEP_1)
	v_ashrrev_i32_e32 v7, 31, v6
	global_store_b64 v[1:2], v[6:7], off
.LBB433_1048:
	s_and_not1_b32 vcc_lo, exec_lo, s4
	s_cbranch_vccnz .LBB433_1050
; %bb.1049:
	s_waitcnt vmcnt(0)
	v_bfe_i32 v0, v4, 0, 8
	global_store_b32 v[1:2], v0, off
.LBB433_1050:
	s_mov_b32 s4, 0
.LBB433_1051:
	s_delay_alu instid0(SALU_CYCLE_1)
	s_and_not1_b32 vcc_lo, exec_lo, s4
	s_cbranch_vccnz .LBB433_1053
; %bb.1052:
	s_waitcnt vmcnt(0)
	v_bfe_i32 v0, v4, 0, 8
	global_store_b16 v[1:2], v0, off
.LBB433_1053:
	s_mov_b32 s4, 0
.LBB433_1054:
	s_delay_alu instid0(SALU_CYCLE_1)
	s_and_not1_b32 vcc_lo, exec_lo, s4
	s_cbranch_vccnz .LBB433_1059
; %bb.1055:
	v_cmp_lt_i16_e32 vcc_lo, 0, v5
	s_mov_b32 s4, -1
	s_cbranch_vccz .LBB433_1057
; %bb.1056:
	s_mov_b32 s4, 0
	s_waitcnt vmcnt(0)
	global_store_b8 v[1:2], v4, off
.LBB433_1057:
	s_and_not1_b32 vcc_lo, exec_lo, s4
	s_cbranch_vccnz .LBB433_1059
; %bb.1058:
	s_waitcnt vmcnt(0)
	global_store_b8 v[1:2], v4, off
.LBB433_1059:
	s_or_b32 exec_lo, exec_lo, s2
	s_delay_alu instid0(SALU_CYCLE_1)
	s_and_b32 s8, s3, exec_lo
                                        ; implicit-def: $vgpr8
                                        ; implicit-def: $vgpr5
.LBB433_1060:
	s_or_saveexec_b32 s9, s28
	s_mov_b32 s2, 0
                                        ; implicit-def: $vgpr0_vgpr1
                                        ; implicit-def: $vgpr11
                                        ; implicit-def: $vgpr2
	s_xor_b32 exec_lo, exec_lo, s9
	s_cbranch_execz .LBB433_2059
; %bb.1061:
	v_cndmask_b32_e64 v0, 0, 1, s27
	s_and_not1_b32 vcc_lo, exec_lo, s27
	s_cbranch_vccnz .LBB433_1067
; %bb.1062:
	s_waitcnt vmcnt(0)
	v_mov_b32_e32 v3, 0
	v_mov_b32_e32 v7, 0
	s_cmp_lg_u32 s24, 0
	s_mov_b32 s6, 0
	s_cbranch_scc0 .LBB433_1071
; %bb.1063:
	s_min_u32 s7, s25, 15
	v_mov_b32_e32 v3, 0
	s_add_i32 s7, s7, 1
	s_cmp_eq_u32 s25, 2
	s_mov_b32 s10, 0
	s_cbranch_scc1 .LBB433_1068
; %bb.1064:
	v_mov_b32_e32 v7, 0
	v_mov_b32_e32 v3, 0
	v_mov_b32_e32 v1, v5
	s_add_u32 s2, s16, 0xc4
	s_addc_u32 s3, s17, 0
	s_and_b32 s10, s7, 28
	s_mov_b32 s11, 0
	s_mov_b64 s[4:5], s[16:17]
.LBB433_1065:                           ; =>This Inner Loop Header: Depth=1
	s_clause 0x1
	s_load_b256 s[36:43], s[4:5], 0x4
	s_load_b128 s[12:15], s[4:5], 0x24
	s_load_b256 s[44:51], s[2:3], 0x0
	s_add_u32 s4, s4, 48
	s_addc_u32 s5, s5, 0
	s_add_i32 s11, s11, 4
	s_add_u32 s2, s2, 32
	s_addc_u32 s3, s3, 0
	s_cmp_lg_u32 s10, s11
	s_waitcnt lgkmcnt(0)
	v_mul_hi_u32 v2, s37, v1
	s_delay_alu instid0(VALU_DEP_1) | instskip(NEXT) | instid1(VALU_DEP_1)
	v_add_nc_u32_e32 v2, v1, v2
	v_lshrrev_b32_e32 v2, s38, v2
	s_delay_alu instid0(VALU_DEP_1) | instskip(SKIP_1) | instid1(VALU_DEP_2)
	v_mul_hi_u32 v4, s40, v2
	v_mul_lo_u32 v9, v2, s36
	v_add_nc_u32_e32 v4, v2, v4
	s_delay_alu instid0(VALU_DEP_2) | instskip(NEXT) | instid1(VALU_DEP_2)
	v_sub_nc_u32_e32 v1, v1, v9
	v_lshrrev_b32_e32 v4, s41, v4
	s_delay_alu instid0(VALU_DEP_2) | instskip(SKIP_1) | instid1(VALU_DEP_3)
	v_mul_lo_u32 v9, v1, s44
	v_mul_lo_u32 v11, v1, s45
	v_mul_hi_u32 v6, s43, v4
	s_delay_alu instid0(VALU_DEP_1) | instskip(NEXT) | instid1(VALU_DEP_1)
	v_add_nc_u32_e32 v6, v4, v6
	v_lshrrev_b32_e32 v6, s12, v6
	s_delay_alu instid0(VALU_DEP_1) | instskip(SKIP_1) | instid1(VALU_DEP_2)
	v_mul_hi_u32 v10, s14, v6
	v_mul_lo_u32 v12, v6, s42
	v_add_nc_u32_e32 v1, v6, v10
	v_mul_lo_u32 v10, v4, s39
	s_delay_alu instid0(VALU_DEP_3) | instskip(NEXT) | instid1(VALU_DEP_3)
	v_sub_nc_u32_e32 v4, v4, v12
	v_lshrrev_b32_e32 v1, s15, v1
	s_delay_alu instid0(VALU_DEP_2) | instskip(SKIP_2) | instid1(VALU_DEP_4)
	v_mul_lo_u32 v12, v4, s48
	v_mul_lo_u32 v4, v4, s49
	v_sub_nc_u32_e32 v2, v2, v10
	v_mul_lo_u32 v13, v1, s13
	s_delay_alu instid0(VALU_DEP_2) | instskip(SKIP_1) | instid1(VALU_DEP_3)
	v_mul_lo_u32 v10, v2, s46
	v_mul_lo_u32 v2, v2, s47
	v_sub_nc_u32_e32 v6, v6, v13
	s_delay_alu instid0(VALU_DEP_3) | instskip(NEXT) | instid1(VALU_DEP_2)
	v_add3_u32 v3, v9, v3, v10
	v_mul_lo_u32 v13, v6, s50
	v_mul_lo_u32 v6, v6, s51
	v_add3_u32 v2, v11, v7, v2
	s_delay_alu instid0(VALU_DEP_3) | instskip(NEXT) | instid1(VALU_DEP_2)
	v_add3_u32 v3, v12, v3, v13
	v_add3_u32 v7, v4, v2, v6
	s_cbranch_scc1 .LBB433_1065
; %bb.1066:
	s_and_b32 s7, s7, 3
	s_delay_alu instid0(SALU_CYCLE_1)
	s_cmp_eq_u32 s7, 0
	s_cbranch_scc0 .LBB433_1069
	s_branch .LBB433_1071
.LBB433_1067:
	s_mov_b32 s6, -1
                                        ; implicit-def: $vgpr3
                                        ; implicit-def: $vgpr7
	s_branch .LBB433_1071
.LBB433_1068:
	v_mov_b32_e32 v1, v5
	v_mov_b32_e32 v7, 0
	s_and_b32 s7, s7, 3
	s_delay_alu instid0(SALU_CYCLE_1)
	s_cmp_eq_u32 s7, 0
	s_cbranch_scc1 .LBB433_1071
.LBB433_1069:
	s_lshl_b32 s2, s10, 3
	s_mul_i32 s4, s10, 12
	s_add_u32 s2, s2, s16
	s_addc_u32 s3, 0, s17
	s_add_u32 s2, s2, 0xc4
	s_addc_u32 s3, s3, 0
	;; [unrolled: 2-line block ×3, first 2 shown]
	.p2align	6
.LBB433_1070:                           ; =>This Inner Loop Header: Depth=1
	s_clause 0x1
	s_load_b64 s[10:11], s[4:5], 0x4
	s_load_b32 s14, s[4:5], 0xc
	s_load_b64 s[12:13], s[2:3], 0x0
	s_add_u32 s4, s4, 12
	s_addc_u32 s5, s5, 0
	s_add_u32 s2, s2, 8
	s_addc_u32 s3, s3, 0
	s_add_i32 s7, s7, -1
	s_delay_alu instid0(SALU_CYCLE_1) | instskip(SKIP_2) | instid1(VALU_DEP_1)
	s_cmp_lg_u32 s7, 0
	s_waitcnt lgkmcnt(0)
	v_mul_hi_u32 v2, s11, v1
	v_add_nc_u32_e32 v2, v1, v2
	s_delay_alu instid0(VALU_DEP_1) | instskip(NEXT) | instid1(VALU_DEP_1)
	v_lshrrev_b32_e32 v4, s14, v2
	v_mul_lo_u32 v2, v4, s10
	s_delay_alu instid0(VALU_DEP_1) | instskip(NEXT) | instid1(VALU_DEP_1)
	v_sub_nc_u32_e32 v1, v1, v2
	v_mad_u64_u32 v[9:10], null, v1, s12, v[3:4]
	v_mad_u64_u32 v[2:3], null, v1, s13, v[7:8]
	v_mov_b32_e32 v1, v4
	s_delay_alu instid0(VALU_DEP_3) | instskip(NEXT) | instid1(VALU_DEP_3)
	v_mov_b32_e32 v3, v9
	v_mov_b32_e32 v7, v2
	s_cbranch_scc1 .LBB433_1070
.LBB433_1071:
	s_and_not1_b32 vcc_lo, exec_lo, s6
	s_cbranch_vccnz .LBB433_1074
; %bb.1072:
	s_clause 0x1
	s_load_b128 s[4:7], s[16:17], 0x4
	s_load_b64 s[2:3], s[16:17], 0xc4
	s_cmp_lt_u32 s24, 2
	s_waitcnt lgkmcnt(0)
	v_mul_hi_u32 v1, s5, v5
	s_delay_alu instid0(VALU_DEP_1) | instskip(NEXT) | instid1(VALU_DEP_1)
	v_add_nc_u32_e32 v1, v5, v1
	v_lshrrev_b32_e32 v1, s6, v1
	s_delay_alu instid0(VALU_DEP_1) | instskip(NEXT) | instid1(VALU_DEP_1)
	v_mul_lo_u32 v2, v1, s4
	v_sub_nc_u32_e32 v2, v5, v2
	s_waitcnt vmcnt(0)
	s_delay_alu instid0(VALU_DEP_1)
	v_mul_lo_u32 v3, v2, s2
	v_mul_lo_u32 v7, v2, s3
	s_cbranch_scc1 .LBB433_1074
; %bb.1073:
	s_clause 0x1
	s_load_b128 s[4:7], s[16:17], 0x10
	s_load_b64 s[2:3], s[16:17], 0xcc
	s_waitcnt lgkmcnt(0)
	v_mul_hi_u32 v2, s5, v1
	s_delay_alu instid0(VALU_DEP_1) | instskip(NEXT) | instid1(VALU_DEP_1)
	v_add_nc_u32_e32 v2, v1, v2
	v_lshrrev_b32_e32 v2, s6, v2
	s_delay_alu instid0(VALU_DEP_1) | instskip(NEXT) | instid1(VALU_DEP_1)
	v_mul_lo_u32 v2, v2, s4
	v_sub_nc_u32_e32 v4, v1, v2
	s_delay_alu instid0(VALU_DEP_1) | instskip(SKIP_1) | instid1(VALU_DEP_2)
	v_mad_u64_u32 v[1:2], null, v4, s2, v[3:4]
	v_mad_u64_u32 v[2:3], null, v4, s3, v[7:8]
	v_mov_b32_e32 v3, v1
	s_delay_alu instid0(VALU_DEP_2)
	v_mov_b32_e32 v7, v2
.LBB433_1074:
	v_cmp_ne_u32_e32 vcc_lo, 1, v0
	v_add_nc_u32_e32 v1, 0x80, v5
	s_cbranch_vccnz .LBB433_1080
; %bb.1075:
	v_mov_b32_e32 v2, 0
	v_mov_b32_e32 v6, 0
	s_cmp_lg_u32 s24, 0
	s_mov_b32 s6, 0
	s_cbranch_scc0 .LBB433_1084
; %bb.1076:
	s_min_u32 s7, s25, 15
	v_mov_b32_e32 v2, 0
	s_add_i32 s7, s7, 1
	s_cmp_eq_u32 s25, 2
	s_mov_b32 s10, 0
	s_cbranch_scc1 .LBB433_1081
; %bb.1077:
	v_mov_b32_e32 v6, 0
	v_mov_b32_e32 v2, 0
	s_waitcnt vmcnt(0)
	v_mov_b32_e32 v4, v1
	s_add_u32 s2, s16, 0xc4
	s_addc_u32 s3, s17, 0
	s_and_b32 s10, s7, 28
	s_mov_b32 s11, 0
	s_mov_b64 s[4:5], s[16:17]
.LBB433_1078:                           ; =>This Inner Loop Header: Depth=1
	s_clause 0x1
	s_load_b256 s[36:43], s[4:5], 0x4
	s_load_b128 s[12:15], s[4:5], 0x24
	s_load_b256 s[44:51], s[2:3], 0x0
	s_add_u32 s4, s4, 48
	s_addc_u32 s5, s5, 0
	s_add_i32 s11, s11, 4
	s_add_u32 s2, s2, 32
	s_addc_u32 s3, s3, 0
	s_cmp_lg_u32 s10, s11
	s_waitcnt lgkmcnt(0)
	v_mul_hi_u32 v9, s37, v4
	s_delay_alu instid0(VALU_DEP_1) | instskip(NEXT) | instid1(VALU_DEP_1)
	v_add_nc_u32_e32 v9, v4, v9
	v_lshrrev_b32_e32 v9, s38, v9
	s_delay_alu instid0(VALU_DEP_1) | instskip(SKIP_1) | instid1(VALU_DEP_2)
	v_mul_hi_u32 v10, s40, v9
	v_mul_lo_u32 v12, v9, s36
	v_add_nc_u32_e32 v10, v9, v10
	s_delay_alu instid0(VALU_DEP_2) | instskip(NEXT) | instid1(VALU_DEP_2)
	v_sub_nc_u32_e32 v4, v4, v12
	v_lshrrev_b32_e32 v10, s41, v10
	s_delay_alu instid0(VALU_DEP_2) | instskip(SKIP_1) | instid1(VALU_DEP_3)
	v_mul_lo_u32 v12, v4, s44
	v_mul_lo_u32 v14, v4, s45
	v_mul_hi_u32 v11, s43, v10
	s_delay_alu instid0(VALU_DEP_1) | instskip(NEXT) | instid1(VALU_DEP_1)
	v_add_nc_u32_e32 v11, v10, v11
	v_lshrrev_b32_e32 v11, s12, v11
	s_delay_alu instid0(VALU_DEP_1) | instskip(SKIP_1) | instid1(VALU_DEP_2)
	v_mul_hi_u32 v13, s14, v11
	v_mul_lo_u32 v15, v11, s42
	v_add_nc_u32_e32 v4, v11, v13
	v_mul_lo_u32 v13, v10, s39
	s_delay_alu instid0(VALU_DEP_3) | instskip(NEXT) | instid1(VALU_DEP_3)
	v_sub_nc_u32_e32 v10, v10, v15
	v_lshrrev_b32_e32 v4, s15, v4
	s_delay_alu instid0(VALU_DEP_2) | instskip(SKIP_2) | instid1(VALU_DEP_4)
	v_mul_lo_u32 v15, v10, s48
	v_mul_lo_u32 v10, v10, s49
	v_sub_nc_u32_e32 v9, v9, v13
	v_mul_lo_u32 v16, v4, s13
	s_delay_alu instid0(VALU_DEP_2) | instskip(SKIP_1) | instid1(VALU_DEP_3)
	v_mul_lo_u32 v13, v9, s46
	v_mul_lo_u32 v9, v9, s47
	v_sub_nc_u32_e32 v11, v11, v16
	s_delay_alu instid0(VALU_DEP_3) | instskip(NEXT) | instid1(VALU_DEP_2)
	v_add3_u32 v2, v12, v2, v13
	v_mul_lo_u32 v16, v11, s50
	v_mul_lo_u32 v11, v11, s51
	v_add3_u32 v6, v14, v6, v9
	s_delay_alu instid0(VALU_DEP_3) | instskip(NEXT) | instid1(VALU_DEP_2)
	v_add3_u32 v2, v15, v2, v16
	v_add3_u32 v6, v10, v6, v11
	s_cbranch_scc1 .LBB433_1078
; %bb.1079:
	s_and_b32 s7, s7, 3
	s_delay_alu instid0(SALU_CYCLE_1)
	s_cmp_eq_u32 s7, 0
	s_cbranch_scc0 .LBB433_1082
	s_branch .LBB433_1084
.LBB433_1080:
	s_mov_b32 s6, -1
                                        ; implicit-def: $vgpr2
                                        ; implicit-def: $vgpr6
	s_branch .LBB433_1084
.LBB433_1081:
	s_waitcnt vmcnt(0)
	v_mov_b32_e32 v4, v1
	v_mov_b32_e32 v6, 0
	s_and_b32 s7, s7, 3
	s_delay_alu instid0(SALU_CYCLE_1)
	s_cmp_eq_u32 s7, 0
	s_cbranch_scc1 .LBB433_1084
.LBB433_1082:
	s_lshl_b32 s2, s10, 3
	s_mul_i32 s4, s10, 12
	s_add_u32 s2, s2, s16
	s_addc_u32 s3, 0, s17
	s_add_u32 s2, s2, 0xc4
	s_addc_u32 s3, s3, 0
	;; [unrolled: 2-line block ×3, first 2 shown]
	.p2align	6
.LBB433_1083:                           ; =>This Inner Loop Header: Depth=1
	s_clause 0x1
	s_load_b64 s[10:11], s[4:5], 0x4
	s_load_b32 s14, s[4:5], 0xc
	s_load_b64 s[12:13], s[2:3], 0x0
	s_add_u32 s4, s4, 12
	s_addc_u32 s5, s5, 0
	s_add_u32 s2, s2, 8
	s_addc_u32 s3, s3, 0
	s_add_i32 s7, s7, -1
	s_delay_alu instid0(SALU_CYCLE_1) | instskip(SKIP_2) | instid1(VALU_DEP_1)
	s_cmp_lg_u32 s7, 0
	s_waitcnt lgkmcnt(0)
	v_mul_hi_u32 v9, s11, v4
	v_add_nc_u32_e32 v9, v4, v9
	s_delay_alu instid0(VALU_DEP_1) | instskip(NEXT) | instid1(VALU_DEP_1)
	v_lshrrev_b32_e32 v12, s14, v9
	v_mul_lo_u32 v9, v12, s10
	s_delay_alu instid0(VALU_DEP_1) | instskip(NEXT) | instid1(VALU_DEP_1)
	v_sub_nc_u32_e32 v4, v4, v9
	v_mad_u64_u32 v[9:10], null, v4, s12, v[2:3]
	v_mad_u64_u32 v[10:11], null, v4, s13, v[6:7]
	v_mov_b32_e32 v4, v12
	s_delay_alu instid0(VALU_DEP_3) | instskip(NEXT) | instid1(VALU_DEP_3)
	v_mov_b32_e32 v2, v9
	v_mov_b32_e32 v6, v10
	s_cbranch_scc1 .LBB433_1083
.LBB433_1084:
	s_and_not1_b32 vcc_lo, exec_lo, s6
	s_cbranch_vccnz .LBB433_1087
; %bb.1085:
	s_clause 0x1
	s_load_b128 s[4:7], s[16:17], 0x4
	s_load_b64 s[2:3], s[16:17], 0xc4
	s_cmp_lt_u32 s24, 2
	s_waitcnt lgkmcnt(0)
	v_mul_hi_u32 v2, s5, v1
	s_delay_alu instid0(VALU_DEP_1) | instskip(SKIP_1) | instid1(VALU_DEP_1)
	v_add_nc_u32_e32 v2, v1, v2
	s_waitcnt vmcnt(0)
	v_lshrrev_b32_e32 v4, s6, v2
	s_delay_alu instid0(VALU_DEP_1) | instskip(NEXT) | instid1(VALU_DEP_1)
	v_mul_lo_u32 v2, v4, s4
	v_sub_nc_u32_e32 v1, v1, v2
	s_delay_alu instid0(VALU_DEP_1)
	v_mul_lo_u32 v2, v1, s2
	v_mul_lo_u32 v6, v1, s3
	s_cbranch_scc1 .LBB433_1087
; %bb.1086:
	s_clause 0x1
	s_load_b128 s[4:7], s[16:17], 0x10
	s_load_b64 s[2:3], s[16:17], 0xcc
	s_waitcnt lgkmcnt(0)
	v_mul_hi_u32 v1, s5, v4
	s_delay_alu instid0(VALU_DEP_1) | instskip(NEXT) | instid1(VALU_DEP_1)
	v_add_nc_u32_e32 v1, v4, v1
	v_lshrrev_b32_e32 v1, s6, v1
	s_delay_alu instid0(VALU_DEP_1) | instskip(NEXT) | instid1(VALU_DEP_1)
	v_mul_lo_u32 v1, v1, s4
	v_sub_nc_u32_e32 v4, v4, v1
	s_delay_alu instid0(VALU_DEP_1) | instskip(SKIP_1) | instid1(VALU_DEP_2)
	v_mad_u64_u32 v[9:10], null, v4, s2, v[2:3]
	v_mad_u64_u32 v[1:2], null, v4, s3, v[6:7]
	v_mov_b32_e32 v2, v9
	s_delay_alu instid0(VALU_DEP_2)
	v_mov_b32_e32 v6, v1
.LBB433_1087:
	v_cmp_ne_u32_e32 vcc_lo, 1, v0
	s_waitcnt vmcnt(0)
	v_add_nc_u32_e32 v4, 0x100, v5
	s_cbranch_vccnz .LBB433_1093
; %bb.1088:
	v_mov_b32_e32 v1, 0
	v_mov_b32_e32 v5, 0
	s_cmp_lg_u32 s24, 0
	s_mov_b32 s6, 0
	s_cbranch_scc0 .LBB433_1097
; %bb.1089:
	s_min_u32 s7, s25, 15
	v_mov_b32_e32 v1, 0
	s_add_i32 s7, s7, 1
	s_cmp_eq_u32 s25, 2
	s_mov_b32 s10, 0
	s_cbranch_scc1 .LBB433_1094
; %bb.1090:
	v_mov_b32_e32 v5, 0
	v_mov_b32_e32 v1, 0
	;; [unrolled: 1-line block ×3, first 2 shown]
	s_add_u32 s2, s16, 0xc4
	s_addc_u32 s3, s17, 0
	s_and_b32 s10, s7, 28
	s_mov_b32 s11, 0
	s_mov_b64 s[4:5], s[16:17]
.LBB433_1091:                           ; =>This Inner Loop Header: Depth=1
	s_clause 0x1
	s_load_b256 s[36:43], s[4:5], 0x4
	s_load_b128 s[12:15], s[4:5], 0x24
	s_load_b256 s[44:51], s[2:3], 0x0
	s_add_u32 s4, s4, 48
	s_addc_u32 s5, s5, 0
	s_add_i32 s11, s11, 4
	s_add_u32 s2, s2, 32
	s_addc_u32 s3, s3, 0
	s_cmp_lg_u32 s10, s11
	s_waitcnt lgkmcnt(0)
	v_mul_hi_u32 v10, s37, v9
	s_delay_alu instid0(VALU_DEP_1) | instskip(NEXT) | instid1(VALU_DEP_1)
	v_add_nc_u32_e32 v10, v9, v10
	v_lshrrev_b32_e32 v10, s38, v10
	s_delay_alu instid0(VALU_DEP_1) | instskip(SKIP_1) | instid1(VALU_DEP_2)
	v_mul_hi_u32 v11, s40, v10
	v_mul_lo_u32 v13, v10, s36
	v_add_nc_u32_e32 v11, v10, v11
	s_delay_alu instid0(VALU_DEP_2) | instskip(NEXT) | instid1(VALU_DEP_2)
	v_sub_nc_u32_e32 v9, v9, v13
	v_lshrrev_b32_e32 v11, s41, v11
	s_delay_alu instid0(VALU_DEP_2) | instskip(SKIP_1) | instid1(VALU_DEP_3)
	v_mul_lo_u32 v13, v9, s44
	v_mul_lo_u32 v15, v9, s45
	v_mul_hi_u32 v12, s43, v11
	s_delay_alu instid0(VALU_DEP_1) | instskip(NEXT) | instid1(VALU_DEP_1)
	v_add_nc_u32_e32 v12, v11, v12
	v_lshrrev_b32_e32 v12, s12, v12
	s_delay_alu instid0(VALU_DEP_1) | instskip(SKIP_1) | instid1(VALU_DEP_2)
	v_mul_hi_u32 v14, s14, v12
	v_mul_lo_u32 v16, v12, s42
	v_add_nc_u32_e32 v9, v12, v14
	v_mul_lo_u32 v14, v11, s39
	s_delay_alu instid0(VALU_DEP_3) | instskip(NEXT) | instid1(VALU_DEP_3)
	v_sub_nc_u32_e32 v11, v11, v16
	v_lshrrev_b32_e32 v9, s15, v9
	s_delay_alu instid0(VALU_DEP_2) | instskip(SKIP_2) | instid1(VALU_DEP_4)
	v_mul_lo_u32 v16, v11, s48
	v_mul_lo_u32 v11, v11, s49
	v_sub_nc_u32_e32 v10, v10, v14
	v_mul_lo_u32 v17, v9, s13
	s_delay_alu instid0(VALU_DEP_2) | instskip(SKIP_1) | instid1(VALU_DEP_3)
	v_mul_lo_u32 v14, v10, s46
	v_mul_lo_u32 v10, v10, s47
	v_sub_nc_u32_e32 v12, v12, v17
	s_delay_alu instid0(VALU_DEP_3) | instskip(NEXT) | instid1(VALU_DEP_2)
	v_add3_u32 v1, v13, v1, v14
	v_mul_lo_u32 v17, v12, s50
	v_mul_lo_u32 v12, v12, s51
	v_add3_u32 v5, v15, v5, v10
	s_delay_alu instid0(VALU_DEP_3) | instskip(NEXT) | instid1(VALU_DEP_2)
	v_add3_u32 v1, v16, v1, v17
	v_add3_u32 v5, v11, v5, v12
	s_cbranch_scc1 .LBB433_1091
; %bb.1092:
	s_and_b32 s7, s7, 3
	s_delay_alu instid0(SALU_CYCLE_1)
	s_cmp_eq_u32 s7, 0
	s_cbranch_scc0 .LBB433_1095
	s_branch .LBB433_1097
.LBB433_1093:
	s_mov_b32 s6, -1
                                        ; implicit-def: $vgpr1
                                        ; implicit-def: $vgpr5
	s_branch .LBB433_1097
.LBB433_1094:
	v_mov_b32_e32 v9, v4
	v_mov_b32_e32 v5, 0
	s_and_b32 s7, s7, 3
	s_delay_alu instid0(SALU_CYCLE_1)
	s_cmp_eq_u32 s7, 0
	s_cbranch_scc1 .LBB433_1097
.LBB433_1095:
	s_lshl_b32 s2, s10, 3
	s_mul_i32 s4, s10, 12
	s_add_u32 s2, s2, s16
	s_addc_u32 s3, 0, s17
	s_add_u32 s2, s2, 0xc4
	s_addc_u32 s3, s3, 0
	;; [unrolled: 2-line block ×3, first 2 shown]
	.p2align	6
.LBB433_1096:                           ; =>This Inner Loop Header: Depth=1
	s_clause 0x1
	s_load_b64 s[10:11], s[4:5], 0x4
	s_load_b32 s14, s[4:5], 0xc
	s_load_b64 s[12:13], s[2:3], 0x0
	s_add_u32 s4, s4, 12
	s_addc_u32 s5, s5, 0
	s_add_u32 s2, s2, 8
	s_addc_u32 s3, s3, 0
	s_add_i32 s7, s7, -1
	s_delay_alu instid0(SALU_CYCLE_1) | instskip(SKIP_2) | instid1(VALU_DEP_1)
	s_cmp_lg_u32 s7, 0
	s_waitcnt lgkmcnt(0)
	v_mul_hi_u32 v10, s11, v9
	v_add_nc_u32_e32 v10, v9, v10
	s_delay_alu instid0(VALU_DEP_1) | instskip(NEXT) | instid1(VALU_DEP_1)
	v_lshrrev_b32_e32 v13, s14, v10
	v_mul_lo_u32 v10, v13, s10
	s_delay_alu instid0(VALU_DEP_1) | instskip(NEXT) | instid1(VALU_DEP_1)
	v_sub_nc_u32_e32 v9, v9, v10
	v_mad_u64_u32 v[10:11], null, v9, s12, v[1:2]
	v_mad_u64_u32 v[11:12], null, v9, s13, v[5:6]
	v_mov_b32_e32 v9, v13
	s_delay_alu instid0(VALU_DEP_3) | instskip(NEXT) | instid1(VALU_DEP_3)
	v_mov_b32_e32 v1, v10
	v_mov_b32_e32 v5, v11
	s_cbranch_scc1 .LBB433_1096
.LBB433_1097:
	s_and_not1_b32 vcc_lo, exec_lo, s6
	s_cbranch_vccnz .LBB433_1100
; %bb.1098:
	s_clause 0x1
	s_load_b128 s[4:7], s[16:17], 0x4
	s_load_b64 s[2:3], s[16:17], 0xc4
	s_cmp_lt_u32 s24, 2
	s_waitcnt lgkmcnt(0)
	v_mul_hi_u32 v1, s5, v4
	s_delay_alu instid0(VALU_DEP_1) | instskip(NEXT) | instid1(VALU_DEP_1)
	v_add_nc_u32_e32 v1, v4, v1
	v_lshrrev_b32_e32 v9, s6, v1
	s_delay_alu instid0(VALU_DEP_1) | instskip(NEXT) | instid1(VALU_DEP_1)
	v_mul_lo_u32 v1, v9, s4
	v_sub_nc_u32_e32 v4, v4, v1
	s_delay_alu instid0(VALU_DEP_1)
	v_mul_lo_u32 v1, v4, s2
	v_mul_lo_u32 v5, v4, s3
	s_cbranch_scc1 .LBB433_1100
; %bb.1099:
	s_clause 0x1
	s_load_b128 s[4:7], s[16:17], 0x10
	s_load_b64 s[2:3], s[16:17], 0xcc
	s_waitcnt lgkmcnt(0)
	v_mul_hi_u32 v4, s5, v9
	s_delay_alu instid0(VALU_DEP_1) | instskip(NEXT) | instid1(VALU_DEP_1)
	v_add_nc_u32_e32 v4, v9, v4
	v_lshrrev_b32_e32 v4, s6, v4
	s_delay_alu instid0(VALU_DEP_1) | instskip(NEXT) | instid1(VALU_DEP_1)
	v_mul_lo_u32 v4, v4, s4
	v_sub_nc_u32_e32 v4, v9, v4
	s_delay_alu instid0(VALU_DEP_1) | instskip(SKIP_1) | instid1(VALU_DEP_2)
	v_mad_u64_u32 v[9:10], null, v4, s2, v[1:2]
	v_mad_u64_u32 v[10:11], null, v4, s3, v[5:6]
	v_mov_b32_e32 v1, v9
	s_delay_alu instid0(VALU_DEP_2)
	v_mov_b32_e32 v5, v10
.LBB433_1100:
	v_cmp_ne_u32_e32 vcc_lo, 1, v0
	s_cbranch_vccnz .LBB433_1106
; %bb.1101:
	v_mov_b32_e32 v0, 0
	v_mov_b32_e32 v4, 0
	s_cmp_lg_u32 s24, 0
	s_mov_b32 s6, 0
	s_cbranch_scc0 .LBB433_1110
; %bb.1102:
	s_min_u32 s7, s25, 15
	v_mov_b32_e32 v0, 0
	s_add_i32 s7, s7, 1
	s_cmp_eq_u32 s25, 2
	s_mov_b32 s10, 0
	s_cbranch_scc1 .LBB433_1107
; %bb.1103:
	v_dual_mov_b32 v4, 0 :: v_dual_mov_b32 v9, v8
	v_mov_b32_e32 v0, 0
	s_add_u32 s2, s16, 0xc4
	s_addc_u32 s3, s17, 0
	s_and_b32 s10, s7, 28
	s_mov_b32 s11, 0
	s_mov_b64 s[4:5], s[16:17]
.LBB433_1104:                           ; =>This Inner Loop Header: Depth=1
	s_clause 0x1
	s_load_b256 s[36:43], s[4:5], 0x4
	s_load_b128 s[12:15], s[4:5], 0x24
	s_load_b256 s[44:51], s[2:3], 0x0
	s_add_u32 s4, s4, 48
	s_addc_u32 s5, s5, 0
	s_add_i32 s11, s11, 4
	s_add_u32 s2, s2, 32
	s_addc_u32 s3, s3, 0
	s_cmp_lg_u32 s10, s11
	s_waitcnt lgkmcnt(0)
	v_mul_hi_u32 v10, s37, v9
	s_delay_alu instid0(VALU_DEP_1) | instskip(NEXT) | instid1(VALU_DEP_1)
	v_add_nc_u32_e32 v10, v9, v10
	v_lshrrev_b32_e32 v10, s38, v10
	s_delay_alu instid0(VALU_DEP_1) | instskip(SKIP_1) | instid1(VALU_DEP_2)
	v_mul_hi_u32 v11, s40, v10
	v_mul_lo_u32 v13, v10, s36
	v_add_nc_u32_e32 v11, v10, v11
	s_delay_alu instid0(VALU_DEP_2) | instskip(NEXT) | instid1(VALU_DEP_2)
	v_sub_nc_u32_e32 v9, v9, v13
	v_lshrrev_b32_e32 v11, s41, v11
	s_delay_alu instid0(VALU_DEP_2) | instskip(SKIP_1) | instid1(VALU_DEP_3)
	v_mul_lo_u32 v13, v9, s44
	v_mul_lo_u32 v15, v9, s45
	v_mul_hi_u32 v12, s43, v11
	s_delay_alu instid0(VALU_DEP_1) | instskip(NEXT) | instid1(VALU_DEP_1)
	v_add_nc_u32_e32 v12, v11, v12
	v_lshrrev_b32_e32 v12, s12, v12
	s_delay_alu instid0(VALU_DEP_1) | instskip(SKIP_1) | instid1(VALU_DEP_2)
	v_mul_hi_u32 v14, s14, v12
	v_mul_lo_u32 v16, v12, s42
	v_add_nc_u32_e32 v9, v12, v14
	v_mul_lo_u32 v14, v11, s39
	s_delay_alu instid0(VALU_DEP_3) | instskip(NEXT) | instid1(VALU_DEP_3)
	v_sub_nc_u32_e32 v11, v11, v16
	v_lshrrev_b32_e32 v9, s15, v9
	s_delay_alu instid0(VALU_DEP_2) | instskip(SKIP_2) | instid1(VALU_DEP_4)
	v_mul_lo_u32 v16, v11, s48
	v_mul_lo_u32 v11, v11, s49
	v_sub_nc_u32_e32 v10, v10, v14
	v_mul_lo_u32 v17, v9, s13
	s_delay_alu instid0(VALU_DEP_2) | instskip(SKIP_1) | instid1(VALU_DEP_3)
	v_mul_lo_u32 v14, v10, s46
	v_mul_lo_u32 v10, v10, s47
	v_sub_nc_u32_e32 v12, v12, v17
	s_delay_alu instid0(VALU_DEP_3) | instskip(NEXT) | instid1(VALU_DEP_2)
	v_add3_u32 v0, v13, v0, v14
	v_mul_lo_u32 v17, v12, s50
	v_mul_lo_u32 v12, v12, s51
	v_add3_u32 v4, v15, v4, v10
	s_delay_alu instid0(VALU_DEP_3) | instskip(NEXT) | instid1(VALU_DEP_2)
	v_add3_u32 v0, v16, v0, v17
	v_add3_u32 v4, v11, v4, v12
	s_cbranch_scc1 .LBB433_1104
; %bb.1105:
	s_and_b32 s7, s7, 3
	s_delay_alu instid0(SALU_CYCLE_1)
	s_cmp_eq_u32 s7, 0
	s_cbranch_scc0 .LBB433_1108
	s_branch .LBB433_1110
.LBB433_1106:
	s_mov_b32 s6, -1
                                        ; implicit-def: $vgpr0
                                        ; implicit-def: $vgpr4
	s_branch .LBB433_1110
.LBB433_1107:
	v_dual_mov_b32 v9, v8 :: v_dual_mov_b32 v4, 0
	s_and_b32 s7, s7, 3
	s_delay_alu instid0(SALU_CYCLE_1)
	s_cmp_eq_u32 s7, 0
	s_cbranch_scc1 .LBB433_1110
.LBB433_1108:
	s_lshl_b32 s2, s10, 3
	s_mul_i32 s4, s10, 12
	s_add_u32 s2, s2, s16
	s_addc_u32 s3, 0, s17
	s_add_u32 s2, s2, 0xc4
	s_addc_u32 s3, s3, 0
	;; [unrolled: 2-line block ×3, first 2 shown]
	.p2align	6
.LBB433_1109:                           ; =>This Inner Loop Header: Depth=1
	s_clause 0x1
	s_load_b64 s[10:11], s[4:5], 0x4
	s_load_b32 s14, s[4:5], 0xc
	s_load_b64 s[12:13], s[2:3], 0x0
	s_add_u32 s4, s4, 12
	s_addc_u32 s5, s5, 0
	s_add_u32 s2, s2, 8
	s_addc_u32 s3, s3, 0
	s_add_i32 s7, s7, -1
	s_delay_alu instid0(SALU_CYCLE_1) | instskip(SKIP_2) | instid1(VALU_DEP_1)
	s_cmp_lg_u32 s7, 0
	s_waitcnt lgkmcnt(0)
	v_mul_hi_u32 v10, s11, v9
	v_add_nc_u32_e32 v10, v9, v10
	s_delay_alu instid0(VALU_DEP_1) | instskip(NEXT) | instid1(VALU_DEP_1)
	v_lshrrev_b32_e32 v13, s14, v10
	v_mul_lo_u32 v10, v13, s10
	s_delay_alu instid0(VALU_DEP_1) | instskip(NEXT) | instid1(VALU_DEP_1)
	v_sub_nc_u32_e32 v9, v9, v10
	v_mad_u64_u32 v[10:11], null, v9, s12, v[0:1]
	v_mad_u64_u32 v[11:12], null, v9, s13, v[4:5]
	s_delay_alu instid0(VALU_DEP_2) | instskip(NEXT) | instid1(VALU_DEP_2)
	v_dual_mov_b32 v9, v13 :: v_dual_mov_b32 v0, v10
	v_mov_b32_e32 v4, v11
	s_cbranch_scc1 .LBB433_1109
.LBB433_1110:
	s_and_not1_b32 vcc_lo, exec_lo, s6
	s_cbranch_vccnz .LBB433_1113
; %bb.1111:
	s_clause 0x1
	s_load_b128 s[4:7], s[16:17], 0x4
	s_load_b64 s[2:3], s[16:17], 0xc4
	s_cmp_lt_u32 s24, 2
	s_waitcnt lgkmcnt(0)
	v_mul_hi_u32 v0, s5, v8
	s_delay_alu instid0(VALU_DEP_1) | instskip(NEXT) | instid1(VALU_DEP_1)
	v_add_nc_u32_e32 v0, v8, v0
	v_lshrrev_b32_e32 v9, s6, v0
	s_delay_alu instid0(VALU_DEP_1) | instskip(NEXT) | instid1(VALU_DEP_1)
	v_mul_lo_u32 v0, v9, s4
	v_sub_nc_u32_e32 v4, v8, v0
	s_delay_alu instid0(VALU_DEP_1)
	v_mul_lo_u32 v0, v4, s2
	v_mul_lo_u32 v4, v4, s3
	s_cbranch_scc1 .LBB433_1113
; %bb.1112:
	s_clause 0x1
	s_load_b128 s[4:7], s[16:17], 0x10
	s_load_b64 s[2:3], s[16:17], 0xcc
	s_waitcnt lgkmcnt(0)
	v_mul_hi_u32 v8, s5, v9
	s_delay_alu instid0(VALU_DEP_1) | instskip(NEXT) | instid1(VALU_DEP_1)
	v_add_nc_u32_e32 v8, v9, v8
	v_lshrrev_b32_e32 v8, s6, v8
	s_delay_alu instid0(VALU_DEP_1) | instskip(NEXT) | instid1(VALU_DEP_1)
	v_mul_lo_u32 v8, v8, s4
	v_sub_nc_u32_e32 v11, v9, v8
	s_delay_alu instid0(VALU_DEP_1) | instskip(SKIP_1) | instid1(VALU_DEP_2)
	v_mad_u64_u32 v[8:9], null, v11, s2, v[0:1]
	v_mad_u64_u32 v[9:10], null, v11, s3, v[4:5]
	v_mov_b32_e32 v0, v8
	s_delay_alu instid0(VALU_DEP_2)
	v_mov_b32_e32 v4, v9
.LBB433_1113:
	s_clause 0x1
	s_load_b32 s0, s[0:1], 0x160
	s_load_b128 s[4:7], s[16:17], 0x148
	s_mov_b32 s3, 0
	s_waitcnt lgkmcnt(0)
	s_lshr_b32 s1, s0, 16
	s_delay_alu instid0(SALU_CYCLE_1) | instskip(SKIP_1) | instid1(VALU_DEP_1)
	v_and_b32_e64 v13, 0xff, s1
	v_add_co_u32 v7, s1, s6, v7
	v_add_co_ci_u32_e64 v8, null, s7, 0, s1
	s_delay_alu instid0(VALU_DEP_3)
	v_cmp_gt_i16_e32 vcc_lo, 11, v13
	s_cbranch_vccnz .LBB433_1120
; %bb.1114:
	v_cmp_lt_i16_e32 vcc_lo, 25, v13
	s_mov_b32 s2, 0
	s_cbranch_vccz .LBB433_1126
; %bb.1115:
	v_cmp_lt_i16_e32 vcc_lo, 28, v13
	s_cbranch_vccz .LBB433_1128
; %bb.1116:
	v_cmp_lt_i16_e32 vcc_lo, 43, v13
	s_cbranch_vccz .LBB433_1130
; %bb.1117:
	v_cmp_lt_i16_e32 vcc_lo, 45, v13
	s_cbranch_vccz .LBB433_1134
; %bb.1118:
	v_cmp_eq_u16_e32 vcc_lo, 46, v13
	s_mov_b32 s10, 0
	s_cbranch_vccz .LBB433_1176
; %bb.1119:
	global_load_b32 v9, v[7:8], off
	s_mov_b32 s1, 0
	s_mov_b32 s3, -1
	s_waitcnt vmcnt(0)
	v_lshlrev_b32_e32 v9, 16, v9
	s_delay_alu instid0(VALU_DEP_1)
	v_cvt_i32_f32_e32 v10, v9
	s_branch .LBB433_1178
.LBB433_1120:
	s_mov_b32 s1, s8
                                        ; implicit-def: $vgpr10
	s_cbranch_execz .LBB433_1236
; %bb.1121:
	v_cmp_gt_i16_e32 vcc_lo, 5, v13
	s_cbranch_vccnz .LBB433_1127
; %bb.1122:
	v_cmp_gt_i16_e32 vcc_lo, 8, v13
	s_cbranch_vccnz .LBB433_1129
	;; [unrolled: 3-line block ×3, first 2 shown]
; %bb.1124:
	v_cmp_lt_i16_e32 vcc_lo, 9, v13
	s_cbranch_vccz .LBB433_1135
; %bb.1125:
	global_load_b64 v[9:10], v[7:8], off
	s_mov_b32 s2, 0
	s_waitcnt vmcnt(0)
	v_cvt_i32_f64_e32 v10, v[9:10]
	s_branch .LBB433_1136
.LBB433_1126:
	s_mov_b32 s1, 0
                                        ; implicit-def: $vgpr10
	s_cbranch_execnz .LBB433_1203
	s_branch .LBB433_1232
.LBB433_1127:
                                        ; implicit-def: $vgpr10
	s_branch .LBB433_1153
.LBB433_1128:
	s_mov_b32 s1, 0
                                        ; implicit-def: $vgpr10
	s_cbranch_execz .LBB433_1202
	s_branch .LBB433_1187
.LBB433_1129:
                                        ; implicit-def: $vgpr10
	s_branch .LBB433_1142
.LBB433_1130:
	s_mov_b32 s1, 0
                                        ; implicit-def: $vgpr10
	s_cbranch_execnz .LBB433_1183
	s_branch .LBB433_1186
.LBB433_1131:
	s_mov_b32 s2, -1
                                        ; implicit-def: $vgpr10
	s_branch .LBB433_1139
.LBB433_1132:
	s_cbranch_execnz .LBB433_1174
; %bb.1133:
	s_or_b32 s3, s3, exec_lo
	s_and_not1_b32 s8, s8, exec_lo
	s_or_b32 exec_lo, exec_lo, s2
	s_and_saveexec_b32 s2, s8
	s_delay_alu instid0(SALU_CYCLE_1)
	s_xor_b32 s2, exec_lo, s2
	s_cbranch_execnz .LBB433_1020
	s_branch .LBB433_1021
.LBB433_1134:
	s_mov_b32 s10, -1
	s_mov_b32 s1, 0
	s_branch .LBB433_1177
.LBB433_1135:
	s_mov_b32 s2, -1
                                        ; implicit-def: $vgpr10
.LBB433_1136:
	s_delay_alu instid0(SALU_CYCLE_1)
	s_and_not1_b32 vcc_lo, exec_lo, s2
	s_cbranch_vccnz .LBB433_1138
; %bb.1137:
	global_load_b32 v9, v[7:8], off
	s_waitcnt vmcnt(0)
	v_cvt_i32_f32_e32 v10, v9
.LBB433_1138:
	s_mov_b32 s2, 0
.LBB433_1139:
	s_delay_alu instid0(SALU_CYCLE_1)
	s_and_not1_b32 vcc_lo, exec_lo, s2
	s_cbranch_vccnz .LBB433_1141
; %bb.1140:
	global_load_b32 v9, v[7:8], off
	s_waitcnt vmcnt(0)
	v_cvt_i16_f16_e32 v10, v9
.LBB433_1141:
	s_cbranch_execnz .LBB433_1152
.LBB433_1142:
	v_cmp_gt_i16_e32 vcc_lo, 6, v13
	s_cbranch_vccnz .LBB433_1145
; %bb.1143:
	v_cmp_lt_i16_e32 vcc_lo, 6, v13
	s_cbranch_vccz .LBB433_1146
; %bb.1144:
	global_load_b64 v[9:10], v[7:8], off
	s_mov_b32 s2, 0
	s_waitcnt vmcnt(0)
	v_cvt_i32_f64_e32 v10, v[9:10]
	s_branch .LBB433_1147
.LBB433_1145:
	s_mov_b32 s2, -1
                                        ; implicit-def: $vgpr10
	s_branch .LBB433_1150
.LBB433_1146:
	s_mov_b32 s2, -1
                                        ; implicit-def: $vgpr10
.LBB433_1147:
	s_delay_alu instid0(SALU_CYCLE_1)
	s_and_not1_b32 vcc_lo, exec_lo, s2
	s_cbranch_vccnz .LBB433_1149
; %bb.1148:
	global_load_b32 v9, v[7:8], off
	s_waitcnt vmcnt(0)
	v_cvt_i32_f32_e32 v10, v9
.LBB433_1149:
	s_mov_b32 s2, 0
.LBB433_1150:
	s_delay_alu instid0(SALU_CYCLE_1)
	s_and_not1_b32 vcc_lo, exec_lo, s2
	s_cbranch_vccnz .LBB433_1152
; %bb.1151:
	global_load_u16 v9, v[7:8], off
	s_waitcnt vmcnt(0)
	v_cvt_i16_f16_e32 v10, v9
.LBB433_1152:
	s_cbranch_execnz .LBB433_1171
.LBB433_1153:
	v_cmp_gt_i16_e32 vcc_lo, 2, v13
	s_cbranch_vccnz .LBB433_1157
; %bb.1154:
	v_cmp_gt_i16_e32 vcc_lo, 3, v13
	s_cbranch_vccnz .LBB433_1158
; %bb.1155:
	v_cmp_lt_i16_e32 vcc_lo, 3, v13
	s_cbranch_vccz .LBB433_1159
; %bb.1156:
	global_load_b64 v[10:11], v[7:8], off
	s_mov_b32 s2, 0
	s_branch .LBB433_1160
.LBB433_1157:
                                        ; implicit-def: $vgpr10
	s_branch .LBB433_1166
.LBB433_1158:
	s_mov_b32 s2, -1
                                        ; implicit-def: $vgpr10
	s_branch .LBB433_1163
.LBB433_1159:
	s_mov_b32 s2, -1
                                        ; implicit-def: $vgpr10
.LBB433_1160:
	s_delay_alu instid0(SALU_CYCLE_1)
	s_and_not1_b32 vcc_lo, exec_lo, s2
	s_cbranch_vccnz .LBB433_1162
; %bb.1161:
	global_load_b32 v10, v[7:8], off
.LBB433_1162:
	s_mov_b32 s2, 0
.LBB433_1163:
	s_delay_alu instid0(SALU_CYCLE_1)
	s_and_not1_b32 vcc_lo, exec_lo, s2
	s_cbranch_vccnz .LBB433_1165
; %bb.1164:
	global_load_u16 v10, v[7:8], off
.LBB433_1165:
	s_cbranch_execnz .LBB433_1171
.LBB433_1166:
	v_cmp_lt_i16_e32 vcc_lo, 0, v13
	s_mov_b32 s2, 0
	s_cbranch_vccz .LBB433_1168
; %bb.1167:
	global_load_u8 v10, v[7:8], off
	s_branch .LBB433_1169
.LBB433_1168:
	s_mov_b32 s2, -1
                                        ; implicit-def: $vgpr10
.LBB433_1169:
	s_delay_alu instid0(SALU_CYCLE_1)
	s_and_not1_b32 vcc_lo, exec_lo, s2
	s_cbranch_vccnz .LBB433_1171
; %bb.1170:
	global_load_u8 v10, v[7:8], off
.LBB433_1171:
	s_branch .LBB433_1237
.LBB433_1172:
	s_trap 2
	s_sendmsg_rtn_b32 s0, sendmsg(MSG_RTN_GET_DOORBELL)
	s_mov_b32 ttmp2, m0
	s_waitcnt lgkmcnt(0)
	s_and_b32 s0, s0, 0x3ff
	s_delay_alu instid0(SALU_CYCLE_1) | instskip(NEXT) | instid1(SALU_CYCLE_1)
	s_bitset1_b32 s0, 10
	s_mov_b32 m0, s0
	s_sendmsg sendmsg(MSG_INTERRUPT)
	s_mov_b32 m0, ttmp2
.LBB433_1173:                           ; =>This Inner Loop Header: Depth=1
	s_sethalt 5
	s_branch .LBB433_1173
.LBB433_1174:
	s_trap 2
	s_sendmsg_rtn_b32 s0, sendmsg(MSG_RTN_GET_DOORBELL)
	s_mov_b32 ttmp2, m0
	s_waitcnt lgkmcnt(0)
	s_and_b32 s0, s0, 0x3ff
	s_delay_alu instid0(SALU_CYCLE_1) | instskip(NEXT) | instid1(SALU_CYCLE_1)
	s_bitset1_b32 s0, 10
	s_mov_b32 m0, s0
	s_sendmsg sendmsg(MSG_INTERRUPT)
	s_mov_b32 m0, ttmp2
.LBB433_1175:                           ; =>This Inner Loop Header: Depth=1
	s_sethalt 5
	s_branch .LBB433_1175
.LBB433_1176:
	s_mov_b32 s1, -1
.LBB433_1177:
                                        ; implicit-def: $vgpr10
.LBB433_1178:
	s_and_b32 vcc_lo, exec_lo, s10
	s_cbranch_vccz .LBB433_1181
; %bb.1179:
	v_cmp_eq_u16_e32 vcc_lo, 44, v13
	s_cbranch_vccz .LBB433_1182
; %bb.1180:
	global_load_u8 v9, v[7:8], off
	s_mov_b32 s1, 0
	s_mov_b32 s3, -1
	s_waitcnt vmcnt(0)
	v_lshlrev_b32_e32 v10, 23, v9
	v_cmp_ne_u32_e32 vcc_lo, 0, v9
	s_delay_alu instid0(VALU_DEP_2) | instskip(NEXT) | instid1(VALU_DEP_1)
	v_cvt_i32_f32_e32 v10, v10
	v_cndmask_b32_e32 v10, 0, v10, vcc_lo
.LBB433_1181:
	s_branch .LBB433_1186
.LBB433_1182:
	s_mov_b32 s1, -1
                                        ; implicit-def: $vgpr10
	s_branch .LBB433_1186
.LBB433_1183:
	v_cmp_eq_u16_e32 vcc_lo, 29, v13
	s_cbranch_vccz .LBB433_1185
; %bb.1184:
	global_load_b64 v[10:11], v[7:8], off
	s_mov_b32 s1, 0
	s_mov_b32 s3, -1
	s_branch .LBB433_1186
.LBB433_1185:
	s_mov_b32 s1, -1
                                        ; implicit-def: $vgpr10
.LBB433_1186:
	s_branch .LBB433_1202
.LBB433_1187:
	v_cmp_gt_i16_e32 vcc_lo, 27, v13
	s_cbranch_vccnz .LBB433_1190
; %bb.1188:
	v_cmp_lt_i16_e32 vcc_lo, 27, v13
	s_cbranch_vccz .LBB433_1191
; %bb.1189:
	global_load_b32 v10, v[7:8], off
	s_mov_b32 s3, 0
	s_branch .LBB433_1192
.LBB433_1190:
	s_mov_b32 s3, -1
                                        ; implicit-def: $vgpr10
	s_branch .LBB433_1195
.LBB433_1191:
	s_mov_b32 s3, -1
                                        ; implicit-def: $vgpr10
.LBB433_1192:
	s_delay_alu instid0(SALU_CYCLE_1)
	s_and_not1_b32 vcc_lo, exec_lo, s3
	s_cbranch_vccnz .LBB433_1194
; %bb.1193:
	global_load_u16 v10, v[7:8], off
.LBB433_1194:
	s_mov_b32 s3, 0
.LBB433_1195:
	s_delay_alu instid0(SALU_CYCLE_1)
	s_and_not1_b32 vcc_lo, exec_lo, s3
	s_cbranch_vccnz .LBB433_1201
; %bb.1196:
	global_load_u8 v9, v[7:8], off
	s_mov_b32 s3, 0
	s_mov_b32 s10, exec_lo
                                        ; implicit-def: $sgpr11
	s_waitcnt vmcnt(0)
	v_cmpx_lt_i16_e32 0x7f, v9
	s_xor_b32 s10, exec_lo, s10
	s_cbranch_execz .LBB433_1212
; %bb.1197:
	v_cmp_ne_u16_e32 vcc_lo, 0x80, v9
	s_mov_b32 s11, 0
	s_and_b32 s3, vcc_lo, exec_lo
	s_or_saveexec_b32 s10, s10
	v_mov_b32_e32 v10, s11
	s_xor_b32 exec_lo, exec_lo, s10
	s_cbranch_execnz .LBB433_1213
.LBB433_1198:
	s_or_b32 exec_lo, exec_lo, s10
	s_and_saveexec_b32 s10, s3
	s_cbranch_execz .LBB433_1200
.LBB433_1199:
	v_and_b32_e32 v10, 0xffff, v9
	v_lshlrev_b32_e32 v9, 24, v9
	s_delay_alu instid0(VALU_DEP_2) | instskip(NEXT) | instid1(VALU_DEP_2)
	v_and_b32_e32 v11, 7, v10
	v_and_b32_e32 v9, 0x80000000, v9
	s_delay_alu instid0(VALU_DEP_2) | instskip(NEXT) | instid1(VALU_DEP_1)
	v_clz_i32_u32_e32 v12, v11
	v_min_u32_e32 v12, 32, v12
	s_delay_alu instid0(VALU_DEP_1) | instskip(SKIP_1) | instid1(VALU_DEP_2)
	v_subrev_nc_u32_e32 v14, 28, v12
	v_sub_nc_u32_e32 v12, 29, v12
	v_lshlrev_b32_e32 v14, v14, v10
	v_bfe_u32 v10, v10, 3, 4
	s_delay_alu instid0(VALU_DEP_2) | instskip(NEXT) | instid1(VALU_DEP_2)
	v_and_b32_e32 v14, 7, v14
	v_cmp_eq_u32_e32 vcc_lo, 0, v10
	s_delay_alu instid0(VALU_DEP_2) | instskip(NEXT) | instid1(VALU_DEP_1)
	v_dual_cndmask_b32 v10, v10, v12 :: v_dual_cndmask_b32 v11, v11, v14
	v_lshl_add_u32 v10, v10, 23, 0x3b800000
	s_delay_alu instid0(VALU_DEP_2) | instskip(NEXT) | instid1(VALU_DEP_1)
	v_lshlrev_b32_e32 v11, 20, v11
	v_or3_b32 v9, v9, v10, v11
	s_delay_alu instid0(VALU_DEP_1)
	v_cvt_i32_f32_e32 v10, v9
.LBB433_1200:
	s_or_b32 exec_lo, exec_lo, s10
.LBB433_1201:
	s_mov_b32 s3, -1
.LBB433_1202:
	s_branch .LBB433_1232
.LBB433_1203:
	v_cmp_lt_i16_e32 vcc_lo, 22, v13
	s_cbranch_vccz .LBB433_1211
; %bb.1204:
	v_cmp_gt_i16_e32 vcc_lo, 24, v13
	s_cbranch_vccnz .LBB433_1214
; %bb.1205:
	v_cmp_lt_i16_e32 vcc_lo, 24, v13
	s_cbranch_vccz .LBB433_1215
; %bb.1206:
	global_load_u8 v9, v[7:8], off
	s_mov_b32 s3, exec_lo
                                        ; implicit-def: $sgpr10
	s_waitcnt vmcnt(0)
	v_cmpx_lt_i16_e32 0x7f, v9
	s_xor_b32 s3, exec_lo, s3
	s_cbranch_execz .LBB433_1226
; %bb.1207:
	v_cmp_ne_u16_e32 vcc_lo, 0x80, v9
	s_mov_b32 s10, 0
	s_and_b32 s2, vcc_lo, exec_lo
	s_or_saveexec_b32 s3, s3
	v_mov_b32_e32 v10, s10
	s_xor_b32 exec_lo, exec_lo, s3
	s_cbranch_execnz .LBB433_1227
.LBB433_1208:
	s_or_b32 exec_lo, exec_lo, s3
	s_and_saveexec_b32 s3, s2
	s_cbranch_execz .LBB433_1210
.LBB433_1209:
	v_and_b32_e32 v10, 0xffff, v9
	v_lshlrev_b32_e32 v9, 24, v9
	s_delay_alu instid0(VALU_DEP_2) | instskip(NEXT) | instid1(VALU_DEP_2)
	v_and_b32_e32 v11, 3, v10
	v_and_b32_e32 v9, 0x80000000, v9
	s_delay_alu instid0(VALU_DEP_2) | instskip(NEXT) | instid1(VALU_DEP_1)
	v_clz_i32_u32_e32 v12, v11
	v_min_u32_e32 v12, 32, v12
	s_delay_alu instid0(VALU_DEP_1) | instskip(SKIP_1) | instid1(VALU_DEP_2)
	v_subrev_nc_u32_e32 v14, 29, v12
	v_sub_nc_u32_e32 v12, 30, v12
	v_lshlrev_b32_e32 v14, v14, v10
	v_bfe_u32 v10, v10, 2, 5
	s_delay_alu instid0(VALU_DEP_2) | instskip(NEXT) | instid1(VALU_DEP_2)
	v_and_b32_e32 v14, 3, v14
	v_cmp_eq_u32_e32 vcc_lo, 0, v10
	s_delay_alu instid0(VALU_DEP_2) | instskip(NEXT) | instid1(VALU_DEP_1)
	v_dual_cndmask_b32 v10, v10, v12 :: v_dual_cndmask_b32 v11, v11, v14
	v_lshl_add_u32 v10, v10, 23, 0x37800000
	s_delay_alu instid0(VALU_DEP_2) | instskip(NEXT) | instid1(VALU_DEP_1)
	v_lshlrev_b32_e32 v11, 21, v11
	v_or3_b32 v9, v9, v10, v11
	s_delay_alu instid0(VALU_DEP_1)
	v_cvt_i32_f32_e32 v10, v9
.LBB433_1210:
	s_or_b32 exec_lo, exec_lo, s3
	s_mov_b32 s2, 0
	s_branch .LBB433_1216
.LBB433_1211:
                                        ; implicit-def: $vgpr10
	s_mov_b32 s2, 0
	s_branch .LBB433_1222
.LBB433_1212:
	s_or_saveexec_b32 s10, s10
	v_mov_b32_e32 v10, s11
	s_xor_b32 exec_lo, exec_lo, s10
	s_cbranch_execz .LBB433_1198
.LBB433_1213:
	v_cmp_ne_u16_e32 vcc_lo, 0, v9
	v_mov_b32_e32 v10, 0
	s_and_not1_b32 s3, s3, exec_lo
	s_and_b32 s11, vcc_lo, exec_lo
	s_delay_alu instid0(SALU_CYCLE_1)
	s_or_b32 s3, s3, s11
	s_or_b32 exec_lo, exec_lo, s10
	s_and_saveexec_b32 s10, s3
	s_cbranch_execnz .LBB433_1199
	s_branch .LBB433_1200
.LBB433_1214:
	s_mov_b32 s2, -1
                                        ; implicit-def: $vgpr10
	s_branch .LBB433_1219
.LBB433_1215:
	s_mov_b32 s2, -1
                                        ; implicit-def: $vgpr10
.LBB433_1216:
	s_delay_alu instid0(SALU_CYCLE_1)
	s_and_b32 vcc_lo, exec_lo, s2
	s_cbranch_vccz .LBB433_1218
; %bb.1217:
	global_load_u8 v9, v[7:8], off
	s_waitcnt vmcnt(0)
	v_lshlrev_b32_e32 v9, 24, v9
	s_delay_alu instid0(VALU_DEP_1) | instskip(NEXT) | instid1(VALU_DEP_1)
	v_and_b32_e32 v10, 0x7f000000, v9
	v_clz_i32_u32_e32 v11, v10
	v_add_nc_u32_e32 v14, 0x1000000, v10
	v_cmp_ne_u32_e32 vcc_lo, 0, v10
	s_delay_alu instid0(VALU_DEP_3) | instskip(NEXT) | instid1(VALU_DEP_1)
	v_min_u32_e32 v11, 32, v11
	v_sub_nc_u32_e64 v11, v11, 4 clamp
	s_delay_alu instid0(VALU_DEP_1) | instskip(SKIP_1) | instid1(VALU_DEP_2)
	v_lshlrev_b32_e32 v12, v11, v10
	v_lshlrev_b32_e32 v11, 23, v11
	v_lshrrev_b32_e32 v12, 4, v12
	s_delay_alu instid0(VALU_DEP_1) | instskip(SKIP_1) | instid1(VALU_DEP_2)
	v_sub_nc_u32_e32 v11, v12, v11
	v_ashrrev_i32_e32 v12, 8, v14
	v_add_nc_u32_e32 v11, 0x3c000000, v11
	s_delay_alu instid0(VALU_DEP_1) | instskip(NEXT) | instid1(VALU_DEP_1)
	v_and_or_b32 v11, 0x7f800000, v12, v11
	v_cndmask_b32_e32 v10, 0, v11, vcc_lo
	s_delay_alu instid0(VALU_DEP_1) | instskip(NEXT) | instid1(VALU_DEP_1)
	v_and_or_b32 v9, 0x80000000, v9, v10
	v_cvt_i32_f32_e32 v10, v9
.LBB433_1218:
	s_mov_b32 s2, 0
.LBB433_1219:
	s_delay_alu instid0(SALU_CYCLE_1)
	s_and_not1_b32 vcc_lo, exec_lo, s2
	s_cbranch_vccnz .LBB433_1221
; %bb.1220:
	global_load_u8 v9, v[7:8], off
	s_waitcnt vmcnt(0)
	v_lshlrev_b32_e32 v10, 25, v9
	v_lshlrev_b16 v9, 8, v9
	s_delay_alu instid0(VALU_DEP_2) | instskip(NEXT) | instid1(VALU_DEP_2)
	v_lshrrev_b32_e32 v11, 4, v10
	v_and_or_b32 v12, 0x7f00, v9, 0.5
	v_bfe_i32 v9, v9, 0, 16
	s_delay_alu instid0(VALU_DEP_3) | instskip(NEXT) | instid1(VALU_DEP_1)
	v_or_b32_e32 v11, 0x70000000, v11
	v_dual_add_f32 v12, -0.5, v12 :: v_dual_mul_f32 v11, 0x7800000, v11
	v_cmp_gt_u32_e32 vcc_lo, 0x8000000, v10
	s_delay_alu instid0(VALU_DEP_2) | instskip(NEXT) | instid1(VALU_DEP_1)
	v_cndmask_b32_e32 v10, v11, v12, vcc_lo
	v_and_or_b32 v9, 0x80000000, v9, v10
	s_delay_alu instid0(VALU_DEP_1)
	v_cvt_i32_f32_e32 v10, v9
.LBB433_1221:
	s_mov_b32 s3, -1
	s_mov_b32 s2, 0
	s_cbranch_execnz .LBB433_1232
.LBB433_1222:
	v_cmp_lt_i16_e32 vcc_lo, 14, v13
	s_cbranch_vccz .LBB433_1225
; %bb.1223:
	v_cmp_eq_u16_e32 vcc_lo, 15, v13
	s_cbranch_vccz .LBB433_1228
; %bb.1224:
	global_load_u16 v9, v[7:8], off
	s_mov_b32 s1, 0
	s_mov_b32 s3, -1
	s_waitcnt vmcnt(0)
	v_lshlrev_b32_e32 v9, 16, v9
	s_delay_alu instid0(VALU_DEP_1)
	v_cvt_i32_f32_e32 v10, v9
	s_branch .LBB433_1230
.LBB433_1225:
	s_mov_b32 s2, -1
	s_branch .LBB433_1229
.LBB433_1226:
	s_or_saveexec_b32 s3, s3
	v_mov_b32_e32 v10, s10
	s_xor_b32 exec_lo, exec_lo, s3
	s_cbranch_execz .LBB433_1208
.LBB433_1227:
	v_cmp_ne_u16_e32 vcc_lo, 0, v9
	v_mov_b32_e32 v10, 0
	s_and_not1_b32 s2, s2, exec_lo
	s_and_b32 s10, vcc_lo, exec_lo
	s_delay_alu instid0(SALU_CYCLE_1)
	s_or_b32 s2, s2, s10
	s_or_b32 exec_lo, exec_lo, s3
	s_and_saveexec_b32 s3, s2
	s_cbranch_execnz .LBB433_1209
	s_branch .LBB433_1210
.LBB433_1228:
	s_mov_b32 s1, -1
.LBB433_1229:
                                        ; implicit-def: $vgpr10
.LBB433_1230:
	s_and_b32 vcc_lo, exec_lo, s2
	s_mov_b32 s2, 0
	s_cbranch_vccz .LBB433_1232
; %bb.1231:
	v_cmp_ne_u16_e64 s1, 11, v13
	s_mov_b32 s2, -1
                                        ; implicit-def: $vgpr10
.LBB433_1232:
	s_delay_alu instid0(VALU_DEP_1)
	s_and_b32 vcc_lo, exec_lo, s1
	s_mov_b32 s1, s8
	s_cbranch_vccnz .LBB433_1256
; %bb.1233:
	s_and_not1_b32 vcc_lo, exec_lo, s2
	s_cbranch_vccnz .LBB433_1235
.LBB433_1234:
	global_load_u8 v9, v[7:8], off
	s_mov_b32 s3, -1
	s_waitcnt vmcnt(0)
	v_cmp_ne_u16_e32 vcc_lo, 0, v9
	v_cndmask_b32_e64 v10, 0, 1, vcc_lo
.LBB433_1235:
.LBB433_1236:
	s_and_not1_b32 vcc_lo, exec_lo, s3
	s_cbranch_vccnz .LBB433_2057
.LBB433_1237:
	v_cmp_gt_i16_e32 vcc_lo, 11, v13
	v_add_co_u32 v6, s2, s6, v6
	s_delay_alu instid0(VALU_DEP_1)
	v_add_co_ci_u32_e64 v7, null, s7, 0, s2
	s_mov_b32 s10, 0
	s_cbranch_vccnz .LBB433_1244
; %bb.1238:
	v_cmp_lt_i16_e32 vcc_lo, 25, v13
	s_mov_b32 s3, 0
	s_cbranch_vccz .LBB433_1250
; %bb.1239:
	v_cmp_lt_i16_e32 vcc_lo, 28, v13
	s_cbranch_vccz .LBB433_1252
; %bb.1240:
	v_cmp_lt_i16_e32 vcc_lo, 43, v13
	s_cbranch_vccz .LBB433_1254
; %bb.1241:
	v_cmp_lt_i16_e32 vcc_lo, 45, v13
	s_cbranch_vccz .LBB433_1260
; %bb.1242:
	v_cmp_eq_u16_e32 vcc_lo, 46, v13
	s_mov_b32 s11, 0
	s_cbranch_vccz .LBB433_1304
; %bb.1243:
	global_load_b32 v8, v[6:7], off
	s_mov_b32 s2, 0
	s_mov_b32 s10, -1
	s_waitcnt vmcnt(0)
	v_lshlrev_b32_e32 v8, 16, v8
	s_delay_alu instid0(VALU_DEP_1)
	v_cvt_i32_f32_e32 v8, v8
	s_branch .LBB433_1306
.LBB433_1244:
                                        ; implicit-def: $vgpr8
	s_cbranch_execz .LBB433_1367
; %bb.1245:
	v_cmp_gt_i16_e32 vcc_lo, 5, v13
	s_cbranch_vccnz .LBB433_1251
; %bb.1246:
	v_cmp_gt_i16_e32 vcc_lo, 8, v13
	s_cbranch_vccnz .LBB433_1253
	;; [unrolled: 3-line block ×3, first 2 shown]
; %bb.1248:
	v_cmp_lt_i16_e32 vcc_lo, 9, v13
	s_cbranch_vccz .LBB433_1261
; %bb.1249:
	global_load_b64 v[8:9], v[6:7], off
	s_mov_b32 s2, 0
	s_waitcnt vmcnt(0)
	v_cvt_i32_f64_e32 v8, v[8:9]
	s_branch .LBB433_1262
.LBB433_1250:
	s_mov_b32 s2, 0
                                        ; implicit-def: $vgpr8
	s_cbranch_execnz .LBB433_1333
	s_branch .LBB433_1363
.LBB433_1251:
                                        ; implicit-def: $vgpr8
	s_branch .LBB433_1280
.LBB433_1252:
	s_mov_b32 s11, -1
	s_mov_b32 s2, 0
                                        ; implicit-def: $vgpr8
	s_branch .LBB433_1316
.LBB433_1253:
	s_mov_b32 s2, -1
                                        ; implicit-def: $vgpr8
	s_branch .LBB433_1268
.LBB433_1254:
	s_mov_b32 s11, -1
	s_mov_b32 s2, 0
                                        ; implicit-def: $vgpr8
	s_branch .LBB433_1311
.LBB433_1255:
	s_mov_b32 s2, -1
                                        ; implicit-def: $vgpr8
	s_branch .LBB433_1265
.LBB433_1256:
	s_cbranch_execnz .LBB433_1300
; %bb.1257:
	s_or_b32 s1, s8, exec_lo
                                        ; implicit-def: $vgpr10
	s_cbranch_execz .LBB433_1234
	s_branch .LBB433_1235
.LBB433_1258:
	s_or_saveexec_b32 s7, s7
                                        ; implicit-def: $sgpr8
	s_delay_alu instid0(SALU_CYCLE_1)
	s_xor_b32 exec_lo, exec_lo, s7
	s_cbranch_execz .LBB433_971
.LBB433_1259:
	v_add_f32_e64 v3, 0x46000000, |v0|
	s_and_not1_b32 s5, s5, exec_lo
	s_mov_b32 s8, 0
	s_delay_alu instid0(VALU_DEP_1) | instskip(NEXT) | instid1(VALU_DEP_1)
	v_and_b32_e32 v3, 0xff, v3
	v_cmp_ne_u32_e32 vcc_lo, 0, v3
	s_and_b32 s9, vcc_lo, exec_lo
	s_delay_alu instid0(SALU_CYCLE_1)
	s_or_b32 s5, s5, s9
	s_or_b32 exec_lo, exec_lo, s7
	v_mov_b32_e32 v6, s8
	s_and_saveexec_b32 s7, s5
	s_cbranch_execnz .LBB433_972
	s_branch .LBB433_973
.LBB433_1260:
	s_mov_b32 s11, -1
	s_mov_b32 s2, 0
	s_branch .LBB433_1305
.LBB433_1261:
	s_mov_b32 s2, -1
                                        ; implicit-def: $vgpr8
.LBB433_1262:
	s_delay_alu instid0(SALU_CYCLE_1)
	s_and_not1_b32 vcc_lo, exec_lo, s2
	s_cbranch_vccnz .LBB433_1264
; %bb.1263:
	global_load_b32 v8, v[6:7], off
	s_waitcnt vmcnt(0)
	v_cvt_i32_f32_e32 v8, v8
.LBB433_1264:
	s_mov_b32 s2, 0
.LBB433_1265:
	s_delay_alu instid0(SALU_CYCLE_1)
	s_and_not1_b32 vcc_lo, exec_lo, s2
	s_cbranch_vccnz .LBB433_1267
; %bb.1266:
	global_load_b32 v8, v[6:7], off
	s_waitcnt vmcnt(0)
	v_cvt_i16_f16_e32 v8, v8
.LBB433_1267:
	s_mov_b32 s2, 0
.LBB433_1268:
	s_delay_alu instid0(SALU_CYCLE_1)
	s_and_not1_b32 vcc_lo, exec_lo, s2
	s_cbranch_vccnz .LBB433_1279
; %bb.1269:
	v_cmp_gt_i16_e32 vcc_lo, 6, v13
	s_cbranch_vccnz .LBB433_1272
; %bb.1270:
	v_cmp_lt_i16_e32 vcc_lo, 6, v13
	s_cbranch_vccz .LBB433_1273
; %bb.1271:
	global_load_b64 v[8:9], v[6:7], off
	s_mov_b32 s2, 0
	s_waitcnt vmcnt(0)
	v_cvt_i32_f64_e32 v8, v[8:9]
	s_branch .LBB433_1274
.LBB433_1272:
	s_mov_b32 s2, -1
                                        ; implicit-def: $vgpr8
	s_branch .LBB433_1277
.LBB433_1273:
	s_mov_b32 s2, -1
                                        ; implicit-def: $vgpr8
.LBB433_1274:
	s_delay_alu instid0(SALU_CYCLE_1)
	s_and_not1_b32 vcc_lo, exec_lo, s2
	s_cbranch_vccnz .LBB433_1276
; %bb.1275:
	global_load_b32 v8, v[6:7], off
	s_waitcnt vmcnt(0)
	v_cvt_i32_f32_e32 v8, v8
.LBB433_1276:
	s_mov_b32 s2, 0
.LBB433_1277:
	s_delay_alu instid0(SALU_CYCLE_1)
	s_and_not1_b32 vcc_lo, exec_lo, s2
	s_cbranch_vccnz .LBB433_1279
; %bb.1278:
	global_load_u16 v8, v[6:7], off
	s_waitcnt vmcnt(0)
	v_cvt_i16_f16_e32 v8, v8
.LBB433_1279:
	s_cbranch_execnz .LBB433_1299
.LBB433_1280:
	v_cmp_gt_i16_e32 vcc_lo, 2, v13
	s_cbranch_vccnz .LBB433_1284
; %bb.1281:
	v_cmp_gt_i16_e32 vcc_lo, 3, v13
	s_cbranch_vccnz .LBB433_1285
; %bb.1282:
	v_cmp_lt_i16_e32 vcc_lo, 3, v13
	s_cbranch_vccz .LBB433_1286
; %bb.1283:
	global_load_b64 v[8:9], v[6:7], off
	s_mov_b32 s2, 0
	s_branch .LBB433_1287
.LBB433_1284:
	s_mov_b32 s2, -1
                                        ; implicit-def: $vgpr8
	s_branch .LBB433_1293
.LBB433_1285:
	s_mov_b32 s2, -1
                                        ; implicit-def: $vgpr8
	s_branch .LBB433_1290
.LBB433_1286:
	s_mov_b32 s2, -1
                                        ; implicit-def: $vgpr8
.LBB433_1287:
	s_delay_alu instid0(SALU_CYCLE_1)
	s_and_not1_b32 vcc_lo, exec_lo, s2
	s_cbranch_vccnz .LBB433_1289
; %bb.1288:
	global_load_b32 v8, v[6:7], off
.LBB433_1289:
	s_mov_b32 s2, 0
.LBB433_1290:
	s_delay_alu instid0(SALU_CYCLE_1)
	s_and_not1_b32 vcc_lo, exec_lo, s2
	s_cbranch_vccnz .LBB433_1292
; %bb.1291:
	global_load_u16 v8, v[6:7], off
.LBB433_1292:
	s_mov_b32 s2, 0
.LBB433_1293:
	s_delay_alu instid0(SALU_CYCLE_1)
	s_and_not1_b32 vcc_lo, exec_lo, s2
	s_cbranch_vccnz .LBB433_1299
; %bb.1294:
	v_cmp_lt_i16_e32 vcc_lo, 0, v13
	s_mov_b32 s2, 0
	s_cbranch_vccz .LBB433_1296
; %bb.1295:
	global_load_u8 v8, v[6:7], off
	s_branch .LBB433_1297
.LBB433_1296:
	s_mov_b32 s2, -1
                                        ; implicit-def: $vgpr8
.LBB433_1297:
	s_delay_alu instid0(SALU_CYCLE_1)
	s_and_not1_b32 vcc_lo, exec_lo, s2
	s_cbranch_vccnz .LBB433_1299
; %bb.1298:
	global_load_u8 v8, v[6:7], off
.LBB433_1299:
	s_branch .LBB433_1368
.LBB433_1300:
	s_trap 2
	s_sendmsg_rtn_b32 s0, sendmsg(MSG_RTN_GET_DOORBELL)
	s_mov_b32 ttmp2, m0
	s_waitcnt lgkmcnt(0)
	s_and_b32 s0, s0, 0x3ff
	s_delay_alu instid0(SALU_CYCLE_1) | instskip(NEXT) | instid1(SALU_CYCLE_1)
	s_bitset1_b32 s0, 10
	s_mov_b32 m0, s0
	s_sendmsg sendmsg(MSG_INTERRUPT)
	s_mov_b32 m0, ttmp2
.LBB433_1301:                           ; =>This Inner Loop Header: Depth=1
	s_sethalt 5
	s_branch .LBB433_1301
.LBB433_1302:
	s_or_saveexec_b32 s8, s8
                                        ; implicit-def: $sgpr9
	s_delay_alu instid0(SALU_CYCLE_1)
	s_xor_b32 exec_lo, exec_lo, s8
	s_cbranch_execz .LBB433_983
.LBB433_1303:
	v_add_f32_e64 v3, 0x42800000, |v0|
	s_and_not1_b32 s7, s7, exec_lo
	s_mov_b32 s9, 0
	s_delay_alu instid0(VALU_DEP_1) | instskip(NEXT) | instid1(VALU_DEP_1)
	v_and_b32_e32 v3, 0xff, v3
	v_cmp_ne_u32_e32 vcc_lo, 0, v3
	s_and_b32 s10, vcc_lo, exec_lo
	s_delay_alu instid0(SALU_CYCLE_1)
	s_or_b32 s7, s7, s10
	s_or_b32 exec_lo, exec_lo, s8
	v_mov_b32_e32 v6, s9
	s_and_saveexec_b32 s8, s7
	s_cbranch_execnz .LBB433_984
	s_branch .LBB433_985
.LBB433_1304:
	s_mov_b32 s2, -1
.LBB433_1305:
                                        ; implicit-def: $vgpr8
.LBB433_1306:
	s_and_b32 vcc_lo, exec_lo, s11
	s_cbranch_vccz .LBB433_1310
; %bb.1307:
	v_cmp_eq_u16_e32 vcc_lo, 44, v13
	s_cbranch_vccz .LBB433_1309
; %bb.1308:
	global_load_u8 v8, v[6:7], off
	s_mov_b32 s2, 0
	s_mov_b32 s10, -1
	s_waitcnt vmcnt(0)
	v_lshlrev_b32_e32 v9, 23, v8
	v_cmp_ne_u32_e32 vcc_lo, 0, v8
	s_delay_alu instid0(VALU_DEP_2) | instskip(NEXT) | instid1(VALU_DEP_1)
	v_cvt_i32_f32_e32 v9, v9
	v_cndmask_b32_e32 v8, 0, v9, vcc_lo
	s_branch .LBB433_1310
.LBB433_1309:
	s_mov_b32 s2, -1
                                        ; implicit-def: $vgpr8
.LBB433_1310:
	s_mov_b32 s11, 0
.LBB433_1311:
	s_delay_alu instid0(SALU_CYCLE_1)
	s_and_b32 vcc_lo, exec_lo, s11
	s_cbranch_vccz .LBB433_1315
; %bb.1312:
	v_cmp_eq_u16_e32 vcc_lo, 29, v13
	s_cbranch_vccz .LBB433_1314
; %bb.1313:
	global_load_b64 v[8:9], v[6:7], off
	s_mov_b32 s2, 0
	s_mov_b32 s10, -1
	s_branch .LBB433_1315
.LBB433_1314:
	s_mov_b32 s2, -1
                                        ; implicit-def: $vgpr8
.LBB433_1315:
	s_mov_b32 s11, 0
.LBB433_1316:
	s_delay_alu instid0(SALU_CYCLE_1)
	s_and_b32 vcc_lo, exec_lo, s11
	s_cbranch_vccz .LBB433_1332
; %bb.1317:
	v_cmp_gt_i16_e32 vcc_lo, 27, v13
	s_cbranch_vccnz .LBB433_1320
; %bb.1318:
	v_cmp_lt_i16_e32 vcc_lo, 27, v13
	s_cbranch_vccz .LBB433_1321
; %bb.1319:
	global_load_b32 v8, v[6:7], off
	s_mov_b32 s10, 0
	s_branch .LBB433_1322
.LBB433_1320:
	s_mov_b32 s10, -1
                                        ; implicit-def: $vgpr8
	s_branch .LBB433_1325
.LBB433_1321:
	s_mov_b32 s10, -1
                                        ; implicit-def: $vgpr8
.LBB433_1322:
	s_delay_alu instid0(SALU_CYCLE_1)
	s_and_not1_b32 vcc_lo, exec_lo, s10
	s_cbranch_vccnz .LBB433_1324
; %bb.1323:
	global_load_u16 v8, v[6:7], off
.LBB433_1324:
	s_mov_b32 s10, 0
.LBB433_1325:
	s_delay_alu instid0(SALU_CYCLE_1)
	s_and_not1_b32 vcc_lo, exec_lo, s10
	s_cbranch_vccnz .LBB433_1331
; %bb.1326:
	global_load_u8 v9, v[6:7], off
	s_mov_b32 s10, 0
	s_mov_b32 s11, exec_lo
                                        ; implicit-def: $sgpr12
	s_waitcnt vmcnt(0)
	v_cmpx_lt_i16_e32 0x7f, v9
	s_xor_b32 s11, exec_lo, s11
	s_cbranch_execz .LBB433_1342
; %bb.1327:
	v_cmp_ne_u16_e32 vcc_lo, 0x80, v9
	s_mov_b32 s12, 0
	s_and_b32 s10, vcc_lo, exec_lo
	s_or_saveexec_b32 s11, s11
	v_mov_b32_e32 v8, s12
	s_xor_b32 exec_lo, exec_lo, s11
	s_cbranch_execnz .LBB433_1343
.LBB433_1328:
	s_or_b32 exec_lo, exec_lo, s11
	s_and_saveexec_b32 s11, s10
	s_cbranch_execz .LBB433_1330
.LBB433_1329:
	v_and_b32_e32 v8, 0xffff, v9
	s_delay_alu instid0(VALU_DEP_1) | instskip(NEXT) | instid1(VALU_DEP_1)
	v_and_b32_e32 v11, 7, v8
	v_clz_i32_u32_e32 v12, v11
	s_delay_alu instid0(VALU_DEP_1) | instskip(NEXT) | instid1(VALU_DEP_1)
	v_min_u32_e32 v12, 32, v12
	v_subrev_nc_u32_e32 v14, 28, v12
	v_sub_nc_u32_e32 v12, 29, v12
	s_delay_alu instid0(VALU_DEP_2) | instskip(SKIP_1) | instid1(VALU_DEP_2)
	v_lshlrev_b32_e32 v14, v14, v8
	v_bfe_u32 v8, v8, 3, 4
	v_and_b32_e32 v14, 7, v14
	s_delay_alu instid0(VALU_DEP_2) | instskip(SKIP_1) | instid1(VALU_DEP_3)
	v_cmp_eq_u32_e32 vcc_lo, 0, v8
	v_dual_cndmask_b32 v8, v8, v12 :: v_dual_lshlrev_b32 v9, 24, v9
	v_cndmask_b32_e32 v11, v11, v14, vcc_lo
	s_delay_alu instid0(VALU_DEP_2) | instskip(NEXT) | instid1(VALU_DEP_3)
	v_and_b32_e32 v9, 0x80000000, v9
	v_lshl_add_u32 v8, v8, 23, 0x3b800000
	s_delay_alu instid0(VALU_DEP_3) | instskip(NEXT) | instid1(VALU_DEP_1)
	v_lshlrev_b32_e32 v11, 20, v11
	v_or3_b32 v8, v9, v8, v11
	s_delay_alu instid0(VALU_DEP_1)
	v_cvt_i32_f32_e32 v8, v8
.LBB433_1330:
	s_or_b32 exec_lo, exec_lo, s11
.LBB433_1331:
	s_mov_b32 s10, -1
.LBB433_1332:
	s_branch .LBB433_1363
.LBB433_1333:
	v_cmp_lt_i16_e32 vcc_lo, 22, v13
	s_cbranch_vccz .LBB433_1341
; %bb.1334:
	v_cmp_gt_i16_e32 vcc_lo, 24, v13
	s_cbranch_vccnz .LBB433_1344
; %bb.1335:
	v_cmp_lt_i16_e32 vcc_lo, 24, v13
	s_cbranch_vccz .LBB433_1345
; %bb.1336:
	global_load_u8 v9, v[6:7], off
	s_mov_b32 s10, exec_lo
                                        ; implicit-def: $sgpr11
	s_waitcnt vmcnt(0)
	v_cmpx_lt_i16_e32 0x7f, v9
	s_xor_b32 s10, exec_lo, s10
	s_cbranch_execz .LBB433_1357
; %bb.1337:
	v_cmp_ne_u16_e32 vcc_lo, 0x80, v9
	s_mov_b32 s11, 0
	s_and_b32 s3, vcc_lo, exec_lo
	s_or_saveexec_b32 s10, s10
	v_mov_b32_e32 v8, s11
	s_xor_b32 exec_lo, exec_lo, s10
	s_cbranch_execnz .LBB433_1358
.LBB433_1338:
	s_or_b32 exec_lo, exec_lo, s10
	s_and_saveexec_b32 s10, s3
	s_cbranch_execz .LBB433_1340
.LBB433_1339:
	v_and_b32_e32 v8, 0xffff, v9
	s_delay_alu instid0(VALU_DEP_1) | instskip(NEXT) | instid1(VALU_DEP_1)
	v_and_b32_e32 v11, 3, v8
	v_clz_i32_u32_e32 v12, v11
	s_delay_alu instid0(VALU_DEP_1) | instskip(NEXT) | instid1(VALU_DEP_1)
	v_min_u32_e32 v12, 32, v12
	v_subrev_nc_u32_e32 v14, 29, v12
	v_sub_nc_u32_e32 v12, 30, v12
	s_delay_alu instid0(VALU_DEP_2) | instskip(SKIP_1) | instid1(VALU_DEP_2)
	v_lshlrev_b32_e32 v14, v14, v8
	v_bfe_u32 v8, v8, 2, 5
	v_and_b32_e32 v14, 3, v14
	s_delay_alu instid0(VALU_DEP_2) | instskip(SKIP_1) | instid1(VALU_DEP_3)
	v_cmp_eq_u32_e32 vcc_lo, 0, v8
	v_dual_cndmask_b32 v8, v8, v12 :: v_dual_lshlrev_b32 v9, 24, v9
	v_cndmask_b32_e32 v11, v11, v14, vcc_lo
	s_delay_alu instid0(VALU_DEP_2) | instskip(NEXT) | instid1(VALU_DEP_3)
	v_and_b32_e32 v9, 0x80000000, v9
	v_lshl_add_u32 v8, v8, 23, 0x37800000
	s_delay_alu instid0(VALU_DEP_3) | instskip(NEXT) | instid1(VALU_DEP_1)
	v_lshlrev_b32_e32 v11, 21, v11
	v_or3_b32 v8, v9, v8, v11
	s_delay_alu instid0(VALU_DEP_1)
	v_cvt_i32_f32_e32 v8, v8
.LBB433_1340:
	s_or_b32 exec_lo, exec_lo, s10
	s_mov_b32 s3, 0
	s_branch .LBB433_1346
.LBB433_1341:
	s_mov_b32 s3, -1
                                        ; implicit-def: $vgpr8
	s_branch .LBB433_1352
.LBB433_1342:
	s_or_saveexec_b32 s11, s11
	v_mov_b32_e32 v8, s12
	s_xor_b32 exec_lo, exec_lo, s11
	s_cbranch_execz .LBB433_1328
.LBB433_1343:
	v_cmp_ne_u16_e32 vcc_lo, 0, v9
	v_mov_b32_e32 v8, 0
	s_and_not1_b32 s10, s10, exec_lo
	s_and_b32 s12, vcc_lo, exec_lo
	s_delay_alu instid0(SALU_CYCLE_1)
	s_or_b32 s10, s10, s12
	s_or_b32 exec_lo, exec_lo, s11
	s_and_saveexec_b32 s11, s10
	s_cbranch_execnz .LBB433_1329
	s_branch .LBB433_1330
.LBB433_1344:
	s_mov_b32 s3, -1
                                        ; implicit-def: $vgpr8
	s_branch .LBB433_1349
.LBB433_1345:
	s_mov_b32 s3, -1
                                        ; implicit-def: $vgpr8
.LBB433_1346:
	s_delay_alu instid0(SALU_CYCLE_1)
	s_and_b32 vcc_lo, exec_lo, s3
	s_cbranch_vccz .LBB433_1348
; %bb.1347:
	global_load_u8 v8, v[6:7], off
	s_waitcnt vmcnt(0)
	v_lshlrev_b32_e32 v8, 24, v8
	s_delay_alu instid0(VALU_DEP_1) | instskip(NEXT) | instid1(VALU_DEP_1)
	v_and_b32_e32 v9, 0x7f000000, v8
	v_clz_i32_u32_e32 v11, v9
	v_add_nc_u32_e32 v14, 0x1000000, v9
	v_cmp_ne_u32_e32 vcc_lo, 0, v9
	s_delay_alu instid0(VALU_DEP_3) | instskip(NEXT) | instid1(VALU_DEP_1)
	v_min_u32_e32 v11, 32, v11
	v_sub_nc_u32_e64 v11, v11, 4 clamp
	s_delay_alu instid0(VALU_DEP_1) | instskip(SKIP_1) | instid1(VALU_DEP_2)
	v_lshlrev_b32_e32 v12, v11, v9
	v_lshlrev_b32_e32 v11, 23, v11
	v_lshrrev_b32_e32 v12, 4, v12
	s_delay_alu instid0(VALU_DEP_1) | instskip(SKIP_1) | instid1(VALU_DEP_2)
	v_sub_nc_u32_e32 v11, v12, v11
	v_ashrrev_i32_e32 v12, 8, v14
	v_add_nc_u32_e32 v11, 0x3c000000, v11
	s_delay_alu instid0(VALU_DEP_1) | instskip(NEXT) | instid1(VALU_DEP_1)
	v_and_or_b32 v11, 0x7f800000, v12, v11
	v_cndmask_b32_e32 v9, 0, v11, vcc_lo
	s_delay_alu instid0(VALU_DEP_1) | instskip(NEXT) | instid1(VALU_DEP_1)
	v_and_or_b32 v8, 0x80000000, v8, v9
	v_cvt_i32_f32_e32 v8, v8
.LBB433_1348:
	s_mov_b32 s3, 0
.LBB433_1349:
	s_delay_alu instid0(SALU_CYCLE_1)
	s_and_not1_b32 vcc_lo, exec_lo, s3
	s_cbranch_vccnz .LBB433_1351
; %bb.1350:
	global_load_u8 v8, v[6:7], off
	s_waitcnt vmcnt(0)
	v_lshlrev_b32_e32 v9, 25, v8
	v_lshlrev_b16 v8, 8, v8
	s_delay_alu instid0(VALU_DEP_2) | instskip(NEXT) | instid1(VALU_DEP_2)
	v_lshrrev_b32_e32 v11, 4, v9
	v_and_or_b32 v12, 0x7f00, v8, 0.5
	v_cmp_gt_u32_e32 vcc_lo, 0x8000000, v9
	v_bfe_i32 v8, v8, 0, 16
	s_delay_alu instid0(VALU_DEP_4) | instskip(NEXT) | instid1(VALU_DEP_1)
	v_or_b32_e32 v11, 0x70000000, v11
	v_dual_add_f32 v12, -0.5, v12 :: v_dual_mul_f32 v11, 0x7800000, v11
	s_delay_alu instid0(VALU_DEP_1) | instskip(NEXT) | instid1(VALU_DEP_1)
	v_cndmask_b32_e32 v9, v11, v12, vcc_lo
	v_and_or_b32 v8, 0x80000000, v8, v9
	s_delay_alu instid0(VALU_DEP_1)
	v_cvt_i32_f32_e32 v8, v8
.LBB433_1351:
	s_mov_b32 s3, 0
	s_mov_b32 s10, -1
.LBB433_1352:
	s_and_not1_b32 vcc_lo, exec_lo, s3
	s_mov_b32 s3, 0
	s_cbranch_vccnz .LBB433_1363
; %bb.1353:
	v_cmp_lt_i16_e32 vcc_lo, 14, v13
	s_cbranch_vccz .LBB433_1356
; %bb.1354:
	v_cmp_eq_u16_e32 vcc_lo, 15, v13
	s_cbranch_vccz .LBB433_1359
; %bb.1355:
	global_load_u16 v8, v[6:7], off
	s_mov_b32 s2, 0
	s_mov_b32 s10, -1
	s_waitcnt vmcnt(0)
	v_lshlrev_b32_e32 v8, 16, v8
	s_delay_alu instid0(VALU_DEP_1)
	v_cvt_i32_f32_e32 v8, v8
	s_branch .LBB433_1361
.LBB433_1356:
	s_mov_b32 s3, -1
	s_branch .LBB433_1360
.LBB433_1357:
	s_or_saveexec_b32 s10, s10
	v_mov_b32_e32 v8, s11
	s_xor_b32 exec_lo, exec_lo, s10
	s_cbranch_execz .LBB433_1338
.LBB433_1358:
	v_cmp_ne_u16_e32 vcc_lo, 0, v9
	v_mov_b32_e32 v8, 0
	s_and_not1_b32 s3, s3, exec_lo
	s_and_b32 s11, vcc_lo, exec_lo
	s_delay_alu instid0(SALU_CYCLE_1)
	s_or_b32 s3, s3, s11
	s_or_b32 exec_lo, exec_lo, s10
	s_and_saveexec_b32 s10, s3
	s_cbranch_execnz .LBB433_1339
	s_branch .LBB433_1340
.LBB433_1359:
	s_mov_b32 s2, -1
.LBB433_1360:
                                        ; implicit-def: $vgpr8
.LBB433_1361:
	s_and_b32 vcc_lo, exec_lo, s3
	s_mov_b32 s3, 0
	s_cbranch_vccz .LBB433_1363
; %bb.1362:
	v_cmp_ne_u16_e64 s2, 11, v13
	s_mov_b32 s3, -1
                                        ; implicit-def: $vgpr8
.LBB433_1363:
	s_delay_alu instid0(VALU_DEP_1)
	s_and_b32 vcc_lo, exec_lo, s2
	s_cbranch_vccnz .LBB433_1387
; %bb.1364:
	s_and_not1_b32 vcc_lo, exec_lo, s3
	s_cbranch_vccnz .LBB433_1366
.LBB433_1365:
	global_load_u8 v8, v[6:7], off
	s_mov_b32 s10, -1
	s_waitcnt vmcnt(0)
	v_cmp_ne_u16_e32 vcc_lo, 0, v8
	v_cndmask_b32_e64 v8, 0, 1, vcc_lo
.LBB433_1366:
.LBB433_1367:
	s_and_not1_b32 vcc_lo, exec_lo, s10
	s_cbranch_vccnz .LBB433_2057
.LBB433_1368:
	v_cmp_gt_i16_e32 vcc_lo, 11, v13
	s_waitcnt vmcnt(0)
	v_add_co_u32 v11, s2, s6, v5
	s_delay_alu instid0(VALU_DEP_1)
	v_add_co_ci_u32_e64 v12, null, s7, 0, s2
	s_mov_b32 s10, 0
	s_cbranch_vccnz .LBB433_1375
; %bb.1369:
	v_cmp_lt_i16_e32 vcc_lo, 25, v13
	s_mov_b32 s3, 0
	s_cbranch_vccz .LBB433_1381
; %bb.1370:
	v_cmp_lt_i16_e32 vcc_lo, 28, v13
	s_cbranch_vccz .LBB433_1383
; %bb.1371:
	v_cmp_lt_i16_e32 vcc_lo, 43, v13
	;; [unrolled: 3-line block ×3, first 2 shown]
	s_cbranch_vccz .LBB433_1389
; %bb.1373:
	v_cmp_eq_u16_e32 vcc_lo, 46, v13
	s_mov_b32 s11, 0
	s_cbranch_vccz .LBB433_1432
; %bb.1374:
	global_load_b32 v5, v[11:12], off
	s_mov_b32 s2, 0
	s_mov_b32 s10, -1
	s_waitcnt vmcnt(0)
	v_lshlrev_b32_e32 v5, 16, v5
	s_delay_alu instid0(VALU_DEP_1)
	v_cvt_i32_f32_e32 v6, v5
	s_branch .LBB433_1434
.LBB433_1375:
                                        ; implicit-def: $vgpr6
	s_cbranch_execz .LBB433_1496
; %bb.1376:
	v_cmp_gt_i16_e32 vcc_lo, 5, v13
	s_cbranch_vccnz .LBB433_1382
; %bb.1377:
	v_cmp_gt_i16_e32 vcc_lo, 8, v13
	s_cbranch_vccnz .LBB433_1384
	;; [unrolled: 3-line block ×3, first 2 shown]
; %bb.1379:
	v_cmp_lt_i16_e32 vcc_lo, 9, v13
	s_cbranch_vccz .LBB433_1390
; %bb.1380:
	global_load_b64 v[5:6], v[11:12], off
	s_mov_b32 s2, 0
	s_waitcnt vmcnt(0)
	v_cvt_i32_f64_e32 v6, v[5:6]
	s_branch .LBB433_1391
.LBB433_1381:
	s_mov_b32 s11, -1
	s_mov_b32 s2, 0
                                        ; implicit-def: $vgpr6
	s_branch .LBB433_1461
.LBB433_1382:
	s_mov_b32 s2, -1
                                        ; implicit-def: $vgpr6
	s_branch .LBB433_1409
.LBB433_1383:
	s_mov_b32 s11, -1
	s_mov_b32 s2, 0
                                        ; implicit-def: $vgpr6
	s_branch .LBB433_1444
.LBB433_1384:
	s_mov_b32 s2, -1
                                        ; implicit-def: $vgpr6
	s_branch .LBB433_1397
.LBB433_1385:
	s_mov_b32 s11, -1
	s_mov_b32 s2, 0
                                        ; implicit-def: $vgpr6
	s_branch .LBB433_1439
.LBB433_1386:
	s_mov_b32 s2, -1
                                        ; implicit-def: $vgpr6
	s_branch .LBB433_1394
.LBB433_1387:
	s_cbranch_execnz .LBB433_1430
; %bb.1388:
	s_or_b32 s1, s1, exec_lo
                                        ; implicit-def: $vgpr8
	s_cbranch_execz .LBB433_1365
	s_branch .LBB433_1366
.LBB433_1389:
	s_mov_b32 s11, -1
	s_mov_b32 s2, 0
	s_branch .LBB433_1433
.LBB433_1390:
	s_mov_b32 s2, -1
                                        ; implicit-def: $vgpr6
.LBB433_1391:
	s_delay_alu instid0(SALU_CYCLE_1)
	s_and_not1_b32 vcc_lo, exec_lo, s2
	s_cbranch_vccnz .LBB433_1393
; %bb.1392:
	global_load_b32 v5, v[11:12], off
	s_waitcnt vmcnt(0)
	v_cvt_i32_f32_e32 v6, v5
.LBB433_1393:
	s_mov_b32 s2, 0
.LBB433_1394:
	s_delay_alu instid0(SALU_CYCLE_1)
	s_and_not1_b32 vcc_lo, exec_lo, s2
	s_cbranch_vccnz .LBB433_1396
; %bb.1395:
	global_load_b32 v5, v[11:12], off
	s_waitcnt vmcnt(0)
	v_cvt_i16_f16_e32 v6, v5
.LBB433_1396:
	s_mov_b32 s2, 0
.LBB433_1397:
	s_delay_alu instid0(SALU_CYCLE_1)
	s_and_not1_b32 vcc_lo, exec_lo, s2
	s_cbranch_vccnz .LBB433_1408
; %bb.1398:
	v_cmp_gt_i16_e32 vcc_lo, 6, v13
	s_cbranch_vccnz .LBB433_1401
; %bb.1399:
	v_cmp_lt_i16_e32 vcc_lo, 6, v13
	s_cbranch_vccz .LBB433_1402
; %bb.1400:
	global_load_b64 v[5:6], v[11:12], off
	s_mov_b32 s2, 0
	s_waitcnt vmcnt(0)
	v_cvt_i32_f64_e32 v6, v[5:6]
	s_branch .LBB433_1403
.LBB433_1401:
	s_mov_b32 s2, -1
                                        ; implicit-def: $vgpr6
	s_branch .LBB433_1406
.LBB433_1402:
	s_mov_b32 s2, -1
                                        ; implicit-def: $vgpr6
.LBB433_1403:
	s_delay_alu instid0(SALU_CYCLE_1)
	s_and_not1_b32 vcc_lo, exec_lo, s2
	s_cbranch_vccnz .LBB433_1405
; %bb.1404:
	global_load_b32 v5, v[11:12], off
	s_waitcnt vmcnt(0)
	v_cvt_i32_f32_e32 v6, v5
.LBB433_1405:
	s_mov_b32 s2, 0
.LBB433_1406:
	s_delay_alu instid0(SALU_CYCLE_1)
	s_and_not1_b32 vcc_lo, exec_lo, s2
	s_cbranch_vccnz .LBB433_1408
; %bb.1407:
	global_load_u16 v5, v[11:12], off
	s_waitcnt vmcnt(0)
	v_cvt_i16_f16_e32 v6, v5
.LBB433_1408:
	s_mov_b32 s2, 0
.LBB433_1409:
	s_delay_alu instid0(SALU_CYCLE_1)
	s_and_not1_b32 vcc_lo, exec_lo, s2
	s_cbranch_vccnz .LBB433_1429
; %bb.1410:
	v_cmp_gt_i16_e32 vcc_lo, 2, v13
	s_cbranch_vccnz .LBB433_1414
; %bb.1411:
	v_cmp_gt_i16_e32 vcc_lo, 3, v13
	s_cbranch_vccnz .LBB433_1415
; %bb.1412:
	v_cmp_lt_i16_e32 vcc_lo, 3, v13
	s_cbranch_vccz .LBB433_1416
; %bb.1413:
	global_load_b64 v[6:7], v[11:12], off
	s_mov_b32 s2, 0
	s_branch .LBB433_1417
.LBB433_1414:
	s_mov_b32 s2, -1
                                        ; implicit-def: $vgpr6
	s_branch .LBB433_1423
.LBB433_1415:
	s_mov_b32 s2, -1
                                        ; implicit-def: $vgpr6
	s_branch .LBB433_1420
.LBB433_1416:
	s_mov_b32 s2, -1
                                        ; implicit-def: $vgpr6
.LBB433_1417:
	s_delay_alu instid0(SALU_CYCLE_1)
	s_and_not1_b32 vcc_lo, exec_lo, s2
	s_cbranch_vccnz .LBB433_1419
; %bb.1418:
	global_load_b32 v6, v[11:12], off
.LBB433_1419:
	s_mov_b32 s2, 0
.LBB433_1420:
	s_delay_alu instid0(SALU_CYCLE_1)
	s_and_not1_b32 vcc_lo, exec_lo, s2
	s_cbranch_vccnz .LBB433_1422
; %bb.1421:
	global_load_u16 v6, v[11:12], off
.LBB433_1422:
	s_mov_b32 s2, 0
.LBB433_1423:
	s_delay_alu instid0(SALU_CYCLE_1)
	s_and_not1_b32 vcc_lo, exec_lo, s2
	s_cbranch_vccnz .LBB433_1429
; %bb.1424:
	v_cmp_lt_i16_e32 vcc_lo, 0, v13
	s_mov_b32 s2, 0
	s_cbranch_vccz .LBB433_1426
; %bb.1425:
	global_load_u8 v6, v[11:12], off
	s_branch .LBB433_1427
.LBB433_1426:
	s_mov_b32 s2, -1
                                        ; implicit-def: $vgpr6
.LBB433_1427:
	s_delay_alu instid0(SALU_CYCLE_1)
	s_and_not1_b32 vcc_lo, exec_lo, s2
	s_cbranch_vccnz .LBB433_1429
; %bb.1428:
	global_load_u8 v6, v[11:12], off
.LBB433_1429:
	s_branch .LBB433_1497
.LBB433_1430:
	s_trap 2
	s_sendmsg_rtn_b32 s0, sendmsg(MSG_RTN_GET_DOORBELL)
	s_mov_b32 ttmp2, m0
	s_waitcnt lgkmcnt(0)
	s_and_b32 s0, s0, 0x3ff
	s_delay_alu instid0(SALU_CYCLE_1) | instskip(NEXT) | instid1(SALU_CYCLE_1)
	s_bitset1_b32 s0, 10
	s_mov_b32 m0, s0
	s_sendmsg sendmsg(MSG_INTERRUPT)
	s_mov_b32 m0, ttmp2
.LBB433_1431:                           ; =>This Inner Loop Header: Depth=1
	s_sethalt 5
	s_branch .LBB433_1431
.LBB433_1432:
	s_mov_b32 s2, -1
.LBB433_1433:
                                        ; implicit-def: $vgpr6
.LBB433_1434:
	s_and_b32 vcc_lo, exec_lo, s11
	s_cbranch_vccz .LBB433_1438
; %bb.1435:
	v_cmp_eq_u16_e32 vcc_lo, 44, v13
	s_cbranch_vccz .LBB433_1437
; %bb.1436:
	global_load_u8 v5, v[11:12], off
	s_mov_b32 s2, 0
	s_mov_b32 s10, -1
	s_waitcnt vmcnt(0)
	v_lshlrev_b32_e32 v6, 23, v5
	v_cmp_ne_u32_e32 vcc_lo, 0, v5
	s_delay_alu instid0(VALU_DEP_2) | instskip(NEXT) | instid1(VALU_DEP_1)
	v_cvt_i32_f32_e32 v6, v6
	v_cndmask_b32_e32 v6, 0, v6, vcc_lo
	s_branch .LBB433_1438
.LBB433_1437:
	s_mov_b32 s2, -1
                                        ; implicit-def: $vgpr6
.LBB433_1438:
	s_mov_b32 s11, 0
.LBB433_1439:
	s_delay_alu instid0(SALU_CYCLE_1)
	s_and_b32 vcc_lo, exec_lo, s11
	s_cbranch_vccz .LBB433_1443
; %bb.1440:
	v_cmp_eq_u16_e32 vcc_lo, 29, v13
	s_cbranch_vccz .LBB433_1442
; %bb.1441:
	global_load_b64 v[6:7], v[11:12], off
	s_mov_b32 s2, 0
	s_mov_b32 s10, -1
	s_branch .LBB433_1443
.LBB433_1442:
	s_mov_b32 s2, -1
                                        ; implicit-def: $vgpr6
.LBB433_1443:
	s_mov_b32 s11, 0
.LBB433_1444:
	s_delay_alu instid0(SALU_CYCLE_1)
	s_and_b32 vcc_lo, exec_lo, s11
	s_cbranch_vccz .LBB433_1460
; %bb.1445:
	v_cmp_gt_i16_e32 vcc_lo, 27, v13
	s_cbranch_vccnz .LBB433_1448
; %bb.1446:
	v_cmp_lt_i16_e32 vcc_lo, 27, v13
	s_cbranch_vccz .LBB433_1449
; %bb.1447:
	global_load_b32 v6, v[11:12], off
	s_mov_b32 s10, 0
	s_branch .LBB433_1450
.LBB433_1448:
	s_mov_b32 s10, -1
                                        ; implicit-def: $vgpr6
	s_branch .LBB433_1453
.LBB433_1449:
	s_mov_b32 s10, -1
                                        ; implicit-def: $vgpr6
.LBB433_1450:
	s_delay_alu instid0(SALU_CYCLE_1)
	s_and_not1_b32 vcc_lo, exec_lo, s10
	s_cbranch_vccnz .LBB433_1452
; %bb.1451:
	global_load_u16 v6, v[11:12], off
.LBB433_1452:
	s_mov_b32 s10, 0
.LBB433_1453:
	s_delay_alu instid0(SALU_CYCLE_1)
	s_and_not1_b32 vcc_lo, exec_lo, s10
	s_cbranch_vccnz .LBB433_1459
; %bb.1454:
	global_load_u8 v5, v[11:12], off
	s_mov_b32 s10, 0
	s_mov_b32 s11, exec_lo
                                        ; implicit-def: $sgpr12
	s_waitcnt vmcnt(0)
	v_cmpx_lt_i16_e32 0x7f, v5
	s_xor_b32 s11, exec_lo, s11
	s_cbranch_execz .LBB433_1471
; %bb.1455:
	v_cmp_ne_u16_e32 vcc_lo, 0x80, v5
	s_mov_b32 s12, 0
	s_and_b32 s10, vcc_lo, exec_lo
	s_or_saveexec_b32 s11, s11
	v_mov_b32_e32 v6, s12
	s_xor_b32 exec_lo, exec_lo, s11
	s_cbranch_execnz .LBB433_1472
.LBB433_1456:
	s_or_b32 exec_lo, exec_lo, s11
	s_and_saveexec_b32 s11, s10
	s_cbranch_execz .LBB433_1458
.LBB433_1457:
	v_and_b32_e32 v6, 0xffff, v5
	v_lshlrev_b32_e32 v5, 24, v5
	s_delay_alu instid0(VALU_DEP_2) | instskip(NEXT) | instid1(VALU_DEP_2)
	v_and_b32_e32 v7, 7, v6
	v_and_b32_e32 v5, 0x80000000, v5
	s_delay_alu instid0(VALU_DEP_2) | instskip(NEXT) | instid1(VALU_DEP_1)
	v_clz_i32_u32_e32 v9, v7
	v_min_u32_e32 v9, 32, v9
	s_delay_alu instid0(VALU_DEP_1) | instskip(SKIP_1) | instid1(VALU_DEP_2)
	v_subrev_nc_u32_e32 v14, 28, v9
	v_sub_nc_u32_e32 v9, 29, v9
	v_lshlrev_b32_e32 v14, v14, v6
	v_bfe_u32 v6, v6, 3, 4
	s_delay_alu instid0(VALU_DEP_2) | instskip(NEXT) | instid1(VALU_DEP_2)
	v_and_b32_e32 v14, 7, v14
	v_cmp_eq_u32_e32 vcc_lo, 0, v6
	s_delay_alu instid0(VALU_DEP_2) | instskip(NEXT) | instid1(VALU_DEP_1)
	v_dual_cndmask_b32 v6, v6, v9 :: v_dual_cndmask_b32 v7, v7, v14
	v_lshl_add_u32 v6, v6, 23, 0x3b800000
	s_delay_alu instid0(VALU_DEP_2) | instskip(NEXT) | instid1(VALU_DEP_1)
	v_lshlrev_b32_e32 v7, 20, v7
	v_or3_b32 v5, v5, v6, v7
	s_delay_alu instid0(VALU_DEP_1)
	v_cvt_i32_f32_e32 v6, v5
.LBB433_1458:
	s_or_b32 exec_lo, exec_lo, s11
.LBB433_1459:
	s_mov_b32 s10, -1
.LBB433_1460:
	s_mov_b32 s11, 0
.LBB433_1461:
	s_delay_alu instid0(SALU_CYCLE_1)
	s_and_b32 vcc_lo, exec_lo, s11
	s_cbranch_vccz .LBB433_1492
; %bb.1462:
	v_cmp_lt_i16_e32 vcc_lo, 22, v13
	s_cbranch_vccz .LBB433_1470
; %bb.1463:
	v_cmp_gt_i16_e32 vcc_lo, 24, v13
	s_cbranch_vccnz .LBB433_1473
; %bb.1464:
	v_cmp_lt_i16_e32 vcc_lo, 24, v13
	s_cbranch_vccz .LBB433_1474
; %bb.1465:
	global_load_u8 v5, v[11:12], off
	s_mov_b32 s10, exec_lo
                                        ; implicit-def: $sgpr11
	s_waitcnt vmcnt(0)
	v_cmpx_lt_i16_e32 0x7f, v5
	s_xor_b32 s10, exec_lo, s10
	s_cbranch_execz .LBB433_1486
; %bb.1466:
	v_cmp_ne_u16_e32 vcc_lo, 0x80, v5
	s_mov_b32 s11, 0
	s_and_b32 s3, vcc_lo, exec_lo
	s_or_saveexec_b32 s10, s10
	v_mov_b32_e32 v6, s11
	s_xor_b32 exec_lo, exec_lo, s10
	s_cbranch_execnz .LBB433_1487
.LBB433_1467:
	s_or_b32 exec_lo, exec_lo, s10
	s_and_saveexec_b32 s10, s3
	s_cbranch_execz .LBB433_1469
.LBB433_1468:
	v_and_b32_e32 v6, 0xffff, v5
	v_lshlrev_b32_e32 v5, 24, v5
	s_delay_alu instid0(VALU_DEP_2) | instskip(NEXT) | instid1(VALU_DEP_2)
	v_and_b32_e32 v7, 3, v6
	v_and_b32_e32 v5, 0x80000000, v5
	s_delay_alu instid0(VALU_DEP_2) | instskip(NEXT) | instid1(VALU_DEP_1)
	v_clz_i32_u32_e32 v9, v7
	v_min_u32_e32 v9, 32, v9
	s_delay_alu instid0(VALU_DEP_1) | instskip(SKIP_1) | instid1(VALU_DEP_2)
	v_subrev_nc_u32_e32 v14, 29, v9
	v_sub_nc_u32_e32 v9, 30, v9
	v_lshlrev_b32_e32 v14, v14, v6
	v_bfe_u32 v6, v6, 2, 5
	s_delay_alu instid0(VALU_DEP_2) | instskip(NEXT) | instid1(VALU_DEP_2)
	v_and_b32_e32 v14, 3, v14
	v_cmp_eq_u32_e32 vcc_lo, 0, v6
	s_delay_alu instid0(VALU_DEP_2) | instskip(NEXT) | instid1(VALU_DEP_1)
	v_dual_cndmask_b32 v6, v6, v9 :: v_dual_cndmask_b32 v7, v7, v14
	v_lshl_add_u32 v6, v6, 23, 0x37800000
	s_delay_alu instid0(VALU_DEP_2) | instskip(NEXT) | instid1(VALU_DEP_1)
	v_lshlrev_b32_e32 v7, 21, v7
	v_or3_b32 v5, v5, v6, v7
	s_delay_alu instid0(VALU_DEP_1)
	v_cvt_i32_f32_e32 v6, v5
.LBB433_1469:
	s_or_b32 exec_lo, exec_lo, s10
	s_mov_b32 s3, 0
	s_branch .LBB433_1475
.LBB433_1470:
	s_mov_b32 s3, -1
                                        ; implicit-def: $vgpr6
	s_branch .LBB433_1481
.LBB433_1471:
	s_or_saveexec_b32 s11, s11
	v_mov_b32_e32 v6, s12
	s_xor_b32 exec_lo, exec_lo, s11
	s_cbranch_execz .LBB433_1456
.LBB433_1472:
	v_cmp_ne_u16_e32 vcc_lo, 0, v5
	v_mov_b32_e32 v6, 0
	s_and_not1_b32 s10, s10, exec_lo
	s_and_b32 s12, vcc_lo, exec_lo
	s_delay_alu instid0(SALU_CYCLE_1)
	s_or_b32 s10, s10, s12
	s_or_b32 exec_lo, exec_lo, s11
	s_and_saveexec_b32 s11, s10
	s_cbranch_execnz .LBB433_1457
	s_branch .LBB433_1458
.LBB433_1473:
	s_mov_b32 s3, -1
                                        ; implicit-def: $vgpr6
	s_branch .LBB433_1478
.LBB433_1474:
	s_mov_b32 s3, -1
                                        ; implicit-def: $vgpr6
.LBB433_1475:
	s_delay_alu instid0(SALU_CYCLE_1)
	s_and_b32 vcc_lo, exec_lo, s3
	s_cbranch_vccz .LBB433_1477
; %bb.1476:
	global_load_u8 v5, v[11:12], off
	s_waitcnt vmcnt(0)
	v_lshlrev_b32_e32 v5, 24, v5
	s_delay_alu instid0(VALU_DEP_1) | instskip(NEXT) | instid1(VALU_DEP_1)
	v_and_b32_e32 v6, 0x7f000000, v5
	v_clz_i32_u32_e32 v7, v6
	v_add_nc_u32_e32 v14, 0x1000000, v6
	v_cmp_ne_u32_e32 vcc_lo, 0, v6
	s_delay_alu instid0(VALU_DEP_3) | instskip(NEXT) | instid1(VALU_DEP_1)
	v_min_u32_e32 v7, 32, v7
	v_sub_nc_u32_e64 v7, v7, 4 clamp
	s_delay_alu instid0(VALU_DEP_1) | instskip(SKIP_1) | instid1(VALU_DEP_2)
	v_lshlrev_b32_e32 v9, v7, v6
	v_lshlrev_b32_e32 v7, 23, v7
	v_lshrrev_b32_e32 v9, 4, v9
	s_delay_alu instid0(VALU_DEP_1) | instskip(SKIP_1) | instid1(VALU_DEP_2)
	v_sub_nc_u32_e32 v7, v9, v7
	v_ashrrev_i32_e32 v9, 8, v14
	v_add_nc_u32_e32 v7, 0x3c000000, v7
	s_delay_alu instid0(VALU_DEP_1) | instskip(NEXT) | instid1(VALU_DEP_1)
	v_and_or_b32 v7, 0x7f800000, v9, v7
	v_cndmask_b32_e32 v6, 0, v7, vcc_lo
	s_delay_alu instid0(VALU_DEP_1) | instskip(NEXT) | instid1(VALU_DEP_1)
	v_and_or_b32 v5, 0x80000000, v5, v6
	v_cvt_i32_f32_e32 v6, v5
.LBB433_1477:
	s_mov_b32 s3, 0
.LBB433_1478:
	s_delay_alu instid0(SALU_CYCLE_1)
	s_and_not1_b32 vcc_lo, exec_lo, s3
	s_cbranch_vccnz .LBB433_1480
; %bb.1479:
	global_load_u8 v5, v[11:12], off
	s_waitcnt vmcnt(0)
	v_lshlrev_b32_e32 v6, 25, v5
	v_lshlrev_b16 v5, 8, v5
	s_delay_alu instid0(VALU_DEP_2) | instskip(NEXT) | instid1(VALU_DEP_2)
	v_lshrrev_b32_e32 v7, 4, v6
	v_and_or_b32 v9, 0x7f00, v5, 0.5
	v_bfe_i32 v5, v5, 0, 16
	s_delay_alu instid0(VALU_DEP_3) | instskip(NEXT) | instid1(VALU_DEP_3)
	v_or_b32_e32 v7, 0x70000000, v7
	v_add_f32_e32 v9, -0.5, v9
	s_delay_alu instid0(VALU_DEP_2) | instskip(SKIP_1) | instid1(VALU_DEP_2)
	v_mul_f32_e32 v7, 0x7800000, v7
	v_cmp_gt_u32_e32 vcc_lo, 0x8000000, v6
	v_cndmask_b32_e32 v6, v7, v9, vcc_lo
	s_delay_alu instid0(VALU_DEP_1) | instskip(NEXT) | instid1(VALU_DEP_1)
	v_and_or_b32 v5, 0x80000000, v5, v6
	v_cvt_i32_f32_e32 v6, v5
.LBB433_1480:
	s_mov_b32 s3, 0
	s_mov_b32 s10, -1
.LBB433_1481:
	s_and_not1_b32 vcc_lo, exec_lo, s3
	s_mov_b32 s3, 0
	s_cbranch_vccnz .LBB433_1492
; %bb.1482:
	v_cmp_lt_i16_e32 vcc_lo, 14, v13
	s_cbranch_vccz .LBB433_1485
; %bb.1483:
	v_cmp_eq_u16_e32 vcc_lo, 15, v13
	s_cbranch_vccz .LBB433_1488
; %bb.1484:
	global_load_u16 v5, v[11:12], off
	s_mov_b32 s2, 0
	s_mov_b32 s10, -1
	s_waitcnt vmcnt(0)
	v_lshlrev_b32_e32 v5, 16, v5
	s_delay_alu instid0(VALU_DEP_1)
	v_cvt_i32_f32_e32 v6, v5
	s_branch .LBB433_1490
.LBB433_1485:
	s_mov_b32 s3, -1
	s_branch .LBB433_1489
.LBB433_1486:
	s_or_saveexec_b32 s10, s10
	v_mov_b32_e32 v6, s11
	s_xor_b32 exec_lo, exec_lo, s10
	s_cbranch_execz .LBB433_1467
.LBB433_1487:
	v_cmp_ne_u16_e32 vcc_lo, 0, v5
	v_mov_b32_e32 v6, 0
	s_and_not1_b32 s3, s3, exec_lo
	s_and_b32 s11, vcc_lo, exec_lo
	s_delay_alu instid0(SALU_CYCLE_1)
	s_or_b32 s3, s3, s11
	s_or_b32 exec_lo, exec_lo, s10
	s_and_saveexec_b32 s10, s3
	s_cbranch_execnz .LBB433_1468
	s_branch .LBB433_1469
.LBB433_1488:
	s_mov_b32 s2, -1
.LBB433_1489:
                                        ; implicit-def: $vgpr6
.LBB433_1490:
	s_and_b32 vcc_lo, exec_lo, s3
	s_mov_b32 s3, 0
	s_cbranch_vccz .LBB433_1492
; %bb.1491:
	v_cmp_ne_u16_e64 s2, 11, v13
	s_mov_b32 s3, -1
                                        ; implicit-def: $vgpr6
.LBB433_1492:
	s_delay_alu instid0(VALU_DEP_1)
	s_and_b32 vcc_lo, exec_lo, s2
	s_cbranch_vccnz .LBB433_1508
; %bb.1493:
	s_and_not1_b32 vcc_lo, exec_lo, s3
	s_cbranch_vccnz .LBB433_1495
.LBB433_1494:
	global_load_u8 v5, v[11:12], off
	s_mov_b32 s10, -1
	s_waitcnt vmcnt(0)
	v_cmp_ne_u16_e32 vcc_lo, 0, v5
	v_cndmask_b32_e64 v6, 0, 1, vcc_lo
.LBB433_1495:
.LBB433_1496:
	s_and_not1_b32 vcc_lo, exec_lo, s10
	s_cbranch_vccnz .LBB433_2057
.LBB433_1497:
	v_cmp_gt_i16_e32 vcc_lo, 11, v13
	v_add_co_u32 v11, s2, s6, v4
	s_delay_alu instid0(VALU_DEP_1)
	v_add_co_ci_u32_e64 v12, null, s7, 0, s2
	s_mov_b32 s6, 0
	s_cbranch_vccnz .LBB433_1504
; %bb.1498:
	v_cmp_lt_i16_e32 vcc_lo, 25, v13
	s_mov_b32 s3, 0
	s_cbranch_vccz .LBB433_1505
; %bb.1499:
	v_cmp_lt_i16_e32 vcc_lo, 28, v13
	s_cbranch_vccz .LBB433_1506
; %bb.1500:
	v_cmp_lt_i16_e32 vcc_lo, 43, v13
	;; [unrolled: 3-line block ×3, first 2 shown]
	s_cbranch_vccz .LBB433_1510
; %bb.1502:
	v_cmp_eq_u16_e32 vcc_lo, 46, v13
	s_mov_b32 s7, 0
	s_cbranch_vccz .LBB433_1513
; %bb.1503:
	global_load_b32 v4, v[11:12], off
	s_mov_b32 s2, 0
	s_mov_b32 s6, -1
	s_waitcnt vmcnt(0)
	v_lshlrev_b32_e32 v4, 16, v4
	s_delay_alu instid0(VALU_DEP_1)
	v_cvt_i32_f32_e32 v4, v4
	s_branch .LBB433_1515
.LBB433_1504:
	s_mov_b32 s2, -1
                                        ; implicit-def: $vgpr4
	s_branch .LBB433_1577
.LBB433_1505:
	s_mov_b32 s7, -1
	s_mov_b32 s2, 0
                                        ; implicit-def: $vgpr4
	s_branch .LBB433_1542
.LBB433_1506:
	s_mov_b32 s7, -1
	s_mov_b32 s2, 0
                                        ; implicit-def: $vgpr4
	s_branch .LBB433_1525
.LBB433_1507:
	s_mov_b32 s7, -1
	s_mov_b32 s2, 0
                                        ; implicit-def: $vgpr4
	s_branch .LBB433_1520
.LBB433_1508:
	s_cbranch_execnz .LBB433_1511
; %bb.1509:
	s_or_b32 s1, s1, exec_lo
                                        ; implicit-def: $vgpr6
	s_cbranch_execz .LBB433_1494
	s_branch .LBB433_1495
.LBB433_1510:
	s_mov_b32 s7, -1
	s_mov_b32 s2, 0
	s_branch .LBB433_1514
.LBB433_1511:
	s_trap 2
	s_sendmsg_rtn_b32 s0, sendmsg(MSG_RTN_GET_DOORBELL)
	s_mov_b32 ttmp2, m0
	s_waitcnt lgkmcnt(0)
	s_and_b32 s0, s0, 0x3ff
	s_delay_alu instid0(SALU_CYCLE_1) | instskip(NEXT) | instid1(SALU_CYCLE_1)
	s_bitset1_b32 s0, 10
	s_mov_b32 m0, s0
	s_sendmsg sendmsg(MSG_INTERRUPT)
	s_mov_b32 m0, ttmp2
.LBB433_1512:                           ; =>This Inner Loop Header: Depth=1
	s_sethalt 5
	s_branch .LBB433_1512
.LBB433_1513:
	s_mov_b32 s2, -1
.LBB433_1514:
                                        ; implicit-def: $vgpr4
.LBB433_1515:
	s_and_b32 vcc_lo, exec_lo, s7
	s_cbranch_vccz .LBB433_1519
; %bb.1516:
	v_cmp_eq_u16_e32 vcc_lo, 44, v13
	s_cbranch_vccz .LBB433_1518
; %bb.1517:
	global_load_u8 v4, v[11:12], off
	s_mov_b32 s2, 0
	s_mov_b32 s6, -1
	s_waitcnt vmcnt(0)
	v_lshlrev_b32_e32 v5, 23, v4
	v_cmp_ne_u32_e32 vcc_lo, 0, v4
	s_delay_alu instid0(VALU_DEP_2) | instskip(NEXT) | instid1(VALU_DEP_1)
	v_cvt_i32_f32_e32 v5, v5
	v_cndmask_b32_e32 v4, 0, v5, vcc_lo
	s_branch .LBB433_1519
.LBB433_1518:
	s_mov_b32 s2, -1
                                        ; implicit-def: $vgpr4
.LBB433_1519:
	s_mov_b32 s7, 0
.LBB433_1520:
	s_delay_alu instid0(SALU_CYCLE_1)
	s_and_b32 vcc_lo, exec_lo, s7
	s_cbranch_vccz .LBB433_1524
; %bb.1521:
	v_cmp_eq_u16_e32 vcc_lo, 29, v13
	s_cbranch_vccz .LBB433_1523
; %bb.1522:
	global_load_b64 v[4:5], v[11:12], off
	s_mov_b32 s2, 0
	s_mov_b32 s6, -1
	s_branch .LBB433_1524
.LBB433_1523:
	s_mov_b32 s2, -1
                                        ; implicit-def: $vgpr4
.LBB433_1524:
	s_mov_b32 s7, 0
.LBB433_1525:
	s_delay_alu instid0(SALU_CYCLE_1)
	s_and_b32 vcc_lo, exec_lo, s7
	s_cbranch_vccz .LBB433_1541
; %bb.1526:
	v_cmp_gt_i16_e32 vcc_lo, 27, v13
	s_cbranch_vccnz .LBB433_1529
; %bb.1527:
	v_cmp_lt_i16_e32 vcc_lo, 27, v13
	s_cbranch_vccz .LBB433_1530
; %bb.1528:
	global_load_b32 v4, v[11:12], off
	s_mov_b32 s6, 0
	s_branch .LBB433_1531
.LBB433_1529:
	s_mov_b32 s6, -1
                                        ; implicit-def: $vgpr4
	s_branch .LBB433_1534
.LBB433_1530:
	s_mov_b32 s6, -1
                                        ; implicit-def: $vgpr4
.LBB433_1531:
	s_delay_alu instid0(SALU_CYCLE_1)
	s_and_not1_b32 vcc_lo, exec_lo, s6
	s_cbranch_vccnz .LBB433_1533
; %bb.1532:
	global_load_u16 v4, v[11:12], off
.LBB433_1533:
	s_mov_b32 s6, 0
.LBB433_1534:
	s_delay_alu instid0(SALU_CYCLE_1)
	s_and_not1_b32 vcc_lo, exec_lo, s6
	s_cbranch_vccnz .LBB433_1540
; %bb.1535:
	global_load_u8 v5, v[11:12], off
	s_mov_b32 s6, 0
	s_mov_b32 s7, exec_lo
                                        ; implicit-def: $sgpr10
	s_waitcnt vmcnt(0)
	v_cmpx_lt_i16_e32 0x7f, v5
	s_xor_b32 s7, exec_lo, s7
	s_cbranch_execz .LBB433_1552
; %bb.1536:
	v_cmp_ne_u16_e32 vcc_lo, 0x80, v5
	s_mov_b32 s10, 0
	s_and_b32 s6, vcc_lo, exec_lo
	s_or_saveexec_b32 s7, s7
	v_mov_b32_e32 v4, s10
	s_xor_b32 exec_lo, exec_lo, s7
	s_cbranch_execnz .LBB433_1553
.LBB433_1537:
	s_or_b32 exec_lo, exec_lo, s7
	s_and_saveexec_b32 s7, s6
	s_cbranch_execz .LBB433_1539
.LBB433_1538:
	v_and_b32_e32 v4, 0xffff, v5
	v_lshlrev_b32_e32 v5, 24, v5
	s_delay_alu instid0(VALU_DEP_2) | instskip(NEXT) | instid1(VALU_DEP_2)
	v_and_b32_e32 v7, 7, v4
	v_and_b32_e32 v5, 0x80000000, v5
	s_delay_alu instid0(VALU_DEP_2) | instskip(NEXT) | instid1(VALU_DEP_1)
	v_clz_i32_u32_e32 v9, v7
	v_min_u32_e32 v9, 32, v9
	s_delay_alu instid0(VALU_DEP_1) | instskip(SKIP_1) | instid1(VALU_DEP_2)
	v_subrev_nc_u32_e32 v14, 28, v9
	v_sub_nc_u32_e32 v9, 29, v9
	v_lshlrev_b32_e32 v14, v14, v4
	v_bfe_u32 v4, v4, 3, 4
	s_delay_alu instid0(VALU_DEP_2) | instskip(NEXT) | instid1(VALU_DEP_2)
	v_and_b32_e32 v14, 7, v14
	v_cmp_eq_u32_e32 vcc_lo, 0, v4
	s_delay_alu instid0(VALU_DEP_2) | instskip(NEXT) | instid1(VALU_DEP_1)
	v_dual_cndmask_b32 v4, v4, v9 :: v_dual_cndmask_b32 v7, v7, v14
	v_lshl_add_u32 v4, v4, 23, 0x3b800000
	s_delay_alu instid0(VALU_DEP_2) | instskip(NEXT) | instid1(VALU_DEP_1)
	v_lshlrev_b32_e32 v7, 20, v7
	v_or3_b32 v4, v5, v4, v7
	s_delay_alu instid0(VALU_DEP_1)
	v_cvt_i32_f32_e32 v4, v4
.LBB433_1539:
	s_or_b32 exec_lo, exec_lo, s7
.LBB433_1540:
	s_mov_b32 s6, -1
.LBB433_1541:
	s_mov_b32 s7, 0
.LBB433_1542:
	s_delay_alu instid0(SALU_CYCLE_1)
	s_and_b32 vcc_lo, exec_lo, s7
	s_cbranch_vccz .LBB433_1573
; %bb.1543:
	v_cmp_lt_i16_e32 vcc_lo, 22, v13
	s_cbranch_vccz .LBB433_1551
; %bb.1544:
	v_cmp_gt_i16_e32 vcc_lo, 24, v13
	s_cbranch_vccnz .LBB433_1554
; %bb.1545:
	v_cmp_lt_i16_e32 vcc_lo, 24, v13
	s_cbranch_vccz .LBB433_1555
; %bb.1546:
	global_load_u8 v5, v[11:12], off
	s_mov_b32 s6, exec_lo
                                        ; implicit-def: $sgpr7
	s_waitcnt vmcnt(0)
	v_cmpx_lt_i16_e32 0x7f, v5
	s_xor_b32 s6, exec_lo, s6
	s_cbranch_execz .LBB433_1567
; %bb.1547:
	v_cmp_ne_u16_e32 vcc_lo, 0x80, v5
	s_mov_b32 s7, 0
	s_and_b32 s3, vcc_lo, exec_lo
	s_or_saveexec_b32 s6, s6
	v_mov_b32_e32 v4, s7
	s_xor_b32 exec_lo, exec_lo, s6
	s_cbranch_execnz .LBB433_1568
.LBB433_1548:
	s_or_b32 exec_lo, exec_lo, s6
	s_and_saveexec_b32 s6, s3
	s_cbranch_execz .LBB433_1550
.LBB433_1549:
	v_and_b32_e32 v4, 0xffff, v5
	v_lshlrev_b32_e32 v5, 24, v5
	s_delay_alu instid0(VALU_DEP_2) | instskip(NEXT) | instid1(VALU_DEP_2)
	v_and_b32_e32 v7, 3, v4
	v_and_b32_e32 v5, 0x80000000, v5
	s_delay_alu instid0(VALU_DEP_2) | instskip(NEXT) | instid1(VALU_DEP_1)
	v_clz_i32_u32_e32 v9, v7
	v_min_u32_e32 v9, 32, v9
	s_delay_alu instid0(VALU_DEP_1) | instskip(SKIP_1) | instid1(VALU_DEP_2)
	v_subrev_nc_u32_e32 v14, 29, v9
	v_sub_nc_u32_e32 v9, 30, v9
	v_lshlrev_b32_e32 v14, v14, v4
	v_bfe_u32 v4, v4, 2, 5
	s_delay_alu instid0(VALU_DEP_2) | instskip(NEXT) | instid1(VALU_DEP_2)
	v_and_b32_e32 v14, 3, v14
	v_cmp_eq_u32_e32 vcc_lo, 0, v4
	s_delay_alu instid0(VALU_DEP_2) | instskip(NEXT) | instid1(VALU_DEP_1)
	v_dual_cndmask_b32 v4, v4, v9 :: v_dual_cndmask_b32 v7, v7, v14
	v_lshl_add_u32 v4, v4, 23, 0x37800000
	s_delay_alu instid0(VALU_DEP_2) | instskip(NEXT) | instid1(VALU_DEP_1)
	v_lshlrev_b32_e32 v7, 21, v7
	v_or3_b32 v4, v5, v4, v7
	s_delay_alu instid0(VALU_DEP_1)
	v_cvt_i32_f32_e32 v4, v4
.LBB433_1550:
	s_or_b32 exec_lo, exec_lo, s6
	s_mov_b32 s3, 0
	s_branch .LBB433_1556
.LBB433_1551:
	s_mov_b32 s3, -1
                                        ; implicit-def: $vgpr4
	s_branch .LBB433_1562
.LBB433_1552:
	s_or_saveexec_b32 s7, s7
	v_mov_b32_e32 v4, s10
	s_xor_b32 exec_lo, exec_lo, s7
	s_cbranch_execz .LBB433_1537
.LBB433_1553:
	v_cmp_ne_u16_e32 vcc_lo, 0, v5
	v_mov_b32_e32 v4, 0
	s_and_not1_b32 s6, s6, exec_lo
	s_and_b32 s10, vcc_lo, exec_lo
	s_delay_alu instid0(SALU_CYCLE_1)
	s_or_b32 s6, s6, s10
	s_or_b32 exec_lo, exec_lo, s7
	s_and_saveexec_b32 s7, s6
	s_cbranch_execnz .LBB433_1538
	s_branch .LBB433_1539
.LBB433_1554:
	s_mov_b32 s3, -1
                                        ; implicit-def: $vgpr4
	s_branch .LBB433_1559
.LBB433_1555:
	s_mov_b32 s3, -1
                                        ; implicit-def: $vgpr4
.LBB433_1556:
	s_delay_alu instid0(SALU_CYCLE_1)
	s_and_b32 vcc_lo, exec_lo, s3
	s_cbranch_vccz .LBB433_1558
; %bb.1557:
	global_load_u8 v4, v[11:12], off
	s_waitcnt vmcnt(0)
	v_lshlrev_b32_e32 v4, 24, v4
	s_delay_alu instid0(VALU_DEP_1) | instskip(NEXT) | instid1(VALU_DEP_1)
	v_and_b32_e32 v5, 0x7f000000, v4
	v_clz_i32_u32_e32 v7, v5
	v_add_nc_u32_e32 v14, 0x1000000, v5
	v_cmp_ne_u32_e32 vcc_lo, 0, v5
	s_delay_alu instid0(VALU_DEP_3) | instskip(NEXT) | instid1(VALU_DEP_1)
	v_min_u32_e32 v7, 32, v7
	v_sub_nc_u32_e64 v7, v7, 4 clamp
	s_delay_alu instid0(VALU_DEP_1) | instskip(SKIP_1) | instid1(VALU_DEP_2)
	v_lshlrev_b32_e32 v9, v7, v5
	v_lshlrev_b32_e32 v7, 23, v7
	v_lshrrev_b32_e32 v9, 4, v9
	s_delay_alu instid0(VALU_DEP_1) | instskip(SKIP_1) | instid1(VALU_DEP_2)
	v_sub_nc_u32_e32 v7, v9, v7
	v_ashrrev_i32_e32 v9, 8, v14
	v_add_nc_u32_e32 v7, 0x3c000000, v7
	s_delay_alu instid0(VALU_DEP_1) | instskip(NEXT) | instid1(VALU_DEP_1)
	v_and_or_b32 v7, 0x7f800000, v9, v7
	v_cndmask_b32_e32 v5, 0, v7, vcc_lo
	s_delay_alu instid0(VALU_DEP_1) | instskip(NEXT) | instid1(VALU_DEP_1)
	v_and_or_b32 v4, 0x80000000, v4, v5
	v_cvt_i32_f32_e32 v4, v4
.LBB433_1558:
	s_mov_b32 s3, 0
.LBB433_1559:
	s_delay_alu instid0(SALU_CYCLE_1)
	s_and_not1_b32 vcc_lo, exec_lo, s3
	s_cbranch_vccnz .LBB433_1561
; %bb.1560:
	global_load_u8 v4, v[11:12], off
	s_waitcnt vmcnt(0)
	v_lshlrev_b32_e32 v5, 25, v4
	v_lshlrev_b16 v4, 8, v4
	s_delay_alu instid0(VALU_DEP_2) | instskip(NEXT) | instid1(VALU_DEP_2)
	v_lshrrev_b32_e32 v7, 4, v5
	v_and_or_b32 v9, 0x7f00, v4, 0.5
	v_cmp_gt_u32_e32 vcc_lo, 0x8000000, v5
	v_bfe_i32 v4, v4, 0, 16
	s_delay_alu instid0(VALU_DEP_4) | instskip(NEXT) | instid1(VALU_DEP_4)
	v_or_b32_e32 v7, 0x70000000, v7
	v_add_f32_e32 v9, -0.5, v9
	s_delay_alu instid0(VALU_DEP_2) | instskip(NEXT) | instid1(VALU_DEP_1)
	v_mul_f32_e32 v7, 0x7800000, v7
	v_cndmask_b32_e32 v5, v7, v9, vcc_lo
	s_delay_alu instid0(VALU_DEP_1) | instskip(NEXT) | instid1(VALU_DEP_1)
	v_and_or_b32 v4, 0x80000000, v4, v5
	v_cvt_i32_f32_e32 v4, v4
.LBB433_1561:
	s_mov_b32 s3, 0
	s_mov_b32 s6, -1
.LBB433_1562:
	s_and_not1_b32 vcc_lo, exec_lo, s3
	s_mov_b32 s3, 0
	s_cbranch_vccnz .LBB433_1573
; %bb.1563:
	v_cmp_lt_i16_e32 vcc_lo, 14, v13
	s_cbranch_vccz .LBB433_1566
; %bb.1564:
	v_cmp_eq_u16_e32 vcc_lo, 15, v13
	s_cbranch_vccz .LBB433_1569
; %bb.1565:
	global_load_u16 v4, v[11:12], off
	s_mov_b32 s2, 0
	s_mov_b32 s6, -1
	s_waitcnt vmcnt(0)
	v_lshlrev_b32_e32 v4, 16, v4
	s_delay_alu instid0(VALU_DEP_1)
	v_cvt_i32_f32_e32 v4, v4
	s_branch .LBB433_1571
.LBB433_1566:
	s_mov_b32 s3, -1
	s_branch .LBB433_1570
.LBB433_1567:
	s_or_saveexec_b32 s6, s6
	v_mov_b32_e32 v4, s7
	s_xor_b32 exec_lo, exec_lo, s6
	s_cbranch_execz .LBB433_1548
.LBB433_1568:
	v_cmp_ne_u16_e32 vcc_lo, 0, v5
	v_mov_b32_e32 v4, 0
	s_and_not1_b32 s3, s3, exec_lo
	s_and_b32 s7, vcc_lo, exec_lo
	s_delay_alu instid0(SALU_CYCLE_1)
	s_or_b32 s3, s3, s7
	s_or_b32 exec_lo, exec_lo, s6
	s_and_saveexec_b32 s6, s3
	s_cbranch_execnz .LBB433_1549
	s_branch .LBB433_1550
.LBB433_1569:
	s_mov_b32 s2, -1
.LBB433_1570:
                                        ; implicit-def: $vgpr4
.LBB433_1571:
	s_and_b32 vcc_lo, exec_lo, s3
	s_mov_b32 s3, 0
	s_cbranch_vccz .LBB433_1573
; %bb.1572:
	v_cmp_ne_u16_e64 s2, 11, v13
	s_mov_b32 s3, -1
                                        ; implicit-def: $vgpr4
.LBB433_1573:
	s_delay_alu instid0(VALU_DEP_1)
	s_and_b32 vcc_lo, exec_lo, s2
	s_cbranch_vccnz .LBB433_2102
; %bb.1574:
	s_and_not1_b32 vcc_lo, exec_lo, s3
	s_cbranch_vccnz .LBB433_1576
.LBB433_1575:
	global_load_u8 v4, v[11:12], off
	s_mov_b32 s6, -1
	s_waitcnt vmcnt(0)
	v_cmp_ne_u16_e32 vcc_lo, 0, v4
	v_cndmask_b32_e64 v4, 0, 1, vcc_lo
.LBB433_1576:
	s_mov_b32 s2, 0
.LBB433_1577:
	s_delay_alu instid0(SALU_CYCLE_1)
	s_and_b32 vcc_lo, exec_lo, s2
	s_cbranch_vccz .LBB433_1626
; %bb.1578:
	v_cmp_gt_i16_e32 vcc_lo, 5, v13
	s_cbranch_vccnz .LBB433_1583
; %bb.1579:
	v_cmp_gt_i16_e32 vcc_lo, 8, v13
	s_cbranch_vccnz .LBB433_1584
	;; [unrolled: 3-line block ×3, first 2 shown]
; %bb.1581:
	v_cmp_lt_i16_e32 vcc_lo, 9, v13
	s_cbranch_vccz .LBB433_1586
; %bb.1582:
	global_load_b64 v[4:5], v[11:12], off
	s_mov_b32 s2, 0
	s_waitcnt vmcnt(0)
	v_cvt_i32_f64_e32 v4, v[4:5]
	s_branch .LBB433_1587
.LBB433_1583:
	s_mov_b32 s2, -1
                                        ; implicit-def: $vgpr4
	s_branch .LBB433_1605
.LBB433_1584:
	s_mov_b32 s2, -1
                                        ; implicit-def: $vgpr4
	s_branch .LBB433_1593
.LBB433_1585:
	s_mov_b32 s2, -1
                                        ; implicit-def: $vgpr4
	s_branch .LBB433_1590
.LBB433_1586:
	s_mov_b32 s2, -1
                                        ; implicit-def: $vgpr4
.LBB433_1587:
	s_delay_alu instid0(SALU_CYCLE_1)
	s_and_not1_b32 vcc_lo, exec_lo, s2
	s_cbranch_vccnz .LBB433_1589
; %bb.1588:
	global_load_b32 v4, v[11:12], off
	s_waitcnt vmcnt(0)
	v_cvt_i32_f32_e32 v4, v4
.LBB433_1589:
	s_mov_b32 s2, 0
.LBB433_1590:
	s_delay_alu instid0(SALU_CYCLE_1)
	s_and_not1_b32 vcc_lo, exec_lo, s2
	s_cbranch_vccnz .LBB433_1592
; %bb.1591:
	global_load_b32 v4, v[11:12], off
	s_waitcnt vmcnt(0)
	v_cvt_i16_f16_e32 v4, v4
.LBB433_1592:
	s_mov_b32 s2, 0
.LBB433_1593:
	s_delay_alu instid0(SALU_CYCLE_1)
	s_and_not1_b32 vcc_lo, exec_lo, s2
	s_cbranch_vccnz .LBB433_1604
; %bb.1594:
	v_cmp_gt_i16_e32 vcc_lo, 6, v13
	s_cbranch_vccnz .LBB433_1597
; %bb.1595:
	v_cmp_lt_i16_e32 vcc_lo, 6, v13
	s_cbranch_vccz .LBB433_1598
; %bb.1596:
	global_load_b64 v[4:5], v[11:12], off
	s_mov_b32 s2, 0
	s_waitcnt vmcnt(0)
	v_cvt_i32_f64_e32 v4, v[4:5]
	s_branch .LBB433_1599
.LBB433_1597:
	s_mov_b32 s2, -1
                                        ; implicit-def: $vgpr4
	s_branch .LBB433_1602
.LBB433_1598:
	s_mov_b32 s2, -1
                                        ; implicit-def: $vgpr4
.LBB433_1599:
	s_delay_alu instid0(SALU_CYCLE_1)
	s_and_not1_b32 vcc_lo, exec_lo, s2
	s_cbranch_vccnz .LBB433_1601
; %bb.1600:
	global_load_b32 v4, v[11:12], off
	s_waitcnt vmcnt(0)
	v_cvt_i32_f32_e32 v4, v4
.LBB433_1601:
	s_mov_b32 s2, 0
.LBB433_1602:
	s_delay_alu instid0(SALU_CYCLE_1)
	s_and_not1_b32 vcc_lo, exec_lo, s2
	s_cbranch_vccnz .LBB433_1604
; %bb.1603:
	global_load_u16 v4, v[11:12], off
	s_waitcnt vmcnt(0)
	v_cvt_i16_f16_e32 v4, v4
.LBB433_1604:
	s_mov_b32 s2, 0
.LBB433_1605:
	s_delay_alu instid0(SALU_CYCLE_1)
	s_and_not1_b32 vcc_lo, exec_lo, s2
	s_cbranch_vccnz .LBB433_1625
; %bb.1606:
	v_cmp_gt_i16_e32 vcc_lo, 2, v13
	s_cbranch_vccnz .LBB433_1610
; %bb.1607:
	v_cmp_gt_i16_e32 vcc_lo, 3, v13
	s_cbranch_vccnz .LBB433_1611
; %bb.1608:
	v_cmp_lt_i16_e32 vcc_lo, 3, v13
	s_cbranch_vccz .LBB433_1612
; %bb.1609:
	global_load_b64 v[4:5], v[11:12], off
	s_mov_b32 s2, 0
	s_branch .LBB433_1613
.LBB433_1610:
	s_mov_b32 s2, -1
                                        ; implicit-def: $vgpr4
	s_branch .LBB433_1619
.LBB433_1611:
	s_mov_b32 s2, -1
                                        ; implicit-def: $vgpr4
	s_branch .LBB433_1616
.LBB433_1612:
	s_mov_b32 s2, -1
                                        ; implicit-def: $vgpr4
.LBB433_1613:
	s_delay_alu instid0(SALU_CYCLE_1)
	s_and_not1_b32 vcc_lo, exec_lo, s2
	s_cbranch_vccnz .LBB433_1615
; %bb.1614:
	global_load_b32 v4, v[11:12], off
.LBB433_1615:
	s_mov_b32 s2, 0
.LBB433_1616:
	s_delay_alu instid0(SALU_CYCLE_1)
	s_and_not1_b32 vcc_lo, exec_lo, s2
	s_cbranch_vccnz .LBB433_1618
; %bb.1617:
	global_load_u16 v4, v[11:12], off
.LBB433_1618:
	s_mov_b32 s2, 0
.LBB433_1619:
	s_delay_alu instid0(SALU_CYCLE_1)
	s_and_not1_b32 vcc_lo, exec_lo, s2
	s_cbranch_vccnz .LBB433_1625
; %bb.1620:
	v_cmp_lt_i16_e32 vcc_lo, 0, v13
	s_mov_b32 s2, 0
	s_cbranch_vccz .LBB433_1622
; %bb.1621:
	global_load_u8 v4, v[11:12], off
	s_branch .LBB433_1623
.LBB433_1622:
	s_mov_b32 s2, -1
                                        ; implicit-def: $vgpr4
.LBB433_1623:
	s_delay_alu instid0(SALU_CYCLE_1)
	s_and_not1_b32 vcc_lo, exec_lo, s2
	s_cbranch_vccnz .LBB433_1625
; %bb.1624:
	global_load_u8 v4, v[11:12], off
.LBB433_1625:
	s_mov_b32 s6, -1
.LBB433_1626:
	s_delay_alu instid0(SALU_CYCLE_1)
	s_and_not1_b32 vcc_lo, exec_lo, s6
	s_cbranch_vccnz .LBB433_2057
; %bb.1627:
	s_load_b32 s2, s[16:17], 0x158
	s_lshr_b32 s0, s0, 8
	s_waitcnt vmcnt(0)
	v_bfe_i32 v5, v10, 0, 8
	v_and_b32_e64 v11, 0xff, s0
	v_add_co_u32 v9, s0, s4, v3
	s_delay_alu instid0(VALU_DEP_1) | instskip(NEXT) | instid1(VALU_DEP_3)
	v_add_co_ci_u32_e64 v10, null, s5, 0, s0
	v_cmp_gt_i16_e32 vcc_lo, 11, v11
	s_mov_b32 s6, 0
	s_mov_b32 s0, -1
	s_waitcnt lgkmcnt(0)
	s_bfe_i32 s2, s2, 0x80000
	s_delay_alu instid0(SALU_CYCLE_1)
	v_min_i16 v3, v5, s2
	s_cbranch_vccnz .LBB433_1705
; %bb.1628:
	v_cmp_lt_i16_e32 vcc_lo, 25, v11
	s_mov_b32 s7, -1
	s_mov_b32 s3, 0
	s_mov_b32 s0, 0
	s_cbranch_vccz .LBB433_1661
; %bb.1629:
	v_cmp_lt_i16_e32 vcc_lo, 28, v11
	s_cbranch_vccz .LBB433_1644
; %bb.1630:
	v_cmp_lt_i16_e32 vcc_lo, 43, v11
	;; [unrolled: 3-line block ×3, first 2 shown]
	s_cbranch_vccz .LBB433_1634
; %bb.1632:
	v_cmp_eq_u16_e32 vcc_lo, 46, v11
	s_mov_b32 s0, -1
	s_mov_b32 s7, 0
	s_cbranch_vccz .LBB433_1634
; %bb.1633:
	v_bfe_i32 v5, v3, 0, 16
	s_mov_b32 s0, 0
	s_mov_b32 s6, -1
	s_delay_alu instid0(VALU_DEP_1) | instskip(NEXT) | instid1(VALU_DEP_1)
	v_cvt_f32_i32_e32 v5, v5
	v_bfe_u32 v7, v5, 16, 1
	s_delay_alu instid0(VALU_DEP_1) | instskip(NEXT) | instid1(VALU_DEP_1)
	v_add3_u32 v5, v5, v7, 0x7fff
	v_lshrrev_b32_e32 v5, 16, v5
	global_store_b32 v[9:10], v5, off
.LBB433_1634:
	s_and_b32 vcc_lo, exec_lo, s7
	s_cbranch_vccz .LBB433_1639
; %bb.1635:
	v_cmp_eq_u16_e32 vcc_lo, 44, v11
	s_mov_b32 s0, -1
	s_cbranch_vccz .LBB433_1639
; %bb.1636:
	v_bfe_i32 v5, v3, 0, 16
	v_mov_b32_e32 v7, 0xff
	s_mov_b32 s6, exec_lo
	s_delay_alu instid0(VALU_DEP_2) | instskip(NEXT) | instid1(VALU_DEP_1)
	v_cvt_f32_i32_e32 v5, v5
	v_bfe_u32 v12, v5, 23, 8
	s_delay_alu instid0(VALU_DEP_1)
	v_cmpx_ne_u32_e32 0xff, v12
; %bb.1637:
	v_and_b32_e32 v7, 0x400000, v5
	v_and_or_b32 v12, 0x3fffff, v5, v12
	v_lshrrev_b32_e32 v5, 23, v5
	s_delay_alu instid0(VALU_DEP_3) | instskip(NEXT) | instid1(VALU_DEP_3)
	v_cmp_ne_u32_e32 vcc_lo, 0, v7
	v_cmp_ne_u32_e64 s0, 0, v12
	s_delay_alu instid0(VALU_DEP_1) | instskip(NEXT) | instid1(SALU_CYCLE_1)
	s_and_b32 s0, vcc_lo, s0
	v_cndmask_b32_e64 v7, 0, 1, s0
	s_delay_alu instid0(VALU_DEP_1)
	v_add_nc_u32_e32 v7, v5, v7
; %bb.1638:
	s_or_b32 exec_lo, exec_lo, s6
	s_mov_b32 s0, 0
	s_mov_b32 s6, -1
	global_store_b8 v[9:10], v7, off
.LBB433_1639:
	s_mov_b32 s7, 0
.LBB433_1640:
	s_delay_alu instid0(SALU_CYCLE_1)
	s_and_b32 vcc_lo, exec_lo, s7
	s_cbranch_vccz .LBB433_1643
; %bb.1641:
	v_cmp_eq_u16_e32 vcc_lo, 29, v11
	s_mov_b32 s0, -1
	s_cbranch_vccz .LBB433_1643
; %bb.1642:
	v_bfe_i32 v12, v3, 0, 16
	s_mov_b32 s0, 0
	s_mov_b32 s6, -1
	s_delay_alu instid0(VALU_DEP_1)
	v_ashrrev_i32_e32 v13, 31, v12
	global_store_b64 v[9:10], v[12:13], off
.LBB433_1643:
	s_mov_b32 s7, 0
.LBB433_1644:
	s_delay_alu instid0(SALU_CYCLE_1)
	s_and_b32 vcc_lo, exec_lo, s7
	s_cbranch_vccz .LBB433_1660
; %bb.1645:
	v_cmp_gt_i16_e32 vcc_lo, 27, v11
	s_mov_b32 s6, -1
	s_cbranch_vccnz .LBB433_1651
; %bb.1646:
	v_cmp_lt_i16_e32 vcc_lo, 27, v11
	s_cbranch_vccz .LBB433_1648
; %bb.1647:
	v_bfe_i32 v5, v3, 0, 16
	s_mov_b32 s6, 0
	global_store_b32 v[9:10], v5, off
.LBB433_1648:
	s_and_not1_b32 vcc_lo, exec_lo, s6
	s_cbranch_vccnz .LBB433_1650
; %bb.1649:
	global_store_b16 v[9:10], v3, off
.LBB433_1650:
	s_mov_b32 s6, 0
.LBB433_1651:
	s_delay_alu instid0(SALU_CYCLE_1)
	s_and_not1_b32 vcc_lo, exec_lo, s6
	s_cbranch_vccnz .LBB433_1659
; %bb.1652:
	v_bfe_i32 v5, v3, 0, 16
	v_mov_b32_e32 v12, 0x80
	s_mov_b32 s6, exec_lo
	s_delay_alu instid0(VALU_DEP_2) | instskip(NEXT) | instid1(VALU_DEP_1)
	v_cvt_f32_i32_e32 v5, v5
	v_and_b32_e32 v7, 0x7fffffff, v5
	s_delay_alu instid0(VALU_DEP_1)
	v_cmpx_gt_u32_e32 0x43800000, v7
	s_cbranch_execz .LBB433_1658
; %bb.1653:
	v_cmp_lt_u32_e32 vcc_lo, 0x3bffffff, v7
	s_mov_b32 s7, 0
                                        ; implicit-def: $vgpr7
	s_and_saveexec_b32 s10, vcc_lo
	s_delay_alu instid0(SALU_CYCLE_1)
	s_xor_b32 s10, exec_lo, s10
	s_cbranch_execz .LBB433_2104
; %bb.1654:
	v_bfe_u32 v7, v5, 20, 1
	s_mov_b32 s7, exec_lo
	s_delay_alu instid0(VALU_DEP_1) | instskip(NEXT) | instid1(VALU_DEP_1)
	v_add3_u32 v7, v5, v7, 0x487ffff
	v_lshrrev_b32_e32 v7, 20, v7
	s_or_saveexec_b32 s10, s10
                                        ; implicit-def: $sgpr11
	s_delay_alu instid0(SALU_CYCLE_1)
	s_xor_b32 exec_lo, exec_lo, s10
	s_cbranch_execnz .LBB433_2105
.LBB433_1655:
	s_or_b32 exec_lo, exec_lo, s10
	v_mov_b32_e32 v12, s11
	s_and_saveexec_b32 s10, s7
.LBB433_1656:
	v_lshrrev_b32_e32 v5, 24, v5
	s_delay_alu instid0(VALU_DEP_1)
	v_and_or_b32 v12, 0x80, v5, v7
.LBB433_1657:
	s_or_b32 exec_lo, exec_lo, s10
.LBB433_1658:
	s_delay_alu instid0(SALU_CYCLE_1)
	s_or_b32 exec_lo, exec_lo, s6
	global_store_b8 v[9:10], v12, off
.LBB433_1659:
	s_mov_b32 s6, -1
.LBB433_1660:
	s_mov_b32 s7, 0
.LBB433_1661:
	s_delay_alu instid0(SALU_CYCLE_1)
	s_and_b32 vcc_lo, exec_lo, s7
	s_cbranch_vccz .LBB433_1701
; %bb.1662:
	v_cmp_lt_i16_e32 vcc_lo, 22, v11
	s_mov_b32 s3, -1
	s_cbranch_vccz .LBB433_1694
; %bb.1663:
	v_cmp_gt_i16_e32 vcc_lo, 24, v11
	s_cbranch_vccnz .LBB433_1683
; %bb.1664:
	v_cmp_lt_i16_e32 vcc_lo, 24, v11
	s_cbranch_vccz .LBB433_1672
; %bb.1665:
	v_bfe_i32 v5, v3, 0, 16
	v_mov_b32_e32 v12, 0x80
	s_mov_b32 s3, exec_lo
	s_delay_alu instid0(VALU_DEP_2) | instskip(NEXT) | instid1(VALU_DEP_1)
	v_cvt_f32_i32_e32 v5, v5
	v_and_b32_e32 v7, 0x7fffffff, v5
	s_delay_alu instid0(VALU_DEP_1)
	v_cmpx_gt_u32_e32 0x47800000, v7
	s_cbranch_execz .LBB433_1671
; %bb.1666:
	v_cmp_lt_u32_e32 vcc_lo, 0x37ffffff, v7
	s_mov_b32 s6, 0
                                        ; implicit-def: $vgpr7
	s_and_saveexec_b32 s7, vcc_lo
	s_delay_alu instid0(SALU_CYCLE_1)
	s_xor_b32 s7, exec_lo, s7
	s_cbranch_execz .LBB433_2110
; %bb.1667:
	v_bfe_u32 v7, v5, 21, 1
	s_mov_b32 s6, exec_lo
	s_delay_alu instid0(VALU_DEP_1) | instskip(NEXT) | instid1(VALU_DEP_1)
	v_add3_u32 v7, v5, v7, 0x88fffff
	v_lshrrev_b32_e32 v7, 21, v7
	s_or_saveexec_b32 s7, s7
                                        ; implicit-def: $sgpr10
	s_delay_alu instid0(SALU_CYCLE_1)
	s_xor_b32 exec_lo, exec_lo, s7
	s_cbranch_execnz .LBB433_2111
.LBB433_1668:
	s_or_b32 exec_lo, exec_lo, s7
	v_mov_b32_e32 v12, s10
	s_and_saveexec_b32 s7, s6
.LBB433_1669:
	v_lshrrev_b32_e32 v5, 24, v5
	s_delay_alu instid0(VALU_DEP_1)
	v_and_or_b32 v12, 0x80, v5, v7
.LBB433_1670:
	s_or_b32 exec_lo, exec_lo, s7
.LBB433_1671:
	s_delay_alu instid0(SALU_CYCLE_1)
	s_or_b32 exec_lo, exec_lo, s3
	s_mov_b32 s3, 0
	global_store_b8 v[9:10], v12, off
.LBB433_1672:
	s_and_b32 vcc_lo, exec_lo, s3
	s_cbranch_vccz .LBB433_1682
; %bb.1673:
	v_bfe_i32 v5, v3, 0, 16
	s_mov_b32 s3, exec_lo
                                        ; implicit-def: $vgpr7
	s_delay_alu instid0(VALU_DEP_1) | instskip(NEXT) | instid1(VALU_DEP_1)
	v_cvt_f32_i32_e32 v5, v5
	v_and_b32_e32 v12, 0x7fffffff, v5
	s_delay_alu instid0(VALU_DEP_1)
	v_cmpx_gt_u32_e32 0x43f00000, v12
	s_xor_b32 s3, exec_lo, s3
	s_cbranch_execz .LBB433_1679
; %bb.1674:
	s_mov_b32 s6, exec_lo
                                        ; implicit-def: $vgpr7
	v_cmpx_lt_u32_e32 0x3c7fffff, v12
	s_xor_b32 s6, exec_lo, s6
; %bb.1675:
	v_bfe_u32 v7, v5, 20, 1
	s_delay_alu instid0(VALU_DEP_1) | instskip(NEXT) | instid1(VALU_DEP_1)
	v_add3_u32 v7, v5, v7, 0x407ffff
	v_and_b32_e32 v12, 0xff00000, v7
	v_lshrrev_b32_e32 v7, 20, v7
	s_delay_alu instid0(VALU_DEP_2) | instskip(NEXT) | instid1(VALU_DEP_2)
	v_cmp_ne_u32_e32 vcc_lo, 0x7f00000, v12
	v_cndmask_b32_e32 v7, 0x7e, v7, vcc_lo
; %bb.1676:
	s_and_not1_saveexec_b32 s6, s6
; %bb.1677:
	v_add_f32_e64 v7, 0x46800000, |v5|
; %bb.1678:
	s_or_b32 exec_lo, exec_lo, s6
                                        ; implicit-def: $vgpr12
.LBB433_1679:
	s_and_not1_saveexec_b32 s3, s3
; %bb.1680:
	v_mov_b32_e32 v7, 0x7f
	v_cmp_lt_u32_e32 vcc_lo, 0x7f800000, v12
	s_delay_alu instid0(VALU_DEP_2)
	v_cndmask_b32_e32 v7, 0x7e, v7, vcc_lo
; %bb.1681:
	s_or_b32 exec_lo, exec_lo, s3
	v_lshrrev_b32_e32 v5, 24, v5
	s_delay_alu instid0(VALU_DEP_1)
	v_and_or_b32 v5, 0x80, v5, v7
	global_store_b8 v[9:10], v5, off
.LBB433_1682:
	s_mov_b32 s3, 0
.LBB433_1683:
	s_delay_alu instid0(SALU_CYCLE_1)
	s_and_not1_b32 vcc_lo, exec_lo, s3
	s_cbranch_vccnz .LBB433_1693
; %bb.1684:
	v_bfe_i32 v5, v3, 0, 16
	s_mov_b32 s3, exec_lo
                                        ; implicit-def: $vgpr7
	s_delay_alu instid0(VALU_DEP_1) | instskip(NEXT) | instid1(VALU_DEP_1)
	v_cvt_f32_i32_e32 v5, v5
	v_and_b32_e32 v12, 0x7fffffff, v5
	s_delay_alu instid0(VALU_DEP_1)
	v_cmpx_gt_u32_e32 0x47800000, v12
	s_xor_b32 s3, exec_lo, s3
	s_cbranch_execz .LBB433_1690
; %bb.1685:
	s_mov_b32 s6, exec_lo
                                        ; implicit-def: $vgpr7
	v_cmpx_lt_u32_e32 0x387fffff, v12
	s_xor_b32 s6, exec_lo, s6
; %bb.1686:
	v_bfe_u32 v7, v5, 21, 1
	s_delay_alu instid0(VALU_DEP_1) | instskip(NEXT) | instid1(VALU_DEP_1)
	v_add3_u32 v7, v5, v7, 0x80fffff
	v_lshrrev_b32_e32 v7, 21, v7
; %bb.1687:
	s_and_not1_saveexec_b32 s6, s6
; %bb.1688:
	v_add_f32_e64 v7, 0x43000000, |v5|
; %bb.1689:
	s_or_b32 exec_lo, exec_lo, s6
                                        ; implicit-def: $vgpr12
.LBB433_1690:
	s_and_not1_saveexec_b32 s3, s3
; %bb.1691:
	v_mov_b32_e32 v7, 0x7f
	v_cmp_lt_u32_e32 vcc_lo, 0x7f800000, v12
	s_delay_alu instid0(VALU_DEP_2)
	v_cndmask_b32_e32 v7, 0x7c, v7, vcc_lo
; %bb.1692:
	s_or_b32 exec_lo, exec_lo, s3
	v_lshrrev_b32_e32 v5, 24, v5
	s_delay_alu instid0(VALU_DEP_1)
	v_and_or_b32 v5, 0x80, v5, v7
	global_store_b8 v[9:10], v5, off
.LBB433_1693:
	s_mov_b32 s3, 0
	s_mov_b32 s6, -1
.LBB433_1694:
	s_and_not1_b32 vcc_lo, exec_lo, s3
	s_mov_b32 s3, 0
	s_cbranch_vccnz .LBB433_1701
; %bb.1695:
	v_cmp_lt_i16_e32 vcc_lo, 14, v11
	s_mov_b32 s3, -1
	s_cbranch_vccz .LBB433_1699
; %bb.1696:
	v_cmp_eq_u16_e32 vcc_lo, 15, v11
	s_mov_b32 s0, -1
	s_cbranch_vccz .LBB433_1698
; %bb.1697:
	v_bfe_i32 v5, v3, 0, 16
	s_mov_b32 s0, 0
	s_mov_b32 s6, -1
	s_delay_alu instid0(VALU_DEP_1) | instskip(NEXT) | instid1(VALU_DEP_1)
	v_cvt_f32_i32_e32 v5, v5
	v_bfe_u32 v7, v5, 16, 1
	s_delay_alu instid0(VALU_DEP_1)
	v_add3_u32 v5, v5, v7, 0x7fff
	global_store_d16_hi_b16 v[9:10], v5, off
.LBB433_1698:
	s_mov_b32 s3, 0
.LBB433_1699:
	s_delay_alu instid0(SALU_CYCLE_1)
	s_and_b32 vcc_lo, exec_lo, s3
	s_mov_b32 s3, 0
	s_cbranch_vccz .LBB433_1701
; %bb.1700:
	v_cmp_ne_u16_e64 s0, 11, v11
	s_mov_b32 s3, -1
.LBB433_1701:
	s_delay_alu instid0(VALU_DEP_1)
	s_and_b32 vcc_lo, exec_lo, s0
	s_cbranch_vccnz .LBB433_2108
; %bb.1702:
	s_and_not1_b32 vcc_lo, exec_lo, s3
	s_cbranch_vccnz .LBB433_1704
.LBB433_1703:
	v_cmp_ne_u16_e32 vcc_lo, 0, v3
	s_mov_b32 s6, -1
	v_cndmask_b32_e64 v5, 0, 1, vcc_lo
	global_store_b8 v[9:10], v5, off
.LBB433_1704:
	s_mov_b32 s0, 0
.LBB433_1705:
	s_delay_alu instid0(SALU_CYCLE_1)
	s_and_b32 vcc_lo, exec_lo, s0
	s_cbranch_vccz .LBB433_1744
; %bb.1706:
	v_cmp_gt_i16_e32 vcc_lo, 5, v11
	s_mov_b32 s0, -1
	s_cbranch_vccnz .LBB433_1727
; %bb.1707:
	v_cmp_gt_i16_e32 vcc_lo, 8, v11
	s_cbranch_vccnz .LBB433_1717
; %bb.1708:
	v_cmp_gt_i16_e32 vcc_lo, 9, v11
	s_cbranch_vccnz .LBB433_1714
; %bb.1709:
	v_cmp_lt_i16_e32 vcc_lo, 9, v11
	s_cbranch_vccz .LBB433_1711
; %bb.1710:
	v_bfe_i32 v5, v3, 0, 16
	v_mov_b32_e32 v14, 0
	s_mov_b32 s0, 0
	s_delay_alu instid0(VALU_DEP_2) | instskip(NEXT) | instid1(VALU_DEP_2)
	v_cvt_f64_i32_e32 v[12:13], v5
	v_mov_b32_e32 v15, v14
	global_store_b128 v[9:10], v[12:15], off
.LBB433_1711:
	s_and_not1_b32 vcc_lo, exec_lo, s0
	s_cbranch_vccnz .LBB433_1713
; %bb.1712:
	v_bfe_i32 v5, v3, 0, 16
	v_mov_b32_e32 v13, 0
	s_delay_alu instid0(VALU_DEP_2)
	v_cvt_f32_i32_e32 v12, v5
	global_store_b64 v[9:10], v[12:13], off
.LBB433_1713:
	s_mov_b32 s0, 0
.LBB433_1714:
	s_delay_alu instid0(SALU_CYCLE_1)
	s_and_not1_b32 vcc_lo, exec_lo, s0
	s_cbranch_vccnz .LBB433_1716
; %bb.1715:
	v_cvt_f16_i16_e32 v5, v3
	s_delay_alu instid0(VALU_DEP_1)
	v_and_b32_e32 v5, 0xffff, v5
	global_store_b32 v[9:10], v5, off
.LBB433_1716:
	s_mov_b32 s0, 0
.LBB433_1717:
	s_delay_alu instid0(SALU_CYCLE_1)
	s_and_not1_b32 vcc_lo, exec_lo, s0
	s_cbranch_vccnz .LBB433_1726
; %bb.1718:
	v_cmp_gt_i16_e32 vcc_lo, 6, v11
	s_mov_b32 s0, -1
	s_cbranch_vccnz .LBB433_1724
; %bb.1719:
	v_cmp_lt_i16_e32 vcc_lo, 6, v11
	s_cbranch_vccz .LBB433_1721
; %bb.1720:
	v_bfe_i32 v5, v3, 0, 16
	s_mov_b32 s0, 0
	s_delay_alu instid0(VALU_DEP_1)
	v_cvt_f64_i32_e32 v[12:13], v5
	global_store_b64 v[9:10], v[12:13], off
.LBB433_1721:
	s_and_not1_b32 vcc_lo, exec_lo, s0
	s_cbranch_vccnz .LBB433_1723
; %bb.1722:
	v_bfe_i32 v5, v3, 0, 16
	s_delay_alu instid0(VALU_DEP_1)
	v_cvt_f32_i32_e32 v5, v5
	global_store_b32 v[9:10], v5, off
.LBB433_1723:
	s_mov_b32 s0, 0
.LBB433_1724:
	s_delay_alu instid0(SALU_CYCLE_1)
	s_and_not1_b32 vcc_lo, exec_lo, s0
	s_cbranch_vccnz .LBB433_1726
; %bb.1725:
	v_cvt_f16_i16_e32 v5, v3
	global_store_b16 v[9:10], v5, off
.LBB433_1726:
	s_mov_b32 s0, 0
.LBB433_1727:
	s_delay_alu instid0(SALU_CYCLE_1)
	s_and_not1_b32 vcc_lo, exec_lo, s0
	s_cbranch_vccnz .LBB433_1743
; %bb.1728:
	v_cmp_gt_i16_e32 vcc_lo, 2, v11
	s_mov_b32 s0, -1
	s_cbranch_vccnz .LBB433_1738
; %bb.1729:
	v_cmp_gt_i16_e32 vcc_lo, 3, v11
	s_cbranch_vccnz .LBB433_1735
; %bb.1730:
	v_cmp_lt_i16_e32 vcc_lo, 3, v11
	s_cbranch_vccz .LBB433_1732
; %bb.1731:
	v_bfe_i32 v12, v3, 0, 16
	s_mov_b32 s0, 0
	s_delay_alu instid0(VALU_DEP_1)
	v_ashrrev_i32_e32 v13, 31, v12
	global_store_b64 v[9:10], v[12:13], off
.LBB433_1732:
	s_and_not1_b32 vcc_lo, exec_lo, s0
	s_cbranch_vccnz .LBB433_1734
; %bb.1733:
	v_bfe_i32 v5, v3, 0, 16
	global_store_b32 v[9:10], v5, off
.LBB433_1734:
	s_mov_b32 s0, 0
.LBB433_1735:
	s_delay_alu instid0(SALU_CYCLE_1)
	s_and_not1_b32 vcc_lo, exec_lo, s0
	s_cbranch_vccnz .LBB433_1737
; %bb.1736:
	global_store_b16 v[9:10], v3, off
.LBB433_1737:
	s_mov_b32 s0, 0
.LBB433_1738:
	s_delay_alu instid0(SALU_CYCLE_1)
	s_and_not1_b32 vcc_lo, exec_lo, s0
	s_cbranch_vccnz .LBB433_1743
; %bb.1739:
	v_cmp_lt_i16_e32 vcc_lo, 0, v11
	s_mov_b32 s0, -1
	s_cbranch_vccz .LBB433_1741
; %bb.1740:
	s_mov_b32 s0, 0
	global_store_b8 v[9:10], v3, off
.LBB433_1741:
	s_and_not1_b32 vcc_lo, exec_lo, s0
	s_cbranch_vccnz .LBB433_1743
; %bb.1742:
	global_store_b8 v[9:10], v3, off
.LBB433_1743:
	s_mov_b32 s6, -1
.LBB433_1744:
	s_delay_alu instid0(SALU_CYCLE_1)
	s_and_not1_b32 vcc_lo, exec_lo, s6
	s_cbranch_vccnz .LBB433_2057
; %bb.1745:
	v_bfe_i32 v3, v8, 0, 8
	v_cmp_gt_i16_e32 vcc_lo, 11, v11
	v_add_co_u32 v2, s0, s4, v2
	s_mov_b32 s6, 0
	s_delay_alu instid0(VALU_DEP_3)
	v_min_i16 v5, v3, s2
	v_add_co_ci_u32_e64 v3, null, s5, 0, s0
	s_mov_b32 s0, -1
	s_cbranch_vccnz .LBB433_1823
; %bb.1746:
	v_cmp_lt_i16_e32 vcc_lo, 25, v11
	s_mov_b32 s7, -1
	s_mov_b32 s3, 0
	s_mov_b32 s0, 0
	s_cbranch_vccz .LBB433_1779
; %bb.1747:
	v_cmp_lt_i16_e32 vcc_lo, 28, v11
	s_cbranch_vccz .LBB433_1762
; %bb.1748:
	v_cmp_lt_i16_e32 vcc_lo, 43, v11
	;; [unrolled: 3-line block ×3, first 2 shown]
	s_cbranch_vccz .LBB433_1752
; %bb.1750:
	v_cmp_eq_u16_e32 vcc_lo, 46, v11
	s_mov_b32 s0, -1
	s_mov_b32 s7, 0
	s_cbranch_vccz .LBB433_1752
; %bb.1751:
	v_bfe_i32 v7, v5, 0, 16
	s_mov_b32 s0, 0
	s_mov_b32 s6, -1
	s_delay_alu instid0(VALU_DEP_1) | instskip(NEXT) | instid1(VALU_DEP_1)
	v_cvt_f32_i32_e32 v7, v7
	v_bfe_u32 v8, v7, 16, 1
	s_delay_alu instid0(VALU_DEP_1) | instskip(NEXT) | instid1(VALU_DEP_1)
	v_add3_u32 v7, v7, v8, 0x7fff
	v_lshrrev_b32_e32 v7, 16, v7
	global_store_b32 v[2:3], v7, off
.LBB433_1752:
	s_and_b32 vcc_lo, exec_lo, s7
	s_cbranch_vccz .LBB433_1757
; %bb.1753:
	v_cmp_eq_u16_e32 vcc_lo, 44, v11
	s_mov_b32 s0, -1
	s_cbranch_vccz .LBB433_1757
; %bb.1754:
	v_bfe_i32 v7, v5, 0, 16
	v_mov_b32_e32 v8, 0xff
	s_mov_b32 s6, exec_lo
	s_delay_alu instid0(VALU_DEP_2) | instskip(NEXT) | instid1(VALU_DEP_1)
	v_cvt_f32_i32_e32 v7, v7
	v_bfe_u32 v9, v7, 23, 8
	s_delay_alu instid0(VALU_DEP_1)
	v_cmpx_ne_u32_e32 0xff, v9
; %bb.1755:
	v_and_b32_e32 v8, 0x400000, v7
	v_and_or_b32 v9, 0x3fffff, v7, v9
	v_lshrrev_b32_e32 v7, 23, v7
	s_delay_alu instid0(VALU_DEP_3) | instskip(NEXT) | instid1(VALU_DEP_3)
	v_cmp_ne_u32_e32 vcc_lo, 0, v8
	v_cmp_ne_u32_e64 s0, 0, v9
	s_delay_alu instid0(VALU_DEP_1) | instskip(NEXT) | instid1(SALU_CYCLE_1)
	s_and_b32 s0, vcc_lo, s0
	v_cndmask_b32_e64 v8, 0, 1, s0
	s_delay_alu instid0(VALU_DEP_1)
	v_add_nc_u32_e32 v8, v7, v8
; %bb.1756:
	s_or_b32 exec_lo, exec_lo, s6
	s_mov_b32 s0, 0
	s_mov_b32 s6, -1
	global_store_b8 v[2:3], v8, off
.LBB433_1757:
	s_mov_b32 s7, 0
.LBB433_1758:
	s_delay_alu instid0(SALU_CYCLE_1)
	s_and_b32 vcc_lo, exec_lo, s7
	s_cbranch_vccz .LBB433_1761
; %bb.1759:
	v_cmp_eq_u16_e32 vcc_lo, 29, v11
	s_mov_b32 s0, -1
	s_cbranch_vccz .LBB433_1761
; %bb.1760:
	v_bfe_i32 v7, v5, 0, 16
	s_mov_b32 s0, 0
	s_mov_b32 s6, -1
	s_delay_alu instid0(VALU_DEP_1)
	v_ashrrev_i32_e32 v8, 31, v7
	global_store_b64 v[2:3], v[7:8], off
.LBB433_1761:
	s_mov_b32 s7, 0
.LBB433_1762:
	s_delay_alu instid0(SALU_CYCLE_1)
	s_and_b32 vcc_lo, exec_lo, s7
	s_cbranch_vccz .LBB433_1778
; %bb.1763:
	v_cmp_gt_i16_e32 vcc_lo, 27, v11
	s_mov_b32 s6, -1
	s_cbranch_vccnz .LBB433_1769
; %bb.1764:
	v_cmp_lt_i16_e32 vcc_lo, 27, v11
	s_cbranch_vccz .LBB433_1766
; %bb.1765:
	v_bfe_i32 v7, v5, 0, 16
	s_mov_b32 s6, 0
	global_store_b32 v[2:3], v7, off
.LBB433_1766:
	s_and_not1_b32 vcc_lo, exec_lo, s6
	s_cbranch_vccnz .LBB433_1768
; %bb.1767:
	global_store_b16 v[2:3], v5, off
.LBB433_1768:
	s_mov_b32 s6, 0
.LBB433_1769:
	s_delay_alu instid0(SALU_CYCLE_1)
	s_and_not1_b32 vcc_lo, exec_lo, s6
	s_cbranch_vccnz .LBB433_1777
; %bb.1770:
	v_bfe_i32 v7, v5, 0, 16
	v_mov_b32_e32 v9, 0x80
	s_mov_b32 s6, exec_lo
	s_delay_alu instid0(VALU_DEP_2) | instskip(NEXT) | instid1(VALU_DEP_1)
	v_cvt_f32_i32_e32 v7, v7
	v_and_b32_e32 v8, 0x7fffffff, v7
	s_delay_alu instid0(VALU_DEP_1)
	v_cmpx_gt_u32_e32 0x43800000, v8
	s_cbranch_execz .LBB433_1776
; %bb.1771:
	v_cmp_lt_u32_e32 vcc_lo, 0x3bffffff, v8
	s_mov_b32 s7, 0
                                        ; implicit-def: $vgpr8
	s_and_saveexec_b32 s10, vcc_lo
	s_delay_alu instid0(SALU_CYCLE_1)
	s_xor_b32 s10, exec_lo, s10
	s_cbranch_execz .LBB433_2112
; %bb.1772:
	v_bfe_u32 v8, v7, 20, 1
	s_mov_b32 s7, exec_lo
	s_delay_alu instid0(VALU_DEP_1) | instskip(NEXT) | instid1(VALU_DEP_1)
	v_add3_u32 v8, v7, v8, 0x487ffff
	v_lshrrev_b32_e32 v8, 20, v8
	s_or_saveexec_b32 s10, s10
                                        ; implicit-def: $sgpr11
	s_delay_alu instid0(SALU_CYCLE_1)
	s_xor_b32 exec_lo, exec_lo, s10
	s_cbranch_execnz .LBB433_2113
.LBB433_1773:
	s_or_b32 exec_lo, exec_lo, s10
	v_mov_b32_e32 v9, s11
	s_and_saveexec_b32 s10, s7
.LBB433_1774:
	v_lshrrev_b32_e32 v7, 24, v7
	s_delay_alu instid0(VALU_DEP_1)
	v_and_or_b32 v9, 0x80, v7, v8
.LBB433_1775:
	s_or_b32 exec_lo, exec_lo, s10
.LBB433_1776:
	s_delay_alu instid0(SALU_CYCLE_1)
	s_or_b32 exec_lo, exec_lo, s6
	global_store_b8 v[2:3], v9, off
.LBB433_1777:
	s_mov_b32 s6, -1
.LBB433_1778:
	s_mov_b32 s7, 0
.LBB433_1779:
	s_delay_alu instid0(SALU_CYCLE_1)
	s_and_b32 vcc_lo, exec_lo, s7
	s_cbranch_vccz .LBB433_1819
; %bb.1780:
	v_cmp_lt_i16_e32 vcc_lo, 22, v11
	s_mov_b32 s3, -1
	s_cbranch_vccz .LBB433_1812
; %bb.1781:
	v_cmp_gt_i16_e32 vcc_lo, 24, v11
	s_cbranch_vccnz .LBB433_1801
; %bb.1782:
	v_cmp_lt_i16_e32 vcc_lo, 24, v11
	s_cbranch_vccz .LBB433_1790
; %bb.1783:
	v_bfe_i32 v7, v5, 0, 16
	v_mov_b32_e32 v9, 0x80
	s_mov_b32 s3, exec_lo
	s_delay_alu instid0(VALU_DEP_2) | instskip(NEXT) | instid1(VALU_DEP_1)
	v_cvt_f32_i32_e32 v7, v7
	v_and_b32_e32 v8, 0x7fffffff, v7
	s_delay_alu instid0(VALU_DEP_1)
	v_cmpx_gt_u32_e32 0x47800000, v8
	s_cbranch_execz .LBB433_1789
; %bb.1784:
	v_cmp_lt_u32_e32 vcc_lo, 0x37ffffff, v8
	s_mov_b32 s6, 0
                                        ; implicit-def: $vgpr8
	s_and_saveexec_b32 s7, vcc_lo
	s_delay_alu instid0(SALU_CYCLE_1)
	s_xor_b32 s7, exec_lo, s7
	s_cbranch_execz .LBB433_2118
; %bb.1785:
	v_bfe_u32 v8, v7, 21, 1
	s_mov_b32 s6, exec_lo
	s_delay_alu instid0(VALU_DEP_1) | instskip(NEXT) | instid1(VALU_DEP_1)
	v_add3_u32 v8, v7, v8, 0x88fffff
	v_lshrrev_b32_e32 v8, 21, v8
	s_or_saveexec_b32 s7, s7
                                        ; implicit-def: $sgpr10
	s_delay_alu instid0(SALU_CYCLE_1)
	s_xor_b32 exec_lo, exec_lo, s7
	s_cbranch_execnz .LBB433_2119
.LBB433_1786:
	s_or_b32 exec_lo, exec_lo, s7
	v_mov_b32_e32 v9, s10
	s_and_saveexec_b32 s7, s6
.LBB433_1787:
	v_lshrrev_b32_e32 v7, 24, v7
	s_delay_alu instid0(VALU_DEP_1)
	v_and_or_b32 v9, 0x80, v7, v8
.LBB433_1788:
	s_or_b32 exec_lo, exec_lo, s7
.LBB433_1789:
	s_delay_alu instid0(SALU_CYCLE_1)
	s_or_b32 exec_lo, exec_lo, s3
	s_mov_b32 s3, 0
	global_store_b8 v[2:3], v9, off
.LBB433_1790:
	s_and_b32 vcc_lo, exec_lo, s3
	s_cbranch_vccz .LBB433_1800
; %bb.1791:
	v_bfe_i32 v7, v5, 0, 16
	s_mov_b32 s3, exec_lo
                                        ; implicit-def: $vgpr8
	s_delay_alu instid0(VALU_DEP_1) | instskip(NEXT) | instid1(VALU_DEP_1)
	v_cvt_f32_i32_e32 v7, v7
	v_and_b32_e32 v9, 0x7fffffff, v7
	s_delay_alu instid0(VALU_DEP_1)
	v_cmpx_gt_u32_e32 0x43f00000, v9
	s_xor_b32 s3, exec_lo, s3
	s_cbranch_execz .LBB433_1797
; %bb.1792:
	s_mov_b32 s6, exec_lo
                                        ; implicit-def: $vgpr8
	v_cmpx_lt_u32_e32 0x3c7fffff, v9
	s_xor_b32 s6, exec_lo, s6
; %bb.1793:
	v_bfe_u32 v8, v7, 20, 1
	s_delay_alu instid0(VALU_DEP_1) | instskip(NEXT) | instid1(VALU_DEP_1)
	v_add3_u32 v8, v7, v8, 0x407ffff
	v_and_b32_e32 v9, 0xff00000, v8
	v_lshrrev_b32_e32 v8, 20, v8
	s_delay_alu instid0(VALU_DEP_2) | instskip(NEXT) | instid1(VALU_DEP_2)
	v_cmp_ne_u32_e32 vcc_lo, 0x7f00000, v9
	v_cndmask_b32_e32 v8, 0x7e, v8, vcc_lo
; %bb.1794:
	s_and_not1_saveexec_b32 s6, s6
; %bb.1795:
	v_add_f32_e64 v8, 0x46800000, |v7|
; %bb.1796:
	s_or_b32 exec_lo, exec_lo, s6
                                        ; implicit-def: $vgpr9
.LBB433_1797:
	s_and_not1_saveexec_b32 s3, s3
; %bb.1798:
	v_mov_b32_e32 v8, 0x7f
	v_cmp_lt_u32_e32 vcc_lo, 0x7f800000, v9
	s_delay_alu instid0(VALU_DEP_2)
	v_cndmask_b32_e32 v8, 0x7e, v8, vcc_lo
; %bb.1799:
	s_or_b32 exec_lo, exec_lo, s3
	v_lshrrev_b32_e32 v7, 24, v7
	s_delay_alu instid0(VALU_DEP_1)
	v_and_or_b32 v7, 0x80, v7, v8
	global_store_b8 v[2:3], v7, off
.LBB433_1800:
	s_mov_b32 s3, 0
.LBB433_1801:
	s_delay_alu instid0(SALU_CYCLE_1)
	s_and_not1_b32 vcc_lo, exec_lo, s3
	s_cbranch_vccnz .LBB433_1811
; %bb.1802:
	v_bfe_i32 v7, v5, 0, 16
	s_mov_b32 s3, exec_lo
                                        ; implicit-def: $vgpr8
	s_delay_alu instid0(VALU_DEP_1) | instskip(NEXT) | instid1(VALU_DEP_1)
	v_cvt_f32_i32_e32 v7, v7
	v_and_b32_e32 v9, 0x7fffffff, v7
	s_delay_alu instid0(VALU_DEP_1)
	v_cmpx_gt_u32_e32 0x47800000, v9
	s_xor_b32 s3, exec_lo, s3
	s_cbranch_execz .LBB433_1808
; %bb.1803:
	s_mov_b32 s6, exec_lo
                                        ; implicit-def: $vgpr8
	v_cmpx_lt_u32_e32 0x387fffff, v9
	s_xor_b32 s6, exec_lo, s6
; %bb.1804:
	v_bfe_u32 v8, v7, 21, 1
	s_delay_alu instid0(VALU_DEP_1) | instskip(NEXT) | instid1(VALU_DEP_1)
	v_add3_u32 v8, v7, v8, 0x80fffff
	v_lshrrev_b32_e32 v8, 21, v8
; %bb.1805:
	s_and_not1_saveexec_b32 s6, s6
; %bb.1806:
	v_add_f32_e64 v8, 0x43000000, |v7|
; %bb.1807:
	s_or_b32 exec_lo, exec_lo, s6
                                        ; implicit-def: $vgpr9
.LBB433_1808:
	s_and_not1_saveexec_b32 s3, s3
; %bb.1809:
	v_mov_b32_e32 v8, 0x7f
	v_cmp_lt_u32_e32 vcc_lo, 0x7f800000, v9
	s_delay_alu instid0(VALU_DEP_2)
	v_cndmask_b32_e32 v8, 0x7c, v8, vcc_lo
; %bb.1810:
	s_or_b32 exec_lo, exec_lo, s3
	v_lshrrev_b32_e32 v7, 24, v7
	s_delay_alu instid0(VALU_DEP_1)
	v_and_or_b32 v7, 0x80, v7, v8
	global_store_b8 v[2:3], v7, off
.LBB433_1811:
	s_mov_b32 s3, 0
	s_mov_b32 s6, -1
.LBB433_1812:
	s_and_not1_b32 vcc_lo, exec_lo, s3
	s_mov_b32 s3, 0
	s_cbranch_vccnz .LBB433_1819
; %bb.1813:
	v_cmp_lt_i16_e32 vcc_lo, 14, v11
	s_mov_b32 s3, -1
	s_cbranch_vccz .LBB433_1817
; %bb.1814:
	v_cmp_eq_u16_e32 vcc_lo, 15, v11
	s_mov_b32 s0, -1
	s_cbranch_vccz .LBB433_1816
; %bb.1815:
	v_bfe_i32 v7, v5, 0, 16
	s_mov_b32 s0, 0
	s_mov_b32 s6, -1
	s_delay_alu instid0(VALU_DEP_1) | instskip(NEXT) | instid1(VALU_DEP_1)
	v_cvt_f32_i32_e32 v7, v7
	v_bfe_u32 v8, v7, 16, 1
	s_delay_alu instid0(VALU_DEP_1)
	v_add3_u32 v7, v7, v8, 0x7fff
	global_store_d16_hi_b16 v[2:3], v7, off
.LBB433_1816:
	s_mov_b32 s3, 0
.LBB433_1817:
	s_delay_alu instid0(SALU_CYCLE_1)
	s_and_b32 vcc_lo, exec_lo, s3
	s_mov_b32 s3, 0
	s_cbranch_vccz .LBB433_1819
; %bb.1818:
	v_cmp_ne_u16_e64 s0, 11, v11
	s_mov_b32 s3, -1
.LBB433_1819:
	s_delay_alu instid0(VALU_DEP_1)
	s_and_b32 vcc_lo, exec_lo, s0
	s_cbranch_vccnz .LBB433_2116
; %bb.1820:
	s_and_not1_b32 vcc_lo, exec_lo, s3
	s_cbranch_vccnz .LBB433_1822
.LBB433_1821:
	v_cmp_ne_u16_e32 vcc_lo, 0, v5
	s_mov_b32 s6, -1
	v_cndmask_b32_e64 v7, 0, 1, vcc_lo
	global_store_b8 v[2:3], v7, off
.LBB433_1822:
	s_mov_b32 s0, 0
.LBB433_1823:
	s_delay_alu instid0(SALU_CYCLE_1)
	s_and_b32 vcc_lo, exec_lo, s0
	s_cbranch_vccz .LBB433_1862
; %bb.1824:
	v_cmp_gt_i16_e32 vcc_lo, 5, v11
	s_mov_b32 s0, -1
	s_cbranch_vccnz .LBB433_1845
; %bb.1825:
	v_cmp_gt_i16_e32 vcc_lo, 8, v11
	s_cbranch_vccnz .LBB433_1835
; %bb.1826:
	v_cmp_gt_i16_e32 vcc_lo, 9, v11
	s_cbranch_vccnz .LBB433_1832
; %bb.1827:
	v_cmp_lt_i16_e32 vcc_lo, 9, v11
	s_cbranch_vccz .LBB433_1829
; %bb.1828:
	v_bfe_i32 v7, v5, 0, 16
	v_mov_b32_e32 v9, 0
	s_mov_b32 s0, 0
	s_delay_alu instid0(VALU_DEP_2) | instskip(NEXT) | instid1(VALU_DEP_2)
	v_cvt_f64_i32_e32 v[7:8], v7
	v_mov_b32_e32 v10, v9
	global_store_b128 v[2:3], v[7:10], off
.LBB433_1829:
	s_and_not1_b32 vcc_lo, exec_lo, s0
	s_cbranch_vccnz .LBB433_1831
; %bb.1830:
	v_bfe_i32 v7, v5, 0, 16
	v_mov_b32_e32 v8, 0
	s_delay_alu instid0(VALU_DEP_2)
	v_cvt_f32_i32_e32 v7, v7
	global_store_b64 v[2:3], v[7:8], off
.LBB433_1831:
	s_mov_b32 s0, 0
.LBB433_1832:
	s_delay_alu instid0(SALU_CYCLE_1)
	s_and_not1_b32 vcc_lo, exec_lo, s0
	s_cbranch_vccnz .LBB433_1834
; %bb.1833:
	v_cvt_f16_i16_e32 v7, v5
	s_delay_alu instid0(VALU_DEP_1)
	v_and_b32_e32 v7, 0xffff, v7
	global_store_b32 v[2:3], v7, off
.LBB433_1834:
	s_mov_b32 s0, 0
.LBB433_1835:
	s_delay_alu instid0(SALU_CYCLE_1)
	s_and_not1_b32 vcc_lo, exec_lo, s0
	s_cbranch_vccnz .LBB433_1844
; %bb.1836:
	v_cmp_gt_i16_e32 vcc_lo, 6, v11
	s_mov_b32 s0, -1
	s_cbranch_vccnz .LBB433_1842
; %bb.1837:
	v_cmp_lt_i16_e32 vcc_lo, 6, v11
	s_cbranch_vccz .LBB433_1839
; %bb.1838:
	v_bfe_i32 v7, v5, 0, 16
	s_mov_b32 s0, 0
	s_delay_alu instid0(VALU_DEP_1)
	v_cvt_f64_i32_e32 v[7:8], v7
	global_store_b64 v[2:3], v[7:8], off
.LBB433_1839:
	s_and_not1_b32 vcc_lo, exec_lo, s0
	s_cbranch_vccnz .LBB433_1841
; %bb.1840:
	v_bfe_i32 v7, v5, 0, 16
	s_delay_alu instid0(VALU_DEP_1)
	v_cvt_f32_i32_e32 v7, v7
	global_store_b32 v[2:3], v7, off
.LBB433_1841:
	s_mov_b32 s0, 0
.LBB433_1842:
	s_delay_alu instid0(SALU_CYCLE_1)
	s_and_not1_b32 vcc_lo, exec_lo, s0
	s_cbranch_vccnz .LBB433_1844
; %bb.1843:
	v_cvt_f16_i16_e32 v7, v5
	global_store_b16 v[2:3], v7, off
.LBB433_1844:
	s_mov_b32 s0, 0
.LBB433_1845:
	s_delay_alu instid0(SALU_CYCLE_1)
	s_and_not1_b32 vcc_lo, exec_lo, s0
	s_cbranch_vccnz .LBB433_1861
; %bb.1846:
	v_cmp_gt_i16_e32 vcc_lo, 2, v11
	s_mov_b32 s0, -1
	s_cbranch_vccnz .LBB433_1856
; %bb.1847:
	v_cmp_gt_i16_e32 vcc_lo, 3, v11
	s_cbranch_vccnz .LBB433_1853
; %bb.1848:
	v_cmp_lt_i16_e32 vcc_lo, 3, v11
	v_bfe_i32 v7, v5, 0, 16
	s_cbranch_vccz .LBB433_1850
; %bb.1849:
	s_delay_alu instid0(VALU_DEP_1)
	v_ashrrev_i32_e32 v8, 31, v7
	s_mov_b32 s0, 0
	global_store_b64 v[2:3], v[7:8], off
.LBB433_1850:
	s_and_not1_b32 vcc_lo, exec_lo, s0
	s_cbranch_vccnz .LBB433_1852
; %bb.1851:
	global_store_b32 v[2:3], v7, off
.LBB433_1852:
	s_mov_b32 s0, 0
.LBB433_1853:
	s_delay_alu instid0(SALU_CYCLE_1)
	s_and_not1_b32 vcc_lo, exec_lo, s0
	s_cbranch_vccnz .LBB433_1855
; %bb.1854:
	global_store_b16 v[2:3], v5, off
.LBB433_1855:
	s_mov_b32 s0, 0
.LBB433_1856:
	s_delay_alu instid0(SALU_CYCLE_1)
	s_and_not1_b32 vcc_lo, exec_lo, s0
	s_cbranch_vccnz .LBB433_1861
; %bb.1857:
	v_cmp_lt_i16_e32 vcc_lo, 0, v11
	s_mov_b32 s0, -1
	s_cbranch_vccz .LBB433_1859
; %bb.1858:
	s_mov_b32 s0, 0
	global_store_b8 v[2:3], v5, off
.LBB433_1859:
	s_and_not1_b32 vcc_lo, exec_lo, s0
	s_cbranch_vccnz .LBB433_1861
; %bb.1860:
	global_store_b8 v[2:3], v5, off
.LBB433_1861:
	s_mov_b32 s6, -1
.LBB433_1862:
	s_delay_alu instid0(SALU_CYCLE_1)
	s_and_not1_b32 vcc_lo, exec_lo, s6
	s_cbranch_vccnz .LBB433_2057
; %bb.1863:
	v_bfe_i32 v2, v6, 0, 8
	v_cmp_gt_i16_e32 vcc_lo, 11, v11
	v_add_co_u32 v1, s0, s4, v1
	s_mov_b32 s6, 0
	s_delay_alu instid0(VALU_DEP_3)
	v_min_i16 v3, v2, s2
	v_add_co_ci_u32_e64 v2, null, s5, 0, s0
	s_mov_b32 s0, -1
	s_cbranch_vccnz .LBB433_1941
; %bb.1864:
	v_cmp_lt_i16_e32 vcc_lo, 25, v11
	s_mov_b32 s7, -1
	s_mov_b32 s3, 0
	s_mov_b32 s0, 0
	s_cbranch_vccz .LBB433_1897
; %bb.1865:
	v_cmp_lt_i16_e32 vcc_lo, 28, v11
	s_cbranch_vccz .LBB433_1880
; %bb.1866:
	v_cmp_lt_i16_e32 vcc_lo, 43, v11
	;; [unrolled: 3-line block ×3, first 2 shown]
	s_cbranch_vccz .LBB433_1870
; %bb.1868:
	v_cmp_eq_u16_e32 vcc_lo, 46, v11
	s_mov_b32 s0, -1
	s_mov_b32 s7, 0
	s_cbranch_vccz .LBB433_1870
; %bb.1869:
	v_bfe_i32 v5, v3, 0, 16
	s_mov_b32 s0, 0
	s_mov_b32 s6, -1
	s_delay_alu instid0(VALU_DEP_1) | instskip(NEXT) | instid1(VALU_DEP_1)
	v_cvt_f32_i32_e32 v5, v5
	v_bfe_u32 v6, v5, 16, 1
	s_delay_alu instid0(VALU_DEP_1) | instskip(NEXT) | instid1(VALU_DEP_1)
	v_add3_u32 v5, v5, v6, 0x7fff
	v_lshrrev_b32_e32 v5, 16, v5
	global_store_b32 v[1:2], v5, off
.LBB433_1870:
	s_and_b32 vcc_lo, exec_lo, s7
	s_cbranch_vccz .LBB433_1875
; %bb.1871:
	v_cmp_eq_u16_e32 vcc_lo, 44, v11
	s_mov_b32 s0, -1
	s_cbranch_vccz .LBB433_1875
; %bb.1872:
	v_bfe_i32 v5, v3, 0, 16
	v_mov_b32_e32 v6, 0xff
	s_mov_b32 s6, exec_lo
	s_delay_alu instid0(VALU_DEP_2) | instskip(NEXT) | instid1(VALU_DEP_1)
	v_cvt_f32_i32_e32 v5, v5
	v_bfe_u32 v7, v5, 23, 8
	s_delay_alu instid0(VALU_DEP_1)
	v_cmpx_ne_u32_e32 0xff, v7
; %bb.1873:
	v_and_b32_e32 v6, 0x400000, v5
	v_and_or_b32 v7, 0x3fffff, v5, v7
	v_lshrrev_b32_e32 v5, 23, v5
	s_delay_alu instid0(VALU_DEP_3) | instskip(NEXT) | instid1(VALU_DEP_3)
	v_cmp_ne_u32_e32 vcc_lo, 0, v6
	v_cmp_ne_u32_e64 s0, 0, v7
	s_delay_alu instid0(VALU_DEP_1) | instskip(NEXT) | instid1(SALU_CYCLE_1)
	s_and_b32 s0, vcc_lo, s0
	v_cndmask_b32_e64 v6, 0, 1, s0
	s_delay_alu instid0(VALU_DEP_1)
	v_add_nc_u32_e32 v6, v5, v6
; %bb.1874:
	s_or_b32 exec_lo, exec_lo, s6
	s_mov_b32 s0, 0
	s_mov_b32 s6, -1
	global_store_b8 v[1:2], v6, off
.LBB433_1875:
	s_mov_b32 s7, 0
.LBB433_1876:
	s_delay_alu instid0(SALU_CYCLE_1)
	s_and_b32 vcc_lo, exec_lo, s7
	s_cbranch_vccz .LBB433_1879
; %bb.1877:
	v_cmp_eq_u16_e32 vcc_lo, 29, v11
	s_mov_b32 s0, -1
	s_cbranch_vccz .LBB433_1879
; %bb.1878:
	v_bfe_i32 v5, v3, 0, 16
	s_mov_b32 s0, 0
	s_mov_b32 s6, -1
	s_delay_alu instid0(VALU_DEP_1)
	v_ashrrev_i32_e32 v6, 31, v5
	global_store_b64 v[1:2], v[5:6], off
.LBB433_1879:
	s_mov_b32 s7, 0
.LBB433_1880:
	s_delay_alu instid0(SALU_CYCLE_1)
	s_and_b32 vcc_lo, exec_lo, s7
	s_cbranch_vccz .LBB433_1896
; %bb.1881:
	v_cmp_gt_i16_e32 vcc_lo, 27, v11
	s_mov_b32 s6, -1
	s_cbranch_vccnz .LBB433_1887
; %bb.1882:
	v_cmp_lt_i16_e32 vcc_lo, 27, v11
	s_cbranch_vccz .LBB433_1884
; %bb.1883:
	v_bfe_i32 v5, v3, 0, 16
	s_mov_b32 s6, 0
	global_store_b32 v[1:2], v5, off
.LBB433_1884:
	s_and_not1_b32 vcc_lo, exec_lo, s6
	s_cbranch_vccnz .LBB433_1886
; %bb.1885:
	global_store_b16 v[1:2], v3, off
.LBB433_1886:
	s_mov_b32 s6, 0
.LBB433_1887:
	s_delay_alu instid0(SALU_CYCLE_1)
	s_and_not1_b32 vcc_lo, exec_lo, s6
	s_cbranch_vccnz .LBB433_1895
; %bb.1888:
	v_bfe_i32 v5, v3, 0, 16
	v_mov_b32_e32 v7, 0x80
	s_mov_b32 s6, exec_lo
	s_delay_alu instid0(VALU_DEP_2) | instskip(NEXT) | instid1(VALU_DEP_1)
	v_cvt_f32_i32_e32 v5, v5
	v_and_b32_e32 v6, 0x7fffffff, v5
	s_delay_alu instid0(VALU_DEP_1)
	v_cmpx_gt_u32_e32 0x43800000, v6
	s_cbranch_execz .LBB433_1894
; %bb.1889:
	v_cmp_lt_u32_e32 vcc_lo, 0x3bffffff, v6
	s_mov_b32 s7, 0
                                        ; implicit-def: $vgpr6
	s_and_saveexec_b32 s10, vcc_lo
	s_delay_alu instid0(SALU_CYCLE_1)
	s_xor_b32 s10, exec_lo, s10
	s_cbranch_execz .LBB433_2120
; %bb.1890:
	v_bfe_u32 v6, v5, 20, 1
	s_mov_b32 s7, exec_lo
	s_delay_alu instid0(VALU_DEP_1) | instskip(NEXT) | instid1(VALU_DEP_1)
	v_add3_u32 v6, v5, v6, 0x487ffff
	v_lshrrev_b32_e32 v6, 20, v6
	s_or_saveexec_b32 s10, s10
                                        ; implicit-def: $sgpr11
	s_delay_alu instid0(SALU_CYCLE_1)
	s_xor_b32 exec_lo, exec_lo, s10
	s_cbranch_execnz .LBB433_2121
.LBB433_1891:
	s_or_b32 exec_lo, exec_lo, s10
	v_mov_b32_e32 v7, s11
	s_and_saveexec_b32 s10, s7
.LBB433_1892:
	v_lshrrev_b32_e32 v5, 24, v5
	s_delay_alu instid0(VALU_DEP_1)
	v_and_or_b32 v7, 0x80, v5, v6
.LBB433_1893:
	s_or_b32 exec_lo, exec_lo, s10
.LBB433_1894:
	s_delay_alu instid0(SALU_CYCLE_1)
	s_or_b32 exec_lo, exec_lo, s6
	global_store_b8 v[1:2], v7, off
.LBB433_1895:
	s_mov_b32 s6, -1
.LBB433_1896:
	s_mov_b32 s7, 0
.LBB433_1897:
	s_delay_alu instid0(SALU_CYCLE_1)
	s_and_b32 vcc_lo, exec_lo, s7
	s_cbranch_vccz .LBB433_1937
; %bb.1898:
	v_cmp_lt_i16_e32 vcc_lo, 22, v11
	s_mov_b32 s3, -1
	s_cbranch_vccz .LBB433_1930
; %bb.1899:
	v_cmp_gt_i16_e32 vcc_lo, 24, v11
	s_cbranch_vccnz .LBB433_1919
; %bb.1900:
	v_cmp_lt_i16_e32 vcc_lo, 24, v11
	s_cbranch_vccz .LBB433_1908
; %bb.1901:
	v_bfe_i32 v5, v3, 0, 16
	v_mov_b32_e32 v7, 0x80
	s_mov_b32 s3, exec_lo
	s_delay_alu instid0(VALU_DEP_2) | instskip(NEXT) | instid1(VALU_DEP_1)
	v_cvt_f32_i32_e32 v5, v5
	v_and_b32_e32 v6, 0x7fffffff, v5
	s_delay_alu instid0(VALU_DEP_1)
	v_cmpx_gt_u32_e32 0x47800000, v6
	s_cbranch_execz .LBB433_1907
; %bb.1902:
	v_cmp_lt_u32_e32 vcc_lo, 0x37ffffff, v6
	s_mov_b32 s6, 0
                                        ; implicit-def: $vgpr6
	s_and_saveexec_b32 s7, vcc_lo
	s_delay_alu instid0(SALU_CYCLE_1)
	s_xor_b32 s7, exec_lo, s7
	s_cbranch_execz .LBB433_2126
; %bb.1903:
	v_bfe_u32 v6, v5, 21, 1
	s_mov_b32 s6, exec_lo
	s_delay_alu instid0(VALU_DEP_1) | instskip(NEXT) | instid1(VALU_DEP_1)
	v_add3_u32 v6, v5, v6, 0x88fffff
	v_lshrrev_b32_e32 v6, 21, v6
	s_or_saveexec_b32 s7, s7
                                        ; implicit-def: $sgpr10
	s_delay_alu instid0(SALU_CYCLE_1)
	s_xor_b32 exec_lo, exec_lo, s7
	s_cbranch_execnz .LBB433_2127
.LBB433_1904:
	s_or_b32 exec_lo, exec_lo, s7
	v_mov_b32_e32 v7, s10
	s_and_saveexec_b32 s7, s6
.LBB433_1905:
	v_lshrrev_b32_e32 v5, 24, v5
	s_delay_alu instid0(VALU_DEP_1)
	v_and_or_b32 v7, 0x80, v5, v6
.LBB433_1906:
	s_or_b32 exec_lo, exec_lo, s7
.LBB433_1907:
	s_delay_alu instid0(SALU_CYCLE_1)
	s_or_b32 exec_lo, exec_lo, s3
	s_mov_b32 s3, 0
	global_store_b8 v[1:2], v7, off
.LBB433_1908:
	s_and_b32 vcc_lo, exec_lo, s3
	s_cbranch_vccz .LBB433_1918
; %bb.1909:
	v_bfe_i32 v5, v3, 0, 16
	s_mov_b32 s3, exec_lo
                                        ; implicit-def: $vgpr6
	s_delay_alu instid0(VALU_DEP_1) | instskip(NEXT) | instid1(VALU_DEP_1)
	v_cvt_f32_i32_e32 v5, v5
	v_and_b32_e32 v7, 0x7fffffff, v5
	s_delay_alu instid0(VALU_DEP_1)
	v_cmpx_gt_u32_e32 0x43f00000, v7
	s_xor_b32 s3, exec_lo, s3
	s_cbranch_execz .LBB433_1915
; %bb.1910:
	s_mov_b32 s6, exec_lo
                                        ; implicit-def: $vgpr6
	v_cmpx_lt_u32_e32 0x3c7fffff, v7
	s_xor_b32 s6, exec_lo, s6
; %bb.1911:
	v_bfe_u32 v6, v5, 20, 1
	s_delay_alu instid0(VALU_DEP_1) | instskip(NEXT) | instid1(VALU_DEP_1)
	v_add3_u32 v6, v5, v6, 0x407ffff
	v_and_b32_e32 v7, 0xff00000, v6
	v_lshrrev_b32_e32 v6, 20, v6
	s_delay_alu instid0(VALU_DEP_2) | instskip(NEXT) | instid1(VALU_DEP_2)
	v_cmp_ne_u32_e32 vcc_lo, 0x7f00000, v7
	v_cndmask_b32_e32 v6, 0x7e, v6, vcc_lo
; %bb.1912:
	s_and_not1_saveexec_b32 s6, s6
; %bb.1913:
	v_add_f32_e64 v6, 0x46800000, |v5|
; %bb.1914:
	s_or_b32 exec_lo, exec_lo, s6
                                        ; implicit-def: $vgpr7
.LBB433_1915:
	s_and_not1_saveexec_b32 s3, s3
; %bb.1916:
	v_mov_b32_e32 v6, 0x7f
	v_cmp_lt_u32_e32 vcc_lo, 0x7f800000, v7
	s_delay_alu instid0(VALU_DEP_2)
	v_cndmask_b32_e32 v6, 0x7e, v6, vcc_lo
; %bb.1917:
	s_or_b32 exec_lo, exec_lo, s3
	v_lshrrev_b32_e32 v5, 24, v5
	s_delay_alu instid0(VALU_DEP_1)
	v_and_or_b32 v5, 0x80, v5, v6
	global_store_b8 v[1:2], v5, off
.LBB433_1918:
	s_mov_b32 s3, 0
.LBB433_1919:
	s_delay_alu instid0(SALU_CYCLE_1)
	s_and_not1_b32 vcc_lo, exec_lo, s3
	s_cbranch_vccnz .LBB433_1929
; %bb.1920:
	v_bfe_i32 v5, v3, 0, 16
	s_mov_b32 s3, exec_lo
                                        ; implicit-def: $vgpr6
	s_delay_alu instid0(VALU_DEP_1) | instskip(NEXT) | instid1(VALU_DEP_1)
	v_cvt_f32_i32_e32 v5, v5
	v_and_b32_e32 v7, 0x7fffffff, v5
	s_delay_alu instid0(VALU_DEP_1)
	v_cmpx_gt_u32_e32 0x47800000, v7
	s_xor_b32 s3, exec_lo, s3
	s_cbranch_execz .LBB433_1926
; %bb.1921:
	s_mov_b32 s6, exec_lo
                                        ; implicit-def: $vgpr6
	v_cmpx_lt_u32_e32 0x387fffff, v7
	s_xor_b32 s6, exec_lo, s6
; %bb.1922:
	v_bfe_u32 v6, v5, 21, 1
	s_delay_alu instid0(VALU_DEP_1) | instskip(NEXT) | instid1(VALU_DEP_1)
	v_add3_u32 v6, v5, v6, 0x80fffff
	v_lshrrev_b32_e32 v6, 21, v6
; %bb.1923:
	s_and_not1_saveexec_b32 s6, s6
; %bb.1924:
	v_add_f32_e64 v6, 0x43000000, |v5|
; %bb.1925:
	s_or_b32 exec_lo, exec_lo, s6
                                        ; implicit-def: $vgpr7
.LBB433_1926:
	s_and_not1_saveexec_b32 s3, s3
; %bb.1927:
	v_mov_b32_e32 v6, 0x7f
	v_cmp_lt_u32_e32 vcc_lo, 0x7f800000, v7
	s_delay_alu instid0(VALU_DEP_2)
	v_cndmask_b32_e32 v6, 0x7c, v6, vcc_lo
; %bb.1928:
	s_or_b32 exec_lo, exec_lo, s3
	v_lshrrev_b32_e32 v5, 24, v5
	s_delay_alu instid0(VALU_DEP_1)
	v_and_or_b32 v5, 0x80, v5, v6
	global_store_b8 v[1:2], v5, off
.LBB433_1929:
	s_mov_b32 s3, 0
	s_mov_b32 s6, -1
.LBB433_1930:
	s_and_not1_b32 vcc_lo, exec_lo, s3
	s_mov_b32 s3, 0
	s_cbranch_vccnz .LBB433_1937
; %bb.1931:
	v_cmp_lt_i16_e32 vcc_lo, 14, v11
	s_mov_b32 s3, -1
	s_cbranch_vccz .LBB433_1935
; %bb.1932:
	v_cmp_eq_u16_e32 vcc_lo, 15, v11
	s_mov_b32 s0, -1
	s_cbranch_vccz .LBB433_1934
; %bb.1933:
	v_bfe_i32 v5, v3, 0, 16
	s_mov_b32 s0, 0
	s_mov_b32 s6, -1
	s_delay_alu instid0(VALU_DEP_1) | instskip(NEXT) | instid1(VALU_DEP_1)
	v_cvt_f32_i32_e32 v5, v5
	v_bfe_u32 v6, v5, 16, 1
	s_delay_alu instid0(VALU_DEP_1)
	v_add3_u32 v5, v5, v6, 0x7fff
	global_store_d16_hi_b16 v[1:2], v5, off
.LBB433_1934:
	s_mov_b32 s3, 0
.LBB433_1935:
	s_delay_alu instid0(SALU_CYCLE_1)
	s_and_b32 vcc_lo, exec_lo, s3
	s_mov_b32 s3, 0
	s_cbranch_vccz .LBB433_1937
; %bb.1936:
	v_cmp_ne_u16_e64 s0, 11, v11
	s_mov_b32 s3, -1
.LBB433_1937:
	s_delay_alu instid0(VALU_DEP_1)
	s_and_b32 vcc_lo, exec_lo, s0
	s_cbranch_vccnz .LBB433_2124
; %bb.1938:
	s_and_not1_b32 vcc_lo, exec_lo, s3
	s_cbranch_vccnz .LBB433_1940
.LBB433_1939:
	v_cmp_ne_u16_e32 vcc_lo, 0, v3
	s_mov_b32 s6, -1
	v_cndmask_b32_e64 v5, 0, 1, vcc_lo
	global_store_b8 v[1:2], v5, off
.LBB433_1940:
	s_mov_b32 s0, 0
.LBB433_1941:
	s_delay_alu instid0(SALU_CYCLE_1)
	s_and_b32 vcc_lo, exec_lo, s0
	s_cbranch_vccz .LBB433_1980
; %bb.1942:
	v_cmp_gt_i16_e32 vcc_lo, 5, v11
	s_mov_b32 s0, -1
	s_cbranch_vccnz .LBB433_1963
; %bb.1943:
	v_cmp_gt_i16_e32 vcc_lo, 8, v11
	s_cbranch_vccnz .LBB433_1953
; %bb.1944:
	v_cmp_gt_i16_e32 vcc_lo, 9, v11
	s_cbranch_vccnz .LBB433_1950
; %bb.1945:
	v_cmp_lt_i16_e32 vcc_lo, 9, v11
	s_cbranch_vccz .LBB433_1947
; %bb.1946:
	v_bfe_i32 v5, v3, 0, 16
	v_mov_b32_e32 v7, 0
	s_mov_b32 s0, 0
	s_delay_alu instid0(VALU_DEP_2) | instskip(NEXT) | instid1(VALU_DEP_2)
	v_cvt_f64_i32_e32 v[5:6], v5
	v_mov_b32_e32 v8, v7
	global_store_b128 v[1:2], v[5:8], off
.LBB433_1947:
	s_and_not1_b32 vcc_lo, exec_lo, s0
	s_cbranch_vccnz .LBB433_1949
; %bb.1948:
	v_bfe_i32 v5, v3, 0, 16
	v_mov_b32_e32 v6, 0
	s_delay_alu instid0(VALU_DEP_2)
	v_cvt_f32_i32_e32 v5, v5
	global_store_b64 v[1:2], v[5:6], off
.LBB433_1949:
	s_mov_b32 s0, 0
.LBB433_1950:
	s_delay_alu instid0(SALU_CYCLE_1)
	s_and_not1_b32 vcc_lo, exec_lo, s0
	s_cbranch_vccnz .LBB433_1952
; %bb.1951:
	v_cvt_f16_i16_e32 v5, v3
	s_delay_alu instid0(VALU_DEP_1)
	v_and_b32_e32 v5, 0xffff, v5
	global_store_b32 v[1:2], v5, off
.LBB433_1952:
	s_mov_b32 s0, 0
.LBB433_1953:
	s_delay_alu instid0(SALU_CYCLE_1)
	s_and_not1_b32 vcc_lo, exec_lo, s0
	s_cbranch_vccnz .LBB433_1962
; %bb.1954:
	v_cmp_gt_i16_e32 vcc_lo, 6, v11
	s_mov_b32 s0, -1
	s_cbranch_vccnz .LBB433_1960
; %bb.1955:
	v_cmp_lt_i16_e32 vcc_lo, 6, v11
	s_cbranch_vccz .LBB433_1957
; %bb.1956:
	v_bfe_i32 v5, v3, 0, 16
	s_mov_b32 s0, 0
	s_delay_alu instid0(VALU_DEP_1)
	v_cvt_f64_i32_e32 v[5:6], v5
	global_store_b64 v[1:2], v[5:6], off
.LBB433_1957:
	s_and_not1_b32 vcc_lo, exec_lo, s0
	s_cbranch_vccnz .LBB433_1959
; %bb.1958:
	v_bfe_i32 v5, v3, 0, 16
	s_delay_alu instid0(VALU_DEP_1)
	v_cvt_f32_i32_e32 v5, v5
	global_store_b32 v[1:2], v5, off
.LBB433_1959:
	s_mov_b32 s0, 0
.LBB433_1960:
	s_delay_alu instid0(SALU_CYCLE_1)
	s_and_not1_b32 vcc_lo, exec_lo, s0
	s_cbranch_vccnz .LBB433_1962
; %bb.1961:
	v_cvt_f16_i16_e32 v5, v3
	global_store_b16 v[1:2], v5, off
.LBB433_1962:
	s_mov_b32 s0, 0
.LBB433_1963:
	s_delay_alu instid0(SALU_CYCLE_1)
	s_and_not1_b32 vcc_lo, exec_lo, s0
	s_cbranch_vccnz .LBB433_1979
; %bb.1964:
	v_cmp_gt_i16_e32 vcc_lo, 2, v11
	s_mov_b32 s0, -1
	s_cbranch_vccnz .LBB433_1974
; %bb.1965:
	v_cmp_gt_i16_e32 vcc_lo, 3, v11
	s_cbranch_vccnz .LBB433_1971
; %bb.1966:
	v_cmp_lt_i16_e32 vcc_lo, 3, v11
	v_bfe_i32 v5, v3, 0, 16
	s_cbranch_vccz .LBB433_1968
; %bb.1967:
	s_delay_alu instid0(VALU_DEP_1)
	v_ashrrev_i32_e32 v6, 31, v5
	s_mov_b32 s0, 0
	global_store_b64 v[1:2], v[5:6], off
.LBB433_1968:
	s_and_not1_b32 vcc_lo, exec_lo, s0
	s_cbranch_vccnz .LBB433_1970
; %bb.1969:
	global_store_b32 v[1:2], v5, off
.LBB433_1970:
	s_mov_b32 s0, 0
.LBB433_1971:
	s_delay_alu instid0(SALU_CYCLE_1)
	s_and_not1_b32 vcc_lo, exec_lo, s0
	s_cbranch_vccnz .LBB433_1973
; %bb.1972:
	global_store_b16 v[1:2], v3, off
.LBB433_1973:
	s_mov_b32 s0, 0
.LBB433_1974:
	s_delay_alu instid0(SALU_CYCLE_1)
	s_and_not1_b32 vcc_lo, exec_lo, s0
	s_cbranch_vccnz .LBB433_1979
; %bb.1975:
	v_cmp_lt_i16_e32 vcc_lo, 0, v11
	s_mov_b32 s0, -1
	s_cbranch_vccz .LBB433_1977
; %bb.1976:
	s_mov_b32 s0, 0
	global_store_b8 v[1:2], v3, off
.LBB433_1977:
	s_and_not1_b32 vcc_lo, exec_lo, s0
	s_cbranch_vccnz .LBB433_1979
; %bb.1978:
	global_store_b8 v[1:2], v3, off
.LBB433_1979:
	s_mov_b32 s6, -1
.LBB433_1980:
	s_delay_alu instid0(SALU_CYCLE_1)
	s_and_not1_b32 vcc_lo, exec_lo, s6
	s_cbranch_vccnz .LBB433_2057
; %bb.1981:
	v_bfe_i32 v1, v4, 0, 8
	v_cmp_gt_i16_e32 vcc_lo, 11, v11
	v_add_co_u32 v0, s0, s4, v0
	s_mov_b32 s3, 0
	s_delay_alu instid0(VALU_DEP_3)
	v_min_i16 v2, v1, s2
	v_add_co_ci_u32_e64 v1, null, s5, 0, s0
	s_mov_b32 s0, -1
	s_cbranch_vccnz .LBB433_2058
; %bb.1982:
	v_cmp_lt_i16_e32 vcc_lo, 25, v11
	s_mov_b32 s2, -1
	s_mov_b32 s0, 0
	s_cbranch_vccz .LBB433_2015
; %bb.1983:
	v_cmp_lt_i16_e32 vcc_lo, 28, v11
	s_cbranch_vccz .LBB433_1999
; %bb.1984:
	v_cmp_lt_i16_e32 vcc_lo, 43, v11
	s_cbranch_vccz .LBB433_1995
; %bb.1985:
	v_cmp_lt_i16_e32 vcc_lo, 45, v11
	s_cbranch_vccz .LBB433_1989
; %bb.1986:
	v_cmp_eq_u16_e32 vcc_lo, 46, v11
	s_mov_b32 s0, -1
	s_cbranch_vccz .LBB433_1988
; %bb.1987:
	v_bfe_i32 v3, v2, 0, 16
	s_mov_b32 s0, 0
	s_delay_alu instid0(VALU_DEP_1) | instskip(NEXT) | instid1(VALU_DEP_1)
	v_cvt_f32_i32_e32 v3, v3
	v_bfe_u32 v4, v3, 16, 1
	s_delay_alu instid0(VALU_DEP_1) | instskip(NEXT) | instid1(VALU_DEP_1)
	v_add3_u32 v3, v3, v4, 0x7fff
	v_lshrrev_b32_e32 v3, 16, v3
	global_store_b32 v[0:1], v3, off
.LBB433_1988:
	s_mov_b32 s2, 0
.LBB433_1989:
	s_delay_alu instid0(SALU_CYCLE_1)
	s_and_b32 vcc_lo, exec_lo, s2
	s_cbranch_vccz .LBB433_1994
; %bb.1990:
	v_cmp_eq_u16_e32 vcc_lo, 44, v11
	s_mov_b32 s0, -1
	s_cbranch_vccz .LBB433_1994
; %bb.1991:
	v_bfe_i32 v3, v2, 0, 16
	v_mov_b32_e32 v4, 0xff
	s_mov_b32 s2, exec_lo
	s_delay_alu instid0(VALU_DEP_2) | instskip(NEXT) | instid1(VALU_DEP_1)
	v_cvt_f32_i32_e32 v3, v3
	v_bfe_u32 v5, v3, 23, 8
	s_delay_alu instid0(VALU_DEP_1)
	v_cmpx_ne_u32_e32 0xff, v5
; %bb.1992:
	v_and_b32_e32 v4, 0x400000, v3
	v_and_or_b32 v5, 0x3fffff, v3, v5
	v_lshrrev_b32_e32 v3, 23, v3
	s_delay_alu instid0(VALU_DEP_3) | instskip(NEXT) | instid1(VALU_DEP_3)
	v_cmp_ne_u32_e32 vcc_lo, 0, v4
	v_cmp_ne_u32_e64 s0, 0, v5
	s_delay_alu instid0(VALU_DEP_1) | instskip(NEXT) | instid1(SALU_CYCLE_1)
	s_and_b32 s0, vcc_lo, s0
	v_cndmask_b32_e64 v4, 0, 1, s0
	s_delay_alu instid0(VALU_DEP_1)
	v_add_nc_u32_e32 v4, v3, v4
; %bb.1993:
	s_or_b32 exec_lo, exec_lo, s2
	s_mov_b32 s0, 0
	global_store_b8 v[0:1], v4, off
.LBB433_1994:
	s_mov_b32 s2, 0
.LBB433_1995:
	s_delay_alu instid0(SALU_CYCLE_1)
	s_and_b32 vcc_lo, exec_lo, s2
	s_cbranch_vccz .LBB433_1998
; %bb.1996:
	v_cmp_eq_u16_e32 vcc_lo, 29, v11
	s_mov_b32 s0, -1
	s_cbranch_vccz .LBB433_1998
; %bb.1997:
	v_bfe_i32 v3, v2, 0, 16
	s_mov_b32 s0, 0
	s_delay_alu instid0(VALU_DEP_1)
	v_ashrrev_i32_e32 v4, 31, v3
	global_store_b64 v[0:1], v[3:4], off
.LBB433_1998:
	s_mov_b32 s2, 0
.LBB433_1999:
	s_delay_alu instid0(SALU_CYCLE_1)
	s_and_b32 vcc_lo, exec_lo, s2
	s_cbranch_vccz .LBB433_2014
; %bb.2000:
	v_cmp_gt_i16_e32 vcc_lo, 27, v11
	s_mov_b32 s2, -1
	s_cbranch_vccnz .LBB433_2006
; %bb.2001:
	v_cmp_lt_i16_e32 vcc_lo, 27, v11
	s_cbranch_vccz .LBB433_2003
; %bb.2002:
	v_bfe_i32 v3, v2, 0, 16
	s_mov_b32 s2, 0
	global_store_b32 v[0:1], v3, off
.LBB433_2003:
	s_and_not1_b32 vcc_lo, exec_lo, s2
	s_cbranch_vccnz .LBB433_2005
; %bb.2004:
	global_store_b16 v[0:1], v2, off
.LBB433_2005:
	s_mov_b32 s2, 0
.LBB433_2006:
	s_delay_alu instid0(SALU_CYCLE_1)
	s_and_not1_b32 vcc_lo, exec_lo, s2
	s_cbranch_vccnz .LBB433_2014
; %bb.2007:
	v_bfe_i32 v3, v2, 0, 16
	v_mov_b32_e32 v5, 0x80
	s_mov_b32 s2, exec_lo
	s_delay_alu instid0(VALU_DEP_2) | instskip(NEXT) | instid1(VALU_DEP_1)
	v_cvt_f32_i32_e32 v3, v3
	v_and_b32_e32 v4, 0x7fffffff, v3
	s_delay_alu instid0(VALU_DEP_1)
	v_cmpx_gt_u32_e32 0x43800000, v4
	s_cbranch_execz .LBB433_2013
; %bb.2008:
	v_cmp_lt_u32_e32 vcc_lo, 0x3bffffff, v4
	s_mov_b32 s4, 0
                                        ; implicit-def: $vgpr4
	s_and_saveexec_b32 s5, vcc_lo
	s_delay_alu instid0(SALU_CYCLE_1)
	s_xor_b32 s5, exec_lo, s5
	s_cbranch_execz .LBB433_2128
; %bb.2009:
	v_bfe_u32 v4, v3, 20, 1
	s_mov_b32 s4, exec_lo
	s_delay_alu instid0(VALU_DEP_1) | instskip(NEXT) | instid1(VALU_DEP_1)
	v_add3_u32 v4, v3, v4, 0x487ffff
	v_lshrrev_b32_e32 v4, 20, v4
	s_or_saveexec_b32 s5, s5
                                        ; implicit-def: $sgpr6
	s_delay_alu instid0(SALU_CYCLE_1)
	s_xor_b32 exec_lo, exec_lo, s5
	s_cbranch_execnz .LBB433_2129
.LBB433_2010:
	s_or_b32 exec_lo, exec_lo, s5
	v_mov_b32_e32 v5, s6
	s_and_saveexec_b32 s5, s4
.LBB433_2011:
	v_lshrrev_b32_e32 v3, 24, v3
	s_delay_alu instid0(VALU_DEP_1)
	v_and_or_b32 v5, 0x80, v3, v4
.LBB433_2012:
	s_or_b32 exec_lo, exec_lo, s5
.LBB433_2013:
	s_delay_alu instid0(SALU_CYCLE_1)
	s_or_b32 exec_lo, exec_lo, s2
	global_store_b8 v[0:1], v5, off
.LBB433_2014:
	s_mov_b32 s2, 0
.LBB433_2015:
	s_delay_alu instid0(SALU_CYCLE_1)
	s_and_b32 vcc_lo, exec_lo, s2
	s_cbranch_vccz .LBB433_2055
; %bb.2016:
	v_cmp_lt_i16_e32 vcc_lo, 22, v11
	s_mov_b32 s2, -1
	s_cbranch_vccz .LBB433_2048
; %bb.2017:
	v_cmp_gt_i16_e32 vcc_lo, 24, v11
	s_cbranch_vccnz .LBB433_2037
; %bb.2018:
	v_cmp_lt_i16_e32 vcc_lo, 24, v11
	s_cbranch_vccz .LBB433_2026
; %bb.2019:
	v_bfe_i32 v3, v2, 0, 16
	v_mov_b32_e32 v5, 0x80
	s_mov_b32 s2, exec_lo
	s_delay_alu instid0(VALU_DEP_2) | instskip(NEXT) | instid1(VALU_DEP_1)
	v_cvt_f32_i32_e32 v3, v3
	v_and_b32_e32 v4, 0x7fffffff, v3
	s_delay_alu instid0(VALU_DEP_1)
	v_cmpx_gt_u32_e32 0x47800000, v4
	s_cbranch_execz .LBB433_2025
; %bb.2020:
	v_cmp_lt_u32_e32 vcc_lo, 0x37ffffff, v4
                                        ; implicit-def: $vgpr4
	s_and_saveexec_b32 s4, vcc_lo
	s_delay_alu instid0(SALU_CYCLE_1)
	s_xor_b32 s4, exec_lo, s4
	s_cbranch_execz .LBB433_2134
; %bb.2021:
	v_bfe_u32 v4, v3, 21, 1
	s_mov_b32 s3, exec_lo
	s_delay_alu instid0(VALU_DEP_1) | instskip(NEXT) | instid1(VALU_DEP_1)
	v_add3_u32 v4, v3, v4, 0x88fffff
	v_lshrrev_b32_e32 v4, 21, v4
	s_or_saveexec_b32 s4, s4
                                        ; implicit-def: $sgpr5
	s_delay_alu instid0(SALU_CYCLE_1)
	s_xor_b32 exec_lo, exec_lo, s4
	s_cbranch_execnz .LBB433_2135
.LBB433_2022:
	s_or_b32 exec_lo, exec_lo, s4
	v_mov_b32_e32 v5, s5
	s_and_saveexec_b32 s4, s3
.LBB433_2023:
	v_lshrrev_b32_e32 v3, 24, v3
	s_delay_alu instid0(VALU_DEP_1)
	v_and_or_b32 v5, 0x80, v3, v4
.LBB433_2024:
	s_or_b32 exec_lo, exec_lo, s4
.LBB433_2025:
	s_delay_alu instid0(SALU_CYCLE_1)
	s_or_b32 exec_lo, exec_lo, s2
	s_mov_b32 s2, 0
	global_store_b8 v[0:1], v5, off
.LBB433_2026:
	s_and_b32 vcc_lo, exec_lo, s2
	s_cbranch_vccz .LBB433_2036
; %bb.2027:
	v_bfe_i32 v3, v2, 0, 16
	s_mov_b32 s2, exec_lo
                                        ; implicit-def: $vgpr4
	s_delay_alu instid0(VALU_DEP_1) | instskip(NEXT) | instid1(VALU_DEP_1)
	v_cvt_f32_i32_e32 v3, v3
	v_and_b32_e32 v5, 0x7fffffff, v3
	s_delay_alu instid0(VALU_DEP_1)
	v_cmpx_gt_u32_e32 0x43f00000, v5
	s_xor_b32 s2, exec_lo, s2
	s_cbranch_execz .LBB433_2033
; %bb.2028:
	s_mov_b32 s3, exec_lo
                                        ; implicit-def: $vgpr4
	v_cmpx_lt_u32_e32 0x3c7fffff, v5
	s_xor_b32 s3, exec_lo, s3
; %bb.2029:
	v_bfe_u32 v4, v3, 20, 1
	s_delay_alu instid0(VALU_DEP_1) | instskip(NEXT) | instid1(VALU_DEP_1)
	v_add3_u32 v4, v3, v4, 0x407ffff
	v_and_b32_e32 v5, 0xff00000, v4
	v_lshrrev_b32_e32 v4, 20, v4
	s_delay_alu instid0(VALU_DEP_2) | instskip(NEXT) | instid1(VALU_DEP_2)
	v_cmp_ne_u32_e32 vcc_lo, 0x7f00000, v5
	v_cndmask_b32_e32 v4, 0x7e, v4, vcc_lo
; %bb.2030:
	s_and_not1_saveexec_b32 s3, s3
; %bb.2031:
	v_add_f32_e64 v4, 0x46800000, |v3|
; %bb.2032:
	s_or_b32 exec_lo, exec_lo, s3
                                        ; implicit-def: $vgpr5
.LBB433_2033:
	s_and_not1_saveexec_b32 s2, s2
; %bb.2034:
	v_mov_b32_e32 v4, 0x7f
	v_cmp_lt_u32_e32 vcc_lo, 0x7f800000, v5
	s_delay_alu instid0(VALU_DEP_2)
	v_cndmask_b32_e32 v4, 0x7e, v4, vcc_lo
; %bb.2035:
	s_or_b32 exec_lo, exec_lo, s2
	v_lshrrev_b32_e32 v3, 24, v3
	s_delay_alu instid0(VALU_DEP_1)
	v_and_or_b32 v3, 0x80, v3, v4
	global_store_b8 v[0:1], v3, off
.LBB433_2036:
	s_mov_b32 s2, 0
.LBB433_2037:
	s_delay_alu instid0(SALU_CYCLE_1)
	s_and_not1_b32 vcc_lo, exec_lo, s2
	s_cbranch_vccnz .LBB433_2047
; %bb.2038:
	v_bfe_i32 v3, v2, 0, 16
	s_mov_b32 s2, exec_lo
                                        ; implicit-def: $vgpr4
	s_delay_alu instid0(VALU_DEP_1) | instskip(NEXT) | instid1(VALU_DEP_1)
	v_cvt_f32_i32_e32 v3, v3
	v_and_b32_e32 v5, 0x7fffffff, v3
	s_delay_alu instid0(VALU_DEP_1)
	v_cmpx_gt_u32_e32 0x47800000, v5
	s_xor_b32 s2, exec_lo, s2
	s_cbranch_execz .LBB433_2044
; %bb.2039:
	s_mov_b32 s3, exec_lo
                                        ; implicit-def: $vgpr4
	v_cmpx_lt_u32_e32 0x387fffff, v5
	s_xor_b32 s3, exec_lo, s3
; %bb.2040:
	v_bfe_u32 v4, v3, 21, 1
	s_delay_alu instid0(VALU_DEP_1) | instskip(NEXT) | instid1(VALU_DEP_1)
	v_add3_u32 v4, v3, v4, 0x80fffff
	v_lshrrev_b32_e32 v4, 21, v4
; %bb.2041:
	s_and_not1_saveexec_b32 s3, s3
; %bb.2042:
	v_add_f32_e64 v4, 0x43000000, |v3|
; %bb.2043:
	s_or_b32 exec_lo, exec_lo, s3
                                        ; implicit-def: $vgpr5
.LBB433_2044:
	s_and_not1_saveexec_b32 s2, s2
; %bb.2045:
	v_mov_b32_e32 v4, 0x7f
	v_cmp_lt_u32_e32 vcc_lo, 0x7f800000, v5
	s_delay_alu instid0(VALU_DEP_2)
	v_cndmask_b32_e32 v4, 0x7c, v4, vcc_lo
; %bb.2046:
	s_or_b32 exec_lo, exec_lo, s2
	v_lshrrev_b32_e32 v3, 24, v3
	s_delay_alu instid0(VALU_DEP_1)
	v_and_or_b32 v3, 0x80, v3, v4
	global_store_b8 v[0:1], v3, off
.LBB433_2047:
	s_mov_b32 s2, 0
.LBB433_2048:
	s_delay_alu instid0(SALU_CYCLE_1)
	s_and_not1_b32 vcc_lo, exec_lo, s2
	s_mov_b32 s3, 0
	s_cbranch_vccnz .LBB433_2055
; %bb.2049:
	v_cmp_lt_i16_e32 vcc_lo, 14, v11
	s_mov_b32 s2, -1
	s_cbranch_vccz .LBB433_2053
; %bb.2050:
	v_cmp_eq_u16_e32 vcc_lo, 15, v11
	s_mov_b32 s0, -1
	s_cbranch_vccz .LBB433_2052
; %bb.2051:
	v_bfe_i32 v3, v2, 0, 16
	s_mov_b32 s0, 0
	s_delay_alu instid0(VALU_DEP_1) | instskip(NEXT) | instid1(VALU_DEP_1)
	v_cvt_f32_i32_e32 v3, v3
	v_bfe_u32 v4, v3, 16, 1
	s_delay_alu instid0(VALU_DEP_1)
	v_add3_u32 v3, v3, v4, 0x7fff
	global_store_d16_hi_b16 v[0:1], v3, off
.LBB433_2052:
	s_mov_b32 s2, 0
.LBB433_2053:
	s_delay_alu instid0(SALU_CYCLE_1)
	s_and_b32 vcc_lo, exec_lo, s2
	s_cbranch_vccz .LBB433_2055
; %bb.2054:
	v_cmp_ne_u16_e64 s0, 11, v11
	s_mov_b32 s3, -1
.LBB433_2055:
	s_delay_alu instid0(VALU_DEP_1)
	s_and_b32 vcc_lo, exec_lo, s0
	s_cbranch_vccnz .LBB433_2132
.LBB433_2056:
	s_mov_b32 s0, 0
	s_branch .LBB433_2058
.LBB433_2057:
	s_mov_b32 s0, 0
	s_mov_b32 s3, 0
                                        ; implicit-def: $vgpr0_vgpr1
                                        ; implicit-def: $vgpr11
                                        ; implicit-def: $vgpr2
.LBB433_2058:
	s_and_b32 s2, s0, exec_lo
	s_and_not1_b32 s0, s8, exec_lo
	s_and_b32 s1, s1, exec_lo
	s_and_b32 s26, s3, exec_lo
	s_or_b32 s8, s0, s1
.LBB433_2059:
	s_or_b32 exec_lo, exec_lo, s9
	s_and_saveexec_b32 s0, s8
	s_cbranch_execz .LBB433_2062
; %bb.2060:
	; divergent unreachable
	s_or_b32 exec_lo, exec_lo, s0
	s_and_saveexec_b32 s0, s26
	s_delay_alu instid0(SALU_CYCLE_1)
	s_xor_b32 s0, exec_lo, s0
	s_cbranch_execnz .LBB433_2063
.LBB433_2061:
	s_or_b32 exec_lo, exec_lo, s0
	s_and_saveexec_b32 s0, s2
	s_cbranch_execnz .LBB433_2064
	s_branch .LBB433_2101
.LBB433_2062:
	s_or_b32 exec_lo, exec_lo, s0
	s_and_saveexec_b32 s0, s26
	s_delay_alu instid0(SALU_CYCLE_1)
	s_xor_b32 s0, exec_lo, s0
	s_cbranch_execz .LBB433_2061
.LBB433_2063:
	s_waitcnt vmcnt(0)
	v_and_b32_e32 v3, 0xff, v2
	s_delay_alu instid0(VALU_DEP_1)
	v_cmp_ne_u16_e32 vcc_lo, 0, v3
	v_cndmask_b32_e64 v3, 0, 1, vcc_lo
	global_store_b8 v[0:1], v3, off
	s_or_b32 exec_lo, exec_lo, s0
	s_and_saveexec_b32 s0, s2
	s_cbranch_execz .LBB433_2101
.LBB433_2064:
	s_waitcnt vmcnt(0)
	v_cmp_gt_i16_e32 vcc_lo, 5, v11
	s_mov_b32 s0, -1
	s_cbranch_vccnz .LBB433_2085
; %bb.2065:
	v_cmp_gt_i16_e32 vcc_lo, 8, v11
	s_cbranch_vccnz .LBB433_2075
; %bb.2066:
	v_cmp_gt_i16_e32 vcc_lo, 9, v11
	s_cbranch_vccnz .LBB433_2072
; %bb.2067:
	v_cmp_lt_i16_e32 vcc_lo, 9, v11
	s_cbranch_vccz .LBB433_2069
; %bb.2068:
	v_bfe_i32 v3, v2, 0, 8
	v_mov_b32_e32 v5, 0
	s_mov_b32 s0, 0
	s_delay_alu instid0(VALU_DEP_2) | instskip(NEXT) | instid1(VALU_DEP_2)
	v_bfe_i32 v3, v3, 0, 16
	v_mov_b32_e32 v6, v5
	s_delay_alu instid0(VALU_DEP_2)
	v_cvt_f64_i32_e32 v[3:4], v3
	global_store_b128 v[0:1], v[3:6], off
.LBB433_2069:
	s_and_not1_b32 vcc_lo, exec_lo, s0
	s_cbranch_vccnz .LBB433_2071
; %bb.2070:
	v_bfe_i32 v3, v2, 0, 8
	v_mov_b32_e32 v4, 0
	s_delay_alu instid0(VALU_DEP_2) | instskip(NEXT) | instid1(VALU_DEP_1)
	v_bfe_i32 v3, v3, 0, 16
	v_cvt_f32_i32_e32 v3, v3
	global_store_b64 v[0:1], v[3:4], off
.LBB433_2071:
	s_mov_b32 s0, 0
.LBB433_2072:
	s_delay_alu instid0(SALU_CYCLE_1)
	s_and_not1_b32 vcc_lo, exec_lo, s0
	s_cbranch_vccnz .LBB433_2074
; %bb.2073:
	v_bfe_i32 v3, v2, 0, 8
	s_delay_alu instid0(VALU_DEP_1) | instskip(NEXT) | instid1(VALU_DEP_1)
	v_cvt_f16_i16_e32 v3, v3
	v_and_b32_e32 v3, 0xffff, v3
	global_store_b32 v[0:1], v3, off
.LBB433_2074:
	s_mov_b32 s0, 0
.LBB433_2075:
	s_delay_alu instid0(SALU_CYCLE_1)
	s_and_not1_b32 vcc_lo, exec_lo, s0
	s_cbranch_vccnz .LBB433_2084
; %bb.2076:
	v_cmp_gt_i16_e32 vcc_lo, 6, v11
	s_mov_b32 s0, -1
	s_cbranch_vccnz .LBB433_2082
; %bb.2077:
	v_cmp_lt_i16_e32 vcc_lo, 6, v11
	s_cbranch_vccz .LBB433_2079
; %bb.2078:
	v_bfe_i32 v3, v2, 0, 8
	s_mov_b32 s0, 0
	s_delay_alu instid0(VALU_DEP_1) | instskip(NEXT) | instid1(VALU_DEP_1)
	v_bfe_i32 v3, v3, 0, 16
	v_cvt_f64_i32_e32 v[3:4], v3
	global_store_b64 v[0:1], v[3:4], off
.LBB433_2079:
	s_and_not1_b32 vcc_lo, exec_lo, s0
	s_cbranch_vccnz .LBB433_2081
; %bb.2080:
	v_bfe_i32 v3, v2, 0, 8
	s_delay_alu instid0(VALU_DEP_1) | instskip(NEXT) | instid1(VALU_DEP_1)
	v_bfe_i32 v3, v3, 0, 16
	v_cvt_f32_i32_e32 v3, v3
	global_store_b32 v[0:1], v3, off
.LBB433_2081:
	s_mov_b32 s0, 0
.LBB433_2082:
	s_delay_alu instid0(SALU_CYCLE_1)
	s_and_not1_b32 vcc_lo, exec_lo, s0
	s_cbranch_vccnz .LBB433_2084
; %bb.2083:
	v_bfe_i32 v3, v2, 0, 8
	s_delay_alu instid0(VALU_DEP_1)
	v_cvt_f16_i16_e32 v3, v3
	global_store_b16 v[0:1], v3, off
.LBB433_2084:
	s_mov_b32 s0, 0
.LBB433_2085:
	s_delay_alu instid0(SALU_CYCLE_1)
	s_and_not1_b32 vcc_lo, exec_lo, s0
	s_cbranch_vccnz .LBB433_2101
; %bb.2086:
	v_cmp_gt_i16_e32 vcc_lo, 2, v11
	s_mov_b32 s0, -1
	s_cbranch_vccnz .LBB433_2096
; %bb.2087:
	v_cmp_gt_i16_e32 vcc_lo, 3, v11
	s_cbranch_vccnz .LBB433_2093
; %bb.2088:
	v_cmp_lt_i16_e32 vcc_lo, 3, v11
	s_cbranch_vccz .LBB433_2090
; %bb.2089:
	v_bfe_i32 v3, v2, 0, 8
	s_mov_b32 s0, 0
	s_delay_alu instid0(VALU_DEP_1)
	v_ashrrev_i32_e32 v4, 31, v3
	global_store_b64 v[0:1], v[3:4], off
.LBB433_2090:
	s_and_not1_b32 vcc_lo, exec_lo, s0
	s_cbranch_vccnz .LBB433_2092
; %bb.2091:
	v_bfe_i32 v3, v2, 0, 8
	global_store_b32 v[0:1], v3, off
.LBB433_2092:
	s_mov_b32 s0, 0
.LBB433_2093:
	s_delay_alu instid0(SALU_CYCLE_1)
	s_and_not1_b32 vcc_lo, exec_lo, s0
	s_cbranch_vccnz .LBB433_2095
; %bb.2094:
	v_bfe_i32 v3, v2, 0, 8
	global_store_b16 v[0:1], v3, off
.LBB433_2095:
	s_mov_b32 s0, 0
.LBB433_2096:
	s_delay_alu instid0(SALU_CYCLE_1)
	s_and_not1_b32 vcc_lo, exec_lo, s0
	s_cbranch_vccnz .LBB433_2101
; %bb.2097:
	v_cmp_lt_i16_e32 vcc_lo, 0, v11
	s_mov_b32 s0, -1
	s_cbranch_vccz .LBB433_2099
; %bb.2098:
	s_mov_b32 s0, 0
	global_store_b8 v[0:1], v2, off
.LBB433_2099:
	s_and_not1_b32 vcc_lo, exec_lo, s0
	s_cbranch_vccnz .LBB433_2101
; %bb.2100:
	global_store_b8 v[0:1], v2, off
	s_nop 0
	s_sendmsg sendmsg(MSG_DEALLOC_VGPRS)
	s_endpgm
.LBB433_2101:
	s_nop 0
	s_sendmsg sendmsg(MSG_DEALLOC_VGPRS)
	s_endpgm
.LBB433_2102:
	s_cbranch_execnz .LBB433_2106
; %bb.2103:
	s_or_b32 s1, s1, exec_lo
                                        ; implicit-def: $vgpr4
	s_cbranch_execz .LBB433_1575
	s_branch .LBB433_1576
.LBB433_2104:
	s_or_saveexec_b32 s10, s10
                                        ; implicit-def: $sgpr11
	s_delay_alu instid0(SALU_CYCLE_1)
	s_xor_b32 exec_lo, exec_lo, s10
	s_cbranch_execz .LBB433_1655
.LBB433_2105:
	v_add_f32_e64 v7, 0x46000000, |v5|
	s_and_not1_b32 s7, s7, exec_lo
	s_mov_b32 s11, 0
	s_delay_alu instid0(VALU_DEP_1) | instskip(NEXT) | instid1(VALU_DEP_1)
	v_and_b32_e32 v7, 0xff, v7
	v_cmp_ne_u32_e32 vcc_lo, 0, v7
	s_and_b32 s12, vcc_lo, exec_lo
	s_delay_alu instid0(SALU_CYCLE_1)
	s_or_b32 s7, s7, s12
	s_or_b32 exec_lo, exec_lo, s10
	v_mov_b32_e32 v12, s11
	s_and_saveexec_b32 s10, s7
	s_cbranch_execnz .LBB433_1656
	s_branch .LBB433_1657
.LBB433_2106:
	s_trap 2
	s_sendmsg_rtn_b32 s0, sendmsg(MSG_RTN_GET_DOORBELL)
	s_mov_b32 ttmp2, m0
	s_waitcnt lgkmcnt(0)
	s_and_b32 s0, s0, 0x3ff
	s_delay_alu instid0(SALU_CYCLE_1) | instskip(NEXT) | instid1(SALU_CYCLE_1)
	s_bitset1_b32 s0, 10
	s_mov_b32 m0, s0
	s_sendmsg sendmsg(MSG_INTERRUPT)
	s_mov_b32 m0, ttmp2
.LBB433_2107:                           ; =>This Inner Loop Header: Depth=1
	s_sethalt 5
	s_branch .LBB433_2107
.LBB433_2108:
	s_cbranch_execnz .LBB433_2114
; %bb.2109:
	s_or_b32 s1, s1, exec_lo
	s_cbranch_execz .LBB433_1703
	s_branch .LBB433_1704
.LBB433_2110:
	s_or_saveexec_b32 s7, s7
                                        ; implicit-def: $sgpr10
	s_delay_alu instid0(SALU_CYCLE_1)
	s_xor_b32 exec_lo, exec_lo, s7
	s_cbranch_execz .LBB433_1668
.LBB433_2111:
	v_add_f32_e64 v7, 0x42800000, |v5|
	s_and_not1_b32 s6, s6, exec_lo
	s_mov_b32 s10, 0
	s_delay_alu instid0(VALU_DEP_1) | instskip(NEXT) | instid1(VALU_DEP_1)
	v_and_b32_e32 v7, 0xff, v7
	v_cmp_ne_u32_e32 vcc_lo, 0, v7
	s_and_b32 s11, vcc_lo, exec_lo
	s_delay_alu instid0(SALU_CYCLE_1)
	s_or_b32 s6, s6, s11
	s_or_b32 exec_lo, exec_lo, s7
	v_mov_b32_e32 v12, s10
	s_and_saveexec_b32 s7, s6
	s_cbranch_execnz .LBB433_1669
	s_branch .LBB433_1670
.LBB433_2112:
	s_or_saveexec_b32 s10, s10
                                        ; implicit-def: $sgpr11
	s_delay_alu instid0(SALU_CYCLE_1)
	s_xor_b32 exec_lo, exec_lo, s10
	s_cbranch_execz .LBB433_1773
.LBB433_2113:
	v_add_f32_e64 v8, 0x46000000, |v7|
	s_and_not1_b32 s7, s7, exec_lo
	s_mov_b32 s11, 0
	s_delay_alu instid0(VALU_DEP_1) | instskip(NEXT) | instid1(VALU_DEP_1)
	v_and_b32_e32 v8, 0xff, v8
	v_cmp_ne_u32_e32 vcc_lo, 0, v8
	s_and_b32 s12, vcc_lo, exec_lo
	s_delay_alu instid0(SALU_CYCLE_1)
	s_or_b32 s7, s7, s12
	s_or_b32 exec_lo, exec_lo, s10
	v_mov_b32_e32 v9, s11
	s_and_saveexec_b32 s10, s7
	s_cbranch_execnz .LBB433_1774
	s_branch .LBB433_1775
.LBB433_2114:
	s_trap 2
	s_sendmsg_rtn_b32 s0, sendmsg(MSG_RTN_GET_DOORBELL)
	s_mov_b32 ttmp2, m0
	s_waitcnt lgkmcnt(0)
	s_and_b32 s0, s0, 0x3ff
	s_delay_alu instid0(SALU_CYCLE_1) | instskip(NEXT) | instid1(SALU_CYCLE_1)
	s_bitset1_b32 s0, 10
	s_mov_b32 m0, s0
	s_sendmsg sendmsg(MSG_INTERRUPT)
	s_mov_b32 m0, ttmp2
.LBB433_2115:                           ; =>This Inner Loop Header: Depth=1
	s_sethalt 5
	s_branch .LBB433_2115
.LBB433_2116:
	s_cbranch_execnz .LBB433_2122
; %bb.2117:
	s_or_b32 s1, s1, exec_lo
	s_cbranch_execz .LBB433_1821
	s_branch .LBB433_1822
.LBB433_2118:
	s_or_saveexec_b32 s7, s7
                                        ; implicit-def: $sgpr10
	s_delay_alu instid0(SALU_CYCLE_1)
	s_xor_b32 exec_lo, exec_lo, s7
	s_cbranch_execz .LBB433_1786
.LBB433_2119:
	v_add_f32_e64 v8, 0x42800000, |v7|
	s_and_not1_b32 s6, s6, exec_lo
	s_mov_b32 s10, 0
	s_delay_alu instid0(VALU_DEP_1) | instskip(NEXT) | instid1(VALU_DEP_1)
	v_and_b32_e32 v8, 0xff, v8
	v_cmp_ne_u32_e32 vcc_lo, 0, v8
	s_and_b32 s11, vcc_lo, exec_lo
	s_delay_alu instid0(SALU_CYCLE_1)
	s_or_b32 s6, s6, s11
	s_or_b32 exec_lo, exec_lo, s7
	v_mov_b32_e32 v9, s10
	s_and_saveexec_b32 s7, s6
	s_cbranch_execnz .LBB433_1787
	s_branch .LBB433_1788
.LBB433_2120:
	s_or_saveexec_b32 s10, s10
                                        ; implicit-def: $sgpr11
	s_delay_alu instid0(SALU_CYCLE_1)
	s_xor_b32 exec_lo, exec_lo, s10
	s_cbranch_execz .LBB433_1891
.LBB433_2121:
	v_add_f32_e64 v6, 0x46000000, |v5|
	s_and_not1_b32 s7, s7, exec_lo
	s_mov_b32 s11, 0
	s_delay_alu instid0(VALU_DEP_1) | instskip(NEXT) | instid1(VALU_DEP_1)
	v_and_b32_e32 v6, 0xff, v6
	v_cmp_ne_u32_e32 vcc_lo, 0, v6
	s_and_b32 s12, vcc_lo, exec_lo
	s_delay_alu instid0(SALU_CYCLE_1)
	s_or_b32 s7, s7, s12
	s_or_b32 exec_lo, exec_lo, s10
	v_mov_b32_e32 v7, s11
	s_and_saveexec_b32 s10, s7
	s_cbranch_execnz .LBB433_1892
	s_branch .LBB433_1893
.LBB433_2122:
	s_trap 2
	s_sendmsg_rtn_b32 s0, sendmsg(MSG_RTN_GET_DOORBELL)
	s_mov_b32 ttmp2, m0
	s_waitcnt lgkmcnt(0)
	s_and_b32 s0, s0, 0x3ff
	s_delay_alu instid0(SALU_CYCLE_1) | instskip(NEXT) | instid1(SALU_CYCLE_1)
	s_bitset1_b32 s0, 10
	s_mov_b32 m0, s0
	s_sendmsg sendmsg(MSG_INTERRUPT)
	s_mov_b32 m0, ttmp2
.LBB433_2123:                           ; =>This Inner Loop Header: Depth=1
	s_sethalt 5
	s_branch .LBB433_2123
.LBB433_2124:
	s_cbranch_execnz .LBB433_2130
; %bb.2125:
	s_or_b32 s1, s1, exec_lo
	s_cbranch_execz .LBB433_1939
	s_branch .LBB433_1940
.LBB433_2126:
	s_or_saveexec_b32 s7, s7
                                        ; implicit-def: $sgpr10
	s_delay_alu instid0(SALU_CYCLE_1)
	s_xor_b32 exec_lo, exec_lo, s7
	s_cbranch_execz .LBB433_1904
.LBB433_2127:
	v_add_f32_e64 v6, 0x42800000, |v5|
	s_and_not1_b32 s6, s6, exec_lo
	s_mov_b32 s10, 0
	s_delay_alu instid0(VALU_DEP_1) | instskip(NEXT) | instid1(VALU_DEP_1)
	v_and_b32_e32 v6, 0xff, v6
	v_cmp_ne_u32_e32 vcc_lo, 0, v6
	s_and_b32 s11, vcc_lo, exec_lo
	s_delay_alu instid0(SALU_CYCLE_1)
	s_or_b32 s6, s6, s11
	s_or_b32 exec_lo, exec_lo, s7
	v_mov_b32_e32 v7, s10
	s_and_saveexec_b32 s7, s6
	s_cbranch_execnz .LBB433_1905
	s_branch .LBB433_1906
.LBB433_2128:
	s_or_saveexec_b32 s5, s5
                                        ; implicit-def: $sgpr6
	s_delay_alu instid0(SALU_CYCLE_1)
	s_xor_b32 exec_lo, exec_lo, s5
	s_cbranch_execz .LBB433_2010
.LBB433_2129:
	v_add_f32_e64 v4, 0x46000000, |v3|
	s_and_not1_b32 s4, s4, exec_lo
	s_mov_b32 s6, 0
	s_delay_alu instid0(VALU_DEP_1) | instskip(NEXT) | instid1(VALU_DEP_1)
	v_and_b32_e32 v4, 0xff, v4
	v_cmp_ne_u32_e32 vcc_lo, 0, v4
	s_and_b32 s7, vcc_lo, exec_lo
	s_delay_alu instid0(SALU_CYCLE_1)
	s_or_b32 s4, s4, s7
	s_or_b32 exec_lo, exec_lo, s5
	v_mov_b32_e32 v5, s6
	s_and_saveexec_b32 s5, s4
	s_cbranch_execnz .LBB433_2011
	s_branch .LBB433_2012
.LBB433_2130:
	s_trap 2
	s_sendmsg_rtn_b32 s0, sendmsg(MSG_RTN_GET_DOORBELL)
	s_mov_b32 ttmp2, m0
	s_waitcnt lgkmcnt(0)
	s_and_b32 s0, s0, 0x3ff
	s_delay_alu instid0(SALU_CYCLE_1) | instskip(NEXT) | instid1(SALU_CYCLE_1)
	s_bitset1_b32 s0, 10
	s_mov_b32 m0, s0
	s_sendmsg sendmsg(MSG_INTERRUPT)
	s_mov_b32 m0, ttmp2
.LBB433_2131:                           ; =>This Inner Loop Header: Depth=1
	s_sethalt 5
	s_branch .LBB433_2131
.LBB433_2132:
	s_cbranch_execnz .LBB433_2136
; %bb.2133:
	s_mov_b32 s3, 0
	s_or_b32 s1, s1, exec_lo
	s_branch .LBB433_2056
.LBB433_2134:
	s_or_saveexec_b32 s4, s4
                                        ; implicit-def: $sgpr5
	s_delay_alu instid0(SALU_CYCLE_1)
	s_xor_b32 exec_lo, exec_lo, s4
	s_cbranch_execz .LBB433_2022
.LBB433_2135:
	v_add_f32_e64 v4, 0x42800000, |v3|
	s_and_not1_b32 s3, s3, exec_lo
	s_mov_b32 s5, 0
	s_delay_alu instid0(VALU_DEP_1) | instskip(NEXT) | instid1(VALU_DEP_1)
	v_and_b32_e32 v4, 0xff, v4
	v_cmp_ne_u32_e32 vcc_lo, 0, v4
	s_and_b32 s6, vcc_lo, exec_lo
	s_delay_alu instid0(SALU_CYCLE_1)
	s_or_b32 s3, s3, s6
	s_or_b32 exec_lo, exec_lo, s4
	v_mov_b32_e32 v5, s5
	s_and_saveexec_b32 s4, s3
	s_cbranch_execnz .LBB433_2023
	s_branch .LBB433_2024
.LBB433_2136:
	s_trap 2
	s_sendmsg_rtn_b32 s0, sendmsg(MSG_RTN_GET_DOORBELL)
	s_mov_b32 ttmp2, m0
	s_waitcnt lgkmcnt(0)
	s_and_b32 s0, s0, 0x3ff
	s_delay_alu instid0(SALU_CYCLE_1) | instskip(NEXT) | instid1(SALU_CYCLE_1)
	s_bitset1_b32 s0, 10
	s_mov_b32 m0, s0
	s_sendmsg sendmsg(MSG_INTERRUPT)
	s_mov_b32 m0, ttmp2
.LBB433_2137:                           ; =>This Inner Loop Header: Depth=1
	s_sethalt 5
	s_branch .LBB433_2137
	.section	.rodata,"a",@progbits
	.p2align	6, 0x0
	.amdhsa_kernel _ZN2at6native32elementwise_kernel_manual_unrollILi128ELi4EZNS0_15gpu_kernel_implIZZZNS0_21clamp_max_kernel_cudaERNS_18TensorIteratorBaseERKN3c106ScalarEENKUlvE_clEvENKUlvE0_clEvEUlaE_EEvS4_RKT_EUlibE0_EEviT1_
		.amdhsa_group_segment_fixed_size 0
		.amdhsa_private_segment_fixed_size 0
		.amdhsa_kernarg_size 360
		.amdhsa_user_sgpr_count 15
		.amdhsa_user_sgpr_dispatch_ptr 0
		.amdhsa_user_sgpr_queue_ptr 0
		.amdhsa_user_sgpr_kernarg_segment_ptr 1
		.amdhsa_user_sgpr_dispatch_id 0
		.amdhsa_user_sgpr_private_segment_size 0
		.amdhsa_wavefront_size32 1
		.amdhsa_uses_dynamic_stack 0
		.amdhsa_enable_private_segment 0
		.amdhsa_system_sgpr_workgroup_id_x 1
		.amdhsa_system_sgpr_workgroup_id_y 0
		.amdhsa_system_sgpr_workgroup_id_z 0
		.amdhsa_system_sgpr_workgroup_info 0
		.amdhsa_system_vgpr_workitem_id 0
		.amdhsa_next_free_vgpr 18
		.amdhsa_next_free_sgpr 68
		.amdhsa_reserve_vcc 1
		.amdhsa_float_round_mode_32 0
		.amdhsa_float_round_mode_16_64 0
		.amdhsa_float_denorm_mode_32 3
		.amdhsa_float_denorm_mode_16_64 3
		.amdhsa_dx10_clamp 1
		.amdhsa_ieee_mode 1
		.amdhsa_fp16_overflow 0
		.amdhsa_workgroup_processor_mode 1
		.amdhsa_memory_ordered 1
		.amdhsa_forward_progress 0
		.amdhsa_shared_vgpr_count 0
		.amdhsa_exception_fp_ieee_invalid_op 0
		.amdhsa_exception_fp_denorm_src 0
		.amdhsa_exception_fp_ieee_div_zero 0
		.amdhsa_exception_fp_ieee_overflow 0
		.amdhsa_exception_fp_ieee_underflow 0
		.amdhsa_exception_fp_ieee_inexact 0
		.amdhsa_exception_int_div_zero 0
	.end_amdhsa_kernel
	.section	.text._ZN2at6native32elementwise_kernel_manual_unrollILi128ELi4EZNS0_15gpu_kernel_implIZZZNS0_21clamp_max_kernel_cudaERNS_18TensorIteratorBaseERKN3c106ScalarEENKUlvE_clEvENKUlvE0_clEvEUlaE_EEvS4_RKT_EUlibE0_EEviT1_,"axG",@progbits,_ZN2at6native32elementwise_kernel_manual_unrollILi128ELi4EZNS0_15gpu_kernel_implIZZZNS0_21clamp_max_kernel_cudaERNS_18TensorIteratorBaseERKN3c106ScalarEENKUlvE_clEvENKUlvE0_clEvEUlaE_EEvS4_RKT_EUlibE0_EEviT1_,comdat
.Lfunc_end433:
	.size	_ZN2at6native32elementwise_kernel_manual_unrollILi128ELi4EZNS0_15gpu_kernel_implIZZZNS0_21clamp_max_kernel_cudaERNS_18TensorIteratorBaseERKN3c106ScalarEENKUlvE_clEvENKUlvE0_clEvEUlaE_EEvS4_RKT_EUlibE0_EEviT1_, .Lfunc_end433-_ZN2at6native32elementwise_kernel_manual_unrollILi128ELi4EZNS0_15gpu_kernel_implIZZZNS0_21clamp_max_kernel_cudaERNS_18TensorIteratorBaseERKN3c106ScalarEENKUlvE_clEvENKUlvE0_clEvEUlaE_EEvS4_RKT_EUlibE0_EEviT1_
                                        ; -- End function
	.section	.AMDGPU.csdata,"",@progbits
; Kernel info:
; codeLenInByte = 39936
; NumSgprs: 70
; NumVgprs: 18
; ScratchSize: 0
; MemoryBound: 1
; FloatMode: 240
; IeeeMode: 1
; LDSByteSize: 0 bytes/workgroup (compile time only)
; SGPRBlocks: 8
; VGPRBlocks: 2
; NumSGPRsForWavesPerEU: 70
; NumVGPRsForWavesPerEU: 18
; Occupancy: 16
; WaveLimiterHint : 1
; COMPUTE_PGM_RSRC2:SCRATCH_EN: 0
; COMPUTE_PGM_RSRC2:USER_SGPR: 15
; COMPUTE_PGM_RSRC2:TRAP_HANDLER: 0
; COMPUTE_PGM_RSRC2:TGID_X_EN: 1
; COMPUTE_PGM_RSRC2:TGID_Y_EN: 0
; COMPUTE_PGM_RSRC2:TGID_Z_EN: 0
; COMPUTE_PGM_RSRC2:TIDIG_COMP_CNT: 0
	.section	.text._ZN2at6native29vectorized_elementwise_kernelILi16EZZZNS0_21clamp_max_kernel_cudaERNS_18TensorIteratorBaseERKN3c106ScalarEENKUlvE_clEvENKUlvE1_clEvEUliE_St5arrayIPcLm2EEEEviT0_T1_,"axG",@progbits,_ZN2at6native29vectorized_elementwise_kernelILi16EZZZNS0_21clamp_max_kernel_cudaERNS_18TensorIteratorBaseERKN3c106ScalarEENKUlvE_clEvENKUlvE1_clEvEUliE_St5arrayIPcLm2EEEEviT0_T1_,comdat
	.globl	_ZN2at6native29vectorized_elementwise_kernelILi16EZZZNS0_21clamp_max_kernel_cudaERNS_18TensorIteratorBaseERKN3c106ScalarEENKUlvE_clEvENKUlvE1_clEvEUliE_St5arrayIPcLm2EEEEviT0_T1_ ; -- Begin function _ZN2at6native29vectorized_elementwise_kernelILi16EZZZNS0_21clamp_max_kernel_cudaERNS_18TensorIteratorBaseERKN3c106ScalarEENKUlvE_clEvENKUlvE1_clEvEUliE_St5arrayIPcLm2EEEEviT0_T1_
	.p2align	8
	.type	_ZN2at6native29vectorized_elementwise_kernelILi16EZZZNS0_21clamp_max_kernel_cudaERNS_18TensorIteratorBaseERKN3c106ScalarEENKUlvE_clEvENKUlvE1_clEvEUliE_St5arrayIPcLm2EEEEviT0_T1_,@function
_ZN2at6native29vectorized_elementwise_kernelILi16EZZZNS0_21clamp_max_kernel_cudaERNS_18TensorIteratorBaseERKN3c106ScalarEENKUlvE_clEvENKUlvE1_clEvEUliE_St5arrayIPcLm2EEEEviT0_T1_: ; @_ZN2at6native29vectorized_elementwise_kernelILi16EZZZNS0_21clamp_max_kernel_cudaERNS_18TensorIteratorBaseERKN3c106ScalarEENKUlvE_clEvENKUlvE1_clEvEUliE_St5arrayIPcLm2EEEEviT0_T1_
; %bb.0:
	s_clause 0x1
	s_load_b64 s[8:9], s[0:1], 0x0
	s_load_b128 s[4:7], s[0:1], 0x8
	s_lshl_b32 s2, s15, 10
	s_mov_b32 s0, -1
	s_waitcnt lgkmcnt(0)
	s_sub_i32 s1, s8, s2
	s_delay_alu instid0(SALU_CYCLE_1)
	s_cmpk_gt_i32 s1, 0x3ff
	s_cbranch_scc0 .LBB434_2
; %bb.1:
	s_ashr_i32 s3, s2, 31
	v_lshlrev_b32_e32 v5, 4, v0
	s_lshl_b64 s[10:11], s[2:3], 2
	s_mov_b32 s0, 0
	s_add_u32 s12, s6, s10
	s_addc_u32 s13, s7, s11
	s_add_u32 s10, s4, s10
	global_load_b128 v[1:4], v5, s[12:13]
	s_addc_u32 s11, s5, s11
	s_waitcnt vmcnt(0)
	v_min_i32_e32 v1, s9, v1
	v_min_i32_e32 v2, s9, v2
	;; [unrolled: 1-line block ×4, first 2 shown]
	global_store_b128 v5, v[1:4], s[10:11]
.LBB434_2:
	s_and_not1_b32 vcc_lo, exec_lo, s0
	s_cbranch_vccnz .LBB434_16
; %bb.3:
	v_cmp_gt_i32_e32 vcc_lo, s1, v0
	v_dual_mov_b32 v4, 0 :: v_dual_mov_b32 v5, v0
	v_or_b32_e32 v1, s2, v0
	v_or_b32_e32 v3, 0x100, v0
	v_mov_b32_e32 v2, 0
	s_and_saveexec_b32 s3, vcc_lo
	s_cbranch_execz .LBB434_5
; %bb.4:
	v_mov_b32_e32 v2, 0
	s_delay_alu instid0(VALU_DEP_1) | instskip(NEXT) | instid1(VALU_DEP_1)
	v_lshlrev_b64 v[5:6], 2, v[1:2]
	v_add_co_u32 v5, s0, s6, v5
	s_delay_alu instid0(VALU_DEP_1)
	v_add_co_ci_u32_e64 v6, s0, s7, v6, s0
	global_load_b32 v2, v[5:6], off
	v_or_b32_e32 v5, 0x100, v0
.LBB434_5:
	s_or_b32 exec_lo, exec_lo, s3
	s_delay_alu instid0(SALU_CYCLE_1) | instskip(NEXT) | instid1(VALU_DEP_1)
	s_mov_b32 s3, exec_lo
	v_cmpx_gt_i32_e64 s1, v5
	s_cbranch_execz .LBB434_7
; %bb.6:
	v_dual_mov_b32 v7, 0 :: v_dual_add_nc_u32 v6, s2, v5
	v_add_nc_u32_e32 v5, 0x100, v5
	s_delay_alu instid0(VALU_DEP_2) | instskip(NEXT) | instid1(VALU_DEP_1)
	v_lshlrev_b64 v[6:7], 2, v[6:7]
	v_add_co_u32 v6, s0, s6, v6
	s_delay_alu instid0(VALU_DEP_1)
	v_add_co_ci_u32_e64 v7, s0, s7, v7, s0
	global_load_b32 v4, v[6:7], off
.LBB434_7:
	s_or_b32 exec_lo, exec_lo, s3
	v_dual_mov_b32 v7, 0 :: v_dual_mov_b32 v8, 0
	s_mov_b32 s3, exec_lo
	v_cmpx_gt_i32_e64 s1, v5
	s_cbranch_execz .LBB434_9
; %bb.8:
	v_dual_mov_b32 v9, 0 :: v_dual_add_nc_u32 v8, s2, v5
	v_add_nc_u32_e32 v5, 0x100, v5
	s_delay_alu instid0(VALU_DEP_2) | instskip(NEXT) | instid1(VALU_DEP_1)
	v_lshlrev_b64 v[8:9], 2, v[8:9]
	v_add_co_u32 v8, s0, s6, v8
	s_delay_alu instid0(VALU_DEP_1)
	v_add_co_ci_u32_e64 v9, s0, s7, v9, s0
	global_load_b32 v8, v[8:9], off
.LBB434_9:
	s_or_b32 exec_lo, exec_lo, s3
	s_delay_alu instid0(SALU_CYCLE_1)
	s_mov_b32 s3, exec_lo
	v_cmpx_gt_i32_e64 s1, v5
	s_cbranch_execz .LBB434_11
; %bb.10:
	v_dual_mov_b32 v6, 0 :: v_dual_add_nc_u32 v5, s2, v5
	s_delay_alu instid0(VALU_DEP_1) | instskip(NEXT) | instid1(VALU_DEP_1)
	v_lshlrev_b64 v[5:6], 2, v[5:6]
	v_add_co_u32 v5, s0, s6, v5
	s_delay_alu instid0(VALU_DEP_1)
	v_add_co_ci_u32_e64 v6, s0, s7, v6, s0
	global_load_b32 v7, v[5:6], off
.LBB434_11:
	s_or_b32 exec_lo, exec_lo, s3
	s_waitcnt vmcnt(0)
	v_min_i32_e32 v9, s9, v2
	v_min_i32_e32 v6, s9, v4
	;; [unrolled: 1-line block ×4, first 2 shown]
	s_and_saveexec_b32 s0, vcc_lo
	s_cbranch_execnz .LBB434_17
; %bb.12:
	s_or_b32 exec_lo, exec_lo, s0
	s_delay_alu instid0(SALU_CYCLE_1)
	s_mov_b32 s0, exec_lo
	v_cmpx_gt_i32_e64 s1, v0
	s_cbranch_execnz .LBB434_18
.LBB434_13:
	s_or_b32 exec_lo, exec_lo, s0
	s_delay_alu instid0(SALU_CYCLE_1)
	s_mov_b32 s0, exec_lo
	v_cmpx_gt_i32_e64 s1, v0
	s_cbranch_execnz .LBB434_19
.LBB434_14:
	s_or_b32 exec_lo, exec_lo, s0
	s_delay_alu instid0(SALU_CYCLE_1)
	s_mov_b32 s0, exec_lo
	v_cmpx_gt_i32_e64 s1, v0
	s_cbranch_execz .LBB434_16
.LBB434_15:
	v_dual_mov_b32 v1, 0 :: v_dual_add_nc_u32 v0, s2, v0
	s_delay_alu instid0(VALU_DEP_1) | instskip(NEXT) | instid1(VALU_DEP_1)
	v_lshlrev_b64 v[0:1], 2, v[0:1]
	v_add_co_u32 v0, vcc_lo, s4, v0
	s_delay_alu instid0(VALU_DEP_2)
	v_add_co_ci_u32_e32 v1, vcc_lo, s5, v1, vcc_lo
	global_store_b32 v[0:1], v4, off
.LBB434_16:
	s_nop 0
	s_sendmsg sendmsg(MSG_DEALLOC_VGPRS)
	s_endpgm
.LBB434_17:
	v_mov_b32_e32 v2, 0
	s_delay_alu instid0(VALU_DEP_1) | instskip(NEXT) | instid1(VALU_DEP_1)
	v_lshlrev_b64 v[0:1], 2, v[1:2]
	v_add_co_u32 v7, vcc_lo, s4, v0
	s_delay_alu instid0(VALU_DEP_2) | instskip(SKIP_3) | instid1(SALU_CYCLE_1)
	v_add_co_ci_u32_e32 v8, vcc_lo, s5, v1, vcc_lo
	v_mov_b32_e32 v0, v3
	global_store_b32 v[7:8], v9, off
	s_or_b32 exec_lo, exec_lo, s0
	s_mov_b32 s0, exec_lo
	v_cmpx_gt_i32_e64 s1, v0
	s_cbranch_execz .LBB434_13
.LBB434_18:
	v_dual_mov_b32 v2, 0 :: v_dual_add_nc_u32 v1, s2, v0
	v_add_nc_u32_e32 v0, 0x100, v0
	s_delay_alu instid0(VALU_DEP_2) | instskip(NEXT) | instid1(VALU_DEP_1)
	v_lshlrev_b64 v[1:2], 2, v[1:2]
	v_add_co_u32 v1, vcc_lo, s4, v1
	s_delay_alu instid0(VALU_DEP_2) | instskip(SKIP_2) | instid1(SALU_CYCLE_1)
	v_add_co_ci_u32_e32 v2, vcc_lo, s5, v2, vcc_lo
	global_store_b32 v[1:2], v6, off
	s_or_b32 exec_lo, exec_lo, s0
	s_mov_b32 s0, exec_lo
	v_cmpx_gt_i32_e64 s1, v0
	s_cbranch_execz .LBB434_14
.LBB434_19:
	v_dual_mov_b32 v2, 0 :: v_dual_add_nc_u32 v1, s2, v0
	v_add_nc_u32_e32 v0, 0x100, v0
	s_delay_alu instid0(VALU_DEP_2) | instskip(NEXT) | instid1(VALU_DEP_1)
	v_lshlrev_b64 v[1:2], 2, v[1:2]
	v_add_co_u32 v1, vcc_lo, s4, v1
	s_delay_alu instid0(VALU_DEP_2) | instskip(SKIP_2) | instid1(SALU_CYCLE_1)
	v_add_co_ci_u32_e32 v2, vcc_lo, s5, v2, vcc_lo
	global_store_b32 v[1:2], v5, off
	s_or_b32 exec_lo, exec_lo, s0
	s_mov_b32 s0, exec_lo
	v_cmpx_gt_i32_e64 s1, v0
	s_cbranch_execnz .LBB434_15
	s_branch .LBB434_16
	.section	.rodata,"a",@progbits
	.p2align	6, 0x0
	.amdhsa_kernel _ZN2at6native29vectorized_elementwise_kernelILi16EZZZNS0_21clamp_max_kernel_cudaERNS_18TensorIteratorBaseERKN3c106ScalarEENKUlvE_clEvENKUlvE1_clEvEUliE_St5arrayIPcLm2EEEEviT0_T1_
		.amdhsa_group_segment_fixed_size 0
		.amdhsa_private_segment_fixed_size 0
		.amdhsa_kernarg_size 24
		.amdhsa_user_sgpr_count 15
		.amdhsa_user_sgpr_dispatch_ptr 0
		.amdhsa_user_sgpr_queue_ptr 0
		.amdhsa_user_sgpr_kernarg_segment_ptr 1
		.amdhsa_user_sgpr_dispatch_id 0
		.amdhsa_user_sgpr_private_segment_size 0
		.amdhsa_wavefront_size32 1
		.amdhsa_uses_dynamic_stack 0
		.amdhsa_enable_private_segment 0
		.amdhsa_system_sgpr_workgroup_id_x 1
		.amdhsa_system_sgpr_workgroup_id_y 0
		.amdhsa_system_sgpr_workgroup_id_z 0
		.amdhsa_system_sgpr_workgroup_info 0
		.amdhsa_system_vgpr_workitem_id 0
		.amdhsa_next_free_vgpr 10
		.amdhsa_next_free_sgpr 16
		.amdhsa_reserve_vcc 1
		.amdhsa_float_round_mode_32 0
		.amdhsa_float_round_mode_16_64 0
		.amdhsa_float_denorm_mode_32 3
		.amdhsa_float_denorm_mode_16_64 3
		.amdhsa_dx10_clamp 1
		.amdhsa_ieee_mode 1
		.amdhsa_fp16_overflow 0
		.amdhsa_workgroup_processor_mode 1
		.amdhsa_memory_ordered 1
		.amdhsa_forward_progress 0
		.amdhsa_shared_vgpr_count 0
		.amdhsa_exception_fp_ieee_invalid_op 0
		.amdhsa_exception_fp_denorm_src 0
		.amdhsa_exception_fp_ieee_div_zero 0
		.amdhsa_exception_fp_ieee_overflow 0
		.amdhsa_exception_fp_ieee_underflow 0
		.amdhsa_exception_fp_ieee_inexact 0
		.amdhsa_exception_int_div_zero 0
	.end_amdhsa_kernel
	.section	.text._ZN2at6native29vectorized_elementwise_kernelILi16EZZZNS0_21clamp_max_kernel_cudaERNS_18TensorIteratorBaseERKN3c106ScalarEENKUlvE_clEvENKUlvE1_clEvEUliE_St5arrayIPcLm2EEEEviT0_T1_,"axG",@progbits,_ZN2at6native29vectorized_elementwise_kernelILi16EZZZNS0_21clamp_max_kernel_cudaERNS_18TensorIteratorBaseERKN3c106ScalarEENKUlvE_clEvENKUlvE1_clEvEUliE_St5arrayIPcLm2EEEEviT0_T1_,comdat
.Lfunc_end434:
	.size	_ZN2at6native29vectorized_elementwise_kernelILi16EZZZNS0_21clamp_max_kernel_cudaERNS_18TensorIteratorBaseERKN3c106ScalarEENKUlvE_clEvENKUlvE1_clEvEUliE_St5arrayIPcLm2EEEEviT0_T1_, .Lfunc_end434-_ZN2at6native29vectorized_elementwise_kernelILi16EZZZNS0_21clamp_max_kernel_cudaERNS_18TensorIteratorBaseERKN3c106ScalarEENKUlvE_clEvENKUlvE1_clEvEUliE_St5arrayIPcLm2EEEEviT0_T1_
                                        ; -- End function
	.section	.AMDGPU.csdata,"",@progbits
; Kernel info:
; codeLenInByte = 820
; NumSgprs: 18
; NumVgprs: 10
; ScratchSize: 0
; MemoryBound: 0
; FloatMode: 240
; IeeeMode: 1
; LDSByteSize: 0 bytes/workgroup (compile time only)
; SGPRBlocks: 2
; VGPRBlocks: 1
; NumSGPRsForWavesPerEU: 18
; NumVGPRsForWavesPerEU: 10
; Occupancy: 16
; WaveLimiterHint : 0
; COMPUTE_PGM_RSRC2:SCRATCH_EN: 0
; COMPUTE_PGM_RSRC2:USER_SGPR: 15
; COMPUTE_PGM_RSRC2:TRAP_HANDLER: 0
; COMPUTE_PGM_RSRC2:TGID_X_EN: 1
; COMPUTE_PGM_RSRC2:TGID_Y_EN: 0
; COMPUTE_PGM_RSRC2:TGID_Z_EN: 0
; COMPUTE_PGM_RSRC2:TIDIG_COMP_CNT: 0
	.section	.text._ZN2at6native29vectorized_elementwise_kernelILi8EZZZNS0_21clamp_max_kernel_cudaERNS_18TensorIteratorBaseERKN3c106ScalarEENKUlvE_clEvENKUlvE1_clEvEUliE_St5arrayIPcLm2EEEEviT0_T1_,"axG",@progbits,_ZN2at6native29vectorized_elementwise_kernelILi8EZZZNS0_21clamp_max_kernel_cudaERNS_18TensorIteratorBaseERKN3c106ScalarEENKUlvE_clEvENKUlvE1_clEvEUliE_St5arrayIPcLm2EEEEviT0_T1_,comdat
	.globl	_ZN2at6native29vectorized_elementwise_kernelILi8EZZZNS0_21clamp_max_kernel_cudaERNS_18TensorIteratorBaseERKN3c106ScalarEENKUlvE_clEvENKUlvE1_clEvEUliE_St5arrayIPcLm2EEEEviT0_T1_ ; -- Begin function _ZN2at6native29vectorized_elementwise_kernelILi8EZZZNS0_21clamp_max_kernel_cudaERNS_18TensorIteratorBaseERKN3c106ScalarEENKUlvE_clEvENKUlvE1_clEvEUliE_St5arrayIPcLm2EEEEviT0_T1_
	.p2align	8
	.type	_ZN2at6native29vectorized_elementwise_kernelILi8EZZZNS0_21clamp_max_kernel_cudaERNS_18TensorIteratorBaseERKN3c106ScalarEENKUlvE_clEvENKUlvE1_clEvEUliE_St5arrayIPcLm2EEEEviT0_T1_,@function
_ZN2at6native29vectorized_elementwise_kernelILi8EZZZNS0_21clamp_max_kernel_cudaERNS_18TensorIteratorBaseERKN3c106ScalarEENKUlvE_clEvENKUlvE1_clEvEUliE_St5arrayIPcLm2EEEEviT0_T1_: ; @_ZN2at6native29vectorized_elementwise_kernelILi8EZZZNS0_21clamp_max_kernel_cudaERNS_18TensorIteratorBaseERKN3c106ScalarEENKUlvE_clEvENKUlvE1_clEvEUliE_St5arrayIPcLm2EEEEviT0_T1_
; %bb.0:
	s_clause 0x1
	s_load_b64 s[8:9], s[0:1], 0x0
	s_load_b128 s[4:7], s[0:1], 0x8
	s_lshl_b32 s2, s15, 10
	s_mov_b32 s0, -1
	s_waitcnt lgkmcnt(0)
	s_sub_i32 s1, s8, s2
	s_delay_alu instid0(SALU_CYCLE_1)
	s_cmpk_gt_i32 s1, 0x3ff
	s_cbranch_scc0 .LBB435_2
; %bb.1:
	s_ashr_i32 s3, s2, 31
	v_lshlrev_b32_e32 v5, 4, v0
	s_lshl_b64 s[10:11], s[2:3], 2
	s_mov_b32 s0, 0
	s_add_u32 s12, s6, s10
	s_addc_u32 s13, s7, s11
	s_add_u32 s10, s4, s10
	global_load_b128 v[1:4], v5, s[12:13]
	s_addc_u32 s11, s5, s11
	s_waitcnt vmcnt(0)
	v_min_i32_e32 v1, s9, v1
	v_min_i32_e32 v2, s9, v2
	v_min_i32_e32 v3, s9, v3
	v_min_i32_e32 v4, s9, v4
	global_store_b128 v5, v[1:4], s[10:11]
.LBB435_2:
	s_and_not1_b32 vcc_lo, exec_lo, s0
	s_cbranch_vccnz .LBB435_16
; %bb.3:
	v_cmp_gt_i32_e32 vcc_lo, s1, v0
	v_dual_mov_b32 v4, 0 :: v_dual_mov_b32 v5, v0
	v_or_b32_e32 v1, s2, v0
	v_or_b32_e32 v3, 0x100, v0
	v_mov_b32_e32 v2, 0
	s_and_saveexec_b32 s3, vcc_lo
	s_cbranch_execz .LBB435_5
; %bb.4:
	v_mov_b32_e32 v2, 0
	s_delay_alu instid0(VALU_DEP_1) | instskip(NEXT) | instid1(VALU_DEP_1)
	v_lshlrev_b64 v[5:6], 2, v[1:2]
	v_add_co_u32 v5, s0, s6, v5
	s_delay_alu instid0(VALU_DEP_1)
	v_add_co_ci_u32_e64 v6, s0, s7, v6, s0
	global_load_b32 v2, v[5:6], off
	v_or_b32_e32 v5, 0x100, v0
.LBB435_5:
	s_or_b32 exec_lo, exec_lo, s3
	s_delay_alu instid0(SALU_CYCLE_1) | instskip(NEXT) | instid1(VALU_DEP_1)
	s_mov_b32 s3, exec_lo
	v_cmpx_gt_i32_e64 s1, v5
	s_cbranch_execz .LBB435_7
; %bb.6:
	v_dual_mov_b32 v7, 0 :: v_dual_add_nc_u32 v6, s2, v5
	v_add_nc_u32_e32 v5, 0x100, v5
	s_delay_alu instid0(VALU_DEP_2) | instskip(NEXT) | instid1(VALU_DEP_1)
	v_lshlrev_b64 v[6:7], 2, v[6:7]
	v_add_co_u32 v6, s0, s6, v6
	s_delay_alu instid0(VALU_DEP_1)
	v_add_co_ci_u32_e64 v7, s0, s7, v7, s0
	global_load_b32 v4, v[6:7], off
.LBB435_7:
	s_or_b32 exec_lo, exec_lo, s3
	v_dual_mov_b32 v7, 0 :: v_dual_mov_b32 v8, 0
	s_mov_b32 s3, exec_lo
	v_cmpx_gt_i32_e64 s1, v5
	s_cbranch_execz .LBB435_9
; %bb.8:
	v_dual_mov_b32 v9, 0 :: v_dual_add_nc_u32 v8, s2, v5
	v_add_nc_u32_e32 v5, 0x100, v5
	s_delay_alu instid0(VALU_DEP_2) | instskip(NEXT) | instid1(VALU_DEP_1)
	v_lshlrev_b64 v[8:9], 2, v[8:9]
	v_add_co_u32 v8, s0, s6, v8
	s_delay_alu instid0(VALU_DEP_1)
	v_add_co_ci_u32_e64 v9, s0, s7, v9, s0
	global_load_b32 v8, v[8:9], off
.LBB435_9:
	s_or_b32 exec_lo, exec_lo, s3
	s_delay_alu instid0(SALU_CYCLE_1)
	s_mov_b32 s3, exec_lo
	v_cmpx_gt_i32_e64 s1, v5
	s_cbranch_execz .LBB435_11
; %bb.10:
	v_dual_mov_b32 v6, 0 :: v_dual_add_nc_u32 v5, s2, v5
	s_delay_alu instid0(VALU_DEP_1) | instskip(NEXT) | instid1(VALU_DEP_1)
	v_lshlrev_b64 v[5:6], 2, v[5:6]
	v_add_co_u32 v5, s0, s6, v5
	s_delay_alu instid0(VALU_DEP_1)
	v_add_co_ci_u32_e64 v6, s0, s7, v6, s0
	global_load_b32 v7, v[5:6], off
.LBB435_11:
	s_or_b32 exec_lo, exec_lo, s3
	s_waitcnt vmcnt(0)
	v_min_i32_e32 v9, s9, v2
	v_min_i32_e32 v6, s9, v4
	;; [unrolled: 1-line block ×4, first 2 shown]
	s_and_saveexec_b32 s0, vcc_lo
	s_cbranch_execnz .LBB435_17
; %bb.12:
	s_or_b32 exec_lo, exec_lo, s0
	s_delay_alu instid0(SALU_CYCLE_1)
	s_mov_b32 s0, exec_lo
	v_cmpx_gt_i32_e64 s1, v0
	s_cbranch_execnz .LBB435_18
.LBB435_13:
	s_or_b32 exec_lo, exec_lo, s0
	s_delay_alu instid0(SALU_CYCLE_1)
	s_mov_b32 s0, exec_lo
	v_cmpx_gt_i32_e64 s1, v0
	s_cbranch_execnz .LBB435_19
.LBB435_14:
	s_or_b32 exec_lo, exec_lo, s0
	s_delay_alu instid0(SALU_CYCLE_1)
	s_mov_b32 s0, exec_lo
	v_cmpx_gt_i32_e64 s1, v0
	s_cbranch_execz .LBB435_16
.LBB435_15:
	v_dual_mov_b32 v1, 0 :: v_dual_add_nc_u32 v0, s2, v0
	s_delay_alu instid0(VALU_DEP_1) | instskip(NEXT) | instid1(VALU_DEP_1)
	v_lshlrev_b64 v[0:1], 2, v[0:1]
	v_add_co_u32 v0, vcc_lo, s4, v0
	s_delay_alu instid0(VALU_DEP_2)
	v_add_co_ci_u32_e32 v1, vcc_lo, s5, v1, vcc_lo
	global_store_b32 v[0:1], v4, off
.LBB435_16:
	s_nop 0
	s_sendmsg sendmsg(MSG_DEALLOC_VGPRS)
	s_endpgm
.LBB435_17:
	v_mov_b32_e32 v2, 0
	s_delay_alu instid0(VALU_DEP_1) | instskip(NEXT) | instid1(VALU_DEP_1)
	v_lshlrev_b64 v[0:1], 2, v[1:2]
	v_add_co_u32 v7, vcc_lo, s4, v0
	s_delay_alu instid0(VALU_DEP_2) | instskip(SKIP_3) | instid1(SALU_CYCLE_1)
	v_add_co_ci_u32_e32 v8, vcc_lo, s5, v1, vcc_lo
	v_mov_b32_e32 v0, v3
	global_store_b32 v[7:8], v9, off
	s_or_b32 exec_lo, exec_lo, s0
	s_mov_b32 s0, exec_lo
	v_cmpx_gt_i32_e64 s1, v0
	s_cbranch_execz .LBB435_13
.LBB435_18:
	v_dual_mov_b32 v2, 0 :: v_dual_add_nc_u32 v1, s2, v0
	v_add_nc_u32_e32 v0, 0x100, v0
	s_delay_alu instid0(VALU_DEP_2) | instskip(NEXT) | instid1(VALU_DEP_1)
	v_lshlrev_b64 v[1:2], 2, v[1:2]
	v_add_co_u32 v1, vcc_lo, s4, v1
	s_delay_alu instid0(VALU_DEP_2) | instskip(SKIP_2) | instid1(SALU_CYCLE_1)
	v_add_co_ci_u32_e32 v2, vcc_lo, s5, v2, vcc_lo
	global_store_b32 v[1:2], v6, off
	s_or_b32 exec_lo, exec_lo, s0
	s_mov_b32 s0, exec_lo
	v_cmpx_gt_i32_e64 s1, v0
	s_cbranch_execz .LBB435_14
.LBB435_19:
	v_dual_mov_b32 v2, 0 :: v_dual_add_nc_u32 v1, s2, v0
	v_add_nc_u32_e32 v0, 0x100, v0
	s_delay_alu instid0(VALU_DEP_2) | instskip(NEXT) | instid1(VALU_DEP_1)
	v_lshlrev_b64 v[1:2], 2, v[1:2]
	v_add_co_u32 v1, vcc_lo, s4, v1
	s_delay_alu instid0(VALU_DEP_2) | instskip(SKIP_2) | instid1(SALU_CYCLE_1)
	v_add_co_ci_u32_e32 v2, vcc_lo, s5, v2, vcc_lo
	global_store_b32 v[1:2], v5, off
	s_or_b32 exec_lo, exec_lo, s0
	s_mov_b32 s0, exec_lo
	v_cmpx_gt_i32_e64 s1, v0
	s_cbranch_execnz .LBB435_15
	s_branch .LBB435_16
	.section	.rodata,"a",@progbits
	.p2align	6, 0x0
	.amdhsa_kernel _ZN2at6native29vectorized_elementwise_kernelILi8EZZZNS0_21clamp_max_kernel_cudaERNS_18TensorIteratorBaseERKN3c106ScalarEENKUlvE_clEvENKUlvE1_clEvEUliE_St5arrayIPcLm2EEEEviT0_T1_
		.amdhsa_group_segment_fixed_size 0
		.amdhsa_private_segment_fixed_size 0
		.amdhsa_kernarg_size 24
		.amdhsa_user_sgpr_count 15
		.amdhsa_user_sgpr_dispatch_ptr 0
		.amdhsa_user_sgpr_queue_ptr 0
		.amdhsa_user_sgpr_kernarg_segment_ptr 1
		.amdhsa_user_sgpr_dispatch_id 0
		.amdhsa_user_sgpr_private_segment_size 0
		.amdhsa_wavefront_size32 1
		.amdhsa_uses_dynamic_stack 0
		.amdhsa_enable_private_segment 0
		.amdhsa_system_sgpr_workgroup_id_x 1
		.amdhsa_system_sgpr_workgroup_id_y 0
		.amdhsa_system_sgpr_workgroup_id_z 0
		.amdhsa_system_sgpr_workgroup_info 0
		.amdhsa_system_vgpr_workitem_id 0
		.amdhsa_next_free_vgpr 10
		.amdhsa_next_free_sgpr 16
		.amdhsa_reserve_vcc 1
		.amdhsa_float_round_mode_32 0
		.amdhsa_float_round_mode_16_64 0
		.amdhsa_float_denorm_mode_32 3
		.amdhsa_float_denorm_mode_16_64 3
		.amdhsa_dx10_clamp 1
		.amdhsa_ieee_mode 1
		.amdhsa_fp16_overflow 0
		.amdhsa_workgroup_processor_mode 1
		.amdhsa_memory_ordered 1
		.amdhsa_forward_progress 0
		.amdhsa_shared_vgpr_count 0
		.amdhsa_exception_fp_ieee_invalid_op 0
		.amdhsa_exception_fp_denorm_src 0
		.amdhsa_exception_fp_ieee_div_zero 0
		.amdhsa_exception_fp_ieee_overflow 0
		.amdhsa_exception_fp_ieee_underflow 0
		.amdhsa_exception_fp_ieee_inexact 0
		.amdhsa_exception_int_div_zero 0
	.end_amdhsa_kernel
	.section	.text._ZN2at6native29vectorized_elementwise_kernelILi8EZZZNS0_21clamp_max_kernel_cudaERNS_18TensorIteratorBaseERKN3c106ScalarEENKUlvE_clEvENKUlvE1_clEvEUliE_St5arrayIPcLm2EEEEviT0_T1_,"axG",@progbits,_ZN2at6native29vectorized_elementwise_kernelILi8EZZZNS0_21clamp_max_kernel_cudaERNS_18TensorIteratorBaseERKN3c106ScalarEENKUlvE_clEvENKUlvE1_clEvEUliE_St5arrayIPcLm2EEEEviT0_T1_,comdat
.Lfunc_end435:
	.size	_ZN2at6native29vectorized_elementwise_kernelILi8EZZZNS0_21clamp_max_kernel_cudaERNS_18TensorIteratorBaseERKN3c106ScalarEENKUlvE_clEvENKUlvE1_clEvEUliE_St5arrayIPcLm2EEEEviT0_T1_, .Lfunc_end435-_ZN2at6native29vectorized_elementwise_kernelILi8EZZZNS0_21clamp_max_kernel_cudaERNS_18TensorIteratorBaseERKN3c106ScalarEENKUlvE_clEvENKUlvE1_clEvEUliE_St5arrayIPcLm2EEEEviT0_T1_
                                        ; -- End function
	.section	.AMDGPU.csdata,"",@progbits
; Kernel info:
; codeLenInByte = 820
; NumSgprs: 18
; NumVgprs: 10
; ScratchSize: 0
; MemoryBound: 0
; FloatMode: 240
; IeeeMode: 1
; LDSByteSize: 0 bytes/workgroup (compile time only)
; SGPRBlocks: 2
; VGPRBlocks: 1
; NumSGPRsForWavesPerEU: 18
; NumVGPRsForWavesPerEU: 10
; Occupancy: 16
; WaveLimiterHint : 0
; COMPUTE_PGM_RSRC2:SCRATCH_EN: 0
; COMPUTE_PGM_RSRC2:USER_SGPR: 15
; COMPUTE_PGM_RSRC2:TRAP_HANDLER: 0
; COMPUTE_PGM_RSRC2:TGID_X_EN: 1
; COMPUTE_PGM_RSRC2:TGID_Y_EN: 0
; COMPUTE_PGM_RSRC2:TGID_Z_EN: 0
; COMPUTE_PGM_RSRC2:TIDIG_COMP_CNT: 0
	.section	.text._ZN2at6native29vectorized_elementwise_kernelILi4EZZZNS0_21clamp_max_kernel_cudaERNS_18TensorIteratorBaseERKN3c106ScalarEENKUlvE_clEvENKUlvE1_clEvEUliE_St5arrayIPcLm2EEEEviT0_T1_,"axG",@progbits,_ZN2at6native29vectorized_elementwise_kernelILi4EZZZNS0_21clamp_max_kernel_cudaERNS_18TensorIteratorBaseERKN3c106ScalarEENKUlvE_clEvENKUlvE1_clEvEUliE_St5arrayIPcLm2EEEEviT0_T1_,comdat
	.globl	_ZN2at6native29vectorized_elementwise_kernelILi4EZZZNS0_21clamp_max_kernel_cudaERNS_18TensorIteratorBaseERKN3c106ScalarEENKUlvE_clEvENKUlvE1_clEvEUliE_St5arrayIPcLm2EEEEviT0_T1_ ; -- Begin function _ZN2at6native29vectorized_elementwise_kernelILi4EZZZNS0_21clamp_max_kernel_cudaERNS_18TensorIteratorBaseERKN3c106ScalarEENKUlvE_clEvENKUlvE1_clEvEUliE_St5arrayIPcLm2EEEEviT0_T1_
	.p2align	8
	.type	_ZN2at6native29vectorized_elementwise_kernelILi4EZZZNS0_21clamp_max_kernel_cudaERNS_18TensorIteratorBaseERKN3c106ScalarEENKUlvE_clEvENKUlvE1_clEvEUliE_St5arrayIPcLm2EEEEviT0_T1_,@function
_ZN2at6native29vectorized_elementwise_kernelILi4EZZZNS0_21clamp_max_kernel_cudaERNS_18TensorIteratorBaseERKN3c106ScalarEENKUlvE_clEvENKUlvE1_clEvEUliE_St5arrayIPcLm2EEEEviT0_T1_: ; @_ZN2at6native29vectorized_elementwise_kernelILi4EZZZNS0_21clamp_max_kernel_cudaERNS_18TensorIteratorBaseERKN3c106ScalarEENKUlvE_clEvENKUlvE1_clEvEUliE_St5arrayIPcLm2EEEEviT0_T1_
; %bb.0:
	s_clause 0x1
	s_load_b64 s[8:9], s[0:1], 0x0
	s_load_b128 s[4:7], s[0:1], 0x8
	s_lshl_b32 s2, s15, 10
	s_mov_b32 s0, -1
	s_waitcnt lgkmcnt(0)
	s_sub_i32 s1, s8, s2
	s_delay_alu instid0(SALU_CYCLE_1)
	s_cmpk_gt_i32 s1, 0x3ff
	s_cbranch_scc0 .LBB436_2
; %bb.1:
	s_ashr_i32 s3, s2, 31
	v_lshlrev_b32_e32 v5, 4, v0
	s_lshl_b64 s[10:11], s[2:3], 2
	s_mov_b32 s0, 0
	s_add_u32 s12, s6, s10
	s_addc_u32 s13, s7, s11
	s_add_u32 s10, s4, s10
	global_load_b128 v[1:4], v5, s[12:13]
	s_addc_u32 s11, s5, s11
	s_waitcnt vmcnt(0)
	v_min_i32_e32 v1, s9, v1
	v_min_i32_e32 v2, s9, v2
	;; [unrolled: 1-line block ×4, first 2 shown]
	global_store_b128 v5, v[1:4], s[10:11]
.LBB436_2:
	s_and_not1_b32 vcc_lo, exec_lo, s0
	s_cbranch_vccnz .LBB436_16
; %bb.3:
	v_cmp_gt_i32_e32 vcc_lo, s1, v0
	v_dual_mov_b32 v4, 0 :: v_dual_mov_b32 v5, v0
	v_or_b32_e32 v1, s2, v0
	v_or_b32_e32 v3, 0x100, v0
	v_mov_b32_e32 v2, 0
	s_and_saveexec_b32 s3, vcc_lo
	s_cbranch_execz .LBB436_5
; %bb.4:
	v_mov_b32_e32 v2, 0
	s_delay_alu instid0(VALU_DEP_1) | instskip(NEXT) | instid1(VALU_DEP_1)
	v_lshlrev_b64 v[5:6], 2, v[1:2]
	v_add_co_u32 v5, s0, s6, v5
	s_delay_alu instid0(VALU_DEP_1)
	v_add_co_ci_u32_e64 v6, s0, s7, v6, s0
	global_load_b32 v2, v[5:6], off
	v_or_b32_e32 v5, 0x100, v0
.LBB436_5:
	s_or_b32 exec_lo, exec_lo, s3
	s_delay_alu instid0(SALU_CYCLE_1) | instskip(NEXT) | instid1(VALU_DEP_1)
	s_mov_b32 s3, exec_lo
	v_cmpx_gt_i32_e64 s1, v5
	s_cbranch_execz .LBB436_7
; %bb.6:
	v_dual_mov_b32 v7, 0 :: v_dual_add_nc_u32 v6, s2, v5
	v_add_nc_u32_e32 v5, 0x100, v5
	s_delay_alu instid0(VALU_DEP_2) | instskip(NEXT) | instid1(VALU_DEP_1)
	v_lshlrev_b64 v[6:7], 2, v[6:7]
	v_add_co_u32 v6, s0, s6, v6
	s_delay_alu instid0(VALU_DEP_1)
	v_add_co_ci_u32_e64 v7, s0, s7, v7, s0
	global_load_b32 v4, v[6:7], off
.LBB436_7:
	s_or_b32 exec_lo, exec_lo, s3
	v_dual_mov_b32 v7, 0 :: v_dual_mov_b32 v8, 0
	s_mov_b32 s3, exec_lo
	v_cmpx_gt_i32_e64 s1, v5
	s_cbranch_execz .LBB436_9
; %bb.8:
	v_dual_mov_b32 v9, 0 :: v_dual_add_nc_u32 v8, s2, v5
	v_add_nc_u32_e32 v5, 0x100, v5
	s_delay_alu instid0(VALU_DEP_2) | instskip(NEXT) | instid1(VALU_DEP_1)
	v_lshlrev_b64 v[8:9], 2, v[8:9]
	v_add_co_u32 v8, s0, s6, v8
	s_delay_alu instid0(VALU_DEP_1)
	v_add_co_ci_u32_e64 v9, s0, s7, v9, s0
	global_load_b32 v8, v[8:9], off
.LBB436_9:
	s_or_b32 exec_lo, exec_lo, s3
	s_delay_alu instid0(SALU_CYCLE_1)
	s_mov_b32 s3, exec_lo
	v_cmpx_gt_i32_e64 s1, v5
	s_cbranch_execz .LBB436_11
; %bb.10:
	v_dual_mov_b32 v6, 0 :: v_dual_add_nc_u32 v5, s2, v5
	s_delay_alu instid0(VALU_DEP_1) | instskip(NEXT) | instid1(VALU_DEP_1)
	v_lshlrev_b64 v[5:6], 2, v[5:6]
	v_add_co_u32 v5, s0, s6, v5
	s_delay_alu instid0(VALU_DEP_1)
	v_add_co_ci_u32_e64 v6, s0, s7, v6, s0
	global_load_b32 v7, v[5:6], off
.LBB436_11:
	s_or_b32 exec_lo, exec_lo, s3
	s_waitcnt vmcnt(0)
	v_min_i32_e32 v9, s9, v2
	v_min_i32_e32 v6, s9, v4
	;; [unrolled: 1-line block ×4, first 2 shown]
	s_and_saveexec_b32 s0, vcc_lo
	s_cbranch_execnz .LBB436_17
; %bb.12:
	s_or_b32 exec_lo, exec_lo, s0
	s_delay_alu instid0(SALU_CYCLE_1)
	s_mov_b32 s0, exec_lo
	v_cmpx_gt_i32_e64 s1, v0
	s_cbranch_execnz .LBB436_18
.LBB436_13:
	s_or_b32 exec_lo, exec_lo, s0
	s_delay_alu instid0(SALU_CYCLE_1)
	s_mov_b32 s0, exec_lo
	v_cmpx_gt_i32_e64 s1, v0
	s_cbranch_execnz .LBB436_19
.LBB436_14:
	s_or_b32 exec_lo, exec_lo, s0
	s_delay_alu instid0(SALU_CYCLE_1)
	s_mov_b32 s0, exec_lo
	v_cmpx_gt_i32_e64 s1, v0
	s_cbranch_execz .LBB436_16
.LBB436_15:
	v_dual_mov_b32 v1, 0 :: v_dual_add_nc_u32 v0, s2, v0
	s_delay_alu instid0(VALU_DEP_1) | instskip(NEXT) | instid1(VALU_DEP_1)
	v_lshlrev_b64 v[0:1], 2, v[0:1]
	v_add_co_u32 v0, vcc_lo, s4, v0
	s_delay_alu instid0(VALU_DEP_2)
	v_add_co_ci_u32_e32 v1, vcc_lo, s5, v1, vcc_lo
	global_store_b32 v[0:1], v4, off
.LBB436_16:
	s_nop 0
	s_sendmsg sendmsg(MSG_DEALLOC_VGPRS)
	s_endpgm
.LBB436_17:
	v_mov_b32_e32 v2, 0
	s_delay_alu instid0(VALU_DEP_1) | instskip(NEXT) | instid1(VALU_DEP_1)
	v_lshlrev_b64 v[0:1], 2, v[1:2]
	v_add_co_u32 v7, vcc_lo, s4, v0
	s_delay_alu instid0(VALU_DEP_2) | instskip(SKIP_3) | instid1(SALU_CYCLE_1)
	v_add_co_ci_u32_e32 v8, vcc_lo, s5, v1, vcc_lo
	v_mov_b32_e32 v0, v3
	global_store_b32 v[7:8], v9, off
	s_or_b32 exec_lo, exec_lo, s0
	s_mov_b32 s0, exec_lo
	v_cmpx_gt_i32_e64 s1, v0
	s_cbranch_execz .LBB436_13
.LBB436_18:
	v_dual_mov_b32 v2, 0 :: v_dual_add_nc_u32 v1, s2, v0
	v_add_nc_u32_e32 v0, 0x100, v0
	s_delay_alu instid0(VALU_DEP_2) | instskip(NEXT) | instid1(VALU_DEP_1)
	v_lshlrev_b64 v[1:2], 2, v[1:2]
	v_add_co_u32 v1, vcc_lo, s4, v1
	s_delay_alu instid0(VALU_DEP_2) | instskip(SKIP_2) | instid1(SALU_CYCLE_1)
	v_add_co_ci_u32_e32 v2, vcc_lo, s5, v2, vcc_lo
	global_store_b32 v[1:2], v6, off
	s_or_b32 exec_lo, exec_lo, s0
	s_mov_b32 s0, exec_lo
	v_cmpx_gt_i32_e64 s1, v0
	s_cbranch_execz .LBB436_14
.LBB436_19:
	v_dual_mov_b32 v2, 0 :: v_dual_add_nc_u32 v1, s2, v0
	v_add_nc_u32_e32 v0, 0x100, v0
	s_delay_alu instid0(VALU_DEP_2) | instskip(NEXT) | instid1(VALU_DEP_1)
	v_lshlrev_b64 v[1:2], 2, v[1:2]
	v_add_co_u32 v1, vcc_lo, s4, v1
	s_delay_alu instid0(VALU_DEP_2) | instskip(SKIP_2) | instid1(SALU_CYCLE_1)
	v_add_co_ci_u32_e32 v2, vcc_lo, s5, v2, vcc_lo
	global_store_b32 v[1:2], v5, off
	s_or_b32 exec_lo, exec_lo, s0
	s_mov_b32 s0, exec_lo
	v_cmpx_gt_i32_e64 s1, v0
	s_cbranch_execnz .LBB436_15
	s_branch .LBB436_16
	.section	.rodata,"a",@progbits
	.p2align	6, 0x0
	.amdhsa_kernel _ZN2at6native29vectorized_elementwise_kernelILi4EZZZNS0_21clamp_max_kernel_cudaERNS_18TensorIteratorBaseERKN3c106ScalarEENKUlvE_clEvENKUlvE1_clEvEUliE_St5arrayIPcLm2EEEEviT0_T1_
		.amdhsa_group_segment_fixed_size 0
		.amdhsa_private_segment_fixed_size 0
		.amdhsa_kernarg_size 24
		.amdhsa_user_sgpr_count 15
		.amdhsa_user_sgpr_dispatch_ptr 0
		.amdhsa_user_sgpr_queue_ptr 0
		.amdhsa_user_sgpr_kernarg_segment_ptr 1
		.amdhsa_user_sgpr_dispatch_id 0
		.amdhsa_user_sgpr_private_segment_size 0
		.amdhsa_wavefront_size32 1
		.amdhsa_uses_dynamic_stack 0
		.amdhsa_enable_private_segment 0
		.amdhsa_system_sgpr_workgroup_id_x 1
		.amdhsa_system_sgpr_workgroup_id_y 0
		.amdhsa_system_sgpr_workgroup_id_z 0
		.amdhsa_system_sgpr_workgroup_info 0
		.amdhsa_system_vgpr_workitem_id 0
		.amdhsa_next_free_vgpr 10
		.amdhsa_next_free_sgpr 16
		.amdhsa_reserve_vcc 1
		.amdhsa_float_round_mode_32 0
		.amdhsa_float_round_mode_16_64 0
		.amdhsa_float_denorm_mode_32 3
		.amdhsa_float_denorm_mode_16_64 3
		.amdhsa_dx10_clamp 1
		.amdhsa_ieee_mode 1
		.amdhsa_fp16_overflow 0
		.amdhsa_workgroup_processor_mode 1
		.amdhsa_memory_ordered 1
		.amdhsa_forward_progress 0
		.amdhsa_shared_vgpr_count 0
		.amdhsa_exception_fp_ieee_invalid_op 0
		.amdhsa_exception_fp_denorm_src 0
		.amdhsa_exception_fp_ieee_div_zero 0
		.amdhsa_exception_fp_ieee_overflow 0
		.amdhsa_exception_fp_ieee_underflow 0
		.amdhsa_exception_fp_ieee_inexact 0
		.amdhsa_exception_int_div_zero 0
	.end_amdhsa_kernel
	.section	.text._ZN2at6native29vectorized_elementwise_kernelILi4EZZZNS0_21clamp_max_kernel_cudaERNS_18TensorIteratorBaseERKN3c106ScalarEENKUlvE_clEvENKUlvE1_clEvEUliE_St5arrayIPcLm2EEEEviT0_T1_,"axG",@progbits,_ZN2at6native29vectorized_elementwise_kernelILi4EZZZNS0_21clamp_max_kernel_cudaERNS_18TensorIteratorBaseERKN3c106ScalarEENKUlvE_clEvENKUlvE1_clEvEUliE_St5arrayIPcLm2EEEEviT0_T1_,comdat
.Lfunc_end436:
	.size	_ZN2at6native29vectorized_elementwise_kernelILi4EZZZNS0_21clamp_max_kernel_cudaERNS_18TensorIteratorBaseERKN3c106ScalarEENKUlvE_clEvENKUlvE1_clEvEUliE_St5arrayIPcLm2EEEEviT0_T1_, .Lfunc_end436-_ZN2at6native29vectorized_elementwise_kernelILi4EZZZNS0_21clamp_max_kernel_cudaERNS_18TensorIteratorBaseERKN3c106ScalarEENKUlvE_clEvENKUlvE1_clEvEUliE_St5arrayIPcLm2EEEEviT0_T1_
                                        ; -- End function
	.section	.AMDGPU.csdata,"",@progbits
; Kernel info:
; codeLenInByte = 820
; NumSgprs: 18
; NumVgprs: 10
; ScratchSize: 0
; MemoryBound: 0
; FloatMode: 240
; IeeeMode: 1
; LDSByteSize: 0 bytes/workgroup (compile time only)
; SGPRBlocks: 2
; VGPRBlocks: 1
; NumSGPRsForWavesPerEU: 18
; NumVGPRsForWavesPerEU: 10
; Occupancy: 16
; WaveLimiterHint : 0
; COMPUTE_PGM_RSRC2:SCRATCH_EN: 0
; COMPUTE_PGM_RSRC2:USER_SGPR: 15
; COMPUTE_PGM_RSRC2:TRAP_HANDLER: 0
; COMPUTE_PGM_RSRC2:TGID_X_EN: 1
; COMPUTE_PGM_RSRC2:TGID_Y_EN: 0
; COMPUTE_PGM_RSRC2:TGID_Z_EN: 0
; COMPUTE_PGM_RSRC2:TIDIG_COMP_CNT: 0
	.section	.text._ZN2at6native29vectorized_elementwise_kernelILi2EZZZNS0_21clamp_max_kernel_cudaERNS_18TensorIteratorBaseERKN3c106ScalarEENKUlvE_clEvENKUlvE1_clEvEUliE_St5arrayIPcLm2EEEEviT0_T1_,"axG",@progbits,_ZN2at6native29vectorized_elementwise_kernelILi2EZZZNS0_21clamp_max_kernel_cudaERNS_18TensorIteratorBaseERKN3c106ScalarEENKUlvE_clEvENKUlvE1_clEvEUliE_St5arrayIPcLm2EEEEviT0_T1_,comdat
	.globl	_ZN2at6native29vectorized_elementwise_kernelILi2EZZZNS0_21clamp_max_kernel_cudaERNS_18TensorIteratorBaseERKN3c106ScalarEENKUlvE_clEvENKUlvE1_clEvEUliE_St5arrayIPcLm2EEEEviT0_T1_ ; -- Begin function _ZN2at6native29vectorized_elementwise_kernelILi2EZZZNS0_21clamp_max_kernel_cudaERNS_18TensorIteratorBaseERKN3c106ScalarEENKUlvE_clEvENKUlvE1_clEvEUliE_St5arrayIPcLm2EEEEviT0_T1_
	.p2align	8
	.type	_ZN2at6native29vectorized_elementwise_kernelILi2EZZZNS0_21clamp_max_kernel_cudaERNS_18TensorIteratorBaseERKN3c106ScalarEENKUlvE_clEvENKUlvE1_clEvEUliE_St5arrayIPcLm2EEEEviT0_T1_,@function
_ZN2at6native29vectorized_elementwise_kernelILi2EZZZNS0_21clamp_max_kernel_cudaERNS_18TensorIteratorBaseERKN3c106ScalarEENKUlvE_clEvENKUlvE1_clEvEUliE_St5arrayIPcLm2EEEEviT0_T1_: ; @_ZN2at6native29vectorized_elementwise_kernelILi2EZZZNS0_21clamp_max_kernel_cudaERNS_18TensorIteratorBaseERKN3c106ScalarEENKUlvE_clEvENKUlvE1_clEvEUliE_St5arrayIPcLm2EEEEviT0_T1_
; %bb.0:
	s_clause 0x1
	s_load_b64 s[8:9], s[0:1], 0x0
	s_load_b128 s[4:7], s[0:1], 0x8
	s_lshl_b32 s2, s15, 10
	s_mov_b32 s0, -1
	s_waitcnt lgkmcnt(0)
	s_sub_i32 s1, s8, s2
	s_delay_alu instid0(SALU_CYCLE_1)
	s_cmpk_gt_i32 s1, 0x3ff
	s_cbranch_scc0 .LBB437_2
; %bb.1:
	s_ashr_i32 s3, s2, 31
	v_lshlrev_b32_e32 v5, 3, v0
	s_lshl_b64 s[10:11], s[2:3], 2
	s_mov_b32 s0, 0
	s_add_u32 s12, s6, s10
	s_addc_u32 s13, s7, s11
	s_add_u32 s10, s4, s10
	s_clause 0x1
	global_load_b64 v[1:2], v5, s[12:13]
	global_load_b64 v[3:4], v5, s[12:13] offset:2048
	s_addc_u32 s11, s5, s11
	s_waitcnt vmcnt(1)
	v_min_i32_e32 v1, s9, v1
	v_min_i32_e32 v2, s9, v2
	s_waitcnt vmcnt(0)
	v_min_i32_e32 v3, s9, v3
	v_min_i32_e32 v4, s9, v4
	s_clause 0x1
	global_store_b64 v5, v[1:2], s[10:11]
	global_store_b64 v5, v[3:4], s[10:11] offset:2048
.LBB437_2:
	s_and_not1_b32 vcc_lo, exec_lo, s0
	s_cbranch_vccnz .LBB437_16
; %bb.3:
	v_cmp_gt_i32_e32 vcc_lo, s1, v0
	v_dual_mov_b32 v4, 0 :: v_dual_mov_b32 v5, v0
	v_or_b32_e32 v1, s2, v0
	v_or_b32_e32 v3, 0x100, v0
	v_mov_b32_e32 v2, 0
	s_and_saveexec_b32 s3, vcc_lo
	s_cbranch_execz .LBB437_5
; %bb.4:
	v_mov_b32_e32 v2, 0
	s_delay_alu instid0(VALU_DEP_1) | instskip(NEXT) | instid1(VALU_DEP_1)
	v_lshlrev_b64 v[5:6], 2, v[1:2]
	v_add_co_u32 v5, s0, s6, v5
	s_delay_alu instid0(VALU_DEP_1)
	v_add_co_ci_u32_e64 v6, s0, s7, v6, s0
	global_load_b32 v2, v[5:6], off
	v_or_b32_e32 v5, 0x100, v0
.LBB437_5:
	s_or_b32 exec_lo, exec_lo, s3
	s_delay_alu instid0(SALU_CYCLE_1) | instskip(NEXT) | instid1(VALU_DEP_1)
	s_mov_b32 s3, exec_lo
	v_cmpx_gt_i32_e64 s1, v5
	s_cbranch_execz .LBB437_7
; %bb.6:
	v_dual_mov_b32 v7, 0 :: v_dual_add_nc_u32 v6, s2, v5
	v_add_nc_u32_e32 v5, 0x100, v5
	s_delay_alu instid0(VALU_DEP_2) | instskip(NEXT) | instid1(VALU_DEP_1)
	v_lshlrev_b64 v[6:7], 2, v[6:7]
	v_add_co_u32 v6, s0, s6, v6
	s_delay_alu instid0(VALU_DEP_1)
	v_add_co_ci_u32_e64 v7, s0, s7, v7, s0
	global_load_b32 v4, v[6:7], off
.LBB437_7:
	s_or_b32 exec_lo, exec_lo, s3
	v_dual_mov_b32 v7, 0 :: v_dual_mov_b32 v8, 0
	s_mov_b32 s3, exec_lo
	v_cmpx_gt_i32_e64 s1, v5
	s_cbranch_execz .LBB437_9
; %bb.8:
	v_dual_mov_b32 v9, 0 :: v_dual_add_nc_u32 v8, s2, v5
	v_add_nc_u32_e32 v5, 0x100, v5
	s_delay_alu instid0(VALU_DEP_2) | instskip(NEXT) | instid1(VALU_DEP_1)
	v_lshlrev_b64 v[8:9], 2, v[8:9]
	v_add_co_u32 v8, s0, s6, v8
	s_delay_alu instid0(VALU_DEP_1)
	v_add_co_ci_u32_e64 v9, s0, s7, v9, s0
	global_load_b32 v8, v[8:9], off
.LBB437_9:
	s_or_b32 exec_lo, exec_lo, s3
	s_delay_alu instid0(SALU_CYCLE_1)
	s_mov_b32 s3, exec_lo
	v_cmpx_gt_i32_e64 s1, v5
	s_cbranch_execz .LBB437_11
; %bb.10:
	v_dual_mov_b32 v6, 0 :: v_dual_add_nc_u32 v5, s2, v5
	s_delay_alu instid0(VALU_DEP_1) | instskip(NEXT) | instid1(VALU_DEP_1)
	v_lshlrev_b64 v[5:6], 2, v[5:6]
	v_add_co_u32 v5, s0, s6, v5
	s_delay_alu instid0(VALU_DEP_1)
	v_add_co_ci_u32_e64 v6, s0, s7, v6, s0
	global_load_b32 v7, v[5:6], off
.LBB437_11:
	s_or_b32 exec_lo, exec_lo, s3
	s_waitcnt vmcnt(0)
	v_min_i32_e32 v9, s9, v2
	v_min_i32_e32 v6, s9, v4
	;; [unrolled: 1-line block ×4, first 2 shown]
	s_and_saveexec_b32 s0, vcc_lo
	s_cbranch_execnz .LBB437_17
; %bb.12:
	s_or_b32 exec_lo, exec_lo, s0
	s_delay_alu instid0(SALU_CYCLE_1)
	s_mov_b32 s0, exec_lo
	v_cmpx_gt_i32_e64 s1, v0
	s_cbranch_execnz .LBB437_18
.LBB437_13:
	s_or_b32 exec_lo, exec_lo, s0
	s_delay_alu instid0(SALU_CYCLE_1)
	s_mov_b32 s0, exec_lo
	v_cmpx_gt_i32_e64 s1, v0
	s_cbranch_execnz .LBB437_19
.LBB437_14:
	s_or_b32 exec_lo, exec_lo, s0
	s_delay_alu instid0(SALU_CYCLE_1)
	s_mov_b32 s0, exec_lo
	v_cmpx_gt_i32_e64 s1, v0
	s_cbranch_execz .LBB437_16
.LBB437_15:
	v_dual_mov_b32 v1, 0 :: v_dual_add_nc_u32 v0, s2, v0
	s_delay_alu instid0(VALU_DEP_1) | instskip(NEXT) | instid1(VALU_DEP_1)
	v_lshlrev_b64 v[0:1], 2, v[0:1]
	v_add_co_u32 v0, vcc_lo, s4, v0
	s_delay_alu instid0(VALU_DEP_2)
	v_add_co_ci_u32_e32 v1, vcc_lo, s5, v1, vcc_lo
	global_store_b32 v[0:1], v4, off
.LBB437_16:
	s_nop 0
	s_sendmsg sendmsg(MSG_DEALLOC_VGPRS)
	s_endpgm
.LBB437_17:
	v_mov_b32_e32 v2, 0
	s_delay_alu instid0(VALU_DEP_1) | instskip(NEXT) | instid1(VALU_DEP_1)
	v_lshlrev_b64 v[0:1], 2, v[1:2]
	v_add_co_u32 v7, vcc_lo, s4, v0
	s_delay_alu instid0(VALU_DEP_2) | instskip(SKIP_3) | instid1(SALU_CYCLE_1)
	v_add_co_ci_u32_e32 v8, vcc_lo, s5, v1, vcc_lo
	v_mov_b32_e32 v0, v3
	global_store_b32 v[7:8], v9, off
	s_or_b32 exec_lo, exec_lo, s0
	s_mov_b32 s0, exec_lo
	v_cmpx_gt_i32_e64 s1, v0
	s_cbranch_execz .LBB437_13
.LBB437_18:
	v_dual_mov_b32 v2, 0 :: v_dual_add_nc_u32 v1, s2, v0
	v_add_nc_u32_e32 v0, 0x100, v0
	s_delay_alu instid0(VALU_DEP_2) | instskip(NEXT) | instid1(VALU_DEP_1)
	v_lshlrev_b64 v[1:2], 2, v[1:2]
	v_add_co_u32 v1, vcc_lo, s4, v1
	s_delay_alu instid0(VALU_DEP_2) | instskip(SKIP_2) | instid1(SALU_CYCLE_1)
	v_add_co_ci_u32_e32 v2, vcc_lo, s5, v2, vcc_lo
	global_store_b32 v[1:2], v6, off
	s_or_b32 exec_lo, exec_lo, s0
	s_mov_b32 s0, exec_lo
	v_cmpx_gt_i32_e64 s1, v0
	s_cbranch_execz .LBB437_14
.LBB437_19:
	v_dual_mov_b32 v2, 0 :: v_dual_add_nc_u32 v1, s2, v0
	v_add_nc_u32_e32 v0, 0x100, v0
	s_delay_alu instid0(VALU_DEP_2) | instskip(NEXT) | instid1(VALU_DEP_1)
	v_lshlrev_b64 v[1:2], 2, v[1:2]
	v_add_co_u32 v1, vcc_lo, s4, v1
	s_delay_alu instid0(VALU_DEP_2) | instskip(SKIP_2) | instid1(SALU_CYCLE_1)
	v_add_co_ci_u32_e32 v2, vcc_lo, s5, v2, vcc_lo
	global_store_b32 v[1:2], v5, off
	s_or_b32 exec_lo, exec_lo, s0
	s_mov_b32 s0, exec_lo
	v_cmpx_gt_i32_e64 s1, v0
	s_cbranch_execnz .LBB437_15
	s_branch .LBB437_16
	.section	.rodata,"a",@progbits
	.p2align	6, 0x0
	.amdhsa_kernel _ZN2at6native29vectorized_elementwise_kernelILi2EZZZNS0_21clamp_max_kernel_cudaERNS_18TensorIteratorBaseERKN3c106ScalarEENKUlvE_clEvENKUlvE1_clEvEUliE_St5arrayIPcLm2EEEEviT0_T1_
		.amdhsa_group_segment_fixed_size 0
		.amdhsa_private_segment_fixed_size 0
		.amdhsa_kernarg_size 24
		.amdhsa_user_sgpr_count 15
		.amdhsa_user_sgpr_dispatch_ptr 0
		.amdhsa_user_sgpr_queue_ptr 0
		.amdhsa_user_sgpr_kernarg_segment_ptr 1
		.amdhsa_user_sgpr_dispatch_id 0
		.amdhsa_user_sgpr_private_segment_size 0
		.amdhsa_wavefront_size32 1
		.amdhsa_uses_dynamic_stack 0
		.amdhsa_enable_private_segment 0
		.amdhsa_system_sgpr_workgroup_id_x 1
		.amdhsa_system_sgpr_workgroup_id_y 0
		.amdhsa_system_sgpr_workgroup_id_z 0
		.amdhsa_system_sgpr_workgroup_info 0
		.amdhsa_system_vgpr_workitem_id 0
		.amdhsa_next_free_vgpr 10
		.amdhsa_next_free_sgpr 16
		.amdhsa_reserve_vcc 1
		.amdhsa_float_round_mode_32 0
		.amdhsa_float_round_mode_16_64 0
		.amdhsa_float_denorm_mode_32 3
		.amdhsa_float_denorm_mode_16_64 3
		.amdhsa_dx10_clamp 1
		.amdhsa_ieee_mode 1
		.amdhsa_fp16_overflow 0
		.amdhsa_workgroup_processor_mode 1
		.amdhsa_memory_ordered 1
		.amdhsa_forward_progress 0
		.amdhsa_shared_vgpr_count 0
		.amdhsa_exception_fp_ieee_invalid_op 0
		.amdhsa_exception_fp_denorm_src 0
		.amdhsa_exception_fp_ieee_div_zero 0
		.amdhsa_exception_fp_ieee_overflow 0
		.amdhsa_exception_fp_ieee_underflow 0
		.amdhsa_exception_fp_ieee_inexact 0
		.amdhsa_exception_int_div_zero 0
	.end_amdhsa_kernel
	.section	.text._ZN2at6native29vectorized_elementwise_kernelILi2EZZZNS0_21clamp_max_kernel_cudaERNS_18TensorIteratorBaseERKN3c106ScalarEENKUlvE_clEvENKUlvE1_clEvEUliE_St5arrayIPcLm2EEEEviT0_T1_,"axG",@progbits,_ZN2at6native29vectorized_elementwise_kernelILi2EZZZNS0_21clamp_max_kernel_cudaERNS_18TensorIteratorBaseERKN3c106ScalarEENKUlvE_clEvENKUlvE1_clEvEUliE_St5arrayIPcLm2EEEEviT0_T1_,comdat
.Lfunc_end437:
	.size	_ZN2at6native29vectorized_elementwise_kernelILi2EZZZNS0_21clamp_max_kernel_cudaERNS_18TensorIteratorBaseERKN3c106ScalarEENKUlvE_clEvENKUlvE1_clEvEUliE_St5arrayIPcLm2EEEEviT0_T1_, .Lfunc_end437-_ZN2at6native29vectorized_elementwise_kernelILi2EZZZNS0_21clamp_max_kernel_cudaERNS_18TensorIteratorBaseERKN3c106ScalarEENKUlvE_clEvENKUlvE1_clEvEUliE_St5arrayIPcLm2EEEEviT0_T1_
                                        ; -- End function
	.section	.AMDGPU.csdata,"",@progbits
; Kernel info:
; codeLenInByte = 848
; NumSgprs: 18
; NumVgprs: 10
; ScratchSize: 0
; MemoryBound: 0
; FloatMode: 240
; IeeeMode: 1
; LDSByteSize: 0 bytes/workgroup (compile time only)
; SGPRBlocks: 2
; VGPRBlocks: 1
; NumSGPRsForWavesPerEU: 18
; NumVGPRsForWavesPerEU: 10
; Occupancy: 16
; WaveLimiterHint : 1
; COMPUTE_PGM_RSRC2:SCRATCH_EN: 0
; COMPUTE_PGM_RSRC2:USER_SGPR: 15
; COMPUTE_PGM_RSRC2:TRAP_HANDLER: 0
; COMPUTE_PGM_RSRC2:TGID_X_EN: 1
; COMPUTE_PGM_RSRC2:TGID_Y_EN: 0
; COMPUTE_PGM_RSRC2:TGID_Z_EN: 0
; COMPUTE_PGM_RSRC2:TIDIG_COMP_CNT: 0
	.section	.text._ZN2at6native27unrolled_elementwise_kernelIZZZNS0_21clamp_max_kernel_cudaERNS_18TensorIteratorBaseERKN3c106ScalarEENKUlvE_clEvENKUlvE1_clEvEUliE_St5arrayIPcLm2EELi4E23TrivialOffsetCalculatorILi1EjESF_NS0_6memory15LoadWithoutCastENSG_16StoreWithoutCastEEEviT_T0_T2_T3_T4_T5_,"axG",@progbits,_ZN2at6native27unrolled_elementwise_kernelIZZZNS0_21clamp_max_kernel_cudaERNS_18TensorIteratorBaseERKN3c106ScalarEENKUlvE_clEvENKUlvE1_clEvEUliE_St5arrayIPcLm2EELi4E23TrivialOffsetCalculatorILi1EjESF_NS0_6memory15LoadWithoutCastENSG_16StoreWithoutCastEEEviT_T0_T2_T3_T4_T5_,comdat
	.globl	_ZN2at6native27unrolled_elementwise_kernelIZZZNS0_21clamp_max_kernel_cudaERNS_18TensorIteratorBaseERKN3c106ScalarEENKUlvE_clEvENKUlvE1_clEvEUliE_St5arrayIPcLm2EELi4E23TrivialOffsetCalculatorILi1EjESF_NS0_6memory15LoadWithoutCastENSG_16StoreWithoutCastEEEviT_T0_T2_T3_T4_T5_ ; -- Begin function _ZN2at6native27unrolled_elementwise_kernelIZZZNS0_21clamp_max_kernel_cudaERNS_18TensorIteratorBaseERKN3c106ScalarEENKUlvE_clEvENKUlvE1_clEvEUliE_St5arrayIPcLm2EELi4E23TrivialOffsetCalculatorILi1EjESF_NS0_6memory15LoadWithoutCastENSG_16StoreWithoutCastEEEviT_T0_T2_T3_T4_T5_
	.p2align	8
	.type	_ZN2at6native27unrolled_elementwise_kernelIZZZNS0_21clamp_max_kernel_cudaERNS_18TensorIteratorBaseERKN3c106ScalarEENKUlvE_clEvENKUlvE1_clEvEUliE_St5arrayIPcLm2EELi4E23TrivialOffsetCalculatorILi1EjESF_NS0_6memory15LoadWithoutCastENSG_16StoreWithoutCastEEEviT_T0_T2_T3_T4_T5_,@function
_ZN2at6native27unrolled_elementwise_kernelIZZZNS0_21clamp_max_kernel_cudaERNS_18TensorIteratorBaseERKN3c106ScalarEENKUlvE_clEvENKUlvE1_clEvEUliE_St5arrayIPcLm2EELi4E23TrivialOffsetCalculatorILi1EjESF_NS0_6memory15LoadWithoutCastENSG_16StoreWithoutCastEEEviT_T0_T2_T3_T4_T5_: ; @_ZN2at6native27unrolled_elementwise_kernelIZZZNS0_21clamp_max_kernel_cudaERNS_18TensorIteratorBaseERKN3c106ScalarEENKUlvE_clEvENKUlvE1_clEvEUliE_St5arrayIPcLm2EELi4E23TrivialOffsetCalculatorILi1EjESF_NS0_6memory15LoadWithoutCastENSG_16StoreWithoutCastEEEviT_T0_T2_T3_T4_T5_
; %bb.0:
	s_clause 0x1
	s_load_b64 s[2:3], s[0:1], 0x0
	s_load_b128 s[4:7], s[0:1], 0x8
	s_lshl_b32 s1, s15, 10
	v_dual_mov_b32 v4, 0 :: v_dual_mov_b32 v5, v0
	v_mov_b32_e32 v2, 0
	v_or_b32_e32 v1, s1, v0
	v_or_b32_e32 v3, 0x100, v0
	s_waitcnt lgkmcnt(0)
	s_sub_i32 s2, s2, s1
	s_delay_alu instid0(SALU_CYCLE_1)
	v_cmp_gt_i32_e32 vcc_lo, s2, v0
	s_and_saveexec_b32 s8, vcc_lo
	s_cbranch_execz .LBB438_2
; %bb.1:
	v_mov_b32_e32 v2, 0
	s_delay_alu instid0(VALU_DEP_1) | instskip(NEXT) | instid1(VALU_DEP_1)
	v_lshlrev_b64 v[5:6], 2, v[1:2]
	v_add_co_u32 v5, s0, s6, v5
	s_delay_alu instid0(VALU_DEP_1)
	v_add_co_ci_u32_e64 v6, s0, s7, v6, s0
	global_load_b32 v2, v[5:6], off
	v_or_b32_e32 v5, 0x100, v0
.LBB438_2:
	s_or_b32 exec_lo, exec_lo, s8
	s_delay_alu instid0(SALU_CYCLE_1) | instskip(NEXT) | instid1(VALU_DEP_1)
	s_mov_b32 s8, exec_lo
	v_cmpx_gt_i32_e64 s2, v5
	s_cbranch_execz .LBB438_4
; %bb.3:
	v_dual_mov_b32 v7, 0 :: v_dual_add_nc_u32 v6, s1, v5
	v_add_nc_u32_e32 v5, 0x100, v5
	s_delay_alu instid0(VALU_DEP_2) | instskip(NEXT) | instid1(VALU_DEP_1)
	v_lshlrev_b64 v[6:7], 2, v[6:7]
	v_add_co_u32 v6, s0, s6, v6
	s_delay_alu instid0(VALU_DEP_1)
	v_add_co_ci_u32_e64 v7, s0, s7, v7, s0
	global_load_b32 v4, v[6:7], off
.LBB438_4:
	s_or_b32 exec_lo, exec_lo, s8
	v_dual_mov_b32 v7, 0 :: v_dual_mov_b32 v8, 0
	s_mov_b32 s8, exec_lo
	v_cmpx_gt_i32_e64 s2, v5
	s_cbranch_execz .LBB438_6
; %bb.5:
	v_dual_mov_b32 v9, 0 :: v_dual_add_nc_u32 v8, s1, v5
	v_add_nc_u32_e32 v5, 0x100, v5
	s_delay_alu instid0(VALU_DEP_2) | instskip(NEXT) | instid1(VALU_DEP_1)
	v_lshlrev_b64 v[8:9], 2, v[8:9]
	v_add_co_u32 v8, s0, s6, v8
	s_delay_alu instid0(VALU_DEP_1)
	v_add_co_ci_u32_e64 v9, s0, s7, v9, s0
	global_load_b32 v8, v[8:9], off
.LBB438_6:
	s_or_b32 exec_lo, exec_lo, s8
	s_delay_alu instid0(SALU_CYCLE_1)
	s_mov_b32 s8, exec_lo
	v_cmpx_gt_i32_e64 s2, v5
	s_cbranch_execz .LBB438_8
; %bb.7:
	v_dual_mov_b32 v6, 0 :: v_dual_add_nc_u32 v5, s1, v5
	s_delay_alu instid0(VALU_DEP_1) | instskip(NEXT) | instid1(VALU_DEP_1)
	v_lshlrev_b64 v[5:6], 2, v[5:6]
	v_add_co_u32 v5, s0, s6, v5
	s_delay_alu instid0(VALU_DEP_1)
	v_add_co_ci_u32_e64 v6, s0, s7, v6, s0
	global_load_b32 v7, v[5:6], off
.LBB438_8:
	s_or_b32 exec_lo, exec_lo, s8
	s_waitcnt vmcnt(0)
	v_min_i32_e32 v9, s3, v2
	v_min_i32_e32 v6, s3, v4
	;; [unrolled: 1-line block ×4, first 2 shown]
	s_and_saveexec_b32 s0, vcc_lo
	s_cbranch_execnz .LBB438_13
; %bb.9:
	s_or_b32 exec_lo, exec_lo, s0
	s_delay_alu instid0(SALU_CYCLE_1)
	s_mov_b32 s0, exec_lo
	v_cmpx_gt_i32_e64 s2, v0
	s_cbranch_execnz .LBB438_14
.LBB438_10:
	s_or_b32 exec_lo, exec_lo, s0
	s_delay_alu instid0(SALU_CYCLE_1)
	s_mov_b32 s0, exec_lo
	v_cmpx_gt_i32_e64 s2, v0
	s_cbranch_execnz .LBB438_15
.LBB438_11:
	s_or_b32 exec_lo, exec_lo, s0
	s_delay_alu instid0(SALU_CYCLE_1)
	s_mov_b32 s0, exec_lo
	v_cmpx_gt_i32_e64 s2, v0
	s_cbranch_execnz .LBB438_16
.LBB438_12:
	s_nop 0
	s_sendmsg sendmsg(MSG_DEALLOC_VGPRS)
	s_endpgm
.LBB438_13:
	v_mov_b32_e32 v2, 0
	s_delay_alu instid0(VALU_DEP_1) | instskip(NEXT) | instid1(VALU_DEP_1)
	v_lshlrev_b64 v[0:1], 2, v[1:2]
	v_add_co_u32 v7, vcc_lo, s4, v0
	s_delay_alu instid0(VALU_DEP_2) | instskip(SKIP_3) | instid1(SALU_CYCLE_1)
	v_add_co_ci_u32_e32 v8, vcc_lo, s5, v1, vcc_lo
	v_mov_b32_e32 v0, v3
	global_store_b32 v[7:8], v9, off
	s_or_b32 exec_lo, exec_lo, s0
	s_mov_b32 s0, exec_lo
	v_cmpx_gt_i32_e64 s2, v0
	s_cbranch_execz .LBB438_10
.LBB438_14:
	v_dual_mov_b32 v2, 0 :: v_dual_add_nc_u32 v1, s1, v0
	v_add_nc_u32_e32 v0, 0x100, v0
	s_delay_alu instid0(VALU_DEP_2) | instskip(NEXT) | instid1(VALU_DEP_1)
	v_lshlrev_b64 v[1:2], 2, v[1:2]
	v_add_co_u32 v1, vcc_lo, s4, v1
	s_delay_alu instid0(VALU_DEP_2) | instskip(SKIP_2) | instid1(SALU_CYCLE_1)
	v_add_co_ci_u32_e32 v2, vcc_lo, s5, v2, vcc_lo
	global_store_b32 v[1:2], v6, off
	s_or_b32 exec_lo, exec_lo, s0
	s_mov_b32 s0, exec_lo
	v_cmpx_gt_i32_e64 s2, v0
	s_cbranch_execz .LBB438_11
.LBB438_15:
	v_dual_mov_b32 v2, 0 :: v_dual_add_nc_u32 v1, s1, v0
	v_add_nc_u32_e32 v0, 0x100, v0
	s_delay_alu instid0(VALU_DEP_2) | instskip(NEXT) | instid1(VALU_DEP_1)
	v_lshlrev_b64 v[1:2], 2, v[1:2]
	v_add_co_u32 v1, vcc_lo, s4, v1
	s_delay_alu instid0(VALU_DEP_2) | instskip(SKIP_2) | instid1(SALU_CYCLE_1)
	v_add_co_ci_u32_e32 v2, vcc_lo, s5, v2, vcc_lo
	global_store_b32 v[1:2], v5, off
	s_or_b32 exec_lo, exec_lo, s0
	s_mov_b32 s0, exec_lo
	v_cmpx_gt_i32_e64 s2, v0
	s_cbranch_execz .LBB438_12
.LBB438_16:
	v_dual_mov_b32 v1, 0 :: v_dual_add_nc_u32 v0, s1, v0
	s_delay_alu instid0(VALU_DEP_1) | instskip(NEXT) | instid1(VALU_DEP_1)
	v_lshlrev_b64 v[0:1], 2, v[0:1]
	v_add_co_u32 v0, vcc_lo, s4, v0
	s_delay_alu instid0(VALU_DEP_2)
	v_add_co_ci_u32_e32 v1, vcc_lo, s5, v1, vcc_lo
	global_store_b32 v[0:1], v4, off
	s_nop 0
	s_sendmsg sendmsg(MSG_DEALLOC_VGPRS)
	s_endpgm
	.section	.rodata,"a",@progbits
	.p2align	6, 0x0
	.amdhsa_kernel _ZN2at6native27unrolled_elementwise_kernelIZZZNS0_21clamp_max_kernel_cudaERNS_18TensorIteratorBaseERKN3c106ScalarEENKUlvE_clEvENKUlvE1_clEvEUliE_St5arrayIPcLm2EELi4E23TrivialOffsetCalculatorILi1EjESF_NS0_6memory15LoadWithoutCastENSG_16StoreWithoutCastEEEviT_T0_T2_T3_T4_T5_
		.amdhsa_group_segment_fixed_size 0
		.amdhsa_private_segment_fixed_size 0
		.amdhsa_kernarg_size 28
		.amdhsa_user_sgpr_count 15
		.amdhsa_user_sgpr_dispatch_ptr 0
		.amdhsa_user_sgpr_queue_ptr 0
		.amdhsa_user_sgpr_kernarg_segment_ptr 1
		.amdhsa_user_sgpr_dispatch_id 0
		.amdhsa_user_sgpr_private_segment_size 0
		.amdhsa_wavefront_size32 1
		.amdhsa_uses_dynamic_stack 0
		.amdhsa_enable_private_segment 0
		.amdhsa_system_sgpr_workgroup_id_x 1
		.amdhsa_system_sgpr_workgroup_id_y 0
		.amdhsa_system_sgpr_workgroup_id_z 0
		.amdhsa_system_sgpr_workgroup_info 0
		.amdhsa_system_vgpr_workitem_id 0
		.amdhsa_next_free_vgpr 10
		.amdhsa_next_free_sgpr 16
		.amdhsa_reserve_vcc 1
		.amdhsa_float_round_mode_32 0
		.amdhsa_float_round_mode_16_64 0
		.amdhsa_float_denorm_mode_32 3
		.amdhsa_float_denorm_mode_16_64 3
		.amdhsa_dx10_clamp 1
		.amdhsa_ieee_mode 1
		.amdhsa_fp16_overflow 0
		.amdhsa_workgroup_processor_mode 1
		.amdhsa_memory_ordered 1
		.amdhsa_forward_progress 0
		.amdhsa_shared_vgpr_count 0
		.amdhsa_exception_fp_ieee_invalid_op 0
		.amdhsa_exception_fp_denorm_src 0
		.amdhsa_exception_fp_ieee_div_zero 0
		.amdhsa_exception_fp_ieee_overflow 0
		.amdhsa_exception_fp_ieee_underflow 0
		.amdhsa_exception_fp_ieee_inexact 0
		.amdhsa_exception_int_div_zero 0
	.end_amdhsa_kernel
	.section	.text._ZN2at6native27unrolled_elementwise_kernelIZZZNS0_21clamp_max_kernel_cudaERNS_18TensorIteratorBaseERKN3c106ScalarEENKUlvE_clEvENKUlvE1_clEvEUliE_St5arrayIPcLm2EELi4E23TrivialOffsetCalculatorILi1EjESF_NS0_6memory15LoadWithoutCastENSG_16StoreWithoutCastEEEviT_T0_T2_T3_T4_T5_,"axG",@progbits,_ZN2at6native27unrolled_elementwise_kernelIZZZNS0_21clamp_max_kernel_cudaERNS_18TensorIteratorBaseERKN3c106ScalarEENKUlvE_clEvENKUlvE1_clEvEUliE_St5arrayIPcLm2EELi4E23TrivialOffsetCalculatorILi1EjESF_NS0_6memory15LoadWithoutCastENSG_16StoreWithoutCastEEEviT_T0_T2_T3_T4_T5_,comdat
.Lfunc_end438:
	.size	_ZN2at6native27unrolled_elementwise_kernelIZZZNS0_21clamp_max_kernel_cudaERNS_18TensorIteratorBaseERKN3c106ScalarEENKUlvE_clEvENKUlvE1_clEvEUliE_St5arrayIPcLm2EELi4E23TrivialOffsetCalculatorILi1EjESF_NS0_6memory15LoadWithoutCastENSG_16StoreWithoutCastEEEviT_T0_T2_T3_T4_T5_, .Lfunc_end438-_ZN2at6native27unrolled_elementwise_kernelIZZZNS0_21clamp_max_kernel_cudaERNS_18TensorIteratorBaseERKN3c106ScalarEENKUlvE_clEvENKUlvE1_clEvEUliE_St5arrayIPcLm2EELi4E23TrivialOffsetCalculatorILi1EjESF_NS0_6memory15LoadWithoutCastENSG_16StoreWithoutCastEEEviT_T0_T2_T3_T4_T5_
                                        ; -- End function
	.section	.AMDGPU.csdata,"",@progbits
; Kernel info:
; codeLenInByte = 740
; NumSgprs: 18
; NumVgprs: 10
; ScratchSize: 0
; MemoryBound: 0
; FloatMode: 240
; IeeeMode: 1
; LDSByteSize: 0 bytes/workgroup (compile time only)
; SGPRBlocks: 2
; VGPRBlocks: 1
; NumSGPRsForWavesPerEU: 18
; NumVGPRsForWavesPerEU: 10
; Occupancy: 16
; WaveLimiterHint : 0
; COMPUTE_PGM_RSRC2:SCRATCH_EN: 0
; COMPUTE_PGM_RSRC2:USER_SGPR: 15
; COMPUTE_PGM_RSRC2:TRAP_HANDLER: 0
; COMPUTE_PGM_RSRC2:TGID_X_EN: 1
; COMPUTE_PGM_RSRC2:TGID_Y_EN: 0
; COMPUTE_PGM_RSRC2:TGID_Z_EN: 0
; COMPUTE_PGM_RSRC2:TIDIG_COMP_CNT: 0
	.section	.text._ZN2at6native32elementwise_kernel_manual_unrollILi128ELi4EZNS0_22gpu_kernel_impl_nocastIZZZNS0_21clamp_max_kernel_cudaERNS_18TensorIteratorBaseERKN3c106ScalarEENKUlvE_clEvENKUlvE1_clEvEUliE_EEvS4_RKT_EUlibE_EEviT1_,"axG",@progbits,_ZN2at6native32elementwise_kernel_manual_unrollILi128ELi4EZNS0_22gpu_kernel_impl_nocastIZZZNS0_21clamp_max_kernel_cudaERNS_18TensorIteratorBaseERKN3c106ScalarEENKUlvE_clEvENKUlvE1_clEvEUliE_EEvS4_RKT_EUlibE_EEviT1_,comdat
	.globl	_ZN2at6native32elementwise_kernel_manual_unrollILi128ELi4EZNS0_22gpu_kernel_impl_nocastIZZZNS0_21clamp_max_kernel_cudaERNS_18TensorIteratorBaseERKN3c106ScalarEENKUlvE_clEvENKUlvE1_clEvEUliE_EEvS4_RKT_EUlibE_EEviT1_ ; -- Begin function _ZN2at6native32elementwise_kernel_manual_unrollILi128ELi4EZNS0_22gpu_kernel_impl_nocastIZZZNS0_21clamp_max_kernel_cudaERNS_18TensorIteratorBaseERKN3c106ScalarEENKUlvE_clEvENKUlvE1_clEvEUliE_EEvS4_RKT_EUlibE_EEviT1_
	.p2align	8
	.type	_ZN2at6native32elementwise_kernel_manual_unrollILi128ELi4EZNS0_22gpu_kernel_impl_nocastIZZZNS0_21clamp_max_kernel_cudaERNS_18TensorIteratorBaseERKN3c106ScalarEENKUlvE_clEvENKUlvE1_clEvEUliE_EEvS4_RKT_EUlibE_EEviT1_,@function
_ZN2at6native32elementwise_kernel_manual_unrollILi128ELi4EZNS0_22gpu_kernel_impl_nocastIZZZNS0_21clamp_max_kernel_cudaERNS_18TensorIteratorBaseERKN3c106ScalarEENKUlvE_clEvENKUlvE1_clEvEUliE_EEvS4_RKT_EUlibE_EEviT1_: ; @_ZN2at6native32elementwise_kernel_manual_unrollILi128ELi4EZNS0_22gpu_kernel_impl_nocastIZZZNS0_21clamp_max_kernel_cudaERNS_18TensorIteratorBaseERKN3c106ScalarEENKUlvE_clEvENKUlvE1_clEvEUliE_EEvS4_RKT_EUlibE_EEviT1_
; %bb.0:
	s_clause 0x1
	s_load_b32 s22, s[0:1], 0x8
	s_load_b32 s28, s[0:1], 0x0
	v_lshl_or_b32 v4, s15, 9, v0
	s_or_b32 s0, s0, 8
	s_mov_b32 s2, exec_lo
	s_delay_alu instid0(VALU_DEP_1) | instskip(SKIP_2) | instid1(SALU_CYCLE_1)
	v_or_b32_e32 v8, 0x180, v4
	s_waitcnt lgkmcnt(0)
	s_add_i32 s23, s22, -1
	s_cmp_gt_u32 s23, 1
	s_cselect_b32 s24, -1, 0
	v_cmpx_le_i32_e64 s28, v8
	s_xor_b32 s25, exec_lo, s2
	s_cbranch_execz .LBB439_7
; %bb.1:
	s_clause 0x4
	s_load_b128 s[12:15], s[0:1], 0x4
	s_load_b64 s[2:3], s[0:1], 0x14
	s_load_b128 s[8:11], s[0:1], 0xc4
	s_load_b128 s[4:7], s[0:1], 0x148
	s_load_b32 s26, s[0:1], 0x158
	s_cmp_lg_u32 s22, 0
	s_mov_b32 s31, exec_lo
	s_cselect_b32 s30, -1, 0
	s_add_u32 s16, s0, 0xc4
	s_addc_u32 s17, s1, 0
	s_min_u32 s29, s23, 15
	s_cmp_gt_u32 s22, 1
	s_cselect_b32 s27, -1, 0
	v_cmpx_gt_i32_e64 s28, v4
	s_cbranch_execz .LBB439_14
; %bb.2:
	s_and_not1_b32 vcc_lo, exec_lo, s24
	s_cbranch_vccnz .LBB439_21
; %bb.3:
	v_dual_mov_b32 v0, 0 :: v_dual_mov_b32 v1, 0
	s_and_not1_b32 vcc_lo, exec_lo, s30
	s_mov_b32 s33, 0
	s_cbranch_vccnz .LBB439_73
; %bb.4:
	v_mov_b32_e32 v0, 0
	s_add_i32 s35, s29, 1
	s_cmp_eq_u32 s23, 2
	s_mov_b32 s34, 0
	s_cbranch_scc1 .LBB439_69
; %bb.5:
	v_dual_mov_b32 v1, 0 :: v_dual_mov_b32 v0, 0
	v_mov_b32_e32 v2, v4
	s_and_b32 s34, s35, 28
	s_mov_b32 s36, 0
	s_mov_b64 s[18:19], s[16:17]
	s_mov_b64 s[20:21], s[0:1]
.LBB439_6:                              ; =>This Inner Loop Header: Depth=1
	s_clause 0x1
	s_load_b256 s[40:47], s[20:21], 0x4
	s_load_b128 s[56:59], s[20:21], 0x24
	s_load_b256 s[48:55], s[18:19], 0x0
	s_add_u32 s20, s20, 48
	s_addc_u32 s21, s21, 0
	s_add_i32 s36, s36, 4
	s_add_u32 s18, s18, 32
	s_addc_u32 s19, s19, 0
	s_cmp_lg_u32 s34, s36
	s_waitcnt lgkmcnt(0)
	v_mul_hi_u32 v3, s41, v2
	s_delay_alu instid0(VALU_DEP_1) | instskip(NEXT) | instid1(VALU_DEP_1)
	v_add_nc_u32_e32 v3, v2, v3
	v_lshrrev_b32_e32 v3, s42, v3
	s_delay_alu instid0(VALU_DEP_1) | instskip(SKIP_1) | instid1(VALU_DEP_2)
	v_mul_hi_u32 v5, s44, v3
	v_mul_lo_u32 v7, v3, s40
	v_add_nc_u32_e32 v5, v3, v5
	s_delay_alu instid0(VALU_DEP_2) | instskip(NEXT) | instid1(VALU_DEP_2)
	v_sub_nc_u32_e32 v2, v2, v7
	v_lshrrev_b32_e32 v5, s45, v5
	s_delay_alu instid0(VALU_DEP_2) | instskip(SKIP_1) | instid1(VALU_DEP_3)
	v_mul_lo_u32 v7, v2, s48
	v_mul_lo_u32 v9, v2, s49
	v_mul_hi_u32 v6, s47, v5
	s_delay_alu instid0(VALU_DEP_1) | instskip(NEXT) | instid1(VALU_DEP_1)
	v_add_nc_u32_e32 v6, v5, v6
	v_lshrrev_b32_e32 v6, s56, v6
	s_delay_alu instid0(VALU_DEP_1) | instskip(SKIP_1) | instid1(VALU_DEP_2)
	v_mul_hi_u32 v8, s58, v6
	v_mul_lo_u32 v10, v6, s46
	v_add_nc_u32_e32 v2, v6, v8
	v_mul_lo_u32 v8, v5, s43
	s_delay_alu instid0(VALU_DEP_3) | instskip(NEXT) | instid1(VALU_DEP_3)
	v_sub_nc_u32_e32 v5, v5, v10
	v_lshrrev_b32_e32 v2, s59, v2
	s_delay_alu instid0(VALU_DEP_2) | instskip(SKIP_2) | instid1(VALU_DEP_4)
	v_mul_lo_u32 v10, v5, s52
	v_mul_lo_u32 v5, v5, s53
	v_sub_nc_u32_e32 v3, v3, v8
	v_mul_lo_u32 v11, v2, s57
	s_delay_alu instid0(VALU_DEP_2) | instskip(SKIP_1) | instid1(VALU_DEP_3)
	v_mul_lo_u32 v8, v3, s50
	v_mul_lo_u32 v3, v3, s51
	v_sub_nc_u32_e32 v6, v6, v11
	s_delay_alu instid0(VALU_DEP_3) | instskip(NEXT) | instid1(VALU_DEP_2)
	v_add3_u32 v0, v7, v0, v8
	v_mul_lo_u32 v11, v6, s54
	v_mul_lo_u32 v6, v6, s55
	v_add3_u32 v1, v9, v1, v3
	s_delay_alu instid0(VALU_DEP_3) | instskip(NEXT) | instid1(VALU_DEP_2)
	v_add3_u32 v0, v10, v0, v11
	v_add3_u32 v1, v5, v1, v6
	s_cbranch_scc1 .LBB439_6
	s_branch .LBB439_70
.LBB439_7:
	s_and_not1_saveexec_b32 s2, s25
	s_cbranch_execz .LBB439_94
.LBB439_8:
	v_cndmask_b32_e64 v6, 0, 1, s24
	s_and_not1_b32 vcc_lo, exec_lo, s24
	s_cbranch_vccnz .LBB439_20
; %bb.9:
	v_dual_mov_b32 v0, 0 :: v_dual_mov_b32 v1, 0
	s_cmp_lg_u32 s22, 0
	s_mov_b32 s6, 0
	s_cbranch_scc0 .LBB439_26
; %bb.10:
	s_min_u32 s7, s23, 15
	v_mov_b32_e32 v0, 0
	s_add_i32 s7, s7, 1
	s_cmp_eq_u32 s23, 2
	s_mov_b32 s8, 0
	s_cbranch_scc1 .LBB439_23
; %bb.11:
	v_dual_mov_b32 v1, 0 :: v_dual_mov_b32 v0, 0
	v_mov_b32_e32 v2, v4
	s_add_u32 s2, s0, 0xc4
	s_addc_u32 s3, s1, 0
	s_and_b32 s8, s7, 28
	s_mov_b32 s9, 0
	s_mov_b64 s[4:5], s[0:1]
.LBB439_12:                             ; =>This Inner Loop Header: Depth=1
	s_clause 0x1
	s_load_b256 s[12:19], s[4:5], 0x4
	s_load_b128 s[36:39], s[4:5], 0x24
	s_load_b256 s[24:31], s[2:3], 0x0
	s_add_u32 s4, s4, 48
	s_addc_u32 s5, s5, 0
	s_add_i32 s9, s9, 4
	s_add_u32 s2, s2, 32
	s_addc_u32 s3, s3, 0
	s_cmp_lg_u32 s8, s9
	s_waitcnt lgkmcnt(0)
	v_mul_hi_u32 v3, s13, v2
	s_delay_alu instid0(VALU_DEP_1) | instskip(NEXT) | instid1(VALU_DEP_1)
	v_add_nc_u32_e32 v3, v2, v3
	v_lshrrev_b32_e32 v3, s14, v3
	s_delay_alu instid0(VALU_DEP_1) | instskip(SKIP_1) | instid1(VALU_DEP_2)
	v_mul_hi_u32 v5, s16, v3
	v_mul_lo_u32 v9, v3, s12
	v_add_nc_u32_e32 v5, v3, v5
	s_delay_alu instid0(VALU_DEP_2) | instskip(NEXT) | instid1(VALU_DEP_2)
	v_sub_nc_u32_e32 v2, v2, v9
	v_lshrrev_b32_e32 v5, s17, v5
	s_delay_alu instid0(VALU_DEP_2) | instskip(SKIP_1) | instid1(VALU_DEP_3)
	v_mul_lo_u32 v9, v2, s24
	v_mul_lo_u32 v11, v2, s25
	v_mul_hi_u32 v7, s19, v5
	s_delay_alu instid0(VALU_DEP_1) | instskip(NEXT) | instid1(VALU_DEP_1)
	v_add_nc_u32_e32 v7, v5, v7
	v_lshrrev_b32_e32 v7, s36, v7
	s_delay_alu instid0(VALU_DEP_1) | instskip(SKIP_1) | instid1(VALU_DEP_2)
	v_mul_hi_u32 v10, s38, v7
	v_mul_lo_u32 v12, v7, s18
	v_add_nc_u32_e32 v2, v7, v10
	v_mul_lo_u32 v10, v5, s15
	s_delay_alu instid0(VALU_DEP_3) | instskip(NEXT) | instid1(VALU_DEP_3)
	v_sub_nc_u32_e32 v5, v5, v12
	v_lshrrev_b32_e32 v2, s39, v2
	s_delay_alu instid0(VALU_DEP_2) | instskip(SKIP_2) | instid1(VALU_DEP_4)
	v_mul_lo_u32 v12, v5, s28
	v_mul_lo_u32 v5, v5, s29
	v_sub_nc_u32_e32 v3, v3, v10
	v_mul_lo_u32 v13, v2, s37
	s_delay_alu instid0(VALU_DEP_2) | instskip(SKIP_1) | instid1(VALU_DEP_3)
	v_mul_lo_u32 v10, v3, s26
	v_mul_lo_u32 v3, v3, s27
	v_sub_nc_u32_e32 v7, v7, v13
	s_delay_alu instid0(VALU_DEP_3) | instskip(NEXT) | instid1(VALU_DEP_2)
	v_add3_u32 v0, v9, v0, v10
	v_mul_lo_u32 v13, v7, s30
	v_mul_lo_u32 v7, v7, s31
	v_add3_u32 v1, v11, v1, v3
	s_delay_alu instid0(VALU_DEP_3) | instskip(NEXT) | instid1(VALU_DEP_2)
	v_add3_u32 v0, v12, v0, v13
	v_add3_u32 v1, v5, v1, v7
	s_cbranch_scc1 .LBB439_12
; %bb.13:
	s_and_b32 s7, s7, 3
	s_delay_alu instid0(SALU_CYCLE_1)
	s_cmp_eq_u32 s7, 0
	s_cbranch_scc0 .LBB439_24
	s_branch .LBB439_26
.LBB439_14:
	s_or_b32 exec_lo, exec_lo, s31
	s_delay_alu instid0(SALU_CYCLE_1)
	s_mov_b32 s31, exec_lo
	v_cmpx_gt_i32_e64 s28, v4
	s_cbranch_execz .LBB439_77
.LBB439_15:
	s_and_not1_b32 vcc_lo, exec_lo, s24
	s_cbranch_vccnz .LBB439_22
; %bb.16:
	v_dual_mov_b32 v0, 0 :: v_dual_mov_b32 v1, 0
	s_and_not1_b32 vcc_lo, exec_lo, s30
	s_mov_b32 s33, 0
	s_cbranch_vccnz .LBB439_88
; %bb.17:
	v_mov_b32_e32 v0, 0
	s_add_i32 s35, s29, 1
	s_cmp_eq_u32 s23, 2
	s_mov_b32 s34, 0
	s_cbranch_scc1 .LBB439_84
; %bb.18:
	v_dual_mov_b32 v1, 0 :: v_dual_mov_b32 v0, 0
	v_mov_b32_e32 v2, v4
	s_and_b32 s34, s35, 28
	s_mov_b32 s36, 0
	s_mov_b64 s[18:19], s[16:17]
	s_mov_b64 s[20:21], s[0:1]
.LBB439_19:                             ; =>This Inner Loop Header: Depth=1
	s_clause 0x1
	s_load_b256 s[40:47], s[20:21], 0x4
	s_load_b128 s[56:59], s[20:21], 0x24
	s_load_b256 s[48:55], s[18:19], 0x0
	s_add_u32 s20, s20, 48
	s_addc_u32 s21, s21, 0
	s_add_i32 s36, s36, 4
	s_add_u32 s18, s18, 32
	s_addc_u32 s19, s19, 0
	s_cmp_eq_u32 s34, s36
	s_waitcnt lgkmcnt(0)
	v_mul_hi_u32 v3, s41, v2
	s_delay_alu instid0(VALU_DEP_1) | instskip(NEXT) | instid1(VALU_DEP_1)
	v_add_nc_u32_e32 v3, v2, v3
	v_lshrrev_b32_e32 v3, s42, v3
	s_delay_alu instid0(VALU_DEP_1) | instskip(SKIP_1) | instid1(VALU_DEP_2)
	v_mul_hi_u32 v5, s44, v3
	v_mul_lo_u32 v7, v3, s40
	v_add_nc_u32_e32 v5, v3, v5
	s_delay_alu instid0(VALU_DEP_2) | instskip(NEXT) | instid1(VALU_DEP_2)
	v_sub_nc_u32_e32 v2, v2, v7
	v_lshrrev_b32_e32 v5, s45, v5
	s_delay_alu instid0(VALU_DEP_2) | instskip(SKIP_1) | instid1(VALU_DEP_3)
	v_mul_lo_u32 v7, v2, s48
	v_mul_lo_u32 v9, v2, s49
	v_mul_hi_u32 v6, s47, v5
	s_delay_alu instid0(VALU_DEP_1) | instskip(NEXT) | instid1(VALU_DEP_1)
	v_add_nc_u32_e32 v6, v5, v6
	v_lshrrev_b32_e32 v6, s56, v6
	s_delay_alu instid0(VALU_DEP_1) | instskip(SKIP_1) | instid1(VALU_DEP_2)
	v_mul_hi_u32 v8, s58, v6
	v_mul_lo_u32 v10, v6, s46
	v_add_nc_u32_e32 v2, v6, v8
	v_mul_lo_u32 v8, v5, s43
	s_delay_alu instid0(VALU_DEP_3) | instskip(NEXT) | instid1(VALU_DEP_3)
	v_sub_nc_u32_e32 v5, v5, v10
	v_lshrrev_b32_e32 v2, s59, v2
	s_delay_alu instid0(VALU_DEP_2) | instskip(SKIP_2) | instid1(VALU_DEP_4)
	v_mul_lo_u32 v10, v5, s52
	v_mul_lo_u32 v5, v5, s53
	v_sub_nc_u32_e32 v3, v3, v8
	v_mul_lo_u32 v11, v2, s57
	s_delay_alu instid0(VALU_DEP_2) | instskip(SKIP_1) | instid1(VALU_DEP_3)
	v_mul_lo_u32 v8, v3, s50
	v_mul_lo_u32 v3, v3, s51
	v_sub_nc_u32_e32 v6, v6, v11
	s_delay_alu instid0(VALU_DEP_3) | instskip(NEXT) | instid1(VALU_DEP_2)
	v_add3_u32 v0, v7, v0, v8
	v_mul_lo_u32 v11, v6, s54
	v_mul_lo_u32 v6, v6, s55
	v_add3_u32 v1, v9, v1, v3
	s_delay_alu instid0(VALU_DEP_3) | instskip(NEXT) | instid1(VALU_DEP_2)
	v_add3_u32 v0, v10, v0, v11
	v_add3_u32 v1, v5, v1, v6
	s_cbranch_scc0 .LBB439_19
	s_branch .LBB439_85
.LBB439_20:
	s_mov_b32 s6, -1
                                        ; implicit-def: $vgpr0
                                        ; implicit-def: $vgpr1
	s_branch .LBB439_26
.LBB439_21:
	s_mov_b32 s33, -1
                                        ; implicit-def: $vgpr0
                                        ; implicit-def: $vgpr1
	s_branch .LBB439_73
.LBB439_22:
	s_mov_b32 s33, -1
                                        ; implicit-def: $vgpr0
                                        ; implicit-def: $vgpr1
	s_branch .LBB439_88
.LBB439_23:
	v_dual_mov_b32 v2, v4 :: v_dual_mov_b32 v1, 0
	s_and_b32 s7, s7, 3
	s_delay_alu instid0(SALU_CYCLE_1)
	s_cmp_eq_u32 s7, 0
	s_cbranch_scc1 .LBB439_26
.LBB439_24:
	s_lshl_b32 s2, s8, 3
	s_mul_i32 s4, s8, 12
	s_add_u32 s2, s2, s0
	s_addc_u32 s3, 0, s1
	s_add_u32 s2, s2, 0xc4
	s_addc_u32 s3, s3, 0
	;; [unrolled: 2-line block ×3, first 2 shown]
	.p2align	6
.LBB439_25:                             ; =>This Inner Loop Header: Depth=1
	s_clause 0x1
	s_load_b64 s[8:9], s[4:5], 0x4
	s_load_b32 s12, s[4:5], 0xc
	s_load_b64 s[10:11], s[2:3], 0x0
	s_add_u32 s4, s4, 12
	s_addc_u32 s5, s5, 0
	s_add_u32 s2, s2, 8
	s_addc_u32 s3, s3, 0
	s_add_i32 s7, s7, -1
	s_delay_alu instid0(SALU_CYCLE_1) | instskip(SKIP_2) | instid1(VALU_DEP_1)
	s_cmp_lg_u32 s7, 0
	s_waitcnt lgkmcnt(0)
	v_mul_hi_u32 v3, s9, v2
	v_add_nc_u32_e32 v3, v2, v3
	s_delay_alu instid0(VALU_DEP_1) | instskip(NEXT) | instid1(VALU_DEP_1)
	v_lshrrev_b32_e32 v3, s12, v3
	v_mul_lo_u32 v5, v3, s8
	s_delay_alu instid0(VALU_DEP_1) | instskip(NEXT) | instid1(VALU_DEP_1)
	v_sub_nc_u32_e32 v2, v2, v5
	v_mad_u64_u32 v[9:10], null, v2, s10, v[0:1]
	v_mad_u64_u32 v[10:11], null, v2, s11, v[1:2]
	v_mov_b32_e32 v2, v3
	s_delay_alu instid0(VALU_DEP_2)
	v_dual_mov_b32 v0, v9 :: v_dual_mov_b32 v1, v10
	s_cbranch_scc1 .LBB439_25
.LBB439_26:
	s_and_not1_b32 vcc_lo, exec_lo, s6
	s_cbranch_vccnz .LBB439_29
; %bb.27:
	s_clause 0x1
	s_load_b128 s[4:7], s[0:1], 0x4
	s_load_b64 s[2:3], s[0:1], 0xc4
	s_cmp_lt_u32 s22, 2
	s_waitcnt lgkmcnt(0)
	v_mul_hi_u32 v0, s5, v4
	s_delay_alu instid0(VALU_DEP_1) | instskip(NEXT) | instid1(VALU_DEP_1)
	v_add_nc_u32_e32 v0, v4, v0
	v_lshrrev_b32_e32 v2, s6, v0
	s_delay_alu instid0(VALU_DEP_1) | instskip(NEXT) | instid1(VALU_DEP_1)
	v_mul_lo_u32 v0, v2, s4
	v_sub_nc_u32_e32 v1, v4, v0
	s_delay_alu instid0(VALU_DEP_1)
	v_mul_lo_u32 v0, v1, s2
	v_mul_lo_u32 v1, v1, s3
	s_cbranch_scc1 .LBB439_29
; %bb.28:
	s_clause 0x1
	s_load_b128 s[4:7], s[0:1], 0x10
	s_load_b64 s[2:3], s[0:1], 0xcc
	s_waitcnt lgkmcnt(0)
	v_mul_hi_u32 v3, s5, v2
	s_delay_alu instid0(VALU_DEP_1) | instskip(NEXT) | instid1(VALU_DEP_1)
	v_add_nc_u32_e32 v3, v2, v3
	v_lshrrev_b32_e32 v3, s6, v3
	s_delay_alu instid0(VALU_DEP_1) | instskip(NEXT) | instid1(VALU_DEP_1)
	v_mul_lo_u32 v3, v3, s4
	v_sub_nc_u32_e32 v5, v2, v3
	s_delay_alu instid0(VALU_DEP_1) | instskip(NEXT) | instid1(VALU_DEP_1)
	v_mad_u64_u32 v[2:3], null, v5, s2, v[0:1]
	v_mad_u64_u32 v[9:10], null, v5, s3, v[1:2]
	s_delay_alu instid0(VALU_DEP_1)
	v_dual_mov_b32 v0, v2 :: v_dual_mov_b32 v1, v9
.LBB439_29:
	v_cmp_ne_u32_e32 vcc_lo, 1, v6
	v_add_nc_u32_e32 v5, 0x80, v4
	s_cbranch_vccnz .LBB439_35
; %bb.30:
	v_dual_mov_b32 v2, 0 :: v_dual_mov_b32 v3, 0
	s_cmp_lg_u32 s22, 0
	s_mov_b32 s6, 0
	s_cbranch_scc0 .LBB439_39
; %bb.31:
	s_min_u32 s7, s23, 15
	v_mov_b32_e32 v2, 0
	s_add_i32 s7, s7, 1
	s_cmp_eq_u32 s23, 2
	s_mov_b32 s8, 0
	s_cbranch_scc1 .LBB439_36
; %bb.32:
	v_dual_mov_b32 v3, 0 :: v_dual_mov_b32 v2, 0
	v_mov_b32_e32 v7, v5
	s_add_u32 s2, s0, 0xc4
	s_addc_u32 s3, s1, 0
	s_and_b32 s8, s7, 28
	s_mov_b32 s9, 0
	s_mov_b64 s[4:5], s[0:1]
.LBB439_33:                             ; =>This Inner Loop Header: Depth=1
	s_clause 0x1
	s_load_b256 s[12:19], s[4:5], 0x4
	s_load_b128 s[36:39], s[4:5], 0x24
	s_load_b256 s[24:31], s[2:3], 0x0
	s_add_u32 s4, s4, 48
	s_addc_u32 s5, s5, 0
	s_add_i32 s9, s9, 4
	s_add_u32 s2, s2, 32
	s_addc_u32 s3, s3, 0
	s_cmp_lg_u32 s8, s9
	s_waitcnt lgkmcnt(0)
	v_mul_hi_u32 v9, s13, v7
	s_delay_alu instid0(VALU_DEP_1) | instskip(NEXT) | instid1(VALU_DEP_1)
	v_add_nc_u32_e32 v9, v7, v9
	v_lshrrev_b32_e32 v9, s14, v9
	s_delay_alu instid0(VALU_DEP_1) | instskip(SKIP_1) | instid1(VALU_DEP_2)
	v_mul_hi_u32 v10, s16, v9
	v_mul_lo_u32 v12, v9, s12
	v_add_nc_u32_e32 v10, v9, v10
	s_delay_alu instid0(VALU_DEP_2) | instskip(NEXT) | instid1(VALU_DEP_2)
	v_sub_nc_u32_e32 v7, v7, v12
	v_lshrrev_b32_e32 v10, s17, v10
	s_delay_alu instid0(VALU_DEP_2) | instskip(SKIP_1) | instid1(VALU_DEP_3)
	v_mul_lo_u32 v12, v7, s24
	v_mul_lo_u32 v14, v7, s25
	v_mul_hi_u32 v11, s19, v10
	s_delay_alu instid0(VALU_DEP_1) | instskip(NEXT) | instid1(VALU_DEP_1)
	v_add_nc_u32_e32 v11, v10, v11
	v_lshrrev_b32_e32 v11, s36, v11
	s_delay_alu instid0(VALU_DEP_1) | instskip(SKIP_1) | instid1(VALU_DEP_2)
	v_mul_hi_u32 v13, s38, v11
	v_mul_lo_u32 v15, v11, s18
	v_add_nc_u32_e32 v7, v11, v13
	v_mul_lo_u32 v13, v10, s15
	s_delay_alu instid0(VALU_DEP_3) | instskip(NEXT) | instid1(VALU_DEP_3)
	v_sub_nc_u32_e32 v10, v10, v15
	v_lshrrev_b32_e32 v7, s39, v7
	s_delay_alu instid0(VALU_DEP_2) | instskip(SKIP_2) | instid1(VALU_DEP_4)
	v_mul_lo_u32 v15, v10, s28
	v_mul_lo_u32 v10, v10, s29
	v_sub_nc_u32_e32 v9, v9, v13
	v_mul_lo_u32 v16, v7, s37
	s_delay_alu instid0(VALU_DEP_2) | instskip(SKIP_1) | instid1(VALU_DEP_3)
	v_mul_lo_u32 v13, v9, s26
	v_mul_lo_u32 v9, v9, s27
	v_sub_nc_u32_e32 v11, v11, v16
	s_delay_alu instid0(VALU_DEP_3) | instskip(NEXT) | instid1(VALU_DEP_2)
	v_add3_u32 v2, v12, v2, v13
	v_mul_lo_u32 v16, v11, s30
	v_mul_lo_u32 v11, v11, s31
	v_add3_u32 v3, v14, v3, v9
	s_delay_alu instid0(VALU_DEP_3) | instskip(NEXT) | instid1(VALU_DEP_2)
	v_add3_u32 v2, v15, v2, v16
	v_add3_u32 v3, v10, v3, v11
	s_cbranch_scc1 .LBB439_33
; %bb.34:
	s_and_b32 s7, s7, 3
	s_delay_alu instid0(SALU_CYCLE_1)
	s_cmp_eq_u32 s7, 0
	s_cbranch_scc0 .LBB439_37
	s_branch .LBB439_39
.LBB439_35:
	s_mov_b32 s6, -1
                                        ; implicit-def: $vgpr2
                                        ; implicit-def: $vgpr3
	s_branch .LBB439_39
.LBB439_36:
	v_mov_b32_e32 v7, v5
	v_mov_b32_e32 v3, 0
	s_and_b32 s7, s7, 3
	s_delay_alu instid0(SALU_CYCLE_1)
	s_cmp_eq_u32 s7, 0
	s_cbranch_scc1 .LBB439_39
.LBB439_37:
	s_lshl_b32 s2, s8, 3
	s_mul_i32 s4, s8, 12
	s_add_u32 s2, s2, s0
	s_addc_u32 s3, 0, s1
	s_add_u32 s2, s2, 0xc4
	s_addc_u32 s3, s3, 0
	;; [unrolled: 2-line block ×3, first 2 shown]
	.p2align	6
.LBB439_38:                             ; =>This Inner Loop Header: Depth=1
	s_clause 0x1
	s_load_b64 s[8:9], s[4:5], 0x4
	s_load_b32 s12, s[4:5], 0xc
	s_load_b64 s[10:11], s[2:3], 0x0
	s_add_u32 s4, s4, 12
	s_addc_u32 s5, s5, 0
	s_add_u32 s2, s2, 8
	s_addc_u32 s3, s3, 0
	s_add_i32 s7, s7, -1
	s_delay_alu instid0(SALU_CYCLE_1) | instskip(SKIP_2) | instid1(VALU_DEP_1)
	s_cmp_lg_u32 s7, 0
	s_waitcnt lgkmcnt(0)
	v_mul_hi_u32 v9, s9, v7
	v_add_nc_u32_e32 v9, v7, v9
	s_delay_alu instid0(VALU_DEP_1) | instskip(NEXT) | instid1(VALU_DEP_1)
	v_lshrrev_b32_e32 v12, s12, v9
	v_mul_lo_u32 v9, v12, s8
	s_delay_alu instid0(VALU_DEP_1) | instskip(NEXT) | instid1(VALU_DEP_1)
	v_sub_nc_u32_e32 v7, v7, v9
	v_mad_u64_u32 v[9:10], null, v7, s10, v[2:3]
	v_mad_u64_u32 v[10:11], null, v7, s11, v[3:4]
	s_delay_alu instid0(VALU_DEP_2) | instskip(NEXT) | instid1(VALU_DEP_2)
	v_dual_mov_b32 v7, v12 :: v_dual_mov_b32 v2, v9
	v_mov_b32_e32 v3, v10
	s_cbranch_scc1 .LBB439_38
.LBB439_39:
	s_and_not1_b32 vcc_lo, exec_lo, s6
	s_cbranch_vccnz .LBB439_42
; %bb.40:
	s_clause 0x1
	s_load_b128 s[4:7], s[0:1], 0x4
	s_load_b64 s[2:3], s[0:1], 0xc4
	s_cmp_lt_u32 s22, 2
	s_waitcnt lgkmcnt(0)
	v_mul_hi_u32 v2, s5, v5
	s_delay_alu instid0(VALU_DEP_1) | instskip(NEXT) | instid1(VALU_DEP_1)
	v_add_nc_u32_e32 v2, v5, v2
	v_lshrrev_b32_e32 v7, s6, v2
	s_delay_alu instid0(VALU_DEP_1) | instskip(NEXT) | instid1(VALU_DEP_1)
	v_mul_lo_u32 v2, v7, s4
	v_sub_nc_u32_e32 v3, v5, v2
	s_delay_alu instid0(VALU_DEP_1)
	v_mul_lo_u32 v2, v3, s2
	v_mul_lo_u32 v3, v3, s3
	s_cbranch_scc1 .LBB439_42
; %bb.41:
	s_clause 0x1
	s_load_b128 s[4:7], s[0:1], 0x10
	s_load_b64 s[2:3], s[0:1], 0xcc
	s_waitcnt lgkmcnt(0)
	v_mul_hi_u32 v5, s5, v7
	s_delay_alu instid0(VALU_DEP_1) | instskip(NEXT) | instid1(VALU_DEP_1)
	v_add_nc_u32_e32 v5, v7, v5
	v_lshrrev_b32_e32 v5, s6, v5
	s_delay_alu instid0(VALU_DEP_1) | instskip(NEXT) | instid1(VALU_DEP_1)
	v_mul_lo_u32 v5, v5, s4
	v_sub_nc_u32_e32 v5, v7, v5
	s_delay_alu instid0(VALU_DEP_1) | instskip(SKIP_1) | instid1(VALU_DEP_1)
	v_mad_u64_u32 v[9:10], null, v5, s2, v[2:3]
	v_mad_u64_u32 v[10:11], null, v5, s3, v[3:4]
	v_dual_mov_b32 v2, v9 :: v_dual_mov_b32 v3, v10
.LBB439_42:
	v_cmp_ne_u32_e32 vcc_lo, 1, v6
	v_add_nc_u32_e32 v7, 0x100, v4
	s_cbranch_vccnz .LBB439_48
; %bb.43:
	v_dual_mov_b32 v4, 0 :: v_dual_mov_b32 v5, 0
	s_cmp_lg_u32 s22, 0
	s_mov_b32 s6, 0
	s_cbranch_scc0 .LBB439_52
; %bb.44:
	s_min_u32 s7, s23, 15
	v_mov_b32_e32 v4, 0
	s_add_i32 s7, s7, 1
	s_cmp_eq_u32 s23, 2
	s_mov_b32 s8, 0
	s_cbranch_scc1 .LBB439_49
; %bb.45:
	v_dual_mov_b32 v5, 0 :: v_dual_mov_b32 v4, 0
	v_mov_b32_e32 v9, v7
	s_add_u32 s2, s0, 0xc4
	s_addc_u32 s3, s1, 0
	s_and_b32 s8, s7, 28
	s_mov_b32 s9, 0
	s_mov_b64 s[4:5], s[0:1]
.LBB439_46:                             ; =>This Inner Loop Header: Depth=1
	s_clause 0x1
	s_load_b256 s[12:19], s[4:5], 0x4
	s_load_b128 s[36:39], s[4:5], 0x24
	s_load_b256 s[24:31], s[2:3], 0x0
	s_add_u32 s4, s4, 48
	s_addc_u32 s5, s5, 0
	s_add_i32 s9, s9, 4
	s_add_u32 s2, s2, 32
	s_addc_u32 s3, s3, 0
	s_cmp_lg_u32 s8, s9
	s_waitcnt lgkmcnt(0)
	v_mul_hi_u32 v10, s13, v9
	s_delay_alu instid0(VALU_DEP_1) | instskip(NEXT) | instid1(VALU_DEP_1)
	v_add_nc_u32_e32 v10, v9, v10
	v_lshrrev_b32_e32 v10, s14, v10
	s_delay_alu instid0(VALU_DEP_1) | instskip(SKIP_1) | instid1(VALU_DEP_2)
	v_mul_hi_u32 v11, s16, v10
	v_mul_lo_u32 v13, v10, s12
	v_add_nc_u32_e32 v11, v10, v11
	s_delay_alu instid0(VALU_DEP_2) | instskip(NEXT) | instid1(VALU_DEP_2)
	v_sub_nc_u32_e32 v9, v9, v13
	v_lshrrev_b32_e32 v11, s17, v11
	s_delay_alu instid0(VALU_DEP_2) | instskip(SKIP_1) | instid1(VALU_DEP_3)
	v_mul_lo_u32 v13, v9, s24
	v_mul_lo_u32 v15, v9, s25
	v_mul_hi_u32 v12, s19, v11
	s_delay_alu instid0(VALU_DEP_1) | instskip(NEXT) | instid1(VALU_DEP_1)
	v_add_nc_u32_e32 v12, v11, v12
	v_lshrrev_b32_e32 v12, s36, v12
	s_delay_alu instid0(VALU_DEP_1) | instskip(SKIP_1) | instid1(VALU_DEP_2)
	v_mul_hi_u32 v14, s38, v12
	v_mul_lo_u32 v16, v12, s18
	v_add_nc_u32_e32 v9, v12, v14
	v_mul_lo_u32 v14, v11, s15
	s_delay_alu instid0(VALU_DEP_3) | instskip(NEXT) | instid1(VALU_DEP_3)
	v_sub_nc_u32_e32 v11, v11, v16
	v_lshrrev_b32_e32 v9, s39, v9
	s_delay_alu instid0(VALU_DEP_2) | instskip(SKIP_2) | instid1(VALU_DEP_4)
	v_mul_lo_u32 v16, v11, s28
	v_mul_lo_u32 v11, v11, s29
	v_sub_nc_u32_e32 v10, v10, v14
	v_mul_lo_u32 v17, v9, s37
	s_delay_alu instid0(VALU_DEP_2) | instskip(SKIP_1) | instid1(VALU_DEP_3)
	v_mul_lo_u32 v14, v10, s26
	v_mul_lo_u32 v10, v10, s27
	v_sub_nc_u32_e32 v12, v12, v17
	s_delay_alu instid0(VALU_DEP_3) | instskip(NEXT) | instid1(VALU_DEP_2)
	v_add3_u32 v4, v13, v4, v14
	v_mul_lo_u32 v17, v12, s30
	v_mul_lo_u32 v12, v12, s31
	v_add3_u32 v5, v15, v5, v10
	s_delay_alu instid0(VALU_DEP_3) | instskip(NEXT) | instid1(VALU_DEP_2)
	v_add3_u32 v4, v16, v4, v17
	v_add3_u32 v5, v11, v5, v12
	s_cbranch_scc1 .LBB439_46
; %bb.47:
	s_and_b32 s7, s7, 3
	s_delay_alu instid0(SALU_CYCLE_1)
	s_cmp_eq_u32 s7, 0
	s_cbranch_scc0 .LBB439_50
	s_branch .LBB439_52
.LBB439_48:
	s_mov_b32 s6, -1
                                        ; implicit-def: $vgpr4
                                        ; implicit-def: $vgpr5
	s_branch .LBB439_52
.LBB439_49:
	v_mov_b32_e32 v9, v7
	v_mov_b32_e32 v5, 0
	s_and_b32 s7, s7, 3
	s_delay_alu instid0(SALU_CYCLE_1)
	s_cmp_eq_u32 s7, 0
	s_cbranch_scc1 .LBB439_52
.LBB439_50:
	s_lshl_b32 s2, s8, 3
	s_mul_i32 s4, s8, 12
	s_add_u32 s2, s2, s0
	s_addc_u32 s3, 0, s1
	s_add_u32 s2, s2, 0xc4
	s_addc_u32 s3, s3, 0
	s_add_u32 s4, s0, s4
	s_addc_u32 s5, 0, s1
	.p2align	6
.LBB439_51:                             ; =>This Inner Loop Header: Depth=1
	s_clause 0x1
	s_load_b64 s[8:9], s[4:5], 0x4
	s_load_b32 s12, s[4:5], 0xc
	s_load_b64 s[10:11], s[2:3], 0x0
	s_add_u32 s4, s4, 12
	s_addc_u32 s5, s5, 0
	s_add_u32 s2, s2, 8
	s_addc_u32 s3, s3, 0
	s_add_i32 s7, s7, -1
	s_delay_alu instid0(SALU_CYCLE_1) | instskip(SKIP_2) | instid1(VALU_DEP_1)
	s_cmp_lg_u32 s7, 0
	s_waitcnt lgkmcnt(0)
	v_mul_hi_u32 v10, s9, v9
	v_add_nc_u32_e32 v10, v9, v10
	s_delay_alu instid0(VALU_DEP_1) | instskip(NEXT) | instid1(VALU_DEP_1)
	v_lshrrev_b32_e32 v13, s12, v10
	v_mul_lo_u32 v10, v13, s8
	s_delay_alu instid0(VALU_DEP_1) | instskip(NEXT) | instid1(VALU_DEP_1)
	v_sub_nc_u32_e32 v9, v9, v10
	v_mad_u64_u32 v[10:11], null, v9, s10, v[4:5]
	v_mad_u64_u32 v[11:12], null, v9, s11, v[5:6]
	s_delay_alu instid0(VALU_DEP_2) | instskip(NEXT) | instid1(VALU_DEP_2)
	v_dual_mov_b32 v9, v13 :: v_dual_mov_b32 v4, v10
	v_mov_b32_e32 v5, v11
	s_cbranch_scc1 .LBB439_51
.LBB439_52:
	s_and_not1_b32 vcc_lo, exec_lo, s6
	s_cbranch_vccnz .LBB439_55
; %bb.53:
	s_clause 0x1
	s_load_b128 s[4:7], s[0:1], 0x4
	s_load_b64 s[2:3], s[0:1], 0xc4
	s_cmp_lt_u32 s22, 2
	s_waitcnt lgkmcnt(0)
	v_mul_hi_u32 v4, s5, v7
	s_delay_alu instid0(VALU_DEP_1) | instskip(NEXT) | instid1(VALU_DEP_1)
	v_add_nc_u32_e32 v4, v7, v4
	v_lshrrev_b32_e32 v9, s6, v4
	s_delay_alu instid0(VALU_DEP_1) | instskip(NEXT) | instid1(VALU_DEP_1)
	v_mul_lo_u32 v4, v9, s4
	v_sub_nc_u32_e32 v5, v7, v4
	s_delay_alu instid0(VALU_DEP_1)
	v_mul_lo_u32 v4, v5, s2
	v_mul_lo_u32 v5, v5, s3
	s_cbranch_scc1 .LBB439_55
; %bb.54:
	s_clause 0x1
	s_load_b128 s[4:7], s[0:1], 0x10
	s_load_b64 s[2:3], s[0:1], 0xcc
	s_waitcnt lgkmcnt(0)
	v_mul_hi_u32 v7, s5, v9
	s_delay_alu instid0(VALU_DEP_1) | instskip(NEXT) | instid1(VALU_DEP_1)
	v_add_nc_u32_e32 v7, v9, v7
	v_lshrrev_b32_e32 v7, s6, v7
	s_delay_alu instid0(VALU_DEP_1) | instskip(NEXT) | instid1(VALU_DEP_1)
	v_mul_lo_u32 v7, v7, s4
	v_sub_nc_u32_e32 v7, v9, v7
	s_delay_alu instid0(VALU_DEP_1) | instskip(SKIP_1) | instid1(VALU_DEP_1)
	v_mad_u64_u32 v[9:10], null, v7, s2, v[4:5]
	v_mad_u64_u32 v[10:11], null, v7, s3, v[5:6]
	v_dual_mov_b32 v4, v9 :: v_dual_mov_b32 v5, v10
.LBB439_55:
	v_cmp_ne_u32_e32 vcc_lo, 1, v6
	s_cbranch_vccnz .LBB439_61
; %bb.56:
	v_dual_mov_b32 v6, 0 :: v_dual_mov_b32 v7, 0
	s_cmp_lg_u32 s22, 0
	s_mov_b32 s6, 0
	s_cbranch_scc0 .LBB439_65
; %bb.57:
	s_min_u32 s7, s23, 15
	v_mov_b32_e32 v6, 0
	s_add_i32 s7, s7, 1
	s_cmp_eq_u32 s23, 2
	s_mov_b32 s8, 0
	s_cbranch_scc1 .LBB439_62
; %bb.58:
	v_dual_mov_b32 v7, 0 :: v_dual_mov_b32 v6, 0
	v_mov_b32_e32 v9, v8
	s_add_u32 s2, s0, 0xc4
	s_addc_u32 s3, s1, 0
	s_and_b32 s8, s7, 28
	s_mov_b32 s9, 0
	s_mov_b64 s[4:5], s[0:1]
.LBB439_59:                             ; =>This Inner Loop Header: Depth=1
	s_clause 0x1
	s_load_b256 s[12:19], s[4:5], 0x4
	s_load_b128 s[36:39], s[4:5], 0x24
	s_load_b256 s[24:31], s[2:3], 0x0
	s_add_u32 s4, s4, 48
	s_addc_u32 s5, s5, 0
	s_add_i32 s9, s9, 4
	s_add_u32 s2, s2, 32
	s_addc_u32 s3, s3, 0
	s_cmp_lg_u32 s8, s9
	s_waitcnt lgkmcnt(0)
	v_mul_hi_u32 v10, s13, v9
	s_delay_alu instid0(VALU_DEP_1) | instskip(NEXT) | instid1(VALU_DEP_1)
	v_add_nc_u32_e32 v10, v9, v10
	v_lshrrev_b32_e32 v10, s14, v10
	s_delay_alu instid0(VALU_DEP_1) | instskip(SKIP_1) | instid1(VALU_DEP_2)
	v_mul_hi_u32 v11, s16, v10
	v_mul_lo_u32 v13, v10, s12
	v_add_nc_u32_e32 v11, v10, v11
	s_delay_alu instid0(VALU_DEP_2) | instskip(NEXT) | instid1(VALU_DEP_2)
	v_sub_nc_u32_e32 v9, v9, v13
	v_lshrrev_b32_e32 v11, s17, v11
	s_delay_alu instid0(VALU_DEP_2) | instskip(SKIP_1) | instid1(VALU_DEP_3)
	v_mul_lo_u32 v13, v9, s24
	v_mul_lo_u32 v15, v9, s25
	v_mul_hi_u32 v12, s19, v11
	s_delay_alu instid0(VALU_DEP_1) | instskip(NEXT) | instid1(VALU_DEP_1)
	v_add_nc_u32_e32 v12, v11, v12
	v_lshrrev_b32_e32 v12, s36, v12
	s_delay_alu instid0(VALU_DEP_1) | instskip(SKIP_1) | instid1(VALU_DEP_2)
	v_mul_hi_u32 v14, s38, v12
	v_mul_lo_u32 v16, v12, s18
	v_add_nc_u32_e32 v9, v12, v14
	v_mul_lo_u32 v14, v11, s15
	s_delay_alu instid0(VALU_DEP_3) | instskip(NEXT) | instid1(VALU_DEP_3)
	v_sub_nc_u32_e32 v11, v11, v16
	v_lshrrev_b32_e32 v9, s39, v9
	s_delay_alu instid0(VALU_DEP_2) | instskip(SKIP_2) | instid1(VALU_DEP_4)
	v_mul_lo_u32 v16, v11, s28
	v_mul_lo_u32 v11, v11, s29
	v_sub_nc_u32_e32 v10, v10, v14
	v_mul_lo_u32 v17, v9, s37
	s_delay_alu instid0(VALU_DEP_2) | instskip(SKIP_1) | instid1(VALU_DEP_3)
	v_mul_lo_u32 v14, v10, s26
	v_mul_lo_u32 v10, v10, s27
	v_sub_nc_u32_e32 v12, v12, v17
	s_delay_alu instid0(VALU_DEP_3) | instskip(NEXT) | instid1(VALU_DEP_2)
	v_add3_u32 v6, v13, v6, v14
	v_mul_lo_u32 v17, v12, s30
	v_mul_lo_u32 v12, v12, s31
	v_add3_u32 v7, v15, v7, v10
	s_delay_alu instid0(VALU_DEP_3) | instskip(NEXT) | instid1(VALU_DEP_2)
	v_add3_u32 v6, v16, v6, v17
	v_add3_u32 v7, v11, v7, v12
	s_cbranch_scc1 .LBB439_59
; %bb.60:
	s_and_b32 s7, s7, 3
	s_delay_alu instid0(SALU_CYCLE_1)
	s_cmp_eq_u32 s7, 0
	s_cbranch_scc0 .LBB439_63
	s_branch .LBB439_65
.LBB439_61:
	s_mov_b32 s6, -1
                                        ; implicit-def: $vgpr6
                                        ; implicit-def: $vgpr7
	s_branch .LBB439_65
.LBB439_62:
	v_mov_b32_e32 v9, v8
	v_mov_b32_e32 v7, 0
	s_and_b32 s7, s7, 3
	s_delay_alu instid0(SALU_CYCLE_1)
	s_cmp_eq_u32 s7, 0
	s_cbranch_scc1 .LBB439_65
.LBB439_63:
	s_lshl_b32 s2, s8, 3
	s_mul_i32 s4, s8, 12
	s_add_u32 s2, s2, s0
	s_addc_u32 s3, 0, s1
	s_add_u32 s2, s2, 0xc4
	s_addc_u32 s3, s3, 0
	;; [unrolled: 2-line block ×3, first 2 shown]
	.p2align	6
.LBB439_64:                             ; =>This Inner Loop Header: Depth=1
	s_clause 0x1
	s_load_b64 s[8:9], s[4:5], 0x4
	s_load_b32 s12, s[4:5], 0xc
	s_load_b64 s[10:11], s[2:3], 0x0
	s_add_u32 s4, s4, 12
	s_addc_u32 s5, s5, 0
	s_add_u32 s2, s2, 8
	s_addc_u32 s3, s3, 0
	s_add_i32 s7, s7, -1
	s_delay_alu instid0(SALU_CYCLE_1) | instskip(SKIP_2) | instid1(VALU_DEP_1)
	s_cmp_lg_u32 s7, 0
	s_waitcnt lgkmcnt(0)
	v_mul_hi_u32 v10, s9, v9
	v_add_nc_u32_e32 v10, v9, v10
	s_delay_alu instid0(VALU_DEP_1) | instskip(NEXT) | instid1(VALU_DEP_1)
	v_lshrrev_b32_e32 v13, s12, v10
	v_mul_lo_u32 v10, v13, s8
	s_delay_alu instid0(VALU_DEP_1) | instskip(NEXT) | instid1(VALU_DEP_1)
	v_sub_nc_u32_e32 v9, v9, v10
	v_mad_u64_u32 v[10:11], null, v9, s10, v[6:7]
	v_mad_u64_u32 v[11:12], null, v9, s11, v[7:8]
	s_delay_alu instid0(VALU_DEP_2) | instskip(NEXT) | instid1(VALU_DEP_2)
	v_dual_mov_b32 v9, v13 :: v_dual_mov_b32 v6, v10
	v_mov_b32_e32 v7, v11
	s_cbranch_scc1 .LBB439_64
.LBB439_65:
	s_and_not1_b32 vcc_lo, exec_lo, s6
	s_cbranch_vccnz .LBB439_68
; %bb.66:
	s_clause 0x1
	s_load_b128 s[4:7], s[0:1], 0x4
	s_load_b64 s[2:3], s[0:1], 0xc4
	s_cmp_lt_u32 s22, 2
	s_waitcnt lgkmcnt(0)
	v_mul_hi_u32 v6, s5, v8
	s_delay_alu instid0(VALU_DEP_1) | instskip(NEXT) | instid1(VALU_DEP_1)
	v_add_nc_u32_e32 v6, v8, v6
	v_lshrrev_b32_e32 v9, s6, v6
	s_delay_alu instid0(VALU_DEP_1) | instskip(NEXT) | instid1(VALU_DEP_1)
	v_mul_lo_u32 v6, v9, s4
	v_sub_nc_u32_e32 v7, v8, v6
	s_delay_alu instid0(VALU_DEP_1)
	v_mul_lo_u32 v6, v7, s2
	v_mul_lo_u32 v7, v7, s3
	s_cbranch_scc1 .LBB439_68
; %bb.67:
	s_clause 0x1
	s_load_b128 s[4:7], s[0:1], 0x10
	s_load_b64 s[2:3], s[0:1], 0xcc
	s_waitcnt lgkmcnt(0)
	v_mul_hi_u32 v8, s5, v9
	s_delay_alu instid0(VALU_DEP_1) | instskip(NEXT) | instid1(VALU_DEP_1)
	v_add_nc_u32_e32 v8, v9, v8
	v_lshrrev_b32_e32 v8, s6, v8
	s_delay_alu instid0(VALU_DEP_1) | instskip(NEXT) | instid1(VALU_DEP_1)
	v_mul_lo_u32 v8, v8, s4
	v_sub_nc_u32_e32 v11, v9, v8
	s_delay_alu instid0(VALU_DEP_1) | instskip(NEXT) | instid1(VALU_DEP_1)
	v_mad_u64_u32 v[8:9], null, v11, s2, v[6:7]
	v_mad_u64_u32 v[9:10], null, v11, s3, v[7:8]
	s_delay_alu instid0(VALU_DEP_1)
	v_dual_mov_b32 v6, v8 :: v_dual_mov_b32 v7, v9
.LBB439_68:
	s_clause 0x1
	s_load_b128 s[4:7], s[0:1], 0x148
	s_load_b32 s0, s[0:1], 0x158
	s_waitcnt lgkmcnt(0)
	s_clause 0x3
	global_load_b32 v1, v1, s[6:7]
	global_load_b32 v3, v3, s[6:7]
	;; [unrolled: 1-line block ×4, first 2 shown]
	s_waitcnt vmcnt(3)
	v_min_i32_e32 v1, s0, v1
	s_waitcnt vmcnt(2)
	v_min_i32_e32 v3, s0, v3
	;; [unrolled: 2-line block ×4, first 2 shown]
	s_clause 0x3
	global_store_b32 v0, v1, s[4:5]
	global_store_b32 v2, v3, s[4:5]
	;; [unrolled: 1-line block ×4, first 2 shown]
	s_nop 0
	s_sendmsg sendmsg(MSG_DEALLOC_VGPRS)
	s_endpgm
.LBB439_69:
	v_dual_mov_b32 v2, v4 :: v_dual_mov_b32 v1, 0
.LBB439_70:
	s_and_b32 s35, s35, 3
	s_delay_alu instid0(SALU_CYCLE_1)
	s_cmp_eq_u32 s35, 0
	s_cbranch_scc1 .LBB439_73
; %bb.71:
	s_lshl_b32 s18, s34, 3
	s_mul_i32 s20, s34, 12
	s_add_u32 s18, s18, s0
	s_addc_u32 s19, s1, 0
	s_add_u32 s18, s18, 0xc4
	s_addc_u32 s19, s19, 0
	;; [unrolled: 2-line block ×3, first 2 shown]
	.p2align	6
.LBB439_72:                             ; =>This Inner Loop Header: Depth=1
	s_clause 0x1
	s_load_b64 s[36:37], s[20:21], 0x4
	s_load_b32 s34, s[20:21], 0xc
	s_load_b64 s[38:39], s[18:19], 0x0
	s_add_u32 s20, s20, 12
	s_addc_u32 s21, s21, 0
	s_add_u32 s18, s18, 8
	s_addc_u32 s19, s19, 0
	s_add_i32 s35, s35, -1
	s_delay_alu instid0(SALU_CYCLE_1) | instskip(SKIP_2) | instid1(VALU_DEP_1)
	s_cmp_lg_u32 s35, 0
	s_waitcnt lgkmcnt(0)
	v_mul_hi_u32 v3, s37, v2
	v_add_nc_u32_e32 v3, v2, v3
	s_delay_alu instid0(VALU_DEP_1) | instskip(NEXT) | instid1(VALU_DEP_1)
	v_lshrrev_b32_e32 v3, s34, v3
	v_mul_lo_u32 v5, v3, s36
	s_delay_alu instid0(VALU_DEP_1) | instskip(NEXT) | instid1(VALU_DEP_1)
	v_sub_nc_u32_e32 v2, v2, v5
	v_mad_u64_u32 v[5:6], null, v2, s38, v[0:1]
	v_mad_u64_u32 v[6:7], null, v2, s39, v[1:2]
	v_mov_b32_e32 v2, v3
	s_delay_alu instid0(VALU_DEP_2)
	v_dual_mov_b32 v0, v5 :: v_dual_mov_b32 v1, v6
	s_cbranch_scc1 .LBB439_72
.LBB439_73:
	s_and_not1_b32 vcc_lo, exec_lo, s33
	s_cbranch_vccnz .LBB439_76
; %bb.74:
	s_waitcnt lgkmcnt(0)
	v_mul_hi_u32 v0, s13, v4
	s_and_not1_b32 vcc_lo, exec_lo, s27
	s_delay_alu instid0(VALU_DEP_1) | instskip(NEXT) | instid1(VALU_DEP_1)
	v_add_nc_u32_e32 v0, v4, v0
	v_lshrrev_b32_e32 v2, s14, v0
	s_delay_alu instid0(VALU_DEP_1) | instskip(NEXT) | instid1(VALU_DEP_1)
	v_mul_lo_u32 v0, v2, s12
	v_sub_nc_u32_e32 v1, v4, v0
	s_delay_alu instid0(VALU_DEP_1)
	v_mul_lo_u32 v0, v1, s8
	v_mul_lo_u32 v1, v1, s9
	s_cbranch_vccnz .LBB439_76
; %bb.75:
	v_mul_hi_u32 v3, s2, v2
	s_delay_alu instid0(VALU_DEP_1) | instskip(NEXT) | instid1(VALU_DEP_1)
	v_add_nc_u32_e32 v3, v2, v3
	v_lshrrev_b32_e32 v3, s3, v3
	s_delay_alu instid0(VALU_DEP_1) | instskip(NEXT) | instid1(VALU_DEP_1)
	v_mul_lo_u32 v3, v3, s15
	v_sub_nc_u32_e32 v7, v2, v3
	s_delay_alu instid0(VALU_DEP_1) | instskip(NEXT) | instid1(VALU_DEP_1)
	v_mad_u64_u32 v[2:3], null, v7, s10, v[0:1]
	v_mad_u64_u32 v[5:6], null, v7, s11, v[1:2]
	s_delay_alu instid0(VALU_DEP_1)
	v_dual_mov_b32 v0, v2 :: v_dual_mov_b32 v1, v5
.LBB439_76:
	s_waitcnt lgkmcnt(0)
	global_load_b32 v1, v1, s[6:7]
	v_add_nc_u32_e32 v4, 0x80, v4
	s_waitcnt vmcnt(0)
	v_min_i32_e32 v1, s26, v1
	global_store_b32 v0, v1, s[4:5]
	s_or_b32 exec_lo, exec_lo, s31
	s_delay_alu instid0(SALU_CYCLE_1)
	s_mov_b32 s31, exec_lo
	v_cmpx_gt_i32_e64 s28, v4
	s_cbranch_execnz .LBB439_15
.LBB439_77:
	s_or_b32 exec_lo, exec_lo, s31
	s_delay_alu instid0(SALU_CYCLE_1)
	s_mov_b32 s31, exec_lo
	v_cmpx_gt_i32_e64 s28, v4
	s_cbranch_execz .LBB439_92
.LBB439_78:
	s_and_not1_b32 vcc_lo, exec_lo, s24
	s_cbranch_vccnz .LBB439_83
; %bb.79:
	v_dual_mov_b32 v0, 0 :: v_dual_mov_b32 v1, 0
	s_and_not1_b32 vcc_lo, exec_lo, s30
	s_mov_b32 s33, 0
	s_cbranch_vccnz .LBB439_99
; %bb.80:
	v_mov_b32_e32 v0, 0
	s_add_i32 s35, s29, 1
	s_cmp_eq_u32 s23, 2
	s_mov_b32 s34, 0
	s_cbranch_scc1 .LBB439_95
; %bb.81:
	v_dual_mov_b32 v1, 0 :: v_dual_mov_b32 v0, 0
	v_mov_b32_e32 v2, v4
	s_and_b32 s34, s35, 28
	s_mov_b32 s36, 0
	s_mov_b64 s[18:19], s[16:17]
	s_mov_b64 s[20:21], s[0:1]
.LBB439_82:                             ; =>This Inner Loop Header: Depth=1
	s_clause 0x1
	s_load_b256 s[40:47], s[20:21], 0x4
	s_load_b128 s[56:59], s[20:21], 0x24
	s_load_b256 s[48:55], s[18:19], 0x0
	s_add_u32 s20, s20, 48
	s_addc_u32 s21, s21, 0
	s_add_i32 s36, s36, 4
	s_add_u32 s18, s18, 32
	s_addc_u32 s19, s19, 0
	s_cmp_eq_u32 s34, s36
	s_waitcnt lgkmcnt(0)
	v_mul_hi_u32 v3, s41, v2
	s_delay_alu instid0(VALU_DEP_1) | instskip(NEXT) | instid1(VALU_DEP_1)
	v_add_nc_u32_e32 v3, v2, v3
	v_lshrrev_b32_e32 v3, s42, v3
	s_delay_alu instid0(VALU_DEP_1) | instskip(SKIP_1) | instid1(VALU_DEP_2)
	v_mul_hi_u32 v5, s44, v3
	v_mul_lo_u32 v7, v3, s40
	v_add_nc_u32_e32 v5, v3, v5
	s_delay_alu instid0(VALU_DEP_2) | instskip(NEXT) | instid1(VALU_DEP_2)
	v_sub_nc_u32_e32 v2, v2, v7
	v_lshrrev_b32_e32 v5, s45, v5
	s_delay_alu instid0(VALU_DEP_2) | instskip(SKIP_1) | instid1(VALU_DEP_3)
	v_mul_lo_u32 v7, v2, s48
	v_mul_lo_u32 v9, v2, s49
	v_mul_hi_u32 v6, s47, v5
	s_delay_alu instid0(VALU_DEP_1) | instskip(NEXT) | instid1(VALU_DEP_1)
	v_add_nc_u32_e32 v6, v5, v6
	v_lshrrev_b32_e32 v6, s56, v6
	s_delay_alu instid0(VALU_DEP_1) | instskip(SKIP_1) | instid1(VALU_DEP_2)
	v_mul_hi_u32 v8, s58, v6
	v_mul_lo_u32 v10, v6, s46
	v_add_nc_u32_e32 v2, v6, v8
	v_mul_lo_u32 v8, v5, s43
	s_delay_alu instid0(VALU_DEP_3) | instskip(NEXT) | instid1(VALU_DEP_3)
	v_sub_nc_u32_e32 v5, v5, v10
	v_lshrrev_b32_e32 v2, s59, v2
	s_delay_alu instid0(VALU_DEP_2) | instskip(SKIP_2) | instid1(VALU_DEP_4)
	v_mul_lo_u32 v10, v5, s52
	v_mul_lo_u32 v5, v5, s53
	v_sub_nc_u32_e32 v3, v3, v8
	v_mul_lo_u32 v11, v2, s57
	s_delay_alu instid0(VALU_DEP_2) | instskip(SKIP_1) | instid1(VALU_DEP_3)
	v_mul_lo_u32 v8, v3, s50
	v_mul_lo_u32 v3, v3, s51
	v_sub_nc_u32_e32 v6, v6, v11
	s_delay_alu instid0(VALU_DEP_3) | instskip(NEXT) | instid1(VALU_DEP_2)
	v_add3_u32 v0, v7, v0, v8
	v_mul_lo_u32 v11, v6, s54
	v_mul_lo_u32 v6, v6, s55
	v_add3_u32 v1, v9, v1, v3
	s_delay_alu instid0(VALU_DEP_3) | instskip(NEXT) | instid1(VALU_DEP_2)
	v_add3_u32 v0, v10, v0, v11
	v_add3_u32 v1, v5, v1, v6
	s_cbranch_scc0 .LBB439_82
	s_branch .LBB439_96
.LBB439_83:
	s_mov_b32 s33, -1
                                        ; implicit-def: $vgpr0
                                        ; implicit-def: $vgpr1
	s_branch .LBB439_99
.LBB439_84:
	v_dual_mov_b32 v2, v4 :: v_dual_mov_b32 v1, 0
.LBB439_85:
	s_and_b32 s35, s35, 3
	s_delay_alu instid0(SALU_CYCLE_1)
	s_cmp_eq_u32 s35, 0
	s_cbranch_scc1 .LBB439_88
; %bb.86:
	s_lshl_b32 s18, s34, 3
	s_mul_i32 s20, s34, 12
	s_add_u32 s18, s18, s0
	s_addc_u32 s19, s1, 0
	s_add_u32 s18, s18, 0xc4
	s_addc_u32 s19, s19, 0
	;; [unrolled: 2-line block ×3, first 2 shown]
	.p2align	6
.LBB439_87:                             ; =>This Inner Loop Header: Depth=1
	s_clause 0x1
	s_load_b64 s[36:37], s[20:21], 0x4
	s_load_b32 s34, s[20:21], 0xc
	s_load_b64 s[38:39], s[18:19], 0x0
	s_add_u32 s20, s20, 12
	s_addc_u32 s21, s21, 0
	s_add_u32 s18, s18, 8
	s_addc_u32 s19, s19, 0
	s_add_i32 s35, s35, -1
	s_delay_alu instid0(SALU_CYCLE_1) | instskip(SKIP_2) | instid1(VALU_DEP_1)
	s_cmp_lg_u32 s35, 0
	s_waitcnt lgkmcnt(0)
	v_mul_hi_u32 v3, s37, v2
	v_add_nc_u32_e32 v3, v2, v3
	s_delay_alu instid0(VALU_DEP_1) | instskip(NEXT) | instid1(VALU_DEP_1)
	v_lshrrev_b32_e32 v3, s34, v3
	v_mul_lo_u32 v5, v3, s36
	s_delay_alu instid0(VALU_DEP_1) | instskip(NEXT) | instid1(VALU_DEP_1)
	v_sub_nc_u32_e32 v2, v2, v5
	v_mad_u64_u32 v[5:6], null, v2, s38, v[0:1]
	v_mad_u64_u32 v[6:7], null, v2, s39, v[1:2]
	v_mov_b32_e32 v2, v3
	s_delay_alu instid0(VALU_DEP_2)
	v_dual_mov_b32 v0, v5 :: v_dual_mov_b32 v1, v6
	s_cbranch_scc1 .LBB439_87
.LBB439_88:
	s_and_not1_b32 vcc_lo, exec_lo, s33
	s_cbranch_vccnz .LBB439_91
; %bb.89:
	s_waitcnt lgkmcnt(0)
	v_mul_hi_u32 v0, s13, v4
	s_and_not1_b32 vcc_lo, exec_lo, s27
	s_delay_alu instid0(VALU_DEP_1) | instskip(NEXT) | instid1(VALU_DEP_1)
	v_add_nc_u32_e32 v0, v4, v0
	v_lshrrev_b32_e32 v2, s14, v0
	s_delay_alu instid0(VALU_DEP_1) | instskip(NEXT) | instid1(VALU_DEP_1)
	v_mul_lo_u32 v0, v2, s12
	v_sub_nc_u32_e32 v1, v4, v0
	s_delay_alu instid0(VALU_DEP_1)
	v_mul_lo_u32 v0, v1, s8
	v_mul_lo_u32 v1, v1, s9
	s_cbranch_vccnz .LBB439_91
; %bb.90:
	v_mul_hi_u32 v3, s2, v2
	s_delay_alu instid0(VALU_DEP_1) | instskip(NEXT) | instid1(VALU_DEP_1)
	v_add_nc_u32_e32 v3, v2, v3
	v_lshrrev_b32_e32 v3, s3, v3
	s_delay_alu instid0(VALU_DEP_1) | instskip(NEXT) | instid1(VALU_DEP_1)
	v_mul_lo_u32 v3, v3, s15
	v_sub_nc_u32_e32 v7, v2, v3
	s_delay_alu instid0(VALU_DEP_1) | instskip(NEXT) | instid1(VALU_DEP_1)
	v_mad_u64_u32 v[2:3], null, v7, s10, v[0:1]
	v_mad_u64_u32 v[5:6], null, v7, s11, v[1:2]
	s_delay_alu instid0(VALU_DEP_1)
	v_dual_mov_b32 v0, v2 :: v_dual_mov_b32 v1, v5
.LBB439_91:
	s_waitcnt lgkmcnt(0)
	global_load_b32 v1, v1, s[6:7]
	v_add_nc_u32_e32 v4, 0x80, v4
	s_waitcnt vmcnt(0)
	v_min_i32_e32 v1, s26, v1
	global_store_b32 v0, v1, s[4:5]
	s_or_b32 exec_lo, exec_lo, s31
	s_delay_alu instid0(SALU_CYCLE_1)
	s_mov_b32 s31, exec_lo
	v_cmpx_gt_i32_e64 s28, v4
	s_cbranch_execnz .LBB439_78
.LBB439_92:
	s_or_b32 exec_lo, exec_lo, s31
	s_delay_alu instid0(SALU_CYCLE_1)
	s_mov_b32 s20, exec_lo
	v_cmpx_gt_i32_e64 s28, v4
	s_cbranch_execnz .LBB439_103
.LBB439_93:
	s_or_b32 exec_lo, exec_lo, s20
                                        ; implicit-def: $vgpr8
                                        ; implicit-def: $vgpr4
	s_waitcnt lgkmcnt(0)
	s_and_not1_saveexec_b32 s2, s25
	s_cbranch_execnz .LBB439_8
.LBB439_94:
	s_nop 0
	s_sendmsg sendmsg(MSG_DEALLOC_VGPRS)
	s_endpgm
.LBB439_95:
	v_dual_mov_b32 v2, v4 :: v_dual_mov_b32 v1, 0
.LBB439_96:
	s_and_b32 s35, s35, 3
	s_delay_alu instid0(SALU_CYCLE_1)
	s_cmp_eq_u32 s35, 0
	s_cbranch_scc1 .LBB439_99
; %bb.97:
	s_lshl_b32 s18, s34, 3
	s_mul_i32 s20, s34, 12
	s_add_u32 s18, s18, s0
	s_addc_u32 s19, s1, 0
	s_add_u32 s18, s18, 0xc4
	s_addc_u32 s19, s19, 0
	;; [unrolled: 2-line block ×3, first 2 shown]
	.p2align	6
.LBB439_98:                             ; =>This Inner Loop Header: Depth=1
	s_clause 0x1
	s_load_b64 s[36:37], s[20:21], 0x4
	s_load_b32 s34, s[20:21], 0xc
	s_load_b64 s[38:39], s[18:19], 0x0
	s_add_u32 s20, s20, 12
	s_addc_u32 s21, s21, 0
	s_add_u32 s18, s18, 8
	s_addc_u32 s19, s19, 0
	s_add_i32 s35, s35, -1
	s_delay_alu instid0(SALU_CYCLE_1) | instskip(SKIP_2) | instid1(VALU_DEP_1)
	s_cmp_lg_u32 s35, 0
	s_waitcnt lgkmcnt(0)
	v_mul_hi_u32 v3, s37, v2
	v_add_nc_u32_e32 v3, v2, v3
	s_delay_alu instid0(VALU_DEP_1) | instskip(NEXT) | instid1(VALU_DEP_1)
	v_lshrrev_b32_e32 v3, s34, v3
	v_mul_lo_u32 v5, v3, s36
	s_delay_alu instid0(VALU_DEP_1) | instskip(NEXT) | instid1(VALU_DEP_1)
	v_sub_nc_u32_e32 v2, v2, v5
	v_mad_u64_u32 v[5:6], null, v2, s38, v[0:1]
	v_mad_u64_u32 v[6:7], null, v2, s39, v[1:2]
	v_mov_b32_e32 v2, v3
	s_delay_alu instid0(VALU_DEP_2)
	v_dual_mov_b32 v0, v5 :: v_dual_mov_b32 v1, v6
	s_cbranch_scc1 .LBB439_98
.LBB439_99:
	s_and_not1_b32 vcc_lo, exec_lo, s33
	s_cbranch_vccnz .LBB439_102
; %bb.100:
	s_waitcnt lgkmcnt(0)
	v_mul_hi_u32 v0, s13, v4
	s_and_not1_b32 vcc_lo, exec_lo, s27
	s_delay_alu instid0(VALU_DEP_1) | instskip(NEXT) | instid1(VALU_DEP_1)
	v_add_nc_u32_e32 v0, v4, v0
	v_lshrrev_b32_e32 v2, s14, v0
	s_delay_alu instid0(VALU_DEP_1) | instskip(NEXT) | instid1(VALU_DEP_1)
	v_mul_lo_u32 v0, v2, s12
	v_sub_nc_u32_e32 v1, v4, v0
	s_delay_alu instid0(VALU_DEP_1)
	v_mul_lo_u32 v0, v1, s8
	v_mul_lo_u32 v1, v1, s9
	s_cbranch_vccnz .LBB439_102
; %bb.101:
	v_mul_hi_u32 v3, s2, v2
	s_delay_alu instid0(VALU_DEP_1) | instskip(NEXT) | instid1(VALU_DEP_1)
	v_add_nc_u32_e32 v3, v2, v3
	v_lshrrev_b32_e32 v3, s3, v3
	s_delay_alu instid0(VALU_DEP_1) | instskip(NEXT) | instid1(VALU_DEP_1)
	v_mul_lo_u32 v3, v3, s15
	v_sub_nc_u32_e32 v7, v2, v3
	s_delay_alu instid0(VALU_DEP_1) | instskip(NEXT) | instid1(VALU_DEP_1)
	v_mad_u64_u32 v[2:3], null, v7, s10, v[0:1]
	v_mad_u64_u32 v[5:6], null, v7, s11, v[1:2]
	s_delay_alu instid0(VALU_DEP_1)
	v_dual_mov_b32 v0, v2 :: v_dual_mov_b32 v1, v5
.LBB439_102:
	s_waitcnt lgkmcnt(0)
	global_load_b32 v1, v1, s[6:7]
	v_add_nc_u32_e32 v4, 0x80, v4
	s_waitcnt vmcnt(0)
	v_min_i32_e32 v1, s26, v1
	global_store_b32 v0, v1, s[4:5]
	s_or_b32 exec_lo, exec_lo, s31
	s_delay_alu instid0(SALU_CYCLE_1)
	s_mov_b32 s20, exec_lo
	v_cmpx_gt_i32_e64 s28, v4
	s_cbranch_execz .LBB439_93
.LBB439_103:
	s_and_not1_b32 vcc_lo, exec_lo, s24
	s_cbranch_vccnz .LBB439_108
; %bb.104:
	v_dual_mov_b32 v0, 0 :: v_dual_mov_b32 v1, 0
	s_and_not1_b32 vcc_lo, exec_lo, s30
	s_mov_b32 s21, 0
	s_cbranch_vccnz .LBB439_113
; %bb.105:
	v_mov_b32_e32 v0, 0
	s_add_i32 s29, s29, 1
	s_cmp_eq_u32 s23, 2
	s_mov_b32 s28, 0
	s_cbranch_scc1 .LBB439_109
; %bb.106:
	v_dual_mov_b32 v1, 0 :: v_dual_mov_b32 v0, 0
	v_mov_b32_e32 v2, v4
	s_and_b32 s28, s29, 28
	s_mov_b32 s30, 0
	s_mov_b64 s[18:19], s[0:1]
.LBB439_107:                            ; =>This Inner Loop Header: Depth=1
	s_clause 0x1
	s_load_b256 s[36:43], s[18:19], 0x4
	s_load_b128 s[52:55], s[18:19], 0x24
	s_load_b256 s[44:51], s[16:17], 0x0
	s_add_u32 s18, s18, 48
	s_addc_u32 s19, s19, 0
	s_add_i32 s30, s30, 4
	s_add_u32 s16, s16, 32
	s_addc_u32 s17, s17, 0
	s_cmp_eq_u32 s28, s30
	s_waitcnt lgkmcnt(0)
	v_mul_hi_u32 v3, s37, v2
	s_delay_alu instid0(VALU_DEP_1) | instskip(NEXT) | instid1(VALU_DEP_1)
	v_add_nc_u32_e32 v3, v2, v3
	v_lshrrev_b32_e32 v3, s38, v3
	s_delay_alu instid0(VALU_DEP_1) | instskip(SKIP_1) | instid1(VALU_DEP_2)
	v_mul_hi_u32 v5, s40, v3
	v_mul_lo_u32 v7, v3, s36
	v_add_nc_u32_e32 v5, v3, v5
	s_delay_alu instid0(VALU_DEP_2) | instskip(NEXT) | instid1(VALU_DEP_2)
	v_sub_nc_u32_e32 v2, v2, v7
	v_lshrrev_b32_e32 v5, s41, v5
	s_delay_alu instid0(VALU_DEP_2) | instskip(SKIP_1) | instid1(VALU_DEP_3)
	v_mul_lo_u32 v7, v2, s44
	v_mul_lo_u32 v9, v2, s45
	v_mul_hi_u32 v6, s43, v5
	s_delay_alu instid0(VALU_DEP_1) | instskip(NEXT) | instid1(VALU_DEP_1)
	v_add_nc_u32_e32 v6, v5, v6
	v_lshrrev_b32_e32 v6, s52, v6
	s_delay_alu instid0(VALU_DEP_1) | instskip(SKIP_1) | instid1(VALU_DEP_2)
	v_mul_hi_u32 v8, s54, v6
	v_mul_lo_u32 v10, v6, s42
	v_add_nc_u32_e32 v2, v6, v8
	v_mul_lo_u32 v8, v5, s39
	s_delay_alu instid0(VALU_DEP_3) | instskip(NEXT) | instid1(VALU_DEP_3)
	v_sub_nc_u32_e32 v5, v5, v10
	v_lshrrev_b32_e32 v2, s55, v2
	s_delay_alu instid0(VALU_DEP_2) | instskip(SKIP_2) | instid1(VALU_DEP_4)
	v_mul_lo_u32 v10, v5, s48
	v_mul_lo_u32 v5, v5, s49
	v_sub_nc_u32_e32 v3, v3, v8
	v_mul_lo_u32 v11, v2, s53
	s_delay_alu instid0(VALU_DEP_2) | instskip(SKIP_1) | instid1(VALU_DEP_3)
	v_mul_lo_u32 v8, v3, s46
	v_mul_lo_u32 v3, v3, s47
	v_sub_nc_u32_e32 v6, v6, v11
	s_delay_alu instid0(VALU_DEP_3) | instskip(NEXT) | instid1(VALU_DEP_2)
	v_add3_u32 v0, v7, v0, v8
	v_mul_lo_u32 v11, v6, s50
	v_mul_lo_u32 v6, v6, s51
	v_add3_u32 v1, v9, v1, v3
	s_delay_alu instid0(VALU_DEP_3) | instskip(NEXT) | instid1(VALU_DEP_2)
	v_add3_u32 v0, v10, v0, v11
	v_add3_u32 v1, v5, v1, v6
	s_cbranch_scc0 .LBB439_107
	s_branch .LBB439_110
.LBB439_108:
	s_mov_b32 s21, -1
                                        ; implicit-def: $vgpr0
                                        ; implicit-def: $vgpr1
	s_branch .LBB439_113
.LBB439_109:
	v_dual_mov_b32 v2, v4 :: v_dual_mov_b32 v1, 0
.LBB439_110:
	s_and_b32 s29, s29, 3
	s_delay_alu instid0(SALU_CYCLE_1)
	s_cmp_eq_u32 s29, 0
	s_cbranch_scc1 .LBB439_113
; %bb.111:
	s_lshl_b32 s16, s28, 3
	s_mul_i32 s18, s28, 12
	s_add_u32 s16, s16, s0
	s_addc_u32 s17, s1, 0
	s_add_u32 s16, s16, 0xc4
	s_addc_u32 s17, s17, 0
	;; [unrolled: 2-line block ×3, first 2 shown]
	.p2align	6
.LBB439_112:                            ; =>This Inner Loop Header: Depth=1
	s_clause 0x1
	s_load_b64 s[30:31], s[18:19], 0x4
	s_load_b32 s28, s[18:19], 0xc
	s_load_b64 s[34:35], s[16:17], 0x0
	s_add_u32 s18, s18, 12
	s_addc_u32 s19, s19, 0
	s_add_u32 s16, s16, 8
	s_addc_u32 s17, s17, 0
	s_add_i32 s29, s29, -1
	s_delay_alu instid0(SALU_CYCLE_1) | instskip(SKIP_2) | instid1(VALU_DEP_1)
	s_cmp_lg_u32 s29, 0
	s_waitcnt lgkmcnt(0)
	v_mul_hi_u32 v3, s31, v2
	v_add_nc_u32_e32 v3, v2, v3
	s_delay_alu instid0(VALU_DEP_1) | instskip(NEXT) | instid1(VALU_DEP_1)
	v_lshrrev_b32_e32 v3, s28, v3
	v_mul_lo_u32 v5, v3, s30
	s_delay_alu instid0(VALU_DEP_1) | instskip(NEXT) | instid1(VALU_DEP_1)
	v_sub_nc_u32_e32 v2, v2, v5
	v_mad_u64_u32 v[5:6], null, v2, s34, v[0:1]
	v_mad_u64_u32 v[6:7], null, v2, s35, v[1:2]
	v_mov_b32_e32 v2, v3
	s_delay_alu instid0(VALU_DEP_2)
	v_dual_mov_b32 v0, v5 :: v_dual_mov_b32 v1, v6
	s_cbranch_scc1 .LBB439_112
.LBB439_113:
	s_and_not1_b32 vcc_lo, exec_lo, s21
	s_cbranch_vccnz .LBB439_116
; %bb.114:
	s_waitcnt lgkmcnt(0)
	v_mul_hi_u32 v0, s13, v4
	s_and_not1_b32 vcc_lo, exec_lo, s27
	s_delay_alu instid0(VALU_DEP_1) | instskip(NEXT) | instid1(VALU_DEP_1)
	v_add_nc_u32_e32 v0, v4, v0
	v_lshrrev_b32_e32 v2, s14, v0
	s_delay_alu instid0(VALU_DEP_1) | instskip(NEXT) | instid1(VALU_DEP_1)
	v_mul_lo_u32 v0, v2, s12
	v_sub_nc_u32_e32 v1, v4, v0
	s_delay_alu instid0(VALU_DEP_1)
	v_mul_lo_u32 v0, v1, s8
	v_mul_lo_u32 v1, v1, s9
	s_cbranch_vccnz .LBB439_116
; %bb.115:
	v_mul_hi_u32 v3, s2, v2
	s_delay_alu instid0(VALU_DEP_1) | instskip(NEXT) | instid1(VALU_DEP_1)
	v_add_nc_u32_e32 v3, v2, v3
	v_lshrrev_b32_e32 v3, s3, v3
	s_delay_alu instid0(VALU_DEP_1) | instskip(NEXT) | instid1(VALU_DEP_1)
	v_mul_lo_u32 v3, v3, s15
	v_sub_nc_u32_e32 v5, v2, v3
	s_delay_alu instid0(VALU_DEP_1) | instskip(NEXT) | instid1(VALU_DEP_1)
	v_mad_u64_u32 v[2:3], null, v5, s10, v[0:1]
	v_mad_u64_u32 v[3:4], null, v5, s11, v[1:2]
	s_delay_alu instid0(VALU_DEP_1)
	v_dual_mov_b32 v0, v2 :: v_dual_mov_b32 v1, v3
.LBB439_116:
	s_waitcnt lgkmcnt(0)
	global_load_b32 v1, v1, s[6:7]
	s_waitcnt vmcnt(0)
	v_min_i32_e32 v1, s26, v1
	global_store_b32 v0, v1, s[4:5]
	s_or_b32 exec_lo, exec_lo, s20
                                        ; implicit-def: $vgpr8
                                        ; implicit-def: $vgpr4
	s_and_not1_saveexec_b32 s2, s25
	s_cbranch_execz .LBB439_94
	s_branch .LBB439_8
	.section	.rodata,"a",@progbits
	.p2align	6, 0x0
	.amdhsa_kernel _ZN2at6native32elementwise_kernel_manual_unrollILi128ELi4EZNS0_22gpu_kernel_impl_nocastIZZZNS0_21clamp_max_kernel_cudaERNS_18TensorIteratorBaseERKN3c106ScalarEENKUlvE_clEvENKUlvE1_clEvEUliE_EEvS4_RKT_EUlibE_EEviT1_
		.amdhsa_group_segment_fixed_size 0
		.amdhsa_private_segment_fixed_size 0
		.amdhsa_kernarg_size 360
		.amdhsa_user_sgpr_count 15
		.amdhsa_user_sgpr_dispatch_ptr 0
		.amdhsa_user_sgpr_queue_ptr 0
		.amdhsa_user_sgpr_kernarg_segment_ptr 1
		.amdhsa_user_sgpr_dispatch_id 0
		.amdhsa_user_sgpr_private_segment_size 0
		.amdhsa_wavefront_size32 1
		.amdhsa_uses_dynamic_stack 0
		.amdhsa_enable_private_segment 0
		.amdhsa_system_sgpr_workgroup_id_x 1
		.amdhsa_system_sgpr_workgroup_id_y 0
		.amdhsa_system_sgpr_workgroup_id_z 0
		.amdhsa_system_sgpr_workgroup_info 0
		.amdhsa_system_vgpr_workitem_id 0
		.amdhsa_next_free_vgpr 18
		.amdhsa_next_free_sgpr 60
		.amdhsa_reserve_vcc 1
		.amdhsa_float_round_mode_32 0
		.amdhsa_float_round_mode_16_64 0
		.amdhsa_float_denorm_mode_32 3
		.amdhsa_float_denorm_mode_16_64 3
		.amdhsa_dx10_clamp 1
		.amdhsa_ieee_mode 1
		.amdhsa_fp16_overflow 0
		.amdhsa_workgroup_processor_mode 1
		.amdhsa_memory_ordered 1
		.amdhsa_forward_progress 0
		.amdhsa_shared_vgpr_count 0
		.amdhsa_exception_fp_ieee_invalid_op 0
		.amdhsa_exception_fp_denorm_src 0
		.amdhsa_exception_fp_ieee_div_zero 0
		.amdhsa_exception_fp_ieee_overflow 0
		.amdhsa_exception_fp_ieee_underflow 0
		.amdhsa_exception_fp_ieee_inexact 0
		.amdhsa_exception_int_div_zero 0
	.end_amdhsa_kernel
	.section	.text._ZN2at6native32elementwise_kernel_manual_unrollILi128ELi4EZNS0_22gpu_kernel_impl_nocastIZZZNS0_21clamp_max_kernel_cudaERNS_18TensorIteratorBaseERKN3c106ScalarEENKUlvE_clEvENKUlvE1_clEvEUliE_EEvS4_RKT_EUlibE_EEviT1_,"axG",@progbits,_ZN2at6native32elementwise_kernel_manual_unrollILi128ELi4EZNS0_22gpu_kernel_impl_nocastIZZZNS0_21clamp_max_kernel_cudaERNS_18TensorIteratorBaseERKN3c106ScalarEENKUlvE_clEvENKUlvE1_clEvEUliE_EEvS4_RKT_EUlibE_EEviT1_,comdat
.Lfunc_end439:
	.size	_ZN2at6native32elementwise_kernel_manual_unrollILi128ELi4EZNS0_22gpu_kernel_impl_nocastIZZZNS0_21clamp_max_kernel_cudaERNS_18TensorIteratorBaseERKN3c106ScalarEENKUlvE_clEvENKUlvE1_clEvEUliE_EEvS4_RKT_EUlibE_EEviT1_, .Lfunc_end439-_ZN2at6native32elementwise_kernel_manual_unrollILi128ELi4EZNS0_22gpu_kernel_impl_nocastIZZZNS0_21clamp_max_kernel_cudaERNS_18TensorIteratorBaseERKN3c106ScalarEENKUlvE_clEvENKUlvE1_clEvEUliE_EEvS4_RKT_EUlibE_EEviT1_
                                        ; -- End function
	.section	.AMDGPU.csdata,"",@progbits
; Kernel info:
; codeLenInByte = 6832
; NumSgprs: 62
; NumVgprs: 18
; ScratchSize: 0
; MemoryBound: 0
; FloatMode: 240
; IeeeMode: 1
; LDSByteSize: 0 bytes/workgroup (compile time only)
; SGPRBlocks: 7
; VGPRBlocks: 2
; NumSGPRsForWavesPerEU: 62
; NumVGPRsForWavesPerEU: 18
; Occupancy: 16
; WaveLimiterHint : 1
; COMPUTE_PGM_RSRC2:SCRATCH_EN: 0
; COMPUTE_PGM_RSRC2:USER_SGPR: 15
; COMPUTE_PGM_RSRC2:TRAP_HANDLER: 0
; COMPUTE_PGM_RSRC2:TGID_X_EN: 1
; COMPUTE_PGM_RSRC2:TGID_Y_EN: 0
; COMPUTE_PGM_RSRC2:TGID_Z_EN: 0
; COMPUTE_PGM_RSRC2:TIDIG_COMP_CNT: 0
	.section	.text._ZN2at6native32elementwise_kernel_manual_unrollILi128ELi4EZNS0_15gpu_kernel_implIZZZNS0_21clamp_max_kernel_cudaERNS_18TensorIteratorBaseERKN3c106ScalarEENKUlvE_clEvENKUlvE1_clEvEUliE_EEvS4_RKT_EUlibE_EEviT1_,"axG",@progbits,_ZN2at6native32elementwise_kernel_manual_unrollILi128ELi4EZNS0_15gpu_kernel_implIZZZNS0_21clamp_max_kernel_cudaERNS_18TensorIteratorBaseERKN3c106ScalarEENKUlvE_clEvENKUlvE1_clEvEUliE_EEvS4_RKT_EUlibE_EEviT1_,comdat
	.globl	_ZN2at6native32elementwise_kernel_manual_unrollILi128ELi4EZNS0_15gpu_kernel_implIZZZNS0_21clamp_max_kernel_cudaERNS_18TensorIteratorBaseERKN3c106ScalarEENKUlvE_clEvENKUlvE1_clEvEUliE_EEvS4_RKT_EUlibE_EEviT1_ ; -- Begin function _ZN2at6native32elementwise_kernel_manual_unrollILi128ELi4EZNS0_15gpu_kernel_implIZZZNS0_21clamp_max_kernel_cudaERNS_18TensorIteratorBaseERKN3c106ScalarEENKUlvE_clEvENKUlvE1_clEvEUliE_EEvS4_RKT_EUlibE_EEviT1_
	.p2align	8
	.type	_ZN2at6native32elementwise_kernel_manual_unrollILi128ELi4EZNS0_15gpu_kernel_implIZZZNS0_21clamp_max_kernel_cudaERNS_18TensorIteratorBaseERKN3c106ScalarEENKUlvE_clEvENKUlvE1_clEvEUliE_EEvS4_RKT_EUlibE_EEviT1_,@function
_ZN2at6native32elementwise_kernel_manual_unrollILi128ELi4EZNS0_15gpu_kernel_implIZZZNS0_21clamp_max_kernel_cudaERNS_18TensorIteratorBaseERKN3c106ScalarEENKUlvE_clEvENKUlvE1_clEvEUliE_EEvS4_RKT_EUlibE_EEviT1_: ; @_ZN2at6native32elementwise_kernel_manual_unrollILi128ELi4EZNS0_15gpu_kernel_implIZZZNS0_21clamp_max_kernel_cudaERNS_18TensorIteratorBaseERKN3c106ScalarEENKUlvE_clEvENKUlvE1_clEvEUliE_EEvS4_RKT_EUlibE_EEviT1_
; %bb.0:
	s_clause 0x2
	s_load_b32 s2, s[0:1], 0x24
	s_load_b32 s12, s[0:1], 0x0
	s_load_b256 s[4:11], s[0:1], 0x8
	v_lshl_or_b32 v4, s15, 9, v0
	s_mov_b32 s1, 0
	s_waitcnt lgkmcnt(0)
	s_mov_b32 s11, 0
	s_mov_b32 s0, exec_lo
	v_or_b32_e32 v0, 0x180, v4
	v_lshrrev_b16 v5, 8, s2
	s_delay_alu instid0(VALU_DEP_2)
	v_cmpx_le_i32_e64 s12, v0
	s_xor_b32 s3, exec_lo, s0
	s_cbranch_execz .LBB440_1017
; %bb.1:
	s_mov_b32 s17, -1
	s_mov_b32 s15, 0
	s_mov_b32 s13, 0
	s_mov_b32 s14, exec_lo
	v_cmpx_gt_i32_e64 s12, v4
	s_cbranch_execz .LBB440_248
; %bb.2:
	v_mul_lo_u32 v0, v4, s9
	v_cmp_gt_i16_e32 vcc_lo, 11, v5
	s_delay_alu instid0(VALU_DEP_2) | instskip(SKIP_1) | instid1(VALU_DEP_1)
	v_ashrrev_i32_e32 v1, 31, v0
	v_add_co_u32 v0, s0, s6, v0
	v_add_co_ci_u32_e64 v1, s0, s7, v1, s0
	s_cbranch_vccnz .LBB440_9
; %bb.3:
	v_cmp_lt_i16_e32 vcc_lo, 25, v5
	s_cbranch_vccz .LBB440_18
; %bb.4:
	v_cmp_lt_i16_e32 vcc_lo, 28, v5
	s_cbranch_vccz .LBB440_21
; %bb.5:
	v_cmp_lt_i16_e32 vcc_lo, 43, v5
	s_cbranch_vccz .LBB440_23
; %bb.6:
	v_cmp_lt_i16_e32 vcc_lo, 45, v5
	s_cbranch_vccz .LBB440_25
; %bb.7:
	v_cmp_eq_u16_e32 vcc_lo, 46, v5
	s_cbranch_vccz .LBB440_27
; %bb.8:
	global_load_b32 v2, v[0:1], off
	s_mov_b32 s0, -1
	s_waitcnt vmcnt(0)
	v_lshlrev_b32_e32 v2, 16, v2
	s_delay_alu instid0(VALU_DEP_1)
	v_cvt_i32_f32_e32 v2, v2
	s_branch .LBB440_29
.LBB440_9:
	s_mov_b32 s0, 0
                                        ; implicit-def: $vgpr2
	s_cbranch_execnz .LBB440_198
.LBB440_10:
	s_and_not1_b32 vcc_lo, exec_lo, s0
	s_cbranch_vccnz .LBB440_245
.LBB440_11:
	v_mul_lo_u32 v1, v4, s8
	v_and_b32_e64 v6, 0xff, s2
	s_waitcnt vmcnt(0)
	s_delay_alu instid0(VALU_DEP_3) | instskip(NEXT) | instid1(VALU_DEP_2)
	v_min_i32_e32 v0, s10, v2
	v_cmp_gt_i16_e32 vcc_lo, 11, v6
	s_delay_alu instid0(VALU_DEP_4) | instskip(SKIP_1) | instid1(VALU_DEP_1)
	v_ashrrev_i32_e32 v3, 31, v1
	v_add_co_u32 v2, s0, s4, v1
	v_add_co_ci_u32_e64 v3, s0, s5, v3, s0
	s_cbranch_vccnz .LBB440_19
; %bb.12:
	v_cmp_lt_i16_e32 vcc_lo, 25, v6
	s_cbranch_vccz .LBB440_22
; %bb.13:
	v_cmp_lt_i16_e32 vcc_lo, 28, v6
	s_cbranch_vccz .LBB440_24
	;; [unrolled: 3-line block ×4, first 2 shown]
; %bb.16:
	v_cmp_eq_u16_e32 vcc_lo, 46, v6
	s_mov_b32 s16, 0
	s_mov_b32 s0, -1
	s_mov_b32 s11, 0
	s_cbranch_vccz .LBB440_33
; %bb.17:
	v_cvt_f32_i32_e32 v1, v0
	s_mov_b32 s11, -1
	s_mov_b32 s0, 0
	s_delay_alu instid0(VALU_DEP_1) | instskip(NEXT) | instid1(VALU_DEP_1)
	v_bfe_u32 v7, v1, 16, 1
	v_add3_u32 v1, v1, v7, 0x7fff
	s_delay_alu instid0(VALU_DEP_1)
	v_lshrrev_b32_e32 v1, 16, v1
	global_store_b32 v[2:3], v1, off
	s_branch .LBB440_33
.LBB440_18:
	s_mov_b32 s0, 0
                                        ; implicit-def: $vgpr2
	s_cbranch_execnz .LBB440_165
	s_branch .LBB440_197
.LBB440_19:
	s_mov_b32 s0, 0
	s_mov_b32 s11, 0
	s_cbranch_execnz .LBB440_102
.LBB440_20:
	s_and_not1_b32 vcc_lo, exec_lo, s11
	s_cbranch_vccnz .LBB440_246
	s_branch .LBB440_140
.LBB440_21:
	s_mov_b32 s11, -1
	s_mov_b32 s0, 0
                                        ; implicit-def: $vgpr2
	s_branch .LBB440_148
.LBB440_22:
	s_mov_b32 s16, -1
	s_mov_b32 s0, 0
	s_mov_b32 s11, 0
	s_branch .LBB440_60
.LBB440_23:
	s_mov_b32 s11, -1
	s_mov_b32 s0, 0
                                        ; implicit-def: $vgpr2
	s_branch .LBB440_143
.LBB440_24:
	s_mov_b32 s16, -1
	s_mov_b32 s0, 0
	s_mov_b32 s11, 0
	s_branch .LBB440_43
.LBB440_25:
	s_mov_b32 s11, -1
	s_branch .LBB440_28
.LBB440_26:
	s_mov_b32 s16, -1
	s_mov_b32 s0, 0
	s_mov_b32 s11, 0
	s_branch .LBB440_39
.LBB440_27:
	s_mov_b32 s13, -1
.LBB440_28:
	s_mov_b32 s0, 0
                                        ; implicit-def: $vgpr2
.LBB440_29:
	s_and_b32 vcc_lo, exec_lo, s11
	s_cbranch_vccz .LBB440_142
; %bb.30:
	v_cmp_eq_u16_e32 vcc_lo, 44, v5
	s_cbranch_vccz .LBB440_141
; %bb.31:
	global_load_u8 v2, v[0:1], off
	s_mov_b32 s13, 0
	s_mov_b32 s0, -1
	s_waitcnt vmcnt(0)
	v_lshlrev_b32_e32 v3, 23, v2
	v_cmp_ne_u32_e32 vcc_lo, 0, v2
	s_delay_alu instid0(VALU_DEP_2) | instskip(NEXT) | instid1(VALU_DEP_1)
	v_cvt_i32_f32_e32 v3, v3
	v_cndmask_b32_e32 v2, 0, v3, vcc_lo
	s_branch .LBB440_142
.LBB440_32:
	s_mov_b32 s16, -1
	s_mov_b32 s0, 0
	s_mov_b32 s11, 0
.LBB440_33:
	s_and_b32 vcc_lo, exec_lo, s16
	s_cbranch_vccz .LBB440_38
; %bb.34:
	v_cmp_eq_u16_e32 vcc_lo, 44, v6
	s_mov_b32 s0, -1
	s_cbranch_vccz .LBB440_38
; %bb.35:
	v_cvt_f32_i32_e32 v1, v0
	v_mov_b32_e32 v7, 0xff
	s_mov_b32 s11, exec_lo
	s_delay_alu instid0(VALU_DEP_2) | instskip(NEXT) | instid1(VALU_DEP_1)
	v_bfe_u32 v8, v1, 23, 8
	v_cmpx_ne_u32_e32 0xff, v8
; %bb.36:
	v_and_b32_e32 v7, 0x400000, v1
	v_and_or_b32 v8, 0x3fffff, v1, v8
	v_lshrrev_b32_e32 v1, 23, v1
	s_delay_alu instid0(VALU_DEP_3) | instskip(NEXT) | instid1(VALU_DEP_3)
	v_cmp_ne_u32_e32 vcc_lo, 0, v7
	v_cmp_ne_u32_e64 s0, 0, v8
	s_delay_alu instid0(VALU_DEP_1) | instskip(NEXT) | instid1(SALU_CYCLE_1)
	s_and_b32 s0, vcc_lo, s0
	v_cndmask_b32_e64 v7, 0, 1, s0
	s_delay_alu instid0(VALU_DEP_1)
	v_add_nc_u32_e32 v7, v1, v7
; %bb.37:
	s_or_b32 exec_lo, exec_lo, s11
	s_mov_b32 s11, -1
	s_mov_b32 s0, 0
	global_store_b8 v[2:3], v7, off
.LBB440_38:
	s_mov_b32 s16, 0
.LBB440_39:
	s_delay_alu instid0(SALU_CYCLE_1)
	s_and_b32 vcc_lo, exec_lo, s16
	s_cbranch_vccz .LBB440_42
; %bb.40:
	v_cmp_eq_u16_e32 vcc_lo, 29, v6
	s_mov_b32 s0, -1
	s_cbranch_vccz .LBB440_42
; %bb.41:
	v_ashrrev_i32_e32 v1, 31, v0
	s_mov_b32 s11, -1
	s_mov_b32 s0, 0
	s_mov_b32 s16, 0
	global_store_b64 v[2:3], v[0:1], off
	s_branch .LBB440_43
.LBB440_42:
	s_mov_b32 s16, 0
.LBB440_43:
	s_delay_alu instid0(SALU_CYCLE_1)
	s_and_b32 vcc_lo, exec_lo, s16
	s_cbranch_vccz .LBB440_59
; %bb.44:
	v_cmp_gt_i16_e32 vcc_lo, 27, v6
	s_mov_b32 s11, -1
	s_cbranch_vccnz .LBB440_50
; %bb.45:
	v_cmp_lt_i16_e32 vcc_lo, 27, v6
	s_cbranch_vccz .LBB440_47
; %bb.46:
	s_mov_b32 s11, 0
	global_store_b32 v[2:3], v0, off
.LBB440_47:
	s_and_not1_b32 vcc_lo, exec_lo, s11
	s_cbranch_vccnz .LBB440_49
; %bb.48:
	global_store_b16 v[2:3], v0, off
.LBB440_49:
	s_mov_b32 s11, 0
.LBB440_50:
	s_delay_alu instid0(SALU_CYCLE_1)
	s_and_not1_b32 vcc_lo, exec_lo, s11
	s_cbranch_vccnz .LBB440_58
; %bb.51:
	v_cvt_f32_i32_e32 v1, v0
	v_mov_b32_e32 v8, 0x80
	s_mov_b32 s11, exec_lo
	s_delay_alu instid0(VALU_DEP_2) | instskip(NEXT) | instid1(VALU_DEP_1)
	v_and_b32_e32 v7, 0x7fffffff, v1
	v_cmpx_gt_u32_e32 0x43800000, v7
	s_cbranch_execz .LBB440_57
; %bb.52:
	v_cmp_lt_u32_e32 vcc_lo, 0x3bffffff, v7
	s_mov_b32 s16, 0
                                        ; implicit-def: $vgpr7
	s_and_saveexec_b32 s17, vcc_lo
	s_delay_alu instid0(SALU_CYCLE_1)
	s_xor_b32 s17, exec_lo, s17
	s_cbranch_execz .LBB440_272
; %bb.53:
	v_bfe_u32 v7, v1, 20, 1
	s_mov_b32 s16, exec_lo
	s_delay_alu instid0(VALU_DEP_1) | instskip(NEXT) | instid1(VALU_DEP_1)
	v_add3_u32 v7, v1, v7, 0x487ffff
	v_lshrrev_b32_e32 v7, 20, v7
	s_or_saveexec_b32 s17, s17
                                        ; implicit-def: $sgpr18
	s_delay_alu instid0(SALU_CYCLE_1)
	s_xor_b32 exec_lo, exec_lo, s17
	s_cbranch_execnz .LBB440_273
.LBB440_54:
	s_or_b32 exec_lo, exec_lo, s17
	v_mov_b32_e32 v8, s18
	s_and_saveexec_b32 s17, s16
.LBB440_55:
	v_lshrrev_b32_e32 v1, 24, v1
	s_delay_alu instid0(VALU_DEP_1)
	v_and_or_b32 v8, 0x80, v1, v7
.LBB440_56:
	s_or_b32 exec_lo, exec_lo, s17
.LBB440_57:
	s_delay_alu instid0(SALU_CYCLE_1)
	s_or_b32 exec_lo, exec_lo, s11
	global_store_b8 v[2:3], v8, off
.LBB440_58:
	s_mov_b32 s11, -1
.LBB440_59:
	s_mov_b32 s16, 0
.LBB440_60:
	s_delay_alu instid0(SALU_CYCLE_1)
	s_and_b32 vcc_lo, exec_lo, s16
	s_cbranch_vccz .LBB440_101
; %bb.61:
	v_cmp_lt_i16_e32 vcc_lo, 22, v6
	s_mov_b32 s16, -1
	s_cbranch_vccz .LBB440_93
; %bb.62:
	v_cmp_gt_i16_e32 vcc_lo, 24, v6
	s_mov_b32 s11, -1
	s_cbranch_vccnz .LBB440_82
; %bb.63:
	v_cmp_lt_i16_e32 vcc_lo, 24, v6
	s_cbranch_vccz .LBB440_71
; %bb.64:
	v_cvt_f32_i32_e32 v1, v0
	v_mov_b32_e32 v8, 0x80
	s_mov_b32 s11, exec_lo
	s_delay_alu instid0(VALU_DEP_2) | instskip(NEXT) | instid1(VALU_DEP_1)
	v_and_b32_e32 v7, 0x7fffffff, v1
	v_cmpx_gt_u32_e32 0x47800000, v7
	s_cbranch_execz .LBB440_70
; %bb.65:
	v_cmp_lt_u32_e32 vcc_lo, 0x37ffffff, v7
	s_mov_b32 s16, 0
                                        ; implicit-def: $vgpr7
	s_and_saveexec_b32 s17, vcc_lo
	s_delay_alu instid0(SALU_CYCLE_1)
	s_xor_b32 s17, exec_lo, s17
	s_cbranch_execz .LBB440_276
; %bb.66:
	v_bfe_u32 v7, v1, 21, 1
	s_mov_b32 s16, exec_lo
	s_delay_alu instid0(VALU_DEP_1) | instskip(NEXT) | instid1(VALU_DEP_1)
	v_add3_u32 v7, v1, v7, 0x88fffff
	v_lshrrev_b32_e32 v7, 21, v7
	s_or_saveexec_b32 s17, s17
                                        ; implicit-def: $sgpr18
	s_delay_alu instid0(SALU_CYCLE_1)
	s_xor_b32 exec_lo, exec_lo, s17
	s_cbranch_execnz .LBB440_277
.LBB440_67:
	s_or_b32 exec_lo, exec_lo, s17
	v_mov_b32_e32 v8, s18
	s_and_saveexec_b32 s17, s16
.LBB440_68:
	v_lshrrev_b32_e32 v1, 24, v1
	s_delay_alu instid0(VALU_DEP_1)
	v_and_or_b32 v8, 0x80, v1, v7
.LBB440_69:
	s_or_b32 exec_lo, exec_lo, s17
.LBB440_70:
	s_delay_alu instid0(SALU_CYCLE_1)
	s_or_b32 exec_lo, exec_lo, s11
	s_mov_b32 s11, 0
	global_store_b8 v[2:3], v8, off
.LBB440_71:
	s_and_b32 vcc_lo, exec_lo, s11
	s_cbranch_vccz .LBB440_81
; %bb.72:
	v_cvt_f32_i32_e32 v1, v0
	s_mov_b32 s11, exec_lo
                                        ; implicit-def: $vgpr7
	s_delay_alu instid0(VALU_DEP_1) | instskip(NEXT) | instid1(VALU_DEP_1)
	v_and_b32_e32 v8, 0x7fffffff, v1
	v_cmpx_gt_u32_e32 0x43f00000, v8
	s_xor_b32 s11, exec_lo, s11
	s_cbranch_execz .LBB440_78
; %bb.73:
	s_mov_b32 s16, exec_lo
                                        ; implicit-def: $vgpr7
	v_cmpx_lt_u32_e32 0x3c7fffff, v8
	s_xor_b32 s16, exec_lo, s16
; %bb.74:
	v_bfe_u32 v7, v1, 20, 1
	s_delay_alu instid0(VALU_DEP_1) | instskip(NEXT) | instid1(VALU_DEP_1)
	v_add3_u32 v7, v1, v7, 0x407ffff
	v_and_b32_e32 v8, 0xff00000, v7
	v_lshrrev_b32_e32 v7, 20, v7
	s_delay_alu instid0(VALU_DEP_2) | instskip(NEXT) | instid1(VALU_DEP_2)
	v_cmp_ne_u32_e32 vcc_lo, 0x7f00000, v8
	v_cndmask_b32_e32 v7, 0x7e, v7, vcc_lo
; %bb.75:
	s_and_not1_saveexec_b32 s16, s16
; %bb.76:
	v_add_f32_e64 v7, 0x46800000, |v1|
; %bb.77:
	s_or_b32 exec_lo, exec_lo, s16
                                        ; implicit-def: $vgpr8
.LBB440_78:
	s_and_not1_saveexec_b32 s11, s11
; %bb.79:
	v_mov_b32_e32 v7, 0x7f
	v_cmp_lt_u32_e32 vcc_lo, 0x7f800000, v8
	s_delay_alu instid0(VALU_DEP_2)
	v_cndmask_b32_e32 v7, 0x7e, v7, vcc_lo
; %bb.80:
	s_or_b32 exec_lo, exec_lo, s11
	v_lshrrev_b32_e32 v1, 24, v1
	s_delay_alu instid0(VALU_DEP_1)
	v_and_or_b32 v1, 0x80, v1, v7
	global_store_b8 v[2:3], v1, off
.LBB440_81:
	s_mov_b32 s11, 0
.LBB440_82:
	s_delay_alu instid0(SALU_CYCLE_1)
	s_and_not1_b32 vcc_lo, exec_lo, s11
	s_cbranch_vccnz .LBB440_92
; %bb.83:
	v_cvt_f32_i32_e32 v1, v0
	s_mov_b32 s11, exec_lo
                                        ; implicit-def: $vgpr7
	s_delay_alu instid0(VALU_DEP_1) | instskip(NEXT) | instid1(VALU_DEP_1)
	v_and_b32_e32 v8, 0x7fffffff, v1
	v_cmpx_gt_u32_e32 0x47800000, v8
	s_xor_b32 s11, exec_lo, s11
	s_cbranch_execz .LBB440_89
; %bb.84:
	s_mov_b32 s16, exec_lo
                                        ; implicit-def: $vgpr7
	v_cmpx_lt_u32_e32 0x387fffff, v8
	s_xor_b32 s16, exec_lo, s16
; %bb.85:
	v_bfe_u32 v7, v1, 21, 1
	s_delay_alu instid0(VALU_DEP_1) | instskip(NEXT) | instid1(VALU_DEP_1)
	v_add3_u32 v7, v1, v7, 0x80fffff
	v_lshrrev_b32_e32 v7, 21, v7
; %bb.86:
	s_and_not1_saveexec_b32 s16, s16
; %bb.87:
	v_add_f32_e64 v7, 0x43000000, |v1|
; %bb.88:
	s_or_b32 exec_lo, exec_lo, s16
                                        ; implicit-def: $vgpr8
.LBB440_89:
	s_and_not1_saveexec_b32 s11, s11
; %bb.90:
	v_mov_b32_e32 v7, 0x7f
	v_cmp_lt_u32_e32 vcc_lo, 0x7f800000, v8
	s_delay_alu instid0(VALU_DEP_2)
	v_cndmask_b32_e32 v7, 0x7c, v7, vcc_lo
; %bb.91:
	s_or_b32 exec_lo, exec_lo, s11
	v_lshrrev_b32_e32 v1, 24, v1
	s_delay_alu instid0(VALU_DEP_1)
	v_and_or_b32 v1, 0x80, v1, v7
	global_store_b8 v[2:3], v1, off
.LBB440_92:
	s_mov_b32 s16, 0
	s_mov_b32 s11, -1
.LBB440_93:
	s_and_not1_b32 vcc_lo, exec_lo, s16
	s_cbranch_vccnz .LBB440_101
; %bb.94:
	v_cmp_lt_i16_e32 vcc_lo, 14, v6
	s_mov_b32 s16, -1
	s_cbranch_vccz .LBB440_98
; %bb.95:
	v_cmp_eq_u16_e32 vcc_lo, 15, v6
	s_mov_b32 s0, -1
	s_cbranch_vccz .LBB440_97
; %bb.96:
	v_cvt_f32_i32_e32 v1, v0
	s_mov_b32 s11, -1
	s_mov_b32 s0, 0
	s_delay_alu instid0(VALU_DEP_1) | instskip(NEXT) | instid1(VALU_DEP_1)
	v_bfe_u32 v7, v1, 16, 1
	v_add3_u32 v1, v1, v7, 0x7fff
	global_store_d16_hi_b16 v[2:3], v1, off
.LBB440_97:
	s_mov_b32 s16, 0
.LBB440_98:
	s_delay_alu instid0(SALU_CYCLE_1)
	s_and_b32 vcc_lo, exec_lo, s16
	s_cbranch_vccz .LBB440_101
; %bb.99:
	v_cmp_eq_u16_e32 vcc_lo, 11, v6
	s_mov_b32 s0, -1
	s_cbranch_vccz .LBB440_101
; %bb.100:
	v_cmp_ne_u32_e32 vcc_lo, 0, v0
	s_mov_b32 s0, 0
	s_mov_b32 s11, -1
	v_cndmask_b32_e64 v1, 0, 1, vcc_lo
	global_store_b8 v[2:3], v1, off
.LBB440_101:
	s_branch .LBB440_20
.LBB440_102:
	v_cmp_gt_i16_e32 vcc_lo, 5, v6
	s_mov_b32 s11, -1
	s_cbranch_vccnz .LBB440_123
; %bb.103:
	v_cmp_gt_i16_e32 vcc_lo, 8, v6
	s_cbranch_vccnz .LBB440_113
; %bb.104:
	v_cmp_gt_i16_e32 vcc_lo, 9, v6
	s_cbranch_vccnz .LBB440_110
; %bb.105:
	v_cmp_lt_i16_e32 vcc_lo, 9, v6
	s_cbranch_vccz .LBB440_107
; %bb.106:
	v_cvt_f64_i32_e32 v[7:8], v0
	v_mov_b32_e32 v9, 0
	s_mov_b32 s11, 0
	s_delay_alu instid0(VALU_DEP_1)
	v_mov_b32_e32 v10, v9
	global_store_b128 v[2:3], v[7:10], off
.LBB440_107:
	s_and_not1_b32 vcc_lo, exec_lo, s11
	s_cbranch_vccnz .LBB440_109
; %bb.108:
	v_cvt_f32_i32_e32 v7, v0
	v_mov_b32_e32 v8, 0
	global_store_b64 v[2:3], v[7:8], off
.LBB440_109:
	s_mov_b32 s11, 0
.LBB440_110:
	s_delay_alu instid0(SALU_CYCLE_1)
	s_and_not1_b32 vcc_lo, exec_lo, s11
	s_cbranch_vccnz .LBB440_112
; %bb.111:
	v_cvt_f32_i32_e32 v1, v0
	s_delay_alu instid0(VALU_DEP_1) | instskip(NEXT) | instid1(VALU_DEP_1)
	v_cvt_f16_f32_e32 v1, v1
	v_and_b32_e32 v1, 0xffff, v1
	global_store_b32 v[2:3], v1, off
.LBB440_112:
	s_mov_b32 s11, 0
.LBB440_113:
	s_delay_alu instid0(SALU_CYCLE_1)
	s_and_not1_b32 vcc_lo, exec_lo, s11
	s_cbranch_vccnz .LBB440_122
; %bb.114:
	v_cmp_gt_i16_e32 vcc_lo, 6, v6
	s_mov_b32 s11, -1
	s_cbranch_vccnz .LBB440_120
; %bb.115:
	v_cmp_lt_i16_e32 vcc_lo, 6, v6
	s_cbranch_vccz .LBB440_117
; %bb.116:
	v_cvt_f64_i32_e32 v[7:8], v0
	s_mov_b32 s11, 0
	global_store_b64 v[2:3], v[7:8], off
.LBB440_117:
	s_and_not1_b32 vcc_lo, exec_lo, s11
	s_cbranch_vccnz .LBB440_119
; %bb.118:
	v_cvt_f32_i32_e32 v1, v0
	global_store_b32 v[2:3], v1, off
.LBB440_119:
	s_mov_b32 s11, 0
.LBB440_120:
	s_delay_alu instid0(SALU_CYCLE_1)
	s_and_not1_b32 vcc_lo, exec_lo, s11
	s_cbranch_vccnz .LBB440_122
; %bb.121:
	v_cvt_f32_i32_e32 v1, v0
	s_delay_alu instid0(VALU_DEP_1)
	v_cvt_f16_f32_e32 v1, v1
	global_store_b16 v[2:3], v1, off
.LBB440_122:
	s_mov_b32 s11, 0
.LBB440_123:
	s_delay_alu instid0(SALU_CYCLE_1)
	s_and_not1_b32 vcc_lo, exec_lo, s11
	s_cbranch_vccnz .LBB440_139
; %bb.124:
	v_cmp_gt_i16_e32 vcc_lo, 2, v6
	s_mov_b32 s11, -1
	s_cbranch_vccnz .LBB440_134
; %bb.125:
	v_cmp_gt_i16_e32 vcc_lo, 3, v6
	s_cbranch_vccnz .LBB440_131
; %bb.126:
	v_cmp_lt_i16_e32 vcc_lo, 3, v6
	s_cbranch_vccz .LBB440_128
; %bb.127:
	v_ashrrev_i32_e32 v1, 31, v0
	s_mov_b32 s11, 0
	global_store_b64 v[2:3], v[0:1], off
.LBB440_128:
	s_and_not1_b32 vcc_lo, exec_lo, s11
	s_cbranch_vccnz .LBB440_130
; %bb.129:
	global_store_b32 v[2:3], v0, off
.LBB440_130:
	s_mov_b32 s11, 0
.LBB440_131:
	s_delay_alu instid0(SALU_CYCLE_1)
	s_and_not1_b32 vcc_lo, exec_lo, s11
	s_cbranch_vccnz .LBB440_133
; %bb.132:
	global_store_b16 v[2:3], v0, off
.LBB440_133:
	s_mov_b32 s11, 0
.LBB440_134:
	s_delay_alu instid0(SALU_CYCLE_1)
	s_and_not1_b32 vcc_lo, exec_lo, s11
	s_cbranch_vccnz .LBB440_139
; %bb.135:
	v_cmp_lt_i16_e32 vcc_lo, 0, v6
	s_mov_b32 s11, -1
	s_cbranch_vccz .LBB440_137
; %bb.136:
	s_mov_b32 s11, 0
	global_store_b8 v[2:3], v0, off
.LBB440_137:
	s_and_not1_b32 vcc_lo, exec_lo, s11
	s_cbranch_vccnz .LBB440_139
; %bb.138:
	global_store_b8 v[2:3], v0, off
.LBB440_139:
	s_mov_b32 s11, -1
.LBB440_140:
	v_add_nc_u32_e32 v4, 0x80, v4
	s_mov_b32 s16, -1
	s_branch .LBB440_247
.LBB440_141:
	s_mov_b32 s13, -1
                                        ; implicit-def: $vgpr2
.LBB440_142:
	s_mov_b32 s11, 0
.LBB440_143:
	s_delay_alu instid0(SALU_CYCLE_1)
	s_and_b32 vcc_lo, exec_lo, s11
	s_cbranch_vccz .LBB440_147
; %bb.144:
	v_cmp_eq_u16_e32 vcc_lo, 29, v5
	s_cbranch_vccz .LBB440_146
; %bb.145:
	global_load_b32 v2, v[0:1], off
	s_mov_b32 s0, -1
	s_mov_b32 s13, 0
	s_branch .LBB440_147
.LBB440_146:
	s_mov_b32 s13, -1
                                        ; implicit-def: $vgpr2
.LBB440_147:
	s_mov_b32 s11, 0
.LBB440_148:
	s_delay_alu instid0(SALU_CYCLE_1)
	s_and_b32 vcc_lo, exec_lo, s11
	s_cbranch_vccz .LBB440_164
; %bb.149:
	v_cmp_gt_i16_e32 vcc_lo, 27, v5
	s_cbranch_vccnz .LBB440_152
; %bb.150:
	v_cmp_lt_i16_e32 vcc_lo, 27, v5
	s_cbranch_vccz .LBB440_153
; %bb.151:
	global_load_b32 v2, v[0:1], off
	s_mov_b32 s0, 0
	s_branch .LBB440_154
.LBB440_152:
	s_mov_b32 s0, -1
                                        ; implicit-def: $vgpr2
	s_branch .LBB440_157
.LBB440_153:
	s_mov_b32 s0, -1
                                        ; implicit-def: $vgpr2
.LBB440_154:
	s_delay_alu instid0(SALU_CYCLE_1)
	s_and_not1_b32 vcc_lo, exec_lo, s0
	s_cbranch_vccnz .LBB440_156
; %bb.155:
	global_load_u16 v2, v[0:1], off
.LBB440_156:
	s_mov_b32 s0, 0
.LBB440_157:
	s_delay_alu instid0(SALU_CYCLE_1)
	s_and_not1_b32 vcc_lo, exec_lo, s0
	s_cbranch_vccnz .LBB440_163
; %bb.158:
	global_load_u8 v3, v[0:1], off
	s_mov_b32 s0, 0
	s_mov_b32 s11, exec_lo
                                        ; implicit-def: $sgpr16
	s_waitcnt vmcnt(0)
	v_cmpx_lt_i16_e32 0x7f, v3
	s_xor_b32 s11, exec_lo, s11
	s_cbranch_execz .LBB440_174
; %bb.159:
	v_cmp_ne_u16_e32 vcc_lo, 0x80, v3
	s_mov_b32 s16, 0
	s_and_b32 s0, vcc_lo, exec_lo
	s_or_saveexec_b32 s11, s11
	v_mov_b32_e32 v2, s16
	s_xor_b32 exec_lo, exec_lo, s11
	s_cbranch_execnz .LBB440_175
.LBB440_160:
	s_or_b32 exec_lo, exec_lo, s11
	s_and_saveexec_b32 s11, s0
	s_cbranch_execz .LBB440_162
.LBB440_161:
	v_and_b32_e32 v2, 0xffff, v3
	s_delay_alu instid0(VALU_DEP_1) | instskip(NEXT) | instid1(VALU_DEP_1)
	v_and_b32_e32 v6, 7, v2
	v_clz_i32_u32_e32 v7, v6
	s_delay_alu instid0(VALU_DEP_1) | instskip(NEXT) | instid1(VALU_DEP_1)
	v_min_u32_e32 v7, 32, v7
	v_subrev_nc_u32_e32 v8, 28, v7
	v_sub_nc_u32_e32 v7, 29, v7
	s_delay_alu instid0(VALU_DEP_2) | instskip(SKIP_1) | instid1(VALU_DEP_2)
	v_lshlrev_b32_e32 v8, v8, v2
	v_bfe_u32 v2, v2, 3, 4
	v_and_b32_e32 v8, 7, v8
	s_delay_alu instid0(VALU_DEP_2) | instskip(NEXT) | instid1(VALU_DEP_2)
	v_cmp_eq_u32_e32 vcc_lo, 0, v2
	v_dual_cndmask_b32 v6, v6, v8 :: v_dual_lshlrev_b32 v3, 24, v3
	v_cndmask_b32_e32 v2, v2, v7, vcc_lo
	s_delay_alu instid0(VALU_DEP_2) | instskip(NEXT) | instid1(VALU_DEP_3)
	v_and_b32_e32 v3, 0x80000000, v3
	v_lshlrev_b32_e32 v6, 20, v6
	s_delay_alu instid0(VALU_DEP_3) | instskip(NEXT) | instid1(VALU_DEP_1)
	v_lshl_add_u32 v2, v2, 23, 0x3b800000
	v_or3_b32 v2, v3, v2, v6
	s_delay_alu instid0(VALU_DEP_1)
	v_cvt_i32_f32_e32 v2, v2
.LBB440_162:
	s_or_b32 exec_lo, exec_lo, s11
.LBB440_163:
	s_mov_b32 s0, -1
.LBB440_164:
	s_branch .LBB440_197
.LBB440_165:
	v_cmp_lt_i16_e32 vcc_lo, 22, v5
	s_cbranch_vccz .LBB440_173
; %bb.166:
	v_cmp_gt_i16_e32 vcc_lo, 24, v5
	s_cbranch_vccnz .LBB440_176
; %bb.167:
	v_cmp_lt_i16_e32 vcc_lo, 24, v5
	s_cbranch_vccz .LBB440_177
; %bb.168:
	global_load_u8 v3, v[0:1], off
	s_mov_b32 s0, 0
	s_mov_b32 s11, exec_lo
                                        ; implicit-def: $sgpr16
	s_waitcnt vmcnt(0)
	v_cmpx_lt_i16_e32 0x7f, v3
	s_xor_b32 s11, exec_lo, s11
	s_cbranch_execz .LBB440_189
; %bb.169:
	v_cmp_ne_u16_e32 vcc_lo, 0x80, v3
	s_mov_b32 s16, 0
	s_and_b32 s0, vcc_lo, exec_lo
	s_or_saveexec_b32 s11, s11
	v_mov_b32_e32 v2, s16
	s_xor_b32 exec_lo, exec_lo, s11
	s_cbranch_execnz .LBB440_190
.LBB440_170:
	s_or_b32 exec_lo, exec_lo, s11
	s_and_saveexec_b32 s11, s0
	s_cbranch_execz .LBB440_172
.LBB440_171:
	v_and_b32_e32 v2, 0xffff, v3
	s_delay_alu instid0(VALU_DEP_1) | instskip(NEXT) | instid1(VALU_DEP_1)
	v_and_b32_e32 v6, 3, v2
	v_clz_i32_u32_e32 v7, v6
	s_delay_alu instid0(VALU_DEP_1) | instskip(NEXT) | instid1(VALU_DEP_1)
	v_min_u32_e32 v7, 32, v7
	v_subrev_nc_u32_e32 v8, 29, v7
	v_sub_nc_u32_e32 v7, 30, v7
	s_delay_alu instid0(VALU_DEP_2) | instskip(SKIP_1) | instid1(VALU_DEP_2)
	v_lshlrev_b32_e32 v8, v8, v2
	v_bfe_u32 v2, v2, 2, 5
	v_and_b32_e32 v8, 3, v8
	s_delay_alu instid0(VALU_DEP_2) | instskip(NEXT) | instid1(VALU_DEP_2)
	v_cmp_eq_u32_e32 vcc_lo, 0, v2
	v_dual_cndmask_b32 v6, v6, v8 :: v_dual_lshlrev_b32 v3, 24, v3
	v_cndmask_b32_e32 v2, v2, v7, vcc_lo
	s_delay_alu instid0(VALU_DEP_2) | instskip(NEXT) | instid1(VALU_DEP_3)
	v_and_b32_e32 v3, 0x80000000, v3
	v_lshlrev_b32_e32 v6, 21, v6
	s_delay_alu instid0(VALU_DEP_3) | instskip(NEXT) | instid1(VALU_DEP_1)
	v_lshl_add_u32 v2, v2, 23, 0x37800000
	v_or3_b32 v2, v3, v2, v6
	s_delay_alu instid0(VALU_DEP_1)
	v_cvt_i32_f32_e32 v2, v2
.LBB440_172:
	s_or_b32 exec_lo, exec_lo, s11
	s_mov_b32 s0, 0
	s_branch .LBB440_178
.LBB440_173:
	s_mov_b32 s11, -1
                                        ; implicit-def: $vgpr2
	s_branch .LBB440_184
.LBB440_174:
	s_or_saveexec_b32 s11, s11
	v_mov_b32_e32 v2, s16
	s_xor_b32 exec_lo, exec_lo, s11
	s_cbranch_execz .LBB440_160
.LBB440_175:
	v_cmp_ne_u16_e32 vcc_lo, 0, v3
	v_mov_b32_e32 v2, 0
	s_and_not1_b32 s0, s0, exec_lo
	s_and_b32 s16, vcc_lo, exec_lo
	s_delay_alu instid0(SALU_CYCLE_1)
	s_or_b32 s0, s0, s16
	s_or_b32 exec_lo, exec_lo, s11
	s_and_saveexec_b32 s11, s0
	s_cbranch_execnz .LBB440_161
	s_branch .LBB440_162
.LBB440_176:
	s_mov_b32 s0, -1
                                        ; implicit-def: $vgpr2
	s_branch .LBB440_181
.LBB440_177:
	s_mov_b32 s0, -1
                                        ; implicit-def: $vgpr2
.LBB440_178:
	s_delay_alu instid0(SALU_CYCLE_1)
	s_and_b32 vcc_lo, exec_lo, s0
	s_cbranch_vccz .LBB440_180
; %bb.179:
	global_load_u8 v2, v[0:1], off
	s_waitcnt vmcnt(0)
	v_lshlrev_b32_e32 v2, 24, v2
	s_delay_alu instid0(VALU_DEP_1) | instskip(NEXT) | instid1(VALU_DEP_1)
	v_and_b32_e32 v3, 0x7f000000, v2
	v_clz_i32_u32_e32 v6, v3
	v_cmp_ne_u32_e32 vcc_lo, 0, v3
	v_add_nc_u32_e32 v8, 0x1000000, v3
	s_delay_alu instid0(VALU_DEP_3) | instskip(NEXT) | instid1(VALU_DEP_1)
	v_min_u32_e32 v6, 32, v6
	v_sub_nc_u32_e64 v6, v6, 4 clamp
	s_delay_alu instid0(VALU_DEP_1) | instskip(SKIP_1) | instid1(VALU_DEP_2)
	v_lshlrev_b32_e32 v7, v6, v3
	v_lshlrev_b32_e32 v6, 23, v6
	v_lshrrev_b32_e32 v7, 4, v7
	s_delay_alu instid0(VALU_DEP_1) | instskip(SKIP_1) | instid1(VALU_DEP_2)
	v_sub_nc_u32_e32 v6, v7, v6
	v_ashrrev_i32_e32 v7, 8, v8
	v_add_nc_u32_e32 v6, 0x3c000000, v6
	s_delay_alu instid0(VALU_DEP_1) | instskip(NEXT) | instid1(VALU_DEP_1)
	v_and_or_b32 v6, 0x7f800000, v7, v6
	v_cndmask_b32_e32 v3, 0, v6, vcc_lo
	s_delay_alu instid0(VALU_DEP_1) | instskip(NEXT) | instid1(VALU_DEP_1)
	v_and_or_b32 v2, 0x80000000, v2, v3
	v_cvt_i32_f32_e32 v2, v2
.LBB440_180:
	s_mov_b32 s0, 0
.LBB440_181:
	s_delay_alu instid0(SALU_CYCLE_1)
	s_and_not1_b32 vcc_lo, exec_lo, s0
	s_cbranch_vccnz .LBB440_183
; %bb.182:
	global_load_u8 v2, v[0:1], off
	s_waitcnt vmcnt(0)
	v_lshlrev_b32_e32 v3, 25, v2
	v_lshlrev_b16 v2, 8, v2
	s_delay_alu instid0(VALU_DEP_2) | instskip(NEXT) | instid1(VALU_DEP_2)
	v_lshrrev_b32_e32 v6, 4, v3
	v_and_or_b32 v7, 0x7f00, v2, 0.5
	v_cmp_gt_u32_e32 vcc_lo, 0x8000000, v3
	v_bfe_i32 v2, v2, 0, 16
	s_delay_alu instid0(VALU_DEP_4) | instskip(NEXT) | instid1(VALU_DEP_1)
	v_or_b32_e32 v6, 0x70000000, v6
	v_dual_add_f32 v7, -0.5, v7 :: v_dual_mul_f32 v6, 0x7800000, v6
	s_delay_alu instid0(VALU_DEP_1) | instskip(NEXT) | instid1(VALU_DEP_1)
	v_cndmask_b32_e32 v3, v6, v7, vcc_lo
	v_and_or_b32 v2, 0x80000000, v2, v3
	s_delay_alu instid0(VALU_DEP_1)
	v_cvt_i32_f32_e32 v2, v2
.LBB440_183:
	s_mov_b32 s11, 0
	s_mov_b32 s0, -1
.LBB440_184:
	s_and_not1_b32 vcc_lo, exec_lo, s11
	s_cbranch_vccnz .LBB440_197
; %bb.185:
	v_cmp_lt_i16_e32 vcc_lo, 14, v5
	s_cbranch_vccz .LBB440_188
; %bb.186:
	v_cmp_eq_u16_e32 vcc_lo, 15, v5
	s_cbranch_vccz .LBB440_191
; %bb.187:
	global_load_u16 v2, v[0:1], off
	s_mov_b32 s0, -1
	s_mov_b32 s13, 0
	s_waitcnt vmcnt(0)
	v_lshlrev_b32_e32 v2, 16, v2
	s_delay_alu instid0(VALU_DEP_1)
	v_cvt_i32_f32_e32 v2, v2
	s_branch .LBB440_192
.LBB440_188:
	s_mov_b32 s11, -1
                                        ; implicit-def: $vgpr2
	s_branch .LBB440_193
.LBB440_189:
	s_or_saveexec_b32 s11, s11
	v_mov_b32_e32 v2, s16
	s_xor_b32 exec_lo, exec_lo, s11
	s_cbranch_execz .LBB440_170
.LBB440_190:
	v_cmp_ne_u16_e32 vcc_lo, 0, v3
	v_mov_b32_e32 v2, 0
	s_and_not1_b32 s0, s0, exec_lo
	s_and_b32 s16, vcc_lo, exec_lo
	s_delay_alu instid0(SALU_CYCLE_1)
	s_or_b32 s0, s0, s16
	s_or_b32 exec_lo, exec_lo, s11
	s_and_saveexec_b32 s11, s0
	s_cbranch_execnz .LBB440_171
	s_branch .LBB440_172
.LBB440_191:
	s_mov_b32 s13, -1
                                        ; implicit-def: $vgpr2
.LBB440_192:
	s_mov_b32 s11, 0
.LBB440_193:
	s_delay_alu instid0(SALU_CYCLE_1)
	s_and_b32 vcc_lo, exec_lo, s11
	s_cbranch_vccz .LBB440_197
; %bb.194:
	v_cmp_eq_u16_e32 vcc_lo, 11, v5
	s_cbranch_vccz .LBB440_196
; %bb.195:
	global_load_u8 v2, v[0:1], off
	s_mov_b32 s13, 0
	s_mov_b32 s0, -1
	s_waitcnt vmcnt(0)
	v_cmp_ne_u16_e32 vcc_lo, 0, v2
	v_cndmask_b32_e64 v2, 0, 1, vcc_lo
	s_branch .LBB440_197
.LBB440_196:
	s_mov_b32 s13, -1
                                        ; implicit-def: $vgpr2
.LBB440_197:
	s_branch .LBB440_10
.LBB440_198:
	v_cmp_gt_i16_e32 vcc_lo, 5, v5
	s_cbranch_vccnz .LBB440_203
; %bb.199:
	v_cmp_gt_i16_e32 vcc_lo, 8, v5
	s_cbranch_vccnz .LBB440_204
; %bb.200:
	v_cmp_gt_i16_e32 vcc_lo, 9, v5
	s_cbranch_vccnz .LBB440_205
; %bb.201:
	v_cmp_lt_i16_e32 vcc_lo, 9, v5
	s_cbranch_vccz .LBB440_206
; %bb.202:
	global_load_b64 v[2:3], v[0:1], off
	s_mov_b32 s0, 0
	s_waitcnt vmcnt(0)
	v_cvt_i32_f64_e32 v2, v[2:3]
	s_branch .LBB440_207
.LBB440_203:
                                        ; implicit-def: $vgpr2
	s_branch .LBB440_225
.LBB440_204:
	s_mov_b32 s0, -1
                                        ; implicit-def: $vgpr2
	s_branch .LBB440_213
.LBB440_205:
	s_mov_b32 s0, -1
                                        ; implicit-def: $vgpr2
	s_branch .LBB440_210
.LBB440_206:
	s_mov_b32 s0, -1
                                        ; implicit-def: $vgpr2
.LBB440_207:
	s_delay_alu instid0(SALU_CYCLE_1)
	s_and_not1_b32 vcc_lo, exec_lo, s0
	s_cbranch_vccnz .LBB440_209
; %bb.208:
	global_load_b32 v2, v[0:1], off
	s_waitcnt vmcnt(0)
	v_cvt_i32_f32_e32 v2, v2
.LBB440_209:
	s_mov_b32 s0, 0
.LBB440_210:
	s_delay_alu instid0(SALU_CYCLE_1)
	s_and_not1_b32 vcc_lo, exec_lo, s0
	s_cbranch_vccnz .LBB440_212
; %bb.211:
	global_load_b32 v2, v[0:1], off
	s_waitcnt vmcnt(0)
	v_cvt_f32_f16_e32 v2, v2
	s_delay_alu instid0(VALU_DEP_1)
	v_cvt_i32_f32_e32 v2, v2
.LBB440_212:
	s_mov_b32 s0, 0
.LBB440_213:
	s_delay_alu instid0(SALU_CYCLE_1)
	s_and_not1_b32 vcc_lo, exec_lo, s0
	s_cbranch_vccnz .LBB440_224
; %bb.214:
	v_cmp_gt_i16_e32 vcc_lo, 6, v5
	s_cbranch_vccnz .LBB440_217
; %bb.215:
	v_cmp_lt_i16_e32 vcc_lo, 6, v5
	s_cbranch_vccz .LBB440_218
; %bb.216:
	global_load_b64 v[2:3], v[0:1], off
	s_mov_b32 s0, 0
	s_waitcnt vmcnt(0)
	v_cvt_i32_f64_e32 v2, v[2:3]
	s_branch .LBB440_219
.LBB440_217:
	s_mov_b32 s0, -1
                                        ; implicit-def: $vgpr2
	s_branch .LBB440_222
.LBB440_218:
	s_mov_b32 s0, -1
                                        ; implicit-def: $vgpr2
.LBB440_219:
	s_delay_alu instid0(SALU_CYCLE_1)
	s_and_not1_b32 vcc_lo, exec_lo, s0
	s_cbranch_vccnz .LBB440_221
; %bb.220:
	global_load_b32 v2, v[0:1], off
	s_waitcnt vmcnt(0)
	v_cvt_i32_f32_e32 v2, v2
.LBB440_221:
	s_mov_b32 s0, 0
.LBB440_222:
	s_delay_alu instid0(SALU_CYCLE_1)
	s_and_not1_b32 vcc_lo, exec_lo, s0
	s_cbranch_vccnz .LBB440_224
; %bb.223:
	global_load_u16 v2, v[0:1], off
	s_waitcnt vmcnt(0)
	v_cvt_f32_f16_e32 v2, v2
	s_delay_alu instid0(VALU_DEP_1)
	v_cvt_i32_f32_e32 v2, v2
.LBB440_224:
	s_cbranch_execnz .LBB440_244
.LBB440_225:
	v_cmp_gt_i16_e32 vcc_lo, 2, v5
	s_cbranch_vccnz .LBB440_229
; %bb.226:
	v_cmp_gt_i16_e32 vcc_lo, 3, v5
	s_cbranch_vccnz .LBB440_230
; %bb.227:
	v_cmp_lt_i16_e32 vcc_lo, 3, v5
	s_cbranch_vccz .LBB440_231
; %bb.228:
	global_load_b32 v2, v[0:1], off
	s_mov_b32 s0, 0
	s_branch .LBB440_232
.LBB440_229:
	s_mov_b32 s0, -1
                                        ; implicit-def: $vgpr2
	s_branch .LBB440_238
.LBB440_230:
	s_mov_b32 s0, -1
                                        ; implicit-def: $vgpr2
	s_branch .LBB440_235
.LBB440_231:
	s_mov_b32 s0, -1
                                        ; implicit-def: $vgpr2
.LBB440_232:
	s_delay_alu instid0(SALU_CYCLE_1)
	s_and_not1_b32 vcc_lo, exec_lo, s0
	s_cbranch_vccnz .LBB440_234
; %bb.233:
	global_load_b32 v2, v[0:1], off
.LBB440_234:
	s_mov_b32 s0, 0
.LBB440_235:
	s_delay_alu instid0(SALU_CYCLE_1)
	s_and_not1_b32 vcc_lo, exec_lo, s0
	s_cbranch_vccnz .LBB440_237
; %bb.236:
	global_load_i16 v2, v[0:1], off
.LBB440_237:
	s_mov_b32 s0, 0
.LBB440_238:
	s_delay_alu instid0(SALU_CYCLE_1)
	s_and_not1_b32 vcc_lo, exec_lo, s0
	s_cbranch_vccnz .LBB440_244
; %bb.239:
	v_cmp_lt_i16_e32 vcc_lo, 0, v5
	s_mov_b32 s0, 0
	s_cbranch_vccz .LBB440_241
; %bb.240:
	global_load_i8 v2, v[0:1], off
	s_branch .LBB440_242
.LBB440_241:
	s_mov_b32 s0, -1
                                        ; implicit-def: $vgpr2
.LBB440_242:
	s_delay_alu instid0(SALU_CYCLE_1)
	s_and_not1_b32 vcc_lo, exec_lo, s0
	s_cbranch_vccnz .LBB440_244
; %bb.243:
	global_load_u8 v2, v[0:1], off
.LBB440_244:
	s_branch .LBB440_11
.LBB440_245:
	s_mov_b32 s0, 0
.LBB440_246:
	s_mov_b32 s16, 0
                                        ; implicit-def: $vgpr4
.LBB440_247:
	s_and_b32 s11, s0, exec_lo
	s_and_b32 s13, s13, exec_lo
	s_or_not1_b32 s17, s16, exec_lo
.LBB440_248:
	s_or_b32 exec_lo, exec_lo, s14
	s_mov_b32 s16, 0
	s_mov_b32 s0, 0
                                        ; implicit-def: $vgpr0_vgpr1
                                        ; implicit-def: $vgpr6
	s_and_saveexec_b32 s14, s17
	s_cbranch_execz .LBB440_844
; %bb.249:
	s_mov_b32 s19, -1
	s_mov_b32 s15, s13
	s_mov_b32 s16, s11
	s_mov_b32 s17, exec_lo
	v_cmpx_gt_i32_e64 s12, v4
	s_cbranch_execz .LBB440_504
; %bb.250:
	v_mul_lo_u32 v0, v4, s9
	v_cmp_gt_i16_e32 vcc_lo, 11, v5
	s_delay_alu instid0(VALU_DEP_2) | instskip(SKIP_1) | instid1(VALU_DEP_1)
	v_ashrrev_i32_e32 v1, 31, v0
	v_add_co_u32 v0, s0, s6, v0
	v_add_co_ci_u32_e64 v1, s0, s7, v1, s0
	s_cbranch_vccnz .LBB440_257
; %bb.251:
	v_cmp_lt_i16_e32 vcc_lo, 25, v5
	s_cbranch_vccz .LBB440_266
; %bb.252:
	v_cmp_lt_i16_e32 vcc_lo, 28, v5
	s_cbranch_vccz .LBB440_268
	;; [unrolled: 3-line block ×4, first 2 shown]
; %bb.255:
	v_cmp_eq_u16_e32 vcc_lo, 46, v5
	s_mov_b32 s16, 0
	s_cbranch_vccz .LBB440_278
; %bb.256:
	global_load_b32 v2, v[0:1], off
	s_mov_b32 s0, -1
	s_mov_b32 s15, 0
	s_waitcnt vmcnt(0)
	v_lshlrev_b32_e32 v2, 16, v2
	s_delay_alu instid0(VALU_DEP_1)
	v_cvt_i32_f32_e32 v2, v2
	s_branch .LBB440_280
.LBB440_257:
	s_mov_b32 s0, 0
	s_mov_b32 s15, s13
                                        ; implicit-def: $vgpr2
	s_cbranch_execnz .LBB440_453
.LBB440_258:
	s_and_not1_b32 vcc_lo, exec_lo, s0
	s_cbranch_vccnz .LBB440_501
.LBB440_259:
	v_mul_lo_u32 v1, v4, s8
	v_and_b32_e64 v6, 0xff, s2
	s_waitcnt vmcnt(0)
	s_delay_alu instid0(VALU_DEP_3) | instskip(NEXT) | instid1(VALU_DEP_2)
	v_min_i32_e32 v0, s10, v2
	v_cmp_gt_i16_e32 vcc_lo, 11, v6
	s_delay_alu instid0(VALU_DEP_4) | instskip(SKIP_1) | instid1(VALU_DEP_1)
	v_ashrrev_i32_e32 v3, 31, v1
	v_add_co_u32 v2, s0, s4, v1
	v_add_co_ci_u32_e64 v3, s0, s5, v3, s0
	s_cbranch_vccnz .LBB440_267
; %bb.260:
	v_cmp_lt_i16_e32 vcc_lo, 25, v6
	s_cbranch_vccz .LBB440_269
; %bb.261:
	v_cmp_lt_i16_e32 vcc_lo, 28, v6
	s_cbranch_vccz .LBB440_271
	;; [unrolled: 3-line block ×4, first 2 shown]
; %bb.264:
	v_cmp_eq_u16_e32 vcc_lo, 46, v6
	s_mov_b32 s18, 0
	s_mov_b32 s0, -1
	s_mov_b32 s16, 0
	s_cbranch_vccz .LBB440_284
; %bb.265:
	v_cvt_f32_i32_e32 v1, v0
	s_mov_b32 s16, -1
	s_mov_b32 s0, 0
	s_delay_alu instid0(VALU_DEP_1) | instskip(NEXT) | instid1(VALU_DEP_1)
	v_bfe_u32 v7, v1, 16, 1
	v_add3_u32 v1, v1, v7, 0x7fff
	s_delay_alu instid0(VALU_DEP_1)
	v_lshrrev_b32_e32 v1, 16, v1
	global_store_b32 v[2:3], v1, off
	s_branch .LBB440_284
.LBB440_266:
	s_mov_b32 s16, -1
	s_mov_b32 s0, 0
	s_mov_b32 s15, s13
                                        ; implicit-def: $vgpr2
	s_branch .LBB440_419
.LBB440_267:
	s_mov_b32 s18, -1
	s_mov_b32 s16, 0
	s_mov_b32 s0, s11
	s_branch .LBB440_353
.LBB440_268:
	s_mov_b32 s16, -1
	s_mov_b32 s0, 0
	s_mov_b32 s15, s13
                                        ; implicit-def: $vgpr2
	s_branch .LBB440_402
.LBB440_269:
	s_mov_b32 s18, -1
	s_mov_b32 s16, 0
	s_mov_b32 s0, s11
	s_branch .LBB440_311
.LBB440_270:
	s_mov_b32 s16, -1
	s_mov_b32 s0, 0
	s_mov_b32 s15, s13
                                        ; implicit-def: $vgpr2
	s_branch .LBB440_397
.LBB440_271:
	s_mov_b32 s18, -1
	s_mov_b32 s16, 0
	s_mov_b32 s0, s11
	s_branch .LBB440_294
.LBB440_272:
	s_or_saveexec_b32 s17, s17
                                        ; implicit-def: $sgpr18
	s_delay_alu instid0(SALU_CYCLE_1)
	s_xor_b32 exec_lo, exec_lo, s17
	s_cbranch_execz .LBB440_54
.LBB440_273:
	v_add_f32_e64 v7, 0x46000000, |v1|
	s_and_not1_b32 s16, s16, exec_lo
	s_mov_b32 s18, 0
	s_delay_alu instid0(VALU_DEP_1) | instskip(NEXT) | instid1(VALU_DEP_1)
	v_and_b32_e32 v7, 0xff, v7
	v_cmp_ne_u32_e32 vcc_lo, 0, v7
	s_and_b32 s19, vcc_lo, exec_lo
	s_delay_alu instid0(SALU_CYCLE_1)
	s_or_b32 s16, s16, s19
	s_or_b32 exec_lo, exec_lo, s17
	v_mov_b32_e32 v8, s18
	s_and_saveexec_b32 s17, s16
	s_cbranch_execnz .LBB440_55
	s_branch .LBB440_56
.LBB440_274:
	s_mov_b32 s16, -1
	s_mov_b32 s0, 0
	s_mov_b32 s15, s13
	s_branch .LBB440_279
.LBB440_275:
	s_mov_b32 s18, -1
	s_mov_b32 s16, 0
	s_mov_b32 s0, s11
	s_branch .LBB440_290
.LBB440_276:
	s_or_saveexec_b32 s17, s17
                                        ; implicit-def: $sgpr18
	s_delay_alu instid0(SALU_CYCLE_1)
	s_xor_b32 exec_lo, exec_lo, s17
	s_cbranch_execz .LBB440_67
.LBB440_277:
	v_add_f32_e64 v7, 0x42800000, |v1|
	s_and_not1_b32 s16, s16, exec_lo
	s_mov_b32 s18, 0
	s_delay_alu instid0(VALU_DEP_1) | instskip(NEXT) | instid1(VALU_DEP_1)
	v_and_b32_e32 v7, 0xff, v7
	v_cmp_ne_u32_e32 vcc_lo, 0, v7
	s_and_b32 s19, vcc_lo, exec_lo
	s_delay_alu instid0(SALU_CYCLE_1)
	s_or_b32 s16, s16, s19
	s_or_b32 exec_lo, exec_lo, s17
	v_mov_b32_e32 v8, s18
	s_and_saveexec_b32 s17, s16
	s_cbranch_execnz .LBB440_68
	s_branch .LBB440_69
.LBB440_278:
	s_mov_b32 s15, -1
	s_mov_b32 s0, 0
.LBB440_279:
                                        ; implicit-def: $vgpr2
.LBB440_280:
	s_and_b32 vcc_lo, exec_lo, s16
	s_cbranch_vccz .LBB440_396
; %bb.281:
	v_cmp_eq_u16_e32 vcc_lo, 44, v5
	s_cbranch_vccz .LBB440_395
; %bb.282:
	global_load_u8 v2, v[0:1], off
	s_mov_b32 s15, 0
	s_mov_b32 s0, -1
	s_waitcnt vmcnt(0)
	v_lshlrev_b32_e32 v3, 23, v2
	v_cmp_ne_u32_e32 vcc_lo, 0, v2
	s_delay_alu instid0(VALU_DEP_2) | instskip(NEXT) | instid1(VALU_DEP_1)
	v_cvt_i32_f32_e32 v3, v3
	v_cndmask_b32_e32 v2, 0, v3, vcc_lo
	s_branch .LBB440_396
.LBB440_283:
	s_mov_b32 s18, -1
	s_mov_b32 s16, 0
	s_mov_b32 s0, s11
.LBB440_284:
	s_and_b32 vcc_lo, exec_lo, s18
	s_cbranch_vccz .LBB440_289
; %bb.285:
	v_cmp_eq_u16_e32 vcc_lo, 44, v6
	s_mov_b32 s0, -1
	s_cbranch_vccz .LBB440_289
; %bb.286:
	v_cvt_f32_i32_e32 v1, v0
	v_mov_b32_e32 v7, 0xff
	s_mov_b32 s16, exec_lo
	s_delay_alu instid0(VALU_DEP_2) | instskip(NEXT) | instid1(VALU_DEP_1)
	v_bfe_u32 v8, v1, 23, 8
	v_cmpx_ne_u32_e32 0xff, v8
; %bb.287:
	v_and_b32_e32 v7, 0x400000, v1
	v_and_or_b32 v8, 0x3fffff, v1, v8
	v_lshrrev_b32_e32 v1, 23, v1
	s_delay_alu instid0(VALU_DEP_3) | instskip(NEXT) | instid1(VALU_DEP_3)
	v_cmp_ne_u32_e32 vcc_lo, 0, v7
	v_cmp_ne_u32_e64 s0, 0, v8
	s_delay_alu instid0(VALU_DEP_1) | instskip(NEXT) | instid1(SALU_CYCLE_1)
	s_and_b32 s0, vcc_lo, s0
	v_cndmask_b32_e64 v7, 0, 1, s0
	s_delay_alu instid0(VALU_DEP_1)
	v_add_nc_u32_e32 v7, v1, v7
; %bb.288:
	s_or_b32 exec_lo, exec_lo, s16
	s_mov_b32 s16, -1
	s_mov_b32 s0, 0
	global_store_b8 v[2:3], v7, off
.LBB440_289:
	s_mov_b32 s18, 0
.LBB440_290:
	s_delay_alu instid0(SALU_CYCLE_1)
	s_and_b32 vcc_lo, exec_lo, s18
	s_cbranch_vccz .LBB440_293
; %bb.291:
	v_cmp_eq_u16_e32 vcc_lo, 29, v6
	s_mov_b32 s0, -1
	s_cbranch_vccz .LBB440_293
; %bb.292:
	v_ashrrev_i32_e32 v1, 31, v0
	s_mov_b32 s16, -1
	s_mov_b32 s0, 0
	s_mov_b32 s18, 0
	global_store_b64 v[2:3], v[0:1], off
	s_branch .LBB440_294
.LBB440_293:
	s_mov_b32 s18, 0
.LBB440_294:
	s_delay_alu instid0(SALU_CYCLE_1)
	s_and_b32 vcc_lo, exec_lo, s18
	s_cbranch_vccz .LBB440_310
; %bb.295:
	v_cmp_gt_i16_e32 vcc_lo, 27, v6
	s_mov_b32 s16, -1
	s_cbranch_vccnz .LBB440_301
; %bb.296:
	v_cmp_lt_i16_e32 vcc_lo, 27, v6
	s_cbranch_vccz .LBB440_298
; %bb.297:
	s_mov_b32 s16, 0
	global_store_b32 v[2:3], v0, off
.LBB440_298:
	s_and_not1_b32 vcc_lo, exec_lo, s16
	s_cbranch_vccnz .LBB440_300
; %bb.299:
	global_store_b16 v[2:3], v0, off
.LBB440_300:
	s_mov_b32 s16, 0
.LBB440_301:
	s_delay_alu instid0(SALU_CYCLE_1)
	s_and_not1_b32 vcc_lo, exec_lo, s16
	s_cbranch_vccnz .LBB440_309
; %bb.302:
	v_cvt_f32_i32_e32 v1, v0
	v_mov_b32_e32 v8, 0x80
	s_mov_b32 s16, exec_lo
	s_delay_alu instid0(VALU_DEP_2) | instskip(NEXT) | instid1(VALU_DEP_1)
	v_and_b32_e32 v7, 0x7fffffff, v1
	v_cmpx_gt_u32_e32 0x43800000, v7
	s_cbranch_execz .LBB440_308
; %bb.303:
	v_cmp_lt_u32_e32 vcc_lo, 0x3bffffff, v7
	s_mov_b32 s18, 0
                                        ; implicit-def: $vgpr7
	s_and_saveexec_b32 s19, vcc_lo
	s_delay_alu instid0(SALU_CYCLE_1)
	s_xor_b32 s19, exec_lo, s19
	s_cbranch_execz .LBB440_517
; %bb.304:
	v_bfe_u32 v7, v1, 20, 1
	s_mov_b32 s18, exec_lo
	s_delay_alu instid0(VALU_DEP_1) | instskip(NEXT) | instid1(VALU_DEP_1)
	v_add3_u32 v7, v1, v7, 0x487ffff
	v_lshrrev_b32_e32 v7, 20, v7
	s_or_saveexec_b32 s19, s19
                                        ; implicit-def: $sgpr20
	s_delay_alu instid0(SALU_CYCLE_1)
	s_xor_b32 exec_lo, exec_lo, s19
	s_cbranch_execnz .LBB440_518
.LBB440_305:
	s_or_b32 exec_lo, exec_lo, s19
	v_mov_b32_e32 v8, s20
	s_and_saveexec_b32 s19, s18
.LBB440_306:
	v_lshrrev_b32_e32 v1, 24, v1
	s_delay_alu instid0(VALU_DEP_1)
	v_and_or_b32 v8, 0x80, v1, v7
.LBB440_307:
	s_or_b32 exec_lo, exec_lo, s19
.LBB440_308:
	s_delay_alu instid0(SALU_CYCLE_1)
	s_or_b32 exec_lo, exec_lo, s16
	global_store_b8 v[2:3], v8, off
.LBB440_309:
	s_mov_b32 s16, -1
.LBB440_310:
	s_mov_b32 s18, 0
.LBB440_311:
	s_delay_alu instid0(SALU_CYCLE_1)
	s_and_b32 vcc_lo, exec_lo, s18
	s_cbranch_vccz .LBB440_352
; %bb.312:
	v_cmp_lt_i16_e32 vcc_lo, 22, v6
	s_mov_b32 s18, -1
	s_cbranch_vccz .LBB440_344
; %bb.313:
	v_cmp_gt_i16_e32 vcc_lo, 24, v6
	s_mov_b32 s16, -1
	s_cbranch_vccnz .LBB440_333
; %bb.314:
	v_cmp_lt_i16_e32 vcc_lo, 24, v6
	s_cbranch_vccz .LBB440_322
; %bb.315:
	v_cvt_f32_i32_e32 v1, v0
	v_mov_b32_e32 v8, 0x80
	s_mov_b32 s16, exec_lo
	s_delay_alu instid0(VALU_DEP_2) | instskip(NEXT) | instid1(VALU_DEP_1)
	v_and_b32_e32 v7, 0x7fffffff, v1
	v_cmpx_gt_u32_e32 0x47800000, v7
	s_cbranch_execz .LBB440_321
; %bb.316:
	v_cmp_lt_u32_e32 vcc_lo, 0x37ffffff, v7
	s_mov_b32 s18, 0
                                        ; implicit-def: $vgpr7
	s_and_saveexec_b32 s19, vcc_lo
	s_delay_alu instid0(SALU_CYCLE_1)
	s_xor_b32 s19, exec_lo, s19
	s_cbranch_execz .LBB440_520
; %bb.317:
	v_bfe_u32 v7, v1, 21, 1
	s_mov_b32 s18, exec_lo
	s_delay_alu instid0(VALU_DEP_1) | instskip(NEXT) | instid1(VALU_DEP_1)
	v_add3_u32 v7, v1, v7, 0x88fffff
	v_lshrrev_b32_e32 v7, 21, v7
	s_or_saveexec_b32 s19, s19
                                        ; implicit-def: $sgpr20
	s_delay_alu instid0(SALU_CYCLE_1)
	s_xor_b32 exec_lo, exec_lo, s19
	s_cbranch_execnz .LBB440_521
.LBB440_318:
	s_or_b32 exec_lo, exec_lo, s19
	v_mov_b32_e32 v8, s20
	s_and_saveexec_b32 s19, s18
.LBB440_319:
	v_lshrrev_b32_e32 v1, 24, v1
	s_delay_alu instid0(VALU_DEP_1)
	v_and_or_b32 v8, 0x80, v1, v7
.LBB440_320:
	s_or_b32 exec_lo, exec_lo, s19
.LBB440_321:
	s_delay_alu instid0(SALU_CYCLE_1)
	s_or_b32 exec_lo, exec_lo, s16
	s_mov_b32 s16, 0
	global_store_b8 v[2:3], v8, off
.LBB440_322:
	s_and_b32 vcc_lo, exec_lo, s16
	s_cbranch_vccz .LBB440_332
; %bb.323:
	v_cvt_f32_i32_e32 v1, v0
	s_mov_b32 s16, exec_lo
                                        ; implicit-def: $vgpr7
	s_delay_alu instid0(VALU_DEP_1) | instskip(NEXT) | instid1(VALU_DEP_1)
	v_and_b32_e32 v8, 0x7fffffff, v1
	v_cmpx_gt_u32_e32 0x43f00000, v8
	s_xor_b32 s16, exec_lo, s16
	s_cbranch_execz .LBB440_329
; %bb.324:
	s_mov_b32 s18, exec_lo
                                        ; implicit-def: $vgpr7
	v_cmpx_lt_u32_e32 0x3c7fffff, v8
	s_xor_b32 s18, exec_lo, s18
; %bb.325:
	v_bfe_u32 v7, v1, 20, 1
	s_delay_alu instid0(VALU_DEP_1) | instskip(NEXT) | instid1(VALU_DEP_1)
	v_add3_u32 v7, v1, v7, 0x407ffff
	v_and_b32_e32 v8, 0xff00000, v7
	v_lshrrev_b32_e32 v7, 20, v7
	s_delay_alu instid0(VALU_DEP_2) | instskip(NEXT) | instid1(VALU_DEP_2)
	v_cmp_ne_u32_e32 vcc_lo, 0x7f00000, v8
	v_cndmask_b32_e32 v7, 0x7e, v7, vcc_lo
; %bb.326:
	s_and_not1_saveexec_b32 s18, s18
; %bb.327:
	v_add_f32_e64 v7, 0x46800000, |v1|
; %bb.328:
	s_or_b32 exec_lo, exec_lo, s18
                                        ; implicit-def: $vgpr8
.LBB440_329:
	s_and_not1_saveexec_b32 s16, s16
; %bb.330:
	v_mov_b32_e32 v7, 0x7f
	v_cmp_lt_u32_e32 vcc_lo, 0x7f800000, v8
	s_delay_alu instid0(VALU_DEP_2)
	v_cndmask_b32_e32 v7, 0x7e, v7, vcc_lo
; %bb.331:
	s_or_b32 exec_lo, exec_lo, s16
	v_lshrrev_b32_e32 v1, 24, v1
	s_delay_alu instid0(VALU_DEP_1)
	v_and_or_b32 v1, 0x80, v1, v7
	global_store_b8 v[2:3], v1, off
.LBB440_332:
	s_mov_b32 s16, 0
.LBB440_333:
	s_delay_alu instid0(SALU_CYCLE_1)
	s_and_not1_b32 vcc_lo, exec_lo, s16
	s_cbranch_vccnz .LBB440_343
; %bb.334:
	v_cvt_f32_i32_e32 v1, v0
	s_mov_b32 s16, exec_lo
                                        ; implicit-def: $vgpr7
	s_delay_alu instid0(VALU_DEP_1) | instskip(NEXT) | instid1(VALU_DEP_1)
	v_and_b32_e32 v8, 0x7fffffff, v1
	v_cmpx_gt_u32_e32 0x47800000, v8
	s_xor_b32 s16, exec_lo, s16
	s_cbranch_execz .LBB440_340
; %bb.335:
	s_mov_b32 s18, exec_lo
                                        ; implicit-def: $vgpr7
	v_cmpx_lt_u32_e32 0x387fffff, v8
	s_xor_b32 s18, exec_lo, s18
; %bb.336:
	v_bfe_u32 v7, v1, 21, 1
	s_delay_alu instid0(VALU_DEP_1) | instskip(NEXT) | instid1(VALU_DEP_1)
	v_add3_u32 v7, v1, v7, 0x80fffff
	v_lshrrev_b32_e32 v7, 21, v7
; %bb.337:
	s_and_not1_saveexec_b32 s18, s18
; %bb.338:
	v_add_f32_e64 v7, 0x43000000, |v1|
; %bb.339:
	s_or_b32 exec_lo, exec_lo, s18
                                        ; implicit-def: $vgpr8
.LBB440_340:
	s_and_not1_saveexec_b32 s16, s16
; %bb.341:
	v_mov_b32_e32 v7, 0x7f
	v_cmp_lt_u32_e32 vcc_lo, 0x7f800000, v8
	s_delay_alu instid0(VALU_DEP_2)
	v_cndmask_b32_e32 v7, 0x7c, v7, vcc_lo
; %bb.342:
	s_or_b32 exec_lo, exec_lo, s16
	v_lshrrev_b32_e32 v1, 24, v1
	s_delay_alu instid0(VALU_DEP_1)
	v_and_or_b32 v1, 0x80, v1, v7
	global_store_b8 v[2:3], v1, off
.LBB440_343:
	s_mov_b32 s18, 0
	s_mov_b32 s16, -1
.LBB440_344:
	s_and_not1_b32 vcc_lo, exec_lo, s18
	s_cbranch_vccnz .LBB440_352
; %bb.345:
	v_cmp_lt_i16_e32 vcc_lo, 14, v6
	s_mov_b32 s18, -1
	s_cbranch_vccz .LBB440_349
; %bb.346:
	v_cmp_eq_u16_e32 vcc_lo, 15, v6
	s_mov_b32 s0, -1
	s_cbranch_vccz .LBB440_348
; %bb.347:
	v_cvt_f32_i32_e32 v1, v0
	s_mov_b32 s16, -1
	s_mov_b32 s0, 0
	s_delay_alu instid0(VALU_DEP_1) | instskip(NEXT) | instid1(VALU_DEP_1)
	v_bfe_u32 v7, v1, 16, 1
	v_add3_u32 v1, v1, v7, 0x7fff
	global_store_d16_hi_b16 v[2:3], v1, off
.LBB440_348:
	s_mov_b32 s18, 0
.LBB440_349:
	s_delay_alu instid0(SALU_CYCLE_1)
	s_and_b32 vcc_lo, exec_lo, s18
	s_cbranch_vccz .LBB440_352
; %bb.350:
	v_cmp_eq_u16_e32 vcc_lo, 11, v6
	s_mov_b32 s0, -1
	s_cbranch_vccz .LBB440_352
; %bb.351:
	v_cmp_ne_u32_e32 vcc_lo, 0, v0
	s_mov_b32 s0, 0
	s_mov_b32 s16, -1
	v_cndmask_b32_e64 v1, 0, 1, vcc_lo
	global_store_b8 v[2:3], v1, off
.LBB440_352:
	s_mov_b32 s18, 0
.LBB440_353:
	s_delay_alu instid0(SALU_CYCLE_1)
	s_and_b32 vcc_lo, exec_lo, s18
	s_cbranch_vccz .LBB440_392
; %bb.354:
	v_cmp_gt_i16_e32 vcc_lo, 5, v6
	s_mov_b32 s16, -1
	s_cbranch_vccnz .LBB440_375
; %bb.355:
	v_cmp_gt_i16_e32 vcc_lo, 8, v6
	s_cbranch_vccnz .LBB440_365
; %bb.356:
	v_cmp_gt_i16_e32 vcc_lo, 9, v6
	s_cbranch_vccnz .LBB440_362
; %bb.357:
	v_cmp_lt_i16_e32 vcc_lo, 9, v6
	s_cbranch_vccz .LBB440_359
; %bb.358:
	v_cvt_f64_i32_e32 v[7:8], v0
	v_mov_b32_e32 v9, 0
	s_mov_b32 s16, 0
	s_delay_alu instid0(VALU_DEP_1)
	v_mov_b32_e32 v10, v9
	global_store_b128 v[2:3], v[7:10], off
.LBB440_359:
	s_and_not1_b32 vcc_lo, exec_lo, s16
	s_cbranch_vccnz .LBB440_361
; %bb.360:
	v_cvt_f32_i32_e32 v7, v0
	v_mov_b32_e32 v8, 0
	global_store_b64 v[2:3], v[7:8], off
.LBB440_361:
	s_mov_b32 s16, 0
.LBB440_362:
	s_delay_alu instid0(SALU_CYCLE_1)
	s_and_not1_b32 vcc_lo, exec_lo, s16
	s_cbranch_vccnz .LBB440_364
; %bb.363:
	v_cvt_f32_i32_e32 v1, v0
	s_delay_alu instid0(VALU_DEP_1) | instskip(NEXT) | instid1(VALU_DEP_1)
	v_cvt_f16_f32_e32 v1, v1
	v_and_b32_e32 v1, 0xffff, v1
	global_store_b32 v[2:3], v1, off
.LBB440_364:
	s_mov_b32 s16, 0
.LBB440_365:
	s_delay_alu instid0(SALU_CYCLE_1)
	s_and_not1_b32 vcc_lo, exec_lo, s16
	s_cbranch_vccnz .LBB440_374
; %bb.366:
	v_cmp_gt_i16_e32 vcc_lo, 6, v6
	s_mov_b32 s16, -1
	s_cbranch_vccnz .LBB440_372
; %bb.367:
	v_cmp_lt_i16_e32 vcc_lo, 6, v6
	s_cbranch_vccz .LBB440_369
; %bb.368:
	v_cvt_f64_i32_e32 v[7:8], v0
	s_mov_b32 s16, 0
	global_store_b64 v[2:3], v[7:8], off
.LBB440_369:
	s_and_not1_b32 vcc_lo, exec_lo, s16
	s_cbranch_vccnz .LBB440_371
; %bb.370:
	v_cvt_f32_i32_e32 v1, v0
	global_store_b32 v[2:3], v1, off
.LBB440_371:
	s_mov_b32 s16, 0
.LBB440_372:
	s_delay_alu instid0(SALU_CYCLE_1)
	s_and_not1_b32 vcc_lo, exec_lo, s16
	s_cbranch_vccnz .LBB440_374
; %bb.373:
	v_cvt_f32_i32_e32 v1, v0
	s_delay_alu instid0(VALU_DEP_1)
	v_cvt_f16_f32_e32 v1, v1
	global_store_b16 v[2:3], v1, off
.LBB440_374:
	s_mov_b32 s16, 0
.LBB440_375:
	s_delay_alu instid0(SALU_CYCLE_1)
	s_and_not1_b32 vcc_lo, exec_lo, s16
	s_cbranch_vccnz .LBB440_391
; %bb.376:
	v_cmp_gt_i16_e32 vcc_lo, 2, v6
	s_mov_b32 s16, -1
	s_cbranch_vccnz .LBB440_386
; %bb.377:
	v_cmp_gt_i16_e32 vcc_lo, 3, v6
	s_cbranch_vccnz .LBB440_383
; %bb.378:
	v_cmp_lt_i16_e32 vcc_lo, 3, v6
	s_cbranch_vccz .LBB440_380
; %bb.379:
	v_ashrrev_i32_e32 v1, 31, v0
	s_mov_b32 s16, 0
	global_store_b64 v[2:3], v[0:1], off
.LBB440_380:
	s_and_not1_b32 vcc_lo, exec_lo, s16
	s_cbranch_vccnz .LBB440_382
; %bb.381:
	global_store_b32 v[2:3], v0, off
.LBB440_382:
	s_mov_b32 s16, 0
.LBB440_383:
	s_delay_alu instid0(SALU_CYCLE_1)
	s_and_not1_b32 vcc_lo, exec_lo, s16
	s_cbranch_vccnz .LBB440_385
; %bb.384:
	global_store_b16 v[2:3], v0, off
.LBB440_385:
	s_mov_b32 s16, 0
.LBB440_386:
	s_delay_alu instid0(SALU_CYCLE_1)
	s_and_not1_b32 vcc_lo, exec_lo, s16
	s_cbranch_vccnz .LBB440_391
; %bb.387:
	v_cmp_lt_i16_e32 vcc_lo, 0, v6
	s_mov_b32 s16, -1
	s_cbranch_vccz .LBB440_389
; %bb.388:
	s_mov_b32 s16, 0
	global_store_b8 v[2:3], v0, off
.LBB440_389:
	s_and_not1_b32 vcc_lo, exec_lo, s16
	s_cbranch_vccnz .LBB440_391
; %bb.390:
	global_store_b8 v[2:3], v0, off
.LBB440_391:
	s_mov_b32 s16, -1
.LBB440_392:
	s_delay_alu instid0(SALU_CYCLE_1)
	s_and_not1_b32 vcc_lo, exec_lo, s16
	s_cbranch_vccnz .LBB440_394
; %bb.393:
	v_add_nc_u32_e32 v4, 0x80, v4
	s_mov_b32 s18, -1
	s_branch .LBB440_503
.LBB440_394:
	s_mov_b32 s18, 0
	s_branch .LBB440_502
.LBB440_395:
	s_mov_b32 s15, -1
                                        ; implicit-def: $vgpr2
.LBB440_396:
	s_mov_b32 s16, 0
.LBB440_397:
	s_delay_alu instid0(SALU_CYCLE_1)
	s_and_b32 vcc_lo, exec_lo, s16
	s_cbranch_vccz .LBB440_401
; %bb.398:
	v_cmp_eq_u16_e32 vcc_lo, 29, v5
	s_cbranch_vccz .LBB440_400
; %bb.399:
	global_load_b32 v2, v[0:1], off
	s_mov_b32 s0, -1
	s_mov_b32 s15, 0
	s_branch .LBB440_401
.LBB440_400:
	s_mov_b32 s15, -1
                                        ; implicit-def: $vgpr2
.LBB440_401:
	s_mov_b32 s16, 0
.LBB440_402:
	s_delay_alu instid0(SALU_CYCLE_1)
	s_and_b32 vcc_lo, exec_lo, s16
	s_cbranch_vccz .LBB440_418
; %bb.403:
	v_cmp_gt_i16_e32 vcc_lo, 27, v5
	s_cbranch_vccnz .LBB440_406
; %bb.404:
	v_cmp_lt_i16_e32 vcc_lo, 27, v5
	s_cbranch_vccz .LBB440_407
; %bb.405:
	global_load_b32 v2, v[0:1], off
	s_mov_b32 s0, 0
	s_branch .LBB440_408
.LBB440_406:
	s_mov_b32 s0, -1
                                        ; implicit-def: $vgpr2
	s_branch .LBB440_411
.LBB440_407:
	s_mov_b32 s0, -1
                                        ; implicit-def: $vgpr2
.LBB440_408:
	s_delay_alu instid0(SALU_CYCLE_1)
	s_and_not1_b32 vcc_lo, exec_lo, s0
	s_cbranch_vccnz .LBB440_410
; %bb.409:
	global_load_u16 v2, v[0:1], off
.LBB440_410:
	s_mov_b32 s0, 0
.LBB440_411:
	s_delay_alu instid0(SALU_CYCLE_1)
	s_and_not1_b32 vcc_lo, exec_lo, s0
	s_cbranch_vccnz .LBB440_417
; %bb.412:
	global_load_u8 v3, v[0:1], off
	s_mov_b32 s0, 0
	s_mov_b32 s16, exec_lo
                                        ; implicit-def: $sgpr18
	s_waitcnt vmcnt(0)
	v_cmpx_lt_i16_e32 0x7f, v3
	s_xor_b32 s16, exec_lo, s16
	s_cbranch_execz .LBB440_429
; %bb.413:
	v_cmp_ne_u16_e32 vcc_lo, 0x80, v3
	s_mov_b32 s18, 0
	s_and_b32 s0, vcc_lo, exec_lo
	s_or_saveexec_b32 s16, s16
	v_mov_b32_e32 v2, s18
	s_xor_b32 exec_lo, exec_lo, s16
	s_cbranch_execnz .LBB440_430
.LBB440_414:
	s_or_b32 exec_lo, exec_lo, s16
	s_and_saveexec_b32 s16, s0
	s_cbranch_execz .LBB440_416
.LBB440_415:
	v_and_b32_e32 v2, 0xffff, v3
	s_delay_alu instid0(VALU_DEP_1) | instskip(NEXT) | instid1(VALU_DEP_1)
	v_and_b32_e32 v6, 7, v2
	v_clz_i32_u32_e32 v7, v6
	s_delay_alu instid0(VALU_DEP_1) | instskip(NEXT) | instid1(VALU_DEP_1)
	v_min_u32_e32 v7, 32, v7
	v_subrev_nc_u32_e32 v8, 28, v7
	v_sub_nc_u32_e32 v7, 29, v7
	s_delay_alu instid0(VALU_DEP_2) | instskip(SKIP_1) | instid1(VALU_DEP_2)
	v_lshlrev_b32_e32 v8, v8, v2
	v_bfe_u32 v2, v2, 3, 4
	v_and_b32_e32 v8, 7, v8
	s_delay_alu instid0(VALU_DEP_2) | instskip(NEXT) | instid1(VALU_DEP_2)
	v_cmp_eq_u32_e32 vcc_lo, 0, v2
	v_dual_cndmask_b32 v6, v6, v8 :: v_dual_lshlrev_b32 v3, 24, v3
	v_cndmask_b32_e32 v2, v2, v7, vcc_lo
	s_delay_alu instid0(VALU_DEP_2) | instskip(NEXT) | instid1(VALU_DEP_3)
	v_and_b32_e32 v3, 0x80000000, v3
	v_lshlrev_b32_e32 v6, 20, v6
	s_delay_alu instid0(VALU_DEP_3) | instskip(NEXT) | instid1(VALU_DEP_1)
	v_lshl_add_u32 v2, v2, 23, 0x3b800000
	v_or3_b32 v2, v3, v2, v6
	s_delay_alu instid0(VALU_DEP_1)
	v_cvt_i32_f32_e32 v2, v2
.LBB440_416:
	s_or_b32 exec_lo, exec_lo, s16
.LBB440_417:
	s_mov_b32 s0, -1
.LBB440_418:
	s_mov_b32 s16, 0
.LBB440_419:
	s_delay_alu instid0(SALU_CYCLE_1)
	s_and_b32 vcc_lo, exec_lo, s16
	s_cbranch_vccz .LBB440_452
; %bb.420:
	v_cmp_lt_i16_e32 vcc_lo, 22, v5
	s_cbranch_vccz .LBB440_428
; %bb.421:
	v_cmp_gt_i16_e32 vcc_lo, 24, v5
	s_cbranch_vccnz .LBB440_431
; %bb.422:
	v_cmp_lt_i16_e32 vcc_lo, 24, v5
	s_cbranch_vccz .LBB440_432
; %bb.423:
	global_load_u8 v3, v[0:1], off
	s_mov_b32 s0, 0
	s_mov_b32 s16, exec_lo
                                        ; implicit-def: $sgpr18
	s_waitcnt vmcnt(0)
	v_cmpx_lt_i16_e32 0x7f, v3
	s_xor_b32 s16, exec_lo, s16
	s_cbranch_execz .LBB440_444
; %bb.424:
	v_cmp_ne_u16_e32 vcc_lo, 0x80, v3
	s_mov_b32 s18, 0
	s_and_b32 s0, vcc_lo, exec_lo
	s_or_saveexec_b32 s16, s16
	v_mov_b32_e32 v2, s18
	s_xor_b32 exec_lo, exec_lo, s16
	s_cbranch_execnz .LBB440_445
.LBB440_425:
	s_or_b32 exec_lo, exec_lo, s16
	s_and_saveexec_b32 s16, s0
	s_cbranch_execz .LBB440_427
.LBB440_426:
	v_and_b32_e32 v2, 0xffff, v3
	s_delay_alu instid0(VALU_DEP_1) | instskip(NEXT) | instid1(VALU_DEP_1)
	v_and_b32_e32 v6, 3, v2
	v_clz_i32_u32_e32 v7, v6
	s_delay_alu instid0(VALU_DEP_1) | instskip(NEXT) | instid1(VALU_DEP_1)
	v_min_u32_e32 v7, 32, v7
	v_subrev_nc_u32_e32 v8, 29, v7
	v_sub_nc_u32_e32 v7, 30, v7
	s_delay_alu instid0(VALU_DEP_2) | instskip(SKIP_1) | instid1(VALU_DEP_2)
	v_lshlrev_b32_e32 v8, v8, v2
	v_bfe_u32 v2, v2, 2, 5
	v_and_b32_e32 v8, 3, v8
	s_delay_alu instid0(VALU_DEP_2) | instskip(NEXT) | instid1(VALU_DEP_2)
	v_cmp_eq_u32_e32 vcc_lo, 0, v2
	v_dual_cndmask_b32 v6, v6, v8 :: v_dual_lshlrev_b32 v3, 24, v3
	v_cndmask_b32_e32 v2, v2, v7, vcc_lo
	s_delay_alu instid0(VALU_DEP_2) | instskip(NEXT) | instid1(VALU_DEP_3)
	v_and_b32_e32 v3, 0x80000000, v3
	v_lshlrev_b32_e32 v6, 21, v6
	s_delay_alu instid0(VALU_DEP_3) | instskip(NEXT) | instid1(VALU_DEP_1)
	v_lshl_add_u32 v2, v2, 23, 0x37800000
	v_or3_b32 v2, v3, v2, v6
	s_delay_alu instid0(VALU_DEP_1)
	v_cvt_i32_f32_e32 v2, v2
.LBB440_427:
	s_or_b32 exec_lo, exec_lo, s16
	s_mov_b32 s0, 0
	s_branch .LBB440_433
.LBB440_428:
	s_mov_b32 s16, -1
                                        ; implicit-def: $vgpr2
	s_branch .LBB440_439
.LBB440_429:
	s_or_saveexec_b32 s16, s16
	v_mov_b32_e32 v2, s18
	s_xor_b32 exec_lo, exec_lo, s16
	s_cbranch_execz .LBB440_414
.LBB440_430:
	v_cmp_ne_u16_e32 vcc_lo, 0, v3
	v_mov_b32_e32 v2, 0
	s_and_not1_b32 s0, s0, exec_lo
	s_and_b32 s18, vcc_lo, exec_lo
	s_delay_alu instid0(SALU_CYCLE_1)
	s_or_b32 s0, s0, s18
	s_or_b32 exec_lo, exec_lo, s16
	s_and_saveexec_b32 s16, s0
	s_cbranch_execnz .LBB440_415
	s_branch .LBB440_416
.LBB440_431:
	s_mov_b32 s0, -1
                                        ; implicit-def: $vgpr2
	s_branch .LBB440_436
.LBB440_432:
	s_mov_b32 s0, -1
                                        ; implicit-def: $vgpr2
.LBB440_433:
	s_delay_alu instid0(SALU_CYCLE_1)
	s_and_b32 vcc_lo, exec_lo, s0
	s_cbranch_vccz .LBB440_435
; %bb.434:
	global_load_u8 v2, v[0:1], off
	s_waitcnt vmcnt(0)
	v_lshlrev_b32_e32 v2, 24, v2
	s_delay_alu instid0(VALU_DEP_1) | instskip(NEXT) | instid1(VALU_DEP_1)
	v_and_b32_e32 v3, 0x7f000000, v2
	v_clz_i32_u32_e32 v6, v3
	v_cmp_ne_u32_e32 vcc_lo, 0, v3
	v_add_nc_u32_e32 v8, 0x1000000, v3
	s_delay_alu instid0(VALU_DEP_3) | instskip(NEXT) | instid1(VALU_DEP_1)
	v_min_u32_e32 v6, 32, v6
	v_sub_nc_u32_e64 v6, v6, 4 clamp
	s_delay_alu instid0(VALU_DEP_1) | instskip(SKIP_1) | instid1(VALU_DEP_2)
	v_lshlrev_b32_e32 v7, v6, v3
	v_lshlrev_b32_e32 v6, 23, v6
	v_lshrrev_b32_e32 v7, 4, v7
	s_delay_alu instid0(VALU_DEP_1) | instskip(SKIP_1) | instid1(VALU_DEP_2)
	v_sub_nc_u32_e32 v6, v7, v6
	v_ashrrev_i32_e32 v7, 8, v8
	v_add_nc_u32_e32 v6, 0x3c000000, v6
	s_delay_alu instid0(VALU_DEP_1) | instskip(NEXT) | instid1(VALU_DEP_1)
	v_and_or_b32 v6, 0x7f800000, v7, v6
	v_cndmask_b32_e32 v3, 0, v6, vcc_lo
	s_delay_alu instid0(VALU_DEP_1) | instskip(NEXT) | instid1(VALU_DEP_1)
	v_and_or_b32 v2, 0x80000000, v2, v3
	v_cvt_i32_f32_e32 v2, v2
.LBB440_435:
	s_mov_b32 s0, 0
.LBB440_436:
	s_delay_alu instid0(SALU_CYCLE_1)
	s_and_not1_b32 vcc_lo, exec_lo, s0
	s_cbranch_vccnz .LBB440_438
; %bb.437:
	global_load_u8 v2, v[0:1], off
	s_waitcnt vmcnt(0)
	v_lshlrev_b32_e32 v3, 25, v2
	v_lshlrev_b16 v2, 8, v2
	s_delay_alu instid0(VALU_DEP_2) | instskip(NEXT) | instid1(VALU_DEP_2)
	v_lshrrev_b32_e32 v6, 4, v3
	v_and_or_b32 v7, 0x7f00, v2, 0.5
	v_cmp_gt_u32_e32 vcc_lo, 0x8000000, v3
	v_bfe_i32 v2, v2, 0, 16
	s_delay_alu instid0(VALU_DEP_4) | instskip(NEXT) | instid1(VALU_DEP_1)
	v_or_b32_e32 v6, 0x70000000, v6
	v_dual_add_f32 v7, -0.5, v7 :: v_dual_mul_f32 v6, 0x7800000, v6
	s_delay_alu instid0(VALU_DEP_1) | instskip(NEXT) | instid1(VALU_DEP_1)
	v_cndmask_b32_e32 v3, v6, v7, vcc_lo
	v_and_or_b32 v2, 0x80000000, v2, v3
	s_delay_alu instid0(VALU_DEP_1)
	v_cvt_i32_f32_e32 v2, v2
.LBB440_438:
	s_mov_b32 s16, 0
	s_mov_b32 s0, -1
.LBB440_439:
	s_and_not1_b32 vcc_lo, exec_lo, s16
	s_cbranch_vccnz .LBB440_452
; %bb.440:
	v_cmp_lt_i16_e32 vcc_lo, 14, v5
	s_cbranch_vccz .LBB440_443
; %bb.441:
	v_cmp_eq_u16_e32 vcc_lo, 15, v5
	s_cbranch_vccz .LBB440_446
; %bb.442:
	global_load_u16 v2, v[0:1], off
	s_mov_b32 s0, -1
	s_mov_b32 s15, 0
	s_waitcnt vmcnt(0)
	v_lshlrev_b32_e32 v2, 16, v2
	s_delay_alu instid0(VALU_DEP_1)
	v_cvt_i32_f32_e32 v2, v2
	s_branch .LBB440_447
.LBB440_443:
	s_mov_b32 s16, -1
                                        ; implicit-def: $vgpr2
	s_branch .LBB440_448
.LBB440_444:
	s_or_saveexec_b32 s16, s16
	v_mov_b32_e32 v2, s18
	s_xor_b32 exec_lo, exec_lo, s16
	s_cbranch_execz .LBB440_425
.LBB440_445:
	v_cmp_ne_u16_e32 vcc_lo, 0, v3
	v_mov_b32_e32 v2, 0
	s_and_not1_b32 s0, s0, exec_lo
	s_and_b32 s18, vcc_lo, exec_lo
	s_delay_alu instid0(SALU_CYCLE_1)
	s_or_b32 s0, s0, s18
	s_or_b32 exec_lo, exec_lo, s16
	s_and_saveexec_b32 s16, s0
	s_cbranch_execnz .LBB440_426
	s_branch .LBB440_427
.LBB440_446:
	s_mov_b32 s15, -1
                                        ; implicit-def: $vgpr2
.LBB440_447:
	s_mov_b32 s16, 0
.LBB440_448:
	s_delay_alu instid0(SALU_CYCLE_1)
	s_and_b32 vcc_lo, exec_lo, s16
	s_cbranch_vccz .LBB440_452
; %bb.449:
	v_cmp_eq_u16_e32 vcc_lo, 11, v5
	s_cbranch_vccz .LBB440_451
; %bb.450:
	global_load_u8 v2, v[0:1], off
	s_mov_b32 s15, 0
	s_mov_b32 s0, -1
	s_waitcnt vmcnt(0)
	v_cmp_ne_u16_e32 vcc_lo, 0, v2
	v_cndmask_b32_e64 v2, 0, 1, vcc_lo
	s_branch .LBB440_452
.LBB440_451:
	s_mov_b32 s15, -1
                                        ; implicit-def: $vgpr2
.LBB440_452:
	s_branch .LBB440_258
.LBB440_453:
	v_cmp_gt_i16_e32 vcc_lo, 5, v5
	s_cbranch_vccnz .LBB440_458
; %bb.454:
	v_cmp_gt_i16_e32 vcc_lo, 8, v5
	s_cbranch_vccnz .LBB440_459
; %bb.455:
	;; [unrolled: 3-line block ×3, first 2 shown]
	v_cmp_lt_i16_e32 vcc_lo, 9, v5
	s_cbranch_vccz .LBB440_461
; %bb.457:
	global_load_b64 v[2:3], v[0:1], off
	s_mov_b32 s0, 0
	s_waitcnt vmcnt(0)
	v_cvt_i32_f64_e32 v2, v[2:3]
	s_branch .LBB440_462
.LBB440_458:
	s_mov_b32 s0, -1
                                        ; implicit-def: $vgpr2
	s_branch .LBB440_480
.LBB440_459:
	s_mov_b32 s0, -1
                                        ; implicit-def: $vgpr2
	s_branch .LBB440_468
.LBB440_460:
	s_mov_b32 s0, -1
                                        ; implicit-def: $vgpr2
	s_branch .LBB440_465
.LBB440_461:
	s_mov_b32 s0, -1
                                        ; implicit-def: $vgpr2
.LBB440_462:
	s_delay_alu instid0(SALU_CYCLE_1)
	s_and_not1_b32 vcc_lo, exec_lo, s0
	s_cbranch_vccnz .LBB440_464
; %bb.463:
	global_load_b32 v2, v[0:1], off
	s_waitcnt vmcnt(0)
	v_cvt_i32_f32_e32 v2, v2
.LBB440_464:
	s_mov_b32 s0, 0
.LBB440_465:
	s_delay_alu instid0(SALU_CYCLE_1)
	s_and_not1_b32 vcc_lo, exec_lo, s0
	s_cbranch_vccnz .LBB440_467
; %bb.466:
	global_load_b32 v2, v[0:1], off
	s_waitcnt vmcnt(0)
	v_cvt_f32_f16_e32 v2, v2
	s_delay_alu instid0(VALU_DEP_1)
	v_cvt_i32_f32_e32 v2, v2
.LBB440_467:
	s_mov_b32 s0, 0
.LBB440_468:
	s_delay_alu instid0(SALU_CYCLE_1)
	s_and_not1_b32 vcc_lo, exec_lo, s0
	s_cbranch_vccnz .LBB440_479
; %bb.469:
	v_cmp_gt_i16_e32 vcc_lo, 6, v5
	s_cbranch_vccnz .LBB440_472
; %bb.470:
	v_cmp_lt_i16_e32 vcc_lo, 6, v5
	s_cbranch_vccz .LBB440_473
; %bb.471:
	global_load_b64 v[2:3], v[0:1], off
	s_mov_b32 s0, 0
	s_waitcnt vmcnt(0)
	v_cvt_i32_f64_e32 v2, v[2:3]
	s_branch .LBB440_474
.LBB440_472:
	s_mov_b32 s0, -1
                                        ; implicit-def: $vgpr2
	s_branch .LBB440_477
.LBB440_473:
	s_mov_b32 s0, -1
                                        ; implicit-def: $vgpr2
.LBB440_474:
	s_delay_alu instid0(SALU_CYCLE_1)
	s_and_not1_b32 vcc_lo, exec_lo, s0
	s_cbranch_vccnz .LBB440_476
; %bb.475:
	global_load_b32 v2, v[0:1], off
	s_waitcnt vmcnt(0)
	v_cvt_i32_f32_e32 v2, v2
.LBB440_476:
	s_mov_b32 s0, 0
.LBB440_477:
	s_delay_alu instid0(SALU_CYCLE_1)
	s_and_not1_b32 vcc_lo, exec_lo, s0
	s_cbranch_vccnz .LBB440_479
; %bb.478:
	global_load_u16 v2, v[0:1], off
	s_waitcnt vmcnt(0)
	v_cvt_f32_f16_e32 v2, v2
	s_delay_alu instid0(VALU_DEP_1)
	v_cvt_i32_f32_e32 v2, v2
.LBB440_479:
	s_mov_b32 s0, 0
.LBB440_480:
	s_delay_alu instid0(SALU_CYCLE_1)
	s_and_not1_b32 vcc_lo, exec_lo, s0
	s_cbranch_vccnz .LBB440_500
; %bb.481:
	v_cmp_gt_i16_e32 vcc_lo, 2, v5
	s_cbranch_vccnz .LBB440_485
; %bb.482:
	v_cmp_gt_i16_e32 vcc_lo, 3, v5
	s_cbranch_vccnz .LBB440_486
; %bb.483:
	v_cmp_lt_i16_e32 vcc_lo, 3, v5
	s_cbranch_vccz .LBB440_487
; %bb.484:
	global_load_b32 v2, v[0:1], off
	s_mov_b32 s0, 0
	s_branch .LBB440_488
.LBB440_485:
	s_mov_b32 s0, -1
                                        ; implicit-def: $vgpr2
	s_branch .LBB440_494
.LBB440_486:
	s_mov_b32 s0, -1
                                        ; implicit-def: $vgpr2
	s_branch .LBB440_491
.LBB440_487:
	s_mov_b32 s0, -1
                                        ; implicit-def: $vgpr2
.LBB440_488:
	s_delay_alu instid0(SALU_CYCLE_1)
	s_and_not1_b32 vcc_lo, exec_lo, s0
	s_cbranch_vccnz .LBB440_490
; %bb.489:
	global_load_b32 v2, v[0:1], off
.LBB440_490:
	s_mov_b32 s0, 0
.LBB440_491:
	s_delay_alu instid0(SALU_CYCLE_1)
	s_and_not1_b32 vcc_lo, exec_lo, s0
	s_cbranch_vccnz .LBB440_493
; %bb.492:
	global_load_i16 v2, v[0:1], off
.LBB440_493:
	s_mov_b32 s0, 0
.LBB440_494:
	s_delay_alu instid0(SALU_CYCLE_1)
	s_and_not1_b32 vcc_lo, exec_lo, s0
	s_cbranch_vccnz .LBB440_500
; %bb.495:
	v_cmp_lt_i16_e32 vcc_lo, 0, v5
	s_mov_b32 s0, 0
	s_cbranch_vccz .LBB440_497
; %bb.496:
	global_load_i8 v2, v[0:1], off
	s_branch .LBB440_498
.LBB440_497:
	s_mov_b32 s0, -1
                                        ; implicit-def: $vgpr2
.LBB440_498:
	s_delay_alu instid0(SALU_CYCLE_1)
	s_and_not1_b32 vcc_lo, exec_lo, s0
	s_cbranch_vccnz .LBB440_500
; %bb.499:
	global_load_u8 v2, v[0:1], off
.LBB440_500:
	s_branch .LBB440_259
.LBB440_501:
	s_mov_b32 s18, 0
	s_mov_b32 s0, s11
.LBB440_502:
                                        ; implicit-def: $vgpr4
.LBB440_503:
	s_and_not1_b32 s16, s11, exec_lo
	s_and_b32 s0, s0, exec_lo
	s_and_not1_b32 s19, s13, exec_lo
	s_and_b32 s15, s15, exec_lo
	s_or_b32 s16, s16, s0
	s_or_b32 s15, s19, s15
	s_or_not1_b32 s19, s18, exec_lo
.LBB440_504:
	s_or_b32 exec_lo, exec_lo, s17
	s_mov_b32 s18, 0
	s_mov_b32 s20, 0
	;; [unrolled: 1-line block ×3, first 2 shown]
                                        ; implicit-def: $vgpr0_vgpr1
                                        ; implicit-def: $vgpr6
	s_and_saveexec_b32 s17, s19
	s_cbranch_execz .LBB440_843
; %bb.505:
	s_mov_b32 s0, -1
	s_mov_b32 s19, s15
	s_mov_b32 s20, s16
	s_mov_b32 s18, exec_lo
	v_cmpx_gt_i32_e64 s12, v4
	s_cbranch_execz .LBB440_761
; %bb.506:
	v_mul_lo_u32 v0, v4, s9
	v_cmp_gt_i16_e32 vcc_lo, 11, v5
	s_delay_alu instid0(VALU_DEP_2) | instskip(SKIP_1) | instid1(VALU_DEP_1)
	v_ashrrev_i32_e32 v1, 31, v0
	v_add_co_u32 v0, s0, s6, v0
	v_add_co_ci_u32_e64 v1, s0, s7, v1, s0
	s_cbranch_vccnz .LBB440_513
; %bb.507:
	v_cmp_lt_i16_e32 vcc_lo, 25, v5
	s_cbranch_vccz .LBB440_514
; %bb.508:
	v_cmp_lt_i16_e32 vcc_lo, 28, v5
	s_cbranch_vccz .LBB440_515
	;; [unrolled: 3-line block ×4, first 2 shown]
; %bb.511:
	v_cmp_eq_u16_e32 vcc_lo, 46, v5
	s_mov_b32 s20, 0
	s_cbranch_vccz .LBB440_522
; %bb.512:
	global_load_b32 v2, v[0:1], off
	s_mov_b32 s0, -1
	s_mov_b32 s19, 0
	s_waitcnt vmcnt(0)
	v_lshlrev_b32_e32 v2, 16, v2
	s_delay_alu instid0(VALU_DEP_1)
	v_cvt_i32_f32_e32 v2, v2
	s_branch .LBB440_524
.LBB440_513:
	s_mov_b32 s20, -1
	s_mov_b32 s0, 0
	s_mov_b32 s19, s15
                                        ; implicit-def: $vgpr2
	s_branch .LBB440_585
.LBB440_514:
	s_mov_b32 s20, -1
	s_mov_b32 s0, 0
	s_mov_b32 s19, s15
                                        ; implicit-def: $vgpr2
	s_branch .LBB440_551
.LBB440_515:
	s_mov_b32 s20, -1
	s_mov_b32 s0, 0
	s_mov_b32 s19, s15
                                        ; implicit-def: $vgpr2
	s_branch .LBB440_534
.LBB440_516:
	s_mov_b32 s20, -1
	s_mov_b32 s0, 0
	s_mov_b32 s19, s15
                                        ; implicit-def: $vgpr2
	s_branch .LBB440_529
.LBB440_517:
	s_or_saveexec_b32 s19, s19
                                        ; implicit-def: $sgpr20
	s_delay_alu instid0(SALU_CYCLE_1)
	s_xor_b32 exec_lo, exec_lo, s19
	s_cbranch_execz .LBB440_305
.LBB440_518:
	v_add_f32_e64 v7, 0x46000000, |v1|
	s_and_not1_b32 s18, s18, exec_lo
	s_mov_b32 s20, 0
	s_delay_alu instid0(VALU_DEP_1) | instskip(NEXT) | instid1(VALU_DEP_1)
	v_and_b32_e32 v7, 0xff, v7
	v_cmp_ne_u32_e32 vcc_lo, 0, v7
	s_and_b32 s21, vcc_lo, exec_lo
	s_delay_alu instid0(SALU_CYCLE_1)
	s_or_b32 s18, s18, s21
	s_or_b32 exec_lo, exec_lo, s19
	v_mov_b32_e32 v8, s20
	s_and_saveexec_b32 s19, s18
	s_cbranch_execnz .LBB440_306
	s_branch .LBB440_307
.LBB440_519:
	s_mov_b32 s20, -1
	s_mov_b32 s0, 0
	s_mov_b32 s19, s15
	s_branch .LBB440_523
.LBB440_520:
	s_or_saveexec_b32 s19, s19
                                        ; implicit-def: $sgpr20
	s_delay_alu instid0(SALU_CYCLE_1)
	s_xor_b32 exec_lo, exec_lo, s19
	s_cbranch_execz .LBB440_318
.LBB440_521:
	v_add_f32_e64 v7, 0x42800000, |v1|
	s_and_not1_b32 s18, s18, exec_lo
	s_mov_b32 s20, 0
	s_delay_alu instid0(VALU_DEP_1) | instskip(NEXT) | instid1(VALU_DEP_1)
	v_and_b32_e32 v7, 0xff, v7
	v_cmp_ne_u32_e32 vcc_lo, 0, v7
	s_and_b32 s21, vcc_lo, exec_lo
	s_delay_alu instid0(SALU_CYCLE_1)
	s_or_b32 s18, s18, s21
	s_or_b32 exec_lo, exec_lo, s19
	v_mov_b32_e32 v8, s20
	s_and_saveexec_b32 s19, s18
	s_cbranch_execnz .LBB440_319
	s_branch .LBB440_320
.LBB440_522:
	s_mov_b32 s19, -1
	s_mov_b32 s0, 0
.LBB440_523:
                                        ; implicit-def: $vgpr2
.LBB440_524:
	s_and_b32 vcc_lo, exec_lo, s20
	s_cbranch_vccz .LBB440_528
; %bb.525:
	v_cmp_eq_u16_e32 vcc_lo, 44, v5
	s_cbranch_vccz .LBB440_527
; %bb.526:
	global_load_u8 v2, v[0:1], off
	s_mov_b32 s19, 0
	s_mov_b32 s0, -1
	s_waitcnt vmcnt(0)
	v_lshlrev_b32_e32 v3, 23, v2
	v_cmp_ne_u32_e32 vcc_lo, 0, v2
	s_delay_alu instid0(VALU_DEP_2) | instskip(NEXT) | instid1(VALU_DEP_1)
	v_cvt_i32_f32_e32 v3, v3
	v_cndmask_b32_e32 v2, 0, v3, vcc_lo
	s_branch .LBB440_528
.LBB440_527:
	s_mov_b32 s19, -1
                                        ; implicit-def: $vgpr2
.LBB440_528:
	s_mov_b32 s20, 0
.LBB440_529:
	s_delay_alu instid0(SALU_CYCLE_1)
	s_and_b32 vcc_lo, exec_lo, s20
	s_cbranch_vccz .LBB440_533
; %bb.530:
	v_cmp_eq_u16_e32 vcc_lo, 29, v5
	s_cbranch_vccz .LBB440_532
; %bb.531:
	global_load_b32 v2, v[0:1], off
	s_mov_b32 s0, -1
	s_mov_b32 s19, 0
	s_branch .LBB440_533
.LBB440_532:
	s_mov_b32 s19, -1
                                        ; implicit-def: $vgpr2
.LBB440_533:
	s_mov_b32 s20, 0
.LBB440_534:
	s_delay_alu instid0(SALU_CYCLE_1)
	s_and_b32 vcc_lo, exec_lo, s20
	s_cbranch_vccz .LBB440_550
; %bb.535:
	v_cmp_gt_i16_e32 vcc_lo, 27, v5
	s_cbranch_vccnz .LBB440_538
; %bb.536:
	v_cmp_lt_i16_e32 vcc_lo, 27, v5
	s_cbranch_vccz .LBB440_539
; %bb.537:
	global_load_b32 v2, v[0:1], off
	s_mov_b32 s0, 0
	s_branch .LBB440_540
.LBB440_538:
	s_mov_b32 s0, -1
                                        ; implicit-def: $vgpr2
	s_branch .LBB440_543
.LBB440_539:
	s_mov_b32 s0, -1
                                        ; implicit-def: $vgpr2
.LBB440_540:
	s_delay_alu instid0(SALU_CYCLE_1)
	s_and_not1_b32 vcc_lo, exec_lo, s0
	s_cbranch_vccnz .LBB440_542
; %bb.541:
	global_load_u16 v2, v[0:1], off
.LBB440_542:
	s_mov_b32 s0, 0
.LBB440_543:
	s_delay_alu instid0(SALU_CYCLE_1)
	s_and_not1_b32 vcc_lo, exec_lo, s0
	s_cbranch_vccnz .LBB440_549
; %bb.544:
	global_load_u8 v3, v[0:1], off
	s_mov_b32 s0, 0
	s_mov_b32 s20, exec_lo
                                        ; implicit-def: $sgpr21
	s_waitcnt vmcnt(0)
	v_cmpx_lt_i16_e32 0x7f, v3
	s_xor_b32 s20, exec_lo, s20
	s_cbranch_execz .LBB440_561
; %bb.545:
	v_cmp_ne_u16_e32 vcc_lo, 0x80, v3
	s_mov_b32 s21, 0
	s_and_b32 s0, vcc_lo, exec_lo
	s_or_saveexec_b32 s20, s20
	v_mov_b32_e32 v2, s21
	s_xor_b32 exec_lo, exec_lo, s20
	s_cbranch_execnz .LBB440_562
.LBB440_546:
	s_or_b32 exec_lo, exec_lo, s20
	s_and_saveexec_b32 s20, s0
	s_cbranch_execz .LBB440_548
.LBB440_547:
	v_and_b32_e32 v2, 0xffff, v3
	s_delay_alu instid0(VALU_DEP_1) | instskip(NEXT) | instid1(VALU_DEP_1)
	v_and_b32_e32 v6, 7, v2
	v_clz_i32_u32_e32 v7, v6
	s_delay_alu instid0(VALU_DEP_1) | instskip(NEXT) | instid1(VALU_DEP_1)
	v_min_u32_e32 v7, 32, v7
	v_subrev_nc_u32_e32 v8, 28, v7
	v_sub_nc_u32_e32 v7, 29, v7
	s_delay_alu instid0(VALU_DEP_2) | instskip(SKIP_1) | instid1(VALU_DEP_2)
	v_lshlrev_b32_e32 v8, v8, v2
	v_bfe_u32 v2, v2, 3, 4
	v_and_b32_e32 v8, 7, v8
	s_delay_alu instid0(VALU_DEP_2) | instskip(NEXT) | instid1(VALU_DEP_2)
	v_cmp_eq_u32_e32 vcc_lo, 0, v2
	v_dual_cndmask_b32 v6, v6, v8 :: v_dual_lshlrev_b32 v3, 24, v3
	v_cndmask_b32_e32 v2, v2, v7, vcc_lo
	s_delay_alu instid0(VALU_DEP_2) | instskip(NEXT) | instid1(VALU_DEP_3)
	v_and_b32_e32 v3, 0x80000000, v3
	v_lshlrev_b32_e32 v6, 20, v6
	s_delay_alu instid0(VALU_DEP_3) | instskip(NEXT) | instid1(VALU_DEP_1)
	v_lshl_add_u32 v2, v2, 23, 0x3b800000
	v_or3_b32 v2, v3, v2, v6
	s_delay_alu instid0(VALU_DEP_1)
	v_cvt_i32_f32_e32 v2, v2
.LBB440_548:
	s_or_b32 exec_lo, exec_lo, s20
.LBB440_549:
	s_mov_b32 s0, -1
.LBB440_550:
	s_mov_b32 s20, 0
.LBB440_551:
	s_delay_alu instid0(SALU_CYCLE_1)
	s_and_b32 vcc_lo, exec_lo, s20
	s_cbranch_vccz .LBB440_584
; %bb.552:
	v_cmp_lt_i16_e32 vcc_lo, 22, v5
	s_cbranch_vccz .LBB440_560
; %bb.553:
	v_cmp_gt_i16_e32 vcc_lo, 24, v5
	s_cbranch_vccnz .LBB440_563
; %bb.554:
	v_cmp_lt_i16_e32 vcc_lo, 24, v5
	s_cbranch_vccz .LBB440_564
; %bb.555:
	global_load_u8 v3, v[0:1], off
	s_mov_b32 s0, 0
	s_mov_b32 s20, exec_lo
                                        ; implicit-def: $sgpr21
	s_waitcnt vmcnt(0)
	v_cmpx_lt_i16_e32 0x7f, v3
	s_xor_b32 s20, exec_lo, s20
	s_cbranch_execz .LBB440_576
; %bb.556:
	v_cmp_ne_u16_e32 vcc_lo, 0x80, v3
	s_mov_b32 s21, 0
	s_and_b32 s0, vcc_lo, exec_lo
	s_or_saveexec_b32 s20, s20
	v_mov_b32_e32 v2, s21
	s_xor_b32 exec_lo, exec_lo, s20
	s_cbranch_execnz .LBB440_577
.LBB440_557:
	s_or_b32 exec_lo, exec_lo, s20
	s_and_saveexec_b32 s20, s0
	s_cbranch_execz .LBB440_559
.LBB440_558:
	v_and_b32_e32 v2, 0xffff, v3
	s_delay_alu instid0(VALU_DEP_1) | instskip(NEXT) | instid1(VALU_DEP_1)
	v_and_b32_e32 v6, 3, v2
	v_clz_i32_u32_e32 v7, v6
	s_delay_alu instid0(VALU_DEP_1) | instskip(NEXT) | instid1(VALU_DEP_1)
	v_min_u32_e32 v7, 32, v7
	v_subrev_nc_u32_e32 v8, 29, v7
	v_sub_nc_u32_e32 v7, 30, v7
	s_delay_alu instid0(VALU_DEP_2) | instskip(SKIP_1) | instid1(VALU_DEP_2)
	v_lshlrev_b32_e32 v8, v8, v2
	v_bfe_u32 v2, v2, 2, 5
	v_and_b32_e32 v8, 3, v8
	s_delay_alu instid0(VALU_DEP_2) | instskip(NEXT) | instid1(VALU_DEP_2)
	v_cmp_eq_u32_e32 vcc_lo, 0, v2
	v_dual_cndmask_b32 v6, v6, v8 :: v_dual_lshlrev_b32 v3, 24, v3
	v_cndmask_b32_e32 v2, v2, v7, vcc_lo
	s_delay_alu instid0(VALU_DEP_2) | instskip(NEXT) | instid1(VALU_DEP_3)
	v_and_b32_e32 v3, 0x80000000, v3
	v_lshlrev_b32_e32 v6, 21, v6
	s_delay_alu instid0(VALU_DEP_3) | instskip(NEXT) | instid1(VALU_DEP_1)
	v_lshl_add_u32 v2, v2, 23, 0x37800000
	v_or3_b32 v2, v3, v2, v6
	s_delay_alu instid0(VALU_DEP_1)
	v_cvt_i32_f32_e32 v2, v2
.LBB440_559:
	s_or_b32 exec_lo, exec_lo, s20
	s_mov_b32 s0, 0
	s_branch .LBB440_565
.LBB440_560:
	s_mov_b32 s20, -1
                                        ; implicit-def: $vgpr2
	s_branch .LBB440_571
.LBB440_561:
	s_or_saveexec_b32 s20, s20
	v_mov_b32_e32 v2, s21
	s_xor_b32 exec_lo, exec_lo, s20
	s_cbranch_execz .LBB440_546
.LBB440_562:
	v_cmp_ne_u16_e32 vcc_lo, 0, v3
	v_mov_b32_e32 v2, 0
	s_and_not1_b32 s0, s0, exec_lo
	s_and_b32 s21, vcc_lo, exec_lo
	s_delay_alu instid0(SALU_CYCLE_1)
	s_or_b32 s0, s0, s21
	s_or_b32 exec_lo, exec_lo, s20
	s_and_saveexec_b32 s20, s0
	s_cbranch_execnz .LBB440_547
	s_branch .LBB440_548
.LBB440_563:
	s_mov_b32 s0, -1
                                        ; implicit-def: $vgpr2
	s_branch .LBB440_568
.LBB440_564:
	s_mov_b32 s0, -1
                                        ; implicit-def: $vgpr2
.LBB440_565:
	s_delay_alu instid0(SALU_CYCLE_1)
	s_and_b32 vcc_lo, exec_lo, s0
	s_cbranch_vccz .LBB440_567
; %bb.566:
	global_load_u8 v2, v[0:1], off
	s_waitcnt vmcnt(0)
	v_lshlrev_b32_e32 v2, 24, v2
	s_delay_alu instid0(VALU_DEP_1) | instskip(NEXT) | instid1(VALU_DEP_1)
	v_and_b32_e32 v3, 0x7f000000, v2
	v_clz_i32_u32_e32 v6, v3
	v_cmp_ne_u32_e32 vcc_lo, 0, v3
	v_add_nc_u32_e32 v8, 0x1000000, v3
	s_delay_alu instid0(VALU_DEP_3) | instskip(NEXT) | instid1(VALU_DEP_1)
	v_min_u32_e32 v6, 32, v6
	v_sub_nc_u32_e64 v6, v6, 4 clamp
	s_delay_alu instid0(VALU_DEP_1) | instskip(SKIP_1) | instid1(VALU_DEP_2)
	v_lshlrev_b32_e32 v7, v6, v3
	v_lshlrev_b32_e32 v6, 23, v6
	v_lshrrev_b32_e32 v7, 4, v7
	s_delay_alu instid0(VALU_DEP_1) | instskip(SKIP_1) | instid1(VALU_DEP_2)
	v_sub_nc_u32_e32 v6, v7, v6
	v_ashrrev_i32_e32 v7, 8, v8
	v_add_nc_u32_e32 v6, 0x3c000000, v6
	s_delay_alu instid0(VALU_DEP_1) | instskip(NEXT) | instid1(VALU_DEP_1)
	v_and_or_b32 v6, 0x7f800000, v7, v6
	v_cndmask_b32_e32 v3, 0, v6, vcc_lo
	s_delay_alu instid0(VALU_DEP_1) | instskip(NEXT) | instid1(VALU_DEP_1)
	v_and_or_b32 v2, 0x80000000, v2, v3
	v_cvt_i32_f32_e32 v2, v2
.LBB440_567:
	s_mov_b32 s0, 0
.LBB440_568:
	s_delay_alu instid0(SALU_CYCLE_1)
	s_and_not1_b32 vcc_lo, exec_lo, s0
	s_cbranch_vccnz .LBB440_570
; %bb.569:
	global_load_u8 v2, v[0:1], off
	s_waitcnt vmcnt(0)
	v_lshlrev_b32_e32 v3, 25, v2
	v_lshlrev_b16 v2, 8, v2
	s_delay_alu instid0(VALU_DEP_2) | instskip(NEXT) | instid1(VALU_DEP_2)
	v_lshrrev_b32_e32 v6, 4, v3
	v_and_or_b32 v7, 0x7f00, v2, 0.5
	v_cmp_gt_u32_e32 vcc_lo, 0x8000000, v3
	v_bfe_i32 v2, v2, 0, 16
	s_delay_alu instid0(VALU_DEP_4) | instskip(NEXT) | instid1(VALU_DEP_1)
	v_or_b32_e32 v6, 0x70000000, v6
	v_dual_add_f32 v7, -0.5, v7 :: v_dual_mul_f32 v6, 0x7800000, v6
	s_delay_alu instid0(VALU_DEP_1) | instskip(NEXT) | instid1(VALU_DEP_1)
	v_cndmask_b32_e32 v3, v6, v7, vcc_lo
	v_and_or_b32 v2, 0x80000000, v2, v3
	s_delay_alu instid0(VALU_DEP_1)
	v_cvt_i32_f32_e32 v2, v2
.LBB440_570:
	s_mov_b32 s20, 0
	s_mov_b32 s0, -1
.LBB440_571:
	s_and_not1_b32 vcc_lo, exec_lo, s20
	s_cbranch_vccnz .LBB440_584
; %bb.572:
	v_cmp_lt_i16_e32 vcc_lo, 14, v5
	s_cbranch_vccz .LBB440_575
; %bb.573:
	v_cmp_eq_u16_e32 vcc_lo, 15, v5
	s_cbranch_vccz .LBB440_578
; %bb.574:
	global_load_u16 v2, v[0:1], off
	s_mov_b32 s0, -1
	s_mov_b32 s19, 0
	s_waitcnt vmcnt(0)
	v_lshlrev_b32_e32 v2, 16, v2
	s_delay_alu instid0(VALU_DEP_1)
	v_cvt_i32_f32_e32 v2, v2
	s_branch .LBB440_579
.LBB440_575:
	s_mov_b32 s20, -1
                                        ; implicit-def: $vgpr2
	s_branch .LBB440_580
.LBB440_576:
	s_or_saveexec_b32 s20, s20
	v_mov_b32_e32 v2, s21
	s_xor_b32 exec_lo, exec_lo, s20
	s_cbranch_execz .LBB440_557
.LBB440_577:
	v_cmp_ne_u16_e32 vcc_lo, 0, v3
	v_mov_b32_e32 v2, 0
	s_and_not1_b32 s0, s0, exec_lo
	s_and_b32 s21, vcc_lo, exec_lo
	s_delay_alu instid0(SALU_CYCLE_1)
	s_or_b32 s0, s0, s21
	s_or_b32 exec_lo, exec_lo, s20
	s_and_saveexec_b32 s20, s0
	s_cbranch_execnz .LBB440_558
	s_branch .LBB440_559
.LBB440_578:
	s_mov_b32 s19, -1
                                        ; implicit-def: $vgpr2
.LBB440_579:
	s_mov_b32 s20, 0
.LBB440_580:
	s_delay_alu instid0(SALU_CYCLE_1)
	s_and_b32 vcc_lo, exec_lo, s20
	s_cbranch_vccz .LBB440_584
; %bb.581:
	v_cmp_eq_u16_e32 vcc_lo, 11, v5
	s_cbranch_vccz .LBB440_583
; %bb.582:
	global_load_u8 v2, v[0:1], off
	s_mov_b32 s19, 0
	s_mov_b32 s0, -1
	s_waitcnt vmcnt(0)
	v_cmp_ne_u16_e32 vcc_lo, 0, v2
	v_cndmask_b32_e64 v2, 0, 1, vcc_lo
	s_branch .LBB440_584
.LBB440_583:
	s_mov_b32 s19, -1
                                        ; implicit-def: $vgpr2
.LBB440_584:
	s_mov_b32 s20, 0
.LBB440_585:
	s_delay_alu instid0(SALU_CYCLE_1)
	s_and_b32 vcc_lo, exec_lo, s20
	s_cbranch_vccz .LBB440_634
; %bb.586:
	v_cmp_gt_i16_e32 vcc_lo, 5, v5
	s_cbranch_vccnz .LBB440_591
; %bb.587:
	v_cmp_gt_i16_e32 vcc_lo, 8, v5
	s_cbranch_vccnz .LBB440_592
	;; [unrolled: 3-line block ×3, first 2 shown]
; %bb.589:
	v_cmp_lt_i16_e32 vcc_lo, 9, v5
	s_cbranch_vccz .LBB440_594
; %bb.590:
	global_load_b64 v[2:3], v[0:1], off
	s_mov_b32 s0, 0
	s_waitcnt vmcnt(0)
	v_cvt_i32_f64_e32 v2, v[2:3]
	s_branch .LBB440_595
.LBB440_591:
	s_mov_b32 s0, -1
                                        ; implicit-def: $vgpr2
	s_branch .LBB440_613
.LBB440_592:
	s_mov_b32 s0, -1
                                        ; implicit-def: $vgpr2
	s_branch .LBB440_601
.LBB440_593:
	s_mov_b32 s0, -1
                                        ; implicit-def: $vgpr2
	s_branch .LBB440_598
.LBB440_594:
	s_mov_b32 s0, -1
                                        ; implicit-def: $vgpr2
.LBB440_595:
	s_delay_alu instid0(SALU_CYCLE_1)
	s_and_not1_b32 vcc_lo, exec_lo, s0
	s_cbranch_vccnz .LBB440_597
; %bb.596:
	global_load_b32 v2, v[0:1], off
	s_waitcnt vmcnt(0)
	v_cvt_i32_f32_e32 v2, v2
.LBB440_597:
	s_mov_b32 s0, 0
.LBB440_598:
	s_delay_alu instid0(SALU_CYCLE_1)
	s_and_not1_b32 vcc_lo, exec_lo, s0
	s_cbranch_vccnz .LBB440_600
; %bb.599:
	global_load_b32 v2, v[0:1], off
	s_waitcnt vmcnt(0)
	v_cvt_f32_f16_e32 v2, v2
	s_delay_alu instid0(VALU_DEP_1)
	v_cvt_i32_f32_e32 v2, v2
.LBB440_600:
	s_mov_b32 s0, 0
.LBB440_601:
	s_delay_alu instid0(SALU_CYCLE_1)
	s_and_not1_b32 vcc_lo, exec_lo, s0
	s_cbranch_vccnz .LBB440_612
; %bb.602:
	v_cmp_gt_i16_e32 vcc_lo, 6, v5
	s_cbranch_vccnz .LBB440_605
; %bb.603:
	v_cmp_lt_i16_e32 vcc_lo, 6, v5
	s_cbranch_vccz .LBB440_606
; %bb.604:
	global_load_b64 v[2:3], v[0:1], off
	s_mov_b32 s0, 0
	s_waitcnt vmcnt(0)
	v_cvt_i32_f64_e32 v2, v[2:3]
	s_branch .LBB440_607
.LBB440_605:
	s_mov_b32 s0, -1
                                        ; implicit-def: $vgpr2
	s_branch .LBB440_610
.LBB440_606:
	s_mov_b32 s0, -1
                                        ; implicit-def: $vgpr2
.LBB440_607:
	s_delay_alu instid0(SALU_CYCLE_1)
	s_and_not1_b32 vcc_lo, exec_lo, s0
	s_cbranch_vccnz .LBB440_609
; %bb.608:
	global_load_b32 v2, v[0:1], off
	s_waitcnt vmcnt(0)
	v_cvt_i32_f32_e32 v2, v2
.LBB440_609:
	s_mov_b32 s0, 0
.LBB440_610:
	s_delay_alu instid0(SALU_CYCLE_1)
	s_and_not1_b32 vcc_lo, exec_lo, s0
	s_cbranch_vccnz .LBB440_612
; %bb.611:
	global_load_u16 v2, v[0:1], off
	s_waitcnt vmcnt(0)
	v_cvt_f32_f16_e32 v2, v2
	s_delay_alu instid0(VALU_DEP_1)
	v_cvt_i32_f32_e32 v2, v2
.LBB440_612:
	s_mov_b32 s0, 0
.LBB440_613:
	s_delay_alu instid0(SALU_CYCLE_1)
	s_and_not1_b32 vcc_lo, exec_lo, s0
	s_cbranch_vccnz .LBB440_633
; %bb.614:
	v_cmp_gt_i16_e32 vcc_lo, 2, v5
	s_cbranch_vccnz .LBB440_618
; %bb.615:
	v_cmp_gt_i16_e32 vcc_lo, 3, v5
	s_cbranch_vccnz .LBB440_619
; %bb.616:
	v_cmp_lt_i16_e32 vcc_lo, 3, v5
	s_cbranch_vccz .LBB440_620
; %bb.617:
	global_load_b32 v2, v[0:1], off
	s_mov_b32 s0, 0
	s_branch .LBB440_621
.LBB440_618:
	s_mov_b32 s0, -1
                                        ; implicit-def: $vgpr2
	s_branch .LBB440_627
.LBB440_619:
	s_mov_b32 s0, -1
                                        ; implicit-def: $vgpr2
	s_branch .LBB440_624
.LBB440_620:
	s_mov_b32 s0, -1
                                        ; implicit-def: $vgpr2
.LBB440_621:
	s_delay_alu instid0(SALU_CYCLE_1)
	s_and_not1_b32 vcc_lo, exec_lo, s0
	s_cbranch_vccnz .LBB440_623
; %bb.622:
	global_load_b32 v2, v[0:1], off
.LBB440_623:
	s_mov_b32 s0, 0
.LBB440_624:
	s_delay_alu instid0(SALU_CYCLE_1)
	s_and_not1_b32 vcc_lo, exec_lo, s0
	s_cbranch_vccnz .LBB440_626
; %bb.625:
	global_load_i16 v2, v[0:1], off
.LBB440_626:
	s_mov_b32 s0, 0
.LBB440_627:
	s_delay_alu instid0(SALU_CYCLE_1)
	s_and_not1_b32 vcc_lo, exec_lo, s0
	s_cbranch_vccnz .LBB440_633
; %bb.628:
	v_cmp_lt_i16_e32 vcc_lo, 0, v5
	s_mov_b32 s0, 0
	s_cbranch_vccz .LBB440_630
; %bb.629:
	global_load_i8 v2, v[0:1], off
	s_branch .LBB440_631
.LBB440_630:
	s_mov_b32 s0, -1
                                        ; implicit-def: $vgpr2
.LBB440_631:
	s_delay_alu instid0(SALU_CYCLE_1)
	s_and_not1_b32 vcc_lo, exec_lo, s0
	s_cbranch_vccnz .LBB440_633
; %bb.632:
	global_load_u8 v2, v[0:1], off
.LBB440_633:
	s_mov_b32 s0, -1
.LBB440_634:
	s_delay_alu instid0(SALU_CYCLE_1)
	s_and_not1_b32 vcc_lo, exec_lo, s0
	s_cbranch_vccnz .LBB440_642
; %bb.635:
	v_mul_lo_u32 v1, v4, s8
	v_and_b32_e64 v6, 0xff, s2
	s_waitcnt vmcnt(0)
	s_delay_alu instid0(VALU_DEP_3) | instskip(NEXT) | instid1(VALU_DEP_2)
	v_min_i32_e32 v0, s10, v2
	v_cmp_gt_i16_e32 vcc_lo, 11, v6
	s_delay_alu instid0(VALU_DEP_4) | instskip(SKIP_1) | instid1(VALU_DEP_1)
	v_ashrrev_i32_e32 v3, 31, v1
	v_add_co_u32 v2, s0, s4, v1
	v_add_co_ci_u32_e64 v3, s0, s5, v3, s0
	s_cbranch_vccnz .LBB440_643
; %bb.636:
	v_cmp_lt_i16_e32 vcc_lo, 25, v6
	s_cbranch_vccz .LBB440_644
; %bb.637:
	v_cmp_lt_i16_e32 vcc_lo, 28, v6
	s_cbranch_vccz .LBB440_645
	;; [unrolled: 3-line block ×4, first 2 shown]
; %bb.640:
	v_cmp_eq_u16_e32 vcc_lo, 46, v6
	s_mov_b32 s21, 0
	s_mov_b32 s0, -1
	s_mov_b32 s20, 0
	s_cbranch_vccz .LBB440_648
; %bb.641:
	v_cvt_f32_i32_e32 v1, v0
	s_mov_b32 s20, -1
	s_mov_b32 s0, 0
	s_delay_alu instid0(VALU_DEP_1) | instskip(NEXT) | instid1(VALU_DEP_1)
	v_bfe_u32 v7, v1, 16, 1
	v_add3_u32 v1, v1, v7, 0x7fff
	s_delay_alu instid0(VALU_DEP_1)
	v_lshrrev_b32_e32 v1, 16, v1
	global_store_b32 v[2:3], v1, off
	s_branch .LBB440_648
.LBB440_642:
	s_mov_b32 s21, 0
	s_mov_b32 s0, s16
	s_branch .LBB440_759
.LBB440_643:
	s_mov_b32 s21, -1
	s_mov_b32 s20, 0
	s_mov_b32 s0, s16
	s_branch .LBB440_717
.LBB440_644:
	s_mov_b32 s21, -1
	s_mov_b32 s20, 0
	s_mov_b32 s0, s16
	s_branch .LBB440_675
.LBB440_645:
	s_mov_b32 s21, -1
	s_mov_b32 s20, 0
	s_mov_b32 s0, s16
	s_branch .LBB440_658
.LBB440_646:
	s_mov_b32 s21, -1
	s_mov_b32 s20, 0
	s_mov_b32 s0, s16
	s_branch .LBB440_654
.LBB440_647:
	s_mov_b32 s21, -1
	s_mov_b32 s20, 0
	s_mov_b32 s0, s16
.LBB440_648:
	s_and_b32 vcc_lo, exec_lo, s21
	s_cbranch_vccz .LBB440_653
; %bb.649:
	v_cmp_eq_u16_e32 vcc_lo, 44, v6
	s_mov_b32 s0, -1
	s_cbranch_vccz .LBB440_653
; %bb.650:
	v_cvt_f32_i32_e32 v1, v0
	v_mov_b32_e32 v7, 0xff
	s_mov_b32 s20, exec_lo
	s_delay_alu instid0(VALU_DEP_2) | instskip(NEXT) | instid1(VALU_DEP_1)
	v_bfe_u32 v8, v1, 23, 8
	v_cmpx_ne_u32_e32 0xff, v8
; %bb.651:
	v_and_b32_e32 v7, 0x400000, v1
	v_and_or_b32 v8, 0x3fffff, v1, v8
	v_lshrrev_b32_e32 v1, 23, v1
	s_delay_alu instid0(VALU_DEP_3) | instskip(NEXT) | instid1(VALU_DEP_3)
	v_cmp_ne_u32_e32 vcc_lo, 0, v7
	v_cmp_ne_u32_e64 s0, 0, v8
	s_delay_alu instid0(VALU_DEP_1) | instskip(NEXT) | instid1(SALU_CYCLE_1)
	s_and_b32 s0, vcc_lo, s0
	v_cndmask_b32_e64 v7, 0, 1, s0
	s_delay_alu instid0(VALU_DEP_1)
	v_add_nc_u32_e32 v7, v1, v7
; %bb.652:
	s_or_b32 exec_lo, exec_lo, s20
	s_mov_b32 s20, -1
	s_mov_b32 s0, 0
	global_store_b8 v[2:3], v7, off
.LBB440_653:
	s_mov_b32 s21, 0
.LBB440_654:
	s_delay_alu instid0(SALU_CYCLE_1)
	s_and_b32 vcc_lo, exec_lo, s21
	s_cbranch_vccz .LBB440_657
; %bb.655:
	v_cmp_eq_u16_e32 vcc_lo, 29, v6
	s_mov_b32 s0, -1
	s_cbranch_vccz .LBB440_657
; %bb.656:
	v_ashrrev_i32_e32 v1, 31, v0
	s_mov_b32 s20, -1
	s_mov_b32 s0, 0
	s_mov_b32 s21, 0
	global_store_b64 v[2:3], v[0:1], off
	s_branch .LBB440_658
.LBB440_657:
	s_mov_b32 s21, 0
.LBB440_658:
	s_delay_alu instid0(SALU_CYCLE_1)
	s_and_b32 vcc_lo, exec_lo, s21
	s_cbranch_vccz .LBB440_674
; %bb.659:
	v_cmp_gt_i16_e32 vcc_lo, 27, v6
	s_mov_b32 s20, -1
	s_cbranch_vccnz .LBB440_665
; %bb.660:
	v_cmp_lt_i16_e32 vcc_lo, 27, v6
	s_cbranch_vccz .LBB440_662
; %bb.661:
	s_mov_b32 s20, 0
	global_store_b32 v[2:3], v0, off
.LBB440_662:
	s_and_not1_b32 vcc_lo, exec_lo, s20
	s_cbranch_vccnz .LBB440_664
; %bb.663:
	global_store_b16 v[2:3], v0, off
.LBB440_664:
	s_mov_b32 s20, 0
.LBB440_665:
	s_delay_alu instid0(SALU_CYCLE_1)
	s_and_not1_b32 vcc_lo, exec_lo, s20
	s_cbranch_vccnz .LBB440_673
; %bb.666:
	v_cvt_f32_i32_e32 v1, v0
	v_mov_b32_e32 v8, 0x80
	s_mov_b32 s20, exec_lo
	s_delay_alu instid0(VALU_DEP_2) | instskip(NEXT) | instid1(VALU_DEP_1)
	v_and_b32_e32 v7, 0x7fffffff, v1
	v_cmpx_gt_u32_e32 0x43800000, v7
	s_cbranch_execz .LBB440_672
; %bb.667:
	v_cmp_lt_u32_e32 vcc_lo, 0x3bffffff, v7
	s_mov_b32 s21, 0
                                        ; implicit-def: $vgpr7
	s_and_saveexec_b32 s22, vcc_lo
	s_delay_alu instid0(SALU_CYCLE_1)
	s_xor_b32 s22, exec_lo, s22
	s_cbranch_execz .LBB440_774
; %bb.668:
	v_bfe_u32 v7, v1, 20, 1
	s_mov_b32 s21, exec_lo
	s_delay_alu instid0(VALU_DEP_1) | instskip(NEXT) | instid1(VALU_DEP_1)
	v_add3_u32 v7, v1, v7, 0x487ffff
	v_lshrrev_b32_e32 v7, 20, v7
	s_or_saveexec_b32 s22, s22
                                        ; implicit-def: $sgpr23
	s_delay_alu instid0(SALU_CYCLE_1)
	s_xor_b32 exec_lo, exec_lo, s22
	s_cbranch_execnz .LBB440_775
.LBB440_669:
	s_or_b32 exec_lo, exec_lo, s22
	v_mov_b32_e32 v8, s23
	s_and_saveexec_b32 s22, s21
.LBB440_670:
	v_lshrrev_b32_e32 v1, 24, v1
	s_delay_alu instid0(VALU_DEP_1)
	v_and_or_b32 v8, 0x80, v1, v7
.LBB440_671:
	s_or_b32 exec_lo, exec_lo, s22
.LBB440_672:
	s_delay_alu instid0(SALU_CYCLE_1)
	s_or_b32 exec_lo, exec_lo, s20
	global_store_b8 v[2:3], v8, off
.LBB440_673:
	s_mov_b32 s20, -1
.LBB440_674:
	s_mov_b32 s21, 0
.LBB440_675:
	s_delay_alu instid0(SALU_CYCLE_1)
	s_and_b32 vcc_lo, exec_lo, s21
	s_cbranch_vccz .LBB440_716
; %bb.676:
	v_cmp_lt_i16_e32 vcc_lo, 22, v6
	s_mov_b32 s21, -1
	s_cbranch_vccz .LBB440_708
; %bb.677:
	v_cmp_gt_i16_e32 vcc_lo, 24, v6
	s_mov_b32 s20, -1
	s_cbranch_vccnz .LBB440_697
; %bb.678:
	v_cmp_lt_i16_e32 vcc_lo, 24, v6
	s_cbranch_vccz .LBB440_686
; %bb.679:
	v_cvt_f32_i32_e32 v1, v0
	v_mov_b32_e32 v8, 0x80
	s_mov_b32 s20, exec_lo
	s_delay_alu instid0(VALU_DEP_2) | instskip(NEXT) | instid1(VALU_DEP_1)
	v_and_b32_e32 v7, 0x7fffffff, v1
	v_cmpx_gt_u32_e32 0x47800000, v7
	s_cbranch_execz .LBB440_685
; %bb.680:
	v_cmp_lt_u32_e32 vcc_lo, 0x37ffffff, v7
	s_mov_b32 s21, 0
                                        ; implicit-def: $vgpr7
	s_and_saveexec_b32 s22, vcc_lo
	s_delay_alu instid0(SALU_CYCLE_1)
	s_xor_b32 s22, exec_lo, s22
	s_cbranch_execz .LBB440_777
; %bb.681:
	v_bfe_u32 v7, v1, 21, 1
	s_mov_b32 s21, exec_lo
	s_delay_alu instid0(VALU_DEP_1) | instskip(NEXT) | instid1(VALU_DEP_1)
	v_add3_u32 v7, v1, v7, 0x88fffff
	v_lshrrev_b32_e32 v7, 21, v7
	s_or_saveexec_b32 s22, s22
                                        ; implicit-def: $sgpr23
	s_delay_alu instid0(SALU_CYCLE_1)
	s_xor_b32 exec_lo, exec_lo, s22
	s_cbranch_execnz .LBB440_778
.LBB440_682:
	s_or_b32 exec_lo, exec_lo, s22
	v_mov_b32_e32 v8, s23
	s_and_saveexec_b32 s22, s21
.LBB440_683:
	v_lshrrev_b32_e32 v1, 24, v1
	s_delay_alu instid0(VALU_DEP_1)
	v_and_or_b32 v8, 0x80, v1, v7
.LBB440_684:
	s_or_b32 exec_lo, exec_lo, s22
.LBB440_685:
	s_delay_alu instid0(SALU_CYCLE_1)
	s_or_b32 exec_lo, exec_lo, s20
	s_mov_b32 s20, 0
	global_store_b8 v[2:3], v8, off
.LBB440_686:
	s_and_b32 vcc_lo, exec_lo, s20
	s_cbranch_vccz .LBB440_696
; %bb.687:
	v_cvt_f32_i32_e32 v1, v0
	s_mov_b32 s20, exec_lo
                                        ; implicit-def: $vgpr7
	s_delay_alu instid0(VALU_DEP_1) | instskip(NEXT) | instid1(VALU_DEP_1)
	v_and_b32_e32 v8, 0x7fffffff, v1
	v_cmpx_gt_u32_e32 0x43f00000, v8
	s_xor_b32 s20, exec_lo, s20
	s_cbranch_execz .LBB440_693
; %bb.688:
	s_mov_b32 s21, exec_lo
                                        ; implicit-def: $vgpr7
	v_cmpx_lt_u32_e32 0x3c7fffff, v8
	s_xor_b32 s21, exec_lo, s21
; %bb.689:
	v_bfe_u32 v7, v1, 20, 1
	s_delay_alu instid0(VALU_DEP_1) | instskip(NEXT) | instid1(VALU_DEP_1)
	v_add3_u32 v7, v1, v7, 0x407ffff
	v_and_b32_e32 v8, 0xff00000, v7
	v_lshrrev_b32_e32 v7, 20, v7
	s_delay_alu instid0(VALU_DEP_2) | instskip(NEXT) | instid1(VALU_DEP_2)
	v_cmp_ne_u32_e32 vcc_lo, 0x7f00000, v8
	v_cndmask_b32_e32 v7, 0x7e, v7, vcc_lo
; %bb.690:
	s_and_not1_saveexec_b32 s21, s21
; %bb.691:
	v_add_f32_e64 v7, 0x46800000, |v1|
; %bb.692:
	s_or_b32 exec_lo, exec_lo, s21
                                        ; implicit-def: $vgpr8
.LBB440_693:
	s_and_not1_saveexec_b32 s20, s20
; %bb.694:
	v_mov_b32_e32 v7, 0x7f
	v_cmp_lt_u32_e32 vcc_lo, 0x7f800000, v8
	s_delay_alu instid0(VALU_DEP_2)
	v_cndmask_b32_e32 v7, 0x7e, v7, vcc_lo
; %bb.695:
	s_or_b32 exec_lo, exec_lo, s20
	v_lshrrev_b32_e32 v1, 24, v1
	s_delay_alu instid0(VALU_DEP_1)
	v_and_or_b32 v1, 0x80, v1, v7
	global_store_b8 v[2:3], v1, off
.LBB440_696:
	s_mov_b32 s20, 0
.LBB440_697:
	s_delay_alu instid0(SALU_CYCLE_1)
	s_and_not1_b32 vcc_lo, exec_lo, s20
	s_cbranch_vccnz .LBB440_707
; %bb.698:
	v_cvt_f32_i32_e32 v1, v0
	s_mov_b32 s20, exec_lo
                                        ; implicit-def: $vgpr7
	s_delay_alu instid0(VALU_DEP_1) | instskip(NEXT) | instid1(VALU_DEP_1)
	v_and_b32_e32 v8, 0x7fffffff, v1
	v_cmpx_gt_u32_e32 0x47800000, v8
	s_xor_b32 s20, exec_lo, s20
	s_cbranch_execz .LBB440_704
; %bb.699:
	s_mov_b32 s21, exec_lo
                                        ; implicit-def: $vgpr7
	v_cmpx_lt_u32_e32 0x387fffff, v8
	s_xor_b32 s21, exec_lo, s21
; %bb.700:
	v_bfe_u32 v7, v1, 21, 1
	s_delay_alu instid0(VALU_DEP_1) | instskip(NEXT) | instid1(VALU_DEP_1)
	v_add3_u32 v7, v1, v7, 0x80fffff
	v_lshrrev_b32_e32 v7, 21, v7
; %bb.701:
	s_and_not1_saveexec_b32 s21, s21
; %bb.702:
	v_add_f32_e64 v7, 0x43000000, |v1|
; %bb.703:
	s_or_b32 exec_lo, exec_lo, s21
                                        ; implicit-def: $vgpr8
.LBB440_704:
	s_and_not1_saveexec_b32 s20, s20
; %bb.705:
	v_mov_b32_e32 v7, 0x7f
	v_cmp_lt_u32_e32 vcc_lo, 0x7f800000, v8
	s_delay_alu instid0(VALU_DEP_2)
	v_cndmask_b32_e32 v7, 0x7c, v7, vcc_lo
; %bb.706:
	s_or_b32 exec_lo, exec_lo, s20
	v_lshrrev_b32_e32 v1, 24, v1
	s_delay_alu instid0(VALU_DEP_1)
	v_and_or_b32 v1, 0x80, v1, v7
	global_store_b8 v[2:3], v1, off
.LBB440_707:
	s_mov_b32 s21, 0
	s_mov_b32 s20, -1
.LBB440_708:
	s_and_not1_b32 vcc_lo, exec_lo, s21
	s_cbranch_vccnz .LBB440_716
; %bb.709:
	v_cmp_lt_i16_e32 vcc_lo, 14, v6
	s_mov_b32 s21, -1
	s_cbranch_vccz .LBB440_713
; %bb.710:
	v_cmp_eq_u16_e32 vcc_lo, 15, v6
	s_mov_b32 s0, -1
	s_cbranch_vccz .LBB440_712
; %bb.711:
	v_cvt_f32_i32_e32 v1, v0
	s_mov_b32 s20, -1
	s_mov_b32 s0, 0
	s_delay_alu instid0(VALU_DEP_1) | instskip(NEXT) | instid1(VALU_DEP_1)
	v_bfe_u32 v7, v1, 16, 1
	v_add3_u32 v1, v1, v7, 0x7fff
	global_store_d16_hi_b16 v[2:3], v1, off
.LBB440_712:
	s_mov_b32 s21, 0
.LBB440_713:
	s_delay_alu instid0(SALU_CYCLE_1)
	s_and_b32 vcc_lo, exec_lo, s21
	s_cbranch_vccz .LBB440_716
; %bb.714:
	v_cmp_eq_u16_e32 vcc_lo, 11, v6
	s_mov_b32 s0, -1
	s_cbranch_vccz .LBB440_716
; %bb.715:
	v_cmp_ne_u32_e32 vcc_lo, 0, v0
	s_mov_b32 s0, 0
	s_mov_b32 s20, -1
	v_cndmask_b32_e64 v1, 0, 1, vcc_lo
	global_store_b8 v[2:3], v1, off
.LBB440_716:
	s_mov_b32 s21, 0
.LBB440_717:
	s_delay_alu instid0(SALU_CYCLE_1)
	s_and_b32 vcc_lo, exec_lo, s21
	s_cbranch_vccz .LBB440_756
; %bb.718:
	v_cmp_gt_i16_e32 vcc_lo, 5, v6
	s_mov_b32 s20, -1
	s_cbranch_vccnz .LBB440_739
; %bb.719:
	v_cmp_gt_i16_e32 vcc_lo, 8, v6
	s_cbranch_vccnz .LBB440_729
; %bb.720:
	v_cmp_gt_i16_e32 vcc_lo, 9, v6
	s_cbranch_vccnz .LBB440_726
; %bb.721:
	v_cmp_lt_i16_e32 vcc_lo, 9, v6
	s_cbranch_vccz .LBB440_723
; %bb.722:
	v_cvt_f64_i32_e32 v[7:8], v0
	v_mov_b32_e32 v9, 0
	s_mov_b32 s20, 0
	s_delay_alu instid0(VALU_DEP_1)
	v_mov_b32_e32 v10, v9
	global_store_b128 v[2:3], v[7:10], off
.LBB440_723:
	s_and_not1_b32 vcc_lo, exec_lo, s20
	s_cbranch_vccnz .LBB440_725
; %bb.724:
	v_cvt_f32_i32_e32 v7, v0
	v_mov_b32_e32 v8, 0
	global_store_b64 v[2:3], v[7:8], off
.LBB440_725:
	s_mov_b32 s20, 0
.LBB440_726:
	s_delay_alu instid0(SALU_CYCLE_1)
	s_and_not1_b32 vcc_lo, exec_lo, s20
	s_cbranch_vccnz .LBB440_728
; %bb.727:
	v_cvt_f32_i32_e32 v1, v0
	s_delay_alu instid0(VALU_DEP_1) | instskip(NEXT) | instid1(VALU_DEP_1)
	v_cvt_f16_f32_e32 v1, v1
	v_and_b32_e32 v1, 0xffff, v1
	global_store_b32 v[2:3], v1, off
.LBB440_728:
	s_mov_b32 s20, 0
.LBB440_729:
	s_delay_alu instid0(SALU_CYCLE_1)
	s_and_not1_b32 vcc_lo, exec_lo, s20
	s_cbranch_vccnz .LBB440_738
; %bb.730:
	v_cmp_gt_i16_e32 vcc_lo, 6, v6
	s_mov_b32 s20, -1
	s_cbranch_vccnz .LBB440_736
; %bb.731:
	v_cmp_lt_i16_e32 vcc_lo, 6, v6
	s_cbranch_vccz .LBB440_733
; %bb.732:
	v_cvt_f64_i32_e32 v[7:8], v0
	s_mov_b32 s20, 0
	global_store_b64 v[2:3], v[7:8], off
.LBB440_733:
	s_and_not1_b32 vcc_lo, exec_lo, s20
	s_cbranch_vccnz .LBB440_735
; %bb.734:
	v_cvt_f32_i32_e32 v1, v0
	global_store_b32 v[2:3], v1, off
.LBB440_735:
	s_mov_b32 s20, 0
.LBB440_736:
	s_delay_alu instid0(SALU_CYCLE_1)
	s_and_not1_b32 vcc_lo, exec_lo, s20
	s_cbranch_vccnz .LBB440_738
; %bb.737:
	v_cvt_f32_i32_e32 v1, v0
	s_delay_alu instid0(VALU_DEP_1)
	v_cvt_f16_f32_e32 v1, v1
	global_store_b16 v[2:3], v1, off
.LBB440_738:
	s_mov_b32 s20, 0
.LBB440_739:
	s_delay_alu instid0(SALU_CYCLE_1)
	s_and_not1_b32 vcc_lo, exec_lo, s20
	s_cbranch_vccnz .LBB440_755
; %bb.740:
	v_cmp_gt_i16_e32 vcc_lo, 2, v6
	s_mov_b32 s20, -1
	s_cbranch_vccnz .LBB440_750
; %bb.741:
	v_cmp_gt_i16_e32 vcc_lo, 3, v6
	s_cbranch_vccnz .LBB440_747
; %bb.742:
	v_cmp_lt_i16_e32 vcc_lo, 3, v6
	s_cbranch_vccz .LBB440_744
; %bb.743:
	v_ashrrev_i32_e32 v1, 31, v0
	s_mov_b32 s20, 0
	global_store_b64 v[2:3], v[0:1], off
.LBB440_744:
	s_and_not1_b32 vcc_lo, exec_lo, s20
	s_cbranch_vccnz .LBB440_746
; %bb.745:
	global_store_b32 v[2:3], v0, off
.LBB440_746:
	s_mov_b32 s20, 0
.LBB440_747:
	s_delay_alu instid0(SALU_CYCLE_1)
	s_and_not1_b32 vcc_lo, exec_lo, s20
	s_cbranch_vccnz .LBB440_749
; %bb.748:
	global_store_b16 v[2:3], v0, off
.LBB440_749:
	s_mov_b32 s20, 0
.LBB440_750:
	s_delay_alu instid0(SALU_CYCLE_1)
	s_and_not1_b32 vcc_lo, exec_lo, s20
	s_cbranch_vccnz .LBB440_755
; %bb.751:
	v_cmp_lt_i16_e32 vcc_lo, 0, v6
	s_mov_b32 s20, -1
	s_cbranch_vccz .LBB440_753
; %bb.752:
	s_mov_b32 s20, 0
	global_store_b8 v[2:3], v0, off
.LBB440_753:
	s_and_not1_b32 vcc_lo, exec_lo, s20
	s_cbranch_vccnz .LBB440_755
; %bb.754:
	global_store_b8 v[2:3], v0, off
.LBB440_755:
	s_mov_b32 s20, -1
.LBB440_756:
	s_delay_alu instid0(SALU_CYCLE_1)
	s_and_not1_b32 vcc_lo, exec_lo, s20
	s_cbranch_vccnz .LBB440_758
; %bb.757:
	v_add_nc_u32_e32 v4, 0x80, v4
	s_mov_b32 s21, -1
	s_branch .LBB440_760
.LBB440_758:
	s_mov_b32 s21, 0
.LBB440_759:
                                        ; implicit-def: $vgpr4
.LBB440_760:
	s_and_not1_b32 s20, s16, exec_lo
	s_and_b32 s0, s0, exec_lo
	s_and_not1_b32 s22, s15, exec_lo
	s_and_b32 s19, s19, exec_lo
	s_or_b32 s20, s20, s0
	s_or_b32 s19, s22, s19
	s_or_not1_b32 s0, s21, exec_lo
.LBB440_761:
	s_or_b32 exec_lo, exec_lo, s18
	s_mov_b32 s21, 0
	s_mov_b32 s22, 0
	;; [unrolled: 1-line block ×3, first 2 shown]
                                        ; implicit-def: $vgpr0_vgpr1
                                        ; implicit-def: $vgpr6
	s_and_saveexec_b32 s18, s0
	s_cbranch_execz .LBB440_842
; %bb.762:
	v_cmp_gt_i32_e32 vcc_lo, s12, v4
	s_mov_b32 s0, 0
	s_mov_b32 s21, s19
                                        ; implicit-def: $vgpr0_vgpr1
                                        ; implicit-def: $vgpr6
	s_and_saveexec_b32 s12, vcc_lo
	s_cbranch_execz .LBB440_841
; %bb.763:
	v_mul_lo_u32 v0, v4, s9
	v_cmp_gt_i16_e32 vcc_lo, 11, v5
	s_delay_alu instid0(VALU_DEP_2) | instskip(SKIP_1) | instid1(VALU_DEP_1)
	v_ashrrev_i32_e32 v1, 31, v0
	v_add_co_u32 v0, s0, s6, v0
	v_add_co_ci_u32_e64 v1, s0, s7, v1, s0
	s_cbranch_vccnz .LBB440_770
; %bb.764:
	v_cmp_lt_i16_e32 vcc_lo, 25, v5
	s_mov_b32 s21, 0
	s_cbranch_vccz .LBB440_771
; %bb.765:
	v_cmp_lt_i16_e32 vcc_lo, 28, v5
	s_cbranch_vccz .LBB440_772
; %bb.766:
	v_cmp_lt_i16_e32 vcc_lo, 43, v5
	;; [unrolled: 3-line block ×3, first 2 shown]
	s_cbranch_vccz .LBB440_776
; %bb.768:
	v_cmp_eq_u16_e32 vcc_lo, 46, v5
	s_cbranch_vccz .LBB440_779
; %bb.769:
	global_load_b32 v2, v[0:1], off
	s_mov_b32 s0, 0
	s_mov_b32 s22, -1
	s_waitcnt vmcnt(0)
	v_lshlrev_b32_e32 v2, 16, v2
	s_delay_alu instid0(VALU_DEP_1)
	v_cvt_i32_f32_e32 v6, v2
	s_branch .LBB440_781
.LBB440_770:
	s_mov_b32 s24, -1
	s_mov_b32 s21, 0
	s_mov_b32 s0, s19
                                        ; implicit-def: $vgpr6
	s_branch .LBB440_840
.LBB440_771:
	s_mov_b32 s23, -1
	s_mov_b32 s0, s19
                                        ; implicit-def: $vgpr6
	s_branch .LBB440_808
.LBB440_772:
	s_mov_b32 s23, -1
	s_mov_b32 s0, s19
                                        ; implicit-def: $vgpr6
	s_branch .LBB440_791
.LBB440_773:
	s_mov_b32 s23, -1
	s_mov_b32 s0, s19
                                        ; implicit-def: $vgpr6
	s_branch .LBB440_786
.LBB440_774:
	s_or_saveexec_b32 s22, s22
                                        ; implicit-def: $sgpr23
	s_delay_alu instid0(SALU_CYCLE_1)
	s_xor_b32 exec_lo, exec_lo, s22
	s_cbranch_execz .LBB440_669
.LBB440_775:
	v_add_f32_e64 v7, 0x46000000, |v1|
	s_and_not1_b32 s21, s21, exec_lo
	s_mov_b32 s23, 0
	s_delay_alu instid0(VALU_DEP_1) | instskip(NEXT) | instid1(VALU_DEP_1)
	v_and_b32_e32 v7, 0xff, v7
	v_cmp_ne_u32_e32 vcc_lo, 0, v7
	s_and_b32 s24, vcc_lo, exec_lo
	s_delay_alu instid0(SALU_CYCLE_1)
	s_or_b32 s21, s21, s24
	s_or_b32 exec_lo, exec_lo, s22
	v_mov_b32_e32 v8, s23
	s_and_saveexec_b32 s22, s21
	s_cbranch_execnz .LBB440_670
	s_branch .LBB440_671
.LBB440_776:
	s_mov_b32 s23, -1
	s_mov_b32 s0, s19
	s_branch .LBB440_780
.LBB440_777:
	s_or_saveexec_b32 s22, s22
                                        ; implicit-def: $sgpr23
	s_delay_alu instid0(SALU_CYCLE_1)
	s_xor_b32 exec_lo, exec_lo, s22
	s_cbranch_execz .LBB440_682
.LBB440_778:
	v_add_f32_e64 v7, 0x42800000, |v1|
	s_and_not1_b32 s21, s21, exec_lo
	s_mov_b32 s23, 0
	s_delay_alu instid0(VALU_DEP_1) | instskip(NEXT) | instid1(VALU_DEP_1)
	v_and_b32_e32 v7, 0xff, v7
	v_cmp_ne_u32_e32 vcc_lo, 0, v7
	s_and_b32 s24, vcc_lo, exec_lo
	s_delay_alu instid0(SALU_CYCLE_1)
	s_or_b32 s21, s21, s24
	s_or_b32 exec_lo, exec_lo, s22
	v_mov_b32_e32 v8, s23
	s_and_saveexec_b32 s22, s21
	s_cbranch_execnz .LBB440_683
	s_branch .LBB440_684
.LBB440_779:
	s_mov_b32 s0, -1
.LBB440_780:
                                        ; implicit-def: $vgpr6
.LBB440_781:
	s_and_b32 vcc_lo, exec_lo, s23
	s_cbranch_vccz .LBB440_785
; %bb.782:
	v_cmp_eq_u16_e32 vcc_lo, 44, v5
	s_cbranch_vccz .LBB440_784
; %bb.783:
	global_load_u8 v2, v[0:1], off
	s_mov_b32 s0, 0
	s_mov_b32 s22, -1
	s_waitcnt vmcnt(0)
	v_lshlrev_b32_e32 v3, 23, v2
	v_cmp_ne_u32_e32 vcc_lo, 0, v2
	s_delay_alu instid0(VALU_DEP_2) | instskip(NEXT) | instid1(VALU_DEP_1)
	v_cvt_i32_f32_e32 v3, v3
	v_cndmask_b32_e32 v6, 0, v3, vcc_lo
	s_branch .LBB440_785
.LBB440_784:
	s_mov_b32 s0, -1
                                        ; implicit-def: $vgpr6
.LBB440_785:
	s_mov_b32 s23, 0
.LBB440_786:
	s_delay_alu instid0(SALU_CYCLE_1)
	s_and_b32 vcc_lo, exec_lo, s23
	s_cbranch_vccz .LBB440_790
; %bb.787:
	v_cmp_eq_u16_e32 vcc_lo, 29, v5
	s_cbranch_vccz .LBB440_789
; %bb.788:
	global_load_b32 v6, v[0:1], off
	s_mov_b32 s0, 0
	s_mov_b32 s22, -1
	s_branch .LBB440_790
.LBB440_789:
	s_mov_b32 s0, -1
                                        ; implicit-def: $vgpr6
.LBB440_790:
	s_mov_b32 s23, 0
.LBB440_791:
	s_delay_alu instid0(SALU_CYCLE_1)
	s_and_b32 vcc_lo, exec_lo, s23
	s_cbranch_vccz .LBB440_807
; %bb.792:
	v_cmp_gt_i16_e32 vcc_lo, 27, v5
	s_cbranch_vccnz .LBB440_795
; %bb.793:
	v_cmp_lt_i16_e32 vcc_lo, 27, v5
	s_cbranch_vccz .LBB440_796
; %bb.794:
	global_load_b32 v6, v[0:1], off
	s_mov_b32 s22, 0
	s_branch .LBB440_797
.LBB440_795:
	s_mov_b32 s22, -1
                                        ; implicit-def: $vgpr6
	s_branch .LBB440_800
.LBB440_796:
	s_mov_b32 s22, -1
                                        ; implicit-def: $vgpr6
.LBB440_797:
	s_delay_alu instid0(SALU_CYCLE_1)
	s_and_not1_b32 vcc_lo, exec_lo, s22
	s_cbranch_vccnz .LBB440_799
; %bb.798:
	global_load_u16 v6, v[0:1], off
.LBB440_799:
	s_mov_b32 s22, 0
.LBB440_800:
	s_delay_alu instid0(SALU_CYCLE_1)
	s_and_not1_b32 vcc_lo, exec_lo, s22
	s_cbranch_vccnz .LBB440_806
; %bb.801:
	global_load_u8 v2, v[0:1], off
	s_mov_b32 s22, 0
	s_mov_b32 s23, exec_lo
                                        ; implicit-def: $sgpr24
	s_waitcnt vmcnt(0)
	v_cmpx_lt_i16_e32 0x7f, v2
	s_xor_b32 s23, exec_lo, s23
	s_cbranch_execz .LBB440_818
; %bb.802:
	v_cmp_ne_u16_e32 vcc_lo, 0x80, v2
	s_mov_b32 s24, 0
	s_and_b32 s22, vcc_lo, exec_lo
	s_or_saveexec_b32 s23, s23
	v_mov_b32_e32 v6, s24
	s_xor_b32 exec_lo, exec_lo, s23
	s_cbranch_execnz .LBB440_819
.LBB440_803:
	s_or_b32 exec_lo, exec_lo, s23
	s_and_saveexec_b32 s23, s22
	s_cbranch_execz .LBB440_805
.LBB440_804:
	v_and_b32_e32 v3, 0xffff, v2
	v_lshlrev_b32_e32 v2, 24, v2
	s_delay_alu instid0(VALU_DEP_2) | instskip(NEXT) | instid1(VALU_DEP_2)
	v_and_b32_e32 v6, 7, v3
	v_and_b32_e32 v2, 0x80000000, v2
	s_delay_alu instid0(VALU_DEP_2) | instskip(NEXT) | instid1(VALU_DEP_1)
	v_clz_i32_u32_e32 v7, v6
	v_min_u32_e32 v7, 32, v7
	s_delay_alu instid0(VALU_DEP_1) | instskip(SKIP_1) | instid1(VALU_DEP_2)
	v_subrev_nc_u32_e32 v8, 28, v7
	v_sub_nc_u32_e32 v7, 29, v7
	v_lshlrev_b32_e32 v8, v8, v3
	v_bfe_u32 v3, v3, 3, 4
	s_delay_alu instid0(VALU_DEP_1) | instskip(NEXT) | instid1(VALU_DEP_3)
	v_cmp_eq_u32_e32 vcc_lo, 0, v3
	v_dual_cndmask_b32 v3, v3, v7 :: v_dual_and_b32 v8, 7, v8
	s_delay_alu instid0(VALU_DEP_1) | instskip(NEXT) | instid1(VALU_DEP_2)
	v_cndmask_b32_e32 v6, v6, v8, vcc_lo
	v_lshl_add_u32 v3, v3, 23, 0x3b800000
	s_delay_alu instid0(VALU_DEP_2) | instskip(NEXT) | instid1(VALU_DEP_1)
	v_lshlrev_b32_e32 v6, 20, v6
	v_or3_b32 v2, v2, v3, v6
	s_delay_alu instid0(VALU_DEP_1)
	v_cvt_i32_f32_e32 v6, v2
.LBB440_805:
	s_or_b32 exec_lo, exec_lo, s23
.LBB440_806:
	s_mov_b32 s22, -1
.LBB440_807:
	s_mov_b32 s23, 0
.LBB440_808:
	s_delay_alu instid0(SALU_CYCLE_1)
	s_and_b32 vcc_lo, exec_lo, s23
	s_cbranch_vccz .LBB440_839
; %bb.809:
	v_cmp_lt_i16_e32 vcc_lo, 22, v5
	s_cbranch_vccz .LBB440_817
; %bb.810:
	v_cmp_gt_i16_e32 vcc_lo, 24, v5
	s_cbranch_vccnz .LBB440_820
; %bb.811:
	v_cmp_lt_i16_e32 vcc_lo, 24, v5
	s_cbranch_vccz .LBB440_821
; %bb.812:
	global_load_u8 v2, v[0:1], off
	s_mov_b32 s22, exec_lo
                                        ; implicit-def: $sgpr23
	s_waitcnt vmcnt(0)
	v_cmpx_lt_i16_e32 0x7f, v2
	s_xor_b32 s22, exec_lo, s22
	s_cbranch_execz .LBB440_833
; %bb.813:
	v_cmp_ne_u16_e32 vcc_lo, 0x80, v2
	s_mov_b32 s23, 0
	s_and_b32 s21, vcc_lo, exec_lo
	s_or_saveexec_b32 s22, s22
	v_mov_b32_e32 v6, s23
	s_xor_b32 exec_lo, exec_lo, s22
	s_cbranch_execnz .LBB440_834
.LBB440_814:
	s_or_b32 exec_lo, exec_lo, s22
	s_and_saveexec_b32 s22, s21
	s_cbranch_execz .LBB440_816
.LBB440_815:
	v_and_b32_e32 v3, 0xffff, v2
	v_lshlrev_b32_e32 v2, 24, v2
	s_delay_alu instid0(VALU_DEP_2) | instskip(NEXT) | instid1(VALU_DEP_2)
	v_and_b32_e32 v6, 3, v3
	v_and_b32_e32 v2, 0x80000000, v2
	s_delay_alu instid0(VALU_DEP_2) | instskip(NEXT) | instid1(VALU_DEP_1)
	v_clz_i32_u32_e32 v7, v6
	v_min_u32_e32 v7, 32, v7
	s_delay_alu instid0(VALU_DEP_1) | instskip(SKIP_1) | instid1(VALU_DEP_2)
	v_subrev_nc_u32_e32 v8, 29, v7
	v_sub_nc_u32_e32 v7, 30, v7
	v_lshlrev_b32_e32 v8, v8, v3
	v_bfe_u32 v3, v3, 2, 5
	s_delay_alu instid0(VALU_DEP_1) | instskip(NEXT) | instid1(VALU_DEP_3)
	v_cmp_eq_u32_e32 vcc_lo, 0, v3
	v_dual_cndmask_b32 v3, v3, v7 :: v_dual_and_b32 v8, 3, v8
	s_delay_alu instid0(VALU_DEP_1) | instskip(NEXT) | instid1(VALU_DEP_2)
	v_cndmask_b32_e32 v6, v6, v8, vcc_lo
	v_lshl_add_u32 v3, v3, 23, 0x37800000
	s_delay_alu instid0(VALU_DEP_2) | instskip(NEXT) | instid1(VALU_DEP_1)
	v_lshlrev_b32_e32 v6, 21, v6
	v_or3_b32 v2, v2, v3, v6
	s_delay_alu instid0(VALU_DEP_1)
	v_cvt_i32_f32_e32 v6, v2
.LBB440_816:
	s_or_b32 exec_lo, exec_lo, s22
	s_mov_b32 s21, 0
	s_branch .LBB440_822
.LBB440_817:
	s_mov_b32 s21, -1
                                        ; implicit-def: $vgpr6
	s_branch .LBB440_828
.LBB440_818:
	s_or_saveexec_b32 s23, s23
	v_mov_b32_e32 v6, s24
	s_xor_b32 exec_lo, exec_lo, s23
	s_cbranch_execz .LBB440_803
.LBB440_819:
	v_cmp_ne_u16_e32 vcc_lo, 0, v2
	v_mov_b32_e32 v6, 0
	s_and_not1_b32 s22, s22, exec_lo
	s_and_b32 s24, vcc_lo, exec_lo
	s_delay_alu instid0(SALU_CYCLE_1)
	s_or_b32 s22, s22, s24
	s_or_b32 exec_lo, exec_lo, s23
	s_and_saveexec_b32 s23, s22
	s_cbranch_execnz .LBB440_804
	s_branch .LBB440_805
.LBB440_820:
	s_mov_b32 s21, -1
                                        ; implicit-def: $vgpr6
	s_branch .LBB440_825
.LBB440_821:
	s_mov_b32 s21, -1
                                        ; implicit-def: $vgpr6
.LBB440_822:
	s_delay_alu instid0(SALU_CYCLE_1)
	s_and_b32 vcc_lo, exec_lo, s21
	s_cbranch_vccz .LBB440_824
; %bb.823:
	global_load_u8 v2, v[0:1], off
	s_waitcnt vmcnt(0)
	v_lshlrev_b32_e32 v2, 24, v2
	s_delay_alu instid0(VALU_DEP_1) | instskip(NEXT) | instid1(VALU_DEP_1)
	v_and_b32_e32 v3, 0x7f000000, v2
	v_clz_i32_u32_e32 v6, v3
	v_cmp_ne_u32_e32 vcc_lo, 0, v3
	v_add_nc_u32_e32 v8, 0x1000000, v3
	s_delay_alu instid0(VALU_DEP_3) | instskip(NEXT) | instid1(VALU_DEP_1)
	v_min_u32_e32 v6, 32, v6
	v_sub_nc_u32_e64 v6, v6, 4 clamp
	s_delay_alu instid0(VALU_DEP_1) | instskip(SKIP_1) | instid1(VALU_DEP_2)
	v_lshlrev_b32_e32 v7, v6, v3
	v_lshlrev_b32_e32 v6, 23, v6
	v_lshrrev_b32_e32 v7, 4, v7
	s_delay_alu instid0(VALU_DEP_1) | instskip(SKIP_1) | instid1(VALU_DEP_2)
	v_sub_nc_u32_e32 v6, v7, v6
	v_ashrrev_i32_e32 v7, 8, v8
	v_add_nc_u32_e32 v6, 0x3c000000, v6
	s_delay_alu instid0(VALU_DEP_1) | instskip(NEXT) | instid1(VALU_DEP_1)
	v_and_or_b32 v6, 0x7f800000, v7, v6
	v_cndmask_b32_e32 v3, 0, v6, vcc_lo
	s_delay_alu instid0(VALU_DEP_1) | instskip(NEXT) | instid1(VALU_DEP_1)
	v_and_or_b32 v2, 0x80000000, v2, v3
	v_cvt_i32_f32_e32 v6, v2
.LBB440_824:
	s_mov_b32 s21, 0
.LBB440_825:
	s_delay_alu instid0(SALU_CYCLE_1)
	s_and_not1_b32 vcc_lo, exec_lo, s21
	s_cbranch_vccnz .LBB440_827
; %bb.826:
	global_load_u8 v2, v[0:1], off
	s_waitcnt vmcnt(0)
	v_lshlrev_b32_e32 v3, 25, v2
	v_lshlrev_b16 v2, 8, v2
	s_delay_alu instid0(VALU_DEP_2) | instskip(NEXT) | instid1(VALU_DEP_2)
	v_lshrrev_b32_e32 v6, 4, v3
	v_and_or_b32 v7, 0x7f00, v2, 0.5
	v_cmp_gt_u32_e32 vcc_lo, 0x8000000, v3
	v_bfe_i32 v2, v2, 0, 16
	s_delay_alu instid0(VALU_DEP_4) | instskip(NEXT) | instid1(VALU_DEP_1)
	v_or_b32_e32 v6, 0x70000000, v6
	v_dual_add_f32 v7, -0.5, v7 :: v_dual_mul_f32 v6, 0x7800000, v6
	s_delay_alu instid0(VALU_DEP_1) | instskip(NEXT) | instid1(VALU_DEP_1)
	v_cndmask_b32_e32 v3, v6, v7, vcc_lo
	v_and_or_b32 v2, 0x80000000, v2, v3
	s_delay_alu instid0(VALU_DEP_1)
	v_cvt_i32_f32_e32 v6, v2
.LBB440_827:
	s_mov_b32 s21, 0
	s_mov_b32 s22, -1
.LBB440_828:
	s_and_not1_b32 vcc_lo, exec_lo, s21
	s_mov_b32 s21, 0
	s_cbranch_vccnz .LBB440_839
; %bb.829:
	v_cmp_lt_i16_e32 vcc_lo, 14, v5
	s_cbranch_vccz .LBB440_832
; %bb.830:
	v_cmp_eq_u16_e32 vcc_lo, 15, v5
	s_cbranch_vccz .LBB440_835
; %bb.831:
	global_load_u16 v2, v[0:1], off
	s_mov_b32 s0, 0
	s_mov_b32 s22, -1
	s_waitcnt vmcnt(0)
	v_lshlrev_b32_e32 v2, 16, v2
	s_delay_alu instid0(VALU_DEP_1)
	v_cvt_i32_f32_e32 v6, v2
	s_branch .LBB440_837
.LBB440_832:
	s_mov_b32 s21, -1
	s_branch .LBB440_836
.LBB440_833:
	s_or_saveexec_b32 s22, s22
	v_mov_b32_e32 v6, s23
	s_xor_b32 exec_lo, exec_lo, s22
	s_cbranch_execz .LBB440_814
.LBB440_834:
	v_cmp_ne_u16_e32 vcc_lo, 0, v2
	v_mov_b32_e32 v6, 0
	s_and_not1_b32 s21, s21, exec_lo
	s_and_b32 s23, vcc_lo, exec_lo
	s_delay_alu instid0(SALU_CYCLE_1)
	s_or_b32 s21, s21, s23
	s_or_b32 exec_lo, exec_lo, s22
	s_and_saveexec_b32 s22, s21
	s_cbranch_execnz .LBB440_815
	s_branch .LBB440_816
.LBB440_835:
	s_mov_b32 s0, -1
.LBB440_836:
                                        ; implicit-def: $vgpr6
.LBB440_837:
	s_and_b32 vcc_lo, exec_lo, s21
	s_mov_b32 s21, 0
	s_cbranch_vccz .LBB440_839
; %bb.838:
	v_cmp_ne_u16_e32 vcc_lo, 11, v5
	s_and_not1_b32 s0, s0, exec_lo
	s_mov_b32 s21, -1
                                        ; implicit-def: $vgpr6
	s_and_b32 s23, vcc_lo, exec_lo
	s_delay_alu instid0(SALU_CYCLE_1)
	s_or_b32 s0, s0, s23
.LBB440_839:
	s_mov_b32 s24, 0
.LBB440_840:
	s_and_b32 s23, s22, exec_lo
	s_and_b32 s22, s24, exec_lo
	s_and_not1_b32 s24, s19, exec_lo
	s_and_b32 s25, s0, exec_lo
	s_and_b32 s0, s21, exec_lo
	s_or_b32 s21, s24, s25
.LBB440_841:
	s_or_b32 exec_lo, exec_lo, s12
	s_delay_alu instid0(SALU_CYCLE_1)
	s_and_not1_b32 s12, s19, exec_lo
	s_and_b32 s19, s21, exec_lo
	s_and_b32 s23, s23, exec_lo
	;; [unrolled: 1-line block ×4, first 2 shown]
	s_or_b32 s19, s12, s19
.LBB440_842:
	s_or_b32 exec_lo, exec_lo, s18
	s_delay_alu instid0(SALU_CYCLE_1)
	s_and_not1_b32 s0, s16, exec_lo
	s_and_b32 s12, s20, exec_lo
	s_and_b32 s20, s22, exec_lo
	s_or_b32 s16, s0, s12
	s_and_not1_b32 s12, s15, exec_lo
	s_and_b32 s15, s19, exec_lo
	s_and_b32 s0, s23, exec_lo
	;; [unrolled: 1-line block ×3, first 2 shown]
	s_or_b32 s15, s12, s15
.LBB440_843:
	s_or_b32 exec_lo, exec_lo, s17
	s_delay_alu instid0(SALU_CYCLE_1)
	s_and_not1_b32 s11, s11, exec_lo
	s_and_b32 s12, s16, exec_lo
	s_and_b32 s0, s0, exec_lo
	s_or_b32 s11, s11, s12
	s_and_not1_b32 s12, s13, exec_lo
	s_and_b32 s13, s15, exec_lo
	s_and_b32 s16, s20, exec_lo
	s_and_b32 s15, s18, exec_lo
	s_or_b32 s13, s12, s13
.LBB440_844:
	s_or_b32 exec_lo, exec_lo, s14
	s_mov_b32 s12, 0
	s_and_saveexec_b32 s14, s13
	s_cbranch_execnz .LBB440_856
; %bb.845:
	s_or_b32 exec_lo, exec_lo, s14
	s_and_saveexec_b32 s13, s15
	s_delay_alu instid0(SALU_CYCLE_1)
	s_xor_b32 s13, exec_lo, s13
	s_cbranch_execz .LBB440_847
.LBB440_846:
	global_load_u8 v2, v[0:1], off
	s_or_b32 s0, s0, exec_lo
	s_waitcnt vmcnt(0)
	v_cmp_ne_u16_e32 vcc_lo, 0, v2
	v_cndmask_b32_e64 v6, 0, 1, vcc_lo
.LBB440_847:
	s_or_b32 exec_lo, exec_lo, s13
	s_and_saveexec_b32 s13, s16
	s_cbranch_execz .LBB440_895
; %bb.848:
	v_cmp_gt_i16_e32 vcc_lo, 5, v5
	s_cbranch_vccnz .LBB440_853
; %bb.849:
	v_cmp_gt_i16_e32 vcc_lo, 8, v5
	s_cbranch_vccnz .LBB440_854
; %bb.850:
	v_cmp_gt_i16_e32 vcc_lo, 9, v5
	s_cbranch_vccnz .LBB440_855
; %bb.851:
	v_cmp_lt_i16_e32 vcc_lo, 9, v5
	s_cbranch_vccz .LBB440_858
; %bb.852:
	global_load_b64 v[2:3], v[0:1], off
	s_mov_b32 s14, 0
	s_waitcnt vmcnt(0)
	v_cvt_i32_f64_e32 v6, v[2:3]
	s_branch .LBB440_859
.LBB440_853:
                                        ; implicit-def: $vgpr6
	s_branch .LBB440_876
.LBB440_854:
                                        ; implicit-def: $vgpr6
	s_branch .LBB440_865
.LBB440_855:
	s_mov_b32 s14, -1
                                        ; implicit-def: $vgpr6
	s_branch .LBB440_862
.LBB440_856:
	s_cbranch_execnz .LBB440_904
; %bb.857:
	s_mov_b32 s12, exec_lo
	s_and_not1_b32 s15, s15, exec_lo
                                        ; implicit-def: $vgpr6
	s_or_b32 exec_lo, exec_lo, s14
	s_and_saveexec_b32 s13, s15
	s_delay_alu instid0(SALU_CYCLE_1)
	s_xor_b32 s13, exec_lo, s13
	s_cbranch_execnz .LBB440_846
	s_branch .LBB440_847
.LBB440_858:
	s_mov_b32 s14, -1
                                        ; implicit-def: $vgpr6
.LBB440_859:
	s_delay_alu instid0(SALU_CYCLE_1)
	s_and_not1_b32 vcc_lo, exec_lo, s14
	s_cbranch_vccnz .LBB440_861
; %bb.860:
	global_load_b32 v2, v[0:1], off
	s_waitcnt vmcnt(0)
	v_cvt_i32_f32_e32 v6, v2
.LBB440_861:
	s_mov_b32 s14, 0
.LBB440_862:
	s_delay_alu instid0(SALU_CYCLE_1)
	s_and_not1_b32 vcc_lo, exec_lo, s14
	s_cbranch_vccnz .LBB440_864
; %bb.863:
	global_load_b32 v2, v[0:1], off
	s_waitcnt vmcnt(0)
	v_cvt_f32_f16_e32 v2, v2
	s_delay_alu instid0(VALU_DEP_1)
	v_cvt_i32_f32_e32 v6, v2
.LBB440_864:
	s_cbranch_execnz .LBB440_875
.LBB440_865:
	v_cmp_gt_i16_e32 vcc_lo, 6, v5
	s_cbranch_vccnz .LBB440_868
; %bb.866:
	v_cmp_lt_i16_e32 vcc_lo, 6, v5
	s_cbranch_vccz .LBB440_869
; %bb.867:
	global_load_b64 v[2:3], v[0:1], off
	s_mov_b32 s14, 0
	s_waitcnt vmcnt(0)
	v_cvt_i32_f64_e32 v6, v[2:3]
	s_branch .LBB440_870
.LBB440_868:
	s_mov_b32 s14, -1
                                        ; implicit-def: $vgpr6
	s_branch .LBB440_873
.LBB440_869:
	s_mov_b32 s14, -1
                                        ; implicit-def: $vgpr6
.LBB440_870:
	s_delay_alu instid0(SALU_CYCLE_1)
	s_and_not1_b32 vcc_lo, exec_lo, s14
	s_cbranch_vccnz .LBB440_872
; %bb.871:
	global_load_b32 v2, v[0:1], off
	s_waitcnt vmcnt(0)
	v_cvt_i32_f32_e32 v6, v2
.LBB440_872:
	s_mov_b32 s14, 0
.LBB440_873:
	s_delay_alu instid0(SALU_CYCLE_1)
	s_and_not1_b32 vcc_lo, exec_lo, s14
	s_cbranch_vccnz .LBB440_875
; %bb.874:
	global_load_u16 v2, v[0:1], off
	s_waitcnt vmcnt(0)
	v_cvt_f32_f16_e32 v2, v2
	s_delay_alu instid0(VALU_DEP_1)
	v_cvt_i32_f32_e32 v6, v2
.LBB440_875:
	s_cbranch_execnz .LBB440_894
.LBB440_876:
	v_cmp_gt_i16_e32 vcc_lo, 2, v5
	s_cbranch_vccnz .LBB440_880
; %bb.877:
	v_cmp_gt_i16_e32 vcc_lo, 3, v5
	s_cbranch_vccnz .LBB440_881
; %bb.878:
	v_cmp_lt_i16_e32 vcc_lo, 3, v5
	s_cbranch_vccz .LBB440_882
; %bb.879:
	global_load_b32 v6, v[0:1], off
	s_mov_b32 s14, 0
	s_branch .LBB440_883
.LBB440_880:
                                        ; implicit-def: $vgpr6
	s_branch .LBB440_889
.LBB440_881:
	s_mov_b32 s14, -1
                                        ; implicit-def: $vgpr6
	s_branch .LBB440_886
.LBB440_882:
	s_mov_b32 s14, -1
                                        ; implicit-def: $vgpr6
.LBB440_883:
	s_delay_alu instid0(SALU_CYCLE_1)
	s_and_not1_b32 vcc_lo, exec_lo, s14
	s_cbranch_vccnz .LBB440_885
; %bb.884:
	global_load_b32 v6, v[0:1], off
.LBB440_885:
	s_mov_b32 s14, 0
.LBB440_886:
	s_delay_alu instid0(SALU_CYCLE_1)
	s_and_not1_b32 vcc_lo, exec_lo, s14
	s_cbranch_vccnz .LBB440_888
; %bb.887:
	global_load_i16 v6, v[0:1], off
.LBB440_888:
	s_cbranch_execnz .LBB440_894
.LBB440_889:
	v_cmp_lt_i16_e32 vcc_lo, 0, v5
	s_mov_b32 s14, 0
	s_cbranch_vccz .LBB440_891
; %bb.890:
	global_load_i8 v6, v[0:1], off
	s_branch .LBB440_892
.LBB440_891:
	s_mov_b32 s14, -1
                                        ; implicit-def: $vgpr6
.LBB440_892:
	s_delay_alu instid0(SALU_CYCLE_1)
	s_and_not1_b32 vcc_lo, exec_lo, s14
	s_cbranch_vccnz .LBB440_894
; %bb.893:
	global_load_u8 v6, v[0:1], off
.LBB440_894:
	s_or_b32 s0, s0, exec_lo
.LBB440_895:
	s_or_b32 exec_lo, exec_lo, s13
	s_mov_b32 s15, 0
	s_mov_b32 s14, 0
                                        ; implicit-def: $vgpr5
                                        ; implicit-def: $vgpr2_vgpr3
                                        ; implicit-def: $vgpr0
	s_and_saveexec_b32 s13, s0
	s_cbranch_execz .LBB440_975
; %bb.896:
	v_mul_lo_u32 v1, v4, s8
	v_and_b32_e64 v5, 0xff, s2
	s_waitcnt vmcnt(0)
	s_delay_alu instid0(VALU_DEP_3) | instskip(NEXT) | instid1(VALU_DEP_2)
	v_min_i32_e32 v0, s10, v6
	v_cmp_gt_i16_e32 vcc_lo, 11, v5
	s_delay_alu instid0(VALU_DEP_4) | instskip(SKIP_1) | instid1(VALU_DEP_1)
	v_ashrrev_i32_e32 v3, 31, v1
	v_add_co_u32 v2, s0, s4, v1
	v_add_co_ci_u32_e64 v3, s0, s5, v3, s0
	s_cbranch_vccnz .LBB440_903
; %bb.897:
	v_cmp_lt_i16_e32 vcc_lo, 25, v5
	s_mov_b32 s14, -1
	s_mov_b32 s0, s11
	s_cbranch_vccz .LBB440_933
; %bb.898:
	v_cmp_lt_i16_e32 vcc_lo, 28, v5
	s_mov_b32 s0, s11
	s_cbranch_vccz .LBB440_917
; %bb.899:
	v_cmp_lt_i16_e32 vcc_lo, 43, v5
	;; [unrolled: 4-line block ×3, first 2 shown]
	s_mov_b32 s0, s11
	s_cbranch_vccz .LBB440_907
; %bb.901:
	v_cmp_eq_u16_e32 vcc_lo, 46, v5
	s_mov_b32 s0, -1
	s_cbranch_vccz .LBB440_906
; %bb.902:
	v_cvt_f32_i32_e32 v1, v0
	s_mov_b32 s0, 0
	s_mov_b32 s14, 0
	s_delay_alu instid0(VALU_DEP_1) | instskip(NEXT) | instid1(VALU_DEP_1)
	v_bfe_u32 v4, v1, 16, 1
	v_add3_u32 v1, v1, v4, 0x7fff
	s_delay_alu instid0(VALU_DEP_1)
	v_lshrrev_b32_e32 v1, 16, v1
	global_store_b32 v[2:3], v1, off
	s_branch .LBB440_907
.LBB440_903:
	s_mov_b32 s14, -1
	s_mov_b32 s0, s11
	s_branch .LBB440_974
.LBB440_904:
	s_trap 2
	s_sendmsg_rtn_b32 s0, sendmsg(MSG_RTN_GET_DOORBELL)
	s_mov_b32 ttmp2, m0
	s_waitcnt lgkmcnt(0)
	s_and_b32 s0, s0, 0x3ff
	s_delay_alu instid0(SALU_CYCLE_1) | instskip(NEXT) | instid1(SALU_CYCLE_1)
	s_bitset1_b32 s0, 10
	s_mov_b32 m0, s0
	s_sendmsg sendmsg(MSG_INTERRUPT)
	s_mov_b32 m0, ttmp2
.LBB440_905:                            ; =>This Inner Loop Header: Depth=1
	s_sethalt 5
	s_branch .LBB440_905
.LBB440_906:
	s_mov_b32 s14, 0
.LBB440_907:
	s_delay_alu instid0(SALU_CYCLE_1)
	s_and_b32 vcc_lo, exec_lo, s14
	s_cbranch_vccz .LBB440_912
; %bb.908:
	v_cmp_eq_u16_e32 vcc_lo, 44, v5
	s_mov_b32 s0, -1
	s_cbranch_vccz .LBB440_912
; %bb.909:
	v_cvt_f32_i32_e32 v1, v0
	v_mov_b32_e32 v4, 0xff
	s_mov_b32 s14, exec_lo
	s_delay_alu instid0(VALU_DEP_2) | instskip(NEXT) | instid1(VALU_DEP_1)
	v_bfe_u32 v6, v1, 23, 8
	v_cmpx_ne_u32_e32 0xff, v6
; %bb.910:
	v_and_b32_e32 v4, 0x400000, v1
	v_and_or_b32 v6, 0x3fffff, v1, v6
	v_lshrrev_b32_e32 v1, 23, v1
	s_delay_alu instid0(VALU_DEP_3) | instskip(NEXT) | instid1(VALU_DEP_3)
	v_cmp_ne_u32_e32 vcc_lo, 0, v4
	v_cmp_ne_u32_e64 s0, 0, v6
	s_delay_alu instid0(VALU_DEP_1) | instskip(NEXT) | instid1(SALU_CYCLE_1)
	s_and_b32 s0, vcc_lo, s0
	v_cndmask_b32_e64 v4, 0, 1, s0
	s_delay_alu instid0(VALU_DEP_1)
	v_add_nc_u32_e32 v4, v1, v4
; %bb.911:
	s_or_b32 exec_lo, exec_lo, s14
	s_mov_b32 s0, 0
	global_store_b8 v[2:3], v4, off
.LBB440_912:
	s_mov_b32 s14, 0
.LBB440_913:
	s_delay_alu instid0(SALU_CYCLE_1)
	s_and_b32 vcc_lo, exec_lo, s14
	s_cbranch_vccz .LBB440_916
; %bb.914:
	v_cmp_eq_u16_e32 vcc_lo, 29, v5
	s_mov_b32 s0, -1
	s_cbranch_vccz .LBB440_916
; %bb.915:
	v_ashrrev_i32_e32 v1, 31, v0
	s_mov_b32 s0, 0
	s_mov_b32 s14, 0
	global_store_b64 v[2:3], v[0:1], off
	s_branch .LBB440_917
.LBB440_916:
	s_mov_b32 s14, 0
.LBB440_917:
	s_delay_alu instid0(SALU_CYCLE_1)
	s_and_b32 vcc_lo, exec_lo, s14
	s_cbranch_vccz .LBB440_932
; %bb.918:
	v_cmp_gt_i16_e32 vcc_lo, 27, v5
	s_mov_b32 s14, -1
	s_cbranch_vccnz .LBB440_924
; %bb.919:
	v_cmp_lt_i16_e32 vcc_lo, 27, v5
	s_cbranch_vccz .LBB440_921
; %bb.920:
	s_mov_b32 s14, 0
	global_store_b32 v[2:3], v0, off
.LBB440_921:
	s_and_not1_b32 vcc_lo, exec_lo, s14
	s_cbranch_vccnz .LBB440_923
; %bb.922:
	global_store_b16 v[2:3], v0, off
.LBB440_923:
	s_mov_b32 s14, 0
.LBB440_924:
	s_delay_alu instid0(SALU_CYCLE_1)
	s_and_not1_b32 vcc_lo, exec_lo, s14
	s_cbranch_vccnz .LBB440_932
; %bb.925:
	v_cvt_f32_i32_e32 v1, v0
	v_mov_b32_e32 v6, 0x80
	s_mov_b32 s14, exec_lo
	s_delay_alu instid0(VALU_DEP_2) | instskip(NEXT) | instid1(VALU_DEP_1)
	v_and_b32_e32 v4, 0x7fffffff, v1
	v_cmpx_gt_u32_e32 0x43800000, v4
	s_cbranch_execz .LBB440_931
; %bb.926:
	v_cmp_lt_u32_e32 vcc_lo, 0x3bffffff, v4
                                        ; implicit-def: $vgpr4
	s_and_saveexec_b32 s16, vcc_lo
	s_delay_alu instid0(SALU_CYCLE_1)
	s_xor_b32 s16, exec_lo, s16
	s_cbranch_execz .LBB440_1161
; %bb.927:
	v_bfe_u32 v4, v1, 20, 1
	s_mov_b32 s15, exec_lo
	s_delay_alu instid0(VALU_DEP_1) | instskip(NEXT) | instid1(VALU_DEP_1)
	v_add3_u32 v4, v1, v4, 0x487ffff
	v_lshrrev_b32_e32 v4, 20, v4
	s_or_saveexec_b32 s16, s16
                                        ; implicit-def: $sgpr17
	s_delay_alu instid0(SALU_CYCLE_1)
	s_xor_b32 exec_lo, exec_lo, s16
	s_cbranch_execnz .LBB440_1162
.LBB440_928:
	s_or_b32 exec_lo, exec_lo, s16
	v_mov_b32_e32 v6, s17
	s_and_saveexec_b32 s16, s15
.LBB440_929:
	v_lshrrev_b32_e32 v1, 24, v1
	s_delay_alu instid0(VALU_DEP_1)
	v_and_or_b32 v6, 0x80, v1, v4
.LBB440_930:
	s_or_b32 exec_lo, exec_lo, s16
.LBB440_931:
	s_delay_alu instid0(SALU_CYCLE_1)
	s_or_b32 exec_lo, exec_lo, s14
	global_store_b8 v[2:3], v6, off
.LBB440_932:
	s_mov_b32 s14, 0
.LBB440_933:
	s_delay_alu instid0(SALU_CYCLE_1)
	s_and_b32 vcc_lo, exec_lo, s14
	s_mov_b32 s14, 0
	s_cbranch_vccz .LBB440_973
; %bb.934:
	v_cmp_lt_i16_e32 vcc_lo, 22, v5
	s_mov_b32 s15, -1
	s_cbranch_vccz .LBB440_966
; %bb.935:
	v_cmp_gt_i16_e32 vcc_lo, 24, v5
	s_cbranch_vccnz .LBB440_955
; %bb.936:
	v_cmp_lt_i16_e32 vcc_lo, 24, v5
	s_cbranch_vccz .LBB440_944
; %bb.937:
	v_cvt_f32_i32_e32 v1, v0
	v_mov_b32_e32 v6, 0x80
	s_mov_b32 s15, exec_lo
	s_delay_alu instid0(VALU_DEP_2) | instskip(NEXT) | instid1(VALU_DEP_1)
	v_and_b32_e32 v4, 0x7fffffff, v1
	v_cmpx_gt_u32_e32 0x47800000, v4
	s_cbranch_execz .LBB440_943
; %bb.938:
	v_cmp_lt_u32_e32 vcc_lo, 0x37ffffff, v4
	s_mov_b32 s16, 0
                                        ; implicit-def: $vgpr4
	s_and_saveexec_b32 s17, vcc_lo
	s_delay_alu instid0(SALU_CYCLE_1)
	s_xor_b32 s17, exec_lo, s17
	s_cbranch_execz .LBB440_1205
; %bb.939:
	v_bfe_u32 v4, v1, 21, 1
	s_mov_b32 s16, exec_lo
	s_delay_alu instid0(VALU_DEP_1) | instskip(NEXT) | instid1(VALU_DEP_1)
	v_add3_u32 v4, v1, v4, 0x88fffff
	v_lshrrev_b32_e32 v4, 21, v4
	s_or_saveexec_b32 s17, s17
                                        ; implicit-def: $sgpr18
	s_delay_alu instid0(SALU_CYCLE_1)
	s_xor_b32 exec_lo, exec_lo, s17
	s_cbranch_execnz .LBB440_1206
.LBB440_940:
	s_or_b32 exec_lo, exec_lo, s17
	v_mov_b32_e32 v6, s18
	s_and_saveexec_b32 s17, s16
.LBB440_941:
	v_lshrrev_b32_e32 v1, 24, v1
	s_delay_alu instid0(VALU_DEP_1)
	v_and_or_b32 v6, 0x80, v1, v4
.LBB440_942:
	s_or_b32 exec_lo, exec_lo, s17
.LBB440_943:
	s_delay_alu instid0(SALU_CYCLE_1)
	s_or_b32 exec_lo, exec_lo, s15
	s_mov_b32 s15, 0
	global_store_b8 v[2:3], v6, off
.LBB440_944:
	s_and_b32 vcc_lo, exec_lo, s15
	s_cbranch_vccz .LBB440_954
; %bb.945:
	v_cvt_f32_i32_e32 v1, v0
	s_mov_b32 s15, exec_lo
                                        ; implicit-def: $vgpr4
	s_delay_alu instid0(VALU_DEP_1) | instskip(NEXT) | instid1(VALU_DEP_1)
	v_and_b32_e32 v6, 0x7fffffff, v1
	v_cmpx_gt_u32_e32 0x43f00000, v6
	s_xor_b32 s15, exec_lo, s15
	s_cbranch_execz .LBB440_951
; %bb.946:
	s_mov_b32 s16, exec_lo
                                        ; implicit-def: $vgpr4
	v_cmpx_lt_u32_e32 0x3c7fffff, v6
	s_xor_b32 s16, exec_lo, s16
; %bb.947:
	v_bfe_u32 v4, v1, 20, 1
	s_delay_alu instid0(VALU_DEP_1) | instskip(NEXT) | instid1(VALU_DEP_1)
	v_add3_u32 v4, v1, v4, 0x407ffff
	v_and_b32_e32 v6, 0xff00000, v4
	v_lshrrev_b32_e32 v4, 20, v4
	s_delay_alu instid0(VALU_DEP_2) | instskip(NEXT) | instid1(VALU_DEP_2)
	v_cmp_ne_u32_e32 vcc_lo, 0x7f00000, v6
	v_cndmask_b32_e32 v4, 0x7e, v4, vcc_lo
; %bb.948:
	s_and_not1_saveexec_b32 s16, s16
; %bb.949:
	v_add_f32_e64 v4, 0x46800000, |v1|
; %bb.950:
	s_or_b32 exec_lo, exec_lo, s16
                                        ; implicit-def: $vgpr6
.LBB440_951:
	s_and_not1_saveexec_b32 s15, s15
; %bb.952:
	v_mov_b32_e32 v4, 0x7f
	v_cmp_lt_u32_e32 vcc_lo, 0x7f800000, v6
	s_delay_alu instid0(VALU_DEP_2)
	v_cndmask_b32_e32 v4, 0x7e, v4, vcc_lo
; %bb.953:
	s_or_b32 exec_lo, exec_lo, s15
	v_lshrrev_b32_e32 v1, 24, v1
	s_delay_alu instid0(VALU_DEP_1)
	v_and_or_b32 v1, 0x80, v1, v4
	global_store_b8 v[2:3], v1, off
.LBB440_954:
	s_mov_b32 s15, 0
.LBB440_955:
	s_delay_alu instid0(SALU_CYCLE_1)
	s_and_not1_b32 vcc_lo, exec_lo, s15
	s_cbranch_vccnz .LBB440_965
; %bb.956:
	v_cvt_f32_i32_e32 v1, v0
	s_mov_b32 s15, exec_lo
                                        ; implicit-def: $vgpr4
	s_delay_alu instid0(VALU_DEP_1) | instskip(NEXT) | instid1(VALU_DEP_1)
	v_and_b32_e32 v6, 0x7fffffff, v1
	v_cmpx_gt_u32_e32 0x47800000, v6
	s_xor_b32 s15, exec_lo, s15
	s_cbranch_execz .LBB440_962
; %bb.957:
	s_mov_b32 s16, exec_lo
                                        ; implicit-def: $vgpr4
	v_cmpx_lt_u32_e32 0x387fffff, v6
	s_xor_b32 s16, exec_lo, s16
; %bb.958:
	v_bfe_u32 v4, v1, 21, 1
	s_delay_alu instid0(VALU_DEP_1) | instskip(NEXT) | instid1(VALU_DEP_1)
	v_add3_u32 v4, v1, v4, 0x80fffff
	v_lshrrev_b32_e32 v4, 21, v4
; %bb.959:
	s_and_not1_saveexec_b32 s16, s16
; %bb.960:
	v_add_f32_e64 v4, 0x43000000, |v1|
; %bb.961:
	s_or_b32 exec_lo, exec_lo, s16
                                        ; implicit-def: $vgpr6
.LBB440_962:
	s_and_not1_saveexec_b32 s15, s15
; %bb.963:
	v_mov_b32_e32 v4, 0x7f
	v_cmp_lt_u32_e32 vcc_lo, 0x7f800000, v6
	s_delay_alu instid0(VALU_DEP_2)
	v_cndmask_b32_e32 v4, 0x7c, v4, vcc_lo
; %bb.964:
	s_or_b32 exec_lo, exec_lo, s15
	v_lshrrev_b32_e32 v1, 24, v1
	s_delay_alu instid0(VALU_DEP_1)
	v_and_or_b32 v1, 0x80, v1, v4
	global_store_b8 v[2:3], v1, off
.LBB440_965:
	s_mov_b32 s15, 0
.LBB440_966:
	s_delay_alu instid0(SALU_CYCLE_1)
	s_and_not1_b32 vcc_lo, exec_lo, s15
	s_mov_b32 s15, 0
	s_cbranch_vccnz .LBB440_974
; %bb.967:
	v_cmp_lt_i16_e32 vcc_lo, 14, v5
	s_mov_b32 s15, -1
	s_cbranch_vccz .LBB440_971
; %bb.968:
	v_cmp_eq_u16_e32 vcc_lo, 15, v5
	s_mov_b32 s0, -1
	s_cbranch_vccz .LBB440_970
; %bb.969:
	v_cvt_f32_i32_e32 v1, v0
	s_mov_b32 s0, 0
	s_delay_alu instid0(VALU_DEP_1) | instskip(NEXT) | instid1(VALU_DEP_1)
	v_bfe_u32 v4, v1, 16, 1
	v_add3_u32 v1, v1, v4, 0x7fff
	global_store_d16_hi_b16 v[2:3], v1, off
.LBB440_970:
	s_mov_b32 s15, 0
.LBB440_971:
	s_delay_alu instid0(SALU_CYCLE_1)
	s_and_b32 vcc_lo, exec_lo, s15
	s_mov_b32 s15, 0
	s_cbranch_vccz .LBB440_974
; %bb.972:
	v_cmp_ne_u16_e32 vcc_lo, 11, v5
	s_and_not1_b32 s0, s0, exec_lo
	s_mov_b32 s15, -1
	s_and_b32 s16, vcc_lo, exec_lo
	s_delay_alu instid0(SALU_CYCLE_1)
	s_or_b32 s0, s0, s16
	s_branch .LBB440_974
.LBB440_973:
	s_mov_b32 s15, 0
.LBB440_974:
	s_and_not1_b32 s11, s11, exec_lo
	s_and_b32 s0, s0, exec_lo
	s_and_b32 s14, s14, exec_lo
	;; [unrolled: 1-line block ×3, first 2 shown]
	s_or_b32 s11, s11, s0
.LBB440_975:
	s_or_b32 exec_lo, exec_lo, s13
	s_and_saveexec_b32 s0, s11
	s_cbranch_execnz .LBB440_1037
; %bb.976:
	s_or_b32 exec_lo, exec_lo, s0
	s_and_saveexec_b32 s0, s15
	s_delay_alu instid0(SALU_CYCLE_1)
	s_xor_b32 s0, exec_lo, s0
	s_cbranch_execz .LBB440_978
.LBB440_977:
	v_cmp_ne_u32_e32 vcc_lo, 0, v0
	v_cndmask_b32_e64 v1, 0, 1, vcc_lo
	s_waitcnt vmcnt(0)
	global_store_b8 v[2:3], v1, off
.LBB440_978:
	s_or_b32 exec_lo, exec_lo, s0
	s_and_saveexec_b32 s0, s14
	s_delay_alu instid0(SALU_CYCLE_1)
	s_xor_b32 s0, exec_lo, s0
	s_cbranch_execz .LBB440_1016
; %bb.979:
	v_cmp_gt_i16_e32 vcc_lo, 5, v5
	s_mov_b32 s11, -1
	s_cbranch_vccnz .LBB440_1000
; %bb.980:
	v_cmp_gt_i16_e32 vcc_lo, 8, v5
	s_cbranch_vccnz .LBB440_990
; %bb.981:
	v_cmp_gt_i16_e32 vcc_lo, 9, v5
	s_cbranch_vccnz .LBB440_987
; %bb.982:
	v_cmp_lt_i16_e32 vcc_lo, 9, v5
	s_cbranch_vccz .LBB440_984
; %bb.983:
	s_waitcnt vmcnt(0)
	v_cvt_f64_i32_e32 v[6:7], v0
	v_mov_b32_e32 v8, 0
	s_mov_b32 s11, 0
	s_delay_alu instid0(VALU_DEP_1)
	v_mov_b32_e32 v9, v8
	global_store_b128 v[2:3], v[6:9], off
.LBB440_984:
	s_and_not1_b32 vcc_lo, exec_lo, s11
	s_cbranch_vccnz .LBB440_986
; %bb.985:
	s_waitcnt vmcnt(0)
	v_cvt_f32_i32_e32 v6, v0
	v_mov_b32_e32 v7, 0
	global_store_b64 v[2:3], v[6:7], off
.LBB440_986:
	s_mov_b32 s11, 0
.LBB440_987:
	s_delay_alu instid0(SALU_CYCLE_1)
	s_and_not1_b32 vcc_lo, exec_lo, s11
	s_cbranch_vccnz .LBB440_989
; %bb.988:
	v_cvt_f32_i32_e32 v1, v0
	s_delay_alu instid0(VALU_DEP_1) | instskip(NEXT) | instid1(VALU_DEP_1)
	v_cvt_f16_f32_e32 v1, v1
	v_and_b32_e32 v1, 0xffff, v1
	s_waitcnt vmcnt(0)
	global_store_b32 v[2:3], v1, off
.LBB440_989:
	s_mov_b32 s11, 0
.LBB440_990:
	s_delay_alu instid0(SALU_CYCLE_1)
	s_and_not1_b32 vcc_lo, exec_lo, s11
	s_cbranch_vccnz .LBB440_999
; %bb.991:
	v_cmp_gt_i16_e32 vcc_lo, 6, v5
	s_mov_b32 s11, -1
	s_cbranch_vccnz .LBB440_997
; %bb.992:
	v_cmp_lt_i16_e32 vcc_lo, 6, v5
	s_cbranch_vccz .LBB440_994
; %bb.993:
	s_waitcnt vmcnt(0)
	v_cvt_f64_i32_e32 v[6:7], v0
	s_mov_b32 s11, 0
	global_store_b64 v[2:3], v[6:7], off
.LBB440_994:
	s_and_not1_b32 vcc_lo, exec_lo, s11
	s_cbranch_vccnz .LBB440_996
; %bb.995:
	v_cvt_f32_i32_e32 v1, v0
	s_waitcnt vmcnt(0)
	global_store_b32 v[2:3], v1, off
.LBB440_996:
	s_mov_b32 s11, 0
.LBB440_997:
	s_delay_alu instid0(SALU_CYCLE_1)
	s_and_not1_b32 vcc_lo, exec_lo, s11
	s_cbranch_vccnz .LBB440_999
; %bb.998:
	v_cvt_f32_i32_e32 v1, v0
	s_delay_alu instid0(VALU_DEP_1)
	v_cvt_f16_f32_e32 v1, v1
	s_waitcnt vmcnt(0)
	global_store_b16 v[2:3], v1, off
.LBB440_999:
	s_mov_b32 s11, 0
.LBB440_1000:
	s_delay_alu instid0(SALU_CYCLE_1)
	s_and_not1_b32 vcc_lo, exec_lo, s11
	s_cbranch_vccnz .LBB440_1016
; %bb.1001:
	v_cmp_gt_i16_e32 vcc_lo, 2, v5
	s_mov_b32 s11, -1
	s_cbranch_vccnz .LBB440_1011
; %bb.1002:
	v_cmp_gt_i16_e32 vcc_lo, 3, v5
	s_cbranch_vccnz .LBB440_1008
; %bb.1003:
	v_cmp_lt_i16_e32 vcc_lo, 3, v5
	s_cbranch_vccz .LBB440_1005
; %bb.1004:
	v_ashrrev_i32_e32 v1, 31, v0
	s_mov_b32 s11, 0
	s_waitcnt vmcnt(0)
	global_store_b64 v[2:3], v[0:1], off
.LBB440_1005:
	s_and_not1_b32 vcc_lo, exec_lo, s11
	s_cbranch_vccnz .LBB440_1007
; %bb.1006:
	s_waitcnt vmcnt(0)
	global_store_b32 v[2:3], v0, off
.LBB440_1007:
	s_mov_b32 s11, 0
.LBB440_1008:
	s_delay_alu instid0(SALU_CYCLE_1)
	s_and_not1_b32 vcc_lo, exec_lo, s11
	s_cbranch_vccnz .LBB440_1010
; %bb.1009:
	s_waitcnt vmcnt(0)
	global_store_b16 v[2:3], v0, off
.LBB440_1010:
	s_mov_b32 s11, 0
.LBB440_1011:
	s_delay_alu instid0(SALU_CYCLE_1)
	s_and_not1_b32 vcc_lo, exec_lo, s11
	s_cbranch_vccnz .LBB440_1016
; %bb.1012:
	v_cmp_lt_i16_e32 vcc_lo, 0, v5
	s_mov_b32 s11, -1
	s_cbranch_vccz .LBB440_1014
; %bb.1013:
	s_mov_b32 s11, 0
	s_waitcnt vmcnt(0)
	global_store_b8 v[2:3], v0, off
.LBB440_1014:
	s_and_not1_b32 vcc_lo, exec_lo, s11
	s_cbranch_vccnz .LBB440_1016
; %bb.1015:
	s_waitcnt vmcnt(0)
	global_store_b8 v[2:3], v0, off
.LBB440_1016:
	s_or_b32 exec_lo, exec_lo, s0
	s_delay_alu instid0(SALU_CYCLE_1)
	s_and_b32 s11, s12, exec_lo
                                        ; implicit-def: $vgpr4
                                        ; implicit-def: $vgpr5
.LBB440_1017:
	s_or_saveexec_b32 s3, s3
	s_mov_b32 s0, 0
                                        ; implicit-def: $vgpr6
                                        ; implicit-def: $vgpr0_vgpr1
                                        ; implicit-def: $vgpr2
	s_xor_b32 exec_lo, exec_lo, s3
	s_cbranch_execz .LBB440_1965
; %bb.1018:
	v_mul_lo_u32 v3, s9, v4
	v_cmp_gt_i16_e32 vcc_lo, 11, v5
	s_delay_alu instid0(VALU_DEP_2) | instskip(SKIP_1) | instid1(VALU_DEP_1)
	v_ashrrev_i32_e32 v1, 31, v3
	v_add_co_u32 v0, s0, s6, v3
	v_add_co_ci_u32_e64 v1, s0, s7, v1, s0
	s_cbranch_vccnz .LBB440_1025
; %bb.1019:
	v_cmp_lt_i16_e32 vcc_lo, 25, v5
	s_mov_b32 s12, 0
	s_cbranch_vccz .LBB440_1031
; %bb.1020:
	v_cmp_lt_i16_e32 vcc_lo, 28, v5
	s_cbranch_vccz .LBB440_1033
; %bb.1021:
	v_cmp_lt_i16_e32 vcc_lo, 43, v5
	;; [unrolled: 3-line block ×3, first 2 shown]
	s_cbranch_vccz .LBB440_1039
; %bb.1023:
	v_cmp_eq_u16_e32 vcc_lo, 46, v5
	s_cbranch_vccz .LBB440_1079
; %bb.1024:
	global_load_b32 v2, v[0:1], off
	s_mov_b32 s0, 0
	s_mov_b32 s13, -1
	s_waitcnt vmcnt(0)
	v_lshlrev_b32_e32 v2, 16, v2
	s_delay_alu instid0(VALU_DEP_1)
	v_cvt_i32_f32_e32 v2, v2
	s_branch .LBB440_1081
.LBB440_1025:
	s_mov_b32 s13, 0
	s_mov_b32 s1, s11
                                        ; implicit-def: $vgpr2
	s_cbranch_execz .LBB440_1139
; %bb.1026:
	v_cmp_gt_i16_e32 vcc_lo, 5, v5
	s_cbranch_vccnz .LBB440_1032
; %bb.1027:
	v_cmp_gt_i16_e32 vcc_lo, 8, v5
	s_cbranch_vccnz .LBB440_1034
	;; [unrolled: 3-line block ×3, first 2 shown]
; %bb.1029:
	v_cmp_lt_i16_e32 vcc_lo, 9, v5
	s_cbranch_vccz .LBB440_1040
; %bb.1030:
	global_load_b64 v[6:7], v[0:1], off
	s_mov_b32 s0, 0
	s_waitcnt vmcnt(0)
	v_cvt_i32_f64_e32 v2, v[6:7]
	s_branch .LBB440_1041
.LBB440_1031:
	s_mov_b32 s13, 0
	s_mov_b32 s0, 0
                                        ; implicit-def: $vgpr2
	s_cbranch_execnz .LBB440_1106
	s_branch .LBB440_1135
.LBB440_1032:
                                        ; implicit-def: $vgpr2
	s_branch .LBB440_1058
.LBB440_1033:
	s_mov_b32 s13, 0
	s_mov_b32 s0, 0
                                        ; implicit-def: $vgpr2
	s_cbranch_execz .LBB440_1105
	s_branch .LBB440_1090
.LBB440_1034:
                                        ; implicit-def: $vgpr2
	s_branch .LBB440_1047
.LBB440_1035:
	s_mov_b32 s13, 0
	s_mov_b32 s0, 0
                                        ; implicit-def: $vgpr2
	s_cbranch_execnz .LBB440_1086
	s_branch .LBB440_1089
.LBB440_1036:
	s_mov_b32 s0, -1
                                        ; implicit-def: $vgpr2
	s_branch .LBB440_1044
.LBB440_1037:
	s_cbranch_execnz .LBB440_1077
; %bb.1038:
	s_or_b32 s12, s12, exec_lo
	s_and_not1_b32 s15, s15, exec_lo
	s_or_b32 exec_lo, exec_lo, s0
	s_and_saveexec_b32 s0, s15
	s_delay_alu instid0(SALU_CYCLE_1)
	s_xor_b32 s0, exec_lo, s0
	s_cbranch_execnz .LBB440_977
	s_branch .LBB440_978
.LBB440_1039:
	s_mov_b32 s1, -1
	s_mov_b32 s13, 0
	s_mov_b32 s0, 0
	s_branch .LBB440_1080
.LBB440_1040:
	s_mov_b32 s0, -1
                                        ; implicit-def: $vgpr2
.LBB440_1041:
	s_delay_alu instid0(SALU_CYCLE_1)
	s_and_not1_b32 vcc_lo, exec_lo, s0
	s_cbranch_vccnz .LBB440_1043
; %bb.1042:
	global_load_b32 v2, v[0:1], off
	s_waitcnt vmcnt(0)
	v_cvt_i32_f32_e32 v2, v2
.LBB440_1043:
	s_mov_b32 s0, 0
.LBB440_1044:
	s_delay_alu instid0(SALU_CYCLE_1)
	s_and_not1_b32 vcc_lo, exec_lo, s0
	s_cbranch_vccnz .LBB440_1046
; %bb.1045:
	global_load_b32 v2, v[0:1], off
	s_waitcnt vmcnt(0)
	v_cvt_f32_f16_e32 v2, v2
	s_delay_alu instid0(VALU_DEP_1)
	v_cvt_i32_f32_e32 v2, v2
.LBB440_1046:
	s_cbranch_execnz .LBB440_1057
.LBB440_1047:
	v_cmp_gt_i16_e32 vcc_lo, 6, v5
	s_cbranch_vccnz .LBB440_1050
; %bb.1048:
	v_cmp_lt_i16_e32 vcc_lo, 6, v5
	s_cbranch_vccz .LBB440_1051
; %bb.1049:
	global_load_b64 v[6:7], v[0:1], off
	s_mov_b32 s0, 0
	s_waitcnt vmcnt(0)
	v_cvt_i32_f64_e32 v2, v[6:7]
	s_branch .LBB440_1052
.LBB440_1050:
	s_mov_b32 s0, -1
                                        ; implicit-def: $vgpr2
	s_branch .LBB440_1055
.LBB440_1051:
	s_mov_b32 s0, -1
                                        ; implicit-def: $vgpr2
.LBB440_1052:
	s_delay_alu instid0(SALU_CYCLE_1)
	s_and_not1_b32 vcc_lo, exec_lo, s0
	s_cbranch_vccnz .LBB440_1054
; %bb.1053:
	global_load_b32 v2, v[0:1], off
	s_waitcnt vmcnt(0)
	v_cvt_i32_f32_e32 v2, v2
.LBB440_1054:
	s_mov_b32 s0, 0
.LBB440_1055:
	s_delay_alu instid0(SALU_CYCLE_1)
	s_and_not1_b32 vcc_lo, exec_lo, s0
	s_cbranch_vccnz .LBB440_1057
; %bb.1056:
	global_load_u16 v2, v[0:1], off
	s_waitcnt vmcnt(0)
	v_cvt_f32_f16_e32 v2, v2
	s_delay_alu instid0(VALU_DEP_1)
	v_cvt_i32_f32_e32 v2, v2
.LBB440_1057:
	s_cbranch_execnz .LBB440_1076
.LBB440_1058:
	v_cmp_gt_i16_e32 vcc_lo, 2, v5
	s_cbranch_vccnz .LBB440_1062
; %bb.1059:
	v_cmp_gt_i16_e32 vcc_lo, 3, v5
	s_cbranch_vccnz .LBB440_1063
; %bb.1060:
	v_cmp_lt_i16_e32 vcc_lo, 3, v5
	s_cbranch_vccz .LBB440_1064
; %bb.1061:
	global_load_b32 v2, v[0:1], off
	s_mov_b32 s0, 0
	s_branch .LBB440_1065
.LBB440_1062:
                                        ; implicit-def: $vgpr2
	s_branch .LBB440_1071
.LBB440_1063:
	s_mov_b32 s0, -1
                                        ; implicit-def: $vgpr2
	s_branch .LBB440_1068
.LBB440_1064:
	s_mov_b32 s0, -1
                                        ; implicit-def: $vgpr2
.LBB440_1065:
	s_delay_alu instid0(SALU_CYCLE_1)
	s_and_not1_b32 vcc_lo, exec_lo, s0
	s_cbranch_vccnz .LBB440_1067
; %bb.1066:
	global_load_b32 v2, v[0:1], off
.LBB440_1067:
	s_mov_b32 s0, 0
.LBB440_1068:
	s_delay_alu instid0(SALU_CYCLE_1)
	s_and_not1_b32 vcc_lo, exec_lo, s0
	s_cbranch_vccnz .LBB440_1070
; %bb.1069:
	global_load_i16 v2, v[0:1], off
.LBB440_1070:
	s_cbranch_execnz .LBB440_1076
.LBB440_1071:
	v_cmp_lt_i16_e32 vcc_lo, 0, v5
	s_mov_b32 s0, 0
	s_cbranch_vccz .LBB440_1073
; %bb.1072:
	global_load_i8 v2, v[0:1], off
	s_branch .LBB440_1074
.LBB440_1073:
	s_mov_b32 s0, -1
                                        ; implicit-def: $vgpr2
.LBB440_1074:
	s_delay_alu instid0(SALU_CYCLE_1)
	s_and_not1_b32 vcc_lo, exec_lo, s0
	s_cbranch_vccnz .LBB440_1076
; %bb.1075:
	global_load_u8 v2, v[0:1], off
.LBB440_1076:
	s_branch .LBB440_1140
.LBB440_1077:
	s_trap 2
	s_sendmsg_rtn_b32 s0, sendmsg(MSG_RTN_GET_DOORBELL)
	s_mov_b32 ttmp2, m0
	s_waitcnt lgkmcnt(0)
	s_and_b32 s0, s0, 0x3ff
	s_delay_alu instid0(SALU_CYCLE_1) | instskip(NEXT) | instid1(SALU_CYCLE_1)
	s_bitset1_b32 s0, 10
	s_mov_b32 m0, s0
	s_sendmsg sendmsg(MSG_INTERRUPT)
	s_mov_b32 m0, ttmp2
.LBB440_1078:                           ; =>This Inner Loop Header: Depth=1
	s_sethalt 5
	s_branch .LBB440_1078
.LBB440_1079:
	s_mov_b32 s0, -1
	s_mov_b32 s13, 0
.LBB440_1080:
                                        ; implicit-def: $vgpr2
.LBB440_1081:
	s_and_b32 vcc_lo, exec_lo, s1
	s_cbranch_vccz .LBB440_1084
; %bb.1082:
	v_cmp_eq_u16_e32 vcc_lo, 44, v5
	s_cbranch_vccz .LBB440_1085
; %bb.1083:
	global_load_u8 v2, v[0:1], off
	s_mov_b32 s0, 0
	s_mov_b32 s13, -1
	s_waitcnt vmcnt(0)
	v_lshlrev_b32_e32 v6, 23, v2
	v_cmp_ne_u32_e32 vcc_lo, 0, v2
	s_delay_alu instid0(VALU_DEP_2) | instskip(NEXT) | instid1(VALU_DEP_1)
	v_cvt_i32_f32_e32 v6, v6
	v_cndmask_b32_e32 v2, 0, v6, vcc_lo
.LBB440_1084:
	s_branch .LBB440_1089
.LBB440_1085:
	s_mov_b32 s0, -1
                                        ; implicit-def: $vgpr2
	s_branch .LBB440_1089
.LBB440_1086:
	v_cmp_eq_u16_e32 vcc_lo, 29, v5
	s_cbranch_vccz .LBB440_1088
; %bb.1087:
	global_load_b32 v2, v[0:1], off
	s_mov_b32 s0, 0
	s_mov_b32 s13, -1
	s_branch .LBB440_1089
.LBB440_1088:
	s_mov_b32 s0, -1
                                        ; implicit-def: $vgpr2
.LBB440_1089:
	s_branch .LBB440_1105
.LBB440_1090:
	v_cmp_gt_i16_e32 vcc_lo, 27, v5
	s_cbranch_vccnz .LBB440_1093
; %bb.1091:
	v_cmp_lt_i16_e32 vcc_lo, 27, v5
	s_cbranch_vccz .LBB440_1094
; %bb.1092:
	global_load_b32 v2, v[0:1], off
	s_mov_b32 s1, 0
	s_branch .LBB440_1095
.LBB440_1093:
	s_mov_b32 s1, -1
                                        ; implicit-def: $vgpr2
	s_branch .LBB440_1098
.LBB440_1094:
	s_mov_b32 s1, -1
                                        ; implicit-def: $vgpr2
.LBB440_1095:
	s_delay_alu instid0(SALU_CYCLE_1)
	s_and_not1_b32 vcc_lo, exec_lo, s1
	s_cbranch_vccnz .LBB440_1097
; %bb.1096:
	global_load_u16 v2, v[0:1], off
.LBB440_1097:
	s_mov_b32 s1, 0
.LBB440_1098:
	s_delay_alu instid0(SALU_CYCLE_1)
	s_and_not1_b32 vcc_lo, exec_lo, s1
	s_cbranch_vccnz .LBB440_1104
; %bb.1099:
	global_load_u8 v6, v[0:1], off
	s_mov_b32 s1, 0
	s_mov_b32 s13, exec_lo
                                        ; implicit-def: $sgpr14
	s_waitcnt vmcnt(0)
	v_cmpx_lt_i16_e32 0x7f, v6
	s_xor_b32 s13, exec_lo, s13
	s_cbranch_execz .LBB440_1115
; %bb.1100:
	v_cmp_ne_u16_e32 vcc_lo, 0x80, v6
	s_mov_b32 s14, 0
	s_and_b32 s1, vcc_lo, exec_lo
	s_or_saveexec_b32 s13, s13
	v_mov_b32_e32 v2, s14
	s_xor_b32 exec_lo, exec_lo, s13
	s_cbranch_execnz .LBB440_1116
.LBB440_1101:
	s_or_b32 exec_lo, exec_lo, s13
	s_and_saveexec_b32 s13, s1
	s_cbranch_execz .LBB440_1103
.LBB440_1102:
	v_and_b32_e32 v2, 0xffff, v6
	v_lshlrev_b32_e32 v6, 24, v6
	s_delay_alu instid0(VALU_DEP_2) | instskip(NEXT) | instid1(VALU_DEP_2)
	v_and_b32_e32 v7, 7, v2
	v_and_b32_e32 v6, 0x80000000, v6
	s_delay_alu instid0(VALU_DEP_2) | instskip(NEXT) | instid1(VALU_DEP_1)
	v_clz_i32_u32_e32 v8, v7
	v_min_u32_e32 v8, 32, v8
	s_delay_alu instid0(VALU_DEP_1) | instskip(SKIP_1) | instid1(VALU_DEP_2)
	v_subrev_nc_u32_e32 v9, 28, v8
	v_sub_nc_u32_e32 v8, 29, v8
	v_lshlrev_b32_e32 v9, v9, v2
	v_bfe_u32 v2, v2, 3, 4
	s_delay_alu instid0(VALU_DEP_2) | instskip(NEXT) | instid1(VALU_DEP_2)
	v_and_b32_e32 v9, 7, v9
	v_cmp_eq_u32_e32 vcc_lo, 0, v2
	s_delay_alu instid0(VALU_DEP_2) | instskip(NEXT) | instid1(VALU_DEP_1)
	v_dual_cndmask_b32 v2, v2, v8 :: v_dual_cndmask_b32 v7, v7, v9
	v_lshl_add_u32 v2, v2, 23, 0x3b800000
	s_delay_alu instid0(VALU_DEP_2) | instskip(NEXT) | instid1(VALU_DEP_1)
	v_lshlrev_b32_e32 v7, 20, v7
	v_or3_b32 v2, v6, v2, v7
	s_delay_alu instid0(VALU_DEP_1)
	v_cvt_i32_f32_e32 v2, v2
.LBB440_1103:
	s_or_b32 exec_lo, exec_lo, s13
.LBB440_1104:
	s_mov_b32 s13, -1
.LBB440_1105:
	s_branch .LBB440_1135
.LBB440_1106:
	v_cmp_lt_i16_e32 vcc_lo, 22, v5
	s_cbranch_vccz .LBB440_1114
; %bb.1107:
	v_cmp_gt_i16_e32 vcc_lo, 24, v5
	s_cbranch_vccnz .LBB440_1117
; %bb.1108:
	v_cmp_lt_i16_e32 vcc_lo, 24, v5
	s_cbranch_vccz .LBB440_1118
; %bb.1109:
	global_load_u8 v6, v[0:1], off
	s_mov_b32 s1, 0
	s_mov_b32 s12, exec_lo
                                        ; implicit-def: $sgpr13
	s_waitcnt vmcnt(0)
	v_cmpx_lt_i16_e32 0x7f, v6
	s_xor_b32 s12, exec_lo, s12
	s_cbranch_execz .LBB440_1129
; %bb.1110:
	v_cmp_ne_u16_e32 vcc_lo, 0x80, v6
	s_mov_b32 s13, 0
	s_and_b32 s1, vcc_lo, exec_lo
	s_or_saveexec_b32 s12, s12
	v_mov_b32_e32 v2, s13
	s_xor_b32 exec_lo, exec_lo, s12
	s_cbranch_execnz .LBB440_1130
.LBB440_1111:
	s_or_b32 exec_lo, exec_lo, s12
	s_and_saveexec_b32 s12, s1
	s_cbranch_execz .LBB440_1113
.LBB440_1112:
	v_and_b32_e32 v2, 0xffff, v6
	v_lshlrev_b32_e32 v6, 24, v6
	s_delay_alu instid0(VALU_DEP_2) | instskip(NEXT) | instid1(VALU_DEP_2)
	v_and_b32_e32 v7, 3, v2
	v_and_b32_e32 v6, 0x80000000, v6
	s_delay_alu instid0(VALU_DEP_2) | instskip(NEXT) | instid1(VALU_DEP_1)
	v_clz_i32_u32_e32 v8, v7
	v_min_u32_e32 v8, 32, v8
	s_delay_alu instid0(VALU_DEP_1) | instskip(SKIP_1) | instid1(VALU_DEP_2)
	v_subrev_nc_u32_e32 v9, 29, v8
	v_sub_nc_u32_e32 v8, 30, v8
	v_lshlrev_b32_e32 v9, v9, v2
	v_bfe_u32 v2, v2, 2, 5
	s_delay_alu instid0(VALU_DEP_2) | instskip(NEXT) | instid1(VALU_DEP_2)
	v_and_b32_e32 v9, 3, v9
	v_cmp_eq_u32_e32 vcc_lo, 0, v2
	s_delay_alu instid0(VALU_DEP_2) | instskip(NEXT) | instid1(VALU_DEP_1)
	v_dual_cndmask_b32 v2, v2, v8 :: v_dual_cndmask_b32 v7, v7, v9
	v_lshl_add_u32 v2, v2, 23, 0x37800000
	s_delay_alu instid0(VALU_DEP_2) | instskip(NEXT) | instid1(VALU_DEP_1)
	v_lshlrev_b32_e32 v7, 21, v7
	v_or3_b32 v2, v6, v2, v7
	s_delay_alu instid0(VALU_DEP_1)
	v_cvt_i32_f32_e32 v2, v2
.LBB440_1113:
	s_or_b32 exec_lo, exec_lo, s12
	s_mov_b32 s1, 0
	s_branch .LBB440_1119
.LBB440_1114:
                                        ; implicit-def: $vgpr2
	s_mov_b32 s12, 0
	s_branch .LBB440_1125
.LBB440_1115:
	s_or_saveexec_b32 s13, s13
	v_mov_b32_e32 v2, s14
	s_xor_b32 exec_lo, exec_lo, s13
	s_cbranch_execz .LBB440_1101
.LBB440_1116:
	v_cmp_ne_u16_e32 vcc_lo, 0, v6
	v_mov_b32_e32 v2, 0
	s_and_not1_b32 s1, s1, exec_lo
	s_and_b32 s14, vcc_lo, exec_lo
	s_delay_alu instid0(SALU_CYCLE_1)
	s_or_b32 s1, s1, s14
	s_or_b32 exec_lo, exec_lo, s13
	s_and_saveexec_b32 s13, s1
	s_cbranch_execnz .LBB440_1102
	s_branch .LBB440_1103
.LBB440_1117:
	s_mov_b32 s1, -1
                                        ; implicit-def: $vgpr2
	s_branch .LBB440_1122
.LBB440_1118:
	s_mov_b32 s1, -1
                                        ; implicit-def: $vgpr2
.LBB440_1119:
	s_delay_alu instid0(SALU_CYCLE_1)
	s_and_b32 vcc_lo, exec_lo, s1
	s_cbranch_vccz .LBB440_1121
; %bb.1120:
	global_load_u8 v2, v[0:1], off
	s_waitcnt vmcnt(0)
	v_lshlrev_b32_e32 v2, 24, v2
	s_delay_alu instid0(VALU_DEP_1) | instskip(NEXT) | instid1(VALU_DEP_1)
	v_and_b32_e32 v6, 0x7f000000, v2
	v_clz_i32_u32_e32 v7, v6
	v_cmp_ne_u32_e32 vcc_lo, 0, v6
	v_add_nc_u32_e32 v9, 0x1000000, v6
	s_delay_alu instid0(VALU_DEP_3) | instskip(NEXT) | instid1(VALU_DEP_1)
	v_min_u32_e32 v7, 32, v7
	v_sub_nc_u32_e64 v7, v7, 4 clamp
	s_delay_alu instid0(VALU_DEP_1) | instskip(SKIP_1) | instid1(VALU_DEP_2)
	v_lshlrev_b32_e32 v8, v7, v6
	v_lshlrev_b32_e32 v7, 23, v7
	v_lshrrev_b32_e32 v8, 4, v8
	s_delay_alu instid0(VALU_DEP_1) | instskip(SKIP_1) | instid1(VALU_DEP_2)
	v_sub_nc_u32_e32 v7, v8, v7
	v_ashrrev_i32_e32 v8, 8, v9
	v_add_nc_u32_e32 v7, 0x3c000000, v7
	s_delay_alu instid0(VALU_DEP_1) | instskip(NEXT) | instid1(VALU_DEP_1)
	v_and_or_b32 v7, 0x7f800000, v8, v7
	v_cndmask_b32_e32 v6, 0, v7, vcc_lo
	s_delay_alu instid0(VALU_DEP_1) | instskip(NEXT) | instid1(VALU_DEP_1)
	v_and_or_b32 v2, 0x80000000, v2, v6
	v_cvt_i32_f32_e32 v2, v2
.LBB440_1121:
	s_mov_b32 s1, 0
.LBB440_1122:
	s_delay_alu instid0(SALU_CYCLE_1)
	s_and_not1_b32 vcc_lo, exec_lo, s1
	s_cbranch_vccnz .LBB440_1124
; %bb.1123:
	global_load_u8 v2, v[0:1], off
	s_waitcnt vmcnt(0)
	v_lshlrev_b32_e32 v6, 25, v2
	v_lshlrev_b16 v2, 8, v2
	s_delay_alu instid0(VALU_DEP_2) | instskip(NEXT) | instid1(VALU_DEP_2)
	v_lshrrev_b32_e32 v7, 4, v6
	v_and_or_b32 v8, 0x7f00, v2, 0.5
	v_bfe_i32 v2, v2, 0, 16
	s_delay_alu instid0(VALU_DEP_3) | instskip(NEXT) | instid1(VALU_DEP_1)
	v_or_b32_e32 v7, 0x70000000, v7
	v_dual_add_f32 v8, -0.5, v8 :: v_dual_mul_f32 v7, 0x7800000, v7
	v_cmp_gt_u32_e32 vcc_lo, 0x8000000, v6
	s_delay_alu instid0(VALU_DEP_2) | instskip(NEXT) | instid1(VALU_DEP_1)
	v_cndmask_b32_e32 v6, v7, v8, vcc_lo
	v_and_or_b32 v2, 0x80000000, v2, v6
	s_delay_alu instid0(VALU_DEP_1)
	v_cvt_i32_f32_e32 v2, v2
.LBB440_1124:
	s_mov_b32 s13, -1
	s_mov_b32 s12, 0
	s_cbranch_execnz .LBB440_1135
.LBB440_1125:
	v_cmp_lt_i16_e32 vcc_lo, 14, v5
	s_cbranch_vccz .LBB440_1128
; %bb.1126:
	v_cmp_eq_u16_e32 vcc_lo, 15, v5
	s_cbranch_vccz .LBB440_1131
; %bb.1127:
	global_load_u16 v2, v[0:1], off
	s_mov_b32 s0, 0
	s_mov_b32 s13, -1
	s_waitcnt vmcnt(0)
	v_lshlrev_b32_e32 v2, 16, v2
	s_delay_alu instid0(VALU_DEP_1)
	v_cvt_i32_f32_e32 v2, v2
	s_branch .LBB440_1132
.LBB440_1128:
	s_mov_b32 s1, -1
                                        ; implicit-def: $vgpr2
	s_branch .LBB440_1133
.LBB440_1129:
	s_or_saveexec_b32 s12, s12
	v_mov_b32_e32 v2, s13
	s_xor_b32 exec_lo, exec_lo, s12
	s_cbranch_execz .LBB440_1111
.LBB440_1130:
	v_cmp_ne_u16_e32 vcc_lo, 0, v6
	v_mov_b32_e32 v2, 0
	s_and_not1_b32 s1, s1, exec_lo
	s_and_b32 s13, vcc_lo, exec_lo
	s_delay_alu instid0(SALU_CYCLE_1)
	s_or_b32 s1, s1, s13
	s_or_b32 exec_lo, exec_lo, s12
	s_and_saveexec_b32 s12, s1
	s_cbranch_execnz .LBB440_1112
	s_branch .LBB440_1113
.LBB440_1131:
	s_mov_b32 s0, -1
                                        ; implicit-def: $vgpr2
.LBB440_1132:
	s_mov_b32 s1, 0
.LBB440_1133:
	s_delay_alu instid0(SALU_CYCLE_1)
	s_and_b32 vcc_lo, exec_lo, s1
	s_cbranch_vccz .LBB440_1135
; %bb.1134:
	v_cmp_ne_u16_e64 s0, 11, v5
	s_mov_b32 s12, -1
                                        ; implicit-def: $vgpr2
.LBB440_1135:
	s_delay_alu instid0(VALU_DEP_1)
	s_and_b32 vcc_lo, exec_lo, s0
	s_mov_b32 s1, s11
	s_cbranch_vccnz .LBB440_1159
; %bb.1136:
	s_and_not1_b32 vcc_lo, exec_lo, s12
	s_cbranch_vccnz .LBB440_1138
.LBB440_1137:
	global_load_u8 v2, v[0:1], off
	s_mov_b32 s13, -1
	s_waitcnt vmcnt(0)
	v_cmp_ne_u16_e32 vcc_lo, 0, v2
	v_cndmask_b32_e64 v2, 0, 1, vcc_lo
.LBB440_1138:
.LBB440_1139:
	s_and_not1_b32 vcc_lo, exec_lo, s13
	s_cbranch_vccnz .LBB440_1963
.LBB440_1140:
	s_lshl_b32 s9, s9, 7
	v_cmp_gt_i16_e32 vcc_lo, 11, v5
	v_add_nc_u32_e32 v3, s9, v3
	s_delay_alu instid0(VALU_DEP_1) | instskip(SKIP_1) | instid1(VALU_DEP_1)
	v_ashrrev_i32_e32 v1, 31, v3
	v_add_co_u32 v0, s0, s6, v3
	v_add_co_ci_u32_e64 v1, s0, s7, v1, s0
	s_cbranch_vccnz .LBB440_1147
; %bb.1141:
	v_cmp_lt_i16_e32 vcc_lo, 25, v5
	s_mov_b32 s12, 0
	s_cbranch_vccz .LBB440_1153
; %bb.1142:
	v_cmp_lt_i16_e32 vcc_lo, 28, v5
	s_cbranch_vccz .LBB440_1155
; %bb.1143:
	v_cmp_lt_i16_e32 vcc_lo, 43, v5
	;; [unrolled: 3-line block ×3, first 2 shown]
	s_cbranch_vccz .LBB440_1163
; %bb.1145:
	v_cmp_eq_u16_e32 vcc_lo, 46, v5
	s_mov_b32 s14, 0
	s_cbranch_vccz .LBB440_1207
; %bb.1146:
	global_load_b32 v6, v[0:1], off
	s_mov_b32 s0, 0
	s_mov_b32 s13, -1
	s_waitcnt vmcnt(0)
	v_lshlrev_b32_e32 v6, 16, v6
	s_delay_alu instid0(VALU_DEP_1)
	v_cvt_i32_f32_e32 v9, v6
	s_branch .LBB440_1209
.LBB440_1147:
	s_mov_b32 s13, 0
                                        ; implicit-def: $vgpr9
	s_cbranch_execz .LBB440_1270
; %bb.1148:
	v_cmp_gt_i16_e32 vcc_lo, 5, v5
	s_cbranch_vccnz .LBB440_1154
; %bb.1149:
	v_cmp_gt_i16_e32 vcc_lo, 8, v5
	s_cbranch_vccnz .LBB440_1156
	;; [unrolled: 3-line block ×3, first 2 shown]
; %bb.1151:
	v_cmp_lt_i16_e32 vcc_lo, 9, v5
	s_cbranch_vccz .LBB440_1164
; %bb.1152:
	global_load_b64 v[6:7], v[0:1], off
	s_mov_b32 s0, 0
	s_waitcnt vmcnt(0)
	v_cvt_i32_f64_e32 v9, v[6:7]
	s_branch .LBB440_1165
.LBB440_1153:
	s_mov_b32 s13, 0
	s_mov_b32 s0, 0
                                        ; implicit-def: $vgpr9
	s_cbranch_execnz .LBB440_1236
	s_branch .LBB440_1266
.LBB440_1154:
                                        ; implicit-def: $vgpr9
	s_branch .LBB440_1183
.LBB440_1155:
	s_mov_b32 s14, -1
	s_mov_b32 s13, 0
	s_mov_b32 s0, 0
                                        ; implicit-def: $vgpr9
	s_branch .LBB440_1219
.LBB440_1156:
	s_mov_b32 s0, -1
                                        ; implicit-def: $vgpr9
	s_branch .LBB440_1171
.LBB440_1157:
	s_mov_b32 s14, -1
	s_mov_b32 s13, 0
	s_mov_b32 s0, 0
                                        ; implicit-def: $vgpr9
	s_branch .LBB440_1214
.LBB440_1158:
	s_mov_b32 s0, -1
                                        ; implicit-def: $vgpr9
	s_branch .LBB440_1168
.LBB440_1159:
	s_cbranch_execnz .LBB440_1203
; %bb.1160:
	s_or_b32 s1, s11, exec_lo
                                        ; implicit-def: $vgpr2
	s_cbranch_execz .LBB440_1137
	s_branch .LBB440_1138
.LBB440_1161:
	s_or_saveexec_b32 s16, s16
                                        ; implicit-def: $sgpr17
	s_delay_alu instid0(SALU_CYCLE_1)
	s_xor_b32 exec_lo, exec_lo, s16
	s_cbranch_execz .LBB440_928
.LBB440_1162:
	v_add_f32_e64 v4, 0x46000000, |v1|
	s_and_not1_b32 s15, s15, exec_lo
	s_mov_b32 s17, 0
	s_delay_alu instid0(VALU_DEP_1) | instskip(NEXT) | instid1(VALU_DEP_1)
	v_and_b32_e32 v4, 0xff, v4
	v_cmp_ne_u32_e32 vcc_lo, 0, v4
	s_and_b32 s18, vcc_lo, exec_lo
	s_delay_alu instid0(SALU_CYCLE_1)
	s_or_b32 s15, s15, s18
	s_or_b32 exec_lo, exec_lo, s16
	v_mov_b32_e32 v6, s17
	s_and_saveexec_b32 s16, s15
	s_cbranch_execnz .LBB440_929
	s_branch .LBB440_930
.LBB440_1163:
	s_mov_b32 s14, -1
	s_mov_b32 s13, 0
	s_mov_b32 s0, 0
	s_branch .LBB440_1208
.LBB440_1164:
	s_mov_b32 s0, -1
                                        ; implicit-def: $vgpr9
.LBB440_1165:
	s_delay_alu instid0(SALU_CYCLE_1)
	s_and_not1_b32 vcc_lo, exec_lo, s0
	s_cbranch_vccnz .LBB440_1167
; %bb.1166:
	global_load_b32 v6, v[0:1], off
	s_waitcnt vmcnt(0)
	v_cvt_i32_f32_e32 v9, v6
.LBB440_1167:
	s_mov_b32 s0, 0
.LBB440_1168:
	s_delay_alu instid0(SALU_CYCLE_1)
	s_and_not1_b32 vcc_lo, exec_lo, s0
	s_cbranch_vccnz .LBB440_1170
; %bb.1169:
	global_load_b32 v6, v[0:1], off
	s_waitcnt vmcnt(0)
	v_cvt_f32_f16_e32 v6, v6
	s_delay_alu instid0(VALU_DEP_1)
	v_cvt_i32_f32_e32 v9, v6
.LBB440_1170:
	s_mov_b32 s0, 0
.LBB440_1171:
	s_delay_alu instid0(SALU_CYCLE_1)
	s_and_not1_b32 vcc_lo, exec_lo, s0
	s_cbranch_vccnz .LBB440_1182
; %bb.1172:
	v_cmp_gt_i16_e32 vcc_lo, 6, v5
	s_cbranch_vccnz .LBB440_1175
; %bb.1173:
	v_cmp_lt_i16_e32 vcc_lo, 6, v5
	s_cbranch_vccz .LBB440_1176
; %bb.1174:
	global_load_b64 v[6:7], v[0:1], off
	s_mov_b32 s0, 0
	s_waitcnt vmcnt(0)
	v_cvt_i32_f64_e32 v9, v[6:7]
	s_branch .LBB440_1177
.LBB440_1175:
	s_mov_b32 s0, -1
                                        ; implicit-def: $vgpr9
	s_branch .LBB440_1180
.LBB440_1176:
	s_mov_b32 s0, -1
                                        ; implicit-def: $vgpr9
.LBB440_1177:
	s_delay_alu instid0(SALU_CYCLE_1)
	s_and_not1_b32 vcc_lo, exec_lo, s0
	s_cbranch_vccnz .LBB440_1179
; %bb.1178:
	global_load_b32 v6, v[0:1], off
	s_waitcnt vmcnt(0)
	v_cvt_i32_f32_e32 v9, v6
.LBB440_1179:
	s_mov_b32 s0, 0
.LBB440_1180:
	s_delay_alu instid0(SALU_CYCLE_1)
	s_and_not1_b32 vcc_lo, exec_lo, s0
	s_cbranch_vccnz .LBB440_1182
; %bb.1181:
	global_load_u16 v6, v[0:1], off
	s_waitcnt vmcnt(0)
	v_cvt_f32_f16_e32 v6, v6
	s_delay_alu instid0(VALU_DEP_1)
	v_cvt_i32_f32_e32 v9, v6
.LBB440_1182:
	s_cbranch_execnz .LBB440_1202
.LBB440_1183:
	v_cmp_gt_i16_e32 vcc_lo, 2, v5
	s_cbranch_vccnz .LBB440_1187
; %bb.1184:
	v_cmp_gt_i16_e32 vcc_lo, 3, v5
	s_cbranch_vccnz .LBB440_1188
; %bb.1185:
	v_cmp_lt_i16_e32 vcc_lo, 3, v5
	s_cbranch_vccz .LBB440_1189
; %bb.1186:
	global_load_b32 v9, v[0:1], off
	s_mov_b32 s0, 0
	s_branch .LBB440_1190
.LBB440_1187:
	s_mov_b32 s0, -1
                                        ; implicit-def: $vgpr9
	s_branch .LBB440_1196
.LBB440_1188:
	s_mov_b32 s0, -1
                                        ; implicit-def: $vgpr9
	s_branch .LBB440_1193
.LBB440_1189:
	s_mov_b32 s0, -1
                                        ; implicit-def: $vgpr9
.LBB440_1190:
	s_delay_alu instid0(SALU_CYCLE_1)
	s_and_not1_b32 vcc_lo, exec_lo, s0
	s_cbranch_vccnz .LBB440_1192
; %bb.1191:
	global_load_b32 v9, v[0:1], off
.LBB440_1192:
	s_mov_b32 s0, 0
.LBB440_1193:
	s_delay_alu instid0(SALU_CYCLE_1)
	s_and_not1_b32 vcc_lo, exec_lo, s0
	s_cbranch_vccnz .LBB440_1195
; %bb.1194:
	global_load_i16 v9, v[0:1], off
.LBB440_1195:
	s_mov_b32 s0, 0
.LBB440_1196:
	s_delay_alu instid0(SALU_CYCLE_1)
	s_and_not1_b32 vcc_lo, exec_lo, s0
	s_cbranch_vccnz .LBB440_1202
; %bb.1197:
	v_cmp_lt_i16_e32 vcc_lo, 0, v5
	s_mov_b32 s0, 0
	s_cbranch_vccz .LBB440_1199
; %bb.1198:
	global_load_i8 v9, v[0:1], off
	s_branch .LBB440_1200
.LBB440_1199:
	s_mov_b32 s0, -1
                                        ; implicit-def: $vgpr9
.LBB440_1200:
	s_delay_alu instid0(SALU_CYCLE_1)
	s_and_not1_b32 vcc_lo, exec_lo, s0
	s_cbranch_vccnz .LBB440_1202
; %bb.1201:
	global_load_u8 v9, v[0:1], off
.LBB440_1202:
	s_branch .LBB440_1271
.LBB440_1203:
	s_trap 2
	s_sendmsg_rtn_b32 s0, sendmsg(MSG_RTN_GET_DOORBELL)
	s_mov_b32 ttmp2, m0
	s_waitcnt lgkmcnt(0)
	s_and_b32 s0, s0, 0x3ff
	s_delay_alu instid0(SALU_CYCLE_1) | instskip(NEXT) | instid1(SALU_CYCLE_1)
	s_bitset1_b32 s0, 10
	s_mov_b32 m0, s0
	s_sendmsg sendmsg(MSG_INTERRUPT)
	s_mov_b32 m0, ttmp2
.LBB440_1204:                           ; =>This Inner Loop Header: Depth=1
	s_sethalt 5
	s_branch .LBB440_1204
.LBB440_1205:
	s_or_saveexec_b32 s17, s17
                                        ; implicit-def: $sgpr18
	s_delay_alu instid0(SALU_CYCLE_1)
	s_xor_b32 exec_lo, exec_lo, s17
	s_cbranch_execz .LBB440_940
.LBB440_1206:
	v_add_f32_e64 v4, 0x42800000, |v1|
	s_and_not1_b32 s16, s16, exec_lo
	s_mov_b32 s18, 0
	s_delay_alu instid0(VALU_DEP_1) | instskip(NEXT) | instid1(VALU_DEP_1)
	v_and_b32_e32 v4, 0xff, v4
	v_cmp_ne_u32_e32 vcc_lo, 0, v4
	s_and_b32 s19, vcc_lo, exec_lo
	s_delay_alu instid0(SALU_CYCLE_1)
	s_or_b32 s16, s16, s19
	s_or_b32 exec_lo, exec_lo, s17
	v_mov_b32_e32 v6, s18
	s_and_saveexec_b32 s17, s16
	s_cbranch_execnz .LBB440_941
	s_branch .LBB440_942
.LBB440_1207:
	s_mov_b32 s0, -1
	s_mov_b32 s13, 0
.LBB440_1208:
                                        ; implicit-def: $vgpr9
.LBB440_1209:
	s_and_b32 vcc_lo, exec_lo, s14
	s_cbranch_vccz .LBB440_1213
; %bb.1210:
	v_cmp_eq_u16_e32 vcc_lo, 44, v5
	s_cbranch_vccz .LBB440_1212
; %bb.1211:
	global_load_u8 v6, v[0:1], off
	s_mov_b32 s0, 0
	s_mov_b32 s13, -1
	s_waitcnt vmcnt(0)
	v_lshlrev_b32_e32 v7, 23, v6
	v_cmp_ne_u32_e32 vcc_lo, 0, v6
	s_delay_alu instid0(VALU_DEP_2) | instskip(NEXT) | instid1(VALU_DEP_1)
	v_cvt_i32_f32_e32 v7, v7
	v_cndmask_b32_e32 v9, 0, v7, vcc_lo
	s_branch .LBB440_1213
.LBB440_1212:
	s_mov_b32 s0, -1
                                        ; implicit-def: $vgpr9
.LBB440_1213:
	s_mov_b32 s14, 0
.LBB440_1214:
	s_delay_alu instid0(SALU_CYCLE_1)
	s_and_b32 vcc_lo, exec_lo, s14
	s_cbranch_vccz .LBB440_1218
; %bb.1215:
	v_cmp_eq_u16_e32 vcc_lo, 29, v5
	s_cbranch_vccz .LBB440_1217
; %bb.1216:
	global_load_b32 v9, v[0:1], off
	s_mov_b32 s0, 0
	s_mov_b32 s13, -1
	s_branch .LBB440_1218
.LBB440_1217:
	s_mov_b32 s0, -1
                                        ; implicit-def: $vgpr9
.LBB440_1218:
	s_mov_b32 s14, 0
.LBB440_1219:
	s_delay_alu instid0(SALU_CYCLE_1)
	s_and_b32 vcc_lo, exec_lo, s14
	s_cbranch_vccz .LBB440_1235
; %bb.1220:
	v_cmp_gt_i16_e32 vcc_lo, 27, v5
	s_cbranch_vccnz .LBB440_1223
; %bb.1221:
	v_cmp_lt_i16_e32 vcc_lo, 27, v5
	s_cbranch_vccz .LBB440_1224
; %bb.1222:
	global_load_b32 v9, v[0:1], off
	s_mov_b32 s13, 0
	s_branch .LBB440_1225
.LBB440_1223:
	s_mov_b32 s13, -1
                                        ; implicit-def: $vgpr9
	s_branch .LBB440_1228
.LBB440_1224:
	s_mov_b32 s13, -1
                                        ; implicit-def: $vgpr9
.LBB440_1225:
	s_delay_alu instid0(SALU_CYCLE_1)
	s_and_not1_b32 vcc_lo, exec_lo, s13
	s_cbranch_vccnz .LBB440_1227
; %bb.1226:
	global_load_u16 v9, v[0:1], off
.LBB440_1227:
	s_mov_b32 s13, 0
.LBB440_1228:
	s_delay_alu instid0(SALU_CYCLE_1)
	s_and_not1_b32 vcc_lo, exec_lo, s13
	s_cbranch_vccnz .LBB440_1234
; %bb.1229:
	global_load_u8 v6, v[0:1], off
	s_mov_b32 s13, 0
	s_mov_b32 s14, exec_lo
                                        ; implicit-def: $sgpr15
	s_waitcnt vmcnt(0)
	v_cmpx_lt_i16_e32 0x7f, v6
	s_xor_b32 s14, exec_lo, s14
	s_cbranch_execz .LBB440_1245
; %bb.1230:
	v_cmp_ne_u16_e32 vcc_lo, 0x80, v6
	s_mov_b32 s15, 0
	s_and_b32 s13, vcc_lo, exec_lo
	s_or_saveexec_b32 s14, s14
	v_mov_b32_e32 v9, s15
	s_xor_b32 exec_lo, exec_lo, s14
	s_cbranch_execnz .LBB440_1246
.LBB440_1231:
	s_or_b32 exec_lo, exec_lo, s14
	s_and_saveexec_b32 s14, s13
	s_cbranch_execz .LBB440_1233
.LBB440_1232:
	v_and_b32_e32 v7, 0xffff, v6
	v_lshlrev_b32_e32 v6, 24, v6
	s_delay_alu instid0(VALU_DEP_2) | instskip(NEXT) | instid1(VALU_DEP_2)
	v_and_b32_e32 v8, 7, v7
	v_and_b32_e32 v6, 0x80000000, v6
	s_delay_alu instid0(VALU_DEP_2) | instskip(NEXT) | instid1(VALU_DEP_1)
	v_clz_i32_u32_e32 v9, v8
	v_min_u32_e32 v9, 32, v9
	s_delay_alu instid0(VALU_DEP_1) | instskip(SKIP_1) | instid1(VALU_DEP_2)
	v_subrev_nc_u32_e32 v10, 28, v9
	v_sub_nc_u32_e32 v9, 29, v9
	v_lshlrev_b32_e32 v10, v10, v7
	v_bfe_u32 v7, v7, 3, 4
	s_delay_alu instid0(VALU_DEP_2) | instskip(NEXT) | instid1(VALU_DEP_2)
	v_and_b32_e32 v10, 7, v10
	v_cmp_eq_u32_e32 vcc_lo, 0, v7
	s_delay_alu instid0(VALU_DEP_2) | instskip(NEXT) | instid1(VALU_DEP_1)
	v_dual_cndmask_b32 v7, v7, v9 :: v_dual_cndmask_b32 v8, v8, v10
	v_lshl_add_u32 v7, v7, 23, 0x3b800000
	s_delay_alu instid0(VALU_DEP_2) | instskip(NEXT) | instid1(VALU_DEP_1)
	v_lshlrev_b32_e32 v8, 20, v8
	v_or3_b32 v6, v6, v7, v8
	s_delay_alu instid0(VALU_DEP_1)
	v_cvt_i32_f32_e32 v9, v6
.LBB440_1233:
	s_or_b32 exec_lo, exec_lo, s14
.LBB440_1234:
	s_mov_b32 s13, -1
.LBB440_1235:
	s_branch .LBB440_1266
.LBB440_1236:
	v_cmp_lt_i16_e32 vcc_lo, 22, v5
	s_cbranch_vccz .LBB440_1244
; %bb.1237:
	v_cmp_gt_i16_e32 vcc_lo, 24, v5
	s_cbranch_vccnz .LBB440_1247
; %bb.1238:
	v_cmp_lt_i16_e32 vcc_lo, 24, v5
	s_cbranch_vccz .LBB440_1248
; %bb.1239:
	global_load_u8 v6, v[0:1], off
	s_mov_b32 s13, exec_lo
                                        ; implicit-def: $sgpr14
	s_waitcnt vmcnt(0)
	v_cmpx_lt_i16_e32 0x7f, v6
	s_xor_b32 s13, exec_lo, s13
	s_cbranch_execz .LBB440_1260
; %bb.1240:
	v_cmp_ne_u16_e32 vcc_lo, 0x80, v6
	s_mov_b32 s14, 0
	s_and_b32 s12, vcc_lo, exec_lo
	s_or_saveexec_b32 s13, s13
	v_mov_b32_e32 v9, s14
	s_xor_b32 exec_lo, exec_lo, s13
	s_cbranch_execnz .LBB440_1261
.LBB440_1241:
	s_or_b32 exec_lo, exec_lo, s13
	s_and_saveexec_b32 s13, s12
	s_cbranch_execz .LBB440_1243
.LBB440_1242:
	v_and_b32_e32 v7, 0xffff, v6
	v_lshlrev_b32_e32 v6, 24, v6
	s_delay_alu instid0(VALU_DEP_2) | instskip(NEXT) | instid1(VALU_DEP_2)
	v_and_b32_e32 v8, 3, v7
	v_and_b32_e32 v6, 0x80000000, v6
	s_delay_alu instid0(VALU_DEP_2) | instskip(NEXT) | instid1(VALU_DEP_1)
	v_clz_i32_u32_e32 v9, v8
	v_min_u32_e32 v9, 32, v9
	s_delay_alu instid0(VALU_DEP_1) | instskip(SKIP_1) | instid1(VALU_DEP_2)
	v_subrev_nc_u32_e32 v10, 29, v9
	v_sub_nc_u32_e32 v9, 30, v9
	v_lshlrev_b32_e32 v10, v10, v7
	v_bfe_u32 v7, v7, 2, 5
	s_delay_alu instid0(VALU_DEP_2) | instskip(NEXT) | instid1(VALU_DEP_2)
	v_and_b32_e32 v10, 3, v10
	v_cmp_eq_u32_e32 vcc_lo, 0, v7
	s_delay_alu instid0(VALU_DEP_2) | instskip(NEXT) | instid1(VALU_DEP_1)
	v_dual_cndmask_b32 v7, v7, v9 :: v_dual_cndmask_b32 v8, v8, v10
	v_lshl_add_u32 v7, v7, 23, 0x37800000
	s_delay_alu instid0(VALU_DEP_2) | instskip(NEXT) | instid1(VALU_DEP_1)
	v_lshlrev_b32_e32 v8, 21, v8
	v_or3_b32 v6, v6, v7, v8
	s_delay_alu instid0(VALU_DEP_1)
	v_cvt_i32_f32_e32 v9, v6
.LBB440_1243:
	s_or_b32 exec_lo, exec_lo, s13
	s_mov_b32 s12, 0
	s_branch .LBB440_1249
.LBB440_1244:
	s_mov_b32 s12, -1
                                        ; implicit-def: $vgpr9
	s_branch .LBB440_1255
.LBB440_1245:
	s_or_saveexec_b32 s14, s14
	v_mov_b32_e32 v9, s15
	s_xor_b32 exec_lo, exec_lo, s14
	s_cbranch_execz .LBB440_1231
.LBB440_1246:
	v_cmp_ne_u16_e32 vcc_lo, 0, v6
	v_mov_b32_e32 v9, 0
	s_and_not1_b32 s13, s13, exec_lo
	s_and_b32 s15, vcc_lo, exec_lo
	s_delay_alu instid0(SALU_CYCLE_1)
	s_or_b32 s13, s13, s15
	s_or_b32 exec_lo, exec_lo, s14
	s_and_saveexec_b32 s14, s13
	s_cbranch_execnz .LBB440_1232
	s_branch .LBB440_1233
.LBB440_1247:
	s_mov_b32 s12, -1
                                        ; implicit-def: $vgpr9
	s_branch .LBB440_1252
.LBB440_1248:
	s_mov_b32 s12, -1
                                        ; implicit-def: $vgpr9
.LBB440_1249:
	s_delay_alu instid0(SALU_CYCLE_1)
	s_and_b32 vcc_lo, exec_lo, s12
	s_cbranch_vccz .LBB440_1251
; %bb.1250:
	global_load_u8 v6, v[0:1], off
	s_waitcnt vmcnt(0)
	v_lshlrev_b32_e32 v6, 24, v6
	s_delay_alu instid0(VALU_DEP_1) | instskip(NEXT) | instid1(VALU_DEP_1)
	v_and_b32_e32 v7, 0x7f000000, v6
	v_clz_i32_u32_e32 v8, v7
	v_add_nc_u32_e32 v10, 0x1000000, v7
	v_cmp_ne_u32_e32 vcc_lo, 0, v7
	s_delay_alu instid0(VALU_DEP_3) | instskip(NEXT) | instid1(VALU_DEP_1)
	v_min_u32_e32 v8, 32, v8
	v_sub_nc_u32_e64 v8, v8, 4 clamp
	s_delay_alu instid0(VALU_DEP_1) | instskip(SKIP_1) | instid1(VALU_DEP_2)
	v_lshlrev_b32_e32 v9, v8, v7
	v_lshlrev_b32_e32 v8, 23, v8
	v_lshrrev_b32_e32 v9, 4, v9
	s_delay_alu instid0(VALU_DEP_1) | instskip(SKIP_1) | instid1(VALU_DEP_2)
	v_sub_nc_u32_e32 v8, v9, v8
	v_ashrrev_i32_e32 v9, 8, v10
	v_add_nc_u32_e32 v8, 0x3c000000, v8
	s_delay_alu instid0(VALU_DEP_1) | instskip(NEXT) | instid1(VALU_DEP_1)
	v_and_or_b32 v8, 0x7f800000, v9, v8
	v_cndmask_b32_e32 v7, 0, v8, vcc_lo
	s_delay_alu instid0(VALU_DEP_1) | instskip(NEXT) | instid1(VALU_DEP_1)
	v_and_or_b32 v6, 0x80000000, v6, v7
	v_cvt_i32_f32_e32 v9, v6
.LBB440_1251:
	s_mov_b32 s12, 0
.LBB440_1252:
	s_delay_alu instid0(SALU_CYCLE_1)
	s_and_not1_b32 vcc_lo, exec_lo, s12
	s_cbranch_vccnz .LBB440_1254
; %bb.1253:
	global_load_u8 v6, v[0:1], off
	s_waitcnt vmcnt(0)
	v_lshlrev_b32_e32 v7, 25, v6
	v_lshlrev_b16 v6, 8, v6
	s_delay_alu instid0(VALU_DEP_2) | instskip(NEXT) | instid1(VALU_DEP_2)
	v_lshrrev_b32_e32 v8, 4, v7
	v_and_or_b32 v9, 0x7f00, v6, 0.5
	v_bfe_i32 v6, v6, 0, 16
	s_delay_alu instid0(VALU_DEP_3) | instskip(NEXT) | instid1(VALU_DEP_1)
	v_or_b32_e32 v8, 0x70000000, v8
	v_dual_add_f32 v9, -0.5, v9 :: v_dual_mul_f32 v8, 0x7800000, v8
	v_cmp_gt_u32_e32 vcc_lo, 0x8000000, v7
	s_delay_alu instid0(VALU_DEP_2) | instskip(NEXT) | instid1(VALU_DEP_1)
	v_cndmask_b32_e32 v7, v8, v9, vcc_lo
	v_and_or_b32 v6, 0x80000000, v6, v7
	s_delay_alu instid0(VALU_DEP_1)
	v_cvt_i32_f32_e32 v9, v6
.LBB440_1254:
	s_mov_b32 s12, 0
	s_mov_b32 s13, -1
.LBB440_1255:
	s_and_not1_b32 vcc_lo, exec_lo, s12
	s_mov_b32 s12, 0
	s_cbranch_vccnz .LBB440_1266
; %bb.1256:
	v_cmp_lt_i16_e32 vcc_lo, 14, v5
	s_cbranch_vccz .LBB440_1259
; %bb.1257:
	v_cmp_eq_u16_e32 vcc_lo, 15, v5
	s_cbranch_vccz .LBB440_1262
; %bb.1258:
	global_load_u16 v6, v[0:1], off
	s_mov_b32 s0, 0
	s_mov_b32 s13, -1
	s_waitcnt vmcnt(0)
	v_lshlrev_b32_e32 v6, 16, v6
	s_delay_alu instid0(VALU_DEP_1)
	v_cvt_i32_f32_e32 v9, v6
	s_branch .LBB440_1264
.LBB440_1259:
	s_mov_b32 s12, -1
	s_branch .LBB440_1263
.LBB440_1260:
	s_or_saveexec_b32 s13, s13
	v_mov_b32_e32 v9, s14
	s_xor_b32 exec_lo, exec_lo, s13
	s_cbranch_execz .LBB440_1241
.LBB440_1261:
	v_cmp_ne_u16_e32 vcc_lo, 0, v6
	v_mov_b32_e32 v9, 0
	s_and_not1_b32 s12, s12, exec_lo
	s_and_b32 s14, vcc_lo, exec_lo
	s_delay_alu instid0(SALU_CYCLE_1)
	s_or_b32 s12, s12, s14
	s_or_b32 exec_lo, exec_lo, s13
	s_and_saveexec_b32 s13, s12
	s_cbranch_execnz .LBB440_1242
	s_branch .LBB440_1243
.LBB440_1262:
	s_mov_b32 s0, -1
.LBB440_1263:
                                        ; implicit-def: $vgpr9
.LBB440_1264:
	s_and_b32 vcc_lo, exec_lo, s12
	s_mov_b32 s12, 0
	s_cbranch_vccz .LBB440_1266
; %bb.1265:
	v_cmp_ne_u16_e64 s0, 11, v5
	s_mov_b32 s12, -1
                                        ; implicit-def: $vgpr9
.LBB440_1266:
	s_delay_alu instid0(VALU_DEP_1)
	s_and_b32 vcc_lo, exec_lo, s0
	s_cbranch_vccnz .LBB440_1290
; %bb.1267:
	s_and_not1_b32 vcc_lo, exec_lo, s12
	s_cbranch_vccnz .LBB440_1269
.LBB440_1268:
	global_load_u8 v6, v[0:1], off
	s_mov_b32 s13, -1
	s_waitcnt vmcnt(0)
	v_cmp_ne_u16_e32 vcc_lo, 0, v6
	v_cndmask_b32_e64 v9, 0, 1, vcc_lo
.LBB440_1269:
.LBB440_1270:
	s_and_not1_b32 vcc_lo, exec_lo, s13
	s_cbranch_vccnz .LBB440_1963
.LBB440_1271:
	v_add_nc_u32_e32 v3, s9, v3
	v_cmp_gt_i16_e32 vcc_lo, 11, v5
	s_delay_alu instid0(VALU_DEP_2) | instskip(SKIP_1) | instid1(VALU_DEP_1)
	v_ashrrev_i32_e32 v1, 31, v3
	v_add_co_u32 v0, s0, s6, v3
	v_add_co_ci_u32_e64 v1, s0, s7, v1, s0
	s_cbranch_vccnz .LBB440_1278
; %bb.1272:
	v_cmp_lt_i16_e32 vcc_lo, 25, v5
	s_mov_b32 s12, 0
	s_cbranch_vccz .LBB440_1284
; %bb.1273:
	v_cmp_lt_i16_e32 vcc_lo, 28, v5
	s_cbranch_vccz .LBB440_1286
; %bb.1274:
	v_cmp_lt_i16_e32 vcc_lo, 43, v5
	;; [unrolled: 3-line block ×3, first 2 shown]
	s_cbranch_vccz .LBB440_1292
; %bb.1276:
	v_cmp_eq_u16_e32 vcc_lo, 46, v5
	s_mov_b32 s14, 0
	s_cbranch_vccz .LBB440_1335
; %bb.1277:
	global_load_b32 v6, v[0:1], off
	s_mov_b32 s0, 0
	s_mov_b32 s13, -1
	s_waitcnt vmcnt(0)
	v_lshlrev_b32_e32 v6, 16, v6
	s_delay_alu instid0(VALU_DEP_1)
	v_cvt_i32_f32_e32 v8, v6
	s_branch .LBB440_1337
.LBB440_1278:
	s_mov_b32 s13, 0
                                        ; implicit-def: $vgpr8
	s_cbranch_execz .LBB440_1399
; %bb.1279:
	v_cmp_gt_i16_e32 vcc_lo, 5, v5
	s_cbranch_vccnz .LBB440_1285
; %bb.1280:
	v_cmp_gt_i16_e32 vcc_lo, 8, v5
	s_cbranch_vccnz .LBB440_1287
	;; [unrolled: 3-line block ×3, first 2 shown]
; %bb.1282:
	v_cmp_lt_i16_e32 vcc_lo, 9, v5
	s_cbranch_vccz .LBB440_1293
; %bb.1283:
	global_load_b64 v[6:7], v[0:1], off
	s_mov_b32 s0, 0
	s_waitcnt vmcnt(0)
	v_cvt_i32_f64_e32 v8, v[6:7]
	s_branch .LBB440_1294
.LBB440_1284:
	s_mov_b32 s14, -1
	s_mov_b32 s13, 0
	s_mov_b32 s0, 0
                                        ; implicit-def: $vgpr8
	s_branch .LBB440_1364
.LBB440_1285:
	s_mov_b32 s0, -1
                                        ; implicit-def: $vgpr8
	s_branch .LBB440_1312
.LBB440_1286:
	s_mov_b32 s14, -1
	s_mov_b32 s13, 0
	s_mov_b32 s0, 0
                                        ; implicit-def: $vgpr8
	s_branch .LBB440_1347
.LBB440_1287:
	s_mov_b32 s0, -1
                                        ; implicit-def: $vgpr8
	s_branch .LBB440_1300
.LBB440_1288:
	s_mov_b32 s14, -1
	s_mov_b32 s13, 0
	s_mov_b32 s0, 0
                                        ; implicit-def: $vgpr8
	s_branch .LBB440_1342
.LBB440_1289:
	s_mov_b32 s0, -1
                                        ; implicit-def: $vgpr8
	s_branch .LBB440_1297
.LBB440_1290:
	s_cbranch_execnz .LBB440_1333
; %bb.1291:
	s_or_b32 s1, s1, exec_lo
                                        ; implicit-def: $vgpr9
	s_cbranch_execz .LBB440_1268
	s_branch .LBB440_1269
.LBB440_1292:
	s_mov_b32 s14, -1
	s_mov_b32 s13, 0
	s_mov_b32 s0, 0
	s_branch .LBB440_1336
.LBB440_1293:
	s_mov_b32 s0, -1
                                        ; implicit-def: $vgpr8
.LBB440_1294:
	s_delay_alu instid0(SALU_CYCLE_1)
	s_and_not1_b32 vcc_lo, exec_lo, s0
	s_cbranch_vccnz .LBB440_1296
; %bb.1295:
	global_load_b32 v6, v[0:1], off
	s_waitcnt vmcnt(0)
	v_cvt_i32_f32_e32 v8, v6
.LBB440_1296:
	s_mov_b32 s0, 0
.LBB440_1297:
	s_delay_alu instid0(SALU_CYCLE_1)
	s_and_not1_b32 vcc_lo, exec_lo, s0
	s_cbranch_vccnz .LBB440_1299
; %bb.1298:
	global_load_b32 v6, v[0:1], off
	s_waitcnt vmcnt(0)
	v_cvt_f32_f16_e32 v6, v6
	s_delay_alu instid0(VALU_DEP_1)
	v_cvt_i32_f32_e32 v8, v6
.LBB440_1299:
	s_mov_b32 s0, 0
.LBB440_1300:
	s_delay_alu instid0(SALU_CYCLE_1)
	s_and_not1_b32 vcc_lo, exec_lo, s0
	s_cbranch_vccnz .LBB440_1311
; %bb.1301:
	v_cmp_gt_i16_e32 vcc_lo, 6, v5
	s_cbranch_vccnz .LBB440_1304
; %bb.1302:
	v_cmp_lt_i16_e32 vcc_lo, 6, v5
	s_cbranch_vccz .LBB440_1305
; %bb.1303:
	global_load_b64 v[6:7], v[0:1], off
	s_mov_b32 s0, 0
	s_waitcnt vmcnt(0)
	v_cvt_i32_f64_e32 v8, v[6:7]
	s_branch .LBB440_1306
.LBB440_1304:
	s_mov_b32 s0, -1
                                        ; implicit-def: $vgpr8
	s_branch .LBB440_1309
.LBB440_1305:
	s_mov_b32 s0, -1
                                        ; implicit-def: $vgpr8
.LBB440_1306:
	s_delay_alu instid0(SALU_CYCLE_1)
	s_and_not1_b32 vcc_lo, exec_lo, s0
	s_cbranch_vccnz .LBB440_1308
; %bb.1307:
	global_load_b32 v6, v[0:1], off
	s_waitcnt vmcnt(0)
	v_cvt_i32_f32_e32 v8, v6
.LBB440_1308:
	s_mov_b32 s0, 0
.LBB440_1309:
	s_delay_alu instid0(SALU_CYCLE_1)
	s_and_not1_b32 vcc_lo, exec_lo, s0
	s_cbranch_vccnz .LBB440_1311
; %bb.1310:
	global_load_u16 v6, v[0:1], off
	s_waitcnt vmcnt(0)
	v_cvt_f32_f16_e32 v6, v6
	s_delay_alu instid0(VALU_DEP_1)
	v_cvt_i32_f32_e32 v8, v6
.LBB440_1311:
	s_mov_b32 s0, 0
.LBB440_1312:
	s_delay_alu instid0(SALU_CYCLE_1)
	s_and_not1_b32 vcc_lo, exec_lo, s0
	s_cbranch_vccnz .LBB440_1332
; %bb.1313:
	v_cmp_gt_i16_e32 vcc_lo, 2, v5
	s_cbranch_vccnz .LBB440_1317
; %bb.1314:
	v_cmp_gt_i16_e32 vcc_lo, 3, v5
	s_cbranch_vccnz .LBB440_1318
; %bb.1315:
	v_cmp_lt_i16_e32 vcc_lo, 3, v5
	s_cbranch_vccz .LBB440_1319
; %bb.1316:
	global_load_b32 v8, v[0:1], off
	s_mov_b32 s0, 0
	s_branch .LBB440_1320
.LBB440_1317:
	s_mov_b32 s0, -1
                                        ; implicit-def: $vgpr8
	s_branch .LBB440_1326
.LBB440_1318:
	s_mov_b32 s0, -1
                                        ; implicit-def: $vgpr8
	s_branch .LBB440_1323
.LBB440_1319:
	s_mov_b32 s0, -1
                                        ; implicit-def: $vgpr8
.LBB440_1320:
	s_delay_alu instid0(SALU_CYCLE_1)
	s_and_not1_b32 vcc_lo, exec_lo, s0
	s_cbranch_vccnz .LBB440_1322
; %bb.1321:
	global_load_b32 v8, v[0:1], off
.LBB440_1322:
	s_mov_b32 s0, 0
.LBB440_1323:
	s_delay_alu instid0(SALU_CYCLE_1)
	s_and_not1_b32 vcc_lo, exec_lo, s0
	s_cbranch_vccnz .LBB440_1325
; %bb.1324:
	global_load_i16 v8, v[0:1], off
.LBB440_1325:
	s_mov_b32 s0, 0
.LBB440_1326:
	s_delay_alu instid0(SALU_CYCLE_1)
	s_and_not1_b32 vcc_lo, exec_lo, s0
	s_cbranch_vccnz .LBB440_1332
; %bb.1327:
	v_cmp_lt_i16_e32 vcc_lo, 0, v5
	s_mov_b32 s0, 0
	s_cbranch_vccz .LBB440_1329
; %bb.1328:
	global_load_i8 v8, v[0:1], off
	s_branch .LBB440_1330
.LBB440_1329:
	s_mov_b32 s0, -1
                                        ; implicit-def: $vgpr8
.LBB440_1330:
	s_delay_alu instid0(SALU_CYCLE_1)
	s_and_not1_b32 vcc_lo, exec_lo, s0
	s_cbranch_vccnz .LBB440_1332
; %bb.1331:
	global_load_u8 v8, v[0:1], off
.LBB440_1332:
	s_branch .LBB440_1400
.LBB440_1333:
	s_trap 2
	s_sendmsg_rtn_b32 s0, sendmsg(MSG_RTN_GET_DOORBELL)
	s_mov_b32 ttmp2, m0
	s_waitcnt lgkmcnt(0)
	s_and_b32 s0, s0, 0x3ff
	s_delay_alu instid0(SALU_CYCLE_1) | instskip(NEXT) | instid1(SALU_CYCLE_1)
	s_bitset1_b32 s0, 10
	s_mov_b32 m0, s0
	s_sendmsg sendmsg(MSG_INTERRUPT)
	s_mov_b32 m0, ttmp2
.LBB440_1334:                           ; =>This Inner Loop Header: Depth=1
	s_sethalt 5
	s_branch .LBB440_1334
.LBB440_1335:
	s_mov_b32 s0, -1
	s_mov_b32 s13, 0
.LBB440_1336:
                                        ; implicit-def: $vgpr8
.LBB440_1337:
	s_and_b32 vcc_lo, exec_lo, s14
	s_cbranch_vccz .LBB440_1341
; %bb.1338:
	v_cmp_eq_u16_e32 vcc_lo, 44, v5
	s_cbranch_vccz .LBB440_1340
; %bb.1339:
	global_load_u8 v6, v[0:1], off
	s_mov_b32 s0, 0
	s_mov_b32 s13, -1
	s_waitcnt vmcnt(0)
	v_lshlrev_b32_e32 v7, 23, v6
	v_cmp_ne_u32_e32 vcc_lo, 0, v6
	s_delay_alu instid0(VALU_DEP_2) | instskip(NEXT) | instid1(VALU_DEP_1)
	v_cvt_i32_f32_e32 v7, v7
	v_cndmask_b32_e32 v8, 0, v7, vcc_lo
	s_branch .LBB440_1341
.LBB440_1340:
	s_mov_b32 s0, -1
                                        ; implicit-def: $vgpr8
.LBB440_1341:
	s_mov_b32 s14, 0
.LBB440_1342:
	s_delay_alu instid0(SALU_CYCLE_1)
	s_and_b32 vcc_lo, exec_lo, s14
	s_cbranch_vccz .LBB440_1346
; %bb.1343:
	v_cmp_eq_u16_e32 vcc_lo, 29, v5
	s_cbranch_vccz .LBB440_1345
; %bb.1344:
	global_load_b32 v8, v[0:1], off
	s_mov_b32 s0, 0
	s_mov_b32 s13, -1
	s_branch .LBB440_1346
.LBB440_1345:
	s_mov_b32 s0, -1
                                        ; implicit-def: $vgpr8
.LBB440_1346:
	s_mov_b32 s14, 0
.LBB440_1347:
	s_delay_alu instid0(SALU_CYCLE_1)
	s_and_b32 vcc_lo, exec_lo, s14
	s_cbranch_vccz .LBB440_1363
; %bb.1348:
	v_cmp_gt_i16_e32 vcc_lo, 27, v5
	s_cbranch_vccnz .LBB440_1351
; %bb.1349:
	v_cmp_lt_i16_e32 vcc_lo, 27, v5
	s_cbranch_vccz .LBB440_1352
; %bb.1350:
	global_load_b32 v8, v[0:1], off
	s_mov_b32 s13, 0
	s_branch .LBB440_1353
.LBB440_1351:
	s_mov_b32 s13, -1
                                        ; implicit-def: $vgpr8
	s_branch .LBB440_1356
.LBB440_1352:
	s_mov_b32 s13, -1
                                        ; implicit-def: $vgpr8
.LBB440_1353:
	s_delay_alu instid0(SALU_CYCLE_1)
	s_and_not1_b32 vcc_lo, exec_lo, s13
	s_cbranch_vccnz .LBB440_1355
; %bb.1354:
	global_load_u16 v8, v[0:1], off
.LBB440_1355:
	s_mov_b32 s13, 0
.LBB440_1356:
	s_delay_alu instid0(SALU_CYCLE_1)
	s_and_not1_b32 vcc_lo, exec_lo, s13
	s_cbranch_vccnz .LBB440_1362
; %bb.1357:
	global_load_u8 v6, v[0:1], off
	s_mov_b32 s13, 0
	s_mov_b32 s14, exec_lo
                                        ; implicit-def: $sgpr15
	s_waitcnt vmcnt(0)
	v_cmpx_lt_i16_e32 0x7f, v6
	s_xor_b32 s14, exec_lo, s14
	s_cbranch_execz .LBB440_1374
; %bb.1358:
	v_cmp_ne_u16_e32 vcc_lo, 0x80, v6
	s_mov_b32 s15, 0
	s_and_b32 s13, vcc_lo, exec_lo
	s_or_saveexec_b32 s14, s14
	v_mov_b32_e32 v8, s15
	s_xor_b32 exec_lo, exec_lo, s14
	s_cbranch_execnz .LBB440_1375
.LBB440_1359:
	s_or_b32 exec_lo, exec_lo, s14
	s_and_saveexec_b32 s14, s13
	s_cbranch_execz .LBB440_1361
.LBB440_1360:
	v_and_b32_e32 v7, 0xffff, v6
	v_lshlrev_b32_e32 v6, 24, v6
	s_delay_alu instid0(VALU_DEP_2) | instskip(NEXT) | instid1(VALU_DEP_2)
	v_and_b32_e32 v8, 7, v7
	v_and_b32_e32 v6, 0x80000000, v6
	s_delay_alu instid0(VALU_DEP_2) | instskip(NEXT) | instid1(VALU_DEP_1)
	v_clz_i32_u32_e32 v10, v8
	v_min_u32_e32 v10, 32, v10
	s_delay_alu instid0(VALU_DEP_1) | instskip(SKIP_1) | instid1(VALU_DEP_2)
	v_subrev_nc_u32_e32 v11, 28, v10
	v_sub_nc_u32_e32 v10, 29, v10
	v_lshlrev_b32_e32 v11, v11, v7
	v_bfe_u32 v7, v7, 3, 4
	s_delay_alu instid0(VALU_DEP_2) | instskip(NEXT) | instid1(VALU_DEP_2)
	v_and_b32_e32 v11, 7, v11
	v_cmp_eq_u32_e32 vcc_lo, 0, v7
	s_delay_alu instid0(VALU_DEP_2) | instskip(NEXT) | instid1(VALU_DEP_1)
	v_dual_cndmask_b32 v7, v7, v10 :: v_dual_cndmask_b32 v8, v8, v11
	v_lshl_add_u32 v7, v7, 23, 0x3b800000
	s_delay_alu instid0(VALU_DEP_2) | instskip(NEXT) | instid1(VALU_DEP_1)
	v_lshlrev_b32_e32 v8, 20, v8
	v_or3_b32 v6, v6, v7, v8
	s_delay_alu instid0(VALU_DEP_1)
	v_cvt_i32_f32_e32 v8, v6
.LBB440_1361:
	s_or_b32 exec_lo, exec_lo, s14
.LBB440_1362:
	s_mov_b32 s13, -1
.LBB440_1363:
	s_mov_b32 s14, 0
.LBB440_1364:
	s_delay_alu instid0(SALU_CYCLE_1)
	s_and_b32 vcc_lo, exec_lo, s14
	s_cbranch_vccz .LBB440_1395
; %bb.1365:
	v_cmp_lt_i16_e32 vcc_lo, 22, v5
	s_cbranch_vccz .LBB440_1373
; %bb.1366:
	v_cmp_gt_i16_e32 vcc_lo, 24, v5
	s_cbranch_vccnz .LBB440_1376
; %bb.1367:
	v_cmp_lt_i16_e32 vcc_lo, 24, v5
	s_cbranch_vccz .LBB440_1377
; %bb.1368:
	global_load_u8 v6, v[0:1], off
	s_mov_b32 s13, exec_lo
                                        ; implicit-def: $sgpr14
	s_waitcnt vmcnt(0)
	v_cmpx_lt_i16_e32 0x7f, v6
	s_xor_b32 s13, exec_lo, s13
	s_cbranch_execz .LBB440_1389
; %bb.1369:
	v_cmp_ne_u16_e32 vcc_lo, 0x80, v6
	s_mov_b32 s14, 0
	s_and_b32 s12, vcc_lo, exec_lo
	s_or_saveexec_b32 s13, s13
	v_mov_b32_e32 v8, s14
	s_xor_b32 exec_lo, exec_lo, s13
	s_cbranch_execnz .LBB440_1390
.LBB440_1370:
	s_or_b32 exec_lo, exec_lo, s13
	s_and_saveexec_b32 s13, s12
	s_cbranch_execz .LBB440_1372
.LBB440_1371:
	v_and_b32_e32 v7, 0xffff, v6
	v_lshlrev_b32_e32 v6, 24, v6
	s_delay_alu instid0(VALU_DEP_2) | instskip(NEXT) | instid1(VALU_DEP_2)
	v_and_b32_e32 v8, 3, v7
	v_and_b32_e32 v6, 0x80000000, v6
	s_delay_alu instid0(VALU_DEP_2) | instskip(NEXT) | instid1(VALU_DEP_1)
	v_clz_i32_u32_e32 v10, v8
	v_min_u32_e32 v10, 32, v10
	s_delay_alu instid0(VALU_DEP_1) | instskip(SKIP_1) | instid1(VALU_DEP_2)
	v_subrev_nc_u32_e32 v11, 29, v10
	v_sub_nc_u32_e32 v10, 30, v10
	v_lshlrev_b32_e32 v11, v11, v7
	v_bfe_u32 v7, v7, 2, 5
	s_delay_alu instid0(VALU_DEP_2) | instskip(NEXT) | instid1(VALU_DEP_2)
	v_and_b32_e32 v11, 3, v11
	v_cmp_eq_u32_e32 vcc_lo, 0, v7
	s_delay_alu instid0(VALU_DEP_2) | instskip(NEXT) | instid1(VALU_DEP_1)
	v_dual_cndmask_b32 v7, v7, v10 :: v_dual_cndmask_b32 v8, v8, v11
	v_lshl_add_u32 v7, v7, 23, 0x37800000
	s_delay_alu instid0(VALU_DEP_2) | instskip(NEXT) | instid1(VALU_DEP_1)
	v_lshlrev_b32_e32 v8, 21, v8
	v_or3_b32 v6, v6, v7, v8
	s_delay_alu instid0(VALU_DEP_1)
	v_cvt_i32_f32_e32 v8, v6
.LBB440_1372:
	s_or_b32 exec_lo, exec_lo, s13
	s_mov_b32 s12, 0
	s_branch .LBB440_1378
.LBB440_1373:
	s_mov_b32 s12, -1
                                        ; implicit-def: $vgpr8
	s_branch .LBB440_1384
.LBB440_1374:
	s_or_saveexec_b32 s14, s14
	v_mov_b32_e32 v8, s15
	s_xor_b32 exec_lo, exec_lo, s14
	s_cbranch_execz .LBB440_1359
.LBB440_1375:
	v_cmp_ne_u16_e32 vcc_lo, 0, v6
	v_mov_b32_e32 v8, 0
	s_and_not1_b32 s13, s13, exec_lo
	s_and_b32 s15, vcc_lo, exec_lo
	s_delay_alu instid0(SALU_CYCLE_1)
	s_or_b32 s13, s13, s15
	s_or_b32 exec_lo, exec_lo, s14
	s_and_saveexec_b32 s14, s13
	s_cbranch_execnz .LBB440_1360
	s_branch .LBB440_1361
.LBB440_1376:
	s_mov_b32 s12, -1
                                        ; implicit-def: $vgpr8
	s_branch .LBB440_1381
.LBB440_1377:
	s_mov_b32 s12, -1
                                        ; implicit-def: $vgpr8
.LBB440_1378:
	s_delay_alu instid0(SALU_CYCLE_1)
	s_and_b32 vcc_lo, exec_lo, s12
	s_cbranch_vccz .LBB440_1380
; %bb.1379:
	global_load_u8 v6, v[0:1], off
	s_waitcnt vmcnt(0)
	v_lshlrev_b32_e32 v6, 24, v6
	s_delay_alu instid0(VALU_DEP_1) | instskip(NEXT) | instid1(VALU_DEP_1)
	v_and_b32_e32 v7, 0x7f000000, v6
	v_clz_i32_u32_e32 v8, v7
	v_add_nc_u32_e32 v11, 0x1000000, v7
	v_cmp_ne_u32_e32 vcc_lo, 0, v7
	s_delay_alu instid0(VALU_DEP_3) | instskip(NEXT) | instid1(VALU_DEP_1)
	v_min_u32_e32 v8, 32, v8
	v_sub_nc_u32_e64 v8, v8, 4 clamp
	s_delay_alu instid0(VALU_DEP_1) | instskip(SKIP_1) | instid1(VALU_DEP_2)
	v_lshlrev_b32_e32 v10, v8, v7
	v_lshlrev_b32_e32 v8, 23, v8
	v_lshrrev_b32_e32 v10, 4, v10
	s_delay_alu instid0(VALU_DEP_1) | instskip(SKIP_1) | instid1(VALU_DEP_2)
	v_sub_nc_u32_e32 v8, v10, v8
	v_ashrrev_i32_e32 v10, 8, v11
	v_add_nc_u32_e32 v8, 0x3c000000, v8
	s_delay_alu instid0(VALU_DEP_1) | instskip(NEXT) | instid1(VALU_DEP_1)
	v_and_or_b32 v8, 0x7f800000, v10, v8
	v_cndmask_b32_e32 v7, 0, v8, vcc_lo
	s_delay_alu instid0(VALU_DEP_1) | instskip(NEXT) | instid1(VALU_DEP_1)
	v_and_or_b32 v6, 0x80000000, v6, v7
	v_cvt_i32_f32_e32 v8, v6
.LBB440_1380:
	s_mov_b32 s12, 0
.LBB440_1381:
	s_delay_alu instid0(SALU_CYCLE_1)
	s_and_not1_b32 vcc_lo, exec_lo, s12
	s_cbranch_vccnz .LBB440_1383
; %bb.1382:
	global_load_u8 v6, v[0:1], off
	s_waitcnt vmcnt(0)
	v_lshlrev_b32_e32 v7, 25, v6
	v_lshlrev_b16 v6, 8, v6
	s_delay_alu instid0(VALU_DEP_2) | instskip(NEXT) | instid1(VALU_DEP_2)
	v_lshrrev_b32_e32 v8, 4, v7
	v_and_or_b32 v10, 0x7f00, v6, 0.5
	v_bfe_i32 v6, v6, 0, 16
	s_delay_alu instid0(VALU_DEP_3) | instskip(NEXT) | instid1(VALU_DEP_3)
	v_or_b32_e32 v8, 0x70000000, v8
	v_add_f32_e32 v10, -0.5, v10
	s_delay_alu instid0(VALU_DEP_2) | instskip(SKIP_1) | instid1(VALU_DEP_2)
	v_mul_f32_e32 v8, 0x7800000, v8
	v_cmp_gt_u32_e32 vcc_lo, 0x8000000, v7
	v_cndmask_b32_e32 v7, v8, v10, vcc_lo
	s_delay_alu instid0(VALU_DEP_1) | instskip(NEXT) | instid1(VALU_DEP_1)
	v_and_or_b32 v6, 0x80000000, v6, v7
	v_cvt_i32_f32_e32 v8, v6
.LBB440_1383:
	s_mov_b32 s12, 0
	s_mov_b32 s13, -1
.LBB440_1384:
	s_and_not1_b32 vcc_lo, exec_lo, s12
	s_mov_b32 s12, 0
	s_cbranch_vccnz .LBB440_1395
; %bb.1385:
	v_cmp_lt_i16_e32 vcc_lo, 14, v5
	s_cbranch_vccz .LBB440_1388
; %bb.1386:
	v_cmp_eq_u16_e32 vcc_lo, 15, v5
	s_cbranch_vccz .LBB440_1391
; %bb.1387:
	global_load_u16 v6, v[0:1], off
	s_mov_b32 s0, 0
	s_mov_b32 s13, -1
	s_waitcnt vmcnt(0)
	v_lshlrev_b32_e32 v6, 16, v6
	s_delay_alu instid0(VALU_DEP_1)
	v_cvt_i32_f32_e32 v8, v6
	s_branch .LBB440_1393
.LBB440_1388:
	s_mov_b32 s12, -1
	s_branch .LBB440_1392
.LBB440_1389:
	s_or_saveexec_b32 s13, s13
	v_mov_b32_e32 v8, s14
	s_xor_b32 exec_lo, exec_lo, s13
	s_cbranch_execz .LBB440_1370
.LBB440_1390:
	v_cmp_ne_u16_e32 vcc_lo, 0, v6
	v_mov_b32_e32 v8, 0
	s_and_not1_b32 s12, s12, exec_lo
	s_and_b32 s14, vcc_lo, exec_lo
	s_delay_alu instid0(SALU_CYCLE_1)
	s_or_b32 s12, s12, s14
	s_or_b32 exec_lo, exec_lo, s13
	s_and_saveexec_b32 s13, s12
	s_cbranch_execnz .LBB440_1371
	s_branch .LBB440_1372
.LBB440_1391:
	s_mov_b32 s0, -1
.LBB440_1392:
                                        ; implicit-def: $vgpr8
.LBB440_1393:
	s_and_b32 vcc_lo, exec_lo, s12
	s_mov_b32 s12, 0
	s_cbranch_vccz .LBB440_1395
; %bb.1394:
	v_cmp_ne_u16_e64 s0, 11, v5
	s_mov_b32 s12, -1
                                        ; implicit-def: $vgpr8
.LBB440_1395:
	s_delay_alu instid0(VALU_DEP_1)
	s_and_b32 vcc_lo, exec_lo, s0
	s_cbranch_vccnz .LBB440_1411
; %bb.1396:
	s_and_not1_b32 vcc_lo, exec_lo, s12
	s_cbranch_vccnz .LBB440_1398
.LBB440_1397:
	global_load_u8 v6, v[0:1], off
	s_mov_b32 s13, -1
	s_waitcnt vmcnt(0)
	v_cmp_ne_u16_e32 vcc_lo, 0, v6
	v_cndmask_b32_e64 v8, 0, 1, vcc_lo
.LBB440_1398:
.LBB440_1399:
	s_and_not1_b32 vcc_lo, exec_lo, s13
	s_cbranch_vccnz .LBB440_1963
.LBB440_1400:
	v_add_nc_u32_e32 v0, s9, v3
	v_cmp_gt_i16_e32 vcc_lo, 11, v5
	s_delay_alu instid0(VALU_DEP_2) | instskip(SKIP_1) | instid1(VALU_DEP_1)
	v_ashrrev_i32_e32 v1, 31, v0
	v_add_co_u32 v0, s0, s6, v0
	v_add_co_ci_u32_e64 v1, s0, s7, v1, s0
	s_cbranch_vccnz .LBB440_1407
; %bb.1401:
	v_cmp_lt_i16_e32 vcc_lo, 25, v5
	s_mov_b32 s6, 0
	s_cbranch_vccz .LBB440_1408
; %bb.1402:
	v_cmp_lt_i16_e32 vcc_lo, 28, v5
	s_cbranch_vccz .LBB440_1409
; %bb.1403:
	v_cmp_lt_i16_e32 vcc_lo, 43, v5
	;; [unrolled: 3-line block ×3, first 2 shown]
	s_cbranch_vccz .LBB440_1413
; %bb.1405:
	v_cmp_eq_u16_e32 vcc_lo, 46, v5
	s_mov_b32 s9, 0
	s_cbranch_vccz .LBB440_1416
; %bb.1406:
	global_load_b32 v3, v[0:1], off
	s_mov_b32 s0, 0
	s_mov_b32 s7, -1
	s_waitcnt vmcnt(0)
	v_lshlrev_b32_e32 v3, 16, v3
	s_delay_alu instid0(VALU_DEP_1)
	v_cvt_i32_f32_e32 v7, v3
	s_branch .LBB440_1418
.LBB440_1407:
	s_mov_b32 s0, -1
	s_mov_b32 s7, 0
                                        ; implicit-def: $vgpr7
	s_branch .LBB440_1480
.LBB440_1408:
	s_mov_b32 s9, -1
	s_mov_b32 s7, 0
	s_mov_b32 s0, 0
                                        ; implicit-def: $vgpr7
	s_branch .LBB440_1445
.LBB440_1409:
	s_mov_b32 s9, -1
	s_mov_b32 s7, 0
	s_mov_b32 s0, 0
                                        ; implicit-def: $vgpr7
	s_branch .LBB440_1428
.LBB440_1410:
	s_mov_b32 s9, -1
	s_mov_b32 s7, 0
	s_mov_b32 s0, 0
                                        ; implicit-def: $vgpr7
	s_branch .LBB440_1423
.LBB440_1411:
	s_cbranch_execnz .LBB440_1414
; %bb.1412:
	s_or_b32 s1, s1, exec_lo
                                        ; implicit-def: $vgpr8
	s_cbranch_execz .LBB440_1397
	s_branch .LBB440_1398
.LBB440_1413:
	s_mov_b32 s9, -1
	s_mov_b32 s7, 0
	s_mov_b32 s0, 0
	s_branch .LBB440_1417
.LBB440_1414:
	s_trap 2
	s_sendmsg_rtn_b32 s0, sendmsg(MSG_RTN_GET_DOORBELL)
	s_mov_b32 ttmp2, m0
	s_waitcnt lgkmcnt(0)
	s_and_b32 s0, s0, 0x3ff
	s_delay_alu instid0(SALU_CYCLE_1) | instskip(NEXT) | instid1(SALU_CYCLE_1)
	s_bitset1_b32 s0, 10
	s_mov_b32 m0, s0
	s_sendmsg sendmsg(MSG_INTERRUPT)
	s_mov_b32 m0, ttmp2
.LBB440_1415:                           ; =>This Inner Loop Header: Depth=1
	s_sethalt 5
	s_branch .LBB440_1415
.LBB440_1416:
	s_mov_b32 s0, -1
	s_mov_b32 s7, 0
.LBB440_1417:
                                        ; implicit-def: $vgpr7
.LBB440_1418:
	s_and_b32 vcc_lo, exec_lo, s9
	s_cbranch_vccz .LBB440_1422
; %bb.1419:
	v_cmp_eq_u16_e32 vcc_lo, 44, v5
	s_cbranch_vccz .LBB440_1421
; %bb.1420:
	global_load_u8 v3, v[0:1], off
	s_mov_b32 s0, 0
	s_mov_b32 s7, -1
	s_waitcnt vmcnt(0)
	v_lshlrev_b32_e32 v6, 23, v3
	v_cmp_ne_u32_e32 vcc_lo, 0, v3
	s_delay_alu instid0(VALU_DEP_2) | instskip(NEXT) | instid1(VALU_DEP_1)
	v_cvt_i32_f32_e32 v6, v6
	v_cndmask_b32_e32 v7, 0, v6, vcc_lo
	s_branch .LBB440_1422
.LBB440_1421:
	s_mov_b32 s0, -1
                                        ; implicit-def: $vgpr7
.LBB440_1422:
	s_mov_b32 s9, 0
.LBB440_1423:
	s_delay_alu instid0(SALU_CYCLE_1)
	s_and_b32 vcc_lo, exec_lo, s9
	s_cbranch_vccz .LBB440_1427
; %bb.1424:
	v_cmp_eq_u16_e32 vcc_lo, 29, v5
	s_cbranch_vccz .LBB440_1426
; %bb.1425:
	global_load_b32 v7, v[0:1], off
	s_mov_b32 s0, 0
	s_mov_b32 s7, -1
	s_branch .LBB440_1427
.LBB440_1426:
	s_mov_b32 s0, -1
                                        ; implicit-def: $vgpr7
.LBB440_1427:
	s_mov_b32 s9, 0
.LBB440_1428:
	s_delay_alu instid0(SALU_CYCLE_1)
	s_and_b32 vcc_lo, exec_lo, s9
	s_cbranch_vccz .LBB440_1444
; %bb.1429:
	v_cmp_gt_i16_e32 vcc_lo, 27, v5
	s_cbranch_vccnz .LBB440_1432
; %bb.1430:
	v_cmp_lt_i16_e32 vcc_lo, 27, v5
	s_cbranch_vccz .LBB440_1433
; %bb.1431:
	global_load_b32 v7, v[0:1], off
	s_mov_b32 s7, 0
	s_branch .LBB440_1434
.LBB440_1432:
	s_mov_b32 s7, -1
                                        ; implicit-def: $vgpr7
	s_branch .LBB440_1437
.LBB440_1433:
	s_mov_b32 s7, -1
                                        ; implicit-def: $vgpr7
.LBB440_1434:
	s_delay_alu instid0(SALU_CYCLE_1)
	s_and_not1_b32 vcc_lo, exec_lo, s7
	s_cbranch_vccnz .LBB440_1436
; %bb.1435:
	global_load_u16 v7, v[0:1], off
.LBB440_1436:
	s_mov_b32 s7, 0
.LBB440_1437:
	s_delay_alu instid0(SALU_CYCLE_1)
	s_and_not1_b32 vcc_lo, exec_lo, s7
	s_cbranch_vccnz .LBB440_1443
; %bb.1438:
	global_load_u8 v3, v[0:1], off
	s_mov_b32 s7, 0
	s_mov_b32 s9, exec_lo
                                        ; implicit-def: $sgpr12
	s_waitcnt vmcnt(0)
	v_cmpx_lt_i16_e32 0x7f, v3
	s_xor_b32 s9, exec_lo, s9
	s_cbranch_execz .LBB440_1455
; %bb.1439:
	v_cmp_ne_u16_e32 vcc_lo, 0x80, v3
	s_mov_b32 s12, 0
	s_and_b32 s7, vcc_lo, exec_lo
	s_or_saveexec_b32 s9, s9
	v_mov_b32_e32 v7, s12
	s_xor_b32 exec_lo, exec_lo, s9
	s_cbranch_execnz .LBB440_1456
.LBB440_1440:
	s_or_b32 exec_lo, exec_lo, s9
	s_and_saveexec_b32 s9, s7
	s_cbranch_execz .LBB440_1442
.LBB440_1441:
	v_and_b32_e32 v6, 0xffff, v3
	v_lshlrev_b32_e32 v3, 24, v3
	s_delay_alu instid0(VALU_DEP_2) | instskip(NEXT) | instid1(VALU_DEP_2)
	v_and_b32_e32 v7, 7, v6
	v_and_b32_e32 v3, 0x80000000, v3
	s_delay_alu instid0(VALU_DEP_2) | instskip(NEXT) | instid1(VALU_DEP_1)
	v_clz_i32_u32_e32 v10, v7
	v_min_u32_e32 v10, 32, v10
	s_delay_alu instid0(VALU_DEP_1) | instskip(SKIP_1) | instid1(VALU_DEP_2)
	v_subrev_nc_u32_e32 v11, 28, v10
	v_sub_nc_u32_e32 v10, 29, v10
	v_lshlrev_b32_e32 v11, v11, v6
	v_bfe_u32 v6, v6, 3, 4
	s_delay_alu instid0(VALU_DEP_1) | instskip(NEXT) | instid1(VALU_DEP_3)
	v_cmp_eq_u32_e32 vcc_lo, 0, v6
	v_dual_cndmask_b32 v6, v6, v10 :: v_dual_and_b32 v11, 7, v11
	s_delay_alu instid0(VALU_DEP_1) | instskip(NEXT) | instid1(VALU_DEP_2)
	v_cndmask_b32_e32 v7, v7, v11, vcc_lo
	v_lshl_add_u32 v6, v6, 23, 0x3b800000
	s_delay_alu instid0(VALU_DEP_2) | instskip(NEXT) | instid1(VALU_DEP_1)
	v_lshlrev_b32_e32 v7, 20, v7
	v_or3_b32 v3, v3, v6, v7
	s_delay_alu instid0(VALU_DEP_1)
	v_cvt_i32_f32_e32 v7, v3
.LBB440_1442:
	s_or_b32 exec_lo, exec_lo, s9
.LBB440_1443:
	s_mov_b32 s7, -1
.LBB440_1444:
	s_mov_b32 s9, 0
.LBB440_1445:
	s_delay_alu instid0(SALU_CYCLE_1)
	s_and_b32 vcc_lo, exec_lo, s9
	s_cbranch_vccz .LBB440_1476
; %bb.1446:
	v_cmp_lt_i16_e32 vcc_lo, 22, v5
	s_cbranch_vccz .LBB440_1454
; %bb.1447:
	v_cmp_gt_i16_e32 vcc_lo, 24, v5
	s_cbranch_vccnz .LBB440_1457
; %bb.1448:
	v_cmp_lt_i16_e32 vcc_lo, 24, v5
	s_cbranch_vccz .LBB440_1458
; %bb.1449:
	global_load_u8 v3, v[0:1], off
	s_mov_b32 s7, exec_lo
                                        ; implicit-def: $sgpr9
	s_waitcnt vmcnt(0)
	v_cmpx_lt_i16_e32 0x7f, v3
	s_xor_b32 s7, exec_lo, s7
	s_cbranch_execz .LBB440_1470
; %bb.1450:
	v_cmp_ne_u16_e32 vcc_lo, 0x80, v3
	s_mov_b32 s9, 0
	s_and_b32 s6, vcc_lo, exec_lo
	s_or_saveexec_b32 s7, s7
	v_mov_b32_e32 v7, s9
	s_xor_b32 exec_lo, exec_lo, s7
	s_cbranch_execnz .LBB440_1471
.LBB440_1451:
	s_or_b32 exec_lo, exec_lo, s7
	s_and_saveexec_b32 s7, s6
	s_cbranch_execz .LBB440_1453
.LBB440_1452:
	v_and_b32_e32 v6, 0xffff, v3
	v_lshlrev_b32_e32 v3, 24, v3
	s_delay_alu instid0(VALU_DEP_2) | instskip(NEXT) | instid1(VALU_DEP_2)
	v_and_b32_e32 v7, 3, v6
	v_and_b32_e32 v3, 0x80000000, v3
	s_delay_alu instid0(VALU_DEP_2) | instskip(NEXT) | instid1(VALU_DEP_1)
	v_clz_i32_u32_e32 v10, v7
	v_min_u32_e32 v10, 32, v10
	s_delay_alu instid0(VALU_DEP_1) | instskip(SKIP_1) | instid1(VALU_DEP_2)
	v_subrev_nc_u32_e32 v11, 29, v10
	v_sub_nc_u32_e32 v10, 30, v10
	v_lshlrev_b32_e32 v11, v11, v6
	v_bfe_u32 v6, v6, 2, 5
	s_delay_alu instid0(VALU_DEP_1) | instskip(NEXT) | instid1(VALU_DEP_3)
	v_cmp_eq_u32_e32 vcc_lo, 0, v6
	v_dual_cndmask_b32 v6, v6, v10 :: v_dual_and_b32 v11, 3, v11
	s_delay_alu instid0(VALU_DEP_1) | instskip(NEXT) | instid1(VALU_DEP_2)
	v_cndmask_b32_e32 v7, v7, v11, vcc_lo
	v_lshl_add_u32 v6, v6, 23, 0x37800000
	s_delay_alu instid0(VALU_DEP_2) | instskip(NEXT) | instid1(VALU_DEP_1)
	v_lshlrev_b32_e32 v7, 21, v7
	v_or3_b32 v3, v3, v6, v7
	s_delay_alu instid0(VALU_DEP_1)
	v_cvt_i32_f32_e32 v7, v3
.LBB440_1453:
	s_or_b32 exec_lo, exec_lo, s7
	s_mov_b32 s6, 0
	s_branch .LBB440_1459
.LBB440_1454:
	s_mov_b32 s6, -1
                                        ; implicit-def: $vgpr7
	s_branch .LBB440_1465
.LBB440_1455:
	s_or_saveexec_b32 s9, s9
	v_mov_b32_e32 v7, s12
	s_xor_b32 exec_lo, exec_lo, s9
	s_cbranch_execz .LBB440_1440
.LBB440_1456:
	v_cmp_ne_u16_e32 vcc_lo, 0, v3
	v_mov_b32_e32 v7, 0
	s_and_not1_b32 s7, s7, exec_lo
	s_and_b32 s12, vcc_lo, exec_lo
	s_delay_alu instid0(SALU_CYCLE_1)
	s_or_b32 s7, s7, s12
	s_or_b32 exec_lo, exec_lo, s9
	s_and_saveexec_b32 s9, s7
	s_cbranch_execnz .LBB440_1441
	s_branch .LBB440_1442
.LBB440_1457:
	s_mov_b32 s6, -1
                                        ; implicit-def: $vgpr7
	s_branch .LBB440_1462
.LBB440_1458:
	s_mov_b32 s6, -1
                                        ; implicit-def: $vgpr7
.LBB440_1459:
	s_delay_alu instid0(SALU_CYCLE_1)
	s_and_b32 vcc_lo, exec_lo, s6
	s_cbranch_vccz .LBB440_1461
; %bb.1460:
	global_load_u8 v3, v[0:1], off
	s_waitcnt vmcnt(0)
	v_lshlrev_b32_e32 v3, 24, v3
	s_delay_alu instid0(VALU_DEP_1) | instskip(NEXT) | instid1(VALU_DEP_1)
	v_and_b32_e32 v6, 0x7f000000, v3
	v_clz_i32_u32_e32 v7, v6
	v_cmp_ne_u32_e32 vcc_lo, 0, v6
	v_add_nc_u32_e32 v11, 0x1000000, v6
	s_delay_alu instid0(VALU_DEP_3) | instskip(NEXT) | instid1(VALU_DEP_1)
	v_min_u32_e32 v7, 32, v7
	v_sub_nc_u32_e64 v7, v7, 4 clamp
	s_delay_alu instid0(VALU_DEP_1) | instskip(SKIP_1) | instid1(VALU_DEP_2)
	v_lshlrev_b32_e32 v10, v7, v6
	v_lshlrev_b32_e32 v7, 23, v7
	v_lshrrev_b32_e32 v10, 4, v10
	s_delay_alu instid0(VALU_DEP_1) | instskip(SKIP_1) | instid1(VALU_DEP_2)
	v_sub_nc_u32_e32 v7, v10, v7
	v_ashrrev_i32_e32 v10, 8, v11
	v_add_nc_u32_e32 v7, 0x3c000000, v7
	s_delay_alu instid0(VALU_DEP_1) | instskip(NEXT) | instid1(VALU_DEP_1)
	v_and_or_b32 v7, 0x7f800000, v10, v7
	v_cndmask_b32_e32 v6, 0, v7, vcc_lo
	s_delay_alu instid0(VALU_DEP_1) | instskip(NEXT) | instid1(VALU_DEP_1)
	v_and_or_b32 v3, 0x80000000, v3, v6
	v_cvt_i32_f32_e32 v7, v3
.LBB440_1461:
	s_mov_b32 s6, 0
.LBB440_1462:
	s_delay_alu instid0(SALU_CYCLE_1)
	s_and_not1_b32 vcc_lo, exec_lo, s6
	s_cbranch_vccnz .LBB440_1464
; %bb.1463:
	global_load_u8 v3, v[0:1], off
	s_waitcnt vmcnt(0)
	v_lshlrev_b32_e32 v6, 25, v3
	v_lshlrev_b16 v3, 8, v3
	s_delay_alu instid0(VALU_DEP_2) | instskip(NEXT) | instid1(VALU_DEP_2)
	v_lshrrev_b32_e32 v7, 4, v6
	v_and_or_b32 v10, 0x7f00, v3, 0.5
	v_cmp_gt_u32_e32 vcc_lo, 0x8000000, v6
	v_bfe_i32 v3, v3, 0, 16
	s_delay_alu instid0(VALU_DEP_4) | instskip(NEXT) | instid1(VALU_DEP_1)
	v_or_b32_e32 v7, 0x70000000, v7
	v_dual_add_f32 v10, -0.5, v10 :: v_dual_mul_f32 v7, 0x7800000, v7
	s_delay_alu instid0(VALU_DEP_1) | instskip(NEXT) | instid1(VALU_DEP_1)
	v_cndmask_b32_e32 v6, v7, v10, vcc_lo
	v_and_or_b32 v3, 0x80000000, v3, v6
	s_delay_alu instid0(VALU_DEP_1)
	v_cvt_i32_f32_e32 v7, v3
.LBB440_1464:
	s_mov_b32 s6, 0
	s_mov_b32 s7, -1
.LBB440_1465:
	s_and_not1_b32 vcc_lo, exec_lo, s6
	s_mov_b32 s6, 0
	s_cbranch_vccnz .LBB440_1476
; %bb.1466:
	v_cmp_lt_i16_e32 vcc_lo, 14, v5
	s_cbranch_vccz .LBB440_1469
; %bb.1467:
	v_cmp_eq_u16_e32 vcc_lo, 15, v5
	s_cbranch_vccz .LBB440_1472
; %bb.1468:
	global_load_u16 v3, v[0:1], off
	s_mov_b32 s0, 0
	s_mov_b32 s7, -1
	s_waitcnt vmcnt(0)
	v_lshlrev_b32_e32 v3, 16, v3
	s_delay_alu instid0(VALU_DEP_1)
	v_cvt_i32_f32_e32 v7, v3
	s_branch .LBB440_1474
.LBB440_1469:
	s_mov_b32 s6, -1
	s_branch .LBB440_1473
.LBB440_1470:
	s_or_saveexec_b32 s7, s7
	v_mov_b32_e32 v7, s9
	s_xor_b32 exec_lo, exec_lo, s7
	s_cbranch_execz .LBB440_1451
.LBB440_1471:
	v_cmp_ne_u16_e32 vcc_lo, 0, v3
	v_mov_b32_e32 v7, 0
	s_and_not1_b32 s6, s6, exec_lo
	s_and_b32 s9, vcc_lo, exec_lo
	s_delay_alu instid0(SALU_CYCLE_1)
	s_or_b32 s6, s6, s9
	s_or_b32 exec_lo, exec_lo, s7
	s_and_saveexec_b32 s7, s6
	s_cbranch_execnz .LBB440_1452
	s_branch .LBB440_1453
.LBB440_1472:
	s_mov_b32 s0, -1
.LBB440_1473:
                                        ; implicit-def: $vgpr7
.LBB440_1474:
	s_and_b32 vcc_lo, exec_lo, s6
	s_mov_b32 s6, 0
	s_cbranch_vccz .LBB440_1476
; %bb.1475:
	v_cmp_ne_u16_e64 s0, 11, v5
	s_mov_b32 s6, -1
                                        ; implicit-def: $vgpr7
.LBB440_1476:
	s_delay_alu instid0(VALU_DEP_1)
	s_and_b32 vcc_lo, exec_lo, s0
	s_cbranch_vccnz .LBB440_2009
; %bb.1477:
	s_and_not1_b32 vcc_lo, exec_lo, s6
	s_cbranch_vccnz .LBB440_1479
.LBB440_1478:
	global_load_u8 v3, v[0:1], off
	s_mov_b32 s7, -1
	s_waitcnt vmcnt(0)
	v_cmp_ne_u16_e32 vcc_lo, 0, v3
	v_cndmask_b32_e64 v7, 0, 1, vcc_lo
.LBB440_1479:
	s_mov_b32 s0, 0
.LBB440_1480:
	s_delay_alu instid0(SALU_CYCLE_1)
	s_and_b32 vcc_lo, exec_lo, s0
	s_cbranch_vccz .LBB440_1529
; %bb.1481:
	v_cmp_gt_i16_e32 vcc_lo, 5, v5
	s_cbranch_vccnz .LBB440_1486
; %bb.1482:
	v_cmp_gt_i16_e32 vcc_lo, 8, v5
	s_cbranch_vccnz .LBB440_1487
	;; [unrolled: 3-line block ×3, first 2 shown]
; %bb.1484:
	v_cmp_lt_i16_e32 vcc_lo, 9, v5
	s_cbranch_vccz .LBB440_1489
; %bb.1485:
	global_load_b64 v[6:7], v[0:1], off
	s_mov_b32 s0, 0
	s_waitcnt vmcnt(0)
	v_cvt_i32_f64_e32 v7, v[6:7]
	s_branch .LBB440_1490
.LBB440_1486:
	s_mov_b32 s0, -1
                                        ; implicit-def: $vgpr7
	s_branch .LBB440_1508
.LBB440_1487:
	s_mov_b32 s0, -1
                                        ; implicit-def: $vgpr7
	s_branch .LBB440_1496
.LBB440_1488:
	s_mov_b32 s0, -1
                                        ; implicit-def: $vgpr7
	s_branch .LBB440_1493
.LBB440_1489:
	s_mov_b32 s0, -1
                                        ; implicit-def: $vgpr7
.LBB440_1490:
	s_delay_alu instid0(SALU_CYCLE_1)
	s_and_not1_b32 vcc_lo, exec_lo, s0
	s_cbranch_vccnz .LBB440_1492
; %bb.1491:
	global_load_b32 v3, v[0:1], off
	s_waitcnt vmcnt(0)
	v_cvt_i32_f32_e32 v7, v3
.LBB440_1492:
	s_mov_b32 s0, 0
.LBB440_1493:
	s_delay_alu instid0(SALU_CYCLE_1)
	s_and_not1_b32 vcc_lo, exec_lo, s0
	s_cbranch_vccnz .LBB440_1495
; %bb.1494:
	global_load_b32 v3, v[0:1], off
	s_waitcnt vmcnt(0)
	v_cvt_f32_f16_e32 v3, v3
	s_delay_alu instid0(VALU_DEP_1)
	v_cvt_i32_f32_e32 v7, v3
.LBB440_1495:
	s_mov_b32 s0, 0
.LBB440_1496:
	s_delay_alu instid0(SALU_CYCLE_1)
	s_and_not1_b32 vcc_lo, exec_lo, s0
	s_cbranch_vccnz .LBB440_1507
; %bb.1497:
	v_cmp_gt_i16_e32 vcc_lo, 6, v5
	s_cbranch_vccnz .LBB440_1500
; %bb.1498:
	v_cmp_lt_i16_e32 vcc_lo, 6, v5
	s_cbranch_vccz .LBB440_1501
; %bb.1499:
	global_load_b64 v[6:7], v[0:1], off
	s_mov_b32 s0, 0
	s_waitcnt vmcnt(0)
	v_cvt_i32_f64_e32 v7, v[6:7]
	s_branch .LBB440_1502
.LBB440_1500:
	s_mov_b32 s0, -1
                                        ; implicit-def: $vgpr7
	s_branch .LBB440_1505
.LBB440_1501:
	s_mov_b32 s0, -1
                                        ; implicit-def: $vgpr7
.LBB440_1502:
	s_delay_alu instid0(SALU_CYCLE_1)
	s_and_not1_b32 vcc_lo, exec_lo, s0
	s_cbranch_vccnz .LBB440_1504
; %bb.1503:
	global_load_b32 v3, v[0:1], off
	s_waitcnt vmcnt(0)
	v_cvt_i32_f32_e32 v7, v3
.LBB440_1504:
	s_mov_b32 s0, 0
.LBB440_1505:
	s_delay_alu instid0(SALU_CYCLE_1)
	s_and_not1_b32 vcc_lo, exec_lo, s0
	s_cbranch_vccnz .LBB440_1507
; %bb.1506:
	global_load_u16 v3, v[0:1], off
	s_waitcnt vmcnt(0)
	v_cvt_f32_f16_e32 v3, v3
	s_delay_alu instid0(VALU_DEP_1)
	v_cvt_i32_f32_e32 v7, v3
.LBB440_1507:
	s_mov_b32 s0, 0
.LBB440_1508:
	s_delay_alu instid0(SALU_CYCLE_1)
	s_and_not1_b32 vcc_lo, exec_lo, s0
	s_cbranch_vccnz .LBB440_1528
; %bb.1509:
	v_cmp_gt_i16_e32 vcc_lo, 2, v5
	s_cbranch_vccnz .LBB440_1513
; %bb.1510:
	v_cmp_gt_i16_e32 vcc_lo, 3, v5
	s_cbranch_vccnz .LBB440_1514
; %bb.1511:
	v_cmp_lt_i16_e32 vcc_lo, 3, v5
	s_cbranch_vccz .LBB440_1515
; %bb.1512:
	global_load_b32 v7, v[0:1], off
	s_mov_b32 s0, 0
	s_branch .LBB440_1516
.LBB440_1513:
	s_mov_b32 s0, -1
                                        ; implicit-def: $vgpr7
	s_branch .LBB440_1522
.LBB440_1514:
	s_mov_b32 s0, -1
                                        ; implicit-def: $vgpr7
	s_branch .LBB440_1519
.LBB440_1515:
	s_mov_b32 s0, -1
                                        ; implicit-def: $vgpr7
.LBB440_1516:
	s_delay_alu instid0(SALU_CYCLE_1)
	s_and_not1_b32 vcc_lo, exec_lo, s0
	s_cbranch_vccnz .LBB440_1518
; %bb.1517:
	global_load_b32 v7, v[0:1], off
.LBB440_1518:
	s_mov_b32 s0, 0
.LBB440_1519:
	s_delay_alu instid0(SALU_CYCLE_1)
	s_and_not1_b32 vcc_lo, exec_lo, s0
	s_cbranch_vccnz .LBB440_1521
; %bb.1520:
	global_load_i16 v7, v[0:1], off
.LBB440_1521:
	s_mov_b32 s0, 0
.LBB440_1522:
	s_delay_alu instid0(SALU_CYCLE_1)
	s_and_not1_b32 vcc_lo, exec_lo, s0
	s_cbranch_vccnz .LBB440_1528
; %bb.1523:
	v_cmp_lt_i16_e32 vcc_lo, 0, v5
	s_mov_b32 s0, 0
	s_cbranch_vccz .LBB440_1525
; %bb.1524:
	global_load_i8 v7, v[0:1], off
	s_branch .LBB440_1526
.LBB440_1525:
	s_mov_b32 s0, -1
                                        ; implicit-def: $vgpr7
.LBB440_1526:
	s_delay_alu instid0(SALU_CYCLE_1)
	s_and_not1_b32 vcc_lo, exec_lo, s0
	s_cbranch_vccnz .LBB440_1528
; %bb.1527:
	global_load_u8 v7, v[0:1], off
.LBB440_1528:
	s_mov_b32 s7, -1
.LBB440_1529:
	s_delay_alu instid0(SALU_CYCLE_1)
	s_and_not1_b32 vcc_lo, exec_lo, s7
	s_cbranch_vccnz .LBB440_1963
; %bb.1530:
	v_mul_lo_u32 v4, s8, v4
	s_waitcnt vmcnt(0)
	v_and_b32_e64 v6, 0xff, s2
	v_min_i32_e32 v0, s10, v2
	s_delay_alu instid0(VALU_DEP_2) | instskip(NEXT) | instid1(VALU_DEP_4)
	v_cmp_gt_i16_e32 vcc_lo, 11, v6
	v_ashrrev_i32_e32 v1, 31, v4
	v_add_co_u32 v2, s0, s4, v4
	s_delay_alu instid0(VALU_DEP_1)
	v_add_co_ci_u32_e64 v3, s0, s5, v1, s0
	s_cbranch_vccnz .LBB440_1608
; %bb.1531:
	v_cmp_lt_i16_e32 vcc_lo, 25, v6
	s_mov_b32 s7, -1
	s_mov_b32 s2, 0
	s_mov_b32 s6, 0
	;; [unrolled: 1-line block ×3, first 2 shown]
	s_cbranch_vccz .LBB440_1564
; %bb.1532:
	v_cmp_lt_i16_e32 vcc_lo, 28, v6
	s_cbranch_vccz .LBB440_1547
; %bb.1533:
	v_cmp_lt_i16_e32 vcc_lo, 43, v6
	;; [unrolled: 3-line block ×3, first 2 shown]
	s_cbranch_vccz .LBB440_1537
; %bb.1535:
	v_cmp_eq_u16_e32 vcc_lo, 46, v6
	s_mov_b32 s0, -1
	s_mov_b32 s7, 0
	s_cbranch_vccz .LBB440_1537
; %bb.1536:
	v_cvt_f32_i32_e32 v1, v0
	s_mov_b32 s0, 0
	s_mov_b32 s6, -1
	s_delay_alu instid0(VALU_DEP_1) | instskip(NEXT) | instid1(VALU_DEP_1)
	v_bfe_u32 v5, v1, 16, 1
	v_add3_u32 v1, v1, v5, 0x7fff
	s_delay_alu instid0(VALU_DEP_1)
	v_lshrrev_b32_e32 v1, 16, v1
	global_store_b32 v[2:3], v1, off
.LBB440_1537:
	s_and_b32 vcc_lo, exec_lo, s7
	s_cbranch_vccz .LBB440_1542
; %bb.1538:
	v_cmp_eq_u16_e32 vcc_lo, 44, v6
	s_mov_b32 s0, -1
	s_cbranch_vccz .LBB440_1542
; %bb.1539:
	v_cvt_f32_i32_e32 v1, v0
	v_mov_b32_e32 v5, 0xff
	s_mov_b32 s6, exec_lo
	s_delay_alu instid0(VALU_DEP_2) | instskip(NEXT) | instid1(VALU_DEP_1)
	v_bfe_u32 v10, v1, 23, 8
	v_cmpx_ne_u32_e32 0xff, v10
; %bb.1540:
	v_and_b32_e32 v5, 0x400000, v1
	v_and_or_b32 v10, 0x3fffff, v1, v10
	v_lshrrev_b32_e32 v1, 23, v1
	s_delay_alu instid0(VALU_DEP_3) | instskip(NEXT) | instid1(VALU_DEP_3)
	v_cmp_ne_u32_e32 vcc_lo, 0, v5
	v_cmp_ne_u32_e64 s0, 0, v10
	s_delay_alu instid0(VALU_DEP_1) | instskip(NEXT) | instid1(SALU_CYCLE_1)
	s_and_b32 s0, vcc_lo, s0
	v_cndmask_b32_e64 v5, 0, 1, s0
	s_delay_alu instid0(VALU_DEP_1)
	v_add_nc_u32_e32 v5, v1, v5
; %bb.1541:
	s_or_b32 exec_lo, exec_lo, s6
	s_mov_b32 s0, 0
	s_mov_b32 s6, -1
	global_store_b8 v[2:3], v5, off
.LBB440_1542:
	s_mov_b32 s7, 0
.LBB440_1543:
	s_delay_alu instid0(SALU_CYCLE_1)
	s_and_b32 vcc_lo, exec_lo, s7
	s_cbranch_vccz .LBB440_1546
; %bb.1544:
	v_cmp_eq_u16_e32 vcc_lo, 29, v6
	s_mov_b32 s0, -1
	s_cbranch_vccz .LBB440_1546
; %bb.1545:
	v_ashrrev_i32_e32 v1, 31, v0
	s_mov_b32 s0, 0
	s_mov_b32 s6, -1
	global_store_b64 v[2:3], v[0:1], off
.LBB440_1546:
	s_mov_b32 s7, 0
.LBB440_1547:
	s_delay_alu instid0(SALU_CYCLE_1)
	s_and_b32 vcc_lo, exec_lo, s7
	s_cbranch_vccz .LBB440_1563
; %bb.1548:
	v_cmp_gt_i16_e32 vcc_lo, 27, v6
	s_mov_b32 s6, -1
	s_cbranch_vccnz .LBB440_1554
; %bb.1549:
	v_cmp_lt_i16_e32 vcc_lo, 27, v6
	s_cbranch_vccz .LBB440_1551
; %bb.1550:
	s_mov_b32 s6, 0
	global_store_b32 v[2:3], v0, off
.LBB440_1551:
	s_and_not1_b32 vcc_lo, exec_lo, s6
	s_cbranch_vccnz .LBB440_1553
; %bb.1552:
	global_store_b16 v[2:3], v0, off
.LBB440_1553:
	s_mov_b32 s6, 0
.LBB440_1554:
	s_delay_alu instid0(SALU_CYCLE_1)
	s_and_not1_b32 vcc_lo, exec_lo, s6
	s_cbranch_vccnz .LBB440_1562
; %bb.1555:
	v_cvt_f32_i32_e32 v1, v0
	v_mov_b32_e32 v10, 0x80
	s_mov_b32 s6, exec_lo
	s_delay_alu instid0(VALU_DEP_2) | instskip(NEXT) | instid1(VALU_DEP_1)
	v_and_b32_e32 v5, 0x7fffffff, v1
	v_cmpx_gt_u32_e32 0x43800000, v5
	s_cbranch_execz .LBB440_1561
; %bb.1556:
	v_cmp_lt_u32_e32 vcc_lo, 0x3bffffff, v5
	s_mov_b32 s7, 0
                                        ; implicit-def: $vgpr5
	s_and_saveexec_b32 s9, vcc_lo
	s_delay_alu instid0(SALU_CYCLE_1)
	s_xor_b32 s9, exec_lo, s9
	s_cbranch_execz .LBB440_2011
; %bb.1557:
	v_bfe_u32 v5, v1, 20, 1
	s_mov_b32 s7, exec_lo
	s_delay_alu instid0(VALU_DEP_1) | instskip(NEXT) | instid1(VALU_DEP_1)
	v_add3_u32 v5, v1, v5, 0x487ffff
	v_lshrrev_b32_e32 v5, 20, v5
	s_or_saveexec_b32 s9, s9
                                        ; implicit-def: $sgpr12
	s_delay_alu instid0(SALU_CYCLE_1)
	s_xor_b32 exec_lo, exec_lo, s9
	s_cbranch_execnz .LBB440_2012
.LBB440_1558:
	s_or_b32 exec_lo, exec_lo, s9
	v_mov_b32_e32 v10, s12
	s_and_saveexec_b32 s9, s7
.LBB440_1559:
	v_lshrrev_b32_e32 v1, 24, v1
	s_delay_alu instid0(VALU_DEP_1)
	v_and_or_b32 v10, 0x80, v1, v5
.LBB440_1560:
	s_or_b32 exec_lo, exec_lo, s9
.LBB440_1561:
	s_delay_alu instid0(SALU_CYCLE_1)
	s_or_b32 exec_lo, exec_lo, s6
	global_store_b8 v[2:3], v10, off
.LBB440_1562:
	s_mov_b32 s6, -1
.LBB440_1563:
	s_mov_b32 s7, 0
.LBB440_1564:
	s_delay_alu instid0(SALU_CYCLE_1)
	s_and_b32 vcc_lo, exec_lo, s7
	s_cbranch_vccz .LBB440_1604
; %bb.1565:
	v_cmp_lt_i16_e32 vcc_lo, 22, v6
	s_mov_b32 s2, -1
	s_cbranch_vccz .LBB440_1597
; %bb.1566:
	v_cmp_gt_i16_e32 vcc_lo, 24, v6
	s_cbranch_vccnz .LBB440_1586
; %bb.1567:
	v_cmp_lt_i16_e32 vcc_lo, 24, v6
	s_cbranch_vccz .LBB440_1575
; %bb.1568:
	v_cvt_f32_i32_e32 v1, v0
	v_mov_b32_e32 v10, 0x80
	s_mov_b32 s2, exec_lo
	s_delay_alu instid0(VALU_DEP_2) | instskip(NEXT) | instid1(VALU_DEP_1)
	v_and_b32_e32 v5, 0x7fffffff, v1
	v_cmpx_gt_u32_e32 0x47800000, v5
	s_cbranch_execz .LBB440_1574
; %bb.1569:
	v_cmp_lt_u32_e32 vcc_lo, 0x37ffffff, v5
	s_mov_b32 s6, 0
                                        ; implicit-def: $vgpr5
	s_and_saveexec_b32 s7, vcc_lo
	s_delay_alu instid0(SALU_CYCLE_1)
	s_xor_b32 s7, exec_lo, s7
	s_cbranch_execz .LBB440_2017
; %bb.1570:
	v_bfe_u32 v5, v1, 21, 1
	s_mov_b32 s6, exec_lo
	s_delay_alu instid0(VALU_DEP_1) | instskip(NEXT) | instid1(VALU_DEP_1)
	v_add3_u32 v5, v1, v5, 0x88fffff
	v_lshrrev_b32_e32 v5, 21, v5
	s_or_saveexec_b32 s7, s7
                                        ; implicit-def: $sgpr9
	s_delay_alu instid0(SALU_CYCLE_1)
	s_xor_b32 exec_lo, exec_lo, s7
	s_cbranch_execnz .LBB440_2018
.LBB440_1571:
	s_or_b32 exec_lo, exec_lo, s7
	v_mov_b32_e32 v10, s9
	s_and_saveexec_b32 s7, s6
.LBB440_1572:
	v_lshrrev_b32_e32 v1, 24, v1
	s_delay_alu instid0(VALU_DEP_1)
	v_and_or_b32 v10, 0x80, v1, v5
.LBB440_1573:
	s_or_b32 exec_lo, exec_lo, s7
.LBB440_1574:
	s_delay_alu instid0(SALU_CYCLE_1)
	s_or_b32 exec_lo, exec_lo, s2
	s_mov_b32 s2, 0
	global_store_b8 v[2:3], v10, off
.LBB440_1575:
	s_and_b32 vcc_lo, exec_lo, s2
	s_cbranch_vccz .LBB440_1585
; %bb.1576:
	v_cvt_f32_i32_e32 v1, v0
	s_mov_b32 s2, exec_lo
                                        ; implicit-def: $vgpr5
	s_delay_alu instid0(VALU_DEP_1) | instskip(NEXT) | instid1(VALU_DEP_1)
	v_and_b32_e32 v10, 0x7fffffff, v1
	v_cmpx_gt_u32_e32 0x43f00000, v10
	s_xor_b32 s2, exec_lo, s2
	s_cbranch_execz .LBB440_1582
; %bb.1577:
	s_mov_b32 s6, exec_lo
                                        ; implicit-def: $vgpr5
	v_cmpx_lt_u32_e32 0x3c7fffff, v10
	s_xor_b32 s6, exec_lo, s6
; %bb.1578:
	v_bfe_u32 v5, v1, 20, 1
	s_delay_alu instid0(VALU_DEP_1) | instskip(NEXT) | instid1(VALU_DEP_1)
	v_add3_u32 v5, v1, v5, 0x407ffff
	v_and_b32_e32 v10, 0xff00000, v5
	v_lshrrev_b32_e32 v5, 20, v5
	s_delay_alu instid0(VALU_DEP_2) | instskip(NEXT) | instid1(VALU_DEP_2)
	v_cmp_ne_u32_e32 vcc_lo, 0x7f00000, v10
	v_cndmask_b32_e32 v5, 0x7e, v5, vcc_lo
; %bb.1579:
	s_and_not1_saveexec_b32 s6, s6
; %bb.1580:
	v_add_f32_e64 v5, 0x46800000, |v1|
; %bb.1581:
	s_or_b32 exec_lo, exec_lo, s6
                                        ; implicit-def: $vgpr10
.LBB440_1582:
	s_and_not1_saveexec_b32 s2, s2
; %bb.1583:
	v_mov_b32_e32 v5, 0x7f
	v_cmp_lt_u32_e32 vcc_lo, 0x7f800000, v10
	s_delay_alu instid0(VALU_DEP_2)
	v_cndmask_b32_e32 v5, 0x7e, v5, vcc_lo
; %bb.1584:
	s_or_b32 exec_lo, exec_lo, s2
	v_lshrrev_b32_e32 v1, 24, v1
	s_delay_alu instid0(VALU_DEP_1)
	v_and_or_b32 v1, 0x80, v1, v5
	global_store_b8 v[2:3], v1, off
.LBB440_1585:
	s_mov_b32 s2, 0
.LBB440_1586:
	s_delay_alu instid0(SALU_CYCLE_1)
	s_and_not1_b32 vcc_lo, exec_lo, s2
	s_cbranch_vccnz .LBB440_1596
; %bb.1587:
	v_cvt_f32_i32_e32 v1, v0
	s_mov_b32 s2, exec_lo
                                        ; implicit-def: $vgpr5
	s_delay_alu instid0(VALU_DEP_1) | instskip(NEXT) | instid1(VALU_DEP_1)
	v_and_b32_e32 v10, 0x7fffffff, v1
	v_cmpx_gt_u32_e32 0x47800000, v10
	s_xor_b32 s2, exec_lo, s2
	s_cbranch_execz .LBB440_1593
; %bb.1588:
	s_mov_b32 s6, exec_lo
                                        ; implicit-def: $vgpr5
	v_cmpx_lt_u32_e32 0x387fffff, v10
	s_xor_b32 s6, exec_lo, s6
; %bb.1589:
	v_bfe_u32 v5, v1, 21, 1
	s_delay_alu instid0(VALU_DEP_1) | instskip(NEXT) | instid1(VALU_DEP_1)
	v_add3_u32 v5, v1, v5, 0x80fffff
	v_lshrrev_b32_e32 v5, 21, v5
; %bb.1590:
	s_and_not1_saveexec_b32 s6, s6
; %bb.1591:
	v_add_f32_e64 v5, 0x43000000, |v1|
; %bb.1592:
	s_or_b32 exec_lo, exec_lo, s6
                                        ; implicit-def: $vgpr10
.LBB440_1593:
	s_and_not1_saveexec_b32 s2, s2
; %bb.1594:
	v_mov_b32_e32 v5, 0x7f
	v_cmp_lt_u32_e32 vcc_lo, 0x7f800000, v10
	s_delay_alu instid0(VALU_DEP_2)
	v_cndmask_b32_e32 v5, 0x7c, v5, vcc_lo
; %bb.1595:
	s_or_b32 exec_lo, exec_lo, s2
	v_lshrrev_b32_e32 v1, 24, v1
	s_delay_alu instid0(VALU_DEP_1)
	v_and_or_b32 v1, 0x80, v1, v5
	global_store_b8 v[2:3], v1, off
.LBB440_1596:
	s_mov_b32 s2, 0
	s_mov_b32 s6, -1
.LBB440_1597:
	s_and_not1_b32 vcc_lo, exec_lo, s2
	s_mov_b32 s2, 0
	s_cbranch_vccnz .LBB440_1604
; %bb.1598:
	v_cmp_lt_i16_e32 vcc_lo, 14, v6
	s_mov_b32 s2, -1
	s_cbranch_vccz .LBB440_1602
; %bb.1599:
	v_cmp_eq_u16_e32 vcc_lo, 15, v6
	s_mov_b32 s0, -1
	s_cbranch_vccz .LBB440_1601
; %bb.1600:
	v_cvt_f32_i32_e32 v1, v0
	s_mov_b32 s0, 0
	s_mov_b32 s6, -1
	s_delay_alu instid0(VALU_DEP_1) | instskip(NEXT) | instid1(VALU_DEP_1)
	v_bfe_u32 v5, v1, 16, 1
	v_add3_u32 v1, v1, v5, 0x7fff
	global_store_d16_hi_b16 v[2:3], v1, off
.LBB440_1601:
	s_mov_b32 s2, 0
.LBB440_1602:
	s_delay_alu instid0(SALU_CYCLE_1)
	s_and_b32 vcc_lo, exec_lo, s2
	s_mov_b32 s2, 0
	s_cbranch_vccz .LBB440_1604
; %bb.1603:
	v_cmp_ne_u16_e64 s0, 11, v6
	s_mov_b32 s2, -1
.LBB440_1604:
	s_delay_alu instid0(VALU_DEP_1)
	s_and_b32 vcc_lo, exec_lo, s0
	s_cbranch_vccnz .LBB440_2015
; %bb.1605:
	s_and_not1_b32 vcc_lo, exec_lo, s2
	s_cbranch_vccnz .LBB440_1607
.LBB440_1606:
	v_cmp_ne_u32_e32 vcc_lo, 0, v0
	s_mov_b32 s6, -1
	v_cndmask_b32_e64 v1, 0, 1, vcc_lo
	global_store_b8 v[2:3], v1, off
.LBB440_1607:
	s_mov_b32 s0, 0
	s_branch .LBB440_1609
.LBB440_1608:
	s_mov_b32 s0, -1
	s_mov_b32 s6, 0
.LBB440_1609:
	s_and_b32 vcc_lo, exec_lo, s0
	s_cbranch_vccz .LBB440_1648
; %bb.1610:
	v_cmp_gt_i16_e32 vcc_lo, 5, v6
	s_mov_b32 s0, -1
	s_cbranch_vccnz .LBB440_1631
; %bb.1611:
	v_cmp_gt_i16_e32 vcc_lo, 8, v6
	s_cbranch_vccnz .LBB440_1621
; %bb.1612:
	v_cmp_gt_i16_e32 vcc_lo, 9, v6
	s_cbranch_vccnz .LBB440_1618
; %bb.1613:
	v_cmp_lt_i16_e32 vcc_lo, 9, v6
	s_cbranch_vccz .LBB440_1615
; %bb.1614:
	v_cvt_f64_i32_e32 v[10:11], v0
	v_mov_b32_e32 v12, 0
	s_mov_b32 s0, 0
	s_delay_alu instid0(VALU_DEP_1)
	v_mov_b32_e32 v13, v12
	global_store_b128 v[2:3], v[10:13], off
.LBB440_1615:
	s_and_not1_b32 vcc_lo, exec_lo, s0
	s_cbranch_vccnz .LBB440_1617
; %bb.1616:
	v_cvt_f32_i32_e32 v10, v0
	v_mov_b32_e32 v11, 0
	global_store_b64 v[2:3], v[10:11], off
.LBB440_1617:
	s_mov_b32 s0, 0
.LBB440_1618:
	s_delay_alu instid0(SALU_CYCLE_1)
	s_and_not1_b32 vcc_lo, exec_lo, s0
	s_cbranch_vccnz .LBB440_1620
; %bb.1619:
	v_cvt_f32_i32_e32 v1, v0
	s_delay_alu instid0(VALU_DEP_1) | instskip(NEXT) | instid1(VALU_DEP_1)
	v_cvt_f16_f32_e32 v1, v1
	v_and_b32_e32 v1, 0xffff, v1
	global_store_b32 v[2:3], v1, off
.LBB440_1620:
	s_mov_b32 s0, 0
.LBB440_1621:
	s_delay_alu instid0(SALU_CYCLE_1)
	s_and_not1_b32 vcc_lo, exec_lo, s0
	s_cbranch_vccnz .LBB440_1630
; %bb.1622:
	v_cmp_gt_i16_e32 vcc_lo, 6, v6
	s_mov_b32 s0, -1
	s_cbranch_vccnz .LBB440_1628
; %bb.1623:
	v_cmp_lt_i16_e32 vcc_lo, 6, v6
	s_cbranch_vccz .LBB440_1625
; %bb.1624:
	v_cvt_f64_i32_e32 v[10:11], v0
	s_mov_b32 s0, 0
	global_store_b64 v[2:3], v[10:11], off
.LBB440_1625:
	s_and_not1_b32 vcc_lo, exec_lo, s0
	s_cbranch_vccnz .LBB440_1627
; %bb.1626:
	v_cvt_f32_i32_e32 v1, v0
	global_store_b32 v[2:3], v1, off
.LBB440_1627:
	s_mov_b32 s0, 0
.LBB440_1628:
	s_delay_alu instid0(SALU_CYCLE_1)
	s_and_not1_b32 vcc_lo, exec_lo, s0
	s_cbranch_vccnz .LBB440_1630
; %bb.1629:
	v_cvt_f32_i32_e32 v1, v0
	s_delay_alu instid0(VALU_DEP_1)
	v_cvt_f16_f32_e32 v1, v1
	global_store_b16 v[2:3], v1, off
.LBB440_1630:
	s_mov_b32 s0, 0
.LBB440_1631:
	s_delay_alu instid0(SALU_CYCLE_1)
	s_and_not1_b32 vcc_lo, exec_lo, s0
	s_cbranch_vccnz .LBB440_1647
; %bb.1632:
	v_cmp_gt_i16_e32 vcc_lo, 2, v6
	s_mov_b32 s0, -1
	s_cbranch_vccnz .LBB440_1642
; %bb.1633:
	v_cmp_gt_i16_e32 vcc_lo, 3, v6
	s_cbranch_vccnz .LBB440_1639
; %bb.1634:
	v_cmp_lt_i16_e32 vcc_lo, 3, v6
	s_cbranch_vccz .LBB440_1636
; %bb.1635:
	v_ashrrev_i32_e32 v1, 31, v0
	s_mov_b32 s0, 0
	global_store_b64 v[2:3], v[0:1], off
.LBB440_1636:
	s_and_not1_b32 vcc_lo, exec_lo, s0
	s_cbranch_vccnz .LBB440_1638
; %bb.1637:
	global_store_b32 v[2:3], v0, off
.LBB440_1638:
	s_mov_b32 s0, 0
.LBB440_1639:
	s_delay_alu instid0(SALU_CYCLE_1)
	s_and_not1_b32 vcc_lo, exec_lo, s0
	s_cbranch_vccnz .LBB440_1641
; %bb.1640:
	global_store_b16 v[2:3], v0, off
.LBB440_1641:
	s_mov_b32 s0, 0
.LBB440_1642:
	s_delay_alu instid0(SALU_CYCLE_1)
	s_and_not1_b32 vcc_lo, exec_lo, s0
	s_cbranch_vccnz .LBB440_1647
; %bb.1643:
	v_cmp_lt_i16_e32 vcc_lo, 0, v6
	s_mov_b32 s0, -1
	s_cbranch_vccz .LBB440_1645
; %bb.1644:
	s_mov_b32 s0, 0
	global_store_b8 v[2:3], v0, off
.LBB440_1645:
	s_and_not1_b32 vcc_lo, exec_lo, s0
	s_cbranch_vccnz .LBB440_1647
; %bb.1646:
	global_store_b8 v[2:3], v0, off
.LBB440_1647:
	s_mov_b32 s6, -1
.LBB440_1648:
	s_delay_alu instid0(SALU_CYCLE_1)
	s_and_not1_b32 vcc_lo, exec_lo, s6
	s_cbranch_vccnz .LBB440_1963
; %bb.1649:
	s_lshl_b32 s2, s8, 7
	v_cmp_gt_i16_e32 vcc_lo, 11, v6
	v_add_nc_u32_e32 v4, s2, v4
	v_min_i32_e32 v0, s10, v9
	s_delay_alu instid0(VALU_DEP_2) | instskip(SKIP_1) | instid1(VALU_DEP_1)
	v_ashrrev_i32_e32 v1, 31, v4
	v_add_co_u32 v2, s0, s4, v4
	v_add_co_ci_u32_e64 v3, s0, s5, v1, s0
	s_cbranch_vccnz .LBB440_1727
; %bb.1650:
	v_cmp_lt_i16_e32 vcc_lo, 25, v6
	s_mov_b32 s8, -1
	s_mov_b32 s6, 0
	s_mov_b32 s7, 0
	;; [unrolled: 1-line block ×3, first 2 shown]
	s_cbranch_vccz .LBB440_1683
; %bb.1651:
	v_cmp_lt_i16_e32 vcc_lo, 28, v6
	s_cbranch_vccz .LBB440_1666
; %bb.1652:
	v_cmp_lt_i16_e32 vcc_lo, 43, v6
	;; [unrolled: 3-line block ×3, first 2 shown]
	s_cbranch_vccz .LBB440_1656
; %bb.1654:
	v_cmp_eq_u16_e32 vcc_lo, 46, v6
	s_mov_b32 s0, -1
	s_mov_b32 s8, 0
	s_cbranch_vccz .LBB440_1656
; %bb.1655:
	v_cvt_f32_i32_e32 v1, v0
	s_mov_b32 s0, 0
	s_mov_b32 s7, -1
	s_delay_alu instid0(VALU_DEP_1) | instskip(NEXT) | instid1(VALU_DEP_1)
	v_bfe_u32 v5, v1, 16, 1
	v_add3_u32 v1, v1, v5, 0x7fff
	s_delay_alu instid0(VALU_DEP_1)
	v_lshrrev_b32_e32 v1, 16, v1
	global_store_b32 v[2:3], v1, off
.LBB440_1656:
	s_and_b32 vcc_lo, exec_lo, s8
	s_cbranch_vccz .LBB440_1661
; %bb.1657:
	v_cmp_eq_u16_e32 vcc_lo, 44, v6
	s_mov_b32 s0, -1
	s_cbranch_vccz .LBB440_1661
; %bb.1658:
	v_cvt_f32_i32_e32 v1, v0
	v_mov_b32_e32 v5, 0xff
	s_mov_b32 s7, exec_lo
	s_delay_alu instid0(VALU_DEP_2) | instskip(NEXT) | instid1(VALU_DEP_1)
	v_bfe_u32 v9, v1, 23, 8
	v_cmpx_ne_u32_e32 0xff, v9
; %bb.1659:
	v_and_b32_e32 v5, 0x400000, v1
	v_and_or_b32 v9, 0x3fffff, v1, v9
	v_lshrrev_b32_e32 v1, 23, v1
	s_delay_alu instid0(VALU_DEP_3) | instskip(NEXT) | instid1(VALU_DEP_3)
	v_cmp_ne_u32_e32 vcc_lo, 0, v5
	v_cmp_ne_u32_e64 s0, 0, v9
	s_delay_alu instid0(VALU_DEP_1) | instskip(NEXT) | instid1(SALU_CYCLE_1)
	s_and_b32 s0, vcc_lo, s0
	v_cndmask_b32_e64 v5, 0, 1, s0
	s_delay_alu instid0(VALU_DEP_1)
	v_add_nc_u32_e32 v5, v1, v5
; %bb.1660:
	s_or_b32 exec_lo, exec_lo, s7
	s_mov_b32 s0, 0
	s_mov_b32 s7, -1
	global_store_b8 v[2:3], v5, off
.LBB440_1661:
	s_mov_b32 s8, 0
.LBB440_1662:
	s_delay_alu instid0(SALU_CYCLE_1)
	s_and_b32 vcc_lo, exec_lo, s8
	s_cbranch_vccz .LBB440_1665
; %bb.1663:
	v_cmp_eq_u16_e32 vcc_lo, 29, v6
	s_mov_b32 s0, -1
	s_cbranch_vccz .LBB440_1665
; %bb.1664:
	v_ashrrev_i32_e32 v1, 31, v0
	s_mov_b32 s0, 0
	s_mov_b32 s7, -1
	global_store_b64 v[2:3], v[0:1], off
.LBB440_1665:
	s_mov_b32 s8, 0
.LBB440_1666:
	s_delay_alu instid0(SALU_CYCLE_1)
	s_and_b32 vcc_lo, exec_lo, s8
	s_cbranch_vccz .LBB440_1682
; %bb.1667:
	v_cmp_gt_i16_e32 vcc_lo, 27, v6
	s_mov_b32 s7, -1
	s_cbranch_vccnz .LBB440_1673
; %bb.1668:
	v_cmp_lt_i16_e32 vcc_lo, 27, v6
	s_cbranch_vccz .LBB440_1670
; %bb.1669:
	s_mov_b32 s7, 0
	global_store_b32 v[2:3], v0, off
.LBB440_1670:
	s_and_not1_b32 vcc_lo, exec_lo, s7
	s_cbranch_vccnz .LBB440_1672
; %bb.1671:
	global_store_b16 v[2:3], v0, off
.LBB440_1672:
	s_mov_b32 s7, 0
.LBB440_1673:
	s_delay_alu instid0(SALU_CYCLE_1)
	s_and_not1_b32 vcc_lo, exec_lo, s7
	s_cbranch_vccnz .LBB440_1681
; %bb.1674:
	v_cvt_f32_i32_e32 v1, v0
	v_mov_b32_e32 v9, 0x80
	s_mov_b32 s7, exec_lo
	s_delay_alu instid0(VALU_DEP_2) | instskip(NEXT) | instid1(VALU_DEP_1)
	v_and_b32_e32 v5, 0x7fffffff, v1
	v_cmpx_gt_u32_e32 0x43800000, v5
	s_cbranch_execz .LBB440_1680
; %bb.1675:
	v_cmp_lt_u32_e32 vcc_lo, 0x3bffffff, v5
	s_mov_b32 s8, 0
                                        ; implicit-def: $vgpr5
	s_and_saveexec_b32 s9, vcc_lo
	s_delay_alu instid0(SALU_CYCLE_1)
	s_xor_b32 s9, exec_lo, s9
	s_cbranch_execz .LBB440_2019
; %bb.1676:
	v_bfe_u32 v5, v1, 20, 1
	s_mov_b32 s8, exec_lo
	s_delay_alu instid0(VALU_DEP_1) | instskip(NEXT) | instid1(VALU_DEP_1)
	v_add3_u32 v5, v1, v5, 0x487ffff
	v_lshrrev_b32_e32 v5, 20, v5
	s_or_saveexec_b32 s9, s9
                                        ; implicit-def: $sgpr12
	s_delay_alu instid0(SALU_CYCLE_1)
	s_xor_b32 exec_lo, exec_lo, s9
	s_cbranch_execnz .LBB440_2020
.LBB440_1677:
	s_or_b32 exec_lo, exec_lo, s9
	v_mov_b32_e32 v9, s12
	s_and_saveexec_b32 s9, s8
.LBB440_1678:
	v_lshrrev_b32_e32 v1, 24, v1
	s_delay_alu instid0(VALU_DEP_1)
	v_and_or_b32 v9, 0x80, v1, v5
.LBB440_1679:
	s_or_b32 exec_lo, exec_lo, s9
.LBB440_1680:
	s_delay_alu instid0(SALU_CYCLE_1)
	s_or_b32 exec_lo, exec_lo, s7
	global_store_b8 v[2:3], v9, off
.LBB440_1681:
	s_mov_b32 s7, -1
.LBB440_1682:
	s_mov_b32 s8, 0
.LBB440_1683:
	s_delay_alu instid0(SALU_CYCLE_1)
	s_and_b32 vcc_lo, exec_lo, s8
	s_cbranch_vccz .LBB440_1723
; %bb.1684:
	v_cmp_lt_i16_e32 vcc_lo, 22, v6
	s_mov_b32 s6, -1
	s_cbranch_vccz .LBB440_1716
; %bb.1685:
	v_cmp_gt_i16_e32 vcc_lo, 24, v6
	s_cbranch_vccnz .LBB440_1705
; %bb.1686:
	v_cmp_lt_i16_e32 vcc_lo, 24, v6
	s_cbranch_vccz .LBB440_1694
; %bb.1687:
	v_cvt_f32_i32_e32 v1, v0
	v_mov_b32_e32 v9, 0x80
	s_mov_b32 s6, exec_lo
	s_delay_alu instid0(VALU_DEP_2) | instskip(NEXT) | instid1(VALU_DEP_1)
	v_and_b32_e32 v5, 0x7fffffff, v1
	v_cmpx_gt_u32_e32 0x47800000, v5
	s_cbranch_execz .LBB440_1693
; %bb.1688:
	v_cmp_lt_u32_e32 vcc_lo, 0x37ffffff, v5
	s_mov_b32 s7, 0
                                        ; implicit-def: $vgpr5
	s_and_saveexec_b32 s8, vcc_lo
	s_delay_alu instid0(SALU_CYCLE_1)
	s_xor_b32 s8, exec_lo, s8
	s_cbranch_execz .LBB440_2025
; %bb.1689:
	v_bfe_u32 v5, v1, 21, 1
	s_mov_b32 s7, exec_lo
	s_delay_alu instid0(VALU_DEP_1) | instskip(NEXT) | instid1(VALU_DEP_1)
	v_add3_u32 v5, v1, v5, 0x88fffff
	v_lshrrev_b32_e32 v5, 21, v5
	s_or_saveexec_b32 s8, s8
                                        ; implicit-def: $sgpr9
	s_delay_alu instid0(SALU_CYCLE_1)
	s_xor_b32 exec_lo, exec_lo, s8
	s_cbranch_execnz .LBB440_2026
.LBB440_1690:
	s_or_b32 exec_lo, exec_lo, s8
	v_mov_b32_e32 v9, s9
	s_and_saveexec_b32 s8, s7
.LBB440_1691:
	v_lshrrev_b32_e32 v1, 24, v1
	s_delay_alu instid0(VALU_DEP_1)
	v_and_or_b32 v9, 0x80, v1, v5
.LBB440_1692:
	s_or_b32 exec_lo, exec_lo, s8
.LBB440_1693:
	s_delay_alu instid0(SALU_CYCLE_1)
	s_or_b32 exec_lo, exec_lo, s6
	s_mov_b32 s6, 0
	global_store_b8 v[2:3], v9, off
.LBB440_1694:
	s_and_b32 vcc_lo, exec_lo, s6
	s_cbranch_vccz .LBB440_1704
; %bb.1695:
	v_cvt_f32_i32_e32 v1, v0
	s_mov_b32 s6, exec_lo
                                        ; implicit-def: $vgpr5
	s_delay_alu instid0(VALU_DEP_1) | instskip(NEXT) | instid1(VALU_DEP_1)
	v_and_b32_e32 v9, 0x7fffffff, v1
	v_cmpx_gt_u32_e32 0x43f00000, v9
	s_xor_b32 s6, exec_lo, s6
	s_cbranch_execz .LBB440_1701
; %bb.1696:
	s_mov_b32 s7, exec_lo
                                        ; implicit-def: $vgpr5
	v_cmpx_lt_u32_e32 0x3c7fffff, v9
	s_xor_b32 s7, exec_lo, s7
; %bb.1697:
	v_bfe_u32 v5, v1, 20, 1
	s_delay_alu instid0(VALU_DEP_1) | instskip(NEXT) | instid1(VALU_DEP_1)
	v_add3_u32 v5, v1, v5, 0x407ffff
	v_and_b32_e32 v9, 0xff00000, v5
	v_lshrrev_b32_e32 v5, 20, v5
	s_delay_alu instid0(VALU_DEP_2) | instskip(NEXT) | instid1(VALU_DEP_2)
	v_cmp_ne_u32_e32 vcc_lo, 0x7f00000, v9
	v_cndmask_b32_e32 v5, 0x7e, v5, vcc_lo
; %bb.1698:
	s_and_not1_saveexec_b32 s7, s7
; %bb.1699:
	v_add_f32_e64 v5, 0x46800000, |v1|
; %bb.1700:
	s_or_b32 exec_lo, exec_lo, s7
                                        ; implicit-def: $vgpr9
.LBB440_1701:
	s_and_not1_saveexec_b32 s6, s6
; %bb.1702:
	v_mov_b32_e32 v5, 0x7f
	v_cmp_lt_u32_e32 vcc_lo, 0x7f800000, v9
	s_delay_alu instid0(VALU_DEP_2)
	v_cndmask_b32_e32 v5, 0x7e, v5, vcc_lo
; %bb.1703:
	s_or_b32 exec_lo, exec_lo, s6
	v_lshrrev_b32_e32 v1, 24, v1
	s_delay_alu instid0(VALU_DEP_1)
	v_and_or_b32 v1, 0x80, v1, v5
	global_store_b8 v[2:3], v1, off
.LBB440_1704:
	s_mov_b32 s6, 0
.LBB440_1705:
	s_delay_alu instid0(SALU_CYCLE_1)
	s_and_not1_b32 vcc_lo, exec_lo, s6
	s_cbranch_vccnz .LBB440_1715
; %bb.1706:
	v_cvt_f32_i32_e32 v1, v0
	s_mov_b32 s6, exec_lo
                                        ; implicit-def: $vgpr5
	s_delay_alu instid0(VALU_DEP_1) | instskip(NEXT) | instid1(VALU_DEP_1)
	v_and_b32_e32 v9, 0x7fffffff, v1
	v_cmpx_gt_u32_e32 0x47800000, v9
	s_xor_b32 s6, exec_lo, s6
	s_cbranch_execz .LBB440_1712
; %bb.1707:
	s_mov_b32 s7, exec_lo
                                        ; implicit-def: $vgpr5
	v_cmpx_lt_u32_e32 0x387fffff, v9
	s_xor_b32 s7, exec_lo, s7
; %bb.1708:
	v_bfe_u32 v5, v1, 21, 1
	s_delay_alu instid0(VALU_DEP_1) | instskip(NEXT) | instid1(VALU_DEP_1)
	v_add3_u32 v5, v1, v5, 0x80fffff
	v_lshrrev_b32_e32 v5, 21, v5
; %bb.1709:
	s_and_not1_saveexec_b32 s7, s7
; %bb.1710:
	v_add_f32_e64 v5, 0x43000000, |v1|
; %bb.1711:
	s_or_b32 exec_lo, exec_lo, s7
                                        ; implicit-def: $vgpr9
.LBB440_1712:
	s_and_not1_saveexec_b32 s6, s6
; %bb.1713:
	v_mov_b32_e32 v5, 0x7f
	v_cmp_lt_u32_e32 vcc_lo, 0x7f800000, v9
	s_delay_alu instid0(VALU_DEP_2)
	v_cndmask_b32_e32 v5, 0x7c, v5, vcc_lo
; %bb.1714:
	s_or_b32 exec_lo, exec_lo, s6
	v_lshrrev_b32_e32 v1, 24, v1
	s_delay_alu instid0(VALU_DEP_1)
	v_and_or_b32 v1, 0x80, v1, v5
	global_store_b8 v[2:3], v1, off
.LBB440_1715:
	s_mov_b32 s6, 0
	s_mov_b32 s7, -1
.LBB440_1716:
	s_and_not1_b32 vcc_lo, exec_lo, s6
	s_mov_b32 s6, 0
	s_cbranch_vccnz .LBB440_1723
; %bb.1717:
	v_cmp_lt_i16_e32 vcc_lo, 14, v6
	s_mov_b32 s6, -1
	s_cbranch_vccz .LBB440_1721
; %bb.1718:
	v_cmp_eq_u16_e32 vcc_lo, 15, v6
	s_mov_b32 s0, -1
	s_cbranch_vccz .LBB440_1720
; %bb.1719:
	v_cvt_f32_i32_e32 v1, v0
	s_mov_b32 s0, 0
	s_mov_b32 s7, -1
	s_delay_alu instid0(VALU_DEP_1) | instskip(NEXT) | instid1(VALU_DEP_1)
	v_bfe_u32 v5, v1, 16, 1
	v_add3_u32 v1, v1, v5, 0x7fff
	global_store_d16_hi_b16 v[2:3], v1, off
.LBB440_1720:
	s_mov_b32 s6, 0
.LBB440_1721:
	s_delay_alu instid0(SALU_CYCLE_1)
	s_and_b32 vcc_lo, exec_lo, s6
	s_mov_b32 s6, 0
	s_cbranch_vccz .LBB440_1723
; %bb.1722:
	v_cmp_ne_u16_e64 s0, 11, v6
	s_mov_b32 s6, -1
.LBB440_1723:
	s_delay_alu instid0(VALU_DEP_1)
	s_and_b32 vcc_lo, exec_lo, s0
	s_cbranch_vccnz .LBB440_2023
; %bb.1724:
	s_and_not1_b32 vcc_lo, exec_lo, s6
	s_cbranch_vccnz .LBB440_1726
.LBB440_1725:
	v_cmp_ne_u32_e32 vcc_lo, 0, v0
	s_mov_b32 s7, -1
	v_cndmask_b32_e64 v1, 0, 1, vcc_lo
	global_store_b8 v[2:3], v1, off
.LBB440_1726:
	s_mov_b32 s0, 0
	s_branch .LBB440_1728
.LBB440_1727:
	s_mov_b32 s0, -1
	s_mov_b32 s7, 0
.LBB440_1728:
	s_and_b32 vcc_lo, exec_lo, s0
	s_cbranch_vccz .LBB440_1767
; %bb.1729:
	v_cmp_gt_i16_e32 vcc_lo, 5, v6
	s_mov_b32 s0, -1
	s_cbranch_vccnz .LBB440_1750
; %bb.1730:
	v_cmp_gt_i16_e32 vcc_lo, 8, v6
	s_cbranch_vccnz .LBB440_1740
; %bb.1731:
	v_cmp_gt_i16_e32 vcc_lo, 9, v6
	s_cbranch_vccnz .LBB440_1737
; %bb.1732:
	v_cmp_lt_i16_e32 vcc_lo, 9, v6
	s_cbranch_vccz .LBB440_1734
; %bb.1733:
	v_cvt_f64_i32_e32 v[9:10], v0
	v_mov_b32_e32 v11, 0
	s_mov_b32 s0, 0
	s_delay_alu instid0(VALU_DEP_1)
	v_mov_b32_e32 v12, v11
	global_store_b128 v[2:3], v[9:12], off
.LBB440_1734:
	s_and_not1_b32 vcc_lo, exec_lo, s0
	s_cbranch_vccnz .LBB440_1736
; %bb.1735:
	v_cvt_f32_i32_e32 v9, v0
	v_mov_b32_e32 v10, 0
	global_store_b64 v[2:3], v[9:10], off
.LBB440_1736:
	s_mov_b32 s0, 0
.LBB440_1737:
	s_delay_alu instid0(SALU_CYCLE_1)
	s_and_not1_b32 vcc_lo, exec_lo, s0
	s_cbranch_vccnz .LBB440_1739
; %bb.1738:
	v_cvt_f32_i32_e32 v1, v0
	s_delay_alu instid0(VALU_DEP_1) | instskip(NEXT) | instid1(VALU_DEP_1)
	v_cvt_f16_f32_e32 v1, v1
	v_and_b32_e32 v1, 0xffff, v1
	global_store_b32 v[2:3], v1, off
.LBB440_1739:
	s_mov_b32 s0, 0
.LBB440_1740:
	s_delay_alu instid0(SALU_CYCLE_1)
	s_and_not1_b32 vcc_lo, exec_lo, s0
	s_cbranch_vccnz .LBB440_1749
; %bb.1741:
	v_cmp_gt_i16_e32 vcc_lo, 6, v6
	s_mov_b32 s0, -1
	s_cbranch_vccnz .LBB440_1747
; %bb.1742:
	v_cmp_lt_i16_e32 vcc_lo, 6, v6
	s_cbranch_vccz .LBB440_1744
; %bb.1743:
	v_cvt_f64_i32_e32 v[9:10], v0
	s_mov_b32 s0, 0
	global_store_b64 v[2:3], v[9:10], off
.LBB440_1744:
	s_and_not1_b32 vcc_lo, exec_lo, s0
	s_cbranch_vccnz .LBB440_1746
; %bb.1745:
	v_cvt_f32_i32_e32 v1, v0
	global_store_b32 v[2:3], v1, off
.LBB440_1746:
	s_mov_b32 s0, 0
.LBB440_1747:
	s_delay_alu instid0(SALU_CYCLE_1)
	s_and_not1_b32 vcc_lo, exec_lo, s0
	s_cbranch_vccnz .LBB440_1749
; %bb.1748:
	v_cvt_f32_i32_e32 v1, v0
	s_delay_alu instid0(VALU_DEP_1)
	v_cvt_f16_f32_e32 v1, v1
	global_store_b16 v[2:3], v1, off
.LBB440_1749:
	s_mov_b32 s0, 0
.LBB440_1750:
	s_delay_alu instid0(SALU_CYCLE_1)
	s_and_not1_b32 vcc_lo, exec_lo, s0
	s_cbranch_vccnz .LBB440_1766
; %bb.1751:
	v_cmp_gt_i16_e32 vcc_lo, 2, v6
	s_mov_b32 s0, -1
	s_cbranch_vccnz .LBB440_1761
; %bb.1752:
	v_cmp_gt_i16_e32 vcc_lo, 3, v6
	s_cbranch_vccnz .LBB440_1758
; %bb.1753:
	v_cmp_lt_i16_e32 vcc_lo, 3, v6
	s_cbranch_vccz .LBB440_1755
; %bb.1754:
	v_ashrrev_i32_e32 v1, 31, v0
	s_mov_b32 s0, 0
	global_store_b64 v[2:3], v[0:1], off
.LBB440_1755:
	s_and_not1_b32 vcc_lo, exec_lo, s0
	s_cbranch_vccnz .LBB440_1757
; %bb.1756:
	global_store_b32 v[2:3], v0, off
.LBB440_1757:
	s_mov_b32 s0, 0
.LBB440_1758:
	s_delay_alu instid0(SALU_CYCLE_1)
	s_and_not1_b32 vcc_lo, exec_lo, s0
	s_cbranch_vccnz .LBB440_1760
; %bb.1759:
	global_store_b16 v[2:3], v0, off
.LBB440_1760:
	s_mov_b32 s0, 0
.LBB440_1761:
	s_delay_alu instid0(SALU_CYCLE_1)
	s_and_not1_b32 vcc_lo, exec_lo, s0
	s_cbranch_vccnz .LBB440_1766
; %bb.1762:
	v_cmp_lt_i16_e32 vcc_lo, 0, v6
	s_mov_b32 s0, -1
	s_cbranch_vccz .LBB440_1764
; %bb.1763:
	s_mov_b32 s0, 0
	global_store_b8 v[2:3], v0, off
.LBB440_1764:
	s_and_not1_b32 vcc_lo, exec_lo, s0
	s_cbranch_vccnz .LBB440_1766
; %bb.1765:
	global_store_b8 v[2:3], v0, off
.LBB440_1766:
	s_mov_b32 s7, -1
.LBB440_1767:
	s_delay_alu instid0(SALU_CYCLE_1)
	s_and_not1_b32 vcc_lo, exec_lo, s7
	s_cbranch_vccnz .LBB440_1963
; %bb.1768:
	v_add_nc_u32_e32 v4, s2, v4
	v_cmp_gt_i16_e32 vcc_lo, 11, v6
	v_min_i32_e32 v0, s10, v8
	s_delay_alu instid0(VALU_DEP_3) | instskip(SKIP_1) | instid1(VALU_DEP_1)
	v_ashrrev_i32_e32 v1, 31, v4
	v_add_co_u32 v2, s0, s4, v4
	v_add_co_ci_u32_e64 v3, s0, s5, v1, s0
	s_cbranch_vccnz .LBB440_1846
; %bb.1769:
	v_cmp_lt_i16_e32 vcc_lo, 25, v6
	s_mov_b32 s8, -1
	s_mov_b32 s6, 0
	s_mov_b32 s7, 0
	;; [unrolled: 1-line block ×3, first 2 shown]
	s_cbranch_vccz .LBB440_1802
; %bb.1770:
	v_cmp_lt_i16_e32 vcc_lo, 28, v6
	s_cbranch_vccz .LBB440_1785
; %bb.1771:
	v_cmp_lt_i16_e32 vcc_lo, 43, v6
	;; [unrolled: 3-line block ×3, first 2 shown]
	s_cbranch_vccz .LBB440_1775
; %bb.1773:
	v_cmp_eq_u16_e32 vcc_lo, 46, v6
	s_mov_b32 s0, -1
	s_mov_b32 s8, 0
	s_cbranch_vccz .LBB440_1775
; %bb.1774:
	v_cvt_f32_i32_e32 v1, v0
	s_mov_b32 s0, 0
	s_mov_b32 s7, -1
	s_delay_alu instid0(VALU_DEP_1) | instskip(NEXT) | instid1(VALU_DEP_1)
	v_bfe_u32 v5, v1, 16, 1
	v_add3_u32 v1, v1, v5, 0x7fff
	s_delay_alu instid0(VALU_DEP_1)
	v_lshrrev_b32_e32 v1, 16, v1
	global_store_b32 v[2:3], v1, off
.LBB440_1775:
	s_and_b32 vcc_lo, exec_lo, s8
	s_cbranch_vccz .LBB440_1780
; %bb.1776:
	v_cmp_eq_u16_e32 vcc_lo, 44, v6
	s_mov_b32 s0, -1
	s_cbranch_vccz .LBB440_1780
; %bb.1777:
	v_cvt_f32_i32_e32 v1, v0
	v_mov_b32_e32 v5, 0xff
	s_mov_b32 s7, exec_lo
	s_delay_alu instid0(VALU_DEP_2) | instskip(NEXT) | instid1(VALU_DEP_1)
	v_bfe_u32 v8, v1, 23, 8
	v_cmpx_ne_u32_e32 0xff, v8
; %bb.1778:
	v_and_b32_e32 v5, 0x400000, v1
	v_and_or_b32 v8, 0x3fffff, v1, v8
	v_lshrrev_b32_e32 v1, 23, v1
	s_delay_alu instid0(VALU_DEP_3) | instskip(NEXT) | instid1(VALU_DEP_3)
	v_cmp_ne_u32_e32 vcc_lo, 0, v5
	v_cmp_ne_u32_e64 s0, 0, v8
	s_delay_alu instid0(VALU_DEP_1) | instskip(NEXT) | instid1(SALU_CYCLE_1)
	s_and_b32 s0, vcc_lo, s0
	v_cndmask_b32_e64 v5, 0, 1, s0
	s_delay_alu instid0(VALU_DEP_1)
	v_add_nc_u32_e32 v5, v1, v5
; %bb.1779:
	s_or_b32 exec_lo, exec_lo, s7
	s_mov_b32 s0, 0
	s_mov_b32 s7, -1
	global_store_b8 v[2:3], v5, off
.LBB440_1780:
	s_mov_b32 s8, 0
.LBB440_1781:
	s_delay_alu instid0(SALU_CYCLE_1)
	s_and_b32 vcc_lo, exec_lo, s8
	s_cbranch_vccz .LBB440_1784
; %bb.1782:
	v_cmp_eq_u16_e32 vcc_lo, 29, v6
	s_mov_b32 s0, -1
	s_cbranch_vccz .LBB440_1784
; %bb.1783:
	v_ashrrev_i32_e32 v1, 31, v0
	s_mov_b32 s0, 0
	s_mov_b32 s7, -1
	global_store_b64 v[2:3], v[0:1], off
.LBB440_1784:
	s_mov_b32 s8, 0
.LBB440_1785:
	s_delay_alu instid0(SALU_CYCLE_1)
	s_and_b32 vcc_lo, exec_lo, s8
	s_cbranch_vccz .LBB440_1801
; %bb.1786:
	v_cmp_gt_i16_e32 vcc_lo, 27, v6
	s_mov_b32 s7, -1
	s_cbranch_vccnz .LBB440_1792
; %bb.1787:
	v_cmp_lt_i16_e32 vcc_lo, 27, v6
	s_cbranch_vccz .LBB440_1789
; %bb.1788:
	s_mov_b32 s7, 0
	global_store_b32 v[2:3], v0, off
.LBB440_1789:
	s_and_not1_b32 vcc_lo, exec_lo, s7
	s_cbranch_vccnz .LBB440_1791
; %bb.1790:
	global_store_b16 v[2:3], v0, off
.LBB440_1791:
	s_mov_b32 s7, 0
.LBB440_1792:
	s_delay_alu instid0(SALU_CYCLE_1)
	s_and_not1_b32 vcc_lo, exec_lo, s7
	s_cbranch_vccnz .LBB440_1800
; %bb.1793:
	v_cvt_f32_i32_e32 v1, v0
	v_mov_b32_e32 v8, 0x80
	s_mov_b32 s7, exec_lo
	s_delay_alu instid0(VALU_DEP_2) | instskip(NEXT) | instid1(VALU_DEP_1)
	v_and_b32_e32 v5, 0x7fffffff, v1
	v_cmpx_gt_u32_e32 0x43800000, v5
	s_cbranch_execz .LBB440_1799
; %bb.1794:
	v_cmp_lt_u32_e32 vcc_lo, 0x3bffffff, v5
	s_mov_b32 s8, 0
                                        ; implicit-def: $vgpr5
	s_and_saveexec_b32 s9, vcc_lo
	s_delay_alu instid0(SALU_CYCLE_1)
	s_xor_b32 s9, exec_lo, s9
	s_cbranch_execz .LBB440_2027
; %bb.1795:
	v_bfe_u32 v5, v1, 20, 1
	s_mov_b32 s8, exec_lo
	s_delay_alu instid0(VALU_DEP_1) | instskip(NEXT) | instid1(VALU_DEP_1)
	v_add3_u32 v5, v1, v5, 0x487ffff
	v_lshrrev_b32_e32 v5, 20, v5
	s_or_saveexec_b32 s9, s9
                                        ; implicit-def: $sgpr12
	s_delay_alu instid0(SALU_CYCLE_1)
	s_xor_b32 exec_lo, exec_lo, s9
	s_cbranch_execnz .LBB440_2028
.LBB440_1796:
	s_or_b32 exec_lo, exec_lo, s9
	v_mov_b32_e32 v8, s12
	s_and_saveexec_b32 s9, s8
.LBB440_1797:
	v_lshrrev_b32_e32 v1, 24, v1
	s_delay_alu instid0(VALU_DEP_1)
	v_and_or_b32 v8, 0x80, v1, v5
.LBB440_1798:
	s_or_b32 exec_lo, exec_lo, s9
.LBB440_1799:
	s_delay_alu instid0(SALU_CYCLE_1)
	s_or_b32 exec_lo, exec_lo, s7
	global_store_b8 v[2:3], v8, off
.LBB440_1800:
	s_mov_b32 s7, -1
.LBB440_1801:
	s_mov_b32 s8, 0
.LBB440_1802:
	s_delay_alu instid0(SALU_CYCLE_1)
	s_and_b32 vcc_lo, exec_lo, s8
	s_cbranch_vccz .LBB440_1842
; %bb.1803:
	v_cmp_lt_i16_e32 vcc_lo, 22, v6
	s_mov_b32 s6, -1
	s_cbranch_vccz .LBB440_1835
; %bb.1804:
	v_cmp_gt_i16_e32 vcc_lo, 24, v6
	s_cbranch_vccnz .LBB440_1824
; %bb.1805:
	v_cmp_lt_i16_e32 vcc_lo, 24, v6
	s_cbranch_vccz .LBB440_1813
; %bb.1806:
	v_cvt_f32_i32_e32 v1, v0
	v_mov_b32_e32 v8, 0x80
	s_mov_b32 s6, exec_lo
	s_delay_alu instid0(VALU_DEP_2) | instskip(NEXT) | instid1(VALU_DEP_1)
	v_and_b32_e32 v5, 0x7fffffff, v1
	v_cmpx_gt_u32_e32 0x47800000, v5
	s_cbranch_execz .LBB440_1812
; %bb.1807:
	v_cmp_lt_u32_e32 vcc_lo, 0x37ffffff, v5
	s_mov_b32 s7, 0
                                        ; implicit-def: $vgpr5
	s_and_saveexec_b32 s8, vcc_lo
	s_delay_alu instid0(SALU_CYCLE_1)
	s_xor_b32 s8, exec_lo, s8
	s_cbranch_execz .LBB440_2033
; %bb.1808:
	v_bfe_u32 v5, v1, 21, 1
	s_mov_b32 s7, exec_lo
	s_delay_alu instid0(VALU_DEP_1) | instskip(NEXT) | instid1(VALU_DEP_1)
	v_add3_u32 v5, v1, v5, 0x88fffff
	v_lshrrev_b32_e32 v5, 21, v5
	s_or_saveexec_b32 s8, s8
                                        ; implicit-def: $sgpr9
	s_delay_alu instid0(SALU_CYCLE_1)
	s_xor_b32 exec_lo, exec_lo, s8
	s_cbranch_execnz .LBB440_2034
.LBB440_1809:
	s_or_b32 exec_lo, exec_lo, s8
	v_mov_b32_e32 v8, s9
	s_and_saveexec_b32 s8, s7
.LBB440_1810:
	v_lshrrev_b32_e32 v1, 24, v1
	s_delay_alu instid0(VALU_DEP_1)
	v_and_or_b32 v8, 0x80, v1, v5
.LBB440_1811:
	s_or_b32 exec_lo, exec_lo, s8
.LBB440_1812:
	s_delay_alu instid0(SALU_CYCLE_1)
	s_or_b32 exec_lo, exec_lo, s6
	s_mov_b32 s6, 0
	global_store_b8 v[2:3], v8, off
.LBB440_1813:
	s_and_b32 vcc_lo, exec_lo, s6
	s_cbranch_vccz .LBB440_1823
; %bb.1814:
	v_cvt_f32_i32_e32 v1, v0
	s_mov_b32 s6, exec_lo
                                        ; implicit-def: $vgpr5
	s_delay_alu instid0(VALU_DEP_1) | instskip(NEXT) | instid1(VALU_DEP_1)
	v_and_b32_e32 v8, 0x7fffffff, v1
	v_cmpx_gt_u32_e32 0x43f00000, v8
	s_xor_b32 s6, exec_lo, s6
	s_cbranch_execz .LBB440_1820
; %bb.1815:
	s_mov_b32 s7, exec_lo
                                        ; implicit-def: $vgpr5
	v_cmpx_lt_u32_e32 0x3c7fffff, v8
	s_xor_b32 s7, exec_lo, s7
; %bb.1816:
	v_bfe_u32 v5, v1, 20, 1
	s_delay_alu instid0(VALU_DEP_1) | instskip(NEXT) | instid1(VALU_DEP_1)
	v_add3_u32 v5, v1, v5, 0x407ffff
	v_and_b32_e32 v8, 0xff00000, v5
	v_lshrrev_b32_e32 v5, 20, v5
	s_delay_alu instid0(VALU_DEP_2) | instskip(NEXT) | instid1(VALU_DEP_2)
	v_cmp_ne_u32_e32 vcc_lo, 0x7f00000, v8
	v_cndmask_b32_e32 v5, 0x7e, v5, vcc_lo
; %bb.1817:
	s_and_not1_saveexec_b32 s7, s7
; %bb.1818:
	v_add_f32_e64 v5, 0x46800000, |v1|
; %bb.1819:
	s_or_b32 exec_lo, exec_lo, s7
                                        ; implicit-def: $vgpr8
.LBB440_1820:
	s_and_not1_saveexec_b32 s6, s6
; %bb.1821:
	v_mov_b32_e32 v5, 0x7f
	v_cmp_lt_u32_e32 vcc_lo, 0x7f800000, v8
	s_delay_alu instid0(VALU_DEP_2)
	v_cndmask_b32_e32 v5, 0x7e, v5, vcc_lo
; %bb.1822:
	s_or_b32 exec_lo, exec_lo, s6
	v_lshrrev_b32_e32 v1, 24, v1
	s_delay_alu instid0(VALU_DEP_1)
	v_and_or_b32 v1, 0x80, v1, v5
	global_store_b8 v[2:3], v1, off
.LBB440_1823:
	s_mov_b32 s6, 0
.LBB440_1824:
	s_delay_alu instid0(SALU_CYCLE_1)
	s_and_not1_b32 vcc_lo, exec_lo, s6
	s_cbranch_vccnz .LBB440_1834
; %bb.1825:
	v_cvt_f32_i32_e32 v1, v0
	s_mov_b32 s6, exec_lo
                                        ; implicit-def: $vgpr5
	s_delay_alu instid0(VALU_DEP_1) | instskip(NEXT) | instid1(VALU_DEP_1)
	v_and_b32_e32 v8, 0x7fffffff, v1
	v_cmpx_gt_u32_e32 0x47800000, v8
	s_xor_b32 s6, exec_lo, s6
	s_cbranch_execz .LBB440_1831
; %bb.1826:
	s_mov_b32 s7, exec_lo
                                        ; implicit-def: $vgpr5
	v_cmpx_lt_u32_e32 0x387fffff, v8
	s_xor_b32 s7, exec_lo, s7
; %bb.1827:
	v_bfe_u32 v5, v1, 21, 1
	s_delay_alu instid0(VALU_DEP_1) | instskip(NEXT) | instid1(VALU_DEP_1)
	v_add3_u32 v5, v1, v5, 0x80fffff
	v_lshrrev_b32_e32 v5, 21, v5
; %bb.1828:
	s_and_not1_saveexec_b32 s7, s7
; %bb.1829:
	v_add_f32_e64 v5, 0x43000000, |v1|
; %bb.1830:
	s_or_b32 exec_lo, exec_lo, s7
                                        ; implicit-def: $vgpr8
.LBB440_1831:
	s_and_not1_saveexec_b32 s6, s6
; %bb.1832:
	v_mov_b32_e32 v5, 0x7f
	v_cmp_lt_u32_e32 vcc_lo, 0x7f800000, v8
	s_delay_alu instid0(VALU_DEP_2)
	v_cndmask_b32_e32 v5, 0x7c, v5, vcc_lo
; %bb.1833:
	s_or_b32 exec_lo, exec_lo, s6
	v_lshrrev_b32_e32 v1, 24, v1
	s_delay_alu instid0(VALU_DEP_1)
	v_and_or_b32 v1, 0x80, v1, v5
	global_store_b8 v[2:3], v1, off
.LBB440_1834:
	s_mov_b32 s6, 0
	s_mov_b32 s7, -1
.LBB440_1835:
	s_and_not1_b32 vcc_lo, exec_lo, s6
	s_mov_b32 s6, 0
	s_cbranch_vccnz .LBB440_1842
; %bb.1836:
	v_cmp_lt_i16_e32 vcc_lo, 14, v6
	s_mov_b32 s6, -1
	s_cbranch_vccz .LBB440_1840
; %bb.1837:
	v_cmp_eq_u16_e32 vcc_lo, 15, v6
	s_mov_b32 s0, -1
	s_cbranch_vccz .LBB440_1839
; %bb.1838:
	v_cvt_f32_i32_e32 v1, v0
	s_mov_b32 s0, 0
	s_mov_b32 s7, -1
	s_delay_alu instid0(VALU_DEP_1) | instskip(NEXT) | instid1(VALU_DEP_1)
	v_bfe_u32 v5, v1, 16, 1
	v_add3_u32 v1, v1, v5, 0x7fff
	global_store_d16_hi_b16 v[2:3], v1, off
.LBB440_1839:
	s_mov_b32 s6, 0
.LBB440_1840:
	s_delay_alu instid0(SALU_CYCLE_1)
	s_and_b32 vcc_lo, exec_lo, s6
	s_mov_b32 s6, 0
	s_cbranch_vccz .LBB440_1842
; %bb.1841:
	v_cmp_ne_u16_e64 s0, 11, v6
	s_mov_b32 s6, -1
.LBB440_1842:
	s_delay_alu instid0(VALU_DEP_1)
	s_and_b32 vcc_lo, exec_lo, s0
	s_cbranch_vccnz .LBB440_2031
; %bb.1843:
	s_and_not1_b32 vcc_lo, exec_lo, s6
	s_cbranch_vccnz .LBB440_1845
.LBB440_1844:
	v_cmp_ne_u32_e32 vcc_lo, 0, v0
	s_mov_b32 s7, -1
	v_cndmask_b32_e64 v1, 0, 1, vcc_lo
	global_store_b8 v[2:3], v1, off
.LBB440_1845:
	s_mov_b32 s0, 0
	s_branch .LBB440_1847
.LBB440_1846:
	s_mov_b32 s0, -1
	s_mov_b32 s7, 0
.LBB440_1847:
	s_and_b32 vcc_lo, exec_lo, s0
	s_cbranch_vccz .LBB440_1886
; %bb.1848:
	v_cmp_gt_i16_e32 vcc_lo, 5, v6
	s_mov_b32 s0, -1
	s_cbranch_vccnz .LBB440_1869
; %bb.1849:
	v_cmp_gt_i16_e32 vcc_lo, 8, v6
	s_cbranch_vccnz .LBB440_1859
; %bb.1850:
	v_cmp_gt_i16_e32 vcc_lo, 9, v6
	s_cbranch_vccnz .LBB440_1856
; %bb.1851:
	v_cmp_lt_i16_e32 vcc_lo, 9, v6
	s_cbranch_vccz .LBB440_1853
; %bb.1852:
	v_cvt_f64_i32_e32 v[8:9], v0
	v_mov_b32_e32 v10, 0
	s_mov_b32 s0, 0
	s_delay_alu instid0(VALU_DEP_1)
	v_mov_b32_e32 v11, v10
	global_store_b128 v[2:3], v[8:11], off
.LBB440_1853:
	s_and_not1_b32 vcc_lo, exec_lo, s0
	s_cbranch_vccnz .LBB440_1855
; %bb.1854:
	v_cvt_f32_i32_e32 v8, v0
	v_mov_b32_e32 v9, 0
	global_store_b64 v[2:3], v[8:9], off
.LBB440_1855:
	s_mov_b32 s0, 0
.LBB440_1856:
	s_delay_alu instid0(SALU_CYCLE_1)
	s_and_not1_b32 vcc_lo, exec_lo, s0
	s_cbranch_vccnz .LBB440_1858
; %bb.1857:
	v_cvt_f32_i32_e32 v1, v0
	s_delay_alu instid0(VALU_DEP_1) | instskip(NEXT) | instid1(VALU_DEP_1)
	v_cvt_f16_f32_e32 v1, v1
	v_and_b32_e32 v1, 0xffff, v1
	global_store_b32 v[2:3], v1, off
.LBB440_1858:
	s_mov_b32 s0, 0
.LBB440_1859:
	s_delay_alu instid0(SALU_CYCLE_1)
	s_and_not1_b32 vcc_lo, exec_lo, s0
	s_cbranch_vccnz .LBB440_1868
; %bb.1860:
	v_cmp_gt_i16_e32 vcc_lo, 6, v6
	s_mov_b32 s0, -1
	s_cbranch_vccnz .LBB440_1866
; %bb.1861:
	v_cmp_lt_i16_e32 vcc_lo, 6, v6
	s_cbranch_vccz .LBB440_1863
; %bb.1862:
	v_cvt_f64_i32_e32 v[8:9], v0
	s_mov_b32 s0, 0
	global_store_b64 v[2:3], v[8:9], off
.LBB440_1863:
	s_and_not1_b32 vcc_lo, exec_lo, s0
	s_cbranch_vccnz .LBB440_1865
; %bb.1864:
	v_cvt_f32_i32_e32 v1, v0
	global_store_b32 v[2:3], v1, off
.LBB440_1865:
	s_mov_b32 s0, 0
.LBB440_1866:
	s_delay_alu instid0(SALU_CYCLE_1)
	s_and_not1_b32 vcc_lo, exec_lo, s0
	s_cbranch_vccnz .LBB440_1868
; %bb.1867:
	v_cvt_f32_i32_e32 v1, v0
	s_delay_alu instid0(VALU_DEP_1)
	v_cvt_f16_f32_e32 v1, v1
	global_store_b16 v[2:3], v1, off
.LBB440_1868:
	s_mov_b32 s0, 0
.LBB440_1869:
	s_delay_alu instid0(SALU_CYCLE_1)
	s_and_not1_b32 vcc_lo, exec_lo, s0
	s_cbranch_vccnz .LBB440_1885
; %bb.1870:
	v_cmp_gt_i16_e32 vcc_lo, 2, v6
	s_mov_b32 s0, -1
	s_cbranch_vccnz .LBB440_1880
; %bb.1871:
	v_cmp_gt_i16_e32 vcc_lo, 3, v6
	s_cbranch_vccnz .LBB440_1877
; %bb.1872:
	v_cmp_lt_i16_e32 vcc_lo, 3, v6
	s_cbranch_vccz .LBB440_1874
; %bb.1873:
	v_ashrrev_i32_e32 v1, 31, v0
	s_mov_b32 s0, 0
	global_store_b64 v[2:3], v[0:1], off
.LBB440_1874:
	s_and_not1_b32 vcc_lo, exec_lo, s0
	s_cbranch_vccnz .LBB440_1876
; %bb.1875:
	global_store_b32 v[2:3], v0, off
.LBB440_1876:
	s_mov_b32 s0, 0
.LBB440_1877:
	s_delay_alu instid0(SALU_CYCLE_1)
	s_and_not1_b32 vcc_lo, exec_lo, s0
	s_cbranch_vccnz .LBB440_1879
; %bb.1878:
	global_store_b16 v[2:3], v0, off
.LBB440_1879:
	s_mov_b32 s0, 0
.LBB440_1880:
	s_delay_alu instid0(SALU_CYCLE_1)
	s_and_not1_b32 vcc_lo, exec_lo, s0
	s_cbranch_vccnz .LBB440_1885
; %bb.1881:
	v_cmp_lt_i16_e32 vcc_lo, 0, v6
	s_mov_b32 s0, -1
	s_cbranch_vccz .LBB440_1883
; %bb.1882:
	s_mov_b32 s0, 0
	global_store_b8 v[2:3], v0, off
.LBB440_1883:
	s_and_not1_b32 vcc_lo, exec_lo, s0
	s_cbranch_vccnz .LBB440_1885
; %bb.1884:
	global_store_b8 v[2:3], v0, off
.LBB440_1885:
	s_mov_b32 s7, -1
.LBB440_1886:
	s_delay_alu instid0(SALU_CYCLE_1)
	s_and_not1_b32 vcc_lo, exec_lo, s7
	s_cbranch_vccnz .LBB440_1963
; %bb.1887:
	v_add_nc_u32_e32 v0, s2, v4
	v_cmp_gt_i16_e32 vcc_lo, 11, v6
	v_min_i32_e32 v2, s10, v7
	s_delay_alu instid0(VALU_DEP_3) | instskip(SKIP_1) | instid1(VALU_DEP_1)
	v_ashrrev_i32_e32 v1, 31, v0
	v_add_co_u32 v0, s0, s4, v0
	v_add_co_ci_u32_e64 v1, s0, s5, v1, s0
	s_cbranch_vccnz .LBB440_2008
; %bb.1888:
	v_cmp_lt_i16_e32 vcc_lo, 25, v6
	s_mov_b32 s4, -1
	s_mov_b32 s2, 0
	s_mov_b32 s0, 0
	s_cbranch_vccz .LBB440_1921
; %bb.1889:
	v_cmp_lt_i16_e32 vcc_lo, 28, v6
	s_cbranch_vccz .LBB440_1905
; %bb.1890:
	v_cmp_lt_i16_e32 vcc_lo, 43, v6
	s_cbranch_vccz .LBB440_1901
; %bb.1891:
	v_cmp_lt_i16_e32 vcc_lo, 45, v6
	s_cbranch_vccz .LBB440_1895
; %bb.1892:
	v_cmp_eq_u16_e32 vcc_lo, 46, v6
	s_mov_b32 s0, -1
	s_cbranch_vccz .LBB440_1894
; %bb.1893:
	v_cvt_f32_i32_e32 v3, v2
	s_mov_b32 s0, 0
	s_delay_alu instid0(VALU_DEP_1) | instskip(NEXT) | instid1(VALU_DEP_1)
	v_bfe_u32 v4, v3, 16, 1
	v_add3_u32 v3, v3, v4, 0x7fff
	s_delay_alu instid0(VALU_DEP_1)
	v_lshrrev_b32_e32 v3, 16, v3
	global_store_b32 v[0:1], v3, off
.LBB440_1894:
	s_mov_b32 s4, 0
.LBB440_1895:
	s_delay_alu instid0(SALU_CYCLE_1)
	s_and_b32 vcc_lo, exec_lo, s4
	s_cbranch_vccz .LBB440_1900
; %bb.1896:
	v_cmp_eq_u16_e32 vcc_lo, 44, v6
	s_mov_b32 s0, -1
	s_cbranch_vccz .LBB440_1900
; %bb.1897:
	v_cvt_f32_i32_e32 v3, v2
	v_mov_b32_e32 v4, 0xff
	s_mov_b32 s4, exec_lo
	s_delay_alu instid0(VALU_DEP_2) | instskip(NEXT) | instid1(VALU_DEP_1)
	v_bfe_u32 v5, v3, 23, 8
	v_cmpx_ne_u32_e32 0xff, v5
; %bb.1898:
	v_and_b32_e32 v4, 0x400000, v3
	v_and_or_b32 v5, 0x3fffff, v3, v5
	v_lshrrev_b32_e32 v3, 23, v3
	s_delay_alu instid0(VALU_DEP_3) | instskip(NEXT) | instid1(VALU_DEP_3)
	v_cmp_ne_u32_e32 vcc_lo, 0, v4
	v_cmp_ne_u32_e64 s0, 0, v5
	s_delay_alu instid0(VALU_DEP_1) | instskip(NEXT) | instid1(SALU_CYCLE_1)
	s_and_b32 s0, vcc_lo, s0
	v_cndmask_b32_e64 v4, 0, 1, s0
	s_delay_alu instid0(VALU_DEP_1)
	v_add_nc_u32_e32 v4, v3, v4
; %bb.1899:
	s_or_b32 exec_lo, exec_lo, s4
	s_mov_b32 s0, 0
	global_store_b8 v[0:1], v4, off
.LBB440_1900:
	s_mov_b32 s4, 0
.LBB440_1901:
	s_delay_alu instid0(SALU_CYCLE_1)
	s_and_b32 vcc_lo, exec_lo, s4
	s_cbranch_vccz .LBB440_1904
; %bb.1902:
	v_cmp_eq_u16_e32 vcc_lo, 29, v6
	s_mov_b32 s0, -1
	s_cbranch_vccz .LBB440_1904
; %bb.1903:
	v_ashrrev_i32_e32 v3, 31, v2
	s_mov_b32 s0, 0
	global_store_b64 v[0:1], v[2:3], off
.LBB440_1904:
	s_mov_b32 s4, 0
.LBB440_1905:
	s_delay_alu instid0(SALU_CYCLE_1)
	s_and_b32 vcc_lo, exec_lo, s4
	s_cbranch_vccz .LBB440_1920
; %bb.1906:
	v_cmp_gt_i16_e32 vcc_lo, 27, v6
	s_mov_b32 s4, -1
	s_cbranch_vccnz .LBB440_1912
; %bb.1907:
	v_cmp_lt_i16_e32 vcc_lo, 27, v6
	s_cbranch_vccz .LBB440_1909
; %bb.1908:
	s_mov_b32 s4, 0
	global_store_b32 v[0:1], v2, off
.LBB440_1909:
	s_and_not1_b32 vcc_lo, exec_lo, s4
	s_cbranch_vccnz .LBB440_1911
; %bb.1910:
	global_store_b16 v[0:1], v2, off
.LBB440_1911:
	s_mov_b32 s4, 0
.LBB440_1912:
	s_delay_alu instid0(SALU_CYCLE_1)
	s_and_not1_b32 vcc_lo, exec_lo, s4
	s_cbranch_vccnz .LBB440_1920
; %bb.1913:
	v_cvt_f32_i32_e32 v3, v2
	v_mov_b32_e32 v5, 0x80
	s_mov_b32 s4, exec_lo
	s_delay_alu instid0(VALU_DEP_2) | instskip(NEXT) | instid1(VALU_DEP_1)
	v_and_b32_e32 v4, 0x7fffffff, v3
	v_cmpx_gt_u32_e32 0x43800000, v4
	s_cbranch_execz .LBB440_1919
; %bb.1914:
	v_cmp_lt_u32_e32 vcc_lo, 0x3bffffff, v4
	s_mov_b32 s5, 0
                                        ; implicit-def: $vgpr4
	s_and_saveexec_b32 s6, vcc_lo
	s_delay_alu instid0(SALU_CYCLE_1)
	s_xor_b32 s6, exec_lo, s6
	s_cbranch_execz .LBB440_2035
; %bb.1915:
	v_bfe_u32 v4, v3, 20, 1
	s_mov_b32 s5, exec_lo
	s_delay_alu instid0(VALU_DEP_1) | instskip(NEXT) | instid1(VALU_DEP_1)
	v_add3_u32 v4, v3, v4, 0x487ffff
	v_lshrrev_b32_e32 v4, 20, v4
	s_or_saveexec_b32 s6, s6
                                        ; implicit-def: $sgpr7
	s_delay_alu instid0(SALU_CYCLE_1)
	s_xor_b32 exec_lo, exec_lo, s6
	s_cbranch_execnz .LBB440_2036
.LBB440_1916:
	s_or_b32 exec_lo, exec_lo, s6
	v_mov_b32_e32 v5, s7
	s_and_saveexec_b32 s6, s5
.LBB440_1917:
	v_lshrrev_b32_e32 v3, 24, v3
	s_delay_alu instid0(VALU_DEP_1)
	v_and_or_b32 v5, 0x80, v3, v4
.LBB440_1918:
	s_or_b32 exec_lo, exec_lo, s6
.LBB440_1919:
	s_delay_alu instid0(SALU_CYCLE_1)
	s_or_b32 exec_lo, exec_lo, s4
	global_store_b8 v[0:1], v5, off
.LBB440_1920:
	s_mov_b32 s4, 0
.LBB440_1921:
	s_delay_alu instid0(SALU_CYCLE_1)
	s_and_b32 vcc_lo, exec_lo, s4
	s_cbranch_vccz .LBB440_1961
; %bb.1922:
	v_cmp_lt_i16_e32 vcc_lo, 22, v6
	s_mov_b32 s2, -1
	s_cbranch_vccz .LBB440_1954
; %bb.1923:
	v_cmp_gt_i16_e32 vcc_lo, 24, v6
	s_cbranch_vccnz .LBB440_1943
; %bb.1924:
	v_cmp_lt_i16_e32 vcc_lo, 24, v6
	s_cbranch_vccz .LBB440_1932
; %bb.1925:
	v_cvt_f32_i32_e32 v3, v2
	v_mov_b32_e32 v5, 0x80
	s_mov_b32 s2, exec_lo
	s_delay_alu instid0(VALU_DEP_2) | instskip(NEXT) | instid1(VALU_DEP_1)
	v_and_b32_e32 v4, 0x7fffffff, v3
	v_cmpx_gt_u32_e32 0x47800000, v4
	s_cbranch_execz .LBB440_1931
; %bb.1926:
	v_cmp_lt_u32_e32 vcc_lo, 0x37ffffff, v4
	s_mov_b32 s4, 0
                                        ; implicit-def: $vgpr4
	s_and_saveexec_b32 s5, vcc_lo
	s_delay_alu instid0(SALU_CYCLE_1)
	s_xor_b32 s5, exec_lo, s5
	s_cbranch_execz .LBB440_2041
; %bb.1927:
	v_bfe_u32 v4, v3, 21, 1
	s_mov_b32 s4, exec_lo
	s_delay_alu instid0(VALU_DEP_1) | instskip(NEXT) | instid1(VALU_DEP_1)
	v_add3_u32 v4, v3, v4, 0x88fffff
	v_lshrrev_b32_e32 v4, 21, v4
	s_or_saveexec_b32 s5, s5
                                        ; implicit-def: $sgpr6
	s_delay_alu instid0(SALU_CYCLE_1)
	s_xor_b32 exec_lo, exec_lo, s5
	s_cbranch_execnz .LBB440_2042
.LBB440_1928:
	s_or_b32 exec_lo, exec_lo, s5
	v_mov_b32_e32 v5, s6
	s_and_saveexec_b32 s5, s4
.LBB440_1929:
	v_lshrrev_b32_e32 v3, 24, v3
	s_delay_alu instid0(VALU_DEP_1)
	v_and_or_b32 v5, 0x80, v3, v4
.LBB440_1930:
	s_or_b32 exec_lo, exec_lo, s5
.LBB440_1931:
	s_delay_alu instid0(SALU_CYCLE_1)
	s_or_b32 exec_lo, exec_lo, s2
	s_mov_b32 s2, 0
	global_store_b8 v[0:1], v5, off
.LBB440_1932:
	s_and_b32 vcc_lo, exec_lo, s2
	s_cbranch_vccz .LBB440_1942
; %bb.1933:
	v_cvt_f32_i32_e32 v3, v2
	s_mov_b32 s2, exec_lo
                                        ; implicit-def: $vgpr4
	s_delay_alu instid0(VALU_DEP_1) | instskip(NEXT) | instid1(VALU_DEP_1)
	v_and_b32_e32 v5, 0x7fffffff, v3
	v_cmpx_gt_u32_e32 0x43f00000, v5
	s_xor_b32 s2, exec_lo, s2
	s_cbranch_execz .LBB440_1939
; %bb.1934:
	s_mov_b32 s4, exec_lo
                                        ; implicit-def: $vgpr4
	v_cmpx_lt_u32_e32 0x3c7fffff, v5
	s_xor_b32 s4, exec_lo, s4
; %bb.1935:
	v_bfe_u32 v4, v3, 20, 1
	s_delay_alu instid0(VALU_DEP_1) | instskip(NEXT) | instid1(VALU_DEP_1)
	v_add3_u32 v4, v3, v4, 0x407ffff
	v_and_b32_e32 v5, 0xff00000, v4
	v_lshrrev_b32_e32 v4, 20, v4
	s_delay_alu instid0(VALU_DEP_2) | instskip(NEXT) | instid1(VALU_DEP_2)
	v_cmp_ne_u32_e32 vcc_lo, 0x7f00000, v5
	v_cndmask_b32_e32 v4, 0x7e, v4, vcc_lo
; %bb.1936:
	s_and_not1_saveexec_b32 s4, s4
; %bb.1937:
	v_add_f32_e64 v4, 0x46800000, |v3|
; %bb.1938:
	s_or_b32 exec_lo, exec_lo, s4
                                        ; implicit-def: $vgpr5
.LBB440_1939:
	s_and_not1_saveexec_b32 s2, s2
; %bb.1940:
	v_mov_b32_e32 v4, 0x7f
	v_cmp_lt_u32_e32 vcc_lo, 0x7f800000, v5
	s_delay_alu instid0(VALU_DEP_2)
	v_cndmask_b32_e32 v4, 0x7e, v4, vcc_lo
; %bb.1941:
	s_or_b32 exec_lo, exec_lo, s2
	v_lshrrev_b32_e32 v3, 24, v3
	s_delay_alu instid0(VALU_DEP_1)
	v_and_or_b32 v3, 0x80, v3, v4
	global_store_b8 v[0:1], v3, off
.LBB440_1942:
	s_mov_b32 s2, 0
.LBB440_1943:
	s_delay_alu instid0(SALU_CYCLE_1)
	s_and_not1_b32 vcc_lo, exec_lo, s2
	s_cbranch_vccnz .LBB440_1953
; %bb.1944:
	v_cvt_f32_i32_e32 v3, v2
	s_mov_b32 s2, exec_lo
                                        ; implicit-def: $vgpr4
	s_delay_alu instid0(VALU_DEP_1) | instskip(NEXT) | instid1(VALU_DEP_1)
	v_and_b32_e32 v5, 0x7fffffff, v3
	v_cmpx_gt_u32_e32 0x47800000, v5
	s_xor_b32 s2, exec_lo, s2
	s_cbranch_execz .LBB440_1950
; %bb.1945:
	s_mov_b32 s4, exec_lo
                                        ; implicit-def: $vgpr4
	v_cmpx_lt_u32_e32 0x387fffff, v5
	s_xor_b32 s4, exec_lo, s4
; %bb.1946:
	v_bfe_u32 v4, v3, 21, 1
	s_delay_alu instid0(VALU_DEP_1) | instskip(NEXT) | instid1(VALU_DEP_1)
	v_add3_u32 v4, v3, v4, 0x80fffff
	v_lshrrev_b32_e32 v4, 21, v4
; %bb.1947:
	s_and_not1_saveexec_b32 s4, s4
; %bb.1948:
	v_add_f32_e64 v4, 0x43000000, |v3|
; %bb.1949:
	s_or_b32 exec_lo, exec_lo, s4
                                        ; implicit-def: $vgpr5
.LBB440_1950:
	s_and_not1_saveexec_b32 s2, s2
; %bb.1951:
	v_mov_b32_e32 v4, 0x7f
	v_cmp_lt_u32_e32 vcc_lo, 0x7f800000, v5
	s_delay_alu instid0(VALU_DEP_2)
	v_cndmask_b32_e32 v4, 0x7c, v4, vcc_lo
; %bb.1952:
	s_or_b32 exec_lo, exec_lo, s2
	v_lshrrev_b32_e32 v3, 24, v3
	s_delay_alu instid0(VALU_DEP_1)
	v_and_or_b32 v3, 0x80, v3, v4
	global_store_b8 v[0:1], v3, off
.LBB440_1953:
	s_mov_b32 s2, 0
.LBB440_1954:
	s_delay_alu instid0(SALU_CYCLE_1)
	s_and_not1_b32 vcc_lo, exec_lo, s2
	s_mov_b32 s2, 0
	s_cbranch_vccnz .LBB440_1961
; %bb.1955:
	v_cmp_lt_i16_e32 vcc_lo, 14, v6
	s_mov_b32 s2, -1
	s_cbranch_vccz .LBB440_1959
; %bb.1956:
	v_cmp_eq_u16_e32 vcc_lo, 15, v6
	s_mov_b32 s0, -1
	s_cbranch_vccz .LBB440_1958
; %bb.1957:
	v_cvt_f32_i32_e32 v3, v2
	s_mov_b32 s0, 0
	s_delay_alu instid0(VALU_DEP_1) | instskip(NEXT) | instid1(VALU_DEP_1)
	v_bfe_u32 v4, v3, 16, 1
	v_add3_u32 v3, v3, v4, 0x7fff
	global_store_d16_hi_b16 v[0:1], v3, off
.LBB440_1958:
	s_mov_b32 s2, 0
.LBB440_1959:
	s_delay_alu instid0(SALU_CYCLE_1)
	s_and_b32 vcc_lo, exec_lo, s2
	s_mov_b32 s2, 0
	s_cbranch_vccz .LBB440_1961
; %bb.1960:
	v_cmp_ne_u16_e64 s0, 11, v6
	s_mov_b32 s2, -1
.LBB440_1961:
	s_delay_alu instid0(VALU_DEP_1)
	s_and_b32 vcc_lo, exec_lo, s0
	s_cbranch_vccnz .LBB440_2039
.LBB440_1962:
	s_mov_b32 s0, 0
	s_branch .LBB440_1964
.LBB440_1963:
	s_mov_b32 s0, 0
	s_mov_b32 s2, 0
                                        ; implicit-def: $vgpr6
                                        ; implicit-def: $vgpr0_vgpr1
                                        ; implicit-def: $vgpr2
.LBB440_1964:
	s_and_not1_b32 s4, s11, exec_lo
	s_and_b32 s5, s1, exec_lo
	s_and_b32 s0, s0, exec_lo
	;; [unrolled: 1-line block ×3, first 2 shown]
	s_or_b32 s11, s4, s5
.LBB440_1965:
	s_or_b32 exec_lo, exec_lo, s3
	s_and_saveexec_b32 s2, s11
	s_cbranch_execz .LBB440_1968
; %bb.1966:
	; divergent unreachable
	s_or_b32 exec_lo, exec_lo, s2
	s_and_saveexec_b32 s2, s1
	s_delay_alu instid0(SALU_CYCLE_1)
	s_xor_b32 s1, exec_lo, s2
	s_cbranch_execnz .LBB440_1969
.LBB440_1967:
	s_or_b32 exec_lo, exec_lo, s1
	s_and_saveexec_b32 s1, s0
	s_cbranch_execnz .LBB440_1970
	s_branch .LBB440_2007
.LBB440_1968:
	s_or_b32 exec_lo, exec_lo, s2
	s_and_saveexec_b32 s2, s1
	s_delay_alu instid0(SALU_CYCLE_1)
	s_xor_b32 s1, exec_lo, s2
	s_cbranch_execz .LBB440_1967
.LBB440_1969:
	s_waitcnt vmcnt(0)
	v_cmp_ne_u32_e32 vcc_lo, 0, v2
	v_cndmask_b32_e64 v3, 0, 1, vcc_lo
	global_store_b8 v[0:1], v3, off
	s_or_b32 exec_lo, exec_lo, s1
	s_and_saveexec_b32 s1, s0
	s_cbranch_execz .LBB440_2007
.LBB440_1970:
	s_waitcnt vmcnt(0)
	v_cmp_gt_i16_e32 vcc_lo, 5, v6
	s_mov_b32 s0, -1
	s_cbranch_vccnz .LBB440_1991
; %bb.1971:
	v_cmp_gt_i16_e32 vcc_lo, 8, v6
	s_cbranch_vccnz .LBB440_1981
; %bb.1972:
	v_cmp_gt_i16_e32 vcc_lo, 9, v6
	s_cbranch_vccnz .LBB440_1978
; %bb.1973:
	v_cmp_lt_i16_e32 vcc_lo, 9, v6
	s_cbranch_vccz .LBB440_1975
; %bb.1974:
	v_cvt_f64_i32_e32 v[7:8], v2
	v_mov_b32_e32 v9, 0
	s_mov_b32 s0, 0
	s_delay_alu instid0(VALU_DEP_1)
	v_mov_b32_e32 v10, v9
	global_store_b128 v[0:1], v[7:10], off
.LBB440_1975:
	s_and_not1_b32 vcc_lo, exec_lo, s0
	s_cbranch_vccnz .LBB440_1977
; %bb.1976:
	v_cvt_f32_i32_e32 v3, v2
	v_mov_b32_e32 v4, 0
	global_store_b64 v[0:1], v[3:4], off
.LBB440_1977:
	s_mov_b32 s0, 0
.LBB440_1978:
	s_delay_alu instid0(SALU_CYCLE_1)
	s_and_not1_b32 vcc_lo, exec_lo, s0
	s_cbranch_vccnz .LBB440_1980
; %bb.1979:
	v_cvt_f32_i32_e32 v3, v2
	s_delay_alu instid0(VALU_DEP_1) | instskip(NEXT) | instid1(VALU_DEP_1)
	v_cvt_f16_f32_e32 v3, v3
	v_and_b32_e32 v3, 0xffff, v3
	global_store_b32 v[0:1], v3, off
.LBB440_1980:
	s_mov_b32 s0, 0
.LBB440_1981:
	s_delay_alu instid0(SALU_CYCLE_1)
	s_and_not1_b32 vcc_lo, exec_lo, s0
	s_cbranch_vccnz .LBB440_1990
; %bb.1982:
	v_cmp_gt_i16_e32 vcc_lo, 6, v6
	s_mov_b32 s0, -1
	s_cbranch_vccnz .LBB440_1988
; %bb.1983:
	v_cmp_lt_i16_e32 vcc_lo, 6, v6
	s_cbranch_vccz .LBB440_1985
; %bb.1984:
	v_cvt_f64_i32_e32 v[3:4], v2
	s_mov_b32 s0, 0
	global_store_b64 v[0:1], v[3:4], off
.LBB440_1985:
	s_and_not1_b32 vcc_lo, exec_lo, s0
	s_cbranch_vccnz .LBB440_1987
; %bb.1986:
	v_cvt_f32_i32_e32 v3, v2
	global_store_b32 v[0:1], v3, off
.LBB440_1987:
	s_mov_b32 s0, 0
.LBB440_1988:
	s_delay_alu instid0(SALU_CYCLE_1)
	s_and_not1_b32 vcc_lo, exec_lo, s0
	s_cbranch_vccnz .LBB440_1990
; %bb.1989:
	v_cvt_f32_i32_e32 v3, v2
	s_delay_alu instid0(VALU_DEP_1)
	v_cvt_f16_f32_e32 v3, v3
	global_store_b16 v[0:1], v3, off
.LBB440_1990:
	s_mov_b32 s0, 0
.LBB440_1991:
	s_delay_alu instid0(SALU_CYCLE_1)
	s_and_not1_b32 vcc_lo, exec_lo, s0
	s_cbranch_vccnz .LBB440_2007
; %bb.1992:
	v_cmp_gt_i16_e32 vcc_lo, 2, v6
	s_mov_b32 s0, -1
	s_cbranch_vccnz .LBB440_2002
; %bb.1993:
	v_cmp_gt_i16_e32 vcc_lo, 3, v6
	s_cbranch_vccnz .LBB440_1999
; %bb.1994:
	v_cmp_lt_i16_e32 vcc_lo, 3, v6
	s_cbranch_vccz .LBB440_1996
; %bb.1995:
	v_ashrrev_i32_e32 v3, 31, v2
	s_mov_b32 s0, 0
	global_store_b64 v[0:1], v[2:3], off
.LBB440_1996:
	s_and_not1_b32 vcc_lo, exec_lo, s0
	s_cbranch_vccnz .LBB440_1998
; %bb.1997:
	global_store_b32 v[0:1], v2, off
.LBB440_1998:
	s_mov_b32 s0, 0
.LBB440_1999:
	s_delay_alu instid0(SALU_CYCLE_1)
	s_and_not1_b32 vcc_lo, exec_lo, s0
	s_cbranch_vccnz .LBB440_2001
; %bb.2000:
	global_store_b16 v[0:1], v2, off
.LBB440_2001:
	s_mov_b32 s0, 0
.LBB440_2002:
	s_delay_alu instid0(SALU_CYCLE_1)
	s_and_not1_b32 vcc_lo, exec_lo, s0
	s_cbranch_vccnz .LBB440_2007
; %bb.2003:
	v_cmp_lt_i16_e32 vcc_lo, 0, v6
	s_mov_b32 s0, -1
	s_cbranch_vccz .LBB440_2005
; %bb.2004:
	s_mov_b32 s0, 0
	global_store_b8 v[0:1], v2, off
.LBB440_2005:
	s_and_not1_b32 vcc_lo, exec_lo, s0
	s_cbranch_vccnz .LBB440_2007
; %bb.2006:
	global_store_b8 v[0:1], v2, off
	s_nop 0
	s_sendmsg sendmsg(MSG_DEALLOC_VGPRS)
	s_endpgm
.LBB440_2007:
	s_nop 0
	s_sendmsg sendmsg(MSG_DEALLOC_VGPRS)
	s_endpgm
.LBB440_2008:
	s_mov_b32 s2, 0
	s_mov_b32 s0, -1
	s_branch .LBB440_1964
.LBB440_2009:
	s_cbranch_execnz .LBB440_2013
; %bb.2010:
	s_or_b32 s1, s1, exec_lo
                                        ; implicit-def: $vgpr7
	s_cbranch_execz .LBB440_1478
	s_branch .LBB440_1479
.LBB440_2011:
	s_or_saveexec_b32 s9, s9
                                        ; implicit-def: $sgpr12
	s_delay_alu instid0(SALU_CYCLE_1)
	s_xor_b32 exec_lo, exec_lo, s9
	s_cbranch_execz .LBB440_1558
.LBB440_2012:
	v_add_f32_e64 v5, 0x46000000, |v1|
	s_and_not1_b32 s7, s7, exec_lo
	s_mov_b32 s12, 0
	s_delay_alu instid0(VALU_DEP_1) | instskip(NEXT) | instid1(VALU_DEP_1)
	v_and_b32_e32 v5, 0xff, v5
	v_cmp_ne_u32_e32 vcc_lo, 0, v5
	s_and_b32 s13, vcc_lo, exec_lo
	s_delay_alu instid0(SALU_CYCLE_1)
	s_or_b32 s7, s7, s13
	s_or_b32 exec_lo, exec_lo, s9
	v_mov_b32_e32 v10, s12
	s_and_saveexec_b32 s9, s7
	s_cbranch_execnz .LBB440_1559
	s_branch .LBB440_1560
.LBB440_2013:
	s_trap 2
	s_sendmsg_rtn_b32 s0, sendmsg(MSG_RTN_GET_DOORBELL)
	s_mov_b32 ttmp2, m0
	s_waitcnt lgkmcnt(0)
	s_and_b32 s0, s0, 0x3ff
	s_delay_alu instid0(SALU_CYCLE_1) | instskip(NEXT) | instid1(SALU_CYCLE_1)
	s_bitset1_b32 s0, 10
	s_mov_b32 m0, s0
	s_sendmsg sendmsg(MSG_INTERRUPT)
	s_mov_b32 m0, ttmp2
.LBB440_2014:                           ; =>This Inner Loop Header: Depth=1
	s_sethalt 5
	s_branch .LBB440_2014
.LBB440_2015:
	s_cbranch_execnz .LBB440_2021
; %bb.2016:
	s_or_b32 s1, s1, exec_lo
	s_cbranch_execz .LBB440_1606
	s_branch .LBB440_1607
.LBB440_2017:
	s_or_saveexec_b32 s7, s7
                                        ; implicit-def: $sgpr9
	s_delay_alu instid0(SALU_CYCLE_1)
	s_xor_b32 exec_lo, exec_lo, s7
	s_cbranch_execz .LBB440_1571
.LBB440_2018:
	v_add_f32_e64 v5, 0x42800000, |v1|
	s_and_not1_b32 s6, s6, exec_lo
	s_mov_b32 s9, 0
	s_delay_alu instid0(VALU_DEP_1) | instskip(NEXT) | instid1(VALU_DEP_1)
	v_and_b32_e32 v5, 0xff, v5
	v_cmp_ne_u32_e32 vcc_lo, 0, v5
	s_and_b32 s12, vcc_lo, exec_lo
	s_delay_alu instid0(SALU_CYCLE_1)
	s_or_b32 s6, s6, s12
	s_or_b32 exec_lo, exec_lo, s7
	v_mov_b32_e32 v10, s9
	s_and_saveexec_b32 s7, s6
	s_cbranch_execnz .LBB440_1572
	s_branch .LBB440_1573
.LBB440_2019:
	s_or_saveexec_b32 s9, s9
                                        ; implicit-def: $sgpr12
	s_delay_alu instid0(SALU_CYCLE_1)
	s_xor_b32 exec_lo, exec_lo, s9
	s_cbranch_execz .LBB440_1677
.LBB440_2020:
	v_add_f32_e64 v5, 0x46000000, |v1|
	s_and_not1_b32 s8, s8, exec_lo
	s_mov_b32 s12, 0
	s_delay_alu instid0(VALU_DEP_1) | instskip(NEXT) | instid1(VALU_DEP_1)
	v_and_b32_e32 v5, 0xff, v5
	v_cmp_ne_u32_e32 vcc_lo, 0, v5
	s_and_b32 s13, vcc_lo, exec_lo
	s_delay_alu instid0(SALU_CYCLE_1)
	s_or_b32 s8, s8, s13
	s_or_b32 exec_lo, exec_lo, s9
	v_mov_b32_e32 v9, s12
	s_and_saveexec_b32 s9, s8
	s_cbranch_execnz .LBB440_1678
	s_branch .LBB440_1679
.LBB440_2021:
	s_trap 2
	s_sendmsg_rtn_b32 s0, sendmsg(MSG_RTN_GET_DOORBELL)
	s_mov_b32 ttmp2, m0
	s_waitcnt lgkmcnt(0)
	s_and_b32 s0, s0, 0x3ff
	s_delay_alu instid0(SALU_CYCLE_1) | instskip(NEXT) | instid1(SALU_CYCLE_1)
	s_bitset1_b32 s0, 10
	s_mov_b32 m0, s0
	s_sendmsg sendmsg(MSG_INTERRUPT)
	s_mov_b32 m0, ttmp2
.LBB440_2022:                           ; =>This Inner Loop Header: Depth=1
	s_sethalt 5
	s_branch .LBB440_2022
.LBB440_2023:
	s_cbranch_execnz .LBB440_2029
; %bb.2024:
	s_or_b32 s1, s1, exec_lo
	s_cbranch_execz .LBB440_1725
	s_branch .LBB440_1726
.LBB440_2025:
	s_or_saveexec_b32 s8, s8
                                        ; implicit-def: $sgpr9
	s_delay_alu instid0(SALU_CYCLE_1)
	s_xor_b32 exec_lo, exec_lo, s8
	s_cbranch_execz .LBB440_1690
.LBB440_2026:
	v_add_f32_e64 v5, 0x42800000, |v1|
	s_and_not1_b32 s7, s7, exec_lo
	s_mov_b32 s9, 0
	s_delay_alu instid0(VALU_DEP_1) | instskip(NEXT) | instid1(VALU_DEP_1)
	v_and_b32_e32 v5, 0xff, v5
	v_cmp_ne_u32_e32 vcc_lo, 0, v5
	s_and_b32 s12, vcc_lo, exec_lo
	s_delay_alu instid0(SALU_CYCLE_1)
	s_or_b32 s7, s7, s12
	s_or_b32 exec_lo, exec_lo, s8
	v_mov_b32_e32 v9, s9
	s_and_saveexec_b32 s8, s7
	s_cbranch_execnz .LBB440_1691
	s_branch .LBB440_1692
.LBB440_2027:
	s_or_saveexec_b32 s9, s9
                                        ; implicit-def: $sgpr12
	s_delay_alu instid0(SALU_CYCLE_1)
	s_xor_b32 exec_lo, exec_lo, s9
	s_cbranch_execz .LBB440_1796
.LBB440_2028:
	v_add_f32_e64 v5, 0x46000000, |v1|
	s_and_not1_b32 s8, s8, exec_lo
	s_mov_b32 s12, 0
	s_delay_alu instid0(VALU_DEP_1) | instskip(NEXT) | instid1(VALU_DEP_1)
	v_and_b32_e32 v5, 0xff, v5
	v_cmp_ne_u32_e32 vcc_lo, 0, v5
	s_and_b32 s13, vcc_lo, exec_lo
	s_delay_alu instid0(SALU_CYCLE_1)
	s_or_b32 s8, s8, s13
	s_or_b32 exec_lo, exec_lo, s9
	v_mov_b32_e32 v8, s12
	s_and_saveexec_b32 s9, s8
	s_cbranch_execnz .LBB440_1797
	s_branch .LBB440_1798
.LBB440_2029:
	s_trap 2
	s_sendmsg_rtn_b32 s0, sendmsg(MSG_RTN_GET_DOORBELL)
	s_mov_b32 ttmp2, m0
	s_waitcnt lgkmcnt(0)
	s_and_b32 s0, s0, 0x3ff
	s_delay_alu instid0(SALU_CYCLE_1) | instskip(NEXT) | instid1(SALU_CYCLE_1)
	s_bitset1_b32 s0, 10
	s_mov_b32 m0, s0
	s_sendmsg sendmsg(MSG_INTERRUPT)
	s_mov_b32 m0, ttmp2
.LBB440_2030:                           ; =>This Inner Loop Header: Depth=1
	s_sethalt 5
	s_branch .LBB440_2030
.LBB440_2031:
	s_cbranch_execnz .LBB440_2037
; %bb.2032:
	s_or_b32 s1, s1, exec_lo
	s_cbranch_execz .LBB440_1844
	s_branch .LBB440_1845
.LBB440_2033:
	s_or_saveexec_b32 s8, s8
                                        ; implicit-def: $sgpr9
	s_delay_alu instid0(SALU_CYCLE_1)
	s_xor_b32 exec_lo, exec_lo, s8
	s_cbranch_execz .LBB440_1809
.LBB440_2034:
	v_add_f32_e64 v5, 0x42800000, |v1|
	s_and_not1_b32 s7, s7, exec_lo
	s_mov_b32 s9, 0
	s_delay_alu instid0(VALU_DEP_1) | instskip(NEXT) | instid1(VALU_DEP_1)
	v_and_b32_e32 v5, 0xff, v5
	v_cmp_ne_u32_e32 vcc_lo, 0, v5
	s_and_b32 s12, vcc_lo, exec_lo
	s_delay_alu instid0(SALU_CYCLE_1)
	s_or_b32 s7, s7, s12
	s_or_b32 exec_lo, exec_lo, s8
	v_mov_b32_e32 v8, s9
	s_and_saveexec_b32 s8, s7
	s_cbranch_execnz .LBB440_1810
	s_branch .LBB440_1811
.LBB440_2035:
	s_or_saveexec_b32 s6, s6
                                        ; implicit-def: $sgpr7
	s_delay_alu instid0(SALU_CYCLE_1)
	s_xor_b32 exec_lo, exec_lo, s6
	s_cbranch_execz .LBB440_1916
.LBB440_2036:
	v_add_f32_e64 v4, 0x46000000, |v3|
	s_and_not1_b32 s5, s5, exec_lo
	s_mov_b32 s7, 0
	s_delay_alu instid0(VALU_DEP_1) | instskip(NEXT) | instid1(VALU_DEP_1)
	v_and_b32_e32 v4, 0xff, v4
	v_cmp_ne_u32_e32 vcc_lo, 0, v4
	s_and_b32 s8, vcc_lo, exec_lo
	s_delay_alu instid0(SALU_CYCLE_1)
	s_or_b32 s5, s5, s8
	s_or_b32 exec_lo, exec_lo, s6
	v_mov_b32_e32 v5, s7
	s_and_saveexec_b32 s6, s5
	s_cbranch_execnz .LBB440_1917
	s_branch .LBB440_1918
.LBB440_2037:
	s_trap 2
	s_sendmsg_rtn_b32 s0, sendmsg(MSG_RTN_GET_DOORBELL)
	s_mov_b32 ttmp2, m0
	s_waitcnt lgkmcnt(0)
	s_and_b32 s0, s0, 0x3ff
	s_delay_alu instid0(SALU_CYCLE_1) | instskip(NEXT) | instid1(SALU_CYCLE_1)
	s_bitset1_b32 s0, 10
	s_mov_b32 m0, s0
	s_sendmsg sendmsg(MSG_INTERRUPT)
	s_mov_b32 m0, ttmp2
.LBB440_2038:                           ; =>This Inner Loop Header: Depth=1
	s_sethalt 5
	s_branch .LBB440_2038
.LBB440_2039:
	s_cbranch_execnz .LBB440_2043
; %bb.2040:
	s_mov_b32 s2, 0
	s_or_b32 s1, s1, exec_lo
	s_branch .LBB440_1962
.LBB440_2041:
	s_or_saveexec_b32 s5, s5
                                        ; implicit-def: $sgpr6
	s_delay_alu instid0(SALU_CYCLE_1)
	s_xor_b32 exec_lo, exec_lo, s5
	s_cbranch_execz .LBB440_1928
.LBB440_2042:
	v_add_f32_e64 v4, 0x42800000, |v3|
	s_and_not1_b32 s4, s4, exec_lo
	s_mov_b32 s6, 0
	s_delay_alu instid0(VALU_DEP_1) | instskip(NEXT) | instid1(VALU_DEP_1)
	v_and_b32_e32 v4, 0xff, v4
	v_cmp_ne_u32_e32 vcc_lo, 0, v4
	s_and_b32 s7, vcc_lo, exec_lo
	s_delay_alu instid0(SALU_CYCLE_1)
	s_or_b32 s4, s4, s7
	s_or_b32 exec_lo, exec_lo, s5
	v_mov_b32_e32 v5, s6
	s_and_saveexec_b32 s5, s4
	s_cbranch_execnz .LBB440_1929
	s_branch .LBB440_1930
.LBB440_2043:
	s_trap 2
	s_sendmsg_rtn_b32 s0, sendmsg(MSG_RTN_GET_DOORBELL)
	s_mov_b32 ttmp2, m0
	s_waitcnt lgkmcnt(0)
	s_and_b32 s0, s0, 0x3ff
	s_delay_alu instid0(SALU_CYCLE_1) | instskip(NEXT) | instid1(SALU_CYCLE_1)
	s_bitset1_b32 s0, 10
	s_mov_b32 m0, s0
	s_sendmsg sendmsg(MSG_INTERRUPT)
	s_mov_b32 m0, ttmp2
.LBB440_2044:                           ; =>This Inner Loop Header: Depth=1
	s_sethalt 5
	s_branch .LBB440_2044
	.section	.rodata,"a",@progbits
	.p2align	6, 0x0
	.amdhsa_kernel _ZN2at6native32elementwise_kernel_manual_unrollILi128ELi4EZNS0_15gpu_kernel_implIZZZNS0_21clamp_max_kernel_cudaERNS_18TensorIteratorBaseERKN3c106ScalarEENKUlvE_clEvENKUlvE1_clEvEUliE_EEvS4_RKT_EUlibE_EEviT1_
		.amdhsa_group_segment_fixed_size 0
		.amdhsa_private_segment_fixed_size 0
		.amdhsa_kernarg_size 40
		.amdhsa_user_sgpr_count 15
		.amdhsa_user_sgpr_dispatch_ptr 0
		.amdhsa_user_sgpr_queue_ptr 0
		.amdhsa_user_sgpr_kernarg_segment_ptr 1
		.amdhsa_user_sgpr_dispatch_id 0
		.amdhsa_user_sgpr_private_segment_size 0
		.amdhsa_wavefront_size32 1
		.amdhsa_uses_dynamic_stack 0
		.amdhsa_enable_private_segment 0
		.amdhsa_system_sgpr_workgroup_id_x 1
		.amdhsa_system_sgpr_workgroup_id_y 0
		.amdhsa_system_sgpr_workgroup_id_z 0
		.amdhsa_system_sgpr_workgroup_info 0
		.amdhsa_system_vgpr_workitem_id 0
		.amdhsa_next_free_vgpr 14
		.amdhsa_next_free_sgpr 26
		.amdhsa_reserve_vcc 1
		.amdhsa_float_round_mode_32 0
		.amdhsa_float_round_mode_16_64 0
		.amdhsa_float_denorm_mode_32 3
		.amdhsa_float_denorm_mode_16_64 3
		.amdhsa_dx10_clamp 1
		.amdhsa_ieee_mode 1
		.amdhsa_fp16_overflow 0
		.amdhsa_workgroup_processor_mode 1
		.amdhsa_memory_ordered 1
		.amdhsa_forward_progress 0
		.amdhsa_shared_vgpr_count 0
		.amdhsa_exception_fp_ieee_invalid_op 0
		.amdhsa_exception_fp_denorm_src 0
		.amdhsa_exception_fp_ieee_div_zero 0
		.amdhsa_exception_fp_ieee_overflow 0
		.amdhsa_exception_fp_ieee_underflow 0
		.amdhsa_exception_fp_ieee_inexact 0
		.amdhsa_exception_int_div_zero 0
	.end_amdhsa_kernel
	.section	.text._ZN2at6native32elementwise_kernel_manual_unrollILi128ELi4EZNS0_15gpu_kernel_implIZZZNS0_21clamp_max_kernel_cudaERNS_18TensorIteratorBaseERKN3c106ScalarEENKUlvE_clEvENKUlvE1_clEvEUliE_EEvS4_RKT_EUlibE_EEviT1_,"axG",@progbits,_ZN2at6native32elementwise_kernel_manual_unrollILi128ELi4EZNS0_15gpu_kernel_implIZZZNS0_21clamp_max_kernel_cudaERNS_18TensorIteratorBaseERKN3c106ScalarEENKUlvE_clEvENKUlvE1_clEvEUliE_EEvS4_RKT_EUlibE_EEviT1_,comdat
.Lfunc_end440:
	.size	_ZN2at6native32elementwise_kernel_manual_unrollILi128ELi4EZNS0_15gpu_kernel_implIZZZNS0_21clamp_max_kernel_cudaERNS_18TensorIteratorBaseERKN3c106ScalarEENKUlvE_clEvENKUlvE1_clEvEUliE_EEvS4_RKT_EUlibE_EEviT1_, .Lfunc_end440-_ZN2at6native32elementwise_kernel_manual_unrollILi128ELi4EZNS0_15gpu_kernel_implIZZZNS0_21clamp_max_kernel_cudaERNS_18TensorIteratorBaseERKN3c106ScalarEENKUlvE_clEvENKUlvE1_clEvEUliE_EEvS4_RKT_EUlibE_EEviT1_
                                        ; -- End function
	.section	.AMDGPU.csdata,"",@progbits
; Kernel info:
; codeLenInByte = 32660
; NumSgprs: 28
; NumVgprs: 14
; ScratchSize: 0
; MemoryBound: 1
; FloatMode: 240
; IeeeMode: 1
; LDSByteSize: 0 bytes/workgroup (compile time only)
; SGPRBlocks: 3
; VGPRBlocks: 1
; NumSGPRsForWavesPerEU: 28
; NumVGPRsForWavesPerEU: 14
; Occupancy: 16
; WaveLimiterHint : 0
; COMPUTE_PGM_RSRC2:SCRATCH_EN: 0
; COMPUTE_PGM_RSRC2:USER_SGPR: 15
; COMPUTE_PGM_RSRC2:TRAP_HANDLER: 0
; COMPUTE_PGM_RSRC2:TGID_X_EN: 1
; COMPUTE_PGM_RSRC2:TGID_Y_EN: 0
; COMPUTE_PGM_RSRC2:TGID_Z_EN: 0
; COMPUTE_PGM_RSRC2:TIDIG_COMP_CNT: 0
	.section	.text._ZN2at6native32elementwise_kernel_manual_unrollILi128ELi4EZNS0_15gpu_kernel_implIZZZNS0_21clamp_max_kernel_cudaERNS_18TensorIteratorBaseERKN3c106ScalarEENKUlvE_clEvENKUlvE1_clEvEUliE_EEvS4_RKT_EUlibE0_EEviT1_,"axG",@progbits,_ZN2at6native32elementwise_kernel_manual_unrollILi128ELi4EZNS0_15gpu_kernel_implIZZZNS0_21clamp_max_kernel_cudaERNS_18TensorIteratorBaseERKN3c106ScalarEENKUlvE_clEvENKUlvE1_clEvEUliE_EEvS4_RKT_EUlibE0_EEviT1_,comdat
	.globl	_ZN2at6native32elementwise_kernel_manual_unrollILi128ELi4EZNS0_15gpu_kernel_implIZZZNS0_21clamp_max_kernel_cudaERNS_18TensorIteratorBaseERKN3c106ScalarEENKUlvE_clEvENKUlvE1_clEvEUliE_EEvS4_RKT_EUlibE0_EEviT1_ ; -- Begin function _ZN2at6native32elementwise_kernel_manual_unrollILi128ELi4EZNS0_15gpu_kernel_implIZZZNS0_21clamp_max_kernel_cudaERNS_18TensorIteratorBaseERKN3c106ScalarEENKUlvE_clEvENKUlvE1_clEvEUliE_EEvS4_RKT_EUlibE0_EEviT1_
	.p2align	8
	.type	_ZN2at6native32elementwise_kernel_manual_unrollILi128ELi4EZNS0_15gpu_kernel_implIZZZNS0_21clamp_max_kernel_cudaERNS_18TensorIteratorBaseERKN3c106ScalarEENKUlvE_clEvENKUlvE1_clEvEUliE_EEvS4_RKT_EUlibE0_EEviT1_,@function
_ZN2at6native32elementwise_kernel_manual_unrollILi128ELi4EZNS0_15gpu_kernel_implIZZZNS0_21clamp_max_kernel_cudaERNS_18TensorIteratorBaseERKN3c106ScalarEENKUlvE_clEvENKUlvE1_clEvEUliE_EEvS4_RKT_EUlibE0_EEviT1_: ; @_ZN2at6native32elementwise_kernel_manual_unrollILi128ELi4EZNS0_15gpu_kernel_implIZZZNS0_21clamp_max_kernel_cudaERNS_18TensorIteratorBaseERKN3c106ScalarEENKUlvE_clEvENKUlvE1_clEvEUliE_EEvS4_RKT_EUlibE0_EEviT1_
; %bb.0:
	s_clause 0x1
	s_load_b32 s26, s[0:1], 0x8
	s_load_b32 s33, s[0:1], 0x0
	v_lshl_or_b32 v8, s15, 9, v0
	s_or_b32 s16, s0, 8
	s_mov_b32 s3, -1
	s_mov_b32 s28, 0
	s_mov_b32 s17, s1
	v_or_b32_e32 v9, 0x180, v8
	s_mov_b32 s8, 0
	s_mov_b32 s2, exec_lo
	s_waitcnt lgkmcnt(0)
	s_add_i32 s27, s26, -1
	s_delay_alu instid0(SALU_CYCLE_1)
	s_cmp_gt_u32 s27, 1
	s_cselect_b32 s29, -1, 0
	v_cmpx_le_i32_e64 s33, v9
	s_xor_b32 s30, exec_lo, s2
	s_cbranch_execz .LBB441_1060
; %bb.1:
	s_clause 0x4
	s_load_b64 s[18:19], s[16:17], 0x158
	s_load_b128 s[12:15], s[16:17], 0x4
	s_load_b64 s[20:21], s[16:17], 0x14
	s_load_b128 s[8:11], s[16:17], 0xc4
	s_load_b128 s[4:7], s[16:17], 0x148
	s_cmp_lg_u32 s26, 0
	s_mov_b32 s39, 0
	s_cselect_b32 s35, -1, 0
	s_add_u32 s22, s16, 0xc4
	s_addc_u32 s23, s17, 0
	s_min_u32 s34, s27, 15
	s_cmp_gt_u32 s26, 1
	s_mov_b32 s37, 0
	s_cselect_b32 s31, -1, 0
	s_mov_b32 s36, 0
	s_mov_b32 s38, exec_lo
	s_waitcnt lgkmcnt(0)
	v_lshrrev_b16 v5, 8, s19
	v_cmpx_gt_i32_e64 s33, v8
	s_cbranch_execz .LBB441_259
; %bb.2:
	s_and_not1_b32 vcc_lo, exec_lo, s29
	s_cbranch_vccnz .LBB441_7
; %bb.3:
	v_dual_mov_b32 v0, 0 :: v_dual_mov_b32 v1, 0
	s_and_not1_b32 vcc_lo, exec_lo, s35
	s_cbranch_vccnz .LBB441_12
; %bb.4:
	v_mov_b32_e32 v0, 0
	s_add_i32 s40, s34, 1
	s_cmp_eq_u32 s27, 2
	s_cbranch_scc1 .LBB441_8
; %bb.5:
	v_dual_mov_b32 v1, 0 :: v_dual_mov_b32 v0, 0
	v_mov_b32_e32 v2, v8
	s_and_b32 s37, s40, 28
	s_mov_b32 s41, 0
	s_mov_b64 s[2:3], s[22:23]
	s_mov_b64 s[24:25], s[16:17]
.LBB441_6:                              ; =>This Inner Loop Header: Depth=1
	s_clause 0x1
	s_load_b256 s[44:51], s[24:25], 0x4
	s_load_b128 s[60:63], s[24:25], 0x24
	s_load_b256 s[52:59], s[2:3], 0x0
	s_add_u32 s24, s24, 48
	s_addc_u32 s25, s25, 0
	s_add_i32 s41, s41, 4
	s_add_u32 s2, s2, 32
	s_addc_u32 s3, s3, 0
	s_cmp_lg_u32 s37, s41
	s_waitcnt lgkmcnt(0)
	v_mul_hi_u32 v3, s45, v2
	s_delay_alu instid0(VALU_DEP_1) | instskip(NEXT) | instid1(VALU_DEP_1)
	v_add_nc_u32_e32 v3, v2, v3
	v_lshrrev_b32_e32 v3, s46, v3
	s_delay_alu instid0(VALU_DEP_1) | instskip(SKIP_1) | instid1(VALU_DEP_2)
	v_mul_hi_u32 v4, s48, v3
	v_mul_lo_u32 v7, v3, s44
	v_add_nc_u32_e32 v4, v3, v4
	s_delay_alu instid0(VALU_DEP_2) | instskip(NEXT) | instid1(VALU_DEP_2)
	v_sub_nc_u32_e32 v2, v2, v7
	v_lshrrev_b32_e32 v4, s49, v4
	s_delay_alu instid0(VALU_DEP_2) | instskip(SKIP_1) | instid1(VALU_DEP_3)
	v_mul_lo_u32 v7, v2, s52
	v_mul_lo_u32 v10, v2, s53
	v_mul_hi_u32 v6, s51, v4
	s_delay_alu instid0(VALU_DEP_1) | instskip(NEXT) | instid1(VALU_DEP_1)
	v_add_nc_u32_e32 v6, v4, v6
	v_lshrrev_b32_e32 v6, s60, v6
	s_delay_alu instid0(VALU_DEP_1) | instskip(SKIP_1) | instid1(VALU_DEP_2)
	v_mul_hi_u32 v9, s62, v6
	v_mul_lo_u32 v11, v6, s50
	v_add_nc_u32_e32 v2, v6, v9
	v_mul_lo_u32 v9, v4, s47
	s_delay_alu instid0(VALU_DEP_3) | instskip(NEXT) | instid1(VALU_DEP_3)
	v_sub_nc_u32_e32 v4, v4, v11
	v_lshrrev_b32_e32 v2, s63, v2
	s_delay_alu instid0(VALU_DEP_2) | instskip(SKIP_2) | instid1(VALU_DEP_4)
	v_mul_lo_u32 v11, v4, s56
	v_mul_lo_u32 v4, v4, s57
	v_sub_nc_u32_e32 v3, v3, v9
	v_mul_lo_u32 v12, v2, s61
	s_delay_alu instid0(VALU_DEP_2) | instskip(SKIP_1) | instid1(VALU_DEP_3)
	v_mul_lo_u32 v9, v3, s54
	v_mul_lo_u32 v3, v3, s55
	v_sub_nc_u32_e32 v6, v6, v12
	s_delay_alu instid0(VALU_DEP_3) | instskip(NEXT) | instid1(VALU_DEP_2)
	v_add3_u32 v0, v7, v0, v9
	v_mul_lo_u32 v12, v6, s58
	v_mul_lo_u32 v6, v6, s59
	v_add3_u32 v1, v10, v1, v3
	s_delay_alu instid0(VALU_DEP_3) | instskip(NEXT) | instid1(VALU_DEP_2)
	v_add3_u32 v0, v11, v0, v12
	v_add3_u32 v1, v4, v1, v6
	s_cbranch_scc1 .LBB441_6
	s_branch .LBB441_9
.LBB441_7:
	s_mov_b32 s36, -1
                                        ; implicit-def: $vgpr0
                                        ; implicit-def: $vgpr1
	s_branch .LBB441_12
.LBB441_8:
	v_dual_mov_b32 v2, v8 :: v_dual_mov_b32 v1, 0
.LBB441_9:
	s_and_b32 s40, s40, 3
	s_delay_alu instid0(SALU_CYCLE_1)
	s_cmp_eq_u32 s40, 0
	s_cbranch_scc1 .LBB441_12
; %bb.10:
	s_lshl_b32 s2, s37, 3
	s_mul_i32 s24, s37, 12
	s_add_u32 s2, s2, s16
	s_addc_u32 s3, s17, 0
	s_add_u32 s2, s2, 0xc4
	s_addc_u32 s3, s3, 0
	;; [unrolled: 2-line block ×3, first 2 shown]
	.p2align	6
.LBB441_11:                             ; =>This Inner Loop Header: Depth=1
	s_clause 0x1
	s_load_b64 s[42:43], s[24:25], 0x4
	s_load_b32 s37, s[24:25], 0xc
	s_load_b64 s[44:45], s[2:3], 0x0
	s_add_u32 s24, s24, 12
	s_addc_u32 s25, s25, 0
	s_add_u32 s2, s2, 8
	s_addc_u32 s3, s3, 0
	s_add_i32 s40, s40, -1
	s_delay_alu instid0(SALU_CYCLE_1) | instskip(SKIP_2) | instid1(VALU_DEP_1)
	s_cmp_lg_u32 s40, 0
	s_waitcnt lgkmcnt(0)
	v_mul_hi_u32 v3, s43, v2
	v_add_nc_u32_e32 v3, v2, v3
	s_delay_alu instid0(VALU_DEP_1) | instskip(NEXT) | instid1(VALU_DEP_1)
	v_lshrrev_b32_e32 v9, s37, v3
	v_mul_lo_u32 v3, v9, s42
	s_delay_alu instid0(VALU_DEP_1) | instskip(NEXT) | instid1(VALU_DEP_1)
	v_sub_nc_u32_e32 v2, v2, v3
	v_mad_u64_u32 v[3:4], null, v2, s44, v[0:1]
	v_mad_u64_u32 v[6:7], null, v2, s45, v[1:2]
	v_mov_b32_e32 v2, v9
	s_delay_alu instid0(VALU_DEP_2)
	v_dual_mov_b32 v0, v3 :: v_dual_mov_b32 v1, v6
	s_cbranch_scc1 .LBB441_11
.LBB441_12:
	s_and_not1_b32 vcc_lo, exec_lo, s36
	s_cbranch_vccnz .LBB441_15
; %bb.13:
	v_mul_hi_u32 v0, s13, v8
	s_and_not1_b32 vcc_lo, exec_lo, s31
	s_delay_alu instid0(VALU_DEP_1) | instskip(NEXT) | instid1(VALU_DEP_1)
	v_add_nc_u32_e32 v0, v8, v0
	v_lshrrev_b32_e32 v2, s14, v0
	s_delay_alu instid0(VALU_DEP_1) | instskip(NEXT) | instid1(VALU_DEP_1)
	v_mul_lo_u32 v0, v2, s12
	v_sub_nc_u32_e32 v1, v8, v0
	s_delay_alu instid0(VALU_DEP_1)
	v_mul_lo_u32 v0, v1, s8
	v_mul_lo_u32 v1, v1, s9
	s_cbranch_vccnz .LBB441_15
; %bb.14:
	v_mul_hi_u32 v3, s20, v2
	s_delay_alu instid0(VALU_DEP_1) | instskip(NEXT) | instid1(VALU_DEP_1)
	v_add_nc_u32_e32 v3, v2, v3
	v_lshrrev_b32_e32 v3, s21, v3
	s_delay_alu instid0(VALU_DEP_1) | instskip(NEXT) | instid1(VALU_DEP_1)
	v_mul_lo_u32 v3, v3, s15
	v_sub_nc_u32_e32 v6, v2, v3
	s_delay_alu instid0(VALU_DEP_1) | instskip(NEXT) | instid1(VALU_DEP_1)
	v_mad_u64_u32 v[2:3], null, v6, s10, v[0:1]
	v_mad_u64_u32 v[3:4], null, v6, s11, v[1:2]
	s_delay_alu instid0(VALU_DEP_1)
	v_dual_mov_b32 v0, v2 :: v_dual_mov_b32 v1, v3
.LBB441_15:
	v_cmp_gt_i16_e32 vcc_lo, 11, v5
	s_delay_alu instid0(VALU_DEP_2) | instskip(NEXT) | instid1(VALU_DEP_1)
	v_add_co_u32 v1, s2, s6, v1
	v_add_co_ci_u32_e64 v2, null, s7, 0, s2
	s_mov_b32 s3, 0
	s_cbranch_vccnz .LBB441_22
; %bb.16:
	v_cmp_lt_i16_e32 vcc_lo, 25, v5
	s_cbranch_vccz .LBB441_141
; %bb.17:
	v_cmp_lt_i16_e32 vcc_lo, 28, v5
	s_cbranch_vccz .LBB441_142
; %bb.18:
	v_cmp_lt_i16_e32 vcc_lo, 43, v5
	s_cbranch_vccz .LBB441_143
; %bb.19:
	v_cmp_lt_i16_e32 vcc_lo, 45, v5
	s_cbranch_vccz .LBB441_144
; %bb.20:
	v_cmp_eq_u16_e32 vcc_lo, 46, v5
	s_mov_b32 s24, 0
	s_cbranch_vccz .LBB441_145
; %bb.21:
	global_load_b32 v3, v[1:2], off
	s_mov_b32 s2, -1
	s_waitcnt vmcnt(0)
	v_lshlrev_b32_e32 v3, 16, v3
	s_delay_alu instid0(VALU_DEP_1)
	v_cvt_i32_f32_e32 v3, v3
	s_branch .LBB441_147
.LBB441_22:
	s_mov_b32 s2, 0
                                        ; implicit-def: $vgpr3
	s_cbranch_execnz .LBB441_209
.LBB441_23:
	s_and_not1_b32 vcc_lo, exec_lo, s2
	s_cbranch_vccnz .LBB441_256
.LBB441_24:
	v_and_b32_e64 v6, 0xff, s19
	s_waitcnt vmcnt(0)
	s_delay_alu instid0(VALU_DEP_2) | instskip(SKIP_1) | instid1(VALU_DEP_1)
	v_min_i32_e32 v1, s18, v3
	v_add_co_u32 v3, s24, s4, v0
	v_add_co_ci_u32_e64 v4, null, s5, 0, s24
	v_cmp_gt_i16_e32 vcc_lo, 11, v6
	s_mov_b32 s2, 0
	s_mov_b32 s25, -1
	s_mov_b32 s24, 0
	s_cbranch_vccnz .LBB441_101
; %bb.25:
	v_cmp_lt_i16_e32 vcc_lo, 25, v6
	s_cbranch_vccz .LBB441_58
; %bb.26:
	v_cmp_lt_i16_e32 vcc_lo, 28, v6
	s_cbranch_vccz .LBB441_41
	;; [unrolled: 3-line block ×4, first 2 shown]
; %bb.29:
	v_cmp_eq_u16_e32 vcc_lo, 46, v6
	s_mov_b32 s25, 0
	s_mov_b32 s2, -1
	s_cbranch_vccz .LBB441_31
; %bb.30:
	v_cvt_f32_i32_e32 v0, v1
	s_mov_b32 s24, -1
	s_mov_b32 s2, 0
	s_delay_alu instid0(VALU_DEP_1) | instskip(NEXT) | instid1(VALU_DEP_1)
	v_bfe_u32 v2, v0, 16, 1
	v_add3_u32 v0, v0, v2, 0x7fff
	s_delay_alu instid0(VALU_DEP_1)
	v_lshrrev_b32_e32 v0, 16, v0
	global_store_b32 v[3:4], v0, off
.LBB441_31:
	s_and_b32 vcc_lo, exec_lo, s25
	s_cbranch_vccz .LBB441_36
; %bb.32:
	v_cmp_eq_u16_e32 vcc_lo, 44, v6
	s_mov_b32 s2, -1
	s_cbranch_vccz .LBB441_36
; %bb.33:
	v_cvt_f32_i32_e32 v0, v1
	v_mov_b32_e32 v2, 0xff
	s_mov_b32 s24, exec_lo
	s_delay_alu instid0(VALU_DEP_2) | instskip(NEXT) | instid1(VALU_DEP_1)
	v_bfe_u32 v7, v0, 23, 8
	v_cmpx_ne_u32_e32 0xff, v7
; %bb.34:
	v_and_b32_e32 v2, 0x400000, v0
	v_and_or_b32 v7, 0x3fffff, v0, v7
	v_lshrrev_b32_e32 v0, 23, v0
	s_delay_alu instid0(VALU_DEP_3) | instskip(NEXT) | instid1(VALU_DEP_3)
	v_cmp_ne_u32_e32 vcc_lo, 0, v2
	v_cmp_ne_u32_e64 s2, 0, v7
	s_delay_alu instid0(VALU_DEP_1) | instskip(NEXT) | instid1(SALU_CYCLE_1)
	s_and_b32 s2, vcc_lo, s2
	v_cndmask_b32_e64 v2, 0, 1, s2
	s_delay_alu instid0(VALU_DEP_1)
	v_add_nc_u32_e32 v2, v0, v2
; %bb.35:
	s_or_b32 exec_lo, exec_lo, s24
	s_mov_b32 s24, -1
	s_mov_b32 s2, 0
	global_store_b8 v[3:4], v2, off
.LBB441_36:
	s_mov_b32 s25, 0
.LBB441_37:
	s_delay_alu instid0(SALU_CYCLE_1)
	s_and_b32 vcc_lo, exec_lo, s25
	s_cbranch_vccz .LBB441_40
; %bb.38:
	v_cmp_eq_u16_e32 vcc_lo, 29, v6
	s_mov_b32 s2, -1
	s_cbranch_vccz .LBB441_40
; %bb.39:
	v_ashrrev_i32_e32 v2, 31, v1
	s_mov_b32 s24, -1
	s_mov_b32 s2, 0
	global_store_b64 v[3:4], v[1:2], off
.LBB441_40:
	s_mov_b32 s25, 0
.LBB441_41:
	s_delay_alu instid0(SALU_CYCLE_1)
	s_and_b32 vcc_lo, exec_lo, s25
	s_cbranch_vccz .LBB441_57
; %bb.42:
	v_cmp_gt_i16_e32 vcc_lo, 27, v6
	s_mov_b32 s24, -1
	s_cbranch_vccnz .LBB441_48
; %bb.43:
	v_cmp_lt_i16_e32 vcc_lo, 27, v6
	s_cbranch_vccz .LBB441_45
; %bb.44:
	s_mov_b32 s24, 0
	global_store_b32 v[3:4], v1, off
.LBB441_45:
	s_and_not1_b32 vcc_lo, exec_lo, s24
	s_cbranch_vccnz .LBB441_47
; %bb.46:
	global_store_b16 v[3:4], v1, off
.LBB441_47:
	s_mov_b32 s24, 0
.LBB441_48:
	s_delay_alu instid0(SALU_CYCLE_1)
	s_and_not1_b32 vcc_lo, exec_lo, s24
	s_cbranch_vccnz .LBB441_56
; %bb.49:
	v_cvt_f32_i32_e32 v0, v1
	v_mov_b32_e32 v7, 0x80
	s_mov_b32 s24, exec_lo
	s_delay_alu instid0(VALU_DEP_2) | instskip(NEXT) | instid1(VALU_DEP_1)
	v_and_b32_e32 v2, 0x7fffffff, v0
	v_cmpx_gt_u32_e32 0x43800000, v2
	s_cbranch_execz .LBB441_55
; %bb.50:
	v_cmp_lt_u32_e32 vcc_lo, 0x3bffffff, v2
	s_mov_b32 s25, 0
                                        ; implicit-def: $vgpr2
	s_and_saveexec_b32 s36, vcc_lo
	s_delay_alu instid0(SALU_CYCLE_1)
	s_xor_b32 s36, exec_lo, s36
	s_cbranch_execz .LBB441_150
; %bb.51:
	v_bfe_u32 v2, v0, 20, 1
	s_mov_b32 s25, exec_lo
	s_delay_alu instid0(VALU_DEP_1) | instskip(NEXT) | instid1(VALU_DEP_1)
	v_add3_u32 v2, v0, v2, 0x487ffff
	v_lshrrev_b32_e32 v2, 20, v2
	s_or_saveexec_b32 s36, s36
                                        ; implicit-def: $sgpr37
	s_delay_alu instid0(SALU_CYCLE_1)
	s_xor_b32 exec_lo, exec_lo, s36
	s_cbranch_execnz .LBB441_151
.LBB441_52:
	s_or_b32 exec_lo, exec_lo, s36
	v_mov_b32_e32 v7, s37
	s_and_saveexec_b32 s36, s25
.LBB441_53:
	v_lshrrev_b32_e32 v0, 24, v0
	s_delay_alu instid0(VALU_DEP_1)
	v_and_or_b32 v7, 0x80, v0, v2
.LBB441_54:
	s_or_b32 exec_lo, exec_lo, s36
.LBB441_55:
	s_delay_alu instid0(SALU_CYCLE_1)
	s_or_b32 exec_lo, exec_lo, s24
	global_store_b8 v[3:4], v7, off
.LBB441_56:
	s_mov_b32 s24, -1
.LBB441_57:
	s_mov_b32 s25, 0
.LBB441_58:
	s_delay_alu instid0(SALU_CYCLE_1)
	s_and_b32 vcc_lo, exec_lo, s25
	s_cbranch_vccz .LBB441_99
; %bb.59:
	v_cmp_lt_i16_e32 vcc_lo, 22, v6
	s_mov_b32 s25, -1
	s_cbranch_vccz .LBB441_91
; %bb.60:
	v_cmp_gt_i16_e32 vcc_lo, 24, v6
	s_mov_b32 s24, -1
	s_cbranch_vccnz .LBB441_80
; %bb.61:
	v_cmp_lt_i16_e32 vcc_lo, 24, v6
	s_cbranch_vccz .LBB441_69
; %bb.62:
	v_cvt_f32_i32_e32 v0, v1
	v_mov_b32_e32 v7, 0x80
	s_mov_b32 s24, exec_lo
	s_delay_alu instid0(VALU_DEP_2) | instskip(NEXT) | instid1(VALU_DEP_1)
	v_and_b32_e32 v2, 0x7fffffff, v0
	v_cmpx_gt_u32_e32 0x47800000, v2
	s_cbranch_execz .LBB441_68
; %bb.63:
	v_cmp_lt_u32_e32 vcc_lo, 0x37ffffff, v2
	s_mov_b32 s25, 0
                                        ; implicit-def: $vgpr2
	s_and_saveexec_b32 s36, vcc_lo
	s_delay_alu instid0(SALU_CYCLE_1)
	s_xor_b32 s36, exec_lo, s36
	s_cbranch_execz .LBB441_337
; %bb.64:
	v_bfe_u32 v2, v0, 21, 1
	s_mov_b32 s25, exec_lo
	s_delay_alu instid0(VALU_DEP_1) | instskip(NEXT) | instid1(VALU_DEP_1)
	v_add3_u32 v2, v0, v2, 0x88fffff
	v_lshrrev_b32_e32 v2, 21, v2
	s_or_saveexec_b32 s36, s36
                                        ; implicit-def: $sgpr37
	s_delay_alu instid0(SALU_CYCLE_1)
	s_xor_b32 exec_lo, exec_lo, s36
	s_cbranch_execnz .LBB441_338
.LBB441_65:
	s_or_b32 exec_lo, exec_lo, s36
	v_mov_b32_e32 v7, s37
	s_and_saveexec_b32 s36, s25
.LBB441_66:
	v_lshrrev_b32_e32 v0, 24, v0
	s_delay_alu instid0(VALU_DEP_1)
	v_and_or_b32 v7, 0x80, v0, v2
.LBB441_67:
	s_or_b32 exec_lo, exec_lo, s36
.LBB441_68:
	s_delay_alu instid0(SALU_CYCLE_1)
	s_or_b32 exec_lo, exec_lo, s24
	s_mov_b32 s24, 0
	global_store_b8 v[3:4], v7, off
.LBB441_69:
	s_and_b32 vcc_lo, exec_lo, s24
	s_cbranch_vccz .LBB441_79
; %bb.70:
	v_cvt_f32_i32_e32 v0, v1
	s_mov_b32 s24, exec_lo
                                        ; implicit-def: $vgpr2
	s_delay_alu instid0(VALU_DEP_1) | instskip(NEXT) | instid1(VALU_DEP_1)
	v_and_b32_e32 v7, 0x7fffffff, v0
	v_cmpx_gt_u32_e32 0x43f00000, v7
	s_xor_b32 s24, exec_lo, s24
	s_cbranch_execz .LBB441_76
; %bb.71:
	s_mov_b32 s25, exec_lo
                                        ; implicit-def: $vgpr2
	v_cmpx_lt_u32_e32 0x3c7fffff, v7
	s_xor_b32 s25, exec_lo, s25
; %bb.72:
	v_bfe_u32 v2, v0, 20, 1
	s_delay_alu instid0(VALU_DEP_1) | instskip(NEXT) | instid1(VALU_DEP_1)
	v_add3_u32 v2, v0, v2, 0x407ffff
	v_and_b32_e32 v7, 0xff00000, v2
	v_lshrrev_b32_e32 v2, 20, v2
	s_delay_alu instid0(VALU_DEP_2) | instskip(NEXT) | instid1(VALU_DEP_2)
	v_cmp_ne_u32_e32 vcc_lo, 0x7f00000, v7
	v_cndmask_b32_e32 v2, 0x7e, v2, vcc_lo
; %bb.73:
	s_and_not1_saveexec_b32 s25, s25
; %bb.74:
	v_add_f32_e64 v2, 0x46800000, |v0|
; %bb.75:
	s_or_b32 exec_lo, exec_lo, s25
                                        ; implicit-def: $vgpr7
.LBB441_76:
	s_and_not1_saveexec_b32 s24, s24
; %bb.77:
	v_mov_b32_e32 v2, 0x7f
	v_cmp_lt_u32_e32 vcc_lo, 0x7f800000, v7
	s_delay_alu instid0(VALU_DEP_2)
	v_cndmask_b32_e32 v2, 0x7e, v2, vcc_lo
; %bb.78:
	s_or_b32 exec_lo, exec_lo, s24
	v_lshrrev_b32_e32 v0, 24, v0
	s_delay_alu instid0(VALU_DEP_1)
	v_and_or_b32 v0, 0x80, v0, v2
	global_store_b8 v[3:4], v0, off
.LBB441_79:
	s_mov_b32 s24, 0
.LBB441_80:
	s_delay_alu instid0(SALU_CYCLE_1)
	s_and_not1_b32 vcc_lo, exec_lo, s24
	s_cbranch_vccnz .LBB441_90
; %bb.81:
	v_cvt_f32_i32_e32 v0, v1
	s_mov_b32 s24, exec_lo
                                        ; implicit-def: $vgpr2
	s_delay_alu instid0(VALU_DEP_1) | instskip(NEXT) | instid1(VALU_DEP_1)
	v_and_b32_e32 v7, 0x7fffffff, v0
	v_cmpx_gt_u32_e32 0x47800000, v7
	s_xor_b32 s24, exec_lo, s24
	s_cbranch_execz .LBB441_87
; %bb.82:
	s_mov_b32 s25, exec_lo
                                        ; implicit-def: $vgpr2
	v_cmpx_lt_u32_e32 0x387fffff, v7
	s_xor_b32 s25, exec_lo, s25
; %bb.83:
	v_bfe_u32 v2, v0, 21, 1
	s_delay_alu instid0(VALU_DEP_1) | instskip(NEXT) | instid1(VALU_DEP_1)
	v_add3_u32 v2, v0, v2, 0x80fffff
	v_lshrrev_b32_e32 v2, 21, v2
; %bb.84:
	s_and_not1_saveexec_b32 s25, s25
; %bb.85:
	v_add_f32_e64 v2, 0x43000000, |v0|
; %bb.86:
	s_or_b32 exec_lo, exec_lo, s25
                                        ; implicit-def: $vgpr7
.LBB441_87:
	s_and_not1_saveexec_b32 s24, s24
; %bb.88:
	v_mov_b32_e32 v2, 0x7f
	v_cmp_lt_u32_e32 vcc_lo, 0x7f800000, v7
	s_delay_alu instid0(VALU_DEP_2)
	v_cndmask_b32_e32 v2, 0x7c, v2, vcc_lo
; %bb.89:
	s_or_b32 exec_lo, exec_lo, s24
	v_lshrrev_b32_e32 v0, 24, v0
	s_delay_alu instid0(VALU_DEP_1)
	v_and_or_b32 v0, 0x80, v0, v2
	global_store_b8 v[3:4], v0, off
.LBB441_90:
	s_mov_b32 s25, 0
	s_mov_b32 s24, -1
.LBB441_91:
	s_and_not1_b32 vcc_lo, exec_lo, s25
	s_cbranch_vccnz .LBB441_99
; %bb.92:
	v_cmp_lt_i16_e32 vcc_lo, 14, v6
	s_mov_b32 s25, -1
	s_cbranch_vccz .LBB441_96
; %bb.93:
	v_cmp_eq_u16_e32 vcc_lo, 15, v6
	s_mov_b32 s2, -1
	s_cbranch_vccz .LBB441_95
; %bb.94:
	v_cvt_f32_i32_e32 v0, v1
	s_mov_b32 s24, -1
	s_mov_b32 s2, 0
	s_delay_alu instid0(VALU_DEP_1) | instskip(NEXT) | instid1(VALU_DEP_1)
	v_bfe_u32 v2, v0, 16, 1
	v_add3_u32 v0, v0, v2, 0x7fff
	global_store_d16_hi_b16 v[3:4], v0, off
.LBB441_95:
	s_mov_b32 s25, 0
.LBB441_96:
	s_delay_alu instid0(SALU_CYCLE_1)
	s_and_b32 vcc_lo, exec_lo, s25
	s_cbranch_vccz .LBB441_99
; %bb.97:
	v_cmp_eq_u16_e32 vcc_lo, 11, v6
	s_mov_b32 s2, -1
	s_cbranch_vccz .LBB441_99
; %bb.98:
	v_cmp_ne_u32_e32 vcc_lo, 0, v1
	s_mov_b32 s2, 0
	s_mov_b32 s24, -1
	v_cndmask_b32_e64 v0, 0, 1, vcc_lo
	global_store_b8 v[3:4], v0, off
.LBB441_99:
.LBB441_100:
	s_and_not1_b32 vcc_lo, exec_lo, s24
	s_cbranch_vccz .LBB441_140
	s_branch .LBB441_257
.LBB441_101:
	s_and_b32 vcc_lo, exec_lo, s25
	s_cbranch_vccz .LBB441_100
; %bb.102:
	v_cmp_gt_i16_e32 vcc_lo, 5, v6
	s_mov_b32 s24, -1
	s_cbranch_vccnz .LBB441_123
; %bb.103:
	v_cmp_gt_i16_e32 vcc_lo, 8, v6
	s_cbranch_vccnz .LBB441_113
; %bb.104:
	v_cmp_gt_i16_e32 vcc_lo, 9, v6
	s_cbranch_vccnz .LBB441_110
; %bb.105:
	v_cmp_lt_i16_e32 vcc_lo, 9, v6
	s_cbranch_vccz .LBB441_107
; %bb.106:
	v_cvt_f64_i32_e32 v[9:10], v1
	v_mov_b32_e32 v11, 0
	s_mov_b32 s24, 0
	s_delay_alu instid0(VALU_DEP_1)
	v_mov_b32_e32 v12, v11
	global_store_b128 v[3:4], v[9:12], off
.LBB441_107:
	s_and_not1_b32 vcc_lo, exec_lo, s24
	s_cbranch_vccnz .LBB441_109
; %bb.108:
	v_cvt_f32_i32_e32 v9, v1
	v_mov_b32_e32 v10, 0
	global_store_b64 v[3:4], v[9:10], off
.LBB441_109:
	s_mov_b32 s24, 0
.LBB441_110:
	s_delay_alu instid0(SALU_CYCLE_1)
	s_and_not1_b32 vcc_lo, exec_lo, s24
	s_cbranch_vccnz .LBB441_112
; %bb.111:
	v_cvt_f32_i32_e32 v0, v1
	s_delay_alu instid0(VALU_DEP_1) | instskip(NEXT) | instid1(VALU_DEP_1)
	v_cvt_f16_f32_e32 v0, v0
	v_and_b32_e32 v0, 0xffff, v0
	global_store_b32 v[3:4], v0, off
.LBB441_112:
	s_mov_b32 s24, 0
.LBB441_113:
	s_delay_alu instid0(SALU_CYCLE_1)
	s_and_not1_b32 vcc_lo, exec_lo, s24
	s_cbranch_vccnz .LBB441_122
; %bb.114:
	v_cmp_gt_i16_e32 vcc_lo, 6, v6
	s_mov_b32 s24, -1
	s_cbranch_vccnz .LBB441_120
; %bb.115:
	v_cmp_lt_i16_e32 vcc_lo, 6, v6
	s_cbranch_vccz .LBB441_117
; %bb.116:
	v_cvt_f64_i32_e32 v[9:10], v1
	s_mov_b32 s24, 0
	global_store_b64 v[3:4], v[9:10], off
.LBB441_117:
	s_and_not1_b32 vcc_lo, exec_lo, s24
	s_cbranch_vccnz .LBB441_119
; %bb.118:
	v_cvt_f32_i32_e32 v0, v1
	global_store_b32 v[3:4], v0, off
.LBB441_119:
	s_mov_b32 s24, 0
.LBB441_120:
	s_delay_alu instid0(SALU_CYCLE_1)
	s_and_not1_b32 vcc_lo, exec_lo, s24
	s_cbranch_vccnz .LBB441_122
; %bb.121:
	v_cvt_f32_i32_e32 v0, v1
	s_delay_alu instid0(VALU_DEP_1)
	v_cvt_f16_f32_e32 v0, v0
	global_store_b16 v[3:4], v0, off
.LBB441_122:
	s_mov_b32 s24, 0
.LBB441_123:
	s_delay_alu instid0(SALU_CYCLE_1)
	s_and_not1_b32 vcc_lo, exec_lo, s24
	s_cbranch_vccnz .LBB441_139
; %bb.124:
	v_cmp_gt_i16_e32 vcc_lo, 2, v6
	s_mov_b32 s24, -1
	s_cbranch_vccnz .LBB441_134
; %bb.125:
	v_cmp_gt_i16_e32 vcc_lo, 3, v6
	s_cbranch_vccnz .LBB441_131
; %bb.126:
	v_cmp_lt_i16_e32 vcc_lo, 3, v6
	s_cbranch_vccz .LBB441_128
; %bb.127:
	v_ashrrev_i32_e32 v2, 31, v1
	s_mov_b32 s24, 0
	global_store_b64 v[3:4], v[1:2], off
.LBB441_128:
	s_and_not1_b32 vcc_lo, exec_lo, s24
	s_cbranch_vccnz .LBB441_130
; %bb.129:
	global_store_b32 v[3:4], v1, off
.LBB441_130:
	s_mov_b32 s24, 0
.LBB441_131:
	s_delay_alu instid0(SALU_CYCLE_1)
	s_and_not1_b32 vcc_lo, exec_lo, s24
	s_cbranch_vccnz .LBB441_133
; %bb.132:
	global_store_b16 v[3:4], v1, off
.LBB441_133:
	s_mov_b32 s24, 0
.LBB441_134:
	s_delay_alu instid0(SALU_CYCLE_1)
	s_and_not1_b32 vcc_lo, exec_lo, s24
	s_cbranch_vccnz .LBB441_139
; %bb.135:
	v_cmp_lt_i16_e32 vcc_lo, 0, v6
	s_mov_b32 s24, -1
	s_cbranch_vccz .LBB441_137
; %bb.136:
	s_mov_b32 s24, 0
	global_store_b8 v[3:4], v1, off
.LBB441_137:
	s_and_not1_b32 vcc_lo, exec_lo, s24
	s_cbranch_vccnz .LBB441_139
; %bb.138:
	global_store_b8 v[3:4], v1, off
.LBB441_139:
.LBB441_140:
	v_add_nc_u32_e32 v8, 0x80, v8
	s_mov_b32 s24, -1
	s_branch .LBB441_258
.LBB441_141:
	s_mov_b32 s2, 0
                                        ; implicit-def: $vgpr3
	s_cbranch_execnz .LBB441_176
	s_branch .LBB441_208
.LBB441_142:
	s_mov_b32 s24, -1
	s_mov_b32 s2, 0
                                        ; implicit-def: $vgpr3
	s_branch .LBB441_159
.LBB441_143:
	s_mov_b32 s24, -1
	s_mov_b32 s2, 0
                                        ; implicit-def: $vgpr3
	s_branch .LBB441_154
.LBB441_144:
	s_mov_b32 s24, -1
	s_branch .LBB441_146
.LBB441_145:
	s_mov_b32 s3, -1
.LBB441_146:
	s_mov_b32 s2, 0
                                        ; implicit-def: $vgpr3
.LBB441_147:
	s_and_b32 vcc_lo, exec_lo, s24
	s_cbranch_vccz .LBB441_153
; %bb.148:
	v_cmp_eq_u16_e32 vcc_lo, 44, v5
	s_cbranch_vccz .LBB441_152
; %bb.149:
	global_load_u8 v3, v[1:2], off
	s_mov_b32 s3, 0
	s_mov_b32 s2, -1
	s_waitcnt vmcnt(0)
	v_lshlrev_b32_e32 v4, 23, v3
	v_cmp_ne_u32_e32 vcc_lo, 0, v3
	s_delay_alu instid0(VALU_DEP_2) | instskip(NEXT) | instid1(VALU_DEP_1)
	v_cvt_i32_f32_e32 v4, v4
	v_cndmask_b32_e32 v3, 0, v4, vcc_lo
	s_branch .LBB441_153
.LBB441_150:
	s_or_saveexec_b32 s36, s36
                                        ; implicit-def: $sgpr37
	s_delay_alu instid0(SALU_CYCLE_1)
	s_xor_b32 exec_lo, exec_lo, s36
	s_cbranch_execz .LBB441_52
.LBB441_151:
	v_add_f32_e64 v2, 0x46000000, |v0|
	s_and_not1_b32 s25, s25, exec_lo
	s_mov_b32 s37, 0
	s_delay_alu instid0(VALU_DEP_1) | instskip(NEXT) | instid1(VALU_DEP_1)
	v_and_b32_e32 v2, 0xff, v2
	v_cmp_ne_u32_e32 vcc_lo, 0, v2
	s_and_b32 s40, vcc_lo, exec_lo
	s_delay_alu instid0(SALU_CYCLE_1)
	s_or_b32 s25, s25, s40
	s_or_b32 exec_lo, exec_lo, s36
	v_mov_b32_e32 v7, s37
	s_and_saveexec_b32 s36, s25
	s_cbranch_execnz .LBB441_53
	s_branch .LBB441_54
.LBB441_152:
	s_mov_b32 s3, -1
                                        ; implicit-def: $vgpr3
.LBB441_153:
	s_mov_b32 s24, 0
.LBB441_154:
	s_delay_alu instid0(SALU_CYCLE_1)
	s_and_b32 vcc_lo, exec_lo, s24
	s_cbranch_vccz .LBB441_158
; %bb.155:
	v_cmp_eq_u16_e32 vcc_lo, 29, v5
	s_cbranch_vccz .LBB441_157
; %bb.156:
	global_load_b32 v3, v[1:2], off
	s_mov_b32 s2, -1
	s_mov_b32 s3, 0
	s_branch .LBB441_158
.LBB441_157:
	s_mov_b32 s3, -1
                                        ; implicit-def: $vgpr3
.LBB441_158:
	s_mov_b32 s24, 0
.LBB441_159:
	s_delay_alu instid0(SALU_CYCLE_1)
	s_and_b32 vcc_lo, exec_lo, s24
	s_cbranch_vccz .LBB441_175
; %bb.160:
	v_cmp_gt_i16_e32 vcc_lo, 27, v5
	s_cbranch_vccnz .LBB441_163
; %bb.161:
	v_cmp_lt_i16_e32 vcc_lo, 27, v5
	s_cbranch_vccz .LBB441_164
; %bb.162:
	global_load_b32 v3, v[1:2], off
	s_mov_b32 s2, 0
	s_branch .LBB441_165
.LBB441_163:
	s_mov_b32 s2, -1
                                        ; implicit-def: $vgpr3
	s_branch .LBB441_168
.LBB441_164:
	s_mov_b32 s2, -1
                                        ; implicit-def: $vgpr3
.LBB441_165:
	s_delay_alu instid0(SALU_CYCLE_1)
	s_and_not1_b32 vcc_lo, exec_lo, s2
	s_cbranch_vccnz .LBB441_167
; %bb.166:
	global_load_u16 v3, v[1:2], off
.LBB441_167:
	s_mov_b32 s2, 0
.LBB441_168:
	s_delay_alu instid0(SALU_CYCLE_1)
	s_and_not1_b32 vcc_lo, exec_lo, s2
	s_cbranch_vccnz .LBB441_174
; %bb.169:
	global_load_u8 v4, v[1:2], off
	s_mov_b32 s2, 0
	s_mov_b32 s24, exec_lo
                                        ; implicit-def: $sgpr25
	s_waitcnt vmcnt(0)
	v_cmpx_lt_i16_e32 0x7f, v4
	s_xor_b32 s24, exec_lo, s24
	s_cbranch_execz .LBB441_185
; %bb.170:
	v_cmp_ne_u16_e32 vcc_lo, 0x80, v4
	s_mov_b32 s25, 0
	s_and_b32 s2, vcc_lo, exec_lo
	s_or_saveexec_b32 s24, s24
	v_mov_b32_e32 v3, s25
	s_xor_b32 exec_lo, exec_lo, s24
	s_cbranch_execnz .LBB441_186
.LBB441_171:
	s_or_b32 exec_lo, exec_lo, s24
	s_and_saveexec_b32 s24, s2
	s_cbranch_execz .LBB441_173
.LBB441_172:
	v_and_b32_e32 v3, 0xffff, v4
	s_delay_alu instid0(VALU_DEP_1) | instskip(NEXT) | instid1(VALU_DEP_1)
	v_and_b32_e32 v6, 7, v3
	v_clz_i32_u32_e32 v7, v6
	s_delay_alu instid0(VALU_DEP_1) | instskip(NEXT) | instid1(VALU_DEP_1)
	v_min_u32_e32 v7, 32, v7
	v_subrev_nc_u32_e32 v9, 28, v7
	v_sub_nc_u32_e32 v7, 29, v7
	s_delay_alu instid0(VALU_DEP_2) | instskip(SKIP_1) | instid1(VALU_DEP_2)
	v_lshlrev_b32_e32 v9, v9, v3
	v_bfe_u32 v3, v3, 3, 4
	v_and_b32_e32 v9, 7, v9
	s_delay_alu instid0(VALU_DEP_2) | instskip(SKIP_1) | instid1(VALU_DEP_3)
	v_cmp_eq_u32_e32 vcc_lo, 0, v3
	v_dual_cndmask_b32 v3, v3, v7 :: v_dual_lshlrev_b32 v4, 24, v4
	v_cndmask_b32_e32 v6, v6, v9, vcc_lo
	s_delay_alu instid0(VALU_DEP_2) | instskip(NEXT) | instid1(VALU_DEP_3)
	v_and_b32_e32 v4, 0x80000000, v4
	v_lshl_add_u32 v3, v3, 23, 0x3b800000
	s_delay_alu instid0(VALU_DEP_3) | instskip(NEXT) | instid1(VALU_DEP_1)
	v_lshlrev_b32_e32 v6, 20, v6
	v_or3_b32 v3, v4, v3, v6
	s_delay_alu instid0(VALU_DEP_1)
	v_cvt_i32_f32_e32 v3, v3
.LBB441_173:
	s_or_b32 exec_lo, exec_lo, s24
.LBB441_174:
	s_mov_b32 s2, -1
.LBB441_175:
	s_branch .LBB441_208
.LBB441_176:
	v_cmp_lt_i16_e32 vcc_lo, 22, v5
	s_cbranch_vccz .LBB441_184
; %bb.177:
	v_cmp_gt_i16_e32 vcc_lo, 24, v5
	s_cbranch_vccnz .LBB441_187
; %bb.178:
	v_cmp_lt_i16_e32 vcc_lo, 24, v5
	s_cbranch_vccz .LBB441_188
; %bb.179:
	global_load_u8 v4, v[1:2], off
	s_mov_b32 s2, 0
	s_mov_b32 s24, exec_lo
                                        ; implicit-def: $sgpr25
	s_waitcnt vmcnt(0)
	v_cmpx_lt_i16_e32 0x7f, v4
	s_xor_b32 s24, exec_lo, s24
	s_cbranch_execz .LBB441_200
; %bb.180:
	v_cmp_ne_u16_e32 vcc_lo, 0x80, v4
	s_mov_b32 s25, 0
	s_and_b32 s2, vcc_lo, exec_lo
	s_or_saveexec_b32 s24, s24
	v_mov_b32_e32 v3, s25
	s_xor_b32 exec_lo, exec_lo, s24
	s_cbranch_execnz .LBB441_201
.LBB441_181:
	s_or_b32 exec_lo, exec_lo, s24
	s_and_saveexec_b32 s24, s2
	s_cbranch_execz .LBB441_183
.LBB441_182:
	v_and_b32_e32 v3, 0xffff, v4
	s_delay_alu instid0(VALU_DEP_1) | instskip(NEXT) | instid1(VALU_DEP_1)
	v_and_b32_e32 v6, 3, v3
	v_clz_i32_u32_e32 v7, v6
	s_delay_alu instid0(VALU_DEP_1) | instskip(NEXT) | instid1(VALU_DEP_1)
	v_min_u32_e32 v7, 32, v7
	v_subrev_nc_u32_e32 v9, 29, v7
	v_sub_nc_u32_e32 v7, 30, v7
	s_delay_alu instid0(VALU_DEP_2) | instskip(SKIP_1) | instid1(VALU_DEP_2)
	v_lshlrev_b32_e32 v9, v9, v3
	v_bfe_u32 v3, v3, 2, 5
	v_and_b32_e32 v9, 3, v9
	s_delay_alu instid0(VALU_DEP_2) | instskip(SKIP_1) | instid1(VALU_DEP_3)
	v_cmp_eq_u32_e32 vcc_lo, 0, v3
	v_dual_cndmask_b32 v3, v3, v7 :: v_dual_lshlrev_b32 v4, 24, v4
	v_cndmask_b32_e32 v6, v6, v9, vcc_lo
	s_delay_alu instid0(VALU_DEP_2) | instskip(NEXT) | instid1(VALU_DEP_3)
	v_and_b32_e32 v4, 0x80000000, v4
	v_lshl_add_u32 v3, v3, 23, 0x37800000
	s_delay_alu instid0(VALU_DEP_3) | instskip(NEXT) | instid1(VALU_DEP_1)
	v_lshlrev_b32_e32 v6, 21, v6
	v_or3_b32 v3, v4, v3, v6
	s_delay_alu instid0(VALU_DEP_1)
	v_cvt_i32_f32_e32 v3, v3
.LBB441_183:
	s_or_b32 exec_lo, exec_lo, s24
	s_mov_b32 s2, 0
	s_branch .LBB441_189
.LBB441_184:
	s_mov_b32 s24, -1
                                        ; implicit-def: $vgpr3
	s_branch .LBB441_195
.LBB441_185:
	s_or_saveexec_b32 s24, s24
	v_mov_b32_e32 v3, s25
	s_xor_b32 exec_lo, exec_lo, s24
	s_cbranch_execz .LBB441_171
.LBB441_186:
	v_cmp_ne_u16_e32 vcc_lo, 0, v4
	v_mov_b32_e32 v3, 0
	s_and_not1_b32 s2, s2, exec_lo
	s_and_b32 s25, vcc_lo, exec_lo
	s_delay_alu instid0(SALU_CYCLE_1)
	s_or_b32 s2, s2, s25
	s_or_b32 exec_lo, exec_lo, s24
	s_and_saveexec_b32 s24, s2
	s_cbranch_execnz .LBB441_172
	s_branch .LBB441_173
.LBB441_187:
	s_mov_b32 s2, -1
                                        ; implicit-def: $vgpr3
	s_branch .LBB441_192
.LBB441_188:
	s_mov_b32 s2, -1
                                        ; implicit-def: $vgpr3
.LBB441_189:
	s_delay_alu instid0(SALU_CYCLE_1)
	s_and_b32 vcc_lo, exec_lo, s2
	s_cbranch_vccz .LBB441_191
; %bb.190:
	global_load_u8 v3, v[1:2], off
	s_waitcnt vmcnt(0)
	v_lshlrev_b32_e32 v3, 24, v3
	s_delay_alu instid0(VALU_DEP_1) | instskip(NEXT) | instid1(VALU_DEP_1)
	v_and_b32_e32 v4, 0x7f000000, v3
	v_clz_i32_u32_e32 v6, v4
	v_add_nc_u32_e32 v9, 0x1000000, v4
	v_cmp_ne_u32_e32 vcc_lo, 0, v4
	s_delay_alu instid0(VALU_DEP_3) | instskip(NEXT) | instid1(VALU_DEP_1)
	v_min_u32_e32 v6, 32, v6
	v_sub_nc_u32_e64 v6, v6, 4 clamp
	s_delay_alu instid0(VALU_DEP_1) | instskip(SKIP_1) | instid1(VALU_DEP_2)
	v_lshlrev_b32_e32 v7, v6, v4
	v_lshlrev_b32_e32 v6, 23, v6
	v_lshrrev_b32_e32 v7, 4, v7
	s_delay_alu instid0(VALU_DEP_1) | instskip(SKIP_1) | instid1(VALU_DEP_2)
	v_sub_nc_u32_e32 v6, v7, v6
	v_ashrrev_i32_e32 v7, 8, v9
	v_add_nc_u32_e32 v6, 0x3c000000, v6
	s_delay_alu instid0(VALU_DEP_1) | instskip(NEXT) | instid1(VALU_DEP_1)
	v_and_or_b32 v6, 0x7f800000, v7, v6
	v_cndmask_b32_e32 v4, 0, v6, vcc_lo
	s_delay_alu instid0(VALU_DEP_1) | instskip(NEXT) | instid1(VALU_DEP_1)
	v_and_or_b32 v3, 0x80000000, v3, v4
	v_cvt_i32_f32_e32 v3, v3
.LBB441_191:
	s_mov_b32 s2, 0
.LBB441_192:
	s_delay_alu instid0(SALU_CYCLE_1)
	s_and_not1_b32 vcc_lo, exec_lo, s2
	s_cbranch_vccnz .LBB441_194
; %bb.193:
	global_load_u8 v3, v[1:2], off
	s_waitcnt vmcnt(0)
	v_lshlrev_b32_e32 v4, 25, v3
	v_lshlrev_b16 v3, 8, v3
	s_delay_alu instid0(VALU_DEP_2) | instskip(NEXT) | instid1(VALU_DEP_2)
	v_lshrrev_b32_e32 v6, 4, v4
	v_and_or_b32 v7, 0x7f00, v3, 0.5
	v_cmp_gt_u32_e32 vcc_lo, 0x8000000, v4
	v_bfe_i32 v3, v3, 0, 16
	s_delay_alu instid0(VALU_DEP_4) | instskip(NEXT) | instid1(VALU_DEP_1)
	v_or_b32_e32 v6, 0x70000000, v6
	v_dual_add_f32 v7, -0.5, v7 :: v_dual_mul_f32 v6, 0x7800000, v6
	s_delay_alu instid0(VALU_DEP_1) | instskip(NEXT) | instid1(VALU_DEP_1)
	v_cndmask_b32_e32 v4, v6, v7, vcc_lo
	v_and_or_b32 v3, 0x80000000, v3, v4
	s_delay_alu instid0(VALU_DEP_1)
	v_cvt_i32_f32_e32 v3, v3
.LBB441_194:
	s_mov_b32 s24, 0
	s_mov_b32 s2, -1
.LBB441_195:
	s_and_not1_b32 vcc_lo, exec_lo, s24
	s_cbranch_vccnz .LBB441_208
; %bb.196:
	v_cmp_lt_i16_e32 vcc_lo, 14, v5
	s_cbranch_vccz .LBB441_199
; %bb.197:
	v_cmp_eq_u16_e32 vcc_lo, 15, v5
	s_cbranch_vccz .LBB441_202
; %bb.198:
	global_load_u16 v3, v[1:2], off
	s_mov_b32 s2, -1
	s_mov_b32 s3, 0
	s_waitcnt vmcnt(0)
	v_lshlrev_b32_e32 v3, 16, v3
	s_delay_alu instid0(VALU_DEP_1)
	v_cvt_i32_f32_e32 v3, v3
	s_branch .LBB441_203
.LBB441_199:
	s_mov_b32 s24, -1
                                        ; implicit-def: $vgpr3
	s_branch .LBB441_204
.LBB441_200:
	s_or_saveexec_b32 s24, s24
	v_mov_b32_e32 v3, s25
	s_xor_b32 exec_lo, exec_lo, s24
	s_cbranch_execz .LBB441_181
.LBB441_201:
	v_cmp_ne_u16_e32 vcc_lo, 0, v4
	v_mov_b32_e32 v3, 0
	s_and_not1_b32 s2, s2, exec_lo
	s_and_b32 s25, vcc_lo, exec_lo
	s_delay_alu instid0(SALU_CYCLE_1)
	s_or_b32 s2, s2, s25
	s_or_b32 exec_lo, exec_lo, s24
	s_and_saveexec_b32 s24, s2
	s_cbranch_execnz .LBB441_182
	s_branch .LBB441_183
.LBB441_202:
	s_mov_b32 s3, -1
                                        ; implicit-def: $vgpr3
.LBB441_203:
	s_mov_b32 s24, 0
.LBB441_204:
	s_delay_alu instid0(SALU_CYCLE_1)
	s_and_b32 vcc_lo, exec_lo, s24
	s_cbranch_vccz .LBB441_208
; %bb.205:
	v_cmp_eq_u16_e32 vcc_lo, 11, v5
	s_cbranch_vccz .LBB441_207
; %bb.206:
	global_load_u8 v3, v[1:2], off
	s_mov_b32 s3, 0
	s_mov_b32 s2, -1
	s_waitcnt vmcnt(0)
	v_cmp_ne_u16_e32 vcc_lo, 0, v3
	v_cndmask_b32_e64 v3, 0, 1, vcc_lo
	s_branch .LBB441_208
.LBB441_207:
	s_mov_b32 s3, -1
                                        ; implicit-def: $vgpr3
.LBB441_208:
	s_branch .LBB441_23
.LBB441_209:
	v_cmp_gt_i16_e32 vcc_lo, 5, v5
	s_cbranch_vccnz .LBB441_214
; %bb.210:
	v_cmp_gt_i16_e32 vcc_lo, 8, v5
	s_cbranch_vccnz .LBB441_215
; %bb.211:
	;; [unrolled: 3-line block ×3, first 2 shown]
	v_cmp_lt_i16_e32 vcc_lo, 9, v5
	s_cbranch_vccz .LBB441_217
; %bb.213:
	global_load_b64 v[3:4], v[1:2], off
	s_mov_b32 s2, 0
	s_waitcnt vmcnt(0)
	v_cvt_i32_f64_e32 v3, v[3:4]
	s_branch .LBB441_218
.LBB441_214:
                                        ; implicit-def: $vgpr3
	s_branch .LBB441_236
.LBB441_215:
	s_mov_b32 s2, -1
                                        ; implicit-def: $vgpr3
	s_branch .LBB441_224
.LBB441_216:
	s_mov_b32 s2, -1
                                        ; implicit-def: $vgpr3
	s_branch .LBB441_221
.LBB441_217:
	s_mov_b32 s2, -1
                                        ; implicit-def: $vgpr3
.LBB441_218:
	s_delay_alu instid0(SALU_CYCLE_1)
	s_and_not1_b32 vcc_lo, exec_lo, s2
	s_cbranch_vccnz .LBB441_220
; %bb.219:
	global_load_b32 v3, v[1:2], off
	s_waitcnt vmcnt(0)
	v_cvt_i32_f32_e32 v3, v3
.LBB441_220:
	s_mov_b32 s2, 0
.LBB441_221:
	s_delay_alu instid0(SALU_CYCLE_1)
	s_and_not1_b32 vcc_lo, exec_lo, s2
	s_cbranch_vccnz .LBB441_223
; %bb.222:
	global_load_b32 v3, v[1:2], off
	s_waitcnt vmcnt(0)
	v_cvt_f32_f16_e32 v3, v3
	s_delay_alu instid0(VALU_DEP_1)
	v_cvt_i32_f32_e32 v3, v3
.LBB441_223:
	s_mov_b32 s2, 0
.LBB441_224:
	s_delay_alu instid0(SALU_CYCLE_1)
	s_and_not1_b32 vcc_lo, exec_lo, s2
	s_cbranch_vccnz .LBB441_235
; %bb.225:
	v_cmp_gt_i16_e32 vcc_lo, 6, v5
	s_cbranch_vccnz .LBB441_228
; %bb.226:
	v_cmp_lt_i16_e32 vcc_lo, 6, v5
	s_cbranch_vccz .LBB441_229
; %bb.227:
	global_load_b64 v[3:4], v[1:2], off
	s_mov_b32 s2, 0
	s_waitcnt vmcnt(0)
	v_cvt_i32_f64_e32 v3, v[3:4]
	s_branch .LBB441_230
.LBB441_228:
	s_mov_b32 s2, -1
                                        ; implicit-def: $vgpr3
	s_branch .LBB441_233
.LBB441_229:
	s_mov_b32 s2, -1
                                        ; implicit-def: $vgpr3
.LBB441_230:
	s_delay_alu instid0(SALU_CYCLE_1)
	s_and_not1_b32 vcc_lo, exec_lo, s2
	s_cbranch_vccnz .LBB441_232
; %bb.231:
	global_load_b32 v3, v[1:2], off
	s_waitcnt vmcnt(0)
	v_cvt_i32_f32_e32 v3, v3
.LBB441_232:
	s_mov_b32 s2, 0
.LBB441_233:
	s_delay_alu instid0(SALU_CYCLE_1)
	s_and_not1_b32 vcc_lo, exec_lo, s2
	s_cbranch_vccnz .LBB441_235
; %bb.234:
	global_load_u16 v3, v[1:2], off
	s_waitcnt vmcnt(0)
	v_cvt_f32_f16_e32 v3, v3
	s_delay_alu instid0(VALU_DEP_1)
	v_cvt_i32_f32_e32 v3, v3
.LBB441_235:
	s_cbranch_execnz .LBB441_255
.LBB441_236:
	v_cmp_gt_i16_e32 vcc_lo, 2, v5
	s_cbranch_vccnz .LBB441_240
; %bb.237:
	v_cmp_gt_i16_e32 vcc_lo, 3, v5
	s_cbranch_vccnz .LBB441_241
; %bb.238:
	v_cmp_lt_i16_e32 vcc_lo, 3, v5
	s_cbranch_vccz .LBB441_242
; %bb.239:
	global_load_b32 v3, v[1:2], off
	s_mov_b32 s2, 0
	s_branch .LBB441_243
.LBB441_240:
	s_mov_b32 s2, -1
                                        ; implicit-def: $vgpr3
	s_branch .LBB441_249
.LBB441_241:
	s_mov_b32 s2, -1
                                        ; implicit-def: $vgpr3
	s_branch .LBB441_246
.LBB441_242:
	s_mov_b32 s2, -1
                                        ; implicit-def: $vgpr3
.LBB441_243:
	s_delay_alu instid0(SALU_CYCLE_1)
	s_and_not1_b32 vcc_lo, exec_lo, s2
	s_cbranch_vccnz .LBB441_245
; %bb.244:
	global_load_b32 v3, v[1:2], off
.LBB441_245:
	s_mov_b32 s2, 0
.LBB441_246:
	s_delay_alu instid0(SALU_CYCLE_1)
	s_and_not1_b32 vcc_lo, exec_lo, s2
	s_cbranch_vccnz .LBB441_248
; %bb.247:
	global_load_i16 v3, v[1:2], off
.LBB441_248:
	s_mov_b32 s2, 0
.LBB441_249:
	s_delay_alu instid0(SALU_CYCLE_1)
	s_and_not1_b32 vcc_lo, exec_lo, s2
	s_cbranch_vccnz .LBB441_255
; %bb.250:
	v_cmp_lt_i16_e32 vcc_lo, 0, v5
	s_mov_b32 s2, 0
	s_cbranch_vccz .LBB441_252
; %bb.251:
	global_load_i8 v3, v[1:2], off
	s_branch .LBB441_253
.LBB441_252:
	s_mov_b32 s2, -1
                                        ; implicit-def: $vgpr3
.LBB441_253:
	s_delay_alu instid0(SALU_CYCLE_1)
	s_and_not1_b32 vcc_lo, exec_lo, s2
	s_cbranch_vccnz .LBB441_255
; %bb.254:
	global_load_u8 v3, v[1:2], off
.LBB441_255:
	s_branch .LBB441_24
.LBB441_256:
	s_mov_b32 s2, 0
.LBB441_257:
	s_mov_b32 s24, 0
                                        ; implicit-def: $vgpr8
.LBB441_258:
	s_and_b32 s36, s2, exec_lo
	s_and_b32 s37, s3, exec_lo
	s_or_not1_b32 s3, s24, exec_lo
.LBB441_259:
	s_or_b32 exec_lo, exec_lo, s38
	s_mov_b32 s24, 0
	s_mov_b32 s2, 0
                                        ; implicit-def: $vgpr1_vgpr2
                                        ; implicit-def: $vgpr0
                                        ; implicit-def: $vgpr6
	s_and_saveexec_b32 s38, s3
	s_cbranch_execz .LBB441_890
; %bb.260:
	s_mov_b32 s2, -1
	s_mov_b32 s39, s37
	s_mov_b32 s40, s36
	s_mov_b32 s41, exec_lo
	v_cmpx_gt_i32_e64 s33, v8
	s_cbranch_execz .LBB441_525
; %bb.261:
	s_and_not1_b32 vcc_lo, exec_lo, s29
	s_cbranch_vccnz .LBB441_266
; %bb.262:
	v_dual_mov_b32 v0, 0 :: v_dual_mov_b32 v1, 0
	s_and_not1_b32 vcc_lo, exec_lo, s35
	s_mov_b32 s39, 0
	s_cbranch_vccnz .LBB441_271
; %bb.263:
	v_mov_b32_e32 v0, 0
	s_add_i32 s42, s34, 1
	s_cmp_eq_u32 s27, 2
	s_mov_b32 s40, 0
	s_cbranch_scc1 .LBB441_267
; %bb.264:
	v_dual_mov_b32 v1, 0 :: v_dual_mov_b32 v0, 0
	v_mov_b32_e32 v2, v8
	s_and_b32 s40, s42, 28
	s_mov_b32 s43, 0
	s_mov_b64 s[2:3], s[22:23]
	s_mov_b64 s[24:25], s[16:17]
.LBB441_265:                            ; =>This Inner Loop Header: Depth=1
	s_clause 0x1
	s_load_b256 s[44:51], s[24:25], 0x4
	s_load_b128 s[60:63], s[24:25], 0x24
	s_load_b256 s[52:59], s[2:3], 0x0
	s_add_u32 s24, s24, 48
	s_addc_u32 s25, s25, 0
	s_add_i32 s43, s43, 4
	s_add_u32 s2, s2, 32
	s_addc_u32 s3, s3, 0
	s_cmp_eq_u32 s40, s43
	s_waitcnt vmcnt(0) lgkmcnt(0)
	v_mul_hi_u32 v3, s45, v2
	s_delay_alu instid0(VALU_DEP_1) | instskip(NEXT) | instid1(VALU_DEP_1)
	v_add_nc_u32_e32 v3, v2, v3
	v_lshrrev_b32_e32 v3, s46, v3
	s_delay_alu instid0(VALU_DEP_1) | instskip(SKIP_1) | instid1(VALU_DEP_2)
	v_mul_hi_u32 v4, s48, v3
	v_mul_lo_u32 v7, v3, s44
	v_add_nc_u32_e32 v4, v3, v4
	s_delay_alu instid0(VALU_DEP_2) | instskip(NEXT) | instid1(VALU_DEP_2)
	v_sub_nc_u32_e32 v2, v2, v7
	v_lshrrev_b32_e32 v4, s49, v4
	s_delay_alu instid0(VALU_DEP_2) | instskip(SKIP_1) | instid1(VALU_DEP_3)
	v_mul_lo_u32 v7, v2, s52
	v_mul_lo_u32 v10, v2, s53
	v_mul_hi_u32 v6, s51, v4
	s_delay_alu instid0(VALU_DEP_1) | instskip(NEXT) | instid1(VALU_DEP_1)
	v_add_nc_u32_e32 v6, v4, v6
	v_lshrrev_b32_e32 v6, s60, v6
	s_delay_alu instid0(VALU_DEP_1) | instskip(SKIP_1) | instid1(VALU_DEP_2)
	v_mul_hi_u32 v9, s62, v6
	v_mul_lo_u32 v11, v6, s50
	v_add_nc_u32_e32 v2, v6, v9
	v_mul_lo_u32 v9, v4, s47
	s_delay_alu instid0(VALU_DEP_3) | instskip(NEXT) | instid1(VALU_DEP_3)
	v_sub_nc_u32_e32 v4, v4, v11
	v_lshrrev_b32_e32 v2, s63, v2
	s_delay_alu instid0(VALU_DEP_2) | instskip(SKIP_2) | instid1(VALU_DEP_4)
	v_mul_lo_u32 v11, v4, s56
	v_mul_lo_u32 v4, v4, s57
	v_sub_nc_u32_e32 v3, v3, v9
	v_mul_lo_u32 v12, v2, s61
	s_delay_alu instid0(VALU_DEP_2) | instskip(SKIP_1) | instid1(VALU_DEP_3)
	v_mul_lo_u32 v9, v3, s54
	v_mul_lo_u32 v3, v3, s55
	v_sub_nc_u32_e32 v6, v6, v12
	s_delay_alu instid0(VALU_DEP_3) | instskip(NEXT) | instid1(VALU_DEP_2)
	v_add3_u32 v0, v7, v0, v9
	v_mul_lo_u32 v12, v6, s58
	v_mul_lo_u32 v6, v6, s59
	v_add3_u32 v1, v10, v1, v3
	s_delay_alu instid0(VALU_DEP_3) | instskip(NEXT) | instid1(VALU_DEP_2)
	v_add3_u32 v0, v11, v0, v12
	v_add3_u32 v1, v4, v1, v6
	s_cbranch_scc0 .LBB441_265
	s_branch .LBB441_268
.LBB441_266:
	s_mov_b32 s39, -1
                                        ; implicit-def: $vgpr0
                                        ; implicit-def: $vgpr1
	s_branch .LBB441_271
.LBB441_267:
	v_dual_mov_b32 v2, v8 :: v_dual_mov_b32 v1, 0
.LBB441_268:
	s_and_b32 s42, s42, 3
	s_delay_alu instid0(SALU_CYCLE_1)
	s_cmp_eq_u32 s42, 0
	s_cbranch_scc1 .LBB441_271
; %bb.269:
	s_lshl_b32 s2, s40, 3
	s_mul_i32 s24, s40, 12
	s_add_u32 s2, s2, s16
	s_addc_u32 s3, s17, 0
	s_add_u32 s2, s2, 0xc4
	s_addc_u32 s3, s3, 0
	;; [unrolled: 2-line block ×3, first 2 shown]
	.p2align	6
.LBB441_270:                            ; =>This Inner Loop Header: Depth=1
	s_clause 0x1
	s_load_b64 s[44:45], s[24:25], 0x4
	s_load_b32 s40, s[24:25], 0xc
	s_load_b64 s[46:47], s[2:3], 0x0
	s_add_u32 s24, s24, 12
	s_addc_u32 s25, s25, 0
	s_add_u32 s2, s2, 8
	s_addc_u32 s3, s3, 0
	s_add_i32 s42, s42, -1
	s_delay_alu instid0(SALU_CYCLE_1) | instskip(SKIP_2) | instid1(VALU_DEP_1)
	s_cmp_lg_u32 s42, 0
	s_waitcnt vmcnt(0) lgkmcnt(0)
	v_mul_hi_u32 v3, s45, v2
	v_add_nc_u32_e32 v3, v2, v3
	s_delay_alu instid0(VALU_DEP_1) | instskip(NEXT) | instid1(VALU_DEP_1)
	v_lshrrev_b32_e32 v9, s40, v3
	v_mul_lo_u32 v3, v9, s44
	s_delay_alu instid0(VALU_DEP_1) | instskip(NEXT) | instid1(VALU_DEP_1)
	v_sub_nc_u32_e32 v2, v2, v3
	v_mad_u64_u32 v[3:4], null, v2, s46, v[0:1]
	v_mad_u64_u32 v[6:7], null, v2, s47, v[1:2]
	v_mov_b32_e32 v2, v9
	s_delay_alu instid0(VALU_DEP_2)
	v_dual_mov_b32 v0, v3 :: v_dual_mov_b32 v1, v6
	s_cbranch_scc1 .LBB441_270
.LBB441_271:
	s_and_not1_b32 vcc_lo, exec_lo, s39
	s_cbranch_vccnz .LBB441_274
; %bb.272:
	v_mul_hi_u32 v0, s13, v8
	s_and_not1_b32 vcc_lo, exec_lo, s31
	s_delay_alu instid0(VALU_DEP_1) | instskip(NEXT) | instid1(VALU_DEP_1)
	v_add_nc_u32_e32 v0, v8, v0
	v_lshrrev_b32_e32 v2, s14, v0
	s_delay_alu instid0(VALU_DEP_1) | instskip(NEXT) | instid1(VALU_DEP_1)
	v_mul_lo_u32 v0, v2, s12
	v_sub_nc_u32_e32 v1, v8, v0
	s_delay_alu instid0(VALU_DEP_1)
	v_mul_lo_u32 v0, v1, s8
	v_mul_lo_u32 v1, v1, s9
	s_cbranch_vccnz .LBB441_274
; %bb.273:
	s_waitcnt vmcnt(0)
	v_mul_hi_u32 v3, s20, v2
	s_delay_alu instid0(VALU_DEP_1) | instskip(NEXT) | instid1(VALU_DEP_1)
	v_add_nc_u32_e32 v3, v2, v3
	v_lshrrev_b32_e32 v3, s21, v3
	s_delay_alu instid0(VALU_DEP_1) | instskip(NEXT) | instid1(VALU_DEP_1)
	v_mul_lo_u32 v3, v3, s15
	v_sub_nc_u32_e32 v6, v2, v3
	s_delay_alu instid0(VALU_DEP_1) | instskip(NEXT) | instid1(VALU_DEP_1)
	v_mad_u64_u32 v[2:3], null, v6, s10, v[0:1]
	v_mad_u64_u32 v[3:4], null, v6, s11, v[1:2]
	s_delay_alu instid0(VALU_DEP_1)
	v_dual_mov_b32 v0, v2 :: v_dual_mov_b32 v1, v3
.LBB441_274:
	v_cmp_gt_i16_e32 vcc_lo, 11, v5
	s_delay_alu instid0(VALU_DEP_2) | instskip(NEXT) | instid1(VALU_DEP_1)
	v_add_co_u32 v1, s2, s6, v1
	v_add_co_ci_u32_e64 v2, null, s7, 0, s2
	s_mov_b32 s2, 0
	s_cbranch_vccnz .LBB441_281
; %bb.275:
	v_cmp_lt_i16_e32 vcc_lo, 25, v5
	s_cbranch_vccz .LBB441_330
; %bb.276:
	v_cmp_lt_i16_e32 vcc_lo, 28, v5
	s_cbranch_vccz .LBB441_331
	;; [unrolled: 3-line block ×4, first 2 shown]
; %bb.279:
	v_cmp_eq_u16_e32 vcc_lo, 46, v5
	s_mov_b32 s24, 0
	s_cbranch_vccz .LBB441_339
; %bb.280:
	global_load_b32 v3, v[1:2], off
	s_mov_b32 s2, -1
	s_mov_b32 s3, 0
	s_waitcnt vmcnt(0)
	v_lshlrev_b32_e32 v3, 16, v3
	s_delay_alu instid0(VALU_DEP_1)
	v_cvt_i32_f32_e32 v3, v3
	s_branch .LBB441_341
.LBB441_281:
	s_mov_b32 s3, s37
                                        ; implicit-def: $vgpr3
	s_cbranch_execnz .LBB441_474
.LBB441_282:
	s_and_not1_b32 vcc_lo, exec_lo, s2
	s_cbranch_vccnz .LBB441_522
.LBB441_283:
	v_and_b32_e64 v6, 0xff, s19
	s_waitcnt vmcnt(0)
	s_delay_alu instid0(VALU_DEP_2) | instskip(SKIP_1) | instid1(VALU_DEP_1)
	v_min_i32_e32 v1, s18, v3
	v_add_co_u32 v3, s2, s4, v0
	v_add_co_ci_u32_e64 v4, null, s5, 0, s2
	v_cmp_gt_i16_e32 vcc_lo, 11, v6
	s_mov_b32 s24, 0
	s_mov_b32 s25, -1
	s_mov_b32 s2, s36
	s_cbranch_vccnz .LBB441_290
; %bb.284:
	v_cmp_lt_i16_e32 vcc_lo, 25, v6
	s_cbranch_vccz .LBB441_332
; %bb.285:
	v_cmp_lt_i16_e32 vcc_lo, 28, v6
	s_cbranch_vccz .LBB441_334
	;; [unrolled: 3-line block ×4, first 2 shown]
; %bb.288:
	v_cmp_eq_u16_e32 vcc_lo, 46, v6
	s_mov_b32 s25, 0
	s_mov_b32 s2, -1
	s_cbranch_vccz .LBB441_345
; %bb.289:
	v_cvt_f32_i32_e32 v0, v1
	s_mov_b32 s24, -1
	s_mov_b32 s2, 0
	s_delay_alu instid0(VALU_DEP_1) | instskip(NEXT) | instid1(VALU_DEP_1)
	v_bfe_u32 v2, v0, 16, 1
	v_add3_u32 v0, v0, v2, 0x7fff
	s_delay_alu instid0(VALU_DEP_1)
	v_lshrrev_b32_e32 v0, 16, v0
	global_store_b32 v[3:4], v0, off
	s_branch .LBB441_345
.LBB441_290:
	s_and_b32 vcc_lo, exec_lo, s25
	s_cbranch_vccz .LBB441_414
; %bb.291:
	v_cmp_gt_i16_e32 vcc_lo, 5, v6
	s_mov_b32 s24, -1
	s_cbranch_vccnz .LBB441_312
; %bb.292:
	v_cmp_gt_i16_e32 vcc_lo, 8, v6
	s_cbranch_vccnz .LBB441_302
; %bb.293:
	v_cmp_gt_i16_e32 vcc_lo, 9, v6
	s_cbranch_vccnz .LBB441_299
; %bb.294:
	v_cmp_lt_i16_e32 vcc_lo, 9, v6
	s_cbranch_vccz .LBB441_296
; %bb.295:
	v_cvt_f64_i32_e32 v[9:10], v1
	v_mov_b32_e32 v11, 0
	s_mov_b32 s24, 0
	s_delay_alu instid0(VALU_DEP_1)
	v_mov_b32_e32 v12, v11
	global_store_b128 v[3:4], v[9:12], off
.LBB441_296:
	s_and_not1_b32 vcc_lo, exec_lo, s24
	s_cbranch_vccnz .LBB441_298
; %bb.297:
	v_cvt_f32_i32_e32 v9, v1
	v_mov_b32_e32 v10, 0
	global_store_b64 v[3:4], v[9:10], off
.LBB441_298:
	s_mov_b32 s24, 0
.LBB441_299:
	s_delay_alu instid0(SALU_CYCLE_1)
	s_and_not1_b32 vcc_lo, exec_lo, s24
	s_cbranch_vccnz .LBB441_301
; %bb.300:
	v_cvt_f32_i32_e32 v0, v1
	s_delay_alu instid0(VALU_DEP_1) | instskip(NEXT) | instid1(VALU_DEP_1)
	v_cvt_f16_f32_e32 v0, v0
	v_and_b32_e32 v0, 0xffff, v0
	global_store_b32 v[3:4], v0, off
.LBB441_301:
	s_mov_b32 s24, 0
.LBB441_302:
	s_delay_alu instid0(SALU_CYCLE_1)
	s_and_not1_b32 vcc_lo, exec_lo, s24
	s_cbranch_vccnz .LBB441_311
; %bb.303:
	v_cmp_gt_i16_e32 vcc_lo, 6, v6
	s_mov_b32 s24, -1
	s_cbranch_vccnz .LBB441_309
; %bb.304:
	v_cmp_lt_i16_e32 vcc_lo, 6, v6
	s_cbranch_vccz .LBB441_306
; %bb.305:
	v_cvt_f64_i32_e32 v[9:10], v1
	s_mov_b32 s24, 0
	global_store_b64 v[3:4], v[9:10], off
.LBB441_306:
	s_and_not1_b32 vcc_lo, exec_lo, s24
	s_cbranch_vccnz .LBB441_308
; %bb.307:
	v_cvt_f32_i32_e32 v0, v1
	global_store_b32 v[3:4], v0, off
.LBB441_308:
	s_mov_b32 s24, 0
.LBB441_309:
	s_delay_alu instid0(SALU_CYCLE_1)
	s_and_not1_b32 vcc_lo, exec_lo, s24
	s_cbranch_vccnz .LBB441_311
; %bb.310:
	v_cvt_f32_i32_e32 v0, v1
	s_delay_alu instid0(VALU_DEP_1)
	v_cvt_f16_f32_e32 v0, v0
	global_store_b16 v[3:4], v0, off
.LBB441_311:
	s_mov_b32 s24, 0
.LBB441_312:
	s_delay_alu instid0(SALU_CYCLE_1)
	s_and_not1_b32 vcc_lo, exec_lo, s24
	s_cbranch_vccnz .LBB441_328
; %bb.313:
	v_cmp_gt_i16_e32 vcc_lo, 2, v6
	s_mov_b32 s24, -1
	s_cbranch_vccnz .LBB441_323
; %bb.314:
	v_cmp_gt_i16_e32 vcc_lo, 3, v6
	s_cbranch_vccnz .LBB441_320
; %bb.315:
	v_cmp_lt_i16_e32 vcc_lo, 3, v6
	s_cbranch_vccz .LBB441_317
; %bb.316:
	v_ashrrev_i32_e32 v2, 31, v1
	s_mov_b32 s24, 0
	global_store_b64 v[3:4], v[1:2], off
.LBB441_317:
	s_and_not1_b32 vcc_lo, exec_lo, s24
	s_cbranch_vccnz .LBB441_319
; %bb.318:
	global_store_b32 v[3:4], v1, off
.LBB441_319:
	s_mov_b32 s24, 0
.LBB441_320:
	s_delay_alu instid0(SALU_CYCLE_1)
	s_and_not1_b32 vcc_lo, exec_lo, s24
	s_cbranch_vccnz .LBB441_322
; %bb.321:
	global_store_b16 v[3:4], v1, off
.LBB441_322:
	s_mov_b32 s24, 0
.LBB441_323:
	s_delay_alu instid0(SALU_CYCLE_1)
	s_and_not1_b32 vcc_lo, exec_lo, s24
	s_cbranch_vccnz .LBB441_328
; %bb.324:
	v_cmp_lt_i16_e32 vcc_lo, 0, v6
	s_mov_b32 s24, -1
	s_cbranch_vccz .LBB441_326
; %bb.325:
	s_mov_b32 s24, 0
	global_store_b8 v[3:4], v1, off
.LBB441_326:
	s_and_not1_b32 vcc_lo, exec_lo, s24
	s_cbranch_vccnz .LBB441_328
; %bb.327:
	global_store_b8 v[3:4], v1, off
.LBB441_328:
	s_branch .LBB441_415
.LBB441_329:
	s_mov_b32 s24, 0
	s_branch .LBB441_523
.LBB441_330:
	s_mov_b32 s24, -1
	s_mov_b32 s3, s37
                                        ; implicit-def: $vgpr3
	s_branch .LBB441_440
.LBB441_331:
	s_mov_b32 s24, -1
	s_mov_b32 s3, s37
                                        ; implicit-def: $vgpr3
	s_branch .LBB441_423
.LBB441_332:
	s_mov_b32 s2, s36
	s_branch .LBB441_372
.LBB441_333:
	s_mov_b32 s24, -1
	s_mov_b32 s3, s37
                                        ; implicit-def: $vgpr3
	s_branch .LBB441_418
.LBB441_334:
	s_mov_b32 s2, s36
	s_branch .LBB441_355
.LBB441_335:
	s_mov_b32 s24, -1
	s_mov_b32 s3, s37
	s_branch .LBB441_340
.LBB441_336:
	s_mov_b32 s2, s36
	s_branch .LBB441_351
.LBB441_337:
	s_or_saveexec_b32 s36, s36
                                        ; implicit-def: $sgpr37
	s_delay_alu instid0(SALU_CYCLE_1)
	s_xor_b32 exec_lo, exec_lo, s36
	s_cbranch_execz .LBB441_65
.LBB441_338:
	v_add_f32_e64 v2, 0x42800000, |v0|
	s_and_not1_b32 s25, s25, exec_lo
	s_mov_b32 s37, 0
	s_delay_alu instid0(VALU_DEP_1) | instskip(NEXT) | instid1(VALU_DEP_1)
	v_and_b32_e32 v2, 0xff, v2
	v_cmp_ne_u32_e32 vcc_lo, 0, v2
	s_and_b32 s40, vcc_lo, exec_lo
	s_delay_alu instid0(SALU_CYCLE_1)
	s_or_b32 s25, s25, s40
	s_or_b32 exec_lo, exec_lo, s36
	v_mov_b32_e32 v7, s37
	s_and_saveexec_b32 s36, s25
	s_cbranch_execnz .LBB441_66
	s_branch .LBB441_67
.LBB441_339:
	s_mov_b32 s3, -1
.LBB441_340:
                                        ; implicit-def: $vgpr3
.LBB441_341:
	s_and_b32 vcc_lo, exec_lo, s24
	s_cbranch_vccz .LBB441_417
; %bb.342:
	v_cmp_eq_u16_e32 vcc_lo, 44, v5
	s_cbranch_vccz .LBB441_416
; %bb.343:
	global_load_u8 v3, v[1:2], off
	s_mov_b32 s3, 0
	s_mov_b32 s2, -1
	s_waitcnt vmcnt(0)
	v_lshlrev_b32_e32 v4, 23, v3
	v_cmp_ne_u32_e32 vcc_lo, 0, v3
	s_delay_alu instid0(VALU_DEP_2) | instskip(NEXT) | instid1(VALU_DEP_1)
	v_cvt_i32_f32_e32 v4, v4
	v_cndmask_b32_e32 v3, 0, v4, vcc_lo
	s_branch .LBB441_417
.LBB441_344:
	s_mov_b32 s2, s36
.LBB441_345:
	s_and_b32 vcc_lo, exec_lo, s25
	s_cbranch_vccz .LBB441_350
; %bb.346:
	v_cmp_eq_u16_e32 vcc_lo, 44, v6
	s_mov_b32 s2, -1
	s_cbranch_vccz .LBB441_350
; %bb.347:
	v_cvt_f32_i32_e32 v0, v1
	v_mov_b32_e32 v2, 0xff
	s_mov_b32 s24, exec_lo
	s_delay_alu instid0(VALU_DEP_2) | instskip(NEXT) | instid1(VALU_DEP_1)
	v_bfe_u32 v7, v0, 23, 8
	v_cmpx_ne_u32_e32 0xff, v7
; %bb.348:
	v_and_b32_e32 v2, 0x400000, v0
	v_and_or_b32 v7, 0x3fffff, v0, v7
	v_lshrrev_b32_e32 v0, 23, v0
	s_delay_alu instid0(VALU_DEP_3) | instskip(NEXT) | instid1(VALU_DEP_3)
	v_cmp_ne_u32_e32 vcc_lo, 0, v2
	v_cmp_ne_u32_e64 s2, 0, v7
	s_delay_alu instid0(VALU_DEP_1) | instskip(NEXT) | instid1(SALU_CYCLE_1)
	s_and_b32 s2, vcc_lo, s2
	v_cndmask_b32_e64 v2, 0, 1, s2
	s_delay_alu instid0(VALU_DEP_1)
	v_add_nc_u32_e32 v2, v0, v2
; %bb.349:
	s_or_b32 exec_lo, exec_lo, s24
	s_mov_b32 s24, -1
	s_mov_b32 s2, 0
	global_store_b8 v[3:4], v2, off
.LBB441_350:
	s_mov_b32 s25, 0
.LBB441_351:
	s_delay_alu instid0(SALU_CYCLE_1)
	s_and_b32 vcc_lo, exec_lo, s25
	s_cbranch_vccz .LBB441_354
; %bb.352:
	v_cmp_eq_u16_e32 vcc_lo, 29, v6
	s_mov_b32 s2, -1
	s_cbranch_vccz .LBB441_354
; %bb.353:
	v_ashrrev_i32_e32 v2, 31, v1
	s_mov_b32 s24, -1
	s_mov_b32 s2, 0
	s_mov_b32 s25, 0
	global_store_b64 v[3:4], v[1:2], off
	s_branch .LBB441_355
.LBB441_354:
	s_mov_b32 s25, 0
.LBB441_355:
	s_delay_alu instid0(SALU_CYCLE_1)
	s_and_b32 vcc_lo, exec_lo, s25
	s_cbranch_vccz .LBB441_371
; %bb.356:
	v_cmp_gt_i16_e32 vcc_lo, 27, v6
	s_mov_b32 s24, -1
	s_cbranch_vccnz .LBB441_362
; %bb.357:
	v_cmp_lt_i16_e32 vcc_lo, 27, v6
	s_cbranch_vccz .LBB441_359
; %bb.358:
	s_mov_b32 s24, 0
	global_store_b32 v[3:4], v1, off
.LBB441_359:
	s_and_not1_b32 vcc_lo, exec_lo, s24
	s_cbranch_vccnz .LBB441_361
; %bb.360:
	global_store_b16 v[3:4], v1, off
.LBB441_361:
	s_mov_b32 s24, 0
.LBB441_362:
	s_delay_alu instid0(SALU_CYCLE_1)
	s_and_not1_b32 vcc_lo, exec_lo, s24
	s_cbranch_vccnz .LBB441_370
; %bb.363:
	v_cvt_f32_i32_e32 v0, v1
	v_mov_b32_e32 v7, 0x80
	s_mov_b32 s24, exec_lo
	s_delay_alu instid0(VALU_DEP_2) | instskip(NEXT) | instid1(VALU_DEP_1)
	v_and_b32_e32 v2, 0x7fffffff, v0
	v_cmpx_gt_u32_e32 0x43800000, v2
	s_cbranch_execz .LBB441_369
; %bb.364:
	v_cmp_lt_u32_e32 vcc_lo, 0x3bffffff, v2
	s_mov_b32 s25, 0
                                        ; implicit-def: $vgpr2
	s_and_saveexec_b32 s39, vcc_lo
	s_delay_alu instid0(SALU_CYCLE_1)
	s_xor_b32 s39, exec_lo, s39
	s_cbranch_execz .LBB441_551
; %bb.365:
	v_bfe_u32 v2, v0, 20, 1
	s_mov_b32 s25, exec_lo
	s_delay_alu instid0(VALU_DEP_1) | instskip(NEXT) | instid1(VALU_DEP_1)
	v_add3_u32 v2, v0, v2, 0x487ffff
	v_lshrrev_b32_e32 v2, 20, v2
	s_or_saveexec_b32 s39, s39
                                        ; implicit-def: $sgpr40
	s_delay_alu instid0(SALU_CYCLE_1)
	s_xor_b32 exec_lo, exec_lo, s39
	s_cbranch_execnz .LBB441_552
.LBB441_366:
	s_or_b32 exec_lo, exec_lo, s39
	v_mov_b32_e32 v7, s40
	s_and_saveexec_b32 s39, s25
.LBB441_367:
	v_lshrrev_b32_e32 v0, 24, v0
	s_delay_alu instid0(VALU_DEP_1)
	v_and_or_b32 v7, 0x80, v0, v2
.LBB441_368:
	s_or_b32 exec_lo, exec_lo, s39
.LBB441_369:
	s_delay_alu instid0(SALU_CYCLE_1)
	s_or_b32 exec_lo, exec_lo, s24
	global_store_b8 v[3:4], v7, off
.LBB441_370:
	s_mov_b32 s24, -1
.LBB441_371:
	s_mov_b32 s25, 0
.LBB441_372:
	s_delay_alu instid0(SALU_CYCLE_1)
	s_and_b32 vcc_lo, exec_lo, s25
	s_cbranch_vccz .LBB441_413
; %bb.373:
	v_cmp_lt_i16_e32 vcc_lo, 22, v6
	s_mov_b32 s25, -1
	s_cbranch_vccz .LBB441_405
; %bb.374:
	v_cmp_gt_i16_e32 vcc_lo, 24, v6
	s_mov_b32 s24, -1
	s_cbranch_vccnz .LBB441_394
; %bb.375:
	v_cmp_lt_i16_e32 vcc_lo, 24, v6
	s_cbranch_vccz .LBB441_383
; %bb.376:
	v_cvt_f32_i32_e32 v0, v1
	v_mov_b32_e32 v7, 0x80
	s_mov_b32 s24, exec_lo
	s_delay_alu instid0(VALU_DEP_2) | instskip(NEXT) | instid1(VALU_DEP_1)
	v_and_b32_e32 v2, 0x7fffffff, v0
	v_cmpx_gt_u32_e32 0x47800000, v2
	s_cbranch_execz .LBB441_382
; %bb.377:
	v_cmp_lt_u32_e32 vcc_lo, 0x37ffffff, v2
	s_mov_b32 s25, 0
                                        ; implicit-def: $vgpr2
	s_and_saveexec_b32 s39, vcc_lo
	s_delay_alu instid0(SALU_CYCLE_1)
	s_xor_b32 s39, exec_lo, s39
	s_cbranch_execz .LBB441_554
; %bb.378:
	v_bfe_u32 v2, v0, 21, 1
	s_mov_b32 s25, exec_lo
	s_delay_alu instid0(VALU_DEP_1) | instskip(NEXT) | instid1(VALU_DEP_1)
	v_add3_u32 v2, v0, v2, 0x88fffff
	v_lshrrev_b32_e32 v2, 21, v2
	s_or_saveexec_b32 s39, s39
                                        ; implicit-def: $sgpr40
	s_delay_alu instid0(SALU_CYCLE_1)
	s_xor_b32 exec_lo, exec_lo, s39
	s_cbranch_execnz .LBB441_555
.LBB441_379:
	s_or_b32 exec_lo, exec_lo, s39
	v_mov_b32_e32 v7, s40
	s_and_saveexec_b32 s39, s25
.LBB441_380:
	v_lshrrev_b32_e32 v0, 24, v0
	s_delay_alu instid0(VALU_DEP_1)
	v_and_or_b32 v7, 0x80, v0, v2
.LBB441_381:
	s_or_b32 exec_lo, exec_lo, s39
.LBB441_382:
	s_delay_alu instid0(SALU_CYCLE_1)
	s_or_b32 exec_lo, exec_lo, s24
	s_mov_b32 s24, 0
	global_store_b8 v[3:4], v7, off
.LBB441_383:
	s_and_b32 vcc_lo, exec_lo, s24
	s_cbranch_vccz .LBB441_393
; %bb.384:
	v_cvt_f32_i32_e32 v0, v1
	s_mov_b32 s24, exec_lo
                                        ; implicit-def: $vgpr2
	s_delay_alu instid0(VALU_DEP_1) | instskip(NEXT) | instid1(VALU_DEP_1)
	v_and_b32_e32 v7, 0x7fffffff, v0
	v_cmpx_gt_u32_e32 0x43f00000, v7
	s_xor_b32 s24, exec_lo, s24
	s_cbranch_execz .LBB441_390
; %bb.385:
	s_mov_b32 s25, exec_lo
                                        ; implicit-def: $vgpr2
	v_cmpx_lt_u32_e32 0x3c7fffff, v7
	s_xor_b32 s25, exec_lo, s25
; %bb.386:
	v_bfe_u32 v2, v0, 20, 1
	s_delay_alu instid0(VALU_DEP_1) | instskip(NEXT) | instid1(VALU_DEP_1)
	v_add3_u32 v2, v0, v2, 0x407ffff
	v_and_b32_e32 v7, 0xff00000, v2
	v_lshrrev_b32_e32 v2, 20, v2
	s_delay_alu instid0(VALU_DEP_2) | instskip(NEXT) | instid1(VALU_DEP_2)
	v_cmp_ne_u32_e32 vcc_lo, 0x7f00000, v7
	v_cndmask_b32_e32 v2, 0x7e, v2, vcc_lo
; %bb.387:
	s_and_not1_saveexec_b32 s25, s25
; %bb.388:
	v_add_f32_e64 v2, 0x46800000, |v0|
; %bb.389:
	s_or_b32 exec_lo, exec_lo, s25
                                        ; implicit-def: $vgpr7
.LBB441_390:
	s_and_not1_saveexec_b32 s24, s24
; %bb.391:
	v_mov_b32_e32 v2, 0x7f
	v_cmp_lt_u32_e32 vcc_lo, 0x7f800000, v7
	s_delay_alu instid0(VALU_DEP_2)
	v_cndmask_b32_e32 v2, 0x7e, v2, vcc_lo
; %bb.392:
	s_or_b32 exec_lo, exec_lo, s24
	v_lshrrev_b32_e32 v0, 24, v0
	s_delay_alu instid0(VALU_DEP_1)
	v_and_or_b32 v0, 0x80, v0, v2
	global_store_b8 v[3:4], v0, off
.LBB441_393:
	s_mov_b32 s24, 0
.LBB441_394:
	s_delay_alu instid0(SALU_CYCLE_1)
	s_and_not1_b32 vcc_lo, exec_lo, s24
	s_cbranch_vccnz .LBB441_404
; %bb.395:
	v_cvt_f32_i32_e32 v0, v1
	s_mov_b32 s24, exec_lo
                                        ; implicit-def: $vgpr2
	s_delay_alu instid0(VALU_DEP_1) | instskip(NEXT) | instid1(VALU_DEP_1)
	v_and_b32_e32 v7, 0x7fffffff, v0
	v_cmpx_gt_u32_e32 0x47800000, v7
	s_xor_b32 s24, exec_lo, s24
	s_cbranch_execz .LBB441_401
; %bb.396:
	s_mov_b32 s25, exec_lo
                                        ; implicit-def: $vgpr2
	v_cmpx_lt_u32_e32 0x387fffff, v7
	s_xor_b32 s25, exec_lo, s25
; %bb.397:
	v_bfe_u32 v2, v0, 21, 1
	s_delay_alu instid0(VALU_DEP_1) | instskip(NEXT) | instid1(VALU_DEP_1)
	v_add3_u32 v2, v0, v2, 0x80fffff
	v_lshrrev_b32_e32 v2, 21, v2
; %bb.398:
	s_and_not1_saveexec_b32 s25, s25
; %bb.399:
	v_add_f32_e64 v2, 0x43000000, |v0|
; %bb.400:
	s_or_b32 exec_lo, exec_lo, s25
                                        ; implicit-def: $vgpr7
.LBB441_401:
	s_and_not1_saveexec_b32 s24, s24
; %bb.402:
	v_mov_b32_e32 v2, 0x7f
	v_cmp_lt_u32_e32 vcc_lo, 0x7f800000, v7
	s_delay_alu instid0(VALU_DEP_2)
	v_cndmask_b32_e32 v2, 0x7c, v2, vcc_lo
; %bb.403:
	s_or_b32 exec_lo, exec_lo, s24
	v_lshrrev_b32_e32 v0, 24, v0
	s_delay_alu instid0(VALU_DEP_1)
	v_and_or_b32 v0, 0x80, v0, v2
	global_store_b8 v[3:4], v0, off
.LBB441_404:
	s_mov_b32 s25, 0
	s_mov_b32 s24, -1
.LBB441_405:
	s_and_not1_b32 vcc_lo, exec_lo, s25
	s_cbranch_vccnz .LBB441_413
; %bb.406:
	v_cmp_lt_i16_e32 vcc_lo, 14, v6
	s_mov_b32 s25, -1
	s_cbranch_vccz .LBB441_410
; %bb.407:
	v_cmp_eq_u16_e32 vcc_lo, 15, v6
	s_mov_b32 s2, -1
	s_cbranch_vccz .LBB441_409
; %bb.408:
	v_cvt_f32_i32_e32 v0, v1
	s_mov_b32 s24, -1
	s_mov_b32 s2, 0
	s_delay_alu instid0(VALU_DEP_1) | instskip(NEXT) | instid1(VALU_DEP_1)
	v_bfe_u32 v2, v0, 16, 1
	v_add3_u32 v0, v0, v2, 0x7fff
	global_store_d16_hi_b16 v[3:4], v0, off
.LBB441_409:
	s_mov_b32 s25, 0
.LBB441_410:
	s_delay_alu instid0(SALU_CYCLE_1)
	s_and_b32 vcc_lo, exec_lo, s25
	s_cbranch_vccz .LBB441_413
; %bb.411:
	v_cmp_eq_u16_e32 vcc_lo, 11, v6
	s_mov_b32 s2, -1
	s_cbranch_vccz .LBB441_413
; %bb.412:
	v_cmp_ne_u32_e32 vcc_lo, 0, v1
	s_mov_b32 s2, 0
	s_mov_b32 s24, -1
	v_cndmask_b32_e64 v0, 0, 1, vcc_lo
	global_store_b8 v[3:4], v0, off
.LBB441_413:
.LBB441_414:
	s_and_not1_b32 vcc_lo, exec_lo, s24
	s_cbranch_vccnz .LBB441_329
.LBB441_415:
	v_add_nc_u32_e32 v8, 0x80, v8
	s_mov_b32 s24, -1
	s_branch .LBB441_524
.LBB441_416:
	s_mov_b32 s3, -1
                                        ; implicit-def: $vgpr3
.LBB441_417:
	s_mov_b32 s24, 0
.LBB441_418:
	s_delay_alu instid0(SALU_CYCLE_1)
	s_and_b32 vcc_lo, exec_lo, s24
	s_cbranch_vccz .LBB441_422
; %bb.419:
	v_cmp_eq_u16_e32 vcc_lo, 29, v5
	s_cbranch_vccz .LBB441_421
; %bb.420:
	global_load_b32 v3, v[1:2], off
	s_mov_b32 s2, -1
	s_mov_b32 s3, 0
	s_branch .LBB441_422
.LBB441_421:
	s_mov_b32 s3, -1
                                        ; implicit-def: $vgpr3
.LBB441_422:
	s_mov_b32 s24, 0
.LBB441_423:
	s_delay_alu instid0(SALU_CYCLE_1)
	s_and_b32 vcc_lo, exec_lo, s24
	s_cbranch_vccz .LBB441_439
; %bb.424:
	v_cmp_gt_i16_e32 vcc_lo, 27, v5
	s_cbranch_vccnz .LBB441_427
; %bb.425:
	v_cmp_lt_i16_e32 vcc_lo, 27, v5
	s_cbranch_vccz .LBB441_428
; %bb.426:
	global_load_b32 v3, v[1:2], off
	s_mov_b32 s2, 0
	s_branch .LBB441_429
.LBB441_427:
	s_mov_b32 s2, -1
                                        ; implicit-def: $vgpr3
	s_branch .LBB441_432
.LBB441_428:
	s_mov_b32 s2, -1
                                        ; implicit-def: $vgpr3
.LBB441_429:
	s_delay_alu instid0(SALU_CYCLE_1)
	s_and_not1_b32 vcc_lo, exec_lo, s2
	s_cbranch_vccnz .LBB441_431
; %bb.430:
	global_load_u16 v3, v[1:2], off
.LBB441_431:
	s_mov_b32 s2, 0
.LBB441_432:
	s_delay_alu instid0(SALU_CYCLE_1)
	s_and_not1_b32 vcc_lo, exec_lo, s2
	s_cbranch_vccnz .LBB441_438
; %bb.433:
	global_load_u8 v4, v[1:2], off
	s_mov_b32 s2, 0
	s_mov_b32 s24, exec_lo
                                        ; implicit-def: $sgpr25
	s_waitcnt vmcnt(0)
	v_cmpx_lt_i16_e32 0x7f, v4
	s_xor_b32 s24, exec_lo, s24
	s_cbranch_execz .LBB441_450
; %bb.434:
	v_cmp_ne_u16_e32 vcc_lo, 0x80, v4
	s_mov_b32 s25, 0
	s_and_b32 s2, vcc_lo, exec_lo
	s_or_saveexec_b32 s24, s24
	v_mov_b32_e32 v3, s25
	s_xor_b32 exec_lo, exec_lo, s24
	s_cbranch_execnz .LBB441_451
.LBB441_435:
	s_or_b32 exec_lo, exec_lo, s24
	s_and_saveexec_b32 s24, s2
	s_cbranch_execz .LBB441_437
.LBB441_436:
	v_and_b32_e32 v3, 0xffff, v4
	s_delay_alu instid0(VALU_DEP_1) | instskip(NEXT) | instid1(VALU_DEP_1)
	v_and_b32_e32 v6, 7, v3
	v_clz_i32_u32_e32 v7, v6
	s_delay_alu instid0(VALU_DEP_1) | instskip(NEXT) | instid1(VALU_DEP_1)
	v_min_u32_e32 v7, 32, v7
	v_subrev_nc_u32_e32 v9, 28, v7
	v_sub_nc_u32_e32 v7, 29, v7
	s_delay_alu instid0(VALU_DEP_2) | instskip(SKIP_1) | instid1(VALU_DEP_2)
	v_lshlrev_b32_e32 v9, v9, v3
	v_bfe_u32 v3, v3, 3, 4
	v_and_b32_e32 v9, 7, v9
	s_delay_alu instid0(VALU_DEP_2) | instskip(SKIP_1) | instid1(VALU_DEP_3)
	v_cmp_eq_u32_e32 vcc_lo, 0, v3
	v_dual_cndmask_b32 v3, v3, v7 :: v_dual_lshlrev_b32 v4, 24, v4
	v_cndmask_b32_e32 v6, v6, v9, vcc_lo
	s_delay_alu instid0(VALU_DEP_2) | instskip(NEXT) | instid1(VALU_DEP_3)
	v_and_b32_e32 v4, 0x80000000, v4
	v_lshl_add_u32 v3, v3, 23, 0x3b800000
	s_delay_alu instid0(VALU_DEP_3) | instskip(NEXT) | instid1(VALU_DEP_1)
	v_lshlrev_b32_e32 v6, 20, v6
	v_or3_b32 v3, v4, v3, v6
	s_delay_alu instid0(VALU_DEP_1)
	v_cvt_i32_f32_e32 v3, v3
.LBB441_437:
	s_or_b32 exec_lo, exec_lo, s24
.LBB441_438:
	s_mov_b32 s2, -1
.LBB441_439:
	s_mov_b32 s24, 0
.LBB441_440:
	s_delay_alu instid0(SALU_CYCLE_1)
	s_and_b32 vcc_lo, exec_lo, s24
	s_cbranch_vccz .LBB441_473
; %bb.441:
	v_cmp_lt_i16_e32 vcc_lo, 22, v5
	s_cbranch_vccz .LBB441_449
; %bb.442:
	v_cmp_gt_i16_e32 vcc_lo, 24, v5
	s_cbranch_vccnz .LBB441_452
; %bb.443:
	v_cmp_lt_i16_e32 vcc_lo, 24, v5
	s_cbranch_vccz .LBB441_453
; %bb.444:
	global_load_u8 v4, v[1:2], off
	s_mov_b32 s2, 0
	s_mov_b32 s24, exec_lo
                                        ; implicit-def: $sgpr25
	s_waitcnt vmcnt(0)
	v_cmpx_lt_i16_e32 0x7f, v4
	s_xor_b32 s24, exec_lo, s24
	s_cbranch_execz .LBB441_465
; %bb.445:
	v_cmp_ne_u16_e32 vcc_lo, 0x80, v4
	s_mov_b32 s25, 0
	s_and_b32 s2, vcc_lo, exec_lo
	s_or_saveexec_b32 s24, s24
	v_mov_b32_e32 v3, s25
	s_xor_b32 exec_lo, exec_lo, s24
	s_cbranch_execnz .LBB441_466
.LBB441_446:
	s_or_b32 exec_lo, exec_lo, s24
	s_and_saveexec_b32 s24, s2
	s_cbranch_execz .LBB441_448
.LBB441_447:
	v_and_b32_e32 v3, 0xffff, v4
	s_delay_alu instid0(VALU_DEP_1) | instskip(NEXT) | instid1(VALU_DEP_1)
	v_and_b32_e32 v6, 3, v3
	v_clz_i32_u32_e32 v7, v6
	s_delay_alu instid0(VALU_DEP_1) | instskip(NEXT) | instid1(VALU_DEP_1)
	v_min_u32_e32 v7, 32, v7
	v_subrev_nc_u32_e32 v9, 29, v7
	v_sub_nc_u32_e32 v7, 30, v7
	s_delay_alu instid0(VALU_DEP_2) | instskip(SKIP_1) | instid1(VALU_DEP_2)
	v_lshlrev_b32_e32 v9, v9, v3
	v_bfe_u32 v3, v3, 2, 5
	v_and_b32_e32 v9, 3, v9
	s_delay_alu instid0(VALU_DEP_2) | instskip(SKIP_1) | instid1(VALU_DEP_3)
	v_cmp_eq_u32_e32 vcc_lo, 0, v3
	v_dual_cndmask_b32 v3, v3, v7 :: v_dual_lshlrev_b32 v4, 24, v4
	v_cndmask_b32_e32 v6, v6, v9, vcc_lo
	s_delay_alu instid0(VALU_DEP_2) | instskip(NEXT) | instid1(VALU_DEP_3)
	v_and_b32_e32 v4, 0x80000000, v4
	v_lshl_add_u32 v3, v3, 23, 0x37800000
	s_delay_alu instid0(VALU_DEP_3) | instskip(NEXT) | instid1(VALU_DEP_1)
	v_lshlrev_b32_e32 v6, 21, v6
	v_or3_b32 v3, v4, v3, v6
	s_delay_alu instid0(VALU_DEP_1)
	v_cvt_i32_f32_e32 v3, v3
.LBB441_448:
	s_or_b32 exec_lo, exec_lo, s24
	s_mov_b32 s2, 0
	s_branch .LBB441_454
.LBB441_449:
	s_mov_b32 s24, -1
                                        ; implicit-def: $vgpr3
	s_branch .LBB441_460
.LBB441_450:
	s_or_saveexec_b32 s24, s24
	v_mov_b32_e32 v3, s25
	s_xor_b32 exec_lo, exec_lo, s24
	s_cbranch_execz .LBB441_435
.LBB441_451:
	v_cmp_ne_u16_e32 vcc_lo, 0, v4
	v_mov_b32_e32 v3, 0
	s_and_not1_b32 s2, s2, exec_lo
	s_and_b32 s25, vcc_lo, exec_lo
	s_delay_alu instid0(SALU_CYCLE_1)
	s_or_b32 s2, s2, s25
	s_or_b32 exec_lo, exec_lo, s24
	s_and_saveexec_b32 s24, s2
	s_cbranch_execnz .LBB441_436
	s_branch .LBB441_437
.LBB441_452:
	s_mov_b32 s2, -1
                                        ; implicit-def: $vgpr3
	s_branch .LBB441_457
.LBB441_453:
	s_mov_b32 s2, -1
                                        ; implicit-def: $vgpr3
.LBB441_454:
	s_delay_alu instid0(SALU_CYCLE_1)
	s_and_b32 vcc_lo, exec_lo, s2
	s_cbranch_vccz .LBB441_456
; %bb.455:
	global_load_u8 v3, v[1:2], off
	s_waitcnt vmcnt(0)
	v_lshlrev_b32_e32 v3, 24, v3
	s_delay_alu instid0(VALU_DEP_1) | instskip(NEXT) | instid1(VALU_DEP_1)
	v_and_b32_e32 v4, 0x7f000000, v3
	v_clz_i32_u32_e32 v6, v4
	v_add_nc_u32_e32 v9, 0x1000000, v4
	v_cmp_ne_u32_e32 vcc_lo, 0, v4
	s_delay_alu instid0(VALU_DEP_3) | instskip(NEXT) | instid1(VALU_DEP_1)
	v_min_u32_e32 v6, 32, v6
	v_sub_nc_u32_e64 v6, v6, 4 clamp
	s_delay_alu instid0(VALU_DEP_1) | instskip(SKIP_1) | instid1(VALU_DEP_2)
	v_lshlrev_b32_e32 v7, v6, v4
	v_lshlrev_b32_e32 v6, 23, v6
	v_lshrrev_b32_e32 v7, 4, v7
	s_delay_alu instid0(VALU_DEP_1) | instskip(SKIP_1) | instid1(VALU_DEP_2)
	v_sub_nc_u32_e32 v6, v7, v6
	v_ashrrev_i32_e32 v7, 8, v9
	v_add_nc_u32_e32 v6, 0x3c000000, v6
	s_delay_alu instid0(VALU_DEP_1) | instskip(NEXT) | instid1(VALU_DEP_1)
	v_and_or_b32 v6, 0x7f800000, v7, v6
	v_cndmask_b32_e32 v4, 0, v6, vcc_lo
	s_delay_alu instid0(VALU_DEP_1) | instskip(NEXT) | instid1(VALU_DEP_1)
	v_and_or_b32 v3, 0x80000000, v3, v4
	v_cvt_i32_f32_e32 v3, v3
.LBB441_456:
	s_mov_b32 s2, 0
.LBB441_457:
	s_delay_alu instid0(SALU_CYCLE_1)
	s_and_not1_b32 vcc_lo, exec_lo, s2
	s_cbranch_vccnz .LBB441_459
; %bb.458:
	global_load_u8 v3, v[1:2], off
	s_waitcnt vmcnt(0)
	v_lshlrev_b32_e32 v4, 25, v3
	v_lshlrev_b16 v3, 8, v3
	s_delay_alu instid0(VALU_DEP_2) | instskip(NEXT) | instid1(VALU_DEP_2)
	v_lshrrev_b32_e32 v6, 4, v4
	v_and_or_b32 v7, 0x7f00, v3, 0.5
	v_cmp_gt_u32_e32 vcc_lo, 0x8000000, v4
	v_bfe_i32 v3, v3, 0, 16
	s_delay_alu instid0(VALU_DEP_4) | instskip(NEXT) | instid1(VALU_DEP_1)
	v_or_b32_e32 v6, 0x70000000, v6
	v_dual_add_f32 v7, -0.5, v7 :: v_dual_mul_f32 v6, 0x7800000, v6
	s_delay_alu instid0(VALU_DEP_1) | instskip(NEXT) | instid1(VALU_DEP_1)
	v_cndmask_b32_e32 v4, v6, v7, vcc_lo
	v_and_or_b32 v3, 0x80000000, v3, v4
	s_delay_alu instid0(VALU_DEP_1)
	v_cvt_i32_f32_e32 v3, v3
.LBB441_459:
	s_mov_b32 s24, 0
	s_mov_b32 s2, -1
.LBB441_460:
	s_and_not1_b32 vcc_lo, exec_lo, s24
	s_cbranch_vccnz .LBB441_473
; %bb.461:
	v_cmp_lt_i16_e32 vcc_lo, 14, v5
	s_cbranch_vccz .LBB441_464
; %bb.462:
	v_cmp_eq_u16_e32 vcc_lo, 15, v5
	s_cbranch_vccz .LBB441_467
; %bb.463:
	global_load_u16 v3, v[1:2], off
	s_mov_b32 s2, -1
	s_mov_b32 s3, 0
	s_waitcnt vmcnt(0)
	v_lshlrev_b32_e32 v3, 16, v3
	s_delay_alu instid0(VALU_DEP_1)
	v_cvt_i32_f32_e32 v3, v3
	s_branch .LBB441_468
.LBB441_464:
	s_mov_b32 s24, -1
                                        ; implicit-def: $vgpr3
	s_branch .LBB441_469
.LBB441_465:
	s_or_saveexec_b32 s24, s24
	v_mov_b32_e32 v3, s25
	s_xor_b32 exec_lo, exec_lo, s24
	s_cbranch_execz .LBB441_446
.LBB441_466:
	v_cmp_ne_u16_e32 vcc_lo, 0, v4
	v_mov_b32_e32 v3, 0
	s_and_not1_b32 s2, s2, exec_lo
	s_and_b32 s25, vcc_lo, exec_lo
	s_delay_alu instid0(SALU_CYCLE_1)
	s_or_b32 s2, s2, s25
	s_or_b32 exec_lo, exec_lo, s24
	s_and_saveexec_b32 s24, s2
	s_cbranch_execnz .LBB441_447
	s_branch .LBB441_448
.LBB441_467:
	s_mov_b32 s3, -1
                                        ; implicit-def: $vgpr3
.LBB441_468:
	s_mov_b32 s24, 0
.LBB441_469:
	s_delay_alu instid0(SALU_CYCLE_1)
	s_and_b32 vcc_lo, exec_lo, s24
	s_cbranch_vccz .LBB441_473
; %bb.470:
	v_cmp_eq_u16_e32 vcc_lo, 11, v5
	s_cbranch_vccz .LBB441_472
; %bb.471:
	global_load_u8 v3, v[1:2], off
	s_mov_b32 s3, 0
	s_mov_b32 s2, -1
	s_waitcnt vmcnt(0)
	v_cmp_ne_u16_e32 vcc_lo, 0, v3
	v_cndmask_b32_e64 v3, 0, 1, vcc_lo
	s_branch .LBB441_473
.LBB441_472:
	s_mov_b32 s3, -1
                                        ; implicit-def: $vgpr3
.LBB441_473:
	s_branch .LBB441_282
.LBB441_474:
	v_cmp_gt_i16_e32 vcc_lo, 5, v5
	s_cbranch_vccnz .LBB441_479
; %bb.475:
	v_cmp_gt_i16_e32 vcc_lo, 8, v5
	s_cbranch_vccnz .LBB441_480
; %bb.476:
	;; [unrolled: 3-line block ×3, first 2 shown]
	v_cmp_lt_i16_e32 vcc_lo, 9, v5
	s_cbranch_vccz .LBB441_482
; %bb.478:
	global_load_b64 v[3:4], v[1:2], off
	s_mov_b32 s2, 0
	s_waitcnt vmcnt(0)
	v_cvt_i32_f64_e32 v3, v[3:4]
	s_branch .LBB441_483
.LBB441_479:
	s_mov_b32 s2, -1
                                        ; implicit-def: $vgpr3
	s_branch .LBB441_501
.LBB441_480:
	s_mov_b32 s2, -1
                                        ; implicit-def: $vgpr3
	s_branch .LBB441_489
.LBB441_481:
	s_mov_b32 s2, -1
                                        ; implicit-def: $vgpr3
	s_branch .LBB441_486
.LBB441_482:
	s_mov_b32 s2, -1
                                        ; implicit-def: $vgpr3
.LBB441_483:
	s_delay_alu instid0(SALU_CYCLE_1)
	s_and_not1_b32 vcc_lo, exec_lo, s2
	s_cbranch_vccnz .LBB441_485
; %bb.484:
	global_load_b32 v3, v[1:2], off
	s_waitcnt vmcnt(0)
	v_cvt_i32_f32_e32 v3, v3
.LBB441_485:
	s_mov_b32 s2, 0
.LBB441_486:
	s_delay_alu instid0(SALU_CYCLE_1)
	s_and_not1_b32 vcc_lo, exec_lo, s2
	s_cbranch_vccnz .LBB441_488
; %bb.487:
	global_load_b32 v3, v[1:2], off
	s_waitcnt vmcnt(0)
	v_cvt_f32_f16_e32 v3, v3
	s_delay_alu instid0(VALU_DEP_1)
	v_cvt_i32_f32_e32 v3, v3
.LBB441_488:
	s_mov_b32 s2, 0
.LBB441_489:
	s_delay_alu instid0(SALU_CYCLE_1)
	s_and_not1_b32 vcc_lo, exec_lo, s2
	s_cbranch_vccnz .LBB441_500
; %bb.490:
	v_cmp_gt_i16_e32 vcc_lo, 6, v5
	s_cbranch_vccnz .LBB441_493
; %bb.491:
	v_cmp_lt_i16_e32 vcc_lo, 6, v5
	s_cbranch_vccz .LBB441_494
; %bb.492:
	global_load_b64 v[3:4], v[1:2], off
	s_mov_b32 s2, 0
	s_waitcnt vmcnt(0)
	v_cvt_i32_f64_e32 v3, v[3:4]
	s_branch .LBB441_495
.LBB441_493:
	s_mov_b32 s2, -1
                                        ; implicit-def: $vgpr3
	s_branch .LBB441_498
.LBB441_494:
	s_mov_b32 s2, -1
                                        ; implicit-def: $vgpr3
.LBB441_495:
	s_delay_alu instid0(SALU_CYCLE_1)
	s_and_not1_b32 vcc_lo, exec_lo, s2
	s_cbranch_vccnz .LBB441_497
; %bb.496:
	global_load_b32 v3, v[1:2], off
	s_waitcnt vmcnt(0)
	v_cvt_i32_f32_e32 v3, v3
.LBB441_497:
	s_mov_b32 s2, 0
.LBB441_498:
	s_delay_alu instid0(SALU_CYCLE_1)
	s_and_not1_b32 vcc_lo, exec_lo, s2
	s_cbranch_vccnz .LBB441_500
; %bb.499:
	global_load_u16 v3, v[1:2], off
	s_waitcnt vmcnt(0)
	v_cvt_f32_f16_e32 v3, v3
	s_delay_alu instid0(VALU_DEP_1)
	v_cvt_i32_f32_e32 v3, v3
.LBB441_500:
	s_mov_b32 s2, 0
.LBB441_501:
	s_delay_alu instid0(SALU_CYCLE_1)
	s_and_not1_b32 vcc_lo, exec_lo, s2
	s_cbranch_vccnz .LBB441_521
; %bb.502:
	v_cmp_gt_i16_e32 vcc_lo, 2, v5
	s_cbranch_vccnz .LBB441_506
; %bb.503:
	v_cmp_gt_i16_e32 vcc_lo, 3, v5
	s_cbranch_vccnz .LBB441_507
; %bb.504:
	v_cmp_lt_i16_e32 vcc_lo, 3, v5
	s_cbranch_vccz .LBB441_508
; %bb.505:
	global_load_b32 v3, v[1:2], off
	s_mov_b32 s2, 0
	s_branch .LBB441_509
.LBB441_506:
	s_mov_b32 s2, -1
                                        ; implicit-def: $vgpr3
	s_branch .LBB441_515
.LBB441_507:
	s_mov_b32 s2, -1
                                        ; implicit-def: $vgpr3
	s_branch .LBB441_512
.LBB441_508:
	s_mov_b32 s2, -1
                                        ; implicit-def: $vgpr3
.LBB441_509:
	s_delay_alu instid0(SALU_CYCLE_1)
	s_and_not1_b32 vcc_lo, exec_lo, s2
	s_cbranch_vccnz .LBB441_511
; %bb.510:
	global_load_b32 v3, v[1:2], off
.LBB441_511:
	s_mov_b32 s2, 0
.LBB441_512:
	s_delay_alu instid0(SALU_CYCLE_1)
	s_and_not1_b32 vcc_lo, exec_lo, s2
	s_cbranch_vccnz .LBB441_514
; %bb.513:
	global_load_i16 v3, v[1:2], off
.LBB441_514:
	s_mov_b32 s2, 0
.LBB441_515:
	s_delay_alu instid0(SALU_CYCLE_1)
	s_and_not1_b32 vcc_lo, exec_lo, s2
	s_cbranch_vccnz .LBB441_521
; %bb.516:
	v_cmp_lt_i16_e32 vcc_lo, 0, v5
	s_mov_b32 s2, 0
	s_cbranch_vccz .LBB441_518
; %bb.517:
	global_load_i8 v3, v[1:2], off
	s_branch .LBB441_519
.LBB441_518:
	s_mov_b32 s2, -1
                                        ; implicit-def: $vgpr3
.LBB441_519:
	s_delay_alu instid0(SALU_CYCLE_1)
	s_and_not1_b32 vcc_lo, exec_lo, s2
	s_cbranch_vccnz .LBB441_521
; %bb.520:
	global_load_u8 v3, v[1:2], off
.LBB441_521:
	s_branch .LBB441_283
.LBB441_522:
	s_mov_b32 s24, 0
	s_mov_b32 s2, s36
.LBB441_523:
                                        ; implicit-def: $vgpr8
.LBB441_524:
	s_and_not1_b32 s25, s36, exec_lo
	s_and_b32 s2, s2, exec_lo
	s_and_not1_b32 s39, s37, exec_lo
	s_and_b32 s3, s3, exec_lo
	s_or_b32 s40, s25, s2
	s_or_b32 s39, s39, s3
	s_or_not1_b32 s2, s24, exec_lo
.LBB441_525:
	s_or_b32 exec_lo, exec_lo, s41
	s_mov_b32 s3, 0
	s_mov_b32 s25, 0
	;; [unrolled: 1-line block ×3, first 2 shown]
                                        ; implicit-def: $vgpr1_vgpr2
                                        ; implicit-def: $vgpr0
                                        ; implicit-def: $vgpr6
	s_and_saveexec_b32 s41, s2
	s_cbranch_execz .LBB441_889
; %bb.526:
	s_mov_b32 s44, -1
	s_mov_b32 s24, s39
	s_mov_b32 s25, s40
	s_mov_b32 s42, exec_lo
	v_cmpx_gt_i32_e64 s33, v8
	s_cbranch_execz .LBB441_794
; %bb.527:
	s_and_not1_b32 vcc_lo, exec_lo, s29
	s_cbranch_vccnz .LBB441_532
; %bb.528:
	v_dual_mov_b32 v0, 0 :: v_dual_mov_b32 v1, 0
	s_and_not1_b32 vcc_lo, exec_lo, s35
	s_mov_b32 s43, 0
	s_cbranch_vccnz .LBB441_537
; %bb.529:
	v_mov_b32_e32 v0, 0
	s_add_i32 s45, s34, 1
	s_cmp_eq_u32 s27, 2
	s_mov_b32 s44, 0
	s_cbranch_scc1 .LBB441_533
; %bb.530:
	v_dual_mov_b32 v1, 0 :: v_dual_mov_b32 v0, 0
	v_mov_b32_e32 v2, v8
	s_and_b32 s44, s45, 28
	s_mov_b32 s46, 0
	s_mov_b64 s[2:3], s[22:23]
	s_mov_b64 s[24:25], s[16:17]
.LBB441_531:                            ; =>This Inner Loop Header: Depth=1
	s_clause 0x1
	s_load_b256 s[48:55], s[24:25], 0x4
	s_load_b128 s[64:67], s[24:25], 0x24
	s_load_b256 s[56:63], s[2:3], 0x0
	s_add_u32 s24, s24, 48
	s_addc_u32 s25, s25, 0
	s_add_i32 s46, s46, 4
	s_add_u32 s2, s2, 32
	s_addc_u32 s3, s3, 0
	s_cmp_eq_u32 s44, s46
	s_waitcnt vmcnt(0) lgkmcnt(0)
	v_mul_hi_u32 v3, s49, v2
	s_delay_alu instid0(VALU_DEP_1) | instskip(NEXT) | instid1(VALU_DEP_1)
	v_add_nc_u32_e32 v3, v2, v3
	v_lshrrev_b32_e32 v3, s50, v3
	s_delay_alu instid0(VALU_DEP_1) | instskip(SKIP_1) | instid1(VALU_DEP_2)
	v_mul_hi_u32 v4, s52, v3
	v_mul_lo_u32 v7, v3, s48
	v_add_nc_u32_e32 v4, v3, v4
	s_delay_alu instid0(VALU_DEP_2) | instskip(NEXT) | instid1(VALU_DEP_2)
	v_sub_nc_u32_e32 v2, v2, v7
	v_lshrrev_b32_e32 v4, s53, v4
	s_delay_alu instid0(VALU_DEP_2) | instskip(SKIP_1) | instid1(VALU_DEP_3)
	v_mul_lo_u32 v7, v2, s56
	v_mul_lo_u32 v10, v2, s57
	v_mul_hi_u32 v6, s55, v4
	s_delay_alu instid0(VALU_DEP_1) | instskip(NEXT) | instid1(VALU_DEP_1)
	v_add_nc_u32_e32 v6, v4, v6
	v_lshrrev_b32_e32 v6, s64, v6
	s_delay_alu instid0(VALU_DEP_1) | instskip(SKIP_1) | instid1(VALU_DEP_2)
	v_mul_hi_u32 v9, s66, v6
	v_mul_lo_u32 v11, v6, s54
	v_add_nc_u32_e32 v2, v6, v9
	v_mul_lo_u32 v9, v4, s51
	s_delay_alu instid0(VALU_DEP_3) | instskip(NEXT) | instid1(VALU_DEP_3)
	v_sub_nc_u32_e32 v4, v4, v11
	v_lshrrev_b32_e32 v2, s67, v2
	s_delay_alu instid0(VALU_DEP_2) | instskip(SKIP_2) | instid1(VALU_DEP_4)
	v_mul_lo_u32 v11, v4, s60
	v_mul_lo_u32 v4, v4, s61
	v_sub_nc_u32_e32 v3, v3, v9
	v_mul_lo_u32 v12, v2, s65
	s_delay_alu instid0(VALU_DEP_2) | instskip(SKIP_1) | instid1(VALU_DEP_3)
	v_mul_lo_u32 v9, v3, s58
	v_mul_lo_u32 v3, v3, s59
	v_sub_nc_u32_e32 v6, v6, v12
	s_delay_alu instid0(VALU_DEP_3) | instskip(NEXT) | instid1(VALU_DEP_2)
	v_add3_u32 v0, v7, v0, v9
	v_mul_lo_u32 v12, v6, s62
	v_mul_lo_u32 v6, v6, s63
	v_add3_u32 v1, v10, v1, v3
	s_delay_alu instid0(VALU_DEP_3) | instskip(NEXT) | instid1(VALU_DEP_2)
	v_add3_u32 v0, v11, v0, v12
	v_add3_u32 v1, v4, v1, v6
	s_cbranch_scc0 .LBB441_531
	s_branch .LBB441_534
.LBB441_532:
	s_mov_b32 s43, -1
                                        ; implicit-def: $vgpr0
                                        ; implicit-def: $vgpr1
	s_branch .LBB441_537
.LBB441_533:
	v_dual_mov_b32 v2, v8 :: v_dual_mov_b32 v1, 0
.LBB441_534:
	s_and_b32 s45, s45, 3
	s_delay_alu instid0(SALU_CYCLE_1)
	s_cmp_eq_u32 s45, 0
	s_cbranch_scc1 .LBB441_537
; %bb.535:
	s_lshl_b32 s2, s44, 3
	s_mul_i32 s24, s44, 12
	s_add_u32 s2, s2, s16
	s_addc_u32 s3, s17, 0
	s_add_u32 s2, s2, 0xc4
	s_addc_u32 s3, s3, 0
	s_add_u32 s24, s16, s24
	s_addc_u32 s25, s17, 0
	.p2align	6
.LBB441_536:                            ; =>This Inner Loop Header: Depth=1
	s_clause 0x1
	s_load_b64 s[46:47], s[24:25], 0x4
	s_load_b32 s44, s[24:25], 0xc
	s_load_b64 s[48:49], s[2:3], 0x0
	s_add_u32 s24, s24, 12
	s_addc_u32 s25, s25, 0
	s_add_u32 s2, s2, 8
	s_addc_u32 s3, s3, 0
	s_add_i32 s45, s45, -1
	s_delay_alu instid0(SALU_CYCLE_1) | instskip(SKIP_2) | instid1(VALU_DEP_1)
	s_cmp_lg_u32 s45, 0
	s_waitcnt vmcnt(0) lgkmcnt(0)
	v_mul_hi_u32 v3, s47, v2
	v_add_nc_u32_e32 v3, v2, v3
	s_delay_alu instid0(VALU_DEP_1) | instskip(NEXT) | instid1(VALU_DEP_1)
	v_lshrrev_b32_e32 v9, s44, v3
	v_mul_lo_u32 v3, v9, s46
	s_delay_alu instid0(VALU_DEP_1) | instskip(NEXT) | instid1(VALU_DEP_1)
	v_sub_nc_u32_e32 v2, v2, v3
	v_mad_u64_u32 v[3:4], null, v2, s48, v[0:1]
	v_mad_u64_u32 v[6:7], null, v2, s49, v[1:2]
	v_mov_b32_e32 v2, v9
	s_delay_alu instid0(VALU_DEP_2)
	v_dual_mov_b32 v0, v3 :: v_dual_mov_b32 v1, v6
	s_cbranch_scc1 .LBB441_536
.LBB441_537:
	s_and_not1_b32 vcc_lo, exec_lo, s43
	s_cbranch_vccnz .LBB441_540
; %bb.538:
	v_mul_hi_u32 v0, s13, v8
	s_and_not1_b32 vcc_lo, exec_lo, s31
	s_delay_alu instid0(VALU_DEP_1) | instskip(NEXT) | instid1(VALU_DEP_1)
	v_add_nc_u32_e32 v0, v8, v0
	v_lshrrev_b32_e32 v2, s14, v0
	s_delay_alu instid0(VALU_DEP_1) | instskip(NEXT) | instid1(VALU_DEP_1)
	v_mul_lo_u32 v0, v2, s12
	v_sub_nc_u32_e32 v1, v8, v0
	s_delay_alu instid0(VALU_DEP_1)
	v_mul_lo_u32 v0, v1, s8
	v_mul_lo_u32 v1, v1, s9
	s_cbranch_vccnz .LBB441_540
; %bb.539:
	s_waitcnt vmcnt(0)
	v_mul_hi_u32 v3, s20, v2
	s_delay_alu instid0(VALU_DEP_1) | instskip(NEXT) | instid1(VALU_DEP_1)
	v_add_nc_u32_e32 v3, v2, v3
	v_lshrrev_b32_e32 v3, s21, v3
	s_delay_alu instid0(VALU_DEP_1) | instskip(NEXT) | instid1(VALU_DEP_1)
	v_mul_lo_u32 v3, v3, s15
	v_sub_nc_u32_e32 v6, v2, v3
	s_delay_alu instid0(VALU_DEP_1) | instskip(NEXT) | instid1(VALU_DEP_1)
	v_mad_u64_u32 v[2:3], null, v6, s10, v[0:1]
	v_mad_u64_u32 v[3:4], null, v6, s11, v[1:2]
	s_delay_alu instid0(VALU_DEP_1)
	v_dual_mov_b32 v0, v2 :: v_dual_mov_b32 v1, v3
.LBB441_540:
	v_cmp_gt_i16_e32 vcc_lo, 11, v5
	s_delay_alu instid0(VALU_DEP_2) | instskip(NEXT) | instid1(VALU_DEP_1)
	v_add_co_u32 v1, s2, s6, v1
	v_add_co_ci_u32_e64 v2, null, s7, 0, s2
	s_mov_b32 s2, 0
	s_cbranch_vccnz .LBB441_547
; %bb.541:
	v_cmp_lt_i16_e32 vcc_lo, 25, v5
	s_cbranch_vccz .LBB441_548
; %bb.542:
	v_cmp_lt_i16_e32 vcc_lo, 28, v5
	s_cbranch_vccz .LBB441_549
	;; [unrolled: 3-line block ×4, first 2 shown]
; %bb.545:
	v_cmp_eq_u16_e32 vcc_lo, 46, v5
	s_mov_b32 s24, 0
	s_cbranch_vccz .LBB441_556
; %bb.546:
	global_load_b32 v3, v[1:2], off
	s_mov_b32 s2, -1
	s_mov_b32 s3, 0
	s_waitcnt vmcnt(0)
	v_lshlrev_b32_e32 v3, 16, v3
	s_delay_alu instid0(VALU_DEP_1)
	v_cvt_i32_f32_e32 v3, v3
	s_branch .LBB441_558
.LBB441_547:
	s_mov_b32 s24, -1
	s_mov_b32 s3, s39
                                        ; implicit-def: $vgpr3
	s_branch .LBB441_619
.LBB441_548:
	s_mov_b32 s24, -1
	s_mov_b32 s3, s39
                                        ; implicit-def: $vgpr3
	s_branch .LBB441_585
.LBB441_549:
	s_mov_b32 s24, -1
	s_mov_b32 s3, s39
                                        ; implicit-def: $vgpr3
	s_branch .LBB441_568
.LBB441_550:
	s_mov_b32 s24, -1
	s_mov_b32 s3, s39
                                        ; implicit-def: $vgpr3
	s_branch .LBB441_563
.LBB441_551:
	s_or_saveexec_b32 s39, s39
                                        ; implicit-def: $sgpr40
	s_delay_alu instid0(SALU_CYCLE_1)
	s_xor_b32 exec_lo, exec_lo, s39
	s_cbranch_execz .LBB441_366
.LBB441_552:
	v_add_f32_e64 v2, 0x46000000, |v0|
	s_and_not1_b32 s25, s25, exec_lo
	s_mov_b32 s40, 0
	s_delay_alu instid0(VALU_DEP_1) | instskip(NEXT) | instid1(VALU_DEP_1)
	v_and_b32_e32 v2, 0xff, v2
	v_cmp_ne_u32_e32 vcc_lo, 0, v2
	s_and_b32 s42, vcc_lo, exec_lo
	s_delay_alu instid0(SALU_CYCLE_1)
	s_or_b32 s25, s25, s42
	s_or_b32 exec_lo, exec_lo, s39
	v_mov_b32_e32 v7, s40
	s_and_saveexec_b32 s39, s25
	s_cbranch_execnz .LBB441_367
	s_branch .LBB441_368
.LBB441_553:
	s_mov_b32 s24, -1
	s_mov_b32 s3, s39
	s_branch .LBB441_557
.LBB441_554:
	s_or_saveexec_b32 s39, s39
                                        ; implicit-def: $sgpr40
	s_delay_alu instid0(SALU_CYCLE_1)
	s_xor_b32 exec_lo, exec_lo, s39
	s_cbranch_execz .LBB441_379
.LBB441_555:
	v_add_f32_e64 v2, 0x42800000, |v0|
	s_and_not1_b32 s25, s25, exec_lo
	s_mov_b32 s40, 0
	s_delay_alu instid0(VALU_DEP_1) | instskip(NEXT) | instid1(VALU_DEP_1)
	v_and_b32_e32 v2, 0xff, v2
	v_cmp_ne_u32_e32 vcc_lo, 0, v2
	s_and_b32 s42, vcc_lo, exec_lo
	s_delay_alu instid0(SALU_CYCLE_1)
	s_or_b32 s25, s25, s42
	s_or_b32 exec_lo, exec_lo, s39
	v_mov_b32_e32 v7, s40
	s_and_saveexec_b32 s39, s25
	s_cbranch_execnz .LBB441_380
	s_branch .LBB441_381
.LBB441_556:
	s_mov_b32 s3, -1
.LBB441_557:
                                        ; implicit-def: $vgpr3
.LBB441_558:
	s_and_b32 vcc_lo, exec_lo, s24
	s_cbranch_vccz .LBB441_562
; %bb.559:
	v_cmp_eq_u16_e32 vcc_lo, 44, v5
	s_cbranch_vccz .LBB441_561
; %bb.560:
	global_load_u8 v3, v[1:2], off
	s_mov_b32 s3, 0
	s_mov_b32 s2, -1
	s_waitcnt vmcnt(0)
	v_lshlrev_b32_e32 v4, 23, v3
	v_cmp_ne_u32_e32 vcc_lo, 0, v3
	s_delay_alu instid0(VALU_DEP_2) | instskip(NEXT) | instid1(VALU_DEP_1)
	v_cvt_i32_f32_e32 v4, v4
	v_cndmask_b32_e32 v3, 0, v4, vcc_lo
	s_branch .LBB441_562
.LBB441_561:
	s_mov_b32 s3, -1
                                        ; implicit-def: $vgpr3
.LBB441_562:
	s_mov_b32 s24, 0
.LBB441_563:
	s_delay_alu instid0(SALU_CYCLE_1)
	s_and_b32 vcc_lo, exec_lo, s24
	s_cbranch_vccz .LBB441_567
; %bb.564:
	v_cmp_eq_u16_e32 vcc_lo, 29, v5
	s_cbranch_vccz .LBB441_566
; %bb.565:
	global_load_b32 v3, v[1:2], off
	s_mov_b32 s2, -1
	s_mov_b32 s3, 0
	s_branch .LBB441_567
.LBB441_566:
	s_mov_b32 s3, -1
                                        ; implicit-def: $vgpr3
.LBB441_567:
	s_mov_b32 s24, 0
.LBB441_568:
	s_delay_alu instid0(SALU_CYCLE_1)
	s_and_b32 vcc_lo, exec_lo, s24
	s_cbranch_vccz .LBB441_584
; %bb.569:
	v_cmp_gt_i16_e32 vcc_lo, 27, v5
	s_cbranch_vccnz .LBB441_572
; %bb.570:
	v_cmp_lt_i16_e32 vcc_lo, 27, v5
	s_cbranch_vccz .LBB441_573
; %bb.571:
	global_load_b32 v3, v[1:2], off
	s_mov_b32 s2, 0
	s_branch .LBB441_574
.LBB441_572:
	s_mov_b32 s2, -1
                                        ; implicit-def: $vgpr3
	s_branch .LBB441_577
.LBB441_573:
	s_mov_b32 s2, -1
                                        ; implicit-def: $vgpr3
.LBB441_574:
	s_delay_alu instid0(SALU_CYCLE_1)
	s_and_not1_b32 vcc_lo, exec_lo, s2
	s_cbranch_vccnz .LBB441_576
; %bb.575:
	global_load_u16 v3, v[1:2], off
.LBB441_576:
	s_mov_b32 s2, 0
.LBB441_577:
	s_delay_alu instid0(SALU_CYCLE_1)
	s_and_not1_b32 vcc_lo, exec_lo, s2
	s_cbranch_vccnz .LBB441_583
; %bb.578:
	global_load_u8 v4, v[1:2], off
	s_mov_b32 s2, 0
	s_mov_b32 s24, exec_lo
                                        ; implicit-def: $sgpr25
	s_waitcnt vmcnt(0)
	v_cmpx_lt_i16_e32 0x7f, v4
	s_xor_b32 s24, exec_lo, s24
	s_cbranch_execz .LBB441_595
; %bb.579:
	v_cmp_ne_u16_e32 vcc_lo, 0x80, v4
	s_mov_b32 s25, 0
	s_and_b32 s2, vcc_lo, exec_lo
	s_or_saveexec_b32 s24, s24
	v_mov_b32_e32 v3, s25
	s_xor_b32 exec_lo, exec_lo, s24
	s_cbranch_execnz .LBB441_596
.LBB441_580:
	s_or_b32 exec_lo, exec_lo, s24
	s_and_saveexec_b32 s24, s2
	s_cbranch_execz .LBB441_582
.LBB441_581:
	v_and_b32_e32 v3, 0xffff, v4
	s_delay_alu instid0(VALU_DEP_1) | instskip(NEXT) | instid1(VALU_DEP_1)
	v_and_b32_e32 v6, 7, v3
	v_clz_i32_u32_e32 v7, v6
	s_delay_alu instid0(VALU_DEP_1) | instskip(NEXT) | instid1(VALU_DEP_1)
	v_min_u32_e32 v7, 32, v7
	v_subrev_nc_u32_e32 v9, 28, v7
	v_sub_nc_u32_e32 v7, 29, v7
	s_delay_alu instid0(VALU_DEP_2) | instskip(SKIP_1) | instid1(VALU_DEP_2)
	v_lshlrev_b32_e32 v9, v9, v3
	v_bfe_u32 v3, v3, 3, 4
	v_and_b32_e32 v9, 7, v9
	s_delay_alu instid0(VALU_DEP_2) | instskip(SKIP_1) | instid1(VALU_DEP_3)
	v_cmp_eq_u32_e32 vcc_lo, 0, v3
	v_dual_cndmask_b32 v3, v3, v7 :: v_dual_lshlrev_b32 v4, 24, v4
	v_cndmask_b32_e32 v6, v6, v9, vcc_lo
	s_delay_alu instid0(VALU_DEP_2) | instskip(NEXT) | instid1(VALU_DEP_3)
	v_and_b32_e32 v4, 0x80000000, v4
	v_lshl_add_u32 v3, v3, 23, 0x3b800000
	s_delay_alu instid0(VALU_DEP_3) | instskip(NEXT) | instid1(VALU_DEP_1)
	v_lshlrev_b32_e32 v6, 20, v6
	v_or3_b32 v3, v4, v3, v6
	s_delay_alu instid0(VALU_DEP_1)
	v_cvt_i32_f32_e32 v3, v3
.LBB441_582:
	s_or_b32 exec_lo, exec_lo, s24
.LBB441_583:
	s_mov_b32 s2, -1
.LBB441_584:
	s_mov_b32 s24, 0
.LBB441_585:
	s_delay_alu instid0(SALU_CYCLE_1)
	s_and_b32 vcc_lo, exec_lo, s24
	s_cbranch_vccz .LBB441_618
; %bb.586:
	v_cmp_lt_i16_e32 vcc_lo, 22, v5
	s_cbranch_vccz .LBB441_594
; %bb.587:
	v_cmp_gt_i16_e32 vcc_lo, 24, v5
	s_cbranch_vccnz .LBB441_597
; %bb.588:
	v_cmp_lt_i16_e32 vcc_lo, 24, v5
	s_cbranch_vccz .LBB441_598
; %bb.589:
	global_load_u8 v4, v[1:2], off
	s_mov_b32 s2, 0
	s_mov_b32 s24, exec_lo
                                        ; implicit-def: $sgpr25
	s_waitcnt vmcnt(0)
	v_cmpx_lt_i16_e32 0x7f, v4
	s_xor_b32 s24, exec_lo, s24
	s_cbranch_execz .LBB441_610
; %bb.590:
	v_cmp_ne_u16_e32 vcc_lo, 0x80, v4
	s_mov_b32 s25, 0
	s_and_b32 s2, vcc_lo, exec_lo
	s_or_saveexec_b32 s24, s24
	v_mov_b32_e32 v3, s25
	s_xor_b32 exec_lo, exec_lo, s24
	s_cbranch_execnz .LBB441_611
.LBB441_591:
	s_or_b32 exec_lo, exec_lo, s24
	s_and_saveexec_b32 s24, s2
	s_cbranch_execz .LBB441_593
.LBB441_592:
	v_and_b32_e32 v3, 0xffff, v4
	s_delay_alu instid0(VALU_DEP_1) | instskip(NEXT) | instid1(VALU_DEP_1)
	v_and_b32_e32 v6, 3, v3
	v_clz_i32_u32_e32 v7, v6
	s_delay_alu instid0(VALU_DEP_1) | instskip(NEXT) | instid1(VALU_DEP_1)
	v_min_u32_e32 v7, 32, v7
	v_subrev_nc_u32_e32 v9, 29, v7
	v_sub_nc_u32_e32 v7, 30, v7
	s_delay_alu instid0(VALU_DEP_2) | instskip(SKIP_1) | instid1(VALU_DEP_2)
	v_lshlrev_b32_e32 v9, v9, v3
	v_bfe_u32 v3, v3, 2, 5
	v_and_b32_e32 v9, 3, v9
	s_delay_alu instid0(VALU_DEP_2) | instskip(SKIP_1) | instid1(VALU_DEP_3)
	v_cmp_eq_u32_e32 vcc_lo, 0, v3
	v_dual_cndmask_b32 v3, v3, v7 :: v_dual_lshlrev_b32 v4, 24, v4
	v_cndmask_b32_e32 v6, v6, v9, vcc_lo
	s_delay_alu instid0(VALU_DEP_2) | instskip(NEXT) | instid1(VALU_DEP_3)
	v_and_b32_e32 v4, 0x80000000, v4
	v_lshl_add_u32 v3, v3, 23, 0x37800000
	s_delay_alu instid0(VALU_DEP_3) | instskip(NEXT) | instid1(VALU_DEP_1)
	v_lshlrev_b32_e32 v6, 21, v6
	v_or3_b32 v3, v4, v3, v6
	s_delay_alu instid0(VALU_DEP_1)
	v_cvt_i32_f32_e32 v3, v3
.LBB441_593:
	s_or_b32 exec_lo, exec_lo, s24
	s_mov_b32 s2, 0
	s_branch .LBB441_599
.LBB441_594:
	s_mov_b32 s24, -1
                                        ; implicit-def: $vgpr3
	s_branch .LBB441_605
.LBB441_595:
	s_or_saveexec_b32 s24, s24
	v_mov_b32_e32 v3, s25
	s_xor_b32 exec_lo, exec_lo, s24
	s_cbranch_execz .LBB441_580
.LBB441_596:
	v_cmp_ne_u16_e32 vcc_lo, 0, v4
	v_mov_b32_e32 v3, 0
	s_and_not1_b32 s2, s2, exec_lo
	s_and_b32 s25, vcc_lo, exec_lo
	s_delay_alu instid0(SALU_CYCLE_1)
	s_or_b32 s2, s2, s25
	s_or_b32 exec_lo, exec_lo, s24
	s_and_saveexec_b32 s24, s2
	s_cbranch_execnz .LBB441_581
	s_branch .LBB441_582
.LBB441_597:
	s_mov_b32 s2, -1
                                        ; implicit-def: $vgpr3
	s_branch .LBB441_602
.LBB441_598:
	s_mov_b32 s2, -1
                                        ; implicit-def: $vgpr3
.LBB441_599:
	s_delay_alu instid0(SALU_CYCLE_1)
	s_and_b32 vcc_lo, exec_lo, s2
	s_cbranch_vccz .LBB441_601
; %bb.600:
	global_load_u8 v3, v[1:2], off
	s_waitcnt vmcnt(0)
	v_lshlrev_b32_e32 v3, 24, v3
	s_delay_alu instid0(VALU_DEP_1) | instskip(NEXT) | instid1(VALU_DEP_1)
	v_and_b32_e32 v4, 0x7f000000, v3
	v_clz_i32_u32_e32 v6, v4
	v_add_nc_u32_e32 v9, 0x1000000, v4
	v_cmp_ne_u32_e32 vcc_lo, 0, v4
	s_delay_alu instid0(VALU_DEP_3) | instskip(NEXT) | instid1(VALU_DEP_1)
	v_min_u32_e32 v6, 32, v6
	v_sub_nc_u32_e64 v6, v6, 4 clamp
	s_delay_alu instid0(VALU_DEP_1) | instskip(SKIP_1) | instid1(VALU_DEP_2)
	v_lshlrev_b32_e32 v7, v6, v4
	v_lshlrev_b32_e32 v6, 23, v6
	v_lshrrev_b32_e32 v7, 4, v7
	s_delay_alu instid0(VALU_DEP_1) | instskip(SKIP_1) | instid1(VALU_DEP_2)
	v_sub_nc_u32_e32 v6, v7, v6
	v_ashrrev_i32_e32 v7, 8, v9
	v_add_nc_u32_e32 v6, 0x3c000000, v6
	s_delay_alu instid0(VALU_DEP_1) | instskip(NEXT) | instid1(VALU_DEP_1)
	v_and_or_b32 v6, 0x7f800000, v7, v6
	v_cndmask_b32_e32 v4, 0, v6, vcc_lo
	s_delay_alu instid0(VALU_DEP_1) | instskip(NEXT) | instid1(VALU_DEP_1)
	v_and_or_b32 v3, 0x80000000, v3, v4
	v_cvt_i32_f32_e32 v3, v3
.LBB441_601:
	s_mov_b32 s2, 0
.LBB441_602:
	s_delay_alu instid0(SALU_CYCLE_1)
	s_and_not1_b32 vcc_lo, exec_lo, s2
	s_cbranch_vccnz .LBB441_604
; %bb.603:
	global_load_u8 v3, v[1:2], off
	s_waitcnt vmcnt(0)
	v_lshlrev_b32_e32 v4, 25, v3
	v_lshlrev_b16 v3, 8, v3
	s_delay_alu instid0(VALU_DEP_2) | instskip(NEXT) | instid1(VALU_DEP_2)
	v_lshrrev_b32_e32 v6, 4, v4
	v_and_or_b32 v7, 0x7f00, v3, 0.5
	v_cmp_gt_u32_e32 vcc_lo, 0x8000000, v4
	v_bfe_i32 v3, v3, 0, 16
	s_delay_alu instid0(VALU_DEP_4) | instskip(NEXT) | instid1(VALU_DEP_1)
	v_or_b32_e32 v6, 0x70000000, v6
	v_dual_add_f32 v7, -0.5, v7 :: v_dual_mul_f32 v6, 0x7800000, v6
	s_delay_alu instid0(VALU_DEP_1) | instskip(NEXT) | instid1(VALU_DEP_1)
	v_cndmask_b32_e32 v4, v6, v7, vcc_lo
	v_and_or_b32 v3, 0x80000000, v3, v4
	s_delay_alu instid0(VALU_DEP_1)
	v_cvt_i32_f32_e32 v3, v3
.LBB441_604:
	s_mov_b32 s24, 0
	s_mov_b32 s2, -1
.LBB441_605:
	s_and_not1_b32 vcc_lo, exec_lo, s24
	s_cbranch_vccnz .LBB441_618
; %bb.606:
	v_cmp_lt_i16_e32 vcc_lo, 14, v5
	s_cbranch_vccz .LBB441_609
; %bb.607:
	v_cmp_eq_u16_e32 vcc_lo, 15, v5
	s_cbranch_vccz .LBB441_612
; %bb.608:
	global_load_u16 v3, v[1:2], off
	s_mov_b32 s2, -1
	s_mov_b32 s3, 0
	s_waitcnt vmcnt(0)
	v_lshlrev_b32_e32 v3, 16, v3
	s_delay_alu instid0(VALU_DEP_1)
	v_cvt_i32_f32_e32 v3, v3
	s_branch .LBB441_613
.LBB441_609:
	s_mov_b32 s24, -1
                                        ; implicit-def: $vgpr3
	s_branch .LBB441_614
.LBB441_610:
	s_or_saveexec_b32 s24, s24
	v_mov_b32_e32 v3, s25
	s_xor_b32 exec_lo, exec_lo, s24
	s_cbranch_execz .LBB441_591
.LBB441_611:
	v_cmp_ne_u16_e32 vcc_lo, 0, v4
	v_mov_b32_e32 v3, 0
	s_and_not1_b32 s2, s2, exec_lo
	s_and_b32 s25, vcc_lo, exec_lo
	s_delay_alu instid0(SALU_CYCLE_1)
	s_or_b32 s2, s2, s25
	s_or_b32 exec_lo, exec_lo, s24
	s_and_saveexec_b32 s24, s2
	s_cbranch_execnz .LBB441_592
	s_branch .LBB441_593
.LBB441_612:
	s_mov_b32 s3, -1
                                        ; implicit-def: $vgpr3
.LBB441_613:
	s_mov_b32 s24, 0
.LBB441_614:
	s_delay_alu instid0(SALU_CYCLE_1)
	s_and_b32 vcc_lo, exec_lo, s24
	s_cbranch_vccz .LBB441_618
; %bb.615:
	v_cmp_eq_u16_e32 vcc_lo, 11, v5
	s_cbranch_vccz .LBB441_617
; %bb.616:
	global_load_u8 v3, v[1:2], off
	s_mov_b32 s3, 0
	s_mov_b32 s2, -1
	s_waitcnt vmcnt(0)
	v_cmp_ne_u16_e32 vcc_lo, 0, v3
	v_cndmask_b32_e64 v3, 0, 1, vcc_lo
	s_branch .LBB441_618
.LBB441_617:
	s_mov_b32 s3, -1
                                        ; implicit-def: $vgpr3
.LBB441_618:
	s_mov_b32 s24, 0
.LBB441_619:
	s_delay_alu instid0(SALU_CYCLE_1)
	s_and_b32 vcc_lo, exec_lo, s24
	s_cbranch_vccz .LBB441_668
; %bb.620:
	v_cmp_gt_i16_e32 vcc_lo, 5, v5
	s_cbranch_vccnz .LBB441_625
; %bb.621:
	v_cmp_gt_i16_e32 vcc_lo, 8, v5
	s_cbranch_vccnz .LBB441_626
	;; [unrolled: 3-line block ×3, first 2 shown]
; %bb.623:
	v_cmp_lt_i16_e32 vcc_lo, 9, v5
	s_cbranch_vccz .LBB441_628
; %bb.624:
	global_load_b64 v[3:4], v[1:2], off
	s_mov_b32 s2, 0
	s_waitcnt vmcnt(0)
	v_cvt_i32_f64_e32 v3, v[3:4]
	s_branch .LBB441_629
.LBB441_625:
	s_mov_b32 s2, -1
                                        ; implicit-def: $vgpr3
	s_branch .LBB441_647
.LBB441_626:
	s_mov_b32 s2, -1
                                        ; implicit-def: $vgpr3
	s_branch .LBB441_635
.LBB441_627:
	s_mov_b32 s2, -1
                                        ; implicit-def: $vgpr3
	s_branch .LBB441_632
.LBB441_628:
	s_mov_b32 s2, -1
                                        ; implicit-def: $vgpr3
.LBB441_629:
	s_delay_alu instid0(SALU_CYCLE_1)
	s_and_not1_b32 vcc_lo, exec_lo, s2
	s_cbranch_vccnz .LBB441_631
; %bb.630:
	global_load_b32 v3, v[1:2], off
	s_waitcnt vmcnt(0)
	v_cvt_i32_f32_e32 v3, v3
.LBB441_631:
	s_mov_b32 s2, 0
.LBB441_632:
	s_delay_alu instid0(SALU_CYCLE_1)
	s_and_not1_b32 vcc_lo, exec_lo, s2
	s_cbranch_vccnz .LBB441_634
; %bb.633:
	global_load_b32 v3, v[1:2], off
	s_waitcnt vmcnt(0)
	v_cvt_f32_f16_e32 v3, v3
	s_delay_alu instid0(VALU_DEP_1)
	v_cvt_i32_f32_e32 v3, v3
.LBB441_634:
	s_mov_b32 s2, 0
.LBB441_635:
	s_delay_alu instid0(SALU_CYCLE_1)
	s_and_not1_b32 vcc_lo, exec_lo, s2
	s_cbranch_vccnz .LBB441_646
; %bb.636:
	v_cmp_gt_i16_e32 vcc_lo, 6, v5
	s_cbranch_vccnz .LBB441_639
; %bb.637:
	v_cmp_lt_i16_e32 vcc_lo, 6, v5
	s_cbranch_vccz .LBB441_640
; %bb.638:
	global_load_b64 v[3:4], v[1:2], off
	s_mov_b32 s2, 0
	s_waitcnt vmcnt(0)
	v_cvt_i32_f64_e32 v3, v[3:4]
	s_branch .LBB441_641
.LBB441_639:
	s_mov_b32 s2, -1
                                        ; implicit-def: $vgpr3
	s_branch .LBB441_644
.LBB441_640:
	s_mov_b32 s2, -1
                                        ; implicit-def: $vgpr3
.LBB441_641:
	s_delay_alu instid0(SALU_CYCLE_1)
	s_and_not1_b32 vcc_lo, exec_lo, s2
	s_cbranch_vccnz .LBB441_643
; %bb.642:
	global_load_b32 v3, v[1:2], off
	s_waitcnt vmcnt(0)
	v_cvt_i32_f32_e32 v3, v3
.LBB441_643:
	s_mov_b32 s2, 0
.LBB441_644:
	s_delay_alu instid0(SALU_CYCLE_1)
	s_and_not1_b32 vcc_lo, exec_lo, s2
	s_cbranch_vccnz .LBB441_646
; %bb.645:
	global_load_u16 v3, v[1:2], off
	s_waitcnt vmcnt(0)
	v_cvt_f32_f16_e32 v3, v3
	s_delay_alu instid0(VALU_DEP_1)
	v_cvt_i32_f32_e32 v3, v3
.LBB441_646:
	s_mov_b32 s2, 0
.LBB441_647:
	s_delay_alu instid0(SALU_CYCLE_1)
	s_and_not1_b32 vcc_lo, exec_lo, s2
	s_cbranch_vccnz .LBB441_667
; %bb.648:
	v_cmp_gt_i16_e32 vcc_lo, 2, v5
	s_cbranch_vccnz .LBB441_652
; %bb.649:
	v_cmp_gt_i16_e32 vcc_lo, 3, v5
	s_cbranch_vccnz .LBB441_653
; %bb.650:
	v_cmp_lt_i16_e32 vcc_lo, 3, v5
	s_cbranch_vccz .LBB441_654
; %bb.651:
	global_load_b32 v3, v[1:2], off
	s_mov_b32 s2, 0
	s_branch .LBB441_655
.LBB441_652:
	s_mov_b32 s2, -1
                                        ; implicit-def: $vgpr3
	s_branch .LBB441_661
.LBB441_653:
	s_mov_b32 s2, -1
                                        ; implicit-def: $vgpr3
	s_branch .LBB441_658
.LBB441_654:
	s_mov_b32 s2, -1
                                        ; implicit-def: $vgpr3
.LBB441_655:
	s_delay_alu instid0(SALU_CYCLE_1)
	s_and_not1_b32 vcc_lo, exec_lo, s2
	s_cbranch_vccnz .LBB441_657
; %bb.656:
	global_load_b32 v3, v[1:2], off
.LBB441_657:
	s_mov_b32 s2, 0
.LBB441_658:
	s_delay_alu instid0(SALU_CYCLE_1)
	s_and_not1_b32 vcc_lo, exec_lo, s2
	s_cbranch_vccnz .LBB441_660
; %bb.659:
	global_load_i16 v3, v[1:2], off
.LBB441_660:
	s_mov_b32 s2, 0
.LBB441_661:
	s_delay_alu instid0(SALU_CYCLE_1)
	s_and_not1_b32 vcc_lo, exec_lo, s2
	s_cbranch_vccnz .LBB441_667
; %bb.662:
	v_cmp_lt_i16_e32 vcc_lo, 0, v5
	s_mov_b32 s2, 0
	s_cbranch_vccz .LBB441_664
; %bb.663:
	global_load_i8 v3, v[1:2], off
	s_branch .LBB441_665
.LBB441_664:
	s_mov_b32 s2, -1
                                        ; implicit-def: $vgpr3
.LBB441_665:
	s_delay_alu instid0(SALU_CYCLE_1)
	s_and_not1_b32 vcc_lo, exec_lo, s2
	s_cbranch_vccnz .LBB441_667
; %bb.666:
	global_load_u8 v3, v[1:2], off
.LBB441_667:
	s_mov_b32 s2, -1
.LBB441_668:
	s_delay_alu instid0(SALU_CYCLE_1)
	s_and_not1_b32 vcc_lo, exec_lo, s2
	s_cbranch_vccnz .LBB441_676
; %bb.669:
	v_and_b32_e64 v6, 0xff, s19
	s_waitcnt vmcnt(0)
	s_delay_alu instid0(VALU_DEP_2) | instskip(SKIP_1) | instid1(VALU_DEP_1)
	v_min_i32_e32 v1, s18, v3
	v_add_co_u32 v3, s2, s4, v0
	v_add_co_ci_u32_e64 v4, null, s5, 0, s2
	v_cmp_gt_i16_e32 vcc_lo, 11, v6
	s_mov_b32 s24, 0
	s_mov_b32 s25, -1
	s_mov_b32 s2, s40
	s_cbranch_vccnz .LBB441_677
; %bb.670:
	v_cmp_lt_i16_e32 vcc_lo, 25, v6
	s_cbranch_vccz .LBB441_718
; %bb.671:
	v_cmp_lt_i16_e32 vcc_lo, 28, v6
	s_cbranch_vccz .LBB441_719
	;; [unrolled: 3-line block ×4, first 2 shown]
; %bb.674:
	v_cmp_eq_u16_e32 vcc_lo, 46, v6
	s_mov_b32 s25, 0
	s_mov_b32 s2, -1
	s_cbranch_vccz .LBB441_722
; %bb.675:
	v_cvt_f32_i32_e32 v0, v1
	s_mov_b32 s24, -1
	s_mov_b32 s2, 0
	s_delay_alu instid0(VALU_DEP_1) | instskip(NEXT) | instid1(VALU_DEP_1)
	v_bfe_u32 v2, v0, 16, 1
	v_add3_u32 v0, v0, v2, 0x7fff
	s_delay_alu instid0(VALU_DEP_1)
	v_lshrrev_b32_e32 v0, 16, v0
	global_store_b32 v[3:4], v0, off
	s_branch .LBB441_722
.LBB441_676:
	s_mov_b32 s43, 0
	s_mov_b32 s2, s40
	s_branch .LBB441_717
.LBB441_677:
	s_and_b32 vcc_lo, exec_lo, s25
	s_cbranch_vccz .LBB441_791
; %bb.678:
	v_cmp_gt_i16_e32 vcc_lo, 5, v6
	s_mov_b32 s24, -1
	s_cbranch_vccnz .LBB441_699
; %bb.679:
	v_cmp_gt_i16_e32 vcc_lo, 8, v6
	s_cbranch_vccnz .LBB441_689
; %bb.680:
	v_cmp_gt_i16_e32 vcc_lo, 9, v6
	s_cbranch_vccnz .LBB441_686
; %bb.681:
	v_cmp_lt_i16_e32 vcc_lo, 9, v6
	s_cbranch_vccz .LBB441_683
; %bb.682:
	v_cvt_f64_i32_e32 v[9:10], v1
	v_mov_b32_e32 v11, 0
	s_mov_b32 s24, 0
	s_delay_alu instid0(VALU_DEP_1)
	v_mov_b32_e32 v12, v11
	global_store_b128 v[3:4], v[9:12], off
.LBB441_683:
	s_and_not1_b32 vcc_lo, exec_lo, s24
	s_cbranch_vccnz .LBB441_685
; %bb.684:
	v_cvt_f32_i32_e32 v9, v1
	v_mov_b32_e32 v10, 0
	global_store_b64 v[3:4], v[9:10], off
.LBB441_685:
	s_mov_b32 s24, 0
.LBB441_686:
	s_delay_alu instid0(SALU_CYCLE_1)
	s_and_not1_b32 vcc_lo, exec_lo, s24
	s_cbranch_vccnz .LBB441_688
; %bb.687:
	v_cvt_f32_i32_e32 v0, v1
	s_delay_alu instid0(VALU_DEP_1) | instskip(NEXT) | instid1(VALU_DEP_1)
	v_cvt_f16_f32_e32 v0, v0
	v_and_b32_e32 v0, 0xffff, v0
	global_store_b32 v[3:4], v0, off
.LBB441_688:
	s_mov_b32 s24, 0
.LBB441_689:
	s_delay_alu instid0(SALU_CYCLE_1)
	s_and_not1_b32 vcc_lo, exec_lo, s24
	s_cbranch_vccnz .LBB441_698
; %bb.690:
	v_cmp_gt_i16_e32 vcc_lo, 6, v6
	s_mov_b32 s24, -1
	s_cbranch_vccnz .LBB441_696
; %bb.691:
	v_cmp_lt_i16_e32 vcc_lo, 6, v6
	s_cbranch_vccz .LBB441_693
; %bb.692:
	v_cvt_f64_i32_e32 v[9:10], v1
	s_mov_b32 s24, 0
	global_store_b64 v[3:4], v[9:10], off
.LBB441_693:
	s_and_not1_b32 vcc_lo, exec_lo, s24
	s_cbranch_vccnz .LBB441_695
; %bb.694:
	v_cvt_f32_i32_e32 v0, v1
	global_store_b32 v[3:4], v0, off
.LBB441_695:
	s_mov_b32 s24, 0
.LBB441_696:
	s_delay_alu instid0(SALU_CYCLE_1)
	s_and_not1_b32 vcc_lo, exec_lo, s24
	s_cbranch_vccnz .LBB441_698
; %bb.697:
	v_cvt_f32_i32_e32 v0, v1
	s_delay_alu instid0(VALU_DEP_1)
	v_cvt_f16_f32_e32 v0, v0
	global_store_b16 v[3:4], v0, off
.LBB441_698:
	s_mov_b32 s24, 0
.LBB441_699:
	s_delay_alu instid0(SALU_CYCLE_1)
	s_and_not1_b32 vcc_lo, exec_lo, s24
	s_cbranch_vccnz .LBB441_715
; %bb.700:
	v_cmp_gt_i16_e32 vcc_lo, 2, v6
	s_mov_b32 s24, -1
	s_cbranch_vccnz .LBB441_710
; %bb.701:
	v_cmp_gt_i16_e32 vcc_lo, 3, v6
	s_cbranch_vccnz .LBB441_707
; %bb.702:
	v_cmp_lt_i16_e32 vcc_lo, 3, v6
	s_cbranch_vccz .LBB441_704
; %bb.703:
	v_ashrrev_i32_e32 v2, 31, v1
	s_mov_b32 s24, 0
	global_store_b64 v[3:4], v[1:2], off
.LBB441_704:
	s_and_not1_b32 vcc_lo, exec_lo, s24
	s_cbranch_vccnz .LBB441_706
; %bb.705:
	global_store_b32 v[3:4], v1, off
.LBB441_706:
	s_mov_b32 s24, 0
.LBB441_707:
	s_delay_alu instid0(SALU_CYCLE_1)
	s_and_not1_b32 vcc_lo, exec_lo, s24
	s_cbranch_vccnz .LBB441_709
; %bb.708:
	global_store_b16 v[3:4], v1, off
.LBB441_709:
	s_mov_b32 s24, 0
.LBB441_710:
	s_delay_alu instid0(SALU_CYCLE_1)
	s_and_not1_b32 vcc_lo, exec_lo, s24
	s_cbranch_vccnz .LBB441_715
; %bb.711:
	v_cmp_lt_i16_e32 vcc_lo, 0, v6
	s_mov_b32 s24, -1
	s_cbranch_vccz .LBB441_713
; %bb.712:
	s_mov_b32 s24, 0
	global_store_b8 v[3:4], v1, off
.LBB441_713:
	s_and_not1_b32 vcc_lo, exec_lo, s24
	s_cbranch_vccnz .LBB441_715
; %bb.714:
	global_store_b8 v[3:4], v1, off
.LBB441_715:
	s_branch .LBB441_792
.LBB441_716:
	s_mov_b32 s43, 0
.LBB441_717:
                                        ; implicit-def: $vgpr8
	s_branch .LBB441_793
.LBB441_718:
	s_mov_b32 s2, s40
	s_branch .LBB441_749
.LBB441_719:
	s_mov_b32 s2, s40
	s_branch .LBB441_732
.LBB441_720:
	s_mov_b32 s2, s40
	s_branch .LBB441_728
.LBB441_721:
	s_mov_b32 s2, s40
.LBB441_722:
	s_and_b32 vcc_lo, exec_lo, s25
	s_cbranch_vccz .LBB441_727
; %bb.723:
	v_cmp_eq_u16_e32 vcc_lo, 44, v6
	s_mov_b32 s2, -1
	s_cbranch_vccz .LBB441_727
; %bb.724:
	v_cvt_f32_i32_e32 v0, v1
	v_mov_b32_e32 v2, 0xff
	s_mov_b32 s24, exec_lo
	s_delay_alu instid0(VALU_DEP_2) | instskip(NEXT) | instid1(VALU_DEP_1)
	v_bfe_u32 v7, v0, 23, 8
	v_cmpx_ne_u32_e32 0xff, v7
; %bb.725:
	v_and_b32_e32 v2, 0x400000, v0
	v_and_or_b32 v7, 0x3fffff, v0, v7
	v_lshrrev_b32_e32 v0, 23, v0
	s_delay_alu instid0(VALU_DEP_3) | instskip(NEXT) | instid1(VALU_DEP_3)
	v_cmp_ne_u32_e32 vcc_lo, 0, v2
	v_cmp_ne_u32_e64 s2, 0, v7
	s_delay_alu instid0(VALU_DEP_1) | instskip(NEXT) | instid1(SALU_CYCLE_1)
	s_and_b32 s2, vcc_lo, s2
	v_cndmask_b32_e64 v2, 0, 1, s2
	s_delay_alu instid0(VALU_DEP_1)
	v_add_nc_u32_e32 v2, v0, v2
; %bb.726:
	s_or_b32 exec_lo, exec_lo, s24
	s_mov_b32 s24, -1
	s_mov_b32 s2, 0
	global_store_b8 v[3:4], v2, off
.LBB441_727:
	s_mov_b32 s25, 0
.LBB441_728:
	s_delay_alu instid0(SALU_CYCLE_1)
	s_and_b32 vcc_lo, exec_lo, s25
	s_cbranch_vccz .LBB441_731
; %bb.729:
	v_cmp_eq_u16_e32 vcc_lo, 29, v6
	s_mov_b32 s2, -1
	s_cbranch_vccz .LBB441_731
; %bb.730:
	v_ashrrev_i32_e32 v2, 31, v1
	s_mov_b32 s24, -1
	s_mov_b32 s2, 0
	s_mov_b32 s25, 0
	global_store_b64 v[3:4], v[1:2], off
	s_branch .LBB441_732
.LBB441_731:
	s_mov_b32 s25, 0
.LBB441_732:
	s_delay_alu instid0(SALU_CYCLE_1)
	s_and_b32 vcc_lo, exec_lo, s25
	s_cbranch_vccz .LBB441_748
; %bb.733:
	v_cmp_gt_i16_e32 vcc_lo, 27, v6
	s_mov_b32 s24, -1
	s_cbranch_vccnz .LBB441_739
; %bb.734:
	v_cmp_lt_i16_e32 vcc_lo, 27, v6
	s_cbranch_vccz .LBB441_736
; %bb.735:
	s_mov_b32 s24, 0
	global_store_b32 v[3:4], v1, off
.LBB441_736:
	s_and_not1_b32 vcc_lo, exec_lo, s24
	s_cbranch_vccnz .LBB441_738
; %bb.737:
	global_store_b16 v[3:4], v1, off
.LBB441_738:
	s_mov_b32 s24, 0
.LBB441_739:
	s_delay_alu instid0(SALU_CYCLE_1)
	s_and_not1_b32 vcc_lo, exec_lo, s24
	s_cbranch_vccnz .LBB441_747
; %bb.740:
	v_cvt_f32_i32_e32 v0, v1
	v_mov_b32_e32 v7, 0x80
	s_mov_b32 s24, exec_lo
	s_delay_alu instid0(VALU_DEP_2) | instskip(NEXT) | instid1(VALU_DEP_1)
	v_and_b32_e32 v2, 0x7fffffff, v0
	v_cmpx_gt_u32_e32 0x43800000, v2
	s_cbranch_execz .LBB441_746
; %bb.741:
	v_cmp_lt_u32_e32 vcc_lo, 0x3bffffff, v2
	s_mov_b32 s25, 0
                                        ; implicit-def: $vgpr2
	s_and_saveexec_b32 s43, vcc_lo
	s_delay_alu instid0(SALU_CYCLE_1)
	s_xor_b32 s43, exec_lo, s43
	s_cbranch_execz .LBB441_820
; %bb.742:
	v_bfe_u32 v2, v0, 20, 1
	s_mov_b32 s25, exec_lo
	s_delay_alu instid0(VALU_DEP_1) | instskip(NEXT) | instid1(VALU_DEP_1)
	v_add3_u32 v2, v0, v2, 0x487ffff
	v_lshrrev_b32_e32 v2, 20, v2
	s_or_saveexec_b32 s43, s43
                                        ; implicit-def: $sgpr44
	s_delay_alu instid0(SALU_CYCLE_1)
	s_xor_b32 exec_lo, exec_lo, s43
	s_cbranch_execnz .LBB441_821
.LBB441_743:
	s_or_b32 exec_lo, exec_lo, s43
	v_mov_b32_e32 v7, s44
	s_and_saveexec_b32 s43, s25
.LBB441_744:
	v_lshrrev_b32_e32 v0, 24, v0
	s_delay_alu instid0(VALU_DEP_1)
	v_and_or_b32 v7, 0x80, v0, v2
.LBB441_745:
	s_or_b32 exec_lo, exec_lo, s43
.LBB441_746:
	s_delay_alu instid0(SALU_CYCLE_1)
	s_or_b32 exec_lo, exec_lo, s24
	global_store_b8 v[3:4], v7, off
.LBB441_747:
	s_mov_b32 s24, -1
.LBB441_748:
	s_mov_b32 s25, 0
.LBB441_749:
	s_delay_alu instid0(SALU_CYCLE_1)
	s_and_b32 vcc_lo, exec_lo, s25
	s_cbranch_vccz .LBB441_790
; %bb.750:
	v_cmp_lt_i16_e32 vcc_lo, 22, v6
	s_mov_b32 s25, -1
	s_cbranch_vccz .LBB441_782
; %bb.751:
	v_cmp_gt_i16_e32 vcc_lo, 24, v6
	s_mov_b32 s24, -1
	s_cbranch_vccnz .LBB441_771
; %bb.752:
	v_cmp_lt_i16_e32 vcc_lo, 24, v6
	s_cbranch_vccz .LBB441_760
; %bb.753:
	v_cvt_f32_i32_e32 v0, v1
	v_mov_b32_e32 v7, 0x80
	s_mov_b32 s24, exec_lo
	s_delay_alu instid0(VALU_DEP_2) | instskip(NEXT) | instid1(VALU_DEP_1)
	v_and_b32_e32 v2, 0x7fffffff, v0
	v_cmpx_gt_u32_e32 0x47800000, v2
	s_cbranch_execz .LBB441_759
; %bb.754:
	v_cmp_lt_u32_e32 vcc_lo, 0x37ffffff, v2
	s_mov_b32 s25, 0
                                        ; implicit-def: $vgpr2
	s_and_saveexec_b32 s43, vcc_lo
	s_delay_alu instid0(SALU_CYCLE_1)
	s_xor_b32 s43, exec_lo, s43
	s_cbranch_execz .LBB441_823
; %bb.755:
	v_bfe_u32 v2, v0, 21, 1
	s_mov_b32 s25, exec_lo
	s_delay_alu instid0(VALU_DEP_1) | instskip(NEXT) | instid1(VALU_DEP_1)
	v_add3_u32 v2, v0, v2, 0x88fffff
	v_lshrrev_b32_e32 v2, 21, v2
	s_or_saveexec_b32 s43, s43
                                        ; implicit-def: $sgpr44
	s_delay_alu instid0(SALU_CYCLE_1)
	s_xor_b32 exec_lo, exec_lo, s43
	s_cbranch_execnz .LBB441_824
.LBB441_756:
	s_or_b32 exec_lo, exec_lo, s43
	v_mov_b32_e32 v7, s44
	s_and_saveexec_b32 s43, s25
.LBB441_757:
	v_lshrrev_b32_e32 v0, 24, v0
	s_delay_alu instid0(VALU_DEP_1)
	v_and_or_b32 v7, 0x80, v0, v2
.LBB441_758:
	s_or_b32 exec_lo, exec_lo, s43
.LBB441_759:
	s_delay_alu instid0(SALU_CYCLE_1)
	s_or_b32 exec_lo, exec_lo, s24
	s_mov_b32 s24, 0
	global_store_b8 v[3:4], v7, off
.LBB441_760:
	s_and_b32 vcc_lo, exec_lo, s24
	s_cbranch_vccz .LBB441_770
; %bb.761:
	v_cvt_f32_i32_e32 v0, v1
	s_mov_b32 s24, exec_lo
                                        ; implicit-def: $vgpr2
	s_delay_alu instid0(VALU_DEP_1) | instskip(NEXT) | instid1(VALU_DEP_1)
	v_and_b32_e32 v7, 0x7fffffff, v0
	v_cmpx_gt_u32_e32 0x43f00000, v7
	s_xor_b32 s24, exec_lo, s24
	s_cbranch_execz .LBB441_767
; %bb.762:
	s_mov_b32 s25, exec_lo
                                        ; implicit-def: $vgpr2
	v_cmpx_lt_u32_e32 0x3c7fffff, v7
	s_xor_b32 s25, exec_lo, s25
; %bb.763:
	v_bfe_u32 v2, v0, 20, 1
	s_delay_alu instid0(VALU_DEP_1) | instskip(NEXT) | instid1(VALU_DEP_1)
	v_add3_u32 v2, v0, v2, 0x407ffff
	v_and_b32_e32 v7, 0xff00000, v2
	v_lshrrev_b32_e32 v2, 20, v2
	s_delay_alu instid0(VALU_DEP_2) | instskip(NEXT) | instid1(VALU_DEP_2)
	v_cmp_ne_u32_e32 vcc_lo, 0x7f00000, v7
	v_cndmask_b32_e32 v2, 0x7e, v2, vcc_lo
; %bb.764:
	s_and_not1_saveexec_b32 s25, s25
; %bb.765:
	v_add_f32_e64 v2, 0x46800000, |v0|
; %bb.766:
	s_or_b32 exec_lo, exec_lo, s25
                                        ; implicit-def: $vgpr7
.LBB441_767:
	s_and_not1_saveexec_b32 s24, s24
; %bb.768:
	v_mov_b32_e32 v2, 0x7f
	v_cmp_lt_u32_e32 vcc_lo, 0x7f800000, v7
	s_delay_alu instid0(VALU_DEP_2)
	v_cndmask_b32_e32 v2, 0x7e, v2, vcc_lo
; %bb.769:
	s_or_b32 exec_lo, exec_lo, s24
	v_lshrrev_b32_e32 v0, 24, v0
	s_delay_alu instid0(VALU_DEP_1)
	v_and_or_b32 v0, 0x80, v0, v2
	global_store_b8 v[3:4], v0, off
.LBB441_770:
	s_mov_b32 s24, 0
.LBB441_771:
	s_delay_alu instid0(SALU_CYCLE_1)
	s_and_not1_b32 vcc_lo, exec_lo, s24
	s_cbranch_vccnz .LBB441_781
; %bb.772:
	v_cvt_f32_i32_e32 v0, v1
	s_mov_b32 s24, exec_lo
                                        ; implicit-def: $vgpr2
	s_delay_alu instid0(VALU_DEP_1) | instskip(NEXT) | instid1(VALU_DEP_1)
	v_and_b32_e32 v7, 0x7fffffff, v0
	v_cmpx_gt_u32_e32 0x47800000, v7
	s_xor_b32 s24, exec_lo, s24
	s_cbranch_execz .LBB441_778
; %bb.773:
	s_mov_b32 s25, exec_lo
                                        ; implicit-def: $vgpr2
	v_cmpx_lt_u32_e32 0x387fffff, v7
	s_xor_b32 s25, exec_lo, s25
; %bb.774:
	v_bfe_u32 v2, v0, 21, 1
	s_delay_alu instid0(VALU_DEP_1) | instskip(NEXT) | instid1(VALU_DEP_1)
	v_add3_u32 v2, v0, v2, 0x80fffff
	v_lshrrev_b32_e32 v2, 21, v2
; %bb.775:
	s_and_not1_saveexec_b32 s25, s25
; %bb.776:
	v_add_f32_e64 v2, 0x43000000, |v0|
; %bb.777:
	s_or_b32 exec_lo, exec_lo, s25
                                        ; implicit-def: $vgpr7
.LBB441_778:
	s_and_not1_saveexec_b32 s24, s24
; %bb.779:
	v_mov_b32_e32 v2, 0x7f
	v_cmp_lt_u32_e32 vcc_lo, 0x7f800000, v7
	s_delay_alu instid0(VALU_DEP_2)
	v_cndmask_b32_e32 v2, 0x7c, v2, vcc_lo
; %bb.780:
	s_or_b32 exec_lo, exec_lo, s24
	v_lshrrev_b32_e32 v0, 24, v0
	s_delay_alu instid0(VALU_DEP_1)
	v_and_or_b32 v0, 0x80, v0, v2
	global_store_b8 v[3:4], v0, off
.LBB441_781:
	s_mov_b32 s25, 0
	s_mov_b32 s24, -1
.LBB441_782:
	s_and_not1_b32 vcc_lo, exec_lo, s25
	s_cbranch_vccnz .LBB441_790
; %bb.783:
	v_cmp_lt_i16_e32 vcc_lo, 14, v6
	s_mov_b32 s25, -1
	s_cbranch_vccz .LBB441_787
; %bb.784:
	v_cmp_eq_u16_e32 vcc_lo, 15, v6
	s_mov_b32 s2, -1
	s_cbranch_vccz .LBB441_786
; %bb.785:
	v_cvt_f32_i32_e32 v0, v1
	s_mov_b32 s24, -1
	s_mov_b32 s2, 0
	s_delay_alu instid0(VALU_DEP_1) | instskip(NEXT) | instid1(VALU_DEP_1)
	v_bfe_u32 v2, v0, 16, 1
	v_add3_u32 v0, v0, v2, 0x7fff
	global_store_d16_hi_b16 v[3:4], v0, off
.LBB441_786:
	s_mov_b32 s25, 0
.LBB441_787:
	s_delay_alu instid0(SALU_CYCLE_1)
	s_and_b32 vcc_lo, exec_lo, s25
	s_cbranch_vccz .LBB441_790
; %bb.788:
	v_cmp_eq_u16_e32 vcc_lo, 11, v6
	s_mov_b32 s2, -1
	s_cbranch_vccz .LBB441_790
; %bb.789:
	v_cmp_ne_u32_e32 vcc_lo, 0, v1
	s_mov_b32 s2, 0
	s_mov_b32 s24, -1
	v_cndmask_b32_e64 v0, 0, 1, vcc_lo
	global_store_b8 v[3:4], v0, off
.LBB441_790:
.LBB441_791:
	s_and_not1_b32 vcc_lo, exec_lo, s24
	s_cbranch_vccnz .LBB441_716
.LBB441_792:
	v_add_nc_u32_e32 v8, 0x80, v8
	s_mov_b32 s43, -1
.LBB441_793:
	s_and_not1_b32 s24, s40, exec_lo
	s_and_b32 s2, s2, exec_lo
	s_and_not1_b32 s44, s39, exec_lo
	s_and_b32 s3, s3, exec_lo
	s_or_b32 s25, s24, s2
	s_or_b32 s24, s44, s3
	s_or_not1_b32 s44, s43, exec_lo
.LBB441_794:
	s_or_b32 exec_lo, exec_lo, s42
	s_mov_b32 s2, 0
	s_mov_b32 s3, 0
	;; [unrolled: 1-line block ×3, first 2 shown]
                                        ; implicit-def: $vgpr1_vgpr2
                                        ; implicit-def: $vgpr0
                                        ; implicit-def: $vgpr6
	s_and_saveexec_b32 s42, s44
	s_cbranch_execz .LBB441_888
; %bb.795:
	v_cmp_gt_i32_e32 vcc_lo, s33, v8
	s_mov_b32 s45, s24
	s_mov_b32 s44, 0
                                        ; implicit-def: $vgpr1_vgpr2
                                        ; implicit-def: $vgpr0
                                        ; implicit-def: $vgpr6
	s_and_saveexec_b32 s33, vcc_lo
	s_cbranch_execz .LBB441_887
; %bb.796:
	s_and_not1_b32 vcc_lo, exec_lo, s29
	s_cbranch_vccnz .LBB441_801
; %bb.797:
	v_dual_mov_b32 v0, 0 :: v_dual_mov_b32 v1, 0
	s_and_not1_b32 vcc_lo, exec_lo, s35
	s_mov_b32 s35, 0
	s_cbranch_vccnz .LBB441_806
; %bb.798:
	v_mov_b32_e32 v0, 0
	s_add_i32 s43, s34, 1
	s_cmp_eq_u32 s27, 2
	s_mov_b32 s34, 0
	s_cbranch_scc1 .LBB441_802
; %bb.799:
	v_dual_mov_b32 v1, 0 :: v_dual_mov_b32 v0, 0
	v_mov_b32_e32 v2, v8
	s_and_b32 s34, s43, 28
	s_mov_b64 s[2:3], s[16:17]
.LBB441_800:                            ; =>This Inner Loop Header: Depth=1
	s_clause 0x1
	s_load_b256 s[48:55], s[2:3], 0x4
	s_load_b128 s[64:67], s[2:3], 0x24
	s_load_b256 s[56:63], s[22:23], 0x0
	s_add_u32 s2, s2, 48
	s_addc_u32 s3, s3, 0
	s_add_i32 s44, s44, 4
	s_add_u32 s22, s22, 32
	s_addc_u32 s23, s23, 0
	s_cmp_eq_u32 s34, s44
	s_waitcnt vmcnt(0) lgkmcnt(0)
	v_mul_hi_u32 v3, s49, v2
	s_delay_alu instid0(VALU_DEP_1) | instskip(NEXT) | instid1(VALU_DEP_1)
	v_add_nc_u32_e32 v3, v2, v3
	v_lshrrev_b32_e32 v3, s50, v3
	s_delay_alu instid0(VALU_DEP_1) | instskip(SKIP_1) | instid1(VALU_DEP_2)
	v_mul_hi_u32 v4, s52, v3
	v_mul_lo_u32 v7, v3, s48
	v_add_nc_u32_e32 v4, v3, v4
	s_delay_alu instid0(VALU_DEP_2) | instskip(NEXT) | instid1(VALU_DEP_2)
	v_sub_nc_u32_e32 v2, v2, v7
	v_lshrrev_b32_e32 v4, s53, v4
	s_delay_alu instid0(VALU_DEP_2) | instskip(SKIP_1) | instid1(VALU_DEP_3)
	v_mul_lo_u32 v7, v2, s56
	v_mul_lo_u32 v10, v2, s57
	v_mul_hi_u32 v6, s55, v4
	s_delay_alu instid0(VALU_DEP_1) | instskip(NEXT) | instid1(VALU_DEP_1)
	v_add_nc_u32_e32 v6, v4, v6
	v_lshrrev_b32_e32 v6, s64, v6
	s_delay_alu instid0(VALU_DEP_1) | instskip(SKIP_1) | instid1(VALU_DEP_2)
	v_mul_hi_u32 v9, s66, v6
	v_mul_lo_u32 v11, v6, s54
	v_add_nc_u32_e32 v2, v6, v9
	v_mul_lo_u32 v9, v4, s51
	s_delay_alu instid0(VALU_DEP_3) | instskip(NEXT) | instid1(VALU_DEP_3)
	v_sub_nc_u32_e32 v4, v4, v11
	v_lshrrev_b32_e32 v2, s67, v2
	s_delay_alu instid0(VALU_DEP_2) | instskip(SKIP_2) | instid1(VALU_DEP_4)
	v_mul_lo_u32 v11, v4, s60
	v_mul_lo_u32 v4, v4, s61
	v_sub_nc_u32_e32 v3, v3, v9
	v_mul_lo_u32 v12, v2, s65
	s_delay_alu instid0(VALU_DEP_2) | instskip(SKIP_1) | instid1(VALU_DEP_3)
	v_mul_lo_u32 v9, v3, s58
	v_mul_lo_u32 v3, v3, s59
	v_sub_nc_u32_e32 v6, v6, v12
	s_delay_alu instid0(VALU_DEP_3) | instskip(NEXT) | instid1(VALU_DEP_2)
	v_add3_u32 v0, v7, v0, v9
	v_mul_lo_u32 v12, v6, s62
	v_mul_lo_u32 v6, v6, s63
	v_add3_u32 v1, v10, v1, v3
	s_delay_alu instid0(VALU_DEP_3) | instskip(NEXT) | instid1(VALU_DEP_2)
	v_add3_u32 v0, v11, v0, v12
	v_add3_u32 v1, v4, v1, v6
	s_cbranch_scc0 .LBB441_800
	s_branch .LBB441_803
.LBB441_801:
	s_mov_b32 s35, -1
                                        ; implicit-def: $vgpr0
                                        ; implicit-def: $vgpr1
	s_branch .LBB441_806
.LBB441_802:
	v_dual_mov_b32 v2, v8 :: v_dual_mov_b32 v1, 0
.LBB441_803:
	s_and_b32 s43, s43, 3
	s_delay_alu instid0(SALU_CYCLE_1)
	s_cmp_eq_u32 s43, 0
	s_cbranch_scc1 .LBB441_806
; %bb.804:
	s_lshl_b32 s2, s34, 3
	s_mul_i32 s22, s34, 12
	s_add_u32 s2, s2, s16
	s_addc_u32 s3, s17, 0
	s_add_u32 s2, s2, 0xc4
	s_addc_u32 s3, s3, 0
	;; [unrolled: 2-line block ×3, first 2 shown]
.LBB441_805:                            ; =>This Inner Loop Header: Depth=1
	s_clause 0x1
	s_load_b64 s[44:45], s[22:23], 0x4
	s_load_b32 s34, s[22:23], 0xc
	s_load_b64 s[46:47], s[2:3], 0x0
	s_add_u32 s22, s22, 12
	s_addc_u32 s23, s23, 0
	s_add_u32 s2, s2, 8
	s_addc_u32 s3, s3, 0
	s_add_i32 s43, s43, -1
	s_delay_alu instid0(SALU_CYCLE_1) | instskip(SKIP_2) | instid1(VALU_DEP_1)
	s_cmp_lg_u32 s43, 0
	s_waitcnt vmcnt(0) lgkmcnt(0)
	v_mul_hi_u32 v3, s45, v2
	v_add_nc_u32_e32 v3, v2, v3
	s_delay_alu instid0(VALU_DEP_1) | instskip(NEXT) | instid1(VALU_DEP_1)
	v_lshrrev_b32_e32 v9, s34, v3
	v_mul_lo_u32 v3, v9, s44
	s_delay_alu instid0(VALU_DEP_1) | instskip(NEXT) | instid1(VALU_DEP_1)
	v_sub_nc_u32_e32 v2, v2, v3
	v_mad_u64_u32 v[3:4], null, v2, s46, v[0:1]
	v_mad_u64_u32 v[6:7], null, v2, s47, v[1:2]
	v_mov_b32_e32 v2, v9
	s_delay_alu instid0(VALU_DEP_2)
	v_dual_mov_b32 v0, v3 :: v_dual_mov_b32 v1, v6
	s_cbranch_scc1 .LBB441_805
.LBB441_806:
	s_and_not1_b32 vcc_lo, exec_lo, s35
	s_cbranch_vccnz .LBB441_809
; %bb.807:
	v_mul_hi_u32 v0, s13, v8
	s_and_not1_b32 vcc_lo, exec_lo, s31
	s_delay_alu instid0(VALU_DEP_1) | instskip(NEXT) | instid1(VALU_DEP_1)
	v_add_nc_u32_e32 v0, v8, v0
	v_lshrrev_b32_e32 v2, s14, v0
	s_delay_alu instid0(VALU_DEP_1) | instskip(NEXT) | instid1(VALU_DEP_1)
	v_mul_lo_u32 v0, v2, s12
	v_sub_nc_u32_e32 v1, v8, v0
	s_delay_alu instid0(VALU_DEP_1)
	v_mul_lo_u32 v0, v1, s8
	v_mul_lo_u32 v1, v1, s9
	s_cbranch_vccnz .LBB441_809
; %bb.808:
	s_waitcnt vmcnt(0)
	v_mul_hi_u32 v3, s20, v2
	s_delay_alu instid0(VALU_DEP_1) | instskip(NEXT) | instid1(VALU_DEP_1)
	v_add_nc_u32_e32 v3, v2, v3
	v_lshrrev_b32_e32 v3, s21, v3
	s_delay_alu instid0(VALU_DEP_1) | instskip(NEXT) | instid1(VALU_DEP_1)
	v_mul_lo_u32 v3, v3, s15
	v_sub_nc_u32_e32 v6, v2, v3
	s_delay_alu instid0(VALU_DEP_1) | instskip(NEXT) | instid1(VALU_DEP_1)
	v_mad_u64_u32 v[2:3], null, v6, s10, v[0:1]
	v_mad_u64_u32 v[3:4], null, v6, s11, v[1:2]
	s_delay_alu instid0(VALU_DEP_1)
	v_dual_mov_b32 v0, v2 :: v_dual_mov_b32 v1, v3
.LBB441_809:
	v_cmp_gt_i16_e32 vcc_lo, 11, v5
	s_delay_alu instid0(VALU_DEP_2) | instskip(NEXT) | instid1(VALU_DEP_1)
	v_add_co_u32 v1, s2, s6, v1
	v_add_co_ci_u32_e64 v2, null, s7, 0, s2
	s_mov_b32 s6, 0
	s_cbranch_vccnz .LBB441_816
; %bb.810:
	v_cmp_lt_i16_e32 vcc_lo, 25, v5
	s_mov_b32 s3, 0
	s_cbranch_vccz .LBB441_817
; %bb.811:
	v_cmp_lt_i16_e32 vcc_lo, 28, v5
	s_cbranch_vccz .LBB441_818
; %bb.812:
	v_cmp_lt_i16_e32 vcc_lo, 43, v5
	;; [unrolled: 3-line block ×3, first 2 shown]
	s_cbranch_vccz .LBB441_822
; %bb.814:
	v_cmp_eq_u16_e32 vcc_lo, 46, v5
	s_mov_b32 s7, 0
	s_cbranch_vccz .LBB441_825
; %bb.815:
	global_load_b32 v3, v[1:2], off
	s_mov_b32 s2, 0
	s_mov_b32 s6, -1
	s_waitcnt vmcnt(0)
	v_lshlrev_b32_e32 v3, 16, v3
	s_delay_alu instid0(VALU_DEP_1)
	v_cvt_i32_f32_e32 v6, v3
	s_branch .LBB441_827
.LBB441_816:
	s_mov_b32 s7, -1
	s_mov_b32 s3, 0
	s_mov_b32 s2, s24
                                        ; implicit-def: $vgpr6
	s_branch .LBB441_886
.LBB441_817:
	s_mov_b32 s7, -1
	s_mov_b32 s2, s24
                                        ; implicit-def: $vgpr6
	s_branch .LBB441_854
.LBB441_818:
	s_mov_b32 s7, -1
	s_mov_b32 s2, s24
                                        ; implicit-def: $vgpr6
	s_branch .LBB441_837
.LBB441_819:
	s_mov_b32 s7, -1
	s_mov_b32 s2, s24
                                        ; implicit-def: $vgpr6
	s_branch .LBB441_832
.LBB441_820:
	s_or_saveexec_b32 s43, s43
                                        ; implicit-def: $sgpr44
	s_delay_alu instid0(SALU_CYCLE_1)
	s_xor_b32 exec_lo, exec_lo, s43
	s_cbranch_execz .LBB441_743
.LBB441_821:
	v_add_f32_e64 v2, 0x46000000, |v0|
	s_and_not1_b32 s25, s25, exec_lo
	s_mov_b32 s44, 0
	s_delay_alu instid0(VALU_DEP_1) | instskip(NEXT) | instid1(VALU_DEP_1)
	v_and_b32_e32 v2, 0xff, v2
	v_cmp_ne_u32_e32 vcc_lo, 0, v2
	s_and_b32 s45, vcc_lo, exec_lo
	s_delay_alu instid0(SALU_CYCLE_1)
	s_or_b32 s25, s25, s45
	s_or_b32 exec_lo, exec_lo, s43
	v_mov_b32_e32 v7, s44
	s_and_saveexec_b32 s43, s25
	s_cbranch_execnz .LBB441_744
	s_branch .LBB441_745
.LBB441_822:
	s_mov_b32 s7, -1
	s_mov_b32 s2, s24
	s_branch .LBB441_826
.LBB441_823:
	s_or_saveexec_b32 s43, s43
                                        ; implicit-def: $sgpr44
	s_delay_alu instid0(SALU_CYCLE_1)
	s_xor_b32 exec_lo, exec_lo, s43
	s_cbranch_execz .LBB441_756
.LBB441_824:
	v_add_f32_e64 v2, 0x42800000, |v0|
	s_and_not1_b32 s25, s25, exec_lo
	s_mov_b32 s44, 0
	s_delay_alu instid0(VALU_DEP_1) | instskip(NEXT) | instid1(VALU_DEP_1)
	v_and_b32_e32 v2, 0xff, v2
	v_cmp_ne_u32_e32 vcc_lo, 0, v2
	s_and_b32 s45, vcc_lo, exec_lo
	s_delay_alu instid0(SALU_CYCLE_1)
	s_or_b32 s25, s25, s45
	s_or_b32 exec_lo, exec_lo, s43
	v_mov_b32_e32 v7, s44
	s_and_saveexec_b32 s43, s25
	s_cbranch_execnz .LBB441_757
	s_branch .LBB441_758
.LBB441_825:
	s_mov_b32 s2, -1
.LBB441_826:
                                        ; implicit-def: $vgpr6
.LBB441_827:
	s_and_b32 vcc_lo, exec_lo, s7
	s_cbranch_vccz .LBB441_831
; %bb.828:
	v_cmp_eq_u16_e32 vcc_lo, 44, v5
	s_cbranch_vccz .LBB441_830
; %bb.829:
	global_load_u8 v3, v[1:2], off
	s_mov_b32 s2, 0
	s_mov_b32 s6, -1
	s_waitcnt vmcnt(0)
	v_lshlrev_b32_e32 v4, 23, v3
	v_cmp_ne_u32_e32 vcc_lo, 0, v3
	s_delay_alu instid0(VALU_DEP_2) | instskip(NEXT) | instid1(VALU_DEP_1)
	v_cvt_i32_f32_e32 v4, v4
	v_cndmask_b32_e32 v6, 0, v4, vcc_lo
	s_branch .LBB441_831
.LBB441_830:
	s_mov_b32 s2, -1
                                        ; implicit-def: $vgpr6
.LBB441_831:
	s_mov_b32 s7, 0
.LBB441_832:
	s_delay_alu instid0(SALU_CYCLE_1)
	s_and_b32 vcc_lo, exec_lo, s7
	s_cbranch_vccz .LBB441_836
; %bb.833:
	v_cmp_eq_u16_e32 vcc_lo, 29, v5
	s_cbranch_vccz .LBB441_835
; %bb.834:
	global_load_b32 v6, v[1:2], off
	s_mov_b32 s2, 0
	s_mov_b32 s6, -1
	s_branch .LBB441_836
.LBB441_835:
	s_mov_b32 s2, -1
                                        ; implicit-def: $vgpr6
.LBB441_836:
	s_mov_b32 s7, 0
.LBB441_837:
	s_delay_alu instid0(SALU_CYCLE_1)
	s_and_b32 vcc_lo, exec_lo, s7
	s_cbranch_vccz .LBB441_853
; %bb.838:
	v_cmp_gt_i16_e32 vcc_lo, 27, v5
	s_cbranch_vccnz .LBB441_841
; %bb.839:
	v_cmp_lt_i16_e32 vcc_lo, 27, v5
	s_cbranch_vccz .LBB441_842
; %bb.840:
	global_load_b32 v6, v[1:2], off
	s_mov_b32 s6, 0
	s_branch .LBB441_843
.LBB441_841:
	s_mov_b32 s6, -1
                                        ; implicit-def: $vgpr6
	s_branch .LBB441_846
.LBB441_842:
	s_mov_b32 s6, -1
                                        ; implicit-def: $vgpr6
.LBB441_843:
	s_delay_alu instid0(SALU_CYCLE_1)
	s_and_not1_b32 vcc_lo, exec_lo, s6
	s_cbranch_vccnz .LBB441_845
; %bb.844:
	global_load_u16 v6, v[1:2], off
.LBB441_845:
	s_mov_b32 s6, 0
.LBB441_846:
	s_delay_alu instid0(SALU_CYCLE_1)
	s_and_not1_b32 vcc_lo, exec_lo, s6
	s_cbranch_vccnz .LBB441_852
; %bb.847:
	global_load_u8 v3, v[1:2], off
	s_mov_b32 s6, 0
	s_mov_b32 s7, exec_lo
                                        ; implicit-def: $sgpr8
	s_waitcnt vmcnt(0)
	v_cmpx_lt_i16_e32 0x7f, v3
	s_xor_b32 s7, exec_lo, s7
	s_cbranch_execz .LBB441_864
; %bb.848:
	v_cmp_ne_u16_e32 vcc_lo, 0x80, v3
	s_mov_b32 s8, 0
	s_and_b32 s6, vcc_lo, exec_lo
	s_or_saveexec_b32 s7, s7
	v_mov_b32_e32 v6, s8
	s_xor_b32 exec_lo, exec_lo, s7
	s_cbranch_execnz .LBB441_865
.LBB441_849:
	s_or_b32 exec_lo, exec_lo, s7
	s_and_saveexec_b32 s7, s6
	s_cbranch_execz .LBB441_851
.LBB441_850:
	v_and_b32_e32 v4, 0xffff, v3
	s_delay_alu instid0(VALU_DEP_1) | instskip(NEXT) | instid1(VALU_DEP_1)
	v_and_b32_e32 v6, 7, v4
	v_clz_i32_u32_e32 v7, v6
	s_delay_alu instid0(VALU_DEP_1) | instskip(NEXT) | instid1(VALU_DEP_1)
	v_min_u32_e32 v7, 32, v7
	v_subrev_nc_u32_e32 v8, 28, v7
	v_sub_nc_u32_e32 v7, 29, v7
	s_delay_alu instid0(VALU_DEP_2) | instskip(SKIP_1) | instid1(VALU_DEP_2)
	v_lshlrev_b32_e32 v8, v8, v4
	v_bfe_u32 v4, v4, 3, 4
	v_and_b32_e32 v8, 7, v8
	s_delay_alu instid0(VALU_DEP_2) | instskip(NEXT) | instid1(VALU_DEP_2)
	v_cmp_eq_u32_e32 vcc_lo, 0, v4
	v_dual_cndmask_b32 v6, v6, v8 :: v_dual_lshlrev_b32 v3, 24, v3
	v_cndmask_b32_e32 v4, v4, v7, vcc_lo
	s_delay_alu instid0(VALU_DEP_2) | instskip(NEXT) | instid1(VALU_DEP_3)
	v_and_b32_e32 v3, 0x80000000, v3
	v_lshlrev_b32_e32 v6, 20, v6
	s_delay_alu instid0(VALU_DEP_3) | instskip(NEXT) | instid1(VALU_DEP_1)
	v_lshl_add_u32 v4, v4, 23, 0x3b800000
	v_or3_b32 v3, v3, v4, v6
	s_delay_alu instid0(VALU_DEP_1)
	v_cvt_i32_f32_e32 v6, v3
.LBB441_851:
	s_or_b32 exec_lo, exec_lo, s7
.LBB441_852:
	s_mov_b32 s6, -1
.LBB441_853:
	s_mov_b32 s7, 0
.LBB441_854:
	s_delay_alu instid0(SALU_CYCLE_1)
	s_and_b32 vcc_lo, exec_lo, s7
	s_cbranch_vccz .LBB441_885
; %bb.855:
	v_cmp_lt_i16_e32 vcc_lo, 22, v5
	s_cbranch_vccz .LBB441_863
; %bb.856:
	v_cmp_gt_i16_e32 vcc_lo, 24, v5
	s_cbranch_vccnz .LBB441_866
; %bb.857:
	v_cmp_lt_i16_e32 vcc_lo, 24, v5
	s_cbranch_vccz .LBB441_867
; %bb.858:
	global_load_u8 v3, v[1:2], off
	s_mov_b32 s6, exec_lo
                                        ; implicit-def: $sgpr7
	s_waitcnt vmcnt(0)
	v_cmpx_lt_i16_e32 0x7f, v3
	s_xor_b32 s6, exec_lo, s6
	s_cbranch_execz .LBB441_879
; %bb.859:
	v_cmp_ne_u16_e32 vcc_lo, 0x80, v3
	s_mov_b32 s7, 0
	s_and_b32 s3, vcc_lo, exec_lo
	s_or_saveexec_b32 s6, s6
	v_mov_b32_e32 v6, s7
	s_xor_b32 exec_lo, exec_lo, s6
	s_cbranch_execnz .LBB441_880
.LBB441_860:
	s_or_b32 exec_lo, exec_lo, s6
	s_and_saveexec_b32 s6, s3
	s_cbranch_execz .LBB441_862
.LBB441_861:
	v_and_b32_e32 v4, 0xffff, v3
	s_delay_alu instid0(VALU_DEP_1) | instskip(NEXT) | instid1(VALU_DEP_1)
	v_and_b32_e32 v6, 3, v4
	v_clz_i32_u32_e32 v7, v6
	s_delay_alu instid0(VALU_DEP_1) | instskip(NEXT) | instid1(VALU_DEP_1)
	v_min_u32_e32 v7, 32, v7
	v_subrev_nc_u32_e32 v8, 29, v7
	v_sub_nc_u32_e32 v7, 30, v7
	s_delay_alu instid0(VALU_DEP_2) | instskip(SKIP_1) | instid1(VALU_DEP_2)
	v_lshlrev_b32_e32 v8, v8, v4
	v_bfe_u32 v4, v4, 2, 5
	v_and_b32_e32 v8, 3, v8
	s_delay_alu instid0(VALU_DEP_2) | instskip(NEXT) | instid1(VALU_DEP_2)
	v_cmp_eq_u32_e32 vcc_lo, 0, v4
	v_dual_cndmask_b32 v6, v6, v8 :: v_dual_lshlrev_b32 v3, 24, v3
	v_cndmask_b32_e32 v4, v4, v7, vcc_lo
	s_delay_alu instid0(VALU_DEP_2) | instskip(NEXT) | instid1(VALU_DEP_3)
	v_and_b32_e32 v3, 0x80000000, v3
	v_lshlrev_b32_e32 v6, 21, v6
	s_delay_alu instid0(VALU_DEP_3) | instskip(NEXT) | instid1(VALU_DEP_1)
	v_lshl_add_u32 v4, v4, 23, 0x37800000
	v_or3_b32 v3, v3, v4, v6
	s_delay_alu instid0(VALU_DEP_1)
	v_cvt_i32_f32_e32 v6, v3
.LBB441_862:
	s_or_b32 exec_lo, exec_lo, s6
	s_mov_b32 s3, 0
	s_branch .LBB441_868
.LBB441_863:
	s_mov_b32 s3, -1
                                        ; implicit-def: $vgpr6
	s_branch .LBB441_874
.LBB441_864:
	s_or_saveexec_b32 s7, s7
	v_mov_b32_e32 v6, s8
	s_xor_b32 exec_lo, exec_lo, s7
	s_cbranch_execz .LBB441_849
.LBB441_865:
	v_cmp_ne_u16_e32 vcc_lo, 0, v3
	v_mov_b32_e32 v6, 0
	s_and_not1_b32 s6, s6, exec_lo
	s_and_b32 s8, vcc_lo, exec_lo
	s_delay_alu instid0(SALU_CYCLE_1)
	s_or_b32 s6, s6, s8
	s_or_b32 exec_lo, exec_lo, s7
	s_and_saveexec_b32 s7, s6
	s_cbranch_execnz .LBB441_850
	s_branch .LBB441_851
.LBB441_866:
	s_mov_b32 s3, -1
                                        ; implicit-def: $vgpr6
	s_branch .LBB441_871
.LBB441_867:
	s_mov_b32 s3, -1
                                        ; implicit-def: $vgpr6
.LBB441_868:
	s_delay_alu instid0(SALU_CYCLE_1)
	s_and_b32 vcc_lo, exec_lo, s3
	s_cbranch_vccz .LBB441_870
; %bb.869:
	global_load_u8 v3, v[1:2], off
	s_waitcnt vmcnt(0)
	v_lshlrev_b32_e32 v3, 24, v3
	s_delay_alu instid0(VALU_DEP_1) | instskip(NEXT) | instid1(VALU_DEP_1)
	v_and_b32_e32 v4, 0x7f000000, v3
	v_clz_i32_u32_e32 v6, v4
	v_add_nc_u32_e32 v8, 0x1000000, v4
	v_cmp_ne_u32_e32 vcc_lo, 0, v4
	s_delay_alu instid0(VALU_DEP_3) | instskip(NEXT) | instid1(VALU_DEP_1)
	v_min_u32_e32 v6, 32, v6
	v_sub_nc_u32_e64 v6, v6, 4 clamp
	s_delay_alu instid0(VALU_DEP_1) | instskip(SKIP_1) | instid1(VALU_DEP_2)
	v_lshlrev_b32_e32 v7, v6, v4
	v_lshlrev_b32_e32 v6, 23, v6
	v_lshrrev_b32_e32 v7, 4, v7
	s_delay_alu instid0(VALU_DEP_1) | instskip(SKIP_1) | instid1(VALU_DEP_2)
	v_sub_nc_u32_e32 v6, v7, v6
	v_ashrrev_i32_e32 v7, 8, v8
	v_add_nc_u32_e32 v6, 0x3c000000, v6
	s_delay_alu instid0(VALU_DEP_1) | instskip(NEXT) | instid1(VALU_DEP_1)
	v_and_or_b32 v6, 0x7f800000, v7, v6
	v_cndmask_b32_e32 v4, 0, v6, vcc_lo
	s_delay_alu instid0(VALU_DEP_1) | instskip(NEXT) | instid1(VALU_DEP_1)
	v_and_or_b32 v3, 0x80000000, v3, v4
	v_cvt_i32_f32_e32 v6, v3
.LBB441_870:
	s_mov_b32 s3, 0
.LBB441_871:
	s_delay_alu instid0(SALU_CYCLE_1)
	s_and_not1_b32 vcc_lo, exec_lo, s3
	s_cbranch_vccnz .LBB441_873
; %bb.872:
	global_load_u8 v3, v[1:2], off
	s_waitcnt vmcnt(0)
	v_lshlrev_b32_e32 v4, 25, v3
	v_lshlrev_b16 v3, 8, v3
	s_delay_alu instid0(VALU_DEP_2) | instskip(NEXT) | instid1(VALU_DEP_2)
	v_lshrrev_b32_e32 v6, 4, v4
	v_and_or_b32 v7, 0x7f00, v3, 0.5
	v_cmp_gt_u32_e32 vcc_lo, 0x8000000, v4
	v_bfe_i32 v3, v3, 0, 16
	s_delay_alu instid0(VALU_DEP_4) | instskip(NEXT) | instid1(VALU_DEP_1)
	v_or_b32_e32 v6, 0x70000000, v6
	v_dual_add_f32 v7, -0.5, v7 :: v_dual_mul_f32 v6, 0x7800000, v6
	s_delay_alu instid0(VALU_DEP_1) | instskip(NEXT) | instid1(VALU_DEP_1)
	v_cndmask_b32_e32 v4, v6, v7, vcc_lo
	v_and_or_b32 v3, 0x80000000, v3, v4
	s_delay_alu instid0(VALU_DEP_1)
	v_cvt_i32_f32_e32 v6, v3
.LBB441_873:
	s_mov_b32 s3, 0
	s_mov_b32 s6, -1
.LBB441_874:
	s_and_not1_b32 vcc_lo, exec_lo, s3
	s_mov_b32 s3, 0
	s_cbranch_vccnz .LBB441_885
; %bb.875:
	v_cmp_lt_i16_e32 vcc_lo, 14, v5
	s_cbranch_vccz .LBB441_878
; %bb.876:
	v_cmp_eq_u16_e32 vcc_lo, 15, v5
	s_cbranch_vccz .LBB441_881
; %bb.877:
	global_load_u16 v3, v[1:2], off
	s_mov_b32 s2, 0
	s_mov_b32 s6, -1
	s_waitcnt vmcnt(0)
	v_lshlrev_b32_e32 v3, 16, v3
	s_delay_alu instid0(VALU_DEP_1)
	v_cvt_i32_f32_e32 v6, v3
	s_branch .LBB441_883
.LBB441_878:
	s_mov_b32 s3, -1
	s_branch .LBB441_882
.LBB441_879:
	s_or_saveexec_b32 s6, s6
	v_mov_b32_e32 v6, s7
	s_xor_b32 exec_lo, exec_lo, s6
	s_cbranch_execz .LBB441_860
.LBB441_880:
	v_cmp_ne_u16_e32 vcc_lo, 0, v3
	v_mov_b32_e32 v6, 0
	s_and_not1_b32 s3, s3, exec_lo
	s_and_b32 s7, vcc_lo, exec_lo
	s_delay_alu instid0(SALU_CYCLE_1)
	s_or_b32 s3, s3, s7
	s_or_b32 exec_lo, exec_lo, s6
	s_and_saveexec_b32 s6, s3
	s_cbranch_execnz .LBB441_861
	s_branch .LBB441_862
.LBB441_881:
	s_mov_b32 s2, -1
.LBB441_882:
                                        ; implicit-def: $vgpr6
.LBB441_883:
	s_and_b32 vcc_lo, exec_lo, s3
	s_mov_b32 s3, 0
	s_cbranch_vccz .LBB441_885
; %bb.884:
	v_cmp_ne_u16_e32 vcc_lo, 11, v5
	s_and_not1_b32 s2, s2, exec_lo
	s_mov_b32 s3, -1
                                        ; implicit-def: $vgpr6
	s_and_b32 s7, vcc_lo, exec_lo
	s_delay_alu instid0(SALU_CYCLE_1)
	s_or_b32 s2, s2, s7
.LBB441_885:
	s_mov_b32 s7, 0
.LBB441_886:
	s_and_b32 s43, s6, exec_lo
	s_and_b32 s44, s7, exec_lo
	s_and_not1_b32 s6, s24, exec_lo
	s_and_b32 s7, s2, exec_lo
	s_and_b32 s2, s3, exec_lo
	s_or_b32 s45, s6, s7
.LBB441_887:
	s_or_b32 exec_lo, exec_lo, s33
	s_delay_alu instid0(SALU_CYCLE_1)
	s_and_not1_b32 s6, s24, exec_lo
	s_and_b32 s7, s45, exec_lo
	s_and_b32 s43, s43, exec_lo
	;; [unrolled: 1-line block ×4, first 2 shown]
	s_or_b32 s24, s6, s7
.LBB441_888:
	s_or_b32 exec_lo, exec_lo, s42
	s_delay_alu instid0(SALU_CYCLE_1)
	s_and_not1_b32 s6, s40, exec_lo
	s_and_b32 s7, s25, exec_lo
	s_and_b32 s42, s43, exec_lo
	s_or_b32 s40, s6, s7
	s_and_not1_b32 s6, s39, exec_lo
	s_and_b32 s7, s24, exec_lo
	s_and_b32 s25, s3, exec_lo
	;; [unrolled: 1-line block ×3, first 2 shown]
	s_or_b32 s39, s6, s7
.LBB441_889:
	s_or_b32 exec_lo, exec_lo, s41
	s_delay_alu instid0(SALU_CYCLE_1)
	s_and_not1_b32 s2, s36, exec_lo
	s_and_b32 s6, s40, exec_lo
	s_and_b32 s7, s39, exec_lo
	s_or_b32 s36, s2, s6
	s_and_not1_b32 s6, s37, exec_lo
	s_and_b32 s2, s42, exec_lo
	s_and_b32 s24, s25, exec_lo
	;; [unrolled: 1-line block ×3, first 2 shown]
	s_or_b32 s37, s6, s7
.LBB441_890:
	s_or_b32 exec_lo, exec_lo, s38
	s_mov_b32 s3, 0
	s_and_saveexec_b32 s6, s37
	s_cbranch_execnz .LBB441_902
; %bb.891:
	s_or_b32 exec_lo, exec_lo, s6
	s_and_saveexec_b32 s6, s39
	s_delay_alu instid0(SALU_CYCLE_1)
	s_xor_b32 s6, exec_lo, s6
	s_cbranch_execz .LBB441_893
.LBB441_892:
	global_load_u8 v3, v[1:2], off
	s_or_b32 s2, s2, exec_lo
	s_waitcnt vmcnt(0)
	v_cmp_ne_u16_e32 vcc_lo, 0, v3
	v_cndmask_b32_e64 v6, 0, 1, vcc_lo
.LBB441_893:
	s_or_b32 exec_lo, exec_lo, s6
	s_and_saveexec_b32 s6, s24
	s_cbranch_execz .LBB441_941
; %bb.894:
	v_cmp_gt_i16_e32 vcc_lo, 5, v5
	s_cbranch_vccnz .LBB441_899
; %bb.895:
	v_cmp_gt_i16_e32 vcc_lo, 8, v5
	s_cbranch_vccnz .LBB441_900
	;; [unrolled: 3-line block ×3, first 2 shown]
; %bb.897:
	v_cmp_lt_i16_e32 vcc_lo, 9, v5
	s_cbranch_vccz .LBB441_904
; %bb.898:
	global_load_b64 v[3:4], v[1:2], off
	s_mov_b32 s7, 0
	s_waitcnt vmcnt(0)
	v_cvt_i32_f64_e32 v6, v[3:4]
	s_branch .LBB441_905
.LBB441_899:
                                        ; implicit-def: $vgpr6
	s_branch .LBB441_922
.LBB441_900:
                                        ; implicit-def: $vgpr6
	s_branch .LBB441_911
.LBB441_901:
	s_mov_b32 s7, -1
                                        ; implicit-def: $vgpr6
	s_branch .LBB441_908
.LBB441_902:
	s_cbranch_execnz .LBB441_1172
; %bb.903:
	s_mov_b32 s3, exec_lo
	s_and_not1_b32 s39, s39, exec_lo
                                        ; implicit-def: $vgpr6
	s_or_b32 exec_lo, exec_lo, s6
	s_and_saveexec_b32 s6, s39
	s_delay_alu instid0(SALU_CYCLE_1)
	s_xor_b32 s6, exec_lo, s6
	s_cbranch_execnz .LBB441_892
	s_branch .LBB441_893
.LBB441_904:
	s_mov_b32 s7, -1
                                        ; implicit-def: $vgpr6
.LBB441_905:
	s_delay_alu instid0(SALU_CYCLE_1)
	s_and_not1_b32 vcc_lo, exec_lo, s7
	s_cbranch_vccnz .LBB441_907
; %bb.906:
	global_load_b32 v3, v[1:2], off
	s_waitcnt vmcnt(0)
	v_cvt_i32_f32_e32 v6, v3
.LBB441_907:
	s_mov_b32 s7, 0
.LBB441_908:
	s_delay_alu instid0(SALU_CYCLE_1)
	s_and_not1_b32 vcc_lo, exec_lo, s7
	s_cbranch_vccnz .LBB441_910
; %bb.909:
	global_load_b32 v3, v[1:2], off
	s_waitcnt vmcnt(0)
	v_cvt_f32_f16_e32 v3, v3
	s_delay_alu instid0(VALU_DEP_1)
	v_cvt_i32_f32_e32 v6, v3
.LBB441_910:
	s_cbranch_execnz .LBB441_921
.LBB441_911:
	v_cmp_gt_i16_e32 vcc_lo, 6, v5
	s_cbranch_vccnz .LBB441_914
; %bb.912:
	v_cmp_lt_i16_e32 vcc_lo, 6, v5
	s_cbranch_vccz .LBB441_915
; %bb.913:
	global_load_b64 v[3:4], v[1:2], off
	s_mov_b32 s7, 0
	s_waitcnt vmcnt(0)
	v_cvt_i32_f64_e32 v6, v[3:4]
	s_branch .LBB441_916
.LBB441_914:
	s_mov_b32 s7, -1
                                        ; implicit-def: $vgpr6
	s_branch .LBB441_919
.LBB441_915:
	s_mov_b32 s7, -1
                                        ; implicit-def: $vgpr6
.LBB441_916:
	s_delay_alu instid0(SALU_CYCLE_1)
	s_and_not1_b32 vcc_lo, exec_lo, s7
	s_cbranch_vccnz .LBB441_918
; %bb.917:
	global_load_b32 v3, v[1:2], off
	s_waitcnt vmcnt(0)
	v_cvt_i32_f32_e32 v6, v3
.LBB441_918:
	s_mov_b32 s7, 0
.LBB441_919:
	s_delay_alu instid0(SALU_CYCLE_1)
	s_and_not1_b32 vcc_lo, exec_lo, s7
	s_cbranch_vccnz .LBB441_921
; %bb.920:
	global_load_u16 v3, v[1:2], off
	s_waitcnt vmcnt(0)
	v_cvt_f32_f16_e32 v3, v3
	s_delay_alu instid0(VALU_DEP_1)
	v_cvt_i32_f32_e32 v6, v3
.LBB441_921:
	s_cbranch_execnz .LBB441_940
.LBB441_922:
	v_cmp_gt_i16_e32 vcc_lo, 2, v5
	s_cbranch_vccnz .LBB441_926
; %bb.923:
	v_cmp_gt_i16_e32 vcc_lo, 3, v5
	s_cbranch_vccnz .LBB441_927
; %bb.924:
	v_cmp_lt_i16_e32 vcc_lo, 3, v5
	s_cbranch_vccz .LBB441_928
; %bb.925:
	global_load_b32 v6, v[1:2], off
	s_mov_b32 s7, 0
	s_branch .LBB441_929
.LBB441_926:
                                        ; implicit-def: $vgpr6
	s_branch .LBB441_935
.LBB441_927:
	s_mov_b32 s7, -1
                                        ; implicit-def: $vgpr6
	s_branch .LBB441_932
.LBB441_928:
	s_mov_b32 s7, -1
                                        ; implicit-def: $vgpr6
.LBB441_929:
	s_delay_alu instid0(SALU_CYCLE_1)
	s_and_not1_b32 vcc_lo, exec_lo, s7
	s_cbranch_vccnz .LBB441_931
; %bb.930:
	global_load_b32 v6, v[1:2], off
.LBB441_931:
	s_mov_b32 s7, 0
.LBB441_932:
	s_delay_alu instid0(SALU_CYCLE_1)
	s_and_not1_b32 vcc_lo, exec_lo, s7
	s_cbranch_vccnz .LBB441_934
; %bb.933:
	global_load_i16 v6, v[1:2], off
.LBB441_934:
	s_cbranch_execnz .LBB441_940
.LBB441_935:
	v_cmp_lt_i16_e32 vcc_lo, 0, v5
	s_mov_b32 s7, 0
	s_cbranch_vccz .LBB441_937
; %bb.936:
	global_load_i8 v6, v[1:2], off
	s_branch .LBB441_938
.LBB441_937:
	s_mov_b32 s7, -1
                                        ; implicit-def: $vgpr6
.LBB441_938:
	s_delay_alu instid0(SALU_CYCLE_1)
	s_and_not1_b32 vcc_lo, exec_lo, s7
	s_cbranch_vccnz .LBB441_940
; %bb.939:
	global_load_u8 v6, v[1:2], off
.LBB441_940:
	s_or_b32 s2, s2, exec_lo
.LBB441_941:
	s_or_b32 exec_lo, exec_lo, s6
	s_mov_b32 s8, 0
	s_mov_b32 s7, 0
                                        ; implicit-def: $vgpr5
                                        ; implicit-def: $vgpr3_vgpr4
                                        ; implicit-def: $vgpr1
	s_and_saveexec_b32 s6, s2
	s_cbranch_execz .LBB441_1018
; %bb.942:
	v_and_b32_e64 v5, 0xff, s19
	s_waitcnt vmcnt(0)
	v_add_co_u32 v3, s2, s4, v0
	s_delay_alu instid0(VALU_DEP_3)
	v_min_i32_e32 v1, s18, v6
	v_add_co_ci_u32_e64 v4, null, s5, 0, s2
	v_cmp_gt_i16_e32 vcc_lo, 11, v5
	s_mov_b32 s4, -1
	s_mov_b32 s2, s36
	s_cbranch_vccnz .LBB441_1017
; %bb.943:
	v_cmp_lt_i16_e32 vcc_lo, 25, v5
	s_mov_b32 s2, s36
	s_cbranch_vccz .LBB441_976
; %bb.944:
	v_cmp_lt_i16_e32 vcc_lo, 28, v5
	s_mov_b32 s2, s36
	s_cbranch_vccz .LBB441_960
	;; [unrolled: 4-line block ×4, first 2 shown]
; %bb.947:
	v_cmp_eq_u16_e32 vcc_lo, 46, v5
	s_mov_b32 s2, -1
	s_cbranch_vccz .LBB441_949
; %bb.948:
	v_cvt_f32_i32_e32 v0, v1
	s_mov_b32 s2, 0
	s_delay_alu instid0(VALU_DEP_1) | instskip(NEXT) | instid1(VALU_DEP_1)
	v_bfe_u32 v2, v0, 16, 1
	v_add3_u32 v0, v0, v2, 0x7fff
	s_delay_alu instid0(VALU_DEP_1)
	v_lshrrev_b32_e32 v0, 16, v0
	global_store_b32 v[3:4], v0, off
.LBB441_949:
	s_mov_b32 s4, 0
.LBB441_950:
	s_delay_alu instid0(SALU_CYCLE_1)
	s_and_b32 vcc_lo, exec_lo, s4
	s_cbranch_vccz .LBB441_955
; %bb.951:
	v_cmp_eq_u16_e32 vcc_lo, 44, v5
	s_mov_b32 s2, -1
	s_cbranch_vccz .LBB441_955
; %bb.952:
	v_cvt_f32_i32_e32 v0, v1
	v_mov_b32_e32 v2, 0xff
	s_mov_b32 s4, exec_lo
	s_delay_alu instid0(VALU_DEP_2) | instskip(NEXT) | instid1(VALU_DEP_1)
	v_bfe_u32 v6, v0, 23, 8
	v_cmpx_ne_u32_e32 0xff, v6
; %bb.953:
	v_and_b32_e32 v2, 0x400000, v0
	v_and_or_b32 v6, 0x3fffff, v0, v6
	v_lshrrev_b32_e32 v0, 23, v0
	s_delay_alu instid0(VALU_DEP_3) | instskip(NEXT) | instid1(VALU_DEP_3)
	v_cmp_ne_u32_e32 vcc_lo, 0, v2
	v_cmp_ne_u32_e64 s2, 0, v6
	s_delay_alu instid0(VALU_DEP_1) | instskip(NEXT) | instid1(SALU_CYCLE_1)
	s_and_b32 s2, vcc_lo, s2
	v_cndmask_b32_e64 v2, 0, 1, s2
	s_delay_alu instid0(VALU_DEP_1)
	v_add_nc_u32_e32 v2, v0, v2
; %bb.954:
	s_or_b32 exec_lo, exec_lo, s4
	s_mov_b32 s2, 0
	global_store_b8 v[3:4], v2, off
.LBB441_955:
	s_mov_b32 s4, 0
.LBB441_956:
	s_delay_alu instid0(SALU_CYCLE_1)
	s_and_b32 vcc_lo, exec_lo, s4
	s_cbranch_vccz .LBB441_959
; %bb.957:
	v_cmp_eq_u16_e32 vcc_lo, 29, v5
	s_mov_b32 s2, -1
	s_cbranch_vccz .LBB441_959
; %bb.958:
	v_ashrrev_i32_e32 v2, 31, v1
	s_mov_b32 s2, 0
	global_store_b64 v[3:4], v[1:2], off
.LBB441_959:
	s_mov_b32 s4, 0
.LBB441_960:
	s_delay_alu instid0(SALU_CYCLE_1)
	s_and_b32 vcc_lo, exec_lo, s4
	s_cbranch_vccz .LBB441_975
; %bb.961:
	v_cmp_gt_i16_e32 vcc_lo, 27, v5
	s_mov_b32 s4, -1
	s_cbranch_vccnz .LBB441_967
; %bb.962:
	v_cmp_lt_i16_e32 vcc_lo, 27, v5
	s_cbranch_vccz .LBB441_964
; %bb.963:
	s_mov_b32 s4, 0
	global_store_b32 v[3:4], v1, off
.LBB441_964:
	s_and_not1_b32 vcc_lo, exec_lo, s4
	s_cbranch_vccnz .LBB441_966
; %bb.965:
	global_store_b16 v[3:4], v1, off
.LBB441_966:
	s_mov_b32 s4, 0
.LBB441_967:
	s_delay_alu instid0(SALU_CYCLE_1)
	s_and_not1_b32 vcc_lo, exec_lo, s4
	s_cbranch_vccnz .LBB441_975
; %bb.968:
	v_cvt_f32_i32_e32 v0, v1
	v_mov_b32_e32 v6, 0x80
	s_mov_b32 s4, exec_lo
	s_delay_alu instid0(VALU_DEP_2) | instskip(NEXT) | instid1(VALU_DEP_1)
	v_and_b32_e32 v2, 0x7fffffff, v0
	v_cmpx_gt_u32_e32 0x43800000, v2
	s_cbranch_execz .LBB441_974
; %bb.969:
	v_cmp_lt_u32_e32 vcc_lo, 0x3bffffff, v2
	s_mov_b32 s5, 0
                                        ; implicit-def: $vgpr2
	s_and_saveexec_b32 s7, vcc_lo
	s_delay_alu instid0(SALU_CYCLE_1)
	s_xor_b32 s7, exec_lo, s7
	s_cbranch_execz .LBB441_1258
; %bb.970:
	v_bfe_u32 v2, v0, 20, 1
	s_mov_b32 s5, exec_lo
	s_delay_alu instid0(VALU_DEP_1) | instskip(NEXT) | instid1(VALU_DEP_1)
	v_add3_u32 v2, v0, v2, 0x487ffff
	v_lshrrev_b32_e32 v2, 20, v2
	s_or_saveexec_b32 s7, s7
                                        ; implicit-def: $sgpr8
	s_delay_alu instid0(SALU_CYCLE_1)
	s_xor_b32 exec_lo, exec_lo, s7
	s_cbranch_execnz .LBB441_1259
.LBB441_971:
	s_or_b32 exec_lo, exec_lo, s7
	v_mov_b32_e32 v6, s8
	s_and_saveexec_b32 s7, s5
.LBB441_972:
	v_lshrrev_b32_e32 v0, 24, v0
	s_delay_alu instid0(VALU_DEP_1)
	v_and_or_b32 v6, 0x80, v0, v2
.LBB441_973:
	s_or_b32 exec_lo, exec_lo, s7
.LBB441_974:
	s_delay_alu instid0(SALU_CYCLE_1)
	s_or_b32 exec_lo, exec_lo, s4
	global_store_b8 v[3:4], v6, off
.LBB441_975:
	s_mov_b32 s4, 0
.LBB441_976:
	s_delay_alu instid0(SALU_CYCLE_1)
	s_and_b32 vcc_lo, exec_lo, s4
	s_mov_b32 s4, 0
	s_cbranch_vccz .LBB441_1016
; %bb.977:
	v_cmp_lt_i16_e32 vcc_lo, 22, v5
	s_mov_b32 s5, -1
	s_cbranch_vccz .LBB441_1009
; %bb.978:
	v_cmp_gt_i16_e32 vcc_lo, 24, v5
	s_cbranch_vccnz .LBB441_998
; %bb.979:
	v_cmp_lt_i16_e32 vcc_lo, 24, v5
	s_cbranch_vccz .LBB441_987
; %bb.980:
	v_cvt_f32_i32_e32 v0, v1
	v_mov_b32_e32 v6, 0x80
	s_mov_b32 s5, exec_lo
	s_delay_alu instid0(VALU_DEP_2) | instskip(NEXT) | instid1(VALU_DEP_1)
	v_and_b32_e32 v2, 0x7fffffff, v0
	v_cmpx_gt_u32_e32 0x47800000, v2
	s_cbranch_execz .LBB441_986
; %bb.981:
	v_cmp_lt_u32_e32 vcc_lo, 0x37ffffff, v2
	s_mov_b32 s7, 0
                                        ; implicit-def: $vgpr2
	s_and_saveexec_b32 s8, vcc_lo
	s_delay_alu instid0(SALU_CYCLE_1)
	s_xor_b32 s8, exec_lo, s8
	s_cbranch_execz .LBB441_1302
; %bb.982:
	v_bfe_u32 v2, v0, 21, 1
	s_mov_b32 s7, exec_lo
	s_delay_alu instid0(VALU_DEP_1) | instskip(NEXT) | instid1(VALU_DEP_1)
	v_add3_u32 v2, v0, v2, 0x88fffff
	v_lshrrev_b32_e32 v2, 21, v2
	s_or_saveexec_b32 s8, s8
                                        ; implicit-def: $sgpr9
	s_delay_alu instid0(SALU_CYCLE_1)
	s_xor_b32 exec_lo, exec_lo, s8
	s_cbranch_execnz .LBB441_1303
.LBB441_983:
	s_or_b32 exec_lo, exec_lo, s8
	v_mov_b32_e32 v6, s9
	s_and_saveexec_b32 s8, s7
.LBB441_984:
	v_lshrrev_b32_e32 v0, 24, v0
	s_delay_alu instid0(VALU_DEP_1)
	v_and_or_b32 v6, 0x80, v0, v2
.LBB441_985:
	s_or_b32 exec_lo, exec_lo, s8
.LBB441_986:
	s_delay_alu instid0(SALU_CYCLE_1)
	s_or_b32 exec_lo, exec_lo, s5
	s_mov_b32 s5, 0
	global_store_b8 v[3:4], v6, off
.LBB441_987:
	s_and_b32 vcc_lo, exec_lo, s5
	s_cbranch_vccz .LBB441_997
; %bb.988:
	v_cvt_f32_i32_e32 v0, v1
	s_mov_b32 s5, exec_lo
                                        ; implicit-def: $vgpr2
	s_delay_alu instid0(VALU_DEP_1) | instskip(NEXT) | instid1(VALU_DEP_1)
	v_and_b32_e32 v6, 0x7fffffff, v0
	v_cmpx_gt_u32_e32 0x43f00000, v6
	s_xor_b32 s5, exec_lo, s5
	s_cbranch_execz .LBB441_994
; %bb.989:
	s_mov_b32 s7, exec_lo
                                        ; implicit-def: $vgpr2
	v_cmpx_lt_u32_e32 0x3c7fffff, v6
	s_xor_b32 s7, exec_lo, s7
; %bb.990:
	v_bfe_u32 v2, v0, 20, 1
	s_delay_alu instid0(VALU_DEP_1) | instskip(NEXT) | instid1(VALU_DEP_1)
	v_add3_u32 v2, v0, v2, 0x407ffff
	v_and_b32_e32 v6, 0xff00000, v2
	v_lshrrev_b32_e32 v2, 20, v2
	s_delay_alu instid0(VALU_DEP_2) | instskip(NEXT) | instid1(VALU_DEP_2)
	v_cmp_ne_u32_e32 vcc_lo, 0x7f00000, v6
	v_cndmask_b32_e32 v2, 0x7e, v2, vcc_lo
; %bb.991:
	s_and_not1_saveexec_b32 s7, s7
; %bb.992:
	v_add_f32_e64 v2, 0x46800000, |v0|
; %bb.993:
	s_or_b32 exec_lo, exec_lo, s7
                                        ; implicit-def: $vgpr6
.LBB441_994:
	s_and_not1_saveexec_b32 s5, s5
; %bb.995:
	v_mov_b32_e32 v2, 0x7f
	v_cmp_lt_u32_e32 vcc_lo, 0x7f800000, v6
	s_delay_alu instid0(VALU_DEP_2)
	v_cndmask_b32_e32 v2, 0x7e, v2, vcc_lo
; %bb.996:
	s_or_b32 exec_lo, exec_lo, s5
	v_lshrrev_b32_e32 v0, 24, v0
	s_delay_alu instid0(VALU_DEP_1)
	v_and_or_b32 v0, 0x80, v0, v2
	global_store_b8 v[3:4], v0, off
.LBB441_997:
	s_mov_b32 s5, 0
.LBB441_998:
	s_delay_alu instid0(SALU_CYCLE_1)
	s_and_not1_b32 vcc_lo, exec_lo, s5
	s_cbranch_vccnz .LBB441_1008
; %bb.999:
	v_cvt_f32_i32_e32 v0, v1
	s_mov_b32 s5, exec_lo
                                        ; implicit-def: $vgpr2
	s_delay_alu instid0(VALU_DEP_1) | instskip(NEXT) | instid1(VALU_DEP_1)
	v_and_b32_e32 v6, 0x7fffffff, v0
	v_cmpx_gt_u32_e32 0x47800000, v6
	s_xor_b32 s5, exec_lo, s5
	s_cbranch_execz .LBB441_1005
; %bb.1000:
	s_mov_b32 s7, exec_lo
                                        ; implicit-def: $vgpr2
	v_cmpx_lt_u32_e32 0x387fffff, v6
	s_xor_b32 s7, exec_lo, s7
; %bb.1001:
	v_bfe_u32 v2, v0, 21, 1
	s_delay_alu instid0(VALU_DEP_1) | instskip(NEXT) | instid1(VALU_DEP_1)
	v_add3_u32 v2, v0, v2, 0x80fffff
	v_lshrrev_b32_e32 v2, 21, v2
; %bb.1002:
	s_and_not1_saveexec_b32 s7, s7
; %bb.1003:
	v_add_f32_e64 v2, 0x43000000, |v0|
; %bb.1004:
	s_or_b32 exec_lo, exec_lo, s7
                                        ; implicit-def: $vgpr6
.LBB441_1005:
	s_and_not1_saveexec_b32 s5, s5
; %bb.1006:
	v_mov_b32_e32 v2, 0x7f
	v_cmp_lt_u32_e32 vcc_lo, 0x7f800000, v6
	s_delay_alu instid0(VALU_DEP_2)
	v_cndmask_b32_e32 v2, 0x7c, v2, vcc_lo
; %bb.1007:
	s_or_b32 exec_lo, exec_lo, s5
	v_lshrrev_b32_e32 v0, 24, v0
	s_delay_alu instid0(VALU_DEP_1)
	v_and_or_b32 v0, 0x80, v0, v2
	global_store_b8 v[3:4], v0, off
.LBB441_1008:
	s_mov_b32 s5, 0
.LBB441_1009:
	s_delay_alu instid0(SALU_CYCLE_1)
	s_and_not1_b32 vcc_lo, exec_lo, s5
	s_mov_b32 s8, 0
	s_cbranch_vccnz .LBB441_1017
; %bb.1010:
	v_cmp_lt_i16_e32 vcc_lo, 14, v5
	s_mov_b32 s5, -1
	s_cbranch_vccz .LBB441_1014
; %bb.1011:
	v_cmp_eq_u16_e32 vcc_lo, 15, v5
	s_mov_b32 s2, -1
	s_cbranch_vccz .LBB441_1013
; %bb.1012:
	v_cvt_f32_i32_e32 v0, v1
	s_mov_b32 s2, 0
	s_delay_alu instid0(VALU_DEP_1) | instskip(NEXT) | instid1(VALU_DEP_1)
	v_bfe_u32 v2, v0, 16, 1
	v_add3_u32 v0, v0, v2, 0x7fff
	global_store_d16_hi_b16 v[3:4], v0, off
.LBB441_1013:
	s_mov_b32 s5, 0
.LBB441_1014:
	s_delay_alu instid0(SALU_CYCLE_1)
	s_and_b32 vcc_lo, exec_lo, s5
	s_cbranch_vccz .LBB441_1017
; %bb.1015:
	v_cmp_ne_u16_e32 vcc_lo, 11, v5
	s_and_not1_b32 s2, s2, exec_lo
	s_mov_b32 s8, -1
	s_and_b32 s5, vcc_lo, exec_lo
	s_delay_alu instid0(SALU_CYCLE_1)
	s_or_b32 s2, s2, s5
	s_branch .LBB441_1017
.LBB441_1016:
	s_mov_b32 s8, 0
.LBB441_1017:
	s_and_b32 s7, s4, exec_lo
	s_and_not1_b32 s4, s36, exec_lo
	s_and_b32 s2, s2, exec_lo
	s_and_b32 s8, s8, exec_lo
	s_or_b32 s36, s4, s2
.LBB441_1018:
	s_or_b32 exec_lo, exec_lo, s6
	s_and_saveexec_b32 s2, s36
	s_cbranch_execnz .LBB441_1132
; %bb.1019:
	s_or_b32 exec_lo, exec_lo, s2
	s_and_saveexec_b32 s2, s8
	s_delay_alu instid0(SALU_CYCLE_1)
	s_xor_b32 s2, exec_lo, s2
	s_cbranch_execz .LBB441_1021
.LBB441_1020:
	v_cmp_ne_u32_e32 vcc_lo, 0, v1
	v_cndmask_b32_e64 v0, 0, 1, vcc_lo
	s_waitcnt vmcnt(0)
	global_store_b8 v[3:4], v0, off
.LBB441_1021:
	s_or_b32 exec_lo, exec_lo, s2
	s_and_saveexec_b32 s2, s7
	s_delay_alu instid0(SALU_CYCLE_1)
	s_xor_b32 s2, exec_lo, s2
	s_cbranch_execz .LBB441_1059
; %bb.1022:
	v_cmp_gt_i16_e32 vcc_lo, 5, v5
	s_mov_b32 s4, -1
	s_cbranch_vccnz .LBB441_1043
; %bb.1023:
	v_cmp_gt_i16_e32 vcc_lo, 8, v5
	s_cbranch_vccnz .LBB441_1033
; %bb.1024:
	v_cmp_gt_i16_e32 vcc_lo, 9, v5
	s_cbranch_vccnz .LBB441_1030
; %bb.1025:
	v_cmp_lt_i16_e32 vcc_lo, 9, v5
	s_cbranch_vccz .LBB441_1027
; %bb.1026:
	s_waitcnt vmcnt(0)
	v_cvt_f64_i32_e32 v[6:7], v1
	v_mov_b32_e32 v8, 0
	s_mov_b32 s4, 0
	s_delay_alu instid0(VALU_DEP_1)
	v_mov_b32_e32 v9, v8
	global_store_b128 v[3:4], v[6:9], off
.LBB441_1027:
	s_and_not1_b32 vcc_lo, exec_lo, s4
	s_cbranch_vccnz .LBB441_1029
; %bb.1028:
	s_waitcnt vmcnt(0)
	v_cvt_f32_i32_e32 v6, v1
	v_mov_b32_e32 v7, 0
	global_store_b64 v[3:4], v[6:7], off
.LBB441_1029:
	s_mov_b32 s4, 0
.LBB441_1030:
	s_delay_alu instid0(SALU_CYCLE_1)
	s_and_not1_b32 vcc_lo, exec_lo, s4
	s_cbranch_vccnz .LBB441_1032
; %bb.1031:
	v_cvt_f32_i32_e32 v0, v1
	s_delay_alu instid0(VALU_DEP_1) | instskip(NEXT) | instid1(VALU_DEP_1)
	v_cvt_f16_f32_e32 v0, v0
	v_and_b32_e32 v0, 0xffff, v0
	s_waitcnt vmcnt(0)
	global_store_b32 v[3:4], v0, off
.LBB441_1032:
	s_mov_b32 s4, 0
.LBB441_1033:
	s_delay_alu instid0(SALU_CYCLE_1)
	s_and_not1_b32 vcc_lo, exec_lo, s4
	s_cbranch_vccnz .LBB441_1042
; %bb.1034:
	v_cmp_gt_i16_e32 vcc_lo, 6, v5
	s_mov_b32 s4, -1
	s_cbranch_vccnz .LBB441_1040
; %bb.1035:
	v_cmp_lt_i16_e32 vcc_lo, 6, v5
	s_cbranch_vccz .LBB441_1037
; %bb.1036:
	s_waitcnt vmcnt(0)
	v_cvt_f64_i32_e32 v[6:7], v1
	s_mov_b32 s4, 0
	global_store_b64 v[3:4], v[6:7], off
.LBB441_1037:
	s_and_not1_b32 vcc_lo, exec_lo, s4
	s_cbranch_vccnz .LBB441_1039
; %bb.1038:
	v_cvt_f32_i32_e32 v0, v1
	s_waitcnt vmcnt(0)
	global_store_b32 v[3:4], v0, off
.LBB441_1039:
	s_mov_b32 s4, 0
.LBB441_1040:
	s_delay_alu instid0(SALU_CYCLE_1)
	s_and_not1_b32 vcc_lo, exec_lo, s4
	s_cbranch_vccnz .LBB441_1042
; %bb.1041:
	v_cvt_f32_i32_e32 v0, v1
	s_delay_alu instid0(VALU_DEP_1)
	v_cvt_f16_f32_e32 v0, v0
	s_waitcnt vmcnt(0)
	global_store_b16 v[3:4], v0, off
.LBB441_1042:
	s_mov_b32 s4, 0
.LBB441_1043:
	s_delay_alu instid0(SALU_CYCLE_1)
	s_and_not1_b32 vcc_lo, exec_lo, s4
	s_cbranch_vccnz .LBB441_1059
; %bb.1044:
	v_cmp_gt_i16_e32 vcc_lo, 2, v5
	s_mov_b32 s4, -1
	s_cbranch_vccnz .LBB441_1054
; %bb.1045:
	v_cmp_gt_i16_e32 vcc_lo, 3, v5
	s_cbranch_vccnz .LBB441_1051
; %bb.1046:
	v_cmp_lt_i16_e32 vcc_lo, 3, v5
	s_cbranch_vccz .LBB441_1048
; %bb.1047:
	v_ashrrev_i32_e32 v2, 31, v1
	s_mov_b32 s4, 0
	s_waitcnt vmcnt(0)
	global_store_b64 v[3:4], v[1:2], off
.LBB441_1048:
	s_and_not1_b32 vcc_lo, exec_lo, s4
	s_cbranch_vccnz .LBB441_1050
; %bb.1049:
	s_waitcnt vmcnt(0)
	global_store_b32 v[3:4], v1, off
.LBB441_1050:
	s_mov_b32 s4, 0
.LBB441_1051:
	s_delay_alu instid0(SALU_CYCLE_1)
	s_and_not1_b32 vcc_lo, exec_lo, s4
	s_cbranch_vccnz .LBB441_1053
; %bb.1052:
	s_waitcnt vmcnt(0)
	global_store_b16 v[3:4], v1, off
.LBB441_1053:
	s_mov_b32 s4, 0
.LBB441_1054:
	s_delay_alu instid0(SALU_CYCLE_1)
	s_and_not1_b32 vcc_lo, exec_lo, s4
	s_cbranch_vccnz .LBB441_1059
; %bb.1055:
	v_cmp_lt_i16_e32 vcc_lo, 0, v5
	s_mov_b32 s4, -1
	s_cbranch_vccz .LBB441_1057
; %bb.1056:
	s_mov_b32 s4, 0
	s_waitcnt vmcnt(0)
	global_store_b8 v[3:4], v1, off
.LBB441_1057:
	s_and_not1_b32 vcc_lo, exec_lo, s4
	s_cbranch_vccnz .LBB441_1059
; %bb.1058:
	s_waitcnt vmcnt(0)
	global_store_b8 v[3:4], v1, off
.LBB441_1059:
	s_or_b32 exec_lo, exec_lo, s2
	s_delay_alu instid0(SALU_CYCLE_1)
	s_and_b32 s8, s3, exec_lo
                                        ; implicit-def: $vgpr9
                                        ; implicit-def: $vgpr8
.LBB441_1060:
	s_or_saveexec_b32 s9, s30
	s_mov_b32 s4, 0
                                        ; implicit-def: $vgpr0_vgpr1
                                        ; implicit-def: $sgpr3
                                        ; implicit-def: $vgpr2
	s_xor_b32 exec_lo, exec_lo, s9
	s_cbranch_execz .LBB441_2018
; %bb.1061:
	v_cndmask_b32_e64 v0, 0, 1, s29
	s_and_not1_b32 vcc_lo, exec_lo, s29
	s_cbranch_vccnz .LBB441_1067
; %bb.1062:
	s_waitcnt vmcnt(0)
	v_mov_b32_e32 v3, 0
	v_mov_b32_e32 v7, 0
	s_cmp_lg_u32 s26, 0
	s_mov_b32 s6, 0
	s_cbranch_scc0 .LBB441_1071
; %bb.1063:
	s_min_u32 s7, s27, 15
	v_mov_b32_e32 v3, 0
	s_add_i32 s7, s7, 1
	s_cmp_eq_u32 s27, 2
	s_mov_b32 s10, 0
	s_cbranch_scc1 .LBB441_1068
; %bb.1064:
	v_mov_b32_e32 v7, 0
	v_mov_b32_e32 v3, 0
	;; [unrolled: 1-line block ×3, first 2 shown]
	s_add_u32 s2, s16, 0xc4
	s_addc_u32 s3, s17, 0
	s_and_b32 s10, s7, 28
	s_mov_b32 s11, 0
	s_mov_b64 s[4:5], s[16:17]
.LBB441_1065:                           ; =>This Inner Loop Header: Depth=1
	s_clause 0x1
	s_load_b256 s[36:43], s[4:5], 0x4
	s_load_b128 s[12:15], s[4:5], 0x24
	s_load_b256 s[44:51], s[2:3], 0x0
	s_add_u32 s4, s4, 48
	s_addc_u32 s5, s5, 0
	s_add_i32 s11, s11, 4
	s_add_u32 s2, s2, 32
	s_addc_u32 s3, s3, 0
	s_cmp_lg_u32 s10, s11
	s_waitcnt lgkmcnt(0)
	v_mul_hi_u32 v2, s37, v1
	s_delay_alu instid0(VALU_DEP_1) | instskip(NEXT) | instid1(VALU_DEP_1)
	v_add_nc_u32_e32 v2, v1, v2
	v_lshrrev_b32_e32 v2, s38, v2
	s_delay_alu instid0(VALU_DEP_1) | instskip(SKIP_1) | instid1(VALU_DEP_2)
	v_mul_hi_u32 v4, s40, v2
	v_mul_lo_u32 v6, v2, s36
	v_add_nc_u32_e32 v4, v2, v4
	s_delay_alu instid0(VALU_DEP_2) | instskip(NEXT) | instid1(VALU_DEP_2)
	v_sub_nc_u32_e32 v1, v1, v6
	v_lshrrev_b32_e32 v4, s41, v4
	s_delay_alu instid0(VALU_DEP_2) | instskip(SKIP_1) | instid1(VALU_DEP_3)
	v_mul_lo_u32 v6, v1, s44
	v_mul_lo_u32 v11, v1, s45
	v_mul_hi_u32 v5, s43, v4
	s_delay_alu instid0(VALU_DEP_1) | instskip(NEXT) | instid1(VALU_DEP_1)
	v_add_nc_u32_e32 v5, v4, v5
	v_lshrrev_b32_e32 v5, s12, v5
	s_delay_alu instid0(VALU_DEP_1) | instskip(SKIP_1) | instid1(VALU_DEP_2)
	v_mul_hi_u32 v10, s14, v5
	v_mul_lo_u32 v12, v5, s42
	v_add_nc_u32_e32 v1, v5, v10
	v_mul_lo_u32 v10, v4, s39
	s_delay_alu instid0(VALU_DEP_3) | instskip(NEXT) | instid1(VALU_DEP_3)
	v_sub_nc_u32_e32 v4, v4, v12
	v_lshrrev_b32_e32 v1, s15, v1
	s_delay_alu instid0(VALU_DEP_2) | instskip(SKIP_2) | instid1(VALU_DEP_4)
	v_mul_lo_u32 v12, v4, s48
	v_mul_lo_u32 v4, v4, s49
	v_sub_nc_u32_e32 v2, v2, v10
	v_mul_lo_u32 v13, v1, s13
	s_delay_alu instid0(VALU_DEP_2) | instskip(SKIP_1) | instid1(VALU_DEP_3)
	v_mul_lo_u32 v10, v2, s46
	v_mul_lo_u32 v2, v2, s47
	v_sub_nc_u32_e32 v5, v5, v13
	s_delay_alu instid0(VALU_DEP_3) | instskip(NEXT) | instid1(VALU_DEP_2)
	v_add3_u32 v3, v6, v3, v10
	v_mul_lo_u32 v13, v5, s50
	v_mul_lo_u32 v5, v5, s51
	v_add3_u32 v2, v11, v7, v2
	s_delay_alu instid0(VALU_DEP_3) | instskip(NEXT) | instid1(VALU_DEP_2)
	v_add3_u32 v3, v12, v3, v13
	v_add3_u32 v7, v4, v2, v5
	s_cbranch_scc1 .LBB441_1065
; %bb.1066:
	s_and_b32 s7, s7, 3
	s_delay_alu instid0(SALU_CYCLE_1)
	s_cmp_eq_u32 s7, 0
	s_cbranch_scc0 .LBB441_1069
	s_branch .LBB441_1071
.LBB441_1067:
	s_mov_b32 s6, -1
                                        ; implicit-def: $vgpr3
                                        ; implicit-def: $vgpr7
	s_branch .LBB441_1071
.LBB441_1068:
	v_mov_b32_e32 v1, v8
	v_mov_b32_e32 v7, 0
	s_and_b32 s7, s7, 3
	s_delay_alu instid0(SALU_CYCLE_1)
	s_cmp_eq_u32 s7, 0
	s_cbranch_scc1 .LBB441_1071
.LBB441_1069:
	s_lshl_b32 s2, s10, 3
	s_mul_i32 s4, s10, 12
	s_add_u32 s2, s2, s16
	s_addc_u32 s3, 0, s17
	s_add_u32 s2, s2, 0xc4
	s_addc_u32 s3, s3, 0
	s_add_u32 s4, s16, s4
	s_addc_u32 s5, 0, s17
	.p2align	6
.LBB441_1070:                           ; =>This Inner Loop Header: Depth=1
	s_clause 0x1
	s_load_b64 s[10:11], s[4:5], 0x4
	s_load_b32 s14, s[4:5], 0xc
	s_load_b64 s[12:13], s[2:3], 0x0
	s_add_u32 s4, s4, 12
	s_addc_u32 s5, s5, 0
	s_add_u32 s2, s2, 8
	s_addc_u32 s3, s3, 0
	s_add_i32 s7, s7, -1
	s_delay_alu instid0(SALU_CYCLE_1) | instskip(SKIP_2) | instid1(VALU_DEP_1)
	s_cmp_lg_u32 s7, 0
	s_waitcnt lgkmcnt(0)
	v_mul_hi_u32 v2, s11, v1
	v_add_nc_u32_e32 v2, v1, v2
	s_delay_alu instid0(VALU_DEP_1) | instskip(NEXT) | instid1(VALU_DEP_1)
	v_lshrrev_b32_e32 v6, s14, v2
	v_mul_lo_u32 v2, v6, s10
	s_delay_alu instid0(VALU_DEP_1) | instskip(NEXT) | instid1(VALU_DEP_1)
	v_sub_nc_u32_e32 v1, v1, v2
	v_mad_u64_u32 v[4:5], null, v1, s12, v[3:4]
	v_mad_u64_u32 v[2:3], null, v1, s13, v[7:8]
	v_mov_b32_e32 v1, v6
	s_delay_alu instid0(VALU_DEP_3) | instskip(NEXT) | instid1(VALU_DEP_3)
	v_mov_b32_e32 v3, v4
	v_mov_b32_e32 v7, v2
	s_cbranch_scc1 .LBB441_1070
.LBB441_1071:
	s_and_not1_b32 vcc_lo, exec_lo, s6
	s_cbranch_vccnz .LBB441_1074
; %bb.1072:
	s_clause 0x1
	s_load_b128 s[4:7], s[16:17], 0x4
	s_load_b64 s[2:3], s[16:17], 0xc4
	s_cmp_lt_u32 s26, 2
	s_waitcnt lgkmcnt(0)
	v_mul_hi_u32 v1, s5, v8
	s_delay_alu instid0(VALU_DEP_1) | instskip(NEXT) | instid1(VALU_DEP_1)
	v_add_nc_u32_e32 v1, v8, v1
	v_lshrrev_b32_e32 v1, s6, v1
	s_delay_alu instid0(VALU_DEP_1) | instskip(NEXT) | instid1(VALU_DEP_1)
	v_mul_lo_u32 v2, v1, s4
	v_sub_nc_u32_e32 v2, v8, v2
	s_waitcnt vmcnt(0)
	s_delay_alu instid0(VALU_DEP_1)
	v_mul_lo_u32 v3, v2, s2
	v_mul_lo_u32 v7, v2, s3
	s_cbranch_scc1 .LBB441_1074
; %bb.1073:
	s_clause 0x1
	s_load_b128 s[4:7], s[16:17], 0x10
	s_load_b64 s[2:3], s[16:17], 0xcc
	s_waitcnt lgkmcnt(0)
	v_mul_hi_u32 v2, s5, v1
	s_delay_alu instid0(VALU_DEP_1) | instskip(NEXT) | instid1(VALU_DEP_1)
	v_add_nc_u32_e32 v2, v1, v2
	v_lshrrev_b32_e32 v2, s6, v2
	s_delay_alu instid0(VALU_DEP_1) | instskip(NEXT) | instid1(VALU_DEP_1)
	v_mul_lo_u32 v2, v2, s4
	v_sub_nc_u32_e32 v4, v1, v2
	s_delay_alu instid0(VALU_DEP_1) | instskip(SKIP_1) | instid1(VALU_DEP_2)
	v_mad_u64_u32 v[1:2], null, v4, s2, v[3:4]
	v_mad_u64_u32 v[2:3], null, v4, s3, v[7:8]
	v_mov_b32_e32 v3, v1
	s_delay_alu instid0(VALU_DEP_2)
	v_mov_b32_e32 v7, v2
.LBB441_1074:
	v_cmp_ne_u32_e32 vcc_lo, 1, v0
	v_add_nc_u32_e32 v1, 0x80, v8
	s_cbranch_vccnz .LBB441_1080
; %bb.1075:
	v_mov_b32_e32 v2, 0
	s_waitcnt vmcnt(0)
	v_mov_b32_e32 v6, 0
	s_cmp_lg_u32 s26, 0
	s_mov_b32 s6, 0
	s_cbranch_scc0 .LBB441_1084
; %bb.1076:
	s_min_u32 s7, s27, 15
	v_mov_b32_e32 v2, 0
	s_add_i32 s7, s7, 1
	s_cmp_eq_u32 s27, 2
	s_mov_b32 s10, 0
	s_cbranch_scc1 .LBB441_1081
; %bb.1077:
	v_mov_b32_e32 v6, 0
	v_mov_b32_e32 v2, 0
	;; [unrolled: 1-line block ×3, first 2 shown]
	s_add_u32 s2, s16, 0xc4
	s_addc_u32 s3, s17, 0
	s_and_b32 s10, s7, 28
	s_mov_b32 s11, 0
	s_mov_b64 s[4:5], s[16:17]
.LBB441_1078:                           ; =>This Inner Loop Header: Depth=1
	s_clause 0x1
	s_load_b256 s[36:43], s[4:5], 0x4
	s_load_b128 s[12:15], s[4:5], 0x24
	s_load_b256 s[44:51], s[2:3], 0x0
	s_add_u32 s4, s4, 48
	s_addc_u32 s5, s5, 0
	s_add_i32 s11, s11, 4
	s_add_u32 s2, s2, 32
	s_addc_u32 s3, s3, 0
	s_cmp_lg_u32 s10, s11
	s_waitcnt lgkmcnt(0)
	v_mul_hi_u32 v5, s37, v4
	s_delay_alu instid0(VALU_DEP_1) | instskip(NEXT) | instid1(VALU_DEP_1)
	v_add_nc_u32_e32 v5, v4, v5
	v_lshrrev_b32_e32 v5, s38, v5
	s_delay_alu instid0(VALU_DEP_1) | instskip(SKIP_1) | instid1(VALU_DEP_2)
	v_mul_hi_u32 v10, s40, v5
	v_mul_lo_u32 v12, v5, s36
	v_add_nc_u32_e32 v10, v5, v10
	s_delay_alu instid0(VALU_DEP_2) | instskip(NEXT) | instid1(VALU_DEP_2)
	v_sub_nc_u32_e32 v4, v4, v12
	v_lshrrev_b32_e32 v10, s41, v10
	s_delay_alu instid0(VALU_DEP_2) | instskip(SKIP_1) | instid1(VALU_DEP_3)
	v_mul_lo_u32 v12, v4, s44
	v_mul_lo_u32 v14, v4, s45
	v_mul_hi_u32 v11, s43, v10
	s_delay_alu instid0(VALU_DEP_1) | instskip(NEXT) | instid1(VALU_DEP_1)
	v_add_nc_u32_e32 v11, v10, v11
	v_lshrrev_b32_e32 v11, s12, v11
	s_delay_alu instid0(VALU_DEP_1) | instskip(SKIP_1) | instid1(VALU_DEP_2)
	v_mul_hi_u32 v13, s14, v11
	v_mul_lo_u32 v15, v11, s42
	v_add_nc_u32_e32 v4, v11, v13
	v_mul_lo_u32 v13, v10, s39
	s_delay_alu instid0(VALU_DEP_3) | instskip(NEXT) | instid1(VALU_DEP_3)
	v_sub_nc_u32_e32 v10, v10, v15
	v_lshrrev_b32_e32 v4, s15, v4
	s_delay_alu instid0(VALU_DEP_2) | instskip(SKIP_2) | instid1(VALU_DEP_4)
	v_mul_lo_u32 v15, v10, s48
	v_mul_lo_u32 v10, v10, s49
	v_sub_nc_u32_e32 v5, v5, v13
	v_mul_lo_u32 v16, v4, s13
	s_delay_alu instid0(VALU_DEP_2) | instskip(SKIP_1) | instid1(VALU_DEP_3)
	v_mul_lo_u32 v13, v5, s46
	v_mul_lo_u32 v5, v5, s47
	v_sub_nc_u32_e32 v11, v11, v16
	s_delay_alu instid0(VALU_DEP_3) | instskip(NEXT) | instid1(VALU_DEP_2)
	v_add3_u32 v2, v12, v2, v13
	v_mul_lo_u32 v16, v11, s50
	v_mul_lo_u32 v11, v11, s51
	v_add3_u32 v5, v14, v6, v5
	s_delay_alu instid0(VALU_DEP_3) | instskip(NEXT) | instid1(VALU_DEP_2)
	v_add3_u32 v2, v15, v2, v16
	v_add3_u32 v6, v10, v5, v11
	s_cbranch_scc1 .LBB441_1078
; %bb.1079:
	s_and_b32 s7, s7, 3
	s_delay_alu instid0(SALU_CYCLE_1)
	s_cmp_eq_u32 s7, 0
	s_cbranch_scc0 .LBB441_1082
	s_branch .LBB441_1084
.LBB441_1080:
	s_mov_b32 s6, -1
                                        ; implicit-def: $vgpr2
                                        ; implicit-def: $vgpr6
	s_branch .LBB441_1084
.LBB441_1081:
	v_mov_b32_e32 v4, v1
	v_mov_b32_e32 v6, 0
	s_and_b32 s7, s7, 3
	s_delay_alu instid0(SALU_CYCLE_1)
	s_cmp_eq_u32 s7, 0
	s_cbranch_scc1 .LBB441_1084
.LBB441_1082:
	s_lshl_b32 s2, s10, 3
	s_mul_i32 s4, s10, 12
	s_add_u32 s2, s2, s16
	s_addc_u32 s3, 0, s17
	s_add_u32 s2, s2, 0xc4
	s_addc_u32 s3, s3, 0
	;; [unrolled: 2-line block ×3, first 2 shown]
	.p2align	6
.LBB441_1083:                           ; =>This Inner Loop Header: Depth=1
	s_clause 0x1
	s_load_b64 s[10:11], s[4:5], 0x4
	s_load_b32 s14, s[4:5], 0xc
	s_load_b64 s[12:13], s[2:3], 0x0
	s_add_u32 s4, s4, 12
	s_addc_u32 s5, s5, 0
	s_add_u32 s2, s2, 8
	s_addc_u32 s3, s3, 0
	s_add_i32 s7, s7, -1
	s_delay_alu instid0(SALU_CYCLE_1) | instskip(SKIP_2) | instid1(VALU_DEP_1)
	s_cmp_lg_u32 s7, 0
	s_waitcnt lgkmcnt(0)
	v_mul_hi_u32 v5, s11, v4
	v_add_nc_u32_e32 v5, v4, v5
	s_delay_alu instid0(VALU_DEP_1) | instskip(NEXT) | instid1(VALU_DEP_1)
	v_lshrrev_b32_e32 v5, s14, v5
	v_mul_lo_u32 v10, v5, s10
	s_delay_alu instid0(VALU_DEP_1) | instskip(NEXT) | instid1(VALU_DEP_1)
	v_sub_nc_u32_e32 v4, v4, v10
	v_mad_u64_u32 v[10:11], null, v4, s12, v[2:3]
	v_mad_u64_u32 v[11:12], null, v4, s13, v[6:7]
	v_mov_b32_e32 v4, v5
	s_delay_alu instid0(VALU_DEP_3) | instskip(NEXT) | instid1(VALU_DEP_3)
	v_mov_b32_e32 v2, v10
	v_mov_b32_e32 v6, v11
	s_cbranch_scc1 .LBB441_1083
.LBB441_1084:
	s_and_not1_b32 vcc_lo, exec_lo, s6
	s_cbranch_vccnz .LBB441_1087
; %bb.1085:
	s_clause 0x1
	s_load_b128 s[4:7], s[16:17], 0x4
	s_load_b64 s[2:3], s[16:17], 0xc4
	s_cmp_lt_u32 s26, 2
	s_waitcnt lgkmcnt(0)
	v_mul_hi_u32 v2, s5, v1
	s_delay_alu instid0(VALU_DEP_1) | instskip(NEXT) | instid1(VALU_DEP_1)
	v_add_nc_u32_e32 v2, v1, v2
	v_lshrrev_b32_e32 v4, s6, v2
	s_delay_alu instid0(VALU_DEP_1) | instskip(NEXT) | instid1(VALU_DEP_1)
	v_mul_lo_u32 v2, v4, s4
	v_sub_nc_u32_e32 v1, v1, v2
	s_delay_alu instid0(VALU_DEP_1)
	v_mul_lo_u32 v2, v1, s2
	s_waitcnt vmcnt(0)
	v_mul_lo_u32 v6, v1, s3
	s_cbranch_scc1 .LBB441_1087
; %bb.1086:
	s_clause 0x1
	s_load_b128 s[4:7], s[16:17], 0x10
	s_load_b64 s[2:3], s[16:17], 0xcc
	s_waitcnt lgkmcnt(0)
	v_mul_hi_u32 v1, s5, v4
	s_delay_alu instid0(VALU_DEP_1) | instskip(NEXT) | instid1(VALU_DEP_1)
	v_add_nc_u32_e32 v1, v4, v1
	v_lshrrev_b32_e32 v1, s6, v1
	s_delay_alu instid0(VALU_DEP_1) | instskip(NEXT) | instid1(VALU_DEP_1)
	v_mul_lo_u32 v1, v1, s4
	v_sub_nc_u32_e32 v10, v4, v1
	s_delay_alu instid0(VALU_DEP_1) | instskip(SKIP_1) | instid1(VALU_DEP_2)
	v_mad_u64_u32 v[4:5], null, v10, s2, v[2:3]
	v_mad_u64_u32 v[1:2], null, v10, s3, v[6:7]
	v_mov_b32_e32 v2, v4
	s_delay_alu instid0(VALU_DEP_2)
	v_mov_b32_e32 v6, v1
.LBB441_1087:
	v_cmp_ne_u32_e32 vcc_lo, 1, v0
	v_add_nc_u32_e32 v4, 0x100, v8
	s_cbranch_vccnz .LBB441_1093
; %bb.1088:
	v_mov_b32_e32 v1, 0
	v_mov_b32_e32 v5, 0
	s_cmp_lg_u32 s26, 0
	s_mov_b32 s6, 0
	s_cbranch_scc0 .LBB441_1097
; %bb.1089:
	s_min_u32 s7, s27, 15
	v_mov_b32_e32 v1, 0
	s_add_i32 s7, s7, 1
	s_cmp_eq_u32 s27, 2
	s_mov_b32 s10, 0
	s_cbranch_scc1 .LBB441_1094
; %bb.1090:
	v_dual_mov_b32 v5, 0 :: v_dual_mov_b32 v8, v4
	v_mov_b32_e32 v1, 0
	s_add_u32 s2, s16, 0xc4
	s_addc_u32 s3, s17, 0
	s_and_b32 s10, s7, 28
	s_mov_b32 s11, 0
	s_mov_b64 s[4:5], s[16:17]
.LBB441_1091:                           ; =>This Inner Loop Header: Depth=1
	s_clause 0x1
	s_load_b256 s[36:43], s[4:5], 0x4
	s_load_b128 s[12:15], s[4:5], 0x24
	s_load_b256 s[44:51], s[2:3], 0x0
	s_add_u32 s4, s4, 48
	s_addc_u32 s5, s5, 0
	s_add_i32 s11, s11, 4
	s_add_u32 s2, s2, 32
	s_addc_u32 s3, s3, 0
	s_cmp_lg_u32 s10, s11
	s_waitcnt lgkmcnt(0)
	v_mul_hi_u32 v10, s37, v8
	s_delay_alu instid0(VALU_DEP_1) | instskip(NEXT) | instid1(VALU_DEP_1)
	v_add_nc_u32_e32 v10, v8, v10
	v_lshrrev_b32_e32 v10, s38, v10
	s_delay_alu instid0(VALU_DEP_1) | instskip(SKIP_1) | instid1(VALU_DEP_2)
	v_mul_hi_u32 v11, s40, v10
	v_mul_lo_u32 v13, v10, s36
	v_add_nc_u32_e32 v11, v10, v11
	s_delay_alu instid0(VALU_DEP_2) | instskip(NEXT) | instid1(VALU_DEP_2)
	v_sub_nc_u32_e32 v8, v8, v13
	v_lshrrev_b32_e32 v11, s41, v11
	s_delay_alu instid0(VALU_DEP_2) | instskip(SKIP_1) | instid1(VALU_DEP_3)
	v_mul_lo_u32 v13, v8, s44
	v_mul_lo_u32 v15, v8, s45
	v_mul_hi_u32 v12, s43, v11
	s_delay_alu instid0(VALU_DEP_1) | instskip(NEXT) | instid1(VALU_DEP_1)
	v_add_nc_u32_e32 v12, v11, v12
	v_lshrrev_b32_e32 v12, s12, v12
	s_delay_alu instid0(VALU_DEP_1) | instskip(SKIP_1) | instid1(VALU_DEP_2)
	v_mul_hi_u32 v14, s14, v12
	v_mul_lo_u32 v16, v12, s42
	v_add_nc_u32_e32 v8, v12, v14
	v_mul_lo_u32 v14, v11, s39
	s_delay_alu instid0(VALU_DEP_3) | instskip(NEXT) | instid1(VALU_DEP_3)
	v_sub_nc_u32_e32 v11, v11, v16
	v_lshrrev_b32_e32 v8, s15, v8
	s_delay_alu instid0(VALU_DEP_2) | instskip(SKIP_2) | instid1(VALU_DEP_4)
	v_mul_lo_u32 v16, v11, s48
	v_mul_lo_u32 v11, v11, s49
	v_sub_nc_u32_e32 v10, v10, v14
	v_mul_lo_u32 v17, v8, s13
	s_delay_alu instid0(VALU_DEP_2) | instskip(SKIP_1) | instid1(VALU_DEP_3)
	v_mul_lo_u32 v14, v10, s46
	v_mul_lo_u32 v10, v10, s47
	v_sub_nc_u32_e32 v12, v12, v17
	s_delay_alu instid0(VALU_DEP_3) | instskip(NEXT) | instid1(VALU_DEP_2)
	v_add3_u32 v1, v13, v1, v14
	v_mul_lo_u32 v17, v12, s50
	v_mul_lo_u32 v12, v12, s51
	v_add3_u32 v5, v15, v5, v10
	s_delay_alu instid0(VALU_DEP_3) | instskip(NEXT) | instid1(VALU_DEP_2)
	v_add3_u32 v1, v16, v1, v17
	v_add3_u32 v5, v11, v5, v12
	s_cbranch_scc1 .LBB441_1091
; %bb.1092:
	s_and_b32 s7, s7, 3
	s_delay_alu instid0(SALU_CYCLE_1)
	s_cmp_eq_u32 s7, 0
	s_cbranch_scc0 .LBB441_1095
	s_branch .LBB441_1097
.LBB441_1093:
	s_mov_b32 s6, -1
                                        ; implicit-def: $vgpr1
                                        ; implicit-def: $vgpr5
	s_branch .LBB441_1097
.LBB441_1094:
	v_dual_mov_b32 v8, v4 :: v_dual_mov_b32 v5, 0
	s_and_b32 s7, s7, 3
	s_delay_alu instid0(SALU_CYCLE_1)
	s_cmp_eq_u32 s7, 0
	s_cbranch_scc1 .LBB441_1097
.LBB441_1095:
	s_lshl_b32 s2, s10, 3
	s_mul_i32 s4, s10, 12
	s_add_u32 s2, s2, s16
	s_addc_u32 s3, 0, s17
	s_add_u32 s2, s2, 0xc4
	s_addc_u32 s3, s3, 0
	;; [unrolled: 2-line block ×3, first 2 shown]
	.p2align	6
.LBB441_1096:                           ; =>This Inner Loop Header: Depth=1
	s_clause 0x1
	s_load_b64 s[10:11], s[4:5], 0x4
	s_load_b32 s14, s[4:5], 0xc
	s_load_b64 s[12:13], s[2:3], 0x0
	s_add_u32 s4, s4, 12
	s_addc_u32 s5, s5, 0
	s_add_u32 s2, s2, 8
	s_addc_u32 s3, s3, 0
	s_add_i32 s7, s7, -1
	s_delay_alu instid0(SALU_CYCLE_1) | instskip(SKIP_2) | instid1(VALU_DEP_1)
	s_cmp_lg_u32 s7, 0
	s_waitcnt lgkmcnt(0)
	v_mul_hi_u32 v10, s11, v8
	v_add_nc_u32_e32 v10, v8, v10
	s_delay_alu instid0(VALU_DEP_1) | instskip(NEXT) | instid1(VALU_DEP_1)
	v_lshrrev_b32_e32 v13, s14, v10
	v_mul_lo_u32 v10, v13, s10
	s_delay_alu instid0(VALU_DEP_1) | instskip(NEXT) | instid1(VALU_DEP_1)
	v_sub_nc_u32_e32 v8, v8, v10
	v_mad_u64_u32 v[10:11], null, v8, s12, v[1:2]
	s_waitcnt vmcnt(0)
	v_mad_u64_u32 v[11:12], null, v8, s13, v[5:6]
	s_delay_alu instid0(VALU_DEP_2) | instskip(NEXT) | instid1(VALU_DEP_2)
	v_dual_mov_b32 v8, v13 :: v_dual_mov_b32 v1, v10
	v_mov_b32_e32 v5, v11
	s_cbranch_scc1 .LBB441_1096
.LBB441_1097:
	s_and_not1_b32 vcc_lo, exec_lo, s6
	s_cbranch_vccnz .LBB441_1100
; %bb.1098:
	s_clause 0x1
	s_load_b128 s[4:7], s[16:17], 0x4
	s_load_b64 s[2:3], s[16:17], 0xc4
	s_cmp_lt_u32 s26, 2
	s_waitcnt lgkmcnt(0)
	v_mul_hi_u32 v1, s5, v4
	s_delay_alu instid0(VALU_DEP_1) | instskip(NEXT) | instid1(VALU_DEP_1)
	v_add_nc_u32_e32 v1, v4, v1
	v_lshrrev_b32_e32 v8, s6, v1
	s_delay_alu instid0(VALU_DEP_1) | instskip(NEXT) | instid1(VALU_DEP_1)
	v_mul_lo_u32 v1, v8, s4
	v_sub_nc_u32_e32 v4, v4, v1
	s_delay_alu instid0(VALU_DEP_1)
	v_mul_lo_u32 v1, v4, s2
	v_mul_lo_u32 v5, v4, s3
	s_cbranch_scc1 .LBB441_1100
; %bb.1099:
	s_clause 0x1
	s_load_b128 s[4:7], s[16:17], 0x10
	s_load_b64 s[2:3], s[16:17], 0xcc
	s_waitcnt lgkmcnt(0)
	v_mul_hi_u32 v4, s5, v8
	s_delay_alu instid0(VALU_DEP_1) | instskip(NEXT) | instid1(VALU_DEP_1)
	v_add_nc_u32_e32 v4, v8, v4
	v_lshrrev_b32_e32 v4, s6, v4
	s_delay_alu instid0(VALU_DEP_1) | instskip(NEXT) | instid1(VALU_DEP_1)
	v_mul_lo_u32 v4, v4, s4
	v_sub_nc_u32_e32 v4, v8, v4
	s_delay_alu instid0(VALU_DEP_1) | instskip(SKIP_2) | instid1(VALU_DEP_2)
	v_mad_u64_u32 v[10:11], null, v4, s2, v[1:2]
	s_waitcnt vmcnt(0)
	v_mad_u64_u32 v[11:12], null, v4, s3, v[5:6]
	v_mov_b32_e32 v1, v10
	s_delay_alu instid0(VALU_DEP_2)
	v_mov_b32_e32 v5, v11
.LBB441_1100:
	v_cmp_ne_u32_e32 vcc_lo, 1, v0
	s_cbranch_vccnz .LBB441_1106
; %bb.1101:
	v_mov_b32_e32 v0, 0
	v_mov_b32_e32 v4, 0
	s_cmp_lg_u32 s26, 0
	s_mov_b32 s6, 0
	s_cbranch_scc0 .LBB441_1110
; %bb.1102:
	s_min_u32 s7, s27, 15
	v_mov_b32_e32 v0, 0
	s_add_i32 s7, s7, 1
	s_cmp_eq_u32 s27, 2
	s_mov_b32 s10, 0
	s_cbranch_scc1 .LBB441_1107
; %bb.1103:
	v_mov_b32_e32 v4, 0
	v_mov_b32_e32 v0, 0
	;; [unrolled: 1-line block ×3, first 2 shown]
	s_add_u32 s2, s16, 0xc4
	s_addc_u32 s3, s17, 0
	s_and_b32 s10, s7, 28
	s_mov_b32 s11, 0
	s_mov_b64 s[4:5], s[16:17]
.LBB441_1104:                           ; =>This Inner Loop Header: Depth=1
	s_clause 0x1
	s_load_b256 s[36:43], s[4:5], 0x4
	s_load_b128 s[12:15], s[4:5], 0x24
	s_load_b256 s[44:51], s[2:3], 0x0
	s_add_u32 s4, s4, 48
	s_addc_u32 s5, s5, 0
	s_add_i32 s11, s11, 4
	s_add_u32 s2, s2, 32
	s_addc_u32 s3, s3, 0
	s_cmp_lg_u32 s10, s11
	s_waitcnt lgkmcnt(0)
	v_mul_hi_u32 v10, s37, v8
	s_delay_alu instid0(VALU_DEP_1) | instskip(NEXT) | instid1(VALU_DEP_1)
	v_add_nc_u32_e32 v10, v8, v10
	v_lshrrev_b32_e32 v10, s38, v10
	s_delay_alu instid0(VALU_DEP_1) | instskip(SKIP_1) | instid1(VALU_DEP_2)
	v_mul_hi_u32 v11, s40, v10
	v_mul_lo_u32 v13, v10, s36
	v_add_nc_u32_e32 v11, v10, v11
	s_delay_alu instid0(VALU_DEP_2) | instskip(NEXT) | instid1(VALU_DEP_2)
	v_sub_nc_u32_e32 v8, v8, v13
	v_lshrrev_b32_e32 v11, s41, v11
	s_delay_alu instid0(VALU_DEP_2) | instskip(SKIP_1) | instid1(VALU_DEP_3)
	v_mul_lo_u32 v13, v8, s44
	v_mul_lo_u32 v15, v8, s45
	v_mul_hi_u32 v12, s43, v11
	s_delay_alu instid0(VALU_DEP_1) | instskip(NEXT) | instid1(VALU_DEP_1)
	v_add_nc_u32_e32 v12, v11, v12
	v_lshrrev_b32_e32 v12, s12, v12
	s_delay_alu instid0(VALU_DEP_1) | instskip(SKIP_1) | instid1(VALU_DEP_2)
	v_mul_hi_u32 v14, s14, v12
	v_mul_lo_u32 v16, v12, s42
	v_add_nc_u32_e32 v8, v12, v14
	v_mul_lo_u32 v14, v11, s39
	s_delay_alu instid0(VALU_DEP_3) | instskip(NEXT) | instid1(VALU_DEP_3)
	v_sub_nc_u32_e32 v11, v11, v16
	v_lshrrev_b32_e32 v8, s15, v8
	s_delay_alu instid0(VALU_DEP_2) | instskip(SKIP_2) | instid1(VALU_DEP_4)
	v_mul_lo_u32 v16, v11, s48
	v_mul_lo_u32 v11, v11, s49
	v_sub_nc_u32_e32 v10, v10, v14
	v_mul_lo_u32 v17, v8, s13
	s_delay_alu instid0(VALU_DEP_2) | instskip(SKIP_1) | instid1(VALU_DEP_3)
	v_mul_lo_u32 v14, v10, s46
	v_mul_lo_u32 v10, v10, s47
	v_sub_nc_u32_e32 v12, v12, v17
	s_delay_alu instid0(VALU_DEP_3) | instskip(NEXT) | instid1(VALU_DEP_2)
	v_add3_u32 v0, v13, v0, v14
	v_mul_lo_u32 v17, v12, s50
	v_mul_lo_u32 v12, v12, s51
	v_add3_u32 v4, v15, v4, v10
	s_delay_alu instid0(VALU_DEP_3) | instskip(NEXT) | instid1(VALU_DEP_2)
	v_add3_u32 v0, v16, v0, v17
	v_add3_u32 v4, v11, v4, v12
	s_cbranch_scc1 .LBB441_1104
; %bb.1105:
	s_and_b32 s7, s7, 3
	s_delay_alu instid0(SALU_CYCLE_1)
	s_cmp_eq_u32 s7, 0
	s_cbranch_scc0 .LBB441_1108
	s_branch .LBB441_1110
.LBB441_1106:
	s_mov_b32 s6, -1
                                        ; implicit-def: $vgpr0
                                        ; implicit-def: $vgpr4
	s_branch .LBB441_1110
.LBB441_1107:
	v_mov_b32_e32 v8, v9
	v_mov_b32_e32 v4, 0
	s_and_b32 s7, s7, 3
	s_delay_alu instid0(SALU_CYCLE_1)
	s_cmp_eq_u32 s7, 0
	s_cbranch_scc1 .LBB441_1110
.LBB441_1108:
	s_lshl_b32 s2, s10, 3
	s_mul_i32 s4, s10, 12
	s_add_u32 s2, s2, s16
	s_addc_u32 s3, 0, s17
	s_add_u32 s2, s2, 0xc4
	s_addc_u32 s3, s3, 0
	s_add_u32 s4, s16, s4
	s_addc_u32 s5, 0, s17
	.p2align	6
.LBB441_1109:                           ; =>This Inner Loop Header: Depth=1
	s_clause 0x1
	s_load_b64 s[10:11], s[4:5], 0x4
	s_load_b32 s14, s[4:5], 0xc
	s_load_b64 s[12:13], s[2:3], 0x0
	s_add_u32 s4, s4, 12
	s_addc_u32 s5, s5, 0
	s_add_u32 s2, s2, 8
	s_addc_u32 s3, s3, 0
	s_add_i32 s7, s7, -1
	s_delay_alu instid0(SALU_CYCLE_1) | instskip(SKIP_2) | instid1(VALU_DEP_1)
	s_cmp_lg_u32 s7, 0
	s_waitcnt lgkmcnt(0)
	v_mul_hi_u32 v10, s11, v8
	v_add_nc_u32_e32 v10, v8, v10
	s_delay_alu instid0(VALU_DEP_1) | instskip(NEXT) | instid1(VALU_DEP_1)
	v_lshrrev_b32_e32 v13, s14, v10
	v_mul_lo_u32 v10, v13, s10
	s_delay_alu instid0(VALU_DEP_1) | instskip(NEXT) | instid1(VALU_DEP_1)
	v_sub_nc_u32_e32 v8, v8, v10
	v_mad_u64_u32 v[10:11], null, v8, s12, v[0:1]
	v_mad_u64_u32 v[11:12], null, v8, s13, v[4:5]
	v_mov_b32_e32 v8, v13
	s_delay_alu instid0(VALU_DEP_3) | instskip(NEXT) | instid1(VALU_DEP_3)
	v_mov_b32_e32 v0, v10
	v_mov_b32_e32 v4, v11
	s_cbranch_scc1 .LBB441_1109
.LBB441_1110:
	s_and_not1_b32 vcc_lo, exec_lo, s6
	s_cbranch_vccnz .LBB441_1113
; %bb.1111:
	s_clause 0x1
	s_load_b128 s[4:7], s[16:17], 0x4
	s_load_b64 s[2:3], s[16:17], 0xc4
	s_cmp_lt_u32 s26, 2
	s_waitcnt lgkmcnt(0)
	v_mul_hi_u32 v0, s5, v9
	s_delay_alu instid0(VALU_DEP_1) | instskip(NEXT) | instid1(VALU_DEP_1)
	v_add_nc_u32_e32 v0, v9, v0
	v_lshrrev_b32_e32 v8, s6, v0
	s_delay_alu instid0(VALU_DEP_1) | instskip(NEXT) | instid1(VALU_DEP_1)
	v_mul_lo_u32 v0, v8, s4
	v_sub_nc_u32_e32 v4, v9, v0
	s_delay_alu instid0(VALU_DEP_1)
	v_mul_lo_u32 v0, v4, s2
	v_mul_lo_u32 v4, v4, s3
	s_cbranch_scc1 .LBB441_1113
; %bb.1112:
	s_clause 0x1
	s_load_b128 s[4:7], s[16:17], 0x10
	s_load_b64 s[2:3], s[16:17], 0xcc
	s_waitcnt lgkmcnt(0)
	v_mul_hi_u32 v9, s5, v8
	s_delay_alu instid0(VALU_DEP_1) | instskip(NEXT) | instid1(VALU_DEP_1)
	v_add_nc_u32_e32 v9, v8, v9
	v_lshrrev_b32_e32 v9, s6, v9
	s_delay_alu instid0(VALU_DEP_1) | instskip(NEXT) | instid1(VALU_DEP_1)
	v_mul_lo_u32 v9, v9, s4
	v_sub_nc_u32_e32 v11, v8, v9
	s_delay_alu instid0(VALU_DEP_1) | instskip(SKIP_1) | instid1(VALU_DEP_2)
	v_mad_u64_u32 v[8:9], null, v11, s2, v[0:1]
	v_mad_u64_u32 v[9:10], null, v11, s3, v[4:5]
	v_mov_b32_e32 v0, v8
	s_delay_alu instid0(VALU_DEP_2)
	v_mov_b32_e32 v4, v9
.LBB441_1113:
	s_clause 0x1
	s_load_b32 s0, s[0:1], 0x164
	s_load_b128 s[4:7], s[16:17], 0x148
	s_mov_b32 s3, 0
	s_waitcnt lgkmcnt(0)
	s_lshr_b32 s0, s0, 8
	s_delay_alu instid0(SALU_CYCLE_1) | instskip(SKIP_1) | instid1(VALU_DEP_1)
	v_and_b32_e64 v9, 0xff, s0
	v_add_co_u32 v7, s0, s6, v7
	v_add_co_ci_u32_e64 v8, null, s7, 0, s0
	s_delay_alu instid0(VALU_DEP_3)
	v_cmp_gt_i16_e32 vcc_lo, 11, v9
	s_cbranch_vccnz .LBB441_1120
; %bb.1114:
	v_cmp_lt_i16_e32 vcc_lo, 25, v9
	s_mov_b32 s2, 0
	s_cbranch_vccz .LBB441_1126
; %bb.1115:
	v_cmp_lt_i16_e32 vcc_lo, 28, v9
	s_cbranch_vccz .LBB441_1128
; %bb.1116:
	v_cmp_lt_i16_e32 vcc_lo, 43, v9
	;; [unrolled: 3-line block ×3, first 2 shown]
	s_cbranch_vccz .LBB441_1134
; %bb.1118:
	v_cmp_eq_u16_e32 vcc_lo, 46, v9
	s_mov_b32 s1, 0
	s_cbranch_vccz .LBB441_1176
; %bb.1119:
	global_load_b32 v10, v[7:8], off
	s_mov_b32 s0, 0
	s_mov_b32 s3, -1
	s_waitcnt vmcnt(0)
	v_lshlrev_b32_e32 v10, 16, v10
	s_delay_alu instid0(VALU_DEP_1)
	v_cvt_i32_f32_e32 v12, v10
	s_branch .LBB441_1178
.LBB441_1120:
	s_mov_b32 s1, s8
                                        ; implicit-def: $vgpr12
	s_cbranch_execz .LBB441_1236
; %bb.1121:
	v_cmp_gt_i16_e32 vcc_lo, 5, v9
	s_cbranch_vccnz .LBB441_1127
; %bb.1122:
	v_cmp_gt_i16_e32 vcc_lo, 8, v9
	s_cbranch_vccnz .LBB441_1129
	;; [unrolled: 3-line block ×3, first 2 shown]
; %bb.1124:
	v_cmp_lt_i16_e32 vcc_lo, 9, v9
	s_cbranch_vccz .LBB441_1135
; %bb.1125:
	global_load_b64 v[10:11], v[7:8], off
	s_mov_b32 s0, 0
	s_waitcnt vmcnt(0)
	v_cvt_i32_f64_e32 v12, v[10:11]
	s_branch .LBB441_1136
.LBB441_1126:
	s_mov_b32 s0, 0
                                        ; implicit-def: $vgpr12
	s_cbranch_execnz .LBB441_1203
	s_branch .LBB441_1232
.LBB441_1127:
                                        ; implicit-def: $vgpr12
	s_branch .LBB441_1153
.LBB441_1128:
	s_mov_b32 s0, 0
                                        ; implicit-def: $vgpr12
	s_cbranch_execz .LBB441_1202
	s_branch .LBB441_1187
.LBB441_1129:
                                        ; implicit-def: $vgpr12
	s_branch .LBB441_1142
.LBB441_1130:
	s_mov_b32 s0, 0
                                        ; implicit-def: $vgpr12
	s_cbranch_execnz .LBB441_1183
	s_branch .LBB441_1186
.LBB441_1131:
	s_mov_b32 s0, -1
                                        ; implicit-def: $vgpr12
	s_branch .LBB441_1139
.LBB441_1132:
	s_cbranch_execnz .LBB441_1174
; %bb.1133:
	s_or_b32 s3, s3, exec_lo
	s_and_not1_b32 s8, s8, exec_lo
	s_or_b32 exec_lo, exec_lo, s2
	s_and_saveexec_b32 s2, s8
	s_delay_alu instid0(SALU_CYCLE_1)
	s_xor_b32 s2, exec_lo, s2
	s_cbranch_execnz .LBB441_1020
	s_branch .LBB441_1021
.LBB441_1134:
	s_mov_b32 s1, -1
	s_mov_b32 s0, 0
	s_branch .LBB441_1177
.LBB441_1135:
	s_mov_b32 s0, -1
                                        ; implicit-def: $vgpr12
.LBB441_1136:
	s_delay_alu instid0(SALU_CYCLE_1)
	s_and_not1_b32 vcc_lo, exec_lo, s0
	s_cbranch_vccnz .LBB441_1138
; %bb.1137:
	global_load_b32 v10, v[7:8], off
	s_waitcnt vmcnt(0)
	v_cvt_i32_f32_e32 v12, v10
.LBB441_1138:
	s_mov_b32 s0, 0
.LBB441_1139:
	s_delay_alu instid0(SALU_CYCLE_1)
	s_and_not1_b32 vcc_lo, exec_lo, s0
	s_cbranch_vccnz .LBB441_1141
; %bb.1140:
	global_load_b32 v10, v[7:8], off
	s_waitcnt vmcnt(0)
	v_cvt_f32_f16_e32 v10, v10
	s_delay_alu instid0(VALU_DEP_1)
	v_cvt_i32_f32_e32 v12, v10
.LBB441_1141:
	s_cbranch_execnz .LBB441_1152
.LBB441_1142:
	v_cmp_gt_i16_e32 vcc_lo, 6, v9
	s_cbranch_vccnz .LBB441_1145
; %bb.1143:
	v_cmp_lt_i16_e32 vcc_lo, 6, v9
	s_cbranch_vccz .LBB441_1146
; %bb.1144:
	global_load_b64 v[10:11], v[7:8], off
	s_mov_b32 s0, 0
	s_waitcnt vmcnt(0)
	v_cvt_i32_f64_e32 v12, v[10:11]
	s_branch .LBB441_1147
.LBB441_1145:
	s_mov_b32 s0, -1
                                        ; implicit-def: $vgpr12
	s_branch .LBB441_1150
.LBB441_1146:
	s_mov_b32 s0, -1
                                        ; implicit-def: $vgpr12
.LBB441_1147:
	s_delay_alu instid0(SALU_CYCLE_1)
	s_and_not1_b32 vcc_lo, exec_lo, s0
	s_cbranch_vccnz .LBB441_1149
; %bb.1148:
	global_load_b32 v10, v[7:8], off
	s_waitcnt vmcnt(0)
	v_cvt_i32_f32_e32 v12, v10
.LBB441_1149:
	s_mov_b32 s0, 0
.LBB441_1150:
	s_delay_alu instid0(SALU_CYCLE_1)
	s_and_not1_b32 vcc_lo, exec_lo, s0
	s_cbranch_vccnz .LBB441_1152
; %bb.1151:
	global_load_u16 v10, v[7:8], off
	s_waitcnt vmcnt(0)
	v_cvt_f32_f16_e32 v10, v10
	s_delay_alu instid0(VALU_DEP_1)
	v_cvt_i32_f32_e32 v12, v10
.LBB441_1152:
	s_cbranch_execnz .LBB441_1171
.LBB441_1153:
	v_cmp_gt_i16_e32 vcc_lo, 2, v9
	s_cbranch_vccnz .LBB441_1157
; %bb.1154:
	v_cmp_gt_i16_e32 vcc_lo, 3, v9
	s_cbranch_vccnz .LBB441_1158
; %bb.1155:
	v_cmp_lt_i16_e32 vcc_lo, 3, v9
	s_cbranch_vccz .LBB441_1159
; %bb.1156:
	global_load_b32 v12, v[7:8], off
	s_mov_b32 s0, 0
	s_branch .LBB441_1160
.LBB441_1157:
                                        ; implicit-def: $vgpr12
	s_branch .LBB441_1166
.LBB441_1158:
	s_mov_b32 s0, -1
                                        ; implicit-def: $vgpr12
	s_branch .LBB441_1163
.LBB441_1159:
	s_mov_b32 s0, -1
                                        ; implicit-def: $vgpr12
.LBB441_1160:
	s_delay_alu instid0(SALU_CYCLE_1)
	s_and_not1_b32 vcc_lo, exec_lo, s0
	s_cbranch_vccnz .LBB441_1162
; %bb.1161:
	global_load_b32 v12, v[7:8], off
.LBB441_1162:
	s_mov_b32 s0, 0
.LBB441_1163:
	s_delay_alu instid0(SALU_CYCLE_1)
	s_and_not1_b32 vcc_lo, exec_lo, s0
	s_cbranch_vccnz .LBB441_1165
; %bb.1164:
	global_load_i16 v12, v[7:8], off
.LBB441_1165:
	s_cbranch_execnz .LBB441_1171
.LBB441_1166:
	v_cmp_lt_i16_e32 vcc_lo, 0, v9
	s_mov_b32 s0, 0
	s_cbranch_vccz .LBB441_1168
; %bb.1167:
	global_load_i8 v12, v[7:8], off
	s_branch .LBB441_1169
.LBB441_1168:
	s_mov_b32 s0, -1
                                        ; implicit-def: $vgpr12
.LBB441_1169:
	s_delay_alu instid0(SALU_CYCLE_1)
	s_and_not1_b32 vcc_lo, exec_lo, s0
	s_cbranch_vccnz .LBB441_1171
; %bb.1170:
	global_load_u8 v12, v[7:8], off
.LBB441_1171:
	s_branch .LBB441_1237
.LBB441_1172:
	s_trap 2
	s_sendmsg_rtn_b32 s0, sendmsg(MSG_RTN_GET_DOORBELL)
	s_mov_b32 ttmp2, m0
	s_waitcnt lgkmcnt(0)
	s_and_b32 s0, s0, 0x3ff
	s_delay_alu instid0(SALU_CYCLE_1) | instskip(NEXT) | instid1(SALU_CYCLE_1)
	s_bitset1_b32 s0, 10
	s_mov_b32 m0, s0
	s_sendmsg sendmsg(MSG_INTERRUPT)
	s_mov_b32 m0, ttmp2
.LBB441_1173:                           ; =>This Inner Loop Header: Depth=1
	s_sethalt 5
	s_branch .LBB441_1173
.LBB441_1174:
	s_trap 2
	s_sendmsg_rtn_b32 s0, sendmsg(MSG_RTN_GET_DOORBELL)
	s_mov_b32 ttmp2, m0
	s_waitcnt lgkmcnt(0)
	s_and_b32 s0, s0, 0x3ff
	s_delay_alu instid0(SALU_CYCLE_1) | instskip(NEXT) | instid1(SALU_CYCLE_1)
	s_bitset1_b32 s0, 10
	s_mov_b32 m0, s0
	s_sendmsg sendmsg(MSG_INTERRUPT)
	s_mov_b32 m0, ttmp2
.LBB441_1175:                           ; =>This Inner Loop Header: Depth=1
	s_sethalt 5
	s_branch .LBB441_1175
.LBB441_1176:
	s_mov_b32 s0, -1
.LBB441_1177:
                                        ; implicit-def: $vgpr12
.LBB441_1178:
	s_and_b32 vcc_lo, exec_lo, s1
	s_cbranch_vccz .LBB441_1181
; %bb.1179:
	v_cmp_eq_u16_e32 vcc_lo, 44, v9
	s_cbranch_vccz .LBB441_1182
; %bb.1180:
	global_load_u8 v10, v[7:8], off
	s_mov_b32 s0, 0
	s_mov_b32 s3, -1
	s_waitcnt vmcnt(0)
	v_lshlrev_b32_e32 v11, 23, v10
	v_cmp_ne_u32_e32 vcc_lo, 0, v10
	s_delay_alu instid0(VALU_DEP_2) | instskip(NEXT) | instid1(VALU_DEP_1)
	v_cvt_i32_f32_e32 v11, v11
	v_cndmask_b32_e32 v12, 0, v11, vcc_lo
.LBB441_1181:
	s_branch .LBB441_1186
.LBB441_1182:
	s_mov_b32 s0, -1
                                        ; implicit-def: $vgpr12
	s_branch .LBB441_1186
.LBB441_1183:
	v_cmp_eq_u16_e32 vcc_lo, 29, v9
	s_cbranch_vccz .LBB441_1185
; %bb.1184:
	global_load_b32 v12, v[7:8], off
	s_mov_b32 s0, 0
	s_mov_b32 s3, -1
	s_branch .LBB441_1186
.LBB441_1185:
	s_mov_b32 s0, -1
                                        ; implicit-def: $vgpr12
.LBB441_1186:
	s_branch .LBB441_1202
.LBB441_1187:
	v_cmp_gt_i16_e32 vcc_lo, 27, v9
	s_cbranch_vccnz .LBB441_1190
; %bb.1188:
	v_cmp_lt_i16_e32 vcc_lo, 27, v9
	s_cbranch_vccz .LBB441_1191
; %bb.1189:
	global_load_b32 v12, v[7:8], off
	s_mov_b32 s1, 0
	s_branch .LBB441_1192
.LBB441_1190:
	s_mov_b32 s1, -1
                                        ; implicit-def: $vgpr12
	s_branch .LBB441_1195
.LBB441_1191:
	s_mov_b32 s1, -1
                                        ; implicit-def: $vgpr12
.LBB441_1192:
	s_delay_alu instid0(SALU_CYCLE_1)
	s_and_not1_b32 vcc_lo, exec_lo, s1
	s_cbranch_vccnz .LBB441_1194
; %bb.1193:
	global_load_u16 v12, v[7:8], off
.LBB441_1194:
	s_mov_b32 s1, 0
.LBB441_1195:
	s_delay_alu instid0(SALU_CYCLE_1)
	s_and_not1_b32 vcc_lo, exec_lo, s1
	s_cbranch_vccnz .LBB441_1201
; %bb.1196:
	global_load_u8 v10, v[7:8], off
	s_mov_b32 s1, 0
	s_mov_b32 s3, exec_lo
                                        ; implicit-def: $sgpr10
	s_waitcnt vmcnt(0)
	v_cmpx_lt_i16_e32 0x7f, v10
	s_xor_b32 s3, exec_lo, s3
	s_cbranch_execz .LBB441_1212
; %bb.1197:
	v_cmp_ne_u16_e32 vcc_lo, 0x80, v10
	s_mov_b32 s10, 0
	s_and_b32 s1, vcc_lo, exec_lo
	s_or_saveexec_b32 s3, s3
	v_mov_b32_e32 v12, s10
	s_xor_b32 exec_lo, exec_lo, s3
	s_cbranch_execnz .LBB441_1213
.LBB441_1198:
	s_or_b32 exec_lo, exec_lo, s3
	s_and_saveexec_b32 s3, s1
	s_cbranch_execz .LBB441_1200
.LBB441_1199:
	v_and_b32_e32 v11, 0xffff, v10
	v_lshlrev_b32_e32 v10, 24, v10
	s_delay_alu instid0(VALU_DEP_2) | instskip(NEXT) | instid1(VALU_DEP_2)
	v_and_b32_e32 v12, 7, v11
	v_and_b32_e32 v10, 0x80000000, v10
	s_delay_alu instid0(VALU_DEP_2) | instskip(NEXT) | instid1(VALU_DEP_1)
	v_clz_i32_u32_e32 v13, v12
	v_min_u32_e32 v13, 32, v13
	s_delay_alu instid0(VALU_DEP_1) | instskip(SKIP_1) | instid1(VALU_DEP_2)
	v_subrev_nc_u32_e32 v14, 28, v13
	v_sub_nc_u32_e32 v13, 29, v13
	v_lshlrev_b32_e32 v14, v14, v11
	v_bfe_u32 v11, v11, 3, 4
	s_delay_alu instid0(VALU_DEP_2) | instskip(NEXT) | instid1(VALU_DEP_2)
	v_and_b32_e32 v14, 7, v14
	v_cmp_eq_u32_e32 vcc_lo, 0, v11
	s_delay_alu instid0(VALU_DEP_2) | instskip(NEXT) | instid1(VALU_DEP_1)
	v_dual_cndmask_b32 v11, v11, v13 :: v_dual_cndmask_b32 v12, v12, v14
	v_lshl_add_u32 v11, v11, 23, 0x3b800000
	s_delay_alu instid0(VALU_DEP_2) | instskip(NEXT) | instid1(VALU_DEP_1)
	v_lshlrev_b32_e32 v12, 20, v12
	v_or3_b32 v10, v10, v11, v12
	s_delay_alu instid0(VALU_DEP_1)
	v_cvt_i32_f32_e32 v12, v10
.LBB441_1200:
	s_or_b32 exec_lo, exec_lo, s3
.LBB441_1201:
	s_mov_b32 s3, -1
.LBB441_1202:
	s_branch .LBB441_1232
.LBB441_1203:
	v_cmp_lt_i16_e32 vcc_lo, 22, v9
	s_cbranch_vccz .LBB441_1211
; %bb.1204:
	v_cmp_gt_i16_e32 vcc_lo, 24, v9
	s_cbranch_vccnz .LBB441_1214
; %bb.1205:
	v_cmp_lt_i16_e32 vcc_lo, 24, v9
	s_cbranch_vccz .LBB441_1215
; %bb.1206:
	global_load_u8 v10, v[7:8], off
	s_mov_b32 s1, 0
	s_mov_b32 s2, exec_lo
                                        ; implicit-def: $sgpr3
	s_waitcnt vmcnt(0)
	v_cmpx_lt_i16_e32 0x7f, v10
	s_xor_b32 s2, exec_lo, s2
	s_cbranch_execz .LBB441_1226
; %bb.1207:
	v_cmp_ne_u16_e32 vcc_lo, 0x80, v10
	s_mov_b32 s3, 0
	s_and_b32 s1, vcc_lo, exec_lo
	s_or_saveexec_b32 s2, s2
	v_mov_b32_e32 v12, s3
	s_xor_b32 exec_lo, exec_lo, s2
	s_cbranch_execnz .LBB441_1227
.LBB441_1208:
	s_or_b32 exec_lo, exec_lo, s2
	s_and_saveexec_b32 s2, s1
	s_cbranch_execz .LBB441_1210
.LBB441_1209:
	v_and_b32_e32 v11, 0xffff, v10
	v_lshlrev_b32_e32 v10, 24, v10
	s_delay_alu instid0(VALU_DEP_2) | instskip(NEXT) | instid1(VALU_DEP_2)
	v_and_b32_e32 v12, 3, v11
	v_and_b32_e32 v10, 0x80000000, v10
	s_delay_alu instid0(VALU_DEP_2) | instskip(NEXT) | instid1(VALU_DEP_1)
	v_clz_i32_u32_e32 v13, v12
	v_min_u32_e32 v13, 32, v13
	s_delay_alu instid0(VALU_DEP_1) | instskip(SKIP_1) | instid1(VALU_DEP_2)
	v_subrev_nc_u32_e32 v14, 29, v13
	v_sub_nc_u32_e32 v13, 30, v13
	v_lshlrev_b32_e32 v14, v14, v11
	v_bfe_u32 v11, v11, 2, 5
	s_delay_alu instid0(VALU_DEP_2) | instskip(NEXT) | instid1(VALU_DEP_2)
	v_and_b32_e32 v14, 3, v14
	v_cmp_eq_u32_e32 vcc_lo, 0, v11
	s_delay_alu instid0(VALU_DEP_2) | instskip(NEXT) | instid1(VALU_DEP_1)
	v_dual_cndmask_b32 v11, v11, v13 :: v_dual_cndmask_b32 v12, v12, v14
	v_lshl_add_u32 v11, v11, 23, 0x37800000
	s_delay_alu instid0(VALU_DEP_2) | instskip(NEXT) | instid1(VALU_DEP_1)
	v_lshlrev_b32_e32 v12, 21, v12
	v_or3_b32 v10, v10, v11, v12
	s_delay_alu instid0(VALU_DEP_1)
	v_cvt_i32_f32_e32 v12, v10
.LBB441_1210:
	s_or_b32 exec_lo, exec_lo, s2
	s_mov_b32 s1, 0
	s_branch .LBB441_1216
.LBB441_1211:
                                        ; implicit-def: $vgpr12
	s_mov_b32 s2, 0
	s_branch .LBB441_1222
.LBB441_1212:
	s_or_saveexec_b32 s3, s3
	v_mov_b32_e32 v12, s10
	s_xor_b32 exec_lo, exec_lo, s3
	s_cbranch_execz .LBB441_1198
.LBB441_1213:
	v_cmp_ne_u16_e32 vcc_lo, 0, v10
	v_mov_b32_e32 v12, 0
	s_and_not1_b32 s1, s1, exec_lo
	s_and_b32 s10, vcc_lo, exec_lo
	s_delay_alu instid0(SALU_CYCLE_1)
	s_or_b32 s1, s1, s10
	s_or_b32 exec_lo, exec_lo, s3
	s_and_saveexec_b32 s3, s1
	s_cbranch_execnz .LBB441_1199
	s_branch .LBB441_1200
.LBB441_1214:
	s_mov_b32 s1, -1
                                        ; implicit-def: $vgpr12
	s_branch .LBB441_1219
.LBB441_1215:
	s_mov_b32 s1, -1
                                        ; implicit-def: $vgpr12
.LBB441_1216:
	s_delay_alu instid0(SALU_CYCLE_1)
	s_and_b32 vcc_lo, exec_lo, s1
	s_cbranch_vccz .LBB441_1218
; %bb.1217:
	global_load_u8 v10, v[7:8], off
	s_waitcnt vmcnt(0)
	v_lshlrev_b32_e32 v10, 24, v10
	s_delay_alu instid0(VALU_DEP_1) | instskip(NEXT) | instid1(VALU_DEP_1)
	v_and_b32_e32 v11, 0x7f000000, v10
	v_clz_i32_u32_e32 v12, v11
	v_add_nc_u32_e32 v14, 0x1000000, v11
	v_cmp_ne_u32_e32 vcc_lo, 0, v11
	s_delay_alu instid0(VALU_DEP_3) | instskip(NEXT) | instid1(VALU_DEP_1)
	v_min_u32_e32 v12, 32, v12
	v_sub_nc_u32_e64 v12, v12, 4 clamp
	s_delay_alu instid0(VALU_DEP_1) | instskip(SKIP_1) | instid1(VALU_DEP_2)
	v_lshlrev_b32_e32 v13, v12, v11
	v_lshlrev_b32_e32 v12, 23, v12
	v_lshrrev_b32_e32 v13, 4, v13
	s_delay_alu instid0(VALU_DEP_1) | instskip(SKIP_1) | instid1(VALU_DEP_2)
	v_sub_nc_u32_e32 v12, v13, v12
	v_ashrrev_i32_e32 v13, 8, v14
	v_add_nc_u32_e32 v12, 0x3c000000, v12
	s_delay_alu instid0(VALU_DEP_1) | instskip(NEXT) | instid1(VALU_DEP_1)
	v_and_or_b32 v12, 0x7f800000, v13, v12
	v_cndmask_b32_e32 v11, 0, v12, vcc_lo
	s_delay_alu instid0(VALU_DEP_1) | instskip(NEXT) | instid1(VALU_DEP_1)
	v_and_or_b32 v10, 0x80000000, v10, v11
	v_cvt_i32_f32_e32 v12, v10
.LBB441_1218:
	s_mov_b32 s1, 0
.LBB441_1219:
	s_delay_alu instid0(SALU_CYCLE_1)
	s_and_not1_b32 vcc_lo, exec_lo, s1
	s_cbranch_vccnz .LBB441_1221
; %bb.1220:
	global_load_u8 v10, v[7:8], off
	s_waitcnt vmcnt(0)
	v_lshlrev_b32_e32 v11, 25, v10
	v_lshlrev_b16 v10, 8, v10
	s_delay_alu instid0(VALU_DEP_2) | instskip(NEXT) | instid1(VALU_DEP_2)
	v_lshrrev_b32_e32 v12, 4, v11
	v_and_or_b32 v13, 0x7f00, v10, 0.5
	v_bfe_i32 v10, v10, 0, 16
	s_delay_alu instid0(VALU_DEP_3) | instskip(NEXT) | instid1(VALU_DEP_1)
	v_or_b32_e32 v12, 0x70000000, v12
	v_dual_add_f32 v13, -0.5, v13 :: v_dual_mul_f32 v12, 0x7800000, v12
	v_cmp_gt_u32_e32 vcc_lo, 0x8000000, v11
	s_delay_alu instid0(VALU_DEP_2) | instskip(NEXT) | instid1(VALU_DEP_1)
	v_cndmask_b32_e32 v11, v12, v13, vcc_lo
	v_and_or_b32 v10, 0x80000000, v10, v11
	s_delay_alu instid0(VALU_DEP_1)
	v_cvt_i32_f32_e32 v12, v10
.LBB441_1221:
	s_mov_b32 s3, -1
	s_mov_b32 s2, 0
	s_cbranch_execnz .LBB441_1232
.LBB441_1222:
	v_cmp_lt_i16_e32 vcc_lo, 14, v9
	s_cbranch_vccz .LBB441_1225
; %bb.1223:
	v_cmp_eq_u16_e32 vcc_lo, 15, v9
	s_cbranch_vccz .LBB441_1228
; %bb.1224:
	global_load_u16 v10, v[7:8], off
	s_mov_b32 s0, 0
	s_mov_b32 s3, -1
	s_waitcnt vmcnt(0)
	v_lshlrev_b32_e32 v10, 16, v10
	s_delay_alu instid0(VALU_DEP_1)
	v_cvt_i32_f32_e32 v12, v10
	s_branch .LBB441_1229
.LBB441_1225:
	s_mov_b32 s1, -1
                                        ; implicit-def: $vgpr12
	s_branch .LBB441_1230
.LBB441_1226:
	s_or_saveexec_b32 s2, s2
	v_mov_b32_e32 v12, s3
	s_xor_b32 exec_lo, exec_lo, s2
	s_cbranch_execz .LBB441_1208
.LBB441_1227:
	v_cmp_ne_u16_e32 vcc_lo, 0, v10
	v_mov_b32_e32 v12, 0
	s_and_not1_b32 s1, s1, exec_lo
	s_and_b32 s3, vcc_lo, exec_lo
	s_delay_alu instid0(SALU_CYCLE_1)
	s_or_b32 s1, s1, s3
	s_or_b32 exec_lo, exec_lo, s2
	s_and_saveexec_b32 s2, s1
	s_cbranch_execnz .LBB441_1209
	s_branch .LBB441_1210
.LBB441_1228:
	s_mov_b32 s0, -1
                                        ; implicit-def: $vgpr12
.LBB441_1229:
	s_mov_b32 s1, 0
.LBB441_1230:
	s_delay_alu instid0(SALU_CYCLE_1)
	s_and_b32 vcc_lo, exec_lo, s1
	s_cbranch_vccz .LBB441_1232
; %bb.1231:
	v_cmp_ne_u16_e64 s0, 11, v9
	s_mov_b32 s2, -1
                                        ; implicit-def: $vgpr12
.LBB441_1232:
	s_delay_alu instid0(VALU_DEP_1)
	s_and_b32 vcc_lo, exec_lo, s0
	s_mov_b32 s1, s8
	s_cbranch_vccnz .LBB441_1256
; %bb.1233:
	s_and_not1_b32 vcc_lo, exec_lo, s2
	s_cbranch_vccnz .LBB441_1235
.LBB441_1234:
	global_load_u8 v10, v[7:8], off
	s_mov_b32 s3, -1
	s_waitcnt vmcnt(0)
	v_cmp_ne_u16_e32 vcc_lo, 0, v10
	v_cndmask_b32_e64 v12, 0, 1, vcc_lo
.LBB441_1235:
.LBB441_1236:
	s_and_not1_b32 vcc_lo, exec_lo, s3
	s_cbranch_vccnz .LBB441_2016
.LBB441_1237:
	v_cmp_gt_i16_e32 vcc_lo, 11, v9
	s_waitcnt vmcnt(0)
	v_add_co_u32 v6, s0, s6, v6
	s_delay_alu instid0(VALU_DEP_1)
	v_add_co_ci_u32_e64 v7, null, s7, 0, s0
	s_mov_b32 s3, 0
	s_cbranch_vccnz .LBB441_1244
; %bb.1238:
	v_cmp_lt_i16_e32 vcc_lo, 25, v9
	s_mov_b32 s2, 0
	s_cbranch_vccz .LBB441_1250
; %bb.1239:
	v_cmp_lt_i16_e32 vcc_lo, 28, v9
	s_cbranch_vccz .LBB441_1252
; %bb.1240:
	v_cmp_lt_i16_e32 vcc_lo, 43, v9
	;; [unrolled: 3-line block ×3, first 2 shown]
	s_cbranch_vccz .LBB441_1260
; %bb.1242:
	v_cmp_eq_u16_e32 vcc_lo, 46, v9
	s_mov_b32 s10, 0
	s_cbranch_vccz .LBB441_1304
; %bb.1243:
	global_load_b32 v8, v[6:7], off
	s_mov_b32 s0, 0
	s_mov_b32 s3, -1
	s_waitcnt vmcnt(0)
	v_lshlrev_b32_e32 v8, 16, v8
	s_delay_alu instid0(VALU_DEP_1)
	v_cvt_i32_f32_e32 v11, v8
	s_branch .LBB441_1306
.LBB441_1244:
                                        ; implicit-def: $vgpr11
	s_cbranch_execz .LBB441_1367
; %bb.1245:
	v_cmp_gt_i16_e32 vcc_lo, 5, v9
	s_cbranch_vccnz .LBB441_1251
; %bb.1246:
	v_cmp_gt_i16_e32 vcc_lo, 8, v9
	s_cbranch_vccnz .LBB441_1253
	;; [unrolled: 3-line block ×3, first 2 shown]
; %bb.1248:
	v_cmp_lt_i16_e32 vcc_lo, 9, v9
	s_cbranch_vccz .LBB441_1261
; %bb.1249:
	global_load_b64 v[10:11], v[6:7], off
	s_mov_b32 s0, 0
	s_waitcnt vmcnt(0)
	v_cvt_i32_f64_e32 v11, v[10:11]
	s_branch .LBB441_1262
.LBB441_1250:
	s_mov_b32 s0, 0
                                        ; implicit-def: $vgpr11
	s_cbranch_execnz .LBB441_1333
	s_branch .LBB441_1363
.LBB441_1251:
                                        ; implicit-def: $vgpr11
	s_branch .LBB441_1280
.LBB441_1252:
	s_mov_b32 s10, -1
	s_mov_b32 s0, 0
                                        ; implicit-def: $vgpr11
	s_branch .LBB441_1316
.LBB441_1253:
	s_mov_b32 s0, -1
                                        ; implicit-def: $vgpr11
	s_branch .LBB441_1268
.LBB441_1254:
	s_mov_b32 s10, -1
	s_mov_b32 s0, 0
                                        ; implicit-def: $vgpr11
	s_branch .LBB441_1311
.LBB441_1255:
	s_mov_b32 s0, -1
                                        ; implicit-def: $vgpr11
	s_branch .LBB441_1265
.LBB441_1256:
	s_cbranch_execnz .LBB441_1300
; %bb.1257:
	s_or_b32 s1, s8, exec_lo
                                        ; implicit-def: $vgpr12
	s_cbranch_execz .LBB441_1234
	s_branch .LBB441_1235
.LBB441_1258:
	s_or_saveexec_b32 s7, s7
                                        ; implicit-def: $sgpr8
	s_delay_alu instid0(SALU_CYCLE_1)
	s_xor_b32 exec_lo, exec_lo, s7
	s_cbranch_execz .LBB441_971
.LBB441_1259:
	v_add_f32_e64 v2, 0x46000000, |v0|
	s_and_not1_b32 s5, s5, exec_lo
	s_mov_b32 s8, 0
	s_delay_alu instid0(VALU_DEP_1) | instskip(NEXT) | instid1(VALU_DEP_1)
	v_and_b32_e32 v2, 0xff, v2
	v_cmp_ne_u32_e32 vcc_lo, 0, v2
	s_and_b32 s9, vcc_lo, exec_lo
	s_delay_alu instid0(SALU_CYCLE_1)
	s_or_b32 s5, s5, s9
	s_or_b32 exec_lo, exec_lo, s7
	v_mov_b32_e32 v6, s8
	s_and_saveexec_b32 s7, s5
	s_cbranch_execnz .LBB441_972
	s_branch .LBB441_973
.LBB441_1260:
	s_mov_b32 s10, -1
	s_mov_b32 s0, 0
	s_branch .LBB441_1305
.LBB441_1261:
	s_mov_b32 s0, -1
                                        ; implicit-def: $vgpr11
.LBB441_1262:
	s_delay_alu instid0(SALU_CYCLE_1)
	s_and_not1_b32 vcc_lo, exec_lo, s0
	s_cbranch_vccnz .LBB441_1264
; %bb.1263:
	global_load_b32 v8, v[6:7], off
	s_waitcnt vmcnt(0)
	v_cvt_i32_f32_e32 v11, v8
.LBB441_1264:
	s_mov_b32 s0, 0
.LBB441_1265:
	s_delay_alu instid0(SALU_CYCLE_1)
	s_and_not1_b32 vcc_lo, exec_lo, s0
	s_cbranch_vccnz .LBB441_1267
; %bb.1266:
	global_load_b32 v8, v[6:7], off
	s_waitcnt vmcnt(0)
	v_cvt_f32_f16_e32 v8, v8
	s_delay_alu instid0(VALU_DEP_1)
	v_cvt_i32_f32_e32 v11, v8
.LBB441_1267:
	s_mov_b32 s0, 0
.LBB441_1268:
	s_delay_alu instid0(SALU_CYCLE_1)
	s_and_not1_b32 vcc_lo, exec_lo, s0
	s_cbranch_vccnz .LBB441_1279
; %bb.1269:
	v_cmp_gt_i16_e32 vcc_lo, 6, v9
	s_cbranch_vccnz .LBB441_1272
; %bb.1270:
	v_cmp_lt_i16_e32 vcc_lo, 6, v9
	s_cbranch_vccz .LBB441_1273
; %bb.1271:
	global_load_b64 v[10:11], v[6:7], off
	s_mov_b32 s0, 0
	s_waitcnt vmcnt(0)
	v_cvt_i32_f64_e32 v11, v[10:11]
	s_branch .LBB441_1274
.LBB441_1272:
	s_mov_b32 s0, -1
                                        ; implicit-def: $vgpr11
	s_branch .LBB441_1277
.LBB441_1273:
	s_mov_b32 s0, -1
                                        ; implicit-def: $vgpr11
.LBB441_1274:
	s_delay_alu instid0(SALU_CYCLE_1)
	s_and_not1_b32 vcc_lo, exec_lo, s0
	s_cbranch_vccnz .LBB441_1276
; %bb.1275:
	global_load_b32 v8, v[6:7], off
	s_waitcnt vmcnt(0)
	v_cvt_i32_f32_e32 v11, v8
.LBB441_1276:
	s_mov_b32 s0, 0
.LBB441_1277:
	s_delay_alu instid0(SALU_CYCLE_1)
	s_and_not1_b32 vcc_lo, exec_lo, s0
	s_cbranch_vccnz .LBB441_1279
; %bb.1278:
	global_load_u16 v8, v[6:7], off
	s_waitcnt vmcnt(0)
	v_cvt_f32_f16_e32 v8, v8
	s_delay_alu instid0(VALU_DEP_1)
	v_cvt_i32_f32_e32 v11, v8
.LBB441_1279:
	s_cbranch_execnz .LBB441_1299
.LBB441_1280:
	v_cmp_gt_i16_e32 vcc_lo, 2, v9
	s_cbranch_vccnz .LBB441_1284
; %bb.1281:
	v_cmp_gt_i16_e32 vcc_lo, 3, v9
	s_cbranch_vccnz .LBB441_1285
; %bb.1282:
	v_cmp_lt_i16_e32 vcc_lo, 3, v9
	s_cbranch_vccz .LBB441_1286
; %bb.1283:
	global_load_b32 v11, v[6:7], off
	s_mov_b32 s0, 0
	s_branch .LBB441_1287
.LBB441_1284:
	s_mov_b32 s0, -1
                                        ; implicit-def: $vgpr11
	s_branch .LBB441_1293
.LBB441_1285:
	s_mov_b32 s0, -1
                                        ; implicit-def: $vgpr11
	s_branch .LBB441_1290
.LBB441_1286:
	s_mov_b32 s0, -1
                                        ; implicit-def: $vgpr11
.LBB441_1287:
	s_delay_alu instid0(SALU_CYCLE_1)
	s_and_not1_b32 vcc_lo, exec_lo, s0
	s_cbranch_vccnz .LBB441_1289
; %bb.1288:
	global_load_b32 v11, v[6:7], off
.LBB441_1289:
	s_mov_b32 s0, 0
.LBB441_1290:
	s_delay_alu instid0(SALU_CYCLE_1)
	s_and_not1_b32 vcc_lo, exec_lo, s0
	s_cbranch_vccnz .LBB441_1292
; %bb.1291:
	global_load_i16 v11, v[6:7], off
.LBB441_1292:
	s_mov_b32 s0, 0
.LBB441_1293:
	s_delay_alu instid0(SALU_CYCLE_1)
	s_and_not1_b32 vcc_lo, exec_lo, s0
	s_cbranch_vccnz .LBB441_1299
; %bb.1294:
	v_cmp_lt_i16_e32 vcc_lo, 0, v9
	s_mov_b32 s0, 0
	s_cbranch_vccz .LBB441_1296
; %bb.1295:
	global_load_i8 v11, v[6:7], off
	s_branch .LBB441_1297
.LBB441_1296:
	s_mov_b32 s0, -1
                                        ; implicit-def: $vgpr11
.LBB441_1297:
	s_delay_alu instid0(SALU_CYCLE_1)
	s_and_not1_b32 vcc_lo, exec_lo, s0
	s_cbranch_vccnz .LBB441_1299
; %bb.1298:
	global_load_u8 v11, v[6:7], off
.LBB441_1299:
	s_branch .LBB441_1368
.LBB441_1300:
	s_trap 2
	s_sendmsg_rtn_b32 s0, sendmsg(MSG_RTN_GET_DOORBELL)
	s_mov_b32 ttmp2, m0
	s_waitcnt lgkmcnt(0)
	s_and_b32 s0, s0, 0x3ff
	s_delay_alu instid0(SALU_CYCLE_1) | instskip(NEXT) | instid1(SALU_CYCLE_1)
	s_bitset1_b32 s0, 10
	s_mov_b32 m0, s0
	s_sendmsg sendmsg(MSG_INTERRUPT)
	s_mov_b32 m0, ttmp2
.LBB441_1301:                           ; =>This Inner Loop Header: Depth=1
	s_sethalt 5
	s_branch .LBB441_1301
.LBB441_1302:
	s_or_saveexec_b32 s8, s8
                                        ; implicit-def: $sgpr9
	s_delay_alu instid0(SALU_CYCLE_1)
	s_xor_b32 exec_lo, exec_lo, s8
	s_cbranch_execz .LBB441_983
.LBB441_1303:
	v_add_f32_e64 v2, 0x42800000, |v0|
	s_and_not1_b32 s7, s7, exec_lo
	s_mov_b32 s9, 0
	s_delay_alu instid0(VALU_DEP_1) | instskip(NEXT) | instid1(VALU_DEP_1)
	v_and_b32_e32 v2, 0xff, v2
	v_cmp_ne_u32_e32 vcc_lo, 0, v2
	s_and_b32 s10, vcc_lo, exec_lo
	s_delay_alu instid0(SALU_CYCLE_1)
	s_or_b32 s7, s7, s10
	s_or_b32 exec_lo, exec_lo, s8
	v_mov_b32_e32 v6, s9
	s_and_saveexec_b32 s8, s7
	s_cbranch_execnz .LBB441_984
	s_branch .LBB441_985
.LBB441_1304:
	s_mov_b32 s0, -1
.LBB441_1305:
                                        ; implicit-def: $vgpr11
.LBB441_1306:
	s_and_b32 vcc_lo, exec_lo, s10
	s_cbranch_vccz .LBB441_1310
; %bb.1307:
	v_cmp_eq_u16_e32 vcc_lo, 44, v9
	s_cbranch_vccz .LBB441_1309
; %bb.1308:
	global_load_u8 v8, v[6:7], off
	s_mov_b32 s0, 0
	s_mov_b32 s3, -1
	s_waitcnt vmcnt(0)
	v_lshlrev_b32_e32 v10, 23, v8
	v_cmp_ne_u32_e32 vcc_lo, 0, v8
	s_delay_alu instid0(VALU_DEP_2) | instskip(NEXT) | instid1(VALU_DEP_1)
	v_cvt_i32_f32_e32 v10, v10
	v_cndmask_b32_e32 v11, 0, v10, vcc_lo
	s_branch .LBB441_1310
.LBB441_1309:
	s_mov_b32 s0, -1
                                        ; implicit-def: $vgpr11
.LBB441_1310:
	s_mov_b32 s10, 0
.LBB441_1311:
	s_delay_alu instid0(SALU_CYCLE_1)
	s_and_b32 vcc_lo, exec_lo, s10
	s_cbranch_vccz .LBB441_1315
; %bb.1312:
	v_cmp_eq_u16_e32 vcc_lo, 29, v9
	s_cbranch_vccz .LBB441_1314
; %bb.1313:
	global_load_b32 v11, v[6:7], off
	s_mov_b32 s0, 0
	s_mov_b32 s3, -1
	s_branch .LBB441_1315
.LBB441_1314:
	s_mov_b32 s0, -1
                                        ; implicit-def: $vgpr11
.LBB441_1315:
	s_mov_b32 s10, 0
.LBB441_1316:
	s_delay_alu instid0(SALU_CYCLE_1)
	s_and_b32 vcc_lo, exec_lo, s10
	s_cbranch_vccz .LBB441_1332
; %bb.1317:
	v_cmp_gt_i16_e32 vcc_lo, 27, v9
	s_cbranch_vccnz .LBB441_1320
; %bb.1318:
	v_cmp_lt_i16_e32 vcc_lo, 27, v9
	s_cbranch_vccz .LBB441_1321
; %bb.1319:
	global_load_b32 v11, v[6:7], off
	s_mov_b32 s3, 0
	s_branch .LBB441_1322
.LBB441_1320:
	s_mov_b32 s3, -1
                                        ; implicit-def: $vgpr11
	s_branch .LBB441_1325
.LBB441_1321:
	s_mov_b32 s3, -1
                                        ; implicit-def: $vgpr11
.LBB441_1322:
	s_delay_alu instid0(SALU_CYCLE_1)
	s_and_not1_b32 vcc_lo, exec_lo, s3
	s_cbranch_vccnz .LBB441_1324
; %bb.1323:
	global_load_u16 v11, v[6:7], off
.LBB441_1324:
	s_mov_b32 s3, 0
.LBB441_1325:
	s_delay_alu instid0(SALU_CYCLE_1)
	s_and_not1_b32 vcc_lo, exec_lo, s3
	s_cbranch_vccnz .LBB441_1331
; %bb.1326:
	global_load_u8 v8, v[6:7], off
	s_mov_b32 s3, 0
	s_mov_b32 s10, exec_lo
                                        ; implicit-def: $sgpr11
	s_waitcnt vmcnt(0)
	v_cmpx_lt_i16_e32 0x7f, v8
	s_xor_b32 s10, exec_lo, s10
	s_cbranch_execz .LBB441_1342
; %bb.1327:
	v_cmp_ne_u16_e32 vcc_lo, 0x80, v8
	s_mov_b32 s11, 0
	s_and_b32 s3, vcc_lo, exec_lo
	s_or_saveexec_b32 s10, s10
	v_mov_b32_e32 v11, s11
	s_xor_b32 exec_lo, exec_lo, s10
	s_cbranch_execnz .LBB441_1343
.LBB441_1328:
	s_or_b32 exec_lo, exec_lo, s10
	s_and_saveexec_b32 s10, s3
	s_cbranch_execz .LBB441_1330
.LBB441_1329:
	v_and_b32_e32 v10, 0xffff, v8
	v_lshlrev_b32_e32 v8, 24, v8
	s_delay_alu instid0(VALU_DEP_2) | instskip(NEXT) | instid1(VALU_DEP_2)
	v_and_b32_e32 v11, 7, v10
	v_and_b32_e32 v8, 0x80000000, v8
	s_delay_alu instid0(VALU_DEP_2) | instskip(NEXT) | instid1(VALU_DEP_1)
	v_clz_i32_u32_e32 v13, v11
	v_min_u32_e32 v13, 32, v13
	s_delay_alu instid0(VALU_DEP_1) | instskip(SKIP_1) | instid1(VALU_DEP_2)
	v_subrev_nc_u32_e32 v14, 28, v13
	v_sub_nc_u32_e32 v13, 29, v13
	v_lshlrev_b32_e32 v14, v14, v10
	v_bfe_u32 v10, v10, 3, 4
	s_delay_alu instid0(VALU_DEP_2) | instskip(NEXT) | instid1(VALU_DEP_2)
	v_and_b32_e32 v14, 7, v14
	v_cmp_eq_u32_e32 vcc_lo, 0, v10
	s_delay_alu instid0(VALU_DEP_2) | instskip(NEXT) | instid1(VALU_DEP_1)
	v_dual_cndmask_b32 v10, v10, v13 :: v_dual_cndmask_b32 v11, v11, v14
	v_lshl_add_u32 v10, v10, 23, 0x3b800000
	s_delay_alu instid0(VALU_DEP_2) | instskip(NEXT) | instid1(VALU_DEP_1)
	v_lshlrev_b32_e32 v11, 20, v11
	v_or3_b32 v8, v8, v10, v11
	s_delay_alu instid0(VALU_DEP_1)
	v_cvt_i32_f32_e32 v11, v8
.LBB441_1330:
	s_or_b32 exec_lo, exec_lo, s10
.LBB441_1331:
	s_mov_b32 s3, -1
.LBB441_1332:
	s_branch .LBB441_1363
.LBB441_1333:
	v_cmp_lt_i16_e32 vcc_lo, 22, v9
	s_cbranch_vccz .LBB441_1341
; %bb.1334:
	v_cmp_gt_i16_e32 vcc_lo, 24, v9
	s_cbranch_vccnz .LBB441_1344
; %bb.1335:
	v_cmp_lt_i16_e32 vcc_lo, 24, v9
	s_cbranch_vccz .LBB441_1345
; %bb.1336:
	global_load_u8 v8, v[6:7], off
	s_mov_b32 s3, exec_lo
                                        ; implicit-def: $sgpr10
	s_waitcnt vmcnt(0)
	v_cmpx_lt_i16_e32 0x7f, v8
	s_xor_b32 s3, exec_lo, s3
	s_cbranch_execz .LBB441_1357
; %bb.1337:
	v_cmp_ne_u16_e32 vcc_lo, 0x80, v8
	s_mov_b32 s10, 0
	s_and_b32 s2, vcc_lo, exec_lo
	s_or_saveexec_b32 s3, s3
	v_mov_b32_e32 v11, s10
	s_xor_b32 exec_lo, exec_lo, s3
	s_cbranch_execnz .LBB441_1358
.LBB441_1338:
	s_or_b32 exec_lo, exec_lo, s3
	s_and_saveexec_b32 s3, s2
	s_cbranch_execz .LBB441_1340
.LBB441_1339:
	v_and_b32_e32 v10, 0xffff, v8
	v_lshlrev_b32_e32 v8, 24, v8
	s_delay_alu instid0(VALU_DEP_2) | instskip(NEXT) | instid1(VALU_DEP_2)
	v_and_b32_e32 v11, 3, v10
	v_and_b32_e32 v8, 0x80000000, v8
	s_delay_alu instid0(VALU_DEP_2) | instskip(NEXT) | instid1(VALU_DEP_1)
	v_clz_i32_u32_e32 v13, v11
	v_min_u32_e32 v13, 32, v13
	s_delay_alu instid0(VALU_DEP_1) | instskip(SKIP_1) | instid1(VALU_DEP_2)
	v_subrev_nc_u32_e32 v14, 29, v13
	v_sub_nc_u32_e32 v13, 30, v13
	v_lshlrev_b32_e32 v14, v14, v10
	v_bfe_u32 v10, v10, 2, 5
	s_delay_alu instid0(VALU_DEP_2) | instskip(NEXT) | instid1(VALU_DEP_2)
	v_and_b32_e32 v14, 3, v14
	v_cmp_eq_u32_e32 vcc_lo, 0, v10
	s_delay_alu instid0(VALU_DEP_2) | instskip(NEXT) | instid1(VALU_DEP_1)
	v_dual_cndmask_b32 v10, v10, v13 :: v_dual_cndmask_b32 v11, v11, v14
	v_lshl_add_u32 v10, v10, 23, 0x37800000
	s_delay_alu instid0(VALU_DEP_2) | instskip(NEXT) | instid1(VALU_DEP_1)
	v_lshlrev_b32_e32 v11, 21, v11
	v_or3_b32 v8, v8, v10, v11
	s_delay_alu instid0(VALU_DEP_1)
	v_cvt_i32_f32_e32 v11, v8
.LBB441_1340:
	s_or_b32 exec_lo, exec_lo, s3
	s_mov_b32 s2, 0
	s_branch .LBB441_1346
.LBB441_1341:
	s_mov_b32 s2, -1
                                        ; implicit-def: $vgpr11
	s_branch .LBB441_1352
.LBB441_1342:
	s_or_saveexec_b32 s10, s10
	v_mov_b32_e32 v11, s11
	s_xor_b32 exec_lo, exec_lo, s10
	s_cbranch_execz .LBB441_1328
.LBB441_1343:
	v_cmp_ne_u16_e32 vcc_lo, 0, v8
	v_mov_b32_e32 v11, 0
	s_and_not1_b32 s3, s3, exec_lo
	s_and_b32 s11, vcc_lo, exec_lo
	s_delay_alu instid0(SALU_CYCLE_1)
	s_or_b32 s3, s3, s11
	s_or_b32 exec_lo, exec_lo, s10
	s_and_saveexec_b32 s10, s3
	s_cbranch_execnz .LBB441_1329
	s_branch .LBB441_1330
.LBB441_1344:
	s_mov_b32 s2, -1
                                        ; implicit-def: $vgpr11
	s_branch .LBB441_1349
.LBB441_1345:
	s_mov_b32 s2, -1
                                        ; implicit-def: $vgpr11
.LBB441_1346:
	s_delay_alu instid0(SALU_CYCLE_1)
	s_and_b32 vcc_lo, exec_lo, s2
	s_cbranch_vccz .LBB441_1348
; %bb.1347:
	global_load_u8 v8, v[6:7], off
	s_waitcnt vmcnt(0)
	v_lshlrev_b32_e32 v8, 24, v8
	s_delay_alu instid0(VALU_DEP_1) | instskip(NEXT) | instid1(VALU_DEP_1)
	v_and_b32_e32 v10, 0x7f000000, v8
	v_clz_i32_u32_e32 v11, v10
	v_cmp_ne_u32_e32 vcc_lo, 0, v10
	v_add_nc_u32_e32 v14, 0x1000000, v10
	s_delay_alu instid0(VALU_DEP_3) | instskip(NEXT) | instid1(VALU_DEP_1)
	v_min_u32_e32 v11, 32, v11
	v_sub_nc_u32_e64 v11, v11, 4 clamp
	s_delay_alu instid0(VALU_DEP_1) | instskip(SKIP_1) | instid1(VALU_DEP_2)
	v_lshlrev_b32_e32 v13, v11, v10
	v_lshlrev_b32_e32 v11, 23, v11
	v_lshrrev_b32_e32 v13, 4, v13
	s_delay_alu instid0(VALU_DEP_1) | instskip(SKIP_1) | instid1(VALU_DEP_2)
	v_sub_nc_u32_e32 v11, v13, v11
	v_ashrrev_i32_e32 v13, 8, v14
	v_add_nc_u32_e32 v11, 0x3c000000, v11
	s_delay_alu instid0(VALU_DEP_1) | instskip(NEXT) | instid1(VALU_DEP_1)
	v_and_or_b32 v11, 0x7f800000, v13, v11
	v_cndmask_b32_e32 v10, 0, v11, vcc_lo
	s_delay_alu instid0(VALU_DEP_1) | instskip(NEXT) | instid1(VALU_DEP_1)
	v_and_or_b32 v8, 0x80000000, v8, v10
	v_cvt_i32_f32_e32 v11, v8
.LBB441_1348:
	s_mov_b32 s2, 0
.LBB441_1349:
	s_delay_alu instid0(SALU_CYCLE_1)
	s_and_not1_b32 vcc_lo, exec_lo, s2
	s_cbranch_vccnz .LBB441_1351
; %bb.1350:
	global_load_u8 v8, v[6:7], off
	s_waitcnt vmcnt(0)
	v_lshlrev_b32_e32 v10, 25, v8
	v_lshlrev_b16 v8, 8, v8
	s_delay_alu instid0(VALU_DEP_1) | instskip(SKIP_1) | instid1(VALU_DEP_2)
	v_and_or_b32 v13, 0x7f00, v8, 0.5
	v_bfe_i32 v8, v8, 0, 16
	v_add_f32_e32 v13, -0.5, v13
	v_lshrrev_b32_e32 v11, 4, v10
	v_cmp_gt_u32_e32 vcc_lo, 0x8000000, v10
	s_delay_alu instid0(VALU_DEP_2) | instskip(NEXT) | instid1(VALU_DEP_1)
	v_or_b32_e32 v11, 0x70000000, v11
	v_mul_f32_e32 v11, 0x7800000, v11
	s_delay_alu instid0(VALU_DEP_1) | instskip(NEXT) | instid1(VALU_DEP_1)
	v_cndmask_b32_e32 v10, v11, v13, vcc_lo
	v_and_or_b32 v8, 0x80000000, v8, v10
	s_delay_alu instid0(VALU_DEP_1)
	v_cvt_i32_f32_e32 v11, v8
.LBB441_1351:
	s_mov_b32 s2, 0
	s_mov_b32 s3, -1
.LBB441_1352:
	s_and_not1_b32 vcc_lo, exec_lo, s2
	s_mov_b32 s2, 0
	s_cbranch_vccnz .LBB441_1363
; %bb.1353:
	v_cmp_lt_i16_e32 vcc_lo, 14, v9
	s_cbranch_vccz .LBB441_1356
; %bb.1354:
	v_cmp_eq_u16_e32 vcc_lo, 15, v9
	s_cbranch_vccz .LBB441_1359
; %bb.1355:
	global_load_u16 v8, v[6:7], off
	s_mov_b32 s0, 0
	s_mov_b32 s3, -1
	s_waitcnt vmcnt(0)
	v_lshlrev_b32_e32 v8, 16, v8
	s_delay_alu instid0(VALU_DEP_1)
	v_cvt_i32_f32_e32 v11, v8
	s_branch .LBB441_1361
.LBB441_1356:
	s_mov_b32 s2, -1
	s_branch .LBB441_1360
.LBB441_1357:
	s_or_saveexec_b32 s3, s3
	v_mov_b32_e32 v11, s10
	s_xor_b32 exec_lo, exec_lo, s3
	s_cbranch_execz .LBB441_1338
.LBB441_1358:
	v_cmp_ne_u16_e32 vcc_lo, 0, v8
	v_mov_b32_e32 v11, 0
	s_and_not1_b32 s2, s2, exec_lo
	s_and_b32 s10, vcc_lo, exec_lo
	s_delay_alu instid0(SALU_CYCLE_1)
	s_or_b32 s2, s2, s10
	s_or_b32 exec_lo, exec_lo, s3
	s_and_saveexec_b32 s3, s2
	s_cbranch_execnz .LBB441_1339
	s_branch .LBB441_1340
.LBB441_1359:
	s_mov_b32 s0, -1
.LBB441_1360:
                                        ; implicit-def: $vgpr11
.LBB441_1361:
	s_and_b32 vcc_lo, exec_lo, s2
	s_mov_b32 s2, 0
	s_cbranch_vccz .LBB441_1363
; %bb.1362:
	v_cmp_ne_u16_e64 s0, 11, v9
	s_mov_b32 s2, -1
                                        ; implicit-def: $vgpr11
.LBB441_1363:
	s_delay_alu instid0(VALU_DEP_1)
	s_and_b32 vcc_lo, exec_lo, s0
	s_cbranch_vccnz .LBB441_1387
; %bb.1364:
	s_and_not1_b32 vcc_lo, exec_lo, s2
	s_cbranch_vccnz .LBB441_1366
.LBB441_1365:
	global_load_u8 v8, v[6:7], off
	s_mov_b32 s3, -1
	s_waitcnt vmcnt(0)
	v_cmp_ne_u16_e32 vcc_lo, 0, v8
	v_cndmask_b32_e64 v11, 0, 1, vcc_lo
.LBB441_1366:
.LBB441_1367:
	s_and_not1_b32 vcc_lo, exec_lo, s3
	s_cbranch_vccnz .LBB441_2016
.LBB441_1368:
	v_cmp_gt_i16_e32 vcc_lo, 11, v9
	v_add_co_u32 v5, s0, s6, v5
	s_delay_alu instid0(VALU_DEP_1)
	v_add_co_ci_u32_e64 v6, null, s7, 0, s0
	s_mov_b32 s3, 0
	s_cbranch_vccnz .LBB441_1375
; %bb.1369:
	v_cmp_lt_i16_e32 vcc_lo, 25, v9
	s_mov_b32 s2, 0
	s_cbranch_vccz .LBB441_1381
; %bb.1370:
	v_cmp_lt_i16_e32 vcc_lo, 28, v9
	s_cbranch_vccz .LBB441_1383
; %bb.1371:
	v_cmp_lt_i16_e32 vcc_lo, 43, v9
	;; [unrolled: 3-line block ×3, first 2 shown]
	s_cbranch_vccz .LBB441_1389
; %bb.1373:
	v_cmp_eq_u16_e32 vcc_lo, 46, v9
	s_mov_b32 s10, 0
	s_cbranch_vccz .LBB441_1432
; %bb.1374:
	global_load_b32 v7, v[5:6], off
	s_mov_b32 s0, 0
	s_mov_b32 s3, -1
	s_waitcnt vmcnt(0)
	v_lshlrev_b32_e32 v7, 16, v7
	s_delay_alu instid0(VALU_DEP_1)
	v_cvt_i32_f32_e32 v10, v7
	s_branch .LBB441_1434
.LBB441_1375:
                                        ; implicit-def: $vgpr10
	s_cbranch_execz .LBB441_1496
; %bb.1376:
	v_cmp_gt_i16_e32 vcc_lo, 5, v9
	s_cbranch_vccnz .LBB441_1382
; %bb.1377:
	v_cmp_gt_i16_e32 vcc_lo, 8, v9
	s_cbranch_vccnz .LBB441_1384
	;; [unrolled: 3-line block ×3, first 2 shown]
; %bb.1379:
	v_cmp_lt_i16_e32 vcc_lo, 9, v9
	s_cbranch_vccz .LBB441_1390
; %bb.1380:
	global_load_b64 v[7:8], v[5:6], off
	s_mov_b32 s0, 0
	s_waitcnt vmcnt(0)
	v_cvt_i32_f64_e32 v10, v[7:8]
	s_branch .LBB441_1391
.LBB441_1381:
	s_mov_b32 s10, -1
	s_mov_b32 s0, 0
                                        ; implicit-def: $vgpr10
	s_branch .LBB441_1461
.LBB441_1382:
	s_mov_b32 s0, -1
                                        ; implicit-def: $vgpr10
	s_branch .LBB441_1409
.LBB441_1383:
	s_mov_b32 s10, -1
	s_mov_b32 s0, 0
                                        ; implicit-def: $vgpr10
	s_branch .LBB441_1444
.LBB441_1384:
	s_mov_b32 s0, -1
                                        ; implicit-def: $vgpr10
	s_branch .LBB441_1397
.LBB441_1385:
	s_mov_b32 s10, -1
	s_mov_b32 s0, 0
                                        ; implicit-def: $vgpr10
	s_branch .LBB441_1439
.LBB441_1386:
	s_mov_b32 s0, -1
                                        ; implicit-def: $vgpr10
	s_branch .LBB441_1394
.LBB441_1387:
	s_cbranch_execnz .LBB441_1430
; %bb.1388:
	s_or_b32 s1, s1, exec_lo
                                        ; implicit-def: $vgpr11
	s_cbranch_execz .LBB441_1365
	s_branch .LBB441_1366
.LBB441_1389:
	s_mov_b32 s10, -1
	s_mov_b32 s0, 0
	s_branch .LBB441_1433
.LBB441_1390:
	s_mov_b32 s0, -1
                                        ; implicit-def: $vgpr10
.LBB441_1391:
	s_delay_alu instid0(SALU_CYCLE_1)
	s_and_not1_b32 vcc_lo, exec_lo, s0
	s_cbranch_vccnz .LBB441_1393
; %bb.1392:
	global_load_b32 v7, v[5:6], off
	s_waitcnt vmcnt(0)
	v_cvt_i32_f32_e32 v10, v7
.LBB441_1393:
	s_mov_b32 s0, 0
.LBB441_1394:
	s_delay_alu instid0(SALU_CYCLE_1)
	s_and_not1_b32 vcc_lo, exec_lo, s0
	s_cbranch_vccnz .LBB441_1396
; %bb.1395:
	global_load_b32 v7, v[5:6], off
	s_waitcnt vmcnt(0)
	v_cvt_f32_f16_e32 v7, v7
	s_delay_alu instid0(VALU_DEP_1)
	v_cvt_i32_f32_e32 v10, v7
.LBB441_1396:
	s_mov_b32 s0, 0
.LBB441_1397:
	s_delay_alu instid0(SALU_CYCLE_1)
	s_and_not1_b32 vcc_lo, exec_lo, s0
	s_cbranch_vccnz .LBB441_1408
; %bb.1398:
	v_cmp_gt_i16_e32 vcc_lo, 6, v9
	s_cbranch_vccnz .LBB441_1401
; %bb.1399:
	v_cmp_lt_i16_e32 vcc_lo, 6, v9
	s_cbranch_vccz .LBB441_1402
; %bb.1400:
	global_load_b64 v[7:8], v[5:6], off
	s_mov_b32 s0, 0
	s_waitcnt vmcnt(0)
	v_cvt_i32_f64_e32 v10, v[7:8]
	s_branch .LBB441_1403
.LBB441_1401:
	s_mov_b32 s0, -1
                                        ; implicit-def: $vgpr10
	s_branch .LBB441_1406
.LBB441_1402:
	s_mov_b32 s0, -1
                                        ; implicit-def: $vgpr10
.LBB441_1403:
	s_delay_alu instid0(SALU_CYCLE_1)
	s_and_not1_b32 vcc_lo, exec_lo, s0
	s_cbranch_vccnz .LBB441_1405
; %bb.1404:
	global_load_b32 v7, v[5:6], off
	s_waitcnt vmcnt(0)
	v_cvt_i32_f32_e32 v10, v7
.LBB441_1405:
	s_mov_b32 s0, 0
.LBB441_1406:
	s_delay_alu instid0(SALU_CYCLE_1)
	s_and_not1_b32 vcc_lo, exec_lo, s0
	s_cbranch_vccnz .LBB441_1408
; %bb.1407:
	global_load_u16 v7, v[5:6], off
	s_waitcnt vmcnt(0)
	v_cvt_f32_f16_e32 v7, v7
	s_delay_alu instid0(VALU_DEP_1)
	v_cvt_i32_f32_e32 v10, v7
.LBB441_1408:
	s_mov_b32 s0, 0
.LBB441_1409:
	s_delay_alu instid0(SALU_CYCLE_1)
	s_and_not1_b32 vcc_lo, exec_lo, s0
	s_cbranch_vccnz .LBB441_1429
; %bb.1410:
	v_cmp_gt_i16_e32 vcc_lo, 2, v9
	s_cbranch_vccnz .LBB441_1414
; %bb.1411:
	v_cmp_gt_i16_e32 vcc_lo, 3, v9
	s_cbranch_vccnz .LBB441_1415
; %bb.1412:
	v_cmp_lt_i16_e32 vcc_lo, 3, v9
	s_cbranch_vccz .LBB441_1416
; %bb.1413:
	global_load_b32 v10, v[5:6], off
	s_mov_b32 s0, 0
	s_branch .LBB441_1417
.LBB441_1414:
	s_mov_b32 s0, -1
                                        ; implicit-def: $vgpr10
	s_branch .LBB441_1423
.LBB441_1415:
	s_mov_b32 s0, -1
                                        ; implicit-def: $vgpr10
	s_branch .LBB441_1420
.LBB441_1416:
	s_mov_b32 s0, -1
                                        ; implicit-def: $vgpr10
.LBB441_1417:
	s_delay_alu instid0(SALU_CYCLE_1)
	s_and_not1_b32 vcc_lo, exec_lo, s0
	s_cbranch_vccnz .LBB441_1419
; %bb.1418:
	global_load_b32 v10, v[5:6], off
.LBB441_1419:
	s_mov_b32 s0, 0
.LBB441_1420:
	s_delay_alu instid0(SALU_CYCLE_1)
	s_and_not1_b32 vcc_lo, exec_lo, s0
	s_cbranch_vccnz .LBB441_1422
; %bb.1421:
	global_load_i16 v10, v[5:6], off
.LBB441_1422:
	s_mov_b32 s0, 0
.LBB441_1423:
	s_delay_alu instid0(SALU_CYCLE_1)
	s_and_not1_b32 vcc_lo, exec_lo, s0
	s_cbranch_vccnz .LBB441_1429
; %bb.1424:
	v_cmp_lt_i16_e32 vcc_lo, 0, v9
	s_mov_b32 s0, 0
	s_cbranch_vccz .LBB441_1426
; %bb.1425:
	global_load_i8 v10, v[5:6], off
	s_branch .LBB441_1427
.LBB441_1426:
	s_mov_b32 s0, -1
                                        ; implicit-def: $vgpr10
.LBB441_1427:
	s_delay_alu instid0(SALU_CYCLE_1)
	s_and_not1_b32 vcc_lo, exec_lo, s0
	s_cbranch_vccnz .LBB441_1429
; %bb.1428:
	global_load_u8 v10, v[5:6], off
.LBB441_1429:
	s_branch .LBB441_1497
.LBB441_1430:
	s_trap 2
	s_sendmsg_rtn_b32 s0, sendmsg(MSG_RTN_GET_DOORBELL)
	s_mov_b32 ttmp2, m0
	s_waitcnt lgkmcnt(0)
	s_and_b32 s0, s0, 0x3ff
	s_delay_alu instid0(SALU_CYCLE_1) | instskip(NEXT) | instid1(SALU_CYCLE_1)
	s_bitset1_b32 s0, 10
	s_mov_b32 m0, s0
	s_sendmsg sendmsg(MSG_INTERRUPT)
	s_mov_b32 m0, ttmp2
.LBB441_1431:                           ; =>This Inner Loop Header: Depth=1
	s_sethalt 5
	s_branch .LBB441_1431
.LBB441_1432:
	s_mov_b32 s0, -1
.LBB441_1433:
                                        ; implicit-def: $vgpr10
.LBB441_1434:
	s_and_b32 vcc_lo, exec_lo, s10
	s_cbranch_vccz .LBB441_1438
; %bb.1435:
	v_cmp_eq_u16_e32 vcc_lo, 44, v9
	s_cbranch_vccz .LBB441_1437
; %bb.1436:
	global_load_u8 v7, v[5:6], off
	s_mov_b32 s0, 0
	s_mov_b32 s3, -1
	s_waitcnt vmcnt(0)
	v_lshlrev_b32_e32 v8, 23, v7
	v_cmp_ne_u32_e32 vcc_lo, 0, v7
	s_delay_alu instid0(VALU_DEP_2) | instskip(NEXT) | instid1(VALU_DEP_1)
	v_cvt_i32_f32_e32 v8, v8
	v_cndmask_b32_e32 v10, 0, v8, vcc_lo
	s_branch .LBB441_1438
.LBB441_1437:
	s_mov_b32 s0, -1
                                        ; implicit-def: $vgpr10
.LBB441_1438:
	s_mov_b32 s10, 0
.LBB441_1439:
	s_delay_alu instid0(SALU_CYCLE_1)
	s_and_b32 vcc_lo, exec_lo, s10
	s_cbranch_vccz .LBB441_1443
; %bb.1440:
	v_cmp_eq_u16_e32 vcc_lo, 29, v9
	s_cbranch_vccz .LBB441_1442
; %bb.1441:
	global_load_b32 v10, v[5:6], off
	s_mov_b32 s0, 0
	s_mov_b32 s3, -1
	s_branch .LBB441_1443
.LBB441_1442:
	s_mov_b32 s0, -1
                                        ; implicit-def: $vgpr10
.LBB441_1443:
	s_mov_b32 s10, 0
.LBB441_1444:
	s_delay_alu instid0(SALU_CYCLE_1)
	s_and_b32 vcc_lo, exec_lo, s10
	s_cbranch_vccz .LBB441_1460
; %bb.1445:
	v_cmp_gt_i16_e32 vcc_lo, 27, v9
	s_cbranch_vccnz .LBB441_1448
; %bb.1446:
	v_cmp_lt_i16_e32 vcc_lo, 27, v9
	s_cbranch_vccz .LBB441_1449
; %bb.1447:
	global_load_b32 v10, v[5:6], off
	s_mov_b32 s3, 0
	s_branch .LBB441_1450
.LBB441_1448:
	s_mov_b32 s3, -1
                                        ; implicit-def: $vgpr10
	s_branch .LBB441_1453
.LBB441_1449:
	s_mov_b32 s3, -1
                                        ; implicit-def: $vgpr10
.LBB441_1450:
	s_delay_alu instid0(SALU_CYCLE_1)
	s_and_not1_b32 vcc_lo, exec_lo, s3
	s_cbranch_vccnz .LBB441_1452
; %bb.1451:
	global_load_u16 v10, v[5:6], off
.LBB441_1452:
	s_mov_b32 s3, 0
.LBB441_1453:
	s_delay_alu instid0(SALU_CYCLE_1)
	s_and_not1_b32 vcc_lo, exec_lo, s3
	s_cbranch_vccnz .LBB441_1459
; %bb.1454:
	global_load_u8 v7, v[5:6], off
	s_mov_b32 s3, 0
	s_mov_b32 s10, exec_lo
                                        ; implicit-def: $sgpr11
	s_waitcnt vmcnt(0)
	v_cmpx_lt_i16_e32 0x7f, v7
	s_xor_b32 s10, exec_lo, s10
	s_cbranch_execz .LBB441_1471
; %bb.1455:
	v_cmp_ne_u16_e32 vcc_lo, 0x80, v7
	s_mov_b32 s11, 0
	s_and_b32 s3, vcc_lo, exec_lo
	s_or_saveexec_b32 s10, s10
	v_mov_b32_e32 v10, s11
	s_xor_b32 exec_lo, exec_lo, s10
	s_cbranch_execnz .LBB441_1472
.LBB441_1456:
	s_or_b32 exec_lo, exec_lo, s10
	s_and_saveexec_b32 s10, s3
	s_cbranch_execz .LBB441_1458
.LBB441_1457:
	v_and_b32_e32 v8, 0xffff, v7
	s_delay_alu instid0(VALU_DEP_1) | instskip(NEXT) | instid1(VALU_DEP_1)
	v_and_b32_e32 v10, 7, v8
	v_clz_i32_u32_e32 v13, v10
	s_delay_alu instid0(VALU_DEP_1) | instskip(NEXT) | instid1(VALU_DEP_1)
	v_min_u32_e32 v13, 32, v13
	v_subrev_nc_u32_e32 v14, 28, v13
	v_sub_nc_u32_e32 v13, 29, v13
	s_delay_alu instid0(VALU_DEP_2) | instskip(SKIP_1) | instid1(VALU_DEP_2)
	v_lshlrev_b32_e32 v14, v14, v8
	v_bfe_u32 v8, v8, 3, 4
	v_and_b32_e32 v14, 7, v14
	s_delay_alu instid0(VALU_DEP_2) | instskip(SKIP_1) | instid1(VALU_DEP_1)
	v_cmp_eq_u32_e32 vcc_lo, 0, v8
	v_dual_cndmask_b32 v8, v8, v13 :: v_dual_lshlrev_b32 v7, 24, v7
	v_dual_cndmask_b32 v10, v10, v14 :: v_dual_and_b32 v7, 0x80000000, v7
	s_delay_alu instid0(VALU_DEP_2) | instskip(NEXT) | instid1(VALU_DEP_2)
	v_lshl_add_u32 v8, v8, 23, 0x3b800000
	v_lshlrev_b32_e32 v10, 20, v10
	s_delay_alu instid0(VALU_DEP_1) | instskip(NEXT) | instid1(VALU_DEP_1)
	v_or3_b32 v7, v7, v8, v10
	v_cvt_i32_f32_e32 v10, v7
.LBB441_1458:
	s_or_b32 exec_lo, exec_lo, s10
.LBB441_1459:
	s_mov_b32 s3, -1
.LBB441_1460:
	s_mov_b32 s10, 0
.LBB441_1461:
	s_delay_alu instid0(SALU_CYCLE_1)
	s_and_b32 vcc_lo, exec_lo, s10
	s_cbranch_vccz .LBB441_1492
; %bb.1462:
	v_cmp_lt_i16_e32 vcc_lo, 22, v9
	s_cbranch_vccz .LBB441_1470
; %bb.1463:
	v_cmp_gt_i16_e32 vcc_lo, 24, v9
	s_cbranch_vccnz .LBB441_1473
; %bb.1464:
	v_cmp_lt_i16_e32 vcc_lo, 24, v9
	s_cbranch_vccz .LBB441_1474
; %bb.1465:
	global_load_u8 v7, v[5:6], off
	s_mov_b32 s3, exec_lo
                                        ; implicit-def: $sgpr10
	s_waitcnt vmcnt(0)
	v_cmpx_lt_i16_e32 0x7f, v7
	s_xor_b32 s3, exec_lo, s3
	s_cbranch_execz .LBB441_1486
; %bb.1466:
	v_cmp_ne_u16_e32 vcc_lo, 0x80, v7
	s_mov_b32 s10, 0
	s_and_b32 s2, vcc_lo, exec_lo
	s_or_saveexec_b32 s3, s3
	v_mov_b32_e32 v10, s10
	s_xor_b32 exec_lo, exec_lo, s3
	s_cbranch_execnz .LBB441_1487
.LBB441_1467:
	s_or_b32 exec_lo, exec_lo, s3
	s_and_saveexec_b32 s3, s2
	s_cbranch_execz .LBB441_1469
.LBB441_1468:
	v_and_b32_e32 v8, 0xffff, v7
	s_delay_alu instid0(VALU_DEP_1) | instskip(NEXT) | instid1(VALU_DEP_1)
	v_and_b32_e32 v10, 3, v8
	v_clz_i32_u32_e32 v13, v10
	s_delay_alu instid0(VALU_DEP_1) | instskip(NEXT) | instid1(VALU_DEP_1)
	v_min_u32_e32 v13, 32, v13
	v_subrev_nc_u32_e32 v14, 29, v13
	v_sub_nc_u32_e32 v13, 30, v13
	s_delay_alu instid0(VALU_DEP_2) | instskip(SKIP_1) | instid1(VALU_DEP_2)
	v_lshlrev_b32_e32 v14, v14, v8
	v_bfe_u32 v8, v8, 2, 5
	v_and_b32_e32 v14, 3, v14
	s_delay_alu instid0(VALU_DEP_2) | instskip(SKIP_1) | instid1(VALU_DEP_1)
	v_cmp_eq_u32_e32 vcc_lo, 0, v8
	v_dual_cndmask_b32 v8, v8, v13 :: v_dual_lshlrev_b32 v7, 24, v7
	v_dual_cndmask_b32 v10, v10, v14 :: v_dual_and_b32 v7, 0x80000000, v7
	s_delay_alu instid0(VALU_DEP_2) | instskip(NEXT) | instid1(VALU_DEP_2)
	v_lshl_add_u32 v8, v8, 23, 0x37800000
	v_lshlrev_b32_e32 v10, 21, v10
	s_delay_alu instid0(VALU_DEP_1) | instskip(NEXT) | instid1(VALU_DEP_1)
	v_or3_b32 v7, v7, v8, v10
	v_cvt_i32_f32_e32 v10, v7
.LBB441_1469:
	s_or_b32 exec_lo, exec_lo, s3
	s_mov_b32 s2, 0
	s_branch .LBB441_1475
.LBB441_1470:
	s_mov_b32 s2, -1
                                        ; implicit-def: $vgpr10
	s_branch .LBB441_1481
.LBB441_1471:
	s_or_saveexec_b32 s10, s10
	v_mov_b32_e32 v10, s11
	s_xor_b32 exec_lo, exec_lo, s10
	s_cbranch_execz .LBB441_1456
.LBB441_1472:
	v_cmp_ne_u16_e32 vcc_lo, 0, v7
	v_mov_b32_e32 v10, 0
	s_and_not1_b32 s3, s3, exec_lo
	s_and_b32 s11, vcc_lo, exec_lo
	s_delay_alu instid0(SALU_CYCLE_1)
	s_or_b32 s3, s3, s11
	s_or_b32 exec_lo, exec_lo, s10
	s_and_saveexec_b32 s10, s3
	s_cbranch_execnz .LBB441_1457
	s_branch .LBB441_1458
.LBB441_1473:
	s_mov_b32 s2, -1
                                        ; implicit-def: $vgpr10
	s_branch .LBB441_1478
.LBB441_1474:
	s_mov_b32 s2, -1
                                        ; implicit-def: $vgpr10
.LBB441_1475:
	s_delay_alu instid0(SALU_CYCLE_1)
	s_and_b32 vcc_lo, exec_lo, s2
	s_cbranch_vccz .LBB441_1477
; %bb.1476:
	global_load_u8 v7, v[5:6], off
	s_waitcnt vmcnt(0)
	v_lshlrev_b32_e32 v7, 24, v7
	s_delay_alu instid0(VALU_DEP_1) | instskip(NEXT) | instid1(VALU_DEP_1)
	v_and_b32_e32 v8, 0x7f000000, v7
	v_clz_i32_u32_e32 v10, v8
	v_add_nc_u32_e32 v14, 0x1000000, v8
	v_cmp_ne_u32_e32 vcc_lo, 0, v8
	s_delay_alu instid0(VALU_DEP_3) | instskip(NEXT) | instid1(VALU_DEP_1)
	v_min_u32_e32 v10, 32, v10
	v_sub_nc_u32_e64 v10, v10, 4 clamp
	s_delay_alu instid0(VALU_DEP_1) | instskip(SKIP_1) | instid1(VALU_DEP_2)
	v_lshlrev_b32_e32 v13, v10, v8
	v_lshlrev_b32_e32 v10, 23, v10
	v_lshrrev_b32_e32 v13, 4, v13
	s_delay_alu instid0(VALU_DEP_1) | instskip(SKIP_1) | instid1(VALU_DEP_2)
	v_sub_nc_u32_e32 v10, v13, v10
	v_ashrrev_i32_e32 v13, 8, v14
	v_add_nc_u32_e32 v10, 0x3c000000, v10
	s_delay_alu instid0(VALU_DEP_1) | instskip(NEXT) | instid1(VALU_DEP_1)
	v_and_or_b32 v10, 0x7f800000, v13, v10
	v_cndmask_b32_e32 v8, 0, v10, vcc_lo
	s_delay_alu instid0(VALU_DEP_1) | instskip(NEXT) | instid1(VALU_DEP_1)
	v_and_or_b32 v7, 0x80000000, v7, v8
	v_cvt_i32_f32_e32 v10, v7
.LBB441_1477:
	s_mov_b32 s2, 0
.LBB441_1478:
	s_delay_alu instid0(SALU_CYCLE_1)
	s_and_not1_b32 vcc_lo, exec_lo, s2
	s_cbranch_vccnz .LBB441_1480
; %bb.1479:
	global_load_u8 v7, v[5:6], off
	s_waitcnt vmcnt(0)
	v_lshlrev_b32_e32 v8, 25, v7
	v_lshlrev_b16 v7, 8, v7
	s_delay_alu instid0(VALU_DEP_1) | instskip(SKIP_1) | instid1(VALU_DEP_2)
	v_and_or_b32 v13, 0x7f00, v7, 0.5
	v_bfe_i32 v7, v7, 0, 16
	v_add_f32_e32 v13, -0.5, v13
	v_lshrrev_b32_e32 v10, 4, v8
	v_cmp_gt_u32_e32 vcc_lo, 0x8000000, v8
	s_delay_alu instid0(VALU_DEP_2) | instskip(NEXT) | instid1(VALU_DEP_1)
	v_or_b32_e32 v10, 0x70000000, v10
	v_mul_f32_e32 v10, 0x7800000, v10
	s_delay_alu instid0(VALU_DEP_1) | instskip(NEXT) | instid1(VALU_DEP_1)
	v_cndmask_b32_e32 v8, v10, v13, vcc_lo
	v_and_or_b32 v7, 0x80000000, v7, v8
	s_delay_alu instid0(VALU_DEP_1)
	v_cvt_i32_f32_e32 v10, v7
.LBB441_1480:
	s_mov_b32 s2, 0
	s_mov_b32 s3, -1
.LBB441_1481:
	s_and_not1_b32 vcc_lo, exec_lo, s2
	s_mov_b32 s2, 0
	s_cbranch_vccnz .LBB441_1492
; %bb.1482:
	v_cmp_lt_i16_e32 vcc_lo, 14, v9
	s_cbranch_vccz .LBB441_1485
; %bb.1483:
	v_cmp_eq_u16_e32 vcc_lo, 15, v9
	s_cbranch_vccz .LBB441_1488
; %bb.1484:
	global_load_u16 v7, v[5:6], off
	s_mov_b32 s0, 0
	s_mov_b32 s3, -1
	s_waitcnt vmcnt(0)
	v_lshlrev_b32_e32 v7, 16, v7
	s_delay_alu instid0(VALU_DEP_1)
	v_cvt_i32_f32_e32 v10, v7
	s_branch .LBB441_1490
.LBB441_1485:
	s_mov_b32 s2, -1
	s_branch .LBB441_1489
.LBB441_1486:
	s_or_saveexec_b32 s3, s3
	v_mov_b32_e32 v10, s10
	s_xor_b32 exec_lo, exec_lo, s3
	s_cbranch_execz .LBB441_1467
.LBB441_1487:
	v_cmp_ne_u16_e32 vcc_lo, 0, v7
	v_mov_b32_e32 v10, 0
	s_and_not1_b32 s2, s2, exec_lo
	s_and_b32 s10, vcc_lo, exec_lo
	s_delay_alu instid0(SALU_CYCLE_1)
	s_or_b32 s2, s2, s10
	s_or_b32 exec_lo, exec_lo, s3
	s_and_saveexec_b32 s3, s2
	s_cbranch_execnz .LBB441_1468
	s_branch .LBB441_1469
.LBB441_1488:
	s_mov_b32 s0, -1
.LBB441_1489:
                                        ; implicit-def: $vgpr10
.LBB441_1490:
	s_and_b32 vcc_lo, exec_lo, s2
	s_mov_b32 s2, 0
	s_cbranch_vccz .LBB441_1492
; %bb.1491:
	v_cmp_ne_u16_e64 s0, 11, v9
	s_mov_b32 s2, -1
                                        ; implicit-def: $vgpr10
.LBB441_1492:
	s_delay_alu instid0(VALU_DEP_1)
	s_and_b32 vcc_lo, exec_lo, s0
	s_cbranch_vccnz .LBB441_1508
; %bb.1493:
	s_and_not1_b32 vcc_lo, exec_lo, s2
	s_cbranch_vccnz .LBB441_1495
.LBB441_1494:
	global_load_u8 v7, v[5:6], off
	s_mov_b32 s3, -1
	s_waitcnt vmcnt(0)
	v_cmp_ne_u16_e32 vcc_lo, 0, v7
	v_cndmask_b32_e64 v10, 0, 1, vcc_lo
.LBB441_1495:
.LBB441_1496:
	s_and_not1_b32 vcc_lo, exec_lo, s3
	s_cbranch_vccnz .LBB441_2016
.LBB441_1497:
	v_cmp_gt_i16_e32 vcc_lo, 11, v9
	v_add_co_u32 v4, s0, s6, v4
	s_delay_alu instid0(VALU_DEP_1)
	v_add_co_ci_u32_e64 v5, null, s7, 0, s0
	s_mov_b32 s3, 0
	s_cbranch_vccnz .LBB441_1504
; %bb.1498:
	v_cmp_lt_i16_e32 vcc_lo, 25, v9
	s_mov_b32 s2, 0
	s_cbranch_vccz .LBB441_1505
; %bb.1499:
	v_cmp_lt_i16_e32 vcc_lo, 28, v9
	s_cbranch_vccz .LBB441_1506
; %bb.1500:
	v_cmp_lt_i16_e32 vcc_lo, 43, v9
	;; [unrolled: 3-line block ×3, first 2 shown]
	s_cbranch_vccz .LBB441_1510
; %bb.1502:
	v_cmp_eq_u16_e32 vcc_lo, 46, v9
	s_mov_b32 s6, 0
	s_cbranch_vccz .LBB441_1513
; %bb.1503:
	global_load_b32 v6, v[4:5], off
	s_mov_b32 s0, 0
	s_mov_b32 s3, -1
	s_waitcnt vmcnt(0)
	v_lshlrev_b32_e32 v6, 16, v6
	s_delay_alu instid0(VALU_DEP_1)
	v_cvt_i32_f32_e32 v8, v6
	s_branch .LBB441_1515
.LBB441_1504:
	s_mov_b32 s0, -1
                                        ; implicit-def: $vgpr8
	s_branch .LBB441_1577
.LBB441_1505:
	s_mov_b32 s6, -1
	s_mov_b32 s0, 0
                                        ; implicit-def: $vgpr8
	s_branch .LBB441_1542
.LBB441_1506:
	s_mov_b32 s6, -1
	s_mov_b32 s0, 0
                                        ; implicit-def: $vgpr8
	s_branch .LBB441_1525
.LBB441_1507:
	s_mov_b32 s6, -1
	s_mov_b32 s0, 0
                                        ; implicit-def: $vgpr8
	s_branch .LBB441_1520
.LBB441_1508:
	s_cbranch_execnz .LBB441_1511
; %bb.1509:
	s_or_b32 s1, s1, exec_lo
                                        ; implicit-def: $vgpr10
	s_cbranch_execz .LBB441_1494
	s_branch .LBB441_1495
.LBB441_1510:
	s_mov_b32 s6, -1
	s_mov_b32 s0, 0
	s_branch .LBB441_1514
.LBB441_1511:
	s_trap 2
	s_sendmsg_rtn_b32 s0, sendmsg(MSG_RTN_GET_DOORBELL)
	s_mov_b32 ttmp2, m0
	s_waitcnt lgkmcnt(0)
	s_and_b32 s0, s0, 0x3ff
	s_delay_alu instid0(SALU_CYCLE_1) | instskip(NEXT) | instid1(SALU_CYCLE_1)
	s_bitset1_b32 s0, 10
	s_mov_b32 m0, s0
	s_sendmsg sendmsg(MSG_INTERRUPT)
	s_mov_b32 m0, ttmp2
.LBB441_1512:                           ; =>This Inner Loop Header: Depth=1
	s_sethalt 5
	s_branch .LBB441_1512
.LBB441_1513:
	s_mov_b32 s0, -1
.LBB441_1514:
                                        ; implicit-def: $vgpr8
.LBB441_1515:
	s_and_b32 vcc_lo, exec_lo, s6
	s_cbranch_vccz .LBB441_1519
; %bb.1516:
	v_cmp_eq_u16_e32 vcc_lo, 44, v9
	s_cbranch_vccz .LBB441_1518
; %bb.1517:
	global_load_u8 v6, v[4:5], off
	s_mov_b32 s0, 0
	s_mov_b32 s3, -1
	s_waitcnt vmcnt(0)
	v_lshlrev_b32_e32 v7, 23, v6
	v_cmp_ne_u32_e32 vcc_lo, 0, v6
	s_delay_alu instid0(VALU_DEP_2) | instskip(NEXT) | instid1(VALU_DEP_1)
	v_cvt_i32_f32_e32 v7, v7
	v_cndmask_b32_e32 v8, 0, v7, vcc_lo
	s_branch .LBB441_1519
.LBB441_1518:
	s_mov_b32 s0, -1
                                        ; implicit-def: $vgpr8
.LBB441_1519:
	s_mov_b32 s6, 0
.LBB441_1520:
	s_delay_alu instid0(SALU_CYCLE_1)
	s_and_b32 vcc_lo, exec_lo, s6
	s_cbranch_vccz .LBB441_1524
; %bb.1521:
	v_cmp_eq_u16_e32 vcc_lo, 29, v9
	s_cbranch_vccz .LBB441_1523
; %bb.1522:
	global_load_b32 v8, v[4:5], off
	s_mov_b32 s0, 0
	s_mov_b32 s3, -1
	s_branch .LBB441_1524
.LBB441_1523:
	s_mov_b32 s0, -1
                                        ; implicit-def: $vgpr8
.LBB441_1524:
	s_mov_b32 s6, 0
.LBB441_1525:
	s_delay_alu instid0(SALU_CYCLE_1)
	s_and_b32 vcc_lo, exec_lo, s6
	s_cbranch_vccz .LBB441_1541
; %bb.1526:
	v_cmp_gt_i16_e32 vcc_lo, 27, v9
	s_cbranch_vccnz .LBB441_1529
; %bb.1527:
	v_cmp_lt_i16_e32 vcc_lo, 27, v9
	s_cbranch_vccz .LBB441_1530
; %bb.1528:
	global_load_b32 v8, v[4:5], off
	s_mov_b32 s3, 0
	s_branch .LBB441_1531
.LBB441_1529:
	s_mov_b32 s3, -1
                                        ; implicit-def: $vgpr8
	s_branch .LBB441_1534
.LBB441_1530:
	s_mov_b32 s3, -1
                                        ; implicit-def: $vgpr8
.LBB441_1531:
	s_delay_alu instid0(SALU_CYCLE_1)
	s_and_not1_b32 vcc_lo, exec_lo, s3
	s_cbranch_vccnz .LBB441_1533
; %bb.1532:
	global_load_u16 v8, v[4:5], off
.LBB441_1533:
	s_mov_b32 s3, 0
.LBB441_1534:
	s_delay_alu instid0(SALU_CYCLE_1)
	s_and_not1_b32 vcc_lo, exec_lo, s3
	s_cbranch_vccnz .LBB441_1540
; %bb.1535:
	global_load_u8 v6, v[4:5], off
	s_mov_b32 s3, 0
	s_mov_b32 s6, exec_lo
                                        ; implicit-def: $sgpr7
	s_waitcnt vmcnt(0)
	v_cmpx_lt_i16_e32 0x7f, v6
	s_xor_b32 s6, exec_lo, s6
	s_cbranch_execz .LBB441_1552
; %bb.1536:
	v_cmp_ne_u16_e32 vcc_lo, 0x80, v6
	s_mov_b32 s7, 0
	s_and_b32 s3, vcc_lo, exec_lo
	s_or_saveexec_b32 s6, s6
	v_mov_b32_e32 v8, s7
	s_xor_b32 exec_lo, exec_lo, s6
	s_cbranch_execnz .LBB441_1553
.LBB441_1537:
	s_or_b32 exec_lo, exec_lo, s6
	s_and_saveexec_b32 s6, s3
	s_cbranch_execz .LBB441_1539
.LBB441_1538:
	v_and_b32_e32 v7, 0xffff, v6
	v_lshlrev_b32_e32 v6, 24, v6
	s_delay_alu instid0(VALU_DEP_2) | instskip(NEXT) | instid1(VALU_DEP_2)
	v_and_b32_e32 v8, 7, v7
	v_and_b32_e32 v6, 0x80000000, v6
	s_delay_alu instid0(VALU_DEP_2) | instskip(NEXT) | instid1(VALU_DEP_1)
	v_clz_i32_u32_e32 v13, v8
	v_min_u32_e32 v13, 32, v13
	s_delay_alu instid0(VALU_DEP_1) | instskip(SKIP_1) | instid1(VALU_DEP_2)
	v_subrev_nc_u32_e32 v14, 28, v13
	v_sub_nc_u32_e32 v13, 29, v13
	v_lshlrev_b32_e32 v14, v14, v7
	v_bfe_u32 v7, v7, 3, 4
	s_delay_alu instid0(VALU_DEP_2) | instskip(NEXT) | instid1(VALU_DEP_2)
	v_and_b32_e32 v14, 7, v14
	v_cmp_eq_u32_e32 vcc_lo, 0, v7
	s_delay_alu instid0(VALU_DEP_2) | instskip(NEXT) | instid1(VALU_DEP_1)
	v_dual_cndmask_b32 v7, v7, v13 :: v_dual_cndmask_b32 v8, v8, v14
	v_lshl_add_u32 v7, v7, 23, 0x3b800000
	s_delay_alu instid0(VALU_DEP_2) | instskip(NEXT) | instid1(VALU_DEP_1)
	v_lshlrev_b32_e32 v8, 20, v8
	v_or3_b32 v6, v6, v7, v8
	s_delay_alu instid0(VALU_DEP_1)
	v_cvt_i32_f32_e32 v8, v6
.LBB441_1539:
	s_or_b32 exec_lo, exec_lo, s6
.LBB441_1540:
	s_mov_b32 s3, -1
.LBB441_1541:
	s_mov_b32 s6, 0
.LBB441_1542:
	s_delay_alu instid0(SALU_CYCLE_1)
	s_and_b32 vcc_lo, exec_lo, s6
	s_cbranch_vccz .LBB441_1573
; %bb.1543:
	v_cmp_lt_i16_e32 vcc_lo, 22, v9
	s_cbranch_vccz .LBB441_1551
; %bb.1544:
	v_cmp_gt_i16_e32 vcc_lo, 24, v9
	s_cbranch_vccnz .LBB441_1554
; %bb.1545:
	v_cmp_lt_i16_e32 vcc_lo, 24, v9
	s_cbranch_vccz .LBB441_1555
; %bb.1546:
	global_load_u8 v6, v[4:5], off
	s_mov_b32 s3, exec_lo
                                        ; implicit-def: $sgpr6
	s_waitcnt vmcnt(0)
	v_cmpx_lt_i16_e32 0x7f, v6
	s_xor_b32 s3, exec_lo, s3
	s_cbranch_execz .LBB441_1567
; %bb.1547:
	v_cmp_ne_u16_e32 vcc_lo, 0x80, v6
	s_mov_b32 s6, 0
	s_and_b32 s2, vcc_lo, exec_lo
	s_or_saveexec_b32 s3, s3
	v_mov_b32_e32 v8, s6
	s_xor_b32 exec_lo, exec_lo, s3
	s_cbranch_execnz .LBB441_1568
.LBB441_1548:
	s_or_b32 exec_lo, exec_lo, s3
	s_and_saveexec_b32 s3, s2
	s_cbranch_execz .LBB441_1550
.LBB441_1549:
	v_and_b32_e32 v7, 0xffff, v6
	v_lshlrev_b32_e32 v6, 24, v6
	s_delay_alu instid0(VALU_DEP_2) | instskip(NEXT) | instid1(VALU_DEP_2)
	v_and_b32_e32 v8, 3, v7
	v_and_b32_e32 v6, 0x80000000, v6
	s_delay_alu instid0(VALU_DEP_2) | instskip(NEXT) | instid1(VALU_DEP_1)
	v_clz_i32_u32_e32 v13, v8
	v_min_u32_e32 v13, 32, v13
	s_delay_alu instid0(VALU_DEP_1) | instskip(SKIP_1) | instid1(VALU_DEP_2)
	v_subrev_nc_u32_e32 v14, 29, v13
	v_sub_nc_u32_e32 v13, 30, v13
	v_lshlrev_b32_e32 v14, v14, v7
	v_bfe_u32 v7, v7, 2, 5
	s_delay_alu instid0(VALU_DEP_2) | instskip(NEXT) | instid1(VALU_DEP_2)
	v_and_b32_e32 v14, 3, v14
	v_cmp_eq_u32_e32 vcc_lo, 0, v7
	s_delay_alu instid0(VALU_DEP_2) | instskip(NEXT) | instid1(VALU_DEP_1)
	v_dual_cndmask_b32 v7, v7, v13 :: v_dual_cndmask_b32 v8, v8, v14
	v_lshl_add_u32 v7, v7, 23, 0x37800000
	s_delay_alu instid0(VALU_DEP_2) | instskip(NEXT) | instid1(VALU_DEP_1)
	v_lshlrev_b32_e32 v8, 21, v8
	v_or3_b32 v6, v6, v7, v8
	s_delay_alu instid0(VALU_DEP_1)
	v_cvt_i32_f32_e32 v8, v6
.LBB441_1550:
	s_or_b32 exec_lo, exec_lo, s3
	s_mov_b32 s2, 0
	s_branch .LBB441_1556
.LBB441_1551:
	s_mov_b32 s2, -1
                                        ; implicit-def: $vgpr8
	s_branch .LBB441_1562
.LBB441_1552:
	s_or_saveexec_b32 s6, s6
	v_mov_b32_e32 v8, s7
	s_xor_b32 exec_lo, exec_lo, s6
	s_cbranch_execz .LBB441_1537
.LBB441_1553:
	v_cmp_ne_u16_e32 vcc_lo, 0, v6
	v_mov_b32_e32 v8, 0
	s_and_not1_b32 s3, s3, exec_lo
	s_and_b32 s7, vcc_lo, exec_lo
	s_delay_alu instid0(SALU_CYCLE_1)
	s_or_b32 s3, s3, s7
	s_or_b32 exec_lo, exec_lo, s6
	s_and_saveexec_b32 s6, s3
	s_cbranch_execnz .LBB441_1538
	s_branch .LBB441_1539
.LBB441_1554:
	s_mov_b32 s2, -1
                                        ; implicit-def: $vgpr8
	s_branch .LBB441_1559
.LBB441_1555:
	s_mov_b32 s2, -1
                                        ; implicit-def: $vgpr8
.LBB441_1556:
	s_delay_alu instid0(SALU_CYCLE_1)
	s_and_b32 vcc_lo, exec_lo, s2
	s_cbranch_vccz .LBB441_1558
; %bb.1557:
	global_load_u8 v6, v[4:5], off
	s_waitcnt vmcnt(0)
	v_lshlrev_b32_e32 v6, 24, v6
	s_delay_alu instid0(VALU_DEP_1) | instskip(NEXT) | instid1(VALU_DEP_1)
	v_and_b32_e32 v7, 0x7f000000, v6
	v_clz_i32_u32_e32 v8, v7
	v_add_nc_u32_e32 v14, 0x1000000, v7
	v_cmp_ne_u32_e32 vcc_lo, 0, v7
	s_delay_alu instid0(VALU_DEP_3) | instskip(NEXT) | instid1(VALU_DEP_1)
	v_min_u32_e32 v8, 32, v8
	v_sub_nc_u32_e64 v8, v8, 4 clamp
	s_delay_alu instid0(VALU_DEP_1) | instskip(SKIP_1) | instid1(VALU_DEP_2)
	v_lshlrev_b32_e32 v13, v8, v7
	v_lshlrev_b32_e32 v8, 23, v8
	v_lshrrev_b32_e32 v13, 4, v13
	s_delay_alu instid0(VALU_DEP_1) | instskip(SKIP_1) | instid1(VALU_DEP_2)
	v_sub_nc_u32_e32 v8, v13, v8
	v_ashrrev_i32_e32 v13, 8, v14
	v_add_nc_u32_e32 v8, 0x3c000000, v8
	s_delay_alu instid0(VALU_DEP_1) | instskip(NEXT) | instid1(VALU_DEP_1)
	v_and_or_b32 v8, 0x7f800000, v13, v8
	v_cndmask_b32_e32 v7, 0, v8, vcc_lo
	s_delay_alu instid0(VALU_DEP_1) | instskip(NEXT) | instid1(VALU_DEP_1)
	v_and_or_b32 v6, 0x80000000, v6, v7
	v_cvt_i32_f32_e32 v8, v6
.LBB441_1558:
	s_mov_b32 s2, 0
.LBB441_1559:
	s_delay_alu instid0(SALU_CYCLE_1)
	s_and_not1_b32 vcc_lo, exec_lo, s2
	s_cbranch_vccnz .LBB441_1561
; %bb.1560:
	global_load_u8 v6, v[4:5], off
	s_waitcnt vmcnt(0)
	v_lshlrev_b32_e32 v7, 25, v6
	v_lshlrev_b16 v6, 8, v6
	s_delay_alu instid0(VALU_DEP_2) | instskip(NEXT) | instid1(VALU_DEP_2)
	v_lshrrev_b32_e32 v8, 4, v7
	v_and_or_b32 v13, 0x7f00, v6, 0.5
	v_bfe_i32 v6, v6, 0, 16
	s_delay_alu instid0(VALU_DEP_3) | instskip(NEXT) | instid1(VALU_DEP_1)
	v_or_b32_e32 v8, 0x70000000, v8
	v_dual_add_f32 v13, -0.5, v13 :: v_dual_mul_f32 v8, 0x7800000, v8
	v_cmp_gt_u32_e32 vcc_lo, 0x8000000, v7
	s_delay_alu instid0(VALU_DEP_2) | instskip(NEXT) | instid1(VALU_DEP_1)
	v_cndmask_b32_e32 v7, v8, v13, vcc_lo
	v_and_or_b32 v6, 0x80000000, v6, v7
	s_delay_alu instid0(VALU_DEP_1)
	v_cvt_i32_f32_e32 v8, v6
.LBB441_1561:
	s_mov_b32 s2, 0
	s_mov_b32 s3, -1
.LBB441_1562:
	s_and_not1_b32 vcc_lo, exec_lo, s2
	s_mov_b32 s2, 0
	s_cbranch_vccnz .LBB441_1573
; %bb.1563:
	v_cmp_lt_i16_e32 vcc_lo, 14, v9
	s_cbranch_vccz .LBB441_1566
; %bb.1564:
	v_cmp_eq_u16_e32 vcc_lo, 15, v9
	s_cbranch_vccz .LBB441_1569
; %bb.1565:
	global_load_u16 v6, v[4:5], off
	s_mov_b32 s0, 0
	s_mov_b32 s3, -1
	s_waitcnt vmcnt(0)
	v_lshlrev_b32_e32 v6, 16, v6
	s_delay_alu instid0(VALU_DEP_1)
	v_cvt_i32_f32_e32 v8, v6
	s_branch .LBB441_1571
.LBB441_1566:
	s_mov_b32 s2, -1
	s_branch .LBB441_1570
.LBB441_1567:
	s_or_saveexec_b32 s3, s3
	v_mov_b32_e32 v8, s6
	s_xor_b32 exec_lo, exec_lo, s3
	s_cbranch_execz .LBB441_1548
.LBB441_1568:
	v_cmp_ne_u16_e32 vcc_lo, 0, v6
	v_mov_b32_e32 v8, 0
	s_and_not1_b32 s2, s2, exec_lo
	s_and_b32 s6, vcc_lo, exec_lo
	s_delay_alu instid0(SALU_CYCLE_1)
	s_or_b32 s2, s2, s6
	s_or_b32 exec_lo, exec_lo, s3
	s_and_saveexec_b32 s3, s2
	s_cbranch_execnz .LBB441_1549
	s_branch .LBB441_1550
.LBB441_1569:
	s_mov_b32 s0, -1
.LBB441_1570:
                                        ; implicit-def: $vgpr8
.LBB441_1571:
	s_and_b32 vcc_lo, exec_lo, s2
	s_mov_b32 s2, 0
	s_cbranch_vccz .LBB441_1573
; %bb.1572:
	v_cmp_ne_u16_e64 s0, 11, v9
	s_mov_b32 s2, -1
                                        ; implicit-def: $vgpr8
.LBB441_1573:
	s_delay_alu instid0(VALU_DEP_1)
	s_and_b32 vcc_lo, exec_lo, s0
	s_cbranch_vccnz .LBB441_1636
; %bb.1574:
	s_and_not1_b32 vcc_lo, exec_lo, s2
	s_cbranch_vccnz .LBB441_1576
.LBB441_1575:
	global_load_u8 v6, v[4:5], off
	s_mov_b32 s3, -1
	s_waitcnt vmcnt(0)
	v_cmp_ne_u16_e32 vcc_lo, 0, v6
	v_cndmask_b32_e64 v8, 0, 1, vcc_lo
.LBB441_1576:
	s_mov_b32 s0, 0
.LBB441_1577:
	s_delay_alu instid0(SALU_CYCLE_1)
	s_and_b32 vcc_lo, exec_lo, s0
	s_cbranch_vccz .LBB441_1626
; %bb.1578:
	v_cmp_gt_i16_e32 vcc_lo, 5, v9
	s_cbranch_vccnz .LBB441_1583
; %bb.1579:
	v_cmp_gt_i16_e32 vcc_lo, 8, v9
	s_cbranch_vccnz .LBB441_1584
	;; [unrolled: 3-line block ×3, first 2 shown]
; %bb.1581:
	v_cmp_lt_i16_e32 vcc_lo, 9, v9
	s_cbranch_vccz .LBB441_1586
; %bb.1582:
	global_load_b64 v[6:7], v[4:5], off
	s_mov_b32 s0, 0
	s_waitcnt vmcnt(0)
	v_cvt_i32_f64_e32 v8, v[6:7]
	s_branch .LBB441_1587
.LBB441_1583:
	s_mov_b32 s0, -1
                                        ; implicit-def: $vgpr8
	s_branch .LBB441_1605
.LBB441_1584:
	s_mov_b32 s0, -1
                                        ; implicit-def: $vgpr8
	s_branch .LBB441_1593
.LBB441_1585:
	s_mov_b32 s0, -1
                                        ; implicit-def: $vgpr8
	s_branch .LBB441_1590
.LBB441_1586:
	s_mov_b32 s0, -1
                                        ; implicit-def: $vgpr8
.LBB441_1587:
	s_delay_alu instid0(SALU_CYCLE_1)
	s_and_not1_b32 vcc_lo, exec_lo, s0
	s_cbranch_vccnz .LBB441_1589
; %bb.1588:
	global_load_b32 v6, v[4:5], off
	s_waitcnt vmcnt(0)
	v_cvt_i32_f32_e32 v8, v6
.LBB441_1589:
	s_mov_b32 s0, 0
.LBB441_1590:
	s_delay_alu instid0(SALU_CYCLE_1)
	s_and_not1_b32 vcc_lo, exec_lo, s0
	s_cbranch_vccnz .LBB441_1592
; %bb.1591:
	global_load_b32 v6, v[4:5], off
	s_waitcnt vmcnt(0)
	v_cvt_f32_f16_e32 v6, v6
	s_delay_alu instid0(VALU_DEP_1)
	v_cvt_i32_f32_e32 v8, v6
.LBB441_1592:
	s_mov_b32 s0, 0
.LBB441_1593:
	s_delay_alu instid0(SALU_CYCLE_1)
	s_and_not1_b32 vcc_lo, exec_lo, s0
	s_cbranch_vccnz .LBB441_1604
; %bb.1594:
	v_cmp_gt_i16_e32 vcc_lo, 6, v9
	s_cbranch_vccnz .LBB441_1597
; %bb.1595:
	v_cmp_lt_i16_e32 vcc_lo, 6, v9
	s_cbranch_vccz .LBB441_1598
; %bb.1596:
	global_load_b64 v[6:7], v[4:5], off
	s_mov_b32 s0, 0
	s_waitcnt vmcnt(0)
	v_cvt_i32_f64_e32 v8, v[6:7]
	s_branch .LBB441_1599
.LBB441_1597:
	s_mov_b32 s0, -1
                                        ; implicit-def: $vgpr8
	s_branch .LBB441_1602
.LBB441_1598:
	s_mov_b32 s0, -1
                                        ; implicit-def: $vgpr8
.LBB441_1599:
	s_delay_alu instid0(SALU_CYCLE_1)
	s_and_not1_b32 vcc_lo, exec_lo, s0
	s_cbranch_vccnz .LBB441_1601
; %bb.1600:
	global_load_b32 v6, v[4:5], off
	s_waitcnt vmcnt(0)
	v_cvt_i32_f32_e32 v8, v6
.LBB441_1601:
	s_mov_b32 s0, 0
.LBB441_1602:
	s_delay_alu instid0(SALU_CYCLE_1)
	s_and_not1_b32 vcc_lo, exec_lo, s0
	s_cbranch_vccnz .LBB441_1604
; %bb.1603:
	global_load_u16 v6, v[4:5], off
	s_waitcnt vmcnt(0)
	v_cvt_f32_f16_e32 v6, v6
	s_delay_alu instid0(VALU_DEP_1)
	v_cvt_i32_f32_e32 v8, v6
.LBB441_1604:
	s_mov_b32 s0, 0
.LBB441_1605:
	s_delay_alu instid0(SALU_CYCLE_1)
	s_and_not1_b32 vcc_lo, exec_lo, s0
	s_cbranch_vccnz .LBB441_1625
; %bb.1606:
	v_cmp_gt_i16_e32 vcc_lo, 2, v9
	s_cbranch_vccnz .LBB441_1610
; %bb.1607:
	v_cmp_gt_i16_e32 vcc_lo, 3, v9
	s_cbranch_vccnz .LBB441_1611
; %bb.1608:
	v_cmp_lt_i16_e32 vcc_lo, 3, v9
	s_cbranch_vccz .LBB441_1612
; %bb.1609:
	global_load_b32 v8, v[4:5], off
	s_mov_b32 s0, 0
	s_branch .LBB441_1613
.LBB441_1610:
	s_mov_b32 s0, -1
                                        ; implicit-def: $vgpr8
	s_branch .LBB441_1619
.LBB441_1611:
	s_mov_b32 s0, -1
                                        ; implicit-def: $vgpr8
	s_branch .LBB441_1616
.LBB441_1612:
	s_mov_b32 s0, -1
                                        ; implicit-def: $vgpr8
.LBB441_1613:
	s_delay_alu instid0(SALU_CYCLE_1)
	s_and_not1_b32 vcc_lo, exec_lo, s0
	s_cbranch_vccnz .LBB441_1615
; %bb.1614:
	global_load_b32 v8, v[4:5], off
.LBB441_1615:
	s_mov_b32 s0, 0
.LBB441_1616:
	s_delay_alu instid0(SALU_CYCLE_1)
	s_and_not1_b32 vcc_lo, exec_lo, s0
	s_cbranch_vccnz .LBB441_1618
; %bb.1617:
	global_load_i16 v8, v[4:5], off
.LBB441_1618:
	s_mov_b32 s0, 0
.LBB441_1619:
	s_delay_alu instid0(SALU_CYCLE_1)
	s_and_not1_b32 vcc_lo, exec_lo, s0
	s_cbranch_vccnz .LBB441_1625
; %bb.1620:
	v_cmp_lt_i16_e32 vcc_lo, 0, v9
	s_mov_b32 s0, 0
	s_cbranch_vccz .LBB441_1622
; %bb.1621:
	global_load_i8 v8, v[4:5], off
	s_branch .LBB441_1623
.LBB441_1622:
	s_mov_b32 s0, -1
                                        ; implicit-def: $vgpr8
.LBB441_1623:
	s_delay_alu instid0(SALU_CYCLE_1)
	s_and_not1_b32 vcc_lo, exec_lo, s0
	s_cbranch_vccnz .LBB441_1625
; %bb.1624:
	global_load_u8 v8, v[4:5], off
.LBB441_1625:
	s_mov_b32 s3, -1
.LBB441_1626:
	s_delay_alu instid0(SALU_CYCLE_1)
	s_and_not1_b32 vcc_lo, exec_lo, s3
	s_cbranch_vccnz .LBB441_2016
; %bb.1627:
	s_load_b64 s[2:3], s[16:17], 0x158
	v_add_co_u32 v6, s6, s4, v3
	s_delay_alu instid0(VALU_DEP_1)
	v_add_co_ci_u32_e64 v7, null, s5, 0, s6
	s_mov_b32 s7, 0
	s_waitcnt lgkmcnt(0)
	s_and_b32 s3, s3, 0xff
	v_min_i32_e32 v4, s2, v12
	v_cmp_lt_i16_e64 s0, s3, 11
	s_delay_alu instid0(VALU_DEP_1)
	s_and_b32 vcc_lo, exec_lo, s0
	s_mov_b32 s0, -1
	s_cbranch_vccnz .LBB441_1710
; %bb.1628:
	v_cmp_gt_i16_e64 s0, s3, 25
	s_mov_b32 s10, -1
	s_mov_b32 s6, 0
	s_delay_alu instid0(VALU_DEP_1)
	s_and_b32 vcc_lo, exec_lo, s0
	s_mov_b32 s0, 0
	s_cbranch_vccz .LBB441_1666
; %bb.1629:
	v_cmp_gt_i16_e64 s0, s3, 28
	s_delay_alu instid0(VALU_DEP_1)
	s_and_b32 vcc_lo, exec_lo, s0
	s_cbranch_vccz .LBB441_1634
; %bb.1630:
	v_cmp_gt_i16_e64 s0, s3, 43
	s_delay_alu instid0(VALU_DEP_1)
	s_and_b32 vcc_lo, exec_lo, s0
	s_cbranch_vccz .LBB441_1635
; %bb.1631:
	v_cmp_gt_i16_e64 s0, s3, 45
	s_delay_alu instid0(VALU_DEP_1)
	s_and_b32 vcc_lo, exec_lo, s0
	s_cbranch_vccz .LBB441_1638
; %bb.1632:
	v_cmp_eq_u16_e64 s7, s3, 46
	s_mov_b32 s0, -1
	s_mov_b32 s10, 0
	s_delay_alu instid0(VALU_DEP_1)
	s_and_b32 vcc_lo, exec_lo, s7
	s_mov_b32 s7, 0
	s_cbranch_vccz .LBB441_1639
; %bb.1633:
	v_cvt_f32_i32_e32 v3, v4
	s_mov_b32 s0, 0
	s_mov_b32 s7, -1
	s_delay_alu instid0(VALU_DEP_1) | instskip(NEXT) | instid1(VALU_DEP_1)
	v_bfe_u32 v5, v3, 16, 1
	v_add3_u32 v3, v3, v5, 0x7fff
	s_delay_alu instid0(VALU_DEP_1)
	v_lshrrev_b32_e32 v3, 16, v3
	global_store_b32 v[6:7], v3, off
	s_branch .LBB441_1639
.LBB441_1634:
	s_mov_b32 s0, 0
	s_branch .LBB441_1649
.LBB441_1635:
	s_mov_b32 s0, 0
	s_branch .LBB441_1645
.LBB441_1636:
	s_cbranch_execnz .LBB441_1761
; %bb.1637:
	s_or_b32 s1, s1, exec_lo
                                        ; implicit-def: $vgpr8
	s_cbranch_execz .LBB441_1575
	s_branch .LBB441_1576
.LBB441_1638:
	s_mov_b32 s0, 0
.LBB441_1639:
	s_and_b32 vcc_lo, exec_lo, s10
	s_cbranch_vccz .LBB441_1644
; %bb.1640:
	v_cmp_eq_u16_e64 s0, s3, 44
	s_delay_alu instid0(VALU_DEP_1)
	s_and_b32 vcc_lo, exec_lo, s0
	s_mov_b32 s0, -1
	s_cbranch_vccz .LBB441_1644
; %bb.1641:
	v_cvt_f32_i32_e32 v3, v4
	v_mov_b32_e32 v5, 0xff
	s_mov_b32 s7, exec_lo
	s_delay_alu instid0(VALU_DEP_2) | instskip(NEXT) | instid1(VALU_DEP_1)
	v_bfe_u32 v9, v3, 23, 8
	v_cmpx_ne_u32_e32 0xff, v9
; %bb.1642:
	v_and_b32_e32 v5, 0x400000, v3
	v_and_or_b32 v9, 0x3fffff, v3, v9
	v_lshrrev_b32_e32 v3, 23, v3
	s_delay_alu instid0(VALU_DEP_3) | instskip(NEXT) | instid1(VALU_DEP_3)
	v_cmp_ne_u32_e32 vcc_lo, 0, v5
	v_cmp_ne_u32_e64 s0, 0, v9
	s_delay_alu instid0(VALU_DEP_1) | instskip(NEXT) | instid1(SALU_CYCLE_1)
	s_and_b32 s0, vcc_lo, s0
	v_cndmask_b32_e64 v5, 0, 1, s0
	s_delay_alu instid0(VALU_DEP_1)
	v_add_nc_u32_e32 v5, v3, v5
; %bb.1643:
	s_or_b32 exec_lo, exec_lo, s7
	s_mov_b32 s0, 0
	s_mov_b32 s7, -1
	global_store_b8 v[6:7], v5, off
.LBB441_1644:
	s_mov_b32 s10, 0
.LBB441_1645:
	s_delay_alu instid0(SALU_CYCLE_1)
	s_and_b32 vcc_lo, exec_lo, s10
	s_cbranch_vccz .LBB441_1648
; %bb.1646:
	v_cmp_eq_u16_e64 s0, s3, 29
	s_delay_alu instid0(VALU_DEP_1)
	s_and_b32 vcc_lo, exec_lo, s0
	s_mov_b32 s0, -1
	s_cbranch_vccz .LBB441_1648
; %bb.1647:
	v_ashrrev_i32_e32 v5, 31, v4
	s_mov_b32 s0, 0
	s_mov_b32 s7, -1
	s_mov_b32 s10, 0
	global_store_b64 v[6:7], v[4:5], off
	s_branch .LBB441_1649
.LBB441_1648:
	s_mov_b32 s10, 0
.LBB441_1649:
	s_delay_alu instid0(SALU_CYCLE_1)
	s_and_b32 vcc_lo, exec_lo, s10
	s_cbranch_vccz .LBB441_1665
; %bb.1650:
	v_cmp_lt_i16_e64 s7, s3, 27
	s_delay_alu instid0(VALU_DEP_1)
	s_and_b32 vcc_lo, exec_lo, s7
	s_mov_b32 s7, -1
	s_cbranch_vccnz .LBB441_1656
; %bb.1651:
	v_cmp_gt_i16_e64 s7, s3, 27
	s_delay_alu instid0(VALU_DEP_1)
	s_and_b32 vcc_lo, exec_lo, s7
	s_mov_b32 s7, -1
	s_cbranch_vccz .LBB441_1653
; %bb.1652:
	s_mov_b32 s7, 0
	global_store_b32 v[6:7], v4, off
.LBB441_1653:
	s_and_not1_b32 vcc_lo, exec_lo, s7
	s_cbranch_vccnz .LBB441_1655
; %bb.1654:
	global_store_b16 v[6:7], v4, off
.LBB441_1655:
	s_mov_b32 s7, 0
.LBB441_1656:
	s_delay_alu instid0(SALU_CYCLE_1)
	s_and_not1_b32 vcc_lo, exec_lo, s7
	s_cbranch_vccnz .LBB441_1664
; %bb.1657:
	v_cvt_f32_i32_e32 v3, v4
	v_mov_b32_e32 v9, 0x80
	s_mov_b32 s7, exec_lo
	s_delay_alu instid0(VALU_DEP_2) | instskip(NEXT) | instid1(VALU_DEP_1)
	v_and_b32_e32 v5, 0x7fffffff, v3
	v_cmpx_gt_u32_e32 0x43800000, v5
	s_cbranch_execz .LBB441_1663
; %bb.1658:
	v_cmp_lt_u32_e32 vcc_lo, 0x3bffffff, v5
	s_mov_b32 s10, 0
                                        ; implicit-def: $vgpr5
	s_and_saveexec_b32 s11, vcc_lo
	s_delay_alu instid0(SALU_CYCLE_1)
	s_xor_b32 s11, exec_lo, s11
	s_cbranch_execz .LBB441_1758
; %bb.1659:
	v_bfe_u32 v5, v3, 20, 1
	s_mov_b32 s10, exec_lo
	s_delay_alu instid0(VALU_DEP_1) | instskip(NEXT) | instid1(VALU_DEP_1)
	v_add3_u32 v5, v3, v5, 0x487ffff
	v_lshrrev_b32_e32 v5, 20, v5
	s_or_saveexec_b32 s11, s11
                                        ; implicit-def: $sgpr12
	s_delay_alu instid0(SALU_CYCLE_1)
	s_xor_b32 exec_lo, exec_lo, s11
	s_cbranch_execnz .LBB441_1759
.LBB441_1660:
	s_or_b32 exec_lo, exec_lo, s11
	v_mov_b32_e32 v9, s12
	s_and_saveexec_b32 s11, s10
.LBB441_1661:
	v_lshrrev_b32_e32 v3, 24, v3
	s_delay_alu instid0(VALU_DEP_1)
	v_and_or_b32 v9, 0x80, v3, v5
.LBB441_1662:
	s_or_b32 exec_lo, exec_lo, s11
.LBB441_1663:
	s_delay_alu instid0(SALU_CYCLE_1)
	s_or_b32 exec_lo, exec_lo, s7
	global_store_b8 v[6:7], v9, off
.LBB441_1664:
	s_mov_b32 s7, -1
.LBB441_1665:
	s_mov_b32 s10, 0
.LBB441_1666:
	s_delay_alu instid0(SALU_CYCLE_1)
	s_and_b32 vcc_lo, exec_lo, s10
	s_cbranch_vccz .LBB441_1706
; %bb.1667:
	v_cmp_gt_i16_e64 s6, s3, 22
	s_delay_alu instid0(VALU_DEP_1)
	s_and_b32 vcc_lo, exec_lo, s6
	s_mov_b32 s6, -1
	s_cbranch_vccz .LBB441_1699
; %bb.1668:
	v_cmp_lt_i16_e64 s6, s3, 24
	s_delay_alu instid0(VALU_DEP_1)
	s_and_b32 vcc_lo, exec_lo, s6
	s_mov_b32 s6, -1
	s_cbranch_vccnz .LBB441_1688
; %bb.1669:
	v_cmp_gt_i16_e64 s6, s3, 24
	s_delay_alu instid0(VALU_DEP_1)
	s_and_b32 vcc_lo, exec_lo, s6
	s_mov_b32 s6, -1
	s_cbranch_vccz .LBB441_1677
; %bb.1670:
	v_cvt_f32_i32_e32 v3, v4
	v_mov_b32_e32 v9, 0x80
	s_mov_b32 s6, exec_lo
	s_delay_alu instid0(VALU_DEP_2) | instskip(NEXT) | instid1(VALU_DEP_1)
	v_and_b32_e32 v5, 0x7fffffff, v3
	v_cmpx_gt_u32_e32 0x47800000, v5
	s_cbranch_execz .LBB441_1676
; %bb.1671:
	v_cmp_lt_u32_e32 vcc_lo, 0x37ffffff, v5
	s_mov_b32 s7, 0
                                        ; implicit-def: $vgpr5
	s_and_saveexec_b32 s10, vcc_lo
	s_delay_alu instid0(SALU_CYCLE_1)
	s_xor_b32 s10, exec_lo, s10
	s_cbranch_execz .LBB441_1765
; %bb.1672:
	v_bfe_u32 v5, v3, 21, 1
	s_mov_b32 s7, exec_lo
	s_delay_alu instid0(VALU_DEP_1) | instskip(NEXT) | instid1(VALU_DEP_1)
	v_add3_u32 v5, v3, v5, 0x88fffff
	v_lshrrev_b32_e32 v5, 21, v5
	s_or_saveexec_b32 s10, s10
                                        ; implicit-def: $sgpr11
	s_delay_alu instid0(SALU_CYCLE_1)
	s_xor_b32 exec_lo, exec_lo, s10
	s_cbranch_execnz .LBB441_1766
.LBB441_1673:
	s_or_b32 exec_lo, exec_lo, s10
	v_mov_b32_e32 v9, s11
	s_and_saveexec_b32 s10, s7
.LBB441_1674:
	v_lshrrev_b32_e32 v3, 24, v3
	s_delay_alu instid0(VALU_DEP_1)
	v_and_or_b32 v9, 0x80, v3, v5
.LBB441_1675:
	s_or_b32 exec_lo, exec_lo, s10
.LBB441_1676:
	s_delay_alu instid0(SALU_CYCLE_1)
	s_or_b32 exec_lo, exec_lo, s6
	s_mov_b32 s6, 0
	global_store_b8 v[6:7], v9, off
.LBB441_1677:
	s_and_b32 vcc_lo, exec_lo, s6
	s_cbranch_vccz .LBB441_1687
; %bb.1678:
	v_cvt_f32_i32_e32 v3, v4
	s_mov_b32 s6, exec_lo
                                        ; implicit-def: $vgpr5
	s_delay_alu instid0(VALU_DEP_1) | instskip(NEXT) | instid1(VALU_DEP_1)
	v_and_b32_e32 v9, 0x7fffffff, v3
	v_cmpx_gt_u32_e32 0x43f00000, v9
	s_xor_b32 s6, exec_lo, s6
	s_cbranch_execz .LBB441_1684
; %bb.1679:
	s_mov_b32 s7, exec_lo
                                        ; implicit-def: $vgpr5
	v_cmpx_lt_u32_e32 0x3c7fffff, v9
	s_xor_b32 s7, exec_lo, s7
; %bb.1680:
	v_bfe_u32 v5, v3, 20, 1
	s_delay_alu instid0(VALU_DEP_1) | instskip(NEXT) | instid1(VALU_DEP_1)
	v_add3_u32 v5, v3, v5, 0x407ffff
	v_and_b32_e32 v9, 0xff00000, v5
	v_lshrrev_b32_e32 v5, 20, v5
	s_delay_alu instid0(VALU_DEP_2) | instskip(NEXT) | instid1(VALU_DEP_2)
	v_cmp_ne_u32_e32 vcc_lo, 0x7f00000, v9
	v_cndmask_b32_e32 v5, 0x7e, v5, vcc_lo
; %bb.1681:
	s_and_not1_saveexec_b32 s7, s7
; %bb.1682:
	v_add_f32_e64 v5, 0x46800000, |v3|
; %bb.1683:
	s_or_b32 exec_lo, exec_lo, s7
                                        ; implicit-def: $vgpr9
.LBB441_1684:
	s_and_not1_saveexec_b32 s6, s6
; %bb.1685:
	v_mov_b32_e32 v5, 0x7f
	v_cmp_lt_u32_e32 vcc_lo, 0x7f800000, v9
	s_delay_alu instid0(VALU_DEP_2)
	v_cndmask_b32_e32 v5, 0x7e, v5, vcc_lo
; %bb.1686:
	s_or_b32 exec_lo, exec_lo, s6
	v_lshrrev_b32_e32 v3, 24, v3
	s_delay_alu instid0(VALU_DEP_1)
	v_and_or_b32 v3, 0x80, v3, v5
	global_store_b8 v[6:7], v3, off
.LBB441_1687:
	s_mov_b32 s6, 0
.LBB441_1688:
	s_delay_alu instid0(SALU_CYCLE_1)
	s_and_not1_b32 vcc_lo, exec_lo, s6
	s_cbranch_vccnz .LBB441_1698
; %bb.1689:
	v_cvt_f32_i32_e32 v3, v4
	s_mov_b32 s6, exec_lo
                                        ; implicit-def: $vgpr5
	s_delay_alu instid0(VALU_DEP_1) | instskip(NEXT) | instid1(VALU_DEP_1)
	v_and_b32_e32 v9, 0x7fffffff, v3
	v_cmpx_gt_u32_e32 0x47800000, v9
	s_xor_b32 s6, exec_lo, s6
	s_cbranch_execz .LBB441_1695
; %bb.1690:
	s_mov_b32 s7, exec_lo
                                        ; implicit-def: $vgpr5
	v_cmpx_lt_u32_e32 0x387fffff, v9
	s_xor_b32 s7, exec_lo, s7
; %bb.1691:
	v_bfe_u32 v5, v3, 21, 1
	s_delay_alu instid0(VALU_DEP_1) | instskip(NEXT) | instid1(VALU_DEP_1)
	v_add3_u32 v5, v3, v5, 0x80fffff
	v_lshrrev_b32_e32 v5, 21, v5
; %bb.1692:
	s_and_not1_saveexec_b32 s7, s7
; %bb.1693:
	v_add_f32_e64 v5, 0x43000000, |v3|
; %bb.1694:
	s_or_b32 exec_lo, exec_lo, s7
                                        ; implicit-def: $vgpr9
.LBB441_1695:
	s_and_not1_saveexec_b32 s6, s6
; %bb.1696:
	v_mov_b32_e32 v5, 0x7f
	v_cmp_lt_u32_e32 vcc_lo, 0x7f800000, v9
	s_delay_alu instid0(VALU_DEP_2)
	v_cndmask_b32_e32 v5, 0x7c, v5, vcc_lo
; %bb.1697:
	s_or_b32 exec_lo, exec_lo, s6
	v_lshrrev_b32_e32 v3, 24, v3
	s_delay_alu instid0(VALU_DEP_1)
	v_and_or_b32 v3, 0x80, v3, v5
	global_store_b8 v[6:7], v3, off
.LBB441_1698:
	s_mov_b32 s6, 0
	s_mov_b32 s7, -1
.LBB441_1699:
	s_and_not1_b32 vcc_lo, exec_lo, s6
	s_mov_b32 s6, 0
	s_cbranch_vccnz .LBB441_1706
; %bb.1700:
	v_cmp_gt_i16_e64 s6, s3, 14
	s_delay_alu instid0(VALU_DEP_1)
	s_and_b32 vcc_lo, exec_lo, s6
	s_mov_b32 s6, -1
	s_cbranch_vccz .LBB441_1704
; %bb.1701:
	v_cmp_eq_u16_e64 s0, s3, 15
	s_delay_alu instid0(VALU_DEP_1)
	s_and_b32 vcc_lo, exec_lo, s0
	s_mov_b32 s0, -1
	s_cbranch_vccz .LBB441_1703
; %bb.1702:
	v_cvt_f32_i32_e32 v3, v4
	s_mov_b32 s0, 0
	s_mov_b32 s7, -1
	s_delay_alu instid0(VALU_DEP_1) | instskip(NEXT) | instid1(VALU_DEP_1)
	v_bfe_u32 v5, v3, 16, 1
	v_add3_u32 v3, v3, v5, 0x7fff
	global_store_d16_hi_b16 v[6:7], v3, off
.LBB441_1703:
	s_mov_b32 s6, 0
.LBB441_1704:
	s_delay_alu instid0(SALU_CYCLE_1)
	s_and_b32 vcc_lo, exec_lo, s6
	s_mov_b32 s6, 0
	s_cbranch_vccz .LBB441_1706
; %bb.1705:
	v_cmp_ne_u16_e64 s0, s3, 11
	s_mov_b32 s6, -1
.LBB441_1706:
	s_delay_alu instid0(VALU_DEP_1)
	s_and_b32 vcc_lo, exec_lo, s0
	s_cbranch_vccnz .LBB441_1763
; %bb.1707:
	s_and_not1_b32 vcc_lo, exec_lo, s6
	s_cbranch_vccnz .LBB441_1709
.LBB441_1708:
	v_cmp_ne_u32_e32 vcc_lo, 0, v4
	s_mov_b32 s7, -1
	v_cndmask_b32_e64 v3, 0, 1, vcc_lo
	global_store_b8 v[6:7], v3, off
.LBB441_1709:
	s_mov_b32 s0, 0
.LBB441_1710:
	s_delay_alu instid0(SALU_CYCLE_1)
	s_and_b32 vcc_lo, exec_lo, s0
	s_cbranch_vccz .LBB441_1749
; %bb.1711:
	v_cmp_lt_i16_e64 s0, s3, 5
	s_delay_alu instid0(VALU_DEP_1)
	s_and_b32 vcc_lo, exec_lo, s0
	s_mov_b32 s0, -1
	s_cbranch_vccnz .LBB441_1732
; %bb.1712:
	v_cmp_lt_i16_e64 s0, s3, 8
	s_delay_alu instid0(VALU_DEP_1)
	s_and_b32 vcc_lo, exec_lo, s0
	s_mov_b32 s0, -1
	s_cbranch_vccnz .LBB441_1722
	;; [unrolled: 6-line block ×3, first 2 shown]
; %bb.1714:
	v_cmp_gt_i16_e64 s0, s3, 9
	s_delay_alu instid0(VALU_DEP_1)
	s_and_b32 vcc_lo, exec_lo, s0
	s_mov_b32 s0, -1
	s_cbranch_vccz .LBB441_1716
; %bb.1715:
	v_cvt_f64_i32_e32 v[12:13], v4
	v_mov_b32_e32 v14, 0
	s_mov_b32 s0, 0
	s_delay_alu instid0(VALU_DEP_1)
	v_mov_b32_e32 v15, v14
	global_store_b128 v[6:7], v[12:15], off
.LBB441_1716:
	s_and_not1_b32 vcc_lo, exec_lo, s0
	s_cbranch_vccnz .LBB441_1718
; %bb.1717:
	v_cvt_f32_i32_e32 v12, v4
	v_mov_b32_e32 v13, 0
	global_store_b64 v[6:7], v[12:13], off
.LBB441_1718:
	s_mov_b32 s0, 0
.LBB441_1719:
	s_delay_alu instid0(SALU_CYCLE_1)
	s_and_not1_b32 vcc_lo, exec_lo, s0
	s_cbranch_vccnz .LBB441_1721
; %bb.1720:
	v_cvt_f32_i32_e32 v3, v4
	s_delay_alu instid0(VALU_DEP_1) | instskip(NEXT) | instid1(VALU_DEP_1)
	v_cvt_f16_f32_e32 v3, v3
	v_and_b32_e32 v3, 0xffff, v3
	global_store_b32 v[6:7], v3, off
.LBB441_1721:
	s_mov_b32 s0, 0
.LBB441_1722:
	s_delay_alu instid0(SALU_CYCLE_1)
	s_and_not1_b32 vcc_lo, exec_lo, s0
	s_cbranch_vccnz .LBB441_1731
; %bb.1723:
	v_cmp_lt_i16_e64 s0, s3, 6
	s_delay_alu instid0(VALU_DEP_1)
	s_and_b32 vcc_lo, exec_lo, s0
	s_mov_b32 s0, -1
	s_cbranch_vccnz .LBB441_1729
; %bb.1724:
	v_cmp_gt_i16_e64 s0, s3, 6
	s_delay_alu instid0(VALU_DEP_1)
	s_and_b32 vcc_lo, exec_lo, s0
	s_mov_b32 s0, -1
	s_cbranch_vccz .LBB441_1726
; %bb.1725:
	v_cvt_f64_i32_e32 v[12:13], v4
	s_mov_b32 s0, 0
	global_store_b64 v[6:7], v[12:13], off
.LBB441_1726:
	s_and_not1_b32 vcc_lo, exec_lo, s0
	s_cbranch_vccnz .LBB441_1728
; %bb.1727:
	v_cvt_f32_i32_e32 v3, v4
	global_store_b32 v[6:7], v3, off
.LBB441_1728:
	s_mov_b32 s0, 0
.LBB441_1729:
	s_delay_alu instid0(SALU_CYCLE_1)
	s_and_not1_b32 vcc_lo, exec_lo, s0
	s_cbranch_vccnz .LBB441_1731
; %bb.1730:
	v_cvt_f32_i32_e32 v3, v4
	s_delay_alu instid0(VALU_DEP_1)
	v_cvt_f16_f32_e32 v3, v3
	global_store_b16 v[6:7], v3, off
.LBB441_1731:
	s_mov_b32 s0, 0
.LBB441_1732:
	s_delay_alu instid0(SALU_CYCLE_1)
	s_and_not1_b32 vcc_lo, exec_lo, s0
	s_cbranch_vccnz .LBB441_1748
; %bb.1733:
	v_cmp_lt_i16_e64 s0, s3, 2
	s_delay_alu instid0(VALU_DEP_1)
	s_and_b32 vcc_lo, exec_lo, s0
	s_mov_b32 s0, -1
	s_cbranch_vccnz .LBB441_1743
; %bb.1734:
	v_cmp_lt_i16_e64 s0, s3, 3
	s_delay_alu instid0(VALU_DEP_1)
	s_and_b32 vcc_lo, exec_lo, s0
	s_mov_b32 s0, -1
	s_cbranch_vccnz .LBB441_1740
; %bb.1735:
	v_cmp_gt_i16_e64 s0, s3, 3
	s_delay_alu instid0(VALU_DEP_1)
	s_and_b32 vcc_lo, exec_lo, s0
	s_mov_b32 s0, -1
	s_cbranch_vccz .LBB441_1737
; %bb.1736:
	v_ashrrev_i32_e32 v5, 31, v4
	s_mov_b32 s0, 0
	global_store_b64 v[6:7], v[4:5], off
.LBB441_1737:
	s_and_not1_b32 vcc_lo, exec_lo, s0
	s_cbranch_vccnz .LBB441_1739
; %bb.1738:
	global_store_b32 v[6:7], v4, off
.LBB441_1739:
	s_mov_b32 s0, 0
.LBB441_1740:
	s_delay_alu instid0(SALU_CYCLE_1)
	s_and_not1_b32 vcc_lo, exec_lo, s0
	s_cbranch_vccnz .LBB441_1742
; %bb.1741:
	global_store_b16 v[6:7], v4, off
.LBB441_1742:
	s_mov_b32 s0, 0
.LBB441_1743:
	s_delay_alu instid0(SALU_CYCLE_1)
	s_and_not1_b32 vcc_lo, exec_lo, s0
	s_cbranch_vccnz .LBB441_1748
; %bb.1744:
	v_cmp_gt_i16_e64 s0, s3, 0
	s_delay_alu instid0(VALU_DEP_1)
	s_and_b32 vcc_lo, exec_lo, s0
	s_mov_b32 s0, -1
	s_cbranch_vccz .LBB441_1746
; %bb.1745:
	s_mov_b32 s0, 0
	global_store_b8 v[6:7], v4, off
.LBB441_1746:
	s_and_not1_b32 vcc_lo, exec_lo, s0
	s_cbranch_vccnz .LBB441_1748
; %bb.1747:
	global_store_b8 v[6:7], v4, off
.LBB441_1748:
	s_mov_b32 s7, -1
.LBB441_1749:
	s_delay_alu instid0(SALU_CYCLE_1)
	s_and_not1_b32 vcc_lo, exec_lo, s7
	s_cbranch_vccnz .LBB441_2016
; %bb.1750:
	v_cmp_lt_i16_e64 s0, s3, 11
	v_add_co_u32 v5, s6, s4, v2
	s_waitcnt vmcnt(0)
	v_min_i32_e32 v3, s2, v11
	v_add_co_ci_u32_e64 v6, null, s5, 0, s6
	s_mov_b32 s7, 0
	s_and_b32 vcc_lo, exec_lo, s0
	s_mov_b32 s0, -1
	s_cbranch_vccnz .LBB441_1839
; %bb.1751:
	v_cmp_gt_i16_e64 s0, s3, 25
	s_mov_b32 s10, -1
	s_mov_b32 s6, 0
	s_delay_alu instid0(VALU_DEP_1)
	s_and_b32 vcc_lo, exec_lo, s0
	s_mov_b32 s0, 0
	s_cbranch_vccz .LBB441_1795
; %bb.1752:
	v_cmp_gt_i16_e64 s0, s3, 28
	s_delay_alu instid0(VALU_DEP_1)
	s_and_b32 vcc_lo, exec_lo, s0
	s_cbranch_vccz .LBB441_1757
; %bb.1753:
	v_cmp_gt_i16_e64 s0, s3, 43
	s_delay_alu instid0(VALU_DEP_1)
	s_and_b32 vcc_lo, exec_lo, s0
	;; [unrolled: 5-line block ×3, first 2 shown]
	s_cbranch_vccz .LBB441_1767
; %bb.1755:
	v_cmp_eq_u16_e64 s7, s3, 46
	s_mov_b32 s0, -1
	s_mov_b32 s10, 0
	s_delay_alu instid0(VALU_DEP_1)
	s_and_b32 vcc_lo, exec_lo, s7
	s_mov_b32 s7, 0
	s_cbranch_vccz .LBB441_1768
; %bb.1756:
	v_cvt_f32_i32_e32 v2, v3
	s_mov_b32 s0, 0
	s_mov_b32 s7, -1
	s_delay_alu instid0(VALU_DEP_1) | instskip(NEXT) | instid1(VALU_DEP_1)
	v_bfe_u32 v4, v2, 16, 1
	v_add3_u32 v2, v2, v4, 0x7fff
	s_delay_alu instid0(VALU_DEP_1)
	v_lshrrev_b32_e32 v2, 16, v2
	global_store_b32 v[5:6], v2, off
	s_branch .LBB441_1768
.LBB441_1757:
	s_mov_b32 s0, 0
	s_branch .LBB441_1778
.LBB441_1758:
	s_or_saveexec_b32 s11, s11
                                        ; implicit-def: $sgpr12
	s_delay_alu instid0(SALU_CYCLE_1)
	s_xor_b32 exec_lo, exec_lo, s11
	s_cbranch_execz .LBB441_1660
.LBB441_1759:
	v_add_f32_e64 v5, 0x46000000, |v3|
	s_and_not1_b32 s10, s10, exec_lo
	s_mov_b32 s12, 0
	s_delay_alu instid0(VALU_DEP_1) | instskip(NEXT) | instid1(VALU_DEP_1)
	v_and_b32_e32 v5, 0xff, v5
	v_cmp_ne_u32_e32 vcc_lo, 0, v5
	s_and_b32 s13, vcc_lo, exec_lo
	s_delay_alu instid0(SALU_CYCLE_1)
	s_or_b32 s10, s10, s13
	s_or_b32 exec_lo, exec_lo, s11
	v_mov_b32_e32 v9, s12
	s_and_saveexec_b32 s11, s10
	s_cbranch_execnz .LBB441_1661
	s_branch .LBB441_1662
.LBB441_1760:
	s_mov_b32 s0, 0
	s_branch .LBB441_1774
.LBB441_1761:
	s_trap 2
	s_sendmsg_rtn_b32 s0, sendmsg(MSG_RTN_GET_DOORBELL)
	s_mov_b32 ttmp2, m0
	s_waitcnt lgkmcnt(0)
	s_and_b32 s0, s0, 0x3ff
	s_delay_alu instid0(SALU_CYCLE_1) | instskip(NEXT) | instid1(SALU_CYCLE_1)
	s_bitset1_b32 s0, 10
	s_mov_b32 m0, s0
	s_sendmsg sendmsg(MSG_INTERRUPT)
	s_mov_b32 m0, ttmp2
.LBB441_1762:                           ; =>This Inner Loop Header: Depth=1
	s_sethalt 5
	s_branch .LBB441_1762
.LBB441_1763:
	s_cbranch_execnz .LBB441_1890
; %bb.1764:
	s_or_b32 s1, s1, exec_lo
	s_cbranch_execz .LBB441_1708
	s_branch .LBB441_1709
.LBB441_1765:
	s_or_saveexec_b32 s10, s10
                                        ; implicit-def: $sgpr11
	s_delay_alu instid0(SALU_CYCLE_1)
	s_xor_b32 exec_lo, exec_lo, s10
	s_cbranch_execz .LBB441_1673
.LBB441_1766:
	v_add_f32_e64 v5, 0x42800000, |v3|
	s_and_not1_b32 s7, s7, exec_lo
	s_mov_b32 s11, 0
	s_delay_alu instid0(VALU_DEP_1) | instskip(NEXT) | instid1(VALU_DEP_1)
	v_and_b32_e32 v5, 0xff, v5
	v_cmp_ne_u32_e32 vcc_lo, 0, v5
	s_and_b32 s12, vcc_lo, exec_lo
	s_delay_alu instid0(SALU_CYCLE_1)
	s_or_b32 s7, s7, s12
	s_or_b32 exec_lo, exec_lo, s10
	v_mov_b32_e32 v9, s11
	s_and_saveexec_b32 s10, s7
	s_cbranch_execnz .LBB441_1674
	s_branch .LBB441_1675
.LBB441_1767:
	s_mov_b32 s0, 0
.LBB441_1768:
	s_and_b32 vcc_lo, exec_lo, s10
	s_cbranch_vccz .LBB441_1773
; %bb.1769:
	v_cmp_eq_u16_e64 s0, s3, 44
	s_delay_alu instid0(VALU_DEP_1)
	s_and_b32 vcc_lo, exec_lo, s0
	s_mov_b32 s0, -1
	s_cbranch_vccz .LBB441_1773
; %bb.1770:
	v_cvt_f32_i32_e32 v2, v3
	v_mov_b32_e32 v4, 0xff
	s_mov_b32 s7, exec_lo
	s_delay_alu instid0(VALU_DEP_2) | instskip(NEXT) | instid1(VALU_DEP_1)
	v_bfe_u32 v7, v2, 23, 8
	v_cmpx_ne_u32_e32 0xff, v7
; %bb.1771:
	v_and_b32_e32 v4, 0x400000, v2
	v_and_or_b32 v7, 0x3fffff, v2, v7
	v_lshrrev_b32_e32 v2, 23, v2
	s_delay_alu instid0(VALU_DEP_3) | instskip(NEXT) | instid1(VALU_DEP_3)
	v_cmp_ne_u32_e32 vcc_lo, 0, v4
	v_cmp_ne_u32_e64 s0, 0, v7
	s_delay_alu instid0(VALU_DEP_1) | instskip(NEXT) | instid1(SALU_CYCLE_1)
	s_and_b32 s0, vcc_lo, s0
	v_cndmask_b32_e64 v4, 0, 1, s0
	s_delay_alu instid0(VALU_DEP_1)
	v_add_nc_u32_e32 v4, v2, v4
; %bb.1772:
	s_or_b32 exec_lo, exec_lo, s7
	s_mov_b32 s0, 0
	s_mov_b32 s7, -1
	global_store_b8 v[5:6], v4, off
.LBB441_1773:
	s_mov_b32 s10, 0
.LBB441_1774:
	s_delay_alu instid0(SALU_CYCLE_1)
	s_and_b32 vcc_lo, exec_lo, s10
	s_cbranch_vccz .LBB441_1777
; %bb.1775:
	v_cmp_eq_u16_e64 s0, s3, 29
	s_delay_alu instid0(VALU_DEP_1)
	s_and_b32 vcc_lo, exec_lo, s0
	s_mov_b32 s0, -1
	s_cbranch_vccz .LBB441_1777
; %bb.1776:
	v_ashrrev_i32_e32 v4, 31, v3
	s_mov_b32 s0, 0
	s_mov_b32 s7, -1
	s_mov_b32 s10, 0
	global_store_b64 v[5:6], v[3:4], off
	s_branch .LBB441_1778
.LBB441_1777:
	s_mov_b32 s10, 0
.LBB441_1778:
	s_delay_alu instid0(SALU_CYCLE_1)
	s_and_b32 vcc_lo, exec_lo, s10
	s_cbranch_vccz .LBB441_1794
; %bb.1779:
	v_cmp_lt_i16_e64 s7, s3, 27
	s_delay_alu instid0(VALU_DEP_1)
	s_and_b32 vcc_lo, exec_lo, s7
	s_mov_b32 s7, -1
	s_cbranch_vccnz .LBB441_1785
; %bb.1780:
	v_cmp_gt_i16_e64 s7, s3, 27
	s_delay_alu instid0(VALU_DEP_1)
	s_and_b32 vcc_lo, exec_lo, s7
	s_mov_b32 s7, -1
	s_cbranch_vccz .LBB441_1782
; %bb.1781:
	s_mov_b32 s7, 0
	global_store_b32 v[5:6], v3, off
.LBB441_1782:
	s_and_not1_b32 vcc_lo, exec_lo, s7
	s_cbranch_vccnz .LBB441_1784
; %bb.1783:
	global_store_b16 v[5:6], v3, off
.LBB441_1784:
	s_mov_b32 s7, 0
.LBB441_1785:
	s_delay_alu instid0(SALU_CYCLE_1)
	s_and_not1_b32 vcc_lo, exec_lo, s7
	s_cbranch_vccnz .LBB441_1793
; %bb.1786:
	v_cvt_f32_i32_e32 v2, v3
	v_mov_b32_e32 v7, 0x80
	s_mov_b32 s7, exec_lo
	s_delay_alu instid0(VALU_DEP_2) | instskip(NEXT) | instid1(VALU_DEP_1)
	v_and_b32_e32 v4, 0x7fffffff, v2
	v_cmpx_gt_u32_e32 0x43800000, v4
	s_cbranch_execz .LBB441_1792
; %bb.1787:
	v_cmp_lt_u32_e32 vcc_lo, 0x3bffffff, v4
	s_mov_b32 s10, 0
                                        ; implicit-def: $vgpr4
	s_and_saveexec_b32 s11, vcc_lo
	s_delay_alu instid0(SALU_CYCLE_1)
	s_xor_b32 s11, exec_lo, s11
	s_cbranch_execz .LBB441_1887
; %bb.1788:
	v_bfe_u32 v4, v2, 20, 1
	s_mov_b32 s10, exec_lo
	s_delay_alu instid0(VALU_DEP_1) | instskip(NEXT) | instid1(VALU_DEP_1)
	v_add3_u32 v4, v2, v4, 0x487ffff
	v_lshrrev_b32_e32 v4, 20, v4
	s_or_saveexec_b32 s11, s11
                                        ; implicit-def: $sgpr12
	s_delay_alu instid0(SALU_CYCLE_1)
	s_xor_b32 exec_lo, exec_lo, s11
	s_cbranch_execnz .LBB441_1888
.LBB441_1789:
	s_or_b32 exec_lo, exec_lo, s11
	v_mov_b32_e32 v7, s12
	s_and_saveexec_b32 s11, s10
.LBB441_1790:
	v_lshrrev_b32_e32 v2, 24, v2
	s_delay_alu instid0(VALU_DEP_1)
	v_and_or_b32 v7, 0x80, v2, v4
.LBB441_1791:
	s_or_b32 exec_lo, exec_lo, s11
.LBB441_1792:
	s_delay_alu instid0(SALU_CYCLE_1)
	s_or_b32 exec_lo, exec_lo, s7
	global_store_b8 v[5:6], v7, off
.LBB441_1793:
	s_mov_b32 s7, -1
.LBB441_1794:
	s_mov_b32 s10, 0
.LBB441_1795:
	s_delay_alu instid0(SALU_CYCLE_1)
	s_and_b32 vcc_lo, exec_lo, s10
	s_cbranch_vccz .LBB441_1835
; %bb.1796:
	v_cmp_gt_i16_e64 s6, s3, 22
	s_delay_alu instid0(VALU_DEP_1)
	s_and_b32 vcc_lo, exec_lo, s6
	s_mov_b32 s6, -1
	s_cbranch_vccz .LBB441_1828
; %bb.1797:
	v_cmp_lt_i16_e64 s6, s3, 24
	s_delay_alu instid0(VALU_DEP_1)
	s_and_b32 vcc_lo, exec_lo, s6
	s_mov_b32 s6, -1
	s_cbranch_vccnz .LBB441_1817
; %bb.1798:
	v_cmp_gt_i16_e64 s6, s3, 24
	s_delay_alu instid0(VALU_DEP_1)
	s_and_b32 vcc_lo, exec_lo, s6
	s_mov_b32 s6, -1
	s_cbranch_vccz .LBB441_1806
; %bb.1799:
	v_cvt_f32_i32_e32 v2, v3
	v_mov_b32_e32 v7, 0x80
	s_mov_b32 s6, exec_lo
	s_delay_alu instid0(VALU_DEP_2) | instskip(NEXT) | instid1(VALU_DEP_1)
	v_and_b32_e32 v4, 0x7fffffff, v2
	v_cmpx_gt_u32_e32 0x47800000, v4
	s_cbranch_execz .LBB441_1805
; %bb.1800:
	v_cmp_lt_u32_e32 vcc_lo, 0x37ffffff, v4
	s_mov_b32 s7, 0
                                        ; implicit-def: $vgpr4
	s_and_saveexec_b32 s10, vcc_lo
	s_delay_alu instid0(SALU_CYCLE_1)
	s_xor_b32 s10, exec_lo, s10
	s_cbranch_execz .LBB441_1894
; %bb.1801:
	v_bfe_u32 v4, v2, 21, 1
	s_mov_b32 s7, exec_lo
	s_delay_alu instid0(VALU_DEP_1) | instskip(NEXT) | instid1(VALU_DEP_1)
	v_add3_u32 v4, v2, v4, 0x88fffff
	v_lshrrev_b32_e32 v4, 21, v4
	s_or_saveexec_b32 s10, s10
                                        ; implicit-def: $sgpr11
	s_delay_alu instid0(SALU_CYCLE_1)
	s_xor_b32 exec_lo, exec_lo, s10
	s_cbranch_execnz .LBB441_1895
.LBB441_1802:
	s_or_b32 exec_lo, exec_lo, s10
	v_mov_b32_e32 v7, s11
	s_and_saveexec_b32 s10, s7
.LBB441_1803:
	v_lshrrev_b32_e32 v2, 24, v2
	s_delay_alu instid0(VALU_DEP_1)
	v_and_or_b32 v7, 0x80, v2, v4
.LBB441_1804:
	s_or_b32 exec_lo, exec_lo, s10
.LBB441_1805:
	s_delay_alu instid0(SALU_CYCLE_1)
	s_or_b32 exec_lo, exec_lo, s6
	s_mov_b32 s6, 0
	global_store_b8 v[5:6], v7, off
.LBB441_1806:
	s_and_b32 vcc_lo, exec_lo, s6
	s_cbranch_vccz .LBB441_1816
; %bb.1807:
	v_cvt_f32_i32_e32 v2, v3
	s_mov_b32 s6, exec_lo
                                        ; implicit-def: $vgpr4
	s_delay_alu instid0(VALU_DEP_1) | instskip(NEXT) | instid1(VALU_DEP_1)
	v_and_b32_e32 v7, 0x7fffffff, v2
	v_cmpx_gt_u32_e32 0x43f00000, v7
	s_xor_b32 s6, exec_lo, s6
	s_cbranch_execz .LBB441_1813
; %bb.1808:
	s_mov_b32 s7, exec_lo
                                        ; implicit-def: $vgpr4
	v_cmpx_lt_u32_e32 0x3c7fffff, v7
	s_xor_b32 s7, exec_lo, s7
; %bb.1809:
	v_bfe_u32 v4, v2, 20, 1
	s_delay_alu instid0(VALU_DEP_1) | instskip(NEXT) | instid1(VALU_DEP_1)
	v_add3_u32 v4, v2, v4, 0x407ffff
	v_and_b32_e32 v7, 0xff00000, v4
	v_lshrrev_b32_e32 v4, 20, v4
	s_delay_alu instid0(VALU_DEP_2) | instskip(NEXT) | instid1(VALU_DEP_2)
	v_cmp_ne_u32_e32 vcc_lo, 0x7f00000, v7
	v_cndmask_b32_e32 v4, 0x7e, v4, vcc_lo
; %bb.1810:
	s_and_not1_saveexec_b32 s7, s7
; %bb.1811:
	v_add_f32_e64 v4, 0x46800000, |v2|
; %bb.1812:
	s_or_b32 exec_lo, exec_lo, s7
                                        ; implicit-def: $vgpr7
.LBB441_1813:
	s_and_not1_saveexec_b32 s6, s6
; %bb.1814:
	v_mov_b32_e32 v4, 0x7f
	v_cmp_lt_u32_e32 vcc_lo, 0x7f800000, v7
	s_delay_alu instid0(VALU_DEP_2)
	v_cndmask_b32_e32 v4, 0x7e, v4, vcc_lo
; %bb.1815:
	s_or_b32 exec_lo, exec_lo, s6
	v_lshrrev_b32_e32 v2, 24, v2
	s_delay_alu instid0(VALU_DEP_1)
	v_and_or_b32 v2, 0x80, v2, v4
	global_store_b8 v[5:6], v2, off
.LBB441_1816:
	s_mov_b32 s6, 0
.LBB441_1817:
	s_delay_alu instid0(SALU_CYCLE_1)
	s_and_not1_b32 vcc_lo, exec_lo, s6
	s_cbranch_vccnz .LBB441_1827
; %bb.1818:
	v_cvt_f32_i32_e32 v2, v3
	s_mov_b32 s6, exec_lo
                                        ; implicit-def: $vgpr4
	s_delay_alu instid0(VALU_DEP_1) | instskip(NEXT) | instid1(VALU_DEP_1)
	v_and_b32_e32 v7, 0x7fffffff, v2
	v_cmpx_gt_u32_e32 0x47800000, v7
	s_xor_b32 s6, exec_lo, s6
	s_cbranch_execz .LBB441_1824
; %bb.1819:
	s_mov_b32 s7, exec_lo
                                        ; implicit-def: $vgpr4
	v_cmpx_lt_u32_e32 0x387fffff, v7
	s_xor_b32 s7, exec_lo, s7
; %bb.1820:
	v_bfe_u32 v4, v2, 21, 1
	s_delay_alu instid0(VALU_DEP_1) | instskip(NEXT) | instid1(VALU_DEP_1)
	v_add3_u32 v4, v2, v4, 0x80fffff
	v_lshrrev_b32_e32 v4, 21, v4
; %bb.1821:
	s_and_not1_saveexec_b32 s7, s7
; %bb.1822:
	v_add_f32_e64 v4, 0x43000000, |v2|
; %bb.1823:
	s_or_b32 exec_lo, exec_lo, s7
                                        ; implicit-def: $vgpr7
.LBB441_1824:
	s_and_not1_saveexec_b32 s6, s6
; %bb.1825:
	v_mov_b32_e32 v4, 0x7f
	v_cmp_lt_u32_e32 vcc_lo, 0x7f800000, v7
	s_delay_alu instid0(VALU_DEP_2)
	v_cndmask_b32_e32 v4, 0x7c, v4, vcc_lo
; %bb.1826:
	s_or_b32 exec_lo, exec_lo, s6
	v_lshrrev_b32_e32 v2, 24, v2
	s_delay_alu instid0(VALU_DEP_1)
	v_and_or_b32 v2, 0x80, v2, v4
	global_store_b8 v[5:6], v2, off
.LBB441_1827:
	s_mov_b32 s6, 0
	s_mov_b32 s7, -1
.LBB441_1828:
	s_and_not1_b32 vcc_lo, exec_lo, s6
	s_mov_b32 s6, 0
	s_cbranch_vccnz .LBB441_1835
; %bb.1829:
	v_cmp_gt_i16_e64 s6, s3, 14
	s_delay_alu instid0(VALU_DEP_1)
	s_and_b32 vcc_lo, exec_lo, s6
	s_mov_b32 s6, -1
	s_cbranch_vccz .LBB441_1833
; %bb.1830:
	v_cmp_eq_u16_e64 s0, s3, 15
	s_delay_alu instid0(VALU_DEP_1)
	s_and_b32 vcc_lo, exec_lo, s0
	s_mov_b32 s0, -1
	s_cbranch_vccz .LBB441_1832
; %bb.1831:
	v_cvt_f32_i32_e32 v2, v3
	s_mov_b32 s0, 0
	s_mov_b32 s7, -1
	s_delay_alu instid0(VALU_DEP_1) | instskip(NEXT) | instid1(VALU_DEP_1)
	v_bfe_u32 v4, v2, 16, 1
	v_add3_u32 v2, v2, v4, 0x7fff
	global_store_d16_hi_b16 v[5:6], v2, off
.LBB441_1832:
	s_mov_b32 s6, 0
.LBB441_1833:
	s_delay_alu instid0(SALU_CYCLE_1)
	s_and_b32 vcc_lo, exec_lo, s6
	s_mov_b32 s6, 0
	s_cbranch_vccz .LBB441_1835
; %bb.1834:
	v_cmp_ne_u16_e64 s0, s3, 11
	s_mov_b32 s6, -1
.LBB441_1835:
	s_delay_alu instid0(VALU_DEP_1)
	s_and_b32 vcc_lo, exec_lo, s0
	s_cbranch_vccnz .LBB441_1892
; %bb.1836:
	s_and_not1_b32 vcc_lo, exec_lo, s6
	s_cbranch_vccnz .LBB441_1838
.LBB441_1837:
	v_cmp_ne_u32_e32 vcc_lo, 0, v3
	s_mov_b32 s7, -1
	v_cndmask_b32_e64 v2, 0, 1, vcc_lo
	global_store_b8 v[5:6], v2, off
.LBB441_1838:
	s_mov_b32 s0, 0
.LBB441_1839:
	s_delay_alu instid0(SALU_CYCLE_1)
	s_and_b32 vcc_lo, exec_lo, s0
	s_cbranch_vccz .LBB441_1878
; %bb.1840:
	v_cmp_lt_i16_e64 s0, s3, 5
	s_delay_alu instid0(VALU_DEP_1)
	s_and_b32 vcc_lo, exec_lo, s0
	s_mov_b32 s0, -1
	s_cbranch_vccnz .LBB441_1861
; %bb.1841:
	v_cmp_lt_i16_e64 s0, s3, 8
	s_delay_alu instid0(VALU_DEP_1)
	s_and_b32 vcc_lo, exec_lo, s0
	s_mov_b32 s0, -1
	s_cbranch_vccnz .LBB441_1851
	;; [unrolled: 6-line block ×3, first 2 shown]
; %bb.1843:
	v_cmp_gt_i16_e64 s0, s3, 9
	s_delay_alu instid0(VALU_DEP_1)
	s_and_b32 vcc_lo, exec_lo, s0
	s_mov_b32 s0, -1
	s_cbranch_vccz .LBB441_1845
; %bb.1844:
	v_cvt_f64_i32_e32 v[11:12], v3
	v_mov_b32_e32 v13, 0
	s_mov_b32 s0, 0
	s_delay_alu instid0(VALU_DEP_1)
	v_mov_b32_e32 v14, v13
	global_store_b128 v[5:6], v[11:14], off
.LBB441_1845:
	s_and_not1_b32 vcc_lo, exec_lo, s0
	s_cbranch_vccnz .LBB441_1847
; %bb.1846:
	v_cvt_f32_i32_e32 v11, v3
	v_mov_b32_e32 v12, 0
	global_store_b64 v[5:6], v[11:12], off
.LBB441_1847:
	s_mov_b32 s0, 0
.LBB441_1848:
	s_delay_alu instid0(SALU_CYCLE_1)
	s_and_not1_b32 vcc_lo, exec_lo, s0
	s_cbranch_vccnz .LBB441_1850
; %bb.1849:
	v_cvt_f32_i32_e32 v2, v3
	s_delay_alu instid0(VALU_DEP_1) | instskip(NEXT) | instid1(VALU_DEP_1)
	v_cvt_f16_f32_e32 v2, v2
	v_and_b32_e32 v2, 0xffff, v2
	global_store_b32 v[5:6], v2, off
.LBB441_1850:
	s_mov_b32 s0, 0
.LBB441_1851:
	s_delay_alu instid0(SALU_CYCLE_1)
	s_and_not1_b32 vcc_lo, exec_lo, s0
	s_cbranch_vccnz .LBB441_1860
; %bb.1852:
	v_cmp_lt_i16_e64 s0, s3, 6
	s_delay_alu instid0(VALU_DEP_1)
	s_and_b32 vcc_lo, exec_lo, s0
	s_mov_b32 s0, -1
	s_cbranch_vccnz .LBB441_1858
; %bb.1853:
	v_cmp_gt_i16_e64 s0, s3, 6
	s_delay_alu instid0(VALU_DEP_1)
	s_and_b32 vcc_lo, exec_lo, s0
	s_mov_b32 s0, -1
	s_cbranch_vccz .LBB441_1855
; %bb.1854:
	v_cvt_f64_i32_e32 v[11:12], v3
	s_mov_b32 s0, 0
	global_store_b64 v[5:6], v[11:12], off
.LBB441_1855:
	s_and_not1_b32 vcc_lo, exec_lo, s0
	s_cbranch_vccnz .LBB441_1857
; %bb.1856:
	v_cvt_f32_i32_e32 v2, v3
	global_store_b32 v[5:6], v2, off
.LBB441_1857:
	s_mov_b32 s0, 0
.LBB441_1858:
	s_delay_alu instid0(SALU_CYCLE_1)
	s_and_not1_b32 vcc_lo, exec_lo, s0
	s_cbranch_vccnz .LBB441_1860
; %bb.1859:
	v_cvt_f32_i32_e32 v2, v3
	s_delay_alu instid0(VALU_DEP_1)
	v_cvt_f16_f32_e32 v2, v2
	global_store_b16 v[5:6], v2, off
.LBB441_1860:
	s_mov_b32 s0, 0
.LBB441_1861:
	s_delay_alu instid0(SALU_CYCLE_1)
	s_and_not1_b32 vcc_lo, exec_lo, s0
	s_cbranch_vccnz .LBB441_1877
; %bb.1862:
	v_cmp_lt_i16_e64 s0, s3, 2
	s_delay_alu instid0(VALU_DEP_1)
	s_and_b32 vcc_lo, exec_lo, s0
	s_mov_b32 s0, -1
	s_cbranch_vccnz .LBB441_1872
; %bb.1863:
	v_cmp_lt_i16_e64 s0, s3, 3
	s_delay_alu instid0(VALU_DEP_1)
	s_and_b32 vcc_lo, exec_lo, s0
	s_mov_b32 s0, -1
	s_cbranch_vccnz .LBB441_1869
; %bb.1864:
	v_cmp_gt_i16_e64 s0, s3, 3
	s_delay_alu instid0(VALU_DEP_1)
	s_and_b32 vcc_lo, exec_lo, s0
	s_mov_b32 s0, -1
	s_cbranch_vccz .LBB441_1866
; %bb.1865:
	v_ashrrev_i32_e32 v4, 31, v3
	s_mov_b32 s0, 0
	global_store_b64 v[5:6], v[3:4], off
.LBB441_1866:
	s_and_not1_b32 vcc_lo, exec_lo, s0
	s_cbranch_vccnz .LBB441_1868
; %bb.1867:
	global_store_b32 v[5:6], v3, off
.LBB441_1868:
	s_mov_b32 s0, 0
.LBB441_1869:
	s_delay_alu instid0(SALU_CYCLE_1)
	s_and_not1_b32 vcc_lo, exec_lo, s0
	s_cbranch_vccnz .LBB441_1871
; %bb.1870:
	global_store_b16 v[5:6], v3, off
.LBB441_1871:
	s_mov_b32 s0, 0
.LBB441_1872:
	s_delay_alu instid0(SALU_CYCLE_1)
	s_and_not1_b32 vcc_lo, exec_lo, s0
	s_cbranch_vccnz .LBB441_1877
; %bb.1873:
	v_cmp_gt_i16_e64 s0, s3, 0
	s_delay_alu instid0(VALU_DEP_1)
	s_and_b32 vcc_lo, exec_lo, s0
	s_mov_b32 s0, -1
	s_cbranch_vccz .LBB441_1875
; %bb.1874:
	s_mov_b32 s0, 0
	global_store_b8 v[5:6], v3, off
.LBB441_1875:
	s_and_not1_b32 vcc_lo, exec_lo, s0
	s_cbranch_vccnz .LBB441_1877
; %bb.1876:
	global_store_b8 v[5:6], v3, off
.LBB441_1877:
	s_mov_b32 s7, -1
.LBB441_1878:
	s_delay_alu instid0(SALU_CYCLE_1)
	s_and_not1_b32 vcc_lo, exec_lo, s7
	s_cbranch_vccnz .LBB441_2016
; %bb.1879:
	v_cmp_lt_i16_e64 s0, s3, 11
	v_add_co_u32 v4, s6, s4, v1
	v_min_i32_e32 v2, s2, v10
	v_add_co_ci_u32_e64 v5, null, s5, 0, s6
	s_mov_b32 s7, 0
	s_and_b32 vcc_lo, exec_lo, s0
	s_mov_b32 s0, -1
	s_cbranch_vccnz .LBB441_1968
; %bb.1880:
	v_cmp_gt_i16_e64 s0, s3, 25
	s_mov_b32 s10, -1
	s_mov_b32 s6, 0
	s_delay_alu instid0(VALU_DEP_1)
	s_and_b32 vcc_lo, exec_lo, s0
	s_mov_b32 s0, 0
	s_cbranch_vccz .LBB441_1924
; %bb.1881:
	v_cmp_gt_i16_e64 s0, s3, 28
	s_delay_alu instid0(VALU_DEP_1)
	s_and_b32 vcc_lo, exec_lo, s0
	s_cbranch_vccz .LBB441_1886
; %bb.1882:
	v_cmp_gt_i16_e64 s0, s3, 43
	s_delay_alu instid0(VALU_DEP_1)
	s_and_b32 vcc_lo, exec_lo, s0
	;; [unrolled: 5-line block ×3, first 2 shown]
	s_cbranch_vccz .LBB441_1896
; %bb.1884:
	v_cmp_eq_u16_e64 s7, s3, 46
	s_mov_b32 s0, -1
	s_mov_b32 s10, 0
	s_delay_alu instid0(VALU_DEP_1)
	s_and_b32 vcc_lo, exec_lo, s7
	s_mov_b32 s7, 0
	s_cbranch_vccz .LBB441_1897
; %bb.1885:
	v_cvt_f32_i32_e32 v1, v2
	s_mov_b32 s0, 0
	s_mov_b32 s7, -1
	s_delay_alu instid0(VALU_DEP_1) | instskip(NEXT) | instid1(VALU_DEP_1)
	v_bfe_u32 v3, v1, 16, 1
	v_add3_u32 v1, v1, v3, 0x7fff
	s_delay_alu instid0(VALU_DEP_1)
	v_lshrrev_b32_e32 v1, 16, v1
	global_store_b32 v[4:5], v1, off
	s_branch .LBB441_1897
.LBB441_1886:
	s_mov_b32 s0, 0
	s_branch .LBB441_1907
.LBB441_1887:
	s_or_saveexec_b32 s11, s11
                                        ; implicit-def: $sgpr12
	s_delay_alu instid0(SALU_CYCLE_1)
	s_xor_b32 exec_lo, exec_lo, s11
	s_cbranch_execz .LBB441_1789
.LBB441_1888:
	v_add_f32_e64 v4, 0x46000000, |v2|
	s_and_not1_b32 s10, s10, exec_lo
	s_mov_b32 s12, 0
	s_delay_alu instid0(VALU_DEP_1) | instskip(NEXT) | instid1(VALU_DEP_1)
	v_and_b32_e32 v4, 0xff, v4
	v_cmp_ne_u32_e32 vcc_lo, 0, v4
	s_and_b32 s13, vcc_lo, exec_lo
	s_delay_alu instid0(SALU_CYCLE_1)
	s_or_b32 s10, s10, s13
	s_or_b32 exec_lo, exec_lo, s11
	v_mov_b32_e32 v7, s12
	s_and_saveexec_b32 s11, s10
	s_cbranch_execnz .LBB441_1790
	s_branch .LBB441_1791
.LBB441_1889:
	s_mov_b32 s0, 0
	s_branch .LBB441_1903
.LBB441_1890:
	s_trap 2
	s_sendmsg_rtn_b32 s0, sendmsg(MSG_RTN_GET_DOORBELL)
	s_mov_b32 ttmp2, m0
	s_waitcnt lgkmcnt(0)
	s_and_b32 s0, s0, 0x3ff
	s_delay_alu instid0(SALU_CYCLE_1) | instskip(NEXT) | instid1(SALU_CYCLE_1)
	s_bitset1_b32 s0, 10
	s_mov_b32 m0, s0
	s_sendmsg sendmsg(MSG_INTERRUPT)
	s_mov_b32 m0, ttmp2
.LBB441_1891:                           ; =>This Inner Loop Header: Depth=1
	s_sethalt 5
	s_branch .LBB441_1891
.LBB441_1892:
	s_cbranch_execnz .LBB441_2065
; %bb.1893:
	s_or_b32 s1, s1, exec_lo
	s_cbranch_execz .LBB441_1837
	s_branch .LBB441_1838
.LBB441_1894:
	s_or_saveexec_b32 s10, s10
                                        ; implicit-def: $sgpr11
	s_delay_alu instid0(SALU_CYCLE_1)
	s_xor_b32 exec_lo, exec_lo, s10
	s_cbranch_execz .LBB441_1802
.LBB441_1895:
	v_add_f32_e64 v4, 0x42800000, |v2|
	s_and_not1_b32 s7, s7, exec_lo
	s_mov_b32 s11, 0
	s_delay_alu instid0(VALU_DEP_1) | instskip(NEXT) | instid1(VALU_DEP_1)
	v_and_b32_e32 v4, 0xff, v4
	v_cmp_ne_u32_e32 vcc_lo, 0, v4
	s_and_b32 s12, vcc_lo, exec_lo
	s_delay_alu instid0(SALU_CYCLE_1)
	s_or_b32 s7, s7, s12
	s_or_b32 exec_lo, exec_lo, s10
	v_mov_b32_e32 v7, s11
	s_and_saveexec_b32 s10, s7
	s_cbranch_execnz .LBB441_1803
	s_branch .LBB441_1804
.LBB441_1896:
	s_mov_b32 s0, 0
.LBB441_1897:
	s_and_b32 vcc_lo, exec_lo, s10
	s_cbranch_vccz .LBB441_1902
; %bb.1898:
	v_cmp_eq_u16_e64 s0, s3, 44
	s_delay_alu instid0(VALU_DEP_1)
	s_and_b32 vcc_lo, exec_lo, s0
	s_mov_b32 s0, -1
	s_cbranch_vccz .LBB441_1902
; %bb.1899:
	v_cvt_f32_i32_e32 v1, v2
	v_mov_b32_e32 v3, 0xff
	s_mov_b32 s7, exec_lo
	s_delay_alu instid0(VALU_DEP_2) | instskip(NEXT) | instid1(VALU_DEP_1)
	v_bfe_u32 v6, v1, 23, 8
	v_cmpx_ne_u32_e32 0xff, v6
; %bb.1900:
	v_and_b32_e32 v3, 0x400000, v1
	v_and_or_b32 v6, 0x3fffff, v1, v6
	v_lshrrev_b32_e32 v1, 23, v1
	s_delay_alu instid0(VALU_DEP_3) | instskip(NEXT) | instid1(VALU_DEP_3)
	v_cmp_ne_u32_e32 vcc_lo, 0, v3
	v_cmp_ne_u32_e64 s0, 0, v6
	s_delay_alu instid0(VALU_DEP_1) | instskip(NEXT) | instid1(SALU_CYCLE_1)
	s_and_b32 s0, vcc_lo, s0
	v_cndmask_b32_e64 v3, 0, 1, s0
	s_delay_alu instid0(VALU_DEP_1)
	v_add_nc_u32_e32 v3, v1, v3
; %bb.1901:
	s_or_b32 exec_lo, exec_lo, s7
	s_mov_b32 s0, 0
	s_mov_b32 s7, -1
	global_store_b8 v[4:5], v3, off
.LBB441_1902:
	s_mov_b32 s10, 0
.LBB441_1903:
	s_delay_alu instid0(SALU_CYCLE_1)
	s_and_b32 vcc_lo, exec_lo, s10
	s_cbranch_vccz .LBB441_1906
; %bb.1904:
	v_cmp_eq_u16_e64 s0, s3, 29
	s_delay_alu instid0(VALU_DEP_1)
	s_and_b32 vcc_lo, exec_lo, s0
	s_mov_b32 s0, -1
	s_cbranch_vccz .LBB441_1906
; %bb.1905:
	v_ashrrev_i32_e32 v3, 31, v2
	s_mov_b32 s0, 0
	s_mov_b32 s7, -1
	s_mov_b32 s10, 0
	global_store_b64 v[4:5], v[2:3], off
	s_branch .LBB441_1907
.LBB441_1906:
	s_mov_b32 s10, 0
.LBB441_1907:
	s_delay_alu instid0(SALU_CYCLE_1)
	s_and_b32 vcc_lo, exec_lo, s10
	s_cbranch_vccz .LBB441_1923
; %bb.1908:
	v_cmp_lt_i16_e64 s7, s3, 27
	s_delay_alu instid0(VALU_DEP_1)
	s_and_b32 vcc_lo, exec_lo, s7
	s_mov_b32 s7, -1
	s_cbranch_vccnz .LBB441_1914
; %bb.1909:
	v_cmp_gt_i16_e64 s7, s3, 27
	s_delay_alu instid0(VALU_DEP_1)
	s_and_b32 vcc_lo, exec_lo, s7
	s_mov_b32 s7, -1
	s_cbranch_vccz .LBB441_1911
; %bb.1910:
	s_mov_b32 s7, 0
	global_store_b32 v[4:5], v2, off
.LBB441_1911:
	s_and_not1_b32 vcc_lo, exec_lo, s7
	s_cbranch_vccnz .LBB441_1913
; %bb.1912:
	global_store_b16 v[4:5], v2, off
.LBB441_1913:
	s_mov_b32 s7, 0
.LBB441_1914:
	s_delay_alu instid0(SALU_CYCLE_1)
	s_and_not1_b32 vcc_lo, exec_lo, s7
	s_cbranch_vccnz .LBB441_1922
; %bb.1915:
	v_cvt_f32_i32_e32 v1, v2
	v_mov_b32_e32 v6, 0x80
	s_mov_b32 s7, exec_lo
	s_delay_alu instid0(VALU_DEP_2) | instskip(NEXT) | instid1(VALU_DEP_1)
	v_and_b32_e32 v3, 0x7fffffff, v1
	v_cmpx_gt_u32_e32 0x43800000, v3
	s_cbranch_execz .LBB441_1921
; %bb.1916:
	v_cmp_lt_u32_e32 vcc_lo, 0x3bffffff, v3
	s_mov_b32 s10, 0
                                        ; implicit-def: $vgpr3
	s_and_saveexec_b32 s11, vcc_lo
	s_delay_alu instid0(SALU_CYCLE_1)
	s_xor_b32 s11, exec_lo, s11
	s_cbranch_execz .LBB441_2062
; %bb.1917:
	v_bfe_u32 v3, v1, 20, 1
	s_mov_b32 s10, exec_lo
	s_delay_alu instid0(VALU_DEP_1) | instskip(NEXT) | instid1(VALU_DEP_1)
	v_add3_u32 v3, v1, v3, 0x487ffff
	v_lshrrev_b32_e32 v3, 20, v3
	s_or_saveexec_b32 s11, s11
                                        ; implicit-def: $sgpr12
	s_delay_alu instid0(SALU_CYCLE_1)
	s_xor_b32 exec_lo, exec_lo, s11
	s_cbranch_execnz .LBB441_2063
.LBB441_1918:
	s_or_b32 exec_lo, exec_lo, s11
	v_mov_b32_e32 v6, s12
	s_and_saveexec_b32 s11, s10
.LBB441_1919:
	v_lshrrev_b32_e32 v1, 24, v1
	s_delay_alu instid0(VALU_DEP_1)
	v_and_or_b32 v6, 0x80, v1, v3
.LBB441_1920:
	s_or_b32 exec_lo, exec_lo, s11
.LBB441_1921:
	s_delay_alu instid0(SALU_CYCLE_1)
	s_or_b32 exec_lo, exec_lo, s7
	global_store_b8 v[4:5], v6, off
.LBB441_1922:
	s_mov_b32 s7, -1
.LBB441_1923:
	s_mov_b32 s10, 0
.LBB441_1924:
	s_delay_alu instid0(SALU_CYCLE_1)
	s_and_b32 vcc_lo, exec_lo, s10
	s_cbranch_vccz .LBB441_1964
; %bb.1925:
	v_cmp_gt_i16_e64 s6, s3, 22
	s_delay_alu instid0(VALU_DEP_1)
	s_and_b32 vcc_lo, exec_lo, s6
	s_mov_b32 s6, -1
	s_cbranch_vccz .LBB441_1957
; %bb.1926:
	v_cmp_lt_i16_e64 s6, s3, 24
	s_delay_alu instid0(VALU_DEP_1)
	s_and_b32 vcc_lo, exec_lo, s6
	s_mov_b32 s6, -1
	s_cbranch_vccnz .LBB441_1946
; %bb.1927:
	v_cmp_gt_i16_e64 s6, s3, 24
	s_delay_alu instid0(VALU_DEP_1)
	s_and_b32 vcc_lo, exec_lo, s6
	s_mov_b32 s6, -1
	s_cbranch_vccz .LBB441_1935
; %bb.1928:
	v_cvt_f32_i32_e32 v1, v2
	v_mov_b32_e32 v6, 0x80
	s_mov_b32 s6, exec_lo
	s_delay_alu instid0(VALU_DEP_2) | instskip(NEXT) | instid1(VALU_DEP_1)
	v_and_b32_e32 v3, 0x7fffffff, v1
	v_cmpx_gt_u32_e32 0x47800000, v3
	s_cbranch_execz .LBB441_1934
; %bb.1929:
	v_cmp_lt_u32_e32 vcc_lo, 0x37ffffff, v3
	s_mov_b32 s7, 0
                                        ; implicit-def: $vgpr3
	s_and_saveexec_b32 s10, vcc_lo
	s_delay_alu instid0(SALU_CYCLE_1)
	s_xor_b32 s10, exec_lo, s10
	s_cbranch_execz .LBB441_2069
; %bb.1930:
	v_bfe_u32 v3, v1, 21, 1
	s_mov_b32 s7, exec_lo
	s_delay_alu instid0(VALU_DEP_1) | instskip(NEXT) | instid1(VALU_DEP_1)
	v_add3_u32 v3, v1, v3, 0x88fffff
	v_lshrrev_b32_e32 v3, 21, v3
	s_or_saveexec_b32 s10, s10
                                        ; implicit-def: $sgpr11
	s_delay_alu instid0(SALU_CYCLE_1)
	s_xor_b32 exec_lo, exec_lo, s10
	s_cbranch_execnz .LBB441_2070
.LBB441_1931:
	s_or_b32 exec_lo, exec_lo, s10
	v_mov_b32_e32 v6, s11
	s_and_saveexec_b32 s10, s7
.LBB441_1932:
	v_lshrrev_b32_e32 v1, 24, v1
	s_delay_alu instid0(VALU_DEP_1)
	v_and_or_b32 v6, 0x80, v1, v3
.LBB441_1933:
	s_or_b32 exec_lo, exec_lo, s10
.LBB441_1934:
	s_delay_alu instid0(SALU_CYCLE_1)
	s_or_b32 exec_lo, exec_lo, s6
	s_mov_b32 s6, 0
	global_store_b8 v[4:5], v6, off
.LBB441_1935:
	s_and_b32 vcc_lo, exec_lo, s6
	s_cbranch_vccz .LBB441_1945
; %bb.1936:
	v_cvt_f32_i32_e32 v1, v2
	s_mov_b32 s6, exec_lo
                                        ; implicit-def: $vgpr3
	s_delay_alu instid0(VALU_DEP_1) | instskip(NEXT) | instid1(VALU_DEP_1)
	v_and_b32_e32 v6, 0x7fffffff, v1
	v_cmpx_gt_u32_e32 0x43f00000, v6
	s_xor_b32 s6, exec_lo, s6
	s_cbranch_execz .LBB441_1942
; %bb.1937:
	s_mov_b32 s7, exec_lo
                                        ; implicit-def: $vgpr3
	v_cmpx_lt_u32_e32 0x3c7fffff, v6
	s_xor_b32 s7, exec_lo, s7
; %bb.1938:
	v_bfe_u32 v3, v1, 20, 1
	s_delay_alu instid0(VALU_DEP_1) | instskip(NEXT) | instid1(VALU_DEP_1)
	v_add3_u32 v3, v1, v3, 0x407ffff
	v_and_b32_e32 v6, 0xff00000, v3
	v_lshrrev_b32_e32 v3, 20, v3
	s_delay_alu instid0(VALU_DEP_2) | instskip(NEXT) | instid1(VALU_DEP_2)
	v_cmp_ne_u32_e32 vcc_lo, 0x7f00000, v6
	v_cndmask_b32_e32 v3, 0x7e, v3, vcc_lo
; %bb.1939:
	s_and_not1_saveexec_b32 s7, s7
; %bb.1940:
	v_add_f32_e64 v3, 0x46800000, |v1|
; %bb.1941:
	s_or_b32 exec_lo, exec_lo, s7
                                        ; implicit-def: $vgpr6
.LBB441_1942:
	s_and_not1_saveexec_b32 s6, s6
; %bb.1943:
	v_mov_b32_e32 v3, 0x7f
	v_cmp_lt_u32_e32 vcc_lo, 0x7f800000, v6
	s_delay_alu instid0(VALU_DEP_2)
	v_cndmask_b32_e32 v3, 0x7e, v3, vcc_lo
; %bb.1944:
	s_or_b32 exec_lo, exec_lo, s6
	v_lshrrev_b32_e32 v1, 24, v1
	s_delay_alu instid0(VALU_DEP_1)
	v_and_or_b32 v1, 0x80, v1, v3
	global_store_b8 v[4:5], v1, off
.LBB441_1945:
	s_mov_b32 s6, 0
.LBB441_1946:
	s_delay_alu instid0(SALU_CYCLE_1)
	s_and_not1_b32 vcc_lo, exec_lo, s6
	s_cbranch_vccnz .LBB441_1956
; %bb.1947:
	v_cvt_f32_i32_e32 v1, v2
	s_mov_b32 s6, exec_lo
                                        ; implicit-def: $vgpr3
	s_delay_alu instid0(VALU_DEP_1) | instskip(NEXT) | instid1(VALU_DEP_1)
	v_and_b32_e32 v6, 0x7fffffff, v1
	v_cmpx_gt_u32_e32 0x47800000, v6
	s_xor_b32 s6, exec_lo, s6
	s_cbranch_execz .LBB441_1953
; %bb.1948:
	s_mov_b32 s7, exec_lo
                                        ; implicit-def: $vgpr3
	v_cmpx_lt_u32_e32 0x387fffff, v6
	s_xor_b32 s7, exec_lo, s7
; %bb.1949:
	v_bfe_u32 v3, v1, 21, 1
	s_delay_alu instid0(VALU_DEP_1) | instskip(NEXT) | instid1(VALU_DEP_1)
	v_add3_u32 v3, v1, v3, 0x80fffff
	v_lshrrev_b32_e32 v3, 21, v3
; %bb.1950:
	s_and_not1_saveexec_b32 s7, s7
; %bb.1951:
	v_add_f32_e64 v3, 0x43000000, |v1|
; %bb.1952:
	s_or_b32 exec_lo, exec_lo, s7
                                        ; implicit-def: $vgpr6
.LBB441_1953:
	s_and_not1_saveexec_b32 s6, s6
; %bb.1954:
	v_mov_b32_e32 v3, 0x7f
	v_cmp_lt_u32_e32 vcc_lo, 0x7f800000, v6
	s_delay_alu instid0(VALU_DEP_2)
	v_cndmask_b32_e32 v3, 0x7c, v3, vcc_lo
; %bb.1955:
	s_or_b32 exec_lo, exec_lo, s6
	v_lshrrev_b32_e32 v1, 24, v1
	s_delay_alu instid0(VALU_DEP_1)
	v_and_or_b32 v1, 0x80, v1, v3
	global_store_b8 v[4:5], v1, off
.LBB441_1956:
	s_mov_b32 s6, 0
	s_mov_b32 s7, -1
.LBB441_1957:
	s_and_not1_b32 vcc_lo, exec_lo, s6
	s_mov_b32 s6, 0
	s_cbranch_vccnz .LBB441_1964
; %bb.1958:
	v_cmp_gt_i16_e64 s6, s3, 14
	s_delay_alu instid0(VALU_DEP_1)
	s_and_b32 vcc_lo, exec_lo, s6
	s_mov_b32 s6, -1
	s_cbranch_vccz .LBB441_1962
; %bb.1959:
	v_cmp_eq_u16_e64 s0, s3, 15
	s_delay_alu instid0(VALU_DEP_1)
	s_and_b32 vcc_lo, exec_lo, s0
	s_mov_b32 s0, -1
	s_cbranch_vccz .LBB441_1961
; %bb.1960:
	v_cvt_f32_i32_e32 v1, v2
	s_mov_b32 s0, 0
	s_mov_b32 s7, -1
	s_delay_alu instid0(VALU_DEP_1) | instskip(NEXT) | instid1(VALU_DEP_1)
	v_bfe_u32 v3, v1, 16, 1
	v_add3_u32 v1, v1, v3, 0x7fff
	global_store_d16_hi_b16 v[4:5], v1, off
.LBB441_1961:
	s_mov_b32 s6, 0
.LBB441_1962:
	s_delay_alu instid0(SALU_CYCLE_1)
	s_and_b32 vcc_lo, exec_lo, s6
	s_mov_b32 s6, 0
	s_cbranch_vccz .LBB441_1964
; %bb.1963:
	v_cmp_ne_u16_e64 s0, s3, 11
	s_mov_b32 s6, -1
.LBB441_1964:
	s_delay_alu instid0(VALU_DEP_1)
	s_and_b32 vcc_lo, exec_lo, s0
	s_cbranch_vccnz .LBB441_2067
; %bb.1965:
	s_and_not1_b32 vcc_lo, exec_lo, s6
	s_cbranch_vccnz .LBB441_1967
.LBB441_1966:
	v_cmp_ne_u32_e32 vcc_lo, 0, v2
	s_mov_b32 s7, -1
	v_cndmask_b32_e64 v1, 0, 1, vcc_lo
	global_store_b8 v[4:5], v1, off
.LBB441_1967:
	s_mov_b32 s0, 0
.LBB441_1968:
	s_delay_alu instid0(SALU_CYCLE_1)
	s_and_b32 vcc_lo, exec_lo, s0
	s_cbranch_vccz .LBB441_2007
; %bb.1969:
	v_cmp_lt_i16_e64 s0, s3, 5
	s_delay_alu instid0(VALU_DEP_1)
	s_and_b32 vcc_lo, exec_lo, s0
	s_mov_b32 s0, -1
	s_cbranch_vccnz .LBB441_1990
; %bb.1970:
	v_cmp_lt_i16_e64 s0, s3, 8
	s_delay_alu instid0(VALU_DEP_1)
	s_and_b32 vcc_lo, exec_lo, s0
	s_mov_b32 s0, -1
	s_cbranch_vccnz .LBB441_1980
	;; [unrolled: 6-line block ×3, first 2 shown]
; %bb.1972:
	v_cmp_gt_i16_e64 s0, s3, 9
	s_delay_alu instid0(VALU_DEP_1)
	s_and_b32 vcc_lo, exec_lo, s0
	s_mov_b32 s0, -1
	s_cbranch_vccz .LBB441_1974
; %bb.1973:
	v_cvt_f64_i32_e32 v[9:10], v2
	v_mov_b32_e32 v11, 0
	s_mov_b32 s0, 0
	s_delay_alu instid0(VALU_DEP_1)
	v_mov_b32_e32 v12, v11
	global_store_b128 v[4:5], v[9:12], off
.LBB441_1974:
	s_and_not1_b32 vcc_lo, exec_lo, s0
	s_cbranch_vccnz .LBB441_1976
; %bb.1975:
	v_cvt_f32_i32_e32 v6, v2
	v_mov_b32_e32 v7, 0
	global_store_b64 v[4:5], v[6:7], off
.LBB441_1976:
	s_mov_b32 s0, 0
.LBB441_1977:
	s_delay_alu instid0(SALU_CYCLE_1)
	s_and_not1_b32 vcc_lo, exec_lo, s0
	s_cbranch_vccnz .LBB441_1979
; %bb.1978:
	v_cvt_f32_i32_e32 v1, v2
	s_delay_alu instid0(VALU_DEP_1) | instskip(NEXT) | instid1(VALU_DEP_1)
	v_cvt_f16_f32_e32 v1, v1
	v_and_b32_e32 v1, 0xffff, v1
	global_store_b32 v[4:5], v1, off
.LBB441_1979:
	s_mov_b32 s0, 0
.LBB441_1980:
	s_delay_alu instid0(SALU_CYCLE_1)
	s_and_not1_b32 vcc_lo, exec_lo, s0
	s_cbranch_vccnz .LBB441_1989
; %bb.1981:
	v_cmp_lt_i16_e64 s0, s3, 6
	s_delay_alu instid0(VALU_DEP_1)
	s_and_b32 vcc_lo, exec_lo, s0
	s_mov_b32 s0, -1
	s_cbranch_vccnz .LBB441_1987
; %bb.1982:
	v_cmp_gt_i16_e64 s0, s3, 6
	s_delay_alu instid0(VALU_DEP_1)
	s_and_b32 vcc_lo, exec_lo, s0
	s_mov_b32 s0, -1
	s_cbranch_vccz .LBB441_1984
; %bb.1983:
	v_cvt_f64_i32_e32 v[6:7], v2
	s_mov_b32 s0, 0
	global_store_b64 v[4:5], v[6:7], off
.LBB441_1984:
	s_and_not1_b32 vcc_lo, exec_lo, s0
	s_cbranch_vccnz .LBB441_1986
; %bb.1985:
	v_cvt_f32_i32_e32 v1, v2
	global_store_b32 v[4:5], v1, off
.LBB441_1986:
	s_mov_b32 s0, 0
.LBB441_1987:
	s_delay_alu instid0(SALU_CYCLE_1)
	s_and_not1_b32 vcc_lo, exec_lo, s0
	s_cbranch_vccnz .LBB441_1989
; %bb.1988:
	v_cvt_f32_i32_e32 v1, v2
	s_delay_alu instid0(VALU_DEP_1)
	v_cvt_f16_f32_e32 v1, v1
	global_store_b16 v[4:5], v1, off
.LBB441_1989:
	s_mov_b32 s0, 0
.LBB441_1990:
	s_delay_alu instid0(SALU_CYCLE_1)
	s_and_not1_b32 vcc_lo, exec_lo, s0
	s_cbranch_vccnz .LBB441_2006
; %bb.1991:
	v_cmp_lt_i16_e64 s0, s3, 2
	s_delay_alu instid0(VALU_DEP_1)
	s_and_b32 vcc_lo, exec_lo, s0
	s_mov_b32 s0, -1
	s_cbranch_vccnz .LBB441_2001
; %bb.1992:
	v_cmp_lt_i16_e64 s0, s3, 3
	s_delay_alu instid0(VALU_DEP_1)
	s_and_b32 vcc_lo, exec_lo, s0
	s_mov_b32 s0, -1
	s_cbranch_vccnz .LBB441_1998
; %bb.1993:
	v_cmp_gt_i16_e64 s0, s3, 3
	s_delay_alu instid0(VALU_DEP_1)
	s_and_b32 vcc_lo, exec_lo, s0
	s_mov_b32 s0, -1
	s_cbranch_vccz .LBB441_1995
; %bb.1994:
	v_ashrrev_i32_e32 v3, 31, v2
	s_mov_b32 s0, 0
	global_store_b64 v[4:5], v[2:3], off
.LBB441_1995:
	s_and_not1_b32 vcc_lo, exec_lo, s0
	s_cbranch_vccnz .LBB441_1997
; %bb.1996:
	global_store_b32 v[4:5], v2, off
.LBB441_1997:
	s_mov_b32 s0, 0
.LBB441_1998:
	s_delay_alu instid0(SALU_CYCLE_1)
	s_and_not1_b32 vcc_lo, exec_lo, s0
	s_cbranch_vccnz .LBB441_2000
; %bb.1999:
	global_store_b16 v[4:5], v2, off
.LBB441_2000:
	s_mov_b32 s0, 0
.LBB441_2001:
	s_delay_alu instid0(SALU_CYCLE_1)
	s_and_not1_b32 vcc_lo, exec_lo, s0
	s_cbranch_vccnz .LBB441_2006
; %bb.2002:
	v_cmp_gt_i16_e64 s0, s3, 0
	s_delay_alu instid0(VALU_DEP_1)
	s_and_b32 vcc_lo, exec_lo, s0
	s_mov_b32 s0, -1
	s_cbranch_vccz .LBB441_2004
; %bb.2003:
	s_mov_b32 s0, 0
	global_store_b8 v[4:5], v2, off
.LBB441_2004:
	s_and_not1_b32 vcc_lo, exec_lo, s0
	s_cbranch_vccnz .LBB441_2006
; %bb.2005:
	global_store_b8 v[4:5], v2, off
.LBB441_2006:
	s_mov_b32 s7, -1
.LBB441_2007:
	s_delay_alu instid0(SALU_CYCLE_1)
	s_and_not1_b32 vcc_lo, exec_lo, s7
	s_cbranch_vccnz .LBB441_2016
; %bb.2008:
	v_cmp_lt_i16_e64 s0, s3, 11
	v_add_co_u32 v0, s4, s4, v0
	v_min_i32_e32 v2, s2, v8
	v_add_co_ci_u32_e64 v1, null, s5, 0, s4
	s_mov_b32 s2, 0
	s_and_b32 vcc_lo, exec_lo, s0
	s_mov_b32 s0, -1
	s_cbranch_vccnz .LBB441_2017
; %bb.2009:
	v_cmp_gt_i16_e64 s0, s3, 25
	s_mov_b32 s4, -1
	s_delay_alu instid0(VALU_DEP_1)
	s_and_b32 vcc_lo, exec_lo, s0
	s_mov_b32 s0, 0
	s_cbranch_vccz .LBB441_2098
; %bb.2010:
	v_cmp_gt_i16_e64 s0, s3, 28
	s_delay_alu instid0(VALU_DEP_1)
	s_and_b32 vcc_lo, exec_lo, s0
	s_cbranch_vccz .LBB441_2061
; %bb.2011:
	v_cmp_gt_i16_e64 s0, s3, 43
	s_delay_alu instid0(VALU_DEP_1)
	s_and_b32 vcc_lo, exec_lo, s0
	;; [unrolled: 5-line block ×3, first 2 shown]
	s_cbranch_vccz .LBB441_2071
; %bb.2013:
	v_cmp_eq_u16_e64 s0, s3, 46
	s_delay_alu instid0(VALU_DEP_1)
	s_and_b32 vcc_lo, exec_lo, s0
	s_mov_b32 s0, -1
	s_cbranch_vccz .LBB441_2015
; %bb.2014:
	v_cvt_f32_i32_e32 v3, v2
	s_mov_b32 s0, 0
	s_delay_alu instid0(VALU_DEP_1) | instskip(NEXT) | instid1(VALU_DEP_1)
	v_bfe_u32 v4, v3, 16, 1
	v_add3_u32 v3, v3, v4, 0x7fff
	s_delay_alu instid0(VALU_DEP_1)
	v_lshrrev_b32_e32 v3, 16, v3
	global_store_b32 v[0:1], v3, off
.LBB441_2015:
	s_mov_b32 s4, 0
	s_branch .LBB441_2072
.LBB441_2016:
	s_mov_b32 s0, 0
	s_mov_b32 s2, 0
                                        ; implicit-def: $vgpr0_vgpr1
                                        ; implicit-def: $sgpr3
                                        ; implicit-def: $vgpr2
.LBB441_2017:
	s_and_b32 s4, s0, exec_lo
	s_and_not1_b32 s0, s8, exec_lo
	s_and_b32 s1, s1, exec_lo
	s_and_b32 s28, s2, exec_lo
	s_or_b32 s8, s0, s1
.LBB441_2018:
	s_or_b32 exec_lo, exec_lo, s9
	s_and_saveexec_b32 s0, s8
	s_cbranch_execz .LBB441_2021
; %bb.2019:
	; divergent unreachable
	s_or_b32 exec_lo, exec_lo, s0
	s_and_saveexec_b32 s0, s28
	s_delay_alu instid0(SALU_CYCLE_1)
	s_xor_b32 s0, exec_lo, s0
	s_cbranch_execnz .LBB441_2022
.LBB441_2020:
	s_or_b32 exec_lo, exec_lo, s0
	s_and_saveexec_b32 s0, s4
	s_cbranch_execnz .LBB441_2023
	s_branch .LBB441_2060
.LBB441_2021:
	s_or_b32 exec_lo, exec_lo, s0
	s_and_saveexec_b32 s0, s28
	s_delay_alu instid0(SALU_CYCLE_1)
	s_xor_b32 s0, exec_lo, s0
	s_cbranch_execz .LBB441_2020
.LBB441_2022:
	v_cmp_ne_u32_e32 vcc_lo, 0, v2
	s_waitcnt vmcnt(0)
	v_cndmask_b32_e64 v3, 0, 1, vcc_lo
	global_store_b8 v[0:1], v3, off
	s_or_b32 exec_lo, exec_lo, s0
	s_and_saveexec_b32 s0, s4
	s_cbranch_execz .LBB441_2060
.LBB441_2023:
	v_cmp_lt_i16_e64 s0, s3, 5
	s_delay_alu instid0(VALU_DEP_1)
	s_and_b32 vcc_lo, exec_lo, s0
	s_mov_b32 s0, -1
	s_cbranch_vccnz .LBB441_2044
; %bb.2024:
	v_cmp_lt_i16_e64 s0, s3, 8
	s_delay_alu instid0(VALU_DEP_1)
	s_and_b32 vcc_lo, exec_lo, s0
	s_mov_b32 s0, -1
	s_cbranch_vccnz .LBB441_2034
; %bb.2025:
	;; [unrolled: 6-line block ×3, first 2 shown]
	v_cmp_gt_i16_e64 s0, s3, 9
	s_delay_alu instid0(VALU_DEP_1)
	s_and_b32 vcc_lo, exec_lo, s0
	s_mov_b32 s0, -1
	s_cbranch_vccz .LBB441_2028
; %bb.2027:
	s_waitcnt vmcnt(0)
	v_cvt_f64_i32_e32 v[3:4], v2
	v_mov_b32_e32 v5, 0
	s_mov_b32 s0, 0
	s_delay_alu instid0(VALU_DEP_1)
	v_mov_b32_e32 v6, v5
	global_store_b128 v[0:1], v[3:6], off
.LBB441_2028:
	s_and_not1_b32 vcc_lo, exec_lo, s0
	s_cbranch_vccnz .LBB441_2030
; %bb.2029:
	s_waitcnt vmcnt(0)
	v_cvt_f32_i32_e32 v3, v2
	v_mov_b32_e32 v4, 0
	global_store_b64 v[0:1], v[3:4], off
.LBB441_2030:
	s_mov_b32 s0, 0
.LBB441_2031:
	s_delay_alu instid0(SALU_CYCLE_1)
	s_and_not1_b32 vcc_lo, exec_lo, s0
	s_cbranch_vccnz .LBB441_2033
; %bb.2032:
	s_waitcnt vmcnt(0)
	v_cvt_f32_i32_e32 v3, v2
	s_delay_alu instid0(VALU_DEP_1) | instskip(NEXT) | instid1(VALU_DEP_1)
	v_cvt_f16_f32_e32 v3, v3
	v_and_b32_e32 v3, 0xffff, v3
	global_store_b32 v[0:1], v3, off
.LBB441_2033:
	s_mov_b32 s0, 0
.LBB441_2034:
	s_delay_alu instid0(SALU_CYCLE_1)
	s_and_not1_b32 vcc_lo, exec_lo, s0
	s_cbranch_vccnz .LBB441_2043
; %bb.2035:
	v_cmp_lt_i16_e64 s0, s3, 6
	s_delay_alu instid0(VALU_DEP_1)
	s_and_b32 vcc_lo, exec_lo, s0
	s_mov_b32 s0, -1
	s_cbranch_vccnz .LBB441_2041
; %bb.2036:
	v_cmp_gt_i16_e64 s0, s3, 6
	s_delay_alu instid0(VALU_DEP_1)
	s_and_b32 vcc_lo, exec_lo, s0
	s_mov_b32 s0, -1
	s_cbranch_vccz .LBB441_2038
; %bb.2037:
	s_waitcnt vmcnt(0)
	v_cvt_f64_i32_e32 v[3:4], v2
	s_mov_b32 s0, 0
	global_store_b64 v[0:1], v[3:4], off
.LBB441_2038:
	s_and_not1_b32 vcc_lo, exec_lo, s0
	s_cbranch_vccnz .LBB441_2040
; %bb.2039:
	s_waitcnt vmcnt(0)
	v_cvt_f32_i32_e32 v3, v2
	global_store_b32 v[0:1], v3, off
.LBB441_2040:
	s_mov_b32 s0, 0
.LBB441_2041:
	s_delay_alu instid0(SALU_CYCLE_1)
	s_and_not1_b32 vcc_lo, exec_lo, s0
	s_cbranch_vccnz .LBB441_2043
; %bb.2042:
	s_waitcnt vmcnt(0)
	v_cvt_f32_i32_e32 v3, v2
	s_delay_alu instid0(VALU_DEP_1)
	v_cvt_f16_f32_e32 v3, v3
	global_store_b16 v[0:1], v3, off
.LBB441_2043:
	s_mov_b32 s0, 0
.LBB441_2044:
	s_delay_alu instid0(SALU_CYCLE_1)
	s_and_not1_b32 vcc_lo, exec_lo, s0
	s_cbranch_vccnz .LBB441_2060
; %bb.2045:
	v_cmp_lt_i16_e64 s0, s3, 2
	s_delay_alu instid0(VALU_DEP_1)
	s_and_b32 vcc_lo, exec_lo, s0
	s_mov_b32 s0, -1
	s_cbranch_vccnz .LBB441_2055
; %bb.2046:
	v_cmp_lt_i16_e64 s0, s3, 3
	s_delay_alu instid0(VALU_DEP_1)
	s_and_b32 vcc_lo, exec_lo, s0
	s_mov_b32 s0, -1
	s_cbranch_vccnz .LBB441_2052
; %bb.2047:
	v_cmp_gt_i16_e64 s0, s3, 3
	s_delay_alu instid0(VALU_DEP_1)
	s_and_b32 vcc_lo, exec_lo, s0
	s_mov_b32 s0, -1
	s_cbranch_vccz .LBB441_2049
; %bb.2048:
	s_waitcnt vmcnt(0)
	v_ashrrev_i32_e32 v3, 31, v2
	s_mov_b32 s0, 0
	global_store_b64 v[0:1], v[2:3], off
.LBB441_2049:
	s_and_not1_b32 vcc_lo, exec_lo, s0
	s_cbranch_vccnz .LBB441_2051
; %bb.2050:
	global_store_b32 v[0:1], v2, off
.LBB441_2051:
	s_mov_b32 s0, 0
.LBB441_2052:
	s_delay_alu instid0(SALU_CYCLE_1)
	s_and_not1_b32 vcc_lo, exec_lo, s0
	s_cbranch_vccnz .LBB441_2054
; %bb.2053:
	global_store_b16 v[0:1], v2, off
.LBB441_2054:
	s_mov_b32 s0, 0
.LBB441_2055:
	s_delay_alu instid0(SALU_CYCLE_1)
	s_and_not1_b32 vcc_lo, exec_lo, s0
	s_cbranch_vccnz .LBB441_2060
; %bb.2056:
	v_cmp_gt_i16_e64 s0, s3, 0
	s_delay_alu instid0(VALU_DEP_1)
	s_and_b32 vcc_lo, exec_lo, s0
	s_mov_b32 s0, -1
	s_cbranch_vccz .LBB441_2058
; %bb.2057:
	s_mov_b32 s0, 0
	global_store_b8 v[0:1], v2, off
.LBB441_2058:
	s_and_not1_b32 vcc_lo, exec_lo, s0
	s_cbranch_vccnz .LBB441_2060
; %bb.2059:
	global_store_b8 v[0:1], v2, off
	s_nop 0
	s_sendmsg sendmsg(MSG_DEALLOC_VGPRS)
	s_endpgm
.LBB441_2060:
	s_nop 0
	s_sendmsg sendmsg(MSG_DEALLOC_VGPRS)
	s_endpgm
.LBB441_2061:
	s_mov_b32 s0, 0
	s_branch .LBB441_2082
.LBB441_2062:
	s_or_saveexec_b32 s11, s11
                                        ; implicit-def: $sgpr12
	s_delay_alu instid0(SALU_CYCLE_1)
	s_xor_b32 exec_lo, exec_lo, s11
	s_cbranch_execz .LBB441_1918
.LBB441_2063:
	v_add_f32_e64 v3, 0x46000000, |v1|
	s_and_not1_b32 s10, s10, exec_lo
	s_mov_b32 s12, 0
	s_delay_alu instid0(VALU_DEP_1) | instskip(NEXT) | instid1(VALU_DEP_1)
	v_and_b32_e32 v3, 0xff, v3
	v_cmp_ne_u32_e32 vcc_lo, 0, v3
	s_and_b32 s13, vcc_lo, exec_lo
	s_delay_alu instid0(SALU_CYCLE_1)
	s_or_b32 s10, s10, s13
	s_or_b32 exec_lo, exec_lo, s11
	v_mov_b32_e32 v6, s12
	s_and_saveexec_b32 s11, s10
	s_cbranch_execnz .LBB441_1919
	s_branch .LBB441_1920
.LBB441_2064:
	s_mov_b32 s0, 0
	s_branch .LBB441_2078
.LBB441_2065:
	s_trap 2
	s_sendmsg_rtn_b32 s0, sendmsg(MSG_RTN_GET_DOORBELL)
	s_mov_b32 ttmp2, m0
	s_waitcnt lgkmcnt(0)
	s_and_b32 s0, s0, 0x3ff
	s_delay_alu instid0(SALU_CYCLE_1) | instskip(NEXT) | instid1(SALU_CYCLE_1)
	s_bitset1_b32 s0, 10
	s_mov_b32 m0, s0
	s_sendmsg sendmsg(MSG_INTERRUPT)
	s_mov_b32 m0, ttmp2
.LBB441_2066:                           ; =>This Inner Loop Header: Depth=1
	s_sethalt 5
	s_branch .LBB441_2066
.LBB441_2067:
	s_cbranch_execnz .LBB441_2142
; %bb.2068:
	s_or_b32 s1, s1, exec_lo
	s_cbranch_execz .LBB441_1966
	s_branch .LBB441_1967
.LBB441_2069:
	s_or_saveexec_b32 s10, s10
                                        ; implicit-def: $sgpr11
	s_delay_alu instid0(SALU_CYCLE_1)
	s_xor_b32 exec_lo, exec_lo, s10
	s_cbranch_execz .LBB441_1931
.LBB441_2070:
	v_add_f32_e64 v3, 0x42800000, |v1|
	s_and_not1_b32 s7, s7, exec_lo
	s_mov_b32 s11, 0
	s_delay_alu instid0(VALU_DEP_1) | instskip(NEXT) | instid1(VALU_DEP_1)
	v_and_b32_e32 v3, 0xff, v3
	v_cmp_ne_u32_e32 vcc_lo, 0, v3
	s_and_b32 s12, vcc_lo, exec_lo
	s_delay_alu instid0(SALU_CYCLE_1)
	s_or_b32 s7, s7, s12
	s_or_b32 exec_lo, exec_lo, s10
	v_mov_b32_e32 v6, s11
	s_and_saveexec_b32 s10, s7
	s_cbranch_execnz .LBB441_1932
	s_branch .LBB441_1933
.LBB441_2071:
	s_mov_b32 s0, 0
.LBB441_2072:
	s_and_b32 vcc_lo, exec_lo, s4
	s_cbranch_vccz .LBB441_2077
; %bb.2073:
	v_cmp_eq_u16_e64 s0, s3, 44
	s_delay_alu instid0(VALU_DEP_1)
	s_and_b32 vcc_lo, exec_lo, s0
	s_mov_b32 s0, -1
	s_cbranch_vccz .LBB441_2077
; %bb.2074:
	v_cvt_f32_i32_e32 v3, v2
	v_mov_b32_e32 v4, 0xff
	s_mov_b32 s4, exec_lo
	s_delay_alu instid0(VALU_DEP_2) | instskip(NEXT) | instid1(VALU_DEP_1)
	v_bfe_u32 v5, v3, 23, 8
	v_cmpx_ne_u32_e32 0xff, v5
; %bb.2075:
	v_and_b32_e32 v4, 0x400000, v3
	v_and_or_b32 v5, 0x3fffff, v3, v5
	v_lshrrev_b32_e32 v3, 23, v3
	s_delay_alu instid0(VALU_DEP_3) | instskip(NEXT) | instid1(VALU_DEP_3)
	v_cmp_ne_u32_e32 vcc_lo, 0, v4
	v_cmp_ne_u32_e64 s0, 0, v5
	s_delay_alu instid0(VALU_DEP_1) | instskip(NEXT) | instid1(SALU_CYCLE_1)
	s_and_b32 s0, vcc_lo, s0
	v_cndmask_b32_e64 v4, 0, 1, s0
	s_delay_alu instid0(VALU_DEP_1)
	v_add_nc_u32_e32 v4, v3, v4
; %bb.2076:
	s_or_b32 exec_lo, exec_lo, s4
	s_mov_b32 s0, 0
	global_store_b8 v[0:1], v4, off
.LBB441_2077:
	s_mov_b32 s4, 0
.LBB441_2078:
	s_delay_alu instid0(SALU_CYCLE_1)
	s_and_b32 vcc_lo, exec_lo, s4
	s_cbranch_vccz .LBB441_2081
; %bb.2079:
	v_cmp_eq_u16_e64 s0, s3, 29
	s_delay_alu instid0(VALU_DEP_1)
	s_and_b32 vcc_lo, exec_lo, s0
	s_mov_b32 s0, -1
	s_cbranch_vccz .LBB441_2081
; %bb.2080:
	v_ashrrev_i32_e32 v3, 31, v2
	s_mov_b32 s0, 0
	global_store_b64 v[0:1], v[2:3], off
.LBB441_2081:
	s_mov_b32 s4, 0
.LBB441_2082:
	s_delay_alu instid0(SALU_CYCLE_1)
	s_and_b32 vcc_lo, exec_lo, s4
	s_cbranch_vccz .LBB441_2097
; %bb.2083:
	v_cmp_lt_i16_e64 s4, s3, 27
	s_delay_alu instid0(VALU_DEP_1)
	s_and_b32 vcc_lo, exec_lo, s4
	s_mov_b32 s4, -1
	s_cbranch_vccnz .LBB441_2089
; %bb.2084:
	v_cmp_gt_i16_e64 s4, s3, 27
	s_delay_alu instid0(VALU_DEP_1)
	s_and_b32 vcc_lo, exec_lo, s4
	s_mov_b32 s4, -1
	s_cbranch_vccz .LBB441_2086
; %bb.2085:
	s_mov_b32 s4, 0
	global_store_b32 v[0:1], v2, off
.LBB441_2086:
	s_and_not1_b32 vcc_lo, exec_lo, s4
	s_cbranch_vccnz .LBB441_2088
; %bb.2087:
	global_store_b16 v[0:1], v2, off
.LBB441_2088:
	s_mov_b32 s4, 0
.LBB441_2089:
	s_delay_alu instid0(SALU_CYCLE_1)
	s_and_not1_b32 vcc_lo, exec_lo, s4
	s_cbranch_vccnz .LBB441_2097
; %bb.2090:
	v_cvt_f32_i32_e32 v3, v2
	v_mov_b32_e32 v5, 0x80
	s_mov_b32 s4, exec_lo
	s_delay_alu instid0(VALU_DEP_2) | instskip(NEXT) | instid1(VALU_DEP_1)
	v_and_b32_e32 v4, 0x7fffffff, v3
	v_cmpx_gt_u32_e32 0x43800000, v4
	s_cbranch_execz .LBB441_2096
; %bb.2091:
	v_cmp_lt_u32_e32 vcc_lo, 0x3bffffff, v4
	s_mov_b32 s5, 0
                                        ; implicit-def: $vgpr4
	s_and_saveexec_b32 s6, vcc_lo
	s_delay_alu instid0(SALU_CYCLE_1)
	s_xor_b32 s6, exec_lo, s6
	s_cbranch_execz .LBB441_2140
; %bb.2092:
	v_bfe_u32 v4, v3, 20, 1
	s_mov_b32 s5, exec_lo
	s_delay_alu instid0(VALU_DEP_1) | instskip(NEXT) | instid1(VALU_DEP_1)
	v_add3_u32 v4, v3, v4, 0x487ffff
	v_lshrrev_b32_e32 v4, 20, v4
	s_or_saveexec_b32 s6, s6
                                        ; implicit-def: $sgpr7
	s_delay_alu instid0(SALU_CYCLE_1)
	s_xor_b32 exec_lo, exec_lo, s6
	s_cbranch_execnz .LBB441_2141
.LBB441_2093:
	s_or_b32 exec_lo, exec_lo, s6
	v_mov_b32_e32 v5, s7
	s_and_saveexec_b32 s6, s5
.LBB441_2094:
	v_lshrrev_b32_e32 v3, 24, v3
	s_delay_alu instid0(VALU_DEP_1)
	v_and_or_b32 v5, 0x80, v3, v4
.LBB441_2095:
	s_or_b32 exec_lo, exec_lo, s6
.LBB441_2096:
	s_delay_alu instid0(SALU_CYCLE_1)
	s_or_b32 exec_lo, exec_lo, s4
	global_store_b8 v[0:1], v5, off
.LBB441_2097:
	s_mov_b32 s4, 0
.LBB441_2098:
	s_delay_alu instid0(SALU_CYCLE_1)
	s_and_b32 vcc_lo, exec_lo, s4
	s_cbranch_vccz .LBB441_2138
; %bb.2099:
	v_cmp_gt_i16_e64 s2, s3, 22
	s_delay_alu instid0(VALU_DEP_1)
	s_and_b32 vcc_lo, exec_lo, s2
	s_mov_b32 s2, -1
	s_cbranch_vccz .LBB441_2131
; %bb.2100:
	v_cmp_lt_i16_e64 s2, s3, 24
	s_delay_alu instid0(VALU_DEP_1)
	s_and_b32 vcc_lo, exec_lo, s2
	s_mov_b32 s2, -1
	s_cbranch_vccnz .LBB441_2120
; %bb.2101:
	v_cmp_gt_i16_e64 s2, s3, 24
	s_delay_alu instid0(VALU_DEP_1)
	s_and_b32 vcc_lo, exec_lo, s2
	s_mov_b32 s2, -1
	s_cbranch_vccz .LBB441_2109
; %bb.2102:
	v_cvt_f32_i32_e32 v3, v2
	v_mov_b32_e32 v5, 0x80
	s_mov_b32 s2, exec_lo
	s_delay_alu instid0(VALU_DEP_2) | instskip(NEXT) | instid1(VALU_DEP_1)
	v_and_b32_e32 v4, 0x7fffffff, v3
	v_cmpx_gt_u32_e32 0x47800000, v4
	s_cbranch_execz .LBB441_2108
; %bb.2103:
	v_cmp_lt_u32_e32 vcc_lo, 0x37ffffff, v4
	s_mov_b32 s4, 0
                                        ; implicit-def: $vgpr4
	s_and_saveexec_b32 s5, vcc_lo
	s_delay_alu instid0(SALU_CYCLE_1)
	s_xor_b32 s5, exec_lo, s5
	s_cbranch_execz .LBB441_2146
; %bb.2104:
	v_bfe_u32 v4, v3, 21, 1
	s_mov_b32 s4, exec_lo
	s_delay_alu instid0(VALU_DEP_1) | instskip(NEXT) | instid1(VALU_DEP_1)
	v_add3_u32 v4, v3, v4, 0x88fffff
	v_lshrrev_b32_e32 v4, 21, v4
	s_or_saveexec_b32 s5, s5
                                        ; implicit-def: $sgpr6
	s_delay_alu instid0(SALU_CYCLE_1)
	s_xor_b32 exec_lo, exec_lo, s5
	s_cbranch_execnz .LBB441_2147
.LBB441_2105:
	s_or_b32 exec_lo, exec_lo, s5
	v_mov_b32_e32 v5, s6
	s_and_saveexec_b32 s5, s4
.LBB441_2106:
	v_lshrrev_b32_e32 v3, 24, v3
	s_delay_alu instid0(VALU_DEP_1)
	v_and_or_b32 v5, 0x80, v3, v4
.LBB441_2107:
	s_or_b32 exec_lo, exec_lo, s5
.LBB441_2108:
	s_delay_alu instid0(SALU_CYCLE_1)
	s_or_b32 exec_lo, exec_lo, s2
	s_mov_b32 s2, 0
	global_store_b8 v[0:1], v5, off
.LBB441_2109:
	s_and_b32 vcc_lo, exec_lo, s2
	s_cbranch_vccz .LBB441_2119
; %bb.2110:
	v_cvt_f32_i32_e32 v3, v2
	s_mov_b32 s2, exec_lo
                                        ; implicit-def: $vgpr4
	s_delay_alu instid0(VALU_DEP_1) | instskip(NEXT) | instid1(VALU_DEP_1)
	v_and_b32_e32 v5, 0x7fffffff, v3
	v_cmpx_gt_u32_e32 0x43f00000, v5
	s_xor_b32 s2, exec_lo, s2
	s_cbranch_execz .LBB441_2116
; %bb.2111:
	s_mov_b32 s4, exec_lo
                                        ; implicit-def: $vgpr4
	v_cmpx_lt_u32_e32 0x3c7fffff, v5
	s_xor_b32 s4, exec_lo, s4
; %bb.2112:
	v_bfe_u32 v4, v3, 20, 1
	s_delay_alu instid0(VALU_DEP_1) | instskip(NEXT) | instid1(VALU_DEP_1)
	v_add3_u32 v4, v3, v4, 0x407ffff
	v_and_b32_e32 v5, 0xff00000, v4
	v_lshrrev_b32_e32 v4, 20, v4
	s_delay_alu instid0(VALU_DEP_2) | instskip(NEXT) | instid1(VALU_DEP_2)
	v_cmp_ne_u32_e32 vcc_lo, 0x7f00000, v5
	v_cndmask_b32_e32 v4, 0x7e, v4, vcc_lo
; %bb.2113:
	s_and_not1_saveexec_b32 s4, s4
; %bb.2114:
	v_add_f32_e64 v4, 0x46800000, |v3|
; %bb.2115:
	s_or_b32 exec_lo, exec_lo, s4
                                        ; implicit-def: $vgpr5
.LBB441_2116:
	s_and_not1_saveexec_b32 s2, s2
; %bb.2117:
	v_mov_b32_e32 v4, 0x7f
	v_cmp_lt_u32_e32 vcc_lo, 0x7f800000, v5
	s_delay_alu instid0(VALU_DEP_2)
	v_cndmask_b32_e32 v4, 0x7e, v4, vcc_lo
; %bb.2118:
	s_or_b32 exec_lo, exec_lo, s2
	v_lshrrev_b32_e32 v3, 24, v3
	s_delay_alu instid0(VALU_DEP_1)
	v_and_or_b32 v3, 0x80, v3, v4
	global_store_b8 v[0:1], v3, off
.LBB441_2119:
	s_mov_b32 s2, 0
.LBB441_2120:
	s_delay_alu instid0(SALU_CYCLE_1)
	s_and_not1_b32 vcc_lo, exec_lo, s2
	s_cbranch_vccnz .LBB441_2130
; %bb.2121:
	v_cvt_f32_i32_e32 v3, v2
	s_mov_b32 s2, exec_lo
                                        ; implicit-def: $vgpr4
	s_delay_alu instid0(VALU_DEP_1) | instskip(NEXT) | instid1(VALU_DEP_1)
	v_and_b32_e32 v5, 0x7fffffff, v3
	v_cmpx_gt_u32_e32 0x47800000, v5
	s_xor_b32 s2, exec_lo, s2
	s_cbranch_execz .LBB441_2127
; %bb.2122:
	s_mov_b32 s4, exec_lo
                                        ; implicit-def: $vgpr4
	v_cmpx_lt_u32_e32 0x387fffff, v5
	s_xor_b32 s4, exec_lo, s4
; %bb.2123:
	v_bfe_u32 v4, v3, 21, 1
	s_delay_alu instid0(VALU_DEP_1) | instskip(NEXT) | instid1(VALU_DEP_1)
	v_add3_u32 v4, v3, v4, 0x80fffff
	v_lshrrev_b32_e32 v4, 21, v4
; %bb.2124:
	s_and_not1_saveexec_b32 s4, s4
; %bb.2125:
	v_add_f32_e64 v4, 0x43000000, |v3|
; %bb.2126:
	s_or_b32 exec_lo, exec_lo, s4
                                        ; implicit-def: $vgpr5
.LBB441_2127:
	s_and_not1_saveexec_b32 s2, s2
; %bb.2128:
	v_mov_b32_e32 v4, 0x7f
	v_cmp_lt_u32_e32 vcc_lo, 0x7f800000, v5
	s_delay_alu instid0(VALU_DEP_2)
	v_cndmask_b32_e32 v4, 0x7c, v4, vcc_lo
; %bb.2129:
	s_or_b32 exec_lo, exec_lo, s2
	v_lshrrev_b32_e32 v3, 24, v3
	s_delay_alu instid0(VALU_DEP_1)
	v_and_or_b32 v3, 0x80, v3, v4
	global_store_b8 v[0:1], v3, off
.LBB441_2130:
	s_mov_b32 s2, 0
.LBB441_2131:
	s_delay_alu instid0(SALU_CYCLE_1)
	s_and_not1_b32 vcc_lo, exec_lo, s2
	s_mov_b32 s2, 0
	s_cbranch_vccnz .LBB441_2138
; %bb.2132:
	v_cmp_gt_i16_e64 s2, s3, 14
	s_delay_alu instid0(VALU_DEP_1)
	s_and_b32 vcc_lo, exec_lo, s2
	s_mov_b32 s2, -1
	s_cbranch_vccz .LBB441_2136
; %bb.2133:
	v_cmp_eq_u16_e64 s0, s3, 15
	s_delay_alu instid0(VALU_DEP_1)
	s_and_b32 vcc_lo, exec_lo, s0
	s_mov_b32 s0, -1
	s_cbranch_vccz .LBB441_2135
; %bb.2134:
	v_cvt_f32_i32_e32 v3, v2
	s_mov_b32 s0, 0
	s_delay_alu instid0(VALU_DEP_1) | instskip(NEXT) | instid1(VALU_DEP_1)
	v_bfe_u32 v4, v3, 16, 1
	v_add3_u32 v3, v3, v4, 0x7fff
	global_store_d16_hi_b16 v[0:1], v3, off
.LBB441_2135:
	s_mov_b32 s2, 0
.LBB441_2136:
	s_delay_alu instid0(SALU_CYCLE_1)
	s_and_b32 vcc_lo, exec_lo, s2
	s_mov_b32 s2, 0
	s_cbranch_vccz .LBB441_2138
; %bb.2137:
	v_cmp_ne_u16_e64 s0, s3, 11
	s_mov_b32 s2, -1
.LBB441_2138:
	s_delay_alu instid0(VALU_DEP_1)
	s_and_b32 vcc_lo, exec_lo, s0
	s_cbranch_vccnz .LBB441_2144
.LBB441_2139:
	s_mov_b32 s0, 0
	s_branch .LBB441_2017
.LBB441_2140:
	s_or_saveexec_b32 s6, s6
                                        ; implicit-def: $sgpr7
	s_delay_alu instid0(SALU_CYCLE_1)
	s_xor_b32 exec_lo, exec_lo, s6
	s_cbranch_execz .LBB441_2093
.LBB441_2141:
	v_add_f32_e64 v4, 0x46000000, |v3|
	s_and_not1_b32 s5, s5, exec_lo
	s_mov_b32 s7, 0
	s_delay_alu instid0(VALU_DEP_1) | instskip(NEXT) | instid1(VALU_DEP_1)
	v_and_b32_e32 v4, 0xff, v4
	v_cmp_ne_u32_e32 vcc_lo, 0, v4
	s_and_b32 s10, vcc_lo, exec_lo
	s_delay_alu instid0(SALU_CYCLE_1)
	s_or_b32 s5, s5, s10
	s_or_b32 exec_lo, exec_lo, s6
	v_mov_b32_e32 v5, s7
	s_and_saveexec_b32 s6, s5
	s_cbranch_execnz .LBB441_2094
	s_branch .LBB441_2095
.LBB441_2142:
	s_trap 2
	s_sendmsg_rtn_b32 s0, sendmsg(MSG_RTN_GET_DOORBELL)
	s_mov_b32 ttmp2, m0
	s_waitcnt lgkmcnt(0)
	s_and_b32 s0, s0, 0x3ff
	s_delay_alu instid0(SALU_CYCLE_1) | instskip(NEXT) | instid1(SALU_CYCLE_1)
	s_bitset1_b32 s0, 10
	s_mov_b32 m0, s0
	s_sendmsg sendmsg(MSG_INTERRUPT)
	s_mov_b32 m0, ttmp2
.LBB441_2143:                           ; =>This Inner Loop Header: Depth=1
	s_sethalt 5
	s_branch .LBB441_2143
.LBB441_2144:
	s_cbranch_execnz .LBB441_2148
; %bb.2145:
	s_mov_b32 s2, 0
	s_or_b32 s1, s1, exec_lo
	s_branch .LBB441_2139
.LBB441_2146:
	s_or_saveexec_b32 s5, s5
                                        ; implicit-def: $sgpr6
	s_delay_alu instid0(SALU_CYCLE_1)
	s_xor_b32 exec_lo, exec_lo, s5
	s_cbranch_execz .LBB441_2105
.LBB441_2147:
	v_add_f32_e64 v4, 0x42800000, |v3|
	s_and_not1_b32 s4, s4, exec_lo
	s_mov_b32 s6, 0
	s_delay_alu instid0(VALU_DEP_1) | instskip(NEXT) | instid1(VALU_DEP_1)
	v_and_b32_e32 v4, 0xff, v4
	v_cmp_ne_u32_e32 vcc_lo, 0, v4
	s_and_b32 s7, vcc_lo, exec_lo
	s_delay_alu instid0(SALU_CYCLE_1)
	s_or_b32 s4, s4, s7
	s_or_b32 exec_lo, exec_lo, s5
	v_mov_b32_e32 v5, s6
	s_and_saveexec_b32 s5, s4
	s_cbranch_execnz .LBB441_2106
	s_branch .LBB441_2107
.LBB441_2148:
	s_trap 2
	s_sendmsg_rtn_b32 s0, sendmsg(MSG_RTN_GET_DOORBELL)
	s_mov_b32 ttmp2, m0
	s_waitcnt lgkmcnt(0)
	s_and_b32 s0, s0, 0x3ff
	s_delay_alu instid0(SALU_CYCLE_1) | instskip(NEXT) | instid1(SALU_CYCLE_1)
	s_bitset1_b32 s0, 10
	s_mov_b32 m0, s0
	s_sendmsg sendmsg(MSG_INTERRUPT)
	s_mov_b32 m0, ttmp2
.LBB441_2149:                           ; =>This Inner Loop Header: Depth=1
	s_sethalt 5
	s_branch .LBB441_2149
	.section	.rodata,"a",@progbits
	.p2align	6, 0x0
	.amdhsa_kernel _ZN2at6native32elementwise_kernel_manual_unrollILi128ELi4EZNS0_15gpu_kernel_implIZZZNS0_21clamp_max_kernel_cudaERNS_18TensorIteratorBaseERKN3c106ScalarEENKUlvE_clEvENKUlvE1_clEvEUliE_EEvS4_RKT_EUlibE0_EEviT1_
		.amdhsa_group_segment_fixed_size 0
		.amdhsa_private_segment_fixed_size 0
		.amdhsa_kernarg_size 360
		.amdhsa_user_sgpr_count 15
		.amdhsa_user_sgpr_dispatch_ptr 0
		.amdhsa_user_sgpr_queue_ptr 0
		.amdhsa_user_sgpr_kernarg_segment_ptr 1
		.amdhsa_user_sgpr_dispatch_id 0
		.amdhsa_user_sgpr_private_segment_size 0
		.amdhsa_wavefront_size32 1
		.amdhsa_uses_dynamic_stack 0
		.amdhsa_enable_private_segment 0
		.amdhsa_system_sgpr_workgroup_id_x 1
		.amdhsa_system_sgpr_workgroup_id_y 0
		.amdhsa_system_sgpr_workgroup_id_z 0
		.amdhsa_system_sgpr_workgroup_info 0
		.amdhsa_system_vgpr_workitem_id 0
		.amdhsa_next_free_vgpr 18
		.amdhsa_next_free_sgpr 68
		.amdhsa_reserve_vcc 1
		.amdhsa_float_round_mode_32 0
		.amdhsa_float_round_mode_16_64 0
		.amdhsa_float_denorm_mode_32 3
		.amdhsa_float_denorm_mode_16_64 3
		.amdhsa_dx10_clamp 1
		.amdhsa_ieee_mode 1
		.amdhsa_fp16_overflow 0
		.amdhsa_workgroup_processor_mode 1
		.amdhsa_memory_ordered 1
		.amdhsa_forward_progress 0
		.amdhsa_shared_vgpr_count 0
		.amdhsa_exception_fp_ieee_invalid_op 0
		.amdhsa_exception_fp_denorm_src 0
		.amdhsa_exception_fp_ieee_div_zero 0
		.amdhsa_exception_fp_ieee_overflow 0
		.amdhsa_exception_fp_ieee_underflow 0
		.amdhsa_exception_fp_ieee_inexact 0
		.amdhsa_exception_int_div_zero 0
	.end_amdhsa_kernel
	.section	.text._ZN2at6native32elementwise_kernel_manual_unrollILi128ELi4EZNS0_15gpu_kernel_implIZZZNS0_21clamp_max_kernel_cudaERNS_18TensorIteratorBaseERKN3c106ScalarEENKUlvE_clEvENKUlvE1_clEvEUliE_EEvS4_RKT_EUlibE0_EEviT1_,"axG",@progbits,_ZN2at6native32elementwise_kernel_manual_unrollILi128ELi4EZNS0_15gpu_kernel_implIZZZNS0_21clamp_max_kernel_cudaERNS_18TensorIteratorBaseERKN3c106ScalarEENKUlvE_clEvENKUlvE1_clEvEUliE_EEvS4_RKT_EUlibE0_EEviT1_,comdat
.Lfunc_end441:
	.size	_ZN2at6native32elementwise_kernel_manual_unrollILi128ELi4EZNS0_15gpu_kernel_implIZZZNS0_21clamp_max_kernel_cudaERNS_18TensorIteratorBaseERKN3c106ScalarEENKUlvE_clEvENKUlvE1_clEvEUliE_EEvS4_RKT_EUlibE0_EEviT1_, .Lfunc_end441-_ZN2at6native32elementwise_kernel_manual_unrollILi128ELi4EZNS0_15gpu_kernel_implIZZZNS0_21clamp_max_kernel_cudaERNS_18TensorIteratorBaseERKN3c106ScalarEENKUlvE_clEvENKUlvE1_clEvEUliE_EEvS4_RKT_EUlibE0_EEviT1_
                                        ; -- End function
	.section	.AMDGPU.csdata,"",@progbits
; Kernel info:
; codeLenInByte = 39960
; NumSgprs: 70
; NumVgprs: 18
; ScratchSize: 0
; MemoryBound: 1
; FloatMode: 240
; IeeeMode: 1
; LDSByteSize: 0 bytes/workgroup (compile time only)
; SGPRBlocks: 8
; VGPRBlocks: 2
; NumSGPRsForWavesPerEU: 70
; NumVGPRsForWavesPerEU: 18
; Occupancy: 16
; WaveLimiterHint : 1
; COMPUTE_PGM_RSRC2:SCRATCH_EN: 0
; COMPUTE_PGM_RSRC2:USER_SGPR: 15
; COMPUTE_PGM_RSRC2:TRAP_HANDLER: 0
; COMPUTE_PGM_RSRC2:TGID_X_EN: 1
; COMPUTE_PGM_RSRC2:TGID_Y_EN: 0
; COMPUTE_PGM_RSRC2:TGID_Z_EN: 0
; COMPUTE_PGM_RSRC2:TIDIG_COMP_CNT: 0
	.section	.text._ZN2at6native29vectorized_elementwise_kernelILi16EZZZNS0_21clamp_max_kernel_cudaERNS_18TensorIteratorBaseERKN3c106ScalarEENKUlvE_clEvENKUlvE2_clEvEUllE_St5arrayIPcLm2EEEEviT0_T1_,"axG",@progbits,_ZN2at6native29vectorized_elementwise_kernelILi16EZZZNS0_21clamp_max_kernel_cudaERNS_18TensorIteratorBaseERKN3c106ScalarEENKUlvE_clEvENKUlvE2_clEvEUllE_St5arrayIPcLm2EEEEviT0_T1_,comdat
	.globl	_ZN2at6native29vectorized_elementwise_kernelILi16EZZZNS0_21clamp_max_kernel_cudaERNS_18TensorIteratorBaseERKN3c106ScalarEENKUlvE_clEvENKUlvE2_clEvEUllE_St5arrayIPcLm2EEEEviT0_T1_ ; -- Begin function _ZN2at6native29vectorized_elementwise_kernelILi16EZZZNS0_21clamp_max_kernel_cudaERNS_18TensorIteratorBaseERKN3c106ScalarEENKUlvE_clEvENKUlvE2_clEvEUllE_St5arrayIPcLm2EEEEviT0_T1_
	.p2align	8
	.type	_ZN2at6native29vectorized_elementwise_kernelILi16EZZZNS0_21clamp_max_kernel_cudaERNS_18TensorIteratorBaseERKN3c106ScalarEENKUlvE_clEvENKUlvE2_clEvEUllE_St5arrayIPcLm2EEEEviT0_T1_,@function
_ZN2at6native29vectorized_elementwise_kernelILi16EZZZNS0_21clamp_max_kernel_cudaERNS_18TensorIteratorBaseERKN3c106ScalarEENKUlvE_clEvENKUlvE2_clEvEUllE_St5arrayIPcLm2EEEEviT0_T1_: ; @_ZN2at6native29vectorized_elementwise_kernelILi16EZZZNS0_21clamp_max_kernel_cudaERNS_18TensorIteratorBaseERKN3c106ScalarEENKUlvE_clEvENKUlvE2_clEvEUllE_St5arrayIPcLm2EEEEviT0_T1_
; %bb.0:
	s_clause 0x2
	s_load_b32 s2, s[0:1], 0x0
	s_load_b128 s[4:7], s[0:1], 0x8
	s_load_b64 s[10:11], s[0:1], 0x18
	s_lshl_b32 s8, s15, 10
	s_mov_b32 s0, -1
	s_waitcnt lgkmcnt(0)
	s_sub_i32 s12, s2, s8
	s_delay_alu instid0(SALU_CYCLE_1)
	s_cmpk_gt_i32 s12, 0x3ff
	s_cbranch_scc0 .LBB442_2
; %bb.1:
	s_ashr_i32 s9, s8, 31
	v_lshlrev_b32_e32 v9, 5, v0
	s_lshl_b64 s[14:15], s[8:9], 3
	s_delay_alu instid0(SALU_CYCLE_1)
	s_add_u32 s0, s10, s14
	s_addc_u32 s1, s11, s15
	s_clause 0x1
	global_load_b128 v[1:4], v9, s[0:1]
	global_load_b128 v[5:8], v9, s[0:1] offset:16
	s_waitcnt vmcnt(1)
	v_cmp_gt_i64_e32 vcc_lo, s[4:5], v[1:2]
	v_cmp_gt_i64_e64 s0, s[4:5], v[3:4]
	s_waitcnt vmcnt(0)
	v_cmp_gt_i64_e64 s1, s[4:5], v[5:6]
	v_cmp_gt_i64_e64 s2, s[4:5], v[7:8]
	v_cndmask_b32_e32 v2, s5, v2, vcc_lo
	s_delay_alu instid0(VALU_DEP_4)
	v_cndmask_b32_e64 v4, s5, v4, s0
	v_cndmask_b32_e32 v1, s4, v1, vcc_lo
	v_cndmask_b32_e64 v3, s4, v3, s0
	v_cndmask_b32_e64 v6, s5, v6, s1
	;; [unrolled: 1-line block ×5, first 2 shown]
	s_add_u32 s2, s6, s14
	s_addc_u32 s3, s7, s15
	s_mov_b32 s0, 0
	s_clause 0x1
	global_store_b128 v9, v[1:4], s[2:3]
	global_store_b128 v9, v[5:8], s[2:3] offset:16
.LBB442_2:
	s_and_not1_b32 vcc_lo, exec_lo, s0
	s_cbranch_vccnz .LBB442_16
; %bb.3:
	v_dual_mov_b32 v3, 0 :: v_dual_mov_b32 v2, v0
	v_mov_b32_e32 v4, 0
	v_cmp_gt_i32_e32 vcc_lo, s12, v0
	v_or_b32_e32 v1, s8, v0
	v_or_b32_e32 v15, 0x100, v0
	s_delay_alu instid0(VALU_DEP_4)
	v_dual_mov_b32 v6, v4 :: v_dual_mov_b32 v5, v3
	s_and_saveexec_b32 s1, vcc_lo
	s_cbranch_execz .LBB442_5
; %bb.4:
	v_mov_b32_e32 v2, 0
	s_delay_alu instid0(VALU_DEP_1) | instskip(SKIP_1) | instid1(VALU_DEP_2)
	v_lshlrev_b64 v[5:6], 3, v[1:2]
	v_or_b32_e32 v2, 0x100, v0
	v_add_co_u32 v5, s0, s10, v5
	s_delay_alu instid0(VALU_DEP_1)
	v_add_co_ci_u32_e64 v6, s0, s11, v6, s0
	global_load_b64 v[5:6], v[5:6], off
.LBB442_5:
	s_or_b32 exec_lo, exec_lo, s1
	s_delay_alu instid0(SALU_CYCLE_1)
	s_mov_b32 s1, exec_lo
	v_cmpx_gt_i32_e64 s12, v2
	s_cbranch_execz .LBB442_7
; %bb.6:
	v_dual_mov_b32 v4, 0 :: v_dual_add_nc_u32 v3, s8, v2
	v_add_nc_u32_e32 v2, 0x100, v2
	s_delay_alu instid0(VALU_DEP_2) | instskip(NEXT) | instid1(VALU_DEP_1)
	v_lshlrev_b64 v[3:4], 3, v[3:4]
	v_add_co_u32 v3, s0, s10, v3
	s_delay_alu instid0(VALU_DEP_1)
	v_add_co_ci_u32_e64 v4, s0, s11, v4, s0
	global_load_b64 v[3:4], v[3:4], off
.LBB442_7:
	s_or_b32 exec_lo, exec_lo, s1
	v_mov_b32_e32 v7, 0
	v_mov_b32_e32 v8, 0
	s_mov_b32 s1, exec_lo
	s_delay_alu instid0(VALU_DEP_1)
	v_dual_mov_b32 v12, v8 :: v_dual_mov_b32 v11, v7
	v_cmpx_gt_i32_e64 s12, v2
	s_cbranch_execz .LBB442_9
; %bb.8:
	v_dual_mov_b32 v10, 0 :: v_dual_add_nc_u32 v9, s8, v2
	v_add_nc_u32_e32 v2, 0x100, v2
	s_delay_alu instid0(VALU_DEP_2) | instskip(NEXT) | instid1(VALU_DEP_1)
	v_lshlrev_b64 v[9:10], 3, v[9:10]
	v_add_co_u32 v9, s0, s10, v9
	s_delay_alu instid0(VALU_DEP_1)
	v_add_co_ci_u32_e64 v10, s0, s11, v10, s0
	global_load_b64 v[11:12], v[9:10], off
.LBB442_9:
	s_or_b32 exec_lo, exec_lo, s1
	s_delay_alu instid0(SALU_CYCLE_1)
	s_mov_b32 s1, exec_lo
	v_cmpx_gt_i32_e64 s12, v2
	s_cbranch_execz .LBB442_11
; %bb.10:
	v_dual_mov_b32 v8, 0 :: v_dual_add_nc_u32 v7, s8, v2
	s_delay_alu instid0(VALU_DEP_1) | instskip(NEXT) | instid1(VALU_DEP_1)
	v_lshlrev_b64 v[7:8], 3, v[7:8]
	v_add_co_u32 v7, s0, s10, v7
	s_delay_alu instid0(VALU_DEP_1)
	v_add_co_ci_u32_e64 v8, s0, s11, v8, s0
	global_load_b64 v[7:8], v[7:8], off
.LBB442_11:
	s_or_b32 exec_lo, exec_lo, s1
	s_waitcnt vmcnt(0)
	v_cmp_gt_i64_e64 s0, s[4:5], v[5:6]
	v_cmp_gt_i64_e64 s1, s[4:5], v[3:4]
	;; [unrolled: 1-line block ×4, first 2 shown]
	s_delay_alu instid0(VALU_DEP_4) | instskip(NEXT) | instid1(VALU_DEP_4)
	v_cndmask_b32_e64 v14, s5, v6, s0
	v_cndmask_b32_e64 v10, s5, v4, s1
	;; [unrolled: 1-line block ×8, first 2 shown]
	s_and_saveexec_b32 s0, vcc_lo
	s_cbranch_execnz .LBB442_17
; %bb.12:
	s_or_b32 exec_lo, exec_lo, s0
	s_delay_alu instid0(SALU_CYCLE_1)
	s_mov_b32 s0, exec_lo
	v_cmpx_gt_i32_e64 s12, v0
	s_cbranch_execnz .LBB442_18
.LBB442_13:
	s_or_b32 exec_lo, exec_lo, s0
	s_delay_alu instid0(SALU_CYCLE_1)
	s_mov_b32 s0, exec_lo
	v_cmpx_gt_i32_e64 s12, v0
	s_cbranch_execnz .LBB442_19
.LBB442_14:
	s_or_b32 exec_lo, exec_lo, s0
	s_delay_alu instid0(SALU_CYCLE_1)
	s_mov_b32 s0, exec_lo
	v_cmpx_gt_i32_e64 s12, v0
	s_cbranch_execz .LBB442_16
.LBB442_15:
	v_dual_mov_b32 v1, 0 :: v_dual_add_nc_u32 v0, s8, v0
	s_delay_alu instid0(VALU_DEP_1) | instskip(NEXT) | instid1(VALU_DEP_1)
	v_lshlrev_b64 v[0:1], 3, v[0:1]
	v_add_co_u32 v0, vcc_lo, s6, v0
	s_delay_alu instid0(VALU_DEP_2)
	v_add_co_ci_u32_e32 v1, vcc_lo, s7, v1, vcc_lo
	global_store_b64 v[0:1], v[3:4], off
.LBB442_16:
	s_nop 0
	s_sendmsg sendmsg(MSG_DEALLOC_VGPRS)
	s_endpgm
.LBB442_17:
	v_mov_b32_e32 v2, 0
	s_delay_alu instid0(VALU_DEP_1) | instskip(NEXT) | instid1(VALU_DEP_1)
	v_lshlrev_b64 v[0:1], 3, v[1:2]
	v_add_co_u32 v7, vcc_lo, s6, v0
	s_delay_alu instid0(VALU_DEP_2) | instskip(SKIP_3) | instid1(SALU_CYCLE_1)
	v_add_co_ci_u32_e32 v8, vcc_lo, s7, v1, vcc_lo
	v_mov_b32_e32 v0, v15
	global_store_b64 v[7:8], v[13:14], off
	s_or_b32 exec_lo, exec_lo, s0
	s_mov_b32 s0, exec_lo
	v_cmpx_gt_i32_e64 s12, v0
	s_cbranch_execz .LBB442_13
.LBB442_18:
	v_dual_mov_b32 v2, 0 :: v_dual_add_nc_u32 v1, s8, v0
	v_add_nc_u32_e32 v0, 0x100, v0
	s_delay_alu instid0(VALU_DEP_2) | instskip(NEXT) | instid1(VALU_DEP_1)
	v_lshlrev_b64 v[1:2], 3, v[1:2]
	v_add_co_u32 v1, vcc_lo, s6, v1
	s_delay_alu instid0(VALU_DEP_2) | instskip(SKIP_2) | instid1(SALU_CYCLE_1)
	v_add_co_ci_u32_e32 v2, vcc_lo, s7, v2, vcc_lo
	global_store_b64 v[1:2], v[9:10], off
	s_or_b32 exec_lo, exec_lo, s0
	s_mov_b32 s0, exec_lo
	v_cmpx_gt_i32_e64 s12, v0
	s_cbranch_execz .LBB442_14
.LBB442_19:
	v_dual_mov_b32 v2, 0 :: v_dual_add_nc_u32 v1, s8, v0
	v_add_nc_u32_e32 v0, 0x100, v0
	s_delay_alu instid0(VALU_DEP_2) | instskip(NEXT) | instid1(VALU_DEP_1)
	v_lshlrev_b64 v[1:2], 3, v[1:2]
	v_add_co_u32 v1, vcc_lo, s6, v1
	s_delay_alu instid0(VALU_DEP_2) | instskip(SKIP_2) | instid1(SALU_CYCLE_1)
	v_add_co_ci_u32_e32 v2, vcc_lo, s7, v2, vcc_lo
	global_store_b64 v[1:2], v[5:6], off
	s_or_b32 exec_lo, exec_lo, s0
	s_mov_b32 s0, exec_lo
	v_cmpx_gt_i32_e64 s12, v0
	s_cbranch_execnz .LBB442_15
	s_branch .LBB442_16
	.section	.rodata,"a",@progbits
	.p2align	6, 0x0
	.amdhsa_kernel _ZN2at6native29vectorized_elementwise_kernelILi16EZZZNS0_21clamp_max_kernel_cudaERNS_18TensorIteratorBaseERKN3c106ScalarEENKUlvE_clEvENKUlvE2_clEvEUllE_St5arrayIPcLm2EEEEviT0_T1_
		.amdhsa_group_segment_fixed_size 0
		.amdhsa_private_segment_fixed_size 0
		.amdhsa_kernarg_size 32
		.amdhsa_user_sgpr_count 15
		.amdhsa_user_sgpr_dispatch_ptr 0
		.amdhsa_user_sgpr_queue_ptr 0
		.amdhsa_user_sgpr_kernarg_segment_ptr 1
		.amdhsa_user_sgpr_dispatch_id 0
		.amdhsa_user_sgpr_private_segment_size 0
		.amdhsa_wavefront_size32 1
		.amdhsa_uses_dynamic_stack 0
		.amdhsa_enable_private_segment 0
		.amdhsa_system_sgpr_workgroup_id_x 1
		.amdhsa_system_sgpr_workgroup_id_y 0
		.amdhsa_system_sgpr_workgroup_id_z 0
		.amdhsa_system_sgpr_workgroup_info 0
		.amdhsa_system_vgpr_workitem_id 0
		.amdhsa_next_free_vgpr 16
		.amdhsa_next_free_sgpr 16
		.amdhsa_reserve_vcc 1
		.amdhsa_float_round_mode_32 0
		.amdhsa_float_round_mode_16_64 0
		.amdhsa_float_denorm_mode_32 3
		.amdhsa_float_denorm_mode_16_64 3
		.amdhsa_dx10_clamp 1
		.amdhsa_ieee_mode 1
		.amdhsa_fp16_overflow 0
		.amdhsa_workgroup_processor_mode 1
		.amdhsa_memory_ordered 1
		.amdhsa_forward_progress 0
		.amdhsa_shared_vgpr_count 0
		.amdhsa_exception_fp_ieee_invalid_op 0
		.amdhsa_exception_fp_denorm_src 0
		.amdhsa_exception_fp_ieee_div_zero 0
		.amdhsa_exception_fp_ieee_overflow 0
		.amdhsa_exception_fp_ieee_underflow 0
		.amdhsa_exception_fp_ieee_inexact 0
		.amdhsa_exception_int_div_zero 0
	.end_amdhsa_kernel
	.section	.text._ZN2at6native29vectorized_elementwise_kernelILi16EZZZNS0_21clamp_max_kernel_cudaERNS_18TensorIteratorBaseERKN3c106ScalarEENKUlvE_clEvENKUlvE2_clEvEUllE_St5arrayIPcLm2EEEEviT0_T1_,"axG",@progbits,_ZN2at6native29vectorized_elementwise_kernelILi16EZZZNS0_21clamp_max_kernel_cudaERNS_18TensorIteratorBaseERKN3c106ScalarEENKUlvE_clEvENKUlvE2_clEvEUllE_St5arrayIPcLm2EEEEviT0_T1_,comdat
.Lfunc_end442:
	.size	_ZN2at6native29vectorized_elementwise_kernelILi16EZZZNS0_21clamp_max_kernel_cudaERNS_18TensorIteratorBaseERKN3c106ScalarEENKUlvE_clEvENKUlvE2_clEvEUllE_St5arrayIPcLm2EEEEviT0_T1_, .Lfunc_end442-_ZN2at6native29vectorized_elementwise_kernelILi16EZZZNS0_21clamp_max_kernel_cudaERNS_18TensorIteratorBaseERKN3c106ScalarEENKUlvE_clEvENKUlvE2_clEvEUllE_St5arrayIPcLm2EEEEviT0_T1_
                                        ; -- End function
	.section	.AMDGPU.csdata,"",@progbits
; Kernel info:
; codeLenInByte = 1040
; NumSgprs: 18
; NumVgprs: 16
; ScratchSize: 0
; MemoryBound: 0
; FloatMode: 240
; IeeeMode: 1
; LDSByteSize: 0 bytes/workgroup (compile time only)
; SGPRBlocks: 2
; VGPRBlocks: 1
; NumSGPRsForWavesPerEU: 18
; NumVGPRsForWavesPerEU: 16
; Occupancy: 16
; WaveLimiterHint : 0
; COMPUTE_PGM_RSRC2:SCRATCH_EN: 0
; COMPUTE_PGM_RSRC2:USER_SGPR: 15
; COMPUTE_PGM_RSRC2:TRAP_HANDLER: 0
; COMPUTE_PGM_RSRC2:TGID_X_EN: 1
; COMPUTE_PGM_RSRC2:TGID_Y_EN: 0
; COMPUTE_PGM_RSRC2:TGID_Z_EN: 0
; COMPUTE_PGM_RSRC2:TIDIG_COMP_CNT: 0
	.section	.text._ZN2at6native29vectorized_elementwise_kernelILi8EZZZNS0_21clamp_max_kernel_cudaERNS_18TensorIteratorBaseERKN3c106ScalarEENKUlvE_clEvENKUlvE2_clEvEUllE_St5arrayIPcLm2EEEEviT0_T1_,"axG",@progbits,_ZN2at6native29vectorized_elementwise_kernelILi8EZZZNS0_21clamp_max_kernel_cudaERNS_18TensorIteratorBaseERKN3c106ScalarEENKUlvE_clEvENKUlvE2_clEvEUllE_St5arrayIPcLm2EEEEviT0_T1_,comdat
	.globl	_ZN2at6native29vectorized_elementwise_kernelILi8EZZZNS0_21clamp_max_kernel_cudaERNS_18TensorIteratorBaseERKN3c106ScalarEENKUlvE_clEvENKUlvE2_clEvEUllE_St5arrayIPcLm2EEEEviT0_T1_ ; -- Begin function _ZN2at6native29vectorized_elementwise_kernelILi8EZZZNS0_21clamp_max_kernel_cudaERNS_18TensorIteratorBaseERKN3c106ScalarEENKUlvE_clEvENKUlvE2_clEvEUllE_St5arrayIPcLm2EEEEviT0_T1_
	.p2align	8
	.type	_ZN2at6native29vectorized_elementwise_kernelILi8EZZZNS0_21clamp_max_kernel_cudaERNS_18TensorIteratorBaseERKN3c106ScalarEENKUlvE_clEvENKUlvE2_clEvEUllE_St5arrayIPcLm2EEEEviT0_T1_,@function
_ZN2at6native29vectorized_elementwise_kernelILi8EZZZNS0_21clamp_max_kernel_cudaERNS_18TensorIteratorBaseERKN3c106ScalarEENKUlvE_clEvENKUlvE2_clEvEUllE_St5arrayIPcLm2EEEEviT0_T1_: ; @_ZN2at6native29vectorized_elementwise_kernelILi8EZZZNS0_21clamp_max_kernel_cudaERNS_18TensorIteratorBaseERKN3c106ScalarEENKUlvE_clEvENKUlvE2_clEvEUllE_St5arrayIPcLm2EEEEviT0_T1_
; %bb.0:
	s_clause 0x2
	s_load_b32 s2, s[0:1], 0x0
	s_load_b128 s[4:7], s[0:1], 0x8
	s_load_b64 s[10:11], s[0:1], 0x18
	s_lshl_b32 s8, s15, 10
	s_mov_b32 s0, -1
	s_waitcnt lgkmcnt(0)
	s_sub_i32 s12, s2, s8
	s_delay_alu instid0(SALU_CYCLE_1)
	s_cmpk_gt_i32 s12, 0x3ff
	s_cbranch_scc0 .LBB443_2
; %bb.1:
	s_ashr_i32 s9, s8, 31
	v_lshlrev_b32_e32 v9, 5, v0
	s_lshl_b64 s[14:15], s[8:9], 3
	s_delay_alu instid0(SALU_CYCLE_1)
	s_add_u32 s0, s10, s14
	s_addc_u32 s1, s11, s15
	s_clause 0x1
	global_load_b128 v[1:4], v9, s[0:1]
	global_load_b128 v[5:8], v9, s[0:1] offset:16
	s_waitcnt vmcnt(1)
	v_cmp_gt_i64_e32 vcc_lo, s[4:5], v[1:2]
	v_cmp_gt_i64_e64 s0, s[4:5], v[3:4]
	s_waitcnt vmcnt(0)
	v_cmp_gt_i64_e64 s1, s[4:5], v[5:6]
	v_cmp_gt_i64_e64 s2, s[4:5], v[7:8]
	v_cndmask_b32_e32 v2, s5, v2, vcc_lo
	s_delay_alu instid0(VALU_DEP_4)
	v_cndmask_b32_e64 v4, s5, v4, s0
	v_cndmask_b32_e32 v1, s4, v1, vcc_lo
	v_cndmask_b32_e64 v3, s4, v3, s0
	v_cndmask_b32_e64 v6, s5, v6, s1
	;; [unrolled: 1-line block ×5, first 2 shown]
	s_add_u32 s2, s6, s14
	s_addc_u32 s3, s7, s15
	s_mov_b32 s0, 0
	s_clause 0x1
	global_store_b128 v9, v[1:4], s[2:3]
	global_store_b128 v9, v[5:8], s[2:3] offset:16
.LBB443_2:
	s_and_not1_b32 vcc_lo, exec_lo, s0
	s_cbranch_vccnz .LBB443_16
; %bb.3:
	v_dual_mov_b32 v3, 0 :: v_dual_mov_b32 v2, v0
	v_mov_b32_e32 v4, 0
	v_cmp_gt_i32_e32 vcc_lo, s12, v0
	v_or_b32_e32 v1, s8, v0
	v_or_b32_e32 v15, 0x100, v0
	s_delay_alu instid0(VALU_DEP_4)
	v_dual_mov_b32 v6, v4 :: v_dual_mov_b32 v5, v3
	s_and_saveexec_b32 s1, vcc_lo
	s_cbranch_execz .LBB443_5
; %bb.4:
	v_mov_b32_e32 v2, 0
	s_delay_alu instid0(VALU_DEP_1) | instskip(SKIP_1) | instid1(VALU_DEP_2)
	v_lshlrev_b64 v[5:6], 3, v[1:2]
	v_or_b32_e32 v2, 0x100, v0
	v_add_co_u32 v5, s0, s10, v5
	s_delay_alu instid0(VALU_DEP_1)
	v_add_co_ci_u32_e64 v6, s0, s11, v6, s0
	global_load_b64 v[5:6], v[5:6], off
.LBB443_5:
	s_or_b32 exec_lo, exec_lo, s1
	s_delay_alu instid0(SALU_CYCLE_1)
	s_mov_b32 s1, exec_lo
	v_cmpx_gt_i32_e64 s12, v2
	s_cbranch_execz .LBB443_7
; %bb.6:
	v_dual_mov_b32 v4, 0 :: v_dual_add_nc_u32 v3, s8, v2
	v_add_nc_u32_e32 v2, 0x100, v2
	s_delay_alu instid0(VALU_DEP_2) | instskip(NEXT) | instid1(VALU_DEP_1)
	v_lshlrev_b64 v[3:4], 3, v[3:4]
	v_add_co_u32 v3, s0, s10, v3
	s_delay_alu instid0(VALU_DEP_1)
	v_add_co_ci_u32_e64 v4, s0, s11, v4, s0
	global_load_b64 v[3:4], v[3:4], off
.LBB443_7:
	s_or_b32 exec_lo, exec_lo, s1
	v_mov_b32_e32 v7, 0
	v_mov_b32_e32 v8, 0
	s_mov_b32 s1, exec_lo
	s_delay_alu instid0(VALU_DEP_1)
	v_dual_mov_b32 v12, v8 :: v_dual_mov_b32 v11, v7
	v_cmpx_gt_i32_e64 s12, v2
	s_cbranch_execz .LBB443_9
; %bb.8:
	v_dual_mov_b32 v10, 0 :: v_dual_add_nc_u32 v9, s8, v2
	v_add_nc_u32_e32 v2, 0x100, v2
	s_delay_alu instid0(VALU_DEP_2) | instskip(NEXT) | instid1(VALU_DEP_1)
	v_lshlrev_b64 v[9:10], 3, v[9:10]
	v_add_co_u32 v9, s0, s10, v9
	s_delay_alu instid0(VALU_DEP_1)
	v_add_co_ci_u32_e64 v10, s0, s11, v10, s0
	global_load_b64 v[11:12], v[9:10], off
.LBB443_9:
	s_or_b32 exec_lo, exec_lo, s1
	s_delay_alu instid0(SALU_CYCLE_1)
	s_mov_b32 s1, exec_lo
	v_cmpx_gt_i32_e64 s12, v2
	s_cbranch_execz .LBB443_11
; %bb.10:
	v_dual_mov_b32 v8, 0 :: v_dual_add_nc_u32 v7, s8, v2
	s_delay_alu instid0(VALU_DEP_1) | instskip(NEXT) | instid1(VALU_DEP_1)
	v_lshlrev_b64 v[7:8], 3, v[7:8]
	v_add_co_u32 v7, s0, s10, v7
	s_delay_alu instid0(VALU_DEP_1)
	v_add_co_ci_u32_e64 v8, s0, s11, v8, s0
	global_load_b64 v[7:8], v[7:8], off
.LBB443_11:
	s_or_b32 exec_lo, exec_lo, s1
	s_waitcnt vmcnt(0)
	v_cmp_gt_i64_e64 s0, s[4:5], v[5:6]
	v_cmp_gt_i64_e64 s1, s[4:5], v[3:4]
	;; [unrolled: 1-line block ×4, first 2 shown]
	s_delay_alu instid0(VALU_DEP_4) | instskip(NEXT) | instid1(VALU_DEP_4)
	v_cndmask_b32_e64 v14, s5, v6, s0
	v_cndmask_b32_e64 v10, s5, v4, s1
	;; [unrolled: 1-line block ×8, first 2 shown]
	s_and_saveexec_b32 s0, vcc_lo
	s_cbranch_execnz .LBB443_17
; %bb.12:
	s_or_b32 exec_lo, exec_lo, s0
	s_delay_alu instid0(SALU_CYCLE_1)
	s_mov_b32 s0, exec_lo
	v_cmpx_gt_i32_e64 s12, v0
	s_cbranch_execnz .LBB443_18
.LBB443_13:
	s_or_b32 exec_lo, exec_lo, s0
	s_delay_alu instid0(SALU_CYCLE_1)
	s_mov_b32 s0, exec_lo
	v_cmpx_gt_i32_e64 s12, v0
	s_cbranch_execnz .LBB443_19
.LBB443_14:
	s_or_b32 exec_lo, exec_lo, s0
	s_delay_alu instid0(SALU_CYCLE_1)
	s_mov_b32 s0, exec_lo
	v_cmpx_gt_i32_e64 s12, v0
	s_cbranch_execz .LBB443_16
.LBB443_15:
	v_dual_mov_b32 v1, 0 :: v_dual_add_nc_u32 v0, s8, v0
	s_delay_alu instid0(VALU_DEP_1) | instskip(NEXT) | instid1(VALU_DEP_1)
	v_lshlrev_b64 v[0:1], 3, v[0:1]
	v_add_co_u32 v0, vcc_lo, s6, v0
	s_delay_alu instid0(VALU_DEP_2)
	v_add_co_ci_u32_e32 v1, vcc_lo, s7, v1, vcc_lo
	global_store_b64 v[0:1], v[3:4], off
.LBB443_16:
	s_nop 0
	s_sendmsg sendmsg(MSG_DEALLOC_VGPRS)
	s_endpgm
.LBB443_17:
	v_mov_b32_e32 v2, 0
	s_delay_alu instid0(VALU_DEP_1) | instskip(NEXT) | instid1(VALU_DEP_1)
	v_lshlrev_b64 v[0:1], 3, v[1:2]
	v_add_co_u32 v7, vcc_lo, s6, v0
	s_delay_alu instid0(VALU_DEP_2) | instskip(SKIP_3) | instid1(SALU_CYCLE_1)
	v_add_co_ci_u32_e32 v8, vcc_lo, s7, v1, vcc_lo
	v_mov_b32_e32 v0, v15
	global_store_b64 v[7:8], v[13:14], off
	s_or_b32 exec_lo, exec_lo, s0
	s_mov_b32 s0, exec_lo
	v_cmpx_gt_i32_e64 s12, v0
	s_cbranch_execz .LBB443_13
.LBB443_18:
	v_dual_mov_b32 v2, 0 :: v_dual_add_nc_u32 v1, s8, v0
	v_add_nc_u32_e32 v0, 0x100, v0
	s_delay_alu instid0(VALU_DEP_2) | instskip(NEXT) | instid1(VALU_DEP_1)
	v_lshlrev_b64 v[1:2], 3, v[1:2]
	v_add_co_u32 v1, vcc_lo, s6, v1
	s_delay_alu instid0(VALU_DEP_2) | instskip(SKIP_2) | instid1(SALU_CYCLE_1)
	v_add_co_ci_u32_e32 v2, vcc_lo, s7, v2, vcc_lo
	global_store_b64 v[1:2], v[9:10], off
	s_or_b32 exec_lo, exec_lo, s0
	s_mov_b32 s0, exec_lo
	v_cmpx_gt_i32_e64 s12, v0
	s_cbranch_execz .LBB443_14
.LBB443_19:
	v_dual_mov_b32 v2, 0 :: v_dual_add_nc_u32 v1, s8, v0
	v_add_nc_u32_e32 v0, 0x100, v0
	s_delay_alu instid0(VALU_DEP_2) | instskip(NEXT) | instid1(VALU_DEP_1)
	v_lshlrev_b64 v[1:2], 3, v[1:2]
	v_add_co_u32 v1, vcc_lo, s6, v1
	s_delay_alu instid0(VALU_DEP_2) | instskip(SKIP_2) | instid1(SALU_CYCLE_1)
	v_add_co_ci_u32_e32 v2, vcc_lo, s7, v2, vcc_lo
	global_store_b64 v[1:2], v[5:6], off
	s_or_b32 exec_lo, exec_lo, s0
	s_mov_b32 s0, exec_lo
	v_cmpx_gt_i32_e64 s12, v0
	s_cbranch_execnz .LBB443_15
	s_branch .LBB443_16
	.section	.rodata,"a",@progbits
	.p2align	6, 0x0
	.amdhsa_kernel _ZN2at6native29vectorized_elementwise_kernelILi8EZZZNS0_21clamp_max_kernel_cudaERNS_18TensorIteratorBaseERKN3c106ScalarEENKUlvE_clEvENKUlvE2_clEvEUllE_St5arrayIPcLm2EEEEviT0_T1_
		.amdhsa_group_segment_fixed_size 0
		.amdhsa_private_segment_fixed_size 0
		.amdhsa_kernarg_size 32
		.amdhsa_user_sgpr_count 15
		.amdhsa_user_sgpr_dispatch_ptr 0
		.amdhsa_user_sgpr_queue_ptr 0
		.amdhsa_user_sgpr_kernarg_segment_ptr 1
		.amdhsa_user_sgpr_dispatch_id 0
		.amdhsa_user_sgpr_private_segment_size 0
		.amdhsa_wavefront_size32 1
		.amdhsa_uses_dynamic_stack 0
		.amdhsa_enable_private_segment 0
		.amdhsa_system_sgpr_workgroup_id_x 1
		.amdhsa_system_sgpr_workgroup_id_y 0
		.amdhsa_system_sgpr_workgroup_id_z 0
		.amdhsa_system_sgpr_workgroup_info 0
		.amdhsa_system_vgpr_workitem_id 0
		.amdhsa_next_free_vgpr 16
		.amdhsa_next_free_sgpr 16
		.amdhsa_reserve_vcc 1
		.amdhsa_float_round_mode_32 0
		.amdhsa_float_round_mode_16_64 0
		.amdhsa_float_denorm_mode_32 3
		.amdhsa_float_denorm_mode_16_64 3
		.amdhsa_dx10_clamp 1
		.amdhsa_ieee_mode 1
		.amdhsa_fp16_overflow 0
		.amdhsa_workgroup_processor_mode 1
		.amdhsa_memory_ordered 1
		.amdhsa_forward_progress 0
		.amdhsa_shared_vgpr_count 0
		.amdhsa_exception_fp_ieee_invalid_op 0
		.amdhsa_exception_fp_denorm_src 0
		.amdhsa_exception_fp_ieee_div_zero 0
		.amdhsa_exception_fp_ieee_overflow 0
		.amdhsa_exception_fp_ieee_underflow 0
		.amdhsa_exception_fp_ieee_inexact 0
		.amdhsa_exception_int_div_zero 0
	.end_amdhsa_kernel
	.section	.text._ZN2at6native29vectorized_elementwise_kernelILi8EZZZNS0_21clamp_max_kernel_cudaERNS_18TensorIteratorBaseERKN3c106ScalarEENKUlvE_clEvENKUlvE2_clEvEUllE_St5arrayIPcLm2EEEEviT0_T1_,"axG",@progbits,_ZN2at6native29vectorized_elementwise_kernelILi8EZZZNS0_21clamp_max_kernel_cudaERNS_18TensorIteratorBaseERKN3c106ScalarEENKUlvE_clEvENKUlvE2_clEvEUllE_St5arrayIPcLm2EEEEviT0_T1_,comdat
.Lfunc_end443:
	.size	_ZN2at6native29vectorized_elementwise_kernelILi8EZZZNS0_21clamp_max_kernel_cudaERNS_18TensorIteratorBaseERKN3c106ScalarEENKUlvE_clEvENKUlvE2_clEvEUllE_St5arrayIPcLm2EEEEviT0_T1_, .Lfunc_end443-_ZN2at6native29vectorized_elementwise_kernelILi8EZZZNS0_21clamp_max_kernel_cudaERNS_18TensorIteratorBaseERKN3c106ScalarEENKUlvE_clEvENKUlvE2_clEvEUllE_St5arrayIPcLm2EEEEviT0_T1_
                                        ; -- End function
	.section	.AMDGPU.csdata,"",@progbits
; Kernel info:
; codeLenInByte = 1040
; NumSgprs: 18
; NumVgprs: 16
; ScratchSize: 0
; MemoryBound: 0
; FloatMode: 240
; IeeeMode: 1
; LDSByteSize: 0 bytes/workgroup (compile time only)
; SGPRBlocks: 2
; VGPRBlocks: 1
; NumSGPRsForWavesPerEU: 18
; NumVGPRsForWavesPerEU: 16
; Occupancy: 16
; WaveLimiterHint : 0
; COMPUTE_PGM_RSRC2:SCRATCH_EN: 0
; COMPUTE_PGM_RSRC2:USER_SGPR: 15
; COMPUTE_PGM_RSRC2:TRAP_HANDLER: 0
; COMPUTE_PGM_RSRC2:TGID_X_EN: 1
; COMPUTE_PGM_RSRC2:TGID_Y_EN: 0
; COMPUTE_PGM_RSRC2:TGID_Z_EN: 0
; COMPUTE_PGM_RSRC2:TIDIG_COMP_CNT: 0
	.section	.text._ZN2at6native29vectorized_elementwise_kernelILi4EZZZNS0_21clamp_max_kernel_cudaERNS_18TensorIteratorBaseERKN3c106ScalarEENKUlvE_clEvENKUlvE2_clEvEUllE_St5arrayIPcLm2EEEEviT0_T1_,"axG",@progbits,_ZN2at6native29vectorized_elementwise_kernelILi4EZZZNS0_21clamp_max_kernel_cudaERNS_18TensorIteratorBaseERKN3c106ScalarEENKUlvE_clEvENKUlvE2_clEvEUllE_St5arrayIPcLm2EEEEviT0_T1_,comdat
	.globl	_ZN2at6native29vectorized_elementwise_kernelILi4EZZZNS0_21clamp_max_kernel_cudaERNS_18TensorIteratorBaseERKN3c106ScalarEENKUlvE_clEvENKUlvE2_clEvEUllE_St5arrayIPcLm2EEEEviT0_T1_ ; -- Begin function _ZN2at6native29vectorized_elementwise_kernelILi4EZZZNS0_21clamp_max_kernel_cudaERNS_18TensorIteratorBaseERKN3c106ScalarEENKUlvE_clEvENKUlvE2_clEvEUllE_St5arrayIPcLm2EEEEviT0_T1_
	.p2align	8
	.type	_ZN2at6native29vectorized_elementwise_kernelILi4EZZZNS0_21clamp_max_kernel_cudaERNS_18TensorIteratorBaseERKN3c106ScalarEENKUlvE_clEvENKUlvE2_clEvEUllE_St5arrayIPcLm2EEEEviT0_T1_,@function
_ZN2at6native29vectorized_elementwise_kernelILi4EZZZNS0_21clamp_max_kernel_cudaERNS_18TensorIteratorBaseERKN3c106ScalarEENKUlvE_clEvENKUlvE2_clEvEUllE_St5arrayIPcLm2EEEEviT0_T1_: ; @_ZN2at6native29vectorized_elementwise_kernelILi4EZZZNS0_21clamp_max_kernel_cudaERNS_18TensorIteratorBaseERKN3c106ScalarEENKUlvE_clEvENKUlvE2_clEvEUllE_St5arrayIPcLm2EEEEviT0_T1_
; %bb.0:
	s_clause 0x2
	s_load_b32 s2, s[0:1], 0x0
	s_load_b128 s[4:7], s[0:1], 0x8
	s_load_b64 s[10:11], s[0:1], 0x18
	s_lshl_b32 s8, s15, 10
	s_mov_b32 s0, -1
	s_waitcnt lgkmcnt(0)
	s_sub_i32 s12, s2, s8
	s_delay_alu instid0(SALU_CYCLE_1)
	s_cmpk_gt_i32 s12, 0x3ff
	s_cbranch_scc0 .LBB444_2
; %bb.1:
	s_ashr_i32 s9, s8, 31
	v_lshlrev_b32_e32 v9, 5, v0
	s_lshl_b64 s[14:15], s[8:9], 3
	s_delay_alu instid0(SALU_CYCLE_1)
	s_add_u32 s0, s10, s14
	s_addc_u32 s1, s11, s15
	s_clause 0x1
	global_load_b128 v[1:4], v9, s[0:1]
	global_load_b128 v[5:8], v9, s[0:1] offset:16
	s_waitcnt vmcnt(1)
	v_cmp_gt_i64_e32 vcc_lo, s[4:5], v[1:2]
	v_cmp_gt_i64_e64 s0, s[4:5], v[3:4]
	s_waitcnt vmcnt(0)
	v_cmp_gt_i64_e64 s1, s[4:5], v[5:6]
	v_cmp_gt_i64_e64 s2, s[4:5], v[7:8]
	v_cndmask_b32_e32 v2, s5, v2, vcc_lo
	s_delay_alu instid0(VALU_DEP_4)
	v_cndmask_b32_e64 v4, s5, v4, s0
	v_cndmask_b32_e32 v1, s4, v1, vcc_lo
	v_cndmask_b32_e64 v3, s4, v3, s0
	v_cndmask_b32_e64 v6, s5, v6, s1
	;; [unrolled: 1-line block ×5, first 2 shown]
	s_add_u32 s2, s6, s14
	s_addc_u32 s3, s7, s15
	s_mov_b32 s0, 0
	s_clause 0x1
	global_store_b128 v9, v[1:4], s[2:3]
	global_store_b128 v9, v[5:8], s[2:3] offset:16
.LBB444_2:
	s_and_not1_b32 vcc_lo, exec_lo, s0
	s_cbranch_vccnz .LBB444_16
; %bb.3:
	v_dual_mov_b32 v3, 0 :: v_dual_mov_b32 v2, v0
	v_mov_b32_e32 v4, 0
	v_cmp_gt_i32_e32 vcc_lo, s12, v0
	v_or_b32_e32 v1, s8, v0
	v_or_b32_e32 v15, 0x100, v0
	s_delay_alu instid0(VALU_DEP_4)
	v_dual_mov_b32 v6, v4 :: v_dual_mov_b32 v5, v3
	s_and_saveexec_b32 s1, vcc_lo
	s_cbranch_execz .LBB444_5
; %bb.4:
	v_mov_b32_e32 v2, 0
	s_delay_alu instid0(VALU_DEP_1) | instskip(SKIP_1) | instid1(VALU_DEP_2)
	v_lshlrev_b64 v[5:6], 3, v[1:2]
	v_or_b32_e32 v2, 0x100, v0
	v_add_co_u32 v5, s0, s10, v5
	s_delay_alu instid0(VALU_DEP_1)
	v_add_co_ci_u32_e64 v6, s0, s11, v6, s0
	global_load_b64 v[5:6], v[5:6], off
.LBB444_5:
	s_or_b32 exec_lo, exec_lo, s1
	s_delay_alu instid0(SALU_CYCLE_1)
	s_mov_b32 s1, exec_lo
	v_cmpx_gt_i32_e64 s12, v2
	s_cbranch_execz .LBB444_7
; %bb.6:
	v_dual_mov_b32 v4, 0 :: v_dual_add_nc_u32 v3, s8, v2
	v_add_nc_u32_e32 v2, 0x100, v2
	s_delay_alu instid0(VALU_DEP_2) | instskip(NEXT) | instid1(VALU_DEP_1)
	v_lshlrev_b64 v[3:4], 3, v[3:4]
	v_add_co_u32 v3, s0, s10, v3
	s_delay_alu instid0(VALU_DEP_1)
	v_add_co_ci_u32_e64 v4, s0, s11, v4, s0
	global_load_b64 v[3:4], v[3:4], off
.LBB444_7:
	s_or_b32 exec_lo, exec_lo, s1
	v_mov_b32_e32 v7, 0
	v_mov_b32_e32 v8, 0
	s_mov_b32 s1, exec_lo
	s_delay_alu instid0(VALU_DEP_1)
	v_dual_mov_b32 v12, v8 :: v_dual_mov_b32 v11, v7
	v_cmpx_gt_i32_e64 s12, v2
	s_cbranch_execz .LBB444_9
; %bb.8:
	v_dual_mov_b32 v10, 0 :: v_dual_add_nc_u32 v9, s8, v2
	v_add_nc_u32_e32 v2, 0x100, v2
	s_delay_alu instid0(VALU_DEP_2) | instskip(NEXT) | instid1(VALU_DEP_1)
	v_lshlrev_b64 v[9:10], 3, v[9:10]
	v_add_co_u32 v9, s0, s10, v9
	s_delay_alu instid0(VALU_DEP_1)
	v_add_co_ci_u32_e64 v10, s0, s11, v10, s0
	global_load_b64 v[11:12], v[9:10], off
.LBB444_9:
	s_or_b32 exec_lo, exec_lo, s1
	s_delay_alu instid0(SALU_CYCLE_1)
	s_mov_b32 s1, exec_lo
	v_cmpx_gt_i32_e64 s12, v2
	s_cbranch_execz .LBB444_11
; %bb.10:
	v_dual_mov_b32 v8, 0 :: v_dual_add_nc_u32 v7, s8, v2
	s_delay_alu instid0(VALU_DEP_1) | instskip(NEXT) | instid1(VALU_DEP_1)
	v_lshlrev_b64 v[7:8], 3, v[7:8]
	v_add_co_u32 v7, s0, s10, v7
	s_delay_alu instid0(VALU_DEP_1)
	v_add_co_ci_u32_e64 v8, s0, s11, v8, s0
	global_load_b64 v[7:8], v[7:8], off
.LBB444_11:
	s_or_b32 exec_lo, exec_lo, s1
	s_waitcnt vmcnt(0)
	v_cmp_gt_i64_e64 s0, s[4:5], v[5:6]
	v_cmp_gt_i64_e64 s1, s[4:5], v[3:4]
	;; [unrolled: 1-line block ×4, first 2 shown]
	s_delay_alu instid0(VALU_DEP_4) | instskip(NEXT) | instid1(VALU_DEP_4)
	v_cndmask_b32_e64 v14, s5, v6, s0
	v_cndmask_b32_e64 v10, s5, v4, s1
	;; [unrolled: 1-line block ×8, first 2 shown]
	s_and_saveexec_b32 s0, vcc_lo
	s_cbranch_execnz .LBB444_17
; %bb.12:
	s_or_b32 exec_lo, exec_lo, s0
	s_delay_alu instid0(SALU_CYCLE_1)
	s_mov_b32 s0, exec_lo
	v_cmpx_gt_i32_e64 s12, v0
	s_cbranch_execnz .LBB444_18
.LBB444_13:
	s_or_b32 exec_lo, exec_lo, s0
	s_delay_alu instid0(SALU_CYCLE_1)
	s_mov_b32 s0, exec_lo
	v_cmpx_gt_i32_e64 s12, v0
	s_cbranch_execnz .LBB444_19
.LBB444_14:
	s_or_b32 exec_lo, exec_lo, s0
	s_delay_alu instid0(SALU_CYCLE_1)
	s_mov_b32 s0, exec_lo
	v_cmpx_gt_i32_e64 s12, v0
	s_cbranch_execz .LBB444_16
.LBB444_15:
	v_dual_mov_b32 v1, 0 :: v_dual_add_nc_u32 v0, s8, v0
	s_delay_alu instid0(VALU_DEP_1) | instskip(NEXT) | instid1(VALU_DEP_1)
	v_lshlrev_b64 v[0:1], 3, v[0:1]
	v_add_co_u32 v0, vcc_lo, s6, v0
	s_delay_alu instid0(VALU_DEP_2)
	v_add_co_ci_u32_e32 v1, vcc_lo, s7, v1, vcc_lo
	global_store_b64 v[0:1], v[3:4], off
.LBB444_16:
	s_nop 0
	s_sendmsg sendmsg(MSG_DEALLOC_VGPRS)
	s_endpgm
.LBB444_17:
	v_mov_b32_e32 v2, 0
	s_delay_alu instid0(VALU_DEP_1) | instskip(NEXT) | instid1(VALU_DEP_1)
	v_lshlrev_b64 v[0:1], 3, v[1:2]
	v_add_co_u32 v7, vcc_lo, s6, v0
	s_delay_alu instid0(VALU_DEP_2) | instskip(SKIP_3) | instid1(SALU_CYCLE_1)
	v_add_co_ci_u32_e32 v8, vcc_lo, s7, v1, vcc_lo
	v_mov_b32_e32 v0, v15
	global_store_b64 v[7:8], v[13:14], off
	s_or_b32 exec_lo, exec_lo, s0
	s_mov_b32 s0, exec_lo
	v_cmpx_gt_i32_e64 s12, v0
	s_cbranch_execz .LBB444_13
.LBB444_18:
	v_dual_mov_b32 v2, 0 :: v_dual_add_nc_u32 v1, s8, v0
	v_add_nc_u32_e32 v0, 0x100, v0
	s_delay_alu instid0(VALU_DEP_2) | instskip(NEXT) | instid1(VALU_DEP_1)
	v_lshlrev_b64 v[1:2], 3, v[1:2]
	v_add_co_u32 v1, vcc_lo, s6, v1
	s_delay_alu instid0(VALU_DEP_2) | instskip(SKIP_2) | instid1(SALU_CYCLE_1)
	v_add_co_ci_u32_e32 v2, vcc_lo, s7, v2, vcc_lo
	global_store_b64 v[1:2], v[9:10], off
	s_or_b32 exec_lo, exec_lo, s0
	s_mov_b32 s0, exec_lo
	v_cmpx_gt_i32_e64 s12, v0
	s_cbranch_execz .LBB444_14
.LBB444_19:
	v_dual_mov_b32 v2, 0 :: v_dual_add_nc_u32 v1, s8, v0
	v_add_nc_u32_e32 v0, 0x100, v0
	s_delay_alu instid0(VALU_DEP_2) | instskip(NEXT) | instid1(VALU_DEP_1)
	v_lshlrev_b64 v[1:2], 3, v[1:2]
	v_add_co_u32 v1, vcc_lo, s6, v1
	s_delay_alu instid0(VALU_DEP_2) | instskip(SKIP_2) | instid1(SALU_CYCLE_1)
	v_add_co_ci_u32_e32 v2, vcc_lo, s7, v2, vcc_lo
	global_store_b64 v[1:2], v[5:6], off
	s_or_b32 exec_lo, exec_lo, s0
	s_mov_b32 s0, exec_lo
	v_cmpx_gt_i32_e64 s12, v0
	s_cbranch_execnz .LBB444_15
	s_branch .LBB444_16
	.section	.rodata,"a",@progbits
	.p2align	6, 0x0
	.amdhsa_kernel _ZN2at6native29vectorized_elementwise_kernelILi4EZZZNS0_21clamp_max_kernel_cudaERNS_18TensorIteratorBaseERKN3c106ScalarEENKUlvE_clEvENKUlvE2_clEvEUllE_St5arrayIPcLm2EEEEviT0_T1_
		.amdhsa_group_segment_fixed_size 0
		.amdhsa_private_segment_fixed_size 0
		.amdhsa_kernarg_size 32
		.amdhsa_user_sgpr_count 15
		.amdhsa_user_sgpr_dispatch_ptr 0
		.amdhsa_user_sgpr_queue_ptr 0
		.amdhsa_user_sgpr_kernarg_segment_ptr 1
		.amdhsa_user_sgpr_dispatch_id 0
		.amdhsa_user_sgpr_private_segment_size 0
		.amdhsa_wavefront_size32 1
		.amdhsa_uses_dynamic_stack 0
		.amdhsa_enable_private_segment 0
		.amdhsa_system_sgpr_workgroup_id_x 1
		.amdhsa_system_sgpr_workgroup_id_y 0
		.amdhsa_system_sgpr_workgroup_id_z 0
		.amdhsa_system_sgpr_workgroup_info 0
		.amdhsa_system_vgpr_workitem_id 0
		.amdhsa_next_free_vgpr 16
		.amdhsa_next_free_sgpr 16
		.amdhsa_reserve_vcc 1
		.amdhsa_float_round_mode_32 0
		.amdhsa_float_round_mode_16_64 0
		.amdhsa_float_denorm_mode_32 3
		.amdhsa_float_denorm_mode_16_64 3
		.amdhsa_dx10_clamp 1
		.amdhsa_ieee_mode 1
		.amdhsa_fp16_overflow 0
		.amdhsa_workgroup_processor_mode 1
		.amdhsa_memory_ordered 1
		.amdhsa_forward_progress 0
		.amdhsa_shared_vgpr_count 0
		.amdhsa_exception_fp_ieee_invalid_op 0
		.amdhsa_exception_fp_denorm_src 0
		.amdhsa_exception_fp_ieee_div_zero 0
		.amdhsa_exception_fp_ieee_overflow 0
		.amdhsa_exception_fp_ieee_underflow 0
		.amdhsa_exception_fp_ieee_inexact 0
		.amdhsa_exception_int_div_zero 0
	.end_amdhsa_kernel
	.section	.text._ZN2at6native29vectorized_elementwise_kernelILi4EZZZNS0_21clamp_max_kernel_cudaERNS_18TensorIteratorBaseERKN3c106ScalarEENKUlvE_clEvENKUlvE2_clEvEUllE_St5arrayIPcLm2EEEEviT0_T1_,"axG",@progbits,_ZN2at6native29vectorized_elementwise_kernelILi4EZZZNS0_21clamp_max_kernel_cudaERNS_18TensorIteratorBaseERKN3c106ScalarEENKUlvE_clEvENKUlvE2_clEvEUllE_St5arrayIPcLm2EEEEviT0_T1_,comdat
.Lfunc_end444:
	.size	_ZN2at6native29vectorized_elementwise_kernelILi4EZZZNS0_21clamp_max_kernel_cudaERNS_18TensorIteratorBaseERKN3c106ScalarEENKUlvE_clEvENKUlvE2_clEvEUllE_St5arrayIPcLm2EEEEviT0_T1_, .Lfunc_end444-_ZN2at6native29vectorized_elementwise_kernelILi4EZZZNS0_21clamp_max_kernel_cudaERNS_18TensorIteratorBaseERKN3c106ScalarEENKUlvE_clEvENKUlvE2_clEvEUllE_St5arrayIPcLm2EEEEviT0_T1_
                                        ; -- End function
	.section	.AMDGPU.csdata,"",@progbits
; Kernel info:
; codeLenInByte = 1040
; NumSgprs: 18
; NumVgprs: 16
; ScratchSize: 0
; MemoryBound: 0
; FloatMode: 240
; IeeeMode: 1
; LDSByteSize: 0 bytes/workgroup (compile time only)
; SGPRBlocks: 2
; VGPRBlocks: 1
; NumSGPRsForWavesPerEU: 18
; NumVGPRsForWavesPerEU: 16
; Occupancy: 16
; WaveLimiterHint : 0
; COMPUTE_PGM_RSRC2:SCRATCH_EN: 0
; COMPUTE_PGM_RSRC2:USER_SGPR: 15
; COMPUTE_PGM_RSRC2:TRAP_HANDLER: 0
; COMPUTE_PGM_RSRC2:TGID_X_EN: 1
; COMPUTE_PGM_RSRC2:TGID_Y_EN: 0
; COMPUTE_PGM_RSRC2:TGID_Z_EN: 0
; COMPUTE_PGM_RSRC2:TIDIG_COMP_CNT: 0
	.section	.text._ZN2at6native29vectorized_elementwise_kernelILi2EZZZNS0_21clamp_max_kernel_cudaERNS_18TensorIteratorBaseERKN3c106ScalarEENKUlvE_clEvENKUlvE2_clEvEUllE_St5arrayIPcLm2EEEEviT0_T1_,"axG",@progbits,_ZN2at6native29vectorized_elementwise_kernelILi2EZZZNS0_21clamp_max_kernel_cudaERNS_18TensorIteratorBaseERKN3c106ScalarEENKUlvE_clEvENKUlvE2_clEvEUllE_St5arrayIPcLm2EEEEviT0_T1_,comdat
	.globl	_ZN2at6native29vectorized_elementwise_kernelILi2EZZZNS0_21clamp_max_kernel_cudaERNS_18TensorIteratorBaseERKN3c106ScalarEENKUlvE_clEvENKUlvE2_clEvEUllE_St5arrayIPcLm2EEEEviT0_T1_ ; -- Begin function _ZN2at6native29vectorized_elementwise_kernelILi2EZZZNS0_21clamp_max_kernel_cudaERNS_18TensorIteratorBaseERKN3c106ScalarEENKUlvE_clEvENKUlvE2_clEvEUllE_St5arrayIPcLm2EEEEviT0_T1_
	.p2align	8
	.type	_ZN2at6native29vectorized_elementwise_kernelILi2EZZZNS0_21clamp_max_kernel_cudaERNS_18TensorIteratorBaseERKN3c106ScalarEENKUlvE_clEvENKUlvE2_clEvEUllE_St5arrayIPcLm2EEEEviT0_T1_,@function
_ZN2at6native29vectorized_elementwise_kernelILi2EZZZNS0_21clamp_max_kernel_cudaERNS_18TensorIteratorBaseERKN3c106ScalarEENKUlvE_clEvENKUlvE2_clEvEUllE_St5arrayIPcLm2EEEEviT0_T1_: ; @_ZN2at6native29vectorized_elementwise_kernelILi2EZZZNS0_21clamp_max_kernel_cudaERNS_18TensorIteratorBaseERKN3c106ScalarEENKUlvE_clEvENKUlvE2_clEvEUllE_St5arrayIPcLm2EEEEviT0_T1_
; %bb.0:
	s_clause 0x2
	s_load_b32 s2, s[0:1], 0x0
	s_load_b128 s[4:7], s[0:1], 0x8
	s_load_b64 s[10:11], s[0:1], 0x18
	s_lshl_b32 s8, s15, 10
	s_mov_b32 s0, -1
	s_waitcnt lgkmcnt(0)
	s_sub_i32 s12, s2, s8
	s_delay_alu instid0(SALU_CYCLE_1)
	s_cmpk_gt_i32 s12, 0x3ff
	s_cbranch_scc0 .LBB445_2
; %bb.1:
	s_ashr_i32 s9, s8, 31
	v_lshlrev_b32_e32 v11, 4, v0
	s_lshl_b64 s[0:1], s[8:9], 3
	s_delay_alu instid0(SALU_CYCLE_1) | instskip(SKIP_1) | instid1(VALU_DEP_1)
	s_add_u32 s2, s10, s0
	s_addc_u32 s3, s11, s1
	v_add_co_u32 v1, s9, s2, v11
	s_delay_alu instid0(VALU_DEP_1) | instskip(SKIP_1) | instid1(VALU_DEP_2)
	v_add_co_ci_u32_e64 v2, null, s3, 0, s9
	s_add_u32 s14, s6, s0
	v_add_co_u32 v5, vcc_lo, 0x1000, v1
	s_delay_alu instid0(VALU_DEP_2)
	v_add_co_ci_u32_e32 v6, vcc_lo, 0, v2, vcc_lo
	s_addc_u32 s15, s7, s1
	s_clause 0x1
	global_load_b128 v[1:4], v11, s[2:3]
	global_load_b128 v[5:8], v[5:6], off
	s_waitcnt vmcnt(1)
	v_cmp_gt_i64_e32 vcc_lo, s[4:5], v[1:2]
	s_waitcnt vmcnt(0)
	v_cmp_gt_i64_e64 s1, s[4:5], v[5:6]
	v_cmp_gt_i64_e64 s2, s[4:5], v[7:8]
	v_cndmask_b32_e32 v2, s5, v2, vcc_lo
	v_add_co_u32 v9, s0, s14, v11
	s_delay_alu instid0(VALU_DEP_1) | instskip(SKIP_2) | instid1(VALU_DEP_4)
	v_add_co_ci_u32_e64 v10, null, s15, 0, s0
	v_cmp_gt_i64_e64 s0, s[4:5], v[3:4]
	v_cndmask_b32_e32 v1, s4, v1, vcc_lo
	v_add_co_u32 v9, vcc_lo, 0x1000, v9
	v_cndmask_b32_e64 v6, s5, v6, s1
	v_cndmask_b32_e64 v8, s5, v8, s2
	v_cndmask_b32_e64 v4, s5, v4, s0
	v_cndmask_b32_e64 v3, s4, v3, s0
	v_cndmask_b32_e64 v5, s4, v5, s1
	v_cndmask_b32_e64 v7, s4, v7, s2
	v_add_co_ci_u32_e32 v10, vcc_lo, 0, v10, vcc_lo
	s_mov_b32 s0, 0
	s_clause 0x1
	global_store_b128 v11, v[1:4], s[14:15]
	global_store_b128 v[9:10], v[5:8], off
.LBB445_2:
	s_and_not1_b32 vcc_lo, exec_lo, s0
	s_cbranch_vccnz .LBB445_16
; %bb.3:
	v_dual_mov_b32 v3, 0 :: v_dual_mov_b32 v2, v0
	v_mov_b32_e32 v4, 0
	v_cmp_gt_i32_e32 vcc_lo, s12, v0
	v_or_b32_e32 v1, s8, v0
	v_or_b32_e32 v15, 0x100, v0
	s_delay_alu instid0(VALU_DEP_4)
	v_dual_mov_b32 v6, v4 :: v_dual_mov_b32 v5, v3
	s_and_saveexec_b32 s1, vcc_lo
	s_cbranch_execz .LBB445_5
; %bb.4:
	v_mov_b32_e32 v2, 0
	s_delay_alu instid0(VALU_DEP_1) | instskip(SKIP_1) | instid1(VALU_DEP_2)
	v_lshlrev_b64 v[5:6], 3, v[1:2]
	v_or_b32_e32 v2, 0x100, v0
	v_add_co_u32 v5, s0, s10, v5
	s_delay_alu instid0(VALU_DEP_1)
	v_add_co_ci_u32_e64 v6, s0, s11, v6, s0
	global_load_b64 v[5:6], v[5:6], off
.LBB445_5:
	s_or_b32 exec_lo, exec_lo, s1
	s_delay_alu instid0(SALU_CYCLE_1)
	s_mov_b32 s1, exec_lo
	v_cmpx_gt_i32_e64 s12, v2
	s_cbranch_execz .LBB445_7
; %bb.6:
	v_dual_mov_b32 v4, 0 :: v_dual_add_nc_u32 v3, s8, v2
	v_add_nc_u32_e32 v2, 0x100, v2
	s_delay_alu instid0(VALU_DEP_2) | instskip(NEXT) | instid1(VALU_DEP_1)
	v_lshlrev_b64 v[3:4], 3, v[3:4]
	v_add_co_u32 v3, s0, s10, v3
	s_delay_alu instid0(VALU_DEP_1)
	v_add_co_ci_u32_e64 v4, s0, s11, v4, s0
	global_load_b64 v[3:4], v[3:4], off
.LBB445_7:
	s_or_b32 exec_lo, exec_lo, s1
	v_mov_b32_e32 v7, 0
	v_mov_b32_e32 v8, 0
	s_mov_b32 s1, exec_lo
	s_delay_alu instid0(VALU_DEP_1)
	v_dual_mov_b32 v12, v8 :: v_dual_mov_b32 v11, v7
	v_cmpx_gt_i32_e64 s12, v2
	s_cbranch_execz .LBB445_9
; %bb.8:
	v_dual_mov_b32 v10, 0 :: v_dual_add_nc_u32 v9, s8, v2
	v_add_nc_u32_e32 v2, 0x100, v2
	s_delay_alu instid0(VALU_DEP_2) | instskip(NEXT) | instid1(VALU_DEP_1)
	v_lshlrev_b64 v[9:10], 3, v[9:10]
	v_add_co_u32 v9, s0, s10, v9
	s_delay_alu instid0(VALU_DEP_1)
	v_add_co_ci_u32_e64 v10, s0, s11, v10, s0
	global_load_b64 v[11:12], v[9:10], off
.LBB445_9:
	s_or_b32 exec_lo, exec_lo, s1
	s_delay_alu instid0(SALU_CYCLE_1)
	s_mov_b32 s1, exec_lo
	v_cmpx_gt_i32_e64 s12, v2
	s_cbranch_execz .LBB445_11
; %bb.10:
	v_dual_mov_b32 v8, 0 :: v_dual_add_nc_u32 v7, s8, v2
	s_delay_alu instid0(VALU_DEP_1) | instskip(NEXT) | instid1(VALU_DEP_1)
	v_lshlrev_b64 v[7:8], 3, v[7:8]
	v_add_co_u32 v7, s0, s10, v7
	s_delay_alu instid0(VALU_DEP_1)
	v_add_co_ci_u32_e64 v8, s0, s11, v8, s0
	global_load_b64 v[7:8], v[7:8], off
.LBB445_11:
	s_or_b32 exec_lo, exec_lo, s1
	s_waitcnt vmcnt(0)
	v_cmp_gt_i64_e64 s0, s[4:5], v[5:6]
	v_cmp_gt_i64_e64 s1, s[4:5], v[3:4]
	;; [unrolled: 1-line block ×4, first 2 shown]
	s_delay_alu instid0(VALU_DEP_4) | instskip(NEXT) | instid1(VALU_DEP_4)
	v_cndmask_b32_e64 v14, s5, v6, s0
	v_cndmask_b32_e64 v10, s5, v4, s1
	;; [unrolled: 1-line block ×8, first 2 shown]
	s_and_saveexec_b32 s0, vcc_lo
	s_cbranch_execnz .LBB445_17
; %bb.12:
	s_or_b32 exec_lo, exec_lo, s0
	s_delay_alu instid0(SALU_CYCLE_1)
	s_mov_b32 s0, exec_lo
	v_cmpx_gt_i32_e64 s12, v0
	s_cbranch_execnz .LBB445_18
.LBB445_13:
	s_or_b32 exec_lo, exec_lo, s0
	s_delay_alu instid0(SALU_CYCLE_1)
	s_mov_b32 s0, exec_lo
	v_cmpx_gt_i32_e64 s12, v0
	s_cbranch_execnz .LBB445_19
.LBB445_14:
	s_or_b32 exec_lo, exec_lo, s0
	s_delay_alu instid0(SALU_CYCLE_1)
	s_mov_b32 s0, exec_lo
	v_cmpx_gt_i32_e64 s12, v0
	s_cbranch_execz .LBB445_16
.LBB445_15:
	v_dual_mov_b32 v1, 0 :: v_dual_add_nc_u32 v0, s8, v0
	s_delay_alu instid0(VALU_DEP_1) | instskip(NEXT) | instid1(VALU_DEP_1)
	v_lshlrev_b64 v[0:1], 3, v[0:1]
	v_add_co_u32 v0, vcc_lo, s6, v0
	s_delay_alu instid0(VALU_DEP_2)
	v_add_co_ci_u32_e32 v1, vcc_lo, s7, v1, vcc_lo
	global_store_b64 v[0:1], v[3:4], off
.LBB445_16:
	s_nop 0
	s_sendmsg sendmsg(MSG_DEALLOC_VGPRS)
	s_endpgm
.LBB445_17:
	v_mov_b32_e32 v2, 0
	s_delay_alu instid0(VALU_DEP_1) | instskip(NEXT) | instid1(VALU_DEP_1)
	v_lshlrev_b64 v[0:1], 3, v[1:2]
	v_add_co_u32 v7, vcc_lo, s6, v0
	s_delay_alu instid0(VALU_DEP_2) | instskip(SKIP_3) | instid1(SALU_CYCLE_1)
	v_add_co_ci_u32_e32 v8, vcc_lo, s7, v1, vcc_lo
	v_mov_b32_e32 v0, v15
	global_store_b64 v[7:8], v[13:14], off
	s_or_b32 exec_lo, exec_lo, s0
	s_mov_b32 s0, exec_lo
	v_cmpx_gt_i32_e64 s12, v0
	s_cbranch_execz .LBB445_13
.LBB445_18:
	v_dual_mov_b32 v2, 0 :: v_dual_add_nc_u32 v1, s8, v0
	v_add_nc_u32_e32 v0, 0x100, v0
	s_delay_alu instid0(VALU_DEP_2) | instskip(NEXT) | instid1(VALU_DEP_1)
	v_lshlrev_b64 v[1:2], 3, v[1:2]
	v_add_co_u32 v1, vcc_lo, s6, v1
	s_delay_alu instid0(VALU_DEP_2) | instskip(SKIP_2) | instid1(SALU_CYCLE_1)
	v_add_co_ci_u32_e32 v2, vcc_lo, s7, v2, vcc_lo
	global_store_b64 v[1:2], v[9:10], off
	s_or_b32 exec_lo, exec_lo, s0
	s_mov_b32 s0, exec_lo
	v_cmpx_gt_i32_e64 s12, v0
	s_cbranch_execz .LBB445_14
.LBB445_19:
	v_dual_mov_b32 v2, 0 :: v_dual_add_nc_u32 v1, s8, v0
	v_add_nc_u32_e32 v0, 0x100, v0
	s_delay_alu instid0(VALU_DEP_2) | instskip(NEXT) | instid1(VALU_DEP_1)
	v_lshlrev_b64 v[1:2], 3, v[1:2]
	v_add_co_u32 v1, vcc_lo, s6, v1
	s_delay_alu instid0(VALU_DEP_2) | instskip(SKIP_2) | instid1(SALU_CYCLE_1)
	v_add_co_ci_u32_e32 v2, vcc_lo, s7, v2, vcc_lo
	global_store_b64 v[1:2], v[5:6], off
	s_or_b32 exec_lo, exec_lo, s0
	s_mov_b32 s0, exec_lo
	v_cmpx_gt_i32_e64 s12, v0
	s_cbranch_execnz .LBB445_15
	s_branch .LBB445_16
	.section	.rodata,"a",@progbits
	.p2align	6, 0x0
	.amdhsa_kernel _ZN2at6native29vectorized_elementwise_kernelILi2EZZZNS0_21clamp_max_kernel_cudaERNS_18TensorIteratorBaseERKN3c106ScalarEENKUlvE_clEvENKUlvE2_clEvEUllE_St5arrayIPcLm2EEEEviT0_T1_
		.amdhsa_group_segment_fixed_size 0
		.amdhsa_private_segment_fixed_size 0
		.amdhsa_kernarg_size 32
		.amdhsa_user_sgpr_count 15
		.amdhsa_user_sgpr_dispatch_ptr 0
		.amdhsa_user_sgpr_queue_ptr 0
		.amdhsa_user_sgpr_kernarg_segment_ptr 1
		.amdhsa_user_sgpr_dispatch_id 0
		.amdhsa_user_sgpr_private_segment_size 0
		.amdhsa_wavefront_size32 1
		.amdhsa_uses_dynamic_stack 0
		.amdhsa_enable_private_segment 0
		.amdhsa_system_sgpr_workgroup_id_x 1
		.amdhsa_system_sgpr_workgroup_id_y 0
		.amdhsa_system_sgpr_workgroup_id_z 0
		.amdhsa_system_sgpr_workgroup_info 0
		.amdhsa_system_vgpr_workitem_id 0
		.amdhsa_next_free_vgpr 16
		.amdhsa_next_free_sgpr 16
		.amdhsa_reserve_vcc 1
		.amdhsa_float_round_mode_32 0
		.amdhsa_float_round_mode_16_64 0
		.amdhsa_float_denorm_mode_32 3
		.amdhsa_float_denorm_mode_16_64 3
		.amdhsa_dx10_clamp 1
		.amdhsa_ieee_mode 1
		.amdhsa_fp16_overflow 0
		.amdhsa_workgroup_processor_mode 1
		.amdhsa_memory_ordered 1
		.amdhsa_forward_progress 0
		.amdhsa_shared_vgpr_count 0
		.amdhsa_exception_fp_ieee_invalid_op 0
		.amdhsa_exception_fp_denorm_src 0
		.amdhsa_exception_fp_ieee_div_zero 0
		.amdhsa_exception_fp_ieee_overflow 0
		.amdhsa_exception_fp_ieee_underflow 0
		.amdhsa_exception_fp_ieee_inexact 0
		.amdhsa_exception_int_div_zero 0
	.end_amdhsa_kernel
	.section	.text._ZN2at6native29vectorized_elementwise_kernelILi2EZZZNS0_21clamp_max_kernel_cudaERNS_18TensorIteratorBaseERKN3c106ScalarEENKUlvE_clEvENKUlvE2_clEvEUllE_St5arrayIPcLm2EEEEviT0_T1_,"axG",@progbits,_ZN2at6native29vectorized_elementwise_kernelILi2EZZZNS0_21clamp_max_kernel_cudaERNS_18TensorIteratorBaseERKN3c106ScalarEENKUlvE_clEvENKUlvE2_clEvEUllE_St5arrayIPcLm2EEEEviT0_T1_,comdat
.Lfunc_end445:
	.size	_ZN2at6native29vectorized_elementwise_kernelILi2EZZZNS0_21clamp_max_kernel_cudaERNS_18TensorIteratorBaseERKN3c106ScalarEENKUlvE_clEvENKUlvE2_clEvEUllE_St5arrayIPcLm2EEEEviT0_T1_, .Lfunc_end445-_ZN2at6native29vectorized_elementwise_kernelILi2EZZZNS0_21clamp_max_kernel_cudaERNS_18TensorIteratorBaseERKN3c106ScalarEENKUlvE_clEvENKUlvE2_clEvEUllE_St5arrayIPcLm2EEEEviT0_T1_
                                        ; -- End function
	.section	.AMDGPU.csdata,"",@progbits
; Kernel info:
; codeLenInByte = 1112
; NumSgprs: 18
; NumVgprs: 16
; ScratchSize: 0
; MemoryBound: 0
; FloatMode: 240
; IeeeMode: 1
; LDSByteSize: 0 bytes/workgroup (compile time only)
; SGPRBlocks: 2
; VGPRBlocks: 1
; NumSGPRsForWavesPerEU: 18
; NumVGPRsForWavesPerEU: 16
; Occupancy: 16
; WaveLimiterHint : 1
; COMPUTE_PGM_RSRC2:SCRATCH_EN: 0
; COMPUTE_PGM_RSRC2:USER_SGPR: 15
; COMPUTE_PGM_RSRC2:TRAP_HANDLER: 0
; COMPUTE_PGM_RSRC2:TGID_X_EN: 1
; COMPUTE_PGM_RSRC2:TGID_Y_EN: 0
; COMPUTE_PGM_RSRC2:TGID_Z_EN: 0
; COMPUTE_PGM_RSRC2:TIDIG_COMP_CNT: 0
	.section	.text._ZN2at6native27unrolled_elementwise_kernelIZZZNS0_21clamp_max_kernel_cudaERNS_18TensorIteratorBaseERKN3c106ScalarEENKUlvE_clEvENKUlvE2_clEvEUllE_St5arrayIPcLm2EELi4E23TrivialOffsetCalculatorILi1EjESF_NS0_6memory15LoadWithoutCastENSG_16StoreWithoutCastEEEviT_T0_T2_T3_T4_T5_,"axG",@progbits,_ZN2at6native27unrolled_elementwise_kernelIZZZNS0_21clamp_max_kernel_cudaERNS_18TensorIteratorBaseERKN3c106ScalarEENKUlvE_clEvENKUlvE2_clEvEUllE_St5arrayIPcLm2EELi4E23TrivialOffsetCalculatorILi1EjESF_NS0_6memory15LoadWithoutCastENSG_16StoreWithoutCastEEEviT_T0_T2_T3_T4_T5_,comdat
	.globl	_ZN2at6native27unrolled_elementwise_kernelIZZZNS0_21clamp_max_kernel_cudaERNS_18TensorIteratorBaseERKN3c106ScalarEENKUlvE_clEvENKUlvE2_clEvEUllE_St5arrayIPcLm2EELi4E23TrivialOffsetCalculatorILi1EjESF_NS0_6memory15LoadWithoutCastENSG_16StoreWithoutCastEEEviT_T0_T2_T3_T4_T5_ ; -- Begin function _ZN2at6native27unrolled_elementwise_kernelIZZZNS0_21clamp_max_kernel_cudaERNS_18TensorIteratorBaseERKN3c106ScalarEENKUlvE_clEvENKUlvE2_clEvEUllE_St5arrayIPcLm2EELi4E23TrivialOffsetCalculatorILi1EjESF_NS0_6memory15LoadWithoutCastENSG_16StoreWithoutCastEEEviT_T0_T2_T3_T4_T5_
	.p2align	8
	.type	_ZN2at6native27unrolled_elementwise_kernelIZZZNS0_21clamp_max_kernel_cudaERNS_18TensorIteratorBaseERKN3c106ScalarEENKUlvE_clEvENKUlvE2_clEvEUllE_St5arrayIPcLm2EELi4E23TrivialOffsetCalculatorILi1EjESF_NS0_6memory15LoadWithoutCastENSG_16StoreWithoutCastEEEviT_T0_T2_T3_T4_T5_,@function
_ZN2at6native27unrolled_elementwise_kernelIZZZNS0_21clamp_max_kernel_cudaERNS_18TensorIteratorBaseERKN3c106ScalarEENKUlvE_clEvENKUlvE2_clEvEUllE_St5arrayIPcLm2EELi4E23TrivialOffsetCalculatorILi1EjESF_NS0_6memory15LoadWithoutCastENSG_16StoreWithoutCastEEEviT_T0_T2_T3_T4_T5_: ; @_ZN2at6native27unrolled_elementwise_kernelIZZZNS0_21clamp_max_kernel_cudaERNS_18TensorIteratorBaseERKN3c106ScalarEENKUlvE_clEvENKUlvE2_clEvEUllE_St5arrayIPcLm2EELi4E23TrivialOffsetCalculatorILi1EjESF_NS0_6memory15LoadWithoutCastENSG_16StoreWithoutCastEEEviT_T0_T2_T3_T4_T5_
; %bb.0:
	s_clause 0x1
	s_load_b32 s2, s[0:1], 0x0
	s_load_b64 s[8:9], s[0:1], 0x18
	v_dual_mov_b32 v3, 0 :: v_dual_mov_b32 v2, v0
	v_mov_b32_e32 v4, 0
	s_lshl_b32 s10, s15, 10
	v_or_b32_e32 v15, 0x100, v0
	v_or_b32_e32 v1, s10, v0
	s_delay_alu instid0(VALU_DEP_3) | instskip(SKIP_2) | instid1(SALU_CYCLE_1)
	v_dual_mov_b32 v6, v4 :: v_dual_mov_b32 v5, v3
	s_waitcnt lgkmcnt(0)
	s_sub_i32 s11, s2, s10
	v_cmp_gt_i32_e32 vcc_lo, s11, v0
	s_and_saveexec_b32 s3, vcc_lo
	s_cbranch_execz .LBB446_2
; %bb.1:
	v_mov_b32_e32 v2, 0
	s_delay_alu instid0(VALU_DEP_1) | instskip(SKIP_1) | instid1(VALU_DEP_2)
	v_lshlrev_b64 v[5:6], 3, v[1:2]
	v_or_b32_e32 v2, 0x100, v0
	v_add_co_u32 v5, s2, s8, v5
	s_delay_alu instid0(VALU_DEP_1)
	v_add_co_ci_u32_e64 v6, s2, s9, v6, s2
	global_load_b64 v[5:6], v[5:6], off
.LBB446_2:
	s_or_b32 exec_lo, exec_lo, s3
	s_load_b128 s[4:7], s[0:1], 0x8
	s_mov_b32 s1, exec_lo
	v_cmpx_gt_i32_e64 s11, v2
	s_cbranch_execz .LBB446_4
; %bb.3:
	v_dual_mov_b32 v4, 0 :: v_dual_add_nc_u32 v3, s10, v2
	v_add_nc_u32_e32 v2, 0x100, v2
	s_delay_alu instid0(VALU_DEP_2) | instskip(NEXT) | instid1(VALU_DEP_1)
	v_lshlrev_b64 v[3:4], 3, v[3:4]
	v_add_co_u32 v3, s0, s8, v3
	s_delay_alu instid0(VALU_DEP_1)
	v_add_co_ci_u32_e64 v4, s0, s9, v4, s0
	global_load_b64 v[3:4], v[3:4], off
.LBB446_4:
	s_or_b32 exec_lo, exec_lo, s1
	v_mov_b32_e32 v7, 0
	v_mov_b32_e32 v8, 0
	s_mov_b32 s1, exec_lo
	s_delay_alu instid0(VALU_DEP_1)
	v_dual_mov_b32 v12, v8 :: v_dual_mov_b32 v11, v7
	v_cmpx_gt_i32_e64 s11, v2
	s_cbranch_execz .LBB446_6
; %bb.5:
	v_dual_mov_b32 v10, 0 :: v_dual_add_nc_u32 v9, s10, v2
	v_add_nc_u32_e32 v2, 0x100, v2
	s_delay_alu instid0(VALU_DEP_2) | instskip(NEXT) | instid1(VALU_DEP_1)
	v_lshlrev_b64 v[9:10], 3, v[9:10]
	v_add_co_u32 v9, s0, s8, v9
	s_delay_alu instid0(VALU_DEP_1)
	v_add_co_ci_u32_e64 v10, s0, s9, v10, s0
	global_load_b64 v[11:12], v[9:10], off
.LBB446_6:
	s_or_b32 exec_lo, exec_lo, s1
	s_delay_alu instid0(SALU_CYCLE_1)
	s_mov_b32 s1, exec_lo
	v_cmpx_gt_i32_e64 s11, v2
	s_cbranch_execz .LBB446_8
; %bb.7:
	v_dual_mov_b32 v8, 0 :: v_dual_add_nc_u32 v7, s10, v2
	s_delay_alu instid0(VALU_DEP_1) | instskip(NEXT) | instid1(VALU_DEP_1)
	v_lshlrev_b64 v[7:8], 3, v[7:8]
	v_add_co_u32 v7, s0, s8, v7
	s_delay_alu instid0(VALU_DEP_1)
	v_add_co_ci_u32_e64 v8, s0, s9, v8, s0
	global_load_b64 v[7:8], v[7:8], off
.LBB446_8:
	s_or_b32 exec_lo, exec_lo, s1
	s_waitcnt vmcnt(0) lgkmcnt(0)
	v_cmp_gt_i64_e64 s0, s[4:5], v[5:6]
	v_cmp_gt_i64_e64 s1, s[4:5], v[3:4]
	;; [unrolled: 1-line block ×4, first 2 shown]
	s_delay_alu instid0(VALU_DEP_4) | instskip(NEXT) | instid1(VALU_DEP_4)
	v_cndmask_b32_e64 v14, s5, v6, s0
	v_cndmask_b32_e64 v10, s5, v4, s1
	;; [unrolled: 1-line block ×8, first 2 shown]
	s_and_saveexec_b32 s0, vcc_lo
	s_cbranch_execnz .LBB446_13
; %bb.9:
	s_or_b32 exec_lo, exec_lo, s0
	s_delay_alu instid0(SALU_CYCLE_1)
	s_mov_b32 s0, exec_lo
	v_cmpx_gt_i32_e64 s11, v0
	s_cbranch_execnz .LBB446_14
.LBB446_10:
	s_or_b32 exec_lo, exec_lo, s0
	s_delay_alu instid0(SALU_CYCLE_1)
	s_mov_b32 s0, exec_lo
	v_cmpx_gt_i32_e64 s11, v0
	s_cbranch_execnz .LBB446_15
.LBB446_11:
	s_or_b32 exec_lo, exec_lo, s0
	s_delay_alu instid0(SALU_CYCLE_1)
	s_mov_b32 s0, exec_lo
	v_cmpx_gt_i32_e64 s11, v0
	s_cbranch_execnz .LBB446_16
.LBB446_12:
	s_nop 0
	s_sendmsg sendmsg(MSG_DEALLOC_VGPRS)
	s_endpgm
.LBB446_13:
	v_mov_b32_e32 v2, 0
	s_delay_alu instid0(VALU_DEP_1) | instskip(NEXT) | instid1(VALU_DEP_1)
	v_lshlrev_b64 v[0:1], 3, v[1:2]
	v_add_co_u32 v7, vcc_lo, s6, v0
	s_delay_alu instid0(VALU_DEP_2) | instskip(SKIP_3) | instid1(SALU_CYCLE_1)
	v_add_co_ci_u32_e32 v8, vcc_lo, s7, v1, vcc_lo
	v_mov_b32_e32 v0, v15
	global_store_b64 v[7:8], v[13:14], off
	s_or_b32 exec_lo, exec_lo, s0
	s_mov_b32 s0, exec_lo
	v_cmpx_gt_i32_e64 s11, v0
	s_cbranch_execz .LBB446_10
.LBB446_14:
	v_dual_mov_b32 v2, 0 :: v_dual_add_nc_u32 v1, s10, v0
	v_add_nc_u32_e32 v0, 0x100, v0
	s_delay_alu instid0(VALU_DEP_2) | instskip(NEXT) | instid1(VALU_DEP_1)
	v_lshlrev_b64 v[1:2], 3, v[1:2]
	v_add_co_u32 v1, vcc_lo, s6, v1
	s_delay_alu instid0(VALU_DEP_2) | instskip(SKIP_2) | instid1(SALU_CYCLE_1)
	v_add_co_ci_u32_e32 v2, vcc_lo, s7, v2, vcc_lo
	global_store_b64 v[1:2], v[9:10], off
	s_or_b32 exec_lo, exec_lo, s0
	s_mov_b32 s0, exec_lo
	v_cmpx_gt_i32_e64 s11, v0
	s_cbranch_execz .LBB446_11
.LBB446_15:
	v_dual_mov_b32 v2, 0 :: v_dual_add_nc_u32 v1, s10, v0
	v_add_nc_u32_e32 v0, 0x100, v0
	s_delay_alu instid0(VALU_DEP_2) | instskip(NEXT) | instid1(VALU_DEP_1)
	v_lshlrev_b64 v[1:2], 3, v[1:2]
	v_add_co_u32 v1, vcc_lo, s6, v1
	s_delay_alu instid0(VALU_DEP_2) | instskip(SKIP_2) | instid1(SALU_CYCLE_1)
	v_add_co_ci_u32_e32 v2, vcc_lo, s7, v2, vcc_lo
	global_store_b64 v[1:2], v[5:6], off
	s_or_b32 exec_lo, exec_lo, s0
	s_mov_b32 s0, exec_lo
	v_cmpx_gt_i32_e64 s11, v0
	s_cbranch_execz .LBB446_12
.LBB446_16:
	v_dual_mov_b32 v1, 0 :: v_dual_add_nc_u32 v0, s10, v0
	s_delay_alu instid0(VALU_DEP_1) | instskip(NEXT) | instid1(VALU_DEP_1)
	v_lshlrev_b64 v[0:1], 3, v[0:1]
	v_add_co_u32 v0, vcc_lo, s6, v0
	s_delay_alu instid0(VALU_DEP_2)
	v_add_co_ci_u32_e32 v1, vcc_lo, s7, v1, vcc_lo
	global_store_b64 v[0:1], v[3:4], off
	s_nop 0
	s_sendmsg sendmsg(MSG_DEALLOC_VGPRS)
	s_endpgm
	.section	.rodata,"a",@progbits
	.p2align	6, 0x0
	.amdhsa_kernel _ZN2at6native27unrolled_elementwise_kernelIZZZNS0_21clamp_max_kernel_cudaERNS_18TensorIteratorBaseERKN3c106ScalarEENKUlvE_clEvENKUlvE2_clEvEUllE_St5arrayIPcLm2EELi4E23TrivialOffsetCalculatorILi1EjESF_NS0_6memory15LoadWithoutCastENSG_16StoreWithoutCastEEEviT_T0_T2_T3_T4_T5_
		.amdhsa_group_segment_fixed_size 0
		.amdhsa_private_segment_fixed_size 0
		.amdhsa_kernarg_size 36
		.amdhsa_user_sgpr_count 15
		.amdhsa_user_sgpr_dispatch_ptr 0
		.amdhsa_user_sgpr_queue_ptr 0
		.amdhsa_user_sgpr_kernarg_segment_ptr 1
		.amdhsa_user_sgpr_dispatch_id 0
		.amdhsa_user_sgpr_private_segment_size 0
		.amdhsa_wavefront_size32 1
		.amdhsa_uses_dynamic_stack 0
		.amdhsa_enable_private_segment 0
		.amdhsa_system_sgpr_workgroup_id_x 1
		.amdhsa_system_sgpr_workgroup_id_y 0
		.amdhsa_system_sgpr_workgroup_id_z 0
		.amdhsa_system_sgpr_workgroup_info 0
		.amdhsa_system_vgpr_workitem_id 0
		.amdhsa_next_free_vgpr 16
		.amdhsa_next_free_sgpr 16
		.amdhsa_reserve_vcc 1
		.amdhsa_float_round_mode_32 0
		.amdhsa_float_round_mode_16_64 0
		.amdhsa_float_denorm_mode_32 3
		.amdhsa_float_denorm_mode_16_64 3
		.amdhsa_dx10_clamp 1
		.amdhsa_ieee_mode 1
		.amdhsa_fp16_overflow 0
		.amdhsa_workgroup_processor_mode 1
		.amdhsa_memory_ordered 1
		.amdhsa_forward_progress 0
		.amdhsa_shared_vgpr_count 0
		.amdhsa_exception_fp_ieee_invalid_op 0
		.amdhsa_exception_fp_denorm_src 0
		.amdhsa_exception_fp_ieee_div_zero 0
		.amdhsa_exception_fp_ieee_overflow 0
		.amdhsa_exception_fp_ieee_underflow 0
		.amdhsa_exception_fp_ieee_inexact 0
		.amdhsa_exception_int_div_zero 0
	.end_amdhsa_kernel
	.section	.text._ZN2at6native27unrolled_elementwise_kernelIZZZNS0_21clamp_max_kernel_cudaERNS_18TensorIteratorBaseERKN3c106ScalarEENKUlvE_clEvENKUlvE2_clEvEUllE_St5arrayIPcLm2EELi4E23TrivialOffsetCalculatorILi1EjESF_NS0_6memory15LoadWithoutCastENSG_16StoreWithoutCastEEEviT_T0_T2_T3_T4_T5_,"axG",@progbits,_ZN2at6native27unrolled_elementwise_kernelIZZZNS0_21clamp_max_kernel_cudaERNS_18TensorIteratorBaseERKN3c106ScalarEENKUlvE_clEvENKUlvE2_clEvEUllE_St5arrayIPcLm2EELi4E23TrivialOffsetCalculatorILi1EjESF_NS0_6memory15LoadWithoutCastENSG_16StoreWithoutCastEEEviT_T0_T2_T3_T4_T5_,comdat
.Lfunc_end446:
	.size	_ZN2at6native27unrolled_elementwise_kernelIZZZNS0_21clamp_max_kernel_cudaERNS_18TensorIteratorBaseERKN3c106ScalarEENKUlvE_clEvENKUlvE2_clEvEUllE_St5arrayIPcLm2EELi4E23TrivialOffsetCalculatorILi1EjESF_NS0_6memory15LoadWithoutCastENSG_16StoreWithoutCastEEEviT_T0_T2_T3_T4_T5_, .Lfunc_end446-_ZN2at6native27unrolled_elementwise_kernelIZZZNS0_21clamp_max_kernel_cudaERNS_18TensorIteratorBaseERKN3c106ScalarEENKUlvE_clEvENKUlvE2_clEvEUllE_St5arrayIPcLm2EELi4E23TrivialOffsetCalculatorILi1EjESF_NS0_6memory15LoadWithoutCastENSG_16StoreWithoutCastEEEviT_T0_T2_T3_T4_T5_
                                        ; -- End function
	.section	.AMDGPU.csdata,"",@progbits
; Kernel info:
; codeLenInByte = 848
; NumSgprs: 18
; NumVgprs: 16
; ScratchSize: 0
; MemoryBound: 0
; FloatMode: 240
; IeeeMode: 1
; LDSByteSize: 0 bytes/workgroup (compile time only)
; SGPRBlocks: 2
; VGPRBlocks: 1
; NumSGPRsForWavesPerEU: 18
; NumVGPRsForWavesPerEU: 16
; Occupancy: 16
; WaveLimiterHint : 0
; COMPUTE_PGM_RSRC2:SCRATCH_EN: 0
; COMPUTE_PGM_RSRC2:USER_SGPR: 15
; COMPUTE_PGM_RSRC2:TRAP_HANDLER: 0
; COMPUTE_PGM_RSRC2:TGID_X_EN: 1
; COMPUTE_PGM_RSRC2:TGID_Y_EN: 0
; COMPUTE_PGM_RSRC2:TGID_Z_EN: 0
; COMPUTE_PGM_RSRC2:TIDIG_COMP_CNT: 0
	.section	.text._ZN2at6native32elementwise_kernel_manual_unrollILi128ELi4EZNS0_22gpu_kernel_impl_nocastIZZZNS0_21clamp_max_kernel_cudaERNS_18TensorIteratorBaseERKN3c106ScalarEENKUlvE_clEvENKUlvE2_clEvEUllE_EEvS4_RKT_EUlibE_EEviT1_,"axG",@progbits,_ZN2at6native32elementwise_kernel_manual_unrollILi128ELi4EZNS0_22gpu_kernel_impl_nocastIZZZNS0_21clamp_max_kernel_cudaERNS_18TensorIteratorBaseERKN3c106ScalarEENKUlvE_clEvENKUlvE2_clEvEUllE_EEvS4_RKT_EUlibE_EEviT1_,comdat
	.globl	_ZN2at6native32elementwise_kernel_manual_unrollILi128ELi4EZNS0_22gpu_kernel_impl_nocastIZZZNS0_21clamp_max_kernel_cudaERNS_18TensorIteratorBaseERKN3c106ScalarEENKUlvE_clEvENKUlvE2_clEvEUllE_EEvS4_RKT_EUlibE_EEviT1_ ; -- Begin function _ZN2at6native32elementwise_kernel_manual_unrollILi128ELi4EZNS0_22gpu_kernel_impl_nocastIZZZNS0_21clamp_max_kernel_cudaERNS_18TensorIteratorBaseERKN3c106ScalarEENKUlvE_clEvENKUlvE2_clEvEUllE_EEvS4_RKT_EUlibE_EEviT1_
	.p2align	8
	.type	_ZN2at6native32elementwise_kernel_manual_unrollILi128ELi4EZNS0_22gpu_kernel_impl_nocastIZZZNS0_21clamp_max_kernel_cudaERNS_18TensorIteratorBaseERKN3c106ScalarEENKUlvE_clEvENKUlvE2_clEvEUllE_EEvS4_RKT_EUlibE_EEviT1_,@function
_ZN2at6native32elementwise_kernel_manual_unrollILi128ELi4EZNS0_22gpu_kernel_impl_nocastIZZZNS0_21clamp_max_kernel_cudaERNS_18TensorIteratorBaseERKN3c106ScalarEENKUlvE_clEvENKUlvE2_clEvEUllE_EEvS4_RKT_EUlibE_EEviT1_: ; @_ZN2at6native32elementwise_kernel_manual_unrollILi128ELi4EZNS0_22gpu_kernel_impl_nocastIZZZNS0_21clamp_max_kernel_cudaERNS_18TensorIteratorBaseERKN3c106ScalarEENKUlvE_clEvENKUlvE2_clEvEUllE_EEvS4_RKT_EUlibE_EEviT1_
; %bb.0:
	s_clause 0x1
	s_load_b32 s24, s[0:1], 0x8
	s_load_b32 s29, s[0:1], 0x0
	v_lshl_or_b32 v4, s15, 9, v0
	s_or_b32 s0, s0, 8
	s_mov_b32 s2, exec_lo
	s_delay_alu instid0(VALU_DEP_1) | instskip(SKIP_2) | instid1(SALU_CYCLE_1)
	v_or_b32_e32 v8, 0x180, v4
	s_waitcnt lgkmcnt(0)
	s_add_i32 s25, s24, -1
	s_cmp_gt_u32 s25, 1
	s_cselect_b32 s26, -1, 0
	v_cmpx_le_i32_e64 s29, v8
	s_xor_b32 s27, exec_lo, s2
	s_cbranch_execz .LBB447_7
; %bb.1:
	s_clause 0x4
	s_load_b128 s[8:11], s[0:1], 0x4
	s_load_b64 s[16:17], s[0:1], 0x14
	s_load_b64 s[2:3], s[0:1], 0x158
	s_load_b128 s[12:15], s[0:1], 0xc4
	s_load_b128 s[4:7], s[0:1], 0x148
	s_cmp_lg_u32 s24, 0
	s_mov_b32 s33, exec_lo
	s_cselect_b32 s31, -1, 0
	s_add_u32 s18, s0, 0xc4
	s_addc_u32 s19, s1, 0
	s_min_u32 s30, s25, 15
	s_cmp_gt_u32 s24, 1
	s_cselect_b32 s28, -1, 0
	v_cmpx_gt_i32_e64 s29, v4
	s_cbranch_execz .LBB447_14
; %bb.2:
	s_and_not1_b32 vcc_lo, exec_lo, s26
	s_cbranch_vccnz .LBB447_21
; %bb.3:
	v_dual_mov_b32 v0, 0 :: v_dual_mov_b32 v1, 0
	s_and_not1_b32 vcc_lo, exec_lo, s31
	s_mov_b32 s34, 0
	s_cbranch_vccnz .LBB447_73
; %bb.4:
	v_mov_b32_e32 v0, 0
	s_add_i32 s36, s30, 1
	s_cmp_eq_u32 s25, 2
	s_mov_b32 s35, 0
	s_cbranch_scc1 .LBB447_69
; %bb.5:
	v_dual_mov_b32 v1, 0 :: v_dual_mov_b32 v0, 0
	v_mov_b32_e32 v2, v4
	s_and_b32 s35, s36, 28
	s_mov_b32 s37, 0
	s_mov_b64 s[20:21], s[18:19]
	s_mov_b64 s[22:23], s[0:1]
.LBB447_6:                              ; =>This Inner Loop Header: Depth=1
	s_clause 0x1
	s_load_b256 s[40:47], s[22:23], 0x4
	s_load_b128 s[56:59], s[22:23], 0x24
	s_load_b256 s[48:55], s[20:21], 0x0
	s_add_u32 s22, s22, 48
	s_addc_u32 s23, s23, 0
	s_add_i32 s37, s37, 4
	s_add_u32 s20, s20, 32
	s_addc_u32 s21, s21, 0
	s_cmp_lg_u32 s35, s37
	s_waitcnt lgkmcnt(0)
	v_mul_hi_u32 v3, s41, v2
	s_delay_alu instid0(VALU_DEP_1) | instskip(NEXT) | instid1(VALU_DEP_1)
	v_add_nc_u32_e32 v3, v2, v3
	v_lshrrev_b32_e32 v3, s42, v3
	s_delay_alu instid0(VALU_DEP_1) | instskip(SKIP_1) | instid1(VALU_DEP_2)
	v_mul_hi_u32 v5, s44, v3
	v_mul_lo_u32 v7, v3, s40
	v_add_nc_u32_e32 v5, v3, v5
	s_delay_alu instid0(VALU_DEP_2) | instskip(NEXT) | instid1(VALU_DEP_2)
	v_sub_nc_u32_e32 v2, v2, v7
	v_lshrrev_b32_e32 v5, s45, v5
	s_delay_alu instid0(VALU_DEP_2) | instskip(SKIP_1) | instid1(VALU_DEP_3)
	v_mul_lo_u32 v7, v2, s48
	v_mul_lo_u32 v9, v2, s49
	v_mul_hi_u32 v6, s47, v5
	s_delay_alu instid0(VALU_DEP_1) | instskip(NEXT) | instid1(VALU_DEP_1)
	v_add_nc_u32_e32 v6, v5, v6
	v_lshrrev_b32_e32 v6, s56, v6
	s_delay_alu instid0(VALU_DEP_1) | instskip(SKIP_1) | instid1(VALU_DEP_2)
	v_mul_hi_u32 v8, s58, v6
	v_mul_lo_u32 v10, v6, s46
	v_add_nc_u32_e32 v2, v6, v8
	v_mul_lo_u32 v8, v5, s43
	s_delay_alu instid0(VALU_DEP_3) | instskip(NEXT) | instid1(VALU_DEP_3)
	v_sub_nc_u32_e32 v5, v5, v10
	v_lshrrev_b32_e32 v2, s59, v2
	s_delay_alu instid0(VALU_DEP_2) | instskip(SKIP_2) | instid1(VALU_DEP_4)
	v_mul_lo_u32 v10, v5, s52
	v_mul_lo_u32 v5, v5, s53
	v_sub_nc_u32_e32 v3, v3, v8
	v_mul_lo_u32 v11, v2, s57
	s_delay_alu instid0(VALU_DEP_2) | instskip(SKIP_1) | instid1(VALU_DEP_3)
	v_mul_lo_u32 v8, v3, s50
	v_mul_lo_u32 v3, v3, s51
	v_sub_nc_u32_e32 v6, v6, v11
	s_delay_alu instid0(VALU_DEP_3) | instskip(NEXT) | instid1(VALU_DEP_2)
	v_add3_u32 v0, v7, v0, v8
	v_mul_lo_u32 v11, v6, s54
	v_mul_lo_u32 v6, v6, s55
	v_add3_u32 v1, v9, v1, v3
	s_delay_alu instid0(VALU_DEP_3) | instskip(NEXT) | instid1(VALU_DEP_2)
	v_add3_u32 v0, v10, v0, v11
	v_add3_u32 v1, v5, v1, v6
	s_cbranch_scc1 .LBB447_6
	s_branch .LBB447_70
.LBB447_7:
	s_and_not1_saveexec_b32 s2, s27
	s_cbranch_execz .LBB447_94
.LBB447_8:
	v_cndmask_b32_e64 v6, 0, 1, s26
	s_and_not1_b32 vcc_lo, exec_lo, s26
	s_cbranch_vccnz .LBB447_20
; %bb.9:
	v_dual_mov_b32 v0, 0 :: v_dual_mov_b32 v1, 0
	s_cmp_lg_u32 s24, 0
	s_mov_b32 s6, 0
	s_cbranch_scc0 .LBB447_26
; %bb.10:
	s_min_u32 s7, s25, 15
	v_mov_b32_e32 v0, 0
	s_add_i32 s7, s7, 1
	s_cmp_eq_u32 s25, 2
	s_mov_b32 s8, 0
	s_cbranch_scc1 .LBB447_23
; %bb.11:
	v_dual_mov_b32 v1, 0 :: v_dual_mov_b32 v0, 0
	v_mov_b32_e32 v2, v4
	s_add_u32 s2, s0, 0xc4
	s_addc_u32 s3, s1, 0
	s_and_b32 s8, s7, 28
	s_mov_b32 s9, 0
	s_mov_b64 s[4:5], s[0:1]
.LBB447_12:                             ; =>This Inner Loop Header: Depth=1
	s_clause 0x1
	s_load_b256 s[12:19], s[4:5], 0x4
	s_load_b128 s[20:23], s[4:5], 0x24
	s_load_b256 s[36:43], s[2:3], 0x0
	s_add_u32 s4, s4, 48
	s_addc_u32 s5, s5, 0
	s_add_i32 s9, s9, 4
	s_add_u32 s2, s2, 32
	s_addc_u32 s3, s3, 0
	s_cmp_lg_u32 s8, s9
	s_waitcnt lgkmcnt(0)
	v_mul_hi_u32 v3, s13, v2
	s_delay_alu instid0(VALU_DEP_1) | instskip(NEXT) | instid1(VALU_DEP_1)
	v_add_nc_u32_e32 v3, v2, v3
	v_lshrrev_b32_e32 v3, s14, v3
	s_delay_alu instid0(VALU_DEP_1) | instskip(SKIP_1) | instid1(VALU_DEP_2)
	v_mul_hi_u32 v5, s16, v3
	v_mul_lo_u32 v9, v3, s12
	v_add_nc_u32_e32 v5, v3, v5
	s_delay_alu instid0(VALU_DEP_2) | instskip(NEXT) | instid1(VALU_DEP_2)
	v_sub_nc_u32_e32 v2, v2, v9
	v_lshrrev_b32_e32 v5, s17, v5
	s_delay_alu instid0(VALU_DEP_2) | instskip(SKIP_1) | instid1(VALU_DEP_3)
	v_mul_lo_u32 v9, v2, s36
	v_mul_lo_u32 v11, v2, s37
	v_mul_hi_u32 v7, s19, v5
	s_delay_alu instid0(VALU_DEP_1) | instskip(NEXT) | instid1(VALU_DEP_1)
	v_add_nc_u32_e32 v7, v5, v7
	v_lshrrev_b32_e32 v7, s20, v7
	s_delay_alu instid0(VALU_DEP_1) | instskip(SKIP_1) | instid1(VALU_DEP_2)
	v_mul_hi_u32 v10, s22, v7
	v_mul_lo_u32 v12, v7, s18
	v_add_nc_u32_e32 v2, v7, v10
	v_mul_lo_u32 v10, v5, s15
	s_delay_alu instid0(VALU_DEP_3) | instskip(NEXT) | instid1(VALU_DEP_3)
	v_sub_nc_u32_e32 v5, v5, v12
	v_lshrrev_b32_e32 v2, s23, v2
	s_delay_alu instid0(VALU_DEP_2) | instskip(SKIP_2) | instid1(VALU_DEP_4)
	v_mul_lo_u32 v12, v5, s40
	v_mul_lo_u32 v5, v5, s41
	v_sub_nc_u32_e32 v3, v3, v10
	v_mul_lo_u32 v13, v2, s21
	s_delay_alu instid0(VALU_DEP_2) | instskip(SKIP_1) | instid1(VALU_DEP_3)
	v_mul_lo_u32 v10, v3, s38
	v_mul_lo_u32 v3, v3, s39
	v_sub_nc_u32_e32 v7, v7, v13
	s_delay_alu instid0(VALU_DEP_3) | instskip(NEXT) | instid1(VALU_DEP_2)
	v_add3_u32 v0, v9, v0, v10
	v_mul_lo_u32 v13, v7, s42
	v_mul_lo_u32 v7, v7, s43
	v_add3_u32 v1, v11, v1, v3
	s_delay_alu instid0(VALU_DEP_3) | instskip(NEXT) | instid1(VALU_DEP_2)
	v_add3_u32 v0, v12, v0, v13
	v_add3_u32 v1, v5, v1, v7
	s_cbranch_scc1 .LBB447_12
; %bb.13:
	s_and_b32 s7, s7, 3
	s_delay_alu instid0(SALU_CYCLE_1)
	s_cmp_eq_u32 s7, 0
	s_cbranch_scc0 .LBB447_24
	s_branch .LBB447_26
.LBB447_14:
	s_or_b32 exec_lo, exec_lo, s33
	s_delay_alu instid0(SALU_CYCLE_1)
	s_mov_b32 s33, exec_lo
	v_cmpx_gt_i32_e64 s29, v4
	s_cbranch_execz .LBB447_77
.LBB447_15:
	s_and_not1_b32 vcc_lo, exec_lo, s26
	s_cbranch_vccnz .LBB447_22
; %bb.16:
	v_dual_mov_b32 v0, 0 :: v_dual_mov_b32 v1, 0
	s_and_not1_b32 vcc_lo, exec_lo, s31
	s_mov_b32 s34, 0
	s_cbranch_vccnz .LBB447_88
; %bb.17:
	v_mov_b32_e32 v0, 0
	s_add_i32 s36, s30, 1
	s_cmp_eq_u32 s25, 2
	s_mov_b32 s35, 0
	s_cbranch_scc1 .LBB447_84
; %bb.18:
	v_dual_mov_b32 v1, 0 :: v_dual_mov_b32 v0, 0
	v_mov_b32_e32 v2, v4
	s_and_b32 s35, s36, 28
	s_mov_b32 s37, 0
	s_mov_b64 s[20:21], s[18:19]
	s_mov_b64 s[22:23], s[0:1]
.LBB447_19:                             ; =>This Inner Loop Header: Depth=1
	s_clause 0x1
	s_load_b256 s[40:47], s[22:23], 0x4
	s_load_b128 s[56:59], s[22:23], 0x24
	s_load_b256 s[48:55], s[20:21], 0x0
	s_add_u32 s22, s22, 48
	s_addc_u32 s23, s23, 0
	s_add_i32 s37, s37, 4
	s_add_u32 s20, s20, 32
	s_addc_u32 s21, s21, 0
	s_cmp_eq_u32 s35, s37
	s_waitcnt lgkmcnt(0)
	v_mul_hi_u32 v3, s41, v2
	s_delay_alu instid0(VALU_DEP_1) | instskip(NEXT) | instid1(VALU_DEP_1)
	v_add_nc_u32_e32 v3, v2, v3
	v_lshrrev_b32_e32 v3, s42, v3
	s_delay_alu instid0(VALU_DEP_1) | instskip(SKIP_1) | instid1(VALU_DEP_2)
	v_mul_hi_u32 v5, s44, v3
	v_mul_lo_u32 v7, v3, s40
	v_add_nc_u32_e32 v5, v3, v5
	s_delay_alu instid0(VALU_DEP_2) | instskip(NEXT) | instid1(VALU_DEP_2)
	v_sub_nc_u32_e32 v2, v2, v7
	v_lshrrev_b32_e32 v5, s45, v5
	s_delay_alu instid0(VALU_DEP_2) | instskip(SKIP_1) | instid1(VALU_DEP_3)
	v_mul_lo_u32 v7, v2, s48
	v_mul_lo_u32 v9, v2, s49
	v_mul_hi_u32 v6, s47, v5
	s_delay_alu instid0(VALU_DEP_1) | instskip(NEXT) | instid1(VALU_DEP_1)
	v_add_nc_u32_e32 v6, v5, v6
	v_lshrrev_b32_e32 v6, s56, v6
	s_delay_alu instid0(VALU_DEP_1) | instskip(SKIP_1) | instid1(VALU_DEP_2)
	v_mul_hi_u32 v8, s58, v6
	v_mul_lo_u32 v10, v6, s46
	v_add_nc_u32_e32 v2, v6, v8
	v_mul_lo_u32 v8, v5, s43
	s_delay_alu instid0(VALU_DEP_3) | instskip(NEXT) | instid1(VALU_DEP_3)
	v_sub_nc_u32_e32 v5, v5, v10
	v_lshrrev_b32_e32 v2, s59, v2
	s_delay_alu instid0(VALU_DEP_2) | instskip(SKIP_2) | instid1(VALU_DEP_4)
	v_mul_lo_u32 v10, v5, s52
	v_mul_lo_u32 v5, v5, s53
	v_sub_nc_u32_e32 v3, v3, v8
	v_mul_lo_u32 v11, v2, s57
	s_delay_alu instid0(VALU_DEP_2) | instskip(SKIP_1) | instid1(VALU_DEP_3)
	v_mul_lo_u32 v8, v3, s50
	v_mul_lo_u32 v3, v3, s51
	v_sub_nc_u32_e32 v6, v6, v11
	s_delay_alu instid0(VALU_DEP_3) | instskip(NEXT) | instid1(VALU_DEP_2)
	v_add3_u32 v0, v7, v0, v8
	v_mul_lo_u32 v11, v6, s54
	v_mul_lo_u32 v6, v6, s55
	v_add3_u32 v1, v9, v1, v3
	s_delay_alu instid0(VALU_DEP_3) | instskip(NEXT) | instid1(VALU_DEP_2)
	v_add3_u32 v0, v10, v0, v11
	v_add3_u32 v1, v5, v1, v6
	s_cbranch_scc0 .LBB447_19
	s_branch .LBB447_85
.LBB447_20:
	s_mov_b32 s6, -1
                                        ; implicit-def: $vgpr0
                                        ; implicit-def: $vgpr1
	s_branch .LBB447_26
.LBB447_21:
	s_mov_b32 s34, -1
                                        ; implicit-def: $vgpr0
                                        ; implicit-def: $vgpr1
	s_branch .LBB447_73
.LBB447_22:
	s_mov_b32 s34, -1
                                        ; implicit-def: $vgpr0
                                        ; implicit-def: $vgpr1
	s_branch .LBB447_88
.LBB447_23:
	v_dual_mov_b32 v2, v4 :: v_dual_mov_b32 v1, 0
	s_and_b32 s7, s7, 3
	s_delay_alu instid0(SALU_CYCLE_1)
	s_cmp_eq_u32 s7, 0
	s_cbranch_scc1 .LBB447_26
.LBB447_24:
	s_lshl_b32 s2, s8, 3
	s_mul_i32 s4, s8, 12
	s_add_u32 s2, s2, s0
	s_addc_u32 s3, 0, s1
	s_add_u32 s2, s2, 0xc4
	s_addc_u32 s3, s3, 0
	;; [unrolled: 2-line block ×3, first 2 shown]
	.p2align	6
.LBB447_25:                             ; =>This Inner Loop Header: Depth=1
	s_clause 0x1
	s_load_b64 s[8:9], s[4:5], 0x4
	s_load_b32 s12, s[4:5], 0xc
	s_load_b64 s[10:11], s[2:3], 0x0
	s_add_u32 s4, s4, 12
	s_addc_u32 s5, s5, 0
	s_add_u32 s2, s2, 8
	s_addc_u32 s3, s3, 0
	s_add_i32 s7, s7, -1
	s_delay_alu instid0(SALU_CYCLE_1) | instskip(SKIP_2) | instid1(VALU_DEP_1)
	s_cmp_lg_u32 s7, 0
	s_waitcnt lgkmcnt(0)
	v_mul_hi_u32 v3, s9, v2
	v_add_nc_u32_e32 v3, v2, v3
	s_delay_alu instid0(VALU_DEP_1) | instskip(NEXT) | instid1(VALU_DEP_1)
	v_lshrrev_b32_e32 v3, s12, v3
	v_mul_lo_u32 v5, v3, s8
	s_delay_alu instid0(VALU_DEP_1) | instskip(NEXT) | instid1(VALU_DEP_1)
	v_sub_nc_u32_e32 v2, v2, v5
	v_mad_u64_u32 v[9:10], null, v2, s10, v[0:1]
	v_mad_u64_u32 v[10:11], null, v2, s11, v[1:2]
	v_mov_b32_e32 v2, v3
	s_delay_alu instid0(VALU_DEP_2)
	v_dual_mov_b32 v0, v9 :: v_dual_mov_b32 v1, v10
	s_cbranch_scc1 .LBB447_25
.LBB447_26:
	s_and_not1_b32 vcc_lo, exec_lo, s6
	s_cbranch_vccnz .LBB447_29
; %bb.27:
	s_clause 0x1
	s_load_b128 s[4:7], s[0:1], 0x4
	s_load_b64 s[2:3], s[0:1], 0xc4
	s_cmp_lt_u32 s24, 2
	s_waitcnt lgkmcnt(0)
	v_mul_hi_u32 v0, s5, v4
	s_delay_alu instid0(VALU_DEP_1) | instskip(NEXT) | instid1(VALU_DEP_1)
	v_add_nc_u32_e32 v0, v4, v0
	v_lshrrev_b32_e32 v2, s6, v0
	s_delay_alu instid0(VALU_DEP_1) | instskip(NEXT) | instid1(VALU_DEP_1)
	v_mul_lo_u32 v0, v2, s4
	v_sub_nc_u32_e32 v1, v4, v0
	s_delay_alu instid0(VALU_DEP_1)
	v_mul_lo_u32 v0, v1, s2
	v_mul_lo_u32 v1, v1, s3
	s_cbranch_scc1 .LBB447_29
; %bb.28:
	s_clause 0x1
	s_load_b128 s[4:7], s[0:1], 0x10
	s_load_b64 s[2:3], s[0:1], 0xcc
	s_waitcnt lgkmcnt(0)
	v_mul_hi_u32 v3, s5, v2
	s_delay_alu instid0(VALU_DEP_1) | instskip(NEXT) | instid1(VALU_DEP_1)
	v_add_nc_u32_e32 v3, v2, v3
	v_lshrrev_b32_e32 v3, s6, v3
	s_delay_alu instid0(VALU_DEP_1) | instskip(NEXT) | instid1(VALU_DEP_1)
	v_mul_lo_u32 v3, v3, s4
	v_sub_nc_u32_e32 v5, v2, v3
	s_delay_alu instid0(VALU_DEP_1) | instskip(NEXT) | instid1(VALU_DEP_1)
	v_mad_u64_u32 v[2:3], null, v5, s2, v[0:1]
	v_mad_u64_u32 v[9:10], null, v5, s3, v[1:2]
	s_delay_alu instid0(VALU_DEP_1)
	v_dual_mov_b32 v0, v2 :: v_dual_mov_b32 v1, v9
.LBB447_29:
	v_cmp_ne_u32_e32 vcc_lo, 1, v6
	v_add_nc_u32_e32 v5, 0x80, v4
	s_cbranch_vccnz .LBB447_35
; %bb.30:
	v_dual_mov_b32 v2, 0 :: v_dual_mov_b32 v3, 0
	s_cmp_lg_u32 s24, 0
	s_mov_b32 s6, 0
	s_cbranch_scc0 .LBB447_39
; %bb.31:
	s_min_u32 s7, s25, 15
	v_mov_b32_e32 v2, 0
	s_add_i32 s7, s7, 1
	s_cmp_eq_u32 s25, 2
	s_mov_b32 s8, 0
	s_cbranch_scc1 .LBB447_36
; %bb.32:
	v_dual_mov_b32 v3, 0 :: v_dual_mov_b32 v2, 0
	v_mov_b32_e32 v7, v5
	s_add_u32 s2, s0, 0xc4
	s_addc_u32 s3, s1, 0
	s_and_b32 s8, s7, 28
	s_mov_b32 s9, 0
	s_mov_b64 s[4:5], s[0:1]
.LBB447_33:                             ; =>This Inner Loop Header: Depth=1
	s_clause 0x1
	s_load_b256 s[12:19], s[4:5], 0x4
	s_load_b128 s[20:23], s[4:5], 0x24
	s_load_b256 s[36:43], s[2:3], 0x0
	s_add_u32 s4, s4, 48
	s_addc_u32 s5, s5, 0
	s_add_i32 s9, s9, 4
	s_add_u32 s2, s2, 32
	s_addc_u32 s3, s3, 0
	s_cmp_lg_u32 s8, s9
	s_waitcnt lgkmcnt(0)
	v_mul_hi_u32 v9, s13, v7
	s_delay_alu instid0(VALU_DEP_1) | instskip(NEXT) | instid1(VALU_DEP_1)
	v_add_nc_u32_e32 v9, v7, v9
	v_lshrrev_b32_e32 v9, s14, v9
	s_delay_alu instid0(VALU_DEP_1) | instskip(SKIP_1) | instid1(VALU_DEP_2)
	v_mul_hi_u32 v10, s16, v9
	v_mul_lo_u32 v12, v9, s12
	v_add_nc_u32_e32 v10, v9, v10
	s_delay_alu instid0(VALU_DEP_2) | instskip(NEXT) | instid1(VALU_DEP_2)
	v_sub_nc_u32_e32 v7, v7, v12
	v_lshrrev_b32_e32 v10, s17, v10
	s_delay_alu instid0(VALU_DEP_2) | instskip(SKIP_1) | instid1(VALU_DEP_3)
	v_mul_lo_u32 v12, v7, s36
	v_mul_lo_u32 v14, v7, s37
	v_mul_hi_u32 v11, s19, v10
	s_delay_alu instid0(VALU_DEP_1) | instskip(NEXT) | instid1(VALU_DEP_1)
	v_add_nc_u32_e32 v11, v10, v11
	v_lshrrev_b32_e32 v11, s20, v11
	s_delay_alu instid0(VALU_DEP_1) | instskip(SKIP_1) | instid1(VALU_DEP_2)
	v_mul_hi_u32 v13, s22, v11
	v_mul_lo_u32 v15, v11, s18
	v_add_nc_u32_e32 v7, v11, v13
	v_mul_lo_u32 v13, v10, s15
	s_delay_alu instid0(VALU_DEP_3) | instskip(NEXT) | instid1(VALU_DEP_3)
	v_sub_nc_u32_e32 v10, v10, v15
	v_lshrrev_b32_e32 v7, s23, v7
	s_delay_alu instid0(VALU_DEP_2) | instskip(SKIP_2) | instid1(VALU_DEP_4)
	v_mul_lo_u32 v15, v10, s40
	v_mul_lo_u32 v10, v10, s41
	v_sub_nc_u32_e32 v9, v9, v13
	v_mul_lo_u32 v16, v7, s21
	s_delay_alu instid0(VALU_DEP_2) | instskip(SKIP_1) | instid1(VALU_DEP_3)
	v_mul_lo_u32 v13, v9, s38
	v_mul_lo_u32 v9, v9, s39
	v_sub_nc_u32_e32 v11, v11, v16
	s_delay_alu instid0(VALU_DEP_3) | instskip(NEXT) | instid1(VALU_DEP_2)
	v_add3_u32 v2, v12, v2, v13
	v_mul_lo_u32 v16, v11, s42
	v_mul_lo_u32 v11, v11, s43
	v_add3_u32 v3, v14, v3, v9
	s_delay_alu instid0(VALU_DEP_3) | instskip(NEXT) | instid1(VALU_DEP_2)
	v_add3_u32 v2, v15, v2, v16
	v_add3_u32 v3, v10, v3, v11
	s_cbranch_scc1 .LBB447_33
; %bb.34:
	s_and_b32 s7, s7, 3
	s_delay_alu instid0(SALU_CYCLE_1)
	s_cmp_eq_u32 s7, 0
	s_cbranch_scc0 .LBB447_37
	s_branch .LBB447_39
.LBB447_35:
	s_mov_b32 s6, -1
                                        ; implicit-def: $vgpr2
                                        ; implicit-def: $vgpr3
	s_branch .LBB447_39
.LBB447_36:
	v_mov_b32_e32 v7, v5
	v_mov_b32_e32 v3, 0
	s_and_b32 s7, s7, 3
	s_delay_alu instid0(SALU_CYCLE_1)
	s_cmp_eq_u32 s7, 0
	s_cbranch_scc1 .LBB447_39
.LBB447_37:
	s_lshl_b32 s2, s8, 3
	s_mul_i32 s4, s8, 12
	s_add_u32 s2, s2, s0
	s_addc_u32 s3, 0, s1
	s_add_u32 s2, s2, 0xc4
	s_addc_u32 s3, s3, 0
	;; [unrolled: 2-line block ×3, first 2 shown]
	.p2align	6
.LBB447_38:                             ; =>This Inner Loop Header: Depth=1
	s_clause 0x1
	s_load_b64 s[8:9], s[4:5], 0x4
	s_load_b32 s12, s[4:5], 0xc
	s_load_b64 s[10:11], s[2:3], 0x0
	s_add_u32 s4, s4, 12
	s_addc_u32 s5, s5, 0
	s_add_u32 s2, s2, 8
	s_addc_u32 s3, s3, 0
	s_add_i32 s7, s7, -1
	s_delay_alu instid0(SALU_CYCLE_1) | instskip(SKIP_2) | instid1(VALU_DEP_1)
	s_cmp_lg_u32 s7, 0
	s_waitcnt lgkmcnt(0)
	v_mul_hi_u32 v9, s9, v7
	v_add_nc_u32_e32 v9, v7, v9
	s_delay_alu instid0(VALU_DEP_1) | instskip(NEXT) | instid1(VALU_DEP_1)
	v_lshrrev_b32_e32 v12, s12, v9
	v_mul_lo_u32 v9, v12, s8
	s_delay_alu instid0(VALU_DEP_1) | instskip(NEXT) | instid1(VALU_DEP_1)
	v_sub_nc_u32_e32 v7, v7, v9
	v_mad_u64_u32 v[9:10], null, v7, s10, v[2:3]
	v_mad_u64_u32 v[10:11], null, v7, s11, v[3:4]
	s_delay_alu instid0(VALU_DEP_2) | instskip(NEXT) | instid1(VALU_DEP_2)
	v_dual_mov_b32 v7, v12 :: v_dual_mov_b32 v2, v9
	v_mov_b32_e32 v3, v10
	s_cbranch_scc1 .LBB447_38
.LBB447_39:
	s_and_not1_b32 vcc_lo, exec_lo, s6
	s_cbranch_vccnz .LBB447_42
; %bb.40:
	s_clause 0x1
	s_load_b128 s[4:7], s[0:1], 0x4
	s_load_b64 s[2:3], s[0:1], 0xc4
	s_cmp_lt_u32 s24, 2
	s_waitcnt lgkmcnt(0)
	v_mul_hi_u32 v2, s5, v5
	s_delay_alu instid0(VALU_DEP_1) | instskip(NEXT) | instid1(VALU_DEP_1)
	v_add_nc_u32_e32 v2, v5, v2
	v_lshrrev_b32_e32 v7, s6, v2
	s_delay_alu instid0(VALU_DEP_1) | instskip(NEXT) | instid1(VALU_DEP_1)
	v_mul_lo_u32 v2, v7, s4
	v_sub_nc_u32_e32 v3, v5, v2
	s_delay_alu instid0(VALU_DEP_1)
	v_mul_lo_u32 v2, v3, s2
	v_mul_lo_u32 v3, v3, s3
	s_cbranch_scc1 .LBB447_42
; %bb.41:
	s_clause 0x1
	s_load_b128 s[4:7], s[0:1], 0x10
	s_load_b64 s[2:3], s[0:1], 0xcc
	s_waitcnt lgkmcnt(0)
	v_mul_hi_u32 v5, s5, v7
	s_delay_alu instid0(VALU_DEP_1) | instskip(NEXT) | instid1(VALU_DEP_1)
	v_add_nc_u32_e32 v5, v7, v5
	v_lshrrev_b32_e32 v5, s6, v5
	s_delay_alu instid0(VALU_DEP_1) | instskip(NEXT) | instid1(VALU_DEP_1)
	v_mul_lo_u32 v5, v5, s4
	v_sub_nc_u32_e32 v5, v7, v5
	s_delay_alu instid0(VALU_DEP_1) | instskip(SKIP_1) | instid1(VALU_DEP_1)
	v_mad_u64_u32 v[9:10], null, v5, s2, v[2:3]
	v_mad_u64_u32 v[10:11], null, v5, s3, v[3:4]
	v_dual_mov_b32 v2, v9 :: v_dual_mov_b32 v3, v10
.LBB447_42:
	v_cmp_ne_u32_e32 vcc_lo, 1, v6
	v_add_nc_u32_e32 v7, 0x100, v4
	s_cbranch_vccnz .LBB447_48
; %bb.43:
	v_dual_mov_b32 v4, 0 :: v_dual_mov_b32 v5, 0
	s_cmp_lg_u32 s24, 0
	s_mov_b32 s6, 0
	s_cbranch_scc0 .LBB447_52
; %bb.44:
	s_min_u32 s7, s25, 15
	v_mov_b32_e32 v4, 0
	s_add_i32 s7, s7, 1
	s_cmp_eq_u32 s25, 2
	s_mov_b32 s8, 0
	s_cbranch_scc1 .LBB447_49
; %bb.45:
	v_dual_mov_b32 v5, 0 :: v_dual_mov_b32 v4, 0
	v_mov_b32_e32 v9, v7
	s_add_u32 s2, s0, 0xc4
	s_addc_u32 s3, s1, 0
	s_and_b32 s8, s7, 28
	s_mov_b32 s9, 0
	s_mov_b64 s[4:5], s[0:1]
.LBB447_46:                             ; =>This Inner Loop Header: Depth=1
	s_clause 0x1
	s_load_b256 s[12:19], s[4:5], 0x4
	s_load_b128 s[20:23], s[4:5], 0x24
	s_load_b256 s[36:43], s[2:3], 0x0
	s_add_u32 s4, s4, 48
	s_addc_u32 s5, s5, 0
	s_add_i32 s9, s9, 4
	s_add_u32 s2, s2, 32
	s_addc_u32 s3, s3, 0
	s_cmp_lg_u32 s8, s9
	s_waitcnt lgkmcnt(0)
	v_mul_hi_u32 v10, s13, v9
	s_delay_alu instid0(VALU_DEP_1) | instskip(NEXT) | instid1(VALU_DEP_1)
	v_add_nc_u32_e32 v10, v9, v10
	v_lshrrev_b32_e32 v10, s14, v10
	s_delay_alu instid0(VALU_DEP_1) | instskip(SKIP_1) | instid1(VALU_DEP_2)
	v_mul_hi_u32 v11, s16, v10
	v_mul_lo_u32 v13, v10, s12
	v_add_nc_u32_e32 v11, v10, v11
	s_delay_alu instid0(VALU_DEP_2) | instskip(NEXT) | instid1(VALU_DEP_2)
	v_sub_nc_u32_e32 v9, v9, v13
	v_lshrrev_b32_e32 v11, s17, v11
	s_delay_alu instid0(VALU_DEP_2) | instskip(SKIP_1) | instid1(VALU_DEP_3)
	v_mul_lo_u32 v13, v9, s36
	v_mul_lo_u32 v15, v9, s37
	v_mul_hi_u32 v12, s19, v11
	s_delay_alu instid0(VALU_DEP_1) | instskip(NEXT) | instid1(VALU_DEP_1)
	v_add_nc_u32_e32 v12, v11, v12
	v_lshrrev_b32_e32 v12, s20, v12
	s_delay_alu instid0(VALU_DEP_1) | instskip(SKIP_1) | instid1(VALU_DEP_2)
	v_mul_hi_u32 v14, s22, v12
	v_mul_lo_u32 v16, v12, s18
	v_add_nc_u32_e32 v9, v12, v14
	v_mul_lo_u32 v14, v11, s15
	s_delay_alu instid0(VALU_DEP_3) | instskip(NEXT) | instid1(VALU_DEP_3)
	v_sub_nc_u32_e32 v11, v11, v16
	v_lshrrev_b32_e32 v9, s23, v9
	s_delay_alu instid0(VALU_DEP_2) | instskip(SKIP_2) | instid1(VALU_DEP_4)
	v_mul_lo_u32 v16, v11, s40
	v_mul_lo_u32 v11, v11, s41
	v_sub_nc_u32_e32 v10, v10, v14
	v_mul_lo_u32 v17, v9, s21
	s_delay_alu instid0(VALU_DEP_2) | instskip(SKIP_1) | instid1(VALU_DEP_3)
	v_mul_lo_u32 v14, v10, s38
	v_mul_lo_u32 v10, v10, s39
	v_sub_nc_u32_e32 v12, v12, v17
	s_delay_alu instid0(VALU_DEP_3) | instskip(NEXT) | instid1(VALU_DEP_2)
	v_add3_u32 v4, v13, v4, v14
	v_mul_lo_u32 v17, v12, s42
	v_mul_lo_u32 v12, v12, s43
	v_add3_u32 v5, v15, v5, v10
	s_delay_alu instid0(VALU_DEP_3) | instskip(NEXT) | instid1(VALU_DEP_2)
	v_add3_u32 v4, v16, v4, v17
	v_add3_u32 v5, v11, v5, v12
	s_cbranch_scc1 .LBB447_46
; %bb.47:
	s_and_b32 s7, s7, 3
	s_delay_alu instid0(SALU_CYCLE_1)
	s_cmp_eq_u32 s7, 0
	s_cbranch_scc0 .LBB447_50
	s_branch .LBB447_52
.LBB447_48:
	s_mov_b32 s6, -1
                                        ; implicit-def: $vgpr4
                                        ; implicit-def: $vgpr5
	s_branch .LBB447_52
.LBB447_49:
	v_mov_b32_e32 v9, v7
	v_mov_b32_e32 v5, 0
	s_and_b32 s7, s7, 3
	s_delay_alu instid0(SALU_CYCLE_1)
	s_cmp_eq_u32 s7, 0
	s_cbranch_scc1 .LBB447_52
.LBB447_50:
	s_lshl_b32 s2, s8, 3
	s_mul_i32 s4, s8, 12
	s_add_u32 s2, s2, s0
	s_addc_u32 s3, 0, s1
	s_add_u32 s2, s2, 0xc4
	s_addc_u32 s3, s3, 0
	;; [unrolled: 2-line block ×3, first 2 shown]
	.p2align	6
.LBB447_51:                             ; =>This Inner Loop Header: Depth=1
	s_clause 0x1
	s_load_b64 s[8:9], s[4:5], 0x4
	s_load_b32 s12, s[4:5], 0xc
	s_load_b64 s[10:11], s[2:3], 0x0
	s_add_u32 s4, s4, 12
	s_addc_u32 s5, s5, 0
	s_add_u32 s2, s2, 8
	s_addc_u32 s3, s3, 0
	s_add_i32 s7, s7, -1
	s_delay_alu instid0(SALU_CYCLE_1) | instskip(SKIP_2) | instid1(VALU_DEP_1)
	s_cmp_lg_u32 s7, 0
	s_waitcnt lgkmcnt(0)
	v_mul_hi_u32 v10, s9, v9
	v_add_nc_u32_e32 v10, v9, v10
	s_delay_alu instid0(VALU_DEP_1) | instskip(NEXT) | instid1(VALU_DEP_1)
	v_lshrrev_b32_e32 v13, s12, v10
	v_mul_lo_u32 v10, v13, s8
	s_delay_alu instid0(VALU_DEP_1) | instskip(NEXT) | instid1(VALU_DEP_1)
	v_sub_nc_u32_e32 v9, v9, v10
	v_mad_u64_u32 v[10:11], null, v9, s10, v[4:5]
	v_mad_u64_u32 v[11:12], null, v9, s11, v[5:6]
	s_delay_alu instid0(VALU_DEP_2) | instskip(NEXT) | instid1(VALU_DEP_2)
	v_dual_mov_b32 v9, v13 :: v_dual_mov_b32 v4, v10
	v_mov_b32_e32 v5, v11
	s_cbranch_scc1 .LBB447_51
.LBB447_52:
	s_and_not1_b32 vcc_lo, exec_lo, s6
	s_cbranch_vccnz .LBB447_55
; %bb.53:
	s_clause 0x1
	s_load_b128 s[4:7], s[0:1], 0x4
	s_load_b64 s[2:3], s[0:1], 0xc4
	s_cmp_lt_u32 s24, 2
	s_waitcnt lgkmcnt(0)
	v_mul_hi_u32 v4, s5, v7
	s_delay_alu instid0(VALU_DEP_1) | instskip(NEXT) | instid1(VALU_DEP_1)
	v_add_nc_u32_e32 v4, v7, v4
	v_lshrrev_b32_e32 v9, s6, v4
	s_delay_alu instid0(VALU_DEP_1) | instskip(NEXT) | instid1(VALU_DEP_1)
	v_mul_lo_u32 v4, v9, s4
	v_sub_nc_u32_e32 v5, v7, v4
	s_delay_alu instid0(VALU_DEP_1)
	v_mul_lo_u32 v4, v5, s2
	v_mul_lo_u32 v5, v5, s3
	s_cbranch_scc1 .LBB447_55
; %bb.54:
	s_clause 0x1
	s_load_b128 s[4:7], s[0:1], 0x10
	s_load_b64 s[2:3], s[0:1], 0xcc
	s_waitcnt lgkmcnt(0)
	v_mul_hi_u32 v7, s5, v9
	s_delay_alu instid0(VALU_DEP_1) | instskip(NEXT) | instid1(VALU_DEP_1)
	v_add_nc_u32_e32 v7, v9, v7
	v_lshrrev_b32_e32 v7, s6, v7
	s_delay_alu instid0(VALU_DEP_1) | instskip(NEXT) | instid1(VALU_DEP_1)
	v_mul_lo_u32 v7, v7, s4
	v_sub_nc_u32_e32 v7, v9, v7
	s_delay_alu instid0(VALU_DEP_1) | instskip(SKIP_1) | instid1(VALU_DEP_1)
	v_mad_u64_u32 v[9:10], null, v7, s2, v[4:5]
	v_mad_u64_u32 v[10:11], null, v7, s3, v[5:6]
	v_dual_mov_b32 v4, v9 :: v_dual_mov_b32 v5, v10
.LBB447_55:
	v_cmp_ne_u32_e32 vcc_lo, 1, v6
	s_cbranch_vccnz .LBB447_61
; %bb.56:
	v_dual_mov_b32 v6, 0 :: v_dual_mov_b32 v7, 0
	s_cmp_lg_u32 s24, 0
	s_mov_b32 s6, 0
	s_cbranch_scc0 .LBB447_65
; %bb.57:
	s_min_u32 s7, s25, 15
	v_mov_b32_e32 v6, 0
	s_add_i32 s7, s7, 1
	s_cmp_eq_u32 s25, 2
	s_mov_b32 s8, 0
	s_cbranch_scc1 .LBB447_62
; %bb.58:
	v_dual_mov_b32 v7, 0 :: v_dual_mov_b32 v6, 0
	v_mov_b32_e32 v9, v8
	s_add_u32 s2, s0, 0xc4
	s_addc_u32 s3, s1, 0
	s_and_b32 s8, s7, 28
	s_mov_b32 s9, 0
	s_mov_b64 s[4:5], s[0:1]
.LBB447_59:                             ; =>This Inner Loop Header: Depth=1
	s_clause 0x1
	s_load_b256 s[12:19], s[4:5], 0x4
	s_load_b128 s[20:23], s[4:5], 0x24
	s_load_b256 s[36:43], s[2:3], 0x0
	s_add_u32 s4, s4, 48
	s_addc_u32 s5, s5, 0
	s_add_i32 s9, s9, 4
	s_add_u32 s2, s2, 32
	s_addc_u32 s3, s3, 0
	s_cmp_lg_u32 s8, s9
	s_waitcnt lgkmcnt(0)
	v_mul_hi_u32 v10, s13, v9
	s_delay_alu instid0(VALU_DEP_1) | instskip(NEXT) | instid1(VALU_DEP_1)
	v_add_nc_u32_e32 v10, v9, v10
	v_lshrrev_b32_e32 v10, s14, v10
	s_delay_alu instid0(VALU_DEP_1) | instskip(SKIP_1) | instid1(VALU_DEP_2)
	v_mul_hi_u32 v11, s16, v10
	v_mul_lo_u32 v13, v10, s12
	v_add_nc_u32_e32 v11, v10, v11
	s_delay_alu instid0(VALU_DEP_2) | instskip(NEXT) | instid1(VALU_DEP_2)
	v_sub_nc_u32_e32 v9, v9, v13
	v_lshrrev_b32_e32 v11, s17, v11
	s_delay_alu instid0(VALU_DEP_2) | instskip(SKIP_1) | instid1(VALU_DEP_3)
	v_mul_lo_u32 v13, v9, s36
	v_mul_lo_u32 v15, v9, s37
	v_mul_hi_u32 v12, s19, v11
	s_delay_alu instid0(VALU_DEP_1) | instskip(NEXT) | instid1(VALU_DEP_1)
	v_add_nc_u32_e32 v12, v11, v12
	v_lshrrev_b32_e32 v12, s20, v12
	s_delay_alu instid0(VALU_DEP_1) | instskip(SKIP_1) | instid1(VALU_DEP_2)
	v_mul_hi_u32 v14, s22, v12
	v_mul_lo_u32 v16, v12, s18
	v_add_nc_u32_e32 v9, v12, v14
	v_mul_lo_u32 v14, v11, s15
	s_delay_alu instid0(VALU_DEP_3) | instskip(NEXT) | instid1(VALU_DEP_3)
	v_sub_nc_u32_e32 v11, v11, v16
	v_lshrrev_b32_e32 v9, s23, v9
	s_delay_alu instid0(VALU_DEP_2) | instskip(SKIP_2) | instid1(VALU_DEP_4)
	v_mul_lo_u32 v16, v11, s40
	v_mul_lo_u32 v11, v11, s41
	v_sub_nc_u32_e32 v10, v10, v14
	v_mul_lo_u32 v17, v9, s21
	s_delay_alu instid0(VALU_DEP_2) | instskip(SKIP_1) | instid1(VALU_DEP_3)
	v_mul_lo_u32 v14, v10, s38
	v_mul_lo_u32 v10, v10, s39
	v_sub_nc_u32_e32 v12, v12, v17
	s_delay_alu instid0(VALU_DEP_3) | instskip(NEXT) | instid1(VALU_DEP_2)
	v_add3_u32 v6, v13, v6, v14
	v_mul_lo_u32 v17, v12, s42
	v_mul_lo_u32 v12, v12, s43
	v_add3_u32 v7, v15, v7, v10
	s_delay_alu instid0(VALU_DEP_3) | instskip(NEXT) | instid1(VALU_DEP_2)
	v_add3_u32 v6, v16, v6, v17
	v_add3_u32 v7, v11, v7, v12
	s_cbranch_scc1 .LBB447_59
; %bb.60:
	s_and_b32 s7, s7, 3
	s_delay_alu instid0(SALU_CYCLE_1)
	s_cmp_eq_u32 s7, 0
	s_cbranch_scc0 .LBB447_63
	s_branch .LBB447_65
.LBB447_61:
	s_mov_b32 s6, -1
                                        ; implicit-def: $vgpr6
                                        ; implicit-def: $vgpr7
	s_branch .LBB447_65
.LBB447_62:
	v_mov_b32_e32 v9, v8
	v_mov_b32_e32 v7, 0
	s_and_b32 s7, s7, 3
	s_delay_alu instid0(SALU_CYCLE_1)
	s_cmp_eq_u32 s7, 0
	s_cbranch_scc1 .LBB447_65
.LBB447_63:
	s_lshl_b32 s2, s8, 3
	s_mul_i32 s4, s8, 12
	s_add_u32 s2, s2, s0
	s_addc_u32 s3, 0, s1
	s_add_u32 s2, s2, 0xc4
	s_addc_u32 s3, s3, 0
	s_add_u32 s4, s0, s4
	s_addc_u32 s5, 0, s1
	.p2align	6
.LBB447_64:                             ; =>This Inner Loop Header: Depth=1
	s_clause 0x1
	s_load_b64 s[8:9], s[4:5], 0x4
	s_load_b32 s12, s[4:5], 0xc
	s_load_b64 s[10:11], s[2:3], 0x0
	s_add_u32 s4, s4, 12
	s_addc_u32 s5, s5, 0
	s_add_u32 s2, s2, 8
	s_addc_u32 s3, s3, 0
	s_add_i32 s7, s7, -1
	s_delay_alu instid0(SALU_CYCLE_1) | instskip(SKIP_2) | instid1(VALU_DEP_1)
	s_cmp_lg_u32 s7, 0
	s_waitcnt lgkmcnt(0)
	v_mul_hi_u32 v10, s9, v9
	v_add_nc_u32_e32 v10, v9, v10
	s_delay_alu instid0(VALU_DEP_1) | instskip(NEXT) | instid1(VALU_DEP_1)
	v_lshrrev_b32_e32 v13, s12, v10
	v_mul_lo_u32 v10, v13, s8
	s_delay_alu instid0(VALU_DEP_1) | instskip(NEXT) | instid1(VALU_DEP_1)
	v_sub_nc_u32_e32 v9, v9, v10
	v_mad_u64_u32 v[10:11], null, v9, s10, v[6:7]
	v_mad_u64_u32 v[11:12], null, v9, s11, v[7:8]
	s_delay_alu instid0(VALU_DEP_2) | instskip(NEXT) | instid1(VALU_DEP_2)
	v_dual_mov_b32 v9, v13 :: v_dual_mov_b32 v6, v10
	v_mov_b32_e32 v7, v11
	s_cbranch_scc1 .LBB447_64
.LBB447_65:
	s_and_not1_b32 vcc_lo, exec_lo, s6
	s_cbranch_vccnz .LBB447_68
; %bb.66:
	s_clause 0x1
	s_load_b128 s[4:7], s[0:1], 0x4
	s_load_b64 s[2:3], s[0:1], 0xc4
	s_cmp_lt_u32 s24, 2
	s_waitcnt lgkmcnt(0)
	v_mul_hi_u32 v6, s5, v8
	s_delay_alu instid0(VALU_DEP_1) | instskip(NEXT) | instid1(VALU_DEP_1)
	v_add_nc_u32_e32 v6, v8, v6
	v_lshrrev_b32_e32 v9, s6, v6
	s_delay_alu instid0(VALU_DEP_1) | instskip(NEXT) | instid1(VALU_DEP_1)
	v_mul_lo_u32 v6, v9, s4
	v_sub_nc_u32_e32 v7, v8, v6
	s_delay_alu instid0(VALU_DEP_1)
	v_mul_lo_u32 v6, v7, s2
	v_mul_lo_u32 v7, v7, s3
	s_cbranch_scc1 .LBB447_68
; %bb.67:
	s_clause 0x1
	s_load_b128 s[4:7], s[0:1], 0x10
	s_load_b64 s[2:3], s[0:1], 0xcc
	s_waitcnt lgkmcnt(0)
	v_mul_hi_u32 v8, s5, v9
	s_delay_alu instid0(VALU_DEP_1) | instskip(NEXT) | instid1(VALU_DEP_1)
	v_add_nc_u32_e32 v8, v9, v8
	v_lshrrev_b32_e32 v8, s6, v8
	s_delay_alu instid0(VALU_DEP_1) | instskip(NEXT) | instid1(VALU_DEP_1)
	v_mul_lo_u32 v8, v8, s4
	v_sub_nc_u32_e32 v11, v9, v8
	s_delay_alu instid0(VALU_DEP_1) | instskip(NEXT) | instid1(VALU_DEP_1)
	v_mad_u64_u32 v[8:9], null, v11, s2, v[6:7]
	v_mad_u64_u32 v[9:10], null, v11, s3, v[7:8]
	s_delay_alu instid0(VALU_DEP_1)
	v_dual_mov_b32 v6, v8 :: v_dual_mov_b32 v7, v9
.LBB447_68:
	s_clause 0x1
	s_load_b128 s[4:7], s[0:1], 0x148
	s_load_b64 s[8:9], s[0:1], 0x158
	s_waitcnt lgkmcnt(0)
	s_clause 0x3
	global_load_b64 v[8:9], v1, s[6:7]
	global_load_b64 v[10:11], v3, s[6:7]
	;; [unrolled: 1-line block ×4, first 2 shown]
	s_waitcnt vmcnt(3)
	v_cmp_gt_i64_e32 vcc_lo, s[8:9], v[8:9]
	s_waitcnt vmcnt(2)
	v_cmp_gt_i64_e64 s0, s[8:9], v[10:11]
	s_waitcnt vmcnt(1)
	v_cmp_gt_i64_e64 s1, s[8:9], v[12:13]
	;; [unrolled: 2-line block ×3, first 2 shown]
	v_cndmask_b32_e32 v9, s9, v9, vcc_lo
	v_cndmask_b32_e32 v8, s8, v8, vcc_lo
	v_cndmask_b32_e64 v11, s9, v11, s0
	v_cndmask_b32_e64 v10, s8, v10, s0
	;; [unrolled: 1-line block ×6, first 2 shown]
	s_clause 0x3
	global_store_b64 v0, v[8:9], s[4:5]
	global_store_b64 v2, v[10:11], s[4:5]
	;; [unrolled: 1-line block ×4, first 2 shown]
	s_nop 0
	s_sendmsg sendmsg(MSG_DEALLOC_VGPRS)
	s_endpgm
.LBB447_69:
	v_dual_mov_b32 v2, v4 :: v_dual_mov_b32 v1, 0
.LBB447_70:
	s_and_b32 s36, s36, 3
	s_delay_alu instid0(SALU_CYCLE_1)
	s_cmp_eq_u32 s36, 0
	s_cbranch_scc1 .LBB447_73
; %bb.71:
	s_lshl_b32 s20, s35, 3
	s_mul_i32 s22, s35, 12
	s_add_u32 s20, s20, s0
	s_addc_u32 s21, s1, 0
	s_add_u32 s20, s20, 0xc4
	s_addc_u32 s21, s21, 0
	;; [unrolled: 2-line block ×3, first 2 shown]
	.p2align	6
.LBB447_72:                             ; =>This Inner Loop Header: Depth=1
	s_clause 0x1
	s_load_b64 s[38:39], s[22:23], 0x4
	s_load_b32 s35, s[22:23], 0xc
	s_load_b64 s[40:41], s[20:21], 0x0
	s_add_u32 s22, s22, 12
	s_addc_u32 s23, s23, 0
	s_add_u32 s20, s20, 8
	s_addc_u32 s21, s21, 0
	s_add_i32 s36, s36, -1
	s_delay_alu instid0(SALU_CYCLE_1) | instskip(SKIP_2) | instid1(VALU_DEP_1)
	s_cmp_lg_u32 s36, 0
	s_waitcnt lgkmcnt(0)
	v_mul_hi_u32 v3, s39, v2
	v_add_nc_u32_e32 v3, v2, v3
	s_delay_alu instid0(VALU_DEP_1) | instskip(NEXT) | instid1(VALU_DEP_1)
	v_lshrrev_b32_e32 v3, s35, v3
	v_mul_lo_u32 v5, v3, s38
	s_delay_alu instid0(VALU_DEP_1) | instskip(NEXT) | instid1(VALU_DEP_1)
	v_sub_nc_u32_e32 v2, v2, v5
	v_mad_u64_u32 v[5:6], null, v2, s40, v[0:1]
	v_mad_u64_u32 v[6:7], null, v2, s41, v[1:2]
	v_mov_b32_e32 v2, v3
	s_delay_alu instid0(VALU_DEP_2)
	v_dual_mov_b32 v0, v5 :: v_dual_mov_b32 v1, v6
	s_cbranch_scc1 .LBB447_72
.LBB447_73:
	s_and_not1_b32 vcc_lo, exec_lo, s34
	s_cbranch_vccnz .LBB447_76
; %bb.74:
	s_waitcnt lgkmcnt(0)
	v_mul_hi_u32 v0, s9, v4
	s_and_not1_b32 vcc_lo, exec_lo, s28
	s_delay_alu instid0(VALU_DEP_1) | instskip(NEXT) | instid1(VALU_DEP_1)
	v_add_nc_u32_e32 v0, v4, v0
	v_lshrrev_b32_e32 v2, s10, v0
	s_delay_alu instid0(VALU_DEP_1) | instskip(NEXT) | instid1(VALU_DEP_1)
	v_mul_lo_u32 v0, v2, s8
	v_sub_nc_u32_e32 v1, v4, v0
	s_delay_alu instid0(VALU_DEP_1)
	v_mul_lo_u32 v0, v1, s12
	v_mul_lo_u32 v1, v1, s13
	s_cbranch_vccnz .LBB447_76
; %bb.75:
	v_mul_hi_u32 v3, s16, v2
	s_delay_alu instid0(VALU_DEP_1) | instskip(NEXT) | instid1(VALU_DEP_1)
	v_add_nc_u32_e32 v3, v2, v3
	v_lshrrev_b32_e32 v3, s17, v3
	s_delay_alu instid0(VALU_DEP_1) | instskip(NEXT) | instid1(VALU_DEP_1)
	v_mul_lo_u32 v3, v3, s11
	v_sub_nc_u32_e32 v7, v2, v3
	s_delay_alu instid0(VALU_DEP_1) | instskip(NEXT) | instid1(VALU_DEP_1)
	v_mad_u64_u32 v[2:3], null, v7, s14, v[0:1]
	v_mad_u64_u32 v[5:6], null, v7, s15, v[1:2]
	s_delay_alu instid0(VALU_DEP_1)
	v_dual_mov_b32 v0, v2 :: v_dual_mov_b32 v1, v5
.LBB447_76:
	s_waitcnt lgkmcnt(0)
	global_load_b64 v[1:2], v1, s[6:7]
	v_add_nc_u32_e32 v4, 0x80, v4
	s_waitcnt vmcnt(0)
	v_cmp_gt_i64_e32 vcc_lo, s[2:3], v[1:2]
	v_cndmask_b32_e32 v2, s3, v2, vcc_lo
	v_cndmask_b32_e32 v1, s2, v1, vcc_lo
	global_store_b64 v0, v[1:2], s[4:5]
	s_or_b32 exec_lo, exec_lo, s33
	s_delay_alu instid0(SALU_CYCLE_1)
	s_mov_b32 s33, exec_lo
	v_cmpx_gt_i32_e64 s29, v4
	s_cbranch_execnz .LBB447_15
.LBB447_77:
	s_or_b32 exec_lo, exec_lo, s33
	s_delay_alu instid0(SALU_CYCLE_1)
	s_mov_b32 s33, exec_lo
	v_cmpx_gt_i32_e64 s29, v4
	s_cbranch_execz .LBB447_92
.LBB447_78:
	s_and_not1_b32 vcc_lo, exec_lo, s26
	s_cbranch_vccnz .LBB447_83
; %bb.79:
	v_dual_mov_b32 v0, 0 :: v_dual_mov_b32 v1, 0
	s_and_not1_b32 vcc_lo, exec_lo, s31
	s_mov_b32 s34, 0
	s_cbranch_vccnz .LBB447_99
; %bb.80:
	v_mov_b32_e32 v0, 0
	s_add_i32 s36, s30, 1
	s_cmp_eq_u32 s25, 2
	s_mov_b32 s35, 0
	s_cbranch_scc1 .LBB447_95
; %bb.81:
	v_dual_mov_b32 v1, 0 :: v_dual_mov_b32 v0, 0
	v_mov_b32_e32 v2, v4
	s_and_b32 s35, s36, 28
	s_mov_b32 s37, 0
	s_mov_b64 s[20:21], s[18:19]
	s_mov_b64 s[22:23], s[0:1]
.LBB447_82:                             ; =>This Inner Loop Header: Depth=1
	s_clause 0x1
	s_load_b256 s[40:47], s[22:23], 0x4
	s_load_b128 s[56:59], s[22:23], 0x24
	s_load_b256 s[48:55], s[20:21], 0x0
	s_add_u32 s22, s22, 48
	s_addc_u32 s23, s23, 0
	s_add_i32 s37, s37, 4
	s_add_u32 s20, s20, 32
	s_addc_u32 s21, s21, 0
	s_cmp_eq_u32 s35, s37
	s_waitcnt lgkmcnt(0)
	v_mul_hi_u32 v3, s41, v2
	s_delay_alu instid0(VALU_DEP_1) | instskip(NEXT) | instid1(VALU_DEP_1)
	v_add_nc_u32_e32 v3, v2, v3
	v_lshrrev_b32_e32 v3, s42, v3
	s_delay_alu instid0(VALU_DEP_1) | instskip(SKIP_1) | instid1(VALU_DEP_2)
	v_mul_hi_u32 v5, s44, v3
	v_mul_lo_u32 v7, v3, s40
	v_add_nc_u32_e32 v5, v3, v5
	s_delay_alu instid0(VALU_DEP_2) | instskip(NEXT) | instid1(VALU_DEP_2)
	v_sub_nc_u32_e32 v2, v2, v7
	v_lshrrev_b32_e32 v5, s45, v5
	s_delay_alu instid0(VALU_DEP_2) | instskip(SKIP_1) | instid1(VALU_DEP_3)
	v_mul_lo_u32 v7, v2, s48
	v_mul_lo_u32 v9, v2, s49
	v_mul_hi_u32 v6, s47, v5
	s_delay_alu instid0(VALU_DEP_1) | instskip(NEXT) | instid1(VALU_DEP_1)
	v_add_nc_u32_e32 v6, v5, v6
	v_lshrrev_b32_e32 v6, s56, v6
	s_delay_alu instid0(VALU_DEP_1) | instskip(SKIP_1) | instid1(VALU_DEP_2)
	v_mul_hi_u32 v8, s58, v6
	v_mul_lo_u32 v10, v6, s46
	v_add_nc_u32_e32 v2, v6, v8
	v_mul_lo_u32 v8, v5, s43
	s_delay_alu instid0(VALU_DEP_3) | instskip(NEXT) | instid1(VALU_DEP_3)
	v_sub_nc_u32_e32 v5, v5, v10
	v_lshrrev_b32_e32 v2, s59, v2
	s_delay_alu instid0(VALU_DEP_2) | instskip(SKIP_2) | instid1(VALU_DEP_4)
	v_mul_lo_u32 v10, v5, s52
	v_mul_lo_u32 v5, v5, s53
	v_sub_nc_u32_e32 v3, v3, v8
	v_mul_lo_u32 v11, v2, s57
	s_delay_alu instid0(VALU_DEP_2) | instskip(SKIP_1) | instid1(VALU_DEP_3)
	v_mul_lo_u32 v8, v3, s50
	v_mul_lo_u32 v3, v3, s51
	v_sub_nc_u32_e32 v6, v6, v11
	s_delay_alu instid0(VALU_DEP_3) | instskip(NEXT) | instid1(VALU_DEP_2)
	v_add3_u32 v0, v7, v0, v8
	v_mul_lo_u32 v11, v6, s54
	v_mul_lo_u32 v6, v6, s55
	v_add3_u32 v1, v9, v1, v3
	s_delay_alu instid0(VALU_DEP_3) | instskip(NEXT) | instid1(VALU_DEP_2)
	v_add3_u32 v0, v10, v0, v11
	v_add3_u32 v1, v5, v1, v6
	s_cbranch_scc0 .LBB447_82
	s_branch .LBB447_96
.LBB447_83:
	s_mov_b32 s34, -1
                                        ; implicit-def: $vgpr0
                                        ; implicit-def: $vgpr1
	s_branch .LBB447_99
.LBB447_84:
	v_dual_mov_b32 v2, v4 :: v_dual_mov_b32 v1, 0
.LBB447_85:
	s_and_b32 s36, s36, 3
	s_delay_alu instid0(SALU_CYCLE_1)
	s_cmp_eq_u32 s36, 0
	s_cbranch_scc1 .LBB447_88
; %bb.86:
	s_lshl_b32 s20, s35, 3
	s_mul_i32 s22, s35, 12
	s_add_u32 s20, s20, s0
	s_addc_u32 s21, s1, 0
	s_add_u32 s20, s20, 0xc4
	s_addc_u32 s21, s21, 0
	;; [unrolled: 2-line block ×3, first 2 shown]
	.p2align	6
.LBB447_87:                             ; =>This Inner Loop Header: Depth=1
	s_clause 0x1
	s_load_b64 s[38:39], s[22:23], 0x4
	s_load_b32 s35, s[22:23], 0xc
	s_load_b64 s[40:41], s[20:21], 0x0
	s_add_u32 s22, s22, 12
	s_addc_u32 s23, s23, 0
	s_add_u32 s20, s20, 8
	s_addc_u32 s21, s21, 0
	s_add_i32 s36, s36, -1
	s_delay_alu instid0(SALU_CYCLE_1) | instskip(SKIP_2) | instid1(VALU_DEP_1)
	s_cmp_lg_u32 s36, 0
	s_waitcnt lgkmcnt(0)
	v_mul_hi_u32 v3, s39, v2
	v_add_nc_u32_e32 v3, v2, v3
	s_delay_alu instid0(VALU_DEP_1) | instskip(NEXT) | instid1(VALU_DEP_1)
	v_lshrrev_b32_e32 v3, s35, v3
	v_mul_lo_u32 v5, v3, s38
	s_delay_alu instid0(VALU_DEP_1) | instskip(NEXT) | instid1(VALU_DEP_1)
	v_sub_nc_u32_e32 v2, v2, v5
	v_mad_u64_u32 v[5:6], null, v2, s40, v[0:1]
	v_mad_u64_u32 v[6:7], null, v2, s41, v[1:2]
	v_mov_b32_e32 v2, v3
	s_delay_alu instid0(VALU_DEP_2)
	v_dual_mov_b32 v0, v5 :: v_dual_mov_b32 v1, v6
	s_cbranch_scc1 .LBB447_87
.LBB447_88:
	s_and_not1_b32 vcc_lo, exec_lo, s34
	s_cbranch_vccnz .LBB447_91
; %bb.89:
	s_waitcnt lgkmcnt(0)
	v_mul_hi_u32 v0, s9, v4
	s_and_not1_b32 vcc_lo, exec_lo, s28
	s_delay_alu instid0(VALU_DEP_1) | instskip(NEXT) | instid1(VALU_DEP_1)
	v_add_nc_u32_e32 v0, v4, v0
	v_lshrrev_b32_e32 v2, s10, v0
	s_delay_alu instid0(VALU_DEP_1) | instskip(NEXT) | instid1(VALU_DEP_1)
	v_mul_lo_u32 v0, v2, s8
	v_sub_nc_u32_e32 v1, v4, v0
	s_delay_alu instid0(VALU_DEP_1)
	v_mul_lo_u32 v0, v1, s12
	v_mul_lo_u32 v1, v1, s13
	s_cbranch_vccnz .LBB447_91
; %bb.90:
	v_mul_hi_u32 v3, s16, v2
	s_delay_alu instid0(VALU_DEP_1) | instskip(NEXT) | instid1(VALU_DEP_1)
	v_add_nc_u32_e32 v3, v2, v3
	v_lshrrev_b32_e32 v3, s17, v3
	s_delay_alu instid0(VALU_DEP_1) | instskip(NEXT) | instid1(VALU_DEP_1)
	v_mul_lo_u32 v3, v3, s11
	v_sub_nc_u32_e32 v7, v2, v3
	s_delay_alu instid0(VALU_DEP_1) | instskip(NEXT) | instid1(VALU_DEP_1)
	v_mad_u64_u32 v[2:3], null, v7, s14, v[0:1]
	v_mad_u64_u32 v[5:6], null, v7, s15, v[1:2]
	s_delay_alu instid0(VALU_DEP_1)
	v_dual_mov_b32 v0, v2 :: v_dual_mov_b32 v1, v5
.LBB447_91:
	s_waitcnt lgkmcnt(0)
	global_load_b64 v[1:2], v1, s[6:7]
	v_add_nc_u32_e32 v4, 0x80, v4
	s_waitcnt vmcnt(0)
	v_cmp_gt_i64_e32 vcc_lo, s[2:3], v[1:2]
	v_cndmask_b32_e32 v2, s3, v2, vcc_lo
	v_cndmask_b32_e32 v1, s2, v1, vcc_lo
	global_store_b64 v0, v[1:2], s[4:5]
	s_or_b32 exec_lo, exec_lo, s33
	s_delay_alu instid0(SALU_CYCLE_1)
	s_mov_b32 s33, exec_lo
	v_cmpx_gt_i32_e64 s29, v4
	s_cbranch_execnz .LBB447_78
.LBB447_92:
	s_or_b32 exec_lo, exec_lo, s33
	s_delay_alu instid0(SALU_CYCLE_1)
	s_mov_b32 s22, exec_lo
	v_cmpx_gt_i32_e64 s29, v4
	s_cbranch_execnz .LBB447_103
.LBB447_93:
	s_or_b32 exec_lo, exec_lo, s22
                                        ; implicit-def: $vgpr8
                                        ; implicit-def: $vgpr4
	s_waitcnt lgkmcnt(0)
	s_and_not1_saveexec_b32 s2, s27
	s_cbranch_execnz .LBB447_8
.LBB447_94:
	s_nop 0
	s_sendmsg sendmsg(MSG_DEALLOC_VGPRS)
	s_endpgm
.LBB447_95:
	v_dual_mov_b32 v2, v4 :: v_dual_mov_b32 v1, 0
.LBB447_96:
	s_and_b32 s36, s36, 3
	s_delay_alu instid0(SALU_CYCLE_1)
	s_cmp_eq_u32 s36, 0
	s_cbranch_scc1 .LBB447_99
; %bb.97:
	s_lshl_b32 s20, s35, 3
	s_mul_i32 s22, s35, 12
	s_add_u32 s20, s20, s0
	s_addc_u32 s21, s1, 0
	s_add_u32 s20, s20, 0xc4
	s_addc_u32 s21, s21, 0
	;; [unrolled: 2-line block ×3, first 2 shown]
	.p2align	6
.LBB447_98:                             ; =>This Inner Loop Header: Depth=1
	s_clause 0x1
	s_load_b64 s[38:39], s[22:23], 0x4
	s_load_b32 s35, s[22:23], 0xc
	s_load_b64 s[40:41], s[20:21], 0x0
	s_add_u32 s22, s22, 12
	s_addc_u32 s23, s23, 0
	s_add_u32 s20, s20, 8
	s_addc_u32 s21, s21, 0
	s_add_i32 s36, s36, -1
	s_delay_alu instid0(SALU_CYCLE_1) | instskip(SKIP_2) | instid1(VALU_DEP_1)
	s_cmp_lg_u32 s36, 0
	s_waitcnt lgkmcnt(0)
	v_mul_hi_u32 v3, s39, v2
	v_add_nc_u32_e32 v3, v2, v3
	s_delay_alu instid0(VALU_DEP_1) | instskip(NEXT) | instid1(VALU_DEP_1)
	v_lshrrev_b32_e32 v3, s35, v3
	v_mul_lo_u32 v5, v3, s38
	s_delay_alu instid0(VALU_DEP_1) | instskip(NEXT) | instid1(VALU_DEP_1)
	v_sub_nc_u32_e32 v2, v2, v5
	v_mad_u64_u32 v[5:6], null, v2, s40, v[0:1]
	v_mad_u64_u32 v[6:7], null, v2, s41, v[1:2]
	v_mov_b32_e32 v2, v3
	s_delay_alu instid0(VALU_DEP_2)
	v_dual_mov_b32 v0, v5 :: v_dual_mov_b32 v1, v6
	s_cbranch_scc1 .LBB447_98
.LBB447_99:
	s_and_not1_b32 vcc_lo, exec_lo, s34
	s_cbranch_vccnz .LBB447_102
; %bb.100:
	s_waitcnt lgkmcnt(0)
	v_mul_hi_u32 v0, s9, v4
	s_and_not1_b32 vcc_lo, exec_lo, s28
	s_delay_alu instid0(VALU_DEP_1) | instskip(NEXT) | instid1(VALU_DEP_1)
	v_add_nc_u32_e32 v0, v4, v0
	v_lshrrev_b32_e32 v2, s10, v0
	s_delay_alu instid0(VALU_DEP_1) | instskip(NEXT) | instid1(VALU_DEP_1)
	v_mul_lo_u32 v0, v2, s8
	v_sub_nc_u32_e32 v1, v4, v0
	s_delay_alu instid0(VALU_DEP_1)
	v_mul_lo_u32 v0, v1, s12
	v_mul_lo_u32 v1, v1, s13
	s_cbranch_vccnz .LBB447_102
; %bb.101:
	v_mul_hi_u32 v3, s16, v2
	s_delay_alu instid0(VALU_DEP_1) | instskip(NEXT) | instid1(VALU_DEP_1)
	v_add_nc_u32_e32 v3, v2, v3
	v_lshrrev_b32_e32 v3, s17, v3
	s_delay_alu instid0(VALU_DEP_1) | instskip(NEXT) | instid1(VALU_DEP_1)
	v_mul_lo_u32 v3, v3, s11
	v_sub_nc_u32_e32 v7, v2, v3
	s_delay_alu instid0(VALU_DEP_1) | instskip(NEXT) | instid1(VALU_DEP_1)
	v_mad_u64_u32 v[2:3], null, v7, s14, v[0:1]
	v_mad_u64_u32 v[5:6], null, v7, s15, v[1:2]
	s_delay_alu instid0(VALU_DEP_1)
	v_dual_mov_b32 v0, v2 :: v_dual_mov_b32 v1, v5
.LBB447_102:
	s_waitcnt lgkmcnt(0)
	global_load_b64 v[1:2], v1, s[6:7]
	v_add_nc_u32_e32 v4, 0x80, v4
	s_waitcnt vmcnt(0)
	v_cmp_gt_i64_e32 vcc_lo, s[2:3], v[1:2]
	v_cndmask_b32_e32 v2, s3, v2, vcc_lo
	v_cndmask_b32_e32 v1, s2, v1, vcc_lo
	global_store_b64 v0, v[1:2], s[4:5]
	s_or_b32 exec_lo, exec_lo, s33
	s_delay_alu instid0(SALU_CYCLE_1)
	s_mov_b32 s22, exec_lo
	v_cmpx_gt_i32_e64 s29, v4
	s_cbranch_execz .LBB447_93
.LBB447_103:
	s_and_not1_b32 vcc_lo, exec_lo, s26
	s_cbranch_vccnz .LBB447_108
; %bb.104:
	v_dual_mov_b32 v0, 0 :: v_dual_mov_b32 v1, 0
	s_and_not1_b32 vcc_lo, exec_lo, s31
	s_mov_b32 s23, 0
	s_cbranch_vccnz .LBB447_113
; %bb.105:
	v_mov_b32_e32 v0, 0
	s_add_i32 s30, s30, 1
	s_cmp_eq_u32 s25, 2
	s_mov_b32 s29, 0
	s_cbranch_scc1 .LBB447_109
; %bb.106:
	v_dual_mov_b32 v1, 0 :: v_dual_mov_b32 v0, 0
	v_mov_b32_e32 v2, v4
	s_and_b32 s29, s30, 28
	s_mov_b32 s31, 0
	s_mov_b64 s[20:21], s[0:1]
.LBB447_107:                            ; =>This Inner Loop Header: Depth=1
	s_clause 0x1
	s_load_b256 s[36:43], s[20:21], 0x4
	s_load_b128 s[52:55], s[20:21], 0x24
	s_load_b256 s[44:51], s[18:19], 0x0
	s_add_u32 s20, s20, 48
	s_addc_u32 s21, s21, 0
	s_add_i32 s31, s31, 4
	s_add_u32 s18, s18, 32
	s_addc_u32 s19, s19, 0
	s_cmp_eq_u32 s29, s31
	s_waitcnt lgkmcnt(0)
	v_mul_hi_u32 v3, s37, v2
	s_delay_alu instid0(VALU_DEP_1) | instskip(NEXT) | instid1(VALU_DEP_1)
	v_add_nc_u32_e32 v3, v2, v3
	v_lshrrev_b32_e32 v3, s38, v3
	s_delay_alu instid0(VALU_DEP_1) | instskip(SKIP_1) | instid1(VALU_DEP_2)
	v_mul_hi_u32 v5, s40, v3
	v_mul_lo_u32 v7, v3, s36
	v_add_nc_u32_e32 v5, v3, v5
	s_delay_alu instid0(VALU_DEP_2) | instskip(NEXT) | instid1(VALU_DEP_2)
	v_sub_nc_u32_e32 v2, v2, v7
	v_lshrrev_b32_e32 v5, s41, v5
	s_delay_alu instid0(VALU_DEP_2) | instskip(SKIP_1) | instid1(VALU_DEP_3)
	v_mul_lo_u32 v7, v2, s44
	v_mul_lo_u32 v9, v2, s45
	v_mul_hi_u32 v6, s43, v5
	s_delay_alu instid0(VALU_DEP_1) | instskip(NEXT) | instid1(VALU_DEP_1)
	v_add_nc_u32_e32 v6, v5, v6
	v_lshrrev_b32_e32 v6, s52, v6
	s_delay_alu instid0(VALU_DEP_1) | instskip(SKIP_1) | instid1(VALU_DEP_2)
	v_mul_hi_u32 v8, s54, v6
	v_mul_lo_u32 v10, v6, s42
	v_add_nc_u32_e32 v2, v6, v8
	v_mul_lo_u32 v8, v5, s39
	s_delay_alu instid0(VALU_DEP_3) | instskip(NEXT) | instid1(VALU_DEP_3)
	v_sub_nc_u32_e32 v5, v5, v10
	v_lshrrev_b32_e32 v2, s55, v2
	s_delay_alu instid0(VALU_DEP_2) | instskip(SKIP_2) | instid1(VALU_DEP_4)
	v_mul_lo_u32 v10, v5, s48
	v_mul_lo_u32 v5, v5, s49
	v_sub_nc_u32_e32 v3, v3, v8
	v_mul_lo_u32 v11, v2, s53
	s_delay_alu instid0(VALU_DEP_2) | instskip(SKIP_1) | instid1(VALU_DEP_3)
	v_mul_lo_u32 v8, v3, s46
	v_mul_lo_u32 v3, v3, s47
	v_sub_nc_u32_e32 v6, v6, v11
	s_delay_alu instid0(VALU_DEP_3) | instskip(NEXT) | instid1(VALU_DEP_2)
	v_add3_u32 v0, v7, v0, v8
	v_mul_lo_u32 v11, v6, s50
	v_mul_lo_u32 v6, v6, s51
	v_add3_u32 v1, v9, v1, v3
	s_delay_alu instid0(VALU_DEP_3) | instskip(NEXT) | instid1(VALU_DEP_2)
	v_add3_u32 v0, v10, v0, v11
	v_add3_u32 v1, v5, v1, v6
	s_cbranch_scc0 .LBB447_107
	s_branch .LBB447_110
.LBB447_108:
	s_mov_b32 s23, -1
                                        ; implicit-def: $vgpr0
                                        ; implicit-def: $vgpr1
	s_branch .LBB447_113
.LBB447_109:
	v_dual_mov_b32 v2, v4 :: v_dual_mov_b32 v1, 0
.LBB447_110:
	s_and_b32 s30, s30, 3
	s_delay_alu instid0(SALU_CYCLE_1)
	s_cmp_eq_u32 s30, 0
	s_cbranch_scc1 .LBB447_113
; %bb.111:
	s_lshl_b32 s18, s29, 3
	s_mul_i32 s20, s29, 12
	s_add_u32 s18, s18, s0
	s_addc_u32 s19, s1, 0
	s_add_u32 s18, s18, 0xc4
	s_addc_u32 s19, s19, 0
	;; [unrolled: 2-line block ×3, first 2 shown]
	.p2align	6
.LBB447_112:                            ; =>This Inner Loop Header: Depth=1
	s_clause 0x1
	s_load_b64 s[34:35], s[20:21], 0x4
	s_load_b32 s29, s[20:21], 0xc
	s_load_b64 s[36:37], s[18:19], 0x0
	s_add_u32 s20, s20, 12
	s_addc_u32 s21, s21, 0
	s_add_u32 s18, s18, 8
	s_addc_u32 s19, s19, 0
	s_add_i32 s30, s30, -1
	s_delay_alu instid0(SALU_CYCLE_1) | instskip(SKIP_2) | instid1(VALU_DEP_1)
	s_cmp_lg_u32 s30, 0
	s_waitcnt lgkmcnt(0)
	v_mul_hi_u32 v3, s35, v2
	v_add_nc_u32_e32 v3, v2, v3
	s_delay_alu instid0(VALU_DEP_1) | instskip(NEXT) | instid1(VALU_DEP_1)
	v_lshrrev_b32_e32 v3, s29, v3
	v_mul_lo_u32 v5, v3, s34
	s_delay_alu instid0(VALU_DEP_1) | instskip(NEXT) | instid1(VALU_DEP_1)
	v_sub_nc_u32_e32 v2, v2, v5
	v_mad_u64_u32 v[5:6], null, v2, s36, v[0:1]
	v_mad_u64_u32 v[6:7], null, v2, s37, v[1:2]
	v_mov_b32_e32 v2, v3
	s_delay_alu instid0(VALU_DEP_2)
	v_dual_mov_b32 v0, v5 :: v_dual_mov_b32 v1, v6
	s_cbranch_scc1 .LBB447_112
.LBB447_113:
	s_and_not1_b32 vcc_lo, exec_lo, s23
	s_cbranch_vccnz .LBB447_116
; %bb.114:
	s_waitcnt lgkmcnt(0)
	v_mul_hi_u32 v0, s9, v4
	s_and_not1_b32 vcc_lo, exec_lo, s28
	s_delay_alu instid0(VALU_DEP_1) | instskip(NEXT) | instid1(VALU_DEP_1)
	v_add_nc_u32_e32 v0, v4, v0
	v_lshrrev_b32_e32 v2, s10, v0
	s_delay_alu instid0(VALU_DEP_1) | instskip(NEXT) | instid1(VALU_DEP_1)
	v_mul_lo_u32 v0, v2, s8
	v_sub_nc_u32_e32 v1, v4, v0
	s_delay_alu instid0(VALU_DEP_1)
	v_mul_lo_u32 v0, v1, s12
	v_mul_lo_u32 v1, v1, s13
	s_cbranch_vccnz .LBB447_116
; %bb.115:
	v_mul_hi_u32 v3, s16, v2
	s_delay_alu instid0(VALU_DEP_1) | instskip(NEXT) | instid1(VALU_DEP_1)
	v_add_nc_u32_e32 v3, v2, v3
	v_lshrrev_b32_e32 v3, s17, v3
	s_delay_alu instid0(VALU_DEP_1) | instskip(NEXT) | instid1(VALU_DEP_1)
	v_mul_lo_u32 v3, v3, s11
	v_sub_nc_u32_e32 v5, v2, v3
	s_delay_alu instid0(VALU_DEP_1) | instskip(NEXT) | instid1(VALU_DEP_1)
	v_mad_u64_u32 v[2:3], null, v5, s14, v[0:1]
	v_mad_u64_u32 v[3:4], null, v5, s15, v[1:2]
	s_delay_alu instid0(VALU_DEP_1)
	v_dual_mov_b32 v0, v2 :: v_dual_mov_b32 v1, v3
.LBB447_116:
	s_waitcnt lgkmcnt(0)
	global_load_b64 v[1:2], v1, s[6:7]
	s_waitcnt vmcnt(0)
	v_cmp_gt_i64_e32 vcc_lo, s[2:3], v[1:2]
	v_cndmask_b32_e32 v2, s3, v2, vcc_lo
	v_cndmask_b32_e32 v1, s2, v1, vcc_lo
	global_store_b64 v0, v[1:2], s[4:5]
	s_or_b32 exec_lo, exec_lo, s22
                                        ; implicit-def: $vgpr8
                                        ; implicit-def: $vgpr4
	s_and_not1_saveexec_b32 s2, s27
	s_cbranch_execz .LBB447_94
	s_branch .LBB447_8
	.section	.rodata,"a",@progbits
	.p2align	6, 0x0
	.amdhsa_kernel _ZN2at6native32elementwise_kernel_manual_unrollILi128ELi4EZNS0_22gpu_kernel_impl_nocastIZZZNS0_21clamp_max_kernel_cudaERNS_18TensorIteratorBaseERKN3c106ScalarEENKUlvE_clEvENKUlvE2_clEvEUllE_EEvS4_RKT_EUlibE_EEviT1_
		.amdhsa_group_segment_fixed_size 0
		.amdhsa_private_segment_fixed_size 0
		.amdhsa_kernarg_size 360
		.amdhsa_user_sgpr_count 15
		.amdhsa_user_sgpr_dispatch_ptr 0
		.amdhsa_user_sgpr_queue_ptr 0
		.amdhsa_user_sgpr_kernarg_segment_ptr 1
		.amdhsa_user_sgpr_dispatch_id 0
		.amdhsa_user_sgpr_private_segment_size 0
		.amdhsa_wavefront_size32 1
		.amdhsa_uses_dynamic_stack 0
		.amdhsa_enable_private_segment 0
		.amdhsa_system_sgpr_workgroup_id_x 1
		.amdhsa_system_sgpr_workgroup_id_y 0
		.amdhsa_system_sgpr_workgroup_id_z 0
		.amdhsa_system_sgpr_workgroup_info 0
		.amdhsa_system_vgpr_workitem_id 0
		.amdhsa_next_free_vgpr 18
		.amdhsa_next_free_sgpr 60
		.amdhsa_reserve_vcc 1
		.amdhsa_float_round_mode_32 0
		.amdhsa_float_round_mode_16_64 0
		.amdhsa_float_denorm_mode_32 3
		.amdhsa_float_denorm_mode_16_64 3
		.amdhsa_dx10_clamp 1
		.amdhsa_ieee_mode 1
		.amdhsa_fp16_overflow 0
		.amdhsa_workgroup_processor_mode 1
		.amdhsa_memory_ordered 1
		.amdhsa_forward_progress 0
		.amdhsa_shared_vgpr_count 0
		.amdhsa_exception_fp_ieee_invalid_op 0
		.amdhsa_exception_fp_denorm_src 0
		.amdhsa_exception_fp_ieee_div_zero 0
		.amdhsa_exception_fp_ieee_overflow 0
		.amdhsa_exception_fp_ieee_underflow 0
		.amdhsa_exception_fp_ieee_inexact 0
		.amdhsa_exception_int_div_zero 0
	.end_amdhsa_kernel
	.section	.text._ZN2at6native32elementwise_kernel_manual_unrollILi128ELi4EZNS0_22gpu_kernel_impl_nocastIZZZNS0_21clamp_max_kernel_cudaERNS_18TensorIteratorBaseERKN3c106ScalarEENKUlvE_clEvENKUlvE2_clEvEUllE_EEvS4_RKT_EUlibE_EEviT1_,"axG",@progbits,_ZN2at6native32elementwise_kernel_manual_unrollILi128ELi4EZNS0_22gpu_kernel_impl_nocastIZZZNS0_21clamp_max_kernel_cudaERNS_18TensorIteratorBaseERKN3c106ScalarEENKUlvE_clEvENKUlvE2_clEvEUllE_EEvS4_RKT_EUlibE_EEviT1_,comdat
.Lfunc_end447:
	.size	_ZN2at6native32elementwise_kernel_manual_unrollILi128ELi4EZNS0_22gpu_kernel_impl_nocastIZZZNS0_21clamp_max_kernel_cudaERNS_18TensorIteratorBaseERKN3c106ScalarEENKUlvE_clEvENKUlvE2_clEvEUllE_EEvS4_RKT_EUlibE_EEviT1_, .Lfunc_end447-_ZN2at6native32elementwise_kernel_manual_unrollILi128ELi4EZNS0_22gpu_kernel_impl_nocastIZZZNS0_21clamp_max_kernel_cudaERNS_18TensorIteratorBaseERKN3c106ScalarEENKUlvE_clEvENKUlvE2_clEvEUllE_EEvS4_RKT_EUlibE_EEviT1_
                                        ; -- End function
	.section	.AMDGPU.csdata,"",@progbits
; Kernel info:
; codeLenInByte = 6932
; NumSgprs: 62
; NumVgprs: 18
; ScratchSize: 0
; MemoryBound: 0
; FloatMode: 240
; IeeeMode: 1
; LDSByteSize: 0 bytes/workgroup (compile time only)
; SGPRBlocks: 7
; VGPRBlocks: 2
; NumSGPRsForWavesPerEU: 62
; NumVGPRsForWavesPerEU: 18
; Occupancy: 16
; WaveLimiterHint : 1
; COMPUTE_PGM_RSRC2:SCRATCH_EN: 0
; COMPUTE_PGM_RSRC2:USER_SGPR: 15
; COMPUTE_PGM_RSRC2:TRAP_HANDLER: 0
; COMPUTE_PGM_RSRC2:TGID_X_EN: 1
; COMPUTE_PGM_RSRC2:TGID_Y_EN: 0
; COMPUTE_PGM_RSRC2:TGID_Z_EN: 0
; COMPUTE_PGM_RSRC2:TIDIG_COMP_CNT: 0
	.section	.text._ZN2at6native32elementwise_kernel_manual_unrollILi128ELi4EZNS0_15gpu_kernel_implIZZZNS0_21clamp_max_kernel_cudaERNS_18TensorIteratorBaseERKN3c106ScalarEENKUlvE_clEvENKUlvE2_clEvEUllE_EEvS4_RKT_EUlibE_EEviT1_,"axG",@progbits,_ZN2at6native32elementwise_kernel_manual_unrollILi128ELi4EZNS0_15gpu_kernel_implIZZZNS0_21clamp_max_kernel_cudaERNS_18TensorIteratorBaseERKN3c106ScalarEENKUlvE_clEvENKUlvE2_clEvEUllE_EEvS4_RKT_EUlibE_EEviT1_,comdat
	.globl	_ZN2at6native32elementwise_kernel_manual_unrollILi128ELi4EZNS0_15gpu_kernel_implIZZZNS0_21clamp_max_kernel_cudaERNS_18TensorIteratorBaseERKN3c106ScalarEENKUlvE_clEvENKUlvE2_clEvEUllE_EEvS4_RKT_EUlibE_EEviT1_ ; -- Begin function _ZN2at6native32elementwise_kernel_manual_unrollILi128ELi4EZNS0_15gpu_kernel_implIZZZNS0_21clamp_max_kernel_cudaERNS_18TensorIteratorBaseERKN3c106ScalarEENKUlvE_clEvENKUlvE2_clEvEUllE_EEvS4_RKT_EUlibE_EEviT1_
	.p2align	8
	.type	_ZN2at6native32elementwise_kernel_manual_unrollILi128ELi4EZNS0_15gpu_kernel_implIZZZNS0_21clamp_max_kernel_cudaERNS_18TensorIteratorBaseERKN3c106ScalarEENKUlvE_clEvENKUlvE2_clEvEUllE_EEvS4_RKT_EUlibE_EEviT1_,@function
_ZN2at6native32elementwise_kernel_manual_unrollILi128ELi4EZNS0_15gpu_kernel_implIZZZNS0_21clamp_max_kernel_cudaERNS_18TensorIteratorBaseERKN3c106ScalarEENKUlvE_clEvENKUlvE2_clEvEUllE_EEvS4_RKT_EUlibE_EEviT1_: ; @_ZN2at6native32elementwise_kernel_manual_unrollILi128ELi4EZNS0_15gpu_kernel_implIZZZNS0_21clamp_max_kernel_cudaERNS_18TensorIteratorBaseERKN3c106ScalarEENKUlvE_clEvENKUlvE2_clEvEUllE_EEvS4_RKT_EUlibE_EEviT1_
; %bb.0:
	s_clause 0x2
	s_load_b32 s2, s[0:1], 0x28
	s_load_b32 s14, s[0:1], 0x0
	s_load_b256 s[4:11], s[0:1], 0x8
	v_lshl_or_b32 v10, s15, 9, v0
	s_mov_b32 s3, 0
	s_mov_b32 s13, 0
	s_mov_b32 s0, exec_lo
	s_delay_alu instid0(VALU_DEP_1) | instskip(SKIP_2) | instid1(VALU_DEP_2)
	v_or_b32_e32 v0, 0x180, v10
	s_waitcnt lgkmcnt(0)
	v_lshrrev_b16 v11, 8, s2
	v_cmpx_le_i32_e64 s14, v0
	s_xor_b32 s12, exec_lo, s0
	s_cbranch_execz .LBB448_1016
; %bb.1:
	s_mov_b32 s1, -1
	s_mov_b32 s17, 0
	s_mov_b32 s15, 0
	s_mov_b32 s16, exec_lo
	v_cmpx_gt_i32_e64 s14, v10
	s_cbranch_execz .LBB448_247
; %bb.2:
	v_mul_lo_u32 v0, v10, s9
	v_cmp_gt_i16_e32 vcc_lo, 11, v11
	s_delay_alu instid0(VALU_DEP_2) | instskip(SKIP_1) | instid1(VALU_DEP_1)
	v_ashrrev_i32_e32 v1, 31, v0
	v_add_co_u32 v0, s0, s6, v0
	v_add_co_ci_u32_e64 v1, s0, s7, v1, s0
	s_cbranch_vccnz .LBB448_9
; %bb.3:
	v_cmp_lt_i16_e32 vcc_lo, 25, v11
	s_cbranch_vccz .LBB448_18
; %bb.4:
	v_cmp_lt_i16_e32 vcc_lo, 28, v11
	s_cbranch_vccz .LBB448_21
	;; [unrolled: 3-line block ×4, first 2 shown]
; %bb.7:
	v_cmp_eq_u16_e32 vcc_lo, 46, v11
	s_mov_b32 s1, 0
	s_cbranch_vccz .LBB448_26
; %bb.8:
	global_load_b32 v2, v[0:1], off
	s_mov_b32 s0, -1
	s_waitcnt vmcnt(0)
	v_lshlrev_b32_e32 v2, 16, v2
	s_delay_alu instid0(VALU_DEP_1) | instskip(NEXT) | instid1(VALU_DEP_1)
	v_trunc_f32_e32 v2, v2
	v_mul_f32_e64 v3, 0x2f800000, |v2|
	v_ashrrev_i32_e32 v5, 31, v2
	s_delay_alu instid0(VALU_DEP_2) | instskip(NEXT) | instid1(VALU_DEP_1)
	v_floor_f32_e32 v3, v3
	v_fma_f32 v4, 0xcf800000, v3, |v2|
	v_cvt_u32_f32_e32 v3, v3
	s_delay_alu instid0(VALU_DEP_2) | instskip(NEXT) | instid1(VALU_DEP_2)
	v_cvt_u32_f32_e32 v2, v4
	v_xor_b32_e32 v3, v3, v5
	s_delay_alu instid0(VALU_DEP_2) | instskip(NEXT) | instid1(VALU_DEP_1)
	v_xor_b32_e32 v2, v2, v5
	v_sub_co_u32 v2, vcc_lo, v2, v5
	s_delay_alu instid0(VALU_DEP_3)
	v_sub_co_ci_u32_e32 v3, vcc_lo, v3, v5, vcc_lo
	s_branch .LBB448_28
.LBB448_9:
	s_mov_b32 s0, 0
                                        ; implicit-def: $vgpr2_vgpr3
	s_and_b32 vcc_lo, exec_lo, s1
	s_cbranch_vccnz .LBB448_197
.LBB448_10:
	s_and_not1_b32 vcc_lo, exec_lo, s0
	s_cbranch_vccnz .LBB448_244
.LBB448_11:
	v_mul_lo_u32 v5, v10, s8
	s_waitcnt vmcnt(0)
	s_delay_alu instid0(VALU_DEP_2) | instskip(SKIP_1) | instid1(VALU_DEP_1)
	v_cmp_gt_i64_e32 vcc_lo, s[10:11], v[2:3]
	v_and_b32_e64 v4, 0xff, s2
	v_cmp_gt_i16_e64 s0, 11, v4
	v_cndmask_b32_e32 v1, s11, v3, vcc_lo
	v_ashrrev_i32_e32 v3, 31, v5
	v_cndmask_b32_e32 v0, s10, v2, vcc_lo
	v_add_co_u32 v2, vcc_lo, s4, v5
	s_delay_alu instid0(VALU_DEP_3)
	v_add_co_ci_u32_e32 v3, vcc_lo, s5, v3, vcc_lo
	s_and_b32 vcc_lo, exec_lo, s0
	s_cbranch_vccnz .LBB448_19
; %bb.12:
	v_cmp_lt_i16_e32 vcc_lo, 25, v4
	s_cbranch_vccz .LBB448_22
; %bb.13:
	v_cmp_lt_i16_e32 vcc_lo, 28, v4
	s_cbranch_vccz .LBB448_24
	;; [unrolled: 3-line block ×4, first 2 shown]
; %bb.16:
	v_cmp_eq_u16_e32 vcc_lo, 46, v4
	s_mov_b32 s13, 0
	s_mov_b32 s0, -1
	s_mov_b32 s1, 0
	s_cbranch_vccz .LBB448_32
; %bb.17:
	v_xor_b32_e32 v5, v0, v1
	v_cls_i32_e32 v6, v1
	s_mov_b32 s1, -1
	s_mov_b32 s0, 0
	s_delay_alu instid0(VALU_DEP_2) | instskip(NEXT) | instid1(VALU_DEP_2)
	v_ashrrev_i32_e32 v5, 31, v5
	v_add_nc_u32_e32 v6, -1, v6
	s_delay_alu instid0(VALU_DEP_2) | instskip(NEXT) | instid1(VALU_DEP_1)
	v_add_nc_u32_e32 v5, 32, v5
	v_min_u32_e32 v7, v6, v5
	s_delay_alu instid0(VALU_DEP_1) | instskip(NEXT) | instid1(VALU_DEP_1)
	v_lshlrev_b64 v[5:6], v7, v[0:1]
	v_min_u32_e32 v5, 1, v5
	s_delay_alu instid0(VALU_DEP_1) | instskip(SKIP_1) | instid1(VALU_DEP_2)
	v_or_b32_e32 v5, v6, v5
	v_sub_nc_u32_e32 v6, 32, v7
	v_cvt_f32_i32_e32 v5, v5
	s_delay_alu instid0(VALU_DEP_1) | instskip(NEXT) | instid1(VALU_DEP_1)
	v_ldexp_f32 v5, v5, v6
	v_bfe_u32 v6, v5, 16, 1
	s_delay_alu instid0(VALU_DEP_1) | instskip(NEXT) | instid1(VALU_DEP_1)
	v_add3_u32 v5, v5, v6, 0x7fff
	v_lshrrev_b32_e32 v5, 16, v5
	global_store_b32 v[2:3], v5, off
	s_branch .LBB448_32
.LBB448_18:
	s_mov_b32 s0, 0
                                        ; implicit-def: $vgpr2_vgpr3
	s_and_b32 vcc_lo, exec_lo, s1
	s_cbranch_vccnz .LBB448_166
	s_branch .LBB448_196
.LBB448_19:
	s_mov_b32 s0, 0
	s_mov_b32 s1, 0
	s_cbranch_execnz .LBB448_101
.LBB448_20:
	s_and_not1_b32 vcc_lo, exec_lo, s1
	s_cbranch_vccnz .LBB448_245
	s_branch .LBB448_139
.LBB448_21:
	s_mov_b32 s0, 0
                                        ; implicit-def: $vgpr2_vgpr3
	s_branch .LBB448_147
.LBB448_22:
	s_mov_b32 s13, -1
	s_mov_b32 s0, 0
	s_mov_b32 s1, 0
	s_branch .LBB448_59
.LBB448_23:
	s_mov_b32 s0, 0
                                        ; implicit-def: $vgpr2_vgpr3
	s_branch .LBB448_142
.LBB448_24:
	s_mov_b32 s13, -1
	s_mov_b32 s0, 0
	s_mov_b32 s1, 0
	s_branch .LBB448_42
.LBB448_25:
	s_mov_b32 s13, -1
	s_mov_b32 s0, 0
	s_mov_b32 s1, 0
	s_branch .LBB448_38
.LBB448_26:
	s_mov_b32 s15, -1
.LBB448_27:
	s_mov_b32 s0, 0
                                        ; implicit-def: $vgpr2_vgpr3
.LBB448_28:
	s_and_b32 vcc_lo, exec_lo, s1
	s_cbranch_vccz .LBB448_141
; %bb.29:
	v_cmp_eq_u16_e32 vcc_lo, 44, v11
	s_cbranch_vccz .LBB448_140
; %bb.30:
	global_load_u8 v2, v[0:1], off
	s_mov_b32 s15, 0
	s_mov_b32 s0, -1
	s_waitcnt vmcnt(0)
	v_lshlrev_b32_e32 v3, 23, v2
	s_delay_alu instid0(VALU_DEP_1) | instskip(NEXT) | instid1(VALU_DEP_1)
	v_trunc_f32_e32 v3, v3
	v_mul_f32_e64 v4, 0x2f800000, |v3|
	s_delay_alu instid0(VALU_DEP_1) | instskip(NEXT) | instid1(VALU_DEP_1)
	v_floor_f32_e32 v4, v4
	v_fma_f32 v5, 0xcf800000, v4, |v3|
	v_ashrrev_i32_e32 v3, 31, v3
	v_cvt_u32_f32_e32 v4, v4
	s_delay_alu instid0(VALU_DEP_3) | instskip(NEXT) | instid1(VALU_DEP_2)
	v_cvt_u32_f32_e32 v5, v5
	v_xor_b32_e32 v4, v4, v3
	s_delay_alu instid0(VALU_DEP_2) | instskip(NEXT) | instid1(VALU_DEP_1)
	v_xor_b32_e32 v5, v5, v3
	v_sub_co_u32 v5, vcc_lo, v5, v3
	s_delay_alu instid0(VALU_DEP_3) | instskip(SKIP_1) | instid1(VALU_DEP_2)
	v_sub_co_ci_u32_e32 v3, vcc_lo, v4, v3, vcc_lo
	v_cmp_ne_u32_e32 vcc_lo, 0, v2
	v_dual_cndmask_b32 v2, 0, v5 :: v_dual_cndmask_b32 v3, 0, v3
	s_branch .LBB448_141
.LBB448_31:
	s_mov_b32 s13, -1
	s_mov_b32 s0, 0
	s_mov_b32 s1, 0
.LBB448_32:
	s_and_b32 vcc_lo, exec_lo, s13
	s_cbranch_vccz .LBB448_37
; %bb.33:
	v_cmp_eq_u16_e32 vcc_lo, 44, v4
	s_mov_b32 s0, -1
	s_cbranch_vccz .LBB448_37
; %bb.34:
	v_xor_b32_e32 v5, v0, v1
	v_cls_i32_e32 v6, v1
	s_mov_b32 s1, -1
	s_mov_b32 s13, exec_lo
	s_delay_alu instid0(VALU_DEP_2) | instskip(NEXT) | instid1(VALU_DEP_2)
	v_ashrrev_i32_e32 v5, 31, v5
	v_add_nc_u32_e32 v6, -1, v6
	s_delay_alu instid0(VALU_DEP_2) | instskip(NEXT) | instid1(VALU_DEP_1)
	v_add_nc_u32_e32 v5, 32, v5
	v_min_u32_e32 v7, v6, v5
	s_delay_alu instid0(VALU_DEP_1) | instskip(NEXT) | instid1(VALU_DEP_1)
	v_lshlrev_b64 v[5:6], v7, v[0:1]
	v_min_u32_e32 v5, 1, v5
	s_delay_alu instid0(VALU_DEP_1) | instskip(SKIP_1) | instid1(VALU_DEP_2)
	v_or_b32_e32 v5, v6, v5
	v_sub_nc_u32_e32 v6, 32, v7
	v_cvt_f32_i32_e32 v5, v5
	s_delay_alu instid0(VALU_DEP_1) | instskip(SKIP_1) | instid1(VALU_DEP_2)
	v_ldexp_f32 v5, v5, v6
	v_mov_b32_e32 v6, 0xff
	v_bfe_u32 v7, v5, 23, 8
	s_delay_alu instid0(VALU_DEP_1)
	v_cmpx_ne_u32_e32 0xff, v7
; %bb.35:
	v_and_b32_e32 v6, 0x400000, v5
	v_and_or_b32 v7, 0x3fffff, v5, v7
	v_lshrrev_b32_e32 v5, 23, v5
	s_delay_alu instid0(VALU_DEP_3) | instskip(NEXT) | instid1(VALU_DEP_3)
	v_cmp_ne_u32_e32 vcc_lo, 0, v6
	v_cmp_ne_u32_e64 s0, 0, v7
	s_delay_alu instid0(VALU_DEP_1) | instskip(NEXT) | instid1(SALU_CYCLE_1)
	s_and_b32 s0, vcc_lo, s0
	v_cndmask_b32_e64 v6, 0, 1, s0
	s_delay_alu instid0(VALU_DEP_1)
	v_add_nc_u32_e32 v6, v5, v6
; %bb.36:
	s_or_b32 exec_lo, exec_lo, s13
	s_mov_b32 s0, 0
	global_store_b8 v[2:3], v6, off
.LBB448_37:
	s_mov_b32 s13, 0
.LBB448_38:
	s_delay_alu instid0(SALU_CYCLE_1)
	s_and_b32 vcc_lo, exec_lo, s13
	s_cbranch_vccz .LBB448_41
; %bb.39:
	v_cmp_eq_u16_e32 vcc_lo, 29, v4
	s_mov_b32 s0, -1
	s_cbranch_vccz .LBB448_41
; %bb.40:
	s_mov_b32 s1, -1
	s_mov_b32 s0, 0
	global_store_b64 v[2:3], v[0:1], off
.LBB448_41:
	s_mov_b32 s13, 0
.LBB448_42:
	s_delay_alu instid0(SALU_CYCLE_1)
	s_and_b32 vcc_lo, exec_lo, s13
	s_cbranch_vccz .LBB448_58
; %bb.43:
	v_cmp_gt_i16_e32 vcc_lo, 27, v4
	s_mov_b32 s1, -1
	s_cbranch_vccnz .LBB448_49
; %bb.44:
	v_cmp_lt_i16_e32 vcc_lo, 27, v4
	s_cbranch_vccz .LBB448_46
; %bb.45:
	s_mov_b32 s1, 0
	global_store_b32 v[2:3], v0, off
.LBB448_46:
	s_and_not1_b32 vcc_lo, exec_lo, s1
	s_cbranch_vccnz .LBB448_48
; %bb.47:
	global_store_b16 v[2:3], v0, off
.LBB448_48:
	s_mov_b32 s1, 0
.LBB448_49:
	s_delay_alu instid0(SALU_CYCLE_1)
	s_and_not1_b32 vcc_lo, exec_lo, s1
	s_cbranch_vccnz .LBB448_57
; %bb.50:
	v_xor_b32_e32 v5, v0, v1
	v_cls_i32_e32 v6, v1
	s_mov_b32 s1, exec_lo
	s_delay_alu instid0(VALU_DEP_2) | instskip(NEXT) | instid1(VALU_DEP_2)
	v_ashrrev_i32_e32 v5, 31, v5
	v_add_nc_u32_e32 v6, -1, v6
	s_delay_alu instid0(VALU_DEP_2) | instskip(NEXT) | instid1(VALU_DEP_1)
	v_add_nc_u32_e32 v5, 32, v5
	v_min_u32_e32 v7, v6, v5
	s_delay_alu instid0(VALU_DEP_1) | instskip(NEXT) | instid1(VALU_DEP_1)
	v_lshlrev_b64 v[5:6], v7, v[0:1]
	v_min_u32_e32 v5, 1, v5
	s_delay_alu instid0(VALU_DEP_1) | instskip(SKIP_2) | instid1(VALU_DEP_3)
	v_or_b32_e32 v5, v6, v5
	v_sub_nc_u32_e32 v6, 32, v7
	v_mov_b32_e32 v7, 0x80
	v_cvt_f32_i32_e32 v5, v5
	s_delay_alu instid0(VALU_DEP_1) | instskip(NEXT) | instid1(VALU_DEP_1)
	v_ldexp_f32 v5, v5, v6
	v_and_b32_e32 v6, 0x7fffffff, v5
	s_delay_alu instid0(VALU_DEP_1)
	v_cmpx_gt_u32_e32 0x43800000, v6
	s_cbranch_execz .LBB448_56
; %bb.51:
	v_cmp_lt_u32_e32 vcc_lo, 0x3bffffff, v6
	s_mov_b32 s13, 0
                                        ; implicit-def: $vgpr6
	s_and_saveexec_b32 s18, vcc_lo
	s_delay_alu instid0(SALU_CYCLE_1)
	s_xor_b32 s18, exec_lo, s18
	s_cbranch_execz .LBB448_271
; %bb.52:
	v_bfe_u32 v6, v5, 20, 1
	s_mov_b32 s13, exec_lo
	s_delay_alu instid0(VALU_DEP_1) | instskip(NEXT) | instid1(VALU_DEP_1)
	v_add3_u32 v6, v5, v6, 0x487ffff
	v_lshrrev_b32_e32 v6, 20, v6
	s_or_saveexec_b32 s18, s18
                                        ; implicit-def: $sgpr19
	s_delay_alu instid0(SALU_CYCLE_1)
	s_xor_b32 exec_lo, exec_lo, s18
	s_cbranch_execnz .LBB448_272
.LBB448_53:
	s_or_b32 exec_lo, exec_lo, s18
	v_mov_b32_e32 v7, s19
	s_and_saveexec_b32 s18, s13
.LBB448_54:
	v_lshrrev_b32_e32 v5, 24, v5
	s_delay_alu instid0(VALU_DEP_1)
	v_and_or_b32 v7, 0x80, v5, v6
.LBB448_55:
	s_or_b32 exec_lo, exec_lo, s18
.LBB448_56:
	s_delay_alu instid0(SALU_CYCLE_1)
	s_or_b32 exec_lo, exec_lo, s1
	global_store_b8 v[2:3], v7, off
.LBB448_57:
	s_mov_b32 s1, -1
.LBB448_58:
	s_mov_b32 s13, 0
.LBB448_59:
	s_delay_alu instid0(SALU_CYCLE_1)
	s_and_b32 vcc_lo, exec_lo, s13
	s_cbranch_vccz .LBB448_100
; %bb.60:
	v_cmp_lt_i16_e32 vcc_lo, 22, v4
	s_mov_b32 s13, -1
	s_cbranch_vccz .LBB448_92
; %bb.61:
	v_cmp_gt_i16_e32 vcc_lo, 24, v4
	s_mov_b32 s1, -1
	s_cbranch_vccnz .LBB448_81
; %bb.62:
	v_cmp_lt_i16_e32 vcc_lo, 24, v4
	s_cbranch_vccz .LBB448_70
; %bb.63:
	v_xor_b32_e32 v5, v0, v1
	v_cls_i32_e32 v6, v1
	s_mov_b32 s1, exec_lo
	s_delay_alu instid0(VALU_DEP_2) | instskip(NEXT) | instid1(VALU_DEP_2)
	v_ashrrev_i32_e32 v5, 31, v5
	v_add_nc_u32_e32 v6, -1, v6
	s_delay_alu instid0(VALU_DEP_2) | instskip(NEXT) | instid1(VALU_DEP_1)
	v_add_nc_u32_e32 v5, 32, v5
	v_min_u32_e32 v7, v6, v5
	s_delay_alu instid0(VALU_DEP_1) | instskip(NEXT) | instid1(VALU_DEP_1)
	v_lshlrev_b64 v[5:6], v7, v[0:1]
	v_min_u32_e32 v5, 1, v5
	s_delay_alu instid0(VALU_DEP_1) | instskip(SKIP_2) | instid1(VALU_DEP_3)
	v_or_b32_e32 v5, v6, v5
	v_sub_nc_u32_e32 v6, 32, v7
	v_mov_b32_e32 v7, 0x80
	v_cvt_f32_i32_e32 v5, v5
	s_delay_alu instid0(VALU_DEP_1) | instskip(NEXT) | instid1(VALU_DEP_1)
	v_ldexp_f32 v5, v5, v6
	v_and_b32_e32 v6, 0x7fffffff, v5
	s_delay_alu instid0(VALU_DEP_1)
	v_cmpx_gt_u32_e32 0x47800000, v6
	s_cbranch_execz .LBB448_69
; %bb.64:
	v_cmp_lt_u32_e32 vcc_lo, 0x37ffffff, v6
	s_mov_b32 s13, 0
                                        ; implicit-def: $vgpr6
	s_and_saveexec_b32 s18, vcc_lo
	s_delay_alu instid0(SALU_CYCLE_1)
	s_xor_b32 s18, exec_lo, s18
	s_cbranch_execz .LBB448_275
; %bb.65:
	v_bfe_u32 v6, v5, 21, 1
	s_mov_b32 s13, exec_lo
	s_delay_alu instid0(VALU_DEP_1) | instskip(NEXT) | instid1(VALU_DEP_1)
	v_add3_u32 v6, v5, v6, 0x88fffff
	v_lshrrev_b32_e32 v6, 21, v6
	s_or_saveexec_b32 s18, s18
                                        ; implicit-def: $sgpr19
	s_delay_alu instid0(SALU_CYCLE_1)
	s_xor_b32 exec_lo, exec_lo, s18
	s_cbranch_execnz .LBB448_276
.LBB448_66:
	s_or_b32 exec_lo, exec_lo, s18
	v_mov_b32_e32 v7, s19
	s_and_saveexec_b32 s18, s13
.LBB448_67:
	v_lshrrev_b32_e32 v5, 24, v5
	s_delay_alu instid0(VALU_DEP_1)
	v_and_or_b32 v7, 0x80, v5, v6
.LBB448_68:
	s_or_b32 exec_lo, exec_lo, s18
.LBB448_69:
	s_delay_alu instid0(SALU_CYCLE_1)
	s_or_b32 exec_lo, exec_lo, s1
	s_mov_b32 s1, 0
	global_store_b8 v[2:3], v7, off
.LBB448_70:
	s_and_b32 vcc_lo, exec_lo, s1
	s_cbranch_vccz .LBB448_80
; %bb.71:
	v_xor_b32_e32 v5, v0, v1
	v_cls_i32_e32 v6, v1
	s_mov_b32 s1, exec_lo
	s_delay_alu instid0(VALU_DEP_2) | instskip(NEXT) | instid1(VALU_DEP_2)
	v_ashrrev_i32_e32 v5, 31, v5
	v_add_nc_u32_e32 v6, -1, v6
	s_delay_alu instid0(VALU_DEP_2) | instskip(NEXT) | instid1(VALU_DEP_1)
	v_add_nc_u32_e32 v5, 32, v5
	v_min_u32_e32 v7, v6, v5
	s_delay_alu instid0(VALU_DEP_1) | instskip(NEXT) | instid1(VALU_DEP_1)
	v_lshlrev_b64 v[5:6], v7, v[0:1]
	v_min_u32_e32 v5, 1, v5
	s_delay_alu instid0(VALU_DEP_1) | instskip(SKIP_1) | instid1(VALU_DEP_2)
	v_or_b32_e32 v5, v6, v5
	v_sub_nc_u32_e32 v6, 32, v7
	v_cvt_f32_i32_e32 v5, v5
	s_delay_alu instid0(VALU_DEP_1) | instskip(NEXT) | instid1(VALU_DEP_1)
	v_ldexp_f32 v5, v5, v6
                                        ; implicit-def: $vgpr6
	v_and_b32_e32 v7, 0x7fffffff, v5
	s_delay_alu instid0(VALU_DEP_1)
	v_cmpx_gt_u32_e32 0x43f00000, v7
	s_xor_b32 s1, exec_lo, s1
	s_cbranch_execz .LBB448_77
; %bb.72:
	s_mov_b32 s13, exec_lo
                                        ; implicit-def: $vgpr6
	v_cmpx_lt_u32_e32 0x3c7fffff, v7
	s_xor_b32 s13, exec_lo, s13
; %bb.73:
	v_bfe_u32 v6, v5, 20, 1
	s_delay_alu instid0(VALU_DEP_1) | instskip(NEXT) | instid1(VALU_DEP_1)
	v_add3_u32 v6, v5, v6, 0x407ffff
	v_and_b32_e32 v7, 0xff00000, v6
	v_lshrrev_b32_e32 v6, 20, v6
	s_delay_alu instid0(VALU_DEP_2) | instskip(NEXT) | instid1(VALU_DEP_2)
	v_cmp_ne_u32_e32 vcc_lo, 0x7f00000, v7
	v_cndmask_b32_e32 v6, 0x7e, v6, vcc_lo
; %bb.74:
	s_and_not1_saveexec_b32 s13, s13
; %bb.75:
	v_add_f32_e64 v6, 0x46800000, |v5|
; %bb.76:
	s_or_b32 exec_lo, exec_lo, s13
                                        ; implicit-def: $vgpr7
.LBB448_77:
	s_and_not1_saveexec_b32 s1, s1
; %bb.78:
	v_mov_b32_e32 v6, 0x7f
	v_cmp_lt_u32_e32 vcc_lo, 0x7f800000, v7
	s_delay_alu instid0(VALU_DEP_2)
	v_cndmask_b32_e32 v6, 0x7e, v6, vcc_lo
; %bb.79:
	s_or_b32 exec_lo, exec_lo, s1
	v_lshrrev_b32_e32 v5, 24, v5
	s_delay_alu instid0(VALU_DEP_1)
	v_and_or_b32 v5, 0x80, v5, v6
	global_store_b8 v[2:3], v5, off
.LBB448_80:
	s_mov_b32 s1, 0
.LBB448_81:
	s_delay_alu instid0(SALU_CYCLE_1)
	s_and_not1_b32 vcc_lo, exec_lo, s1
	s_cbranch_vccnz .LBB448_91
; %bb.82:
	v_xor_b32_e32 v5, v0, v1
	v_cls_i32_e32 v6, v1
	s_mov_b32 s1, exec_lo
	s_delay_alu instid0(VALU_DEP_2) | instskip(NEXT) | instid1(VALU_DEP_2)
	v_ashrrev_i32_e32 v5, 31, v5
	v_add_nc_u32_e32 v6, -1, v6
	s_delay_alu instid0(VALU_DEP_2) | instskip(NEXT) | instid1(VALU_DEP_1)
	v_add_nc_u32_e32 v5, 32, v5
	v_min_u32_e32 v7, v6, v5
	s_delay_alu instid0(VALU_DEP_1) | instskip(NEXT) | instid1(VALU_DEP_1)
	v_lshlrev_b64 v[5:6], v7, v[0:1]
	v_min_u32_e32 v5, 1, v5
	s_delay_alu instid0(VALU_DEP_1) | instskip(SKIP_1) | instid1(VALU_DEP_2)
	v_or_b32_e32 v5, v6, v5
	v_sub_nc_u32_e32 v6, 32, v7
	v_cvt_f32_i32_e32 v5, v5
	s_delay_alu instid0(VALU_DEP_1) | instskip(NEXT) | instid1(VALU_DEP_1)
	v_ldexp_f32 v5, v5, v6
                                        ; implicit-def: $vgpr6
	v_and_b32_e32 v7, 0x7fffffff, v5
	s_delay_alu instid0(VALU_DEP_1)
	v_cmpx_gt_u32_e32 0x47800000, v7
	s_xor_b32 s1, exec_lo, s1
	s_cbranch_execz .LBB448_88
; %bb.83:
	s_mov_b32 s13, exec_lo
                                        ; implicit-def: $vgpr6
	v_cmpx_lt_u32_e32 0x387fffff, v7
	s_xor_b32 s13, exec_lo, s13
; %bb.84:
	v_bfe_u32 v6, v5, 21, 1
	s_delay_alu instid0(VALU_DEP_1) | instskip(NEXT) | instid1(VALU_DEP_1)
	v_add3_u32 v6, v5, v6, 0x80fffff
	v_lshrrev_b32_e32 v6, 21, v6
; %bb.85:
	s_and_not1_saveexec_b32 s13, s13
; %bb.86:
	v_add_f32_e64 v6, 0x43000000, |v5|
; %bb.87:
	s_or_b32 exec_lo, exec_lo, s13
                                        ; implicit-def: $vgpr7
.LBB448_88:
	s_and_not1_saveexec_b32 s1, s1
; %bb.89:
	v_mov_b32_e32 v6, 0x7f
	v_cmp_lt_u32_e32 vcc_lo, 0x7f800000, v7
	s_delay_alu instid0(VALU_DEP_2)
	v_cndmask_b32_e32 v6, 0x7c, v6, vcc_lo
; %bb.90:
	s_or_b32 exec_lo, exec_lo, s1
	v_lshrrev_b32_e32 v5, 24, v5
	s_delay_alu instid0(VALU_DEP_1)
	v_and_or_b32 v5, 0x80, v5, v6
	global_store_b8 v[2:3], v5, off
.LBB448_91:
	s_mov_b32 s13, 0
	s_mov_b32 s1, -1
.LBB448_92:
	s_and_not1_b32 vcc_lo, exec_lo, s13
	s_cbranch_vccnz .LBB448_100
; %bb.93:
	v_cmp_lt_i16_e32 vcc_lo, 14, v4
	s_mov_b32 s13, -1
	s_cbranch_vccz .LBB448_97
; %bb.94:
	v_cmp_eq_u16_e32 vcc_lo, 15, v4
	s_mov_b32 s0, -1
	s_cbranch_vccz .LBB448_96
; %bb.95:
	v_xor_b32_e32 v5, v0, v1
	v_cls_i32_e32 v6, v1
	s_mov_b32 s1, -1
	s_mov_b32 s0, 0
	s_delay_alu instid0(VALU_DEP_2) | instskip(NEXT) | instid1(VALU_DEP_2)
	v_ashrrev_i32_e32 v5, 31, v5
	v_add_nc_u32_e32 v6, -1, v6
	s_delay_alu instid0(VALU_DEP_2) | instskip(NEXT) | instid1(VALU_DEP_1)
	v_add_nc_u32_e32 v5, 32, v5
	v_min_u32_e32 v7, v6, v5
	s_delay_alu instid0(VALU_DEP_1) | instskip(NEXT) | instid1(VALU_DEP_1)
	v_lshlrev_b64 v[5:6], v7, v[0:1]
	v_min_u32_e32 v5, 1, v5
	s_delay_alu instid0(VALU_DEP_1) | instskip(SKIP_1) | instid1(VALU_DEP_2)
	v_or_b32_e32 v5, v6, v5
	v_sub_nc_u32_e32 v6, 32, v7
	v_cvt_f32_i32_e32 v5, v5
	s_delay_alu instid0(VALU_DEP_1) | instskip(NEXT) | instid1(VALU_DEP_1)
	v_ldexp_f32 v5, v5, v6
	v_bfe_u32 v6, v5, 16, 1
	s_delay_alu instid0(VALU_DEP_1)
	v_add3_u32 v5, v5, v6, 0x7fff
	global_store_d16_hi_b16 v[2:3], v5, off
.LBB448_96:
	s_mov_b32 s13, 0
.LBB448_97:
	s_delay_alu instid0(SALU_CYCLE_1)
	s_and_b32 vcc_lo, exec_lo, s13
	s_cbranch_vccz .LBB448_100
; %bb.98:
	v_cmp_eq_u16_e32 vcc_lo, 11, v4
	s_mov_b32 s0, -1
	s_cbranch_vccz .LBB448_100
; %bb.99:
	v_cmp_ne_u64_e32 vcc_lo, 0, v[0:1]
	s_mov_b32 s1, -1
	s_mov_b32 s0, 0
	v_cndmask_b32_e64 v5, 0, 1, vcc_lo
	global_store_b8 v[2:3], v5, off
.LBB448_100:
	s_branch .LBB448_20
.LBB448_101:
	v_cmp_gt_i16_e32 vcc_lo, 5, v4
	s_mov_b32 s1, -1
	s_cbranch_vccnz .LBB448_122
; %bb.102:
	v_cmp_gt_i16_e32 vcc_lo, 8, v4
	s_cbranch_vccnz .LBB448_112
; %bb.103:
	v_cmp_gt_i16_e32 vcc_lo, 9, v4
	s_cbranch_vccnz .LBB448_109
; %bb.104:
	v_cmp_lt_i16_e32 vcc_lo, 9, v4
	s_cbranch_vccz .LBB448_106
; %bb.105:
	v_cvt_f64_i32_e32 v[5:6], v1
	v_cvt_f64_u32_e32 v[7:8], v0
	s_mov_b32 s1, 0
	s_delay_alu instid0(VALU_DEP_2) | instskip(NEXT) | instid1(VALU_DEP_1)
	v_ldexp_f64 v[5:6], v[5:6], 32
	v_add_f64 v[5:6], v[5:6], v[7:8]
	v_mov_b32_e32 v7, 0
	s_delay_alu instid0(VALU_DEP_1)
	v_mov_b32_e32 v8, v7
	global_store_b128 v[2:3], v[5:8], off
.LBB448_106:
	s_and_not1_b32 vcc_lo, exec_lo, s1
	s_cbranch_vccnz .LBB448_108
; %bb.107:
	v_xor_b32_e32 v5, v0, v1
	v_cls_i32_e32 v6, v1
	s_delay_alu instid0(VALU_DEP_2) | instskip(NEXT) | instid1(VALU_DEP_2)
	v_ashrrev_i32_e32 v5, 31, v5
	v_add_nc_u32_e32 v6, -1, v6
	s_delay_alu instid0(VALU_DEP_2) | instskip(NEXT) | instid1(VALU_DEP_1)
	v_add_nc_u32_e32 v5, 32, v5
	v_min_u32_e32 v7, v6, v5
	s_delay_alu instid0(VALU_DEP_1) | instskip(NEXT) | instid1(VALU_DEP_1)
	v_lshlrev_b64 v[5:6], v7, v[0:1]
	v_min_u32_e32 v5, 1, v5
	s_delay_alu instid0(VALU_DEP_1) | instskip(SKIP_1) | instid1(VALU_DEP_2)
	v_or_b32_e32 v5, v6, v5
	v_sub_nc_u32_e32 v6, 32, v7
	v_cvt_f32_i32_e32 v5, v5
	s_delay_alu instid0(VALU_DEP_1)
	v_ldexp_f32 v5, v5, v6
	v_mov_b32_e32 v6, 0
	global_store_b64 v[2:3], v[5:6], off
.LBB448_108:
	s_mov_b32 s1, 0
.LBB448_109:
	s_delay_alu instid0(SALU_CYCLE_1)
	s_and_not1_b32 vcc_lo, exec_lo, s1
	s_cbranch_vccnz .LBB448_111
; %bb.110:
	v_xor_b32_e32 v5, v0, v1
	v_cls_i32_e32 v6, v1
	s_delay_alu instid0(VALU_DEP_2) | instskip(NEXT) | instid1(VALU_DEP_2)
	v_ashrrev_i32_e32 v5, 31, v5
	v_add_nc_u32_e32 v6, -1, v6
	s_delay_alu instid0(VALU_DEP_2) | instskip(NEXT) | instid1(VALU_DEP_1)
	v_add_nc_u32_e32 v5, 32, v5
	v_min_u32_e32 v7, v6, v5
	s_delay_alu instid0(VALU_DEP_1) | instskip(NEXT) | instid1(VALU_DEP_1)
	v_lshlrev_b64 v[5:6], v7, v[0:1]
	v_min_u32_e32 v5, 1, v5
	s_delay_alu instid0(VALU_DEP_1) | instskip(SKIP_1) | instid1(VALU_DEP_2)
	v_or_b32_e32 v5, v6, v5
	v_sub_nc_u32_e32 v6, 32, v7
	v_cvt_f32_i32_e32 v5, v5
	s_delay_alu instid0(VALU_DEP_1) | instskip(NEXT) | instid1(VALU_DEP_1)
	v_ldexp_f32 v5, v5, v6
	v_cvt_f16_f32_e32 v5, v5
	s_delay_alu instid0(VALU_DEP_1)
	v_and_b32_e32 v5, 0xffff, v5
	global_store_b32 v[2:3], v5, off
.LBB448_111:
	s_mov_b32 s1, 0
.LBB448_112:
	s_delay_alu instid0(SALU_CYCLE_1)
	s_and_not1_b32 vcc_lo, exec_lo, s1
	s_cbranch_vccnz .LBB448_121
; %bb.113:
	v_cmp_gt_i16_e32 vcc_lo, 6, v4
	s_mov_b32 s1, -1
	s_cbranch_vccnz .LBB448_119
; %bb.114:
	v_cmp_lt_i16_e32 vcc_lo, 6, v4
	s_cbranch_vccz .LBB448_116
; %bb.115:
	v_cvt_f64_i32_e32 v[5:6], v1
	v_cvt_f64_u32_e32 v[7:8], v0
	s_mov_b32 s1, 0
	s_delay_alu instid0(VALU_DEP_2) | instskip(NEXT) | instid1(VALU_DEP_1)
	v_ldexp_f64 v[5:6], v[5:6], 32
	v_add_f64 v[5:6], v[5:6], v[7:8]
	global_store_b64 v[2:3], v[5:6], off
.LBB448_116:
	s_and_not1_b32 vcc_lo, exec_lo, s1
	s_cbranch_vccnz .LBB448_118
; %bb.117:
	v_xor_b32_e32 v5, v0, v1
	v_cls_i32_e32 v6, v1
	s_delay_alu instid0(VALU_DEP_2) | instskip(NEXT) | instid1(VALU_DEP_2)
	v_ashrrev_i32_e32 v5, 31, v5
	v_add_nc_u32_e32 v6, -1, v6
	s_delay_alu instid0(VALU_DEP_2) | instskip(NEXT) | instid1(VALU_DEP_1)
	v_add_nc_u32_e32 v5, 32, v5
	v_min_u32_e32 v7, v6, v5
	s_delay_alu instid0(VALU_DEP_1) | instskip(NEXT) | instid1(VALU_DEP_1)
	v_lshlrev_b64 v[5:6], v7, v[0:1]
	v_min_u32_e32 v5, 1, v5
	s_delay_alu instid0(VALU_DEP_1) | instskip(SKIP_1) | instid1(VALU_DEP_2)
	v_or_b32_e32 v5, v6, v5
	v_sub_nc_u32_e32 v6, 32, v7
	v_cvt_f32_i32_e32 v5, v5
	s_delay_alu instid0(VALU_DEP_1)
	v_ldexp_f32 v5, v5, v6
	global_store_b32 v[2:3], v5, off
.LBB448_118:
	s_mov_b32 s1, 0
.LBB448_119:
	s_delay_alu instid0(SALU_CYCLE_1)
	s_and_not1_b32 vcc_lo, exec_lo, s1
	s_cbranch_vccnz .LBB448_121
; %bb.120:
	v_xor_b32_e32 v5, v0, v1
	v_cls_i32_e32 v6, v1
	s_delay_alu instid0(VALU_DEP_2) | instskip(NEXT) | instid1(VALU_DEP_2)
	v_ashrrev_i32_e32 v5, 31, v5
	v_add_nc_u32_e32 v6, -1, v6
	s_delay_alu instid0(VALU_DEP_2) | instskip(NEXT) | instid1(VALU_DEP_1)
	v_add_nc_u32_e32 v5, 32, v5
	v_min_u32_e32 v7, v6, v5
	s_delay_alu instid0(VALU_DEP_1) | instskip(NEXT) | instid1(VALU_DEP_1)
	v_lshlrev_b64 v[5:6], v7, v[0:1]
	v_min_u32_e32 v5, 1, v5
	s_delay_alu instid0(VALU_DEP_1) | instskip(SKIP_1) | instid1(VALU_DEP_2)
	v_or_b32_e32 v5, v6, v5
	v_sub_nc_u32_e32 v6, 32, v7
	v_cvt_f32_i32_e32 v5, v5
	s_delay_alu instid0(VALU_DEP_1) | instskip(NEXT) | instid1(VALU_DEP_1)
	v_ldexp_f32 v5, v5, v6
	v_cvt_f16_f32_e32 v5, v5
	global_store_b16 v[2:3], v5, off
.LBB448_121:
	s_mov_b32 s1, 0
.LBB448_122:
	s_delay_alu instid0(SALU_CYCLE_1)
	s_and_not1_b32 vcc_lo, exec_lo, s1
	s_cbranch_vccnz .LBB448_138
; %bb.123:
	v_cmp_gt_i16_e32 vcc_lo, 2, v4
	s_mov_b32 s1, -1
	s_cbranch_vccnz .LBB448_133
; %bb.124:
	v_cmp_gt_i16_e32 vcc_lo, 3, v4
	s_cbranch_vccnz .LBB448_130
; %bb.125:
	v_cmp_lt_i16_e32 vcc_lo, 3, v4
	s_cbranch_vccz .LBB448_127
; %bb.126:
	s_mov_b32 s1, 0
	global_store_b64 v[2:3], v[0:1], off
.LBB448_127:
	s_and_not1_b32 vcc_lo, exec_lo, s1
	s_cbranch_vccnz .LBB448_129
; %bb.128:
	global_store_b32 v[2:3], v0, off
.LBB448_129:
	s_mov_b32 s1, 0
.LBB448_130:
	s_delay_alu instid0(SALU_CYCLE_1)
	s_and_not1_b32 vcc_lo, exec_lo, s1
	s_cbranch_vccnz .LBB448_132
; %bb.131:
	global_store_b16 v[2:3], v0, off
.LBB448_132:
	s_mov_b32 s1, 0
.LBB448_133:
	s_delay_alu instid0(SALU_CYCLE_1)
	s_and_not1_b32 vcc_lo, exec_lo, s1
	s_cbranch_vccnz .LBB448_138
; %bb.134:
	v_cmp_lt_i16_e32 vcc_lo, 0, v4
	s_mov_b32 s1, -1
	s_cbranch_vccz .LBB448_136
; %bb.135:
	s_mov_b32 s1, 0
	global_store_b8 v[2:3], v0, off
.LBB448_136:
	s_and_not1_b32 vcc_lo, exec_lo, s1
	s_cbranch_vccnz .LBB448_138
; %bb.137:
	global_store_b8 v[2:3], v0, off
.LBB448_138:
.LBB448_139:
	v_add_nc_u32_e32 v10, 0x80, v10
	s_mov_b32 s1, -1
	s_branch .LBB448_246
.LBB448_140:
	s_mov_b32 s15, -1
                                        ; implicit-def: $vgpr2_vgpr3
.LBB448_141:
	s_mov_b32 s1, 0
.LBB448_142:
	s_delay_alu instid0(SALU_CYCLE_1)
	s_and_b32 vcc_lo, exec_lo, s1
	s_cbranch_vccz .LBB448_146
; %bb.143:
	v_cmp_eq_u16_e32 vcc_lo, 29, v11
	s_cbranch_vccz .LBB448_145
; %bb.144:
	global_load_b64 v[2:3], v[0:1], off
	s_mov_b32 s0, -1
	s_mov_b32 s15, 0
	s_branch .LBB448_146
.LBB448_145:
	s_mov_b32 s15, -1
                                        ; implicit-def: $vgpr2_vgpr3
.LBB448_146:
	s_mov_b32 s1, 0
.LBB448_147:
	s_delay_alu instid0(SALU_CYCLE_1)
	s_and_b32 vcc_lo, exec_lo, s1
	s_cbranch_vccz .LBB448_165
; %bb.148:
	v_cmp_gt_i16_e32 vcc_lo, 27, v11
	s_cbranch_vccnz .LBB448_151
; %bb.149:
	v_cmp_lt_i16_e32 vcc_lo, 27, v11
	s_cbranch_vccz .LBB448_152
; %bb.150:
	global_load_b32 v2, v[0:1], off
	s_waitcnt vmcnt(1)
	v_mov_b32_e32 v3, 0
	s_mov_b32 s0, 0
	s_branch .LBB448_153
.LBB448_151:
	s_mov_b32 s0, -1
                                        ; implicit-def: $vgpr2_vgpr3
	s_branch .LBB448_156
.LBB448_152:
	s_mov_b32 s0, -1
                                        ; implicit-def: $vgpr2_vgpr3
.LBB448_153:
	s_delay_alu instid0(SALU_CYCLE_1)
	s_and_not1_b32 vcc_lo, exec_lo, s0
	s_cbranch_vccnz .LBB448_155
; %bb.154:
	global_load_u16 v2, v[0:1], off
	s_mov_b32 s0, 0
	s_waitcnt vmcnt(0)
	v_dual_mov_b32 v3, s0 :: v_dual_and_b32 v2, 0xffff, v2
.LBB448_155:
	s_mov_b32 s0, 0
.LBB448_156:
	s_delay_alu instid0(SALU_CYCLE_1)
	s_and_not1_b32 vcc_lo, exec_lo, s0
	s_cbranch_vccnz .LBB448_164
; %bb.157:
	global_load_u8 v4, v[0:1], off
	s_mov_b32 s18, exec_lo
                                        ; implicit-def: $sgpr0_sgpr1
	s_waitcnt vmcnt(0)
	v_cmpx_lt_i16_e32 0x7f, v4
	s_xor_b32 s18, exec_lo, s18
; %bb.158:
	v_cmp_ne_u16_e32 vcc_lo, 0x80, v4
	s_mov_b64 s[0:1], 0
	s_and_b32 s13, vcc_lo, exec_lo
; %bb.159:
	s_or_saveexec_b32 s18, s18
	v_dual_mov_b32 v3, s1 :: v_dual_mov_b32 v2, s0
	s_xor_b32 exec_lo, exec_lo, s18
; %bb.160:
	v_cmp_ne_u16_e32 vcc_lo, 0, v4
	v_mov_b32_e32 v2, 0
	v_mov_b32_e32 v3, 0
	s_and_not1_b32 s0, s13, exec_lo
	s_and_b32 s1, vcc_lo, exec_lo
	s_delay_alu instid0(SALU_CYCLE_1)
	s_or_b32 s13, s0, s1
; %bb.161:
	s_or_b32 exec_lo, exec_lo, s18
	s_and_saveexec_b32 s0, s13
	s_cbranch_execz .LBB448_163
; %bb.162:
	v_and_b32_e32 v2, 0xffff, v4
	v_lshlrev_b32_e32 v4, 24, v4
	s_delay_alu instid0(VALU_DEP_2) | instskip(NEXT) | instid1(VALU_DEP_2)
	v_and_b32_e32 v3, 7, v2
	v_and_b32_e32 v4, 0x80000000, v4
	s_delay_alu instid0(VALU_DEP_2) | instskip(NEXT) | instid1(VALU_DEP_1)
	v_clz_i32_u32_e32 v5, v3
	v_min_u32_e32 v5, 32, v5
	s_delay_alu instid0(VALU_DEP_1) | instskip(SKIP_1) | instid1(VALU_DEP_2)
	v_subrev_nc_u32_e32 v6, 28, v5
	v_sub_nc_u32_e32 v5, 29, v5
	v_lshlrev_b32_e32 v6, v6, v2
	v_bfe_u32 v2, v2, 3, 4
	s_delay_alu instid0(VALU_DEP_2) | instskip(NEXT) | instid1(VALU_DEP_2)
	v_and_b32_e32 v6, 7, v6
	v_cmp_eq_u32_e32 vcc_lo, 0, v2
	s_delay_alu instid0(VALU_DEP_2) | instskip(NEXT) | instid1(VALU_DEP_1)
	v_dual_cndmask_b32 v2, v2, v5 :: v_dual_cndmask_b32 v3, v3, v6
	v_lshl_add_u32 v2, v2, 23, 0x3b800000
	s_delay_alu instid0(VALU_DEP_2) | instskip(NEXT) | instid1(VALU_DEP_1)
	v_lshlrev_b32_e32 v3, 20, v3
	v_or3_b32 v2, v4, v2, v3
	s_delay_alu instid0(VALU_DEP_1) | instskip(NEXT) | instid1(VALU_DEP_1)
	v_trunc_f32_e32 v2, v2
	v_mul_f32_e64 v3, 0x2f800000, |v2|
	v_ashrrev_i32_e32 v5, 31, v2
	s_delay_alu instid0(VALU_DEP_2) | instskip(NEXT) | instid1(VALU_DEP_1)
	v_floor_f32_e32 v3, v3
	v_fma_f32 v4, 0xcf800000, v3, |v2|
	v_cvt_u32_f32_e32 v3, v3
	s_delay_alu instid0(VALU_DEP_2) | instskip(NEXT) | instid1(VALU_DEP_2)
	v_cvt_u32_f32_e32 v2, v4
	v_xor_b32_e32 v3, v3, v5
	s_delay_alu instid0(VALU_DEP_2) | instskip(NEXT) | instid1(VALU_DEP_1)
	v_xor_b32_e32 v2, v2, v5
	v_sub_co_u32 v2, vcc_lo, v2, v5
	s_delay_alu instid0(VALU_DEP_3)
	v_sub_co_ci_u32_e32 v3, vcc_lo, v3, v5, vcc_lo
.LBB448_163:
	s_or_b32 exec_lo, exec_lo, s0
.LBB448_164:
	s_mov_b32 s0, -1
.LBB448_165:
	s_branch .LBB448_196
.LBB448_166:
	v_cmp_lt_i16_e32 vcc_lo, 22, v11
	s_cbranch_vccz .LBB448_176
; %bb.167:
	v_cmp_gt_i16_e32 vcc_lo, 24, v11
	s_cbranch_vccnz .LBB448_177
; %bb.168:
	v_cmp_lt_i16_e32 vcc_lo, 24, v11
	s_cbranch_vccz .LBB448_178
; %bb.169:
	global_load_u8 v4, v[0:1], off
	s_mov_b32 s13, 0
	s_mov_b32 s18, exec_lo
                                        ; implicit-def: $sgpr0_sgpr1
	s_waitcnt vmcnt(0)
	v_cmpx_lt_i16_e32 0x7f, v4
	s_xor_b32 s18, exec_lo, s18
; %bb.170:
	v_cmp_ne_u16_e32 vcc_lo, 0x80, v4
	s_mov_b64 s[0:1], 0
	s_and_b32 s13, vcc_lo, exec_lo
; %bb.171:
	s_or_saveexec_b32 s18, s18
	v_dual_mov_b32 v3, s1 :: v_dual_mov_b32 v2, s0
	s_xor_b32 exec_lo, exec_lo, s18
; %bb.172:
	v_cmp_ne_u16_e32 vcc_lo, 0, v4
	v_mov_b32_e32 v2, 0
	v_mov_b32_e32 v3, 0
	s_and_not1_b32 s0, s13, exec_lo
	s_and_b32 s1, vcc_lo, exec_lo
	s_delay_alu instid0(SALU_CYCLE_1)
	s_or_b32 s13, s0, s1
; %bb.173:
	s_or_b32 exec_lo, exec_lo, s18
	s_and_saveexec_b32 s0, s13
	s_cbranch_execz .LBB448_175
; %bb.174:
	v_and_b32_e32 v2, 0xffff, v4
	v_lshlrev_b32_e32 v4, 24, v4
	s_delay_alu instid0(VALU_DEP_2) | instskip(NEXT) | instid1(VALU_DEP_2)
	v_and_b32_e32 v3, 3, v2
	v_and_b32_e32 v4, 0x80000000, v4
	s_delay_alu instid0(VALU_DEP_2) | instskip(NEXT) | instid1(VALU_DEP_1)
	v_clz_i32_u32_e32 v5, v3
	v_min_u32_e32 v5, 32, v5
	s_delay_alu instid0(VALU_DEP_1) | instskip(SKIP_1) | instid1(VALU_DEP_2)
	v_subrev_nc_u32_e32 v6, 29, v5
	v_sub_nc_u32_e32 v5, 30, v5
	v_lshlrev_b32_e32 v6, v6, v2
	v_bfe_u32 v2, v2, 2, 5
	s_delay_alu instid0(VALU_DEP_2) | instskip(NEXT) | instid1(VALU_DEP_2)
	v_and_b32_e32 v6, 3, v6
	v_cmp_eq_u32_e32 vcc_lo, 0, v2
	s_delay_alu instid0(VALU_DEP_2) | instskip(NEXT) | instid1(VALU_DEP_1)
	v_dual_cndmask_b32 v2, v2, v5 :: v_dual_cndmask_b32 v3, v3, v6
	v_lshl_add_u32 v2, v2, 23, 0x37800000
	s_delay_alu instid0(VALU_DEP_2) | instskip(NEXT) | instid1(VALU_DEP_1)
	v_lshlrev_b32_e32 v3, 21, v3
	v_or3_b32 v2, v4, v2, v3
	s_delay_alu instid0(VALU_DEP_1) | instskip(NEXT) | instid1(VALU_DEP_1)
	v_trunc_f32_e32 v2, v2
	v_mul_f32_e64 v3, 0x2f800000, |v2|
	v_ashrrev_i32_e32 v5, 31, v2
	s_delay_alu instid0(VALU_DEP_2) | instskip(NEXT) | instid1(VALU_DEP_1)
	v_floor_f32_e32 v3, v3
	v_fma_f32 v4, 0xcf800000, v3, |v2|
	v_cvt_u32_f32_e32 v3, v3
	s_delay_alu instid0(VALU_DEP_2) | instskip(NEXT) | instid1(VALU_DEP_2)
	v_cvt_u32_f32_e32 v2, v4
	v_xor_b32_e32 v3, v3, v5
	s_delay_alu instid0(VALU_DEP_2) | instskip(NEXT) | instid1(VALU_DEP_1)
	v_xor_b32_e32 v2, v2, v5
	v_sub_co_u32 v2, vcc_lo, v2, v5
	s_delay_alu instid0(VALU_DEP_3)
	v_sub_co_ci_u32_e32 v3, vcc_lo, v3, v5, vcc_lo
.LBB448_175:
	s_or_b32 exec_lo, exec_lo, s0
	s_mov_b32 s0, 0
	s_branch .LBB448_179
.LBB448_176:
	s_mov_b32 s1, -1
                                        ; implicit-def: $vgpr2_vgpr3
	s_branch .LBB448_185
.LBB448_177:
	s_mov_b32 s0, -1
                                        ; implicit-def: $vgpr2_vgpr3
	s_branch .LBB448_182
.LBB448_178:
	s_mov_b32 s0, -1
                                        ; implicit-def: $vgpr2_vgpr3
.LBB448_179:
	s_delay_alu instid0(SALU_CYCLE_1)
	s_and_b32 vcc_lo, exec_lo, s0
	s_cbranch_vccz .LBB448_181
; %bb.180:
	global_load_u8 v2, v[0:1], off
	s_waitcnt vmcnt(0)
	v_lshlrev_b32_e32 v2, 24, v2
	s_delay_alu instid0(VALU_DEP_1) | instskip(NEXT) | instid1(VALU_DEP_1)
	v_and_b32_e32 v3, 0x7f000000, v2
	v_clz_i32_u32_e32 v4, v3
	v_add_nc_u32_e32 v6, 0x1000000, v3
	v_cmp_ne_u32_e32 vcc_lo, 0, v3
	s_delay_alu instid0(VALU_DEP_3) | instskip(NEXT) | instid1(VALU_DEP_1)
	v_min_u32_e32 v4, 32, v4
	v_sub_nc_u32_e64 v4, v4, 4 clamp
	s_delay_alu instid0(VALU_DEP_1) | instskip(SKIP_1) | instid1(VALU_DEP_2)
	v_lshlrev_b32_e32 v5, v4, v3
	v_lshlrev_b32_e32 v4, 23, v4
	v_lshrrev_b32_e32 v5, 4, v5
	s_delay_alu instid0(VALU_DEP_1) | instskip(SKIP_1) | instid1(VALU_DEP_2)
	v_sub_nc_u32_e32 v4, v5, v4
	v_ashrrev_i32_e32 v5, 8, v6
	v_add_nc_u32_e32 v4, 0x3c000000, v4
	s_delay_alu instid0(VALU_DEP_1) | instskip(NEXT) | instid1(VALU_DEP_1)
	v_and_or_b32 v4, 0x7f800000, v5, v4
	v_cndmask_b32_e32 v3, 0, v4, vcc_lo
	s_delay_alu instid0(VALU_DEP_1) | instskip(NEXT) | instid1(VALU_DEP_1)
	v_and_or_b32 v2, 0x80000000, v2, v3
	v_trunc_f32_e32 v2, v2
	s_delay_alu instid0(VALU_DEP_1) | instskip(SKIP_1) | instid1(VALU_DEP_2)
	v_mul_f32_e64 v3, 0x2f800000, |v2|
	v_ashrrev_i32_e32 v5, 31, v2
	v_floor_f32_e32 v3, v3
	s_delay_alu instid0(VALU_DEP_1) | instskip(SKIP_1) | instid1(VALU_DEP_2)
	v_fma_f32 v4, 0xcf800000, v3, |v2|
	v_cvt_u32_f32_e32 v3, v3
	v_cvt_u32_f32_e32 v2, v4
	s_delay_alu instid0(VALU_DEP_2) | instskip(NEXT) | instid1(VALU_DEP_2)
	v_xor_b32_e32 v3, v3, v5
	v_xor_b32_e32 v2, v2, v5
	s_delay_alu instid0(VALU_DEP_1) | instskip(NEXT) | instid1(VALU_DEP_3)
	v_sub_co_u32 v2, vcc_lo, v2, v5
	v_sub_co_ci_u32_e32 v3, vcc_lo, v3, v5, vcc_lo
.LBB448_181:
	s_mov_b32 s0, 0
.LBB448_182:
	s_delay_alu instid0(SALU_CYCLE_1)
	s_and_not1_b32 vcc_lo, exec_lo, s0
	s_cbranch_vccnz .LBB448_184
; %bb.183:
	global_load_u8 v2, v[0:1], off
	s_waitcnt vmcnt(0)
	v_lshlrev_b32_e32 v3, 25, v2
	v_lshlrev_b16 v2, 8, v2
	s_delay_alu instid0(VALU_DEP_2) | instskip(NEXT) | instid1(VALU_DEP_2)
	v_lshrrev_b32_e32 v4, 4, v3
	v_and_or_b32 v5, 0x7f00, v2, 0.5
	v_bfe_i32 v2, v2, 0, 16
	s_delay_alu instid0(VALU_DEP_3) | instskip(NEXT) | instid1(VALU_DEP_1)
	v_or_b32_e32 v4, 0x70000000, v4
	v_dual_add_f32 v5, -0.5, v5 :: v_dual_mul_f32 v4, 0x7800000, v4
	v_cmp_gt_u32_e32 vcc_lo, 0x8000000, v3
	s_delay_alu instid0(VALU_DEP_2) | instskip(NEXT) | instid1(VALU_DEP_1)
	v_cndmask_b32_e32 v3, v4, v5, vcc_lo
	v_and_or_b32 v2, 0x80000000, v2, v3
	s_delay_alu instid0(VALU_DEP_1) | instskip(NEXT) | instid1(VALU_DEP_1)
	v_trunc_f32_e32 v2, v2
	v_mul_f32_e64 v3, 0x2f800000, |v2|
	v_ashrrev_i32_e32 v5, 31, v2
	s_delay_alu instid0(VALU_DEP_2) | instskip(NEXT) | instid1(VALU_DEP_1)
	v_floor_f32_e32 v3, v3
	v_fma_f32 v4, 0xcf800000, v3, |v2|
	v_cvt_u32_f32_e32 v3, v3
	s_delay_alu instid0(VALU_DEP_2) | instskip(NEXT) | instid1(VALU_DEP_2)
	v_cvt_u32_f32_e32 v2, v4
	v_xor_b32_e32 v3, v3, v5
	s_delay_alu instid0(VALU_DEP_2) | instskip(NEXT) | instid1(VALU_DEP_1)
	v_xor_b32_e32 v2, v2, v5
	v_sub_co_u32 v2, vcc_lo, v2, v5
	s_delay_alu instid0(VALU_DEP_3)
	v_sub_co_ci_u32_e32 v3, vcc_lo, v3, v5, vcc_lo
.LBB448_184:
	s_mov_b32 s1, 0
	s_mov_b32 s0, -1
.LBB448_185:
	s_and_not1_b32 vcc_lo, exec_lo, s1
	s_cbranch_vccnz .LBB448_196
; %bb.186:
	v_cmp_lt_i16_e32 vcc_lo, 14, v11
	s_cbranch_vccz .LBB448_189
; %bb.187:
	v_cmp_eq_u16_e32 vcc_lo, 15, v11
	s_cbranch_vccz .LBB448_190
; %bb.188:
	global_load_u16 v2, v[0:1], off
	s_mov_b32 s0, -1
	s_mov_b32 s15, 0
	s_waitcnt vmcnt(0)
	v_lshlrev_b32_e32 v2, 16, v2
	s_delay_alu instid0(VALU_DEP_1) | instskip(NEXT) | instid1(VALU_DEP_1)
	v_trunc_f32_e32 v2, v2
	v_mul_f32_e64 v3, 0x2f800000, |v2|
	v_ashrrev_i32_e32 v5, 31, v2
	s_delay_alu instid0(VALU_DEP_2) | instskip(NEXT) | instid1(VALU_DEP_1)
	v_floor_f32_e32 v3, v3
	v_fma_f32 v4, 0xcf800000, v3, |v2|
	v_cvt_u32_f32_e32 v3, v3
	s_delay_alu instid0(VALU_DEP_2) | instskip(NEXT) | instid1(VALU_DEP_2)
	v_cvt_u32_f32_e32 v2, v4
	v_xor_b32_e32 v3, v3, v5
	s_delay_alu instid0(VALU_DEP_2) | instskip(NEXT) | instid1(VALU_DEP_1)
	v_xor_b32_e32 v2, v2, v5
	v_sub_co_u32 v2, vcc_lo, v2, v5
	s_delay_alu instid0(VALU_DEP_3)
	v_sub_co_ci_u32_e32 v3, vcc_lo, v3, v5, vcc_lo
	s_branch .LBB448_191
.LBB448_189:
	s_mov_b32 s1, -1
                                        ; implicit-def: $vgpr2_vgpr3
	s_branch .LBB448_192
.LBB448_190:
	s_mov_b32 s15, -1
                                        ; implicit-def: $vgpr2_vgpr3
.LBB448_191:
	s_mov_b32 s1, 0
.LBB448_192:
	s_delay_alu instid0(SALU_CYCLE_1)
	s_and_b32 vcc_lo, exec_lo, s1
	s_cbranch_vccz .LBB448_196
; %bb.193:
	v_cmp_eq_u16_e32 vcc_lo, 11, v11
	s_cbranch_vccz .LBB448_195
; %bb.194:
	global_load_u8 v2, v[0:1], off
	s_mov_b32 s15, 0
	s_mov_b32 s0, -1
	s_waitcnt vmcnt(1)
	v_mov_b32_e32 v3, s15
	s_waitcnt vmcnt(0)
	v_cmp_ne_u16_e32 vcc_lo, 0, v2
	v_cndmask_b32_e64 v2, 0, 1, vcc_lo
	s_branch .LBB448_196
.LBB448_195:
	s_mov_b32 s15, -1
                                        ; implicit-def: $vgpr2_vgpr3
.LBB448_196:
	s_branch .LBB448_10
.LBB448_197:
	v_cmp_gt_i16_e32 vcc_lo, 5, v11
	s_cbranch_vccnz .LBB448_202
; %bb.198:
	v_cmp_gt_i16_e32 vcc_lo, 8, v11
	s_cbranch_vccnz .LBB448_203
; %bb.199:
	;; [unrolled: 3-line block ×3, first 2 shown]
	v_cmp_lt_i16_e32 vcc_lo, 9, v11
	s_cbranch_vccz .LBB448_205
; %bb.201:
	global_load_b64 v[2:3], v[0:1], off
	s_mov_b32 s0, 0
	s_waitcnt vmcnt(0)
	v_trunc_f64_e32 v[2:3], v[2:3]
	s_delay_alu instid0(VALU_DEP_1) | instskip(NEXT) | instid1(VALU_DEP_1)
	v_ldexp_f64 v[4:5], v[2:3], 0xffffffe0
	v_floor_f64_e32 v[4:5], v[4:5]
	s_delay_alu instid0(VALU_DEP_1) | instskip(SKIP_1) | instid1(VALU_DEP_2)
	v_fma_f64 v[6:7], 0xc1f00000, v[4:5], v[2:3]
	v_cvt_i32_f64_e32 v3, v[4:5]
	v_cvt_u32_f64_e32 v2, v[6:7]
	s_branch .LBB448_206
.LBB448_202:
                                        ; implicit-def: $vgpr2_vgpr3
	s_branch .LBB448_224
.LBB448_203:
	s_mov_b32 s0, -1
                                        ; implicit-def: $vgpr2_vgpr3
	s_branch .LBB448_212
.LBB448_204:
	s_mov_b32 s0, -1
                                        ; implicit-def: $vgpr2_vgpr3
	s_branch .LBB448_209
.LBB448_205:
	s_mov_b32 s0, -1
                                        ; implicit-def: $vgpr2_vgpr3
.LBB448_206:
	s_delay_alu instid0(SALU_CYCLE_1)
	s_and_not1_b32 vcc_lo, exec_lo, s0
	s_cbranch_vccnz .LBB448_208
; %bb.207:
	global_load_b32 v2, v[0:1], off
	s_waitcnt vmcnt(0)
	v_trunc_f32_e32 v2, v2
	s_delay_alu instid0(VALU_DEP_1) | instskip(SKIP_1) | instid1(VALU_DEP_2)
	v_mul_f32_e64 v3, 0x2f800000, |v2|
	v_ashrrev_i32_e32 v5, 31, v2
	v_floor_f32_e32 v3, v3
	s_delay_alu instid0(VALU_DEP_1) | instskip(SKIP_1) | instid1(VALU_DEP_2)
	v_fma_f32 v4, 0xcf800000, v3, |v2|
	v_cvt_u32_f32_e32 v3, v3
	v_cvt_u32_f32_e32 v2, v4
	s_delay_alu instid0(VALU_DEP_2) | instskip(NEXT) | instid1(VALU_DEP_2)
	v_xor_b32_e32 v3, v3, v5
	v_xor_b32_e32 v2, v2, v5
	s_delay_alu instid0(VALU_DEP_1) | instskip(NEXT) | instid1(VALU_DEP_3)
	v_sub_co_u32 v2, vcc_lo, v2, v5
	v_sub_co_ci_u32_e32 v3, vcc_lo, v3, v5, vcc_lo
.LBB448_208:
	s_mov_b32 s0, 0
.LBB448_209:
	s_delay_alu instid0(SALU_CYCLE_1)
	s_and_not1_b32 vcc_lo, exec_lo, s0
	s_cbranch_vccnz .LBB448_211
; %bb.210:
	global_load_b32 v2, v[0:1], off
	s_waitcnt vmcnt(0)
	v_cvt_f32_f16_e32 v2, v2
	s_delay_alu instid0(VALU_DEP_1) | instskip(NEXT) | instid1(VALU_DEP_1)
	v_cvt_i32_f32_e32 v2, v2
	v_ashrrev_i32_e32 v3, 31, v2
.LBB448_211:
	s_mov_b32 s0, 0
.LBB448_212:
	s_delay_alu instid0(SALU_CYCLE_1)
	s_and_not1_b32 vcc_lo, exec_lo, s0
	s_cbranch_vccnz .LBB448_223
; %bb.213:
	v_cmp_gt_i16_e32 vcc_lo, 6, v11
	s_cbranch_vccnz .LBB448_216
; %bb.214:
	v_cmp_lt_i16_e32 vcc_lo, 6, v11
	s_cbranch_vccz .LBB448_217
; %bb.215:
	global_load_b64 v[2:3], v[0:1], off
	s_mov_b32 s0, 0
	s_waitcnt vmcnt(0)
	v_trunc_f64_e32 v[2:3], v[2:3]
	s_delay_alu instid0(VALU_DEP_1) | instskip(NEXT) | instid1(VALU_DEP_1)
	v_ldexp_f64 v[4:5], v[2:3], 0xffffffe0
	v_floor_f64_e32 v[4:5], v[4:5]
	s_delay_alu instid0(VALU_DEP_1) | instskip(SKIP_1) | instid1(VALU_DEP_2)
	v_fma_f64 v[6:7], 0xc1f00000, v[4:5], v[2:3]
	v_cvt_i32_f64_e32 v3, v[4:5]
	v_cvt_u32_f64_e32 v2, v[6:7]
	s_branch .LBB448_218
.LBB448_216:
	s_mov_b32 s0, -1
                                        ; implicit-def: $vgpr2_vgpr3
	s_branch .LBB448_221
.LBB448_217:
	s_mov_b32 s0, -1
                                        ; implicit-def: $vgpr2_vgpr3
.LBB448_218:
	s_delay_alu instid0(SALU_CYCLE_1)
	s_and_not1_b32 vcc_lo, exec_lo, s0
	s_cbranch_vccnz .LBB448_220
; %bb.219:
	global_load_b32 v2, v[0:1], off
	s_waitcnt vmcnt(0)
	v_trunc_f32_e32 v2, v2
	s_delay_alu instid0(VALU_DEP_1) | instskip(SKIP_1) | instid1(VALU_DEP_2)
	v_mul_f32_e64 v3, 0x2f800000, |v2|
	v_ashrrev_i32_e32 v5, 31, v2
	v_floor_f32_e32 v3, v3
	s_delay_alu instid0(VALU_DEP_1) | instskip(SKIP_1) | instid1(VALU_DEP_2)
	v_fma_f32 v4, 0xcf800000, v3, |v2|
	v_cvt_u32_f32_e32 v3, v3
	v_cvt_u32_f32_e32 v2, v4
	s_delay_alu instid0(VALU_DEP_2) | instskip(NEXT) | instid1(VALU_DEP_2)
	v_xor_b32_e32 v3, v3, v5
	v_xor_b32_e32 v2, v2, v5
	s_delay_alu instid0(VALU_DEP_1) | instskip(NEXT) | instid1(VALU_DEP_3)
	v_sub_co_u32 v2, vcc_lo, v2, v5
	v_sub_co_ci_u32_e32 v3, vcc_lo, v3, v5, vcc_lo
.LBB448_220:
	s_mov_b32 s0, 0
.LBB448_221:
	s_delay_alu instid0(SALU_CYCLE_1)
	s_and_not1_b32 vcc_lo, exec_lo, s0
	s_cbranch_vccnz .LBB448_223
; %bb.222:
	global_load_u16 v2, v[0:1], off
	s_waitcnt vmcnt(0)
	v_cvt_f32_f16_e32 v2, v2
	s_delay_alu instid0(VALU_DEP_1) | instskip(NEXT) | instid1(VALU_DEP_1)
	v_cvt_i32_f32_e32 v2, v2
	v_ashrrev_i32_e32 v3, 31, v2
.LBB448_223:
	s_cbranch_execnz .LBB448_243
.LBB448_224:
	v_cmp_gt_i16_e32 vcc_lo, 2, v11
	s_cbranch_vccnz .LBB448_228
; %bb.225:
	v_cmp_gt_i16_e32 vcc_lo, 3, v11
	s_cbranch_vccnz .LBB448_229
; %bb.226:
	v_cmp_lt_i16_e32 vcc_lo, 3, v11
	s_cbranch_vccz .LBB448_230
; %bb.227:
	global_load_b64 v[2:3], v[0:1], off
	s_mov_b32 s0, 0
	s_branch .LBB448_231
.LBB448_228:
	s_mov_b32 s0, -1
                                        ; implicit-def: $vgpr2_vgpr3
	s_branch .LBB448_237
.LBB448_229:
	s_mov_b32 s0, -1
                                        ; implicit-def: $vgpr2_vgpr3
	s_branch .LBB448_234
.LBB448_230:
	s_mov_b32 s0, -1
                                        ; implicit-def: $vgpr2_vgpr3
.LBB448_231:
	s_delay_alu instid0(SALU_CYCLE_1)
	s_and_not1_b32 vcc_lo, exec_lo, s0
	s_cbranch_vccnz .LBB448_233
; %bb.232:
	global_load_b32 v2, v[0:1], off
	s_waitcnt vmcnt(0)
	v_ashrrev_i32_e32 v3, 31, v2
.LBB448_233:
	s_mov_b32 s0, 0
.LBB448_234:
	s_delay_alu instid0(SALU_CYCLE_1)
	s_and_not1_b32 vcc_lo, exec_lo, s0
	s_cbranch_vccnz .LBB448_236
; %bb.235:
	global_load_u16 v2, v[0:1], off
	s_waitcnt vmcnt(0)
	v_bfe_i32 v2, v2, 0, 16
	s_delay_alu instid0(VALU_DEP_1)
	v_ashrrev_i32_e32 v3, 31, v2
.LBB448_236:
	s_mov_b32 s0, 0
.LBB448_237:
	s_delay_alu instid0(SALU_CYCLE_1)
	s_and_not1_b32 vcc_lo, exec_lo, s0
	s_cbranch_vccnz .LBB448_243
; %bb.238:
	v_cmp_lt_i16_e32 vcc_lo, 0, v11
	s_mov_b32 s0, 0
	s_cbranch_vccz .LBB448_240
; %bb.239:
	global_load_i8 v2, v[0:1], off
	s_waitcnt vmcnt(0)
	v_bfe_i32 v2, v2, 0, 16
	s_delay_alu instid0(VALU_DEP_1)
	v_ashrrev_i32_e32 v3, 31, v2
	s_branch .LBB448_241
.LBB448_240:
	s_mov_b32 s0, -1
                                        ; implicit-def: $vgpr2_vgpr3
.LBB448_241:
	s_delay_alu instid0(SALU_CYCLE_1)
	s_and_not1_b32 vcc_lo, exec_lo, s0
	s_cbranch_vccnz .LBB448_243
; %bb.242:
	global_load_u8 v0, v[0:1], off
	s_mov_b32 s0, 0
	s_waitcnt vmcnt(0)
	v_dual_mov_b32 v3, s0 :: v_dual_and_b32 v2, 0xffff, v0
.LBB448_243:
	s_branch .LBB448_11
.LBB448_244:
	s_mov_b32 s0, 0
.LBB448_245:
	s_mov_b32 s1, 0
                                        ; implicit-def: $vgpr10
.LBB448_246:
	s_and_b32 s13, s0, exec_lo
	s_and_b32 s15, s15, exec_lo
	s_or_not1_b32 s1, s1, exec_lo
.LBB448_247:
	s_or_b32 exec_lo, exec_lo, s16
	s_mov_b32 s18, 0
	s_mov_b32 s0, 0
                                        ; implicit-def: $vgpr0_vgpr1
                                        ; implicit-def: $vgpr4_vgpr5
	s_and_saveexec_b32 s16, s1
	s_cbranch_execz .LBB448_843
; %bb.248:
	s_mov_b32 s21, -1
	s_mov_b32 s17, s15
	s_mov_b32 s18, s13
	s_mov_b32 s19, exec_lo
	v_cmpx_gt_i32_e64 s14, v10
	s_cbranch_execz .LBB448_503
; %bb.249:
	v_mul_lo_u32 v0, v10, s9
	v_cmp_gt_i16_e32 vcc_lo, 11, v11
	s_delay_alu instid0(VALU_DEP_2) | instskip(SKIP_1) | instid1(VALU_DEP_1)
	v_ashrrev_i32_e32 v1, 31, v0
	v_add_co_u32 v0, s0, s6, v0
	v_add_co_ci_u32_e64 v1, s0, s7, v1, s0
	s_cbranch_vccnz .LBB448_256
; %bb.250:
	v_cmp_lt_i16_e32 vcc_lo, 25, v11
	s_cbranch_vccz .LBB448_265
; %bb.251:
	v_cmp_lt_i16_e32 vcc_lo, 28, v11
	s_cbranch_vccz .LBB448_267
	;; [unrolled: 3-line block ×4, first 2 shown]
; %bb.254:
	v_cmp_eq_u16_e32 vcc_lo, 46, v11
	s_mov_b32 s1, 0
	s_cbranch_vccz .LBB448_277
; %bb.255:
	global_load_b32 v2, v[0:1], off
	s_mov_b32 s0, -1
	s_mov_b32 s17, 0
	s_waitcnt vmcnt(0)
	v_lshlrev_b32_e32 v2, 16, v2
	s_delay_alu instid0(VALU_DEP_1) | instskip(NEXT) | instid1(VALU_DEP_1)
	v_trunc_f32_e32 v2, v2
	v_mul_f32_e64 v3, 0x2f800000, |v2|
	v_ashrrev_i32_e32 v5, 31, v2
	s_delay_alu instid0(VALU_DEP_2) | instskip(NEXT) | instid1(VALU_DEP_1)
	v_floor_f32_e32 v3, v3
	v_fma_f32 v4, 0xcf800000, v3, |v2|
	v_cvt_u32_f32_e32 v3, v3
	s_delay_alu instid0(VALU_DEP_2) | instskip(NEXT) | instid1(VALU_DEP_2)
	v_cvt_u32_f32_e32 v2, v4
	v_xor_b32_e32 v3, v3, v5
	s_delay_alu instid0(VALU_DEP_2) | instskip(NEXT) | instid1(VALU_DEP_1)
	v_xor_b32_e32 v2, v2, v5
	v_sub_co_u32 v2, vcc_lo, v2, v5
	s_delay_alu instid0(VALU_DEP_3)
	v_sub_co_ci_u32_e32 v3, vcc_lo, v3, v5, vcc_lo
	s_branch .LBB448_279
.LBB448_256:
	s_mov_b32 s0, 0
	s_mov_b32 s17, s15
                                        ; implicit-def: $vgpr2_vgpr3
	s_cbranch_execnz .LBB448_452
.LBB448_257:
	s_and_not1_b32 vcc_lo, exec_lo, s0
	s_cbranch_vccnz .LBB448_500
.LBB448_258:
	v_mul_lo_u32 v5, v10, s8
	s_waitcnt vmcnt(0)
	s_delay_alu instid0(VALU_DEP_2) | instskip(SKIP_1) | instid1(VALU_DEP_1)
	v_cmp_gt_i64_e32 vcc_lo, s[10:11], v[2:3]
	v_and_b32_e64 v4, 0xff, s2
	v_cmp_gt_i16_e64 s0, 11, v4
	v_cndmask_b32_e32 v1, s11, v3, vcc_lo
	v_ashrrev_i32_e32 v3, 31, v5
	v_cndmask_b32_e32 v0, s10, v2, vcc_lo
	v_add_co_u32 v2, vcc_lo, s4, v5
	s_delay_alu instid0(VALU_DEP_3)
	v_add_co_ci_u32_e32 v3, vcc_lo, s5, v3, vcc_lo
	s_and_b32 vcc_lo, exec_lo, s0
	s_cbranch_vccnz .LBB448_266
; %bb.259:
	v_cmp_lt_i16_e32 vcc_lo, 25, v4
	s_cbranch_vccz .LBB448_268
; %bb.260:
	v_cmp_lt_i16_e32 vcc_lo, 28, v4
	s_cbranch_vccz .LBB448_270
	;; [unrolled: 3-line block ×4, first 2 shown]
; %bb.263:
	v_cmp_eq_u16_e32 vcc_lo, 46, v4
	s_mov_b32 s18, 0
	s_mov_b32 s0, -1
	s_mov_b32 s1, 0
	s_cbranch_vccz .LBB448_283
; %bb.264:
	v_xor_b32_e32 v5, v0, v1
	v_cls_i32_e32 v6, v1
	s_mov_b32 s1, -1
	s_mov_b32 s0, 0
	s_delay_alu instid0(VALU_DEP_2) | instskip(NEXT) | instid1(VALU_DEP_2)
	v_ashrrev_i32_e32 v5, 31, v5
	v_add_nc_u32_e32 v6, -1, v6
	s_delay_alu instid0(VALU_DEP_2) | instskip(NEXT) | instid1(VALU_DEP_1)
	v_add_nc_u32_e32 v5, 32, v5
	v_min_u32_e32 v7, v6, v5
	s_delay_alu instid0(VALU_DEP_1) | instskip(NEXT) | instid1(VALU_DEP_1)
	v_lshlrev_b64 v[5:6], v7, v[0:1]
	v_min_u32_e32 v5, 1, v5
	s_delay_alu instid0(VALU_DEP_1) | instskip(SKIP_1) | instid1(VALU_DEP_2)
	v_or_b32_e32 v5, v6, v5
	v_sub_nc_u32_e32 v6, 32, v7
	v_cvt_f32_i32_e32 v5, v5
	s_delay_alu instid0(VALU_DEP_1) | instskip(NEXT) | instid1(VALU_DEP_1)
	v_ldexp_f32 v5, v5, v6
	v_bfe_u32 v6, v5, 16, 1
	s_delay_alu instid0(VALU_DEP_1) | instskip(NEXT) | instid1(VALU_DEP_1)
	v_add3_u32 v5, v5, v6, 0x7fff
	v_lshrrev_b32_e32 v5, 16, v5
	global_store_b32 v[2:3], v5, off
	s_branch .LBB448_283
.LBB448_265:
	s_mov_b32 s1, -1
	s_mov_b32 s0, 0
	s_mov_b32 s17, s15
                                        ; implicit-def: $vgpr2_vgpr3
	s_branch .LBB448_420
.LBB448_266:
	s_mov_b32 s18, -1
	s_mov_b32 s1, 0
	s_mov_b32 s0, s13
	s_branch .LBB448_352
.LBB448_267:
	s_mov_b32 s1, -1
	s_mov_b32 s0, 0
	s_mov_b32 s17, s15
                                        ; implicit-def: $vgpr2_vgpr3
	s_branch .LBB448_401
.LBB448_268:
	s_mov_b32 s18, -1
	s_mov_b32 s1, 0
	s_mov_b32 s0, s13
	s_branch .LBB448_310
.LBB448_269:
	s_mov_b32 s1, -1
	s_mov_b32 s0, 0
	s_mov_b32 s17, s15
                                        ; implicit-def: $vgpr2_vgpr3
	s_branch .LBB448_396
.LBB448_270:
	s_mov_b32 s18, -1
	s_mov_b32 s1, 0
	s_mov_b32 s0, s13
	s_branch .LBB448_293
.LBB448_271:
	s_or_saveexec_b32 s18, s18
                                        ; implicit-def: $sgpr19
	s_delay_alu instid0(SALU_CYCLE_1)
	s_xor_b32 exec_lo, exec_lo, s18
	s_cbranch_execz .LBB448_53
.LBB448_272:
	v_add_f32_e64 v6, 0x46000000, |v5|
	s_and_not1_b32 s13, s13, exec_lo
	s_mov_b32 s19, 0
	s_delay_alu instid0(VALU_DEP_1) | instskip(NEXT) | instid1(VALU_DEP_1)
	v_and_b32_e32 v6, 0xff, v6
	v_cmp_ne_u32_e32 vcc_lo, 0, v6
	s_and_b32 s20, vcc_lo, exec_lo
	s_delay_alu instid0(SALU_CYCLE_1)
	s_or_b32 s13, s13, s20
	s_or_b32 exec_lo, exec_lo, s18
	v_mov_b32_e32 v7, s19
	s_and_saveexec_b32 s18, s13
	s_cbranch_execnz .LBB448_54
	s_branch .LBB448_55
.LBB448_273:
	s_mov_b32 s1, -1
	s_mov_b32 s0, 0
	s_mov_b32 s17, s15
	s_branch .LBB448_278
.LBB448_274:
	s_mov_b32 s18, -1
	s_mov_b32 s1, 0
	s_mov_b32 s0, s13
	s_branch .LBB448_289
.LBB448_275:
	s_or_saveexec_b32 s18, s18
                                        ; implicit-def: $sgpr19
	s_delay_alu instid0(SALU_CYCLE_1)
	s_xor_b32 exec_lo, exec_lo, s18
	s_cbranch_execz .LBB448_66
.LBB448_276:
	v_add_f32_e64 v6, 0x42800000, |v5|
	s_and_not1_b32 s13, s13, exec_lo
	s_mov_b32 s19, 0
	s_delay_alu instid0(VALU_DEP_1) | instskip(NEXT) | instid1(VALU_DEP_1)
	v_and_b32_e32 v6, 0xff, v6
	v_cmp_ne_u32_e32 vcc_lo, 0, v6
	s_and_b32 s20, vcc_lo, exec_lo
	s_delay_alu instid0(SALU_CYCLE_1)
	s_or_b32 s13, s13, s20
	s_or_b32 exec_lo, exec_lo, s18
	v_mov_b32_e32 v7, s19
	s_and_saveexec_b32 s18, s13
	s_cbranch_execnz .LBB448_67
	s_branch .LBB448_68
.LBB448_277:
	s_mov_b32 s17, -1
	s_mov_b32 s0, 0
.LBB448_278:
                                        ; implicit-def: $vgpr2_vgpr3
.LBB448_279:
	s_and_b32 vcc_lo, exec_lo, s1
	s_cbranch_vccz .LBB448_395
; %bb.280:
	v_cmp_eq_u16_e32 vcc_lo, 44, v11
	s_cbranch_vccz .LBB448_394
; %bb.281:
	global_load_u8 v2, v[0:1], off
	s_mov_b32 s17, 0
	s_mov_b32 s0, -1
	s_waitcnt vmcnt(0)
	v_lshlrev_b32_e32 v3, 23, v2
	s_delay_alu instid0(VALU_DEP_1) | instskip(NEXT) | instid1(VALU_DEP_1)
	v_trunc_f32_e32 v3, v3
	v_mul_f32_e64 v4, 0x2f800000, |v3|
	s_delay_alu instid0(VALU_DEP_1) | instskip(NEXT) | instid1(VALU_DEP_1)
	v_floor_f32_e32 v4, v4
	v_fma_f32 v5, 0xcf800000, v4, |v3|
	v_ashrrev_i32_e32 v3, 31, v3
	v_cvt_u32_f32_e32 v4, v4
	s_delay_alu instid0(VALU_DEP_3) | instskip(NEXT) | instid1(VALU_DEP_2)
	v_cvt_u32_f32_e32 v5, v5
	v_xor_b32_e32 v4, v4, v3
	s_delay_alu instid0(VALU_DEP_2) | instskip(NEXT) | instid1(VALU_DEP_1)
	v_xor_b32_e32 v5, v5, v3
	v_sub_co_u32 v5, vcc_lo, v5, v3
	s_delay_alu instid0(VALU_DEP_3) | instskip(SKIP_1) | instid1(VALU_DEP_2)
	v_sub_co_ci_u32_e32 v3, vcc_lo, v4, v3, vcc_lo
	v_cmp_ne_u32_e32 vcc_lo, 0, v2
	v_dual_cndmask_b32 v2, 0, v5 :: v_dual_cndmask_b32 v3, 0, v3
	s_branch .LBB448_395
.LBB448_282:
	s_mov_b32 s18, -1
	s_mov_b32 s1, 0
	s_mov_b32 s0, s13
.LBB448_283:
	s_and_b32 vcc_lo, exec_lo, s18
	s_cbranch_vccz .LBB448_288
; %bb.284:
	v_cmp_eq_u16_e32 vcc_lo, 44, v4
	s_mov_b32 s0, -1
	s_cbranch_vccz .LBB448_288
; %bb.285:
	v_xor_b32_e32 v5, v0, v1
	v_cls_i32_e32 v6, v1
	s_mov_b32 s1, -1
	s_mov_b32 s18, exec_lo
	s_delay_alu instid0(VALU_DEP_2) | instskip(NEXT) | instid1(VALU_DEP_2)
	v_ashrrev_i32_e32 v5, 31, v5
	v_add_nc_u32_e32 v6, -1, v6
	s_delay_alu instid0(VALU_DEP_2) | instskip(NEXT) | instid1(VALU_DEP_1)
	v_add_nc_u32_e32 v5, 32, v5
	v_min_u32_e32 v7, v6, v5
	s_delay_alu instid0(VALU_DEP_1) | instskip(NEXT) | instid1(VALU_DEP_1)
	v_lshlrev_b64 v[5:6], v7, v[0:1]
	v_min_u32_e32 v5, 1, v5
	s_delay_alu instid0(VALU_DEP_1) | instskip(SKIP_1) | instid1(VALU_DEP_2)
	v_or_b32_e32 v5, v6, v5
	v_sub_nc_u32_e32 v6, 32, v7
	v_cvt_f32_i32_e32 v5, v5
	s_delay_alu instid0(VALU_DEP_1) | instskip(SKIP_1) | instid1(VALU_DEP_2)
	v_ldexp_f32 v5, v5, v6
	v_mov_b32_e32 v6, 0xff
	v_bfe_u32 v7, v5, 23, 8
	s_delay_alu instid0(VALU_DEP_1)
	v_cmpx_ne_u32_e32 0xff, v7
; %bb.286:
	v_and_b32_e32 v6, 0x400000, v5
	v_and_or_b32 v7, 0x3fffff, v5, v7
	v_lshrrev_b32_e32 v5, 23, v5
	s_delay_alu instid0(VALU_DEP_3) | instskip(NEXT) | instid1(VALU_DEP_3)
	v_cmp_ne_u32_e32 vcc_lo, 0, v6
	v_cmp_ne_u32_e64 s0, 0, v7
	s_delay_alu instid0(VALU_DEP_1) | instskip(NEXT) | instid1(SALU_CYCLE_1)
	s_and_b32 s0, vcc_lo, s0
	v_cndmask_b32_e64 v6, 0, 1, s0
	s_delay_alu instid0(VALU_DEP_1)
	v_add_nc_u32_e32 v6, v5, v6
; %bb.287:
	s_or_b32 exec_lo, exec_lo, s18
	s_mov_b32 s0, 0
	global_store_b8 v[2:3], v6, off
.LBB448_288:
	s_mov_b32 s18, 0
.LBB448_289:
	s_delay_alu instid0(SALU_CYCLE_1)
	s_and_b32 vcc_lo, exec_lo, s18
	s_cbranch_vccz .LBB448_292
; %bb.290:
	v_cmp_eq_u16_e32 vcc_lo, 29, v4
	s_mov_b32 s0, -1
	s_cbranch_vccz .LBB448_292
; %bb.291:
	s_mov_b32 s1, -1
	s_mov_b32 s0, 0
	global_store_b64 v[2:3], v[0:1], off
.LBB448_292:
	s_mov_b32 s18, 0
.LBB448_293:
	s_delay_alu instid0(SALU_CYCLE_1)
	s_and_b32 vcc_lo, exec_lo, s18
	s_cbranch_vccz .LBB448_309
; %bb.294:
	v_cmp_gt_i16_e32 vcc_lo, 27, v4
	s_mov_b32 s1, -1
	s_cbranch_vccnz .LBB448_300
; %bb.295:
	v_cmp_lt_i16_e32 vcc_lo, 27, v4
	s_cbranch_vccz .LBB448_297
; %bb.296:
	s_mov_b32 s1, 0
	global_store_b32 v[2:3], v0, off
.LBB448_297:
	s_and_not1_b32 vcc_lo, exec_lo, s1
	s_cbranch_vccnz .LBB448_299
; %bb.298:
	global_store_b16 v[2:3], v0, off
.LBB448_299:
	s_mov_b32 s1, 0
.LBB448_300:
	s_delay_alu instid0(SALU_CYCLE_1)
	s_and_not1_b32 vcc_lo, exec_lo, s1
	s_cbranch_vccnz .LBB448_308
; %bb.301:
	v_xor_b32_e32 v5, v0, v1
	v_cls_i32_e32 v6, v1
	s_mov_b32 s1, exec_lo
	s_delay_alu instid0(VALU_DEP_2) | instskip(NEXT) | instid1(VALU_DEP_2)
	v_ashrrev_i32_e32 v5, 31, v5
	v_add_nc_u32_e32 v6, -1, v6
	s_delay_alu instid0(VALU_DEP_2) | instskip(NEXT) | instid1(VALU_DEP_1)
	v_add_nc_u32_e32 v5, 32, v5
	v_min_u32_e32 v7, v6, v5
	s_delay_alu instid0(VALU_DEP_1) | instskip(NEXT) | instid1(VALU_DEP_1)
	v_lshlrev_b64 v[5:6], v7, v[0:1]
	v_min_u32_e32 v5, 1, v5
	s_delay_alu instid0(VALU_DEP_1) | instskip(SKIP_2) | instid1(VALU_DEP_3)
	v_or_b32_e32 v5, v6, v5
	v_sub_nc_u32_e32 v6, 32, v7
	v_mov_b32_e32 v7, 0x80
	v_cvt_f32_i32_e32 v5, v5
	s_delay_alu instid0(VALU_DEP_1) | instskip(NEXT) | instid1(VALU_DEP_1)
	v_ldexp_f32 v5, v5, v6
	v_and_b32_e32 v6, 0x7fffffff, v5
	s_delay_alu instid0(VALU_DEP_1)
	v_cmpx_gt_u32_e32 0x43800000, v6
	s_cbranch_execz .LBB448_307
; %bb.302:
	v_cmp_lt_u32_e32 vcc_lo, 0x3bffffff, v6
	s_mov_b32 s18, 0
                                        ; implicit-def: $vgpr6
	s_and_saveexec_b32 s20, vcc_lo
	s_delay_alu instid0(SALU_CYCLE_1)
	s_xor_b32 s20, exec_lo, s20
	s_cbranch_execz .LBB448_516
; %bb.303:
	v_bfe_u32 v6, v5, 20, 1
	s_mov_b32 s18, exec_lo
	s_delay_alu instid0(VALU_DEP_1) | instskip(NEXT) | instid1(VALU_DEP_1)
	v_add3_u32 v6, v5, v6, 0x487ffff
	v_lshrrev_b32_e32 v6, 20, v6
	s_or_saveexec_b32 s20, s20
                                        ; implicit-def: $sgpr21
	s_delay_alu instid0(SALU_CYCLE_1)
	s_xor_b32 exec_lo, exec_lo, s20
	s_cbranch_execnz .LBB448_517
.LBB448_304:
	s_or_b32 exec_lo, exec_lo, s20
	v_mov_b32_e32 v7, s21
	s_and_saveexec_b32 s20, s18
.LBB448_305:
	v_lshrrev_b32_e32 v5, 24, v5
	s_delay_alu instid0(VALU_DEP_1)
	v_and_or_b32 v7, 0x80, v5, v6
.LBB448_306:
	s_or_b32 exec_lo, exec_lo, s20
.LBB448_307:
	s_delay_alu instid0(SALU_CYCLE_1)
	s_or_b32 exec_lo, exec_lo, s1
	global_store_b8 v[2:3], v7, off
.LBB448_308:
	s_mov_b32 s1, -1
.LBB448_309:
	s_mov_b32 s18, 0
.LBB448_310:
	s_delay_alu instid0(SALU_CYCLE_1)
	s_and_b32 vcc_lo, exec_lo, s18
	s_cbranch_vccz .LBB448_351
; %bb.311:
	v_cmp_lt_i16_e32 vcc_lo, 22, v4
	s_mov_b32 s18, -1
	s_cbranch_vccz .LBB448_343
; %bb.312:
	v_cmp_gt_i16_e32 vcc_lo, 24, v4
	s_mov_b32 s1, -1
	s_cbranch_vccnz .LBB448_332
; %bb.313:
	v_cmp_lt_i16_e32 vcc_lo, 24, v4
	s_cbranch_vccz .LBB448_321
; %bb.314:
	v_xor_b32_e32 v5, v0, v1
	v_cls_i32_e32 v6, v1
	s_mov_b32 s1, exec_lo
	s_delay_alu instid0(VALU_DEP_2) | instskip(NEXT) | instid1(VALU_DEP_2)
	v_ashrrev_i32_e32 v5, 31, v5
	v_add_nc_u32_e32 v6, -1, v6
	s_delay_alu instid0(VALU_DEP_2) | instskip(NEXT) | instid1(VALU_DEP_1)
	v_add_nc_u32_e32 v5, 32, v5
	v_min_u32_e32 v7, v6, v5
	s_delay_alu instid0(VALU_DEP_1) | instskip(NEXT) | instid1(VALU_DEP_1)
	v_lshlrev_b64 v[5:6], v7, v[0:1]
	v_min_u32_e32 v5, 1, v5
	s_delay_alu instid0(VALU_DEP_1) | instskip(SKIP_2) | instid1(VALU_DEP_3)
	v_or_b32_e32 v5, v6, v5
	v_sub_nc_u32_e32 v6, 32, v7
	v_mov_b32_e32 v7, 0x80
	v_cvt_f32_i32_e32 v5, v5
	s_delay_alu instid0(VALU_DEP_1) | instskip(NEXT) | instid1(VALU_DEP_1)
	v_ldexp_f32 v5, v5, v6
	v_and_b32_e32 v6, 0x7fffffff, v5
	s_delay_alu instid0(VALU_DEP_1)
	v_cmpx_gt_u32_e32 0x47800000, v6
	s_cbranch_execz .LBB448_320
; %bb.315:
	v_cmp_lt_u32_e32 vcc_lo, 0x37ffffff, v6
	s_mov_b32 s18, 0
                                        ; implicit-def: $vgpr6
	s_and_saveexec_b32 s20, vcc_lo
	s_delay_alu instid0(SALU_CYCLE_1)
	s_xor_b32 s20, exec_lo, s20
	s_cbranch_execz .LBB448_519
; %bb.316:
	v_bfe_u32 v6, v5, 21, 1
	s_mov_b32 s18, exec_lo
	s_delay_alu instid0(VALU_DEP_1) | instskip(NEXT) | instid1(VALU_DEP_1)
	v_add3_u32 v6, v5, v6, 0x88fffff
	v_lshrrev_b32_e32 v6, 21, v6
	s_or_saveexec_b32 s20, s20
                                        ; implicit-def: $sgpr21
	s_delay_alu instid0(SALU_CYCLE_1)
	s_xor_b32 exec_lo, exec_lo, s20
	s_cbranch_execnz .LBB448_520
.LBB448_317:
	s_or_b32 exec_lo, exec_lo, s20
	v_mov_b32_e32 v7, s21
	s_and_saveexec_b32 s20, s18
.LBB448_318:
	v_lshrrev_b32_e32 v5, 24, v5
	s_delay_alu instid0(VALU_DEP_1)
	v_and_or_b32 v7, 0x80, v5, v6
.LBB448_319:
	s_or_b32 exec_lo, exec_lo, s20
.LBB448_320:
	s_delay_alu instid0(SALU_CYCLE_1)
	s_or_b32 exec_lo, exec_lo, s1
	s_mov_b32 s1, 0
	global_store_b8 v[2:3], v7, off
.LBB448_321:
	s_and_b32 vcc_lo, exec_lo, s1
	s_cbranch_vccz .LBB448_331
; %bb.322:
	v_xor_b32_e32 v5, v0, v1
	v_cls_i32_e32 v6, v1
	s_mov_b32 s1, exec_lo
	s_delay_alu instid0(VALU_DEP_2) | instskip(NEXT) | instid1(VALU_DEP_2)
	v_ashrrev_i32_e32 v5, 31, v5
	v_add_nc_u32_e32 v6, -1, v6
	s_delay_alu instid0(VALU_DEP_2) | instskip(NEXT) | instid1(VALU_DEP_1)
	v_add_nc_u32_e32 v5, 32, v5
	v_min_u32_e32 v7, v6, v5
	s_delay_alu instid0(VALU_DEP_1) | instskip(NEXT) | instid1(VALU_DEP_1)
	v_lshlrev_b64 v[5:6], v7, v[0:1]
	v_min_u32_e32 v5, 1, v5
	s_delay_alu instid0(VALU_DEP_1) | instskip(SKIP_1) | instid1(VALU_DEP_2)
	v_or_b32_e32 v5, v6, v5
	v_sub_nc_u32_e32 v6, 32, v7
	v_cvt_f32_i32_e32 v5, v5
	s_delay_alu instid0(VALU_DEP_1) | instskip(NEXT) | instid1(VALU_DEP_1)
	v_ldexp_f32 v5, v5, v6
                                        ; implicit-def: $vgpr6
	v_and_b32_e32 v7, 0x7fffffff, v5
	s_delay_alu instid0(VALU_DEP_1)
	v_cmpx_gt_u32_e32 0x43f00000, v7
	s_xor_b32 s1, exec_lo, s1
	s_cbranch_execz .LBB448_328
; %bb.323:
	s_mov_b32 s18, exec_lo
                                        ; implicit-def: $vgpr6
	v_cmpx_lt_u32_e32 0x3c7fffff, v7
	s_xor_b32 s18, exec_lo, s18
; %bb.324:
	v_bfe_u32 v6, v5, 20, 1
	s_delay_alu instid0(VALU_DEP_1) | instskip(NEXT) | instid1(VALU_DEP_1)
	v_add3_u32 v6, v5, v6, 0x407ffff
	v_and_b32_e32 v7, 0xff00000, v6
	v_lshrrev_b32_e32 v6, 20, v6
	s_delay_alu instid0(VALU_DEP_2) | instskip(NEXT) | instid1(VALU_DEP_2)
	v_cmp_ne_u32_e32 vcc_lo, 0x7f00000, v7
	v_cndmask_b32_e32 v6, 0x7e, v6, vcc_lo
; %bb.325:
	s_and_not1_saveexec_b32 s18, s18
; %bb.326:
	v_add_f32_e64 v6, 0x46800000, |v5|
; %bb.327:
	s_or_b32 exec_lo, exec_lo, s18
                                        ; implicit-def: $vgpr7
.LBB448_328:
	s_and_not1_saveexec_b32 s1, s1
; %bb.329:
	v_mov_b32_e32 v6, 0x7f
	v_cmp_lt_u32_e32 vcc_lo, 0x7f800000, v7
	s_delay_alu instid0(VALU_DEP_2)
	v_cndmask_b32_e32 v6, 0x7e, v6, vcc_lo
; %bb.330:
	s_or_b32 exec_lo, exec_lo, s1
	v_lshrrev_b32_e32 v5, 24, v5
	s_delay_alu instid0(VALU_DEP_1)
	v_and_or_b32 v5, 0x80, v5, v6
	global_store_b8 v[2:3], v5, off
.LBB448_331:
	s_mov_b32 s1, 0
.LBB448_332:
	s_delay_alu instid0(SALU_CYCLE_1)
	s_and_not1_b32 vcc_lo, exec_lo, s1
	s_cbranch_vccnz .LBB448_342
; %bb.333:
	v_xor_b32_e32 v5, v0, v1
	v_cls_i32_e32 v6, v1
	s_mov_b32 s1, exec_lo
	s_delay_alu instid0(VALU_DEP_2) | instskip(NEXT) | instid1(VALU_DEP_2)
	v_ashrrev_i32_e32 v5, 31, v5
	v_add_nc_u32_e32 v6, -1, v6
	s_delay_alu instid0(VALU_DEP_2) | instskip(NEXT) | instid1(VALU_DEP_1)
	v_add_nc_u32_e32 v5, 32, v5
	v_min_u32_e32 v7, v6, v5
	s_delay_alu instid0(VALU_DEP_1) | instskip(NEXT) | instid1(VALU_DEP_1)
	v_lshlrev_b64 v[5:6], v7, v[0:1]
	v_min_u32_e32 v5, 1, v5
	s_delay_alu instid0(VALU_DEP_1) | instskip(SKIP_1) | instid1(VALU_DEP_2)
	v_or_b32_e32 v5, v6, v5
	v_sub_nc_u32_e32 v6, 32, v7
	v_cvt_f32_i32_e32 v5, v5
	s_delay_alu instid0(VALU_DEP_1) | instskip(NEXT) | instid1(VALU_DEP_1)
	v_ldexp_f32 v5, v5, v6
                                        ; implicit-def: $vgpr6
	v_and_b32_e32 v7, 0x7fffffff, v5
	s_delay_alu instid0(VALU_DEP_1)
	v_cmpx_gt_u32_e32 0x47800000, v7
	s_xor_b32 s1, exec_lo, s1
	s_cbranch_execz .LBB448_339
; %bb.334:
	s_mov_b32 s18, exec_lo
                                        ; implicit-def: $vgpr6
	v_cmpx_lt_u32_e32 0x387fffff, v7
	s_xor_b32 s18, exec_lo, s18
; %bb.335:
	v_bfe_u32 v6, v5, 21, 1
	s_delay_alu instid0(VALU_DEP_1) | instskip(NEXT) | instid1(VALU_DEP_1)
	v_add3_u32 v6, v5, v6, 0x80fffff
	v_lshrrev_b32_e32 v6, 21, v6
; %bb.336:
	s_and_not1_saveexec_b32 s18, s18
; %bb.337:
	v_add_f32_e64 v6, 0x43000000, |v5|
; %bb.338:
	s_or_b32 exec_lo, exec_lo, s18
                                        ; implicit-def: $vgpr7
.LBB448_339:
	s_and_not1_saveexec_b32 s1, s1
; %bb.340:
	v_mov_b32_e32 v6, 0x7f
	v_cmp_lt_u32_e32 vcc_lo, 0x7f800000, v7
	s_delay_alu instid0(VALU_DEP_2)
	v_cndmask_b32_e32 v6, 0x7c, v6, vcc_lo
; %bb.341:
	s_or_b32 exec_lo, exec_lo, s1
	v_lshrrev_b32_e32 v5, 24, v5
	s_delay_alu instid0(VALU_DEP_1)
	v_and_or_b32 v5, 0x80, v5, v6
	global_store_b8 v[2:3], v5, off
.LBB448_342:
	s_mov_b32 s18, 0
	s_mov_b32 s1, -1
.LBB448_343:
	s_and_not1_b32 vcc_lo, exec_lo, s18
	s_cbranch_vccnz .LBB448_351
; %bb.344:
	v_cmp_lt_i16_e32 vcc_lo, 14, v4
	s_mov_b32 s18, -1
	s_cbranch_vccz .LBB448_348
; %bb.345:
	v_cmp_eq_u16_e32 vcc_lo, 15, v4
	s_mov_b32 s0, -1
	s_cbranch_vccz .LBB448_347
; %bb.346:
	v_xor_b32_e32 v5, v0, v1
	v_cls_i32_e32 v6, v1
	s_mov_b32 s1, -1
	s_mov_b32 s0, 0
	s_delay_alu instid0(VALU_DEP_2) | instskip(NEXT) | instid1(VALU_DEP_2)
	v_ashrrev_i32_e32 v5, 31, v5
	v_add_nc_u32_e32 v6, -1, v6
	s_delay_alu instid0(VALU_DEP_2) | instskip(NEXT) | instid1(VALU_DEP_1)
	v_add_nc_u32_e32 v5, 32, v5
	v_min_u32_e32 v7, v6, v5
	s_delay_alu instid0(VALU_DEP_1) | instskip(NEXT) | instid1(VALU_DEP_1)
	v_lshlrev_b64 v[5:6], v7, v[0:1]
	v_min_u32_e32 v5, 1, v5
	s_delay_alu instid0(VALU_DEP_1) | instskip(SKIP_1) | instid1(VALU_DEP_2)
	v_or_b32_e32 v5, v6, v5
	v_sub_nc_u32_e32 v6, 32, v7
	v_cvt_f32_i32_e32 v5, v5
	s_delay_alu instid0(VALU_DEP_1) | instskip(NEXT) | instid1(VALU_DEP_1)
	v_ldexp_f32 v5, v5, v6
	v_bfe_u32 v6, v5, 16, 1
	s_delay_alu instid0(VALU_DEP_1)
	v_add3_u32 v5, v5, v6, 0x7fff
	global_store_d16_hi_b16 v[2:3], v5, off
.LBB448_347:
	s_mov_b32 s18, 0
.LBB448_348:
	s_delay_alu instid0(SALU_CYCLE_1)
	s_and_b32 vcc_lo, exec_lo, s18
	s_cbranch_vccz .LBB448_351
; %bb.349:
	v_cmp_eq_u16_e32 vcc_lo, 11, v4
	s_mov_b32 s0, -1
	s_cbranch_vccz .LBB448_351
; %bb.350:
	v_cmp_ne_u64_e32 vcc_lo, 0, v[0:1]
	s_mov_b32 s1, -1
	s_mov_b32 s0, 0
	v_cndmask_b32_e64 v5, 0, 1, vcc_lo
	global_store_b8 v[2:3], v5, off
.LBB448_351:
	s_mov_b32 s18, 0
.LBB448_352:
	s_delay_alu instid0(SALU_CYCLE_1)
	s_and_b32 vcc_lo, exec_lo, s18
	s_cbranch_vccz .LBB448_391
; %bb.353:
	v_cmp_gt_i16_e32 vcc_lo, 5, v4
	s_mov_b32 s1, -1
	s_cbranch_vccnz .LBB448_374
; %bb.354:
	v_cmp_gt_i16_e32 vcc_lo, 8, v4
	s_cbranch_vccnz .LBB448_364
; %bb.355:
	v_cmp_gt_i16_e32 vcc_lo, 9, v4
	s_cbranch_vccnz .LBB448_361
; %bb.356:
	v_cmp_lt_i16_e32 vcc_lo, 9, v4
	s_cbranch_vccz .LBB448_358
; %bb.357:
	v_cvt_f64_i32_e32 v[5:6], v1
	v_cvt_f64_u32_e32 v[7:8], v0
	s_mov_b32 s1, 0
	s_delay_alu instid0(VALU_DEP_2) | instskip(NEXT) | instid1(VALU_DEP_1)
	v_ldexp_f64 v[5:6], v[5:6], 32
	v_add_f64 v[5:6], v[5:6], v[7:8]
	v_mov_b32_e32 v7, 0
	s_delay_alu instid0(VALU_DEP_1)
	v_mov_b32_e32 v8, v7
	global_store_b128 v[2:3], v[5:8], off
.LBB448_358:
	s_and_not1_b32 vcc_lo, exec_lo, s1
	s_cbranch_vccnz .LBB448_360
; %bb.359:
	v_xor_b32_e32 v5, v0, v1
	v_cls_i32_e32 v6, v1
	s_delay_alu instid0(VALU_DEP_2) | instskip(NEXT) | instid1(VALU_DEP_2)
	v_ashrrev_i32_e32 v5, 31, v5
	v_add_nc_u32_e32 v6, -1, v6
	s_delay_alu instid0(VALU_DEP_2) | instskip(NEXT) | instid1(VALU_DEP_1)
	v_add_nc_u32_e32 v5, 32, v5
	v_min_u32_e32 v7, v6, v5
	s_delay_alu instid0(VALU_DEP_1) | instskip(NEXT) | instid1(VALU_DEP_1)
	v_lshlrev_b64 v[5:6], v7, v[0:1]
	v_min_u32_e32 v5, 1, v5
	s_delay_alu instid0(VALU_DEP_1) | instskip(SKIP_1) | instid1(VALU_DEP_2)
	v_or_b32_e32 v5, v6, v5
	v_sub_nc_u32_e32 v6, 32, v7
	v_cvt_f32_i32_e32 v5, v5
	s_delay_alu instid0(VALU_DEP_1)
	v_ldexp_f32 v5, v5, v6
	v_mov_b32_e32 v6, 0
	global_store_b64 v[2:3], v[5:6], off
.LBB448_360:
	s_mov_b32 s1, 0
.LBB448_361:
	s_delay_alu instid0(SALU_CYCLE_1)
	s_and_not1_b32 vcc_lo, exec_lo, s1
	s_cbranch_vccnz .LBB448_363
; %bb.362:
	v_xor_b32_e32 v5, v0, v1
	v_cls_i32_e32 v6, v1
	s_delay_alu instid0(VALU_DEP_2) | instskip(NEXT) | instid1(VALU_DEP_2)
	v_ashrrev_i32_e32 v5, 31, v5
	v_add_nc_u32_e32 v6, -1, v6
	s_delay_alu instid0(VALU_DEP_2) | instskip(NEXT) | instid1(VALU_DEP_1)
	v_add_nc_u32_e32 v5, 32, v5
	v_min_u32_e32 v7, v6, v5
	s_delay_alu instid0(VALU_DEP_1) | instskip(NEXT) | instid1(VALU_DEP_1)
	v_lshlrev_b64 v[5:6], v7, v[0:1]
	v_min_u32_e32 v5, 1, v5
	s_delay_alu instid0(VALU_DEP_1) | instskip(SKIP_1) | instid1(VALU_DEP_2)
	v_or_b32_e32 v5, v6, v5
	v_sub_nc_u32_e32 v6, 32, v7
	v_cvt_f32_i32_e32 v5, v5
	s_delay_alu instid0(VALU_DEP_1) | instskip(NEXT) | instid1(VALU_DEP_1)
	v_ldexp_f32 v5, v5, v6
	v_cvt_f16_f32_e32 v5, v5
	s_delay_alu instid0(VALU_DEP_1)
	v_and_b32_e32 v5, 0xffff, v5
	global_store_b32 v[2:3], v5, off
.LBB448_363:
	s_mov_b32 s1, 0
.LBB448_364:
	s_delay_alu instid0(SALU_CYCLE_1)
	s_and_not1_b32 vcc_lo, exec_lo, s1
	s_cbranch_vccnz .LBB448_373
; %bb.365:
	v_cmp_gt_i16_e32 vcc_lo, 6, v4
	s_mov_b32 s1, -1
	s_cbranch_vccnz .LBB448_371
; %bb.366:
	v_cmp_lt_i16_e32 vcc_lo, 6, v4
	s_cbranch_vccz .LBB448_368
; %bb.367:
	v_cvt_f64_i32_e32 v[5:6], v1
	v_cvt_f64_u32_e32 v[7:8], v0
	s_mov_b32 s1, 0
	s_delay_alu instid0(VALU_DEP_2) | instskip(NEXT) | instid1(VALU_DEP_1)
	v_ldexp_f64 v[5:6], v[5:6], 32
	v_add_f64 v[5:6], v[5:6], v[7:8]
	global_store_b64 v[2:3], v[5:6], off
.LBB448_368:
	s_and_not1_b32 vcc_lo, exec_lo, s1
	s_cbranch_vccnz .LBB448_370
; %bb.369:
	v_xor_b32_e32 v5, v0, v1
	v_cls_i32_e32 v6, v1
	s_delay_alu instid0(VALU_DEP_2) | instskip(NEXT) | instid1(VALU_DEP_2)
	v_ashrrev_i32_e32 v5, 31, v5
	v_add_nc_u32_e32 v6, -1, v6
	s_delay_alu instid0(VALU_DEP_2) | instskip(NEXT) | instid1(VALU_DEP_1)
	v_add_nc_u32_e32 v5, 32, v5
	v_min_u32_e32 v7, v6, v5
	s_delay_alu instid0(VALU_DEP_1) | instskip(NEXT) | instid1(VALU_DEP_1)
	v_lshlrev_b64 v[5:6], v7, v[0:1]
	v_min_u32_e32 v5, 1, v5
	s_delay_alu instid0(VALU_DEP_1) | instskip(SKIP_1) | instid1(VALU_DEP_2)
	v_or_b32_e32 v5, v6, v5
	v_sub_nc_u32_e32 v6, 32, v7
	v_cvt_f32_i32_e32 v5, v5
	s_delay_alu instid0(VALU_DEP_1)
	v_ldexp_f32 v5, v5, v6
	global_store_b32 v[2:3], v5, off
.LBB448_370:
	s_mov_b32 s1, 0
.LBB448_371:
	s_delay_alu instid0(SALU_CYCLE_1)
	s_and_not1_b32 vcc_lo, exec_lo, s1
	s_cbranch_vccnz .LBB448_373
; %bb.372:
	v_xor_b32_e32 v5, v0, v1
	v_cls_i32_e32 v6, v1
	s_delay_alu instid0(VALU_DEP_2) | instskip(NEXT) | instid1(VALU_DEP_2)
	v_ashrrev_i32_e32 v5, 31, v5
	v_add_nc_u32_e32 v6, -1, v6
	s_delay_alu instid0(VALU_DEP_2) | instskip(NEXT) | instid1(VALU_DEP_1)
	v_add_nc_u32_e32 v5, 32, v5
	v_min_u32_e32 v7, v6, v5
	s_delay_alu instid0(VALU_DEP_1) | instskip(NEXT) | instid1(VALU_DEP_1)
	v_lshlrev_b64 v[5:6], v7, v[0:1]
	v_min_u32_e32 v5, 1, v5
	s_delay_alu instid0(VALU_DEP_1) | instskip(SKIP_1) | instid1(VALU_DEP_2)
	v_or_b32_e32 v5, v6, v5
	v_sub_nc_u32_e32 v6, 32, v7
	v_cvt_f32_i32_e32 v5, v5
	s_delay_alu instid0(VALU_DEP_1) | instskip(NEXT) | instid1(VALU_DEP_1)
	v_ldexp_f32 v5, v5, v6
	v_cvt_f16_f32_e32 v5, v5
	global_store_b16 v[2:3], v5, off
.LBB448_373:
	s_mov_b32 s1, 0
.LBB448_374:
	s_delay_alu instid0(SALU_CYCLE_1)
	s_and_not1_b32 vcc_lo, exec_lo, s1
	s_cbranch_vccnz .LBB448_390
; %bb.375:
	v_cmp_gt_i16_e32 vcc_lo, 2, v4
	s_mov_b32 s1, -1
	s_cbranch_vccnz .LBB448_385
; %bb.376:
	v_cmp_gt_i16_e32 vcc_lo, 3, v4
	s_cbranch_vccnz .LBB448_382
; %bb.377:
	v_cmp_lt_i16_e32 vcc_lo, 3, v4
	s_cbranch_vccz .LBB448_379
; %bb.378:
	s_mov_b32 s1, 0
	global_store_b64 v[2:3], v[0:1], off
.LBB448_379:
	s_and_not1_b32 vcc_lo, exec_lo, s1
	s_cbranch_vccnz .LBB448_381
; %bb.380:
	global_store_b32 v[2:3], v0, off
.LBB448_381:
	s_mov_b32 s1, 0
.LBB448_382:
	s_delay_alu instid0(SALU_CYCLE_1)
	s_and_not1_b32 vcc_lo, exec_lo, s1
	s_cbranch_vccnz .LBB448_384
; %bb.383:
	global_store_b16 v[2:3], v0, off
.LBB448_384:
	s_mov_b32 s1, 0
.LBB448_385:
	s_delay_alu instid0(SALU_CYCLE_1)
	s_and_not1_b32 vcc_lo, exec_lo, s1
	s_cbranch_vccnz .LBB448_390
; %bb.386:
	v_cmp_lt_i16_e32 vcc_lo, 0, v4
	s_mov_b32 s1, -1
	s_cbranch_vccz .LBB448_388
; %bb.387:
	s_mov_b32 s1, 0
	global_store_b8 v[2:3], v0, off
.LBB448_388:
	s_and_not1_b32 vcc_lo, exec_lo, s1
	s_cbranch_vccnz .LBB448_390
; %bb.389:
	global_store_b8 v[2:3], v0, off
.LBB448_390:
	s_mov_b32 s1, -1
.LBB448_391:
	s_delay_alu instid0(SALU_CYCLE_1)
	s_and_not1_b32 vcc_lo, exec_lo, s1
	s_cbranch_vccnz .LBB448_393
; %bb.392:
	v_add_nc_u32_e32 v10, 0x80, v10
	s_mov_b32 s1, -1
	s_branch .LBB448_502
.LBB448_393:
	s_mov_b32 s1, 0
	s_branch .LBB448_501
.LBB448_394:
	s_mov_b32 s17, -1
                                        ; implicit-def: $vgpr2_vgpr3
.LBB448_395:
	s_mov_b32 s1, 0
.LBB448_396:
	s_delay_alu instid0(SALU_CYCLE_1)
	s_and_b32 vcc_lo, exec_lo, s1
	s_cbranch_vccz .LBB448_400
; %bb.397:
	v_cmp_eq_u16_e32 vcc_lo, 29, v11
	s_cbranch_vccz .LBB448_399
; %bb.398:
	global_load_b64 v[2:3], v[0:1], off
	s_mov_b32 s0, -1
	s_mov_b32 s17, 0
	s_branch .LBB448_400
.LBB448_399:
	s_mov_b32 s17, -1
                                        ; implicit-def: $vgpr2_vgpr3
.LBB448_400:
	s_mov_b32 s1, 0
.LBB448_401:
	s_delay_alu instid0(SALU_CYCLE_1)
	s_and_b32 vcc_lo, exec_lo, s1
	s_cbranch_vccz .LBB448_419
; %bb.402:
	v_cmp_gt_i16_e32 vcc_lo, 27, v11
	s_cbranch_vccnz .LBB448_405
; %bb.403:
	v_cmp_lt_i16_e32 vcc_lo, 27, v11
	s_cbranch_vccz .LBB448_406
; %bb.404:
	global_load_b32 v2, v[0:1], off
	s_waitcnt vmcnt(1)
	v_mov_b32_e32 v3, 0
	s_mov_b32 s0, 0
	s_branch .LBB448_407
.LBB448_405:
	s_mov_b32 s0, -1
                                        ; implicit-def: $vgpr2_vgpr3
	s_branch .LBB448_410
.LBB448_406:
	s_mov_b32 s0, -1
                                        ; implicit-def: $vgpr2_vgpr3
.LBB448_407:
	s_delay_alu instid0(SALU_CYCLE_1)
	s_and_not1_b32 vcc_lo, exec_lo, s0
	s_cbranch_vccnz .LBB448_409
; %bb.408:
	global_load_u16 v2, v[0:1], off
	s_mov_b32 s0, 0
	s_waitcnt vmcnt(0)
	v_dual_mov_b32 v3, s0 :: v_dual_and_b32 v2, 0xffff, v2
.LBB448_409:
	s_mov_b32 s0, 0
.LBB448_410:
	s_delay_alu instid0(SALU_CYCLE_1)
	s_and_not1_b32 vcc_lo, exec_lo, s0
	s_cbranch_vccnz .LBB448_418
; %bb.411:
	global_load_u8 v4, v[0:1], off
	s_mov_b32 s18, 0
	s_mov_b32 s20, exec_lo
                                        ; implicit-def: $sgpr0_sgpr1
	s_waitcnt vmcnt(0)
	v_cmpx_lt_i16_e32 0x7f, v4
	s_xor_b32 s20, exec_lo, s20
; %bb.412:
	v_cmp_ne_u16_e32 vcc_lo, 0x80, v4
	s_mov_b64 s[0:1], 0
	s_and_b32 s18, vcc_lo, exec_lo
; %bb.413:
	s_or_saveexec_b32 s20, s20
	v_dual_mov_b32 v3, s1 :: v_dual_mov_b32 v2, s0
	s_xor_b32 exec_lo, exec_lo, s20
; %bb.414:
	v_cmp_ne_u16_e32 vcc_lo, 0, v4
	v_mov_b32_e32 v2, 0
	v_mov_b32_e32 v3, 0
	s_and_not1_b32 s0, s18, exec_lo
	s_and_b32 s1, vcc_lo, exec_lo
	s_delay_alu instid0(SALU_CYCLE_1)
	s_or_b32 s18, s0, s1
; %bb.415:
	s_or_b32 exec_lo, exec_lo, s20
	s_and_saveexec_b32 s0, s18
	s_cbranch_execz .LBB448_417
; %bb.416:
	v_and_b32_e32 v2, 0xffff, v4
	v_lshlrev_b32_e32 v4, 24, v4
	s_delay_alu instid0(VALU_DEP_2) | instskip(NEXT) | instid1(VALU_DEP_2)
	v_and_b32_e32 v3, 7, v2
	v_and_b32_e32 v4, 0x80000000, v4
	s_delay_alu instid0(VALU_DEP_2) | instskip(NEXT) | instid1(VALU_DEP_1)
	v_clz_i32_u32_e32 v5, v3
	v_min_u32_e32 v5, 32, v5
	s_delay_alu instid0(VALU_DEP_1) | instskip(SKIP_1) | instid1(VALU_DEP_2)
	v_subrev_nc_u32_e32 v6, 28, v5
	v_sub_nc_u32_e32 v5, 29, v5
	v_lshlrev_b32_e32 v6, v6, v2
	v_bfe_u32 v2, v2, 3, 4
	s_delay_alu instid0(VALU_DEP_2) | instskip(NEXT) | instid1(VALU_DEP_2)
	v_and_b32_e32 v6, 7, v6
	v_cmp_eq_u32_e32 vcc_lo, 0, v2
	s_delay_alu instid0(VALU_DEP_2) | instskip(NEXT) | instid1(VALU_DEP_1)
	v_dual_cndmask_b32 v2, v2, v5 :: v_dual_cndmask_b32 v3, v3, v6
	v_lshl_add_u32 v2, v2, 23, 0x3b800000
	s_delay_alu instid0(VALU_DEP_2) | instskip(NEXT) | instid1(VALU_DEP_1)
	v_lshlrev_b32_e32 v3, 20, v3
	v_or3_b32 v2, v4, v2, v3
	s_delay_alu instid0(VALU_DEP_1) | instskip(NEXT) | instid1(VALU_DEP_1)
	v_trunc_f32_e32 v2, v2
	v_mul_f32_e64 v3, 0x2f800000, |v2|
	v_ashrrev_i32_e32 v5, 31, v2
	s_delay_alu instid0(VALU_DEP_2) | instskip(NEXT) | instid1(VALU_DEP_1)
	v_floor_f32_e32 v3, v3
	v_fma_f32 v4, 0xcf800000, v3, |v2|
	v_cvt_u32_f32_e32 v3, v3
	s_delay_alu instid0(VALU_DEP_2) | instskip(NEXT) | instid1(VALU_DEP_2)
	v_cvt_u32_f32_e32 v2, v4
	v_xor_b32_e32 v3, v3, v5
	s_delay_alu instid0(VALU_DEP_2) | instskip(NEXT) | instid1(VALU_DEP_1)
	v_xor_b32_e32 v2, v2, v5
	v_sub_co_u32 v2, vcc_lo, v2, v5
	s_delay_alu instid0(VALU_DEP_3)
	v_sub_co_ci_u32_e32 v3, vcc_lo, v3, v5, vcc_lo
.LBB448_417:
	s_or_b32 exec_lo, exec_lo, s0
.LBB448_418:
	s_mov_b32 s0, -1
.LBB448_419:
	s_mov_b32 s1, 0
.LBB448_420:
	s_delay_alu instid0(SALU_CYCLE_1)
	s_and_b32 vcc_lo, exec_lo, s1
	s_cbranch_vccz .LBB448_451
; %bb.421:
	v_cmp_lt_i16_e32 vcc_lo, 22, v11
	s_cbranch_vccz .LBB448_431
; %bb.422:
	v_cmp_gt_i16_e32 vcc_lo, 24, v11
	s_cbranch_vccnz .LBB448_432
; %bb.423:
	v_cmp_lt_i16_e32 vcc_lo, 24, v11
	s_cbranch_vccz .LBB448_433
; %bb.424:
	global_load_u8 v4, v[0:1], off
	s_mov_b32 s18, 0
	s_mov_b32 s20, exec_lo
                                        ; implicit-def: $sgpr0_sgpr1
	s_waitcnt vmcnt(0)
	v_cmpx_lt_i16_e32 0x7f, v4
	s_xor_b32 s20, exec_lo, s20
; %bb.425:
	v_cmp_ne_u16_e32 vcc_lo, 0x80, v4
	s_mov_b64 s[0:1], 0
	s_and_b32 s18, vcc_lo, exec_lo
; %bb.426:
	s_or_saveexec_b32 s20, s20
	v_dual_mov_b32 v3, s1 :: v_dual_mov_b32 v2, s0
	s_xor_b32 exec_lo, exec_lo, s20
; %bb.427:
	v_cmp_ne_u16_e32 vcc_lo, 0, v4
	v_mov_b32_e32 v2, 0
	v_mov_b32_e32 v3, 0
	s_and_not1_b32 s0, s18, exec_lo
	s_and_b32 s1, vcc_lo, exec_lo
	s_delay_alu instid0(SALU_CYCLE_1)
	s_or_b32 s18, s0, s1
; %bb.428:
	s_or_b32 exec_lo, exec_lo, s20
	s_and_saveexec_b32 s0, s18
	s_cbranch_execz .LBB448_430
; %bb.429:
	v_and_b32_e32 v2, 0xffff, v4
	v_lshlrev_b32_e32 v4, 24, v4
	s_delay_alu instid0(VALU_DEP_2) | instskip(NEXT) | instid1(VALU_DEP_2)
	v_and_b32_e32 v3, 3, v2
	v_and_b32_e32 v4, 0x80000000, v4
	s_delay_alu instid0(VALU_DEP_2) | instskip(NEXT) | instid1(VALU_DEP_1)
	v_clz_i32_u32_e32 v5, v3
	v_min_u32_e32 v5, 32, v5
	s_delay_alu instid0(VALU_DEP_1) | instskip(SKIP_1) | instid1(VALU_DEP_2)
	v_subrev_nc_u32_e32 v6, 29, v5
	v_sub_nc_u32_e32 v5, 30, v5
	v_lshlrev_b32_e32 v6, v6, v2
	v_bfe_u32 v2, v2, 2, 5
	s_delay_alu instid0(VALU_DEP_2) | instskip(NEXT) | instid1(VALU_DEP_2)
	v_and_b32_e32 v6, 3, v6
	v_cmp_eq_u32_e32 vcc_lo, 0, v2
	s_delay_alu instid0(VALU_DEP_2) | instskip(NEXT) | instid1(VALU_DEP_1)
	v_dual_cndmask_b32 v2, v2, v5 :: v_dual_cndmask_b32 v3, v3, v6
	v_lshl_add_u32 v2, v2, 23, 0x37800000
	s_delay_alu instid0(VALU_DEP_2) | instskip(NEXT) | instid1(VALU_DEP_1)
	v_lshlrev_b32_e32 v3, 21, v3
	v_or3_b32 v2, v4, v2, v3
	s_delay_alu instid0(VALU_DEP_1) | instskip(NEXT) | instid1(VALU_DEP_1)
	v_trunc_f32_e32 v2, v2
	v_mul_f32_e64 v3, 0x2f800000, |v2|
	v_ashrrev_i32_e32 v5, 31, v2
	s_delay_alu instid0(VALU_DEP_2) | instskip(NEXT) | instid1(VALU_DEP_1)
	v_floor_f32_e32 v3, v3
	v_fma_f32 v4, 0xcf800000, v3, |v2|
	v_cvt_u32_f32_e32 v3, v3
	s_delay_alu instid0(VALU_DEP_2) | instskip(NEXT) | instid1(VALU_DEP_2)
	v_cvt_u32_f32_e32 v2, v4
	v_xor_b32_e32 v3, v3, v5
	s_delay_alu instid0(VALU_DEP_2) | instskip(NEXT) | instid1(VALU_DEP_1)
	v_xor_b32_e32 v2, v2, v5
	v_sub_co_u32 v2, vcc_lo, v2, v5
	s_delay_alu instid0(VALU_DEP_3)
	v_sub_co_ci_u32_e32 v3, vcc_lo, v3, v5, vcc_lo
.LBB448_430:
	s_or_b32 exec_lo, exec_lo, s0
	s_mov_b32 s0, 0
	s_branch .LBB448_434
.LBB448_431:
	s_mov_b32 s1, -1
                                        ; implicit-def: $vgpr2_vgpr3
	s_branch .LBB448_440
.LBB448_432:
	s_mov_b32 s0, -1
                                        ; implicit-def: $vgpr2_vgpr3
	s_branch .LBB448_437
.LBB448_433:
	s_mov_b32 s0, -1
                                        ; implicit-def: $vgpr2_vgpr3
.LBB448_434:
	s_delay_alu instid0(SALU_CYCLE_1)
	s_and_b32 vcc_lo, exec_lo, s0
	s_cbranch_vccz .LBB448_436
; %bb.435:
	global_load_u8 v2, v[0:1], off
	s_waitcnt vmcnt(0)
	v_lshlrev_b32_e32 v2, 24, v2
	s_delay_alu instid0(VALU_DEP_1) | instskip(NEXT) | instid1(VALU_DEP_1)
	v_and_b32_e32 v3, 0x7f000000, v2
	v_clz_i32_u32_e32 v4, v3
	v_add_nc_u32_e32 v6, 0x1000000, v3
	v_cmp_ne_u32_e32 vcc_lo, 0, v3
	s_delay_alu instid0(VALU_DEP_3) | instskip(NEXT) | instid1(VALU_DEP_1)
	v_min_u32_e32 v4, 32, v4
	v_sub_nc_u32_e64 v4, v4, 4 clamp
	s_delay_alu instid0(VALU_DEP_1) | instskip(SKIP_1) | instid1(VALU_DEP_2)
	v_lshlrev_b32_e32 v5, v4, v3
	v_lshlrev_b32_e32 v4, 23, v4
	v_lshrrev_b32_e32 v5, 4, v5
	s_delay_alu instid0(VALU_DEP_1) | instskip(SKIP_1) | instid1(VALU_DEP_2)
	v_sub_nc_u32_e32 v4, v5, v4
	v_ashrrev_i32_e32 v5, 8, v6
	v_add_nc_u32_e32 v4, 0x3c000000, v4
	s_delay_alu instid0(VALU_DEP_1) | instskip(NEXT) | instid1(VALU_DEP_1)
	v_and_or_b32 v4, 0x7f800000, v5, v4
	v_cndmask_b32_e32 v3, 0, v4, vcc_lo
	s_delay_alu instid0(VALU_DEP_1) | instskip(NEXT) | instid1(VALU_DEP_1)
	v_and_or_b32 v2, 0x80000000, v2, v3
	v_trunc_f32_e32 v2, v2
	s_delay_alu instid0(VALU_DEP_1) | instskip(SKIP_1) | instid1(VALU_DEP_2)
	v_mul_f32_e64 v3, 0x2f800000, |v2|
	v_ashrrev_i32_e32 v5, 31, v2
	v_floor_f32_e32 v3, v3
	s_delay_alu instid0(VALU_DEP_1) | instskip(SKIP_1) | instid1(VALU_DEP_2)
	v_fma_f32 v4, 0xcf800000, v3, |v2|
	v_cvt_u32_f32_e32 v3, v3
	v_cvt_u32_f32_e32 v2, v4
	s_delay_alu instid0(VALU_DEP_2) | instskip(NEXT) | instid1(VALU_DEP_2)
	v_xor_b32_e32 v3, v3, v5
	v_xor_b32_e32 v2, v2, v5
	s_delay_alu instid0(VALU_DEP_1) | instskip(NEXT) | instid1(VALU_DEP_3)
	v_sub_co_u32 v2, vcc_lo, v2, v5
	v_sub_co_ci_u32_e32 v3, vcc_lo, v3, v5, vcc_lo
.LBB448_436:
	s_mov_b32 s0, 0
.LBB448_437:
	s_delay_alu instid0(SALU_CYCLE_1)
	s_and_not1_b32 vcc_lo, exec_lo, s0
	s_cbranch_vccnz .LBB448_439
; %bb.438:
	global_load_u8 v2, v[0:1], off
	s_waitcnt vmcnt(0)
	v_lshlrev_b32_e32 v3, 25, v2
	v_lshlrev_b16 v2, 8, v2
	s_delay_alu instid0(VALU_DEP_2) | instskip(NEXT) | instid1(VALU_DEP_2)
	v_lshrrev_b32_e32 v4, 4, v3
	v_and_or_b32 v5, 0x7f00, v2, 0.5
	v_bfe_i32 v2, v2, 0, 16
	s_delay_alu instid0(VALU_DEP_3) | instskip(NEXT) | instid1(VALU_DEP_1)
	v_or_b32_e32 v4, 0x70000000, v4
	v_dual_add_f32 v5, -0.5, v5 :: v_dual_mul_f32 v4, 0x7800000, v4
	v_cmp_gt_u32_e32 vcc_lo, 0x8000000, v3
	s_delay_alu instid0(VALU_DEP_2) | instskip(NEXT) | instid1(VALU_DEP_1)
	v_cndmask_b32_e32 v3, v4, v5, vcc_lo
	v_and_or_b32 v2, 0x80000000, v2, v3
	s_delay_alu instid0(VALU_DEP_1) | instskip(NEXT) | instid1(VALU_DEP_1)
	v_trunc_f32_e32 v2, v2
	v_mul_f32_e64 v3, 0x2f800000, |v2|
	v_ashrrev_i32_e32 v5, 31, v2
	s_delay_alu instid0(VALU_DEP_2) | instskip(NEXT) | instid1(VALU_DEP_1)
	v_floor_f32_e32 v3, v3
	v_fma_f32 v4, 0xcf800000, v3, |v2|
	v_cvt_u32_f32_e32 v3, v3
	s_delay_alu instid0(VALU_DEP_2) | instskip(NEXT) | instid1(VALU_DEP_2)
	v_cvt_u32_f32_e32 v2, v4
	v_xor_b32_e32 v3, v3, v5
	s_delay_alu instid0(VALU_DEP_2) | instskip(NEXT) | instid1(VALU_DEP_1)
	v_xor_b32_e32 v2, v2, v5
	v_sub_co_u32 v2, vcc_lo, v2, v5
	s_delay_alu instid0(VALU_DEP_3)
	v_sub_co_ci_u32_e32 v3, vcc_lo, v3, v5, vcc_lo
.LBB448_439:
	s_mov_b32 s1, 0
	s_mov_b32 s0, -1
.LBB448_440:
	s_and_not1_b32 vcc_lo, exec_lo, s1
	s_cbranch_vccnz .LBB448_451
; %bb.441:
	v_cmp_lt_i16_e32 vcc_lo, 14, v11
	s_cbranch_vccz .LBB448_444
; %bb.442:
	v_cmp_eq_u16_e32 vcc_lo, 15, v11
	s_cbranch_vccz .LBB448_445
; %bb.443:
	global_load_u16 v2, v[0:1], off
	s_mov_b32 s0, -1
	s_mov_b32 s17, 0
	s_waitcnt vmcnt(0)
	v_lshlrev_b32_e32 v2, 16, v2
	s_delay_alu instid0(VALU_DEP_1) | instskip(NEXT) | instid1(VALU_DEP_1)
	v_trunc_f32_e32 v2, v2
	v_mul_f32_e64 v3, 0x2f800000, |v2|
	v_ashrrev_i32_e32 v5, 31, v2
	s_delay_alu instid0(VALU_DEP_2) | instskip(NEXT) | instid1(VALU_DEP_1)
	v_floor_f32_e32 v3, v3
	v_fma_f32 v4, 0xcf800000, v3, |v2|
	v_cvt_u32_f32_e32 v3, v3
	s_delay_alu instid0(VALU_DEP_2) | instskip(NEXT) | instid1(VALU_DEP_2)
	v_cvt_u32_f32_e32 v2, v4
	v_xor_b32_e32 v3, v3, v5
	s_delay_alu instid0(VALU_DEP_2) | instskip(NEXT) | instid1(VALU_DEP_1)
	v_xor_b32_e32 v2, v2, v5
	v_sub_co_u32 v2, vcc_lo, v2, v5
	s_delay_alu instid0(VALU_DEP_3)
	v_sub_co_ci_u32_e32 v3, vcc_lo, v3, v5, vcc_lo
	s_branch .LBB448_446
.LBB448_444:
	s_mov_b32 s1, -1
                                        ; implicit-def: $vgpr2_vgpr3
	s_branch .LBB448_447
.LBB448_445:
	s_mov_b32 s17, -1
                                        ; implicit-def: $vgpr2_vgpr3
.LBB448_446:
	s_mov_b32 s1, 0
.LBB448_447:
	s_delay_alu instid0(SALU_CYCLE_1)
	s_and_b32 vcc_lo, exec_lo, s1
	s_cbranch_vccz .LBB448_451
; %bb.448:
	v_cmp_eq_u16_e32 vcc_lo, 11, v11
	s_cbranch_vccz .LBB448_450
; %bb.449:
	global_load_u8 v2, v[0:1], off
	s_mov_b32 s17, 0
	s_mov_b32 s0, -1
	s_waitcnt vmcnt(1)
	v_mov_b32_e32 v3, s17
	s_waitcnt vmcnt(0)
	v_cmp_ne_u16_e32 vcc_lo, 0, v2
	v_cndmask_b32_e64 v2, 0, 1, vcc_lo
	s_branch .LBB448_451
.LBB448_450:
	s_mov_b32 s17, -1
                                        ; implicit-def: $vgpr2_vgpr3
.LBB448_451:
	s_branch .LBB448_257
.LBB448_452:
	v_cmp_gt_i16_e32 vcc_lo, 5, v11
	s_cbranch_vccnz .LBB448_457
; %bb.453:
	v_cmp_gt_i16_e32 vcc_lo, 8, v11
	s_cbranch_vccnz .LBB448_458
; %bb.454:
	;; [unrolled: 3-line block ×3, first 2 shown]
	v_cmp_lt_i16_e32 vcc_lo, 9, v11
	s_cbranch_vccz .LBB448_460
; %bb.456:
	global_load_b64 v[2:3], v[0:1], off
	s_mov_b32 s0, 0
	s_waitcnt vmcnt(0)
	v_trunc_f64_e32 v[2:3], v[2:3]
	s_delay_alu instid0(VALU_DEP_1) | instskip(NEXT) | instid1(VALU_DEP_1)
	v_ldexp_f64 v[4:5], v[2:3], 0xffffffe0
	v_floor_f64_e32 v[4:5], v[4:5]
	s_delay_alu instid0(VALU_DEP_1) | instskip(SKIP_1) | instid1(VALU_DEP_2)
	v_fma_f64 v[6:7], 0xc1f00000, v[4:5], v[2:3]
	v_cvt_i32_f64_e32 v3, v[4:5]
	v_cvt_u32_f64_e32 v2, v[6:7]
	s_branch .LBB448_461
.LBB448_457:
	s_mov_b32 s0, -1
                                        ; implicit-def: $vgpr2_vgpr3
	s_branch .LBB448_479
.LBB448_458:
	s_mov_b32 s0, -1
                                        ; implicit-def: $vgpr2_vgpr3
	s_branch .LBB448_467
.LBB448_459:
	s_mov_b32 s0, -1
                                        ; implicit-def: $vgpr2_vgpr3
	s_branch .LBB448_464
.LBB448_460:
	s_mov_b32 s0, -1
                                        ; implicit-def: $vgpr2_vgpr3
.LBB448_461:
	s_delay_alu instid0(SALU_CYCLE_1)
	s_and_not1_b32 vcc_lo, exec_lo, s0
	s_cbranch_vccnz .LBB448_463
; %bb.462:
	global_load_b32 v2, v[0:1], off
	s_waitcnt vmcnt(0)
	v_trunc_f32_e32 v2, v2
	s_delay_alu instid0(VALU_DEP_1) | instskip(SKIP_1) | instid1(VALU_DEP_2)
	v_mul_f32_e64 v3, 0x2f800000, |v2|
	v_ashrrev_i32_e32 v5, 31, v2
	v_floor_f32_e32 v3, v3
	s_delay_alu instid0(VALU_DEP_1) | instskip(SKIP_1) | instid1(VALU_DEP_2)
	v_fma_f32 v4, 0xcf800000, v3, |v2|
	v_cvt_u32_f32_e32 v3, v3
	v_cvt_u32_f32_e32 v2, v4
	s_delay_alu instid0(VALU_DEP_2) | instskip(NEXT) | instid1(VALU_DEP_2)
	v_xor_b32_e32 v3, v3, v5
	v_xor_b32_e32 v2, v2, v5
	s_delay_alu instid0(VALU_DEP_1) | instskip(NEXT) | instid1(VALU_DEP_3)
	v_sub_co_u32 v2, vcc_lo, v2, v5
	v_sub_co_ci_u32_e32 v3, vcc_lo, v3, v5, vcc_lo
.LBB448_463:
	s_mov_b32 s0, 0
.LBB448_464:
	s_delay_alu instid0(SALU_CYCLE_1)
	s_and_not1_b32 vcc_lo, exec_lo, s0
	s_cbranch_vccnz .LBB448_466
; %bb.465:
	global_load_b32 v2, v[0:1], off
	s_waitcnt vmcnt(0)
	v_cvt_f32_f16_e32 v2, v2
	s_delay_alu instid0(VALU_DEP_1) | instskip(NEXT) | instid1(VALU_DEP_1)
	v_cvt_i32_f32_e32 v2, v2
	v_ashrrev_i32_e32 v3, 31, v2
.LBB448_466:
	s_mov_b32 s0, 0
.LBB448_467:
	s_delay_alu instid0(SALU_CYCLE_1)
	s_and_not1_b32 vcc_lo, exec_lo, s0
	s_cbranch_vccnz .LBB448_478
; %bb.468:
	v_cmp_gt_i16_e32 vcc_lo, 6, v11
	s_cbranch_vccnz .LBB448_471
; %bb.469:
	v_cmp_lt_i16_e32 vcc_lo, 6, v11
	s_cbranch_vccz .LBB448_472
; %bb.470:
	global_load_b64 v[2:3], v[0:1], off
	s_mov_b32 s0, 0
	s_waitcnt vmcnt(0)
	v_trunc_f64_e32 v[2:3], v[2:3]
	s_delay_alu instid0(VALU_DEP_1) | instskip(NEXT) | instid1(VALU_DEP_1)
	v_ldexp_f64 v[4:5], v[2:3], 0xffffffe0
	v_floor_f64_e32 v[4:5], v[4:5]
	s_delay_alu instid0(VALU_DEP_1) | instskip(SKIP_1) | instid1(VALU_DEP_2)
	v_fma_f64 v[6:7], 0xc1f00000, v[4:5], v[2:3]
	v_cvt_i32_f64_e32 v3, v[4:5]
	v_cvt_u32_f64_e32 v2, v[6:7]
	s_branch .LBB448_473
.LBB448_471:
	s_mov_b32 s0, -1
                                        ; implicit-def: $vgpr2_vgpr3
	s_branch .LBB448_476
.LBB448_472:
	s_mov_b32 s0, -1
                                        ; implicit-def: $vgpr2_vgpr3
.LBB448_473:
	s_delay_alu instid0(SALU_CYCLE_1)
	s_and_not1_b32 vcc_lo, exec_lo, s0
	s_cbranch_vccnz .LBB448_475
; %bb.474:
	global_load_b32 v2, v[0:1], off
	s_waitcnt vmcnt(0)
	v_trunc_f32_e32 v2, v2
	s_delay_alu instid0(VALU_DEP_1) | instskip(SKIP_1) | instid1(VALU_DEP_2)
	v_mul_f32_e64 v3, 0x2f800000, |v2|
	v_ashrrev_i32_e32 v5, 31, v2
	v_floor_f32_e32 v3, v3
	s_delay_alu instid0(VALU_DEP_1) | instskip(SKIP_1) | instid1(VALU_DEP_2)
	v_fma_f32 v4, 0xcf800000, v3, |v2|
	v_cvt_u32_f32_e32 v3, v3
	v_cvt_u32_f32_e32 v2, v4
	s_delay_alu instid0(VALU_DEP_2) | instskip(NEXT) | instid1(VALU_DEP_2)
	v_xor_b32_e32 v3, v3, v5
	v_xor_b32_e32 v2, v2, v5
	s_delay_alu instid0(VALU_DEP_1) | instskip(NEXT) | instid1(VALU_DEP_3)
	v_sub_co_u32 v2, vcc_lo, v2, v5
	v_sub_co_ci_u32_e32 v3, vcc_lo, v3, v5, vcc_lo
.LBB448_475:
	s_mov_b32 s0, 0
.LBB448_476:
	s_delay_alu instid0(SALU_CYCLE_1)
	s_and_not1_b32 vcc_lo, exec_lo, s0
	s_cbranch_vccnz .LBB448_478
; %bb.477:
	global_load_u16 v2, v[0:1], off
	s_waitcnt vmcnt(0)
	v_cvt_f32_f16_e32 v2, v2
	s_delay_alu instid0(VALU_DEP_1) | instskip(NEXT) | instid1(VALU_DEP_1)
	v_cvt_i32_f32_e32 v2, v2
	v_ashrrev_i32_e32 v3, 31, v2
.LBB448_478:
	s_mov_b32 s0, 0
.LBB448_479:
	s_delay_alu instid0(SALU_CYCLE_1)
	s_and_not1_b32 vcc_lo, exec_lo, s0
	s_cbranch_vccnz .LBB448_499
; %bb.480:
	v_cmp_gt_i16_e32 vcc_lo, 2, v11
	s_cbranch_vccnz .LBB448_484
; %bb.481:
	v_cmp_gt_i16_e32 vcc_lo, 3, v11
	s_cbranch_vccnz .LBB448_485
; %bb.482:
	v_cmp_lt_i16_e32 vcc_lo, 3, v11
	s_cbranch_vccz .LBB448_486
; %bb.483:
	global_load_b64 v[2:3], v[0:1], off
	s_mov_b32 s0, 0
	s_branch .LBB448_487
.LBB448_484:
	s_mov_b32 s0, -1
                                        ; implicit-def: $vgpr2_vgpr3
	s_branch .LBB448_493
.LBB448_485:
	s_mov_b32 s0, -1
                                        ; implicit-def: $vgpr2_vgpr3
	s_branch .LBB448_490
.LBB448_486:
	s_mov_b32 s0, -1
                                        ; implicit-def: $vgpr2_vgpr3
.LBB448_487:
	s_delay_alu instid0(SALU_CYCLE_1)
	s_and_not1_b32 vcc_lo, exec_lo, s0
	s_cbranch_vccnz .LBB448_489
; %bb.488:
	global_load_b32 v2, v[0:1], off
	s_waitcnt vmcnt(0)
	v_ashrrev_i32_e32 v3, 31, v2
.LBB448_489:
	s_mov_b32 s0, 0
.LBB448_490:
	s_delay_alu instid0(SALU_CYCLE_1)
	s_and_not1_b32 vcc_lo, exec_lo, s0
	s_cbranch_vccnz .LBB448_492
; %bb.491:
	global_load_u16 v2, v[0:1], off
	s_waitcnt vmcnt(0)
	v_bfe_i32 v2, v2, 0, 16
	s_delay_alu instid0(VALU_DEP_1)
	v_ashrrev_i32_e32 v3, 31, v2
.LBB448_492:
	s_mov_b32 s0, 0
.LBB448_493:
	s_delay_alu instid0(SALU_CYCLE_1)
	s_and_not1_b32 vcc_lo, exec_lo, s0
	s_cbranch_vccnz .LBB448_499
; %bb.494:
	v_cmp_lt_i16_e32 vcc_lo, 0, v11
	s_mov_b32 s0, 0
	s_cbranch_vccz .LBB448_496
; %bb.495:
	global_load_i8 v2, v[0:1], off
	s_waitcnt vmcnt(0)
	v_bfe_i32 v2, v2, 0, 16
	s_delay_alu instid0(VALU_DEP_1)
	v_ashrrev_i32_e32 v3, 31, v2
	s_branch .LBB448_497
.LBB448_496:
	s_mov_b32 s0, -1
                                        ; implicit-def: $vgpr2_vgpr3
.LBB448_497:
	s_delay_alu instid0(SALU_CYCLE_1)
	s_and_not1_b32 vcc_lo, exec_lo, s0
	s_cbranch_vccnz .LBB448_499
; %bb.498:
	global_load_u8 v0, v[0:1], off
	s_mov_b32 s0, 0
	s_waitcnt vmcnt(0)
	v_dual_mov_b32 v3, s0 :: v_dual_and_b32 v2, 0xffff, v0
.LBB448_499:
	s_branch .LBB448_258
.LBB448_500:
	s_mov_b32 s1, 0
	s_mov_b32 s0, s13
.LBB448_501:
                                        ; implicit-def: $vgpr10
.LBB448_502:
	s_and_not1_b32 s18, s13, exec_lo
	s_and_b32 s0, s0, exec_lo
	s_and_not1_b32 s20, s15, exec_lo
	s_and_b32 s17, s17, exec_lo
	s_or_b32 s18, s18, s0
	s_or_b32 s17, s20, s17
	s_or_not1_b32 s21, s1, exec_lo
.LBB448_503:
	s_or_b32 exec_lo, exec_lo, s19
	s_mov_b32 s1, 0
	s_mov_b32 s20, 0
	;; [unrolled: 1-line block ×3, first 2 shown]
                                        ; implicit-def: $vgpr0_vgpr1
                                        ; implicit-def: $vgpr4_vgpr5
	s_and_saveexec_b32 s19, s21
	s_cbranch_execz .LBB448_842
; %bb.504:
	s_mov_b32 s0, -1
	s_mov_b32 s21, s17
	s_mov_b32 s22, s18
	s_mov_b32 s20, exec_lo
	v_cmpx_gt_i32_e64 s14, v10
	s_cbranch_execz .LBB448_760
; %bb.505:
	v_mul_lo_u32 v0, v10, s9
	v_cmp_gt_i16_e32 vcc_lo, 11, v11
	s_delay_alu instid0(VALU_DEP_2) | instskip(SKIP_1) | instid1(VALU_DEP_1)
	v_ashrrev_i32_e32 v1, 31, v0
	v_add_co_u32 v0, s0, s6, v0
	v_add_co_ci_u32_e64 v1, s0, s7, v1, s0
	s_cbranch_vccnz .LBB448_512
; %bb.506:
	v_cmp_lt_i16_e32 vcc_lo, 25, v11
	s_cbranch_vccz .LBB448_513
; %bb.507:
	v_cmp_lt_i16_e32 vcc_lo, 28, v11
	s_cbranch_vccz .LBB448_514
	;; [unrolled: 3-line block ×4, first 2 shown]
; %bb.510:
	v_cmp_eq_u16_e32 vcc_lo, 46, v11
	s_cbranch_vccz .LBB448_521
; %bb.511:
	global_load_b32 v2, v[0:1], off
	s_mov_b32 s0, -1
	s_mov_b32 s21, 0
	s_waitcnt vmcnt(0)
	v_lshlrev_b32_e32 v2, 16, v2
	s_delay_alu instid0(VALU_DEP_1) | instskip(NEXT) | instid1(VALU_DEP_1)
	v_trunc_f32_e32 v2, v2
	v_mul_f32_e64 v3, 0x2f800000, |v2|
	v_ashrrev_i32_e32 v5, 31, v2
	s_delay_alu instid0(VALU_DEP_2) | instskip(NEXT) | instid1(VALU_DEP_1)
	v_floor_f32_e32 v3, v3
	v_fma_f32 v4, 0xcf800000, v3, |v2|
	v_cvt_u32_f32_e32 v3, v3
	s_delay_alu instid0(VALU_DEP_2) | instskip(NEXT) | instid1(VALU_DEP_2)
	v_cvt_u32_f32_e32 v2, v4
	v_xor_b32_e32 v3, v3, v5
	s_delay_alu instid0(VALU_DEP_2) | instskip(NEXT) | instid1(VALU_DEP_1)
	v_xor_b32_e32 v2, v2, v5
	v_sub_co_u32 v2, vcc_lo, v2, v5
	s_delay_alu instid0(VALU_DEP_3)
	v_sub_co_ci_u32_e32 v3, vcc_lo, v3, v5, vcc_lo
	s_branch .LBB448_523
.LBB448_512:
	s_mov_b32 s1, -1
	s_mov_b32 s0, 0
	s_mov_b32 s21, s17
                                        ; implicit-def: $vgpr2_vgpr3
	s_branch .LBB448_584
.LBB448_513:
	s_mov_b32 s1, -1
	s_mov_b32 s0, 0
	s_mov_b32 s21, s17
                                        ; implicit-def: $vgpr2_vgpr3
	s_branch .LBB448_552
.LBB448_514:
	s_mov_b32 s1, -1
	s_mov_b32 s0, 0
	s_mov_b32 s21, s17
                                        ; implicit-def: $vgpr2_vgpr3
	s_branch .LBB448_533
.LBB448_515:
	s_mov_b32 s1, -1
	s_mov_b32 s0, 0
	s_mov_b32 s21, s17
                                        ; implicit-def: $vgpr2_vgpr3
	s_branch .LBB448_528
.LBB448_516:
	s_or_saveexec_b32 s20, s20
                                        ; implicit-def: $sgpr21
	s_delay_alu instid0(SALU_CYCLE_1)
	s_xor_b32 exec_lo, exec_lo, s20
	s_cbranch_execz .LBB448_304
.LBB448_517:
	v_add_f32_e64 v6, 0x46000000, |v5|
	s_and_not1_b32 s18, s18, exec_lo
	s_mov_b32 s21, 0
	s_delay_alu instid0(VALU_DEP_1) | instskip(NEXT) | instid1(VALU_DEP_1)
	v_and_b32_e32 v6, 0xff, v6
	v_cmp_ne_u32_e32 vcc_lo, 0, v6
	s_and_b32 s22, vcc_lo, exec_lo
	s_delay_alu instid0(SALU_CYCLE_1)
	s_or_b32 s18, s18, s22
	s_or_b32 exec_lo, exec_lo, s20
	v_mov_b32_e32 v7, s21
	s_and_saveexec_b32 s20, s18
	s_cbranch_execnz .LBB448_305
	s_branch .LBB448_306
.LBB448_518:
	s_mov_b32 s1, -1
	s_mov_b32 s0, 0
	s_mov_b32 s21, s17
	s_branch .LBB448_522
.LBB448_519:
	s_or_saveexec_b32 s20, s20
                                        ; implicit-def: $sgpr21
	s_delay_alu instid0(SALU_CYCLE_1)
	s_xor_b32 exec_lo, exec_lo, s20
	s_cbranch_execz .LBB448_317
.LBB448_520:
	v_add_f32_e64 v6, 0x42800000, |v5|
	s_and_not1_b32 s18, s18, exec_lo
	s_mov_b32 s21, 0
	s_delay_alu instid0(VALU_DEP_1) | instskip(NEXT) | instid1(VALU_DEP_1)
	v_and_b32_e32 v6, 0xff, v6
	v_cmp_ne_u32_e32 vcc_lo, 0, v6
	s_and_b32 s22, vcc_lo, exec_lo
	s_delay_alu instid0(SALU_CYCLE_1)
	s_or_b32 s18, s18, s22
	s_or_b32 exec_lo, exec_lo, s20
	v_mov_b32_e32 v7, s21
	s_and_saveexec_b32 s20, s18
	s_cbranch_execnz .LBB448_318
	s_branch .LBB448_319
.LBB448_521:
	s_mov_b32 s21, -1
	s_mov_b32 s0, 0
.LBB448_522:
                                        ; implicit-def: $vgpr2_vgpr3
.LBB448_523:
	s_and_b32 vcc_lo, exec_lo, s1
	s_cbranch_vccz .LBB448_527
; %bb.524:
	v_cmp_eq_u16_e32 vcc_lo, 44, v11
	s_cbranch_vccz .LBB448_526
; %bb.525:
	global_load_u8 v2, v[0:1], off
	s_mov_b32 s21, 0
	s_mov_b32 s0, -1
	s_waitcnt vmcnt(0)
	v_lshlrev_b32_e32 v3, 23, v2
	s_delay_alu instid0(VALU_DEP_1) | instskip(NEXT) | instid1(VALU_DEP_1)
	v_trunc_f32_e32 v3, v3
	v_mul_f32_e64 v4, 0x2f800000, |v3|
	s_delay_alu instid0(VALU_DEP_1) | instskip(NEXT) | instid1(VALU_DEP_1)
	v_floor_f32_e32 v4, v4
	v_fma_f32 v5, 0xcf800000, v4, |v3|
	v_ashrrev_i32_e32 v3, 31, v3
	v_cvt_u32_f32_e32 v4, v4
	s_delay_alu instid0(VALU_DEP_3) | instskip(NEXT) | instid1(VALU_DEP_2)
	v_cvt_u32_f32_e32 v5, v5
	v_xor_b32_e32 v4, v4, v3
	s_delay_alu instid0(VALU_DEP_2) | instskip(NEXT) | instid1(VALU_DEP_1)
	v_xor_b32_e32 v5, v5, v3
	v_sub_co_u32 v5, vcc_lo, v5, v3
	s_delay_alu instid0(VALU_DEP_3) | instskip(SKIP_1) | instid1(VALU_DEP_2)
	v_sub_co_ci_u32_e32 v3, vcc_lo, v4, v3, vcc_lo
	v_cmp_ne_u32_e32 vcc_lo, 0, v2
	v_dual_cndmask_b32 v2, 0, v5 :: v_dual_cndmask_b32 v3, 0, v3
	s_branch .LBB448_527
.LBB448_526:
	s_mov_b32 s21, -1
                                        ; implicit-def: $vgpr2_vgpr3
.LBB448_527:
	s_mov_b32 s1, 0
.LBB448_528:
	s_delay_alu instid0(SALU_CYCLE_1)
	s_and_b32 vcc_lo, exec_lo, s1
	s_cbranch_vccz .LBB448_532
; %bb.529:
	v_cmp_eq_u16_e32 vcc_lo, 29, v11
	s_cbranch_vccz .LBB448_531
; %bb.530:
	global_load_b64 v[2:3], v[0:1], off
	s_mov_b32 s0, -1
	s_mov_b32 s21, 0
	s_branch .LBB448_532
.LBB448_531:
	s_mov_b32 s21, -1
                                        ; implicit-def: $vgpr2_vgpr3
.LBB448_532:
	s_mov_b32 s1, 0
.LBB448_533:
	s_delay_alu instid0(SALU_CYCLE_1)
	s_and_b32 vcc_lo, exec_lo, s1
	s_cbranch_vccz .LBB448_551
; %bb.534:
	v_cmp_gt_i16_e32 vcc_lo, 27, v11
	s_cbranch_vccnz .LBB448_537
; %bb.535:
	v_cmp_lt_i16_e32 vcc_lo, 27, v11
	s_cbranch_vccz .LBB448_538
; %bb.536:
	global_load_b32 v2, v[0:1], off
	s_waitcnt vmcnt(1)
	v_mov_b32_e32 v3, 0
	s_mov_b32 s0, 0
	s_branch .LBB448_539
.LBB448_537:
	s_mov_b32 s0, -1
                                        ; implicit-def: $vgpr2_vgpr3
	s_branch .LBB448_542
.LBB448_538:
	s_mov_b32 s0, -1
                                        ; implicit-def: $vgpr2_vgpr3
.LBB448_539:
	s_delay_alu instid0(SALU_CYCLE_1)
	s_and_not1_b32 vcc_lo, exec_lo, s0
	s_cbranch_vccnz .LBB448_541
; %bb.540:
	global_load_u16 v2, v[0:1], off
	s_mov_b32 s0, 0
	s_waitcnt vmcnt(0)
	v_dual_mov_b32 v3, s0 :: v_dual_and_b32 v2, 0xffff, v2
.LBB448_541:
	s_mov_b32 s0, 0
.LBB448_542:
	s_delay_alu instid0(SALU_CYCLE_1)
	s_and_not1_b32 vcc_lo, exec_lo, s0
	s_cbranch_vccnz .LBB448_550
; %bb.543:
	global_load_u8 v4, v[0:1], off
	s_mov_b32 s22, 0
	s_mov_b32 s23, exec_lo
                                        ; implicit-def: $sgpr0_sgpr1
	s_waitcnt vmcnt(0)
	v_cmpx_lt_i16_e32 0x7f, v4
	s_xor_b32 s23, exec_lo, s23
; %bb.544:
	v_cmp_ne_u16_e32 vcc_lo, 0x80, v4
	s_mov_b64 s[0:1], 0
	s_and_b32 s22, vcc_lo, exec_lo
; %bb.545:
	s_or_saveexec_b32 s23, s23
	v_dual_mov_b32 v3, s1 :: v_dual_mov_b32 v2, s0
	s_xor_b32 exec_lo, exec_lo, s23
; %bb.546:
	v_cmp_ne_u16_e32 vcc_lo, 0, v4
	v_mov_b32_e32 v2, 0
	v_mov_b32_e32 v3, 0
	s_and_not1_b32 s0, s22, exec_lo
	s_and_b32 s1, vcc_lo, exec_lo
	s_delay_alu instid0(SALU_CYCLE_1)
	s_or_b32 s22, s0, s1
; %bb.547:
	s_or_b32 exec_lo, exec_lo, s23
	s_and_saveexec_b32 s0, s22
	s_cbranch_execz .LBB448_549
; %bb.548:
	v_and_b32_e32 v2, 0xffff, v4
	v_lshlrev_b32_e32 v4, 24, v4
	s_delay_alu instid0(VALU_DEP_2) | instskip(NEXT) | instid1(VALU_DEP_2)
	v_and_b32_e32 v3, 7, v2
	v_and_b32_e32 v4, 0x80000000, v4
	s_delay_alu instid0(VALU_DEP_2) | instskip(NEXT) | instid1(VALU_DEP_1)
	v_clz_i32_u32_e32 v5, v3
	v_min_u32_e32 v5, 32, v5
	s_delay_alu instid0(VALU_DEP_1) | instskip(SKIP_1) | instid1(VALU_DEP_2)
	v_subrev_nc_u32_e32 v6, 28, v5
	v_sub_nc_u32_e32 v5, 29, v5
	v_lshlrev_b32_e32 v6, v6, v2
	v_bfe_u32 v2, v2, 3, 4
	s_delay_alu instid0(VALU_DEP_2) | instskip(NEXT) | instid1(VALU_DEP_2)
	v_and_b32_e32 v6, 7, v6
	v_cmp_eq_u32_e32 vcc_lo, 0, v2
	s_delay_alu instid0(VALU_DEP_2) | instskip(NEXT) | instid1(VALU_DEP_1)
	v_dual_cndmask_b32 v2, v2, v5 :: v_dual_cndmask_b32 v3, v3, v6
	v_lshl_add_u32 v2, v2, 23, 0x3b800000
	s_delay_alu instid0(VALU_DEP_2) | instskip(NEXT) | instid1(VALU_DEP_1)
	v_lshlrev_b32_e32 v3, 20, v3
	v_or3_b32 v2, v4, v2, v3
	s_delay_alu instid0(VALU_DEP_1) | instskip(NEXT) | instid1(VALU_DEP_1)
	v_trunc_f32_e32 v2, v2
	v_mul_f32_e64 v3, 0x2f800000, |v2|
	v_ashrrev_i32_e32 v5, 31, v2
	s_delay_alu instid0(VALU_DEP_2) | instskip(NEXT) | instid1(VALU_DEP_1)
	v_floor_f32_e32 v3, v3
	v_fma_f32 v4, 0xcf800000, v3, |v2|
	v_cvt_u32_f32_e32 v3, v3
	s_delay_alu instid0(VALU_DEP_2) | instskip(NEXT) | instid1(VALU_DEP_2)
	v_cvt_u32_f32_e32 v2, v4
	v_xor_b32_e32 v3, v3, v5
	s_delay_alu instid0(VALU_DEP_2) | instskip(NEXT) | instid1(VALU_DEP_1)
	v_xor_b32_e32 v2, v2, v5
	v_sub_co_u32 v2, vcc_lo, v2, v5
	s_delay_alu instid0(VALU_DEP_3)
	v_sub_co_ci_u32_e32 v3, vcc_lo, v3, v5, vcc_lo
.LBB448_549:
	s_or_b32 exec_lo, exec_lo, s0
.LBB448_550:
	s_mov_b32 s0, -1
.LBB448_551:
	s_mov_b32 s1, 0
.LBB448_552:
	s_delay_alu instid0(SALU_CYCLE_1)
	s_and_b32 vcc_lo, exec_lo, s1
	s_cbranch_vccz .LBB448_583
; %bb.553:
	v_cmp_lt_i16_e32 vcc_lo, 22, v11
	s_cbranch_vccz .LBB448_563
; %bb.554:
	v_cmp_gt_i16_e32 vcc_lo, 24, v11
	s_cbranch_vccnz .LBB448_564
; %bb.555:
	v_cmp_lt_i16_e32 vcc_lo, 24, v11
	s_cbranch_vccz .LBB448_565
; %bb.556:
	global_load_u8 v4, v[0:1], off
	s_mov_b32 s22, 0
	s_mov_b32 s23, exec_lo
                                        ; implicit-def: $sgpr0_sgpr1
	s_waitcnt vmcnt(0)
	v_cmpx_lt_i16_e32 0x7f, v4
	s_xor_b32 s23, exec_lo, s23
; %bb.557:
	v_cmp_ne_u16_e32 vcc_lo, 0x80, v4
	s_mov_b64 s[0:1], 0
	s_and_b32 s22, vcc_lo, exec_lo
; %bb.558:
	s_or_saveexec_b32 s23, s23
	v_dual_mov_b32 v3, s1 :: v_dual_mov_b32 v2, s0
	s_xor_b32 exec_lo, exec_lo, s23
; %bb.559:
	v_cmp_ne_u16_e32 vcc_lo, 0, v4
	v_mov_b32_e32 v2, 0
	v_mov_b32_e32 v3, 0
	s_and_not1_b32 s0, s22, exec_lo
	s_and_b32 s1, vcc_lo, exec_lo
	s_delay_alu instid0(SALU_CYCLE_1)
	s_or_b32 s22, s0, s1
; %bb.560:
	s_or_b32 exec_lo, exec_lo, s23
	s_and_saveexec_b32 s0, s22
	s_cbranch_execz .LBB448_562
; %bb.561:
	v_and_b32_e32 v2, 0xffff, v4
	v_lshlrev_b32_e32 v4, 24, v4
	s_delay_alu instid0(VALU_DEP_2) | instskip(NEXT) | instid1(VALU_DEP_2)
	v_and_b32_e32 v3, 3, v2
	v_and_b32_e32 v4, 0x80000000, v4
	s_delay_alu instid0(VALU_DEP_2) | instskip(NEXT) | instid1(VALU_DEP_1)
	v_clz_i32_u32_e32 v5, v3
	v_min_u32_e32 v5, 32, v5
	s_delay_alu instid0(VALU_DEP_1) | instskip(SKIP_1) | instid1(VALU_DEP_2)
	v_subrev_nc_u32_e32 v6, 29, v5
	v_sub_nc_u32_e32 v5, 30, v5
	v_lshlrev_b32_e32 v6, v6, v2
	v_bfe_u32 v2, v2, 2, 5
	s_delay_alu instid0(VALU_DEP_2) | instskip(NEXT) | instid1(VALU_DEP_2)
	v_and_b32_e32 v6, 3, v6
	v_cmp_eq_u32_e32 vcc_lo, 0, v2
	s_delay_alu instid0(VALU_DEP_2) | instskip(NEXT) | instid1(VALU_DEP_1)
	v_dual_cndmask_b32 v2, v2, v5 :: v_dual_cndmask_b32 v3, v3, v6
	v_lshl_add_u32 v2, v2, 23, 0x37800000
	s_delay_alu instid0(VALU_DEP_2) | instskip(NEXT) | instid1(VALU_DEP_1)
	v_lshlrev_b32_e32 v3, 21, v3
	v_or3_b32 v2, v4, v2, v3
	s_delay_alu instid0(VALU_DEP_1) | instskip(NEXT) | instid1(VALU_DEP_1)
	v_trunc_f32_e32 v2, v2
	v_mul_f32_e64 v3, 0x2f800000, |v2|
	v_ashrrev_i32_e32 v5, 31, v2
	s_delay_alu instid0(VALU_DEP_2) | instskip(NEXT) | instid1(VALU_DEP_1)
	v_floor_f32_e32 v3, v3
	v_fma_f32 v4, 0xcf800000, v3, |v2|
	v_cvt_u32_f32_e32 v3, v3
	s_delay_alu instid0(VALU_DEP_2) | instskip(NEXT) | instid1(VALU_DEP_2)
	v_cvt_u32_f32_e32 v2, v4
	v_xor_b32_e32 v3, v3, v5
	s_delay_alu instid0(VALU_DEP_2) | instskip(NEXT) | instid1(VALU_DEP_1)
	v_xor_b32_e32 v2, v2, v5
	v_sub_co_u32 v2, vcc_lo, v2, v5
	s_delay_alu instid0(VALU_DEP_3)
	v_sub_co_ci_u32_e32 v3, vcc_lo, v3, v5, vcc_lo
.LBB448_562:
	s_or_b32 exec_lo, exec_lo, s0
	s_mov_b32 s0, 0
	s_branch .LBB448_566
.LBB448_563:
	s_mov_b32 s1, -1
                                        ; implicit-def: $vgpr2_vgpr3
	s_branch .LBB448_572
.LBB448_564:
	s_mov_b32 s0, -1
                                        ; implicit-def: $vgpr2_vgpr3
	s_branch .LBB448_569
.LBB448_565:
	s_mov_b32 s0, -1
                                        ; implicit-def: $vgpr2_vgpr3
.LBB448_566:
	s_delay_alu instid0(SALU_CYCLE_1)
	s_and_b32 vcc_lo, exec_lo, s0
	s_cbranch_vccz .LBB448_568
; %bb.567:
	global_load_u8 v2, v[0:1], off
	s_waitcnt vmcnt(0)
	v_lshlrev_b32_e32 v2, 24, v2
	s_delay_alu instid0(VALU_DEP_1) | instskip(NEXT) | instid1(VALU_DEP_1)
	v_and_b32_e32 v3, 0x7f000000, v2
	v_clz_i32_u32_e32 v4, v3
	v_add_nc_u32_e32 v6, 0x1000000, v3
	v_cmp_ne_u32_e32 vcc_lo, 0, v3
	s_delay_alu instid0(VALU_DEP_3) | instskip(NEXT) | instid1(VALU_DEP_1)
	v_min_u32_e32 v4, 32, v4
	v_sub_nc_u32_e64 v4, v4, 4 clamp
	s_delay_alu instid0(VALU_DEP_1) | instskip(SKIP_1) | instid1(VALU_DEP_2)
	v_lshlrev_b32_e32 v5, v4, v3
	v_lshlrev_b32_e32 v4, 23, v4
	v_lshrrev_b32_e32 v5, 4, v5
	s_delay_alu instid0(VALU_DEP_1) | instskip(SKIP_1) | instid1(VALU_DEP_2)
	v_sub_nc_u32_e32 v4, v5, v4
	v_ashrrev_i32_e32 v5, 8, v6
	v_add_nc_u32_e32 v4, 0x3c000000, v4
	s_delay_alu instid0(VALU_DEP_1) | instskip(NEXT) | instid1(VALU_DEP_1)
	v_and_or_b32 v4, 0x7f800000, v5, v4
	v_cndmask_b32_e32 v3, 0, v4, vcc_lo
	s_delay_alu instid0(VALU_DEP_1) | instskip(NEXT) | instid1(VALU_DEP_1)
	v_and_or_b32 v2, 0x80000000, v2, v3
	v_trunc_f32_e32 v2, v2
	s_delay_alu instid0(VALU_DEP_1) | instskip(SKIP_1) | instid1(VALU_DEP_2)
	v_mul_f32_e64 v3, 0x2f800000, |v2|
	v_ashrrev_i32_e32 v5, 31, v2
	v_floor_f32_e32 v3, v3
	s_delay_alu instid0(VALU_DEP_1) | instskip(SKIP_1) | instid1(VALU_DEP_2)
	v_fma_f32 v4, 0xcf800000, v3, |v2|
	v_cvt_u32_f32_e32 v3, v3
	v_cvt_u32_f32_e32 v2, v4
	s_delay_alu instid0(VALU_DEP_2) | instskip(NEXT) | instid1(VALU_DEP_2)
	v_xor_b32_e32 v3, v3, v5
	v_xor_b32_e32 v2, v2, v5
	s_delay_alu instid0(VALU_DEP_1) | instskip(NEXT) | instid1(VALU_DEP_3)
	v_sub_co_u32 v2, vcc_lo, v2, v5
	v_sub_co_ci_u32_e32 v3, vcc_lo, v3, v5, vcc_lo
.LBB448_568:
	s_mov_b32 s0, 0
.LBB448_569:
	s_delay_alu instid0(SALU_CYCLE_1)
	s_and_not1_b32 vcc_lo, exec_lo, s0
	s_cbranch_vccnz .LBB448_571
; %bb.570:
	global_load_u8 v2, v[0:1], off
	s_waitcnt vmcnt(0)
	v_lshlrev_b32_e32 v3, 25, v2
	v_lshlrev_b16 v2, 8, v2
	s_delay_alu instid0(VALU_DEP_2) | instskip(NEXT) | instid1(VALU_DEP_2)
	v_lshrrev_b32_e32 v4, 4, v3
	v_and_or_b32 v5, 0x7f00, v2, 0.5
	v_bfe_i32 v2, v2, 0, 16
	s_delay_alu instid0(VALU_DEP_3) | instskip(NEXT) | instid1(VALU_DEP_1)
	v_or_b32_e32 v4, 0x70000000, v4
	v_dual_add_f32 v5, -0.5, v5 :: v_dual_mul_f32 v4, 0x7800000, v4
	v_cmp_gt_u32_e32 vcc_lo, 0x8000000, v3
	s_delay_alu instid0(VALU_DEP_2) | instskip(NEXT) | instid1(VALU_DEP_1)
	v_cndmask_b32_e32 v3, v4, v5, vcc_lo
	v_and_or_b32 v2, 0x80000000, v2, v3
	s_delay_alu instid0(VALU_DEP_1) | instskip(NEXT) | instid1(VALU_DEP_1)
	v_trunc_f32_e32 v2, v2
	v_mul_f32_e64 v3, 0x2f800000, |v2|
	v_ashrrev_i32_e32 v5, 31, v2
	s_delay_alu instid0(VALU_DEP_2) | instskip(NEXT) | instid1(VALU_DEP_1)
	v_floor_f32_e32 v3, v3
	v_fma_f32 v4, 0xcf800000, v3, |v2|
	v_cvt_u32_f32_e32 v3, v3
	s_delay_alu instid0(VALU_DEP_2) | instskip(NEXT) | instid1(VALU_DEP_2)
	v_cvt_u32_f32_e32 v2, v4
	v_xor_b32_e32 v3, v3, v5
	s_delay_alu instid0(VALU_DEP_2) | instskip(NEXT) | instid1(VALU_DEP_1)
	v_xor_b32_e32 v2, v2, v5
	v_sub_co_u32 v2, vcc_lo, v2, v5
	s_delay_alu instid0(VALU_DEP_3)
	v_sub_co_ci_u32_e32 v3, vcc_lo, v3, v5, vcc_lo
.LBB448_571:
	s_mov_b32 s1, 0
	s_mov_b32 s0, -1
.LBB448_572:
	s_and_not1_b32 vcc_lo, exec_lo, s1
	s_cbranch_vccnz .LBB448_583
; %bb.573:
	v_cmp_lt_i16_e32 vcc_lo, 14, v11
	s_cbranch_vccz .LBB448_576
; %bb.574:
	v_cmp_eq_u16_e32 vcc_lo, 15, v11
	s_cbranch_vccz .LBB448_577
; %bb.575:
	global_load_u16 v2, v[0:1], off
	s_mov_b32 s0, -1
	s_mov_b32 s21, 0
	s_waitcnt vmcnt(0)
	v_lshlrev_b32_e32 v2, 16, v2
	s_delay_alu instid0(VALU_DEP_1) | instskip(NEXT) | instid1(VALU_DEP_1)
	v_trunc_f32_e32 v2, v2
	v_mul_f32_e64 v3, 0x2f800000, |v2|
	v_ashrrev_i32_e32 v5, 31, v2
	s_delay_alu instid0(VALU_DEP_2) | instskip(NEXT) | instid1(VALU_DEP_1)
	v_floor_f32_e32 v3, v3
	v_fma_f32 v4, 0xcf800000, v3, |v2|
	v_cvt_u32_f32_e32 v3, v3
	s_delay_alu instid0(VALU_DEP_2) | instskip(NEXT) | instid1(VALU_DEP_2)
	v_cvt_u32_f32_e32 v2, v4
	v_xor_b32_e32 v3, v3, v5
	s_delay_alu instid0(VALU_DEP_2) | instskip(NEXT) | instid1(VALU_DEP_1)
	v_xor_b32_e32 v2, v2, v5
	v_sub_co_u32 v2, vcc_lo, v2, v5
	s_delay_alu instid0(VALU_DEP_3)
	v_sub_co_ci_u32_e32 v3, vcc_lo, v3, v5, vcc_lo
	s_branch .LBB448_578
.LBB448_576:
	s_mov_b32 s1, -1
                                        ; implicit-def: $vgpr2_vgpr3
	s_branch .LBB448_579
.LBB448_577:
	s_mov_b32 s21, -1
                                        ; implicit-def: $vgpr2_vgpr3
.LBB448_578:
	s_mov_b32 s1, 0
.LBB448_579:
	s_delay_alu instid0(SALU_CYCLE_1)
	s_and_b32 vcc_lo, exec_lo, s1
	s_cbranch_vccz .LBB448_583
; %bb.580:
	v_cmp_eq_u16_e32 vcc_lo, 11, v11
	s_cbranch_vccz .LBB448_582
; %bb.581:
	global_load_u8 v2, v[0:1], off
	s_mov_b32 s21, 0
	s_mov_b32 s0, -1
	s_waitcnt vmcnt(1)
	v_mov_b32_e32 v3, s21
	s_waitcnt vmcnt(0)
	v_cmp_ne_u16_e32 vcc_lo, 0, v2
	v_cndmask_b32_e64 v2, 0, 1, vcc_lo
	s_branch .LBB448_583
.LBB448_582:
	s_mov_b32 s21, -1
                                        ; implicit-def: $vgpr2_vgpr3
.LBB448_583:
	s_mov_b32 s1, 0
.LBB448_584:
	s_delay_alu instid0(SALU_CYCLE_1)
	s_and_b32 vcc_lo, exec_lo, s1
	s_cbranch_vccz .LBB448_633
; %bb.585:
	v_cmp_gt_i16_e32 vcc_lo, 5, v11
	s_cbranch_vccnz .LBB448_590
; %bb.586:
	v_cmp_gt_i16_e32 vcc_lo, 8, v11
	s_cbranch_vccnz .LBB448_591
	;; [unrolled: 3-line block ×3, first 2 shown]
; %bb.588:
	v_cmp_lt_i16_e32 vcc_lo, 9, v11
	s_cbranch_vccz .LBB448_593
; %bb.589:
	global_load_b64 v[2:3], v[0:1], off
	s_mov_b32 s0, 0
	s_waitcnt vmcnt(0)
	v_trunc_f64_e32 v[2:3], v[2:3]
	s_delay_alu instid0(VALU_DEP_1) | instskip(NEXT) | instid1(VALU_DEP_1)
	v_ldexp_f64 v[4:5], v[2:3], 0xffffffe0
	v_floor_f64_e32 v[4:5], v[4:5]
	s_delay_alu instid0(VALU_DEP_1) | instskip(SKIP_1) | instid1(VALU_DEP_2)
	v_fma_f64 v[6:7], 0xc1f00000, v[4:5], v[2:3]
	v_cvt_i32_f64_e32 v3, v[4:5]
	v_cvt_u32_f64_e32 v2, v[6:7]
	s_branch .LBB448_594
.LBB448_590:
	s_mov_b32 s0, -1
                                        ; implicit-def: $vgpr2_vgpr3
	s_branch .LBB448_612
.LBB448_591:
	s_mov_b32 s0, -1
                                        ; implicit-def: $vgpr2_vgpr3
	s_branch .LBB448_600
.LBB448_592:
	s_mov_b32 s0, -1
                                        ; implicit-def: $vgpr2_vgpr3
	s_branch .LBB448_597
.LBB448_593:
	s_mov_b32 s0, -1
                                        ; implicit-def: $vgpr2_vgpr3
.LBB448_594:
	s_delay_alu instid0(SALU_CYCLE_1)
	s_and_not1_b32 vcc_lo, exec_lo, s0
	s_cbranch_vccnz .LBB448_596
; %bb.595:
	global_load_b32 v2, v[0:1], off
	s_waitcnt vmcnt(0)
	v_trunc_f32_e32 v2, v2
	s_delay_alu instid0(VALU_DEP_1) | instskip(SKIP_1) | instid1(VALU_DEP_2)
	v_mul_f32_e64 v3, 0x2f800000, |v2|
	v_ashrrev_i32_e32 v5, 31, v2
	v_floor_f32_e32 v3, v3
	s_delay_alu instid0(VALU_DEP_1) | instskip(SKIP_1) | instid1(VALU_DEP_2)
	v_fma_f32 v4, 0xcf800000, v3, |v2|
	v_cvt_u32_f32_e32 v3, v3
	v_cvt_u32_f32_e32 v2, v4
	s_delay_alu instid0(VALU_DEP_2) | instskip(NEXT) | instid1(VALU_DEP_2)
	v_xor_b32_e32 v3, v3, v5
	v_xor_b32_e32 v2, v2, v5
	s_delay_alu instid0(VALU_DEP_1) | instskip(NEXT) | instid1(VALU_DEP_3)
	v_sub_co_u32 v2, vcc_lo, v2, v5
	v_sub_co_ci_u32_e32 v3, vcc_lo, v3, v5, vcc_lo
.LBB448_596:
	s_mov_b32 s0, 0
.LBB448_597:
	s_delay_alu instid0(SALU_CYCLE_1)
	s_and_not1_b32 vcc_lo, exec_lo, s0
	s_cbranch_vccnz .LBB448_599
; %bb.598:
	global_load_b32 v2, v[0:1], off
	s_waitcnt vmcnt(0)
	v_cvt_f32_f16_e32 v2, v2
	s_delay_alu instid0(VALU_DEP_1) | instskip(NEXT) | instid1(VALU_DEP_1)
	v_cvt_i32_f32_e32 v2, v2
	v_ashrrev_i32_e32 v3, 31, v2
.LBB448_599:
	s_mov_b32 s0, 0
.LBB448_600:
	s_delay_alu instid0(SALU_CYCLE_1)
	s_and_not1_b32 vcc_lo, exec_lo, s0
	s_cbranch_vccnz .LBB448_611
; %bb.601:
	v_cmp_gt_i16_e32 vcc_lo, 6, v11
	s_cbranch_vccnz .LBB448_604
; %bb.602:
	v_cmp_lt_i16_e32 vcc_lo, 6, v11
	s_cbranch_vccz .LBB448_605
; %bb.603:
	global_load_b64 v[2:3], v[0:1], off
	s_mov_b32 s0, 0
	s_waitcnt vmcnt(0)
	v_trunc_f64_e32 v[2:3], v[2:3]
	s_delay_alu instid0(VALU_DEP_1) | instskip(NEXT) | instid1(VALU_DEP_1)
	v_ldexp_f64 v[4:5], v[2:3], 0xffffffe0
	v_floor_f64_e32 v[4:5], v[4:5]
	s_delay_alu instid0(VALU_DEP_1) | instskip(SKIP_1) | instid1(VALU_DEP_2)
	v_fma_f64 v[6:7], 0xc1f00000, v[4:5], v[2:3]
	v_cvt_i32_f64_e32 v3, v[4:5]
	v_cvt_u32_f64_e32 v2, v[6:7]
	s_branch .LBB448_606
.LBB448_604:
	s_mov_b32 s0, -1
                                        ; implicit-def: $vgpr2_vgpr3
	s_branch .LBB448_609
.LBB448_605:
	s_mov_b32 s0, -1
                                        ; implicit-def: $vgpr2_vgpr3
.LBB448_606:
	s_delay_alu instid0(SALU_CYCLE_1)
	s_and_not1_b32 vcc_lo, exec_lo, s0
	s_cbranch_vccnz .LBB448_608
; %bb.607:
	global_load_b32 v2, v[0:1], off
	s_waitcnt vmcnt(0)
	v_trunc_f32_e32 v2, v2
	s_delay_alu instid0(VALU_DEP_1) | instskip(SKIP_1) | instid1(VALU_DEP_2)
	v_mul_f32_e64 v3, 0x2f800000, |v2|
	v_ashrrev_i32_e32 v5, 31, v2
	v_floor_f32_e32 v3, v3
	s_delay_alu instid0(VALU_DEP_1) | instskip(SKIP_1) | instid1(VALU_DEP_2)
	v_fma_f32 v4, 0xcf800000, v3, |v2|
	v_cvt_u32_f32_e32 v3, v3
	v_cvt_u32_f32_e32 v2, v4
	s_delay_alu instid0(VALU_DEP_2) | instskip(NEXT) | instid1(VALU_DEP_2)
	v_xor_b32_e32 v3, v3, v5
	v_xor_b32_e32 v2, v2, v5
	s_delay_alu instid0(VALU_DEP_1) | instskip(NEXT) | instid1(VALU_DEP_3)
	v_sub_co_u32 v2, vcc_lo, v2, v5
	v_sub_co_ci_u32_e32 v3, vcc_lo, v3, v5, vcc_lo
.LBB448_608:
	s_mov_b32 s0, 0
.LBB448_609:
	s_delay_alu instid0(SALU_CYCLE_1)
	s_and_not1_b32 vcc_lo, exec_lo, s0
	s_cbranch_vccnz .LBB448_611
; %bb.610:
	global_load_u16 v2, v[0:1], off
	s_waitcnt vmcnt(0)
	v_cvt_f32_f16_e32 v2, v2
	s_delay_alu instid0(VALU_DEP_1) | instskip(NEXT) | instid1(VALU_DEP_1)
	v_cvt_i32_f32_e32 v2, v2
	v_ashrrev_i32_e32 v3, 31, v2
.LBB448_611:
	s_mov_b32 s0, 0
.LBB448_612:
	s_delay_alu instid0(SALU_CYCLE_1)
	s_and_not1_b32 vcc_lo, exec_lo, s0
	s_cbranch_vccnz .LBB448_632
; %bb.613:
	v_cmp_gt_i16_e32 vcc_lo, 2, v11
	s_cbranch_vccnz .LBB448_617
; %bb.614:
	v_cmp_gt_i16_e32 vcc_lo, 3, v11
	s_cbranch_vccnz .LBB448_618
; %bb.615:
	v_cmp_lt_i16_e32 vcc_lo, 3, v11
	s_cbranch_vccz .LBB448_619
; %bb.616:
	global_load_b64 v[2:3], v[0:1], off
	s_mov_b32 s0, 0
	s_branch .LBB448_620
.LBB448_617:
	s_mov_b32 s0, -1
                                        ; implicit-def: $vgpr2_vgpr3
	s_branch .LBB448_626
.LBB448_618:
	s_mov_b32 s0, -1
                                        ; implicit-def: $vgpr2_vgpr3
	s_branch .LBB448_623
.LBB448_619:
	s_mov_b32 s0, -1
                                        ; implicit-def: $vgpr2_vgpr3
.LBB448_620:
	s_delay_alu instid0(SALU_CYCLE_1)
	s_and_not1_b32 vcc_lo, exec_lo, s0
	s_cbranch_vccnz .LBB448_622
; %bb.621:
	global_load_b32 v2, v[0:1], off
	s_waitcnt vmcnt(0)
	v_ashrrev_i32_e32 v3, 31, v2
.LBB448_622:
	s_mov_b32 s0, 0
.LBB448_623:
	s_delay_alu instid0(SALU_CYCLE_1)
	s_and_not1_b32 vcc_lo, exec_lo, s0
	s_cbranch_vccnz .LBB448_625
; %bb.624:
	global_load_u16 v2, v[0:1], off
	s_waitcnt vmcnt(0)
	v_bfe_i32 v2, v2, 0, 16
	s_delay_alu instid0(VALU_DEP_1)
	v_ashrrev_i32_e32 v3, 31, v2
.LBB448_625:
	s_mov_b32 s0, 0
.LBB448_626:
	s_delay_alu instid0(SALU_CYCLE_1)
	s_and_not1_b32 vcc_lo, exec_lo, s0
	s_cbranch_vccnz .LBB448_632
; %bb.627:
	v_cmp_lt_i16_e32 vcc_lo, 0, v11
	s_mov_b32 s0, 0
	s_cbranch_vccz .LBB448_629
; %bb.628:
	global_load_i8 v2, v[0:1], off
	s_waitcnt vmcnt(0)
	v_bfe_i32 v2, v2, 0, 16
	s_delay_alu instid0(VALU_DEP_1)
	v_ashrrev_i32_e32 v3, 31, v2
	s_branch .LBB448_630
.LBB448_629:
	s_mov_b32 s0, -1
                                        ; implicit-def: $vgpr2_vgpr3
.LBB448_630:
	s_delay_alu instid0(SALU_CYCLE_1)
	s_and_not1_b32 vcc_lo, exec_lo, s0
	s_cbranch_vccnz .LBB448_632
; %bb.631:
	global_load_u8 v0, v[0:1], off
	s_mov_b32 s0, 0
	s_waitcnt vmcnt(0)
	v_dual_mov_b32 v3, s0 :: v_dual_and_b32 v2, 0xffff, v0
.LBB448_632:
	s_mov_b32 s0, -1
.LBB448_633:
	s_delay_alu instid0(SALU_CYCLE_1)
	s_and_not1_b32 vcc_lo, exec_lo, s0
	s_cbranch_vccnz .LBB448_641
; %bb.634:
	v_mul_lo_u32 v5, v10, s8
	s_waitcnt vmcnt(0)
	s_delay_alu instid0(VALU_DEP_2) | instskip(SKIP_1) | instid1(VALU_DEP_1)
	v_cmp_gt_i64_e32 vcc_lo, s[10:11], v[2:3]
	v_and_b32_e64 v4, 0xff, s2
	v_cmp_gt_i16_e64 s0, 11, v4
	v_cndmask_b32_e32 v1, s11, v3, vcc_lo
	v_ashrrev_i32_e32 v3, 31, v5
	v_cndmask_b32_e32 v0, s10, v2, vcc_lo
	v_add_co_u32 v2, vcc_lo, s4, v5
	s_delay_alu instid0(VALU_DEP_3)
	v_add_co_ci_u32_e32 v3, vcc_lo, s5, v3, vcc_lo
	s_and_b32 vcc_lo, exec_lo, s0
	s_cbranch_vccnz .LBB448_642
; %bb.635:
	v_cmp_lt_i16_e32 vcc_lo, 25, v4
	s_cbranch_vccz .LBB448_643
; %bb.636:
	v_cmp_lt_i16_e32 vcc_lo, 28, v4
	s_cbranch_vccz .LBB448_644
	;; [unrolled: 3-line block ×4, first 2 shown]
; %bb.639:
	v_cmp_eq_u16_e32 vcc_lo, 46, v4
	s_mov_b32 s22, 0
	s_mov_b32 s0, -1
	s_mov_b32 s1, 0
	s_cbranch_vccz .LBB448_647
; %bb.640:
	v_xor_b32_e32 v5, v0, v1
	v_cls_i32_e32 v6, v1
	s_mov_b32 s1, -1
	s_mov_b32 s0, 0
	s_delay_alu instid0(VALU_DEP_2) | instskip(NEXT) | instid1(VALU_DEP_2)
	v_ashrrev_i32_e32 v5, 31, v5
	v_add_nc_u32_e32 v6, -1, v6
	s_delay_alu instid0(VALU_DEP_2) | instskip(NEXT) | instid1(VALU_DEP_1)
	v_add_nc_u32_e32 v5, 32, v5
	v_min_u32_e32 v7, v6, v5
	s_delay_alu instid0(VALU_DEP_1) | instskip(NEXT) | instid1(VALU_DEP_1)
	v_lshlrev_b64 v[5:6], v7, v[0:1]
	v_min_u32_e32 v5, 1, v5
	s_delay_alu instid0(VALU_DEP_1) | instskip(SKIP_1) | instid1(VALU_DEP_2)
	v_or_b32_e32 v5, v6, v5
	v_sub_nc_u32_e32 v6, 32, v7
	v_cvt_f32_i32_e32 v5, v5
	s_delay_alu instid0(VALU_DEP_1) | instskip(NEXT) | instid1(VALU_DEP_1)
	v_ldexp_f32 v5, v5, v6
	v_bfe_u32 v6, v5, 16, 1
	s_delay_alu instid0(VALU_DEP_1) | instskip(NEXT) | instid1(VALU_DEP_1)
	v_add3_u32 v5, v5, v6, 0x7fff
	v_lshrrev_b32_e32 v5, 16, v5
	global_store_b32 v[2:3], v5, off
	s_branch .LBB448_647
.LBB448_641:
	s_mov_b32 s1, 0
	s_mov_b32 s0, s18
	s_branch .LBB448_758
.LBB448_642:
	s_mov_b32 s22, -1
	s_mov_b32 s1, 0
	s_mov_b32 s0, s18
	s_branch .LBB448_716
.LBB448_643:
	s_mov_b32 s22, -1
	s_mov_b32 s1, 0
	s_mov_b32 s0, s18
	s_branch .LBB448_674
.LBB448_644:
	s_mov_b32 s22, -1
	s_mov_b32 s1, 0
	s_mov_b32 s0, s18
	s_branch .LBB448_657
.LBB448_645:
	s_mov_b32 s22, -1
	s_mov_b32 s1, 0
	s_mov_b32 s0, s18
	s_branch .LBB448_653
.LBB448_646:
	s_mov_b32 s22, -1
	s_mov_b32 s1, 0
	s_mov_b32 s0, s18
.LBB448_647:
	s_and_b32 vcc_lo, exec_lo, s22
	s_cbranch_vccz .LBB448_652
; %bb.648:
	v_cmp_eq_u16_e32 vcc_lo, 44, v4
	s_mov_b32 s0, -1
	s_cbranch_vccz .LBB448_652
; %bb.649:
	v_xor_b32_e32 v5, v0, v1
	v_cls_i32_e32 v6, v1
	s_mov_b32 s1, -1
	s_mov_b32 s22, exec_lo
	s_delay_alu instid0(VALU_DEP_2) | instskip(NEXT) | instid1(VALU_DEP_2)
	v_ashrrev_i32_e32 v5, 31, v5
	v_add_nc_u32_e32 v6, -1, v6
	s_delay_alu instid0(VALU_DEP_2) | instskip(NEXT) | instid1(VALU_DEP_1)
	v_add_nc_u32_e32 v5, 32, v5
	v_min_u32_e32 v7, v6, v5
	s_delay_alu instid0(VALU_DEP_1) | instskip(NEXT) | instid1(VALU_DEP_1)
	v_lshlrev_b64 v[5:6], v7, v[0:1]
	v_min_u32_e32 v5, 1, v5
	s_delay_alu instid0(VALU_DEP_1) | instskip(SKIP_1) | instid1(VALU_DEP_2)
	v_or_b32_e32 v5, v6, v5
	v_sub_nc_u32_e32 v6, 32, v7
	v_cvt_f32_i32_e32 v5, v5
	s_delay_alu instid0(VALU_DEP_1) | instskip(SKIP_1) | instid1(VALU_DEP_2)
	v_ldexp_f32 v5, v5, v6
	v_mov_b32_e32 v6, 0xff
	v_bfe_u32 v7, v5, 23, 8
	s_delay_alu instid0(VALU_DEP_1)
	v_cmpx_ne_u32_e32 0xff, v7
; %bb.650:
	v_and_b32_e32 v6, 0x400000, v5
	v_and_or_b32 v7, 0x3fffff, v5, v7
	v_lshrrev_b32_e32 v5, 23, v5
	s_delay_alu instid0(VALU_DEP_3) | instskip(NEXT) | instid1(VALU_DEP_3)
	v_cmp_ne_u32_e32 vcc_lo, 0, v6
	v_cmp_ne_u32_e64 s0, 0, v7
	s_delay_alu instid0(VALU_DEP_1) | instskip(NEXT) | instid1(SALU_CYCLE_1)
	s_and_b32 s0, vcc_lo, s0
	v_cndmask_b32_e64 v6, 0, 1, s0
	s_delay_alu instid0(VALU_DEP_1)
	v_add_nc_u32_e32 v6, v5, v6
; %bb.651:
	s_or_b32 exec_lo, exec_lo, s22
	s_mov_b32 s0, 0
	global_store_b8 v[2:3], v6, off
.LBB448_652:
	s_mov_b32 s22, 0
.LBB448_653:
	s_delay_alu instid0(SALU_CYCLE_1)
	s_and_b32 vcc_lo, exec_lo, s22
	s_cbranch_vccz .LBB448_656
; %bb.654:
	v_cmp_eq_u16_e32 vcc_lo, 29, v4
	s_mov_b32 s0, -1
	s_cbranch_vccz .LBB448_656
; %bb.655:
	s_mov_b32 s1, -1
	s_mov_b32 s0, 0
	global_store_b64 v[2:3], v[0:1], off
.LBB448_656:
	s_mov_b32 s22, 0
.LBB448_657:
	s_delay_alu instid0(SALU_CYCLE_1)
	s_and_b32 vcc_lo, exec_lo, s22
	s_cbranch_vccz .LBB448_673
; %bb.658:
	v_cmp_gt_i16_e32 vcc_lo, 27, v4
	s_mov_b32 s1, -1
	s_cbranch_vccnz .LBB448_664
; %bb.659:
	v_cmp_lt_i16_e32 vcc_lo, 27, v4
	s_cbranch_vccz .LBB448_661
; %bb.660:
	s_mov_b32 s1, 0
	global_store_b32 v[2:3], v0, off
.LBB448_661:
	s_and_not1_b32 vcc_lo, exec_lo, s1
	s_cbranch_vccnz .LBB448_663
; %bb.662:
	global_store_b16 v[2:3], v0, off
.LBB448_663:
	s_mov_b32 s1, 0
.LBB448_664:
	s_delay_alu instid0(SALU_CYCLE_1)
	s_and_not1_b32 vcc_lo, exec_lo, s1
	s_cbranch_vccnz .LBB448_672
; %bb.665:
	v_xor_b32_e32 v5, v0, v1
	v_cls_i32_e32 v6, v1
	s_mov_b32 s1, exec_lo
	s_delay_alu instid0(VALU_DEP_2) | instskip(NEXT) | instid1(VALU_DEP_2)
	v_ashrrev_i32_e32 v5, 31, v5
	v_add_nc_u32_e32 v6, -1, v6
	s_delay_alu instid0(VALU_DEP_2) | instskip(NEXT) | instid1(VALU_DEP_1)
	v_add_nc_u32_e32 v5, 32, v5
	v_min_u32_e32 v7, v6, v5
	s_delay_alu instid0(VALU_DEP_1) | instskip(NEXT) | instid1(VALU_DEP_1)
	v_lshlrev_b64 v[5:6], v7, v[0:1]
	v_min_u32_e32 v5, 1, v5
	s_delay_alu instid0(VALU_DEP_1) | instskip(SKIP_2) | instid1(VALU_DEP_3)
	v_or_b32_e32 v5, v6, v5
	v_sub_nc_u32_e32 v6, 32, v7
	v_mov_b32_e32 v7, 0x80
	v_cvt_f32_i32_e32 v5, v5
	s_delay_alu instid0(VALU_DEP_1) | instskip(NEXT) | instid1(VALU_DEP_1)
	v_ldexp_f32 v5, v5, v6
	v_and_b32_e32 v6, 0x7fffffff, v5
	s_delay_alu instid0(VALU_DEP_1)
	v_cmpx_gt_u32_e32 0x43800000, v6
	s_cbranch_execz .LBB448_671
; %bb.666:
	v_cmp_lt_u32_e32 vcc_lo, 0x3bffffff, v6
	s_mov_b32 s22, 0
                                        ; implicit-def: $vgpr6
	s_and_saveexec_b32 s23, vcc_lo
	s_delay_alu instid0(SALU_CYCLE_1)
	s_xor_b32 s23, exec_lo, s23
	s_cbranch_execz .LBB448_773
; %bb.667:
	v_bfe_u32 v6, v5, 20, 1
	s_mov_b32 s22, exec_lo
	s_delay_alu instid0(VALU_DEP_1) | instskip(NEXT) | instid1(VALU_DEP_1)
	v_add3_u32 v6, v5, v6, 0x487ffff
	v_lshrrev_b32_e32 v6, 20, v6
	s_or_saveexec_b32 s23, s23
                                        ; implicit-def: $sgpr24
	s_delay_alu instid0(SALU_CYCLE_1)
	s_xor_b32 exec_lo, exec_lo, s23
	s_cbranch_execnz .LBB448_774
.LBB448_668:
	s_or_b32 exec_lo, exec_lo, s23
	v_mov_b32_e32 v7, s24
	s_and_saveexec_b32 s23, s22
.LBB448_669:
	v_lshrrev_b32_e32 v5, 24, v5
	s_delay_alu instid0(VALU_DEP_1)
	v_and_or_b32 v7, 0x80, v5, v6
.LBB448_670:
	s_or_b32 exec_lo, exec_lo, s23
.LBB448_671:
	s_delay_alu instid0(SALU_CYCLE_1)
	s_or_b32 exec_lo, exec_lo, s1
	global_store_b8 v[2:3], v7, off
.LBB448_672:
	s_mov_b32 s1, -1
.LBB448_673:
	s_mov_b32 s22, 0
.LBB448_674:
	s_delay_alu instid0(SALU_CYCLE_1)
	s_and_b32 vcc_lo, exec_lo, s22
	s_cbranch_vccz .LBB448_715
; %bb.675:
	v_cmp_lt_i16_e32 vcc_lo, 22, v4
	s_mov_b32 s22, -1
	s_cbranch_vccz .LBB448_707
; %bb.676:
	v_cmp_gt_i16_e32 vcc_lo, 24, v4
	s_mov_b32 s1, -1
	s_cbranch_vccnz .LBB448_696
; %bb.677:
	v_cmp_lt_i16_e32 vcc_lo, 24, v4
	s_cbranch_vccz .LBB448_685
; %bb.678:
	v_xor_b32_e32 v5, v0, v1
	v_cls_i32_e32 v6, v1
	s_mov_b32 s1, exec_lo
	s_delay_alu instid0(VALU_DEP_2) | instskip(NEXT) | instid1(VALU_DEP_2)
	v_ashrrev_i32_e32 v5, 31, v5
	v_add_nc_u32_e32 v6, -1, v6
	s_delay_alu instid0(VALU_DEP_2) | instskip(NEXT) | instid1(VALU_DEP_1)
	v_add_nc_u32_e32 v5, 32, v5
	v_min_u32_e32 v7, v6, v5
	s_delay_alu instid0(VALU_DEP_1) | instskip(NEXT) | instid1(VALU_DEP_1)
	v_lshlrev_b64 v[5:6], v7, v[0:1]
	v_min_u32_e32 v5, 1, v5
	s_delay_alu instid0(VALU_DEP_1) | instskip(SKIP_2) | instid1(VALU_DEP_3)
	v_or_b32_e32 v5, v6, v5
	v_sub_nc_u32_e32 v6, 32, v7
	v_mov_b32_e32 v7, 0x80
	v_cvt_f32_i32_e32 v5, v5
	s_delay_alu instid0(VALU_DEP_1) | instskip(NEXT) | instid1(VALU_DEP_1)
	v_ldexp_f32 v5, v5, v6
	v_and_b32_e32 v6, 0x7fffffff, v5
	s_delay_alu instid0(VALU_DEP_1)
	v_cmpx_gt_u32_e32 0x47800000, v6
	s_cbranch_execz .LBB448_684
; %bb.679:
	v_cmp_lt_u32_e32 vcc_lo, 0x37ffffff, v6
	s_mov_b32 s22, 0
                                        ; implicit-def: $vgpr6
	s_and_saveexec_b32 s23, vcc_lo
	s_delay_alu instid0(SALU_CYCLE_1)
	s_xor_b32 s23, exec_lo, s23
	s_cbranch_execz .LBB448_776
; %bb.680:
	v_bfe_u32 v6, v5, 21, 1
	s_mov_b32 s22, exec_lo
	s_delay_alu instid0(VALU_DEP_1) | instskip(NEXT) | instid1(VALU_DEP_1)
	v_add3_u32 v6, v5, v6, 0x88fffff
	v_lshrrev_b32_e32 v6, 21, v6
	s_or_saveexec_b32 s23, s23
                                        ; implicit-def: $sgpr24
	s_delay_alu instid0(SALU_CYCLE_1)
	s_xor_b32 exec_lo, exec_lo, s23
	s_cbranch_execnz .LBB448_777
.LBB448_681:
	s_or_b32 exec_lo, exec_lo, s23
	v_mov_b32_e32 v7, s24
	s_and_saveexec_b32 s23, s22
.LBB448_682:
	v_lshrrev_b32_e32 v5, 24, v5
	s_delay_alu instid0(VALU_DEP_1)
	v_and_or_b32 v7, 0x80, v5, v6
.LBB448_683:
	s_or_b32 exec_lo, exec_lo, s23
.LBB448_684:
	s_delay_alu instid0(SALU_CYCLE_1)
	s_or_b32 exec_lo, exec_lo, s1
	s_mov_b32 s1, 0
	global_store_b8 v[2:3], v7, off
.LBB448_685:
	s_and_b32 vcc_lo, exec_lo, s1
	s_cbranch_vccz .LBB448_695
; %bb.686:
	v_xor_b32_e32 v5, v0, v1
	v_cls_i32_e32 v6, v1
	s_mov_b32 s1, exec_lo
	s_delay_alu instid0(VALU_DEP_2) | instskip(NEXT) | instid1(VALU_DEP_2)
	v_ashrrev_i32_e32 v5, 31, v5
	v_add_nc_u32_e32 v6, -1, v6
	s_delay_alu instid0(VALU_DEP_2) | instskip(NEXT) | instid1(VALU_DEP_1)
	v_add_nc_u32_e32 v5, 32, v5
	v_min_u32_e32 v7, v6, v5
	s_delay_alu instid0(VALU_DEP_1) | instskip(NEXT) | instid1(VALU_DEP_1)
	v_lshlrev_b64 v[5:6], v7, v[0:1]
	v_min_u32_e32 v5, 1, v5
	s_delay_alu instid0(VALU_DEP_1) | instskip(SKIP_1) | instid1(VALU_DEP_2)
	v_or_b32_e32 v5, v6, v5
	v_sub_nc_u32_e32 v6, 32, v7
	v_cvt_f32_i32_e32 v5, v5
	s_delay_alu instid0(VALU_DEP_1) | instskip(NEXT) | instid1(VALU_DEP_1)
	v_ldexp_f32 v5, v5, v6
                                        ; implicit-def: $vgpr6
	v_and_b32_e32 v7, 0x7fffffff, v5
	s_delay_alu instid0(VALU_DEP_1)
	v_cmpx_gt_u32_e32 0x43f00000, v7
	s_xor_b32 s1, exec_lo, s1
	s_cbranch_execz .LBB448_692
; %bb.687:
	s_mov_b32 s22, exec_lo
                                        ; implicit-def: $vgpr6
	v_cmpx_lt_u32_e32 0x3c7fffff, v7
	s_xor_b32 s22, exec_lo, s22
; %bb.688:
	v_bfe_u32 v6, v5, 20, 1
	s_delay_alu instid0(VALU_DEP_1) | instskip(NEXT) | instid1(VALU_DEP_1)
	v_add3_u32 v6, v5, v6, 0x407ffff
	v_and_b32_e32 v7, 0xff00000, v6
	v_lshrrev_b32_e32 v6, 20, v6
	s_delay_alu instid0(VALU_DEP_2) | instskip(NEXT) | instid1(VALU_DEP_2)
	v_cmp_ne_u32_e32 vcc_lo, 0x7f00000, v7
	v_cndmask_b32_e32 v6, 0x7e, v6, vcc_lo
; %bb.689:
	s_and_not1_saveexec_b32 s22, s22
; %bb.690:
	v_add_f32_e64 v6, 0x46800000, |v5|
; %bb.691:
	s_or_b32 exec_lo, exec_lo, s22
                                        ; implicit-def: $vgpr7
.LBB448_692:
	s_and_not1_saveexec_b32 s1, s1
; %bb.693:
	v_mov_b32_e32 v6, 0x7f
	v_cmp_lt_u32_e32 vcc_lo, 0x7f800000, v7
	s_delay_alu instid0(VALU_DEP_2)
	v_cndmask_b32_e32 v6, 0x7e, v6, vcc_lo
; %bb.694:
	s_or_b32 exec_lo, exec_lo, s1
	v_lshrrev_b32_e32 v5, 24, v5
	s_delay_alu instid0(VALU_DEP_1)
	v_and_or_b32 v5, 0x80, v5, v6
	global_store_b8 v[2:3], v5, off
.LBB448_695:
	s_mov_b32 s1, 0
.LBB448_696:
	s_delay_alu instid0(SALU_CYCLE_1)
	s_and_not1_b32 vcc_lo, exec_lo, s1
	s_cbranch_vccnz .LBB448_706
; %bb.697:
	v_xor_b32_e32 v5, v0, v1
	v_cls_i32_e32 v6, v1
	s_mov_b32 s1, exec_lo
	s_delay_alu instid0(VALU_DEP_2) | instskip(NEXT) | instid1(VALU_DEP_2)
	v_ashrrev_i32_e32 v5, 31, v5
	v_add_nc_u32_e32 v6, -1, v6
	s_delay_alu instid0(VALU_DEP_2) | instskip(NEXT) | instid1(VALU_DEP_1)
	v_add_nc_u32_e32 v5, 32, v5
	v_min_u32_e32 v7, v6, v5
	s_delay_alu instid0(VALU_DEP_1) | instskip(NEXT) | instid1(VALU_DEP_1)
	v_lshlrev_b64 v[5:6], v7, v[0:1]
	v_min_u32_e32 v5, 1, v5
	s_delay_alu instid0(VALU_DEP_1) | instskip(SKIP_1) | instid1(VALU_DEP_2)
	v_or_b32_e32 v5, v6, v5
	v_sub_nc_u32_e32 v6, 32, v7
	v_cvt_f32_i32_e32 v5, v5
	s_delay_alu instid0(VALU_DEP_1) | instskip(NEXT) | instid1(VALU_DEP_1)
	v_ldexp_f32 v5, v5, v6
                                        ; implicit-def: $vgpr6
	v_and_b32_e32 v7, 0x7fffffff, v5
	s_delay_alu instid0(VALU_DEP_1)
	v_cmpx_gt_u32_e32 0x47800000, v7
	s_xor_b32 s1, exec_lo, s1
	s_cbranch_execz .LBB448_703
; %bb.698:
	s_mov_b32 s22, exec_lo
                                        ; implicit-def: $vgpr6
	v_cmpx_lt_u32_e32 0x387fffff, v7
	s_xor_b32 s22, exec_lo, s22
; %bb.699:
	v_bfe_u32 v6, v5, 21, 1
	s_delay_alu instid0(VALU_DEP_1) | instskip(NEXT) | instid1(VALU_DEP_1)
	v_add3_u32 v6, v5, v6, 0x80fffff
	v_lshrrev_b32_e32 v6, 21, v6
; %bb.700:
	s_and_not1_saveexec_b32 s22, s22
; %bb.701:
	v_add_f32_e64 v6, 0x43000000, |v5|
; %bb.702:
	s_or_b32 exec_lo, exec_lo, s22
                                        ; implicit-def: $vgpr7
.LBB448_703:
	s_and_not1_saveexec_b32 s1, s1
; %bb.704:
	v_mov_b32_e32 v6, 0x7f
	v_cmp_lt_u32_e32 vcc_lo, 0x7f800000, v7
	s_delay_alu instid0(VALU_DEP_2)
	v_cndmask_b32_e32 v6, 0x7c, v6, vcc_lo
; %bb.705:
	s_or_b32 exec_lo, exec_lo, s1
	v_lshrrev_b32_e32 v5, 24, v5
	s_delay_alu instid0(VALU_DEP_1)
	v_and_or_b32 v5, 0x80, v5, v6
	global_store_b8 v[2:3], v5, off
.LBB448_706:
	s_mov_b32 s22, 0
	s_mov_b32 s1, -1
.LBB448_707:
	s_and_not1_b32 vcc_lo, exec_lo, s22
	s_cbranch_vccnz .LBB448_715
; %bb.708:
	v_cmp_lt_i16_e32 vcc_lo, 14, v4
	s_mov_b32 s22, -1
	s_cbranch_vccz .LBB448_712
; %bb.709:
	v_cmp_eq_u16_e32 vcc_lo, 15, v4
	s_mov_b32 s0, -1
	s_cbranch_vccz .LBB448_711
; %bb.710:
	v_xor_b32_e32 v5, v0, v1
	v_cls_i32_e32 v6, v1
	s_mov_b32 s1, -1
	s_mov_b32 s0, 0
	s_delay_alu instid0(VALU_DEP_2) | instskip(NEXT) | instid1(VALU_DEP_2)
	v_ashrrev_i32_e32 v5, 31, v5
	v_add_nc_u32_e32 v6, -1, v6
	s_delay_alu instid0(VALU_DEP_2) | instskip(NEXT) | instid1(VALU_DEP_1)
	v_add_nc_u32_e32 v5, 32, v5
	v_min_u32_e32 v7, v6, v5
	s_delay_alu instid0(VALU_DEP_1) | instskip(NEXT) | instid1(VALU_DEP_1)
	v_lshlrev_b64 v[5:6], v7, v[0:1]
	v_min_u32_e32 v5, 1, v5
	s_delay_alu instid0(VALU_DEP_1) | instskip(SKIP_1) | instid1(VALU_DEP_2)
	v_or_b32_e32 v5, v6, v5
	v_sub_nc_u32_e32 v6, 32, v7
	v_cvt_f32_i32_e32 v5, v5
	s_delay_alu instid0(VALU_DEP_1) | instskip(NEXT) | instid1(VALU_DEP_1)
	v_ldexp_f32 v5, v5, v6
	v_bfe_u32 v6, v5, 16, 1
	s_delay_alu instid0(VALU_DEP_1)
	v_add3_u32 v5, v5, v6, 0x7fff
	global_store_d16_hi_b16 v[2:3], v5, off
.LBB448_711:
	s_mov_b32 s22, 0
.LBB448_712:
	s_delay_alu instid0(SALU_CYCLE_1)
	s_and_b32 vcc_lo, exec_lo, s22
	s_cbranch_vccz .LBB448_715
; %bb.713:
	v_cmp_eq_u16_e32 vcc_lo, 11, v4
	s_mov_b32 s0, -1
	s_cbranch_vccz .LBB448_715
; %bb.714:
	v_cmp_ne_u64_e32 vcc_lo, 0, v[0:1]
	s_mov_b32 s1, -1
	s_mov_b32 s0, 0
	v_cndmask_b32_e64 v5, 0, 1, vcc_lo
	global_store_b8 v[2:3], v5, off
.LBB448_715:
	s_mov_b32 s22, 0
.LBB448_716:
	s_delay_alu instid0(SALU_CYCLE_1)
	s_and_b32 vcc_lo, exec_lo, s22
	s_cbranch_vccz .LBB448_755
; %bb.717:
	v_cmp_gt_i16_e32 vcc_lo, 5, v4
	s_mov_b32 s1, -1
	s_cbranch_vccnz .LBB448_738
; %bb.718:
	v_cmp_gt_i16_e32 vcc_lo, 8, v4
	s_cbranch_vccnz .LBB448_728
; %bb.719:
	v_cmp_gt_i16_e32 vcc_lo, 9, v4
	s_cbranch_vccnz .LBB448_725
; %bb.720:
	v_cmp_lt_i16_e32 vcc_lo, 9, v4
	s_cbranch_vccz .LBB448_722
; %bb.721:
	v_cvt_f64_i32_e32 v[5:6], v1
	v_cvt_f64_u32_e32 v[7:8], v0
	s_mov_b32 s1, 0
	s_delay_alu instid0(VALU_DEP_2) | instskip(NEXT) | instid1(VALU_DEP_1)
	v_ldexp_f64 v[5:6], v[5:6], 32
	v_add_f64 v[5:6], v[5:6], v[7:8]
	v_mov_b32_e32 v7, 0
	s_delay_alu instid0(VALU_DEP_1)
	v_mov_b32_e32 v8, v7
	global_store_b128 v[2:3], v[5:8], off
.LBB448_722:
	s_and_not1_b32 vcc_lo, exec_lo, s1
	s_cbranch_vccnz .LBB448_724
; %bb.723:
	v_xor_b32_e32 v5, v0, v1
	v_cls_i32_e32 v6, v1
	s_delay_alu instid0(VALU_DEP_2) | instskip(NEXT) | instid1(VALU_DEP_2)
	v_ashrrev_i32_e32 v5, 31, v5
	v_add_nc_u32_e32 v6, -1, v6
	s_delay_alu instid0(VALU_DEP_2) | instskip(NEXT) | instid1(VALU_DEP_1)
	v_add_nc_u32_e32 v5, 32, v5
	v_min_u32_e32 v7, v6, v5
	s_delay_alu instid0(VALU_DEP_1) | instskip(NEXT) | instid1(VALU_DEP_1)
	v_lshlrev_b64 v[5:6], v7, v[0:1]
	v_min_u32_e32 v5, 1, v5
	s_delay_alu instid0(VALU_DEP_1) | instskip(SKIP_1) | instid1(VALU_DEP_2)
	v_or_b32_e32 v5, v6, v5
	v_sub_nc_u32_e32 v6, 32, v7
	v_cvt_f32_i32_e32 v5, v5
	s_delay_alu instid0(VALU_DEP_1)
	v_ldexp_f32 v5, v5, v6
	v_mov_b32_e32 v6, 0
	global_store_b64 v[2:3], v[5:6], off
.LBB448_724:
	s_mov_b32 s1, 0
.LBB448_725:
	s_delay_alu instid0(SALU_CYCLE_1)
	s_and_not1_b32 vcc_lo, exec_lo, s1
	s_cbranch_vccnz .LBB448_727
; %bb.726:
	v_xor_b32_e32 v5, v0, v1
	v_cls_i32_e32 v6, v1
	s_delay_alu instid0(VALU_DEP_2) | instskip(NEXT) | instid1(VALU_DEP_2)
	v_ashrrev_i32_e32 v5, 31, v5
	v_add_nc_u32_e32 v6, -1, v6
	s_delay_alu instid0(VALU_DEP_2) | instskip(NEXT) | instid1(VALU_DEP_1)
	v_add_nc_u32_e32 v5, 32, v5
	v_min_u32_e32 v7, v6, v5
	s_delay_alu instid0(VALU_DEP_1) | instskip(NEXT) | instid1(VALU_DEP_1)
	v_lshlrev_b64 v[5:6], v7, v[0:1]
	v_min_u32_e32 v5, 1, v5
	s_delay_alu instid0(VALU_DEP_1) | instskip(SKIP_1) | instid1(VALU_DEP_2)
	v_or_b32_e32 v5, v6, v5
	v_sub_nc_u32_e32 v6, 32, v7
	v_cvt_f32_i32_e32 v5, v5
	s_delay_alu instid0(VALU_DEP_1) | instskip(NEXT) | instid1(VALU_DEP_1)
	v_ldexp_f32 v5, v5, v6
	v_cvt_f16_f32_e32 v5, v5
	s_delay_alu instid0(VALU_DEP_1)
	v_and_b32_e32 v5, 0xffff, v5
	global_store_b32 v[2:3], v5, off
.LBB448_727:
	s_mov_b32 s1, 0
.LBB448_728:
	s_delay_alu instid0(SALU_CYCLE_1)
	s_and_not1_b32 vcc_lo, exec_lo, s1
	s_cbranch_vccnz .LBB448_737
; %bb.729:
	v_cmp_gt_i16_e32 vcc_lo, 6, v4
	s_mov_b32 s1, -1
	s_cbranch_vccnz .LBB448_735
; %bb.730:
	v_cmp_lt_i16_e32 vcc_lo, 6, v4
	s_cbranch_vccz .LBB448_732
; %bb.731:
	v_cvt_f64_i32_e32 v[5:6], v1
	v_cvt_f64_u32_e32 v[7:8], v0
	s_mov_b32 s1, 0
	s_delay_alu instid0(VALU_DEP_2) | instskip(NEXT) | instid1(VALU_DEP_1)
	v_ldexp_f64 v[5:6], v[5:6], 32
	v_add_f64 v[5:6], v[5:6], v[7:8]
	global_store_b64 v[2:3], v[5:6], off
.LBB448_732:
	s_and_not1_b32 vcc_lo, exec_lo, s1
	s_cbranch_vccnz .LBB448_734
; %bb.733:
	v_xor_b32_e32 v5, v0, v1
	v_cls_i32_e32 v6, v1
	s_delay_alu instid0(VALU_DEP_2) | instskip(NEXT) | instid1(VALU_DEP_2)
	v_ashrrev_i32_e32 v5, 31, v5
	v_add_nc_u32_e32 v6, -1, v6
	s_delay_alu instid0(VALU_DEP_2) | instskip(NEXT) | instid1(VALU_DEP_1)
	v_add_nc_u32_e32 v5, 32, v5
	v_min_u32_e32 v7, v6, v5
	s_delay_alu instid0(VALU_DEP_1) | instskip(NEXT) | instid1(VALU_DEP_1)
	v_lshlrev_b64 v[5:6], v7, v[0:1]
	v_min_u32_e32 v5, 1, v5
	s_delay_alu instid0(VALU_DEP_1) | instskip(SKIP_1) | instid1(VALU_DEP_2)
	v_or_b32_e32 v5, v6, v5
	v_sub_nc_u32_e32 v6, 32, v7
	v_cvt_f32_i32_e32 v5, v5
	s_delay_alu instid0(VALU_DEP_1)
	v_ldexp_f32 v5, v5, v6
	global_store_b32 v[2:3], v5, off
.LBB448_734:
	s_mov_b32 s1, 0
.LBB448_735:
	s_delay_alu instid0(SALU_CYCLE_1)
	s_and_not1_b32 vcc_lo, exec_lo, s1
	s_cbranch_vccnz .LBB448_737
; %bb.736:
	v_xor_b32_e32 v5, v0, v1
	v_cls_i32_e32 v6, v1
	s_delay_alu instid0(VALU_DEP_2) | instskip(NEXT) | instid1(VALU_DEP_2)
	v_ashrrev_i32_e32 v5, 31, v5
	v_add_nc_u32_e32 v6, -1, v6
	s_delay_alu instid0(VALU_DEP_2) | instskip(NEXT) | instid1(VALU_DEP_1)
	v_add_nc_u32_e32 v5, 32, v5
	v_min_u32_e32 v7, v6, v5
	s_delay_alu instid0(VALU_DEP_1) | instskip(NEXT) | instid1(VALU_DEP_1)
	v_lshlrev_b64 v[5:6], v7, v[0:1]
	v_min_u32_e32 v5, 1, v5
	s_delay_alu instid0(VALU_DEP_1) | instskip(SKIP_1) | instid1(VALU_DEP_2)
	v_or_b32_e32 v5, v6, v5
	v_sub_nc_u32_e32 v6, 32, v7
	v_cvt_f32_i32_e32 v5, v5
	s_delay_alu instid0(VALU_DEP_1) | instskip(NEXT) | instid1(VALU_DEP_1)
	v_ldexp_f32 v5, v5, v6
	v_cvt_f16_f32_e32 v5, v5
	global_store_b16 v[2:3], v5, off
.LBB448_737:
	s_mov_b32 s1, 0
.LBB448_738:
	s_delay_alu instid0(SALU_CYCLE_1)
	s_and_not1_b32 vcc_lo, exec_lo, s1
	s_cbranch_vccnz .LBB448_754
; %bb.739:
	v_cmp_gt_i16_e32 vcc_lo, 2, v4
	s_mov_b32 s1, -1
	s_cbranch_vccnz .LBB448_749
; %bb.740:
	v_cmp_gt_i16_e32 vcc_lo, 3, v4
	s_cbranch_vccnz .LBB448_746
; %bb.741:
	v_cmp_lt_i16_e32 vcc_lo, 3, v4
	s_cbranch_vccz .LBB448_743
; %bb.742:
	s_mov_b32 s1, 0
	global_store_b64 v[2:3], v[0:1], off
.LBB448_743:
	s_and_not1_b32 vcc_lo, exec_lo, s1
	s_cbranch_vccnz .LBB448_745
; %bb.744:
	global_store_b32 v[2:3], v0, off
.LBB448_745:
	s_mov_b32 s1, 0
.LBB448_746:
	s_delay_alu instid0(SALU_CYCLE_1)
	s_and_not1_b32 vcc_lo, exec_lo, s1
	s_cbranch_vccnz .LBB448_748
; %bb.747:
	global_store_b16 v[2:3], v0, off
.LBB448_748:
	s_mov_b32 s1, 0
.LBB448_749:
	s_delay_alu instid0(SALU_CYCLE_1)
	s_and_not1_b32 vcc_lo, exec_lo, s1
	s_cbranch_vccnz .LBB448_754
; %bb.750:
	v_cmp_lt_i16_e32 vcc_lo, 0, v4
	s_mov_b32 s1, -1
	s_cbranch_vccz .LBB448_752
; %bb.751:
	s_mov_b32 s1, 0
	global_store_b8 v[2:3], v0, off
.LBB448_752:
	s_and_not1_b32 vcc_lo, exec_lo, s1
	s_cbranch_vccnz .LBB448_754
; %bb.753:
	global_store_b8 v[2:3], v0, off
.LBB448_754:
	s_mov_b32 s1, -1
.LBB448_755:
	s_delay_alu instid0(SALU_CYCLE_1)
	s_and_not1_b32 vcc_lo, exec_lo, s1
	s_cbranch_vccnz .LBB448_757
; %bb.756:
	v_add_nc_u32_e32 v10, 0x80, v10
	s_mov_b32 s1, -1
	s_branch .LBB448_759
.LBB448_757:
	s_mov_b32 s1, 0
.LBB448_758:
                                        ; implicit-def: $vgpr10
.LBB448_759:
	s_and_not1_b32 s22, s18, exec_lo
	s_and_b32 s0, s0, exec_lo
	s_and_not1_b32 s23, s17, exec_lo
	s_and_b32 s21, s21, exec_lo
	s_or_b32 s22, s22, s0
	s_or_b32 s21, s23, s21
	s_or_not1_b32 s0, s1, exec_lo
.LBB448_760:
	s_or_b32 exec_lo, exec_lo, s20
	s_mov_b32 s1, 0
	s_mov_b32 s23, 0
	;; [unrolled: 1-line block ×3, first 2 shown]
                                        ; implicit-def: $vgpr0_vgpr1
                                        ; implicit-def: $vgpr4_vgpr5
	s_and_saveexec_b32 s20, s0
	s_cbranch_execz .LBB448_841
; %bb.761:
	v_cmp_gt_i32_e32 vcc_lo, s14, v10
	s_mov_b32 s0, 0
	s_mov_b32 s25, s21
	;; [unrolled: 1-line block ×3, first 2 shown]
                                        ; implicit-def: $vgpr0_vgpr1
                                        ; implicit-def: $vgpr4_vgpr5
	s_and_saveexec_b32 s14, vcc_lo
	s_cbranch_execz .LBB448_840
; %bb.762:
	v_mul_lo_u32 v0, v10, s9
	v_cmp_gt_i16_e32 vcc_lo, 11, v11
	s_delay_alu instid0(VALU_DEP_2) | instskip(SKIP_1) | instid1(VALU_DEP_1)
	v_ashrrev_i32_e32 v1, 31, v0
	v_add_co_u32 v0, s0, s6, v0
	v_add_co_ci_u32_e64 v1, s0, s7, v1, s0
	s_cbranch_vccnz .LBB448_769
; %bb.763:
	v_cmp_lt_i16_e32 vcc_lo, 25, v11
	s_cbranch_vccz .LBB448_770
; %bb.764:
	v_cmp_lt_i16_e32 vcc_lo, 28, v11
	s_cbranch_vccz .LBB448_771
	;; [unrolled: 3-line block ×4, first 2 shown]
; %bb.767:
	v_cmp_eq_u16_e32 vcc_lo, 46, v11
	s_cbranch_vccz .LBB448_778
; %bb.768:
	global_load_b32 v2, v[0:1], off
	s_mov_b32 s0, -1
	s_waitcnt vmcnt(0)
	v_lshlrev_b32_e32 v2, 16, v2
	s_delay_alu instid0(VALU_DEP_1) | instskip(NEXT) | instid1(VALU_DEP_1)
	v_trunc_f32_e32 v2, v2
	v_mul_f32_e64 v3, 0x2f800000, |v2|
	s_delay_alu instid0(VALU_DEP_1) | instskip(NEXT) | instid1(VALU_DEP_1)
	v_floor_f32_e32 v3, v3
	v_fma_f32 v4, 0xcf800000, v3, |v2|
	v_ashrrev_i32_e32 v2, 31, v2
	v_cvt_u32_f32_e32 v3, v3
	s_delay_alu instid0(VALU_DEP_3) | instskip(NEXT) | instid1(VALU_DEP_2)
	v_cvt_u32_f32_e32 v4, v4
	v_xor_b32_e32 v3, v3, v2
	s_delay_alu instid0(VALU_DEP_2) | instskip(NEXT) | instid1(VALU_DEP_1)
	v_xor_b32_e32 v4, v4, v2
	v_sub_co_u32 v4, vcc_lo, v4, v2
	s_delay_alu instid0(VALU_DEP_3)
	v_sub_co_ci_u32_e32 v5, vcc_lo, v3, v2, vcc_lo
	s_branch .LBB448_780
.LBB448_769:
	s_mov_b32 s1, -1
	s_mov_b32 s0, 0
	s_mov_b32 s23, s21
                                        ; implicit-def: $vgpr4_vgpr5
	s_branch .LBB448_839
.LBB448_770:
	s_mov_b32 s1, -1
	s_mov_b32 s0, 0
	s_mov_b32 s23, s21
                                        ; implicit-def: $vgpr4_vgpr5
	s_branch .LBB448_809
.LBB448_771:
	s_mov_b32 s1, -1
	s_mov_b32 s0, 0
	s_mov_b32 s23, s21
                                        ; implicit-def: $vgpr4_vgpr5
	s_branch .LBB448_790
.LBB448_772:
	s_mov_b32 s1, -1
	s_mov_b32 s0, 0
	s_mov_b32 s23, s21
                                        ; implicit-def: $vgpr4_vgpr5
	s_branch .LBB448_785
.LBB448_773:
	s_or_saveexec_b32 s23, s23
                                        ; implicit-def: $sgpr24
	s_delay_alu instid0(SALU_CYCLE_1)
	s_xor_b32 exec_lo, exec_lo, s23
	s_cbranch_execz .LBB448_668
.LBB448_774:
	v_add_f32_e64 v6, 0x46000000, |v5|
	s_and_not1_b32 s22, s22, exec_lo
	s_mov_b32 s24, 0
	s_delay_alu instid0(VALU_DEP_1) | instskip(NEXT) | instid1(VALU_DEP_1)
	v_and_b32_e32 v6, 0xff, v6
	v_cmp_ne_u32_e32 vcc_lo, 0, v6
	s_and_b32 s25, vcc_lo, exec_lo
	s_delay_alu instid0(SALU_CYCLE_1)
	s_or_b32 s22, s22, s25
	s_or_b32 exec_lo, exec_lo, s23
	v_mov_b32_e32 v7, s24
	s_and_saveexec_b32 s23, s22
	s_cbranch_execnz .LBB448_669
	s_branch .LBB448_670
.LBB448_775:
	s_mov_b32 s1, -1
	s_mov_b32 s0, 0
	s_mov_b32 s23, s21
	s_branch .LBB448_779
.LBB448_776:
	s_or_saveexec_b32 s23, s23
                                        ; implicit-def: $sgpr24
	s_delay_alu instid0(SALU_CYCLE_1)
	s_xor_b32 exec_lo, exec_lo, s23
	s_cbranch_execz .LBB448_681
.LBB448_777:
	v_add_f32_e64 v6, 0x42800000, |v5|
	s_and_not1_b32 s22, s22, exec_lo
	s_mov_b32 s24, 0
	s_delay_alu instid0(VALU_DEP_1) | instskip(NEXT) | instid1(VALU_DEP_1)
	v_and_b32_e32 v6, 0xff, v6
	v_cmp_ne_u32_e32 vcc_lo, 0, v6
	s_and_b32 s25, vcc_lo, exec_lo
	s_delay_alu instid0(SALU_CYCLE_1)
	s_or_b32 s22, s22, s25
	s_or_b32 exec_lo, exec_lo, s23
	v_mov_b32_e32 v7, s24
	s_and_saveexec_b32 s23, s22
	s_cbranch_execnz .LBB448_682
	s_branch .LBB448_683
.LBB448_778:
	s_mov_b32 s23, -1
	s_mov_b32 s0, 0
.LBB448_779:
                                        ; implicit-def: $vgpr4_vgpr5
.LBB448_780:
	s_and_b32 vcc_lo, exec_lo, s1
	s_cbranch_vccz .LBB448_784
; %bb.781:
	v_cmp_eq_u16_e32 vcc_lo, 44, v11
	s_cbranch_vccz .LBB448_783
; %bb.782:
	global_load_u8 v2, v[0:1], off
	s_mov_b32 s23, 0
	s_mov_b32 s0, -1
	s_waitcnt vmcnt(0)
	v_lshlrev_b32_e32 v3, 23, v2
	s_delay_alu instid0(VALU_DEP_1) | instskip(NEXT) | instid1(VALU_DEP_1)
	v_trunc_f32_e32 v3, v3
	v_mul_f32_e64 v4, 0x2f800000, |v3|
	s_delay_alu instid0(VALU_DEP_1) | instskip(NEXT) | instid1(VALU_DEP_1)
	v_floor_f32_e32 v4, v4
	v_fma_f32 v5, 0xcf800000, v4, |v3|
	v_ashrrev_i32_e32 v3, 31, v3
	v_cvt_u32_f32_e32 v4, v4
	s_delay_alu instid0(VALU_DEP_3) | instskip(NEXT) | instid1(VALU_DEP_2)
	v_cvt_u32_f32_e32 v5, v5
	v_xor_b32_e32 v4, v4, v3
	s_delay_alu instid0(VALU_DEP_2) | instskip(NEXT) | instid1(VALU_DEP_1)
	v_xor_b32_e32 v5, v5, v3
	v_sub_co_u32 v6, vcc_lo, v5, v3
	s_delay_alu instid0(VALU_DEP_3) | instskip(SKIP_1) | instid1(VALU_DEP_2)
	v_sub_co_ci_u32_e32 v3, vcc_lo, v4, v3, vcc_lo
	v_cmp_ne_u32_e32 vcc_lo, 0, v2
	v_dual_cndmask_b32 v5, 0, v3 :: v_dual_cndmask_b32 v4, 0, v6
	s_branch .LBB448_784
.LBB448_783:
	s_mov_b32 s23, -1
                                        ; implicit-def: $vgpr4_vgpr5
.LBB448_784:
	s_mov_b32 s1, 0
.LBB448_785:
	s_delay_alu instid0(SALU_CYCLE_1)
	s_and_b32 vcc_lo, exec_lo, s1
	s_cbranch_vccz .LBB448_789
; %bb.786:
	v_cmp_eq_u16_e32 vcc_lo, 29, v11
	s_cbranch_vccz .LBB448_788
; %bb.787:
	global_load_b64 v[4:5], v[0:1], off
	s_mov_b32 s23, 0
	s_mov_b32 s0, -1
	s_branch .LBB448_789
.LBB448_788:
	s_mov_b32 s23, -1
                                        ; implicit-def: $vgpr4_vgpr5
.LBB448_789:
	s_mov_b32 s1, 0
.LBB448_790:
	s_delay_alu instid0(SALU_CYCLE_1)
	s_and_b32 vcc_lo, exec_lo, s1
	s_cbranch_vccz .LBB448_808
; %bb.791:
	v_cmp_gt_i16_e32 vcc_lo, 27, v11
	s_cbranch_vccnz .LBB448_794
; %bb.792:
	v_cmp_lt_i16_e32 vcc_lo, 27, v11
	s_cbranch_vccz .LBB448_795
; %bb.793:
	global_load_b32 v4, v[0:1], off
	s_waitcnt vmcnt(1)
	v_mov_b32_e32 v5, 0
	s_mov_b32 s0, 0
	s_branch .LBB448_796
.LBB448_794:
	s_mov_b32 s0, -1
                                        ; implicit-def: $vgpr4_vgpr5
	s_branch .LBB448_799
.LBB448_795:
	s_mov_b32 s0, -1
                                        ; implicit-def: $vgpr4_vgpr5
.LBB448_796:
	s_delay_alu instid0(SALU_CYCLE_1)
	s_and_not1_b32 vcc_lo, exec_lo, s0
	s_cbranch_vccnz .LBB448_798
; %bb.797:
	global_load_u16 v2, v[0:1], off
	s_mov_b32 s0, 0
	s_waitcnt vmcnt(0)
	v_dual_mov_b32 v5, s0 :: v_dual_and_b32 v4, 0xffff, v2
.LBB448_798:
	s_mov_b32 s0, 0
.LBB448_799:
	s_delay_alu instid0(SALU_CYCLE_1)
	s_and_not1_b32 vcc_lo, exec_lo, s0
	s_cbranch_vccnz .LBB448_807
; %bb.800:
	global_load_u8 v2, v[0:1], off
	s_mov_b32 s25, 0
	s_mov_b32 s26, exec_lo
                                        ; implicit-def: $sgpr0_sgpr1
	s_waitcnt vmcnt(0)
	v_cmpx_lt_i16_e32 0x7f, v2
	s_xor_b32 s26, exec_lo, s26
; %bb.801:
	v_cmp_ne_u16_e32 vcc_lo, 0x80, v2
	s_mov_b64 s[0:1], 0
	s_and_b32 s25, vcc_lo, exec_lo
; %bb.802:
	s_or_saveexec_b32 s26, s26
	v_dual_mov_b32 v5, s1 :: v_dual_mov_b32 v4, s0
	s_xor_b32 exec_lo, exec_lo, s26
; %bb.803:
	v_cmp_ne_u16_e32 vcc_lo, 0, v2
	v_mov_b32_e32 v4, 0
	v_mov_b32_e32 v5, 0
	s_and_not1_b32 s0, s25, exec_lo
	s_and_b32 s1, vcc_lo, exec_lo
	s_delay_alu instid0(SALU_CYCLE_1)
	s_or_b32 s25, s0, s1
; %bb.804:
	s_or_b32 exec_lo, exec_lo, s26
	s_and_saveexec_b32 s0, s25
	s_cbranch_execz .LBB448_806
; %bb.805:
	v_and_b32_e32 v3, 0xffff, v2
	v_lshlrev_b32_e32 v2, 24, v2
	s_delay_alu instid0(VALU_DEP_2) | instskip(NEXT) | instid1(VALU_DEP_2)
	v_and_b32_e32 v4, 7, v3
	v_and_b32_e32 v2, 0x80000000, v2
	s_delay_alu instid0(VALU_DEP_2) | instskip(NEXT) | instid1(VALU_DEP_1)
	v_clz_i32_u32_e32 v5, v4
	v_min_u32_e32 v5, 32, v5
	s_delay_alu instid0(VALU_DEP_1) | instskip(SKIP_1) | instid1(VALU_DEP_2)
	v_subrev_nc_u32_e32 v6, 28, v5
	v_sub_nc_u32_e32 v5, 29, v5
	v_lshlrev_b32_e32 v6, v6, v3
	v_bfe_u32 v3, v3, 3, 4
	s_delay_alu instid0(VALU_DEP_2) | instskip(NEXT) | instid1(VALU_DEP_2)
	v_and_b32_e32 v6, 7, v6
	v_cmp_eq_u32_e32 vcc_lo, 0, v3
	s_delay_alu instid0(VALU_DEP_2) | instskip(NEXT) | instid1(VALU_DEP_1)
	v_dual_cndmask_b32 v3, v3, v5 :: v_dual_cndmask_b32 v4, v4, v6
	v_lshl_add_u32 v3, v3, 23, 0x3b800000
	s_delay_alu instid0(VALU_DEP_2) | instskip(NEXT) | instid1(VALU_DEP_1)
	v_lshlrev_b32_e32 v4, 20, v4
	v_or3_b32 v2, v2, v3, v4
	s_delay_alu instid0(VALU_DEP_1) | instskip(NEXT) | instid1(VALU_DEP_1)
	v_trunc_f32_e32 v2, v2
	v_mul_f32_e64 v3, 0x2f800000, |v2|
	s_delay_alu instid0(VALU_DEP_1) | instskip(NEXT) | instid1(VALU_DEP_1)
	v_floor_f32_e32 v3, v3
	v_fma_f32 v4, 0xcf800000, v3, |v2|
	v_ashrrev_i32_e32 v2, 31, v2
	v_cvt_u32_f32_e32 v3, v3
	s_delay_alu instid0(VALU_DEP_3) | instskip(NEXT) | instid1(VALU_DEP_2)
	v_cvt_u32_f32_e32 v4, v4
	v_xor_b32_e32 v3, v3, v2
	s_delay_alu instid0(VALU_DEP_2) | instskip(NEXT) | instid1(VALU_DEP_1)
	v_xor_b32_e32 v4, v4, v2
	v_sub_co_u32 v4, vcc_lo, v4, v2
	s_delay_alu instid0(VALU_DEP_3)
	v_sub_co_ci_u32_e32 v5, vcc_lo, v3, v2, vcc_lo
.LBB448_806:
	s_or_b32 exec_lo, exec_lo, s0
.LBB448_807:
	s_mov_b32 s0, -1
.LBB448_808:
	s_mov_b32 s1, 0
.LBB448_809:
	s_delay_alu instid0(SALU_CYCLE_1)
	s_and_b32 vcc_lo, exec_lo, s1
	s_cbranch_vccz .LBB448_838
; %bb.810:
	v_cmp_lt_i16_e32 vcc_lo, 22, v11
	s_cbranch_vccz .LBB448_820
; %bb.811:
	v_cmp_gt_i16_e32 vcc_lo, 24, v11
	s_cbranch_vccnz .LBB448_821
; %bb.812:
	v_cmp_lt_i16_e32 vcc_lo, 24, v11
	s_cbranch_vccz .LBB448_822
; %bb.813:
	global_load_u8 v2, v[0:1], off
	s_mov_b32 s25, exec_lo
                                        ; implicit-def: $sgpr0_sgpr1
	s_waitcnt vmcnt(0)
	v_cmpx_lt_i16_e32 0x7f, v2
	s_xor_b32 s25, exec_lo, s25
; %bb.814:
	v_cmp_ne_u16_e32 vcc_lo, 0x80, v2
	s_mov_b64 s[0:1], 0
	s_and_b32 s24, vcc_lo, exec_lo
; %bb.815:
	s_or_saveexec_b32 s25, s25
	v_dual_mov_b32 v5, s1 :: v_dual_mov_b32 v4, s0
	s_xor_b32 exec_lo, exec_lo, s25
; %bb.816:
	v_cmp_ne_u16_e32 vcc_lo, 0, v2
	v_mov_b32_e32 v4, 0
	v_mov_b32_e32 v5, 0
	s_and_not1_b32 s0, s24, exec_lo
	s_and_b32 s1, vcc_lo, exec_lo
	s_delay_alu instid0(SALU_CYCLE_1)
	s_or_b32 s24, s0, s1
; %bb.817:
	s_or_b32 exec_lo, exec_lo, s25
	s_and_saveexec_b32 s0, s24
	s_cbranch_execz .LBB448_819
; %bb.818:
	v_and_b32_e32 v3, 0xffff, v2
	v_lshlrev_b32_e32 v2, 24, v2
	s_delay_alu instid0(VALU_DEP_2) | instskip(NEXT) | instid1(VALU_DEP_2)
	v_and_b32_e32 v4, 3, v3
	v_and_b32_e32 v2, 0x80000000, v2
	s_delay_alu instid0(VALU_DEP_2) | instskip(NEXT) | instid1(VALU_DEP_1)
	v_clz_i32_u32_e32 v5, v4
	v_min_u32_e32 v5, 32, v5
	s_delay_alu instid0(VALU_DEP_1) | instskip(SKIP_1) | instid1(VALU_DEP_2)
	v_subrev_nc_u32_e32 v6, 29, v5
	v_sub_nc_u32_e32 v5, 30, v5
	v_lshlrev_b32_e32 v6, v6, v3
	v_bfe_u32 v3, v3, 2, 5
	s_delay_alu instid0(VALU_DEP_2) | instskip(NEXT) | instid1(VALU_DEP_2)
	v_and_b32_e32 v6, 3, v6
	v_cmp_eq_u32_e32 vcc_lo, 0, v3
	s_delay_alu instid0(VALU_DEP_2) | instskip(NEXT) | instid1(VALU_DEP_1)
	v_dual_cndmask_b32 v3, v3, v5 :: v_dual_cndmask_b32 v4, v4, v6
	v_lshl_add_u32 v3, v3, 23, 0x37800000
	s_delay_alu instid0(VALU_DEP_2) | instskip(NEXT) | instid1(VALU_DEP_1)
	v_lshlrev_b32_e32 v4, 21, v4
	v_or3_b32 v2, v2, v3, v4
	s_delay_alu instid0(VALU_DEP_1) | instskip(NEXT) | instid1(VALU_DEP_1)
	v_trunc_f32_e32 v2, v2
	v_mul_f32_e64 v3, 0x2f800000, |v2|
	s_delay_alu instid0(VALU_DEP_1) | instskip(NEXT) | instid1(VALU_DEP_1)
	v_floor_f32_e32 v3, v3
	v_fma_f32 v4, 0xcf800000, v3, |v2|
	v_ashrrev_i32_e32 v2, 31, v2
	v_cvt_u32_f32_e32 v3, v3
	s_delay_alu instid0(VALU_DEP_3) | instskip(NEXT) | instid1(VALU_DEP_2)
	v_cvt_u32_f32_e32 v4, v4
	v_xor_b32_e32 v3, v3, v2
	s_delay_alu instid0(VALU_DEP_2) | instskip(NEXT) | instid1(VALU_DEP_1)
	v_xor_b32_e32 v4, v4, v2
	v_sub_co_u32 v4, vcc_lo, v4, v2
	s_delay_alu instid0(VALU_DEP_3)
	v_sub_co_ci_u32_e32 v5, vcc_lo, v3, v2, vcc_lo
.LBB448_819:
	s_or_b32 exec_lo, exec_lo, s0
	s_mov_b32 s0, 0
	s_branch .LBB448_823
.LBB448_820:
	s_mov_b32 s1, -1
                                        ; implicit-def: $vgpr4_vgpr5
	s_branch .LBB448_829
.LBB448_821:
	s_mov_b32 s0, -1
                                        ; implicit-def: $vgpr4_vgpr5
	s_branch .LBB448_826
.LBB448_822:
	s_mov_b32 s0, -1
                                        ; implicit-def: $vgpr4_vgpr5
.LBB448_823:
	s_delay_alu instid0(SALU_CYCLE_1)
	s_and_b32 vcc_lo, exec_lo, s0
	s_cbranch_vccz .LBB448_825
; %bb.824:
	global_load_u8 v2, v[0:1], off
	s_waitcnt vmcnt(0)
	v_lshlrev_b32_e32 v2, 24, v2
	s_delay_alu instid0(VALU_DEP_1) | instskip(NEXT) | instid1(VALU_DEP_1)
	v_and_b32_e32 v3, 0x7f000000, v2
	v_clz_i32_u32_e32 v4, v3
	v_add_nc_u32_e32 v6, 0x1000000, v3
	v_cmp_ne_u32_e32 vcc_lo, 0, v3
	s_delay_alu instid0(VALU_DEP_3) | instskip(NEXT) | instid1(VALU_DEP_1)
	v_min_u32_e32 v4, 32, v4
	v_sub_nc_u32_e64 v4, v4, 4 clamp
	s_delay_alu instid0(VALU_DEP_1) | instskip(SKIP_1) | instid1(VALU_DEP_2)
	v_lshlrev_b32_e32 v5, v4, v3
	v_lshlrev_b32_e32 v4, 23, v4
	v_lshrrev_b32_e32 v5, 4, v5
	s_delay_alu instid0(VALU_DEP_1) | instskip(SKIP_1) | instid1(VALU_DEP_2)
	v_sub_nc_u32_e32 v4, v5, v4
	v_ashrrev_i32_e32 v5, 8, v6
	v_add_nc_u32_e32 v4, 0x3c000000, v4
	s_delay_alu instid0(VALU_DEP_1) | instskip(NEXT) | instid1(VALU_DEP_1)
	v_and_or_b32 v4, 0x7f800000, v5, v4
	v_cndmask_b32_e32 v3, 0, v4, vcc_lo
	s_delay_alu instid0(VALU_DEP_1) | instskip(NEXT) | instid1(VALU_DEP_1)
	v_and_or_b32 v2, 0x80000000, v2, v3
	v_trunc_f32_e32 v2, v2
	s_delay_alu instid0(VALU_DEP_1) | instskip(NEXT) | instid1(VALU_DEP_1)
	v_mul_f32_e64 v3, 0x2f800000, |v2|
	v_floor_f32_e32 v3, v3
	s_delay_alu instid0(VALU_DEP_1) | instskip(SKIP_2) | instid1(VALU_DEP_3)
	v_fma_f32 v4, 0xcf800000, v3, |v2|
	v_ashrrev_i32_e32 v2, 31, v2
	v_cvt_u32_f32_e32 v3, v3
	v_cvt_u32_f32_e32 v4, v4
	s_delay_alu instid0(VALU_DEP_2) | instskip(NEXT) | instid1(VALU_DEP_2)
	v_xor_b32_e32 v3, v3, v2
	v_xor_b32_e32 v4, v4, v2
	s_delay_alu instid0(VALU_DEP_1) | instskip(NEXT) | instid1(VALU_DEP_3)
	v_sub_co_u32 v4, vcc_lo, v4, v2
	v_sub_co_ci_u32_e32 v5, vcc_lo, v3, v2, vcc_lo
.LBB448_825:
	s_mov_b32 s0, 0
.LBB448_826:
	s_delay_alu instid0(SALU_CYCLE_1)
	s_and_not1_b32 vcc_lo, exec_lo, s0
	s_cbranch_vccnz .LBB448_828
; %bb.827:
	global_load_u8 v2, v[0:1], off
	s_waitcnt vmcnt(0)
	v_lshlrev_b32_e32 v3, 25, v2
	v_lshlrev_b16 v2, 8, v2
	s_delay_alu instid0(VALU_DEP_2) | instskip(NEXT) | instid1(VALU_DEP_2)
	v_lshrrev_b32_e32 v4, 4, v3
	v_and_or_b32 v5, 0x7f00, v2, 0.5
	v_bfe_i32 v2, v2, 0, 16
	s_delay_alu instid0(VALU_DEP_3) | instskip(NEXT) | instid1(VALU_DEP_1)
	v_or_b32_e32 v4, 0x70000000, v4
	v_dual_add_f32 v5, -0.5, v5 :: v_dual_mul_f32 v4, 0x7800000, v4
	v_cmp_gt_u32_e32 vcc_lo, 0x8000000, v3
	s_delay_alu instid0(VALU_DEP_2) | instskip(NEXT) | instid1(VALU_DEP_1)
	v_cndmask_b32_e32 v3, v4, v5, vcc_lo
	v_and_or_b32 v2, 0x80000000, v2, v3
	s_delay_alu instid0(VALU_DEP_1) | instskip(NEXT) | instid1(VALU_DEP_1)
	v_trunc_f32_e32 v2, v2
	v_mul_f32_e64 v3, 0x2f800000, |v2|
	s_delay_alu instid0(VALU_DEP_1) | instskip(NEXT) | instid1(VALU_DEP_1)
	v_floor_f32_e32 v3, v3
	v_fma_f32 v4, 0xcf800000, v3, |v2|
	v_ashrrev_i32_e32 v2, 31, v2
	v_cvt_u32_f32_e32 v3, v3
	s_delay_alu instid0(VALU_DEP_3) | instskip(NEXT) | instid1(VALU_DEP_2)
	v_cvt_u32_f32_e32 v4, v4
	v_xor_b32_e32 v3, v3, v2
	s_delay_alu instid0(VALU_DEP_2) | instskip(NEXT) | instid1(VALU_DEP_1)
	v_xor_b32_e32 v4, v4, v2
	v_sub_co_u32 v4, vcc_lo, v4, v2
	s_delay_alu instid0(VALU_DEP_3)
	v_sub_co_ci_u32_e32 v5, vcc_lo, v3, v2, vcc_lo
.LBB448_828:
	s_mov_b32 s1, 0
	s_mov_b32 s0, -1
.LBB448_829:
	s_and_not1_b32 vcc_lo, exec_lo, s1
	s_mov_b32 s24, 0
	s_cbranch_vccnz .LBB448_838
; %bb.830:
	v_cmp_lt_i16_e32 vcc_lo, 14, v11
	s_cbranch_vccz .LBB448_833
; %bb.831:
	v_cmp_eq_u16_e32 vcc_lo, 15, v11
	s_cbranch_vccz .LBB448_834
; %bb.832:
	global_load_u16 v2, v[0:1], off
	s_mov_b32 s23, 0
	s_mov_b32 s0, -1
	s_waitcnt vmcnt(0)
	v_lshlrev_b32_e32 v2, 16, v2
	s_delay_alu instid0(VALU_DEP_1) | instskip(NEXT) | instid1(VALU_DEP_1)
	v_trunc_f32_e32 v2, v2
	v_mul_f32_e64 v3, 0x2f800000, |v2|
	s_delay_alu instid0(VALU_DEP_1) | instskip(NEXT) | instid1(VALU_DEP_1)
	v_floor_f32_e32 v3, v3
	v_fma_f32 v4, 0xcf800000, v3, |v2|
	v_ashrrev_i32_e32 v2, 31, v2
	v_cvt_u32_f32_e32 v3, v3
	s_delay_alu instid0(VALU_DEP_3) | instskip(NEXT) | instid1(VALU_DEP_2)
	v_cvt_u32_f32_e32 v4, v4
	v_xor_b32_e32 v3, v3, v2
	s_delay_alu instid0(VALU_DEP_2) | instskip(NEXT) | instid1(VALU_DEP_1)
	v_xor_b32_e32 v4, v4, v2
	v_sub_co_u32 v4, vcc_lo, v4, v2
	s_delay_alu instid0(VALU_DEP_3)
	v_sub_co_ci_u32_e32 v5, vcc_lo, v3, v2, vcc_lo
	s_branch .LBB448_835
.LBB448_833:
	s_mov_b32 s1, -1
                                        ; implicit-def: $vgpr4_vgpr5
	s_branch .LBB448_836
.LBB448_834:
	s_mov_b32 s23, -1
                                        ; implicit-def: $vgpr4_vgpr5
.LBB448_835:
	s_mov_b32 s1, 0
.LBB448_836:
	s_delay_alu instid0(SALU_CYCLE_1)
	s_and_b32 vcc_lo, exec_lo, s1
	s_cbranch_vccz .LBB448_838
; %bb.837:
	v_cmp_ne_u16_e32 vcc_lo, 11, v11
	s_and_not1_b32 s1, s23, exec_lo
	s_mov_b32 s24, -1
                                        ; implicit-def: $vgpr4_vgpr5
	s_and_b32 s23, vcc_lo, exec_lo
	s_delay_alu instid0(SALU_CYCLE_1)
	s_or_b32 s23, s1, s23
.LBB448_838:
	s_mov_b32 s1, 0
.LBB448_839:
	s_and_not1_b32 s25, s21, exec_lo
	s_and_b32 s23, s23, exec_lo
	s_and_b32 s26, s0, exec_lo
	;; [unrolled: 1-line block ×4, first 2 shown]
	s_or_b32 s25, s25, s23
.LBB448_840:
	s_or_b32 exec_lo, exec_lo, s14
	s_delay_alu instid0(SALU_CYCLE_1)
	s_and_not1_b32 s14, s21, exec_lo
	s_and_b32 s21, s25, exec_lo
	s_and_b32 s24, s26, exec_lo
	;; [unrolled: 1-line block ×4, first 2 shown]
	s_or_b32 s21, s14, s21
.LBB448_841:
	s_or_b32 exec_lo, exec_lo, s20
	s_delay_alu instid0(SALU_CYCLE_1)
	s_and_not1_b32 s0, s18, exec_lo
	s_and_b32 s14, s22, exec_lo
	s_and_b32 s20, s23, exec_lo
	s_or_b32 s18, s0, s14
	s_and_not1_b32 s14, s17, exec_lo
	s_and_b32 s17, s21, exec_lo
	s_and_b32 s0, s24, exec_lo
	;; [unrolled: 1-line block ×3, first 2 shown]
	s_or_b32 s17, s14, s17
.LBB448_842:
	s_or_b32 exec_lo, exec_lo, s19
	s_delay_alu instid0(SALU_CYCLE_1)
	s_and_not1_b32 s13, s13, exec_lo
	s_and_b32 s14, s18, exec_lo
	s_and_b32 s0, s0, exec_lo
	s_or_b32 s13, s13, s14
	s_and_not1_b32 s14, s15, exec_lo
	s_and_b32 s15, s17, exec_lo
	s_and_b32 s18, s20, exec_lo
	;; [unrolled: 1-line block ×3, first 2 shown]
	s_or_b32 s15, s14, s15
.LBB448_843:
	s_or_b32 exec_lo, exec_lo, s16
	s_mov_b32 s1, 0
	s_and_saveexec_b32 s14, s15
	s_cbranch_execnz .LBB448_855
; %bb.844:
	s_or_b32 exec_lo, exec_lo, s14
	s_and_saveexec_b32 s14, s17
	s_delay_alu instid0(SALU_CYCLE_1)
	s_xor_b32 s14, exec_lo, s14
	s_cbranch_execz .LBB448_846
.LBB448_845:
	global_load_u8 v2, v[0:1], off
	s_mov_b32 s15, 0
	s_or_b32 s0, s0, exec_lo
	s_waitcnt vmcnt(1)
	v_mov_b32_e32 v5, s15
	s_waitcnt vmcnt(0)
	v_cmp_ne_u16_e32 vcc_lo, 0, v2
	v_cndmask_b32_e64 v4, 0, 1, vcc_lo
.LBB448_846:
	s_or_b32 exec_lo, exec_lo, s14
	s_and_saveexec_b32 s14, s18
	s_cbranch_execz .LBB448_894
; %bb.847:
	v_cmp_gt_i16_e32 vcc_lo, 5, v11
	s_cbranch_vccnz .LBB448_852
; %bb.848:
	v_cmp_gt_i16_e32 vcc_lo, 8, v11
	s_cbranch_vccnz .LBB448_853
	;; [unrolled: 3-line block ×3, first 2 shown]
; %bb.850:
	v_cmp_lt_i16_e32 vcc_lo, 9, v11
	s_cbranch_vccz .LBB448_857
; %bb.851:
	global_load_b64 v[2:3], v[0:1], off
	s_mov_b32 s15, 0
	s_waitcnt vmcnt(0)
	v_trunc_f64_e32 v[2:3], v[2:3]
	s_delay_alu instid0(VALU_DEP_1) | instskip(NEXT) | instid1(VALU_DEP_1)
	v_ldexp_f64 v[4:5], v[2:3], 0xffffffe0
	v_floor_f64_e32 v[4:5], v[4:5]
	s_delay_alu instid0(VALU_DEP_1) | instskip(SKIP_1) | instid1(VALU_DEP_2)
	v_fma_f64 v[2:3], 0xc1f00000, v[4:5], v[2:3]
	v_cvt_i32_f64_e32 v5, v[4:5]
	v_cvt_u32_f64_e32 v4, v[2:3]
	s_branch .LBB448_858
.LBB448_852:
                                        ; implicit-def: $vgpr4_vgpr5
	s_branch .LBB448_875
.LBB448_853:
                                        ; implicit-def: $vgpr4_vgpr5
	s_branch .LBB448_864
.LBB448_854:
	s_mov_b32 s15, -1
                                        ; implicit-def: $vgpr4_vgpr5
	s_branch .LBB448_861
.LBB448_855:
	s_cbranch_execnz .LBB448_903
; %bb.856:
	s_mov_b32 s1, exec_lo
	s_and_not1_b32 s17, s17, exec_lo
                                        ; implicit-def: $vgpr4_vgpr5
	s_or_b32 exec_lo, exec_lo, s14
	s_and_saveexec_b32 s14, s17
	s_delay_alu instid0(SALU_CYCLE_1)
	s_xor_b32 s14, exec_lo, s14
	s_cbranch_execnz .LBB448_845
	s_branch .LBB448_846
.LBB448_857:
	s_mov_b32 s15, -1
                                        ; implicit-def: $vgpr4_vgpr5
.LBB448_858:
	s_delay_alu instid0(SALU_CYCLE_1)
	s_and_not1_b32 vcc_lo, exec_lo, s15
	s_cbranch_vccnz .LBB448_860
; %bb.859:
	global_load_b32 v2, v[0:1], off
	s_waitcnt vmcnt(0)
	v_trunc_f32_e32 v2, v2
	s_delay_alu instid0(VALU_DEP_1) | instskip(NEXT) | instid1(VALU_DEP_1)
	v_mul_f32_e64 v3, 0x2f800000, |v2|
	v_floor_f32_e32 v3, v3
	s_delay_alu instid0(VALU_DEP_1) | instskip(SKIP_2) | instid1(VALU_DEP_3)
	v_fma_f32 v4, 0xcf800000, v3, |v2|
	v_ashrrev_i32_e32 v2, 31, v2
	v_cvt_u32_f32_e32 v3, v3
	v_cvt_u32_f32_e32 v4, v4
	s_delay_alu instid0(VALU_DEP_2) | instskip(NEXT) | instid1(VALU_DEP_2)
	v_xor_b32_e32 v3, v3, v2
	v_xor_b32_e32 v4, v4, v2
	s_delay_alu instid0(VALU_DEP_1) | instskip(NEXT) | instid1(VALU_DEP_3)
	v_sub_co_u32 v4, vcc_lo, v4, v2
	v_sub_co_ci_u32_e32 v5, vcc_lo, v3, v2, vcc_lo
.LBB448_860:
	s_mov_b32 s15, 0
.LBB448_861:
	s_delay_alu instid0(SALU_CYCLE_1)
	s_and_not1_b32 vcc_lo, exec_lo, s15
	s_cbranch_vccnz .LBB448_863
; %bb.862:
	global_load_b32 v2, v[0:1], off
	s_waitcnt vmcnt(0)
	v_cvt_f32_f16_e32 v2, v2
	s_delay_alu instid0(VALU_DEP_1) | instskip(NEXT) | instid1(VALU_DEP_1)
	v_cvt_i32_f32_e32 v4, v2
	v_ashrrev_i32_e32 v5, 31, v4
.LBB448_863:
	s_cbranch_execnz .LBB448_874
.LBB448_864:
	v_cmp_gt_i16_e32 vcc_lo, 6, v11
	s_cbranch_vccnz .LBB448_867
; %bb.865:
	v_cmp_lt_i16_e32 vcc_lo, 6, v11
	s_cbranch_vccz .LBB448_868
; %bb.866:
	global_load_b64 v[2:3], v[0:1], off
	s_mov_b32 s15, 0
	s_waitcnt vmcnt(0)
	v_trunc_f64_e32 v[2:3], v[2:3]
	s_delay_alu instid0(VALU_DEP_1) | instskip(NEXT) | instid1(VALU_DEP_1)
	v_ldexp_f64 v[4:5], v[2:3], 0xffffffe0
	v_floor_f64_e32 v[4:5], v[4:5]
	s_delay_alu instid0(VALU_DEP_1) | instskip(SKIP_1) | instid1(VALU_DEP_2)
	v_fma_f64 v[2:3], 0xc1f00000, v[4:5], v[2:3]
	v_cvt_i32_f64_e32 v5, v[4:5]
	v_cvt_u32_f64_e32 v4, v[2:3]
	s_branch .LBB448_869
.LBB448_867:
	s_mov_b32 s15, -1
                                        ; implicit-def: $vgpr4_vgpr5
	s_branch .LBB448_872
.LBB448_868:
	s_mov_b32 s15, -1
                                        ; implicit-def: $vgpr4_vgpr5
.LBB448_869:
	s_delay_alu instid0(SALU_CYCLE_1)
	s_and_not1_b32 vcc_lo, exec_lo, s15
	s_cbranch_vccnz .LBB448_871
; %bb.870:
	global_load_b32 v2, v[0:1], off
	s_waitcnt vmcnt(0)
	v_trunc_f32_e32 v2, v2
	s_delay_alu instid0(VALU_DEP_1) | instskip(NEXT) | instid1(VALU_DEP_1)
	v_mul_f32_e64 v3, 0x2f800000, |v2|
	v_floor_f32_e32 v3, v3
	s_delay_alu instid0(VALU_DEP_1) | instskip(SKIP_2) | instid1(VALU_DEP_3)
	v_fma_f32 v4, 0xcf800000, v3, |v2|
	v_ashrrev_i32_e32 v2, 31, v2
	v_cvt_u32_f32_e32 v3, v3
	v_cvt_u32_f32_e32 v4, v4
	s_delay_alu instid0(VALU_DEP_2) | instskip(NEXT) | instid1(VALU_DEP_2)
	v_xor_b32_e32 v3, v3, v2
	v_xor_b32_e32 v4, v4, v2
	s_delay_alu instid0(VALU_DEP_1) | instskip(NEXT) | instid1(VALU_DEP_3)
	v_sub_co_u32 v4, vcc_lo, v4, v2
	v_sub_co_ci_u32_e32 v5, vcc_lo, v3, v2, vcc_lo
.LBB448_871:
	s_mov_b32 s15, 0
.LBB448_872:
	s_delay_alu instid0(SALU_CYCLE_1)
	s_and_not1_b32 vcc_lo, exec_lo, s15
	s_cbranch_vccnz .LBB448_874
; %bb.873:
	global_load_u16 v2, v[0:1], off
	s_waitcnt vmcnt(0)
	v_cvt_f32_f16_e32 v2, v2
	s_delay_alu instid0(VALU_DEP_1) | instskip(NEXT) | instid1(VALU_DEP_1)
	v_cvt_i32_f32_e32 v4, v2
	v_ashrrev_i32_e32 v5, 31, v4
.LBB448_874:
	s_cbranch_execnz .LBB448_893
.LBB448_875:
	v_cmp_gt_i16_e32 vcc_lo, 2, v11
	s_cbranch_vccnz .LBB448_879
; %bb.876:
	v_cmp_gt_i16_e32 vcc_lo, 3, v11
	s_cbranch_vccnz .LBB448_880
; %bb.877:
	v_cmp_lt_i16_e32 vcc_lo, 3, v11
	s_cbranch_vccz .LBB448_881
; %bb.878:
	global_load_b64 v[4:5], v[0:1], off
	s_mov_b32 s15, 0
	s_branch .LBB448_882
.LBB448_879:
                                        ; implicit-def: $vgpr4_vgpr5
	s_branch .LBB448_888
.LBB448_880:
	s_mov_b32 s15, -1
                                        ; implicit-def: $vgpr4_vgpr5
	s_branch .LBB448_885
.LBB448_881:
	s_mov_b32 s15, -1
                                        ; implicit-def: $vgpr4_vgpr5
.LBB448_882:
	s_delay_alu instid0(SALU_CYCLE_1)
	s_and_not1_b32 vcc_lo, exec_lo, s15
	s_cbranch_vccnz .LBB448_884
; %bb.883:
	global_load_b32 v4, v[0:1], off
	s_waitcnt vmcnt(0)
	v_ashrrev_i32_e32 v5, 31, v4
.LBB448_884:
	s_mov_b32 s15, 0
.LBB448_885:
	s_delay_alu instid0(SALU_CYCLE_1)
	s_and_not1_b32 vcc_lo, exec_lo, s15
	s_cbranch_vccnz .LBB448_887
; %bb.886:
	global_load_u16 v2, v[0:1], off
	s_waitcnt vmcnt(0)
	v_bfe_i32 v4, v2, 0, 16
	s_delay_alu instid0(VALU_DEP_1)
	v_ashrrev_i32_e32 v5, 31, v4
.LBB448_887:
	s_cbranch_execnz .LBB448_893
.LBB448_888:
	v_cmp_lt_i16_e32 vcc_lo, 0, v11
	s_mov_b32 s15, 0
	s_cbranch_vccz .LBB448_890
; %bb.889:
	global_load_i8 v2, v[0:1], off
	s_waitcnt vmcnt(0)
	v_bfe_i32 v4, v2, 0, 16
	s_delay_alu instid0(VALU_DEP_1)
	v_ashrrev_i32_e32 v5, 31, v4
	s_branch .LBB448_891
.LBB448_890:
	s_mov_b32 s15, -1
                                        ; implicit-def: $vgpr4_vgpr5
.LBB448_891:
	s_delay_alu instid0(SALU_CYCLE_1)
	s_and_not1_b32 vcc_lo, exec_lo, s15
	s_cbranch_vccnz .LBB448_893
; %bb.892:
	global_load_u8 v0, v[0:1], off
	s_mov_b32 s15, 0
	s_waitcnt vmcnt(0)
	v_dual_mov_b32 v5, s15 :: v_dual_and_b32 v4, 0xffff, v0
.LBB448_893:
	s_or_b32 s0, s0, exec_lo
.LBB448_894:
	s_or_b32 exec_lo, exec_lo, s14
	s_mov_b32 s16, 0
	s_mov_b32 s15, 0
                                        ; implicit-def: $vgpr6
                                        ; implicit-def: $vgpr2_vgpr3
                                        ; implicit-def: $vgpr0_vgpr1
	s_and_saveexec_b32 s14, s0
	s_cbranch_execz .LBB448_974
; %bb.895:
	s_waitcnt vmcnt(0)
	v_mul_lo_u32 v2, v10, s8
	s_delay_alu instid0(VALU_DEP_2) | instskip(SKIP_1) | instid1(VALU_DEP_1)
	v_cmp_gt_i64_e32 vcc_lo, s[10:11], v[4:5]
	v_and_b32_e64 v6, 0xff, s2
	v_cmp_gt_i16_e64 s0, 11, v6
	s_delay_alu instid0(VALU_DEP_4) | instskip(SKIP_3) | instid1(VALU_DEP_4)
	v_ashrrev_i32_e32 v3, 31, v2
	v_cndmask_b32_e32 v1, s11, v5, vcc_lo
	v_cndmask_b32_e32 v0, s10, v4, vcc_lo
	v_add_co_u32 v2, vcc_lo, s4, v2
	v_add_co_ci_u32_e32 v3, vcc_lo, s5, v3, vcc_lo
	s_and_b32 vcc_lo, exec_lo, s0
	s_cbranch_vccnz .LBB448_902
; %bb.896:
	v_cmp_lt_i16_e32 vcc_lo, 25, v6
	s_mov_b32 s15, -1
	s_mov_b32 s0, s13
	s_cbranch_vccz .LBB448_932
; %bb.897:
	v_cmp_lt_i16_e32 vcc_lo, 28, v6
	s_mov_b32 s0, s13
	s_cbranch_vccz .LBB448_916
; %bb.898:
	v_cmp_lt_i16_e32 vcc_lo, 43, v6
	;; [unrolled: 4-line block ×3, first 2 shown]
	s_mov_b32 s0, s13
	s_cbranch_vccz .LBB448_906
; %bb.900:
	v_cmp_eq_u16_e32 vcc_lo, 46, v6
	s_mov_b32 s0, -1
	s_cbranch_vccz .LBB448_905
; %bb.901:
	v_xor_b32_e32 v4, v0, v1
	v_cls_i32_e32 v5, v1
	s_mov_b32 s0, 0
	s_mov_b32 s15, 0
	s_delay_alu instid0(VALU_DEP_2) | instskip(NEXT) | instid1(VALU_DEP_2)
	v_ashrrev_i32_e32 v4, 31, v4
	v_add_nc_u32_e32 v5, -1, v5
	s_delay_alu instid0(VALU_DEP_2) | instskip(NEXT) | instid1(VALU_DEP_1)
	v_add_nc_u32_e32 v4, 32, v4
	v_min_u32_e32 v7, v5, v4
	s_delay_alu instid0(VALU_DEP_1) | instskip(NEXT) | instid1(VALU_DEP_1)
	v_lshlrev_b64 v[4:5], v7, v[0:1]
	v_min_u32_e32 v4, 1, v4
	s_delay_alu instid0(VALU_DEP_1) | instskip(SKIP_1) | instid1(VALU_DEP_2)
	v_or_b32_e32 v4, v5, v4
	v_sub_nc_u32_e32 v5, 32, v7
	v_cvt_f32_i32_e32 v4, v4
	s_delay_alu instid0(VALU_DEP_1) | instskip(NEXT) | instid1(VALU_DEP_1)
	v_ldexp_f32 v4, v4, v5
	v_bfe_u32 v5, v4, 16, 1
	s_delay_alu instid0(VALU_DEP_1) | instskip(NEXT) | instid1(VALU_DEP_1)
	v_add3_u32 v4, v4, v5, 0x7fff
	v_lshrrev_b32_e32 v4, 16, v4
	global_store_b32 v[2:3], v4, off
	s_branch .LBB448_906
.LBB448_902:
	s_mov_b32 s15, -1
	s_mov_b32 s0, s13
	s_branch .LBB448_973
.LBB448_903:
	s_trap 2
	s_sendmsg_rtn_b32 s0, sendmsg(MSG_RTN_GET_DOORBELL)
	s_mov_b32 ttmp2, m0
	s_waitcnt lgkmcnt(0)
	s_and_b32 s0, s0, 0x3ff
	s_delay_alu instid0(SALU_CYCLE_1) | instskip(NEXT) | instid1(SALU_CYCLE_1)
	s_bitset1_b32 s0, 10
	s_mov_b32 m0, s0
	s_sendmsg sendmsg(MSG_INTERRUPT)
	s_mov_b32 m0, ttmp2
.LBB448_904:                            ; =>This Inner Loop Header: Depth=1
	s_sethalt 5
	s_branch .LBB448_904
.LBB448_905:
	s_mov_b32 s15, 0
.LBB448_906:
	s_delay_alu instid0(SALU_CYCLE_1)
	s_and_b32 vcc_lo, exec_lo, s15
	s_cbranch_vccz .LBB448_911
; %bb.907:
	v_cmp_eq_u16_e32 vcc_lo, 44, v6
	s_mov_b32 s0, -1
	s_cbranch_vccz .LBB448_911
; %bb.908:
	v_xor_b32_e32 v4, v0, v1
	v_cls_i32_e32 v5, v1
	s_mov_b32 s15, exec_lo
	s_delay_alu instid0(VALU_DEP_2) | instskip(NEXT) | instid1(VALU_DEP_2)
	v_ashrrev_i32_e32 v4, 31, v4
	v_add_nc_u32_e32 v5, -1, v5
	s_delay_alu instid0(VALU_DEP_2) | instskip(NEXT) | instid1(VALU_DEP_1)
	v_add_nc_u32_e32 v4, 32, v4
	v_min_u32_e32 v7, v5, v4
	s_delay_alu instid0(VALU_DEP_1) | instskip(NEXT) | instid1(VALU_DEP_1)
	v_lshlrev_b64 v[4:5], v7, v[0:1]
	v_min_u32_e32 v4, 1, v4
	s_delay_alu instid0(VALU_DEP_1) | instskip(SKIP_1) | instid1(VALU_DEP_2)
	v_or_b32_e32 v4, v5, v4
	v_sub_nc_u32_e32 v5, 32, v7
	v_cvt_f32_i32_e32 v4, v4
	s_delay_alu instid0(VALU_DEP_1) | instskip(SKIP_1) | instid1(VALU_DEP_2)
	v_ldexp_f32 v4, v4, v5
	v_mov_b32_e32 v5, 0xff
	v_bfe_u32 v7, v4, 23, 8
	s_delay_alu instid0(VALU_DEP_1)
	v_cmpx_ne_u32_e32 0xff, v7
; %bb.909:
	v_and_b32_e32 v5, 0x400000, v4
	v_and_or_b32 v7, 0x3fffff, v4, v7
	v_lshrrev_b32_e32 v4, 23, v4
	s_delay_alu instid0(VALU_DEP_3) | instskip(NEXT) | instid1(VALU_DEP_3)
	v_cmp_ne_u32_e32 vcc_lo, 0, v5
	v_cmp_ne_u32_e64 s0, 0, v7
	s_delay_alu instid0(VALU_DEP_1) | instskip(NEXT) | instid1(SALU_CYCLE_1)
	s_and_b32 s0, vcc_lo, s0
	v_cndmask_b32_e64 v5, 0, 1, s0
	s_delay_alu instid0(VALU_DEP_1)
	v_add_nc_u32_e32 v5, v4, v5
; %bb.910:
	s_or_b32 exec_lo, exec_lo, s15
	s_mov_b32 s0, 0
	global_store_b8 v[2:3], v5, off
.LBB448_911:
	s_mov_b32 s15, 0
.LBB448_912:
	s_delay_alu instid0(SALU_CYCLE_1)
	s_and_b32 vcc_lo, exec_lo, s15
	s_cbranch_vccz .LBB448_915
; %bb.913:
	v_cmp_eq_u16_e32 vcc_lo, 29, v6
	s_mov_b32 s0, -1
	s_cbranch_vccz .LBB448_915
; %bb.914:
	s_mov_b32 s0, 0
	global_store_b64 v[2:3], v[0:1], off
.LBB448_915:
	s_mov_b32 s15, 0
.LBB448_916:
	s_delay_alu instid0(SALU_CYCLE_1)
	s_and_b32 vcc_lo, exec_lo, s15
	s_cbranch_vccz .LBB448_931
; %bb.917:
	v_cmp_gt_i16_e32 vcc_lo, 27, v6
	s_mov_b32 s15, -1
	s_cbranch_vccnz .LBB448_923
; %bb.918:
	v_cmp_lt_i16_e32 vcc_lo, 27, v6
	s_cbranch_vccz .LBB448_920
; %bb.919:
	s_mov_b32 s15, 0
	global_store_b32 v[2:3], v0, off
.LBB448_920:
	s_and_not1_b32 vcc_lo, exec_lo, s15
	s_cbranch_vccnz .LBB448_922
; %bb.921:
	global_store_b16 v[2:3], v0, off
.LBB448_922:
	s_mov_b32 s15, 0
.LBB448_923:
	s_delay_alu instid0(SALU_CYCLE_1)
	s_and_not1_b32 vcc_lo, exec_lo, s15
	s_cbranch_vccnz .LBB448_931
; %bb.924:
	v_xor_b32_e32 v4, v0, v1
	v_cls_i32_e32 v5, v1
	s_mov_b32 s15, exec_lo
	s_delay_alu instid0(VALU_DEP_2) | instskip(NEXT) | instid1(VALU_DEP_2)
	v_ashrrev_i32_e32 v4, 31, v4
	v_add_nc_u32_e32 v5, -1, v5
	s_delay_alu instid0(VALU_DEP_2) | instskip(NEXT) | instid1(VALU_DEP_1)
	v_add_nc_u32_e32 v4, 32, v4
	v_min_u32_e32 v7, v5, v4
	s_delay_alu instid0(VALU_DEP_1) | instskip(NEXT) | instid1(VALU_DEP_1)
	v_lshlrev_b64 v[4:5], v7, v[0:1]
	v_min_u32_e32 v4, 1, v4
	s_delay_alu instid0(VALU_DEP_1) | instskip(SKIP_2) | instid1(VALU_DEP_3)
	v_or_b32_e32 v4, v5, v4
	v_sub_nc_u32_e32 v5, 32, v7
	v_mov_b32_e32 v7, 0x80
	v_cvt_f32_i32_e32 v4, v4
	s_delay_alu instid0(VALU_DEP_1) | instskip(NEXT) | instid1(VALU_DEP_1)
	v_ldexp_f32 v4, v4, v5
	v_and_b32_e32 v5, 0x7fffffff, v4
	s_delay_alu instid0(VALU_DEP_1)
	v_cmpx_gt_u32_e32 0x43800000, v5
	s_cbranch_execz .LBB448_930
; %bb.925:
	v_cmp_lt_u32_e32 vcc_lo, 0x3bffffff, v5
                                        ; implicit-def: $vgpr5
	s_and_saveexec_b32 s17, vcc_lo
	s_delay_alu instid0(SALU_CYCLE_1)
	s_xor_b32 s17, exec_lo, s17
	s_cbranch_execz .LBB448_1160
; %bb.926:
	v_bfe_u32 v5, v4, 20, 1
	s_mov_b32 s16, exec_lo
	s_delay_alu instid0(VALU_DEP_1) | instskip(NEXT) | instid1(VALU_DEP_1)
	v_add3_u32 v5, v4, v5, 0x487ffff
	v_lshrrev_b32_e32 v5, 20, v5
	s_or_saveexec_b32 s17, s17
                                        ; implicit-def: $sgpr18
	s_delay_alu instid0(SALU_CYCLE_1)
	s_xor_b32 exec_lo, exec_lo, s17
	s_cbranch_execnz .LBB448_1161
.LBB448_927:
	s_or_b32 exec_lo, exec_lo, s17
	v_mov_b32_e32 v7, s18
	s_and_saveexec_b32 s17, s16
.LBB448_928:
	v_lshrrev_b32_e32 v4, 24, v4
	s_delay_alu instid0(VALU_DEP_1)
	v_and_or_b32 v7, 0x80, v4, v5
.LBB448_929:
	s_or_b32 exec_lo, exec_lo, s17
.LBB448_930:
	s_delay_alu instid0(SALU_CYCLE_1)
	s_or_b32 exec_lo, exec_lo, s15
	global_store_b8 v[2:3], v7, off
.LBB448_931:
	s_mov_b32 s15, 0
.LBB448_932:
	s_delay_alu instid0(SALU_CYCLE_1)
	s_and_b32 vcc_lo, exec_lo, s15
	s_mov_b32 s15, 0
	s_cbranch_vccz .LBB448_972
; %bb.933:
	v_cmp_lt_i16_e32 vcc_lo, 22, v6
	s_mov_b32 s16, -1
	s_cbranch_vccz .LBB448_965
; %bb.934:
	v_cmp_gt_i16_e32 vcc_lo, 24, v6
	s_cbranch_vccnz .LBB448_954
; %bb.935:
	v_cmp_lt_i16_e32 vcc_lo, 24, v6
	s_cbranch_vccz .LBB448_943
; %bb.936:
	v_xor_b32_e32 v4, v0, v1
	v_cls_i32_e32 v5, v1
	s_mov_b32 s16, exec_lo
	s_delay_alu instid0(VALU_DEP_2) | instskip(NEXT) | instid1(VALU_DEP_2)
	v_ashrrev_i32_e32 v4, 31, v4
	v_add_nc_u32_e32 v5, -1, v5
	s_delay_alu instid0(VALU_DEP_2) | instskip(NEXT) | instid1(VALU_DEP_1)
	v_add_nc_u32_e32 v4, 32, v4
	v_min_u32_e32 v7, v5, v4
	s_delay_alu instid0(VALU_DEP_1) | instskip(NEXT) | instid1(VALU_DEP_1)
	v_lshlrev_b64 v[4:5], v7, v[0:1]
	v_min_u32_e32 v4, 1, v4
	s_delay_alu instid0(VALU_DEP_1) | instskip(SKIP_2) | instid1(VALU_DEP_3)
	v_or_b32_e32 v4, v5, v4
	v_sub_nc_u32_e32 v5, 32, v7
	v_mov_b32_e32 v7, 0x80
	v_cvt_f32_i32_e32 v4, v4
	s_delay_alu instid0(VALU_DEP_1) | instskip(NEXT) | instid1(VALU_DEP_1)
	v_ldexp_f32 v4, v4, v5
	v_and_b32_e32 v5, 0x7fffffff, v4
	s_delay_alu instid0(VALU_DEP_1)
	v_cmpx_gt_u32_e32 0x47800000, v5
	s_cbranch_execz .LBB448_942
; %bb.937:
	v_cmp_lt_u32_e32 vcc_lo, 0x37ffffff, v5
	s_mov_b32 s17, 0
                                        ; implicit-def: $vgpr5
	s_and_saveexec_b32 s18, vcc_lo
	s_delay_alu instid0(SALU_CYCLE_1)
	s_xor_b32 s18, exec_lo, s18
	s_cbranch_execz .LBB448_1204
; %bb.938:
	v_bfe_u32 v5, v4, 21, 1
	s_mov_b32 s17, exec_lo
	s_delay_alu instid0(VALU_DEP_1) | instskip(NEXT) | instid1(VALU_DEP_1)
	v_add3_u32 v5, v4, v5, 0x88fffff
	v_lshrrev_b32_e32 v5, 21, v5
	s_or_saveexec_b32 s18, s18
                                        ; implicit-def: $sgpr19
	s_delay_alu instid0(SALU_CYCLE_1)
	s_xor_b32 exec_lo, exec_lo, s18
	s_cbranch_execnz .LBB448_1205
.LBB448_939:
	s_or_b32 exec_lo, exec_lo, s18
	v_mov_b32_e32 v7, s19
	s_and_saveexec_b32 s18, s17
.LBB448_940:
	v_lshrrev_b32_e32 v4, 24, v4
	s_delay_alu instid0(VALU_DEP_1)
	v_and_or_b32 v7, 0x80, v4, v5
.LBB448_941:
	s_or_b32 exec_lo, exec_lo, s18
.LBB448_942:
	s_delay_alu instid0(SALU_CYCLE_1)
	s_or_b32 exec_lo, exec_lo, s16
	s_mov_b32 s16, 0
	global_store_b8 v[2:3], v7, off
.LBB448_943:
	s_and_b32 vcc_lo, exec_lo, s16
	s_cbranch_vccz .LBB448_953
; %bb.944:
	v_xor_b32_e32 v4, v0, v1
	v_cls_i32_e32 v5, v1
	s_mov_b32 s16, exec_lo
	s_delay_alu instid0(VALU_DEP_2) | instskip(NEXT) | instid1(VALU_DEP_2)
	v_ashrrev_i32_e32 v4, 31, v4
	v_add_nc_u32_e32 v5, -1, v5
	s_delay_alu instid0(VALU_DEP_2) | instskip(NEXT) | instid1(VALU_DEP_1)
	v_add_nc_u32_e32 v4, 32, v4
	v_min_u32_e32 v7, v5, v4
	s_delay_alu instid0(VALU_DEP_1) | instskip(NEXT) | instid1(VALU_DEP_1)
	v_lshlrev_b64 v[4:5], v7, v[0:1]
	v_min_u32_e32 v4, 1, v4
	s_delay_alu instid0(VALU_DEP_1) | instskip(SKIP_1) | instid1(VALU_DEP_2)
	v_or_b32_e32 v4, v5, v4
	v_sub_nc_u32_e32 v5, 32, v7
	v_cvt_f32_i32_e32 v4, v4
	s_delay_alu instid0(VALU_DEP_1) | instskip(NEXT) | instid1(VALU_DEP_1)
	v_ldexp_f32 v4, v4, v5
                                        ; implicit-def: $vgpr5
	v_and_b32_e32 v7, 0x7fffffff, v4
	s_delay_alu instid0(VALU_DEP_1)
	v_cmpx_gt_u32_e32 0x43f00000, v7
	s_xor_b32 s16, exec_lo, s16
	s_cbranch_execz .LBB448_950
; %bb.945:
	s_mov_b32 s17, exec_lo
                                        ; implicit-def: $vgpr5
	v_cmpx_lt_u32_e32 0x3c7fffff, v7
	s_xor_b32 s17, exec_lo, s17
; %bb.946:
	v_bfe_u32 v5, v4, 20, 1
	s_delay_alu instid0(VALU_DEP_1) | instskip(NEXT) | instid1(VALU_DEP_1)
	v_add3_u32 v5, v4, v5, 0x407ffff
	v_and_b32_e32 v7, 0xff00000, v5
	v_lshrrev_b32_e32 v5, 20, v5
	s_delay_alu instid0(VALU_DEP_2) | instskip(NEXT) | instid1(VALU_DEP_2)
	v_cmp_ne_u32_e32 vcc_lo, 0x7f00000, v7
	v_cndmask_b32_e32 v5, 0x7e, v5, vcc_lo
; %bb.947:
	s_and_not1_saveexec_b32 s17, s17
; %bb.948:
	v_add_f32_e64 v5, 0x46800000, |v4|
; %bb.949:
	s_or_b32 exec_lo, exec_lo, s17
                                        ; implicit-def: $vgpr7
.LBB448_950:
	s_and_not1_saveexec_b32 s16, s16
; %bb.951:
	v_mov_b32_e32 v5, 0x7f
	v_cmp_lt_u32_e32 vcc_lo, 0x7f800000, v7
	s_delay_alu instid0(VALU_DEP_2)
	v_cndmask_b32_e32 v5, 0x7e, v5, vcc_lo
; %bb.952:
	s_or_b32 exec_lo, exec_lo, s16
	v_lshrrev_b32_e32 v4, 24, v4
	s_delay_alu instid0(VALU_DEP_1)
	v_and_or_b32 v4, 0x80, v4, v5
	global_store_b8 v[2:3], v4, off
.LBB448_953:
	s_mov_b32 s16, 0
.LBB448_954:
	s_delay_alu instid0(SALU_CYCLE_1)
	s_and_not1_b32 vcc_lo, exec_lo, s16
	s_cbranch_vccnz .LBB448_964
; %bb.955:
	v_xor_b32_e32 v4, v0, v1
	v_cls_i32_e32 v5, v1
	s_mov_b32 s16, exec_lo
	s_delay_alu instid0(VALU_DEP_2) | instskip(NEXT) | instid1(VALU_DEP_2)
	v_ashrrev_i32_e32 v4, 31, v4
	v_add_nc_u32_e32 v5, -1, v5
	s_delay_alu instid0(VALU_DEP_2) | instskip(NEXT) | instid1(VALU_DEP_1)
	v_add_nc_u32_e32 v4, 32, v4
	v_min_u32_e32 v7, v5, v4
	s_delay_alu instid0(VALU_DEP_1) | instskip(NEXT) | instid1(VALU_DEP_1)
	v_lshlrev_b64 v[4:5], v7, v[0:1]
	v_min_u32_e32 v4, 1, v4
	s_delay_alu instid0(VALU_DEP_1) | instskip(SKIP_1) | instid1(VALU_DEP_2)
	v_or_b32_e32 v4, v5, v4
	v_sub_nc_u32_e32 v5, 32, v7
	v_cvt_f32_i32_e32 v4, v4
	s_delay_alu instid0(VALU_DEP_1) | instskip(NEXT) | instid1(VALU_DEP_1)
	v_ldexp_f32 v4, v4, v5
                                        ; implicit-def: $vgpr5
	v_and_b32_e32 v7, 0x7fffffff, v4
	s_delay_alu instid0(VALU_DEP_1)
	v_cmpx_gt_u32_e32 0x47800000, v7
	s_xor_b32 s16, exec_lo, s16
	s_cbranch_execz .LBB448_961
; %bb.956:
	s_mov_b32 s17, exec_lo
                                        ; implicit-def: $vgpr5
	v_cmpx_lt_u32_e32 0x387fffff, v7
	s_xor_b32 s17, exec_lo, s17
; %bb.957:
	v_bfe_u32 v5, v4, 21, 1
	s_delay_alu instid0(VALU_DEP_1) | instskip(NEXT) | instid1(VALU_DEP_1)
	v_add3_u32 v5, v4, v5, 0x80fffff
	v_lshrrev_b32_e32 v5, 21, v5
; %bb.958:
	s_and_not1_saveexec_b32 s17, s17
; %bb.959:
	v_add_f32_e64 v5, 0x43000000, |v4|
; %bb.960:
	s_or_b32 exec_lo, exec_lo, s17
                                        ; implicit-def: $vgpr7
.LBB448_961:
	s_and_not1_saveexec_b32 s16, s16
; %bb.962:
	v_mov_b32_e32 v5, 0x7f
	v_cmp_lt_u32_e32 vcc_lo, 0x7f800000, v7
	s_delay_alu instid0(VALU_DEP_2)
	v_cndmask_b32_e32 v5, 0x7c, v5, vcc_lo
; %bb.963:
	s_or_b32 exec_lo, exec_lo, s16
	v_lshrrev_b32_e32 v4, 24, v4
	s_delay_alu instid0(VALU_DEP_1)
	v_and_or_b32 v4, 0x80, v4, v5
	global_store_b8 v[2:3], v4, off
.LBB448_964:
	s_mov_b32 s16, 0
.LBB448_965:
	s_delay_alu instid0(SALU_CYCLE_1)
	s_and_not1_b32 vcc_lo, exec_lo, s16
	s_mov_b32 s16, 0
	s_cbranch_vccnz .LBB448_973
; %bb.966:
	v_cmp_lt_i16_e32 vcc_lo, 14, v6
	s_mov_b32 s16, -1
	s_cbranch_vccz .LBB448_970
; %bb.967:
	v_cmp_eq_u16_e32 vcc_lo, 15, v6
	s_mov_b32 s0, -1
	s_cbranch_vccz .LBB448_969
; %bb.968:
	v_xor_b32_e32 v4, v0, v1
	v_cls_i32_e32 v5, v1
	s_mov_b32 s0, 0
	s_delay_alu instid0(VALU_DEP_2) | instskip(NEXT) | instid1(VALU_DEP_2)
	v_ashrrev_i32_e32 v4, 31, v4
	v_add_nc_u32_e32 v5, -1, v5
	s_delay_alu instid0(VALU_DEP_2) | instskip(NEXT) | instid1(VALU_DEP_1)
	v_add_nc_u32_e32 v4, 32, v4
	v_min_u32_e32 v7, v5, v4
	s_delay_alu instid0(VALU_DEP_1) | instskip(NEXT) | instid1(VALU_DEP_1)
	v_lshlrev_b64 v[4:5], v7, v[0:1]
	v_min_u32_e32 v4, 1, v4
	s_delay_alu instid0(VALU_DEP_1) | instskip(SKIP_1) | instid1(VALU_DEP_2)
	v_or_b32_e32 v4, v5, v4
	v_sub_nc_u32_e32 v5, 32, v7
	v_cvt_f32_i32_e32 v4, v4
	s_delay_alu instid0(VALU_DEP_1) | instskip(NEXT) | instid1(VALU_DEP_1)
	v_ldexp_f32 v4, v4, v5
	v_bfe_u32 v5, v4, 16, 1
	s_delay_alu instid0(VALU_DEP_1)
	v_add3_u32 v4, v4, v5, 0x7fff
	global_store_d16_hi_b16 v[2:3], v4, off
.LBB448_969:
	s_mov_b32 s16, 0
.LBB448_970:
	s_delay_alu instid0(SALU_CYCLE_1)
	s_and_b32 vcc_lo, exec_lo, s16
	s_mov_b32 s16, 0
	s_cbranch_vccz .LBB448_973
; %bb.971:
	v_cmp_ne_u16_e32 vcc_lo, 11, v6
	s_and_not1_b32 s0, s0, exec_lo
	s_mov_b32 s16, -1
	s_and_b32 s17, vcc_lo, exec_lo
	s_delay_alu instid0(SALU_CYCLE_1)
	s_or_b32 s0, s0, s17
	s_branch .LBB448_973
.LBB448_972:
	s_mov_b32 s16, 0
.LBB448_973:
	s_and_not1_b32 s13, s13, exec_lo
	s_and_b32 s0, s0, exec_lo
	s_and_b32 s15, s15, exec_lo
	;; [unrolled: 1-line block ×3, first 2 shown]
	s_or_b32 s13, s13, s0
.LBB448_974:
	s_or_b32 exec_lo, exec_lo, s14
	s_and_saveexec_b32 s0, s13
	s_cbranch_execnz .LBB448_1036
; %bb.975:
	s_or_b32 exec_lo, exec_lo, s0
	s_and_saveexec_b32 s0, s16
	s_delay_alu instid0(SALU_CYCLE_1)
	s_xor_b32 s0, exec_lo, s0
	s_cbranch_execz .LBB448_977
.LBB448_976:
	v_cmp_ne_u64_e32 vcc_lo, 0, v[0:1]
	s_waitcnt vmcnt(0)
	v_cndmask_b32_e64 v4, 0, 1, vcc_lo
	global_store_b8 v[2:3], v4, off
.LBB448_977:
	s_or_b32 exec_lo, exec_lo, s0
	s_and_saveexec_b32 s0, s15
	s_delay_alu instid0(SALU_CYCLE_1)
	s_xor_b32 s0, exec_lo, s0
	s_cbranch_execz .LBB448_1015
; %bb.978:
	v_cmp_gt_i16_e32 vcc_lo, 5, v6
	s_mov_b32 s13, -1
	s_cbranch_vccnz .LBB448_999
; %bb.979:
	v_cmp_gt_i16_e32 vcc_lo, 8, v6
	s_cbranch_vccnz .LBB448_989
; %bb.980:
	v_cmp_gt_i16_e32 vcc_lo, 9, v6
	s_cbranch_vccnz .LBB448_986
; %bb.981:
	v_cmp_lt_i16_e32 vcc_lo, 9, v6
	s_cbranch_vccz .LBB448_983
; %bb.982:
	s_waitcnt vmcnt(0)
	v_cvt_f64_i32_e32 v[4:5], v1
	v_cvt_f64_u32_e32 v[7:8], v0
	v_mov_b32_e32 v9, 0
	s_mov_b32 s13, 0
	s_delay_alu instid0(VALU_DEP_1) | instskip(NEXT) | instid1(VALU_DEP_4)
	v_mov_b32_e32 v10, v9
	v_ldexp_f64 v[4:5], v[4:5], 32
	s_delay_alu instid0(VALU_DEP_1)
	v_add_f64 v[7:8], v[4:5], v[7:8]
	global_store_b128 v[2:3], v[7:10], off
.LBB448_983:
	s_and_not1_b32 vcc_lo, exec_lo, s13
	s_cbranch_vccnz .LBB448_985
; %bb.984:
	s_waitcnt vmcnt(0)
	v_xor_b32_e32 v4, v0, v1
	v_cls_i32_e32 v5, v1
	s_delay_alu instid0(VALU_DEP_2) | instskip(NEXT) | instid1(VALU_DEP_2)
	v_ashrrev_i32_e32 v4, 31, v4
	v_add_nc_u32_e32 v5, -1, v5
	s_delay_alu instid0(VALU_DEP_2) | instskip(NEXT) | instid1(VALU_DEP_1)
	v_add_nc_u32_e32 v4, 32, v4
	v_min_u32_e32 v7, v5, v4
	s_delay_alu instid0(VALU_DEP_1) | instskip(NEXT) | instid1(VALU_DEP_1)
	v_lshlrev_b64 v[4:5], v7, v[0:1]
	v_min_u32_e32 v4, 1, v4
	s_delay_alu instid0(VALU_DEP_1) | instskip(SKIP_1) | instid1(VALU_DEP_2)
	v_or_b32_e32 v4, v5, v4
	v_sub_nc_u32_e32 v5, 32, v7
	v_cvt_f32_i32_e32 v4, v4
	s_delay_alu instid0(VALU_DEP_1)
	v_ldexp_f32 v4, v4, v5
	v_mov_b32_e32 v5, 0
	global_store_b64 v[2:3], v[4:5], off
.LBB448_985:
	s_mov_b32 s13, 0
.LBB448_986:
	s_delay_alu instid0(SALU_CYCLE_1)
	s_and_not1_b32 vcc_lo, exec_lo, s13
	s_cbranch_vccnz .LBB448_988
; %bb.987:
	s_waitcnt vmcnt(0)
	v_xor_b32_e32 v4, v0, v1
	v_cls_i32_e32 v5, v1
	s_delay_alu instid0(VALU_DEP_2) | instskip(NEXT) | instid1(VALU_DEP_2)
	v_ashrrev_i32_e32 v4, 31, v4
	v_add_nc_u32_e32 v5, -1, v5
	s_delay_alu instid0(VALU_DEP_2) | instskip(NEXT) | instid1(VALU_DEP_1)
	v_add_nc_u32_e32 v4, 32, v4
	v_min_u32_e32 v7, v5, v4
	s_delay_alu instid0(VALU_DEP_1) | instskip(NEXT) | instid1(VALU_DEP_1)
	v_lshlrev_b64 v[4:5], v7, v[0:1]
	v_min_u32_e32 v4, 1, v4
	s_delay_alu instid0(VALU_DEP_1) | instskip(SKIP_1) | instid1(VALU_DEP_2)
	v_or_b32_e32 v4, v5, v4
	v_sub_nc_u32_e32 v5, 32, v7
	v_cvt_f32_i32_e32 v4, v4
	s_delay_alu instid0(VALU_DEP_1) | instskip(NEXT) | instid1(VALU_DEP_1)
	v_ldexp_f32 v4, v4, v5
	v_cvt_f16_f32_e32 v4, v4
	s_delay_alu instid0(VALU_DEP_1)
	v_and_b32_e32 v4, 0xffff, v4
	global_store_b32 v[2:3], v4, off
.LBB448_988:
	s_mov_b32 s13, 0
.LBB448_989:
	s_delay_alu instid0(SALU_CYCLE_1)
	s_and_not1_b32 vcc_lo, exec_lo, s13
	s_cbranch_vccnz .LBB448_998
; %bb.990:
	v_cmp_gt_i16_e32 vcc_lo, 6, v6
	s_mov_b32 s13, -1
	s_cbranch_vccnz .LBB448_996
; %bb.991:
	v_cmp_lt_i16_e32 vcc_lo, 6, v6
	s_cbranch_vccz .LBB448_993
; %bb.992:
	s_waitcnt vmcnt(0)
	v_cvt_f64_i32_e32 v[4:5], v1
	v_cvt_f64_u32_e32 v[7:8], v0
	s_mov_b32 s13, 0
	s_delay_alu instid0(VALU_DEP_2) | instskip(NEXT) | instid1(VALU_DEP_1)
	v_ldexp_f64 v[4:5], v[4:5], 32
	v_add_f64 v[4:5], v[4:5], v[7:8]
	global_store_b64 v[2:3], v[4:5], off
.LBB448_993:
	s_and_not1_b32 vcc_lo, exec_lo, s13
	s_cbranch_vccnz .LBB448_995
; %bb.994:
	s_waitcnt vmcnt(0)
	v_xor_b32_e32 v4, v0, v1
	v_cls_i32_e32 v5, v1
	s_delay_alu instid0(VALU_DEP_2) | instskip(NEXT) | instid1(VALU_DEP_2)
	v_ashrrev_i32_e32 v4, 31, v4
	v_add_nc_u32_e32 v5, -1, v5
	s_delay_alu instid0(VALU_DEP_2) | instskip(NEXT) | instid1(VALU_DEP_1)
	v_add_nc_u32_e32 v4, 32, v4
	v_min_u32_e32 v7, v5, v4
	s_delay_alu instid0(VALU_DEP_1) | instskip(NEXT) | instid1(VALU_DEP_1)
	v_lshlrev_b64 v[4:5], v7, v[0:1]
	v_min_u32_e32 v4, 1, v4
	s_delay_alu instid0(VALU_DEP_1) | instskip(SKIP_1) | instid1(VALU_DEP_2)
	v_or_b32_e32 v4, v5, v4
	v_sub_nc_u32_e32 v5, 32, v7
	v_cvt_f32_i32_e32 v4, v4
	s_delay_alu instid0(VALU_DEP_1)
	v_ldexp_f32 v4, v4, v5
	global_store_b32 v[2:3], v4, off
.LBB448_995:
	s_mov_b32 s13, 0
.LBB448_996:
	s_delay_alu instid0(SALU_CYCLE_1)
	s_and_not1_b32 vcc_lo, exec_lo, s13
	s_cbranch_vccnz .LBB448_998
; %bb.997:
	s_waitcnt vmcnt(0)
	v_xor_b32_e32 v4, v0, v1
	v_cls_i32_e32 v5, v1
	s_delay_alu instid0(VALU_DEP_2) | instskip(NEXT) | instid1(VALU_DEP_2)
	v_ashrrev_i32_e32 v4, 31, v4
	v_add_nc_u32_e32 v5, -1, v5
	s_delay_alu instid0(VALU_DEP_2) | instskip(NEXT) | instid1(VALU_DEP_1)
	v_add_nc_u32_e32 v4, 32, v4
	v_min_u32_e32 v7, v5, v4
	s_delay_alu instid0(VALU_DEP_1) | instskip(NEXT) | instid1(VALU_DEP_1)
	v_lshlrev_b64 v[4:5], v7, v[0:1]
	v_min_u32_e32 v4, 1, v4
	s_delay_alu instid0(VALU_DEP_1) | instskip(SKIP_1) | instid1(VALU_DEP_2)
	v_or_b32_e32 v4, v5, v4
	v_sub_nc_u32_e32 v5, 32, v7
	v_cvt_f32_i32_e32 v4, v4
	s_delay_alu instid0(VALU_DEP_1) | instskip(NEXT) | instid1(VALU_DEP_1)
	v_ldexp_f32 v4, v4, v5
	v_cvt_f16_f32_e32 v4, v4
	global_store_b16 v[2:3], v4, off
.LBB448_998:
	s_mov_b32 s13, 0
.LBB448_999:
	s_delay_alu instid0(SALU_CYCLE_1)
	s_and_not1_b32 vcc_lo, exec_lo, s13
	s_cbranch_vccnz .LBB448_1015
; %bb.1000:
	v_cmp_gt_i16_e32 vcc_lo, 2, v6
	s_mov_b32 s13, -1
	s_cbranch_vccnz .LBB448_1010
; %bb.1001:
	v_cmp_gt_i16_e32 vcc_lo, 3, v6
	s_cbranch_vccnz .LBB448_1007
; %bb.1002:
	v_cmp_lt_i16_e32 vcc_lo, 3, v6
	s_cbranch_vccz .LBB448_1004
; %bb.1003:
	s_mov_b32 s13, 0
	s_waitcnt vmcnt(0)
	global_store_b64 v[2:3], v[0:1], off
.LBB448_1004:
	s_and_not1_b32 vcc_lo, exec_lo, s13
	s_cbranch_vccnz .LBB448_1006
; %bb.1005:
	s_waitcnt vmcnt(0)
	global_store_b32 v[2:3], v0, off
.LBB448_1006:
	s_mov_b32 s13, 0
.LBB448_1007:
	s_delay_alu instid0(SALU_CYCLE_1)
	s_and_not1_b32 vcc_lo, exec_lo, s13
	s_cbranch_vccnz .LBB448_1009
; %bb.1008:
	s_waitcnt vmcnt(0)
	global_store_b16 v[2:3], v0, off
.LBB448_1009:
	s_mov_b32 s13, 0
.LBB448_1010:
	s_delay_alu instid0(SALU_CYCLE_1)
	s_and_not1_b32 vcc_lo, exec_lo, s13
	s_cbranch_vccnz .LBB448_1015
; %bb.1011:
	v_cmp_lt_i16_e32 vcc_lo, 0, v6
	s_mov_b32 s13, -1
	s_cbranch_vccz .LBB448_1013
; %bb.1012:
	s_mov_b32 s13, 0
	s_waitcnt vmcnt(0)
	global_store_b8 v[2:3], v0, off
.LBB448_1013:
	s_and_not1_b32 vcc_lo, exec_lo, s13
	s_cbranch_vccnz .LBB448_1015
; %bb.1014:
	s_waitcnt vmcnt(0)
	global_store_b8 v[2:3], v0, off
.LBB448_1015:
	s_or_b32 exec_lo, exec_lo, s0
	s_delay_alu instid0(SALU_CYCLE_1)
	s_and_b32 s13, s1, exec_lo
                                        ; implicit-def: $vgpr10
                                        ; implicit-def: $vgpr11
.LBB448_1016:
	s_or_saveexec_b32 s12, s12
	s_mov_b32 s0, 0
                                        ; implicit-def: $vgpr12
                                        ; implicit-def: $vgpr2_vgpr3
                                        ; implicit-def: $vgpr0_vgpr1
	s_xor_b32 exec_lo, exec_lo, s12
	s_cbranch_execz .LBB448_1964
; %bb.1017:
	s_waitcnt vmcnt(0)
	v_mul_lo_u32 v4, s9, v10
	v_cmp_gt_i16_e32 vcc_lo, 11, v11
	s_delay_alu instid0(VALU_DEP_2) | instskip(SKIP_1) | instid1(VALU_DEP_1)
	v_ashrrev_i32_e32 v0, 31, v4
	v_add_co_u32 v2, s0, s6, v4
	v_add_co_ci_u32_e64 v3, s0, s7, v0, s0
	s_cbranch_vccnz .LBB448_1024
; %bb.1018:
	v_cmp_lt_i16_e32 vcc_lo, 25, v11
	s_mov_b32 s14, 0
	s_cbranch_vccz .LBB448_1030
; %bb.1019:
	v_cmp_lt_i16_e32 vcc_lo, 28, v11
	s_cbranch_vccz .LBB448_1032
; %bb.1020:
	v_cmp_lt_i16_e32 vcc_lo, 43, v11
	;; [unrolled: 3-line block ×3, first 2 shown]
	s_cbranch_vccz .LBB448_1038
; %bb.1022:
	v_cmp_eq_u16_e32 vcc_lo, 46, v11
	s_mov_b32 s1, 0
	s_cbranch_vccz .LBB448_1078
; %bb.1023:
	global_load_b32 v0, v[2:3], off
	s_mov_b32 s0, -1
	s_waitcnt vmcnt(0)
	v_lshlrev_b32_e32 v0, 16, v0
	s_delay_alu instid0(VALU_DEP_1) | instskip(NEXT) | instid1(VALU_DEP_1)
	v_trunc_f32_e32 v0, v0
	v_mul_f32_e64 v1, 0x2f800000, |v0|
	v_ashrrev_i32_e32 v6, 31, v0
	s_delay_alu instid0(VALU_DEP_2) | instskip(NEXT) | instid1(VALU_DEP_1)
	v_floor_f32_e32 v1, v1
	v_fma_f32 v5, 0xcf800000, v1, |v0|
	v_cvt_u32_f32_e32 v1, v1
	s_delay_alu instid0(VALU_DEP_2) | instskip(NEXT) | instid1(VALU_DEP_2)
	v_cvt_u32_f32_e32 v0, v5
	v_xor_b32_e32 v1, v1, v6
	s_delay_alu instid0(VALU_DEP_2) | instskip(NEXT) | instid1(VALU_DEP_1)
	v_xor_b32_e32 v0, v0, v6
	v_sub_co_u32 v0, vcc_lo, v0, v6
	s_delay_alu instid0(VALU_DEP_3)
	v_sub_co_ci_u32_e32 v1, vcc_lo, v1, v6, vcc_lo
	s_branch .LBB448_1080
.LBB448_1024:
	s_mov_b32 s0, 0
	s_mov_b32 s3, s13
                                        ; implicit-def: $vgpr0_vgpr1
	s_cbranch_execz .LBB448_1138
; %bb.1025:
	v_cmp_gt_i16_e32 vcc_lo, 5, v11
	s_cbranch_vccnz .LBB448_1031
; %bb.1026:
	v_cmp_gt_i16_e32 vcc_lo, 8, v11
	s_cbranch_vccnz .LBB448_1033
; %bb.1027:
	v_cmp_gt_i16_e32 vcc_lo, 9, v11
	s_cbranch_vccnz .LBB448_1035
; %bb.1028:
	v_cmp_lt_i16_e32 vcc_lo, 9, v11
	s_cbranch_vccz .LBB448_1039
; %bb.1029:
	global_load_b64 v[0:1], v[2:3], off
	s_mov_b32 s0, 0
	s_waitcnt vmcnt(0)
	v_trunc_f64_e32 v[0:1], v[0:1]
	s_delay_alu instid0(VALU_DEP_1) | instskip(NEXT) | instid1(VALU_DEP_1)
	v_ldexp_f64 v[5:6], v[0:1], 0xffffffe0
	v_floor_f64_e32 v[5:6], v[5:6]
	s_delay_alu instid0(VALU_DEP_1) | instskip(SKIP_1) | instid1(VALU_DEP_2)
	v_fma_f64 v[7:8], 0xc1f00000, v[5:6], v[0:1]
	v_cvt_i32_f64_e32 v1, v[5:6]
	v_cvt_u32_f64_e32 v0, v[7:8]
	s_branch .LBB448_1040
.LBB448_1030:
	s_mov_b32 s0, 0
                                        ; implicit-def: $vgpr0_vgpr1
	s_cbranch_execnz .LBB448_1107
	s_branch .LBB448_1134
.LBB448_1031:
                                        ; implicit-def: $vgpr0_vgpr1
	s_branch .LBB448_1057
.LBB448_1032:
	s_mov_b32 s0, 0
                                        ; implicit-def: $vgpr0_vgpr1
	s_cbranch_execz .LBB448_1106
	s_branch .LBB448_1089
.LBB448_1033:
                                        ; implicit-def: $vgpr0_vgpr1
	s_branch .LBB448_1046
.LBB448_1034:
	s_mov_b32 s0, 0
                                        ; implicit-def: $vgpr0_vgpr1
	s_cbranch_execnz .LBB448_1085
	s_branch .LBB448_1088
.LBB448_1035:
	s_mov_b32 s0, -1
                                        ; implicit-def: $vgpr0_vgpr1
	s_branch .LBB448_1043
.LBB448_1036:
	s_cbranch_execnz .LBB448_1076
; %bb.1037:
	s_or_b32 s1, s1, exec_lo
	s_and_not1_b32 s16, s16, exec_lo
	s_or_b32 exec_lo, exec_lo, s0
	s_and_saveexec_b32 s0, s16
	s_delay_alu instid0(SALU_CYCLE_1)
	s_xor_b32 s0, exec_lo, s0
	s_cbranch_execnz .LBB448_976
	s_branch .LBB448_977
.LBB448_1038:
	s_mov_b32 s1, -1
	s_branch .LBB448_1079
.LBB448_1039:
	s_mov_b32 s0, -1
                                        ; implicit-def: $vgpr0_vgpr1
.LBB448_1040:
	s_delay_alu instid0(SALU_CYCLE_1)
	s_and_not1_b32 vcc_lo, exec_lo, s0
	s_cbranch_vccnz .LBB448_1042
; %bb.1041:
	global_load_b32 v0, v[2:3], off
	s_waitcnt vmcnt(0)
	v_trunc_f32_e32 v0, v0
	s_delay_alu instid0(VALU_DEP_1) | instskip(SKIP_1) | instid1(VALU_DEP_2)
	v_mul_f32_e64 v1, 0x2f800000, |v0|
	v_ashrrev_i32_e32 v6, 31, v0
	v_floor_f32_e32 v1, v1
	s_delay_alu instid0(VALU_DEP_1) | instskip(SKIP_1) | instid1(VALU_DEP_2)
	v_fma_f32 v5, 0xcf800000, v1, |v0|
	v_cvt_u32_f32_e32 v1, v1
	v_cvt_u32_f32_e32 v0, v5
	s_delay_alu instid0(VALU_DEP_2) | instskip(NEXT) | instid1(VALU_DEP_2)
	v_xor_b32_e32 v1, v1, v6
	v_xor_b32_e32 v0, v0, v6
	s_delay_alu instid0(VALU_DEP_1) | instskip(NEXT) | instid1(VALU_DEP_3)
	v_sub_co_u32 v0, vcc_lo, v0, v6
	v_sub_co_ci_u32_e32 v1, vcc_lo, v1, v6, vcc_lo
.LBB448_1042:
	s_mov_b32 s0, 0
.LBB448_1043:
	s_delay_alu instid0(SALU_CYCLE_1)
	s_and_not1_b32 vcc_lo, exec_lo, s0
	s_cbranch_vccnz .LBB448_1045
; %bb.1044:
	global_load_b32 v0, v[2:3], off
	s_waitcnt vmcnt(0)
	v_cvt_f32_f16_e32 v0, v0
	s_delay_alu instid0(VALU_DEP_1) | instskip(NEXT) | instid1(VALU_DEP_1)
	v_cvt_i32_f32_e32 v0, v0
	v_ashrrev_i32_e32 v1, 31, v0
.LBB448_1045:
	s_cbranch_execnz .LBB448_1056
.LBB448_1046:
	v_cmp_gt_i16_e32 vcc_lo, 6, v11
	s_cbranch_vccnz .LBB448_1049
; %bb.1047:
	v_cmp_lt_i16_e32 vcc_lo, 6, v11
	s_cbranch_vccz .LBB448_1050
; %bb.1048:
	global_load_b64 v[0:1], v[2:3], off
	s_mov_b32 s0, 0
	s_waitcnt vmcnt(0)
	v_trunc_f64_e32 v[0:1], v[0:1]
	s_delay_alu instid0(VALU_DEP_1) | instskip(NEXT) | instid1(VALU_DEP_1)
	v_ldexp_f64 v[5:6], v[0:1], 0xffffffe0
	v_floor_f64_e32 v[5:6], v[5:6]
	s_delay_alu instid0(VALU_DEP_1) | instskip(SKIP_1) | instid1(VALU_DEP_2)
	v_fma_f64 v[7:8], 0xc1f00000, v[5:6], v[0:1]
	v_cvt_i32_f64_e32 v1, v[5:6]
	v_cvt_u32_f64_e32 v0, v[7:8]
	s_branch .LBB448_1051
.LBB448_1049:
	s_mov_b32 s0, -1
                                        ; implicit-def: $vgpr0_vgpr1
	s_branch .LBB448_1054
.LBB448_1050:
	s_mov_b32 s0, -1
                                        ; implicit-def: $vgpr0_vgpr1
.LBB448_1051:
	s_delay_alu instid0(SALU_CYCLE_1)
	s_and_not1_b32 vcc_lo, exec_lo, s0
	s_cbranch_vccnz .LBB448_1053
; %bb.1052:
	global_load_b32 v0, v[2:3], off
	s_waitcnt vmcnt(0)
	v_trunc_f32_e32 v0, v0
	s_delay_alu instid0(VALU_DEP_1) | instskip(SKIP_1) | instid1(VALU_DEP_2)
	v_mul_f32_e64 v1, 0x2f800000, |v0|
	v_ashrrev_i32_e32 v6, 31, v0
	v_floor_f32_e32 v1, v1
	s_delay_alu instid0(VALU_DEP_1) | instskip(SKIP_1) | instid1(VALU_DEP_2)
	v_fma_f32 v5, 0xcf800000, v1, |v0|
	v_cvt_u32_f32_e32 v1, v1
	v_cvt_u32_f32_e32 v0, v5
	s_delay_alu instid0(VALU_DEP_2) | instskip(NEXT) | instid1(VALU_DEP_2)
	v_xor_b32_e32 v1, v1, v6
	v_xor_b32_e32 v0, v0, v6
	s_delay_alu instid0(VALU_DEP_1) | instskip(NEXT) | instid1(VALU_DEP_3)
	v_sub_co_u32 v0, vcc_lo, v0, v6
	v_sub_co_ci_u32_e32 v1, vcc_lo, v1, v6, vcc_lo
.LBB448_1053:
	s_mov_b32 s0, 0
.LBB448_1054:
	s_delay_alu instid0(SALU_CYCLE_1)
	s_and_not1_b32 vcc_lo, exec_lo, s0
	s_cbranch_vccnz .LBB448_1056
; %bb.1055:
	global_load_u16 v0, v[2:3], off
	s_waitcnt vmcnt(0)
	v_cvt_f32_f16_e32 v0, v0
	s_delay_alu instid0(VALU_DEP_1) | instskip(NEXT) | instid1(VALU_DEP_1)
	v_cvt_i32_f32_e32 v0, v0
	v_ashrrev_i32_e32 v1, 31, v0
.LBB448_1056:
	s_cbranch_execnz .LBB448_1075
.LBB448_1057:
	v_cmp_gt_i16_e32 vcc_lo, 2, v11
	s_cbranch_vccnz .LBB448_1061
; %bb.1058:
	v_cmp_gt_i16_e32 vcc_lo, 3, v11
	s_cbranch_vccnz .LBB448_1062
; %bb.1059:
	v_cmp_lt_i16_e32 vcc_lo, 3, v11
	s_cbranch_vccz .LBB448_1063
; %bb.1060:
	global_load_b64 v[0:1], v[2:3], off
	s_mov_b32 s0, 0
	s_branch .LBB448_1064
.LBB448_1061:
                                        ; implicit-def: $vgpr0_vgpr1
	s_branch .LBB448_1070
.LBB448_1062:
	s_mov_b32 s0, -1
                                        ; implicit-def: $vgpr0_vgpr1
	s_branch .LBB448_1067
.LBB448_1063:
	s_mov_b32 s0, -1
                                        ; implicit-def: $vgpr0_vgpr1
.LBB448_1064:
	s_delay_alu instid0(SALU_CYCLE_1)
	s_and_not1_b32 vcc_lo, exec_lo, s0
	s_cbranch_vccnz .LBB448_1066
; %bb.1065:
	global_load_b32 v0, v[2:3], off
	s_waitcnt vmcnt(0)
	v_ashrrev_i32_e32 v1, 31, v0
.LBB448_1066:
	s_mov_b32 s0, 0
.LBB448_1067:
	s_delay_alu instid0(SALU_CYCLE_1)
	s_and_not1_b32 vcc_lo, exec_lo, s0
	s_cbranch_vccnz .LBB448_1069
; %bb.1068:
	global_load_u16 v0, v[2:3], off
	s_waitcnt vmcnt(0)
	v_bfe_i32 v0, v0, 0, 16
	s_delay_alu instid0(VALU_DEP_1)
	v_ashrrev_i32_e32 v1, 31, v0
.LBB448_1069:
	s_cbranch_execnz .LBB448_1075
.LBB448_1070:
	v_cmp_lt_i16_e32 vcc_lo, 0, v11
	s_mov_b32 s0, 0
	s_cbranch_vccz .LBB448_1072
; %bb.1071:
	global_load_i8 v0, v[2:3], off
	s_waitcnt vmcnt(0)
	v_bfe_i32 v0, v0, 0, 16
	s_delay_alu instid0(VALU_DEP_1)
	v_ashrrev_i32_e32 v1, 31, v0
	s_branch .LBB448_1073
.LBB448_1072:
	s_mov_b32 s0, -1
                                        ; implicit-def: $vgpr0_vgpr1
.LBB448_1073:
	s_delay_alu instid0(SALU_CYCLE_1)
	s_and_not1_b32 vcc_lo, exec_lo, s0
	s_cbranch_vccnz .LBB448_1075
; %bb.1074:
	global_load_u8 v0, v[2:3], off
	s_mov_b32 s0, 0
	s_waitcnt vmcnt(0)
	v_dual_mov_b32 v1, s0 :: v_dual_and_b32 v0, 0xffff, v0
.LBB448_1075:
	s_branch .LBB448_1139
.LBB448_1076:
	s_trap 2
	s_sendmsg_rtn_b32 s0, sendmsg(MSG_RTN_GET_DOORBELL)
	s_mov_b32 ttmp2, m0
	s_waitcnt lgkmcnt(0)
	s_and_b32 s0, s0, 0x3ff
	s_delay_alu instid0(SALU_CYCLE_1) | instskip(NEXT) | instid1(SALU_CYCLE_1)
	s_bitset1_b32 s0, 10
	s_mov_b32 m0, s0
	s_sendmsg sendmsg(MSG_INTERRUPT)
	s_mov_b32 m0, ttmp2
.LBB448_1077:                           ; =>This Inner Loop Header: Depth=1
	s_sethalt 5
	s_branch .LBB448_1077
.LBB448_1078:
	s_mov_b32 s3, -1
.LBB448_1079:
	s_mov_b32 s0, 0
                                        ; implicit-def: $vgpr0_vgpr1
.LBB448_1080:
	s_and_b32 vcc_lo, exec_lo, s1
	s_cbranch_vccz .LBB448_1083
; %bb.1081:
	v_cmp_eq_u16_e32 vcc_lo, 44, v11
	s_cbranch_vccz .LBB448_1084
; %bb.1082:
	global_load_u8 v0, v[2:3], off
	s_mov_b32 s3, 0
	s_mov_b32 s0, -1
	s_waitcnt vmcnt(0)
	v_lshlrev_b32_e32 v1, 23, v0
	s_delay_alu instid0(VALU_DEP_1) | instskip(NEXT) | instid1(VALU_DEP_1)
	v_trunc_f32_e32 v1, v1
	v_mul_f32_e64 v5, 0x2f800000, |v1|
	s_delay_alu instid0(VALU_DEP_1) | instskip(NEXT) | instid1(VALU_DEP_1)
	v_floor_f32_e32 v5, v5
	v_fma_f32 v6, 0xcf800000, v5, |v1|
	v_ashrrev_i32_e32 v1, 31, v1
	v_cvt_u32_f32_e32 v5, v5
	s_delay_alu instid0(VALU_DEP_3) | instskip(NEXT) | instid1(VALU_DEP_2)
	v_cvt_u32_f32_e32 v6, v6
	v_xor_b32_e32 v5, v5, v1
	s_delay_alu instid0(VALU_DEP_2) | instskip(NEXT) | instid1(VALU_DEP_1)
	v_xor_b32_e32 v6, v6, v1
	v_sub_co_u32 v6, vcc_lo, v6, v1
	s_delay_alu instid0(VALU_DEP_3) | instskip(SKIP_1) | instid1(VALU_DEP_2)
	v_sub_co_ci_u32_e32 v1, vcc_lo, v5, v1, vcc_lo
	v_cmp_ne_u32_e32 vcc_lo, 0, v0
	v_dual_cndmask_b32 v0, 0, v6 :: v_dual_cndmask_b32 v1, 0, v1
.LBB448_1083:
	s_branch .LBB448_1088
.LBB448_1084:
	s_mov_b32 s3, -1
                                        ; implicit-def: $vgpr0_vgpr1
	s_branch .LBB448_1088
.LBB448_1085:
	v_cmp_eq_u16_e32 vcc_lo, 29, v11
	s_cbranch_vccz .LBB448_1087
; %bb.1086:
	global_load_b64 v[0:1], v[2:3], off
	s_mov_b32 s3, 0
	s_mov_b32 s0, -1
	s_branch .LBB448_1088
.LBB448_1087:
	s_mov_b32 s3, -1
                                        ; implicit-def: $vgpr0_vgpr1
.LBB448_1088:
	s_branch .LBB448_1106
.LBB448_1089:
	v_cmp_gt_i16_e32 vcc_lo, 27, v11
	s_cbranch_vccnz .LBB448_1092
; %bb.1090:
	v_cmp_lt_i16_e32 vcc_lo, 27, v11
	s_cbranch_vccz .LBB448_1093
; %bb.1091:
	global_load_b32 v0, v[2:3], off
	s_waitcnt vmcnt(1)
	v_mov_b32_e32 v1, 0
	s_mov_b32 s0, 0
	s_branch .LBB448_1094
.LBB448_1092:
	s_mov_b32 s0, -1
                                        ; implicit-def: $vgpr0_vgpr1
	s_branch .LBB448_1097
.LBB448_1093:
	s_mov_b32 s0, -1
                                        ; implicit-def: $vgpr0_vgpr1
.LBB448_1094:
	s_delay_alu instid0(SALU_CYCLE_1)
	s_and_not1_b32 vcc_lo, exec_lo, s0
	s_cbranch_vccnz .LBB448_1096
; %bb.1095:
	global_load_u16 v0, v[2:3], off
	s_mov_b32 s0, 0
	s_waitcnt vmcnt(0)
	v_dual_mov_b32 v1, s0 :: v_dual_and_b32 v0, 0xffff, v0
.LBB448_1096:
	s_mov_b32 s0, 0
.LBB448_1097:
	s_delay_alu instid0(SALU_CYCLE_1)
	s_and_not1_b32 vcc_lo, exec_lo, s0
	s_cbranch_vccnz .LBB448_1105
; %bb.1098:
	global_load_u8 v5, v[2:3], off
	s_mov_b32 s15, 0
	s_mov_b32 s16, exec_lo
                                        ; implicit-def: $sgpr0_sgpr1
	s_waitcnt vmcnt(0)
	v_cmpx_lt_i16_e32 0x7f, v5
	s_xor_b32 s16, exec_lo, s16
; %bb.1099:
	v_cmp_ne_u16_e32 vcc_lo, 0x80, v5
	s_mov_b64 s[0:1], 0
	s_and_b32 s15, vcc_lo, exec_lo
; %bb.1100:
	s_or_saveexec_b32 s16, s16
	v_dual_mov_b32 v0, s0 :: v_dual_mov_b32 v1, s1
	s_xor_b32 exec_lo, exec_lo, s16
; %bb.1101:
	v_cmp_ne_u16_e32 vcc_lo, 0, v5
	v_mov_b32_e32 v0, 0
	v_mov_b32_e32 v1, 0
	s_and_not1_b32 s0, s15, exec_lo
	s_and_b32 s1, vcc_lo, exec_lo
	s_delay_alu instid0(SALU_CYCLE_1)
	s_or_b32 s15, s0, s1
; %bb.1102:
	s_or_b32 exec_lo, exec_lo, s16
	s_and_saveexec_b32 s0, s15
	s_cbranch_execz .LBB448_1104
; %bb.1103:
	v_and_b32_e32 v0, 0xffff, v5
	v_lshlrev_b32_e32 v5, 24, v5
	s_delay_alu instid0(VALU_DEP_2) | instskip(NEXT) | instid1(VALU_DEP_2)
	v_and_b32_e32 v1, 7, v0
	v_and_b32_e32 v5, 0x80000000, v5
	s_delay_alu instid0(VALU_DEP_2) | instskip(NEXT) | instid1(VALU_DEP_1)
	v_clz_i32_u32_e32 v6, v1
	v_min_u32_e32 v6, 32, v6
	s_delay_alu instid0(VALU_DEP_1) | instskip(SKIP_1) | instid1(VALU_DEP_2)
	v_subrev_nc_u32_e32 v7, 28, v6
	v_sub_nc_u32_e32 v6, 29, v6
	v_lshlrev_b32_e32 v7, v7, v0
	v_bfe_u32 v0, v0, 3, 4
	s_delay_alu instid0(VALU_DEP_2) | instskip(NEXT) | instid1(VALU_DEP_2)
	v_and_b32_e32 v7, 7, v7
	v_cmp_eq_u32_e32 vcc_lo, 0, v0
	s_delay_alu instid0(VALU_DEP_2) | instskip(NEXT) | instid1(VALU_DEP_1)
	v_dual_cndmask_b32 v0, v0, v6 :: v_dual_cndmask_b32 v1, v1, v7
	v_lshl_add_u32 v0, v0, 23, 0x3b800000
	s_delay_alu instid0(VALU_DEP_2) | instskip(NEXT) | instid1(VALU_DEP_1)
	v_lshlrev_b32_e32 v1, 20, v1
	v_or3_b32 v0, v5, v0, v1
	s_delay_alu instid0(VALU_DEP_1) | instskip(NEXT) | instid1(VALU_DEP_1)
	v_trunc_f32_e32 v0, v0
	v_mul_f32_e64 v1, 0x2f800000, |v0|
	v_ashrrev_i32_e32 v6, 31, v0
	s_delay_alu instid0(VALU_DEP_2) | instskip(NEXT) | instid1(VALU_DEP_1)
	v_floor_f32_e32 v1, v1
	v_fma_f32 v5, 0xcf800000, v1, |v0|
	v_cvt_u32_f32_e32 v1, v1
	s_delay_alu instid0(VALU_DEP_2) | instskip(NEXT) | instid1(VALU_DEP_2)
	v_cvt_u32_f32_e32 v0, v5
	v_xor_b32_e32 v1, v1, v6
	s_delay_alu instid0(VALU_DEP_2) | instskip(NEXT) | instid1(VALU_DEP_1)
	v_xor_b32_e32 v0, v0, v6
	v_sub_co_u32 v0, vcc_lo, v0, v6
	s_delay_alu instid0(VALU_DEP_3)
	v_sub_co_ci_u32_e32 v1, vcc_lo, v1, v6, vcc_lo
.LBB448_1104:
	s_or_b32 exec_lo, exec_lo, s0
.LBB448_1105:
	s_mov_b32 s0, -1
.LBB448_1106:
	s_branch .LBB448_1134
.LBB448_1107:
	v_cmp_lt_i16_e32 vcc_lo, 22, v11
	s_cbranch_vccz .LBB448_1117
; %bb.1108:
	v_cmp_gt_i16_e32 vcc_lo, 24, v11
	s_cbranch_vccnz .LBB448_1118
; %bb.1109:
	v_cmp_lt_i16_e32 vcc_lo, 24, v11
	s_cbranch_vccz .LBB448_1119
; %bb.1110:
	global_load_u8 v5, v[2:3], off
	s_mov_b32 s15, exec_lo
                                        ; implicit-def: $sgpr0_sgpr1
	s_waitcnt vmcnt(0)
	v_cmpx_lt_i16_e32 0x7f, v5
	s_xor_b32 s15, exec_lo, s15
; %bb.1111:
	v_cmp_ne_u16_e32 vcc_lo, 0x80, v5
	s_mov_b64 s[0:1], 0
	s_and_b32 s14, vcc_lo, exec_lo
; %bb.1112:
	s_or_saveexec_b32 s15, s15
	v_dual_mov_b32 v0, s0 :: v_dual_mov_b32 v1, s1
	s_xor_b32 exec_lo, exec_lo, s15
; %bb.1113:
	v_cmp_ne_u16_e32 vcc_lo, 0, v5
	v_mov_b32_e32 v0, 0
	v_mov_b32_e32 v1, 0
	s_and_not1_b32 s0, s14, exec_lo
	s_and_b32 s1, vcc_lo, exec_lo
	s_delay_alu instid0(SALU_CYCLE_1)
	s_or_b32 s14, s0, s1
; %bb.1114:
	s_or_b32 exec_lo, exec_lo, s15
	s_and_saveexec_b32 s0, s14
	s_cbranch_execz .LBB448_1116
; %bb.1115:
	v_and_b32_e32 v0, 0xffff, v5
	v_lshlrev_b32_e32 v5, 24, v5
	s_delay_alu instid0(VALU_DEP_2) | instskip(NEXT) | instid1(VALU_DEP_2)
	v_and_b32_e32 v1, 3, v0
	v_and_b32_e32 v5, 0x80000000, v5
	s_delay_alu instid0(VALU_DEP_2) | instskip(NEXT) | instid1(VALU_DEP_1)
	v_clz_i32_u32_e32 v6, v1
	v_min_u32_e32 v6, 32, v6
	s_delay_alu instid0(VALU_DEP_1) | instskip(SKIP_1) | instid1(VALU_DEP_2)
	v_subrev_nc_u32_e32 v7, 29, v6
	v_sub_nc_u32_e32 v6, 30, v6
	v_lshlrev_b32_e32 v7, v7, v0
	v_bfe_u32 v0, v0, 2, 5
	s_delay_alu instid0(VALU_DEP_2) | instskip(NEXT) | instid1(VALU_DEP_2)
	v_and_b32_e32 v7, 3, v7
	v_cmp_eq_u32_e32 vcc_lo, 0, v0
	s_delay_alu instid0(VALU_DEP_2) | instskip(NEXT) | instid1(VALU_DEP_1)
	v_dual_cndmask_b32 v0, v0, v6 :: v_dual_cndmask_b32 v1, v1, v7
	v_lshl_add_u32 v0, v0, 23, 0x37800000
	s_delay_alu instid0(VALU_DEP_2) | instskip(NEXT) | instid1(VALU_DEP_1)
	v_lshlrev_b32_e32 v1, 21, v1
	v_or3_b32 v0, v5, v0, v1
	s_delay_alu instid0(VALU_DEP_1) | instskip(NEXT) | instid1(VALU_DEP_1)
	v_trunc_f32_e32 v0, v0
	v_mul_f32_e64 v1, 0x2f800000, |v0|
	v_ashrrev_i32_e32 v6, 31, v0
	s_delay_alu instid0(VALU_DEP_2) | instskip(NEXT) | instid1(VALU_DEP_1)
	v_floor_f32_e32 v1, v1
	v_fma_f32 v5, 0xcf800000, v1, |v0|
	v_cvt_u32_f32_e32 v1, v1
	s_delay_alu instid0(VALU_DEP_2) | instskip(NEXT) | instid1(VALU_DEP_2)
	v_cvt_u32_f32_e32 v0, v5
	v_xor_b32_e32 v1, v1, v6
	s_delay_alu instid0(VALU_DEP_2) | instskip(NEXT) | instid1(VALU_DEP_1)
	v_xor_b32_e32 v0, v0, v6
	v_sub_co_u32 v0, vcc_lo, v0, v6
	s_delay_alu instid0(VALU_DEP_3)
	v_sub_co_ci_u32_e32 v1, vcc_lo, v1, v6, vcc_lo
.LBB448_1116:
	s_or_b32 exec_lo, exec_lo, s0
	s_mov_b32 s0, 0
	s_branch .LBB448_1120
.LBB448_1117:
                                        ; implicit-def: $vgpr0_vgpr1
	s_mov_b32 s14, 0
	s_branch .LBB448_1126
.LBB448_1118:
	s_mov_b32 s0, -1
                                        ; implicit-def: $vgpr0_vgpr1
	s_branch .LBB448_1123
.LBB448_1119:
	s_mov_b32 s0, -1
                                        ; implicit-def: $vgpr0_vgpr1
.LBB448_1120:
	s_delay_alu instid0(SALU_CYCLE_1)
	s_and_b32 vcc_lo, exec_lo, s0
	s_cbranch_vccz .LBB448_1122
; %bb.1121:
	global_load_u8 v0, v[2:3], off
	s_waitcnt vmcnt(0)
	v_lshlrev_b32_e32 v0, 24, v0
	s_delay_alu instid0(VALU_DEP_1) | instskip(NEXT) | instid1(VALU_DEP_1)
	v_and_b32_e32 v1, 0x7f000000, v0
	v_clz_i32_u32_e32 v5, v1
	v_add_nc_u32_e32 v7, 0x1000000, v1
	v_cmp_ne_u32_e32 vcc_lo, 0, v1
	s_delay_alu instid0(VALU_DEP_3) | instskip(NEXT) | instid1(VALU_DEP_1)
	v_min_u32_e32 v5, 32, v5
	v_sub_nc_u32_e64 v5, v5, 4 clamp
	s_delay_alu instid0(VALU_DEP_1) | instskip(SKIP_1) | instid1(VALU_DEP_2)
	v_lshlrev_b32_e32 v6, v5, v1
	v_lshlrev_b32_e32 v5, 23, v5
	v_lshrrev_b32_e32 v6, 4, v6
	s_delay_alu instid0(VALU_DEP_1) | instskip(SKIP_1) | instid1(VALU_DEP_2)
	v_sub_nc_u32_e32 v5, v6, v5
	v_ashrrev_i32_e32 v6, 8, v7
	v_add_nc_u32_e32 v5, 0x3c000000, v5
	s_delay_alu instid0(VALU_DEP_1) | instskip(NEXT) | instid1(VALU_DEP_1)
	v_and_or_b32 v5, 0x7f800000, v6, v5
	v_cndmask_b32_e32 v1, 0, v5, vcc_lo
	s_delay_alu instid0(VALU_DEP_1) | instskip(NEXT) | instid1(VALU_DEP_1)
	v_and_or_b32 v0, 0x80000000, v0, v1
	v_trunc_f32_e32 v0, v0
	s_delay_alu instid0(VALU_DEP_1) | instskip(SKIP_1) | instid1(VALU_DEP_2)
	v_mul_f32_e64 v1, 0x2f800000, |v0|
	v_ashrrev_i32_e32 v6, 31, v0
	v_floor_f32_e32 v1, v1
	s_delay_alu instid0(VALU_DEP_1) | instskip(SKIP_1) | instid1(VALU_DEP_2)
	v_fma_f32 v5, 0xcf800000, v1, |v0|
	v_cvt_u32_f32_e32 v1, v1
	v_cvt_u32_f32_e32 v0, v5
	s_delay_alu instid0(VALU_DEP_2) | instskip(NEXT) | instid1(VALU_DEP_2)
	v_xor_b32_e32 v1, v1, v6
	v_xor_b32_e32 v0, v0, v6
	s_delay_alu instid0(VALU_DEP_1) | instskip(NEXT) | instid1(VALU_DEP_3)
	v_sub_co_u32 v0, vcc_lo, v0, v6
	v_sub_co_ci_u32_e32 v1, vcc_lo, v1, v6, vcc_lo
.LBB448_1122:
	s_mov_b32 s0, 0
.LBB448_1123:
	s_delay_alu instid0(SALU_CYCLE_1)
	s_and_not1_b32 vcc_lo, exec_lo, s0
	s_cbranch_vccnz .LBB448_1125
; %bb.1124:
	global_load_u8 v0, v[2:3], off
	s_waitcnt vmcnt(0)
	v_lshlrev_b32_e32 v1, 25, v0
	v_lshlrev_b16 v0, 8, v0
	s_delay_alu instid0(VALU_DEP_1) | instskip(SKIP_1) | instid1(VALU_DEP_2)
	v_and_or_b32 v6, 0x7f00, v0, 0.5
	v_bfe_i32 v0, v0, 0, 16
	v_add_f32_e32 v6, -0.5, v6
	v_lshrrev_b32_e32 v5, 4, v1
	v_cmp_gt_u32_e32 vcc_lo, 0x8000000, v1
	s_delay_alu instid0(VALU_DEP_2) | instskip(NEXT) | instid1(VALU_DEP_1)
	v_or_b32_e32 v5, 0x70000000, v5
	v_mul_f32_e32 v5, 0x7800000, v5
	s_delay_alu instid0(VALU_DEP_1) | instskip(NEXT) | instid1(VALU_DEP_1)
	v_cndmask_b32_e32 v1, v5, v6, vcc_lo
	v_and_or_b32 v0, 0x80000000, v0, v1
	s_delay_alu instid0(VALU_DEP_1) | instskip(NEXT) | instid1(VALU_DEP_1)
	v_trunc_f32_e32 v0, v0
	v_mul_f32_e64 v1, 0x2f800000, |v0|
	v_ashrrev_i32_e32 v6, 31, v0
	s_delay_alu instid0(VALU_DEP_2) | instskip(NEXT) | instid1(VALU_DEP_1)
	v_floor_f32_e32 v1, v1
	v_fma_f32 v5, 0xcf800000, v1, |v0|
	v_cvt_u32_f32_e32 v1, v1
	s_delay_alu instid0(VALU_DEP_2) | instskip(NEXT) | instid1(VALU_DEP_2)
	v_cvt_u32_f32_e32 v0, v5
	v_xor_b32_e32 v1, v1, v6
	s_delay_alu instid0(VALU_DEP_2) | instskip(NEXT) | instid1(VALU_DEP_1)
	v_xor_b32_e32 v0, v0, v6
	v_sub_co_u32 v0, vcc_lo, v0, v6
	s_delay_alu instid0(VALU_DEP_3)
	v_sub_co_ci_u32_e32 v1, vcc_lo, v1, v6, vcc_lo
.LBB448_1125:
	s_mov_b32 s0, -1
	s_mov_b32 s14, 0
	s_cbranch_execnz .LBB448_1134
.LBB448_1126:
	v_cmp_lt_i16_e32 vcc_lo, 14, v11
	s_cbranch_vccz .LBB448_1129
; %bb.1127:
	v_cmp_eq_u16_e32 vcc_lo, 15, v11
	s_cbranch_vccz .LBB448_1130
; %bb.1128:
	global_load_u16 v0, v[2:3], off
	s_mov_b32 s3, 0
	s_mov_b32 s0, -1
	s_waitcnt vmcnt(0)
	v_lshlrev_b32_e32 v0, 16, v0
	s_delay_alu instid0(VALU_DEP_1) | instskip(NEXT) | instid1(VALU_DEP_1)
	v_trunc_f32_e32 v0, v0
	v_mul_f32_e64 v1, 0x2f800000, |v0|
	v_ashrrev_i32_e32 v6, 31, v0
	s_delay_alu instid0(VALU_DEP_2) | instskip(NEXT) | instid1(VALU_DEP_1)
	v_floor_f32_e32 v1, v1
	v_fma_f32 v5, 0xcf800000, v1, |v0|
	v_cvt_u32_f32_e32 v1, v1
	s_delay_alu instid0(VALU_DEP_2) | instskip(NEXT) | instid1(VALU_DEP_2)
	v_cvt_u32_f32_e32 v0, v5
	v_xor_b32_e32 v1, v1, v6
	s_delay_alu instid0(VALU_DEP_2) | instskip(NEXT) | instid1(VALU_DEP_1)
	v_xor_b32_e32 v0, v0, v6
	v_sub_co_u32 v0, vcc_lo, v0, v6
	s_delay_alu instid0(VALU_DEP_3)
	v_sub_co_ci_u32_e32 v1, vcc_lo, v1, v6, vcc_lo
	s_branch .LBB448_1131
.LBB448_1129:
	s_mov_b32 s1, -1
                                        ; implicit-def: $vgpr0_vgpr1
	s_branch .LBB448_1132
.LBB448_1130:
	s_mov_b32 s3, -1
                                        ; implicit-def: $vgpr0_vgpr1
.LBB448_1131:
	s_mov_b32 s1, 0
.LBB448_1132:
	s_delay_alu instid0(SALU_CYCLE_1)
	s_and_b32 vcc_lo, exec_lo, s1
	s_cbranch_vccz .LBB448_1134
; %bb.1133:
	v_cmp_ne_u16_e64 s3, 11, v11
	s_mov_b32 s14, -1
                                        ; implicit-def: $vgpr0_vgpr1
.LBB448_1134:
	s_delay_alu instid0(VALU_DEP_1)
	s_and_b32 vcc_lo, exec_lo, s3
	s_mov_b32 s3, s13
	s_cbranch_vccnz .LBB448_1158
; %bb.1135:
	s_and_not1_b32 vcc_lo, exec_lo, s14
	s_cbranch_vccnz .LBB448_1137
.LBB448_1136:
	global_load_u8 v0, v[2:3], off
	s_mov_b32 s0, 0
	s_waitcnt vmcnt(1)
	v_mov_b32_e32 v1, s0
	s_mov_b32 s0, -1
	s_waitcnt vmcnt(0)
	v_cmp_ne_u16_e32 vcc_lo, 0, v0
	v_cndmask_b32_e64 v0, 0, 1, vcc_lo
.LBB448_1137:
.LBB448_1138:
	s_and_not1_b32 vcc_lo, exec_lo, s0
	s_cbranch_vccnz .LBB448_1962
.LBB448_1139:
	s_lshl_b32 s9, s9, 7
	v_cmp_gt_i16_e32 vcc_lo, 11, v11
	v_add_nc_u32_e32 v6, s9, v4
	s_delay_alu instid0(VALU_DEP_1) | instskip(SKIP_1) | instid1(VALU_DEP_1)
	v_ashrrev_i32_e32 v2, 31, v6
	v_add_co_u32 v4, s0, s6, v6
	v_add_co_ci_u32_e64 v5, s0, s7, v2, s0
	s_cbranch_vccnz .LBB448_1146
; %bb.1140:
	v_cmp_lt_i16_e32 vcc_lo, 25, v11
	s_mov_b32 s15, 0
	s_cbranch_vccz .LBB448_1152
; %bb.1141:
	v_cmp_lt_i16_e32 vcc_lo, 28, v11
	s_cbranch_vccz .LBB448_1154
; %bb.1142:
	v_cmp_lt_i16_e32 vcc_lo, 43, v11
	;; [unrolled: 3-line block ×3, first 2 shown]
	s_cbranch_vccz .LBB448_1162
; %bb.1144:
	v_cmp_eq_u16_e32 vcc_lo, 46, v11
	s_mov_b32 s1, 0
	s_cbranch_vccz .LBB448_1206
; %bb.1145:
	global_load_b32 v2, v[4:5], off
	s_mov_b32 s14, 0
	s_mov_b32 s0, -1
	s_waitcnt vmcnt(0)
	v_lshlrev_b32_e32 v2, 16, v2
	s_delay_alu instid0(VALU_DEP_1) | instskip(NEXT) | instid1(VALU_DEP_1)
	v_trunc_f32_e32 v2, v2
	v_mul_f32_e64 v3, 0x2f800000, |v2|
	v_ashrrev_i32_e32 v8, 31, v2
	s_delay_alu instid0(VALU_DEP_2) | instskip(NEXT) | instid1(VALU_DEP_1)
	v_floor_f32_e32 v3, v3
	v_fma_f32 v7, 0xcf800000, v3, |v2|
	v_cvt_u32_f32_e32 v3, v3
	s_delay_alu instid0(VALU_DEP_2) | instskip(NEXT) | instid1(VALU_DEP_2)
	v_cvt_u32_f32_e32 v2, v7
	v_xor_b32_e32 v3, v3, v8
	s_delay_alu instid0(VALU_DEP_2) | instskip(NEXT) | instid1(VALU_DEP_1)
	v_xor_b32_e32 v2, v2, v8
	v_sub_co_u32 v2, vcc_lo, v2, v8
	s_delay_alu instid0(VALU_DEP_3)
	v_sub_co_ci_u32_e32 v3, vcc_lo, v3, v8, vcc_lo
	s_branch .LBB448_1208
.LBB448_1146:
	s_mov_b32 s0, 0
                                        ; implicit-def: $vgpr2_vgpr3
	s_cbranch_execz .LBB448_1269
; %bb.1147:
	v_cmp_gt_i16_e32 vcc_lo, 5, v11
	s_cbranch_vccnz .LBB448_1153
; %bb.1148:
	v_cmp_gt_i16_e32 vcc_lo, 8, v11
	s_cbranch_vccnz .LBB448_1155
	;; [unrolled: 3-line block ×3, first 2 shown]
; %bb.1150:
	v_cmp_lt_i16_e32 vcc_lo, 9, v11
	s_cbranch_vccz .LBB448_1163
; %bb.1151:
	global_load_b64 v[2:3], v[4:5], off
	s_mov_b32 s0, 0
	s_waitcnt vmcnt(0)
	v_trunc_f64_e32 v[2:3], v[2:3]
	s_delay_alu instid0(VALU_DEP_1) | instskip(NEXT) | instid1(VALU_DEP_1)
	v_ldexp_f64 v[7:8], v[2:3], 0xffffffe0
	v_floor_f64_e32 v[7:8], v[7:8]
	s_delay_alu instid0(VALU_DEP_1) | instskip(SKIP_1) | instid1(VALU_DEP_2)
	v_fma_f64 v[12:13], 0xc1f00000, v[7:8], v[2:3]
	v_cvt_i32_f64_e32 v3, v[7:8]
	v_cvt_u32_f64_e32 v2, v[12:13]
	s_branch .LBB448_1164
.LBB448_1152:
	s_mov_b32 s0, 0
	s_mov_b32 s14, 0
                                        ; implicit-def: $vgpr2_vgpr3
	s_cbranch_execnz .LBB448_1237
	s_branch .LBB448_1265
.LBB448_1153:
                                        ; implicit-def: $vgpr2_vgpr3
	s_branch .LBB448_1182
.LBB448_1154:
	s_mov_b32 s1, -1
	s_mov_b32 s0, 0
	s_mov_b32 s14, 0
                                        ; implicit-def: $vgpr2_vgpr3
	s_branch .LBB448_1218
.LBB448_1155:
	s_mov_b32 s0, -1
                                        ; implicit-def: $vgpr2_vgpr3
	s_branch .LBB448_1170
.LBB448_1156:
	s_mov_b32 s1, -1
	s_mov_b32 s0, 0
	s_mov_b32 s14, 0
                                        ; implicit-def: $vgpr2_vgpr3
	s_branch .LBB448_1213
.LBB448_1157:
	s_mov_b32 s0, -1
                                        ; implicit-def: $vgpr2_vgpr3
	s_branch .LBB448_1167
.LBB448_1158:
	s_cbranch_execnz .LBB448_1202
; %bb.1159:
	s_or_b32 s3, s13, exec_lo
                                        ; implicit-def: $vgpr0_vgpr1
	s_cbranch_execz .LBB448_1136
	s_branch .LBB448_1137
.LBB448_1160:
	s_or_saveexec_b32 s17, s17
                                        ; implicit-def: $sgpr18
	s_delay_alu instid0(SALU_CYCLE_1)
	s_xor_b32 exec_lo, exec_lo, s17
	s_cbranch_execz .LBB448_927
.LBB448_1161:
	v_add_f32_e64 v5, 0x46000000, |v4|
	s_and_not1_b32 s16, s16, exec_lo
	s_mov_b32 s18, 0
	s_delay_alu instid0(VALU_DEP_1) | instskip(NEXT) | instid1(VALU_DEP_1)
	v_and_b32_e32 v5, 0xff, v5
	v_cmp_ne_u32_e32 vcc_lo, 0, v5
	s_and_b32 s19, vcc_lo, exec_lo
	s_delay_alu instid0(SALU_CYCLE_1)
	s_or_b32 s16, s16, s19
	s_or_b32 exec_lo, exec_lo, s17
	v_mov_b32_e32 v7, s18
	s_and_saveexec_b32 s17, s16
	s_cbranch_execnz .LBB448_928
	s_branch .LBB448_929
.LBB448_1162:
	s_mov_b32 s1, -1
	s_mov_b32 s0, 0
	s_mov_b32 s14, 0
	s_branch .LBB448_1207
.LBB448_1163:
	s_mov_b32 s0, -1
                                        ; implicit-def: $vgpr2_vgpr3
.LBB448_1164:
	s_delay_alu instid0(SALU_CYCLE_1)
	s_and_not1_b32 vcc_lo, exec_lo, s0
	s_cbranch_vccnz .LBB448_1166
; %bb.1165:
	global_load_b32 v2, v[4:5], off
	s_waitcnt vmcnt(0)
	v_trunc_f32_e32 v2, v2
	s_delay_alu instid0(VALU_DEP_1) | instskip(SKIP_1) | instid1(VALU_DEP_2)
	v_mul_f32_e64 v3, 0x2f800000, |v2|
	v_ashrrev_i32_e32 v8, 31, v2
	v_floor_f32_e32 v3, v3
	s_delay_alu instid0(VALU_DEP_1) | instskip(SKIP_1) | instid1(VALU_DEP_2)
	v_fma_f32 v7, 0xcf800000, v3, |v2|
	v_cvt_u32_f32_e32 v3, v3
	v_cvt_u32_f32_e32 v2, v7
	s_delay_alu instid0(VALU_DEP_2) | instskip(NEXT) | instid1(VALU_DEP_2)
	v_xor_b32_e32 v3, v3, v8
	v_xor_b32_e32 v2, v2, v8
	s_delay_alu instid0(VALU_DEP_1) | instskip(NEXT) | instid1(VALU_DEP_3)
	v_sub_co_u32 v2, vcc_lo, v2, v8
	v_sub_co_ci_u32_e32 v3, vcc_lo, v3, v8, vcc_lo
.LBB448_1166:
	s_mov_b32 s0, 0
.LBB448_1167:
	s_delay_alu instid0(SALU_CYCLE_1)
	s_and_not1_b32 vcc_lo, exec_lo, s0
	s_cbranch_vccnz .LBB448_1169
; %bb.1168:
	global_load_b32 v2, v[4:5], off
	s_waitcnt vmcnt(0)
	v_cvt_f32_f16_e32 v2, v2
	s_delay_alu instid0(VALU_DEP_1) | instskip(NEXT) | instid1(VALU_DEP_1)
	v_cvt_i32_f32_e32 v2, v2
	v_ashrrev_i32_e32 v3, 31, v2
.LBB448_1169:
	s_mov_b32 s0, 0
.LBB448_1170:
	s_delay_alu instid0(SALU_CYCLE_1)
	s_and_not1_b32 vcc_lo, exec_lo, s0
	s_cbranch_vccnz .LBB448_1181
; %bb.1171:
	v_cmp_gt_i16_e32 vcc_lo, 6, v11
	s_cbranch_vccnz .LBB448_1174
; %bb.1172:
	v_cmp_lt_i16_e32 vcc_lo, 6, v11
	s_cbranch_vccz .LBB448_1175
; %bb.1173:
	global_load_b64 v[2:3], v[4:5], off
	s_mov_b32 s0, 0
	s_waitcnt vmcnt(0)
	v_trunc_f64_e32 v[2:3], v[2:3]
	s_delay_alu instid0(VALU_DEP_1) | instskip(NEXT) | instid1(VALU_DEP_1)
	v_ldexp_f64 v[7:8], v[2:3], 0xffffffe0
	v_floor_f64_e32 v[7:8], v[7:8]
	s_delay_alu instid0(VALU_DEP_1) | instskip(SKIP_1) | instid1(VALU_DEP_2)
	v_fma_f64 v[12:13], 0xc1f00000, v[7:8], v[2:3]
	v_cvt_i32_f64_e32 v3, v[7:8]
	v_cvt_u32_f64_e32 v2, v[12:13]
	s_branch .LBB448_1176
.LBB448_1174:
	s_mov_b32 s0, -1
                                        ; implicit-def: $vgpr2_vgpr3
	s_branch .LBB448_1179
.LBB448_1175:
	s_mov_b32 s0, -1
                                        ; implicit-def: $vgpr2_vgpr3
.LBB448_1176:
	s_delay_alu instid0(SALU_CYCLE_1)
	s_and_not1_b32 vcc_lo, exec_lo, s0
	s_cbranch_vccnz .LBB448_1178
; %bb.1177:
	global_load_b32 v2, v[4:5], off
	s_waitcnt vmcnt(0)
	v_trunc_f32_e32 v2, v2
	s_delay_alu instid0(VALU_DEP_1) | instskip(SKIP_1) | instid1(VALU_DEP_2)
	v_mul_f32_e64 v3, 0x2f800000, |v2|
	v_ashrrev_i32_e32 v8, 31, v2
	v_floor_f32_e32 v3, v3
	s_delay_alu instid0(VALU_DEP_1) | instskip(SKIP_1) | instid1(VALU_DEP_2)
	v_fma_f32 v7, 0xcf800000, v3, |v2|
	v_cvt_u32_f32_e32 v3, v3
	v_cvt_u32_f32_e32 v2, v7
	s_delay_alu instid0(VALU_DEP_2) | instskip(NEXT) | instid1(VALU_DEP_2)
	v_xor_b32_e32 v3, v3, v8
	v_xor_b32_e32 v2, v2, v8
	s_delay_alu instid0(VALU_DEP_1) | instskip(NEXT) | instid1(VALU_DEP_3)
	v_sub_co_u32 v2, vcc_lo, v2, v8
	v_sub_co_ci_u32_e32 v3, vcc_lo, v3, v8, vcc_lo
.LBB448_1178:
	s_mov_b32 s0, 0
.LBB448_1179:
	s_delay_alu instid0(SALU_CYCLE_1)
	s_and_not1_b32 vcc_lo, exec_lo, s0
	s_cbranch_vccnz .LBB448_1181
; %bb.1180:
	global_load_u16 v2, v[4:5], off
	s_waitcnt vmcnt(0)
	v_cvt_f32_f16_e32 v2, v2
	s_delay_alu instid0(VALU_DEP_1) | instskip(NEXT) | instid1(VALU_DEP_1)
	v_cvt_i32_f32_e32 v2, v2
	v_ashrrev_i32_e32 v3, 31, v2
.LBB448_1181:
	s_cbranch_execnz .LBB448_1201
.LBB448_1182:
	v_cmp_gt_i16_e32 vcc_lo, 2, v11
	s_cbranch_vccnz .LBB448_1186
; %bb.1183:
	v_cmp_gt_i16_e32 vcc_lo, 3, v11
	s_cbranch_vccnz .LBB448_1187
; %bb.1184:
	v_cmp_lt_i16_e32 vcc_lo, 3, v11
	s_cbranch_vccz .LBB448_1188
; %bb.1185:
	global_load_b64 v[2:3], v[4:5], off
	s_mov_b32 s0, 0
	s_branch .LBB448_1189
.LBB448_1186:
	s_mov_b32 s0, -1
                                        ; implicit-def: $vgpr2_vgpr3
	s_branch .LBB448_1195
.LBB448_1187:
	s_mov_b32 s0, -1
                                        ; implicit-def: $vgpr2_vgpr3
	s_branch .LBB448_1192
.LBB448_1188:
	s_mov_b32 s0, -1
                                        ; implicit-def: $vgpr2_vgpr3
.LBB448_1189:
	s_delay_alu instid0(SALU_CYCLE_1)
	s_and_not1_b32 vcc_lo, exec_lo, s0
	s_cbranch_vccnz .LBB448_1191
; %bb.1190:
	global_load_b32 v2, v[4:5], off
	s_waitcnt vmcnt(0)
	v_ashrrev_i32_e32 v3, 31, v2
.LBB448_1191:
	s_mov_b32 s0, 0
.LBB448_1192:
	s_delay_alu instid0(SALU_CYCLE_1)
	s_and_not1_b32 vcc_lo, exec_lo, s0
	s_cbranch_vccnz .LBB448_1194
; %bb.1193:
	global_load_u16 v2, v[4:5], off
	s_waitcnt vmcnt(0)
	v_bfe_i32 v2, v2, 0, 16
	s_delay_alu instid0(VALU_DEP_1)
	v_ashrrev_i32_e32 v3, 31, v2
.LBB448_1194:
	s_mov_b32 s0, 0
.LBB448_1195:
	s_delay_alu instid0(SALU_CYCLE_1)
	s_and_not1_b32 vcc_lo, exec_lo, s0
	s_cbranch_vccnz .LBB448_1201
; %bb.1196:
	v_cmp_lt_i16_e32 vcc_lo, 0, v11
	s_mov_b32 s0, 0
	s_cbranch_vccz .LBB448_1198
; %bb.1197:
	global_load_i8 v2, v[4:5], off
	s_waitcnt vmcnt(0)
	v_bfe_i32 v2, v2, 0, 16
	s_delay_alu instid0(VALU_DEP_1)
	v_ashrrev_i32_e32 v3, 31, v2
	s_branch .LBB448_1199
.LBB448_1198:
	s_mov_b32 s0, -1
                                        ; implicit-def: $vgpr2_vgpr3
.LBB448_1199:
	s_delay_alu instid0(SALU_CYCLE_1)
	s_and_not1_b32 vcc_lo, exec_lo, s0
	s_cbranch_vccnz .LBB448_1201
; %bb.1200:
	global_load_u8 v2, v[4:5], off
	s_mov_b32 s0, 0
	s_waitcnt vmcnt(0)
	v_dual_mov_b32 v3, s0 :: v_dual_and_b32 v2, 0xffff, v2
.LBB448_1201:
	s_branch .LBB448_1270
.LBB448_1202:
	s_trap 2
	s_sendmsg_rtn_b32 s0, sendmsg(MSG_RTN_GET_DOORBELL)
	s_mov_b32 ttmp2, m0
	s_waitcnt lgkmcnt(0)
	s_and_b32 s0, s0, 0x3ff
	s_delay_alu instid0(SALU_CYCLE_1) | instskip(NEXT) | instid1(SALU_CYCLE_1)
	s_bitset1_b32 s0, 10
	s_mov_b32 m0, s0
	s_sendmsg sendmsg(MSG_INTERRUPT)
	s_mov_b32 m0, ttmp2
.LBB448_1203:                           ; =>This Inner Loop Header: Depth=1
	s_sethalt 5
	s_branch .LBB448_1203
.LBB448_1204:
	s_or_saveexec_b32 s18, s18
                                        ; implicit-def: $sgpr19
	s_delay_alu instid0(SALU_CYCLE_1)
	s_xor_b32 exec_lo, exec_lo, s18
	s_cbranch_execz .LBB448_939
.LBB448_1205:
	v_add_f32_e64 v5, 0x42800000, |v4|
	s_and_not1_b32 s17, s17, exec_lo
	s_mov_b32 s19, 0
	s_delay_alu instid0(VALU_DEP_1) | instskip(NEXT) | instid1(VALU_DEP_1)
	v_and_b32_e32 v5, 0xff, v5
	v_cmp_ne_u32_e32 vcc_lo, 0, v5
	s_and_b32 s20, vcc_lo, exec_lo
	s_delay_alu instid0(SALU_CYCLE_1)
	s_or_b32 s17, s17, s20
	s_or_b32 exec_lo, exec_lo, s18
	v_mov_b32_e32 v7, s19
	s_and_saveexec_b32 s18, s17
	s_cbranch_execnz .LBB448_940
	s_branch .LBB448_941
.LBB448_1206:
	s_mov_b32 s14, -1
	s_mov_b32 s0, 0
.LBB448_1207:
                                        ; implicit-def: $vgpr2_vgpr3
.LBB448_1208:
	s_and_b32 vcc_lo, exec_lo, s1
	s_cbranch_vccz .LBB448_1212
; %bb.1209:
	v_cmp_eq_u16_e32 vcc_lo, 44, v11
	s_cbranch_vccz .LBB448_1211
; %bb.1210:
	global_load_u8 v2, v[4:5], off
	s_mov_b32 s14, 0
	s_mov_b32 s0, -1
	s_waitcnt vmcnt(0)
	v_lshlrev_b32_e32 v3, 23, v2
	s_delay_alu instid0(VALU_DEP_1) | instskip(NEXT) | instid1(VALU_DEP_1)
	v_trunc_f32_e32 v3, v3
	v_mul_f32_e64 v7, 0x2f800000, |v3|
	s_delay_alu instid0(VALU_DEP_1) | instskip(NEXT) | instid1(VALU_DEP_1)
	v_floor_f32_e32 v7, v7
	v_fma_f32 v8, 0xcf800000, v7, |v3|
	v_ashrrev_i32_e32 v3, 31, v3
	v_cvt_u32_f32_e32 v7, v7
	s_delay_alu instid0(VALU_DEP_3) | instskip(NEXT) | instid1(VALU_DEP_2)
	v_cvt_u32_f32_e32 v8, v8
	v_xor_b32_e32 v7, v7, v3
	s_delay_alu instid0(VALU_DEP_2) | instskip(NEXT) | instid1(VALU_DEP_1)
	v_xor_b32_e32 v8, v8, v3
	v_sub_co_u32 v8, vcc_lo, v8, v3
	s_delay_alu instid0(VALU_DEP_3) | instskip(SKIP_1) | instid1(VALU_DEP_2)
	v_sub_co_ci_u32_e32 v3, vcc_lo, v7, v3, vcc_lo
	v_cmp_ne_u32_e32 vcc_lo, 0, v2
	v_dual_cndmask_b32 v2, 0, v8 :: v_dual_cndmask_b32 v3, 0, v3
	s_branch .LBB448_1212
.LBB448_1211:
	s_mov_b32 s14, -1
                                        ; implicit-def: $vgpr2_vgpr3
.LBB448_1212:
	s_mov_b32 s1, 0
.LBB448_1213:
	s_delay_alu instid0(SALU_CYCLE_1)
	s_and_b32 vcc_lo, exec_lo, s1
	s_cbranch_vccz .LBB448_1217
; %bb.1214:
	v_cmp_eq_u16_e32 vcc_lo, 29, v11
	s_cbranch_vccz .LBB448_1216
; %bb.1215:
	global_load_b64 v[2:3], v[4:5], off
	s_mov_b32 s14, 0
	s_mov_b32 s0, -1
	s_branch .LBB448_1217
.LBB448_1216:
	s_mov_b32 s14, -1
                                        ; implicit-def: $vgpr2_vgpr3
.LBB448_1217:
	s_mov_b32 s1, 0
.LBB448_1218:
	s_delay_alu instid0(SALU_CYCLE_1)
	s_and_b32 vcc_lo, exec_lo, s1
	s_cbranch_vccz .LBB448_1236
; %bb.1219:
	v_cmp_gt_i16_e32 vcc_lo, 27, v11
	s_cbranch_vccnz .LBB448_1222
; %bb.1220:
	v_cmp_lt_i16_e32 vcc_lo, 27, v11
	s_cbranch_vccz .LBB448_1223
; %bb.1221:
	global_load_b32 v2, v[4:5], off
	s_waitcnt vmcnt(1)
	v_mov_b32_e32 v3, 0
	s_mov_b32 s0, 0
	s_branch .LBB448_1224
.LBB448_1222:
	s_mov_b32 s0, -1
                                        ; implicit-def: $vgpr2_vgpr3
	s_branch .LBB448_1227
.LBB448_1223:
	s_mov_b32 s0, -1
                                        ; implicit-def: $vgpr2_vgpr3
.LBB448_1224:
	s_delay_alu instid0(SALU_CYCLE_1)
	s_and_not1_b32 vcc_lo, exec_lo, s0
	s_cbranch_vccnz .LBB448_1226
; %bb.1225:
	global_load_u16 v2, v[4:5], off
	s_mov_b32 s0, 0
	s_waitcnt vmcnt(0)
	v_dual_mov_b32 v3, s0 :: v_dual_and_b32 v2, 0xffff, v2
.LBB448_1226:
	s_mov_b32 s0, 0
.LBB448_1227:
	s_delay_alu instid0(SALU_CYCLE_1)
	s_and_not1_b32 vcc_lo, exec_lo, s0
	s_cbranch_vccnz .LBB448_1235
; %bb.1228:
	global_load_u8 v7, v[4:5], off
	s_mov_b32 s16, 0
	s_mov_b32 s17, exec_lo
                                        ; implicit-def: $sgpr0_sgpr1
	s_waitcnt vmcnt(0)
	v_cmpx_lt_i16_e32 0x7f, v7
	s_xor_b32 s17, exec_lo, s17
; %bb.1229:
	v_cmp_ne_u16_e32 vcc_lo, 0x80, v7
	s_mov_b64 s[0:1], 0
	s_and_b32 s16, vcc_lo, exec_lo
; %bb.1230:
	s_or_saveexec_b32 s17, s17
	v_dual_mov_b32 v3, s1 :: v_dual_mov_b32 v2, s0
	s_xor_b32 exec_lo, exec_lo, s17
; %bb.1231:
	v_cmp_ne_u16_e32 vcc_lo, 0, v7
	v_mov_b32_e32 v2, 0
	v_mov_b32_e32 v3, 0
	s_and_not1_b32 s0, s16, exec_lo
	s_and_b32 s1, vcc_lo, exec_lo
	s_delay_alu instid0(SALU_CYCLE_1)
	s_or_b32 s16, s0, s1
; %bb.1232:
	s_or_b32 exec_lo, exec_lo, s17
	s_and_saveexec_b32 s0, s16
	s_cbranch_execz .LBB448_1234
; %bb.1233:
	v_and_b32_e32 v2, 0xffff, v7
	v_lshlrev_b32_e32 v7, 24, v7
	s_delay_alu instid0(VALU_DEP_2) | instskip(NEXT) | instid1(VALU_DEP_2)
	v_and_b32_e32 v3, 7, v2
	v_and_b32_e32 v7, 0x80000000, v7
	s_delay_alu instid0(VALU_DEP_2) | instskip(NEXT) | instid1(VALU_DEP_1)
	v_clz_i32_u32_e32 v8, v3
	v_min_u32_e32 v8, 32, v8
	s_delay_alu instid0(VALU_DEP_1) | instskip(SKIP_1) | instid1(VALU_DEP_2)
	v_subrev_nc_u32_e32 v9, 28, v8
	v_sub_nc_u32_e32 v8, 29, v8
	v_lshlrev_b32_e32 v9, v9, v2
	v_bfe_u32 v2, v2, 3, 4
	s_delay_alu instid0(VALU_DEP_2) | instskip(NEXT) | instid1(VALU_DEP_2)
	v_and_b32_e32 v9, 7, v9
	v_cmp_eq_u32_e32 vcc_lo, 0, v2
	s_delay_alu instid0(VALU_DEP_2) | instskip(NEXT) | instid1(VALU_DEP_1)
	v_dual_cndmask_b32 v2, v2, v8 :: v_dual_cndmask_b32 v3, v3, v9
	v_lshl_add_u32 v2, v2, 23, 0x3b800000
	s_delay_alu instid0(VALU_DEP_2) | instskip(NEXT) | instid1(VALU_DEP_1)
	v_lshlrev_b32_e32 v3, 20, v3
	v_or3_b32 v2, v7, v2, v3
	s_delay_alu instid0(VALU_DEP_1) | instskip(NEXT) | instid1(VALU_DEP_1)
	v_trunc_f32_e32 v2, v2
	v_mul_f32_e64 v3, 0x2f800000, |v2|
	v_ashrrev_i32_e32 v8, 31, v2
	s_delay_alu instid0(VALU_DEP_2) | instskip(NEXT) | instid1(VALU_DEP_1)
	v_floor_f32_e32 v3, v3
	v_fma_f32 v7, 0xcf800000, v3, |v2|
	v_cvt_u32_f32_e32 v3, v3
	s_delay_alu instid0(VALU_DEP_2) | instskip(NEXT) | instid1(VALU_DEP_2)
	v_cvt_u32_f32_e32 v2, v7
	v_xor_b32_e32 v3, v3, v8
	s_delay_alu instid0(VALU_DEP_2) | instskip(NEXT) | instid1(VALU_DEP_1)
	v_xor_b32_e32 v2, v2, v8
	v_sub_co_u32 v2, vcc_lo, v2, v8
	s_delay_alu instid0(VALU_DEP_3)
	v_sub_co_ci_u32_e32 v3, vcc_lo, v3, v8, vcc_lo
.LBB448_1234:
	s_or_b32 exec_lo, exec_lo, s0
.LBB448_1235:
	s_mov_b32 s0, -1
.LBB448_1236:
	s_branch .LBB448_1265
.LBB448_1237:
	v_cmp_lt_i16_e32 vcc_lo, 22, v11
	s_cbranch_vccz .LBB448_1247
; %bb.1238:
	v_cmp_gt_i16_e32 vcc_lo, 24, v11
	s_cbranch_vccnz .LBB448_1248
; %bb.1239:
	v_cmp_lt_i16_e32 vcc_lo, 24, v11
	s_cbranch_vccz .LBB448_1249
; %bb.1240:
	global_load_u8 v7, v[4:5], off
	s_mov_b32 s16, exec_lo
                                        ; implicit-def: $sgpr0_sgpr1
	s_waitcnt vmcnt(0)
	v_cmpx_lt_i16_e32 0x7f, v7
	s_xor_b32 s16, exec_lo, s16
; %bb.1241:
	v_cmp_ne_u16_e32 vcc_lo, 0x80, v7
	s_mov_b64 s[0:1], 0
	s_and_b32 s15, vcc_lo, exec_lo
; %bb.1242:
	s_or_saveexec_b32 s16, s16
	v_dual_mov_b32 v3, s1 :: v_dual_mov_b32 v2, s0
	s_xor_b32 exec_lo, exec_lo, s16
; %bb.1243:
	v_cmp_ne_u16_e32 vcc_lo, 0, v7
	v_mov_b32_e32 v2, 0
	v_mov_b32_e32 v3, 0
	s_and_not1_b32 s0, s15, exec_lo
	s_and_b32 s1, vcc_lo, exec_lo
	s_delay_alu instid0(SALU_CYCLE_1)
	s_or_b32 s15, s0, s1
; %bb.1244:
	s_or_b32 exec_lo, exec_lo, s16
	s_and_saveexec_b32 s0, s15
	s_cbranch_execz .LBB448_1246
; %bb.1245:
	v_and_b32_e32 v2, 0xffff, v7
	v_lshlrev_b32_e32 v7, 24, v7
	s_delay_alu instid0(VALU_DEP_2) | instskip(NEXT) | instid1(VALU_DEP_2)
	v_and_b32_e32 v3, 3, v2
	v_and_b32_e32 v7, 0x80000000, v7
	s_delay_alu instid0(VALU_DEP_2) | instskip(NEXT) | instid1(VALU_DEP_1)
	v_clz_i32_u32_e32 v8, v3
	v_min_u32_e32 v8, 32, v8
	s_delay_alu instid0(VALU_DEP_1) | instskip(SKIP_1) | instid1(VALU_DEP_2)
	v_subrev_nc_u32_e32 v9, 29, v8
	v_sub_nc_u32_e32 v8, 30, v8
	v_lshlrev_b32_e32 v9, v9, v2
	v_bfe_u32 v2, v2, 2, 5
	s_delay_alu instid0(VALU_DEP_2) | instskip(NEXT) | instid1(VALU_DEP_2)
	v_and_b32_e32 v9, 3, v9
	v_cmp_eq_u32_e32 vcc_lo, 0, v2
	s_delay_alu instid0(VALU_DEP_2) | instskip(NEXT) | instid1(VALU_DEP_1)
	v_dual_cndmask_b32 v2, v2, v8 :: v_dual_cndmask_b32 v3, v3, v9
	v_lshl_add_u32 v2, v2, 23, 0x37800000
	s_delay_alu instid0(VALU_DEP_2) | instskip(NEXT) | instid1(VALU_DEP_1)
	v_lshlrev_b32_e32 v3, 21, v3
	v_or3_b32 v2, v7, v2, v3
	s_delay_alu instid0(VALU_DEP_1) | instskip(NEXT) | instid1(VALU_DEP_1)
	v_trunc_f32_e32 v2, v2
	v_mul_f32_e64 v3, 0x2f800000, |v2|
	v_ashrrev_i32_e32 v8, 31, v2
	s_delay_alu instid0(VALU_DEP_2) | instskip(NEXT) | instid1(VALU_DEP_1)
	v_floor_f32_e32 v3, v3
	v_fma_f32 v7, 0xcf800000, v3, |v2|
	v_cvt_u32_f32_e32 v3, v3
	s_delay_alu instid0(VALU_DEP_2) | instskip(NEXT) | instid1(VALU_DEP_2)
	v_cvt_u32_f32_e32 v2, v7
	v_xor_b32_e32 v3, v3, v8
	s_delay_alu instid0(VALU_DEP_2) | instskip(NEXT) | instid1(VALU_DEP_1)
	v_xor_b32_e32 v2, v2, v8
	v_sub_co_u32 v2, vcc_lo, v2, v8
	s_delay_alu instid0(VALU_DEP_3)
	v_sub_co_ci_u32_e32 v3, vcc_lo, v3, v8, vcc_lo
.LBB448_1246:
	s_or_b32 exec_lo, exec_lo, s0
	s_mov_b32 s0, 0
	s_branch .LBB448_1250
.LBB448_1247:
	s_mov_b32 s1, -1
                                        ; implicit-def: $vgpr2_vgpr3
	s_branch .LBB448_1256
.LBB448_1248:
	s_mov_b32 s0, -1
                                        ; implicit-def: $vgpr2_vgpr3
	s_branch .LBB448_1253
.LBB448_1249:
	s_mov_b32 s0, -1
                                        ; implicit-def: $vgpr2_vgpr3
.LBB448_1250:
	s_delay_alu instid0(SALU_CYCLE_1)
	s_and_b32 vcc_lo, exec_lo, s0
	s_cbranch_vccz .LBB448_1252
; %bb.1251:
	global_load_u8 v2, v[4:5], off
	s_waitcnt vmcnt(0)
	v_lshlrev_b32_e32 v2, 24, v2
	s_delay_alu instid0(VALU_DEP_1) | instskip(NEXT) | instid1(VALU_DEP_1)
	v_and_b32_e32 v3, 0x7f000000, v2
	v_clz_i32_u32_e32 v7, v3
	v_add_nc_u32_e32 v9, 0x1000000, v3
	v_cmp_ne_u32_e32 vcc_lo, 0, v3
	s_delay_alu instid0(VALU_DEP_3) | instskip(NEXT) | instid1(VALU_DEP_1)
	v_min_u32_e32 v7, 32, v7
	v_sub_nc_u32_e64 v7, v7, 4 clamp
	s_delay_alu instid0(VALU_DEP_1) | instskip(SKIP_1) | instid1(VALU_DEP_2)
	v_lshlrev_b32_e32 v8, v7, v3
	v_lshlrev_b32_e32 v7, 23, v7
	v_lshrrev_b32_e32 v8, 4, v8
	s_delay_alu instid0(VALU_DEP_1) | instskip(SKIP_1) | instid1(VALU_DEP_2)
	v_sub_nc_u32_e32 v7, v8, v7
	v_ashrrev_i32_e32 v8, 8, v9
	v_add_nc_u32_e32 v7, 0x3c000000, v7
	s_delay_alu instid0(VALU_DEP_1) | instskip(NEXT) | instid1(VALU_DEP_1)
	v_and_or_b32 v7, 0x7f800000, v8, v7
	v_cndmask_b32_e32 v3, 0, v7, vcc_lo
	s_delay_alu instid0(VALU_DEP_1) | instskip(NEXT) | instid1(VALU_DEP_1)
	v_and_or_b32 v2, 0x80000000, v2, v3
	v_trunc_f32_e32 v2, v2
	s_delay_alu instid0(VALU_DEP_1) | instskip(SKIP_1) | instid1(VALU_DEP_2)
	v_mul_f32_e64 v3, 0x2f800000, |v2|
	v_ashrrev_i32_e32 v8, 31, v2
	v_floor_f32_e32 v3, v3
	s_delay_alu instid0(VALU_DEP_1) | instskip(SKIP_1) | instid1(VALU_DEP_2)
	v_fma_f32 v7, 0xcf800000, v3, |v2|
	v_cvt_u32_f32_e32 v3, v3
	v_cvt_u32_f32_e32 v2, v7
	s_delay_alu instid0(VALU_DEP_2) | instskip(NEXT) | instid1(VALU_DEP_2)
	v_xor_b32_e32 v3, v3, v8
	v_xor_b32_e32 v2, v2, v8
	s_delay_alu instid0(VALU_DEP_1) | instskip(NEXT) | instid1(VALU_DEP_3)
	v_sub_co_u32 v2, vcc_lo, v2, v8
	v_sub_co_ci_u32_e32 v3, vcc_lo, v3, v8, vcc_lo
.LBB448_1252:
	s_mov_b32 s0, 0
.LBB448_1253:
	s_delay_alu instid0(SALU_CYCLE_1)
	s_and_not1_b32 vcc_lo, exec_lo, s0
	s_cbranch_vccnz .LBB448_1255
; %bb.1254:
	global_load_u8 v2, v[4:5], off
	s_waitcnt vmcnt(0)
	v_lshlrev_b32_e32 v3, 25, v2
	v_lshlrev_b16 v2, 8, v2
	s_delay_alu instid0(VALU_DEP_1) | instskip(SKIP_1) | instid1(VALU_DEP_2)
	v_and_or_b32 v8, 0x7f00, v2, 0.5
	v_bfe_i32 v2, v2, 0, 16
	v_add_f32_e32 v8, -0.5, v8
	v_lshrrev_b32_e32 v7, 4, v3
	v_cmp_gt_u32_e32 vcc_lo, 0x8000000, v3
	s_delay_alu instid0(VALU_DEP_2) | instskip(NEXT) | instid1(VALU_DEP_1)
	v_or_b32_e32 v7, 0x70000000, v7
	v_mul_f32_e32 v7, 0x7800000, v7
	s_delay_alu instid0(VALU_DEP_1) | instskip(NEXT) | instid1(VALU_DEP_1)
	v_cndmask_b32_e32 v3, v7, v8, vcc_lo
	v_and_or_b32 v2, 0x80000000, v2, v3
	s_delay_alu instid0(VALU_DEP_1) | instskip(NEXT) | instid1(VALU_DEP_1)
	v_trunc_f32_e32 v2, v2
	v_mul_f32_e64 v3, 0x2f800000, |v2|
	v_ashrrev_i32_e32 v8, 31, v2
	s_delay_alu instid0(VALU_DEP_2) | instskip(NEXT) | instid1(VALU_DEP_1)
	v_floor_f32_e32 v3, v3
	v_fma_f32 v7, 0xcf800000, v3, |v2|
	v_cvt_u32_f32_e32 v3, v3
	s_delay_alu instid0(VALU_DEP_2) | instskip(NEXT) | instid1(VALU_DEP_2)
	v_cvt_u32_f32_e32 v2, v7
	v_xor_b32_e32 v3, v3, v8
	s_delay_alu instid0(VALU_DEP_2) | instskip(NEXT) | instid1(VALU_DEP_1)
	v_xor_b32_e32 v2, v2, v8
	v_sub_co_u32 v2, vcc_lo, v2, v8
	s_delay_alu instid0(VALU_DEP_3)
	v_sub_co_ci_u32_e32 v3, vcc_lo, v3, v8, vcc_lo
.LBB448_1255:
	s_mov_b32 s1, 0
	s_mov_b32 s0, -1
.LBB448_1256:
	s_and_not1_b32 vcc_lo, exec_lo, s1
	s_mov_b32 s15, 0
	s_cbranch_vccnz .LBB448_1265
; %bb.1257:
	v_cmp_lt_i16_e32 vcc_lo, 14, v11
	s_cbranch_vccz .LBB448_1260
; %bb.1258:
	v_cmp_eq_u16_e32 vcc_lo, 15, v11
	s_cbranch_vccz .LBB448_1261
; %bb.1259:
	global_load_u16 v2, v[4:5], off
	s_mov_b32 s14, 0
	s_mov_b32 s0, -1
	s_waitcnt vmcnt(0)
	v_lshlrev_b32_e32 v2, 16, v2
	s_delay_alu instid0(VALU_DEP_1) | instskip(NEXT) | instid1(VALU_DEP_1)
	v_trunc_f32_e32 v2, v2
	v_mul_f32_e64 v3, 0x2f800000, |v2|
	v_ashrrev_i32_e32 v8, 31, v2
	s_delay_alu instid0(VALU_DEP_2) | instskip(NEXT) | instid1(VALU_DEP_1)
	v_floor_f32_e32 v3, v3
	v_fma_f32 v7, 0xcf800000, v3, |v2|
	v_cvt_u32_f32_e32 v3, v3
	s_delay_alu instid0(VALU_DEP_2) | instskip(NEXT) | instid1(VALU_DEP_2)
	v_cvt_u32_f32_e32 v2, v7
	v_xor_b32_e32 v3, v3, v8
	s_delay_alu instid0(VALU_DEP_2) | instskip(NEXT) | instid1(VALU_DEP_1)
	v_xor_b32_e32 v2, v2, v8
	v_sub_co_u32 v2, vcc_lo, v2, v8
	s_delay_alu instid0(VALU_DEP_3)
	v_sub_co_ci_u32_e32 v3, vcc_lo, v3, v8, vcc_lo
	s_branch .LBB448_1262
.LBB448_1260:
	s_mov_b32 s1, -1
                                        ; implicit-def: $vgpr2_vgpr3
	s_branch .LBB448_1263
.LBB448_1261:
	s_mov_b32 s14, -1
                                        ; implicit-def: $vgpr2_vgpr3
.LBB448_1262:
	s_mov_b32 s1, 0
.LBB448_1263:
	s_delay_alu instid0(SALU_CYCLE_1)
	s_and_b32 vcc_lo, exec_lo, s1
	s_cbranch_vccz .LBB448_1265
; %bb.1264:
	v_cmp_ne_u16_e64 s14, 11, v11
	s_mov_b32 s15, -1
                                        ; implicit-def: $vgpr2_vgpr3
.LBB448_1265:
	s_delay_alu instid0(VALU_DEP_1)
	s_and_b32 vcc_lo, exec_lo, s14
	s_cbranch_vccnz .LBB448_1289
; %bb.1266:
	s_and_not1_b32 vcc_lo, exec_lo, s15
	s_cbranch_vccnz .LBB448_1268
.LBB448_1267:
	global_load_u8 v2, v[4:5], off
	s_mov_b32 s0, 0
	s_waitcnt vmcnt(1)
	v_mov_b32_e32 v3, s0
	s_mov_b32 s0, -1
	s_waitcnt vmcnt(0)
	v_cmp_ne_u16_e32 vcc_lo, 0, v2
	v_cndmask_b32_e64 v2, 0, 1, vcc_lo
.LBB448_1268:
.LBB448_1269:
	s_and_not1_b32 vcc_lo, exec_lo, s0
	s_cbranch_vccnz .LBB448_1962
.LBB448_1270:
	v_add_nc_u32_e32 v8, s9, v6
	v_cmp_gt_i16_e32 vcc_lo, 11, v11
	s_delay_alu instid0(VALU_DEP_2) | instskip(SKIP_1) | instid1(VALU_DEP_1)
	v_ashrrev_i32_e32 v4, 31, v8
	v_add_co_u32 v6, s0, s6, v8
	v_add_co_ci_u32_e64 v7, s0, s7, v4, s0
	s_cbranch_vccnz .LBB448_1277
; %bb.1271:
	v_cmp_lt_i16_e32 vcc_lo, 25, v11
	s_mov_b32 s15, 0
	s_cbranch_vccz .LBB448_1283
; %bb.1272:
	v_cmp_lt_i16_e32 vcc_lo, 28, v11
	s_cbranch_vccz .LBB448_1285
; %bb.1273:
	v_cmp_lt_i16_e32 vcc_lo, 43, v11
	;; [unrolled: 3-line block ×3, first 2 shown]
	s_cbranch_vccz .LBB448_1291
; %bb.1275:
	v_cmp_eq_u16_e32 vcc_lo, 46, v11
	s_mov_b32 s1, 0
	s_cbranch_vccz .LBB448_1334
; %bb.1276:
	global_load_b32 v4, v[6:7], off
	s_mov_b32 s14, 0
	s_mov_b32 s0, -1
	s_waitcnt vmcnt(0)
	v_lshlrev_b32_e32 v4, 16, v4
	s_delay_alu instid0(VALU_DEP_1) | instskip(NEXT) | instid1(VALU_DEP_1)
	v_trunc_f32_e32 v4, v4
	v_mul_f32_e64 v5, 0x2f800000, |v4|
	v_ashrrev_i32_e32 v12, 31, v4
	s_delay_alu instid0(VALU_DEP_2) | instskip(NEXT) | instid1(VALU_DEP_1)
	v_floor_f32_e32 v5, v5
	v_fma_f32 v9, 0xcf800000, v5, |v4|
	v_cvt_u32_f32_e32 v5, v5
	s_delay_alu instid0(VALU_DEP_2) | instskip(NEXT) | instid1(VALU_DEP_2)
	v_cvt_u32_f32_e32 v4, v9
	v_xor_b32_e32 v5, v5, v12
	s_delay_alu instid0(VALU_DEP_2) | instskip(NEXT) | instid1(VALU_DEP_1)
	v_xor_b32_e32 v4, v4, v12
	v_sub_co_u32 v4, vcc_lo, v4, v12
	s_delay_alu instid0(VALU_DEP_3)
	v_sub_co_ci_u32_e32 v5, vcc_lo, v5, v12, vcc_lo
	s_branch .LBB448_1336
.LBB448_1277:
	s_mov_b32 s0, 0
                                        ; implicit-def: $vgpr4_vgpr5
	s_cbranch_execz .LBB448_1398
; %bb.1278:
	v_cmp_gt_i16_e32 vcc_lo, 5, v11
	s_cbranch_vccnz .LBB448_1284
; %bb.1279:
	v_cmp_gt_i16_e32 vcc_lo, 8, v11
	s_cbranch_vccnz .LBB448_1286
	;; [unrolled: 3-line block ×3, first 2 shown]
; %bb.1281:
	v_cmp_lt_i16_e32 vcc_lo, 9, v11
	s_cbranch_vccz .LBB448_1292
; %bb.1282:
	global_load_b64 v[4:5], v[6:7], off
	s_mov_b32 s0, 0
	s_waitcnt vmcnt(0)
	v_trunc_f64_e32 v[4:5], v[4:5]
	s_delay_alu instid0(VALU_DEP_1) | instskip(NEXT) | instid1(VALU_DEP_1)
	v_ldexp_f64 v[12:13], v[4:5], 0xffffffe0
	v_floor_f64_e32 v[12:13], v[12:13]
	s_delay_alu instid0(VALU_DEP_1) | instskip(SKIP_1) | instid1(VALU_DEP_2)
	v_fma_f64 v[14:15], 0xc1f00000, v[12:13], v[4:5]
	v_cvt_i32_f64_e32 v5, v[12:13]
	v_cvt_u32_f64_e32 v4, v[14:15]
	s_branch .LBB448_1293
.LBB448_1283:
	s_mov_b32 s1, -1
	s_mov_b32 s0, 0
	s_mov_b32 s14, 0
                                        ; implicit-def: $vgpr4_vgpr5
	s_branch .LBB448_1365
.LBB448_1284:
	s_mov_b32 s0, -1
                                        ; implicit-def: $vgpr4_vgpr5
	s_branch .LBB448_1311
.LBB448_1285:
	s_mov_b32 s1, -1
	s_mov_b32 s0, 0
	s_mov_b32 s14, 0
                                        ; implicit-def: $vgpr4_vgpr5
	s_branch .LBB448_1346
.LBB448_1286:
	s_mov_b32 s0, -1
                                        ; implicit-def: $vgpr4_vgpr5
	s_branch .LBB448_1299
.LBB448_1287:
	s_mov_b32 s1, -1
	s_mov_b32 s0, 0
	s_mov_b32 s14, 0
                                        ; implicit-def: $vgpr4_vgpr5
	s_branch .LBB448_1341
.LBB448_1288:
	s_mov_b32 s0, -1
                                        ; implicit-def: $vgpr4_vgpr5
	s_branch .LBB448_1296
.LBB448_1289:
	s_cbranch_execnz .LBB448_1332
; %bb.1290:
	s_or_b32 s3, s3, exec_lo
                                        ; implicit-def: $vgpr2_vgpr3
	s_cbranch_execz .LBB448_1267
	s_branch .LBB448_1268
.LBB448_1291:
	s_mov_b32 s1, -1
	s_mov_b32 s0, 0
	s_mov_b32 s14, 0
	s_branch .LBB448_1335
.LBB448_1292:
	s_mov_b32 s0, -1
                                        ; implicit-def: $vgpr4_vgpr5
.LBB448_1293:
	s_delay_alu instid0(SALU_CYCLE_1)
	s_and_not1_b32 vcc_lo, exec_lo, s0
	s_cbranch_vccnz .LBB448_1295
; %bb.1294:
	global_load_b32 v4, v[6:7], off
	s_waitcnt vmcnt(0)
	v_trunc_f32_e32 v4, v4
	s_delay_alu instid0(VALU_DEP_1) | instskip(SKIP_1) | instid1(VALU_DEP_2)
	v_mul_f32_e64 v5, 0x2f800000, |v4|
	v_ashrrev_i32_e32 v12, 31, v4
	v_floor_f32_e32 v5, v5
	s_delay_alu instid0(VALU_DEP_1) | instskip(SKIP_1) | instid1(VALU_DEP_2)
	v_fma_f32 v9, 0xcf800000, v5, |v4|
	v_cvt_u32_f32_e32 v5, v5
	v_cvt_u32_f32_e32 v4, v9
	s_delay_alu instid0(VALU_DEP_2) | instskip(NEXT) | instid1(VALU_DEP_2)
	v_xor_b32_e32 v5, v5, v12
	v_xor_b32_e32 v4, v4, v12
	s_delay_alu instid0(VALU_DEP_1) | instskip(NEXT) | instid1(VALU_DEP_3)
	v_sub_co_u32 v4, vcc_lo, v4, v12
	v_sub_co_ci_u32_e32 v5, vcc_lo, v5, v12, vcc_lo
.LBB448_1295:
	s_mov_b32 s0, 0
.LBB448_1296:
	s_delay_alu instid0(SALU_CYCLE_1)
	s_and_not1_b32 vcc_lo, exec_lo, s0
	s_cbranch_vccnz .LBB448_1298
; %bb.1297:
	global_load_b32 v4, v[6:7], off
	s_waitcnt vmcnt(0)
	v_cvt_f32_f16_e32 v4, v4
	s_delay_alu instid0(VALU_DEP_1) | instskip(NEXT) | instid1(VALU_DEP_1)
	v_cvt_i32_f32_e32 v4, v4
	v_ashrrev_i32_e32 v5, 31, v4
.LBB448_1298:
	s_mov_b32 s0, 0
.LBB448_1299:
	s_delay_alu instid0(SALU_CYCLE_1)
	s_and_not1_b32 vcc_lo, exec_lo, s0
	s_cbranch_vccnz .LBB448_1310
; %bb.1300:
	v_cmp_gt_i16_e32 vcc_lo, 6, v11
	s_cbranch_vccnz .LBB448_1303
; %bb.1301:
	v_cmp_lt_i16_e32 vcc_lo, 6, v11
	s_cbranch_vccz .LBB448_1304
; %bb.1302:
	global_load_b64 v[4:5], v[6:7], off
	s_mov_b32 s0, 0
	s_waitcnt vmcnt(0)
	v_trunc_f64_e32 v[4:5], v[4:5]
	s_delay_alu instid0(VALU_DEP_1) | instskip(NEXT) | instid1(VALU_DEP_1)
	v_ldexp_f64 v[12:13], v[4:5], 0xffffffe0
	v_floor_f64_e32 v[12:13], v[12:13]
	s_delay_alu instid0(VALU_DEP_1) | instskip(SKIP_1) | instid1(VALU_DEP_2)
	v_fma_f64 v[14:15], 0xc1f00000, v[12:13], v[4:5]
	v_cvt_i32_f64_e32 v5, v[12:13]
	v_cvt_u32_f64_e32 v4, v[14:15]
	s_branch .LBB448_1305
.LBB448_1303:
	s_mov_b32 s0, -1
                                        ; implicit-def: $vgpr4_vgpr5
	s_branch .LBB448_1308
.LBB448_1304:
	s_mov_b32 s0, -1
                                        ; implicit-def: $vgpr4_vgpr5
.LBB448_1305:
	s_delay_alu instid0(SALU_CYCLE_1)
	s_and_not1_b32 vcc_lo, exec_lo, s0
	s_cbranch_vccnz .LBB448_1307
; %bb.1306:
	global_load_b32 v4, v[6:7], off
	s_waitcnt vmcnt(0)
	v_trunc_f32_e32 v4, v4
	s_delay_alu instid0(VALU_DEP_1) | instskip(SKIP_1) | instid1(VALU_DEP_2)
	v_mul_f32_e64 v5, 0x2f800000, |v4|
	v_ashrrev_i32_e32 v12, 31, v4
	v_floor_f32_e32 v5, v5
	s_delay_alu instid0(VALU_DEP_1) | instskip(SKIP_1) | instid1(VALU_DEP_2)
	v_fma_f32 v9, 0xcf800000, v5, |v4|
	v_cvt_u32_f32_e32 v5, v5
	v_cvt_u32_f32_e32 v4, v9
	s_delay_alu instid0(VALU_DEP_2) | instskip(NEXT) | instid1(VALU_DEP_2)
	v_xor_b32_e32 v5, v5, v12
	v_xor_b32_e32 v4, v4, v12
	s_delay_alu instid0(VALU_DEP_1) | instskip(NEXT) | instid1(VALU_DEP_3)
	v_sub_co_u32 v4, vcc_lo, v4, v12
	v_sub_co_ci_u32_e32 v5, vcc_lo, v5, v12, vcc_lo
.LBB448_1307:
	s_mov_b32 s0, 0
.LBB448_1308:
	s_delay_alu instid0(SALU_CYCLE_1)
	s_and_not1_b32 vcc_lo, exec_lo, s0
	s_cbranch_vccnz .LBB448_1310
; %bb.1309:
	global_load_u16 v4, v[6:7], off
	s_waitcnt vmcnt(0)
	v_cvt_f32_f16_e32 v4, v4
	s_delay_alu instid0(VALU_DEP_1) | instskip(NEXT) | instid1(VALU_DEP_1)
	v_cvt_i32_f32_e32 v4, v4
	v_ashrrev_i32_e32 v5, 31, v4
.LBB448_1310:
	s_mov_b32 s0, 0
.LBB448_1311:
	s_delay_alu instid0(SALU_CYCLE_1)
	s_and_not1_b32 vcc_lo, exec_lo, s0
	s_cbranch_vccnz .LBB448_1331
; %bb.1312:
	v_cmp_gt_i16_e32 vcc_lo, 2, v11
	s_cbranch_vccnz .LBB448_1316
; %bb.1313:
	v_cmp_gt_i16_e32 vcc_lo, 3, v11
	s_cbranch_vccnz .LBB448_1317
; %bb.1314:
	v_cmp_lt_i16_e32 vcc_lo, 3, v11
	s_cbranch_vccz .LBB448_1318
; %bb.1315:
	global_load_b64 v[4:5], v[6:7], off
	s_mov_b32 s0, 0
	s_branch .LBB448_1319
.LBB448_1316:
	s_mov_b32 s0, -1
                                        ; implicit-def: $vgpr4_vgpr5
	s_branch .LBB448_1325
.LBB448_1317:
	s_mov_b32 s0, -1
                                        ; implicit-def: $vgpr4_vgpr5
	s_branch .LBB448_1322
.LBB448_1318:
	s_mov_b32 s0, -1
                                        ; implicit-def: $vgpr4_vgpr5
.LBB448_1319:
	s_delay_alu instid0(SALU_CYCLE_1)
	s_and_not1_b32 vcc_lo, exec_lo, s0
	s_cbranch_vccnz .LBB448_1321
; %bb.1320:
	global_load_b32 v4, v[6:7], off
	s_waitcnt vmcnt(0)
	v_ashrrev_i32_e32 v5, 31, v4
.LBB448_1321:
	s_mov_b32 s0, 0
.LBB448_1322:
	s_delay_alu instid0(SALU_CYCLE_1)
	s_and_not1_b32 vcc_lo, exec_lo, s0
	s_cbranch_vccnz .LBB448_1324
; %bb.1323:
	global_load_u16 v4, v[6:7], off
	s_waitcnt vmcnt(0)
	v_bfe_i32 v4, v4, 0, 16
	s_delay_alu instid0(VALU_DEP_1)
	v_ashrrev_i32_e32 v5, 31, v4
.LBB448_1324:
	s_mov_b32 s0, 0
.LBB448_1325:
	s_delay_alu instid0(SALU_CYCLE_1)
	s_and_not1_b32 vcc_lo, exec_lo, s0
	s_cbranch_vccnz .LBB448_1331
; %bb.1326:
	v_cmp_lt_i16_e32 vcc_lo, 0, v11
	s_mov_b32 s0, 0
	s_cbranch_vccz .LBB448_1328
; %bb.1327:
	global_load_i8 v4, v[6:7], off
	s_waitcnt vmcnt(0)
	v_bfe_i32 v4, v4, 0, 16
	s_delay_alu instid0(VALU_DEP_1)
	v_ashrrev_i32_e32 v5, 31, v4
	s_branch .LBB448_1329
.LBB448_1328:
	s_mov_b32 s0, -1
                                        ; implicit-def: $vgpr4_vgpr5
.LBB448_1329:
	s_delay_alu instid0(SALU_CYCLE_1)
	s_and_not1_b32 vcc_lo, exec_lo, s0
	s_cbranch_vccnz .LBB448_1331
; %bb.1330:
	global_load_u8 v4, v[6:7], off
	s_mov_b32 s0, 0
	s_waitcnt vmcnt(0)
	v_dual_mov_b32 v5, s0 :: v_dual_and_b32 v4, 0xffff, v4
.LBB448_1331:
	s_branch .LBB448_1399
.LBB448_1332:
	s_trap 2
	s_sendmsg_rtn_b32 s0, sendmsg(MSG_RTN_GET_DOORBELL)
	s_mov_b32 ttmp2, m0
	s_waitcnt lgkmcnt(0)
	s_and_b32 s0, s0, 0x3ff
	s_delay_alu instid0(SALU_CYCLE_1) | instskip(NEXT) | instid1(SALU_CYCLE_1)
	s_bitset1_b32 s0, 10
	s_mov_b32 m0, s0
	s_sendmsg sendmsg(MSG_INTERRUPT)
	s_mov_b32 m0, ttmp2
.LBB448_1333:                           ; =>This Inner Loop Header: Depth=1
	s_sethalt 5
	s_branch .LBB448_1333
.LBB448_1334:
	s_mov_b32 s14, -1
	s_mov_b32 s0, 0
.LBB448_1335:
                                        ; implicit-def: $vgpr4_vgpr5
.LBB448_1336:
	s_and_b32 vcc_lo, exec_lo, s1
	s_cbranch_vccz .LBB448_1340
; %bb.1337:
	v_cmp_eq_u16_e32 vcc_lo, 44, v11
	s_cbranch_vccz .LBB448_1339
; %bb.1338:
	global_load_u8 v4, v[6:7], off
	s_mov_b32 s14, 0
	s_mov_b32 s0, -1
	s_waitcnt vmcnt(0)
	v_lshlrev_b32_e32 v5, 23, v4
	s_delay_alu instid0(VALU_DEP_1) | instskip(NEXT) | instid1(VALU_DEP_1)
	v_trunc_f32_e32 v5, v5
	v_mul_f32_e64 v9, 0x2f800000, |v5|
	s_delay_alu instid0(VALU_DEP_1) | instskip(NEXT) | instid1(VALU_DEP_1)
	v_floor_f32_e32 v9, v9
	v_fma_f32 v12, 0xcf800000, v9, |v5|
	v_ashrrev_i32_e32 v5, 31, v5
	v_cvt_u32_f32_e32 v9, v9
	s_delay_alu instid0(VALU_DEP_3) | instskip(NEXT) | instid1(VALU_DEP_2)
	v_cvt_u32_f32_e32 v12, v12
	v_xor_b32_e32 v9, v9, v5
	s_delay_alu instid0(VALU_DEP_2) | instskip(NEXT) | instid1(VALU_DEP_1)
	v_xor_b32_e32 v12, v12, v5
	v_sub_co_u32 v12, vcc_lo, v12, v5
	s_delay_alu instid0(VALU_DEP_3) | instskip(SKIP_1) | instid1(VALU_DEP_2)
	v_sub_co_ci_u32_e32 v5, vcc_lo, v9, v5, vcc_lo
	v_cmp_ne_u32_e32 vcc_lo, 0, v4
	v_dual_cndmask_b32 v5, 0, v5 :: v_dual_cndmask_b32 v4, 0, v12
	s_branch .LBB448_1340
.LBB448_1339:
	s_mov_b32 s14, -1
                                        ; implicit-def: $vgpr4_vgpr5
.LBB448_1340:
	s_mov_b32 s1, 0
.LBB448_1341:
	s_delay_alu instid0(SALU_CYCLE_1)
	s_and_b32 vcc_lo, exec_lo, s1
	s_cbranch_vccz .LBB448_1345
; %bb.1342:
	v_cmp_eq_u16_e32 vcc_lo, 29, v11
	s_cbranch_vccz .LBB448_1344
; %bb.1343:
	global_load_b64 v[4:5], v[6:7], off
	s_mov_b32 s14, 0
	s_mov_b32 s0, -1
	s_branch .LBB448_1345
.LBB448_1344:
	s_mov_b32 s14, -1
                                        ; implicit-def: $vgpr4_vgpr5
.LBB448_1345:
	s_mov_b32 s1, 0
.LBB448_1346:
	s_delay_alu instid0(SALU_CYCLE_1)
	s_and_b32 vcc_lo, exec_lo, s1
	s_cbranch_vccz .LBB448_1364
; %bb.1347:
	v_cmp_gt_i16_e32 vcc_lo, 27, v11
	s_cbranch_vccnz .LBB448_1350
; %bb.1348:
	v_cmp_lt_i16_e32 vcc_lo, 27, v11
	s_cbranch_vccz .LBB448_1351
; %bb.1349:
	global_load_b32 v4, v[6:7], off
	s_waitcnt vmcnt(1)
	v_mov_b32_e32 v5, 0
	s_mov_b32 s0, 0
	s_branch .LBB448_1352
.LBB448_1350:
	s_mov_b32 s0, -1
                                        ; implicit-def: $vgpr4_vgpr5
	s_branch .LBB448_1355
.LBB448_1351:
	s_mov_b32 s0, -1
                                        ; implicit-def: $vgpr4_vgpr5
.LBB448_1352:
	s_delay_alu instid0(SALU_CYCLE_1)
	s_and_not1_b32 vcc_lo, exec_lo, s0
	s_cbranch_vccnz .LBB448_1354
; %bb.1353:
	global_load_u16 v4, v[6:7], off
	s_mov_b32 s0, 0
	s_waitcnt vmcnt(0)
	v_dual_mov_b32 v5, s0 :: v_dual_and_b32 v4, 0xffff, v4
.LBB448_1354:
	s_mov_b32 s0, 0
.LBB448_1355:
	s_delay_alu instid0(SALU_CYCLE_1)
	s_and_not1_b32 vcc_lo, exec_lo, s0
	s_cbranch_vccnz .LBB448_1363
; %bb.1356:
	global_load_u8 v9, v[6:7], off
	s_mov_b32 s16, 0
	s_mov_b32 s17, exec_lo
                                        ; implicit-def: $sgpr0_sgpr1
	s_waitcnt vmcnt(0)
	v_cmpx_lt_i16_e32 0x7f, v9
	s_xor_b32 s17, exec_lo, s17
; %bb.1357:
	v_cmp_ne_u16_e32 vcc_lo, 0x80, v9
	s_mov_b64 s[0:1], 0
	s_and_b32 s16, vcc_lo, exec_lo
; %bb.1358:
	s_or_saveexec_b32 s17, s17
	v_dual_mov_b32 v5, s1 :: v_dual_mov_b32 v4, s0
	s_xor_b32 exec_lo, exec_lo, s17
; %bb.1359:
	v_cmp_ne_u16_e32 vcc_lo, 0, v9
	v_mov_b32_e32 v4, 0
	v_mov_b32_e32 v5, 0
	s_and_not1_b32 s0, s16, exec_lo
	s_and_b32 s1, vcc_lo, exec_lo
	s_delay_alu instid0(SALU_CYCLE_1)
	s_or_b32 s16, s0, s1
; %bb.1360:
	s_or_b32 exec_lo, exec_lo, s17
	s_and_saveexec_b32 s0, s16
	s_cbranch_execz .LBB448_1362
; %bb.1361:
	v_and_b32_e32 v4, 0xffff, v9
	v_lshlrev_b32_e32 v9, 24, v9
	s_delay_alu instid0(VALU_DEP_2) | instskip(NEXT) | instid1(VALU_DEP_2)
	v_and_b32_e32 v5, 7, v4
	v_and_b32_e32 v9, 0x80000000, v9
	s_delay_alu instid0(VALU_DEP_2) | instskip(NEXT) | instid1(VALU_DEP_1)
	v_clz_i32_u32_e32 v12, v5
	v_min_u32_e32 v12, 32, v12
	s_delay_alu instid0(VALU_DEP_1) | instskip(SKIP_1) | instid1(VALU_DEP_2)
	v_subrev_nc_u32_e32 v13, 28, v12
	v_sub_nc_u32_e32 v12, 29, v12
	v_lshlrev_b32_e32 v13, v13, v4
	v_bfe_u32 v4, v4, 3, 4
	s_delay_alu instid0(VALU_DEP_1) | instskip(NEXT) | instid1(VALU_DEP_3)
	v_cmp_eq_u32_e32 vcc_lo, 0, v4
	v_dual_cndmask_b32 v4, v4, v12 :: v_dual_and_b32 v13, 7, v13
	s_delay_alu instid0(VALU_DEP_1) | instskip(NEXT) | instid1(VALU_DEP_2)
	v_cndmask_b32_e32 v5, v5, v13, vcc_lo
	v_lshl_add_u32 v4, v4, 23, 0x3b800000
	s_delay_alu instid0(VALU_DEP_2) | instskip(NEXT) | instid1(VALU_DEP_1)
	v_lshlrev_b32_e32 v5, 20, v5
	v_or3_b32 v4, v9, v4, v5
	s_delay_alu instid0(VALU_DEP_1) | instskip(NEXT) | instid1(VALU_DEP_1)
	v_trunc_f32_e32 v4, v4
	v_mul_f32_e64 v5, 0x2f800000, |v4|
	v_ashrrev_i32_e32 v12, 31, v4
	s_delay_alu instid0(VALU_DEP_2) | instskip(NEXT) | instid1(VALU_DEP_1)
	v_floor_f32_e32 v5, v5
	v_fma_f32 v9, 0xcf800000, v5, |v4|
	v_cvt_u32_f32_e32 v5, v5
	s_delay_alu instid0(VALU_DEP_2) | instskip(NEXT) | instid1(VALU_DEP_2)
	v_cvt_u32_f32_e32 v4, v9
	v_xor_b32_e32 v5, v5, v12
	s_delay_alu instid0(VALU_DEP_2) | instskip(NEXT) | instid1(VALU_DEP_1)
	v_xor_b32_e32 v4, v4, v12
	v_sub_co_u32 v4, vcc_lo, v4, v12
	s_delay_alu instid0(VALU_DEP_3)
	v_sub_co_ci_u32_e32 v5, vcc_lo, v5, v12, vcc_lo
.LBB448_1362:
	s_or_b32 exec_lo, exec_lo, s0
.LBB448_1363:
	s_mov_b32 s0, -1
.LBB448_1364:
	s_mov_b32 s1, 0
.LBB448_1365:
	s_delay_alu instid0(SALU_CYCLE_1)
	s_and_b32 vcc_lo, exec_lo, s1
	s_cbranch_vccz .LBB448_1394
; %bb.1366:
	v_cmp_lt_i16_e32 vcc_lo, 22, v11
	s_cbranch_vccz .LBB448_1376
; %bb.1367:
	v_cmp_gt_i16_e32 vcc_lo, 24, v11
	s_cbranch_vccnz .LBB448_1377
; %bb.1368:
	v_cmp_lt_i16_e32 vcc_lo, 24, v11
	s_cbranch_vccz .LBB448_1378
; %bb.1369:
	global_load_u8 v9, v[6:7], off
	s_mov_b32 s16, exec_lo
                                        ; implicit-def: $sgpr0_sgpr1
	s_waitcnt vmcnt(0)
	v_cmpx_lt_i16_e32 0x7f, v9
	s_xor_b32 s16, exec_lo, s16
; %bb.1370:
	v_cmp_ne_u16_e32 vcc_lo, 0x80, v9
	s_mov_b64 s[0:1], 0
	s_and_b32 s15, vcc_lo, exec_lo
; %bb.1371:
	s_or_saveexec_b32 s16, s16
	v_dual_mov_b32 v5, s1 :: v_dual_mov_b32 v4, s0
	s_xor_b32 exec_lo, exec_lo, s16
; %bb.1372:
	v_cmp_ne_u16_e32 vcc_lo, 0, v9
	v_mov_b32_e32 v4, 0
	v_mov_b32_e32 v5, 0
	s_and_not1_b32 s0, s15, exec_lo
	s_and_b32 s1, vcc_lo, exec_lo
	s_delay_alu instid0(SALU_CYCLE_1)
	s_or_b32 s15, s0, s1
; %bb.1373:
	s_or_b32 exec_lo, exec_lo, s16
	s_and_saveexec_b32 s0, s15
	s_cbranch_execz .LBB448_1375
; %bb.1374:
	v_and_b32_e32 v4, 0xffff, v9
	v_lshlrev_b32_e32 v9, 24, v9
	s_delay_alu instid0(VALU_DEP_2) | instskip(NEXT) | instid1(VALU_DEP_2)
	v_and_b32_e32 v5, 3, v4
	v_and_b32_e32 v9, 0x80000000, v9
	s_delay_alu instid0(VALU_DEP_2) | instskip(NEXT) | instid1(VALU_DEP_1)
	v_clz_i32_u32_e32 v12, v5
	v_min_u32_e32 v12, 32, v12
	s_delay_alu instid0(VALU_DEP_1) | instskip(SKIP_1) | instid1(VALU_DEP_2)
	v_subrev_nc_u32_e32 v13, 29, v12
	v_sub_nc_u32_e32 v12, 30, v12
	v_lshlrev_b32_e32 v13, v13, v4
	v_bfe_u32 v4, v4, 2, 5
	s_delay_alu instid0(VALU_DEP_1) | instskip(NEXT) | instid1(VALU_DEP_3)
	v_cmp_eq_u32_e32 vcc_lo, 0, v4
	v_dual_cndmask_b32 v4, v4, v12 :: v_dual_and_b32 v13, 3, v13
	s_delay_alu instid0(VALU_DEP_1) | instskip(NEXT) | instid1(VALU_DEP_2)
	v_cndmask_b32_e32 v5, v5, v13, vcc_lo
	v_lshl_add_u32 v4, v4, 23, 0x37800000
	s_delay_alu instid0(VALU_DEP_2) | instskip(NEXT) | instid1(VALU_DEP_1)
	v_lshlrev_b32_e32 v5, 21, v5
	v_or3_b32 v4, v9, v4, v5
	s_delay_alu instid0(VALU_DEP_1) | instskip(NEXT) | instid1(VALU_DEP_1)
	v_trunc_f32_e32 v4, v4
	v_mul_f32_e64 v5, 0x2f800000, |v4|
	v_ashrrev_i32_e32 v12, 31, v4
	s_delay_alu instid0(VALU_DEP_2) | instskip(NEXT) | instid1(VALU_DEP_1)
	v_floor_f32_e32 v5, v5
	v_fma_f32 v9, 0xcf800000, v5, |v4|
	v_cvt_u32_f32_e32 v5, v5
	s_delay_alu instid0(VALU_DEP_2) | instskip(NEXT) | instid1(VALU_DEP_2)
	v_cvt_u32_f32_e32 v4, v9
	v_xor_b32_e32 v5, v5, v12
	s_delay_alu instid0(VALU_DEP_2) | instskip(NEXT) | instid1(VALU_DEP_1)
	v_xor_b32_e32 v4, v4, v12
	v_sub_co_u32 v4, vcc_lo, v4, v12
	s_delay_alu instid0(VALU_DEP_3)
	v_sub_co_ci_u32_e32 v5, vcc_lo, v5, v12, vcc_lo
.LBB448_1375:
	s_or_b32 exec_lo, exec_lo, s0
	s_mov_b32 s0, 0
	s_branch .LBB448_1379
.LBB448_1376:
	s_mov_b32 s1, -1
                                        ; implicit-def: $vgpr4_vgpr5
	s_branch .LBB448_1385
.LBB448_1377:
	s_mov_b32 s0, -1
                                        ; implicit-def: $vgpr4_vgpr5
	s_branch .LBB448_1382
.LBB448_1378:
	s_mov_b32 s0, -1
                                        ; implicit-def: $vgpr4_vgpr5
.LBB448_1379:
	s_delay_alu instid0(SALU_CYCLE_1)
	s_and_b32 vcc_lo, exec_lo, s0
	s_cbranch_vccz .LBB448_1381
; %bb.1380:
	global_load_u8 v4, v[6:7], off
	s_waitcnt vmcnt(0)
	v_lshlrev_b32_e32 v4, 24, v4
	s_delay_alu instid0(VALU_DEP_1) | instskip(NEXT) | instid1(VALU_DEP_1)
	v_and_b32_e32 v5, 0x7f000000, v4
	v_clz_i32_u32_e32 v9, v5
	v_add_nc_u32_e32 v13, 0x1000000, v5
	v_cmp_ne_u32_e32 vcc_lo, 0, v5
	s_delay_alu instid0(VALU_DEP_3) | instskip(NEXT) | instid1(VALU_DEP_1)
	v_min_u32_e32 v9, 32, v9
	v_sub_nc_u32_e64 v9, v9, 4 clamp
	s_delay_alu instid0(VALU_DEP_1) | instskip(SKIP_1) | instid1(VALU_DEP_2)
	v_lshlrev_b32_e32 v12, v9, v5
	v_lshlrev_b32_e32 v9, 23, v9
	v_lshrrev_b32_e32 v12, 4, v12
	s_delay_alu instid0(VALU_DEP_1) | instskip(SKIP_1) | instid1(VALU_DEP_2)
	v_sub_nc_u32_e32 v9, v12, v9
	v_ashrrev_i32_e32 v12, 8, v13
	v_add_nc_u32_e32 v9, 0x3c000000, v9
	s_delay_alu instid0(VALU_DEP_1) | instskip(NEXT) | instid1(VALU_DEP_1)
	v_and_or_b32 v9, 0x7f800000, v12, v9
	v_cndmask_b32_e32 v5, 0, v9, vcc_lo
	s_delay_alu instid0(VALU_DEP_1) | instskip(NEXT) | instid1(VALU_DEP_1)
	v_and_or_b32 v4, 0x80000000, v4, v5
	v_trunc_f32_e32 v4, v4
	s_delay_alu instid0(VALU_DEP_1) | instskip(SKIP_1) | instid1(VALU_DEP_2)
	v_mul_f32_e64 v5, 0x2f800000, |v4|
	v_ashrrev_i32_e32 v12, 31, v4
	v_floor_f32_e32 v5, v5
	s_delay_alu instid0(VALU_DEP_1) | instskip(SKIP_1) | instid1(VALU_DEP_2)
	v_fma_f32 v9, 0xcf800000, v5, |v4|
	v_cvt_u32_f32_e32 v5, v5
	v_cvt_u32_f32_e32 v4, v9
	s_delay_alu instid0(VALU_DEP_2) | instskip(NEXT) | instid1(VALU_DEP_2)
	v_xor_b32_e32 v5, v5, v12
	v_xor_b32_e32 v4, v4, v12
	s_delay_alu instid0(VALU_DEP_1) | instskip(NEXT) | instid1(VALU_DEP_3)
	v_sub_co_u32 v4, vcc_lo, v4, v12
	v_sub_co_ci_u32_e32 v5, vcc_lo, v5, v12, vcc_lo
.LBB448_1381:
	s_mov_b32 s0, 0
.LBB448_1382:
	s_delay_alu instid0(SALU_CYCLE_1)
	s_and_not1_b32 vcc_lo, exec_lo, s0
	s_cbranch_vccnz .LBB448_1384
; %bb.1383:
	global_load_u8 v4, v[6:7], off
	s_waitcnt vmcnt(0)
	v_lshlrev_b32_e32 v5, 25, v4
	v_lshlrev_b16 v4, 8, v4
	s_delay_alu instid0(VALU_DEP_2) | instskip(NEXT) | instid1(VALU_DEP_2)
	v_lshrrev_b32_e32 v9, 4, v5
	v_and_or_b32 v12, 0x7f00, v4, 0.5
	v_cmp_gt_u32_e32 vcc_lo, 0x8000000, v5
	v_bfe_i32 v4, v4, 0, 16
	s_delay_alu instid0(VALU_DEP_4) | instskip(NEXT) | instid1(VALU_DEP_1)
	v_or_b32_e32 v9, 0x70000000, v9
	v_dual_add_f32 v12, -0.5, v12 :: v_dual_mul_f32 v9, 0x7800000, v9
	s_delay_alu instid0(VALU_DEP_1) | instskip(NEXT) | instid1(VALU_DEP_1)
	v_cndmask_b32_e32 v5, v9, v12, vcc_lo
	v_and_or_b32 v4, 0x80000000, v4, v5
	s_delay_alu instid0(VALU_DEP_1) | instskip(NEXT) | instid1(VALU_DEP_1)
	v_trunc_f32_e32 v4, v4
	v_mul_f32_e64 v5, 0x2f800000, |v4|
	v_ashrrev_i32_e32 v12, 31, v4
	s_delay_alu instid0(VALU_DEP_2) | instskip(NEXT) | instid1(VALU_DEP_1)
	v_floor_f32_e32 v5, v5
	v_fma_f32 v9, 0xcf800000, v5, |v4|
	v_cvt_u32_f32_e32 v5, v5
	s_delay_alu instid0(VALU_DEP_2) | instskip(NEXT) | instid1(VALU_DEP_2)
	v_cvt_u32_f32_e32 v4, v9
	v_xor_b32_e32 v5, v5, v12
	s_delay_alu instid0(VALU_DEP_2) | instskip(NEXT) | instid1(VALU_DEP_1)
	v_xor_b32_e32 v4, v4, v12
	v_sub_co_u32 v4, vcc_lo, v4, v12
	s_delay_alu instid0(VALU_DEP_3)
	v_sub_co_ci_u32_e32 v5, vcc_lo, v5, v12, vcc_lo
.LBB448_1384:
	s_mov_b32 s1, 0
	s_mov_b32 s0, -1
.LBB448_1385:
	s_and_not1_b32 vcc_lo, exec_lo, s1
	s_mov_b32 s15, 0
	s_cbranch_vccnz .LBB448_1394
; %bb.1386:
	v_cmp_lt_i16_e32 vcc_lo, 14, v11
	s_cbranch_vccz .LBB448_1389
; %bb.1387:
	v_cmp_eq_u16_e32 vcc_lo, 15, v11
	s_cbranch_vccz .LBB448_1390
; %bb.1388:
	global_load_u16 v4, v[6:7], off
	s_mov_b32 s14, 0
	s_mov_b32 s0, -1
	s_waitcnt vmcnt(0)
	v_lshlrev_b32_e32 v4, 16, v4
	s_delay_alu instid0(VALU_DEP_1) | instskip(NEXT) | instid1(VALU_DEP_1)
	v_trunc_f32_e32 v4, v4
	v_mul_f32_e64 v5, 0x2f800000, |v4|
	v_ashrrev_i32_e32 v12, 31, v4
	s_delay_alu instid0(VALU_DEP_2) | instskip(NEXT) | instid1(VALU_DEP_1)
	v_floor_f32_e32 v5, v5
	v_fma_f32 v9, 0xcf800000, v5, |v4|
	v_cvt_u32_f32_e32 v5, v5
	s_delay_alu instid0(VALU_DEP_2) | instskip(NEXT) | instid1(VALU_DEP_2)
	v_cvt_u32_f32_e32 v4, v9
	v_xor_b32_e32 v5, v5, v12
	s_delay_alu instid0(VALU_DEP_2) | instskip(NEXT) | instid1(VALU_DEP_1)
	v_xor_b32_e32 v4, v4, v12
	v_sub_co_u32 v4, vcc_lo, v4, v12
	s_delay_alu instid0(VALU_DEP_3)
	v_sub_co_ci_u32_e32 v5, vcc_lo, v5, v12, vcc_lo
	s_branch .LBB448_1391
.LBB448_1389:
	s_mov_b32 s1, -1
                                        ; implicit-def: $vgpr4_vgpr5
	s_branch .LBB448_1392
.LBB448_1390:
	s_mov_b32 s14, -1
                                        ; implicit-def: $vgpr4_vgpr5
.LBB448_1391:
	s_mov_b32 s1, 0
.LBB448_1392:
	s_delay_alu instid0(SALU_CYCLE_1)
	s_and_b32 vcc_lo, exec_lo, s1
	s_cbranch_vccz .LBB448_1394
; %bb.1393:
	v_cmp_ne_u16_e64 s14, 11, v11
	s_mov_b32 s15, -1
                                        ; implicit-def: $vgpr4_vgpr5
.LBB448_1394:
	s_delay_alu instid0(VALU_DEP_1)
	s_and_b32 vcc_lo, exec_lo, s14
	s_cbranch_vccnz .LBB448_1410
; %bb.1395:
	s_and_not1_b32 vcc_lo, exec_lo, s15
	s_cbranch_vccnz .LBB448_1397
.LBB448_1396:
	global_load_u8 v4, v[6:7], off
	s_mov_b32 s0, 0
	s_waitcnt vmcnt(1)
	v_mov_b32_e32 v5, s0
	s_mov_b32 s0, -1
	s_waitcnt vmcnt(0)
	v_cmp_ne_u16_e32 vcc_lo, 0, v4
	v_cndmask_b32_e64 v4, 0, 1, vcc_lo
.LBB448_1397:
.LBB448_1398:
	s_and_not1_b32 vcc_lo, exec_lo, s0
	s_cbranch_vccnz .LBB448_1962
.LBB448_1399:
	v_add_nc_u32_e32 v6, s9, v8
	v_cmp_gt_i16_e32 vcc_lo, 11, v11
	s_delay_alu instid0(VALU_DEP_2) | instskip(SKIP_1) | instid1(VALU_DEP_1)
	v_ashrrev_i32_e32 v7, 31, v6
	v_add_co_u32 v8, s0, s6, v6
	v_add_co_ci_u32_e64 v9, s0, s7, v7, s0
	s_cbranch_vccnz .LBB448_1406
; %bb.1400:
	v_cmp_lt_i16_e32 vcc_lo, 25, v11
	s_mov_b32 s7, 0
	s_cbranch_vccz .LBB448_1407
; %bb.1401:
	v_cmp_lt_i16_e32 vcc_lo, 28, v11
	s_cbranch_vccz .LBB448_1408
; %bb.1402:
	v_cmp_lt_i16_e32 vcc_lo, 43, v11
	;; [unrolled: 3-line block ×3, first 2 shown]
	s_cbranch_vccz .LBB448_1412
; %bb.1404:
	v_cmp_eq_u16_e32 vcc_lo, 46, v11
	s_mov_b32 s1, 0
	s_cbranch_vccz .LBB448_1415
; %bb.1405:
	global_load_b32 v6, v[8:9], off
	s_mov_b32 s6, 0
	s_mov_b32 s0, -1
	s_waitcnt vmcnt(0)
	v_lshlrev_b32_e32 v6, 16, v6
	s_delay_alu instid0(VALU_DEP_1) | instskip(NEXT) | instid1(VALU_DEP_1)
	v_trunc_f32_e32 v6, v6
	v_mul_f32_e64 v7, 0x2f800000, |v6|
	v_ashrrev_i32_e32 v13, 31, v6
	s_delay_alu instid0(VALU_DEP_2) | instskip(NEXT) | instid1(VALU_DEP_1)
	v_floor_f32_e32 v7, v7
	v_fma_f32 v12, 0xcf800000, v7, |v6|
	v_cvt_u32_f32_e32 v7, v7
	s_delay_alu instid0(VALU_DEP_2) | instskip(NEXT) | instid1(VALU_DEP_2)
	v_cvt_u32_f32_e32 v6, v12
	v_xor_b32_e32 v7, v7, v13
	s_delay_alu instid0(VALU_DEP_2) | instskip(NEXT) | instid1(VALU_DEP_1)
	v_xor_b32_e32 v6, v6, v13
	v_sub_co_u32 v6, vcc_lo, v6, v13
	s_delay_alu instid0(VALU_DEP_3)
	v_sub_co_ci_u32_e32 v7, vcc_lo, v7, v13, vcc_lo
	s_branch .LBB448_1417
.LBB448_1406:
	s_mov_b32 s1, -1
	s_mov_b32 s0, 0
                                        ; implicit-def: $vgpr6_vgpr7
	s_branch .LBB448_1479
.LBB448_1407:
	s_mov_b32 s1, -1
	s_mov_b32 s0, 0
	s_mov_b32 s6, 0
                                        ; implicit-def: $vgpr6_vgpr7
	s_branch .LBB448_1446
.LBB448_1408:
	s_mov_b32 s1, -1
	s_mov_b32 s0, 0
	s_mov_b32 s6, 0
                                        ; implicit-def: $vgpr6_vgpr7
	s_branch .LBB448_1427
.LBB448_1409:
	s_mov_b32 s1, -1
	s_mov_b32 s0, 0
	s_mov_b32 s6, 0
                                        ; implicit-def: $vgpr6_vgpr7
	s_branch .LBB448_1422
.LBB448_1410:
	s_cbranch_execnz .LBB448_1413
; %bb.1411:
	s_or_b32 s3, s3, exec_lo
                                        ; implicit-def: $vgpr4_vgpr5
	s_cbranch_execz .LBB448_1396
	s_branch .LBB448_1397
.LBB448_1412:
	s_mov_b32 s1, -1
	s_mov_b32 s0, 0
	s_mov_b32 s6, 0
	s_branch .LBB448_1416
.LBB448_1413:
	s_trap 2
	s_sendmsg_rtn_b32 s0, sendmsg(MSG_RTN_GET_DOORBELL)
	s_mov_b32 ttmp2, m0
	s_waitcnt lgkmcnt(0)
	s_and_b32 s0, s0, 0x3ff
	s_delay_alu instid0(SALU_CYCLE_1) | instskip(NEXT) | instid1(SALU_CYCLE_1)
	s_bitset1_b32 s0, 10
	s_mov_b32 m0, s0
	s_sendmsg sendmsg(MSG_INTERRUPT)
	s_mov_b32 m0, ttmp2
.LBB448_1414:                           ; =>This Inner Loop Header: Depth=1
	s_sethalt 5
	s_branch .LBB448_1414
.LBB448_1415:
	s_mov_b32 s6, -1
	s_mov_b32 s0, 0
.LBB448_1416:
                                        ; implicit-def: $vgpr6_vgpr7
.LBB448_1417:
	s_and_b32 vcc_lo, exec_lo, s1
	s_cbranch_vccz .LBB448_1421
; %bb.1418:
	v_cmp_eq_u16_e32 vcc_lo, 44, v11
	s_cbranch_vccz .LBB448_1420
; %bb.1419:
	global_load_u8 v6, v[8:9], off
	s_mov_b32 s6, 0
	s_mov_b32 s0, -1
	s_waitcnt vmcnt(0)
	v_lshlrev_b32_e32 v7, 23, v6
	s_delay_alu instid0(VALU_DEP_1) | instskip(NEXT) | instid1(VALU_DEP_1)
	v_trunc_f32_e32 v7, v7
	v_mul_f32_e64 v12, 0x2f800000, |v7|
	s_delay_alu instid0(VALU_DEP_1) | instskip(NEXT) | instid1(VALU_DEP_1)
	v_floor_f32_e32 v12, v12
	v_fma_f32 v13, 0xcf800000, v12, |v7|
	v_ashrrev_i32_e32 v7, 31, v7
	v_cvt_u32_f32_e32 v12, v12
	s_delay_alu instid0(VALU_DEP_3) | instskip(NEXT) | instid1(VALU_DEP_2)
	v_cvt_u32_f32_e32 v13, v13
	v_xor_b32_e32 v12, v12, v7
	s_delay_alu instid0(VALU_DEP_2) | instskip(NEXT) | instid1(VALU_DEP_1)
	v_xor_b32_e32 v13, v13, v7
	v_sub_co_u32 v13, vcc_lo, v13, v7
	s_delay_alu instid0(VALU_DEP_3) | instskip(SKIP_1) | instid1(VALU_DEP_2)
	v_sub_co_ci_u32_e32 v7, vcc_lo, v12, v7, vcc_lo
	v_cmp_ne_u32_e32 vcc_lo, 0, v6
	v_dual_cndmask_b32 v6, 0, v13 :: v_dual_cndmask_b32 v7, 0, v7
	s_branch .LBB448_1421
.LBB448_1420:
	s_mov_b32 s6, -1
                                        ; implicit-def: $vgpr6_vgpr7
.LBB448_1421:
	s_mov_b32 s1, 0
.LBB448_1422:
	s_delay_alu instid0(SALU_CYCLE_1)
	s_and_b32 vcc_lo, exec_lo, s1
	s_cbranch_vccz .LBB448_1426
; %bb.1423:
	v_cmp_eq_u16_e32 vcc_lo, 29, v11
	s_cbranch_vccz .LBB448_1425
; %bb.1424:
	global_load_b64 v[6:7], v[8:9], off
	s_mov_b32 s6, 0
	s_mov_b32 s0, -1
	s_branch .LBB448_1426
.LBB448_1425:
	s_mov_b32 s6, -1
                                        ; implicit-def: $vgpr6_vgpr7
.LBB448_1426:
	s_mov_b32 s1, 0
.LBB448_1427:
	s_delay_alu instid0(SALU_CYCLE_1)
	s_and_b32 vcc_lo, exec_lo, s1
	s_cbranch_vccz .LBB448_1445
; %bb.1428:
	v_cmp_gt_i16_e32 vcc_lo, 27, v11
	s_cbranch_vccnz .LBB448_1431
; %bb.1429:
	v_cmp_lt_i16_e32 vcc_lo, 27, v11
	s_cbranch_vccz .LBB448_1432
; %bb.1430:
	global_load_b32 v6, v[8:9], off
	s_waitcnt vmcnt(1)
	v_mov_b32_e32 v7, 0
	s_mov_b32 s0, 0
	s_branch .LBB448_1433
.LBB448_1431:
	s_mov_b32 s0, -1
                                        ; implicit-def: $vgpr6_vgpr7
	s_branch .LBB448_1436
.LBB448_1432:
	s_mov_b32 s0, -1
                                        ; implicit-def: $vgpr6_vgpr7
.LBB448_1433:
	s_delay_alu instid0(SALU_CYCLE_1)
	s_and_not1_b32 vcc_lo, exec_lo, s0
	s_cbranch_vccnz .LBB448_1435
; %bb.1434:
	global_load_u16 v6, v[8:9], off
	s_mov_b32 s0, 0
	s_waitcnt vmcnt(0)
	v_dual_mov_b32 v7, s0 :: v_dual_and_b32 v6, 0xffff, v6
.LBB448_1435:
	s_mov_b32 s0, 0
.LBB448_1436:
	s_delay_alu instid0(SALU_CYCLE_1)
	s_and_not1_b32 vcc_lo, exec_lo, s0
	s_cbranch_vccnz .LBB448_1444
; %bb.1437:
	global_load_u8 v12, v[8:9], off
	s_mov_b32 s9, 0
	s_mov_b32 s14, exec_lo
                                        ; implicit-def: $sgpr0_sgpr1
	s_waitcnt vmcnt(0)
	v_cmpx_lt_i16_e32 0x7f, v12
	s_xor_b32 s14, exec_lo, s14
; %bb.1438:
	v_cmp_ne_u16_e32 vcc_lo, 0x80, v12
	s_mov_b64 s[0:1], 0
	s_and_b32 s9, vcc_lo, exec_lo
; %bb.1439:
	s_or_saveexec_b32 s14, s14
	v_dual_mov_b32 v7, s1 :: v_dual_mov_b32 v6, s0
	s_xor_b32 exec_lo, exec_lo, s14
; %bb.1440:
	v_cmp_ne_u16_e32 vcc_lo, 0, v12
	v_mov_b32_e32 v6, 0
	v_mov_b32_e32 v7, 0
	s_and_not1_b32 s0, s9, exec_lo
	s_and_b32 s1, vcc_lo, exec_lo
	s_delay_alu instid0(SALU_CYCLE_1)
	s_or_b32 s9, s0, s1
; %bb.1441:
	s_or_b32 exec_lo, exec_lo, s14
	s_and_saveexec_b32 s0, s9
	s_cbranch_execz .LBB448_1443
; %bb.1442:
	v_and_b32_e32 v6, 0xffff, v12
	v_lshlrev_b32_e32 v12, 24, v12
	s_delay_alu instid0(VALU_DEP_2) | instskip(NEXT) | instid1(VALU_DEP_2)
	v_and_b32_e32 v7, 7, v6
	v_and_b32_e32 v12, 0x80000000, v12
	s_delay_alu instid0(VALU_DEP_2) | instskip(NEXT) | instid1(VALU_DEP_1)
	v_clz_i32_u32_e32 v13, v7
	v_min_u32_e32 v13, 32, v13
	s_delay_alu instid0(VALU_DEP_1) | instskip(SKIP_1) | instid1(VALU_DEP_2)
	v_subrev_nc_u32_e32 v14, 28, v13
	v_sub_nc_u32_e32 v13, 29, v13
	v_lshlrev_b32_e32 v14, v14, v6
	v_bfe_u32 v6, v6, 3, 4
	s_delay_alu instid0(VALU_DEP_2) | instskip(NEXT) | instid1(VALU_DEP_2)
	v_and_b32_e32 v14, 7, v14
	v_cmp_eq_u32_e32 vcc_lo, 0, v6
	s_delay_alu instid0(VALU_DEP_2) | instskip(NEXT) | instid1(VALU_DEP_1)
	v_dual_cndmask_b32 v6, v6, v13 :: v_dual_cndmask_b32 v7, v7, v14
	v_lshl_add_u32 v6, v6, 23, 0x3b800000
	s_delay_alu instid0(VALU_DEP_2) | instskip(NEXT) | instid1(VALU_DEP_1)
	v_lshlrev_b32_e32 v7, 20, v7
	v_or3_b32 v6, v12, v6, v7
	s_delay_alu instid0(VALU_DEP_1) | instskip(NEXT) | instid1(VALU_DEP_1)
	v_trunc_f32_e32 v6, v6
	v_mul_f32_e64 v7, 0x2f800000, |v6|
	v_ashrrev_i32_e32 v13, 31, v6
	s_delay_alu instid0(VALU_DEP_2) | instskip(NEXT) | instid1(VALU_DEP_1)
	v_floor_f32_e32 v7, v7
	v_fma_f32 v12, 0xcf800000, v7, |v6|
	v_cvt_u32_f32_e32 v7, v7
	s_delay_alu instid0(VALU_DEP_2) | instskip(NEXT) | instid1(VALU_DEP_2)
	v_cvt_u32_f32_e32 v6, v12
	v_xor_b32_e32 v7, v7, v13
	s_delay_alu instid0(VALU_DEP_2) | instskip(NEXT) | instid1(VALU_DEP_1)
	v_xor_b32_e32 v6, v6, v13
	v_sub_co_u32 v6, vcc_lo, v6, v13
	s_delay_alu instid0(VALU_DEP_3)
	v_sub_co_ci_u32_e32 v7, vcc_lo, v7, v13, vcc_lo
.LBB448_1443:
	s_or_b32 exec_lo, exec_lo, s0
.LBB448_1444:
	s_mov_b32 s0, -1
.LBB448_1445:
	s_mov_b32 s1, 0
.LBB448_1446:
	s_delay_alu instid0(SALU_CYCLE_1)
	s_and_b32 vcc_lo, exec_lo, s1
	s_cbranch_vccz .LBB448_1475
; %bb.1447:
	v_cmp_lt_i16_e32 vcc_lo, 22, v11
	s_cbranch_vccz .LBB448_1457
; %bb.1448:
	v_cmp_gt_i16_e32 vcc_lo, 24, v11
	s_cbranch_vccnz .LBB448_1458
; %bb.1449:
	v_cmp_lt_i16_e32 vcc_lo, 24, v11
	s_cbranch_vccz .LBB448_1459
; %bb.1450:
	global_load_u8 v12, v[8:9], off
	s_mov_b32 s9, exec_lo
                                        ; implicit-def: $sgpr0_sgpr1
	s_waitcnt vmcnt(0)
	v_cmpx_lt_i16_e32 0x7f, v12
	s_xor_b32 s9, exec_lo, s9
; %bb.1451:
	v_cmp_ne_u16_e32 vcc_lo, 0x80, v12
	s_mov_b64 s[0:1], 0
	s_and_b32 s7, vcc_lo, exec_lo
; %bb.1452:
	s_or_saveexec_b32 s9, s9
	v_dual_mov_b32 v7, s1 :: v_dual_mov_b32 v6, s0
	s_xor_b32 exec_lo, exec_lo, s9
; %bb.1453:
	v_cmp_ne_u16_e32 vcc_lo, 0, v12
	v_mov_b32_e32 v6, 0
	v_mov_b32_e32 v7, 0
	s_and_not1_b32 s0, s7, exec_lo
	s_and_b32 s1, vcc_lo, exec_lo
	s_delay_alu instid0(SALU_CYCLE_1)
	s_or_b32 s7, s0, s1
; %bb.1454:
	s_or_b32 exec_lo, exec_lo, s9
	s_and_saveexec_b32 s0, s7
	s_cbranch_execz .LBB448_1456
; %bb.1455:
	v_and_b32_e32 v6, 0xffff, v12
	v_lshlrev_b32_e32 v12, 24, v12
	s_delay_alu instid0(VALU_DEP_2) | instskip(NEXT) | instid1(VALU_DEP_2)
	v_and_b32_e32 v7, 3, v6
	v_and_b32_e32 v12, 0x80000000, v12
	s_delay_alu instid0(VALU_DEP_2) | instskip(NEXT) | instid1(VALU_DEP_1)
	v_clz_i32_u32_e32 v13, v7
	v_min_u32_e32 v13, 32, v13
	s_delay_alu instid0(VALU_DEP_1) | instskip(SKIP_1) | instid1(VALU_DEP_2)
	v_subrev_nc_u32_e32 v14, 29, v13
	v_sub_nc_u32_e32 v13, 30, v13
	v_lshlrev_b32_e32 v14, v14, v6
	v_bfe_u32 v6, v6, 2, 5
	s_delay_alu instid0(VALU_DEP_2) | instskip(NEXT) | instid1(VALU_DEP_2)
	v_and_b32_e32 v14, 3, v14
	v_cmp_eq_u32_e32 vcc_lo, 0, v6
	s_delay_alu instid0(VALU_DEP_2) | instskip(NEXT) | instid1(VALU_DEP_1)
	v_dual_cndmask_b32 v6, v6, v13 :: v_dual_cndmask_b32 v7, v7, v14
	v_lshl_add_u32 v6, v6, 23, 0x37800000
	s_delay_alu instid0(VALU_DEP_2) | instskip(NEXT) | instid1(VALU_DEP_1)
	v_lshlrev_b32_e32 v7, 21, v7
	v_or3_b32 v6, v12, v6, v7
	s_delay_alu instid0(VALU_DEP_1) | instskip(NEXT) | instid1(VALU_DEP_1)
	v_trunc_f32_e32 v6, v6
	v_mul_f32_e64 v7, 0x2f800000, |v6|
	v_ashrrev_i32_e32 v13, 31, v6
	s_delay_alu instid0(VALU_DEP_2) | instskip(NEXT) | instid1(VALU_DEP_1)
	v_floor_f32_e32 v7, v7
	v_fma_f32 v12, 0xcf800000, v7, |v6|
	v_cvt_u32_f32_e32 v7, v7
	s_delay_alu instid0(VALU_DEP_2) | instskip(NEXT) | instid1(VALU_DEP_2)
	v_cvt_u32_f32_e32 v6, v12
	v_xor_b32_e32 v7, v7, v13
	s_delay_alu instid0(VALU_DEP_2) | instskip(NEXT) | instid1(VALU_DEP_1)
	v_xor_b32_e32 v6, v6, v13
	v_sub_co_u32 v6, vcc_lo, v6, v13
	s_delay_alu instid0(VALU_DEP_3)
	v_sub_co_ci_u32_e32 v7, vcc_lo, v7, v13, vcc_lo
.LBB448_1456:
	s_or_b32 exec_lo, exec_lo, s0
	s_mov_b32 s0, 0
	s_branch .LBB448_1460
.LBB448_1457:
	s_mov_b32 s1, -1
                                        ; implicit-def: $vgpr6_vgpr7
	s_branch .LBB448_1466
.LBB448_1458:
	s_mov_b32 s0, -1
                                        ; implicit-def: $vgpr6_vgpr7
	s_branch .LBB448_1463
.LBB448_1459:
	s_mov_b32 s0, -1
                                        ; implicit-def: $vgpr6_vgpr7
.LBB448_1460:
	s_delay_alu instid0(SALU_CYCLE_1)
	s_and_b32 vcc_lo, exec_lo, s0
	s_cbranch_vccz .LBB448_1462
; %bb.1461:
	global_load_u8 v6, v[8:9], off
	s_waitcnt vmcnt(0)
	v_lshlrev_b32_e32 v6, 24, v6
	s_delay_alu instid0(VALU_DEP_1) | instskip(NEXT) | instid1(VALU_DEP_1)
	v_and_b32_e32 v7, 0x7f000000, v6
	v_clz_i32_u32_e32 v12, v7
	v_add_nc_u32_e32 v14, 0x1000000, v7
	v_cmp_ne_u32_e32 vcc_lo, 0, v7
	s_delay_alu instid0(VALU_DEP_3) | instskip(NEXT) | instid1(VALU_DEP_1)
	v_min_u32_e32 v12, 32, v12
	v_sub_nc_u32_e64 v12, v12, 4 clamp
	s_delay_alu instid0(VALU_DEP_1) | instskip(SKIP_1) | instid1(VALU_DEP_2)
	v_lshlrev_b32_e32 v13, v12, v7
	v_lshlrev_b32_e32 v12, 23, v12
	v_lshrrev_b32_e32 v13, 4, v13
	s_delay_alu instid0(VALU_DEP_1) | instskip(SKIP_1) | instid1(VALU_DEP_2)
	v_sub_nc_u32_e32 v12, v13, v12
	v_ashrrev_i32_e32 v13, 8, v14
	v_add_nc_u32_e32 v12, 0x3c000000, v12
	s_delay_alu instid0(VALU_DEP_1) | instskip(NEXT) | instid1(VALU_DEP_1)
	v_and_or_b32 v12, 0x7f800000, v13, v12
	v_cndmask_b32_e32 v7, 0, v12, vcc_lo
	s_delay_alu instid0(VALU_DEP_1) | instskip(NEXT) | instid1(VALU_DEP_1)
	v_and_or_b32 v6, 0x80000000, v6, v7
	v_trunc_f32_e32 v6, v6
	s_delay_alu instid0(VALU_DEP_1) | instskip(SKIP_1) | instid1(VALU_DEP_2)
	v_mul_f32_e64 v7, 0x2f800000, |v6|
	v_ashrrev_i32_e32 v13, 31, v6
	v_floor_f32_e32 v7, v7
	s_delay_alu instid0(VALU_DEP_1) | instskip(SKIP_1) | instid1(VALU_DEP_2)
	v_fma_f32 v12, 0xcf800000, v7, |v6|
	v_cvt_u32_f32_e32 v7, v7
	v_cvt_u32_f32_e32 v6, v12
	s_delay_alu instid0(VALU_DEP_2) | instskip(NEXT) | instid1(VALU_DEP_2)
	v_xor_b32_e32 v7, v7, v13
	v_xor_b32_e32 v6, v6, v13
	s_delay_alu instid0(VALU_DEP_1) | instskip(NEXT) | instid1(VALU_DEP_3)
	v_sub_co_u32 v6, vcc_lo, v6, v13
	v_sub_co_ci_u32_e32 v7, vcc_lo, v7, v13, vcc_lo
.LBB448_1462:
	s_mov_b32 s0, 0
.LBB448_1463:
	s_delay_alu instid0(SALU_CYCLE_1)
	s_and_not1_b32 vcc_lo, exec_lo, s0
	s_cbranch_vccnz .LBB448_1465
; %bb.1464:
	global_load_u8 v6, v[8:9], off
	s_waitcnt vmcnt(0)
	v_lshlrev_b32_e32 v7, 25, v6
	v_lshlrev_b16 v6, 8, v6
	s_delay_alu instid0(VALU_DEP_2) | instskip(NEXT) | instid1(VALU_DEP_2)
	v_lshrrev_b32_e32 v12, 4, v7
	v_and_or_b32 v13, 0x7f00, v6, 0.5
	v_bfe_i32 v6, v6, 0, 16
	s_delay_alu instid0(VALU_DEP_3) | instskip(NEXT) | instid1(VALU_DEP_1)
	v_or_b32_e32 v12, 0x70000000, v12
	v_dual_add_f32 v13, -0.5, v13 :: v_dual_mul_f32 v12, 0x7800000, v12
	v_cmp_gt_u32_e32 vcc_lo, 0x8000000, v7
	s_delay_alu instid0(VALU_DEP_2) | instskip(NEXT) | instid1(VALU_DEP_1)
	v_cndmask_b32_e32 v7, v12, v13, vcc_lo
	v_and_or_b32 v6, 0x80000000, v6, v7
	s_delay_alu instid0(VALU_DEP_1) | instskip(NEXT) | instid1(VALU_DEP_1)
	v_trunc_f32_e32 v6, v6
	v_mul_f32_e64 v7, 0x2f800000, |v6|
	v_ashrrev_i32_e32 v13, 31, v6
	s_delay_alu instid0(VALU_DEP_2) | instskip(NEXT) | instid1(VALU_DEP_1)
	v_floor_f32_e32 v7, v7
	v_fma_f32 v12, 0xcf800000, v7, |v6|
	v_cvt_u32_f32_e32 v7, v7
	s_delay_alu instid0(VALU_DEP_2) | instskip(NEXT) | instid1(VALU_DEP_2)
	v_cvt_u32_f32_e32 v6, v12
	v_xor_b32_e32 v7, v7, v13
	s_delay_alu instid0(VALU_DEP_2) | instskip(NEXT) | instid1(VALU_DEP_1)
	v_xor_b32_e32 v6, v6, v13
	v_sub_co_u32 v6, vcc_lo, v6, v13
	s_delay_alu instid0(VALU_DEP_3)
	v_sub_co_ci_u32_e32 v7, vcc_lo, v7, v13, vcc_lo
.LBB448_1465:
	s_mov_b32 s1, 0
	s_mov_b32 s0, -1
.LBB448_1466:
	s_and_not1_b32 vcc_lo, exec_lo, s1
	s_mov_b32 s7, 0
	s_cbranch_vccnz .LBB448_1475
; %bb.1467:
	v_cmp_lt_i16_e32 vcc_lo, 14, v11
	s_cbranch_vccz .LBB448_1470
; %bb.1468:
	v_cmp_eq_u16_e32 vcc_lo, 15, v11
	s_cbranch_vccz .LBB448_1471
; %bb.1469:
	global_load_u16 v6, v[8:9], off
	s_mov_b32 s6, 0
	s_mov_b32 s0, -1
	s_waitcnt vmcnt(0)
	v_lshlrev_b32_e32 v6, 16, v6
	s_delay_alu instid0(VALU_DEP_1) | instskip(NEXT) | instid1(VALU_DEP_1)
	v_trunc_f32_e32 v6, v6
	v_mul_f32_e64 v7, 0x2f800000, |v6|
	v_ashrrev_i32_e32 v13, 31, v6
	s_delay_alu instid0(VALU_DEP_2) | instskip(NEXT) | instid1(VALU_DEP_1)
	v_floor_f32_e32 v7, v7
	v_fma_f32 v12, 0xcf800000, v7, |v6|
	v_cvt_u32_f32_e32 v7, v7
	s_delay_alu instid0(VALU_DEP_2) | instskip(NEXT) | instid1(VALU_DEP_2)
	v_cvt_u32_f32_e32 v6, v12
	v_xor_b32_e32 v7, v7, v13
	s_delay_alu instid0(VALU_DEP_2) | instskip(NEXT) | instid1(VALU_DEP_1)
	v_xor_b32_e32 v6, v6, v13
	v_sub_co_u32 v6, vcc_lo, v6, v13
	s_delay_alu instid0(VALU_DEP_3)
	v_sub_co_ci_u32_e32 v7, vcc_lo, v7, v13, vcc_lo
	s_branch .LBB448_1472
.LBB448_1470:
	s_mov_b32 s1, -1
                                        ; implicit-def: $vgpr6_vgpr7
	s_branch .LBB448_1473
.LBB448_1471:
	s_mov_b32 s6, -1
                                        ; implicit-def: $vgpr6_vgpr7
.LBB448_1472:
	s_mov_b32 s1, 0
.LBB448_1473:
	s_delay_alu instid0(SALU_CYCLE_1)
	s_and_b32 vcc_lo, exec_lo, s1
	s_cbranch_vccz .LBB448_1475
; %bb.1474:
	v_cmp_ne_u16_e64 s6, 11, v11
	s_mov_b32 s7, -1
                                        ; implicit-def: $vgpr6_vgpr7
.LBB448_1475:
	s_delay_alu instid0(VALU_DEP_1)
	s_and_b32 vcc_lo, exec_lo, s6
	s_cbranch_vccnz .LBB448_2008
; %bb.1476:
	s_and_not1_b32 vcc_lo, exec_lo, s7
	s_cbranch_vccnz .LBB448_1478
.LBB448_1477:
	global_load_u8 v6, v[8:9], off
	s_mov_b32 s0, 0
	s_waitcnt vmcnt(1)
	v_mov_b32_e32 v7, s0
	s_mov_b32 s0, -1
	s_waitcnt vmcnt(0)
	v_cmp_ne_u16_e32 vcc_lo, 0, v6
	v_cndmask_b32_e64 v6, 0, 1, vcc_lo
.LBB448_1478:
	s_mov_b32 s1, 0
.LBB448_1479:
	s_delay_alu instid0(SALU_CYCLE_1)
	s_and_b32 vcc_lo, exec_lo, s1
	s_cbranch_vccz .LBB448_1528
; %bb.1480:
	v_cmp_gt_i16_e32 vcc_lo, 5, v11
	s_cbranch_vccnz .LBB448_1485
; %bb.1481:
	v_cmp_gt_i16_e32 vcc_lo, 8, v11
	s_cbranch_vccnz .LBB448_1486
	;; [unrolled: 3-line block ×3, first 2 shown]
; %bb.1483:
	v_cmp_lt_i16_e32 vcc_lo, 9, v11
	s_cbranch_vccz .LBB448_1488
; %bb.1484:
	global_load_b64 v[6:7], v[8:9], off
	s_mov_b32 s0, 0
	s_waitcnt vmcnt(0)
	v_trunc_f64_e32 v[6:7], v[6:7]
	s_delay_alu instid0(VALU_DEP_1) | instskip(NEXT) | instid1(VALU_DEP_1)
	v_ldexp_f64 v[12:13], v[6:7], 0xffffffe0
	v_floor_f64_e32 v[12:13], v[12:13]
	s_delay_alu instid0(VALU_DEP_1) | instskip(SKIP_1) | instid1(VALU_DEP_2)
	v_fma_f64 v[14:15], 0xc1f00000, v[12:13], v[6:7]
	v_cvt_i32_f64_e32 v7, v[12:13]
	v_cvt_u32_f64_e32 v6, v[14:15]
	s_branch .LBB448_1489
.LBB448_1485:
	s_mov_b32 s0, -1
                                        ; implicit-def: $vgpr6_vgpr7
	s_branch .LBB448_1507
.LBB448_1486:
	s_mov_b32 s0, -1
                                        ; implicit-def: $vgpr6_vgpr7
	s_branch .LBB448_1495
.LBB448_1487:
	s_mov_b32 s0, -1
                                        ; implicit-def: $vgpr6_vgpr7
	s_branch .LBB448_1492
.LBB448_1488:
	s_mov_b32 s0, -1
                                        ; implicit-def: $vgpr6_vgpr7
.LBB448_1489:
	s_delay_alu instid0(SALU_CYCLE_1)
	s_and_not1_b32 vcc_lo, exec_lo, s0
	s_cbranch_vccnz .LBB448_1491
; %bb.1490:
	global_load_b32 v6, v[8:9], off
	s_waitcnt vmcnt(0)
	v_trunc_f32_e32 v6, v6
	s_delay_alu instid0(VALU_DEP_1) | instskip(SKIP_1) | instid1(VALU_DEP_2)
	v_mul_f32_e64 v7, 0x2f800000, |v6|
	v_ashrrev_i32_e32 v13, 31, v6
	v_floor_f32_e32 v7, v7
	s_delay_alu instid0(VALU_DEP_1) | instskip(SKIP_1) | instid1(VALU_DEP_2)
	v_fma_f32 v12, 0xcf800000, v7, |v6|
	v_cvt_u32_f32_e32 v7, v7
	v_cvt_u32_f32_e32 v6, v12
	s_delay_alu instid0(VALU_DEP_2) | instskip(NEXT) | instid1(VALU_DEP_2)
	v_xor_b32_e32 v7, v7, v13
	v_xor_b32_e32 v6, v6, v13
	s_delay_alu instid0(VALU_DEP_1) | instskip(NEXT) | instid1(VALU_DEP_3)
	v_sub_co_u32 v6, vcc_lo, v6, v13
	v_sub_co_ci_u32_e32 v7, vcc_lo, v7, v13, vcc_lo
.LBB448_1491:
	s_mov_b32 s0, 0
.LBB448_1492:
	s_delay_alu instid0(SALU_CYCLE_1)
	s_and_not1_b32 vcc_lo, exec_lo, s0
	s_cbranch_vccnz .LBB448_1494
; %bb.1493:
	global_load_b32 v6, v[8:9], off
	s_waitcnt vmcnt(0)
	v_cvt_f32_f16_e32 v6, v6
	s_delay_alu instid0(VALU_DEP_1) | instskip(NEXT) | instid1(VALU_DEP_1)
	v_cvt_i32_f32_e32 v6, v6
	v_ashrrev_i32_e32 v7, 31, v6
.LBB448_1494:
	s_mov_b32 s0, 0
.LBB448_1495:
	s_delay_alu instid0(SALU_CYCLE_1)
	s_and_not1_b32 vcc_lo, exec_lo, s0
	s_cbranch_vccnz .LBB448_1506
; %bb.1496:
	v_cmp_gt_i16_e32 vcc_lo, 6, v11
	s_cbranch_vccnz .LBB448_1499
; %bb.1497:
	v_cmp_lt_i16_e32 vcc_lo, 6, v11
	s_cbranch_vccz .LBB448_1500
; %bb.1498:
	global_load_b64 v[6:7], v[8:9], off
	s_mov_b32 s0, 0
	s_waitcnt vmcnt(0)
	v_trunc_f64_e32 v[6:7], v[6:7]
	s_delay_alu instid0(VALU_DEP_1) | instskip(NEXT) | instid1(VALU_DEP_1)
	v_ldexp_f64 v[12:13], v[6:7], 0xffffffe0
	v_floor_f64_e32 v[12:13], v[12:13]
	s_delay_alu instid0(VALU_DEP_1) | instskip(SKIP_1) | instid1(VALU_DEP_2)
	v_fma_f64 v[14:15], 0xc1f00000, v[12:13], v[6:7]
	v_cvt_i32_f64_e32 v7, v[12:13]
	v_cvt_u32_f64_e32 v6, v[14:15]
	s_branch .LBB448_1501
.LBB448_1499:
	s_mov_b32 s0, -1
                                        ; implicit-def: $vgpr6_vgpr7
	s_branch .LBB448_1504
.LBB448_1500:
	s_mov_b32 s0, -1
                                        ; implicit-def: $vgpr6_vgpr7
.LBB448_1501:
	s_delay_alu instid0(SALU_CYCLE_1)
	s_and_not1_b32 vcc_lo, exec_lo, s0
	s_cbranch_vccnz .LBB448_1503
; %bb.1502:
	global_load_b32 v6, v[8:9], off
	s_waitcnt vmcnt(0)
	v_trunc_f32_e32 v6, v6
	s_delay_alu instid0(VALU_DEP_1) | instskip(SKIP_1) | instid1(VALU_DEP_2)
	v_mul_f32_e64 v7, 0x2f800000, |v6|
	v_ashrrev_i32_e32 v13, 31, v6
	v_floor_f32_e32 v7, v7
	s_delay_alu instid0(VALU_DEP_1) | instskip(SKIP_1) | instid1(VALU_DEP_2)
	v_fma_f32 v12, 0xcf800000, v7, |v6|
	v_cvt_u32_f32_e32 v7, v7
	v_cvt_u32_f32_e32 v6, v12
	s_delay_alu instid0(VALU_DEP_2) | instskip(NEXT) | instid1(VALU_DEP_2)
	v_xor_b32_e32 v7, v7, v13
	v_xor_b32_e32 v6, v6, v13
	s_delay_alu instid0(VALU_DEP_1) | instskip(NEXT) | instid1(VALU_DEP_3)
	v_sub_co_u32 v6, vcc_lo, v6, v13
	v_sub_co_ci_u32_e32 v7, vcc_lo, v7, v13, vcc_lo
.LBB448_1503:
	s_mov_b32 s0, 0
.LBB448_1504:
	s_delay_alu instid0(SALU_CYCLE_1)
	s_and_not1_b32 vcc_lo, exec_lo, s0
	s_cbranch_vccnz .LBB448_1506
; %bb.1505:
	global_load_u16 v6, v[8:9], off
	s_waitcnt vmcnt(0)
	v_cvt_f32_f16_e32 v6, v6
	s_delay_alu instid0(VALU_DEP_1) | instskip(NEXT) | instid1(VALU_DEP_1)
	v_cvt_i32_f32_e32 v6, v6
	v_ashrrev_i32_e32 v7, 31, v6
.LBB448_1506:
	s_mov_b32 s0, 0
.LBB448_1507:
	s_delay_alu instid0(SALU_CYCLE_1)
	s_and_not1_b32 vcc_lo, exec_lo, s0
	s_cbranch_vccnz .LBB448_1527
; %bb.1508:
	v_cmp_gt_i16_e32 vcc_lo, 2, v11
	s_cbranch_vccnz .LBB448_1512
; %bb.1509:
	v_cmp_gt_i16_e32 vcc_lo, 3, v11
	s_cbranch_vccnz .LBB448_1513
; %bb.1510:
	v_cmp_lt_i16_e32 vcc_lo, 3, v11
	s_cbranch_vccz .LBB448_1514
; %bb.1511:
	global_load_b64 v[6:7], v[8:9], off
	s_mov_b32 s0, 0
	s_branch .LBB448_1515
.LBB448_1512:
	s_mov_b32 s0, -1
                                        ; implicit-def: $vgpr6_vgpr7
	s_branch .LBB448_1521
.LBB448_1513:
	s_mov_b32 s0, -1
                                        ; implicit-def: $vgpr6_vgpr7
	s_branch .LBB448_1518
.LBB448_1514:
	s_mov_b32 s0, -1
                                        ; implicit-def: $vgpr6_vgpr7
.LBB448_1515:
	s_delay_alu instid0(SALU_CYCLE_1)
	s_and_not1_b32 vcc_lo, exec_lo, s0
	s_cbranch_vccnz .LBB448_1517
; %bb.1516:
	global_load_b32 v6, v[8:9], off
	s_waitcnt vmcnt(0)
	v_ashrrev_i32_e32 v7, 31, v6
.LBB448_1517:
	s_mov_b32 s0, 0
.LBB448_1518:
	s_delay_alu instid0(SALU_CYCLE_1)
	s_and_not1_b32 vcc_lo, exec_lo, s0
	s_cbranch_vccnz .LBB448_1520
; %bb.1519:
	global_load_u16 v6, v[8:9], off
	s_waitcnt vmcnt(0)
	v_bfe_i32 v6, v6, 0, 16
	s_delay_alu instid0(VALU_DEP_1)
	v_ashrrev_i32_e32 v7, 31, v6
.LBB448_1520:
	s_mov_b32 s0, 0
.LBB448_1521:
	s_delay_alu instid0(SALU_CYCLE_1)
	s_and_not1_b32 vcc_lo, exec_lo, s0
	s_cbranch_vccnz .LBB448_1527
; %bb.1522:
	v_cmp_lt_i16_e32 vcc_lo, 0, v11
	s_mov_b32 s0, 0
	s_cbranch_vccz .LBB448_1524
; %bb.1523:
	global_load_i8 v6, v[8:9], off
	s_waitcnt vmcnt(0)
	v_bfe_i32 v6, v6, 0, 16
	s_delay_alu instid0(VALU_DEP_1)
	v_ashrrev_i32_e32 v7, 31, v6
	s_branch .LBB448_1525
.LBB448_1524:
	s_mov_b32 s0, -1
                                        ; implicit-def: $vgpr6_vgpr7
.LBB448_1525:
	s_delay_alu instid0(SALU_CYCLE_1)
	s_and_not1_b32 vcc_lo, exec_lo, s0
	s_cbranch_vccnz .LBB448_1527
; %bb.1526:
	global_load_u8 v6, v[8:9], off
	s_mov_b32 s0, 0
	s_waitcnt vmcnt(0)
	v_dual_mov_b32 v7, s0 :: v_dual_and_b32 v6, 0xffff, v6
.LBB448_1527:
	s_mov_b32 s0, -1
.LBB448_1528:
	s_delay_alu instid0(SALU_CYCLE_1)
	s_and_not1_b32 vcc_lo, exec_lo, s0
	s_cbranch_vccnz .LBB448_1962
; %bb.1529:
	v_mul_lo_u32 v10, s8, v10
	s_waitcnt vmcnt(0)
	v_cmp_gt_i64_e32 vcc_lo, s[10:11], v[0:1]
	v_and_b32_e64 v12, 0xff, s2
	s_delay_alu instid0(VALU_DEP_1) | instskip(NEXT) | instid1(VALU_DEP_4)
	v_cmp_gt_i16_e64 s0, 11, v12
	v_ashrrev_i32_e32 v9, 31, v10
	v_cndmask_b32_e32 v1, s11, v1, vcc_lo
	v_cndmask_b32_e32 v0, s10, v0, vcc_lo
	v_add_co_u32 v8, vcc_lo, s4, v10
	s_delay_alu instid0(VALU_DEP_4)
	v_add_co_ci_u32_e32 v9, vcc_lo, s5, v9, vcc_lo
	s_and_b32 vcc_lo, exec_lo, s0
	s_cbranch_vccnz .LBB448_1607
; %bb.1530:
	v_cmp_lt_i16_e32 vcc_lo, 25, v12
	s_mov_b32 s6, -1
	s_mov_b32 s1, 0
	s_mov_b32 s2, 0
	;; [unrolled: 1-line block ×3, first 2 shown]
	s_cbranch_vccz .LBB448_1563
; %bb.1531:
	v_cmp_lt_i16_e32 vcc_lo, 28, v12
	s_cbranch_vccz .LBB448_1546
; %bb.1532:
	v_cmp_lt_i16_e32 vcc_lo, 43, v12
	;; [unrolled: 3-line block ×3, first 2 shown]
	s_cbranch_vccz .LBB448_1536
; %bb.1534:
	v_cmp_eq_u16_e32 vcc_lo, 46, v12
	s_mov_b32 s0, -1
	s_mov_b32 s6, 0
	s_cbranch_vccz .LBB448_1536
; %bb.1535:
	v_xor_b32_e32 v11, v0, v1
	v_cls_i32_e32 v13, v1
	s_mov_b32 s2, -1
	s_mov_b32 s0, 0
	s_delay_alu instid0(VALU_DEP_2) | instskip(NEXT) | instid1(VALU_DEP_2)
	v_ashrrev_i32_e32 v11, 31, v11
	v_add_nc_u32_e32 v13, -1, v13
	s_delay_alu instid0(VALU_DEP_2) | instskip(NEXT) | instid1(VALU_DEP_1)
	v_add_nc_u32_e32 v11, 32, v11
	v_min_u32_e32 v11, v13, v11
	s_delay_alu instid0(VALU_DEP_1) | instskip(SKIP_1) | instid1(VALU_DEP_2)
	v_lshlrev_b64 v[13:14], v11, v[0:1]
	v_sub_nc_u32_e32 v11, 32, v11
	v_min_u32_e32 v13, 1, v13
	s_delay_alu instid0(VALU_DEP_1) | instskip(NEXT) | instid1(VALU_DEP_1)
	v_or_b32_e32 v13, v14, v13
	v_cvt_f32_i32_e32 v13, v13
	s_delay_alu instid0(VALU_DEP_1) | instskip(NEXT) | instid1(VALU_DEP_1)
	v_ldexp_f32 v11, v13, v11
	v_bfe_u32 v13, v11, 16, 1
	s_delay_alu instid0(VALU_DEP_1) | instskip(NEXT) | instid1(VALU_DEP_1)
	v_add3_u32 v11, v11, v13, 0x7fff
	v_lshrrev_b32_e32 v11, 16, v11
	global_store_b32 v[8:9], v11, off
.LBB448_1536:
	s_and_b32 vcc_lo, exec_lo, s6
	s_cbranch_vccz .LBB448_1541
; %bb.1537:
	v_cmp_eq_u16_e32 vcc_lo, 44, v12
	s_mov_b32 s0, -1
	s_cbranch_vccz .LBB448_1541
; %bb.1538:
	v_xor_b32_e32 v11, v0, v1
	v_cls_i32_e32 v13, v1
	s_mov_b32 s2, -1
	s_mov_b32 s6, exec_lo
	s_delay_alu instid0(VALU_DEP_2) | instskip(NEXT) | instid1(VALU_DEP_2)
	v_ashrrev_i32_e32 v11, 31, v11
	v_add_nc_u32_e32 v13, -1, v13
	s_delay_alu instid0(VALU_DEP_2) | instskip(NEXT) | instid1(VALU_DEP_1)
	v_add_nc_u32_e32 v11, 32, v11
	v_min_u32_e32 v11, v13, v11
	s_delay_alu instid0(VALU_DEP_1) | instskip(SKIP_1) | instid1(VALU_DEP_2)
	v_lshlrev_b64 v[13:14], v11, v[0:1]
	v_sub_nc_u32_e32 v11, 32, v11
	v_min_u32_e32 v13, 1, v13
	s_delay_alu instid0(VALU_DEP_1) | instskip(NEXT) | instid1(VALU_DEP_1)
	v_or_b32_e32 v13, v14, v13
	v_cvt_f32_i32_e32 v13, v13
	s_delay_alu instid0(VALU_DEP_1) | instskip(SKIP_1) | instid1(VALU_DEP_2)
	v_ldexp_f32 v11, v13, v11
	v_mov_b32_e32 v13, 0xff
	v_bfe_u32 v14, v11, 23, 8
	s_delay_alu instid0(VALU_DEP_1)
	v_cmpx_ne_u32_e32 0xff, v14
; %bb.1539:
	v_and_b32_e32 v13, 0x400000, v11
	v_and_or_b32 v14, 0x3fffff, v11, v14
	v_lshrrev_b32_e32 v11, 23, v11
	s_delay_alu instid0(VALU_DEP_3) | instskip(NEXT) | instid1(VALU_DEP_3)
	v_cmp_ne_u32_e32 vcc_lo, 0, v13
	v_cmp_ne_u32_e64 s0, 0, v14
	s_delay_alu instid0(VALU_DEP_1) | instskip(NEXT) | instid1(SALU_CYCLE_1)
	s_and_b32 s0, vcc_lo, s0
	v_cndmask_b32_e64 v13, 0, 1, s0
	s_delay_alu instid0(VALU_DEP_1)
	v_add_nc_u32_e32 v13, v11, v13
; %bb.1540:
	s_or_b32 exec_lo, exec_lo, s6
	s_mov_b32 s0, 0
	global_store_b8 v[8:9], v13, off
.LBB448_1541:
	s_mov_b32 s6, 0
.LBB448_1542:
	s_delay_alu instid0(SALU_CYCLE_1)
	s_and_b32 vcc_lo, exec_lo, s6
	s_cbranch_vccz .LBB448_1545
; %bb.1543:
	v_cmp_eq_u16_e32 vcc_lo, 29, v12
	s_mov_b32 s0, -1
	s_cbranch_vccz .LBB448_1545
; %bb.1544:
	s_mov_b32 s0, 0
	s_mov_b32 s2, -1
	global_store_b64 v[8:9], v[0:1], off
.LBB448_1545:
	s_mov_b32 s6, 0
.LBB448_1546:
	s_delay_alu instid0(SALU_CYCLE_1)
	s_and_b32 vcc_lo, exec_lo, s6
	s_cbranch_vccz .LBB448_1562
; %bb.1547:
	v_cmp_gt_i16_e32 vcc_lo, 27, v12
	s_mov_b32 s2, -1
	s_cbranch_vccnz .LBB448_1553
; %bb.1548:
	v_cmp_lt_i16_e32 vcc_lo, 27, v12
	s_cbranch_vccz .LBB448_1550
; %bb.1549:
	s_mov_b32 s2, 0
	global_store_b32 v[8:9], v0, off
.LBB448_1550:
	s_and_not1_b32 vcc_lo, exec_lo, s2
	s_cbranch_vccnz .LBB448_1552
; %bb.1551:
	global_store_b16 v[8:9], v0, off
.LBB448_1552:
	s_mov_b32 s2, 0
.LBB448_1553:
	s_delay_alu instid0(SALU_CYCLE_1)
	s_and_not1_b32 vcc_lo, exec_lo, s2
	s_cbranch_vccnz .LBB448_1561
; %bb.1554:
	v_xor_b32_e32 v11, v0, v1
	v_cls_i32_e32 v13, v1
	s_mov_b32 s2, exec_lo
	s_delay_alu instid0(VALU_DEP_2) | instskip(NEXT) | instid1(VALU_DEP_2)
	v_ashrrev_i32_e32 v11, 31, v11
	v_add_nc_u32_e32 v13, -1, v13
	s_delay_alu instid0(VALU_DEP_2) | instskip(NEXT) | instid1(VALU_DEP_1)
	v_add_nc_u32_e32 v11, 32, v11
	v_min_u32_e32 v11, v13, v11
	s_delay_alu instid0(VALU_DEP_1) | instskip(SKIP_1) | instid1(VALU_DEP_2)
	v_lshlrev_b64 v[13:14], v11, v[0:1]
	v_sub_nc_u32_e32 v11, 32, v11
	v_min_u32_e32 v13, 1, v13
	s_delay_alu instid0(VALU_DEP_1) | instskip(SKIP_1) | instid1(VALU_DEP_2)
	v_or_b32_e32 v13, v14, v13
	v_mov_b32_e32 v14, 0x80
	v_cvt_f32_i32_e32 v13, v13
	s_delay_alu instid0(VALU_DEP_1) | instskip(NEXT) | instid1(VALU_DEP_1)
	v_ldexp_f32 v11, v13, v11
	v_and_b32_e32 v13, 0x7fffffff, v11
	s_delay_alu instid0(VALU_DEP_1)
	v_cmpx_gt_u32_e32 0x43800000, v13
	s_cbranch_execz .LBB448_1560
; %bb.1555:
	v_cmp_lt_u32_e32 vcc_lo, 0x3bffffff, v13
	s_mov_b32 s6, 0
                                        ; implicit-def: $vgpr13
	s_and_saveexec_b32 s7, vcc_lo
	s_delay_alu instid0(SALU_CYCLE_1)
	s_xor_b32 s7, exec_lo, s7
	s_cbranch_execz .LBB448_2010
; %bb.1556:
	v_bfe_u32 v13, v11, 20, 1
	s_mov_b32 s6, exec_lo
	s_delay_alu instid0(VALU_DEP_1) | instskip(NEXT) | instid1(VALU_DEP_1)
	v_add3_u32 v13, v11, v13, 0x487ffff
	v_lshrrev_b32_e32 v13, 20, v13
	s_or_saveexec_b32 s7, s7
                                        ; implicit-def: $sgpr9
	s_delay_alu instid0(SALU_CYCLE_1)
	s_xor_b32 exec_lo, exec_lo, s7
	s_cbranch_execnz .LBB448_2011
.LBB448_1557:
	s_or_b32 exec_lo, exec_lo, s7
	v_mov_b32_e32 v14, s9
	s_and_saveexec_b32 s7, s6
.LBB448_1558:
	v_lshrrev_b32_e32 v11, 24, v11
	s_delay_alu instid0(VALU_DEP_1)
	v_and_or_b32 v14, 0x80, v11, v13
.LBB448_1559:
	s_or_b32 exec_lo, exec_lo, s7
.LBB448_1560:
	s_delay_alu instid0(SALU_CYCLE_1)
	s_or_b32 exec_lo, exec_lo, s2
	global_store_b8 v[8:9], v14, off
.LBB448_1561:
	s_mov_b32 s2, -1
.LBB448_1562:
	s_mov_b32 s6, 0
.LBB448_1563:
	s_delay_alu instid0(SALU_CYCLE_1)
	s_and_b32 vcc_lo, exec_lo, s6
	s_cbranch_vccz .LBB448_1603
; %bb.1564:
	v_cmp_lt_i16_e32 vcc_lo, 22, v12
	s_mov_b32 s1, -1
	s_cbranch_vccz .LBB448_1596
; %bb.1565:
	v_cmp_gt_i16_e32 vcc_lo, 24, v12
	s_cbranch_vccnz .LBB448_1585
; %bb.1566:
	v_cmp_lt_i16_e32 vcc_lo, 24, v12
	s_cbranch_vccz .LBB448_1574
; %bb.1567:
	v_xor_b32_e32 v11, v0, v1
	v_cls_i32_e32 v13, v1
	s_mov_b32 s1, exec_lo
	s_delay_alu instid0(VALU_DEP_2) | instskip(NEXT) | instid1(VALU_DEP_2)
	v_ashrrev_i32_e32 v11, 31, v11
	v_add_nc_u32_e32 v13, -1, v13
	s_delay_alu instid0(VALU_DEP_2) | instskip(NEXT) | instid1(VALU_DEP_1)
	v_add_nc_u32_e32 v11, 32, v11
	v_min_u32_e32 v11, v13, v11
	s_delay_alu instid0(VALU_DEP_1) | instskip(SKIP_1) | instid1(VALU_DEP_2)
	v_lshlrev_b64 v[13:14], v11, v[0:1]
	v_sub_nc_u32_e32 v11, 32, v11
	v_min_u32_e32 v13, 1, v13
	s_delay_alu instid0(VALU_DEP_1) | instskip(SKIP_1) | instid1(VALU_DEP_2)
	v_or_b32_e32 v13, v14, v13
	v_mov_b32_e32 v14, 0x80
	v_cvt_f32_i32_e32 v13, v13
	s_delay_alu instid0(VALU_DEP_1) | instskip(NEXT) | instid1(VALU_DEP_1)
	v_ldexp_f32 v11, v13, v11
	v_and_b32_e32 v13, 0x7fffffff, v11
	s_delay_alu instid0(VALU_DEP_1)
	v_cmpx_gt_u32_e32 0x47800000, v13
	s_cbranch_execz .LBB448_1573
; %bb.1568:
	v_cmp_lt_u32_e32 vcc_lo, 0x37ffffff, v13
	s_mov_b32 s2, 0
                                        ; implicit-def: $vgpr13
	s_and_saveexec_b32 s6, vcc_lo
	s_delay_alu instid0(SALU_CYCLE_1)
	s_xor_b32 s6, exec_lo, s6
	s_cbranch_execz .LBB448_2016
; %bb.1569:
	v_bfe_u32 v13, v11, 21, 1
	s_mov_b32 s2, exec_lo
	s_delay_alu instid0(VALU_DEP_1) | instskip(NEXT) | instid1(VALU_DEP_1)
	v_add3_u32 v13, v11, v13, 0x88fffff
	v_lshrrev_b32_e32 v13, 21, v13
	s_or_saveexec_b32 s6, s6
                                        ; implicit-def: $sgpr7
	s_delay_alu instid0(SALU_CYCLE_1)
	s_xor_b32 exec_lo, exec_lo, s6
	s_cbranch_execnz .LBB448_2017
.LBB448_1570:
	s_or_b32 exec_lo, exec_lo, s6
	v_mov_b32_e32 v14, s7
	s_and_saveexec_b32 s6, s2
.LBB448_1571:
	v_lshrrev_b32_e32 v11, 24, v11
	s_delay_alu instid0(VALU_DEP_1)
	v_and_or_b32 v14, 0x80, v11, v13
.LBB448_1572:
	s_or_b32 exec_lo, exec_lo, s6
.LBB448_1573:
	s_delay_alu instid0(SALU_CYCLE_1)
	s_or_b32 exec_lo, exec_lo, s1
	s_mov_b32 s1, 0
	global_store_b8 v[8:9], v14, off
.LBB448_1574:
	s_and_b32 vcc_lo, exec_lo, s1
	s_cbranch_vccz .LBB448_1584
; %bb.1575:
	v_xor_b32_e32 v11, v0, v1
	v_cls_i32_e32 v13, v1
	s_mov_b32 s1, exec_lo
	s_delay_alu instid0(VALU_DEP_2) | instskip(NEXT) | instid1(VALU_DEP_2)
	v_ashrrev_i32_e32 v11, 31, v11
	v_add_nc_u32_e32 v13, -1, v13
	s_delay_alu instid0(VALU_DEP_2) | instskip(NEXT) | instid1(VALU_DEP_1)
	v_add_nc_u32_e32 v11, 32, v11
	v_min_u32_e32 v11, v13, v11
	s_delay_alu instid0(VALU_DEP_1) | instskip(SKIP_1) | instid1(VALU_DEP_2)
	v_lshlrev_b64 v[13:14], v11, v[0:1]
	v_sub_nc_u32_e32 v11, 32, v11
	v_min_u32_e32 v13, 1, v13
	s_delay_alu instid0(VALU_DEP_1) | instskip(NEXT) | instid1(VALU_DEP_1)
	v_or_b32_e32 v13, v14, v13
	v_cvt_f32_i32_e32 v13, v13
	s_delay_alu instid0(VALU_DEP_1) | instskip(NEXT) | instid1(VALU_DEP_1)
	v_ldexp_f32 v11, v13, v11
                                        ; implicit-def: $vgpr13
	v_and_b32_e32 v14, 0x7fffffff, v11
	s_delay_alu instid0(VALU_DEP_1)
	v_cmpx_gt_u32_e32 0x43f00000, v14
	s_xor_b32 s1, exec_lo, s1
	s_cbranch_execz .LBB448_1581
; %bb.1576:
	s_mov_b32 s2, exec_lo
                                        ; implicit-def: $vgpr13
	v_cmpx_lt_u32_e32 0x3c7fffff, v14
	s_xor_b32 s2, exec_lo, s2
; %bb.1577:
	v_bfe_u32 v13, v11, 20, 1
	s_delay_alu instid0(VALU_DEP_1) | instskip(NEXT) | instid1(VALU_DEP_1)
	v_add3_u32 v13, v11, v13, 0x407ffff
	v_and_b32_e32 v14, 0xff00000, v13
	v_lshrrev_b32_e32 v13, 20, v13
	s_delay_alu instid0(VALU_DEP_2) | instskip(NEXT) | instid1(VALU_DEP_2)
	v_cmp_ne_u32_e32 vcc_lo, 0x7f00000, v14
	v_cndmask_b32_e32 v13, 0x7e, v13, vcc_lo
; %bb.1578:
	s_and_not1_saveexec_b32 s2, s2
; %bb.1579:
	v_add_f32_e64 v13, 0x46800000, |v11|
; %bb.1580:
	s_or_b32 exec_lo, exec_lo, s2
                                        ; implicit-def: $vgpr14
.LBB448_1581:
	s_and_not1_saveexec_b32 s1, s1
; %bb.1582:
	v_mov_b32_e32 v13, 0x7f
	v_cmp_lt_u32_e32 vcc_lo, 0x7f800000, v14
	s_delay_alu instid0(VALU_DEP_2)
	v_cndmask_b32_e32 v13, 0x7e, v13, vcc_lo
; %bb.1583:
	s_or_b32 exec_lo, exec_lo, s1
	v_lshrrev_b32_e32 v11, 24, v11
	s_delay_alu instid0(VALU_DEP_1)
	v_and_or_b32 v11, 0x80, v11, v13
	global_store_b8 v[8:9], v11, off
.LBB448_1584:
	s_mov_b32 s1, 0
.LBB448_1585:
	s_delay_alu instid0(SALU_CYCLE_1)
	s_and_not1_b32 vcc_lo, exec_lo, s1
	s_cbranch_vccnz .LBB448_1595
; %bb.1586:
	v_xor_b32_e32 v11, v0, v1
	v_cls_i32_e32 v13, v1
	s_mov_b32 s1, exec_lo
	s_delay_alu instid0(VALU_DEP_2) | instskip(NEXT) | instid1(VALU_DEP_2)
	v_ashrrev_i32_e32 v11, 31, v11
	v_add_nc_u32_e32 v13, -1, v13
	s_delay_alu instid0(VALU_DEP_2) | instskip(NEXT) | instid1(VALU_DEP_1)
	v_add_nc_u32_e32 v11, 32, v11
	v_min_u32_e32 v11, v13, v11
	s_delay_alu instid0(VALU_DEP_1) | instskip(SKIP_1) | instid1(VALU_DEP_2)
	v_lshlrev_b64 v[13:14], v11, v[0:1]
	v_sub_nc_u32_e32 v11, 32, v11
	v_min_u32_e32 v13, 1, v13
	s_delay_alu instid0(VALU_DEP_1) | instskip(NEXT) | instid1(VALU_DEP_1)
	v_or_b32_e32 v13, v14, v13
	v_cvt_f32_i32_e32 v13, v13
	s_delay_alu instid0(VALU_DEP_1) | instskip(NEXT) | instid1(VALU_DEP_1)
	v_ldexp_f32 v11, v13, v11
                                        ; implicit-def: $vgpr13
	v_and_b32_e32 v14, 0x7fffffff, v11
	s_delay_alu instid0(VALU_DEP_1)
	v_cmpx_gt_u32_e32 0x47800000, v14
	s_xor_b32 s1, exec_lo, s1
	s_cbranch_execz .LBB448_1592
; %bb.1587:
	s_mov_b32 s2, exec_lo
                                        ; implicit-def: $vgpr13
	v_cmpx_lt_u32_e32 0x387fffff, v14
	s_xor_b32 s2, exec_lo, s2
; %bb.1588:
	v_bfe_u32 v13, v11, 21, 1
	s_delay_alu instid0(VALU_DEP_1) | instskip(NEXT) | instid1(VALU_DEP_1)
	v_add3_u32 v13, v11, v13, 0x80fffff
	v_lshrrev_b32_e32 v13, 21, v13
; %bb.1589:
	s_and_not1_saveexec_b32 s2, s2
; %bb.1590:
	v_add_f32_e64 v13, 0x43000000, |v11|
; %bb.1591:
	s_or_b32 exec_lo, exec_lo, s2
                                        ; implicit-def: $vgpr14
.LBB448_1592:
	s_and_not1_saveexec_b32 s1, s1
; %bb.1593:
	v_mov_b32_e32 v13, 0x7f
	v_cmp_lt_u32_e32 vcc_lo, 0x7f800000, v14
	s_delay_alu instid0(VALU_DEP_2)
	v_cndmask_b32_e32 v13, 0x7c, v13, vcc_lo
; %bb.1594:
	s_or_b32 exec_lo, exec_lo, s1
	v_lshrrev_b32_e32 v11, 24, v11
	s_delay_alu instid0(VALU_DEP_1)
	v_and_or_b32 v11, 0x80, v11, v13
	global_store_b8 v[8:9], v11, off
.LBB448_1595:
	s_mov_b32 s1, 0
	s_mov_b32 s2, -1
.LBB448_1596:
	s_and_not1_b32 vcc_lo, exec_lo, s1
	s_mov_b32 s1, 0
	s_cbranch_vccnz .LBB448_1603
; %bb.1597:
	v_cmp_lt_i16_e32 vcc_lo, 14, v12
	s_mov_b32 s1, -1
	s_cbranch_vccz .LBB448_1601
; %bb.1598:
	v_cmp_eq_u16_e32 vcc_lo, 15, v12
	s_mov_b32 s0, -1
	s_cbranch_vccz .LBB448_1600
; %bb.1599:
	v_xor_b32_e32 v11, v0, v1
	v_cls_i32_e32 v13, v1
	s_mov_b32 s2, -1
	s_mov_b32 s0, 0
	s_delay_alu instid0(VALU_DEP_2) | instskip(NEXT) | instid1(VALU_DEP_2)
	v_ashrrev_i32_e32 v11, 31, v11
	v_add_nc_u32_e32 v13, -1, v13
	s_delay_alu instid0(VALU_DEP_2) | instskip(NEXT) | instid1(VALU_DEP_1)
	v_add_nc_u32_e32 v11, 32, v11
	v_min_u32_e32 v11, v13, v11
	s_delay_alu instid0(VALU_DEP_1) | instskip(SKIP_1) | instid1(VALU_DEP_2)
	v_lshlrev_b64 v[13:14], v11, v[0:1]
	v_sub_nc_u32_e32 v11, 32, v11
	v_min_u32_e32 v13, 1, v13
	s_delay_alu instid0(VALU_DEP_1) | instskip(NEXT) | instid1(VALU_DEP_1)
	v_or_b32_e32 v13, v14, v13
	v_cvt_f32_i32_e32 v13, v13
	s_delay_alu instid0(VALU_DEP_1) | instskip(NEXT) | instid1(VALU_DEP_1)
	v_ldexp_f32 v11, v13, v11
	v_bfe_u32 v13, v11, 16, 1
	s_delay_alu instid0(VALU_DEP_1)
	v_add3_u32 v11, v11, v13, 0x7fff
	global_store_d16_hi_b16 v[8:9], v11, off
.LBB448_1600:
	s_mov_b32 s1, 0
.LBB448_1601:
	s_delay_alu instid0(SALU_CYCLE_1)
	s_and_b32 vcc_lo, exec_lo, s1
	s_mov_b32 s1, 0
	s_cbranch_vccz .LBB448_1603
; %bb.1602:
	v_cmp_ne_u16_e64 s0, 11, v12
	s_mov_b32 s1, -1
.LBB448_1603:
	s_delay_alu instid0(VALU_DEP_1)
	s_and_b32 vcc_lo, exec_lo, s0
	s_cbranch_vccnz .LBB448_2014
; %bb.1604:
	s_and_not1_b32 vcc_lo, exec_lo, s1
	s_cbranch_vccnz .LBB448_1606
.LBB448_1605:
	v_cmp_ne_u64_e32 vcc_lo, 0, v[0:1]
	s_mov_b32 s2, -1
	v_cndmask_b32_e64 v11, 0, 1, vcc_lo
	global_store_b8 v[8:9], v11, off
.LBB448_1606:
	s_mov_b32 s0, 0
	s_branch .LBB448_1608
.LBB448_1607:
	s_mov_b32 s0, -1
	s_mov_b32 s2, 0
.LBB448_1608:
	s_and_b32 vcc_lo, exec_lo, s0
	s_cbranch_vccz .LBB448_1647
; %bb.1609:
	v_cmp_gt_i16_e32 vcc_lo, 5, v12
	s_mov_b32 s0, -1
	s_cbranch_vccnz .LBB448_1630
; %bb.1610:
	v_cmp_gt_i16_e32 vcc_lo, 8, v12
	s_cbranch_vccnz .LBB448_1620
; %bb.1611:
	v_cmp_gt_i16_e32 vcc_lo, 9, v12
	s_cbranch_vccnz .LBB448_1617
; %bb.1612:
	v_cmp_lt_i16_e32 vcc_lo, 9, v12
	s_cbranch_vccz .LBB448_1614
; %bb.1613:
	v_cvt_f64_i32_e32 v[13:14], v1
	v_cvt_f64_u32_e32 v[15:16], v0
	s_mov_b32 s0, 0
	s_delay_alu instid0(VALU_DEP_2) | instskip(NEXT) | instid1(VALU_DEP_1)
	v_ldexp_f64 v[13:14], v[13:14], 32
	v_add_f64 v[13:14], v[13:14], v[15:16]
	v_mov_b32_e32 v15, 0
	s_delay_alu instid0(VALU_DEP_1)
	v_mov_b32_e32 v16, v15
	global_store_b128 v[8:9], v[13:16], off
.LBB448_1614:
	s_and_not1_b32 vcc_lo, exec_lo, s0
	s_cbranch_vccnz .LBB448_1616
; %bb.1615:
	v_xor_b32_e32 v11, v0, v1
	v_cls_i32_e32 v13, v1
	s_delay_alu instid0(VALU_DEP_2) | instskip(NEXT) | instid1(VALU_DEP_2)
	v_ashrrev_i32_e32 v11, 31, v11
	v_add_nc_u32_e32 v13, -1, v13
	s_delay_alu instid0(VALU_DEP_2) | instskip(NEXT) | instid1(VALU_DEP_1)
	v_add_nc_u32_e32 v11, 32, v11
	v_min_u32_e32 v11, v13, v11
	s_delay_alu instid0(VALU_DEP_1) | instskip(SKIP_1) | instid1(VALU_DEP_2)
	v_lshlrev_b64 v[13:14], v11, v[0:1]
	v_sub_nc_u32_e32 v11, 32, v11
	v_min_u32_e32 v13, 1, v13
	s_delay_alu instid0(VALU_DEP_1) | instskip(SKIP_1) | instid1(VALU_DEP_2)
	v_or_b32_e32 v13, v14, v13
	v_mov_b32_e32 v14, 0
	v_cvt_f32_i32_e32 v13, v13
	s_delay_alu instid0(VALU_DEP_1)
	v_ldexp_f32 v13, v13, v11
	global_store_b64 v[8:9], v[13:14], off
.LBB448_1616:
	s_mov_b32 s0, 0
.LBB448_1617:
	s_delay_alu instid0(SALU_CYCLE_1)
	s_and_not1_b32 vcc_lo, exec_lo, s0
	s_cbranch_vccnz .LBB448_1619
; %bb.1618:
	v_xor_b32_e32 v11, v0, v1
	v_cls_i32_e32 v13, v1
	s_delay_alu instid0(VALU_DEP_2) | instskip(NEXT) | instid1(VALU_DEP_2)
	v_ashrrev_i32_e32 v11, 31, v11
	v_add_nc_u32_e32 v13, -1, v13
	s_delay_alu instid0(VALU_DEP_2) | instskip(NEXT) | instid1(VALU_DEP_1)
	v_add_nc_u32_e32 v11, 32, v11
	v_min_u32_e32 v11, v13, v11
	s_delay_alu instid0(VALU_DEP_1) | instskip(SKIP_1) | instid1(VALU_DEP_2)
	v_lshlrev_b64 v[13:14], v11, v[0:1]
	v_sub_nc_u32_e32 v11, 32, v11
	v_min_u32_e32 v13, 1, v13
	s_delay_alu instid0(VALU_DEP_1) | instskip(NEXT) | instid1(VALU_DEP_1)
	v_or_b32_e32 v13, v14, v13
	v_cvt_f32_i32_e32 v13, v13
	s_delay_alu instid0(VALU_DEP_1) | instskip(NEXT) | instid1(VALU_DEP_1)
	v_ldexp_f32 v11, v13, v11
	v_cvt_f16_f32_e32 v11, v11
	s_delay_alu instid0(VALU_DEP_1)
	v_and_b32_e32 v11, 0xffff, v11
	global_store_b32 v[8:9], v11, off
.LBB448_1619:
	s_mov_b32 s0, 0
.LBB448_1620:
	s_delay_alu instid0(SALU_CYCLE_1)
	s_and_not1_b32 vcc_lo, exec_lo, s0
	s_cbranch_vccnz .LBB448_1629
; %bb.1621:
	v_cmp_gt_i16_e32 vcc_lo, 6, v12
	s_mov_b32 s0, -1
	s_cbranch_vccnz .LBB448_1627
; %bb.1622:
	v_cmp_lt_i16_e32 vcc_lo, 6, v12
	s_cbranch_vccz .LBB448_1624
; %bb.1623:
	v_cvt_f64_i32_e32 v[13:14], v1
	v_cvt_f64_u32_e32 v[15:16], v0
	s_mov_b32 s0, 0
	s_delay_alu instid0(VALU_DEP_2) | instskip(NEXT) | instid1(VALU_DEP_1)
	v_ldexp_f64 v[13:14], v[13:14], 32
	v_add_f64 v[13:14], v[13:14], v[15:16]
	global_store_b64 v[8:9], v[13:14], off
.LBB448_1624:
	s_and_not1_b32 vcc_lo, exec_lo, s0
	s_cbranch_vccnz .LBB448_1626
; %bb.1625:
	v_xor_b32_e32 v11, v0, v1
	v_cls_i32_e32 v13, v1
	s_delay_alu instid0(VALU_DEP_2) | instskip(NEXT) | instid1(VALU_DEP_2)
	v_ashrrev_i32_e32 v11, 31, v11
	v_add_nc_u32_e32 v13, -1, v13
	s_delay_alu instid0(VALU_DEP_2) | instskip(NEXT) | instid1(VALU_DEP_1)
	v_add_nc_u32_e32 v11, 32, v11
	v_min_u32_e32 v11, v13, v11
	s_delay_alu instid0(VALU_DEP_1) | instskip(SKIP_1) | instid1(VALU_DEP_2)
	v_lshlrev_b64 v[13:14], v11, v[0:1]
	v_sub_nc_u32_e32 v11, 32, v11
	v_min_u32_e32 v13, 1, v13
	s_delay_alu instid0(VALU_DEP_1) | instskip(NEXT) | instid1(VALU_DEP_1)
	v_or_b32_e32 v13, v14, v13
	v_cvt_f32_i32_e32 v13, v13
	s_delay_alu instid0(VALU_DEP_1)
	v_ldexp_f32 v11, v13, v11
	global_store_b32 v[8:9], v11, off
.LBB448_1626:
	s_mov_b32 s0, 0
.LBB448_1627:
	s_delay_alu instid0(SALU_CYCLE_1)
	s_and_not1_b32 vcc_lo, exec_lo, s0
	s_cbranch_vccnz .LBB448_1629
; %bb.1628:
	v_xor_b32_e32 v11, v0, v1
	v_cls_i32_e32 v13, v1
	s_delay_alu instid0(VALU_DEP_2) | instskip(NEXT) | instid1(VALU_DEP_2)
	v_ashrrev_i32_e32 v11, 31, v11
	v_add_nc_u32_e32 v13, -1, v13
	s_delay_alu instid0(VALU_DEP_2) | instskip(NEXT) | instid1(VALU_DEP_1)
	v_add_nc_u32_e32 v11, 32, v11
	v_min_u32_e32 v11, v13, v11
	s_delay_alu instid0(VALU_DEP_1) | instskip(SKIP_1) | instid1(VALU_DEP_2)
	v_lshlrev_b64 v[13:14], v11, v[0:1]
	v_sub_nc_u32_e32 v11, 32, v11
	v_min_u32_e32 v13, 1, v13
	s_delay_alu instid0(VALU_DEP_1) | instskip(NEXT) | instid1(VALU_DEP_1)
	v_or_b32_e32 v13, v14, v13
	v_cvt_f32_i32_e32 v13, v13
	s_delay_alu instid0(VALU_DEP_1) | instskip(NEXT) | instid1(VALU_DEP_1)
	v_ldexp_f32 v11, v13, v11
	v_cvt_f16_f32_e32 v11, v11
	global_store_b16 v[8:9], v11, off
.LBB448_1629:
	s_mov_b32 s0, 0
.LBB448_1630:
	s_delay_alu instid0(SALU_CYCLE_1)
	s_and_not1_b32 vcc_lo, exec_lo, s0
	s_cbranch_vccnz .LBB448_1646
; %bb.1631:
	v_cmp_gt_i16_e32 vcc_lo, 2, v12
	s_mov_b32 s0, -1
	s_cbranch_vccnz .LBB448_1641
; %bb.1632:
	v_cmp_gt_i16_e32 vcc_lo, 3, v12
	s_cbranch_vccnz .LBB448_1638
; %bb.1633:
	v_cmp_lt_i16_e32 vcc_lo, 3, v12
	s_cbranch_vccz .LBB448_1635
; %bb.1634:
	s_mov_b32 s0, 0
	global_store_b64 v[8:9], v[0:1], off
.LBB448_1635:
	s_and_not1_b32 vcc_lo, exec_lo, s0
	s_cbranch_vccnz .LBB448_1637
; %bb.1636:
	global_store_b32 v[8:9], v0, off
.LBB448_1637:
	s_mov_b32 s0, 0
.LBB448_1638:
	s_delay_alu instid0(SALU_CYCLE_1)
	s_and_not1_b32 vcc_lo, exec_lo, s0
	s_cbranch_vccnz .LBB448_1640
; %bb.1639:
	global_store_b16 v[8:9], v0, off
.LBB448_1640:
	s_mov_b32 s0, 0
.LBB448_1641:
	s_delay_alu instid0(SALU_CYCLE_1)
	s_and_not1_b32 vcc_lo, exec_lo, s0
	s_cbranch_vccnz .LBB448_1646
; %bb.1642:
	v_cmp_lt_i16_e32 vcc_lo, 0, v12
	s_mov_b32 s0, -1
	s_cbranch_vccz .LBB448_1644
; %bb.1643:
	s_mov_b32 s0, 0
	global_store_b8 v[8:9], v0, off
.LBB448_1644:
	s_and_not1_b32 vcc_lo, exec_lo, s0
	s_cbranch_vccnz .LBB448_1646
; %bb.1645:
	global_store_b8 v[8:9], v0, off
.LBB448_1646:
	s_mov_b32 s2, -1
.LBB448_1647:
	s_delay_alu instid0(SALU_CYCLE_1)
	s_and_not1_b32 vcc_lo, exec_lo, s2
	s_cbranch_vccnz .LBB448_1962
; %bb.1648:
	s_lshl_b32 s1, s8, 7
	v_cmp_gt_i64_e32 vcc_lo, s[10:11], v[2:3]
	v_add_nc_u32_e32 v8, s1, v10
	v_cmp_gt_i16_e64 s0, 11, v12
	v_cndmask_b32_e32 v1, s11, v3, vcc_lo
	s_delay_alu instid0(VALU_DEP_3) | instskip(SKIP_2) | instid1(VALU_DEP_3)
	v_ashrrev_i32_e32 v3, 31, v8
	v_cndmask_b32_e32 v0, s10, v2, vcc_lo
	v_add_co_u32 v2, vcc_lo, s4, v8
	v_add_co_ci_u32_e32 v3, vcc_lo, s5, v3, vcc_lo
	s_and_b32 vcc_lo, exec_lo, s0
	s_cbranch_vccnz .LBB448_1726
; %bb.1649:
	v_cmp_lt_i16_e32 vcc_lo, 25, v12
	s_mov_b32 s7, -1
	s_mov_b32 s2, 0
	s_mov_b32 s6, 0
	;; [unrolled: 1-line block ×3, first 2 shown]
	s_cbranch_vccz .LBB448_1682
; %bb.1650:
	v_cmp_lt_i16_e32 vcc_lo, 28, v12
	s_cbranch_vccz .LBB448_1665
; %bb.1651:
	v_cmp_lt_i16_e32 vcc_lo, 43, v12
	s_cbranch_vccz .LBB448_1661
; %bb.1652:
	v_cmp_lt_i16_e32 vcc_lo, 45, v12
	s_cbranch_vccz .LBB448_1655
; %bb.1653:
	v_cmp_eq_u16_e32 vcc_lo, 46, v12
	s_mov_b32 s0, -1
	s_mov_b32 s7, 0
	s_cbranch_vccz .LBB448_1655
; %bb.1654:
	v_xor_b32_e32 v9, v0, v1
	v_cls_i32_e32 v10, v1
	s_mov_b32 s6, -1
	s_mov_b32 s0, 0
	s_delay_alu instid0(VALU_DEP_2) | instskip(NEXT) | instid1(VALU_DEP_2)
	v_ashrrev_i32_e32 v9, 31, v9
	v_add_nc_u32_e32 v10, -1, v10
	s_delay_alu instid0(VALU_DEP_2) | instskip(NEXT) | instid1(VALU_DEP_1)
	v_add_nc_u32_e32 v9, 32, v9
	v_min_u32_e32 v11, v10, v9
	s_delay_alu instid0(VALU_DEP_1) | instskip(NEXT) | instid1(VALU_DEP_1)
	v_lshlrev_b64 v[9:10], v11, v[0:1]
	v_min_u32_e32 v9, 1, v9
	s_delay_alu instid0(VALU_DEP_1) | instskip(SKIP_1) | instid1(VALU_DEP_2)
	v_or_b32_e32 v9, v10, v9
	v_sub_nc_u32_e32 v10, 32, v11
	v_cvt_f32_i32_e32 v9, v9
	s_delay_alu instid0(VALU_DEP_1) | instskip(NEXT) | instid1(VALU_DEP_1)
	v_ldexp_f32 v9, v9, v10
	v_bfe_u32 v10, v9, 16, 1
	s_delay_alu instid0(VALU_DEP_1) | instskip(NEXT) | instid1(VALU_DEP_1)
	v_add3_u32 v9, v9, v10, 0x7fff
	v_lshrrev_b32_e32 v9, 16, v9
	global_store_b32 v[2:3], v9, off
.LBB448_1655:
	s_and_b32 vcc_lo, exec_lo, s7
	s_cbranch_vccz .LBB448_1660
; %bb.1656:
	v_cmp_eq_u16_e32 vcc_lo, 44, v12
	s_mov_b32 s0, -1
	s_cbranch_vccz .LBB448_1660
; %bb.1657:
	v_xor_b32_e32 v9, v0, v1
	v_cls_i32_e32 v10, v1
	s_mov_b32 s6, -1
	s_mov_b32 s7, exec_lo
	s_delay_alu instid0(VALU_DEP_2) | instskip(NEXT) | instid1(VALU_DEP_2)
	v_ashrrev_i32_e32 v9, 31, v9
	v_add_nc_u32_e32 v10, -1, v10
	s_delay_alu instid0(VALU_DEP_2) | instskip(NEXT) | instid1(VALU_DEP_1)
	v_add_nc_u32_e32 v9, 32, v9
	v_min_u32_e32 v11, v10, v9
	s_delay_alu instid0(VALU_DEP_1) | instskip(NEXT) | instid1(VALU_DEP_1)
	v_lshlrev_b64 v[9:10], v11, v[0:1]
	v_min_u32_e32 v9, 1, v9
	s_delay_alu instid0(VALU_DEP_1) | instskip(SKIP_1) | instid1(VALU_DEP_2)
	v_or_b32_e32 v9, v10, v9
	v_sub_nc_u32_e32 v10, 32, v11
	v_cvt_f32_i32_e32 v9, v9
	s_delay_alu instid0(VALU_DEP_1) | instskip(SKIP_1) | instid1(VALU_DEP_2)
	v_ldexp_f32 v9, v9, v10
	v_mov_b32_e32 v10, 0xff
	v_bfe_u32 v11, v9, 23, 8
	s_delay_alu instid0(VALU_DEP_1)
	v_cmpx_ne_u32_e32 0xff, v11
; %bb.1658:
	v_and_b32_e32 v10, 0x400000, v9
	v_and_or_b32 v11, 0x3fffff, v9, v11
	v_lshrrev_b32_e32 v9, 23, v9
	s_delay_alu instid0(VALU_DEP_3) | instskip(NEXT) | instid1(VALU_DEP_3)
	v_cmp_ne_u32_e32 vcc_lo, 0, v10
	v_cmp_ne_u32_e64 s0, 0, v11
	s_delay_alu instid0(VALU_DEP_1) | instskip(NEXT) | instid1(SALU_CYCLE_1)
	s_and_b32 s0, vcc_lo, s0
	v_cndmask_b32_e64 v10, 0, 1, s0
	s_delay_alu instid0(VALU_DEP_1)
	v_add_nc_u32_e32 v10, v9, v10
; %bb.1659:
	s_or_b32 exec_lo, exec_lo, s7
	s_mov_b32 s0, 0
	global_store_b8 v[2:3], v10, off
.LBB448_1660:
	s_mov_b32 s7, 0
.LBB448_1661:
	s_delay_alu instid0(SALU_CYCLE_1)
	s_and_b32 vcc_lo, exec_lo, s7
	s_cbranch_vccz .LBB448_1664
; %bb.1662:
	v_cmp_eq_u16_e32 vcc_lo, 29, v12
	s_mov_b32 s0, -1
	s_cbranch_vccz .LBB448_1664
; %bb.1663:
	s_mov_b32 s0, 0
	s_mov_b32 s6, -1
	global_store_b64 v[2:3], v[0:1], off
.LBB448_1664:
	s_mov_b32 s7, 0
.LBB448_1665:
	s_delay_alu instid0(SALU_CYCLE_1)
	s_and_b32 vcc_lo, exec_lo, s7
	s_cbranch_vccz .LBB448_1681
; %bb.1666:
	v_cmp_gt_i16_e32 vcc_lo, 27, v12
	s_mov_b32 s6, -1
	s_cbranch_vccnz .LBB448_1672
; %bb.1667:
	v_cmp_lt_i16_e32 vcc_lo, 27, v12
	s_cbranch_vccz .LBB448_1669
; %bb.1668:
	s_mov_b32 s6, 0
	global_store_b32 v[2:3], v0, off
.LBB448_1669:
	s_and_not1_b32 vcc_lo, exec_lo, s6
	s_cbranch_vccnz .LBB448_1671
; %bb.1670:
	global_store_b16 v[2:3], v0, off
.LBB448_1671:
	s_mov_b32 s6, 0
.LBB448_1672:
	s_delay_alu instid0(SALU_CYCLE_1)
	s_and_not1_b32 vcc_lo, exec_lo, s6
	s_cbranch_vccnz .LBB448_1680
; %bb.1673:
	v_xor_b32_e32 v9, v0, v1
	v_cls_i32_e32 v10, v1
	s_mov_b32 s6, exec_lo
	s_delay_alu instid0(VALU_DEP_2) | instskip(NEXT) | instid1(VALU_DEP_2)
	v_ashrrev_i32_e32 v9, 31, v9
	v_add_nc_u32_e32 v10, -1, v10
	s_delay_alu instid0(VALU_DEP_2) | instskip(NEXT) | instid1(VALU_DEP_1)
	v_add_nc_u32_e32 v9, 32, v9
	v_min_u32_e32 v11, v10, v9
	s_delay_alu instid0(VALU_DEP_1) | instskip(NEXT) | instid1(VALU_DEP_1)
	v_lshlrev_b64 v[9:10], v11, v[0:1]
	v_min_u32_e32 v9, 1, v9
	s_delay_alu instid0(VALU_DEP_1) | instskip(SKIP_2) | instid1(VALU_DEP_3)
	v_or_b32_e32 v9, v10, v9
	v_sub_nc_u32_e32 v10, 32, v11
	v_mov_b32_e32 v11, 0x80
	v_cvt_f32_i32_e32 v9, v9
	s_delay_alu instid0(VALU_DEP_1) | instskip(NEXT) | instid1(VALU_DEP_1)
	v_ldexp_f32 v9, v9, v10
	v_and_b32_e32 v10, 0x7fffffff, v9
	s_delay_alu instid0(VALU_DEP_1)
	v_cmpx_gt_u32_e32 0x43800000, v10
	s_cbranch_execz .LBB448_1679
; %bb.1674:
	v_cmp_lt_u32_e32 vcc_lo, 0x3bffffff, v10
	s_mov_b32 s7, 0
                                        ; implicit-def: $vgpr10
	s_and_saveexec_b32 s8, vcc_lo
	s_delay_alu instid0(SALU_CYCLE_1)
	s_xor_b32 s8, exec_lo, s8
	s_cbranch_execz .LBB448_2018
; %bb.1675:
	v_bfe_u32 v10, v9, 20, 1
	s_mov_b32 s7, exec_lo
	s_delay_alu instid0(VALU_DEP_1) | instskip(NEXT) | instid1(VALU_DEP_1)
	v_add3_u32 v10, v9, v10, 0x487ffff
	v_lshrrev_b32_e32 v10, 20, v10
	s_or_saveexec_b32 s8, s8
                                        ; implicit-def: $sgpr9
	s_delay_alu instid0(SALU_CYCLE_1)
	s_xor_b32 exec_lo, exec_lo, s8
	s_cbranch_execnz .LBB448_2019
.LBB448_1676:
	s_or_b32 exec_lo, exec_lo, s8
	v_mov_b32_e32 v11, s9
	s_and_saveexec_b32 s8, s7
.LBB448_1677:
	v_lshrrev_b32_e32 v9, 24, v9
	s_delay_alu instid0(VALU_DEP_1)
	v_and_or_b32 v11, 0x80, v9, v10
.LBB448_1678:
	s_or_b32 exec_lo, exec_lo, s8
.LBB448_1679:
	s_delay_alu instid0(SALU_CYCLE_1)
	s_or_b32 exec_lo, exec_lo, s6
	global_store_b8 v[2:3], v11, off
.LBB448_1680:
	s_mov_b32 s6, -1
.LBB448_1681:
	s_mov_b32 s7, 0
.LBB448_1682:
	s_delay_alu instid0(SALU_CYCLE_1)
	s_and_b32 vcc_lo, exec_lo, s7
	s_cbranch_vccz .LBB448_1722
; %bb.1683:
	v_cmp_lt_i16_e32 vcc_lo, 22, v12
	s_mov_b32 s2, -1
	s_cbranch_vccz .LBB448_1715
; %bb.1684:
	v_cmp_gt_i16_e32 vcc_lo, 24, v12
	s_cbranch_vccnz .LBB448_1704
; %bb.1685:
	v_cmp_lt_i16_e32 vcc_lo, 24, v12
	s_cbranch_vccz .LBB448_1693
; %bb.1686:
	v_xor_b32_e32 v9, v0, v1
	v_cls_i32_e32 v10, v1
	s_mov_b32 s2, exec_lo
	s_delay_alu instid0(VALU_DEP_2) | instskip(NEXT) | instid1(VALU_DEP_2)
	v_ashrrev_i32_e32 v9, 31, v9
	v_add_nc_u32_e32 v10, -1, v10
	s_delay_alu instid0(VALU_DEP_2) | instskip(NEXT) | instid1(VALU_DEP_1)
	v_add_nc_u32_e32 v9, 32, v9
	v_min_u32_e32 v11, v10, v9
	s_delay_alu instid0(VALU_DEP_1) | instskip(NEXT) | instid1(VALU_DEP_1)
	v_lshlrev_b64 v[9:10], v11, v[0:1]
	v_min_u32_e32 v9, 1, v9
	s_delay_alu instid0(VALU_DEP_1) | instskip(SKIP_2) | instid1(VALU_DEP_3)
	v_or_b32_e32 v9, v10, v9
	v_sub_nc_u32_e32 v10, 32, v11
	v_mov_b32_e32 v11, 0x80
	v_cvt_f32_i32_e32 v9, v9
	s_delay_alu instid0(VALU_DEP_1) | instskip(NEXT) | instid1(VALU_DEP_1)
	v_ldexp_f32 v9, v9, v10
	v_and_b32_e32 v10, 0x7fffffff, v9
	s_delay_alu instid0(VALU_DEP_1)
	v_cmpx_gt_u32_e32 0x47800000, v10
	s_cbranch_execz .LBB448_1692
; %bb.1687:
	v_cmp_lt_u32_e32 vcc_lo, 0x37ffffff, v10
	s_mov_b32 s6, 0
                                        ; implicit-def: $vgpr10
	s_and_saveexec_b32 s7, vcc_lo
	s_delay_alu instid0(SALU_CYCLE_1)
	s_xor_b32 s7, exec_lo, s7
	s_cbranch_execz .LBB448_2024
; %bb.1688:
	v_bfe_u32 v10, v9, 21, 1
	s_mov_b32 s6, exec_lo
	s_delay_alu instid0(VALU_DEP_1) | instskip(NEXT) | instid1(VALU_DEP_1)
	v_add3_u32 v10, v9, v10, 0x88fffff
	v_lshrrev_b32_e32 v10, 21, v10
	s_or_saveexec_b32 s7, s7
                                        ; implicit-def: $sgpr8
	s_delay_alu instid0(SALU_CYCLE_1)
	s_xor_b32 exec_lo, exec_lo, s7
	s_cbranch_execnz .LBB448_2025
.LBB448_1689:
	s_or_b32 exec_lo, exec_lo, s7
	v_mov_b32_e32 v11, s8
	s_and_saveexec_b32 s7, s6
.LBB448_1690:
	v_lshrrev_b32_e32 v9, 24, v9
	s_delay_alu instid0(VALU_DEP_1)
	v_and_or_b32 v11, 0x80, v9, v10
.LBB448_1691:
	s_or_b32 exec_lo, exec_lo, s7
.LBB448_1692:
	s_delay_alu instid0(SALU_CYCLE_1)
	s_or_b32 exec_lo, exec_lo, s2
	s_mov_b32 s2, 0
	global_store_b8 v[2:3], v11, off
.LBB448_1693:
	s_and_b32 vcc_lo, exec_lo, s2
	s_cbranch_vccz .LBB448_1703
; %bb.1694:
	v_xor_b32_e32 v9, v0, v1
	v_cls_i32_e32 v10, v1
	s_mov_b32 s2, exec_lo
	s_delay_alu instid0(VALU_DEP_2) | instskip(NEXT) | instid1(VALU_DEP_2)
	v_ashrrev_i32_e32 v9, 31, v9
	v_add_nc_u32_e32 v10, -1, v10
	s_delay_alu instid0(VALU_DEP_2) | instskip(NEXT) | instid1(VALU_DEP_1)
	v_add_nc_u32_e32 v9, 32, v9
	v_min_u32_e32 v11, v10, v9
	s_delay_alu instid0(VALU_DEP_1) | instskip(NEXT) | instid1(VALU_DEP_1)
	v_lshlrev_b64 v[9:10], v11, v[0:1]
	v_min_u32_e32 v9, 1, v9
	s_delay_alu instid0(VALU_DEP_1) | instskip(SKIP_1) | instid1(VALU_DEP_2)
	v_or_b32_e32 v9, v10, v9
	v_sub_nc_u32_e32 v10, 32, v11
	v_cvt_f32_i32_e32 v9, v9
	s_delay_alu instid0(VALU_DEP_1) | instskip(NEXT) | instid1(VALU_DEP_1)
	v_ldexp_f32 v9, v9, v10
                                        ; implicit-def: $vgpr10
	v_and_b32_e32 v11, 0x7fffffff, v9
	s_delay_alu instid0(VALU_DEP_1)
	v_cmpx_gt_u32_e32 0x43f00000, v11
	s_xor_b32 s2, exec_lo, s2
	s_cbranch_execz .LBB448_1700
; %bb.1695:
	s_mov_b32 s6, exec_lo
                                        ; implicit-def: $vgpr10
	v_cmpx_lt_u32_e32 0x3c7fffff, v11
	s_xor_b32 s6, exec_lo, s6
; %bb.1696:
	v_bfe_u32 v10, v9, 20, 1
	s_delay_alu instid0(VALU_DEP_1) | instskip(NEXT) | instid1(VALU_DEP_1)
	v_add3_u32 v10, v9, v10, 0x407ffff
	v_and_b32_e32 v11, 0xff00000, v10
	v_lshrrev_b32_e32 v10, 20, v10
	s_delay_alu instid0(VALU_DEP_2) | instskip(NEXT) | instid1(VALU_DEP_2)
	v_cmp_ne_u32_e32 vcc_lo, 0x7f00000, v11
	v_cndmask_b32_e32 v10, 0x7e, v10, vcc_lo
; %bb.1697:
	s_and_not1_saveexec_b32 s6, s6
; %bb.1698:
	v_add_f32_e64 v10, 0x46800000, |v9|
; %bb.1699:
	s_or_b32 exec_lo, exec_lo, s6
                                        ; implicit-def: $vgpr11
.LBB448_1700:
	s_and_not1_saveexec_b32 s2, s2
; %bb.1701:
	v_mov_b32_e32 v10, 0x7f
	v_cmp_lt_u32_e32 vcc_lo, 0x7f800000, v11
	s_delay_alu instid0(VALU_DEP_2)
	v_cndmask_b32_e32 v10, 0x7e, v10, vcc_lo
; %bb.1702:
	s_or_b32 exec_lo, exec_lo, s2
	v_lshrrev_b32_e32 v9, 24, v9
	s_delay_alu instid0(VALU_DEP_1)
	v_and_or_b32 v9, 0x80, v9, v10
	global_store_b8 v[2:3], v9, off
.LBB448_1703:
	s_mov_b32 s2, 0
.LBB448_1704:
	s_delay_alu instid0(SALU_CYCLE_1)
	s_and_not1_b32 vcc_lo, exec_lo, s2
	s_cbranch_vccnz .LBB448_1714
; %bb.1705:
	v_xor_b32_e32 v9, v0, v1
	v_cls_i32_e32 v10, v1
	s_mov_b32 s2, exec_lo
	s_delay_alu instid0(VALU_DEP_2) | instskip(NEXT) | instid1(VALU_DEP_2)
	v_ashrrev_i32_e32 v9, 31, v9
	v_add_nc_u32_e32 v10, -1, v10
	s_delay_alu instid0(VALU_DEP_2) | instskip(NEXT) | instid1(VALU_DEP_1)
	v_add_nc_u32_e32 v9, 32, v9
	v_min_u32_e32 v11, v10, v9
	s_delay_alu instid0(VALU_DEP_1) | instskip(NEXT) | instid1(VALU_DEP_1)
	v_lshlrev_b64 v[9:10], v11, v[0:1]
	v_min_u32_e32 v9, 1, v9
	s_delay_alu instid0(VALU_DEP_1) | instskip(SKIP_1) | instid1(VALU_DEP_2)
	v_or_b32_e32 v9, v10, v9
	v_sub_nc_u32_e32 v10, 32, v11
	v_cvt_f32_i32_e32 v9, v9
	s_delay_alu instid0(VALU_DEP_1) | instskip(NEXT) | instid1(VALU_DEP_1)
	v_ldexp_f32 v9, v9, v10
                                        ; implicit-def: $vgpr10
	v_and_b32_e32 v11, 0x7fffffff, v9
	s_delay_alu instid0(VALU_DEP_1)
	v_cmpx_gt_u32_e32 0x47800000, v11
	s_xor_b32 s2, exec_lo, s2
	s_cbranch_execz .LBB448_1711
; %bb.1706:
	s_mov_b32 s6, exec_lo
                                        ; implicit-def: $vgpr10
	v_cmpx_lt_u32_e32 0x387fffff, v11
	s_xor_b32 s6, exec_lo, s6
; %bb.1707:
	v_bfe_u32 v10, v9, 21, 1
	s_delay_alu instid0(VALU_DEP_1) | instskip(NEXT) | instid1(VALU_DEP_1)
	v_add3_u32 v10, v9, v10, 0x80fffff
	v_lshrrev_b32_e32 v10, 21, v10
; %bb.1708:
	s_and_not1_saveexec_b32 s6, s6
; %bb.1709:
	v_add_f32_e64 v10, 0x43000000, |v9|
; %bb.1710:
	s_or_b32 exec_lo, exec_lo, s6
                                        ; implicit-def: $vgpr11
.LBB448_1711:
	s_and_not1_saveexec_b32 s2, s2
; %bb.1712:
	v_mov_b32_e32 v10, 0x7f
	v_cmp_lt_u32_e32 vcc_lo, 0x7f800000, v11
	s_delay_alu instid0(VALU_DEP_2)
	v_cndmask_b32_e32 v10, 0x7c, v10, vcc_lo
; %bb.1713:
	s_or_b32 exec_lo, exec_lo, s2
	v_lshrrev_b32_e32 v9, 24, v9
	s_delay_alu instid0(VALU_DEP_1)
	v_and_or_b32 v9, 0x80, v9, v10
	global_store_b8 v[2:3], v9, off
.LBB448_1714:
	s_mov_b32 s2, 0
	s_mov_b32 s6, -1
.LBB448_1715:
	s_and_not1_b32 vcc_lo, exec_lo, s2
	s_mov_b32 s2, 0
	s_cbranch_vccnz .LBB448_1722
; %bb.1716:
	v_cmp_lt_i16_e32 vcc_lo, 14, v12
	s_mov_b32 s2, -1
	s_cbranch_vccz .LBB448_1720
; %bb.1717:
	v_cmp_eq_u16_e32 vcc_lo, 15, v12
	s_mov_b32 s0, -1
	s_cbranch_vccz .LBB448_1719
; %bb.1718:
	v_xor_b32_e32 v9, v0, v1
	v_cls_i32_e32 v10, v1
	s_mov_b32 s6, -1
	s_mov_b32 s0, 0
	s_delay_alu instid0(VALU_DEP_2) | instskip(NEXT) | instid1(VALU_DEP_2)
	v_ashrrev_i32_e32 v9, 31, v9
	v_add_nc_u32_e32 v10, -1, v10
	s_delay_alu instid0(VALU_DEP_2) | instskip(NEXT) | instid1(VALU_DEP_1)
	v_add_nc_u32_e32 v9, 32, v9
	v_min_u32_e32 v11, v10, v9
	s_delay_alu instid0(VALU_DEP_1) | instskip(NEXT) | instid1(VALU_DEP_1)
	v_lshlrev_b64 v[9:10], v11, v[0:1]
	v_min_u32_e32 v9, 1, v9
	s_delay_alu instid0(VALU_DEP_1) | instskip(SKIP_1) | instid1(VALU_DEP_2)
	v_or_b32_e32 v9, v10, v9
	v_sub_nc_u32_e32 v10, 32, v11
	v_cvt_f32_i32_e32 v9, v9
	s_delay_alu instid0(VALU_DEP_1) | instskip(NEXT) | instid1(VALU_DEP_1)
	v_ldexp_f32 v9, v9, v10
	v_bfe_u32 v10, v9, 16, 1
	s_delay_alu instid0(VALU_DEP_1)
	v_add3_u32 v9, v9, v10, 0x7fff
	global_store_d16_hi_b16 v[2:3], v9, off
.LBB448_1719:
	s_mov_b32 s2, 0
.LBB448_1720:
	s_delay_alu instid0(SALU_CYCLE_1)
	s_and_b32 vcc_lo, exec_lo, s2
	s_mov_b32 s2, 0
	s_cbranch_vccz .LBB448_1722
; %bb.1721:
	v_cmp_ne_u16_e64 s0, 11, v12
	s_mov_b32 s2, -1
.LBB448_1722:
	s_delay_alu instid0(VALU_DEP_1)
	s_and_b32 vcc_lo, exec_lo, s0
	s_cbranch_vccnz .LBB448_2022
; %bb.1723:
	s_and_not1_b32 vcc_lo, exec_lo, s2
	s_cbranch_vccnz .LBB448_1725
.LBB448_1724:
	v_cmp_ne_u64_e32 vcc_lo, 0, v[0:1]
	s_mov_b32 s6, -1
	v_cndmask_b32_e64 v9, 0, 1, vcc_lo
	global_store_b8 v[2:3], v9, off
.LBB448_1725:
	s_mov_b32 s0, 0
	s_branch .LBB448_1727
.LBB448_1726:
	s_mov_b32 s0, -1
	s_mov_b32 s6, 0
.LBB448_1727:
	s_and_b32 vcc_lo, exec_lo, s0
	s_cbranch_vccz .LBB448_1766
; %bb.1728:
	v_cmp_gt_i16_e32 vcc_lo, 5, v12
	s_mov_b32 s0, -1
	s_cbranch_vccnz .LBB448_1749
; %bb.1729:
	v_cmp_gt_i16_e32 vcc_lo, 8, v12
	s_cbranch_vccnz .LBB448_1739
; %bb.1730:
	v_cmp_gt_i16_e32 vcc_lo, 9, v12
	s_cbranch_vccnz .LBB448_1736
; %bb.1731:
	v_cmp_lt_i16_e32 vcc_lo, 9, v12
	s_cbranch_vccz .LBB448_1733
; %bb.1732:
	v_cvt_f64_i32_e32 v[9:10], v1
	v_cvt_f64_u32_e32 v[13:14], v0
	v_mov_b32_e32 v15, 0
	s_mov_b32 s0, 0
	s_delay_alu instid0(VALU_DEP_1) | instskip(NEXT) | instid1(VALU_DEP_4)
	v_mov_b32_e32 v16, v15
	v_ldexp_f64 v[9:10], v[9:10], 32
	s_delay_alu instid0(VALU_DEP_1)
	v_add_f64 v[13:14], v[9:10], v[13:14]
	global_store_b128 v[2:3], v[13:16], off
.LBB448_1733:
	s_and_not1_b32 vcc_lo, exec_lo, s0
	s_cbranch_vccnz .LBB448_1735
; %bb.1734:
	v_xor_b32_e32 v9, v0, v1
	v_cls_i32_e32 v10, v1
	s_delay_alu instid0(VALU_DEP_2) | instskip(NEXT) | instid1(VALU_DEP_2)
	v_ashrrev_i32_e32 v9, 31, v9
	v_add_nc_u32_e32 v10, -1, v10
	s_delay_alu instid0(VALU_DEP_2) | instskip(NEXT) | instid1(VALU_DEP_1)
	v_add_nc_u32_e32 v9, 32, v9
	v_min_u32_e32 v11, v10, v9
	s_delay_alu instid0(VALU_DEP_1) | instskip(NEXT) | instid1(VALU_DEP_1)
	v_lshlrev_b64 v[9:10], v11, v[0:1]
	v_min_u32_e32 v9, 1, v9
	s_delay_alu instid0(VALU_DEP_1) | instskip(SKIP_1) | instid1(VALU_DEP_2)
	v_or_b32_e32 v9, v10, v9
	v_sub_nc_u32_e32 v10, 32, v11
	v_cvt_f32_i32_e32 v9, v9
	s_delay_alu instid0(VALU_DEP_1)
	v_ldexp_f32 v9, v9, v10
	v_mov_b32_e32 v10, 0
	global_store_b64 v[2:3], v[9:10], off
.LBB448_1735:
	s_mov_b32 s0, 0
.LBB448_1736:
	s_delay_alu instid0(SALU_CYCLE_1)
	s_and_not1_b32 vcc_lo, exec_lo, s0
	s_cbranch_vccnz .LBB448_1738
; %bb.1737:
	v_xor_b32_e32 v9, v0, v1
	v_cls_i32_e32 v10, v1
	s_delay_alu instid0(VALU_DEP_2) | instskip(NEXT) | instid1(VALU_DEP_2)
	v_ashrrev_i32_e32 v9, 31, v9
	v_add_nc_u32_e32 v10, -1, v10
	s_delay_alu instid0(VALU_DEP_2) | instskip(NEXT) | instid1(VALU_DEP_1)
	v_add_nc_u32_e32 v9, 32, v9
	v_min_u32_e32 v11, v10, v9
	s_delay_alu instid0(VALU_DEP_1) | instskip(NEXT) | instid1(VALU_DEP_1)
	v_lshlrev_b64 v[9:10], v11, v[0:1]
	v_min_u32_e32 v9, 1, v9
	s_delay_alu instid0(VALU_DEP_1) | instskip(SKIP_1) | instid1(VALU_DEP_2)
	v_or_b32_e32 v9, v10, v9
	v_sub_nc_u32_e32 v10, 32, v11
	v_cvt_f32_i32_e32 v9, v9
	s_delay_alu instid0(VALU_DEP_1) | instskip(NEXT) | instid1(VALU_DEP_1)
	v_ldexp_f32 v9, v9, v10
	v_cvt_f16_f32_e32 v9, v9
	s_delay_alu instid0(VALU_DEP_1)
	v_and_b32_e32 v9, 0xffff, v9
	global_store_b32 v[2:3], v9, off
.LBB448_1738:
	s_mov_b32 s0, 0
.LBB448_1739:
	s_delay_alu instid0(SALU_CYCLE_1)
	s_and_not1_b32 vcc_lo, exec_lo, s0
	s_cbranch_vccnz .LBB448_1748
; %bb.1740:
	v_cmp_gt_i16_e32 vcc_lo, 6, v12
	s_mov_b32 s0, -1
	s_cbranch_vccnz .LBB448_1746
; %bb.1741:
	v_cmp_lt_i16_e32 vcc_lo, 6, v12
	s_cbranch_vccz .LBB448_1743
; %bb.1742:
	v_cvt_f64_i32_e32 v[9:10], v1
	v_cvt_f64_u32_e32 v[13:14], v0
	s_mov_b32 s0, 0
	s_delay_alu instid0(VALU_DEP_2) | instskip(NEXT) | instid1(VALU_DEP_1)
	v_ldexp_f64 v[9:10], v[9:10], 32
	v_add_f64 v[9:10], v[9:10], v[13:14]
	global_store_b64 v[2:3], v[9:10], off
.LBB448_1743:
	s_and_not1_b32 vcc_lo, exec_lo, s0
	s_cbranch_vccnz .LBB448_1745
; %bb.1744:
	v_xor_b32_e32 v9, v0, v1
	v_cls_i32_e32 v10, v1
	s_delay_alu instid0(VALU_DEP_2) | instskip(NEXT) | instid1(VALU_DEP_2)
	v_ashrrev_i32_e32 v9, 31, v9
	v_add_nc_u32_e32 v10, -1, v10
	s_delay_alu instid0(VALU_DEP_2) | instskip(NEXT) | instid1(VALU_DEP_1)
	v_add_nc_u32_e32 v9, 32, v9
	v_min_u32_e32 v11, v10, v9
	s_delay_alu instid0(VALU_DEP_1) | instskip(NEXT) | instid1(VALU_DEP_1)
	v_lshlrev_b64 v[9:10], v11, v[0:1]
	v_min_u32_e32 v9, 1, v9
	s_delay_alu instid0(VALU_DEP_1) | instskip(SKIP_1) | instid1(VALU_DEP_2)
	v_or_b32_e32 v9, v10, v9
	v_sub_nc_u32_e32 v10, 32, v11
	v_cvt_f32_i32_e32 v9, v9
	s_delay_alu instid0(VALU_DEP_1)
	v_ldexp_f32 v9, v9, v10
	global_store_b32 v[2:3], v9, off
.LBB448_1745:
	s_mov_b32 s0, 0
.LBB448_1746:
	s_delay_alu instid0(SALU_CYCLE_1)
	s_and_not1_b32 vcc_lo, exec_lo, s0
	s_cbranch_vccnz .LBB448_1748
; %bb.1747:
	v_xor_b32_e32 v9, v0, v1
	v_cls_i32_e32 v10, v1
	s_delay_alu instid0(VALU_DEP_2) | instskip(NEXT) | instid1(VALU_DEP_2)
	v_ashrrev_i32_e32 v9, 31, v9
	v_add_nc_u32_e32 v10, -1, v10
	s_delay_alu instid0(VALU_DEP_2) | instskip(NEXT) | instid1(VALU_DEP_1)
	v_add_nc_u32_e32 v9, 32, v9
	v_min_u32_e32 v11, v10, v9
	s_delay_alu instid0(VALU_DEP_1) | instskip(NEXT) | instid1(VALU_DEP_1)
	v_lshlrev_b64 v[9:10], v11, v[0:1]
	v_min_u32_e32 v9, 1, v9
	s_delay_alu instid0(VALU_DEP_1) | instskip(SKIP_1) | instid1(VALU_DEP_2)
	v_or_b32_e32 v9, v10, v9
	v_sub_nc_u32_e32 v10, 32, v11
	v_cvt_f32_i32_e32 v9, v9
	s_delay_alu instid0(VALU_DEP_1) | instskip(NEXT) | instid1(VALU_DEP_1)
	v_ldexp_f32 v9, v9, v10
	v_cvt_f16_f32_e32 v9, v9
	global_store_b16 v[2:3], v9, off
.LBB448_1748:
	s_mov_b32 s0, 0
.LBB448_1749:
	s_delay_alu instid0(SALU_CYCLE_1)
	s_and_not1_b32 vcc_lo, exec_lo, s0
	s_cbranch_vccnz .LBB448_1765
; %bb.1750:
	v_cmp_gt_i16_e32 vcc_lo, 2, v12
	s_mov_b32 s0, -1
	s_cbranch_vccnz .LBB448_1760
; %bb.1751:
	v_cmp_gt_i16_e32 vcc_lo, 3, v12
	s_cbranch_vccnz .LBB448_1757
; %bb.1752:
	v_cmp_lt_i16_e32 vcc_lo, 3, v12
	s_cbranch_vccz .LBB448_1754
; %bb.1753:
	s_mov_b32 s0, 0
	global_store_b64 v[2:3], v[0:1], off
.LBB448_1754:
	s_and_not1_b32 vcc_lo, exec_lo, s0
	s_cbranch_vccnz .LBB448_1756
; %bb.1755:
	global_store_b32 v[2:3], v0, off
.LBB448_1756:
	s_mov_b32 s0, 0
.LBB448_1757:
	s_delay_alu instid0(SALU_CYCLE_1)
	s_and_not1_b32 vcc_lo, exec_lo, s0
	s_cbranch_vccnz .LBB448_1759
; %bb.1758:
	global_store_b16 v[2:3], v0, off
.LBB448_1759:
	s_mov_b32 s0, 0
.LBB448_1760:
	s_delay_alu instid0(SALU_CYCLE_1)
	s_and_not1_b32 vcc_lo, exec_lo, s0
	s_cbranch_vccnz .LBB448_1765
; %bb.1761:
	v_cmp_lt_i16_e32 vcc_lo, 0, v12
	s_mov_b32 s0, -1
	s_cbranch_vccz .LBB448_1763
; %bb.1762:
	s_mov_b32 s0, 0
	global_store_b8 v[2:3], v0, off
.LBB448_1763:
	s_and_not1_b32 vcc_lo, exec_lo, s0
	s_cbranch_vccnz .LBB448_1765
; %bb.1764:
	global_store_b8 v[2:3], v0, off
.LBB448_1765:
	s_mov_b32 s6, -1
.LBB448_1766:
	s_delay_alu instid0(SALU_CYCLE_1)
	s_and_not1_b32 vcc_lo, exec_lo, s6
	s_cbranch_vccnz .LBB448_1962
; %bb.1767:
	v_add_nc_u32_e32 v8, s1, v8
	v_cmp_gt_i64_e32 vcc_lo, s[10:11], v[4:5]
	v_cmp_gt_i16_e64 s0, 11, v12
	s_delay_alu instid0(VALU_DEP_3) | instskip(SKIP_3) | instid1(VALU_DEP_4)
	v_ashrrev_i32_e32 v3, 31, v8
	v_cndmask_b32_e32 v1, s11, v5, vcc_lo
	v_cndmask_b32_e32 v0, s10, v4, vcc_lo
	v_add_co_u32 v2, vcc_lo, s4, v8
	v_add_co_ci_u32_e32 v3, vcc_lo, s5, v3, vcc_lo
	s_and_b32 vcc_lo, exec_lo, s0
	s_cbranch_vccnz .LBB448_1845
; %bb.1768:
	v_cmp_lt_i16_e32 vcc_lo, 25, v12
	s_mov_b32 s7, -1
	s_mov_b32 s2, 0
	s_mov_b32 s6, 0
	;; [unrolled: 1-line block ×3, first 2 shown]
	s_cbranch_vccz .LBB448_1801
; %bb.1769:
	v_cmp_lt_i16_e32 vcc_lo, 28, v12
	s_cbranch_vccz .LBB448_1784
; %bb.1770:
	v_cmp_lt_i16_e32 vcc_lo, 43, v12
	;; [unrolled: 3-line block ×3, first 2 shown]
	s_cbranch_vccz .LBB448_1774
; %bb.1772:
	v_cmp_eq_u16_e32 vcc_lo, 46, v12
	s_mov_b32 s0, -1
	s_mov_b32 s7, 0
	s_cbranch_vccz .LBB448_1774
; %bb.1773:
	v_xor_b32_e32 v4, v0, v1
	v_cls_i32_e32 v5, v1
	s_mov_b32 s6, -1
	s_mov_b32 s0, 0
	s_delay_alu instid0(VALU_DEP_2) | instskip(NEXT) | instid1(VALU_DEP_2)
	v_ashrrev_i32_e32 v4, 31, v4
	v_add_nc_u32_e32 v5, -1, v5
	s_delay_alu instid0(VALU_DEP_2) | instskip(NEXT) | instid1(VALU_DEP_1)
	v_add_nc_u32_e32 v4, 32, v4
	v_min_u32_e32 v9, v5, v4
	s_delay_alu instid0(VALU_DEP_1) | instskip(NEXT) | instid1(VALU_DEP_1)
	v_lshlrev_b64 v[4:5], v9, v[0:1]
	v_min_u32_e32 v4, 1, v4
	s_delay_alu instid0(VALU_DEP_1) | instskip(SKIP_1) | instid1(VALU_DEP_2)
	v_or_b32_e32 v4, v5, v4
	v_sub_nc_u32_e32 v5, 32, v9
	v_cvt_f32_i32_e32 v4, v4
	s_delay_alu instid0(VALU_DEP_1) | instskip(NEXT) | instid1(VALU_DEP_1)
	v_ldexp_f32 v4, v4, v5
	v_bfe_u32 v5, v4, 16, 1
	s_delay_alu instid0(VALU_DEP_1) | instskip(NEXT) | instid1(VALU_DEP_1)
	v_add3_u32 v4, v4, v5, 0x7fff
	v_lshrrev_b32_e32 v4, 16, v4
	global_store_b32 v[2:3], v4, off
.LBB448_1774:
	s_and_b32 vcc_lo, exec_lo, s7
	s_cbranch_vccz .LBB448_1779
; %bb.1775:
	v_cmp_eq_u16_e32 vcc_lo, 44, v12
	s_mov_b32 s0, -1
	s_cbranch_vccz .LBB448_1779
; %bb.1776:
	v_xor_b32_e32 v4, v0, v1
	v_cls_i32_e32 v5, v1
	s_mov_b32 s6, -1
	s_mov_b32 s7, exec_lo
	s_delay_alu instid0(VALU_DEP_2) | instskip(NEXT) | instid1(VALU_DEP_2)
	v_ashrrev_i32_e32 v4, 31, v4
	v_add_nc_u32_e32 v5, -1, v5
	s_delay_alu instid0(VALU_DEP_2) | instskip(NEXT) | instid1(VALU_DEP_1)
	v_add_nc_u32_e32 v4, 32, v4
	v_min_u32_e32 v9, v5, v4
	s_delay_alu instid0(VALU_DEP_1) | instskip(NEXT) | instid1(VALU_DEP_1)
	v_lshlrev_b64 v[4:5], v9, v[0:1]
	v_min_u32_e32 v4, 1, v4
	s_delay_alu instid0(VALU_DEP_1) | instskip(SKIP_1) | instid1(VALU_DEP_2)
	v_or_b32_e32 v4, v5, v4
	v_sub_nc_u32_e32 v5, 32, v9
	v_cvt_f32_i32_e32 v4, v4
	s_delay_alu instid0(VALU_DEP_1) | instskip(SKIP_1) | instid1(VALU_DEP_2)
	v_ldexp_f32 v4, v4, v5
	v_mov_b32_e32 v5, 0xff
	v_bfe_u32 v9, v4, 23, 8
	s_delay_alu instid0(VALU_DEP_1)
	v_cmpx_ne_u32_e32 0xff, v9
; %bb.1777:
	v_and_b32_e32 v5, 0x400000, v4
	v_and_or_b32 v9, 0x3fffff, v4, v9
	v_lshrrev_b32_e32 v4, 23, v4
	s_delay_alu instid0(VALU_DEP_3) | instskip(NEXT) | instid1(VALU_DEP_3)
	v_cmp_ne_u32_e32 vcc_lo, 0, v5
	v_cmp_ne_u32_e64 s0, 0, v9
	s_delay_alu instid0(VALU_DEP_1) | instskip(NEXT) | instid1(SALU_CYCLE_1)
	s_and_b32 s0, vcc_lo, s0
	v_cndmask_b32_e64 v5, 0, 1, s0
	s_delay_alu instid0(VALU_DEP_1)
	v_add_nc_u32_e32 v5, v4, v5
; %bb.1778:
	s_or_b32 exec_lo, exec_lo, s7
	s_mov_b32 s0, 0
	global_store_b8 v[2:3], v5, off
.LBB448_1779:
	s_mov_b32 s7, 0
.LBB448_1780:
	s_delay_alu instid0(SALU_CYCLE_1)
	s_and_b32 vcc_lo, exec_lo, s7
	s_cbranch_vccz .LBB448_1783
; %bb.1781:
	v_cmp_eq_u16_e32 vcc_lo, 29, v12
	s_mov_b32 s0, -1
	s_cbranch_vccz .LBB448_1783
; %bb.1782:
	s_mov_b32 s0, 0
	s_mov_b32 s6, -1
	global_store_b64 v[2:3], v[0:1], off
.LBB448_1783:
	s_mov_b32 s7, 0
.LBB448_1784:
	s_delay_alu instid0(SALU_CYCLE_1)
	s_and_b32 vcc_lo, exec_lo, s7
	s_cbranch_vccz .LBB448_1800
; %bb.1785:
	v_cmp_gt_i16_e32 vcc_lo, 27, v12
	s_mov_b32 s6, -1
	s_cbranch_vccnz .LBB448_1791
; %bb.1786:
	v_cmp_lt_i16_e32 vcc_lo, 27, v12
	s_cbranch_vccz .LBB448_1788
; %bb.1787:
	s_mov_b32 s6, 0
	global_store_b32 v[2:3], v0, off
.LBB448_1788:
	s_and_not1_b32 vcc_lo, exec_lo, s6
	s_cbranch_vccnz .LBB448_1790
; %bb.1789:
	global_store_b16 v[2:3], v0, off
.LBB448_1790:
	s_mov_b32 s6, 0
.LBB448_1791:
	s_delay_alu instid0(SALU_CYCLE_1)
	s_and_not1_b32 vcc_lo, exec_lo, s6
	s_cbranch_vccnz .LBB448_1799
; %bb.1792:
	v_xor_b32_e32 v4, v0, v1
	v_cls_i32_e32 v5, v1
	s_mov_b32 s6, exec_lo
	s_delay_alu instid0(VALU_DEP_2) | instskip(NEXT) | instid1(VALU_DEP_2)
	v_ashrrev_i32_e32 v4, 31, v4
	v_add_nc_u32_e32 v5, -1, v5
	s_delay_alu instid0(VALU_DEP_2) | instskip(NEXT) | instid1(VALU_DEP_1)
	v_add_nc_u32_e32 v4, 32, v4
	v_min_u32_e32 v9, v5, v4
	s_delay_alu instid0(VALU_DEP_1) | instskip(NEXT) | instid1(VALU_DEP_1)
	v_lshlrev_b64 v[4:5], v9, v[0:1]
	v_min_u32_e32 v4, 1, v4
	s_delay_alu instid0(VALU_DEP_1) | instskip(SKIP_2) | instid1(VALU_DEP_3)
	v_or_b32_e32 v4, v5, v4
	v_sub_nc_u32_e32 v5, 32, v9
	v_mov_b32_e32 v9, 0x80
	v_cvt_f32_i32_e32 v4, v4
	s_delay_alu instid0(VALU_DEP_1) | instskip(NEXT) | instid1(VALU_DEP_1)
	v_ldexp_f32 v4, v4, v5
	v_and_b32_e32 v5, 0x7fffffff, v4
	s_delay_alu instid0(VALU_DEP_1)
	v_cmpx_gt_u32_e32 0x43800000, v5
	s_cbranch_execz .LBB448_1798
; %bb.1793:
	v_cmp_lt_u32_e32 vcc_lo, 0x3bffffff, v5
	s_mov_b32 s7, 0
                                        ; implicit-def: $vgpr5
	s_and_saveexec_b32 s8, vcc_lo
	s_delay_alu instid0(SALU_CYCLE_1)
	s_xor_b32 s8, exec_lo, s8
	s_cbranch_execz .LBB448_2026
; %bb.1794:
	v_bfe_u32 v5, v4, 20, 1
	s_mov_b32 s7, exec_lo
	s_delay_alu instid0(VALU_DEP_1) | instskip(NEXT) | instid1(VALU_DEP_1)
	v_add3_u32 v5, v4, v5, 0x487ffff
	v_lshrrev_b32_e32 v5, 20, v5
	s_or_saveexec_b32 s8, s8
                                        ; implicit-def: $sgpr9
	s_delay_alu instid0(SALU_CYCLE_1)
	s_xor_b32 exec_lo, exec_lo, s8
	s_cbranch_execnz .LBB448_2027
.LBB448_1795:
	s_or_b32 exec_lo, exec_lo, s8
	v_mov_b32_e32 v9, s9
	s_and_saveexec_b32 s8, s7
.LBB448_1796:
	v_lshrrev_b32_e32 v4, 24, v4
	s_delay_alu instid0(VALU_DEP_1)
	v_and_or_b32 v9, 0x80, v4, v5
.LBB448_1797:
	s_or_b32 exec_lo, exec_lo, s8
.LBB448_1798:
	s_delay_alu instid0(SALU_CYCLE_1)
	s_or_b32 exec_lo, exec_lo, s6
	global_store_b8 v[2:3], v9, off
.LBB448_1799:
	s_mov_b32 s6, -1
.LBB448_1800:
	s_mov_b32 s7, 0
.LBB448_1801:
	s_delay_alu instid0(SALU_CYCLE_1)
	s_and_b32 vcc_lo, exec_lo, s7
	s_cbranch_vccz .LBB448_1841
; %bb.1802:
	v_cmp_lt_i16_e32 vcc_lo, 22, v12
	s_mov_b32 s2, -1
	s_cbranch_vccz .LBB448_1834
; %bb.1803:
	v_cmp_gt_i16_e32 vcc_lo, 24, v12
	s_cbranch_vccnz .LBB448_1823
; %bb.1804:
	v_cmp_lt_i16_e32 vcc_lo, 24, v12
	s_cbranch_vccz .LBB448_1812
; %bb.1805:
	v_xor_b32_e32 v4, v0, v1
	v_cls_i32_e32 v5, v1
	s_mov_b32 s2, exec_lo
	s_delay_alu instid0(VALU_DEP_2) | instskip(NEXT) | instid1(VALU_DEP_2)
	v_ashrrev_i32_e32 v4, 31, v4
	v_add_nc_u32_e32 v5, -1, v5
	s_delay_alu instid0(VALU_DEP_2) | instskip(NEXT) | instid1(VALU_DEP_1)
	v_add_nc_u32_e32 v4, 32, v4
	v_min_u32_e32 v9, v5, v4
	s_delay_alu instid0(VALU_DEP_1) | instskip(NEXT) | instid1(VALU_DEP_1)
	v_lshlrev_b64 v[4:5], v9, v[0:1]
	v_min_u32_e32 v4, 1, v4
	s_delay_alu instid0(VALU_DEP_1) | instskip(SKIP_2) | instid1(VALU_DEP_3)
	v_or_b32_e32 v4, v5, v4
	v_sub_nc_u32_e32 v5, 32, v9
	v_mov_b32_e32 v9, 0x80
	v_cvt_f32_i32_e32 v4, v4
	s_delay_alu instid0(VALU_DEP_1) | instskip(NEXT) | instid1(VALU_DEP_1)
	v_ldexp_f32 v4, v4, v5
	v_and_b32_e32 v5, 0x7fffffff, v4
	s_delay_alu instid0(VALU_DEP_1)
	v_cmpx_gt_u32_e32 0x47800000, v5
	s_cbranch_execz .LBB448_1811
; %bb.1806:
	v_cmp_lt_u32_e32 vcc_lo, 0x37ffffff, v5
	s_mov_b32 s6, 0
                                        ; implicit-def: $vgpr5
	s_and_saveexec_b32 s7, vcc_lo
	s_delay_alu instid0(SALU_CYCLE_1)
	s_xor_b32 s7, exec_lo, s7
	s_cbranch_execz .LBB448_2032
; %bb.1807:
	v_bfe_u32 v5, v4, 21, 1
	s_mov_b32 s6, exec_lo
	s_delay_alu instid0(VALU_DEP_1) | instskip(NEXT) | instid1(VALU_DEP_1)
	v_add3_u32 v5, v4, v5, 0x88fffff
	v_lshrrev_b32_e32 v5, 21, v5
	s_or_saveexec_b32 s7, s7
                                        ; implicit-def: $sgpr8
	s_delay_alu instid0(SALU_CYCLE_1)
	s_xor_b32 exec_lo, exec_lo, s7
	s_cbranch_execnz .LBB448_2033
.LBB448_1808:
	s_or_b32 exec_lo, exec_lo, s7
	v_mov_b32_e32 v9, s8
	s_and_saveexec_b32 s7, s6
.LBB448_1809:
	v_lshrrev_b32_e32 v4, 24, v4
	s_delay_alu instid0(VALU_DEP_1)
	v_and_or_b32 v9, 0x80, v4, v5
.LBB448_1810:
	s_or_b32 exec_lo, exec_lo, s7
.LBB448_1811:
	s_delay_alu instid0(SALU_CYCLE_1)
	s_or_b32 exec_lo, exec_lo, s2
	s_mov_b32 s2, 0
	global_store_b8 v[2:3], v9, off
.LBB448_1812:
	s_and_b32 vcc_lo, exec_lo, s2
	s_cbranch_vccz .LBB448_1822
; %bb.1813:
	v_xor_b32_e32 v4, v0, v1
	v_cls_i32_e32 v5, v1
	s_mov_b32 s2, exec_lo
	s_delay_alu instid0(VALU_DEP_2) | instskip(NEXT) | instid1(VALU_DEP_2)
	v_ashrrev_i32_e32 v4, 31, v4
	v_add_nc_u32_e32 v5, -1, v5
	s_delay_alu instid0(VALU_DEP_2) | instskip(NEXT) | instid1(VALU_DEP_1)
	v_add_nc_u32_e32 v4, 32, v4
	v_min_u32_e32 v9, v5, v4
	s_delay_alu instid0(VALU_DEP_1) | instskip(NEXT) | instid1(VALU_DEP_1)
	v_lshlrev_b64 v[4:5], v9, v[0:1]
	v_min_u32_e32 v4, 1, v4
	s_delay_alu instid0(VALU_DEP_1) | instskip(SKIP_1) | instid1(VALU_DEP_2)
	v_or_b32_e32 v4, v5, v4
	v_sub_nc_u32_e32 v5, 32, v9
	v_cvt_f32_i32_e32 v4, v4
	s_delay_alu instid0(VALU_DEP_1) | instskip(NEXT) | instid1(VALU_DEP_1)
	v_ldexp_f32 v4, v4, v5
                                        ; implicit-def: $vgpr5
	v_and_b32_e32 v9, 0x7fffffff, v4
	s_delay_alu instid0(VALU_DEP_1)
	v_cmpx_gt_u32_e32 0x43f00000, v9
	s_xor_b32 s2, exec_lo, s2
	s_cbranch_execz .LBB448_1819
; %bb.1814:
	s_mov_b32 s6, exec_lo
                                        ; implicit-def: $vgpr5
	v_cmpx_lt_u32_e32 0x3c7fffff, v9
	s_xor_b32 s6, exec_lo, s6
; %bb.1815:
	v_bfe_u32 v5, v4, 20, 1
	s_delay_alu instid0(VALU_DEP_1) | instskip(NEXT) | instid1(VALU_DEP_1)
	v_add3_u32 v5, v4, v5, 0x407ffff
	v_and_b32_e32 v9, 0xff00000, v5
	v_lshrrev_b32_e32 v5, 20, v5
	s_delay_alu instid0(VALU_DEP_2) | instskip(NEXT) | instid1(VALU_DEP_2)
	v_cmp_ne_u32_e32 vcc_lo, 0x7f00000, v9
	v_cndmask_b32_e32 v5, 0x7e, v5, vcc_lo
; %bb.1816:
	s_and_not1_saveexec_b32 s6, s6
; %bb.1817:
	v_add_f32_e64 v5, 0x46800000, |v4|
; %bb.1818:
	s_or_b32 exec_lo, exec_lo, s6
                                        ; implicit-def: $vgpr9
.LBB448_1819:
	s_and_not1_saveexec_b32 s2, s2
; %bb.1820:
	v_mov_b32_e32 v5, 0x7f
	v_cmp_lt_u32_e32 vcc_lo, 0x7f800000, v9
	s_delay_alu instid0(VALU_DEP_2)
	v_cndmask_b32_e32 v5, 0x7e, v5, vcc_lo
; %bb.1821:
	s_or_b32 exec_lo, exec_lo, s2
	v_lshrrev_b32_e32 v4, 24, v4
	s_delay_alu instid0(VALU_DEP_1)
	v_and_or_b32 v4, 0x80, v4, v5
	global_store_b8 v[2:3], v4, off
.LBB448_1822:
	s_mov_b32 s2, 0
.LBB448_1823:
	s_delay_alu instid0(SALU_CYCLE_1)
	s_and_not1_b32 vcc_lo, exec_lo, s2
	s_cbranch_vccnz .LBB448_1833
; %bb.1824:
	v_xor_b32_e32 v4, v0, v1
	v_cls_i32_e32 v5, v1
	s_mov_b32 s2, exec_lo
	s_delay_alu instid0(VALU_DEP_2) | instskip(NEXT) | instid1(VALU_DEP_2)
	v_ashrrev_i32_e32 v4, 31, v4
	v_add_nc_u32_e32 v5, -1, v5
	s_delay_alu instid0(VALU_DEP_2) | instskip(NEXT) | instid1(VALU_DEP_1)
	v_add_nc_u32_e32 v4, 32, v4
	v_min_u32_e32 v9, v5, v4
	s_delay_alu instid0(VALU_DEP_1) | instskip(NEXT) | instid1(VALU_DEP_1)
	v_lshlrev_b64 v[4:5], v9, v[0:1]
	v_min_u32_e32 v4, 1, v4
	s_delay_alu instid0(VALU_DEP_1) | instskip(SKIP_1) | instid1(VALU_DEP_2)
	v_or_b32_e32 v4, v5, v4
	v_sub_nc_u32_e32 v5, 32, v9
	v_cvt_f32_i32_e32 v4, v4
	s_delay_alu instid0(VALU_DEP_1) | instskip(NEXT) | instid1(VALU_DEP_1)
	v_ldexp_f32 v4, v4, v5
                                        ; implicit-def: $vgpr5
	v_and_b32_e32 v9, 0x7fffffff, v4
	s_delay_alu instid0(VALU_DEP_1)
	v_cmpx_gt_u32_e32 0x47800000, v9
	s_xor_b32 s2, exec_lo, s2
	s_cbranch_execz .LBB448_1830
; %bb.1825:
	s_mov_b32 s6, exec_lo
                                        ; implicit-def: $vgpr5
	v_cmpx_lt_u32_e32 0x387fffff, v9
	s_xor_b32 s6, exec_lo, s6
; %bb.1826:
	v_bfe_u32 v5, v4, 21, 1
	s_delay_alu instid0(VALU_DEP_1) | instskip(NEXT) | instid1(VALU_DEP_1)
	v_add3_u32 v5, v4, v5, 0x80fffff
	v_lshrrev_b32_e32 v5, 21, v5
; %bb.1827:
	s_and_not1_saveexec_b32 s6, s6
; %bb.1828:
	v_add_f32_e64 v5, 0x43000000, |v4|
; %bb.1829:
	s_or_b32 exec_lo, exec_lo, s6
                                        ; implicit-def: $vgpr9
.LBB448_1830:
	s_and_not1_saveexec_b32 s2, s2
; %bb.1831:
	v_mov_b32_e32 v5, 0x7f
	v_cmp_lt_u32_e32 vcc_lo, 0x7f800000, v9
	s_delay_alu instid0(VALU_DEP_2)
	v_cndmask_b32_e32 v5, 0x7c, v5, vcc_lo
; %bb.1832:
	s_or_b32 exec_lo, exec_lo, s2
	v_lshrrev_b32_e32 v4, 24, v4
	s_delay_alu instid0(VALU_DEP_1)
	v_and_or_b32 v4, 0x80, v4, v5
	global_store_b8 v[2:3], v4, off
.LBB448_1833:
	s_mov_b32 s2, 0
	s_mov_b32 s6, -1
.LBB448_1834:
	s_and_not1_b32 vcc_lo, exec_lo, s2
	s_mov_b32 s2, 0
	s_cbranch_vccnz .LBB448_1841
; %bb.1835:
	v_cmp_lt_i16_e32 vcc_lo, 14, v12
	s_mov_b32 s2, -1
	s_cbranch_vccz .LBB448_1839
; %bb.1836:
	v_cmp_eq_u16_e32 vcc_lo, 15, v12
	s_mov_b32 s0, -1
	s_cbranch_vccz .LBB448_1838
; %bb.1837:
	v_xor_b32_e32 v4, v0, v1
	v_cls_i32_e32 v5, v1
	s_mov_b32 s6, -1
	s_mov_b32 s0, 0
	s_delay_alu instid0(VALU_DEP_2) | instskip(NEXT) | instid1(VALU_DEP_2)
	v_ashrrev_i32_e32 v4, 31, v4
	v_add_nc_u32_e32 v5, -1, v5
	s_delay_alu instid0(VALU_DEP_2) | instskip(NEXT) | instid1(VALU_DEP_1)
	v_add_nc_u32_e32 v4, 32, v4
	v_min_u32_e32 v9, v5, v4
	s_delay_alu instid0(VALU_DEP_1) | instskip(NEXT) | instid1(VALU_DEP_1)
	v_lshlrev_b64 v[4:5], v9, v[0:1]
	v_min_u32_e32 v4, 1, v4
	s_delay_alu instid0(VALU_DEP_1) | instskip(SKIP_1) | instid1(VALU_DEP_2)
	v_or_b32_e32 v4, v5, v4
	v_sub_nc_u32_e32 v5, 32, v9
	v_cvt_f32_i32_e32 v4, v4
	s_delay_alu instid0(VALU_DEP_1) | instskip(NEXT) | instid1(VALU_DEP_1)
	v_ldexp_f32 v4, v4, v5
	v_bfe_u32 v5, v4, 16, 1
	s_delay_alu instid0(VALU_DEP_1)
	v_add3_u32 v4, v4, v5, 0x7fff
	global_store_d16_hi_b16 v[2:3], v4, off
.LBB448_1838:
	s_mov_b32 s2, 0
.LBB448_1839:
	s_delay_alu instid0(SALU_CYCLE_1)
	s_and_b32 vcc_lo, exec_lo, s2
	s_mov_b32 s2, 0
	s_cbranch_vccz .LBB448_1841
; %bb.1840:
	v_cmp_ne_u16_e64 s0, 11, v12
	s_mov_b32 s2, -1
.LBB448_1841:
	s_delay_alu instid0(VALU_DEP_1)
	s_and_b32 vcc_lo, exec_lo, s0
	s_cbranch_vccnz .LBB448_2030
; %bb.1842:
	s_and_not1_b32 vcc_lo, exec_lo, s2
	s_cbranch_vccnz .LBB448_1844
.LBB448_1843:
	v_cmp_ne_u64_e32 vcc_lo, 0, v[0:1]
	s_mov_b32 s6, -1
	v_cndmask_b32_e64 v4, 0, 1, vcc_lo
	global_store_b8 v[2:3], v4, off
.LBB448_1844:
	s_mov_b32 s0, 0
	s_branch .LBB448_1846
.LBB448_1845:
	s_mov_b32 s0, -1
	s_mov_b32 s6, 0
.LBB448_1846:
	s_and_b32 vcc_lo, exec_lo, s0
	s_cbranch_vccz .LBB448_1885
; %bb.1847:
	v_cmp_gt_i16_e32 vcc_lo, 5, v12
	s_mov_b32 s0, -1
	s_cbranch_vccnz .LBB448_1868
; %bb.1848:
	v_cmp_gt_i16_e32 vcc_lo, 8, v12
	s_cbranch_vccnz .LBB448_1858
; %bb.1849:
	v_cmp_gt_i16_e32 vcc_lo, 9, v12
	s_cbranch_vccnz .LBB448_1855
; %bb.1850:
	v_cmp_lt_i16_e32 vcc_lo, 9, v12
	s_cbranch_vccz .LBB448_1852
; %bb.1851:
	v_cvt_f64_i32_e32 v[4:5], v1
	v_cvt_f64_u32_e32 v[9:10], v0
	v_mov_b32_e32 v15, 0
	s_mov_b32 s0, 0
	s_delay_alu instid0(VALU_DEP_1) | instskip(NEXT) | instid1(VALU_DEP_4)
	v_mov_b32_e32 v16, v15
	v_ldexp_f64 v[4:5], v[4:5], 32
	s_delay_alu instid0(VALU_DEP_1)
	v_add_f64 v[13:14], v[4:5], v[9:10]
	global_store_b128 v[2:3], v[13:16], off
.LBB448_1852:
	s_and_not1_b32 vcc_lo, exec_lo, s0
	s_cbranch_vccnz .LBB448_1854
; %bb.1853:
	v_xor_b32_e32 v4, v0, v1
	v_cls_i32_e32 v5, v1
	s_delay_alu instid0(VALU_DEP_2) | instskip(NEXT) | instid1(VALU_DEP_2)
	v_ashrrev_i32_e32 v4, 31, v4
	v_add_nc_u32_e32 v5, -1, v5
	s_delay_alu instid0(VALU_DEP_2) | instskip(NEXT) | instid1(VALU_DEP_1)
	v_add_nc_u32_e32 v4, 32, v4
	v_min_u32_e32 v9, v5, v4
	s_delay_alu instid0(VALU_DEP_1) | instskip(NEXT) | instid1(VALU_DEP_1)
	v_lshlrev_b64 v[4:5], v9, v[0:1]
	v_min_u32_e32 v4, 1, v4
	s_delay_alu instid0(VALU_DEP_1) | instskip(SKIP_1) | instid1(VALU_DEP_2)
	v_or_b32_e32 v4, v5, v4
	v_sub_nc_u32_e32 v5, 32, v9
	v_cvt_f32_i32_e32 v4, v4
	s_delay_alu instid0(VALU_DEP_1)
	v_ldexp_f32 v4, v4, v5
	v_mov_b32_e32 v5, 0
	global_store_b64 v[2:3], v[4:5], off
.LBB448_1854:
	s_mov_b32 s0, 0
.LBB448_1855:
	s_delay_alu instid0(SALU_CYCLE_1)
	s_and_not1_b32 vcc_lo, exec_lo, s0
	s_cbranch_vccnz .LBB448_1857
; %bb.1856:
	v_xor_b32_e32 v4, v0, v1
	v_cls_i32_e32 v5, v1
	s_delay_alu instid0(VALU_DEP_2) | instskip(NEXT) | instid1(VALU_DEP_2)
	v_ashrrev_i32_e32 v4, 31, v4
	v_add_nc_u32_e32 v5, -1, v5
	s_delay_alu instid0(VALU_DEP_2) | instskip(NEXT) | instid1(VALU_DEP_1)
	v_add_nc_u32_e32 v4, 32, v4
	v_min_u32_e32 v9, v5, v4
	s_delay_alu instid0(VALU_DEP_1) | instskip(NEXT) | instid1(VALU_DEP_1)
	v_lshlrev_b64 v[4:5], v9, v[0:1]
	v_min_u32_e32 v4, 1, v4
	s_delay_alu instid0(VALU_DEP_1) | instskip(SKIP_1) | instid1(VALU_DEP_2)
	v_or_b32_e32 v4, v5, v4
	v_sub_nc_u32_e32 v5, 32, v9
	v_cvt_f32_i32_e32 v4, v4
	s_delay_alu instid0(VALU_DEP_1) | instskip(NEXT) | instid1(VALU_DEP_1)
	v_ldexp_f32 v4, v4, v5
	v_cvt_f16_f32_e32 v4, v4
	s_delay_alu instid0(VALU_DEP_1)
	v_and_b32_e32 v4, 0xffff, v4
	global_store_b32 v[2:3], v4, off
.LBB448_1857:
	s_mov_b32 s0, 0
.LBB448_1858:
	s_delay_alu instid0(SALU_CYCLE_1)
	s_and_not1_b32 vcc_lo, exec_lo, s0
	s_cbranch_vccnz .LBB448_1867
; %bb.1859:
	v_cmp_gt_i16_e32 vcc_lo, 6, v12
	s_mov_b32 s0, -1
	s_cbranch_vccnz .LBB448_1865
; %bb.1860:
	v_cmp_lt_i16_e32 vcc_lo, 6, v12
	s_cbranch_vccz .LBB448_1862
; %bb.1861:
	v_cvt_f64_i32_e32 v[4:5], v1
	v_cvt_f64_u32_e32 v[9:10], v0
	s_mov_b32 s0, 0
	s_delay_alu instid0(VALU_DEP_2) | instskip(NEXT) | instid1(VALU_DEP_1)
	v_ldexp_f64 v[4:5], v[4:5], 32
	v_add_f64 v[4:5], v[4:5], v[9:10]
	global_store_b64 v[2:3], v[4:5], off
.LBB448_1862:
	s_and_not1_b32 vcc_lo, exec_lo, s0
	s_cbranch_vccnz .LBB448_1864
; %bb.1863:
	v_xor_b32_e32 v4, v0, v1
	v_cls_i32_e32 v5, v1
	s_delay_alu instid0(VALU_DEP_2) | instskip(NEXT) | instid1(VALU_DEP_2)
	v_ashrrev_i32_e32 v4, 31, v4
	v_add_nc_u32_e32 v5, -1, v5
	s_delay_alu instid0(VALU_DEP_2) | instskip(NEXT) | instid1(VALU_DEP_1)
	v_add_nc_u32_e32 v4, 32, v4
	v_min_u32_e32 v9, v5, v4
	s_delay_alu instid0(VALU_DEP_1) | instskip(NEXT) | instid1(VALU_DEP_1)
	v_lshlrev_b64 v[4:5], v9, v[0:1]
	v_min_u32_e32 v4, 1, v4
	s_delay_alu instid0(VALU_DEP_1) | instskip(SKIP_1) | instid1(VALU_DEP_2)
	v_or_b32_e32 v4, v5, v4
	v_sub_nc_u32_e32 v5, 32, v9
	v_cvt_f32_i32_e32 v4, v4
	s_delay_alu instid0(VALU_DEP_1)
	v_ldexp_f32 v4, v4, v5
	global_store_b32 v[2:3], v4, off
.LBB448_1864:
	s_mov_b32 s0, 0
.LBB448_1865:
	s_delay_alu instid0(SALU_CYCLE_1)
	s_and_not1_b32 vcc_lo, exec_lo, s0
	s_cbranch_vccnz .LBB448_1867
; %bb.1866:
	v_xor_b32_e32 v4, v0, v1
	v_cls_i32_e32 v5, v1
	s_delay_alu instid0(VALU_DEP_2) | instskip(NEXT) | instid1(VALU_DEP_2)
	v_ashrrev_i32_e32 v4, 31, v4
	v_add_nc_u32_e32 v5, -1, v5
	s_delay_alu instid0(VALU_DEP_2) | instskip(NEXT) | instid1(VALU_DEP_1)
	v_add_nc_u32_e32 v4, 32, v4
	v_min_u32_e32 v9, v5, v4
	s_delay_alu instid0(VALU_DEP_1) | instskip(NEXT) | instid1(VALU_DEP_1)
	v_lshlrev_b64 v[4:5], v9, v[0:1]
	v_min_u32_e32 v4, 1, v4
	s_delay_alu instid0(VALU_DEP_1) | instskip(SKIP_1) | instid1(VALU_DEP_2)
	v_or_b32_e32 v4, v5, v4
	v_sub_nc_u32_e32 v5, 32, v9
	v_cvt_f32_i32_e32 v4, v4
	s_delay_alu instid0(VALU_DEP_1) | instskip(NEXT) | instid1(VALU_DEP_1)
	v_ldexp_f32 v4, v4, v5
	v_cvt_f16_f32_e32 v4, v4
	global_store_b16 v[2:3], v4, off
.LBB448_1867:
	s_mov_b32 s0, 0
.LBB448_1868:
	s_delay_alu instid0(SALU_CYCLE_1)
	s_and_not1_b32 vcc_lo, exec_lo, s0
	s_cbranch_vccnz .LBB448_1884
; %bb.1869:
	v_cmp_gt_i16_e32 vcc_lo, 2, v12
	s_mov_b32 s0, -1
	s_cbranch_vccnz .LBB448_1879
; %bb.1870:
	v_cmp_gt_i16_e32 vcc_lo, 3, v12
	s_cbranch_vccnz .LBB448_1876
; %bb.1871:
	v_cmp_lt_i16_e32 vcc_lo, 3, v12
	s_cbranch_vccz .LBB448_1873
; %bb.1872:
	s_mov_b32 s0, 0
	global_store_b64 v[2:3], v[0:1], off
.LBB448_1873:
	s_and_not1_b32 vcc_lo, exec_lo, s0
	s_cbranch_vccnz .LBB448_1875
; %bb.1874:
	global_store_b32 v[2:3], v0, off
.LBB448_1875:
	s_mov_b32 s0, 0
.LBB448_1876:
	s_delay_alu instid0(SALU_CYCLE_1)
	s_and_not1_b32 vcc_lo, exec_lo, s0
	s_cbranch_vccnz .LBB448_1878
; %bb.1877:
	global_store_b16 v[2:3], v0, off
.LBB448_1878:
	s_mov_b32 s0, 0
.LBB448_1879:
	s_delay_alu instid0(SALU_CYCLE_1)
	s_and_not1_b32 vcc_lo, exec_lo, s0
	s_cbranch_vccnz .LBB448_1884
; %bb.1880:
	v_cmp_lt_i16_e32 vcc_lo, 0, v12
	s_mov_b32 s0, -1
	s_cbranch_vccz .LBB448_1882
; %bb.1881:
	s_mov_b32 s0, 0
	global_store_b8 v[2:3], v0, off
.LBB448_1882:
	s_and_not1_b32 vcc_lo, exec_lo, s0
	s_cbranch_vccnz .LBB448_1884
; %bb.1883:
	global_store_b8 v[2:3], v0, off
.LBB448_1884:
	s_mov_b32 s6, -1
.LBB448_1885:
	s_delay_alu instid0(SALU_CYCLE_1)
	s_and_not1_b32 vcc_lo, exec_lo, s6
	s_cbranch_vccnz .LBB448_1962
; %bb.1886:
	v_add_nc_u32_e32 v2, s1, v8
	v_cmp_gt_i64_e32 vcc_lo, s[10:11], v[6:7]
	v_cmp_gt_i16_e64 s0, 11, v12
	s_delay_alu instid0(VALU_DEP_3) | instskip(SKIP_3) | instid1(VALU_DEP_4)
	v_ashrrev_i32_e32 v3, 31, v2
	v_cndmask_b32_e32 v1, s11, v7, vcc_lo
	v_cndmask_b32_e32 v0, s10, v6, vcc_lo
	v_add_co_u32 v2, vcc_lo, s4, v2
	v_add_co_ci_u32_e32 v3, vcc_lo, s5, v3, vcc_lo
	s_and_b32 vcc_lo, exec_lo, s0
	s_cbranch_vccnz .LBB448_2007
; %bb.1887:
	v_cmp_lt_i16_e32 vcc_lo, 25, v12
	s_mov_b32 s2, -1
	s_mov_b32 s1, 0
	s_mov_b32 s0, 0
	s_cbranch_vccz .LBB448_1920
; %bb.1888:
	v_cmp_lt_i16_e32 vcc_lo, 28, v12
	s_cbranch_vccz .LBB448_1904
; %bb.1889:
	v_cmp_lt_i16_e32 vcc_lo, 43, v12
	;; [unrolled: 3-line block ×3, first 2 shown]
	s_cbranch_vccz .LBB448_1894
; %bb.1891:
	v_cmp_eq_u16_e32 vcc_lo, 46, v12
	s_mov_b32 s0, -1
	s_cbranch_vccz .LBB448_1893
; %bb.1892:
	v_xor_b32_e32 v4, v0, v1
	v_cls_i32_e32 v5, v1
	s_mov_b32 s0, 0
	s_delay_alu instid0(VALU_DEP_2) | instskip(NEXT) | instid1(VALU_DEP_2)
	v_ashrrev_i32_e32 v4, 31, v4
	v_add_nc_u32_e32 v5, -1, v5
	s_delay_alu instid0(VALU_DEP_2) | instskip(NEXT) | instid1(VALU_DEP_1)
	v_add_nc_u32_e32 v4, 32, v4
	v_min_u32_e32 v6, v5, v4
	s_delay_alu instid0(VALU_DEP_1) | instskip(NEXT) | instid1(VALU_DEP_1)
	v_lshlrev_b64 v[4:5], v6, v[0:1]
	v_min_u32_e32 v4, 1, v4
	s_delay_alu instid0(VALU_DEP_1) | instskip(SKIP_1) | instid1(VALU_DEP_2)
	v_or_b32_e32 v4, v5, v4
	v_sub_nc_u32_e32 v5, 32, v6
	v_cvt_f32_i32_e32 v4, v4
	s_delay_alu instid0(VALU_DEP_1) | instskip(NEXT) | instid1(VALU_DEP_1)
	v_ldexp_f32 v4, v4, v5
	v_bfe_u32 v5, v4, 16, 1
	s_delay_alu instid0(VALU_DEP_1) | instskip(NEXT) | instid1(VALU_DEP_1)
	v_add3_u32 v4, v4, v5, 0x7fff
	v_lshrrev_b32_e32 v4, 16, v4
	global_store_b32 v[2:3], v4, off
.LBB448_1893:
	s_mov_b32 s2, 0
.LBB448_1894:
	s_delay_alu instid0(SALU_CYCLE_1)
	s_and_b32 vcc_lo, exec_lo, s2
	s_cbranch_vccz .LBB448_1899
; %bb.1895:
	v_cmp_eq_u16_e32 vcc_lo, 44, v12
	s_mov_b32 s0, -1
	s_cbranch_vccz .LBB448_1899
; %bb.1896:
	v_xor_b32_e32 v4, v0, v1
	v_cls_i32_e32 v5, v1
	s_mov_b32 s2, exec_lo
	s_delay_alu instid0(VALU_DEP_2) | instskip(NEXT) | instid1(VALU_DEP_2)
	v_ashrrev_i32_e32 v4, 31, v4
	v_add_nc_u32_e32 v5, -1, v5
	s_delay_alu instid0(VALU_DEP_2) | instskip(NEXT) | instid1(VALU_DEP_1)
	v_add_nc_u32_e32 v4, 32, v4
	v_min_u32_e32 v6, v5, v4
	s_delay_alu instid0(VALU_DEP_1) | instskip(NEXT) | instid1(VALU_DEP_1)
	v_lshlrev_b64 v[4:5], v6, v[0:1]
	v_min_u32_e32 v4, 1, v4
	s_delay_alu instid0(VALU_DEP_1) | instskip(SKIP_1) | instid1(VALU_DEP_2)
	v_or_b32_e32 v4, v5, v4
	v_sub_nc_u32_e32 v5, 32, v6
	v_cvt_f32_i32_e32 v4, v4
	s_delay_alu instid0(VALU_DEP_1) | instskip(SKIP_1) | instid1(VALU_DEP_2)
	v_ldexp_f32 v4, v4, v5
	v_mov_b32_e32 v5, 0xff
	v_bfe_u32 v6, v4, 23, 8
	s_delay_alu instid0(VALU_DEP_1)
	v_cmpx_ne_u32_e32 0xff, v6
; %bb.1897:
	v_and_b32_e32 v5, 0x400000, v4
	v_and_or_b32 v6, 0x3fffff, v4, v6
	v_lshrrev_b32_e32 v4, 23, v4
	s_delay_alu instid0(VALU_DEP_3) | instskip(NEXT) | instid1(VALU_DEP_3)
	v_cmp_ne_u32_e32 vcc_lo, 0, v5
	v_cmp_ne_u32_e64 s0, 0, v6
	s_delay_alu instid0(VALU_DEP_1) | instskip(NEXT) | instid1(SALU_CYCLE_1)
	s_and_b32 s0, vcc_lo, s0
	v_cndmask_b32_e64 v5, 0, 1, s0
	s_delay_alu instid0(VALU_DEP_1)
	v_add_nc_u32_e32 v5, v4, v5
; %bb.1898:
	s_or_b32 exec_lo, exec_lo, s2
	s_mov_b32 s0, 0
	global_store_b8 v[2:3], v5, off
.LBB448_1899:
	s_mov_b32 s2, 0
.LBB448_1900:
	s_delay_alu instid0(SALU_CYCLE_1)
	s_and_b32 vcc_lo, exec_lo, s2
	s_cbranch_vccz .LBB448_1903
; %bb.1901:
	v_cmp_eq_u16_e32 vcc_lo, 29, v12
	s_mov_b32 s0, -1
	s_cbranch_vccz .LBB448_1903
; %bb.1902:
	s_mov_b32 s0, 0
	global_store_b64 v[2:3], v[0:1], off
.LBB448_1903:
	s_mov_b32 s2, 0
.LBB448_1904:
	s_delay_alu instid0(SALU_CYCLE_1)
	s_and_b32 vcc_lo, exec_lo, s2
	s_cbranch_vccz .LBB448_1919
; %bb.1905:
	v_cmp_gt_i16_e32 vcc_lo, 27, v12
	s_mov_b32 s2, -1
	s_cbranch_vccnz .LBB448_1911
; %bb.1906:
	v_cmp_lt_i16_e32 vcc_lo, 27, v12
	s_cbranch_vccz .LBB448_1908
; %bb.1907:
	s_mov_b32 s2, 0
	global_store_b32 v[2:3], v0, off
.LBB448_1908:
	s_and_not1_b32 vcc_lo, exec_lo, s2
	s_cbranch_vccnz .LBB448_1910
; %bb.1909:
	global_store_b16 v[2:3], v0, off
.LBB448_1910:
	s_mov_b32 s2, 0
.LBB448_1911:
	s_delay_alu instid0(SALU_CYCLE_1)
	s_and_not1_b32 vcc_lo, exec_lo, s2
	s_cbranch_vccnz .LBB448_1919
; %bb.1912:
	v_xor_b32_e32 v4, v0, v1
	v_cls_i32_e32 v5, v1
	s_mov_b32 s2, exec_lo
	s_delay_alu instid0(VALU_DEP_2) | instskip(NEXT) | instid1(VALU_DEP_2)
	v_ashrrev_i32_e32 v4, 31, v4
	v_add_nc_u32_e32 v5, -1, v5
	s_delay_alu instid0(VALU_DEP_2) | instskip(NEXT) | instid1(VALU_DEP_1)
	v_add_nc_u32_e32 v4, 32, v4
	v_min_u32_e32 v6, v5, v4
	s_delay_alu instid0(VALU_DEP_1) | instskip(NEXT) | instid1(VALU_DEP_1)
	v_lshlrev_b64 v[4:5], v6, v[0:1]
	v_min_u32_e32 v4, 1, v4
	s_delay_alu instid0(VALU_DEP_1) | instskip(SKIP_2) | instid1(VALU_DEP_3)
	v_or_b32_e32 v4, v5, v4
	v_sub_nc_u32_e32 v5, 32, v6
	v_mov_b32_e32 v6, 0x80
	v_cvt_f32_i32_e32 v4, v4
	s_delay_alu instid0(VALU_DEP_1) | instskip(NEXT) | instid1(VALU_DEP_1)
	v_ldexp_f32 v4, v4, v5
	v_and_b32_e32 v5, 0x7fffffff, v4
	s_delay_alu instid0(VALU_DEP_1)
	v_cmpx_gt_u32_e32 0x43800000, v5
	s_cbranch_execz .LBB448_1918
; %bb.1913:
	v_cmp_lt_u32_e32 vcc_lo, 0x3bffffff, v5
	s_mov_b32 s4, 0
                                        ; implicit-def: $vgpr5
	s_and_saveexec_b32 s5, vcc_lo
	s_delay_alu instid0(SALU_CYCLE_1)
	s_xor_b32 s5, exec_lo, s5
	s_cbranch_execz .LBB448_2034
; %bb.1914:
	v_bfe_u32 v5, v4, 20, 1
	s_mov_b32 s4, exec_lo
	s_delay_alu instid0(VALU_DEP_1) | instskip(NEXT) | instid1(VALU_DEP_1)
	v_add3_u32 v5, v4, v5, 0x487ffff
	v_lshrrev_b32_e32 v5, 20, v5
	s_or_saveexec_b32 s5, s5
                                        ; implicit-def: $sgpr6
	s_delay_alu instid0(SALU_CYCLE_1)
	s_xor_b32 exec_lo, exec_lo, s5
	s_cbranch_execnz .LBB448_2035
.LBB448_1915:
	s_or_b32 exec_lo, exec_lo, s5
	v_mov_b32_e32 v6, s6
	s_and_saveexec_b32 s5, s4
.LBB448_1916:
	v_lshrrev_b32_e32 v4, 24, v4
	s_delay_alu instid0(VALU_DEP_1)
	v_and_or_b32 v6, 0x80, v4, v5
.LBB448_1917:
	s_or_b32 exec_lo, exec_lo, s5
.LBB448_1918:
	s_delay_alu instid0(SALU_CYCLE_1)
	s_or_b32 exec_lo, exec_lo, s2
	global_store_b8 v[2:3], v6, off
.LBB448_1919:
	s_mov_b32 s2, 0
.LBB448_1920:
	s_delay_alu instid0(SALU_CYCLE_1)
	s_and_b32 vcc_lo, exec_lo, s2
	s_cbranch_vccz .LBB448_1960
; %bb.1921:
	v_cmp_lt_i16_e32 vcc_lo, 22, v12
	s_mov_b32 s1, -1
	s_cbranch_vccz .LBB448_1953
; %bb.1922:
	v_cmp_gt_i16_e32 vcc_lo, 24, v12
	s_cbranch_vccnz .LBB448_1942
; %bb.1923:
	v_cmp_lt_i16_e32 vcc_lo, 24, v12
	s_cbranch_vccz .LBB448_1931
; %bb.1924:
	v_xor_b32_e32 v4, v0, v1
	v_cls_i32_e32 v5, v1
	s_mov_b32 s1, exec_lo
	s_delay_alu instid0(VALU_DEP_2) | instskip(NEXT) | instid1(VALU_DEP_2)
	v_ashrrev_i32_e32 v4, 31, v4
	v_add_nc_u32_e32 v5, -1, v5
	s_delay_alu instid0(VALU_DEP_2) | instskip(NEXT) | instid1(VALU_DEP_1)
	v_add_nc_u32_e32 v4, 32, v4
	v_min_u32_e32 v6, v5, v4
	s_delay_alu instid0(VALU_DEP_1) | instskip(NEXT) | instid1(VALU_DEP_1)
	v_lshlrev_b64 v[4:5], v6, v[0:1]
	v_min_u32_e32 v4, 1, v4
	s_delay_alu instid0(VALU_DEP_1) | instskip(SKIP_2) | instid1(VALU_DEP_3)
	v_or_b32_e32 v4, v5, v4
	v_sub_nc_u32_e32 v5, 32, v6
	v_mov_b32_e32 v6, 0x80
	v_cvt_f32_i32_e32 v4, v4
	s_delay_alu instid0(VALU_DEP_1) | instskip(NEXT) | instid1(VALU_DEP_1)
	v_ldexp_f32 v4, v4, v5
	v_and_b32_e32 v5, 0x7fffffff, v4
	s_delay_alu instid0(VALU_DEP_1)
	v_cmpx_gt_u32_e32 0x47800000, v5
	s_cbranch_execz .LBB448_1930
; %bb.1925:
	v_cmp_lt_u32_e32 vcc_lo, 0x37ffffff, v5
	s_mov_b32 s2, 0
                                        ; implicit-def: $vgpr5
	s_and_saveexec_b32 s4, vcc_lo
	s_delay_alu instid0(SALU_CYCLE_1)
	s_xor_b32 s4, exec_lo, s4
	s_cbranch_execz .LBB448_2040
; %bb.1926:
	v_bfe_u32 v5, v4, 21, 1
	s_mov_b32 s2, exec_lo
	s_delay_alu instid0(VALU_DEP_1) | instskip(NEXT) | instid1(VALU_DEP_1)
	v_add3_u32 v5, v4, v5, 0x88fffff
	v_lshrrev_b32_e32 v5, 21, v5
	s_or_saveexec_b32 s4, s4
                                        ; implicit-def: $sgpr5
	s_delay_alu instid0(SALU_CYCLE_1)
	s_xor_b32 exec_lo, exec_lo, s4
	s_cbranch_execnz .LBB448_2041
.LBB448_1927:
	s_or_b32 exec_lo, exec_lo, s4
	v_mov_b32_e32 v6, s5
	s_and_saveexec_b32 s4, s2
.LBB448_1928:
	v_lshrrev_b32_e32 v4, 24, v4
	s_delay_alu instid0(VALU_DEP_1)
	v_and_or_b32 v6, 0x80, v4, v5
.LBB448_1929:
	s_or_b32 exec_lo, exec_lo, s4
.LBB448_1930:
	s_delay_alu instid0(SALU_CYCLE_1)
	s_or_b32 exec_lo, exec_lo, s1
	s_mov_b32 s1, 0
	global_store_b8 v[2:3], v6, off
.LBB448_1931:
	s_and_b32 vcc_lo, exec_lo, s1
	s_cbranch_vccz .LBB448_1941
; %bb.1932:
	v_xor_b32_e32 v4, v0, v1
	v_cls_i32_e32 v5, v1
	s_mov_b32 s1, exec_lo
	s_delay_alu instid0(VALU_DEP_2) | instskip(NEXT) | instid1(VALU_DEP_2)
	v_ashrrev_i32_e32 v4, 31, v4
	v_add_nc_u32_e32 v5, -1, v5
	s_delay_alu instid0(VALU_DEP_2) | instskip(NEXT) | instid1(VALU_DEP_1)
	v_add_nc_u32_e32 v4, 32, v4
	v_min_u32_e32 v6, v5, v4
	s_delay_alu instid0(VALU_DEP_1) | instskip(NEXT) | instid1(VALU_DEP_1)
	v_lshlrev_b64 v[4:5], v6, v[0:1]
	v_min_u32_e32 v4, 1, v4
	s_delay_alu instid0(VALU_DEP_1) | instskip(SKIP_1) | instid1(VALU_DEP_2)
	v_or_b32_e32 v4, v5, v4
	v_sub_nc_u32_e32 v5, 32, v6
	v_cvt_f32_i32_e32 v4, v4
	s_delay_alu instid0(VALU_DEP_1) | instskip(NEXT) | instid1(VALU_DEP_1)
	v_ldexp_f32 v4, v4, v5
                                        ; implicit-def: $vgpr5
	v_and_b32_e32 v6, 0x7fffffff, v4
	s_delay_alu instid0(VALU_DEP_1)
	v_cmpx_gt_u32_e32 0x43f00000, v6
	s_xor_b32 s1, exec_lo, s1
	s_cbranch_execz .LBB448_1938
; %bb.1933:
	s_mov_b32 s2, exec_lo
                                        ; implicit-def: $vgpr5
	v_cmpx_lt_u32_e32 0x3c7fffff, v6
	s_xor_b32 s2, exec_lo, s2
; %bb.1934:
	v_bfe_u32 v5, v4, 20, 1
	s_delay_alu instid0(VALU_DEP_1) | instskip(NEXT) | instid1(VALU_DEP_1)
	v_add3_u32 v5, v4, v5, 0x407ffff
	v_and_b32_e32 v6, 0xff00000, v5
	v_lshrrev_b32_e32 v5, 20, v5
	s_delay_alu instid0(VALU_DEP_2) | instskip(NEXT) | instid1(VALU_DEP_2)
	v_cmp_ne_u32_e32 vcc_lo, 0x7f00000, v6
	v_cndmask_b32_e32 v5, 0x7e, v5, vcc_lo
; %bb.1935:
	s_and_not1_saveexec_b32 s2, s2
; %bb.1936:
	v_add_f32_e64 v5, 0x46800000, |v4|
; %bb.1937:
	s_or_b32 exec_lo, exec_lo, s2
                                        ; implicit-def: $vgpr6
.LBB448_1938:
	s_and_not1_saveexec_b32 s1, s1
; %bb.1939:
	v_mov_b32_e32 v5, 0x7f
	v_cmp_lt_u32_e32 vcc_lo, 0x7f800000, v6
	s_delay_alu instid0(VALU_DEP_2)
	v_cndmask_b32_e32 v5, 0x7e, v5, vcc_lo
; %bb.1940:
	s_or_b32 exec_lo, exec_lo, s1
	v_lshrrev_b32_e32 v4, 24, v4
	s_delay_alu instid0(VALU_DEP_1)
	v_and_or_b32 v4, 0x80, v4, v5
	global_store_b8 v[2:3], v4, off
.LBB448_1941:
	s_mov_b32 s1, 0
.LBB448_1942:
	s_delay_alu instid0(SALU_CYCLE_1)
	s_and_not1_b32 vcc_lo, exec_lo, s1
	s_cbranch_vccnz .LBB448_1952
; %bb.1943:
	v_xor_b32_e32 v4, v0, v1
	v_cls_i32_e32 v5, v1
	s_mov_b32 s1, exec_lo
	s_delay_alu instid0(VALU_DEP_2) | instskip(NEXT) | instid1(VALU_DEP_2)
	v_ashrrev_i32_e32 v4, 31, v4
	v_add_nc_u32_e32 v5, -1, v5
	s_delay_alu instid0(VALU_DEP_2) | instskip(NEXT) | instid1(VALU_DEP_1)
	v_add_nc_u32_e32 v4, 32, v4
	v_min_u32_e32 v6, v5, v4
	s_delay_alu instid0(VALU_DEP_1) | instskip(NEXT) | instid1(VALU_DEP_1)
	v_lshlrev_b64 v[4:5], v6, v[0:1]
	v_min_u32_e32 v4, 1, v4
	s_delay_alu instid0(VALU_DEP_1) | instskip(SKIP_1) | instid1(VALU_DEP_2)
	v_or_b32_e32 v4, v5, v4
	v_sub_nc_u32_e32 v5, 32, v6
	v_cvt_f32_i32_e32 v4, v4
	s_delay_alu instid0(VALU_DEP_1) | instskip(NEXT) | instid1(VALU_DEP_1)
	v_ldexp_f32 v4, v4, v5
                                        ; implicit-def: $vgpr5
	v_and_b32_e32 v6, 0x7fffffff, v4
	s_delay_alu instid0(VALU_DEP_1)
	v_cmpx_gt_u32_e32 0x47800000, v6
	s_xor_b32 s1, exec_lo, s1
	s_cbranch_execz .LBB448_1949
; %bb.1944:
	s_mov_b32 s2, exec_lo
                                        ; implicit-def: $vgpr5
	v_cmpx_lt_u32_e32 0x387fffff, v6
	s_xor_b32 s2, exec_lo, s2
; %bb.1945:
	v_bfe_u32 v5, v4, 21, 1
	s_delay_alu instid0(VALU_DEP_1) | instskip(NEXT) | instid1(VALU_DEP_1)
	v_add3_u32 v5, v4, v5, 0x80fffff
	v_lshrrev_b32_e32 v5, 21, v5
; %bb.1946:
	s_and_not1_saveexec_b32 s2, s2
; %bb.1947:
	v_add_f32_e64 v5, 0x43000000, |v4|
; %bb.1948:
	s_or_b32 exec_lo, exec_lo, s2
                                        ; implicit-def: $vgpr6
.LBB448_1949:
	s_and_not1_saveexec_b32 s1, s1
; %bb.1950:
	v_mov_b32_e32 v5, 0x7f
	v_cmp_lt_u32_e32 vcc_lo, 0x7f800000, v6
	s_delay_alu instid0(VALU_DEP_2)
	v_cndmask_b32_e32 v5, 0x7c, v5, vcc_lo
; %bb.1951:
	s_or_b32 exec_lo, exec_lo, s1
	v_lshrrev_b32_e32 v4, 24, v4
	s_delay_alu instid0(VALU_DEP_1)
	v_and_or_b32 v4, 0x80, v4, v5
	global_store_b8 v[2:3], v4, off
.LBB448_1952:
	s_mov_b32 s1, 0
.LBB448_1953:
	s_delay_alu instid0(SALU_CYCLE_1)
	s_and_not1_b32 vcc_lo, exec_lo, s1
	s_mov_b32 s1, 0
	s_cbranch_vccnz .LBB448_1960
; %bb.1954:
	v_cmp_lt_i16_e32 vcc_lo, 14, v12
	s_mov_b32 s1, -1
	s_cbranch_vccz .LBB448_1958
; %bb.1955:
	v_cmp_eq_u16_e32 vcc_lo, 15, v12
	s_mov_b32 s0, -1
	s_cbranch_vccz .LBB448_1957
; %bb.1956:
	v_xor_b32_e32 v4, v0, v1
	v_cls_i32_e32 v5, v1
	s_mov_b32 s0, 0
	s_delay_alu instid0(VALU_DEP_2) | instskip(NEXT) | instid1(VALU_DEP_2)
	v_ashrrev_i32_e32 v4, 31, v4
	v_add_nc_u32_e32 v5, -1, v5
	s_delay_alu instid0(VALU_DEP_2) | instskip(NEXT) | instid1(VALU_DEP_1)
	v_add_nc_u32_e32 v4, 32, v4
	v_min_u32_e32 v6, v5, v4
	s_delay_alu instid0(VALU_DEP_1) | instskip(NEXT) | instid1(VALU_DEP_1)
	v_lshlrev_b64 v[4:5], v6, v[0:1]
	v_min_u32_e32 v4, 1, v4
	s_delay_alu instid0(VALU_DEP_1) | instskip(SKIP_1) | instid1(VALU_DEP_2)
	v_or_b32_e32 v4, v5, v4
	v_sub_nc_u32_e32 v5, 32, v6
	v_cvt_f32_i32_e32 v4, v4
	s_delay_alu instid0(VALU_DEP_1) | instskip(NEXT) | instid1(VALU_DEP_1)
	v_ldexp_f32 v4, v4, v5
	v_bfe_u32 v5, v4, 16, 1
	s_delay_alu instid0(VALU_DEP_1)
	v_add3_u32 v4, v4, v5, 0x7fff
	global_store_d16_hi_b16 v[2:3], v4, off
.LBB448_1957:
	s_mov_b32 s1, 0
.LBB448_1958:
	s_delay_alu instid0(SALU_CYCLE_1)
	s_and_b32 vcc_lo, exec_lo, s1
	s_mov_b32 s1, 0
	s_cbranch_vccz .LBB448_1960
; %bb.1959:
	v_cmp_ne_u16_e64 s0, 11, v12
	s_mov_b32 s1, -1
.LBB448_1960:
	s_delay_alu instid0(VALU_DEP_1)
	s_and_b32 vcc_lo, exec_lo, s0
	s_cbranch_vccnz .LBB448_2038
.LBB448_1961:
	s_mov_b32 s0, 0
	s_branch .LBB448_1963
.LBB448_1962:
	s_mov_b32 s0, 0
	s_mov_b32 s1, 0
                                        ; implicit-def: $vgpr12
                                        ; implicit-def: $vgpr2_vgpr3
                                        ; implicit-def: $vgpr0_vgpr1
.LBB448_1963:
	s_and_not1_b32 s2, s13, exec_lo
	s_and_b32 s4, s3, exec_lo
	s_and_b32 s0, s0, exec_lo
	;; [unrolled: 1-line block ×3, first 2 shown]
	s_or_b32 s13, s2, s4
.LBB448_1964:
	s_or_b32 exec_lo, exec_lo, s12
	s_and_saveexec_b32 s1, s13
	s_cbranch_execz .LBB448_1967
; %bb.1965:
	; divergent unreachable
	s_or_b32 exec_lo, exec_lo, s1
	s_and_saveexec_b32 s1, s3
	s_delay_alu instid0(SALU_CYCLE_1)
	s_xor_b32 s1, exec_lo, s1
	s_cbranch_execnz .LBB448_1968
.LBB448_1966:
	s_or_b32 exec_lo, exec_lo, s1
	s_and_saveexec_b32 s1, s0
	s_cbranch_execnz .LBB448_1969
	s_branch .LBB448_2006
.LBB448_1967:
	s_or_b32 exec_lo, exec_lo, s1
	s_and_saveexec_b32 s1, s3
	s_delay_alu instid0(SALU_CYCLE_1)
	s_xor_b32 s1, exec_lo, s1
	s_cbranch_execz .LBB448_1966
.LBB448_1968:
	s_waitcnt vmcnt(0)
	v_cmp_ne_u64_e32 vcc_lo, 0, v[0:1]
	v_cndmask_b32_e64 v4, 0, 1, vcc_lo
	global_store_b8 v[2:3], v4, off
	s_or_b32 exec_lo, exec_lo, s1
	s_and_saveexec_b32 s1, s0
	s_cbranch_execz .LBB448_2006
.LBB448_1969:
	v_cmp_gt_i16_e32 vcc_lo, 5, v12
	s_mov_b32 s0, -1
	s_cbranch_vccnz .LBB448_1990
; %bb.1970:
	v_cmp_gt_i16_e32 vcc_lo, 8, v12
	s_cbranch_vccnz .LBB448_1980
; %bb.1971:
	v_cmp_gt_i16_e32 vcc_lo, 9, v12
	s_cbranch_vccnz .LBB448_1977
; %bb.1972:
	v_cmp_lt_i16_e32 vcc_lo, 9, v12
	s_cbranch_vccz .LBB448_1974
; %bb.1973:
	s_waitcnt vmcnt(0)
	v_cvt_f64_i32_e32 v[4:5], v1
	v_cvt_f64_u32_e32 v[6:7], v0
	s_mov_b32 s0, 0
	s_delay_alu instid0(VALU_DEP_2) | instskip(NEXT) | instid1(VALU_DEP_1)
	v_ldexp_f64 v[4:5], v[4:5], 32
	v_add_f64 v[4:5], v[4:5], v[6:7]
	v_mov_b32_e32 v6, 0
	s_delay_alu instid0(VALU_DEP_1)
	v_mov_b32_e32 v7, v6
	global_store_b128 v[2:3], v[4:7], off
.LBB448_1974:
	s_and_not1_b32 vcc_lo, exec_lo, s0
	s_cbranch_vccnz .LBB448_1976
; %bb.1975:
	s_waitcnt vmcnt(0)
	v_xor_b32_e32 v4, v0, v1
	v_cls_i32_e32 v5, v1
	s_delay_alu instid0(VALU_DEP_2) | instskip(NEXT) | instid1(VALU_DEP_2)
	v_ashrrev_i32_e32 v4, 31, v4
	v_add_nc_u32_e32 v5, -1, v5
	s_delay_alu instid0(VALU_DEP_2) | instskip(NEXT) | instid1(VALU_DEP_1)
	v_add_nc_u32_e32 v4, 32, v4
	v_min_u32_e32 v6, v5, v4
	s_delay_alu instid0(VALU_DEP_1) | instskip(NEXT) | instid1(VALU_DEP_1)
	v_lshlrev_b64 v[4:5], v6, v[0:1]
	v_min_u32_e32 v4, 1, v4
	s_delay_alu instid0(VALU_DEP_1) | instskip(SKIP_1) | instid1(VALU_DEP_2)
	v_or_b32_e32 v4, v5, v4
	v_sub_nc_u32_e32 v5, 32, v6
	v_cvt_f32_i32_e32 v4, v4
	s_delay_alu instid0(VALU_DEP_1)
	v_ldexp_f32 v4, v4, v5
	v_mov_b32_e32 v5, 0
	global_store_b64 v[2:3], v[4:5], off
.LBB448_1976:
	s_mov_b32 s0, 0
.LBB448_1977:
	s_delay_alu instid0(SALU_CYCLE_1)
	s_and_not1_b32 vcc_lo, exec_lo, s0
	s_cbranch_vccnz .LBB448_1979
; %bb.1978:
	s_waitcnt vmcnt(0)
	v_xor_b32_e32 v4, v0, v1
	v_cls_i32_e32 v5, v1
	s_delay_alu instid0(VALU_DEP_2) | instskip(NEXT) | instid1(VALU_DEP_2)
	v_ashrrev_i32_e32 v4, 31, v4
	v_add_nc_u32_e32 v5, -1, v5
	s_delay_alu instid0(VALU_DEP_2) | instskip(NEXT) | instid1(VALU_DEP_1)
	v_add_nc_u32_e32 v4, 32, v4
	v_min_u32_e32 v6, v5, v4
	s_delay_alu instid0(VALU_DEP_1) | instskip(NEXT) | instid1(VALU_DEP_1)
	v_lshlrev_b64 v[4:5], v6, v[0:1]
	v_min_u32_e32 v4, 1, v4
	s_delay_alu instid0(VALU_DEP_1) | instskip(SKIP_1) | instid1(VALU_DEP_2)
	v_or_b32_e32 v4, v5, v4
	v_sub_nc_u32_e32 v5, 32, v6
	v_cvt_f32_i32_e32 v4, v4
	s_delay_alu instid0(VALU_DEP_1) | instskip(NEXT) | instid1(VALU_DEP_1)
	v_ldexp_f32 v4, v4, v5
	v_cvt_f16_f32_e32 v4, v4
	s_delay_alu instid0(VALU_DEP_1)
	v_and_b32_e32 v4, 0xffff, v4
	global_store_b32 v[2:3], v4, off
.LBB448_1979:
	s_mov_b32 s0, 0
.LBB448_1980:
	s_delay_alu instid0(SALU_CYCLE_1)
	s_and_not1_b32 vcc_lo, exec_lo, s0
	s_cbranch_vccnz .LBB448_1989
; %bb.1981:
	v_cmp_gt_i16_e32 vcc_lo, 6, v12
	s_mov_b32 s0, -1
	s_cbranch_vccnz .LBB448_1987
; %bb.1982:
	v_cmp_lt_i16_e32 vcc_lo, 6, v12
	s_cbranch_vccz .LBB448_1984
; %bb.1983:
	s_waitcnt vmcnt(0)
	v_cvt_f64_i32_e32 v[4:5], v1
	v_cvt_f64_u32_e32 v[6:7], v0
	s_mov_b32 s0, 0
	s_delay_alu instid0(VALU_DEP_2) | instskip(NEXT) | instid1(VALU_DEP_1)
	v_ldexp_f64 v[4:5], v[4:5], 32
	v_add_f64 v[4:5], v[4:5], v[6:7]
	global_store_b64 v[2:3], v[4:5], off
.LBB448_1984:
	s_and_not1_b32 vcc_lo, exec_lo, s0
	s_cbranch_vccnz .LBB448_1986
; %bb.1985:
	s_waitcnt vmcnt(0)
	v_xor_b32_e32 v4, v0, v1
	v_cls_i32_e32 v5, v1
	s_delay_alu instid0(VALU_DEP_2) | instskip(NEXT) | instid1(VALU_DEP_2)
	v_ashrrev_i32_e32 v4, 31, v4
	v_add_nc_u32_e32 v5, -1, v5
	s_delay_alu instid0(VALU_DEP_2) | instskip(NEXT) | instid1(VALU_DEP_1)
	v_add_nc_u32_e32 v4, 32, v4
	v_min_u32_e32 v6, v5, v4
	s_delay_alu instid0(VALU_DEP_1) | instskip(NEXT) | instid1(VALU_DEP_1)
	v_lshlrev_b64 v[4:5], v6, v[0:1]
	v_min_u32_e32 v4, 1, v4
	s_delay_alu instid0(VALU_DEP_1) | instskip(SKIP_1) | instid1(VALU_DEP_2)
	v_or_b32_e32 v4, v5, v4
	v_sub_nc_u32_e32 v5, 32, v6
	v_cvt_f32_i32_e32 v4, v4
	s_delay_alu instid0(VALU_DEP_1)
	v_ldexp_f32 v4, v4, v5
	global_store_b32 v[2:3], v4, off
.LBB448_1986:
	s_mov_b32 s0, 0
.LBB448_1987:
	s_delay_alu instid0(SALU_CYCLE_1)
	s_and_not1_b32 vcc_lo, exec_lo, s0
	s_cbranch_vccnz .LBB448_1989
; %bb.1988:
	s_waitcnt vmcnt(0)
	v_xor_b32_e32 v4, v0, v1
	v_cls_i32_e32 v5, v1
	s_delay_alu instid0(VALU_DEP_2) | instskip(NEXT) | instid1(VALU_DEP_2)
	v_ashrrev_i32_e32 v4, 31, v4
	v_add_nc_u32_e32 v5, -1, v5
	s_delay_alu instid0(VALU_DEP_2) | instskip(NEXT) | instid1(VALU_DEP_1)
	v_add_nc_u32_e32 v4, 32, v4
	v_min_u32_e32 v6, v5, v4
	s_delay_alu instid0(VALU_DEP_1) | instskip(NEXT) | instid1(VALU_DEP_1)
	v_lshlrev_b64 v[4:5], v6, v[0:1]
	v_min_u32_e32 v4, 1, v4
	s_delay_alu instid0(VALU_DEP_1) | instskip(SKIP_1) | instid1(VALU_DEP_2)
	v_or_b32_e32 v4, v5, v4
	v_sub_nc_u32_e32 v5, 32, v6
	v_cvt_f32_i32_e32 v4, v4
	s_delay_alu instid0(VALU_DEP_1) | instskip(NEXT) | instid1(VALU_DEP_1)
	v_ldexp_f32 v4, v4, v5
	v_cvt_f16_f32_e32 v4, v4
	global_store_b16 v[2:3], v4, off
.LBB448_1989:
	s_mov_b32 s0, 0
.LBB448_1990:
	s_delay_alu instid0(SALU_CYCLE_1)
	s_and_not1_b32 vcc_lo, exec_lo, s0
	s_cbranch_vccnz .LBB448_2006
; %bb.1991:
	v_cmp_gt_i16_e32 vcc_lo, 2, v12
	s_mov_b32 s0, -1
	s_cbranch_vccnz .LBB448_2001
; %bb.1992:
	v_cmp_gt_i16_e32 vcc_lo, 3, v12
	s_cbranch_vccnz .LBB448_1998
; %bb.1993:
	v_cmp_lt_i16_e32 vcc_lo, 3, v12
	s_cbranch_vccz .LBB448_1995
; %bb.1994:
	s_mov_b32 s0, 0
	s_waitcnt vmcnt(0)
	global_store_b64 v[2:3], v[0:1], off
.LBB448_1995:
	s_and_not1_b32 vcc_lo, exec_lo, s0
	s_cbranch_vccnz .LBB448_1997
; %bb.1996:
	s_waitcnt vmcnt(0)
	global_store_b32 v[2:3], v0, off
.LBB448_1997:
	s_mov_b32 s0, 0
.LBB448_1998:
	s_delay_alu instid0(SALU_CYCLE_1)
	s_and_not1_b32 vcc_lo, exec_lo, s0
	s_cbranch_vccnz .LBB448_2000
; %bb.1999:
	s_waitcnt vmcnt(0)
	global_store_b16 v[2:3], v0, off
.LBB448_2000:
	s_mov_b32 s0, 0
.LBB448_2001:
	s_delay_alu instid0(SALU_CYCLE_1)
	s_and_not1_b32 vcc_lo, exec_lo, s0
	s_cbranch_vccnz .LBB448_2006
; %bb.2002:
	v_cmp_lt_i16_e32 vcc_lo, 0, v12
	s_mov_b32 s0, -1
	s_cbranch_vccz .LBB448_2004
; %bb.2003:
	s_mov_b32 s0, 0
	s_waitcnt vmcnt(0)
	global_store_b8 v[2:3], v0, off
.LBB448_2004:
	s_and_not1_b32 vcc_lo, exec_lo, s0
	s_cbranch_vccnz .LBB448_2006
; %bb.2005:
	s_waitcnt vmcnt(0)
	global_store_b8 v[2:3], v0, off
	s_nop 0
	s_sendmsg sendmsg(MSG_DEALLOC_VGPRS)
	s_endpgm
.LBB448_2006:
	s_nop 0
	s_sendmsg sendmsg(MSG_DEALLOC_VGPRS)
	s_endpgm
.LBB448_2007:
	s_mov_b32 s1, 0
	s_mov_b32 s0, -1
	s_branch .LBB448_1963
.LBB448_2008:
	s_cbranch_execnz .LBB448_2012
; %bb.2009:
	s_or_b32 s3, s3, exec_lo
                                        ; implicit-def: $vgpr6_vgpr7
	s_cbranch_execz .LBB448_1477
	s_branch .LBB448_1478
.LBB448_2010:
	s_or_saveexec_b32 s7, s7
                                        ; implicit-def: $sgpr9
	s_delay_alu instid0(SALU_CYCLE_1)
	s_xor_b32 exec_lo, exec_lo, s7
	s_cbranch_execz .LBB448_1557
.LBB448_2011:
	v_add_f32_e64 v13, 0x46000000, |v11|
	s_and_not1_b32 s6, s6, exec_lo
	s_mov_b32 s9, 0
	s_delay_alu instid0(VALU_DEP_1) | instskip(NEXT) | instid1(VALU_DEP_1)
	v_and_b32_e32 v13, 0xff, v13
	v_cmp_ne_u32_e32 vcc_lo, 0, v13
	s_and_b32 s14, vcc_lo, exec_lo
	s_delay_alu instid0(SALU_CYCLE_1)
	s_or_b32 s6, s6, s14
	s_or_b32 exec_lo, exec_lo, s7
	v_mov_b32_e32 v14, s9
	s_and_saveexec_b32 s7, s6
	s_cbranch_execnz .LBB448_1558
	s_branch .LBB448_1559
.LBB448_2012:
	s_trap 2
	s_sendmsg_rtn_b32 s0, sendmsg(MSG_RTN_GET_DOORBELL)
	s_mov_b32 ttmp2, m0
	s_waitcnt lgkmcnt(0)
	s_and_b32 s0, s0, 0x3ff
	s_delay_alu instid0(SALU_CYCLE_1) | instskip(NEXT) | instid1(SALU_CYCLE_1)
	s_bitset1_b32 s0, 10
	s_mov_b32 m0, s0
	s_sendmsg sendmsg(MSG_INTERRUPT)
	s_mov_b32 m0, ttmp2
.LBB448_2013:                           ; =>This Inner Loop Header: Depth=1
	s_sethalt 5
	s_branch .LBB448_2013
.LBB448_2014:
	s_cbranch_execnz .LBB448_2020
; %bb.2015:
	s_or_b32 s3, s3, exec_lo
	s_cbranch_execz .LBB448_1605
	s_branch .LBB448_1606
.LBB448_2016:
	s_or_saveexec_b32 s6, s6
                                        ; implicit-def: $sgpr7
	s_delay_alu instid0(SALU_CYCLE_1)
	s_xor_b32 exec_lo, exec_lo, s6
	s_cbranch_execz .LBB448_1570
.LBB448_2017:
	v_add_f32_e64 v13, 0x42800000, |v11|
	s_and_not1_b32 s2, s2, exec_lo
	s_mov_b32 s7, 0
	s_delay_alu instid0(VALU_DEP_1) | instskip(NEXT) | instid1(VALU_DEP_1)
	v_and_b32_e32 v13, 0xff, v13
	v_cmp_ne_u32_e32 vcc_lo, 0, v13
	s_and_b32 s9, vcc_lo, exec_lo
	s_delay_alu instid0(SALU_CYCLE_1)
	s_or_b32 s2, s2, s9
	s_or_b32 exec_lo, exec_lo, s6
	v_mov_b32_e32 v14, s7
	s_and_saveexec_b32 s6, s2
	s_cbranch_execnz .LBB448_1571
	s_branch .LBB448_1572
.LBB448_2018:
	s_or_saveexec_b32 s8, s8
                                        ; implicit-def: $sgpr9
	s_delay_alu instid0(SALU_CYCLE_1)
	s_xor_b32 exec_lo, exec_lo, s8
	s_cbranch_execz .LBB448_1676
.LBB448_2019:
	v_add_f32_e64 v10, 0x46000000, |v9|
	s_and_not1_b32 s7, s7, exec_lo
	s_mov_b32 s9, 0
	s_delay_alu instid0(VALU_DEP_1) | instskip(NEXT) | instid1(VALU_DEP_1)
	v_and_b32_e32 v10, 0xff, v10
	v_cmp_ne_u32_e32 vcc_lo, 0, v10
	s_and_b32 s14, vcc_lo, exec_lo
	s_delay_alu instid0(SALU_CYCLE_1)
	s_or_b32 s7, s7, s14
	s_or_b32 exec_lo, exec_lo, s8
	v_mov_b32_e32 v11, s9
	s_and_saveexec_b32 s8, s7
	s_cbranch_execnz .LBB448_1677
	s_branch .LBB448_1678
.LBB448_2020:
	s_trap 2
	s_sendmsg_rtn_b32 s0, sendmsg(MSG_RTN_GET_DOORBELL)
	s_mov_b32 ttmp2, m0
	s_waitcnt lgkmcnt(0)
	s_and_b32 s0, s0, 0x3ff
	s_delay_alu instid0(SALU_CYCLE_1) | instskip(NEXT) | instid1(SALU_CYCLE_1)
	s_bitset1_b32 s0, 10
	s_mov_b32 m0, s0
	s_sendmsg sendmsg(MSG_INTERRUPT)
	s_mov_b32 m0, ttmp2
.LBB448_2021:                           ; =>This Inner Loop Header: Depth=1
	s_sethalt 5
	s_branch .LBB448_2021
.LBB448_2022:
	s_cbranch_execnz .LBB448_2028
; %bb.2023:
	s_or_b32 s3, s3, exec_lo
	s_cbranch_execz .LBB448_1724
	s_branch .LBB448_1725
.LBB448_2024:
	s_or_saveexec_b32 s7, s7
                                        ; implicit-def: $sgpr8
	s_delay_alu instid0(SALU_CYCLE_1)
	s_xor_b32 exec_lo, exec_lo, s7
	s_cbranch_execz .LBB448_1689
.LBB448_2025:
	v_add_f32_e64 v10, 0x42800000, |v9|
	s_and_not1_b32 s6, s6, exec_lo
	s_mov_b32 s8, 0
	s_delay_alu instid0(VALU_DEP_1) | instskip(NEXT) | instid1(VALU_DEP_1)
	v_and_b32_e32 v10, 0xff, v10
	v_cmp_ne_u32_e32 vcc_lo, 0, v10
	s_and_b32 s9, vcc_lo, exec_lo
	s_delay_alu instid0(SALU_CYCLE_1)
	s_or_b32 s6, s6, s9
	s_or_b32 exec_lo, exec_lo, s7
	v_mov_b32_e32 v11, s8
	s_and_saveexec_b32 s7, s6
	s_cbranch_execnz .LBB448_1690
	s_branch .LBB448_1691
.LBB448_2026:
	s_or_saveexec_b32 s8, s8
                                        ; implicit-def: $sgpr9
	s_delay_alu instid0(SALU_CYCLE_1)
	s_xor_b32 exec_lo, exec_lo, s8
	s_cbranch_execz .LBB448_1795
.LBB448_2027:
	v_add_f32_e64 v5, 0x46000000, |v4|
	s_and_not1_b32 s7, s7, exec_lo
	s_mov_b32 s9, 0
	s_delay_alu instid0(VALU_DEP_1) | instskip(NEXT) | instid1(VALU_DEP_1)
	v_and_b32_e32 v5, 0xff, v5
	v_cmp_ne_u32_e32 vcc_lo, 0, v5
	s_and_b32 s14, vcc_lo, exec_lo
	s_delay_alu instid0(SALU_CYCLE_1)
	s_or_b32 s7, s7, s14
	s_or_b32 exec_lo, exec_lo, s8
	v_mov_b32_e32 v9, s9
	s_and_saveexec_b32 s8, s7
	s_cbranch_execnz .LBB448_1796
	s_branch .LBB448_1797
.LBB448_2028:
	s_trap 2
	s_sendmsg_rtn_b32 s0, sendmsg(MSG_RTN_GET_DOORBELL)
	s_mov_b32 ttmp2, m0
	s_waitcnt lgkmcnt(0)
	s_and_b32 s0, s0, 0x3ff
	s_delay_alu instid0(SALU_CYCLE_1) | instskip(NEXT) | instid1(SALU_CYCLE_1)
	s_bitset1_b32 s0, 10
	s_mov_b32 m0, s0
	s_sendmsg sendmsg(MSG_INTERRUPT)
	s_mov_b32 m0, ttmp2
.LBB448_2029:                           ; =>This Inner Loop Header: Depth=1
	s_sethalt 5
	s_branch .LBB448_2029
.LBB448_2030:
	s_cbranch_execnz .LBB448_2036
; %bb.2031:
	s_or_b32 s3, s3, exec_lo
	s_cbranch_execz .LBB448_1843
	s_branch .LBB448_1844
.LBB448_2032:
	s_or_saveexec_b32 s7, s7
                                        ; implicit-def: $sgpr8
	s_delay_alu instid0(SALU_CYCLE_1)
	s_xor_b32 exec_lo, exec_lo, s7
	s_cbranch_execz .LBB448_1808
.LBB448_2033:
	v_add_f32_e64 v5, 0x42800000, |v4|
	s_and_not1_b32 s6, s6, exec_lo
	s_mov_b32 s8, 0
	s_delay_alu instid0(VALU_DEP_1) | instskip(NEXT) | instid1(VALU_DEP_1)
	v_and_b32_e32 v5, 0xff, v5
	v_cmp_ne_u32_e32 vcc_lo, 0, v5
	s_and_b32 s9, vcc_lo, exec_lo
	s_delay_alu instid0(SALU_CYCLE_1)
	s_or_b32 s6, s6, s9
	s_or_b32 exec_lo, exec_lo, s7
	v_mov_b32_e32 v9, s8
	s_and_saveexec_b32 s7, s6
	s_cbranch_execnz .LBB448_1809
	s_branch .LBB448_1810
.LBB448_2034:
	s_or_saveexec_b32 s5, s5
                                        ; implicit-def: $sgpr6
	s_delay_alu instid0(SALU_CYCLE_1)
	s_xor_b32 exec_lo, exec_lo, s5
	s_cbranch_execz .LBB448_1915
.LBB448_2035:
	v_add_f32_e64 v5, 0x46000000, |v4|
	s_and_not1_b32 s4, s4, exec_lo
	s_mov_b32 s6, 0
	s_delay_alu instid0(VALU_DEP_1) | instskip(NEXT) | instid1(VALU_DEP_1)
	v_and_b32_e32 v5, 0xff, v5
	v_cmp_ne_u32_e32 vcc_lo, 0, v5
	s_and_b32 s7, vcc_lo, exec_lo
	s_delay_alu instid0(SALU_CYCLE_1)
	s_or_b32 s4, s4, s7
	s_or_b32 exec_lo, exec_lo, s5
	v_mov_b32_e32 v6, s6
	s_and_saveexec_b32 s5, s4
	s_cbranch_execnz .LBB448_1916
	s_branch .LBB448_1917
.LBB448_2036:
	s_trap 2
	s_sendmsg_rtn_b32 s0, sendmsg(MSG_RTN_GET_DOORBELL)
	s_mov_b32 ttmp2, m0
	s_waitcnt lgkmcnt(0)
	s_and_b32 s0, s0, 0x3ff
	s_delay_alu instid0(SALU_CYCLE_1) | instskip(NEXT) | instid1(SALU_CYCLE_1)
	s_bitset1_b32 s0, 10
	s_mov_b32 m0, s0
	s_sendmsg sendmsg(MSG_INTERRUPT)
	s_mov_b32 m0, ttmp2
.LBB448_2037:                           ; =>This Inner Loop Header: Depth=1
	s_sethalt 5
	s_branch .LBB448_2037
.LBB448_2038:
	s_cbranch_execnz .LBB448_2042
; %bb.2039:
	s_mov_b32 s1, 0
	s_or_b32 s3, s3, exec_lo
	s_branch .LBB448_1961
.LBB448_2040:
	s_or_saveexec_b32 s4, s4
                                        ; implicit-def: $sgpr5
	s_delay_alu instid0(SALU_CYCLE_1)
	s_xor_b32 exec_lo, exec_lo, s4
	s_cbranch_execz .LBB448_1927
.LBB448_2041:
	v_add_f32_e64 v5, 0x42800000, |v4|
	s_and_not1_b32 s2, s2, exec_lo
	s_mov_b32 s5, 0
	s_delay_alu instid0(VALU_DEP_1) | instskip(NEXT) | instid1(VALU_DEP_1)
	v_and_b32_e32 v5, 0xff, v5
	v_cmp_ne_u32_e32 vcc_lo, 0, v5
	s_and_b32 s6, vcc_lo, exec_lo
	s_delay_alu instid0(SALU_CYCLE_1)
	s_or_b32 s2, s2, s6
	s_or_b32 exec_lo, exec_lo, s4
	v_mov_b32_e32 v6, s5
	s_and_saveexec_b32 s4, s2
	s_cbranch_execnz .LBB448_1928
	s_branch .LBB448_1929
.LBB448_2042:
	s_trap 2
	s_sendmsg_rtn_b32 s0, sendmsg(MSG_RTN_GET_DOORBELL)
	s_mov_b32 ttmp2, m0
	s_waitcnt lgkmcnt(0)
	s_and_b32 s0, s0, 0x3ff
	s_delay_alu instid0(SALU_CYCLE_1) | instskip(NEXT) | instid1(SALU_CYCLE_1)
	s_bitset1_b32 s0, 10
	s_mov_b32 m0, s0
	s_sendmsg sendmsg(MSG_INTERRUPT)
	s_mov_b32 m0, ttmp2
.LBB448_2043:                           ; =>This Inner Loop Header: Depth=1
	s_sethalt 5
	s_branch .LBB448_2043
	.section	.rodata,"a",@progbits
	.p2align	6, 0x0
	.amdhsa_kernel _ZN2at6native32elementwise_kernel_manual_unrollILi128ELi4EZNS0_15gpu_kernel_implIZZZNS0_21clamp_max_kernel_cudaERNS_18TensorIteratorBaseERKN3c106ScalarEENKUlvE_clEvENKUlvE2_clEvEUllE_EEvS4_RKT_EUlibE_EEviT1_
		.amdhsa_group_segment_fixed_size 0
		.amdhsa_private_segment_fixed_size 0
		.amdhsa_kernarg_size 48
		.amdhsa_user_sgpr_count 15
		.amdhsa_user_sgpr_dispatch_ptr 0
		.amdhsa_user_sgpr_queue_ptr 0
		.amdhsa_user_sgpr_kernarg_segment_ptr 1
		.amdhsa_user_sgpr_dispatch_id 0
		.amdhsa_user_sgpr_private_segment_size 0
		.amdhsa_wavefront_size32 1
		.amdhsa_uses_dynamic_stack 0
		.amdhsa_enable_private_segment 0
		.amdhsa_system_sgpr_workgroup_id_x 1
		.amdhsa_system_sgpr_workgroup_id_y 0
		.amdhsa_system_sgpr_workgroup_id_z 0
		.amdhsa_system_sgpr_workgroup_info 0
		.amdhsa_system_vgpr_workitem_id 0
		.amdhsa_next_free_vgpr 17
		.amdhsa_next_free_sgpr 27
		.amdhsa_reserve_vcc 1
		.amdhsa_float_round_mode_32 0
		.amdhsa_float_round_mode_16_64 0
		.amdhsa_float_denorm_mode_32 3
		.amdhsa_float_denorm_mode_16_64 3
		.amdhsa_dx10_clamp 1
		.amdhsa_ieee_mode 1
		.amdhsa_fp16_overflow 0
		.amdhsa_workgroup_processor_mode 1
		.amdhsa_memory_ordered 1
		.amdhsa_forward_progress 0
		.amdhsa_shared_vgpr_count 0
		.amdhsa_exception_fp_ieee_invalid_op 0
		.amdhsa_exception_fp_denorm_src 0
		.amdhsa_exception_fp_ieee_div_zero 0
		.amdhsa_exception_fp_ieee_overflow 0
		.amdhsa_exception_fp_ieee_underflow 0
		.amdhsa_exception_fp_ieee_inexact 0
		.amdhsa_exception_int_div_zero 0
	.end_amdhsa_kernel
	.section	.text._ZN2at6native32elementwise_kernel_manual_unrollILi128ELi4EZNS0_15gpu_kernel_implIZZZNS0_21clamp_max_kernel_cudaERNS_18TensorIteratorBaseERKN3c106ScalarEENKUlvE_clEvENKUlvE2_clEvEUllE_EEvS4_RKT_EUlibE_EEviT1_,"axG",@progbits,_ZN2at6native32elementwise_kernel_manual_unrollILi128ELi4EZNS0_15gpu_kernel_implIZZZNS0_21clamp_max_kernel_cudaERNS_18TensorIteratorBaseERKN3c106ScalarEENKUlvE_clEvENKUlvE2_clEvEUllE_EEvS4_RKT_EUlibE_EEviT1_,comdat
.Lfunc_end448:
	.size	_ZN2at6native32elementwise_kernel_manual_unrollILi128ELi4EZNS0_15gpu_kernel_implIZZZNS0_21clamp_max_kernel_cudaERNS_18TensorIteratorBaseERKN3c106ScalarEENKUlvE_clEvENKUlvE2_clEvEUllE_EEvS4_RKT_EUlibE_EEviT1_, .Lfunc_end448-_ZN2at6native32elementwise_kernel_manual_unrollILi128ELi4EZNS0_15gpu_kernel_implIZZZNS0_21clamp_max_kernel_cudaERNS_18TensorIteratorBaseERKN3c106ScalarEENKUlvE_clEvENKUlvE2_clEvEUllE_EEvS4_RKT_EUlibE_EEviT1_
                                        ; -- End function
	.section	.AMDGPU.csdata,"",@progbits
; Kernel info:
; codeLenInByte = 45964
; NumSgprs: 29
; NumVgprs: 17
; ScratchSize: 0
; MemoryBound: 1
; FloatMode: 240
; IeeeMode: 1
; LDSByteSize: 0 bytes/workgroup (compile time only)
; SGPRBlocks: 3
; VGPRBlocks: 2
; NumSGPRsForWavesPerEU: 29
; NumVGPRsForWavesPerEU: 17
; Occupancy: 16
; WaveLimiterHint : 0
; COMPUTE_PGM_RSRC2:SCRATCH_EN: 0
; COMPUTE_PGM_RSRC2:USER_SGPR: 15
; COMPUTE_PGM_RSRC2:TRAP_HANDLER: 0
; COMPUTE_PGM_RSRC2:TGID_X_EN: 1
; COMPUTE_PGM_RSRC2:TGID_Y_EN: 0
; COMPUTE_PGM_RSRC2:TGID_Z_EN: 0
; COMPUTE_PGM_RSRC2:TIDIG_COMP_CNT: 0
	.section	.text._ZN2at6native32elementwise_kernel_manual_unrollILi128ELi4EZNS0_15gpu_kernel_implIZZZNS0_21clamp_max_kernel_cudaERNS_18TensorIteratorBaseERKN3c106ScalarEENKUlvE_clEvENKUlvE2_clEvEUllE_EEvS4_RKT_EUlibE0_EEviT1_,"axG",@progbits,_ZN2at6native32elementwise_kernel_manual_unrollILi128ELi4EZNS0_15gpu_kernel_implIZZZNS0_21clamp_max_kernel_cudaERNS_18TensorIteratorBaseERKN3c106ScalarEENKUlvE_clEvENKUlvE2_clEvEUllE_EEvS4_RKT_EUlibE0_EEviT1_,comdat
	.globl	_ZN2at6native32elementwise_kernel_manual_unrollILi128ELi4EZNS0_15gpu_kernel_implIZZZNS0_21clamp_max_kernel_cudaERNS_18TensorIteratorBaseERKN3c106ScalarEENKUlvE_clEvENKUlvE2_clEvEUllE_EEvS4_RKT_EUlibE0_EEviT1_ ; -- Begin function _ZN2at6native32elementwise_kernel_manual_unrollILi128ELi4EZNS0_15gpu_kernel_implIZZZNS0_21clamp_max_kernel_cudaERNS_18TensorIteratorBaseERKN3c106ScalarEENKUlvE_clEvENKUlvE2_clEvEUllE_EEvS4_RKT_EUlibE0_EEviT1_
	.p2align	8
	.type	_ZN2at6native32elementwise_kernel_manual_unrollILi128ELi4EZNS0_15gpu_kernel_implIZZZNS0_21clamp_max_kernel_cudaERNS_18TensorIteratorBaseERKN3c106ScalarEENKUlvE_clEvENKUlvE2_clEvEUllE_EEvS4_RKT_EUlibE0_EEviT1_,@function
_ZN2at6native32elementwise_kernel_manual_unrollILi128ELi4EZNS0_15gpu_kernel_implIZZZNS0_21clamp_max_kernel_cudaERNS_18TensorIteratorBaseERKN3c106ScalarEENKUlvE_clEvENKUlvE2_clEvEUllE_EEvS4_RKT_EUlibE0_EEviT1_: ; @_ZN2at6native32elementwise_kernel_manual_unrollILi128ELi4EZNS0_15gpu_kernel_implIZZZNS0_21clamp_max_kernel_cudaERNS_18TensorIteratorBaseERKN3c106ScalarEENKUlvE_clEvENKUlvE2_clEvEUllE_EEvS4_RKT_EUlibE0_EEviT1_
; %bb.0:
	s_clause 0x1
	s_load_b32 s26, s[0:1], 0x8
	s_load_b32 s34, s[0:1], 0x0
	v_lshl_or_b32 v8, s15, 9, v0
	s_or_b32 s16, s0, 8
	s_mov_b32 s3, -1
	s_mov_b32 s28, 0
	s_mov_b32 s17, s1
	v_or_b32_e32 v5, 0x180, v8
	s_mov_b32 s8, 0
	s_mov_b32 s2, exec_lo
	s_waitcnt lgkmcnt(0)
	s_add_i32 s27, s26, -1
	s_delay_alu instid0(SALU_CYCLE_1)
	s_cmp_gt_u32 s27, 1
	s_cselect_b32 s29, -1, 0
	v_cmpx_le_i32_e64 s34, v5
	s_xor_b32 s30, exec_lo, s2
	s_cbranch_execz .LBB449_1064
; %bb.1:
	s_clause 0x5
	s_load_b32 s31, s[16:17], 0x160
	s_load_b64 s[18:19], s[16:17], 0x158
	s_load_b128 s[12:15], s[16:17], 0x4
	s_load_b64 s[20:21], s[16:17], 0x14
	s_load_b128 s[8:11], s[16:17], 0xc4
	s_load_b128 s[4:7], s[16:17], 0x148
	s_cmp_lg_u32 s26, 0
	s_mov_b32 s40, 0
	s_cselect_b32 s36, -1, 0
	s_add_u32 s22, s16, 0xc4
	s_addc_u32 s23, s17, 0
	s_min_u32 s35, s27, 15
	s_cmp_gt_u32 s26, 1
	s_mov_b32 s38, 0
	s_cselect_b32 s33, -1, 0
	s_mov_b32 s37, 0
	s_mov_b32 s39, exec_lo
	s_waitcnt lgkmcnt(0)
	v_lshrrev_b16 v7, 8, s31
	v_cmpx_gt_i32_e64 s34, v8
	s_cbranch_execz .LBB449_261
; %bb.2:
	s_and_not1_b32 vcc_lo, exec_lo, s29
	s_cbranch_vccnz .LBB449_7
; %bb.3:
	v_dual_mov_b32 v0, 0 :: v_dual_mov_b32 v1, 0
	s_and_not1_b32 vcc_lo, exec_lo, s36
	s_cbranch_vccnz .LBB449_12
; %bb.4:
	v_mov_b32_e32 v0, 0
	s_add_i32 s41, s35, 1
	s_cmp_eq_u32 s27, 2
	s_cbranch_scc1 .LBB449_8
; %bb.5:
	v_dual_mov_b32 v1, 0 :: v_dual_mov_b32 v0, 0
	v_mov_b32_e32 v2, v8
	s_and_b32 s38, s41, 28
	s_mov_b32 s42, 0
	s_mov_b64 s[2:3], s[22:23]
	s_mov_b64 s[24:25], s[16:17]
.LBB449_6:                              ; =>This Inner Loop Header: Depth=1
	s_clause 0x1
	s_load_b256 s[44:51], s[24:25], 0x4
	s_load_b128 s[60:63], s[24:25], 0x24
	s_load_b256 s[52:59], s[2:3], 0x0
	s_add_u32 s24, s24, 48
	s_addc_u32 s25, s25, 0
	s_add_i32 s42, s42, 4
	s_add_u32 s2, s2, 32
	s_addc_u32 s3, s3, 0
	s_cmp_lg_u32 s38, s42
	s_waitcnt lgkmcnt(0)
	v_mul_hi_u32 v3, s45, v2
	s_delay_alu instid0(VALU_DEP_1) | instskip(NEXT) | instid1(VALU_DEP_1)
	v_add_nc_u32_e32 v3, v2, v3
	v_lshrrev_b32_e32 v3, s46, v3
	s_delay_alu instid0(VALU_DEP_1) | instskip(SKIP_1) | instid1(VALU_DEP_2)
	v_mul_hi_u32 v4, s48, v3
	v_mul_lo_u32 v6, v3, s44
	v_add_nc_u32_e32 v4, v3, v4
	s_delay_alu instid0(VALU_DEP_2) | instskip(NEXT) | instid1(VALU_DEP_2)
	v_sub_nc_u32_e32 v2, v2, v6
	v_lshrrev_b32_e32 v4, s49, v4
	s_delay_alu instid0(VALU_DEP_2) | instskip(SKIP_1) | instid1(VALU_DEP_3)
	v_mul_lo_u32 v6, v2, s52
	v_mul_lo_u32 v10, v2, s53
	v_mul_hi_u32 v5, s51, v4
	s_delay_alu instid0(VALU_DEP_1) | instskip(NEXT) | instid1(VALU_DEP_1)
	v_add_nc_u32_e32 v5, v4, v5
	v_lshrrev_b32_e32 v5, s60, v5
	s_delay_alu instid0(VALU_DEP_1) | instskip(SKIP_1) | instid1(VALU_DEP_2)
	v_mul_hi_u32 v9, s62, v5
	v_mul_lo_u32 v11, v5, s50
	v_add_nc_u32_e32 v2, v5, v9
	v_mul_lo_u32 v9, v4, s47
	s_delay_alu instid0(VALU_DEP_3) | instskip(NEXT) | instid1(VALU_DEP_3)
	v_sub_nc_u32_e32 v4, v4, v11
	v_lshrrev_b32_e32 v2, s63, v2
	s_delay_alu instid0(VALU_DEP_2) | instskip(SKIP_2) | instid1(VALU_DEP_4)
	v_mul_lo_u32 v11, v4, s56
	v_mul_lo_u32 v4, v4, s57
	v_sub_nc_u32_e32 v3, v3, v9
	v_mul_lo_u32 v12, v2, s61
	s_delay_alu instid0(VALU_DEP_2) | instskip(SKIP_1) | instid1(VALU_DEP_3)
	v_mul_lo_u32 v9, v3, s54
	v_mul_lo_u32 v3, v3, s55
	v_sub_nc_u32_e32 v5, v5, v12
	s_delay_alu instid0(VALU_DEP_3) | instskip(NEXT) | instid1(VALU_DEP_2)
	v_add3_u32 v0, v6, v0, v9
	v_mul_lo_u32 v12, v5, s58
	v_mul_lo_u32 v5, v5, s59
	v_add3_u32 v1, v10, v1, v3
	s_delay_alu instid0(VALU_DEP_3) | instskip(NEXT) | instid1(VALU_DEP_2)
	v_add3_u32 v0, v11, v0, v12
	v_add3_u32 v1, v4, v1, v5
	s_cbranch_scc1 .LBB449_6
	s_branch .LBB449_9
.LBB449_7:
	s_mov_b32 s37, -1
                                        ; implicit-def: $vgpr0
                                        ; implicit-def: $vgpr1
	s_branch .LBB449_12
.LBB449_8:
	v_dual_mov_b32 v2, v8 :: v_dual_mov_b32 v1, 0
.LBB449_9:
	s_and_b32 s41, s41, 3
	s_delay_alu instid0(SALU_CYCLE_1)
	s_cmp_eq_u32 s41, 0
	s_cbranch_scc1 .LBB449_12
; %bb.10:
	s_lshl_b32 s2, s38, 3
	s_mul_i32 s24, s38, 12
	s_add_u32 s2, s2, s16
	s_addc_u32 s3, s17, 0
	s_add_u32 s2, s2, 0xc4
	s_addc_u32 s3, s3, 0
	;; [unrolled: 2-line block ×3, first 2 shown]
	.p2align	6
.LBB449_11:                             ; =>This Inner Loop Header: Depth=1
	s_clause 0x1
	s_load_b64 s[42:43], s[24:25], 0x4
	s_load_b32 s38, s[24:25], 0xc
	s_load_b64 s[44:45], s[2:3], 0x0
	s_add_u32 s24, s24, 12
	s_addc_u32 s25, s25, 0
	s_add_u32 s2, s2, 8
	s_addc_u32 s3, s3, 0
	s_add_i32 s41, s41, -1
	s_delay_alu instid0(SALU_CYCLE_1) | instskip(SKIP_2) | instid1(VALU_DEP_1)
	s_cmp_lg_u32 s41, 0
	s_waitcnt lgkmcnt(0)
	v_mul_hi_u32 v3, s43, v2
	v_add_nc_u32_e32 v3, v2, v3
	s_delay_alu instid0(VALU_DEP_1) | instskip(NEXT) | instid1(VALU_DEP_1)
	v_lshrrev_b32_e32 v6, s38, v3
	v_mul_lo_u32 v3, v6, s42
	s_delay_alu instid0(VALU_DEP_1) | instskip(NEXT) | instid1(VALU_DEP_1)
	v_sub_nc_u32_e32 v2, v2, v3
	v_mad_u64_u32 v[3:4], null, v2, s44, v[0:1]
	v_mad_u64_u32 v[4:5], null, v2, s45, v[1:2]
	v_mov_b32_e32 v2, v6
	s_delay_alu instid0(VALU_DEP_2)
	v_dual_mov_b32 v0, v3 :: v_dual_mov_b32 v1, v4
	s_cbranch_scc1 .LBB449_11
.LBB449_12:
	s_and_not1_b32 vcc_lo, exec_lo, s37
	s_cbranch_vccnz .LBB449_15
; %bb.13:
	v_mul_hi_u32 v0, s13, v8
	s_and_not1_b32 vcc_lo, exec_lo, s33
	s_delay_alu instid0(VALU_DEP_1) | instskip(NEXT) | instid1(VALU_DEP_1)
	v_add_nc_u32_e32 v0, v8, v0
	v_lshrrev_b32_e32 v2, s14, v0
	s_delay_alu instid0(VALU_DEP_1) | instskip(NEXT) | instid1(VALU_DEP_1)
	v_mul_lo_u32 v0, v2, s12
	v_sub_nc_u32_e32 v1, v8, v0
	s_delay_alu instid0(VALU_DEP_1)
	v_mul_lo_u32 v0, v1, s8
	v_mul_lo_u32 v1, v1, s9
	s_cbranch_vccnz .LBB449_15
; %bb.14:
	v_mul_hi_u32 v3, s20, v2
	s_delay_alu instid0(VALU_DEP_1) | instskip(NEXT) | instid1(VALU_DEP_1)
	v_add_nc_u32_e32 v3, v2, v3
	v_lshrrev_b32_e32 v3, s21, v3
	s_delay_alu instid0(VALU_DEP_1) | instskip(NEXT) | instid1(VALU_DEP_1)
	v_mul_lo_u32 v3, v3, s15
	v_sub_nc_u32_e32 v5, v2, v3
	s_delay_alu instid0(VALU_DEP_1) | instskip(NEXT) | instid1(VALU_DEP_1)
	v_mad_u64_u32 v[2:3], null, v5, s10, v[0:1]
	v_mad_u64_u32 v[3:4], null, v5, s11, v[1:2]
	s_delay_alu instid0(VALU_DEP_1)
	v_dual_mov_b32 v0, v2 :: v_dual_mov_b32 v1, v3
.LBB449_15:
	v_cmp_gt_i16_e32 vcc_lo, 11, v7
	s_delay_alu instid0(VALU_DEP_2) | instskip(NEXT) | instid1(VALU_DEP_1)
	v_add_co_u32 v1, s2, s6, v1
	v_add_co_ci_u32_e64 v2, null, s7, 0, s2
	s_mov_b32 s24, 0
	s_cbranch_vccnz .LBB449_22
; %bb.16:
	v_cmp_lt_i16_e32 vcc_lo, 25, v7
	s_cbranch_vccz .LBB449_70
; %bb.17:
	v_cmp_lt_i16_e32 vcc_lo, 28, v7
	s_cbranch_vccz .LBB449_71
; %bb.18:
	v_cmp_lt_i16_e32 vcc_lo, 43, v7
	s_cbranch_vccz .LBB449_73
; %bb.19:
	v_cmp_lt_i16_e32 vcc_lo, 45, v7
	s_cbranch_vccz .LBB449_75
; %bb.20:
	v_cmp_eq_u16_e32 vcc_lo, 46, v7
	s_mov_b32 s3, 0
	s_cbranch_vccz .LBB449_77
; %bb.21:
	global_load_b32 v3, v[1:2], off
	s_mov_b32 s2, -1
	s_waitcnt vmcnt(0)
	v_lshlrev_b32_e32 v3, 16, v3
	s_delay_alu instid0(VALU_DEP_1) | instskip(NEXT) | instid1(VALU_DEP_1)
	v_trunc_f32_e32 v3, v3
	v_mul_f32_e64 v4, 0x2f800000, |v3|
	v_ashrrev_i32_e32 v6, 31, v3
	s_delay_alu instid0(VALU_DEP_2) | instskip(NEXT) | instid1(VALU_DEP_1)
	v_floor_f32_e32 v4, v4
	v_fma_f32 v5, 0xcf800000, v4, |v3|
	v_cvt_u32_f32_e32 v4, v4
	s_delay_alu instid0(VALU_DEP_2) | instskip(NEXT) | instid1(VALU_DEP_2)
	v_cvt_u32_f32_e32 v3, v5
	v_xor_b32_e32 v4, v4, v6
	s_delay_alu instid0(VALU_DEP_2) | instskip(NEXT) | instid1(VALU_DEP_1)
	v_xor_b32_e32 v3, v3, v6
	v_sub_co_u32 v3, vcc_lo, v3, v6
	s_delay_alu instid0(VALU_DEP_3)
	v_sub_co_ci_u32_e32 v4, vcc_lo, v4, v6, vcc_lo
	s_branch .LBB449_79
.LBB449_22:
	s_mov_b32 s2, 0
                                        ; implicit-def: $vgpr3_vgpr4
	s_cbranch_execnz .LBB449_211
.LBB449_23:
	s_and_not1_b32 vcc_lo, exec_lo, s2
	s_cbranch_vccnz .LBB449_258
.LBB449_24:
	s_waitcnt vmcnt(0)
	s_delay_alu instid0(VALU_DEP_1) | instskip(SKIP_3) | instid1(VALU_DEP_1)
	v_cmp_gt_i64_e32 vcc_lo, s[18:19], v[3:4]
	v_and_b32_e64 v5, 0xff, s31
	s_mov_b32 s3, 0
	s_mov_b32 s37, -1
	v_cmp_gt_i16_e64 s2, 11, v5
	v_cndmask_b32_e32 v1, s18, v3, vcc_lo
	v_add_co_u32 v3, s25, s4, v0
	v_cndmask_b32_e32 v2, s19, v4, vcc_lo
	v_add_co_ci_u32_e64 v4, null, s5, 0, s25
	s_and_b32 vcc_lo, exec_lo, s2
	s_mov_b32 s25, 0
	s_cbranch_vccnz .LBB449_31
; %bb.25:
	v_cmp_lt_i16_e32 vcc_lo, 25, v5
	s_cbranch_vccz .LBB449_72
; %bb.26:
	v_cmp_lt_i16_e32 vcc_lo, 28, v5
	s_cbranch_vccz .LBB449_74
	;; [unrolled: 3-line block ×4, first 2 shown]
; %bb.29:
	v_cmp_eq_u16_e32 vcc_lo, 46, v5
	s_mov_b32 s2, 0
	s_mov_b32 s3, -1
	s_cbranch_vccz .LBB449_83
; %bb.30:
	v_xor_b32_e32 v0, v1, v2
	v_cls_i32_e32 v6, v2
	s_mov_b32 s25, -1
	s_mov_b32 s3, 0
	s_delay_alu instid0(VALU_DEP_2) | instskip(NEXT) | instid1(VALU_DEP_2)
	v_ashrrev_i32_e32 v0, 31, v0
	v_add_nc_u32_e32 v6, -1, v6
	s_delay_alu instid0(VALU_DEP_2) | instskip(NEXT) | instid1(VALU_DEP_1)
	v_add_nc_u32_e32 v0, 32, v0
	v_min_u32_e32 v0, v6, v0
	s_delay_alu instid0(VALU_DEP_1) | instskip(SKIP_1) | instid1(VALU_DEP_2)
	v_lshlrev_b64 v[9:10], v0, v[1:2]
	v_sub_nc_u32_e32 v0, 32, v0
	v_min_u32_e32 v6, 1, v9
	s_delay_alu instid0(VALU_DEP_1) | instskip(NEXT) | instid1(VALU_DEP_1)
	v_or_b32_e32 v6, v10, v6
	v_cvt_f32_i32_e32 v6, v6
	s_delay_alu instid0(VALU_DEP_1) | instskip(NEXT) | instid1(VALU_DEP_1)
	v_ldexp_f32 v0, v6, v0
	v_bfe_u32 v6, v0, 16, 1
	s_delay_alu instid0(VALU_DEP_1) | instskip(NEXT) | instid1(VALU_DEP_1)
	v_add3_u32 v0, v0, v6, 0x7fff
	v_lshrrev_b32_e32 v0, 16, v0
	global_store_b32 v[3:4], v0, off
	s_branch .LBB449_83
.LBB449_31:
	s_and_b32 vcc_lo, exec_lo, s37
	s_cbranch_vccz .LBB449_152
; %bb.32:
	v_cmp_gt_i16_e32 vcc_lo, 5, v5
	s_mov_b32 s2, -1
	s_cbranch_vccnz .LBB449_53
; %bb.33:
	v_cmp_gt_i16_e32 vcc_lo, 8, v5
	s_cbranch_vccnz .LBB449_43
; %bb.34:
	v_cmp_gt_i16_e32 vcc_lo, 9, v5
	s_cbranch_vccnz .LBB449_40
; %bb.35:
	v_cmp_lt_i16_e32 vcc_lo, 9, v5
	s_cbranch_vccz .LBB449_37
; %bb.36:
	v_cvt_f64_i32_e32 v[9:10], v2
	v_cvt_f64_u32_e32 v[11:12], v1
	s_mov_b32 s2, 0
	s_delay_alu instid0(VALU_DEP_2) | instskip(NEXT) | instid1(VALU_DEP_1)
	v_ldexp_f64 v[9:10], v[9:10], 32
	v_add_f64 v[9:10], v[9:10], v[11:12]
	v_mov_b32_e32 v11, 0
	s_delay_alu instid0(VALU_DEP_1)
	v_mov_b32_e32 v12, v11
	global_store_b128 v[3:4], v[9:12], off
.LBB449_37:
	s_and_not1_b32 vcc_lo, exec_lo, s2
	s_cbranch_vccnz .LBB449_39
; %bb.38:
	v_xor_b32_e32 v0, v1, v2
	v_cls_i32_e32 v6, v2
	s_delay_alu instid0(VALU_DEP_2) | instskip(NEXT) | instid1(VALU_DEP_2)
	v_ashrrev_i32_e32 v0, 31, v0
	v_add_nc_u32_e32 v6, -1, v6
	s_delay_alu instid0(VALU_DEP_2) | instskip(NEXT) | instid1(VALU_DEP_1)
	v_add_nc_u32_e32 v0, 32, v0
	v_min_u32_e32 v0, v6, v0
	s_delay_alu instid0(VALU_DEP_1) | instskip(SKIP_1) | instid1(VALU_DEP_2)
	v_lshlrev_b64 v[9:10], v0, v[1:2]
	v_sub_nc_u32_e32 v0, 32, v0
	v_min_u32_e32 v6, 1, v9
	s_delay_alu instid0(VALU_DEP_1) | instskip(SKIP_1) | instid1(VALU_DEP_2)
	v_or_b32_e32 v6, v10, v6
	v_mov_b32_e32 v10, 0
	v_cvt_f32_i32_e32 v6, v6
	s_delay_alu instid0(VALU_DEP_1)
	v_ldexp_f32 v9, v6, v0
	global_store_b64 v[3:4], v[9:10], off
.LBB449_39:
	s_mov_b32 s2, 0
.LBB449_40:
	s_delay_alu instid0(SALU_CYCLE_1)
	s_and_not1_b32 vcc_lo, exec_lo, s2
	s_cbranch_vccnz .LBB449_42
; %bb.41:
	v_xor_b32_e32 v0, v1, v2
	v_cls_i32_e32 v6, v2
	s_delay_alu instid0(VALU_DEP_2) | instskip(NEXT) | instid1(VALU_DEP_2)
	v_ashrrev_i32_e32 v0, 31, v0
	v_add_nc_u32_e32 v6, -1, v6
	s_delay_alu instid0(VALU_DEP_2) | instskip(NEXT) | instid1(VALU_DEP_1)
	v_add_nc_u32_e32 v0, 32, v0
	v_min_u32_e32 v0, v6, v0
	s_delay_alu instid0(VALU_DEP_1) | instskip(SKIP_1) | instid1(VALU_DEP_2)
	v_lshlrev_b64 v[9:10], v0, v[1:2]
	v_sub_nc_u32_e32 v0, 32, v0
	v_min_u32_e32 v6, 1, v9
	s_delay_alu instid0(VALU_DEP_1) | instskip(NEXT) | instid1(VALU_DEP_1)
	v_or_b32_e32 v6, v10, v6
	v_cvt_f32_i32_e32 v6, v6
	s_delay_alu instid0(VALU_DEP_1) | instskip(NEXT) | instid1(VALU_DEP_1)
	v_ldexp_f32 v0, v6, v0
	v_cvt_f16_f32_e32 v0, v0
	s_delay_alu instid0(VALU_DEP_1)
	v_and_b32_e32 v0, 0xffff, v0
	global_store_b32 v[3:4], v0, off
.LBB449_42:
	s_mov_b32 s2, 0
.LBB449_43:
	s_delay_alu instid0(SALU_CYCLE_1)
	s_and_not1_b32 vcc_lo, exec_lo, s2
	s_cbranch_vccnz .LBB449_52
; %bb.44:
	v_cmp_gt_i16_e32 vcc_lo, 6, v5
	s_mov_b32 s2, -1
	s_cbranch_vccnz .LBB449_50
; %bb.45:
	v_cmp_lt_i16_e32 vcc_lo, 6, v5
	s_cbranch_vccz .LBB449_47
; %bb.46:
	v_cvt_f64_i32_e32 v[9:10], v2
	v_cvt_f64_u32_e32 v[11:12], v1
	s_mov_b32 s2, 0
	s_delay_alu instid0(VALU_DEP_2) | instskip(NEXT) | instid1(VALU_DEP_1)
	v_ldexp_f64 v[9:10], v[9:10], 32
	v_add_f64 v[9:10], v[9:10], v[11:12]
	global_store_b64 v[3:4], v[9:10], off
.LBB449_47:
	s_and_not1_b32 vcc_lo, exec_lo, s2
	s_cbranch_vccnz .LBB449_49
; %bb.48:
	v_xor_b32_e32 v0, v1, v2
	v_cls_i32_e32 v6, v2
	s_delay_alu instid0(VALU_DEP_2) | instskip(NEXT) | instid1(VALU_DEP_2)
	v_ashrrev_i32_e32 v0, 31, v0
	v_add_nc_u32_e32 v6, -1, v6
	s_delay_alu instid0(VALU_DEP_2) | instskip(NEXT) | instid1(VALU_DEP_1)
	v_add_nc_u32_e32 v0, 32, v0
	v_min_u32_e32 v0, v6, v0
	s_delay_alu instid0(VALU_DEP_1) | instskip(SKIP_1) | instid1(VALU_DEP_2)
	v_lshlrev_b64 v[9:10], v0, v[1:2]
	v_sub_nc_u32_e32 v0, 32, v0
	v_min_u32_e32 v6, 1, v9
	s_delay_alu instid0(VALU_DEP_1) | instskip(NEXT) | instid1(VALU_DEP_1)
	v_or_b32_e32 v6, v10, v6
	v_cvt_f32_i32_e32 v6, v6
	s_delay_alu instid0(VALU_DEP_1)
	v_ldexp_f32 v0, v6, v0
	global_store_b32 v[3:4], v0, off
.LBB449_49:
	s_mov_b32 s2, 0
.LBB449_50:
	s_delay_alu instid0(SALU_CYCLE_1)
	s_and_not1_b32 vcc_lo, exec_lo, s2
	s_cbranch_vccnz .LBB449_52
; %bb.51:
	v_xor_b32_e32 v0, v1, v2
	v_cls_i32_e32 v6, v2
	s_delay_alu instid0(VALU_DEP_2) | instskip(NEXT) | instid1(VALU_DEP_2)
	v_ashrrev_i32_e32 v0, 31, v0
	v_add_nc_u32_e32 v6, -1, v6
	s_delay_alu instid0(VALU_DEP_2) | instskip(NEXT) | instid1(VALU_DEP_1)
	v_add_nc_u32_e32 v0, 32, v0
	v_min_u32_e32 v0, v6, v0
	s_delay_alu instid0(VALU_DEP_1) | instskip(SKIP_1) | instid1(VALU_DEP_2)
	v_lshlrev_b64 v[9:10], v0, v[1:2]
	v_sub_nc_u32_e32 v0, 32, v0
	v_min_u32_e32 v6, 1, v9
	s_delay_alu instid0(VALU_DEP_1) | instskip(NEXT) | instid1(VALU_DEP_1)
	v_or_b32_e32 v6, v10, v6
	v_cvt_f32_i32_e32 v6, v6
	s_delay_alu instid0(VALU_DEP_1) | instskip(NEXT) | instid1(VALU_DEP_1)
	v_ldexp_f32 v0, v6, v0
	v_cvt_f16_f32_e32 v0, v0
	global_store_b16 v[3:4], v0, off
.LBB449_52:
	s_mov_b32 s2, 0
.LBB449_53:
	s_delay_alu instid0(SALU_CYCLE_1)
	s_and_not1_b32 vcc_lo, exec_lo, s2
	s_cbranch_vccnz .LBB449_69
; %bb.54:
	v_cmp_gt_i16_e32 vcc_lo, 2, v5
	s_mov_b32 s2, -1
	s_cbranch_vccnz .LBB449_64
; %bb.55:
	v_cmp_gt_i16_e32 vcc_lo, 3, v5
	s_cbranch_vccnz .LBB449_61
; %bb.56:
	v_cmp_lt_i16_e32 vcc_lo, 3, v5
	s_cbranch_vccz .LBB449_58
; %bb.57:
	s_mov_b32 s2, 0
	global_store_b64 v[3:4], v[1:2], off
.LBB449_58:
	s_and_not1_b32 vcc_lo, exec_lo, s2
	s_cbranch_vccnz .LBB449_60
; %bb.59:
	global_store_b32 v[3:4], v1, off
.LBB449_60:
	s_mov_b32 s2, 0
.LBB449_61:
	s_delay_alu instid0(SALU_CYCLE_1)
	s_and_not1_b32 vcc_lo, exec_lo, s2
	s_cbranch_vccnz .LBB449_63
; %bb.62:
	global_store_b16 v[3:4], v1, off
.LBB449_63:
	s_mov_b32 s2, 0
.LBB449_64:
	s_delay_alu instid0(SALU_CYCLE_1)
	s_and_not1_b32 vcc_lo, exec_lo, s2
	s_cbranch_vccnz .LBB449_69
; %bb.65:
	v_cmp_lt_i16_e32 vcc_lo, 0, v5
	s_mov_b32 s2, -1
	s_cbranch_vccz .LBB449_67
; %bb.66:
	s_mov_b32 s2, 0
	global_store_b8 v[3:4], v1, off
.LBB449_67:
	s_and_not1_b32 vcc_lo, exec_lo, s2
	s_cbranch_vccnz .LBB449_69
; %bb.68:
	global_store_b8 v[3:4], v1, off
.LBB449_69:
	s_branch .LBB449_153
.LBB449_70:
	s_mov_b32 s2, 0
                                        ; implicit-def: $vgpr3_vgpr4
	s_cbranch_execnz .LBB449_180
	s_branch .LBB449_210
.LBB449_71:
	s_mov_b32 s3, -1
	s_mov_b32 s2, 0
                                        ; implicit-def: $vgpr3_vgpr4
	s_branch .LBB449_161
.LBB449_72:
	s_mov_b32 s2, -1
	s_branch .LBB449_110
.LBB449_73:
	s_mov_b32 s3, -1
	s_mov_b32 s2, 0
                                        ; implicit-def: $vgpr3_vgpr4
	s_branch .LBB449_156
.LBB449_74:
	s_mov_b32 s2, -1
	s_branch .LBB449_93
.LBB449_75:
	s_mov_b32 s3, -1
	s_branch .LBB449_78
.LBB449_76:
	s_mov_b32 s2, -1
	s_branch .LBB449_89
.LBB449_77:
	s_mov_b32 s24, -1
.LBB449_78:
	s_mov_b32 s2, 0
                                        ; implicit-def: $vgpr3_vgpr4
.LBB449_79:
	s_and_b32 vcc_lo, exec_lo, s3
	s_cbranch_vccz .LBB449_155
; %bb.80:
	v_cmp_eq_u16_e32 vcc_lo, 44, v7
	s_cbranch_vccz .LBB449_154
; %bb.81:
	global_load_u8 v3, v[1:2], off
	s_mov_b32 s24, 0
	s_mov_b32 s2, -1
	s_waitcnt vmcnt(0)
	v_lshlrev_b32_e32 v4, 23, v3
	s_delay_alu instid0(VALU_DEP_1) | instskip(NEXT) | instid1(VALU_DEP_1)
	v_trunc_f32_e32 v4, v4
	v_mul_f32_e64 v5, 0x2f800000, |v4|
	s_delay_alu instid0(VALU_DEP_1) | instskip(NEXT) | instid1(VALU_DEP_1)
	v_floor_f32_e32 v5, v5
	v_fma_f32 v6, 0xcf800000, v5, |v4|
	v_ashrrev_i32_e32 v4, 31, v4
	v_cvt_u32_f32_e32 v5, v5
	s_delay_alu instid0(VALU_DEP_3) | instskip(NEXT) | instid1(VALU_DEP_2)
	v_cvt_u32_f32_e32 v6, v6
	v_xor_b32_e32 v5, v5, v4
	s_delay_alu instid0(VALU_DEP_2) | instskip(NEXT) | instid1(VALU_DEP_1)
	v_xor_b32_e32 v6, v6, v4
	v_sub_co_u32 v6, vcc_lo, v6, v4
	s_delay_alu instid0(VALU_DEP_3) | instskip(SKIP_1) | instid1(VALU_DEP_2)
	v_sub_co_ci_u32_e32 v4, vcc_lo, v5, v4, vcc_lo
	v_cmp_ne_u32_e32 vcc_lo, 0, v3
	v_dual_cndmask_b32 v3, 0, v6 :: v_dual_cndmask_b32 v4, 0, v4
	s_branch .LBB449_155
.LBB449_82:
	s_mov_b32 s2, -1
.LBB449_83:
	s_delay_alu instid0(SALU_CYCLE_1)
	s_and_b32 vcc_lo, exec_lo, s2
	s_cbranch_vccz .LBB449_88
; %bb.84:
	v_cmp_eq_u16_e32 vcc_lo, 44, v5
	s_mov_b32 s3, -1
	s_cbranch_vccz .LBB449_88
; %bb.85:
	v_xor_b32_e32 v0, v1, v2
	v_cls_i32_e32 v6, v2
	s_mov_b32 s25, -1
	s_mov_b32 s3, exec_lo
	s_delay_alu instid0(VALU_DEP_2) | instskip(NEXT) | instid1(VALU_DEP_2)
	v_ashrrev_i32_e32 v0, 31, v0
	v_add_nc_u32_e32 v6, -1, v6
	s_delay_alu instid0(VALU_DEP_2) | instskip(NEXT) | instid1(VALU_DEP_1)
	v_add_nc_u32_e32 v0, 32, v0
	v_min_u32_e32 v0, v6, v0
	s_delay_alu instid0(VALU_DEP_1) | instskip(SKIP_1) | instid1(VALU_DEP_2)
	v_lshlrev_b64 v[9:10], v0, v[1:2]
	v_sub_nc_u32_e32 v0, 32, v0
	v_min_u32_e32 v6, 1, v9
	s_delay_alu instid0(VALU_DEP_1) | instskip(NEXT) | instid1(VALU_DEP_1)
	v_or_b32_e32 v6, v10, v6
	v_cvt_f32_i32_e32 v6, v6
	s_delay_alu instid0(VALU_DEP_1) | instskip(SKIP_1) | instid1(VALU_DEP_2)
	v_ldexp_f32 v0, v6, v0
	v_mov_b32_e32 v6, 0xff
	v_bfe_u32 v9, v0, 23, 8
	s_delay_alu instid0(VALU_DEP_1)
	v_cmpx_ne_u32_e32 0xff, v9
; %bb.86:
	v_and_b32_e32 v6, 0x400000, v0
	v_and_or_b32 v9, 0x3fffff, v0, v9
	v_lshrrev_b32_e32 v0, 23, v0
	s_delay_alu instid0(VALU_DEP_3) | instskip(NEXT) | instid1(VALU_DEP_3)
	v_cmp_ne_u32_e32 vcc_lo, 0, v6
	v_cmp_ne_u32_e64 s2, 0, v9
	s_delay_alu instid0(VALU_DEP_1) | instskip(NEXT) | instid1(SALU_CYCLE_1)
	s_and_b32 s2, vcc_lo, s2
	v_cndmask_b32_e64 v6, 0, 1, s2
	s_delay_alu instid0(VALU_DEP_1)
	v_add_nc_u32_e32 v6, v0, v6
; %bb.87:
	s_or_b32 exec_lo, exec_lo, s3
	s_mov_b32 s3, 0
	global_store_b8 v[3:4], v6, off
.LBB449_88:
	s_mov_b32 s2, 0
.LBB449_89:
	s_delay_alu instid0(SALU_CYCLE_1)
	s_and_b32 vcc_lo, exec_lo, s2
	s_cbranch_vccz .LBB449_92
; %bb.90:
	v_cmp_eq_u16_e32 vcc_lo, 29, v5
	s_mov_b32 s3, -1
	s_cbranch_vccz .LBB449_92
; %bb.91:
	s_mov_b32 s25, -1
	s_mov_b32 s3, 0
	global_store_b64 v[3:4], v[1:2], off
.LBB449_92:
	s_mov_b32 s2, 0
.LBB449_93:
	s_delay_alu instid0(SALU_CYCLE_1)
	s_and_b32 vcc_lo, exec_lo, s2
	s_cbranch_vccz .LBB449_109
; %bb.94:
	v_cmp_gt_i16_e32 vcc_lo, 27, v5
	s_mov_b32 s2, -1
	s_cbranch_vccnz .LBB449_100
; %bb.95:
	v_cmp_lt_i16_e32 vcc_lo, 27, v5
	s_cbranch_vccz .LBB449_97
; %bb.96:
	s_mov_b32 s2, 0
	global_store_b32 v[3:4], v1, off
.LBB449_97:
	s_and_not1_b32 vcc_lo, exec_lo, s2
	s_cbranch_vccnz .LBB449_99
; %bb.98:
	global_store_b16 v[3:4], v1, off
.LBB449_99:
	s_mov_b32 s2, 0
.LBB449_100:
	s_delay_alu instid0(SALU_CYCLE_1)
	s_and_not1_b32 vcc_lo, exec_lo, s2
	s_cbranch_vccnz .LBB449_108
; %bb.101:
	v_xor_b32_e32 v0, v1, v2
	v_cls_i32_e32 v6, v2
	s_mov_b32 s2, exec_lo
	s_delay_alu instid0(VALU_DEP_2) | instskip(NEXT) | instid1(VALU_DEP_2)
	v_ashrrev_i32_e32 v0, 31, v0
	v_add_nc_u32_e32 v6, -1, v6
	s_delay_alu instid0(VALU_DEP_2) | instskip(NEXT) | instid1(VALU_DEP_1)
	v_add_nc_u32_e32 v0, 32, v0
	v_min_u32_e32 v0, v6, v0
	s_delay_alu instid0(VALU_DEP_1) | instskip(SKIP_1) | instid1(VALU_DEP_2)
	v_lshlrev_b64 v[9:10], v0, v[1:2]
	v_sub_nc_u32_e32 v0, 32, v0
	v_min_u32_e32 v6, 1, v9
	v_mov_b32_e32 v9, 0x80
	s_delay_alu instid0(VALU_DEP_2) | instskip(NEXT) | instid1(VALU_DEP_1)
	v_or_b32_e32 v6, v10, v6
	v_cvt_f32_i32_e32 v6, v6
	s_delay_alu instid0(VALU_DEP_1) | instskip(NEXT) | instid1(VALU_DEP_1)
	v_ldexp_f32 v0, v6, v0
	v_and_b32_e32 v6, 0x7fffffff, v0
	s_delay_alu instid0(VALU_DEP_1)
	v_cmpx_gt_u32_e32 0x43800000, v6
	s_cbranch_execz .LBB449_107
; %bb.102:
	v_cmp_lt_u32_e32 vcc_lo, 0x3bffffff, v6
	s_mov_b32 s25, 0
                                        ; implicit-def: $vgpr6
	s_and_saveexec_b32 s37, vcc_lo
	s_delay_alu instid0(SALU_CYCLE_1)
	s_xor_b32 s37, exec_lo, s37
	s_cbranch_execz .LBB449_337
; %bb.103:
	v_bfe_u32 v6, v0, 20, 1
	s_mov_b32 s25, exec_lo
	s_delay_alu instid0(VALU_DEP_1) | instskip(NEXT) | instid1(VALU_DEP_1)
	v_add3_u32 v6, v0, v6, 0x487ffff
	v_lshrrev_b32_e32 v6, 20, v6
	s_or_saveexec_b32 s37, s37
                                        ; implicit-def: $sgpr38
	s_delay_alu instid0(SALU_CYCLE_1)
	s_xor_b32 exec_lo, exec_lo, s37
	s_cbranch_execnz .LBB449_338
.LBB449_104:
	s_or_b32 exec_lo, exec_lo, s37
	v_mov_b32_e32 v9, s38
	s_and_saveexec_b32 s37, s25
.LBB449_105:
	v_lshrrev_b32_e32 v0, 24, v0
	s_delay_alu instid0(VALU_DEP_1)
	v_and_or_b32 v9, 0x80, v0, v6
.LBB449_106:
	s_or_b32 exec_lo, exec_lo, s37
.LBB449_107:
	s_delay_alu instid0(SALU_CYCLE_1)
	s_or_b32 exec_lo, exec_lo, s2
	global_store_b8 v[3:4], v9, off
.LBB449_108:
	s_mov_b32 s25, -1
.LBB449_109:
	s_mov_b32 s2, 0
.LBB449_110:
	s_delay_alu instid0(SALU_CYCLE_1)
	s_and_b32 vcc_lo, exec_lo, s2
	s_cbranch_vccz .LBB449_151
; %bb.111:
	v_cmp_lt_i16_e32 vcc_lo, 22, v5
	s_mov_b32 s2, -1
	s_cbranch_vccz .LBB449_143
; %bb.112:
	v_cmp_gt_i16_e32 vcc_lo, 24, v5
	s_cbranch_vccnz .LBB449_132
; %bb.113:
	v_cmp_lt_i16_e32 vcc_lo, 24, v5
	s_cbranch_vccz .LBB449_121
; %bb.114:
	v_xor_b32_e32 v0, v1, v2
	v_cls_i32_e32 v6, v2
	s_mov_b32 s2, exec_lo
	s_delay_alu instid0(VALU_DEP_2) | instskip(NEXT) | instid1(VALU_DEP_2)
	v_ashrrev_i32_e32 v0, 31, v0
	v_add_nc_u32_e32 v6, -1, v6
	s_delay_alu instid0(VALU_DEP_2) | instskip(NEXT) | instid1(VALU_DEP_1)
	v_add_nc_u32_e32 v0, 32, v0
	v_min_u32_e32 v0, v6, v0
	s_delay_alu instid0(VALU_DEP_1) | instskip(SKIP_1) | instid1(VALU_DEP_2)
	v_lshlrev_b64 v[9:10], v0, v[1:2]
	v_sub_nc_u32_e32 v0, 32, v0
	v_min_u32_e32 v6, 1, v9
	v_mov_b32_e32 v9, 0x80
	s_delay_alu instid0(VALU_DEP_2) | instskip(NEXT) | instid1(VALU_DEP_1)
	v_or_b32_e32 v6, v10, v6
	v_cvt_f32_i32_e32 v6, v6
	s_delay_alu instid0(VALU_DEP_1) | instskip(NEXT) | instid1(VALU_DEP_1)
	v_ldexp_f32 v0, v6, v0
	v_and_b32_e32 v6, 0x7fffffff, v0
	s_delay_alu instid0(VALU_DEP_1)
	v_cmpx_gt_u32_e32 0x47800000, v6
	s_cbranch_execz .LBB449_120
; %bb.115:
	v_cmp_lt_u32_e32 vcc_lo, 0x37ffffff, v6
	s_mov_b32 s25, 0
                                        ; implicit-def: $vgpr6
	s_and_saveexec_b32 s37, vcc_lo
	s_delay_alu instid0(SALU_CYCLE_1)
	s_xor_b32 s37, exec_lo, s37
	s_cbranch_execz .LBB449_341
; %bb.116:
	v_bfe_u32 v6, v0, 21, 1
	s_mov_b32 s25, exec_lo
	s_delay_alu instid0(VALU_DEP_1) | instskip(NEXT) | instid1(VALU_DEP_1)
	v_add3_u32 v6, v0, v6, 0x88fffff
	v_lshrrev_b32_e32 v6, 21, v6
	s_or_saveexec_b32 s37, s37
                                        ; implicit-def: $sgpr38
	s_delay_alu instid0(SALU_CYCLE_1)
	s_xor_b32 exec_lo, exec_lo, s37
	s_cbranch_execnz .LBB449_342
.LBB449_117:
	s_or_b32 exec_lo, exec_lo, s37
	v_mov_b32_e32 v9, s38
	s_and_saveexec_b32 s37, s25
.LBB449_118:
	v_lshrrev_b32_e32 v0, 24, v0
	s_delay_alu instid0(VALU_DEP_1)
	v_and_or_b32 v9, 0x80, v0, v6
.LBB449_119:
	s_or_b32 exec_lo, exec_lo, s37
.LBB449_120:
	s_delay_alu instid0(SALU_CYCLE_1)
	s_or_b32 exec_lo, exec_lo, s2
	s_mov_b32 s2, 0
	global_store_b8 v[3:4], v9, off
.LBB449_121:
	s_and_b32 vcc_lo, exec_lo, s2
	s_cbranch_vccz .LBB449_131
; %bb.122:
	v_xor_b32_e32 v0, v1, v2
	v_cls_i32_e32 v6, v2
	s_mov_b32 s2, exec_lo
	s_delay_alu instid0(VALU_DEP_2) | instskip(NEXT) | instid1(VALU_DEP_2)
	v_ashrrev_i32_e32 v0, 31, v0
	v_add_nc_u32_e32 v6, -1, v6
	s_delay_alu instid0(VALU_DEP_2) | instskip(NEXT) | instid1(VALU_DEP_1)
	v_add_nc_u32_e32 v0, 32, v0
	v_min_u32_e32 v0, v6, v0
	s_delay_alu instid0(VALU_DEP_1) | instskip(SKIP_1) | instid1(VALU_DEP_2)
	v_lshlrev_b64 v[9:10], v0, v[1:2]
	v_sub_nc_u32_e32 v0, 32, v0
	v_min_u32_e32 v6, 1, v9
	s_delay_alu instid0(VALU_DEP_1) | instskip(NEXT) | instid1(VALU_DEP_1)
	v_or_b32_e32 v6, v10, v6
	v_cvt_f32_i32_e32 v6, v6
	s_delay_alu instid0(VALU_DEP_1) | instskip(NEXT) | instid1(VALU_DEP_1)
	v_ldexp_f32 v0, v6, v0
                                        ; implicit-def: $vgpr6
	v_and_b32_e32 v9, 0x7fffffff, v0
	s_delay_alu instid0(VALU_DEP_1)
	v_cmpx_gt_u32_e32 0x43f00000, v9
	s_xor_b32 s2, exec_lo, s2
	s_cbranch_execz .LBB449_128
; %bb.123:
	s_mov_b32 s25, exec_lo
                                        ; implicit-def: $vgpr6
	v_cmpx_lt_u32_e32 0x3c7fffff, v9
	s_xor_b32 s25, exec_lo, s25
; %bb.124:
	v_bfe_u32 v6, v0, 20, 1
	s_delay_alu instid0(VALU_DEP_1) | instskip(NEXT) | instid1(VALU_DEP_1)
	v_add3_u32 v6, v0, v6, 0x407ffff
	v_and_b32_e32 v9, 0xff00000, v6
	v_lshrrev_b32_e32 v6, 20, v6
	s_delay_alu instid0(VALU_DEP_2) | instskip(NEXT) | instid1(VALU_DEP_2)
	v_cmp_ne_u32_e32 vcc_lo, 0x7f00000, v9
	v_cndmask_b32_e32 v6, 0x7e, v6, vcc_lo
; %bb.125:
	s_and_not1_saveexec_b32 s25, s25
; %bb.126:
	v_add_f32_e64 v6, 0x46800000, |v0|
; %bb.127:
	s_or_b32 exec_lo, exec_lo, s25
                                        ; implicit-def: $vgpr9
.LBB449_128:
	s_and_not1_saveexec_b32 s2, s2
; %bb.129:
	v_mov_b32_e32 v6, 0x7f
	v_cmp_lt_u32_e32 vcc_lo, 0x7f800000, v9
	s_delay_alu instid0(VALU_DEP_2)
	v_cndmask_b32_e32 v6, 0x7e, v6, vcc_lo
; %bb.130:
	s_or_b32 exec_lo, exec_lo, s2
	v_lshrrev_b32_e32 v0, 24, v0
	s_delay_alu instid0(VALU_DEP_1)
	v_and_or_b32 v0, 0x80, v0, v6
	global_store_b8 v[3:4], v0, off
.LBB449_131:
	s_mov_b32 s2, 0
.LBB449_132:
	s_delay_alu instid0(SALU_CYCLE_1)
	s_and_not1_b32 vcc_lo, exec_lo, s2
	s_cbranch_vccnz .LBB449_142
; %bb.133:
	v_xor_b32_e32 v0, v1, v2
	v_cls_i32_e32 v6, v2
	s_mov_b32 s2, exec_lo
	s_delay_alu instid0(VALU_DEP_2) | instskip(NEXT) | instid1(VALU_DEP_2)
	v_ashrrev_i32_e32 v0, 31, v0
	v_add_nc_u32_e32 v6, -1, v6
	s_delay_alu instid0(VALU_DEP_2) | instskip(NEXT) | instid1(VALU_DEP_1)
	v_add_nc_u32_e32 v0, 32, v0
	v_min_u32_e32 v0, v6, v0
	s_delay_alu instid0(VALU_DEP_1) | instskip(SKIP_1) | instid1(VALU_DEP_2)
	v_lshlrev_b64 v[9:10], v0, v[1:2]
	v_sub_nc_u32_e32 v0, 32, v0
	v_min_u32_e32 v6, 1, v9
	s_delay_alu instid0(VALU_DEP_1) | instskip(NEXT) | instid1(VALU_DEP_1)
	v_or_b32_e32 v6, v10, v6
	v_cvt_f32_i32_e32 v6, v6
	s_delay_alu instid0(VALU_DEP_1) | instskip(NEXT) | instid1(VALU_DEP_1)
	v_ldexp_f32 v0, v6, v0
                                        ; implicit-def: $vgpr6
	v_and_b32_e32 v9, 0x7fffffff, v0
	s_delay_alu instid0(VALU_DEP_1)
	v_cmpx_gt_u32_e32 0x47800000, v9
	s_xor_b32 s2, exec_lo, s2
	s_cbranch_execz .LBB449_139
; %bb.134:
	s_mov_b32 s25, exec_lo
                                        ; implicit-def: $vgpr6
	v_cmpx_lt_u32_e32 0x387fffff, v9
	s_xor_b32 s25, exec_lo, s25
; %bb.135:
	v_bfe_u32 v6, v0, 21, 1
	s_delay_alu instid0(VALU_DEP_1) | instskip(NEXT) | instid1(VALU_DEP_1)
	v_add3_u32 v6, v0, v6, 0x80fffff
	v_lshrrev_b32_e32 v6, 21, v6
; %bb.136:
	s_and_not1_saveexec_b32 s25, s25
; %bb.137:
	v_add_f32_e64 v6, 0x43000000, |v0|
; %bb.138:
	s_or_b32 exec_lo, exec_lo, s25
                                        ; implicit-def: $vgpr9
.LBB449_139:
	s_and_not1_saveexec_b32 s2, s2
; %bb.140:
	v_mov_b32_e32 v6, 0x7f
	v_cmp_lt_u32_e32 vcc_lo, 0x7f800000, v9
	s_delay_alu instid0(VALU_DEP_2)
	v_cndmask_b32_e32 v6, 0x7c, v6, vcc_lo
; %bb.141:
	s_or_b32 exec_lo, exec_lo, s2
	v_lshrrev_b32_e32 v0, 24, v0
	s_delay_alu instid0(VALU_DEP_1)
	v_and_or_b32 v0, 0x80, v0, v6
	global_store_b8 v[3:4], v0, off
.LBB449_142:
	s_mov_b32 s2, 0
	s_mov_b32 s25, -1
.LBB449_143:
	s_and_not1_b32 vcc_lo, exec_lo, s2
	s_cbranch_vccnz .LBB449_151
; %bb.144:
	v_cmp_lt_i16_e32 vcc_lo, 14, v5
	s_mov_b32 s2, -1
	s_cbranch_vccz .LBB449_148
; %bb.145:
	v_cmp_eq_u16_e32 vcc_lo, 15, v5
	s_mov_b32 s3, -1
	s_cbranch_vccz .LBB449_147
; %bb.146:
	v_xor_b32_e32 v0, v1, v2
	v_cls_i32_e32 v6, v2
	s_mov_b32 s25, -1
	s_mov_b32 s3, 0
	s_delay_alu instid0(VALU_DEP_2) | instskip(NEXT) | instid1(VALU_DEP_2)
	v_ashrrev_i32_e32 v0, 31, v0
	v_add_nc_u32_e32 v6, -1, v6
	s_delay_alu instid0(VALU_DEP_2) | instskip(NEXT) | instid1(VALU_DEP_1)
	v_add_nc_u32_e32 v0, 32, v0
	v_min_u32_e32 v0, v6, v0
	s_delay_alu instid0(VALU_DEP_1) | instskip(SKIP_1) | instid1(VALU_DEP_2)
	v_lshlrev_b64 v[9:10], v0, v[1:2]
	v_sub_nc_u32_e32 v0, 32, v0
	v_min_u32_e32 v6, 1, v9
	s_delay_alu instid0(VALU_DEP_1) | instskip(NEXT) | instid1(VALU_DEP_1)
	v_or_b32_e32 v6, v10, v6
	v_cvt_f32_i32_e32 v6, v6
	s_delay_alu instid0(VALU_DEP_1) | instskip(NEXT) | instid1(VALU_DEP_1)
	v_ldexp_f32 v0, v6, v0
	v_bfe_u32 v6, v0, 16, 1
	s_delay_alu instid0(VALU_DEP_1)
	v_add3_u32 v0, v0, v6, 0x7fff
	global_store_d16_hi_b16 v[3:4], v0, off
.LBB449_147:
	s_mov_b32 s2, 0
.LBB449_148:
	s_delay_alu instid0(SALU_CYCLE_1)
	s_and_b32 vcc_lo, exec_lo, s2
	s_cbranch_vccz .LBB449_151
; %bb.149:
	v_cmp_eq_u16_e32 vcc_lo, 11, v5
	s_mov_b32 s3, -1
	s_cbranch_vccz .LBB449_151
; %bb.150:
	v_cmp_ne_u64_e32 vcc_lo, 0, v[1:2]
	s_mov_b32 s25, -1
	s_mov_b32 s3, 0
	v_cndmask_b32_e64 v0, 0, 1, vcc_lo
	global_store_b8 v[3:4], v0, off
.LBB449_151:
.LBB449_152:
	s_and_not1_b32 vcc_lo, exec_lo, s25
	s_cbranch_vccnz .LBB449_259
.LBB449_153:
	v_add_nc_u32_e32 v8, 0x80, v8
	s_mov_b32 s2, -1
	s_branch .LBB449_260
.LBB449_154:
	s_mov_b32 s24, -1
                                        ; implicit-def: $vgpr3_vgpr4
.LBB449_155:
	s_mov_b32 s3, 0
.LBB449_156:
	s_delay_alu instid0(SALU_CYCLE_1)
	s_and_b32 vcc_lo, exec_lo, s3
	s_cbranch_vccz .LBB449_160
; %bb.157:
	v_cmp_eq_u16_e32 vcc_lo, 29, v7
	s_cbranch_vccz .LBB449_159
; %bb.158:
	global_load_b64 v[3:4], v[1:2], off
	s_mov_b32 s2, -1
	s_mov_b32 s24, 0
	s_branch .LBB449_160
.LBB449_159:
	s_mov_b32 s24, -1
                                        ; implicit-def: $vgpr3_vgpr4
.LBB449_160:
	s_mov_b32 s3, 0
.LBB449_161:
	s_delay_alu instid0(SALU_CYCLE_1)
	s_and_b32 vcc_lo, exec_lo, s3
	s_cbranch_vccz .LBB449_179
; %bb.162:
	v_cmp_gt_i16_e32 vcc_lo, 27, v7
	s_cbranch_vccnz .LBB449_165
; %bb.163:
	v_cmp_lt_i16_e32 vcc_lo, 27, v7
	s_cbranch_vccz .LBB449_166
; %bb.164:
	global_load_b32 v3, v[1:2], off
	s_waitcnt vmcnt(1)
	v_mov_b32_e32 v4, 0
	s_mov_b32 s2, 0
	s_branch .LBB449_167
.LBB449_165:
	s_mov_b32 s2, -1
                                        ; implicit-def: $vgpr3_vgpr4
	s_branch .LBB449_170
.LBB449_166:
	s_mov_b32 s2, -1
                                        ; implicit-def: $vgpr3_vgpr4
.LBB449_167:
	s_delay_alu instid0(SALU_CYCLE_1)
	s_and_not1_b32 vcc_lo, exec_lo, s2
	s_cbranch_vccnz .LBB449_169
; %bb.168:
	global_load_u16 v3, v[1:2], off
	s_mov_b32 s2, 0
	s_waitcnt vmcnt(0)
	v_dual_mov_b32 v4, s2 :: v_dual_and_b32 v3, 0xffff, v3
.LBB449_169:
	s_mov_b32 s2, 0
.LBB449_170:
	s_delay_alu instid0(SALU_CYCLE_1)
	s_and_not1_b32 vcc_lo, exec_lo, s2
	s_cbranch_vccnz .LBB449_178
; %bb.171:
	global_load_u8 v5, v[1:2], off
	s_mov_b32 s25, 0
	s_mov_b32 s37, exec_lo
                                        ; implicit-def: $sgpr2_sgpr3
	s_waitcnt vmcnt(0)
	v_cmpx_lt_i16_e32 0x7f, v5
	s_xor_b32 s37, exec_lo, s37
; %bb.172:
	v_cmp_ne_u16_e32 vcc_lo, 0x80, v5
	s_mov_b64 s[2:3], 0
	s_and_b32 s25, vcc_lo, exec_lo
; %bb.173:
	s_or_saveexec_b32 s37, s37
	v_dual_mov_b32 v4, s3 :: v_dual_mov_b32 v3, s2
	s_xor_b32 exec_lo, exec_lo, s37
; %bb.174:
	v_cmp_ne_u16_e32 vcc_lo, 0, v5
	v_mov_b32_e32 v3, 0
	v_mov_b32_e32 v4, 0
	s_and_not1_b32 s2, s25, exec_lo
	s_and_b32 s3, vcc_lo, exec_lo
	s_delay_alu instid0(SALU_CYCLE_1)
	s_or_b32 s25, s2, s3
; %bb.175:
	s_or_b32 exec_lo, exec_lo, s37
	s_and_saveexec_b32 s2, s25
	s_cbranch_execz .LBB449_177
; %bb.176:
	v_and_b32_e32 v3, 0xffff, v5
	v_lshlrev_b32_e32 v5, 24, v5
	s_delay_alu instid0(VALU_DEP_2) | instskip(NEXT) | instid1(VALU_DEP_2)
	v_and_b32_e32 v4, 7, v3
	v_and_b32_e32 v5, 0x80000000, v5
	s_delay_alu instid0(VALU_DEP_2) | instskip(NEXT) | instid1(VALU_DEP_1)
	v_clz_i32_u32_e32 v6, v4
	v_min_u32_e32 v6, 32, v6
	s_delay_alu instid0(VALU_DEP_1) | instskip(SKIP_1) | instid1(VALU_DEP_2)
	v_subrev_nc_u32_e32 v9, 28, v6
	v_sub_nc_u32_e32 v6, 29, v6
	v_lshlrev_b32_e32 v9, v9, v3
	v_bfe_u32 v3, v3, 3, 4
	s_delay_alu instid0(VALU_DEP_2) | instskip(NEXT) | instid1(VALU_DEP_2)
	v_and_b32_e32 v9, 7, v9
	v_cmp_eq_u32_e32 vcc_lo, 0, v3
	s_delay_alu instid0(VALU_DEP_2) | instskip(NEXT) | instid1(VALU_DEP_1)
	v_dual_cndmask_b32 v3, v3, v6 :: v_dual_cndmask_b32 v4, v4, v9
	v_lshl_add_u32 v3, v3, 23, 0x3b800000
	s_delay_alu instid0(VALU_DEP_2) | instskip(NEXT) | instid1(VALU_DEP_1)
	v_lshlrev_b32_e32 v4, 20, v4
	v_or3_b32 v3, v5, v3, v4
	s_delay_alu instid0(VALU_DEP_1) | instskip(NEXT) | instid1(VALU_DEP_1)
	v_trunc_f32_e32 v3, v3
	v_mul_f32_e64 v4, 0x2f800000, |v3|
	v_ashrrev_i32_e32 v6, 31, v3
	s_delay_alu instid0(VALU_DEP_2) | instskip(NEXT) | instid1(VALU_DEP_1)
	v_floor_f32_e32 v4, v4
	v_fma_f32 v5, 0xcf800000, v4, |v3|
	v_cvt_u32_f32_e32 v4, v4
	s_delay_alu instid0(VALU_DEP_2) | instskip(NEXT) | instid1(VALU_DEP_2)
	v_cvt_u32_f32_e32 v3, v5
	v_xor_b32_e32 v4, v4, v6
	s_delay_alu instid0(VALU_DEP_2) | instskip(NEXT) | instid1(VALU_DEP_1)
	v_xor_b32_e32 v3, v3, v6
	v_sub_co_u32 v3, vcc_lo, v3, v6
	s_delay_alu instid0(VALU_DEP_3)
	v_sub_co_ci_u32_e32 v4, vcc_lo, v4, v6, vcc_lo
.LBB449_177:
	s_or_b32 exec_lo, exec_lo, s2
.LBB449_178:
	s_mov_b32 s2, -1
.LBB449_179:
	s_branch .LBB449_210
.LBB449_180:
	v_cmp_lt_i16_e32 vcc_lo, 22, v7
	s_cbranch_vccz .LBB449_190
; %bb.181:
	v_cmp_gt_i16_e32 vcc_lo, 24, v7
	s_cbranch_vccnz .LBB449_191
; %bb.182:
	v_cmp_lt_i16_e32 vcc_lo, 24, v7
	s_cbranch_vccz .LBB449_192
; %bb.183:
	global_load_u8 v5, v[1:2], off
	s_mov_b32 s25, 0
	s_mov_b32 s37, exec_lo
                                        ; implicit-def: $sgpr2_sgpr3
	s_waitcnt vmcnt(0)
	v_cmpx_lt_i16_e32 0x7f, v5
	s_xor_b32 s37, exec_lo, s37
; %bb.184:
	v_cmp_ne_u16_e32 vcc_lo, 0x80, v5
	s_mov_b64 s[2:3], 0
	s_and_b32 s25, vcc_lo, exec_lo
; %bb.185:
	s_or_saveexec_b32 s37, s37
	v_dual_mov_b32 v4, s3 :: v_dual_mov_b32 v3, s2
	s_xor_b32 exec_lo, exec_lo, s37
; %bb.186:
	v_cmp_ne_u16_e32 vcc_lo, 0, v5
	v_mov_b32_e32 v3, 0
	v_mov_b32_e32 v4, 0
	s_and_not1_b32 s2, s25, exec_lo
	s_and_b32 s3, vcc_lo, exec_lo
	s_delay_alu instid0(SALU_CYCLE_1)
	s_or_b32 s25, s2, s3
; %bb.187:
	s_or_b32 exec_lo, exec_lo, s37
	s_and_saveexec_b32 s2, s25
	s_cbranch_execz .LBB449_189
; %bb.188:
	v_and_b32_e32 v3, 0xffff, v5
	v_lshlrev_b32_e32 v5, 24, v5
	s_delay_alu instid0(VALU_DEP_2) | instskip(NEXT) | instid1(VALU_DEP_2)
	v_and_b32_e32 v4, 3, v3
	v_and_b32_e32 v5, 0x80000000, v5
	s_delay_alu instid0(VALU_DEP_2) | instskip(NEXT) | instid1(VALU_DEP_1)
	v_clz_i32_u32_e32 v6, v4
	v_min_u32_e32 v6, 32, v6
	s_delay_alu instid0(VALU_DEP_1) | instskip(SKIP_1) | instid1(VALU_DEP_2)
	v_subrev_nc_u32_e32 v9, 29, v6
	v_sub_nc_u32_e32 v6, 30, v6
	v_lshlrev_b32_e32 v9, v9, v3
	v_bfe_u32 v3, v3, 2, 5
	s_delay_alu instid0(VALU_DEP_2) | instskip(NEXT) | instid1(VALU_DEP_2)
	v_and_b32_e32 v9, 3, v9
	v_cmp_eq_u32_e32 vcc_lo, 0, v3
	s_delay_alu instid0(VALU_DEP_2) | instskip(NEXT) | instid1(VALU_DEP_1)
	v_dual_cndmask_b32 v3, v3, v6 :: v_dual_cndmask_b32 v4, v4, v9
	v_lshl_add_u32 v3, v3, 23, 0x37800000
	s_delay_alu instid0(VALU_DEP_2) | instskip(NEXT) | instid1(VALU_DEP_1)
	v_lshlrev_b32_e32 v4, 21, v4
	v_or3_b32 v3, v5, v3, v4
	s_delay_alu instid0(VALU_DEP_1) | instskip(NEXT) | instid1(VALU_DEP_1)
	v_trunc_f32_e32 v3, v3
	v_mul_f32_e64 v4, 0x2f800000, |v3|
	v_ashrrev_i32_e32 v6, 31, v3
	s_delay_alu instid0(VALU_DEP_2) | instskip(NEXT) | instid1(VALU_DEP_1)
	v_floor_f32_e32 v4, v4
	v_fma_f32 v5, 0xcf800000, v4, |v3|
	v_cvt_u32_f32_e32 v4, v4
	s_delay_alu instid0(VALU_DEP_2) | instskip(NEXT) | instid1(VALU_DEP_2)
	v_cvt_u32_f32_e32 v3, v5
	v_xor_b32_e32 v4, v4, v6
	s_delay_alu instid0(VALU_DEP_2) | instskip(NEXT) | instid1(VALU_DEP_1)
	v_xor_b32_e32 v3, v3, v6
	v_sub_co_u32 v3, vcc_lo, v3, v6
	s_delay_alu instid0(VALU_DEP_3)
	v_sub_co_ci_u32_e32 v4, vcc_lo, v4, v6, vcc_lo
.LBB449_189:
	s_or_b32 exec_lo, exec_lo, s2
	s_mov_b32 s2, 0
	s_branch .LBB449_193
.LBB449_190:
	s_mov_b32 s3, -1
                                        ; implicit-def: $vgpr3_vgpr4
	s_branch .LBB449_199
.LBB449_191:
	s_mov_b32 s2, -1
                                        ; implicit-def: $vgpr3_vgpr4
	s_branch .LBB449_196
.LBB449_192:
	s_mov_b32 s2, -1
                                        ; implicit-def: $vgpr3_vgpr4
.LBB449_193:
	s_delay_alu instid0(SALU_CYCLE_1)
	s_and_b32 vcc_lo, exec_lo, s2
	s_cbranch_vccz .LBB449_195
; %bb.194:
	global_load_u8 v3, v[1:2], off
	s_waitcnt vmcnt(0)
	v_lshlrev_b32_e32 v3, 24, v3
	s_delay_alu instid0(VALU_DEP_1) | instskip(NEXT) | instid1(VALU_DEP_1)
	v_and_b32_e32 v4, 0x7f000000, v3
	v_clz_i32_u32_e32 v5, v4
	v_add_nc_u32_e32 v9, 0x1000000, v4
	v_cmp_ne_u32_e32 vcc_lo, 0, v4
	s_delay_alu instid0(VALU_DEP_3) | instskip(NEXT) | instid1(VALU_DEP_1)
	v_min_u32_e32 v5, 32, v5
	v_sub_nc_u32_e64 v5, v5, 4 clamp
	s_delay_alu instid0(VALU_DEP_1) | instskip(SKIP_1) | instid1(VALU_DEP_2)
	v_lshlrev_b32_e32 v6, v5, v4
	v_lshlrev_b32_e32 v5, 23, v5
	v_lshrrev_b32_e32 v6, 4, v6
	s_delay_alu instid0(VALU_DEP_1) | instskip(SKIP_1) | instid1(VALU_DEP_2)
	v_sub_nc_u32_e32 v5, v6, v5
	v_ashrrev_i32_e32 v6, 8, v9
	v_add_nc_u32_e32 v5, 0x3c000000, v5
	s_delay_alu instid0(VALU_DEP_1) | instskip(NEXT) | instid1(VALU_DEP_1)
	v_and_or_b32 v5, 0x7f800000, v6, v5
	v_cndmask_b32_e32 v4, 0, v5, vcc_lo
	s_delay_alu instid0(VALU_DEP_1) | instskip(NEXT) | instid1(VALU_DEP_1)
	v_and_or_b32 v3, 0x80000000, v3, v4
	v_trunc_f32_e32 v3, v3
	s_delay_alu instid0(VALU_DEP_1) | instskip(SKIP_1) | instid1(VALU_DEP_2)
	v_mul_f32_e64 v4, 0x2f800000, |v3|
	v_ashrrev_i32_e32 v6, 31, v3
	v_floor_f32_e32 v4, v4
	s_delay_alu instid0(VALU_DEP_1) | instskip(SKIP_1) | instid1(VALU_DEP_2)
	v_fma_f32 v5, 0xcf800000, v4, |v3|
	v_cvt_u32_f32_e32 v4, v4
	v_cvt_u32_f32_e32 v3, v5
	s_delay_alu instid0(VALU_DEP_2) | instskip(NEXT) | instid1(VALU_DEP_2)
	v_xor_b32_e32 v4, v4, v6
	v_xor_b32_e32 v3, v3, v6
	s_delay_alu instid0(VALU_DEP_1) | instskip(NEXT) | instid1(VALU_DEP_3)
	v_sub_co_u32 v3, vcc_lo, v3, v6
	v_sub_co_ci_u32_e32 v4, vcc_lo, v4, v6, vcc_lo
.LBB449_195:
	s_mov_b32 s2, 0
.LBB449_196:
	s_delay_alu instid0(SALU_CYCLE_1)
	s_and_not1_b32 vcc_lo, exec_lo, s2
	s_cbranch_vccnz .LBB449_198
; %bb.197:
	global_load_u8 v3, v[1:2], off
	s_waitcnt vmcnt(0)
	v_lshlrev_b32_e32 v4, 25, v3
	v_lshlrev_b16 v3, 8, v3
	s_delay_alu instid0(VALU_DEP_2) | instskip(NEXT) | instid1(VALU_DEP_2)
	v_lshrrev_b32_e32 v5, 4, v4
	v_and_or_b32 v6, 0x7f00, v3, 0.5
	v_bfe_i32 v3, v3, 0, 16
	s_delay_alu instid0(VALU_DEP_3) | instskip(NEXT) | instid1(VALU_DEP_1)
	v_or_b32_e32 v5, 0x70000000, v5
	v_dual_add_f32 v6, -0.5, v6 :: v_dual_mul_f32 v5, 0x7800000, v5
	v_cmp_gt_u32_e32 vcc_lo, 0x8000000, v4
	s_delay_alu instid0(VALU_DEP_2) | instskip(NEXT) | instid1(VALU_DEP_1)
	v_cndmask_b32_e32 v4, v5, v6, vcc_lo
	v_and_or_b32 v3, 0x80000000, v3, v4
	s_delay_alu instid0(VALU_DEP_1) | instskip(NEXT) | instid1(VALU_DEP_1)
	v_trunc_f32_e32 v3, v3
	v_mul_f32_e64 v4, 0x2f800000, |v3|
	v_ashrrev_i32_e32 v6, 31, v3
	s_delay_alu instid0(VALU_DEP_2) | instskip(NEXT) | instid1(VALU_DEP_1)
	v_floor_f32_e32 v4, v4
	v_fma_f32 v5, 0xcf800000, v4, |v3|
	v_cvt_u32_f32_e32 v4, v4
	s_delay_alu instid0(VALU_DEP_2) | instskip(NEXT) | instid1(VALU_DEP_2)
	v_cvt_u32_f32_e32 v3, v5
	v_xor_b32_e32 v4, v4, v6
	s_delay_alu instid0(VALU_DEP_2) | instskip(NEXT) | instid1(VALU_DEP_1)
	v_xor_b32_e32 v3, v3, v6
	v_sub_co_u32 v3, vcc_lo, v3, v6
	s_delay_alu instid0(VALU_DEP_3)
	v_sub_co_ci_u32_e32 v4, vcc_lo, v4, v6, vcc_lo
.LBB449_198:
	s_mov_b32 s3, 0
	s_mov_b32 s2, -1
.LBB449_199:
	s_and_not1_b32 vcc_lo, exec_lo, s3
	s_cbranch_vccnz .LBB449_210
; %bb.200:
	v_cmp_lt_i16_e32 vcc_lo, 14, v7
	s_cbranch_vccz .LBB449_203
; %bb.201:
	v_cmp_eq_u16_e32 vcc_lo, 15, v7
	s_cbranch_vccz .LBB449_204
; %bb.202:
	global_load_u16 v3, v[1:2], off
	s_mov_b32 s2, -1
	s_mov_b32 s24, 0
	s_waitcnt vmcnt(0)
	v_lshlrev_b32_e32 v3, 16, v3
	s_delay_alu instid0(VALU_DEP_1) | instskip(NEXT) | instid1(VALU_DEP_1)
	v_trunc_f32_e32 v3, v3
	v_mul_f32_e64 v4, 0x2f800000, |v3|
	v_ashrrev_i32_e32 v6, 31, v3
	s_delay_alu instid0(VALU_DEP_2) | instskip(NEXT) | instid1(VALU_DEP_1)
	v_floor_f32_e32 v4, v4
	v_fma_f32 v5, 0xcf800000, v4, |v3|
	v_cvt_u32_f32_e32 v4, v4
	s_delay_alu instid0(VALU_DEP_2) | instskip(NEXT) | instid1(VALU_DEP_2)
	v_cvt_u32_f32_e32 v3, v5
	v_xor_b32_e32 v4, v4, v6
	s_delay_alu instid0(VALU_DEP_2) | instskip(NEXT) | instid1(VALU_DEP_1)
	v_xor_b32_e32 v3, v3, v6
	v_sub_co_u32 v3, vcc_lo, v3, v6
	s_delay_alu instid0(VALU_DEP_3)
	v_sub_co_ci_u32_e32 v4, vcc_lo, v4, v6, vcc_lo
	s_branch .LBB449_205
.LBB449_203:
	s_mov_b32 s3, -1
                                        ; implicit-def: $vgpr3_vgpr4
	s_branch .LBB449_206
.LBB449_204:
	s_mov_b32 s24, -1
                                        ; implicit-def: $vgpr3_vgpr4
.LBB449_205:
	s_mov_b32 s3, 0
.LBB449_206:
	s_delay_alu instid0(SALU_CYCLE_1)
	s_and_b32 vcc_lo, exec_lo, s3
	s_cbranch_vccz .LBB449_210
; %bb.207:
	v_cmp_eq_u16_e32 vcc_lo, 11, v7
	s_cbranch_vccz .LBB449_209
; %bb.208:
	global_load_u8 v3, v[1:2], off
	s_mov_b32 s24, 0
	s_mov_b32 s2, -1
	s_waitcnt vmcnt(1)
	v_mov_b32_e32 v4, s24
	s_waitcnt vmcnt(0)
	v_cmp_ne_u16_e32 vcc_lo, 0, v3
	v_cndmask_b32_e64 v3, 0, 1, vcc_lo
	s_branch .LBB449_210
.LBB449_209:
	s_mov_b32 s24, -1
                                        ; implicit-def: $vgpr3_vgpr4
.LBB449_210:
	s_branch .LBB449_23
.LBB449_211:
	v_cmp_gt_i16_e32 vcc_lo, 5, v7
	s_cbranch_vccnz .LBB449_216
; %bb.212:
	v_cmp_gt_i16_e32 vcc_lo, 8, v7
	s_cbranch_vccnz .LBB449_217
; %bb.213:
	;; [unrolled: 3-line block ×3, first 2 shown]
	v_cmp_lt_i16_e32 vcc_lo, 9, v7
	s_cbranch_vccz .LBB449_219
; %bb.215:
	global_load_b64 v[3:4], v[1:2], off
	s_mov_b32 s2, 0
	s_waitcnt vmcnt(0)
	v_trunc_f64_e32 v[3:4], v[3:4]
	s_delay_alu instid0(VALU_DEP_1) | instskip(NEXT) | instid1(VALU_DEP_1)
	v_ldexp_f64 v[5:6], v[3:4], 0xffffffe0
	v_floor_f64_e32 v[5:6], v[5:6]
	s_delay_alu instid0(VALU_DEP_1) | instskip(SKIP_1) | instid1(VALU_DEP_2)
	v_fma_f64 v[9:10], 0xc1f00000, v[5:6], v[3:4]
	v_cvt_i32_f64_e32 v4, v[5:6]
	v_cvt_u32_f64_e32 v3, v[9:10]
	s_branch .LBB449_220
.LBB449_216:
                                        ; implicit-def: $vgpr3_vgpr4
	s_branch .LBB449_238
.LBB449_217:
	s_mov_b32 s2, -1
                                        ; implicit-def: $vgpr3_vgpr4
	s_branch .LBB449_226
.LBB449_218:
	s_mov_b32 s2, -1
                                        ; implicit-def: $vgpr3_vgpr4
	s_branch .LBB449_223
.LBB449_219:
	s_mov_b32 s2, -1
                                        ; implicit-def: $vgpr3_vgpr4
.LBB449_220:
	s_delay_alu instid0(SALU_CYCLE_1)
	s_and_not1_b32 vcc_lo, exec_lo, s2
	s_cbranch_vccnz .LBB449_222
; %bb.221:
	global_load_b32 v3, v[1:2], off
	s_waitcnt vmcnt(0)
	v_trunc_f32_e32 v3, v3
	s_delay_alu instid0(VALU_DEP_1) | instskip(SKIP_1) | instid1(VALU_DEP_2)
	v_mul_f32_e64 v4, 0x2f800000, |v3|
	v_ashrrev_i32_e32 v6, 31, v3
	v_floor_f32_e32 v4, v4
	s_delay_alu instid0(VALU_DEP_1) | instskip(SKIP_1) | instid1(VALU_DEP_2)
	v_fma_f32 v5, 0xcf800000, v4, |v3|
	v_cvt_u32_f32_e32 v4, v4
	v_cvt_u32_f32_e32 v3, v5
	s_delay_alu instid0(VALU_DEP_2) | instskip(NEXT) | instid1(VALU_DEP_2)
	v_xor_b32_e32 v4, v4, v6
	v_xor_b32_e32 v3, v3, v6
	s_delay_alu instid0(VALU_DEP_1) | instskip(NEXT) | instid1(VALU_DEP_3)
	v_sub_co_u32 v3, vcc_lo, v3, v6
	v_sub_co_ci_u32_e32 v4, vcc_lo, v4, v6, vcc_lo
.LBB449_222:
	s_mov_b32 s2, 0
.LBB449_223:
	s_delay_alu instid0(SALU_CYCLE_1)
	s_and_not1_b32 vcc_lo, exec_lo, s2
	s_cbranch_vccnz .LBB449_225
; %bb.224:
	global_load_b32 v3, v[1:2], off
	s_waitcnt vmcnt(0)
	v_cvt_f32_f16_e32 v3, v3
	s_delay_alu instid0(VALU_DEP_1) | instskip(NEXT) | instid1(VALU_DEP_1)
	v_cvt_i32_f32_e32 v3, v3
	v_ashrrev_i32_e32 v4, 31, v3
.LBB449_225:
	s_mov_b32 s2, 0
.LBB449_226:
	s_delay_alu instid0(SALU_CYCLE_1)
	s_and_not1_b32 vcc_lo, exec_lo, s2
	s_cbranch_vccnz .LBB449_237
; %bb.227:
	v_cmp_gt_i16_e32 vcc_lo, 6, v7
	s_cbranch_vccnz .LBB449_230
; %bb.228:
	v_cmp_lt_i16_e32 vcc_lo, 6, v7
	s_cbranch_vccz .LBB449_231
; %bb.229:
	global_load_b64 v[3:4], v[1:2], off
	s_mov_b32 s2, 0
	s_waitcnt vmcnt(0)
	v_trunc_f64_e32 v[3:4], v[3:4]
	s_delay_alu instid0(VALU_DEP_1) | instskip(NEXT) | instid1(VALU_DEP_1)
	v_ldexp_f64 v[5:6], v[3:4], 0xffffffe0
	v_floor_f64_e32 v[5:6], v[5:6]
	s_delay_alu instid0(VALU_DEP_1) | instskip(SKIP_1) | instid1(VALU_DEP_2)
	v_fma_f64 v[9:10], 0xc1f00000, v[5:6], v[3:4]
	v_cvt_i32_f64_e32 v4, v[5:6]
	v_cvt_u32_f64_e32 v3, v[9:10]
	s_branch .LBB449_232
.LBB449_230:
	s_mov_b32 s2, -1
                                        ; implicit-def: $vgpr3_vgpr4
	s_branch .LBB449_235
.LBB449_231:
	s_mov_b32 s2, -1
                                        ; implicit-def: $vgpr3_vgpr4
.LBB449_232:
	s_delay_alu instid0(SALU_CYCLE_1)
	s_and_not1_b32 vcc_lo, exec_lo, s2
	s_cbranch_vccnz .LBB449_234
; %bb.233:
	global_load_b32 v3, v[1:2], off
	s_waitcnt vmcnt(0)
	v_trunc_f32_e32 v3, v3
	s_delay_alu instid0(VALU_DEP_1) | instskip(SKIP_1) | instid1(VALU_DEP_2)
	v_mul_f32_e64 v4, 0x2f800000, |v3|
	v_ashrrev_i32_e32 v6, 31, v3
	v_floor_f32_e32 v4, v4
	s_delay_alu instid0(VALU_DEP_1) | instskip(SKIP_1) | instid1(VALU_DEP_2)
	v_fma_f32 v5, 0xcf800000, v4, |v3|
	v_cvt_u32_f32_e32 v4, v4
	v_cvt_u32_f32_e32 v3, v5
	s_delay_alu instid0(VALU_DEP_2) | instskip(NEXT) | instid1(VALU_DEP_2)
	v_xor_b32_e32 v4, v4, v6
	v_xor_b32_e32 v3, v3, v6
	s_delay_alu instid0(VALU_DEP_1) | instskip(NEXT) | instid1(VALU_DEP_3)
	v_sub_co_u32 v3, vcc_lo, v3, v6
	v_sub_co_ci_u32_e32 v4, vcc_lo, v4, v6, vcc_lo
.LBB449_234:
	s_mov_b32 s2, 0
.LBB449_235:
	s_delay_alu instid0(SALU_CYCLE_1)
	s_and_not1_b32 vcc_lo, exec_lo, s2
	s_cbranch_vccnz .LBB449_237
; %bb.236:
	global_load_u16 v3, v[1:2], off
	s_waitcnt vmcnt(0)
	v_cvt_f32_f16_e32 v3, v3
	s_delay_alu instid0(VALU_DEP_1) | instskip(NEXT) | instid1(VALU_DEP_1)
	v_cvt_i32_f32_e32 v3, v3
	v_ashrrev_i32_e32 v4, 31, v3
.LBB449_237:
	s_cbranch_execnz .LBB449_257
.LBB449_238:
	v_cmp_gt_i16_e32 vcc_lo, 2, v7
	s_cbranch_vccnz .LBB449_242
; %bb.239:
	v_cmp_gt_i16_e32 vcc_lo, 3, v7
	s_cbranch_vccnz .LBB449_243
; %bb.240:
	v_cmp_lt_i16_e32 vcc_lo, 3, v7
	s_cbranch_vccz .LBB449_244
; %bb.241:
	global_load_b64 v[3:4], v[1:2], off
	s_mov_b32 s2, 0
	s_branch .LBB449_245
.LBB449_242:
	s_mov_b32 s2, -1
                                        ; implicit-def: $vgpr3_vgpr4
	s_branch .LBB449_251
.LBB449_243:
	s_mov_b32 s2, -1
                                        ; implicit-def: $vgpr3_vgpr4
	s_branch .LBB449_248
.LBB449_244:
	s_mov_b32 s2, -1
                                        ; implicit-def: $vgpr3_vgpr4
.LBB449_245:
	s_delay_alu instid0(SALU_CYCLE_1)
	s_and_not1_b32 vcc_lo, exec_lo, s2
	s_cbranch_vccnz .LBB449_247
; %bb.246:
	global_load_b32 v3, v[1:2], off
	s_waitcnt vmcnt(0)
	v_ashrrev_i32_e32 v4, 31, v3
.LBB449_247:
	s_mov_b32 s2, 0
.LBB449_248:
	s_delay_alu instid0(SALU_CYCLE_1)
	s_and_not1_b32 vcc_lo, exec_lo, s2
	s_cbranch_vccnz .LBB449_250
; %bb.249:
	global_load_u16 v3, v[1:2], off
	s_waitcnt vmcnt(0)
	v_bfe_i32 v3, v3, 0, 16
	s_delay_alu instid0(VALU_DEP_1)
	v_ashrrev_i32_e32 v4, 31, v3
.LBB449_250:
	s_mov_b32 s2, 0
.LBB449_251:
	s_delay_alu instid0(SALU_CYCLE_1)
	s_and_not1_b32 vcc_lo, exec_lo, s2
	s_cbranch_vccnz .LBB449_257
; %bb.252:
	v_cmp_lt_i16_e32 vcc_lo, 0, v7
	s_mov_b32 s2, 0
	s_cbranch_vccz .LBB449_254
; %bb.253:
	global_load_i8 v3, v[1:2], off
	s_waitcnt vmcnt(0)
	v_bfe_i32 v3, v3, 0, 16
	s_delay_alu instid0(VALU_DEP_1)
	v_ashrrev_i32_e32 v4, 31, v3
	s_branch .LBB449_255
.LBB449_254:
	s_mov_b32 s2, -1
                                        ; implicit-def: $vgpr3_vgpr4
.LBB449_255:
	s_delay_alu instid0(SALU_CYCLE_1)
	s_and_not1_b32 vcc_lo, exec_lo, s2
	s_cbranch_vccnz .LBB449_257
; %bb.256:
	global_load_u8 v1, v[1:2], off
	s_mov_b32 s2, 0
	s_waitcnt vmcnt(0)
	v_dual_mov_b32 v4, s2 :: v_dual_and_b32 v3, 0xffff, v1
.LBB449_257:
	s_branch .LBB449_24
.LBB449_258:
	s_mov_b32 s3, 0
.LBB449_259:
	s_mov_b32 s2, 0
                                        ; implicit-def: $vgpr8
.LBB449_260:
	s_and_b32 s37, s3, exec_lo
	s_and_b32 s38, s24, exec_lo
	s_or_not1_b32 s3, s2, exec_lo
.LBB449_261:
	s_or_b32 exec_lo, exec_lo, s39
	s_mov_b32 s24, 0
	s_mov_b32 s2, 0
                                        ; implicit-def: $vgpr1_vgpr2
                                        ; implicit-def: $vgpr0
                                        ; implicit-def: $vgpr5_vgpr6
	s_and_saveexec_b32 s39, s3
	s_cbranch_execz .LBB449_894
; %bb.262:
	s_mov_b32 s2, -1
	s_mov_b32 s40, s38
	s_mov_b32 s41, s37
	s_mov_b32 s42, exec_lo
	v_cmpx_gt_i32_e64 s34, v8
	s_cbranch_execz .LBB449_529
; %bb.263:
	s_and_not1_b32 vcc_lo, exec_lo, s29
	s_cbranch_vccnz .LBB449_268
; %bb.264:
	v_dual_mov_b32 v0, 0 :: v_dual_mov_b32 v1, 0
	s_and_not1_b32 vcc_lo, exec_lo, s36
	s_mov_b32 s40, 0
	s_cbranch_vccnz .LBB449_273
; %bb.265:
	v_mov_b32_e32 v0, 0
	s_add_i32 s43, s35, 1
	s_cmp_eq_u32 s27, 2
	s_mov_b32 s41, 0
	s_cbranch_scc1 .LBB449_269
; %bb.266:
	v_dual_mov_b32 v1, 0 :: v_dual_mov_b32 v0, 0
	v_mov_b32_e32 v2, v8
	s_and_b32 s41, s43, 28
	s_mov_b32 s44, 0
	s_mov_b64 s[2:3], s[22:23]
	s_mov_b64 s[24:25], s[16:17]
.LBB449_267:                            ; =>This Inner Loop Header: Depth=1
	s_clause 0x1
	s_load_b256 s[48:55], s[24:25], 0x4
	s_load_b128 s[64:67], s[24:25], 0x24
	s_load_b256 s[56:63], s[2:3], 0x0
	s_add_u32 s24, s24, 48
	s_addc_u32 s25, s25, 0
	s_add_i32 s44, s44, 4
	s_add_u32 s2, s2, 32
	s_addc_u32 s3, s3, 0
	s_cmp_eq_u32 s41, s44
	s_waitcnt vmcnt(0) lgkmcnt(0)
	v_mul_hi_u32 v3, s49, v2
	s_delay_alu instid0(VALU_DEP_1) | instskip(NEXT) | instid1(VALU_DEP_1)
	v_add_nc_u32_e32 v3, v2, v3
	v_lshrrev_b32_e32 v3, s50, v3
	s_delay_alu instid0(VALU_DEP_1) | instskip(SKIP_1) | instid1(VALU_DEP_2)
	v_mul_hi_u32 v4, s52, v3
	v_mul_lo_u32 v6, v3, s48
	v_add_nc_u32_e32 v4, v3, v4
	s_delay_alu instid0(VALU_DEP_2) | instskip(NEXT) | instid1(VALU_DEP_2)
	v_sub_nc_u32_e32 v2, v2, v6
	v_lshrrev_b32_e32 v4, s53, v4
	s_delay_alu instid0(VALU_DEP_2) | instskip(SKIP_1) | instid1(VALU_DEP_3)
	v_mul_lo_u32 v6, v2, s56
	v_mul_lo_u32 v10, v2, s57
	v_mul_hi_u32 v5, s55, v4
	s_delay_alu instid0(VALU_DEP_1) | instskip(NEXT) | instid1(VALU_DEP_1)
	v_add_nc_u32_e32 v5, v4, v5
	v_lshrrev_b32_e32 v5, s64, v5
	s_delay_alu instid0(VALU_DEP_1) | instskip(SKIP_1) | instid1(VALU_DEP_2)
	v_mul_hi_u32 v9, s66, v5
	v_mul_lo_u32 v11, v5, s54
	v_add_nc_u32_e32 v2, v5, v9
	v_mul_lo_u32 v9, v4, s51
	s_delay_alu instid0(VALU_DEP_3) | instskip(NEXT) | instid1(VALU_DEP_3)
	v_sub_nc_u32_e32 v4, v4, v11
	v_lshrrev_b32_e32 v2, s67, v2
	s_delay_alu instid0(VALU_DEP_2) | instskip(SKIP_2) | instid1(VALU_DEP_4)
	v_mul_lo_u32 v11, v4, s60
	v_mul_lo_u32 v4, v4, s61
	v_sub_nc_u32_e32 v3, v3, v9
	v_mul_lo_u32 v12, v2, s65
	s_delay_alu instid0(VALU_DEP_2) | instskip(SKIP_1) | instid1(VALU_DEP_3)
	v_mul_lo_u32 v9, v3, s58
	v_mul_lo_u32 v3, v3, s59
	v_sub_nc_u32_e32 v5, v5, v12
	s_delay_alu instid0(VALU_DEP_3) | instskip(NEXT) | instid1(VALU_DEP_2)
	v_add3_u32 v0, v6, v0, v9
	v_mul_lo_u32 v12, v5, s62
	v_mul_lo_u32 v5, v5, s63
	v_add3_u32 v1, v10, v1, v3
	s_delay_alu instid0(VALU_DEP_3) | instskip(NEXT) | instid1(VALU_DEP_2)
	v_add3_u32 v0, v11, v0, v12
	v_add3_u32 v1, v4, v1, v5
	s_cbranch_scc0 .LBB449_267
	s_branch .LBB449_270
.LBB449_268:
	s_mov_b32 s40, -1
                                        ; implicit-def: $vgpr0
                                        ; implicit-def: $vgpr1
	s_branch .LBB449_273
.LBB449_269:
	v_dual_mov_b32 v2, v8 :: v_dual_mov_b32 v1, 0
.LBB449_270:
	s_and_b32 s43, s43, 3
	s_delay_alu instid0(SALU_CYCLE_1)
	s_cmp_eq_u32 s43, 0
	s_cbranch_scc1 .LBB449_273
; %bb.271:
	s_lshl_b32 s2, s41, 3
	s_mul_i32 s24, s41, 12
	s_add_u32 s2, s2, s16
	s_addc_u32 s3, s17, 0
	s_add_u32 s2, s2, 0xc4
	s_addc_u32 s3, s3, 0
	;; [unrolled: 2-line block ×3, first 2 shown]
	.p2align	6
.LBB449_272:                            ; =>This Inner Loop Header: Depth=1
	s_clause 0x1
	s_load_b64 s[44:45], s[24:25], 0x4
	s_load_b32 s41, s[24:25], 0xc
	s_load_b64 s[46:47], s[2:3], 0x0
	s_add_u32 s24, s24, 12
	s_addc_u32 s25, s25, 0
	s_add_u32 s2, s2, 8
	s_addc_u32 s3, s3, 0
	s_add_i32 s43, s43, -1
	s_delay_alu instid0(SALU_CYCLE_1) | instskip(SKIP_2) | instid1(VALU_DEP_1)
	s_cmp_lg_u32 s43, 0
	s_waitcnt vmcnt(0) lgkmcnt(0)
	v_mul_hi_u32 v3, s45, v2
	v_add_nc_u32_e32 v3, v2, v3
	s_delay_alu instid0(VALU_DEP_1) | instskip(NEXT) | instid1(VALU_DEP_1)
	v_lshrrev_b32_e32 v6, s41, v3
	v_mul_lo_u32 v3, v6, s44
	s_delay_alu instid0(VALU_DEP_1) | instskip(NEXT) | instid1(VALU_DEP_1)
	v_sub_nc_u32_e32 v2, v2, v3
	v_mad_u64_u32 v[3:4], null, v2, s46, v[0:1]
	v_mad_u64_u32 v[4:5], null, v2, s47, v[1:2]
	v_mov_b32_e32 v2, v6
	s_delay_alu instid0(VALU_DEP_2)
	v_dual_mov_b32 v0, v3 :: v_dual_mov_b32 v1, v4
	s_cbranch_scc1 .LBB449_272
.LBB449_273:
	s_and_not1_b32 vcc_lo, exec_lo, s40
	s_cbranch_vccnz .LBB449_276
; %bb.274:
	v_mul_hi_u32 v0, s13, v8
	s_and_not1_b32 vcc_lo, exec_lo, s33
	s_delay_alu instid0(VALU_DEP_1) | instskip(NEXT) | instid1(VALU_DEP_1)
	v_add_nc_u32_e32 v0, v8, v0
	v_lshrrev_b32_e32 v2, s14, v0
	s_delay_alu instid0(VALU_DEP_1) | instskip(NEXT) | instid1(VALU_DEP_1)
	v_mul_lo_u32 v0, v2, s12
	v_sub_nc_u32_e32 v1, v8, v0
	s_delay_alu instid0(VALU_DEP_1)
	v_mul_lo_u32 v0, v1, s8
	v_mul_lo_u32 v1, v1, s9
	s_cbranch_vccnz .LBB449_276
; %bb.275:
	s_waitcnt vmcnt(0)
	v_mul_hi_u32 v3, s20, v2
	s_delay_alu instid0(VALU_DEP_1) | instskip(NEXT) | instid1(VALU_DEP_1)
	v_add_nc_u32_e32 v3, v2, v3
	v_lshrrev_b32_e32 v3, s21, v3
	s_delay_alu instid0(VALU_DEP_1) | instskip(NEXT) | instid1(VALU_DEP_1)
	v_mul_lo_u32 v3, v3, s15
	v_sub_nc_u32_e32 v5, v2, v3
	s_delay_alu instid0(VALU_DEP_1) | instskip(NEXT) | instid1(VALU_DEP_1)
	v_mad_u64_u32 v[2:3], null, v5, s10, v[0:1]
	v_mad_u64_u32 v[3:4], null, v5, s11, v[1:2]
	s_delay_alu instid0(VALU_DEP_1)
	v_dual_mov_b32 v0, v2 :: v_dual_mov_b32 v1, v3
.LBB449_276:
	v_cmp_gt_i16_e32 vcc_lo, 11, v7
	s_delay_alu instid0(VALU_DEP_2) | instskip(NEXT) | instid1(VALU_DEP_1)
	v_add_co_u32 v1, s2, s6, v1
	v_add_co_ci_u32_e64 v2, null, s7, 0, s2
	s_mov_b32 s2, 0
	s_cbranch_vccnz .LBB449_283
; %bb.277:
	v_cmp_lt_i16_e32 vcc_lo, 25, v7
	s_cbranch_vccz .LBB449_332
; %bb.278:
	v_cmp_lt_i16_e32 vcc_lo, 28, v7
	s_cbranch_vccz .LBB449_333
	;; [unrolled: 3-line block ×4, first 2 shown]
; %bb.281:
	v_cmp_eq_u16_e32 vcc_lo, 46, v7
	s_mov_b32 s3, 0
	s_cbranch_vccz .LBB449_343
; %bb.282:
	global_load_b32 v3, v[1:2], off
	s_mov_b32 s2, -1
	s_mov_b32 s24, 0
	s_waitcnt vmcnt(0)
	v_lshlrev_b32_e32 v3, 16, v3
	s_delay_alu instid0(VALU_DEP_1) | instskip(NEXT) | instid1(VALU_DEP_1)
	v_trunc_f32_e32 v3, v3
	v_mul_f32_e64 v4, 0x2f800000, |v3|
	v_ashrrev_i32_e32 v6, 31, v3
	s_delay_alu instid0(VALU_DEP_2) | instskip(NEXT) | instid1(VALU_DEP_1)
	v_floor_f32_e32 v4, v4
	v_fma_f32 v5, 0xcf800000, v4, |v3|
	v_cvt_u32_f32_e32 v4, v4
	s_delay_alu instid0(VALU_DEP_2) | instskip(NEXT) | instid1(VALU_DEP_2)
	v_cvt_u32_f32_e32 v3, v5
	v_xor_b32_e32 v4, v4, v6
	s_delay_alu instid0(VALU_DEP_2) | instskip(NEXT) | instid1(VALU_DEP_1)
	v_xor_b32_e32 v3, v3, v6
	v_sub_co_u32 v3, vcc_lo, v3, v6
	s_delay_alu instid0(VALU_DEP_3)
	v_sub_co_ci_u32_e32 v4, vcc_lo, v4, v6, vcc_lo
	s_branch .LBB449_345
.LBB449_283:
	s_mov_b32 s24, s38
                                        ; implicit-def: $vgpr3_vgpr4
	s_cbranch_execnz .LBB449_478
.LBB449_284:
	s_and_not1_b32 vcc_lo, exec_lo, s2
	s_cbranch_vccnz .LBB449_526
.LBB449_285:
	s_waitcnt vmcnt(0)
	s_delay_alu instid0(VALU_DEP_1) | instskip(SKIP_2) | instid1(VALU_DEP_1)
	v_cmp_gt_i64_e32 vcc_lo, s[18:19], v[3:4]
	v_and_b32_e64 v5, 0xff, s31
	s_mov_b32 s3, 0
	v_cmp_gt_i16_e64 s2, 11, v5
	v_cndmask_b32_e32 v1, s18, v3, vcc_lo
	v_add_co_u32 v3, s25, s4, v0
	v_cndmask_b32_e32 v2, s19, v4, vcc_lo
	v_add_co_ci_u32_e64 v4, null, s5, 0, s25
	s_mov_b32 s25, -1
	s_and_b32 vcc_lo, exec_lo, s2
	s_mov_b32 s2, s37
	s_cbranch_vccnz .LBB449_292
; %bb.286:
	v_cmp_lt_i16_e32 vcc_lo, 25, v5
	s_cbranch_vccz .LBB449_334
; %bb.287:
	v_cmp_lt_i16_e32 vcc_lo, 28, v5
	s_cbranch_vccz .LBB449_336
	;; [unrolled: 3-line block ×4, first 2 shown]
; %bb.290:
	v_cmp_eq_u16_e32 vcc_lo, 46, v5
	s_mov_b32 s25, 0
	s_mov_b32 s2, -1
	s_cbranch_vccz .LBB449_349
; %bb.291:
	v_xor_b32_e32 v0, v1, v2
	v_cls_i32_e32 v6, v2
	s_mov_b32 s3, -1
	s_mov_b32 s2, 0
	s_delay_alu instid0(VALU_DEP_2) | instskip(NEXT) | instid1(VALU_DEP_2)
	v_ashrrev_i32_e32 v0, 31, v0
	v_add_nc_u32_e32 v6, -1, v6
	s_delay_alu instid0(VALU_DEP_2) | instskip(NEXT) | instid1(VALU_DEP_1)
	v_add_nc_u32_e32 v0, 32, v0
	v_min_u32_e32 v0, v6, v0
	s_delay_alu instid0(VALU_DEP_1) | instskip(SKIP_1) | instid1(VALU_DEP_2)
	v_lshlrev_b64 v[9:10], v0, v[1:2]
	v_sub_nc_u32_e32 v0, 32, v0
	v_min_u32_e32 v6, 1, v9
	s_delay_alu instid0(VALU_DEP_1) | instskip(NEXT) | instid1(VALU_DEP_1)
	v_or_b32_e32 v6, v10, v6
	v_cvt_f32_i32_e32 v6, v6
	s_delay_alu instid0(VALU_DEP_1) | instskip(NEXT) | instid1(VALU_DEP_1)
	v_ldexp_f32 v0, v6, v0
	v_bfe_u32 v6, v0, 16, 1
	s_delay_alu instid0(VALU_DEP_1) | instskip(NEXT) | instid1(VALU_DEP_1)
	v_add3_u32 v0, v0, v6, 0x7fff
	v_lshrrev_b32_e32 v0, 16, v0
	global_store_b32 v[3:4], v0, off
	s_branch .LBB449_349
.LBB449_292:
	s_and_b32 vcc_lo, exec_lo, s25
	s_cbranch_vccz .LBB449_418
; %bb.293:
	v_cmp_gt_i16_e32 vcc_lo, 5, v5
	s_mov_b32 s3, -1
	s_cbranch_vccnz .LBB449_314
; %bb.294:
	v_cmp_gt_i16_e32 vcc_lo, 8, v5
	s_cbranch_vccnz .LBB449_304
; %bb.295:
	v_cmp_gt_i16_e32 vcc_lo, 9, v5
	s_cbranch_vccnz .LBB449_301
; %bb.296:
	v_cmp_lt_i16_e32 vcc_lo, 9, v5
	s_cbranch_vccz .LBB449_298
; %bb.297:
	v_cvt_f64_i32_e32 v[9:10], v2
	v_cvt_f64_u32_e32 v[11:12], v1
	s_mov_b32 s3, 0
	s_delay_alu instid0(VALU_DEP_2) | instskip(NEXT) | instid1(VALU_DEP_1)
	v_ldexp_f64 v[9:10], v[9:10], 32
	v_add_f64 v[9:10], v[9:10], v[11:12]
	v_mov_b32_e32 v11, 0
	s_delay_alu instid0(VALU_DEP_1)
	v_mov_b32_e32 v12, v11
	global_store_b128 v[3:4], v[9:12], off
.LBB449_298:
	s_and_not1_b32 vcc_lo, exec_lo, s3
	s_cbranch_vccnz .LBB449_300
; %bb.299:
	v_xor_b32_e32 v0, v1, v2
	v_cls_i32_e32 v6, v2
	s_delay_alu instid0(VALU_DEP_2) | instskip(NEXT) | instid1(VALU_DEP_2)
	v_ashrrev_i32_e32 v0, 31, v0
	v_add_nc_u32_e32 v6, -1, v6
	s_delay_alu instid0(VALU_DEP_2) | instskip(NEXT) | instid1(VALU_DEP_1)
	v_add_nc_u32_e32 v0, 32, v0
	v_min_u32_e32 v0, v6, v0
	s_delay_alu instid0(VALU_DEP_1) | instskip(SKIP_1) | instid1(VALU_DEP_2)
	v_lshlrev_b64 v[9:10], v0, v[1:2]
	v_sub_nc_u32_e32 v0, 32, v0
	v_min_u32_e32 v6, 1, v9
	s_delay_alu instid0(VALU_DEP_1) | instskip(SKIP_1) | instid1(VALU_DEP_2)
	v_or_b32_e32 v6, v10, v6
	v_mov_b32_e32 v10, 0
	v_cvt_f32_i32_e32 v6, v6
	s_delay_alu instid0(VALU_DEP_1)
	v_ldexp_f32 v9, v6, v0
	global_store_b64 v[3:4], v[9:10], off
.LBB449_300:
	s_mov_b32 s3, 0
.LBB449_301:
	s_delay_alu instid0(SALU_CYCLE_1)
	s_and_not1_b32 vcc_lo, exec_lo, s3
	s_cbranch_vccnz .LBB449_303
; %bb.302:
	v_xor_b32_e32 v0, v1, v2
	v_cls_i32_e32 v6, v2
	s_delay_alu instid0(VALU_DEP_2) | instskip(NEXT) | instid1(VALU_DEP_2)
	v_ashrrev_i32_e32 v0, 31, v0
	v_add_nc_u32_e32 v6, -1, v6
	s_delay_alu instid0(VALU_DEP_2) | instskip(NEXT) | instid1(VALU_DEP_1)
	v_add_nc_u32_e32 v0, 32, v0
	v_min_u32_e32 v0, v6, v0
	s_delay_alu instid0(VALU_DEP_1) | instskip(SKIP_1) | instid1(VALU_DEP_2)
	v_lshlrev_b64 v[9:10], v0, v[1:2]
	v_sub_nc_u32_e32 v0, 32, v0
	v_min_u32_e32 v6, 1, v9
	s_delay_alu instid0(VALU_DEP_1) | instskip(NEXT) | instid1(VALU_DEP_1)
	v_or_b32_e32 v6, v10, v6
	v_cvt_f32_i32_e32 v6, v6
	s_delay_alu instid0(VALU_DEP_1) | instskip(NEXT) | instid1(VALU_DEP_1)
	v_ldexp_f32 v0, v6, v0
	v_cvt_f16_f32_e32 v0, v0
	s_delay_alu instid0(VALU_DEP_1)
	v_and_b32_e32 v0, 0xffff, v0
	global_store_b32 v[3:4], v0, off
.LBB449_303:
	s_mov_b32 s3, 0
.LBB449_304:
	s_delay_alu instid0(SALU_CYCLE_1)
	s_and_not1_b32 vcc_lo, exec_lo, s3
	s_cbranch_vccnz .LBB449_313
; %bb.305:
	v_cmp_gt_i16_e32 vcc_lo, 6, v5
	s_mov_b32 s3, -1
	s_cbranch_vccnz .LBB449_311
; %bb.306:
	v_cmp_lt_i16_e32 vcc_lo, 6, v5
	s_cbranch_vccz .LBB449_308
; %bb.307:
	v_cvt_f64_i32_e32 v[9:10], v2
	v_cvt_f64_u32_e32 v[11:12], v1
	s_mov_b32 s3, 0
	s_delay_alu instid0(VALU_DEP_2) | instskip(NEXT) | instid1(VALU_DEP_1)
	v_ldexp_f64 v[9:10], v[9:10], 32
	v_add_f64 v[9:10], v[9:10], v[11:12]
	global_store_b64 v[3:4], v[9:10], off
.LBB449_308:
	s_and_not1_b32 vcc_lo, exec_lo, s3
	s_cbranch_vccnz .LBB449_310
; %bb.309:
	v_xor_b32_e32 v0, v1, v2
	v_cls_i32_e32 v6, v2
	s_delay_alu instid0(VALU_DEP_2) | instskip(NEXT) | instid1(VALU_DEP_2)
	v_ashrrev_i32_e32 v0, 31, v0
	v_add_nc_u32_e32 v6, -1, v6
	s_delay_alu instid0(VALU_DEP_2) | instskip(NEXT) | instid1(VALU_DEP_1)
	v_add_nc_u32_e32 v0, 32, v0
	v_min_u32_e32 v0, v6, v0
	s_delay_alu instid0(VALU_DEP_1) | instskip(SKIP_1) | instid1(VALU_DEP_2)
	v_lshlrev_b64 v[9:10], v0, v[1:2]
	v_sub_nc_u32_e32 v0, 32, v0
	v_min_u32_e32 v6, 1, v9
	s_delay_alu instid0(VALU_DEP_1) | instskip(NEXT) | instid1(VALU_DEP_1)
	v_or_b32_e32 v6, v10, v6
	v_cvt_f32_i32_e32 v6, v6
	s_delay_alu instid0(VALU_DEP_1)
	v_ldexp_f32 v0, v6, v0
	global_store_b32 v[3:4], v0, off
.LBB449_310:
	s_mov_b32 s3, 0
.LBB449_311:
	s_delay_alu instid0(SALU_CYCLE_1)
	s_and_not1_b32 vcc_lo, exec_lo, s3
	s_cbranch_vccnz .LBB449_313
; %bb.312:
	v_xor_b32_e32 v0, v1, v2
	v_cls_i32_e32 v6, v2
	s_delay_alu instid0(VALU_DEP_2) | instskip(NEXT) | instid1(VALU_DEP_2)
	v_ashrrev_i32_e32 v0, 31, v0
	v_add_nc_u32_e32 v6, -1, v6
	s_delay_alu instid0(VALU_DEP_2) | instskip(NEXT) | instid1(VALU_DEP_1)
	v_add_nc_u32_e32 v0, 32, v0
	v_min_u32_e32 v0, v6, v0
	s_delay_alu instid0(VALU_DEP_1) | instskip(SKIP_1) | instid1(VALU_DEP_2)
	v_lshlrev_b64 v[9:10], v0, v[1:2]
	v_sub_nc_u32_e32 v0, 32, v0
	v_min_u32_e32 v6, 1, v9
	s_delay_alu instid0(VALU_DEP_1) | instskip(NEXT) | instid1(VALU_DEP_1)
	v_or_b32_e32 v6, v10, v6
	v_cvt_f32_i32_e32 v6, v6
	s_delay_alu instid0(VALU_DEP_1) | instskip(NEXT) | instid1(VALU_DEP_1)
	v_ldexp_f32 v0, v6, v0
	v_cvt_f16_f32_e32 v0, v0
	global_store_b16 v[3:4], v0, off
.LBB449_313:
	s_mov_b32 s3, 0
.LBB449_314:
	s_delay_alu instid0(SALU_CYCLE_1)
	s_and_not1_b32 vcc_lo, exec_lo, s3
	s_cbranch_vccnz .LBB449_330
; %bb.315:
	v_cmp_gt_i16_e32 vcc_lo, 2, v5
	s_mov_b32 s3, -1
	s_cbranch_vccnz .LBB449_325
; %bb.316:
	v_cmp_gt_i16_e32 vcc_lo, 3, v5
	s_cbranch_vccnz .LBB449_322
; %bb.317:
	v_cmp_lt_i16_e32 vcc_lo, 3, v5
	s_cbranch_vccz .LBB449_319
; %bb.318:
	s_mov_b32 s3, 0
	global_store_b64 v[3:4], v[1:2], off
.LBB449_319:
	s_and_not1_b32 vcc_lo, exec_lo, s3
	s_cbranch_vccnz .LBB449_321
; %bb.320:
	global_store_b32 v[3:4], v1, off
.LBB449_321:
	s_mov_b32 s3, 0
.LBB449_322:
	s_delay_alu instid0(SALU_CYCLE_1)
	s_and_not1_b32 vcc_lo, exec_lo, s3
	s_cbranch_vccnz .LBB449_324
; %bb.323:
	global_store_b16 v[3:4], v1, off
.LBB449_324:
	s_mov_b32 s3, 0
.LBB449_325:
	s_delay_alu instid0(SALU_CYCLE_1)
	s_and_not1_b32 vcc_lo, exec_lo, s3
	s_cbranch_vccnz .LBB449_330
; %bb.326:
	v_cmp_lt_i16_e32 vcc_lo, 0, v5
	s_mov_b32 s3, -1
	s_cbranch_vccz .LBB449_328
; %bb.327:
	s_mov_b32 s3, 0
	global_store_b8 v[3:4], v1, off
.LBB449_328:
	s_and_not1_b32 vcc_lo, exec_lo, s3
	s_cbranch_vccnz .LBB449_330
; %bb.329:
	global_store_b8 v[3:4], v1, off
.LBB449_330:
	s_branch .LBB449_419
.LBB449_331:
	s_mov_b32 s3, 0
	s_branch .LBB449_527
.LBB449_332:
	s_mov_b32 s3, -1
	s_mov_b32 s24, s38
                                        ; implicit-def: $vgpr3_vgpr4
	s_branch .LBB449_446
.LBB449_333:
	s_mov_b32 s3, -1
	s_mov_b32 s24, s38
                                        ; implicit-def: $vgpr3_vgpr4
	s_branch .LBB449_427
.LBB449_334:
	s_mov_b32 s2, s37
	s_branch .LBB449_376
.LBB449_335:
	s_mov_b32 s3, -1
	s_mov_b32 s24, s38
                                        ; implicit-def: $vgpr3_vgpr4
	s_branch .LBB449_422
.LBB449_336:
	s_mov_b32 s2, s37
	s_branch .LBB449_359
.LBB449_337:
	s_or_saveexec_b32 s37, s37
                                        ; implicit-def: $sgpr38
	s_delay_alu instid0(SALU_CYCLE_1)
	s_xor_b32 exec_lo, exec_lo, s37
	s_cbranch_execz .LBB449_104
.LBB449_338:
	v_add_f32_e64 v6, 0x46000000, |v0|
	s_and_not1_b32 s25, s25, exec_lo
	s_mov_b32 s38, 0
	s_delay_alu instid0(VALU_DEP_1) | instskip(NEXT) | instid1(VALU_DEP_1)
	v_and_b32_e32 v6, 0xff, v6
	v_cmp_ne_u32_e32 vcc_lo, 0, v6
	s_and_b32 s41, vcc_lo, exec_lo
	s_delay_alu instid0(SALU_CYCLE_1)
	s_or_b32 s25, s25, s41
	s_or_b32 exec_lo, exec_lo, s37
	v_mov_b32_e32 v9, s38
	s_and_saveexec_b32 s37, s25
	s_cbranch_execnz .LBB449_105
	s_branch .LBB449_106
.LBB449_339:
	s_mov_b32 s3, -1
	s_mov_b32 s24, s38
	s_branch .LBB449_344
.LBB449_340:
	s_mov_b32 s2, s37
	s_branch .LBB449_355
.LBB449_341:
	s_or_saveexec_b32 s37, s37
                                        ; implicit-def: $sgpr38
	s_delay_alu instid0(SALU_CYCLE_1)
	s_xor_b32 exec_lo, exec_lo, s37
	s_cbranch_execz .LBB449_117
.LBB449_342:
	v_add_f32_e64 v6, 0x42800000, |v0|
	s_and_not1_b32 s25, s25, exec_lo
	s_mov_b32 s38, 0
	s_delay_alu instid0(VALU_DEP_1) | instskip(NEXT) | instid1(VALU_DEP_1)
	v_and_b32_e32 v6, 0xff, v6
	v_cmp_ne_u32_e32 vcc_lo, 0, v6
	s_and_b32 s41, vcc_lo, exec_lo
	s_delay_alu instid0(SALU_CYCLE_1)
	s_or_b32 s25, s25, s41
	s_or_b32 exec_lo, exec_lo, s37
	v_mov_b32_e32 v9, s38
	s_and_saveexec_b32 s37, s25
	s_cbranch_execnz .LBB449_118
	s_branch .LBB449_119
.LBB449_343:
	s_mov_b32 s24, -1
.LBB449_344:
                                        ; implicit-def: $vgpr3_vgpr4
.LBB449_345:
	s_and_b32 vcc_lo, exec_lo, s3
	s_cbranch_vccz .LBB449_421
; %bb.346:
	v_cmp_eq_u16_e32 vcc_lo, 44, v7
	s_cbranch_vccz .LBB449_420
; %bb.347:
	global_load_u8 v3, v[1:2], off
	s_mov_b32 s24, 0
	s_mov_b32 s2, -1
	s_waitcnt vmcnt(0)
	v_lshlrev_b32_e32 v4, 23, v3
	s_delay_alu instid0(VALU_DEP_1) | instskip(NEXT) | instid1(VALU_DEP_1)
	v_trunc_f32_e32 v4, v4
	v_mul_f32_e64 v5, 0x2f800000, |v4|
	s_delay_alu instid0(VALU_DEP_1) | instskip(NEXT) | instid1(VALU_DEP_1)
	v_floor_f32_e32 v5, v5
	v_fma_f32 v6, 0xcf800000, v5, |v4|
	v_ashrrev_i32_e32 v4, 31, v4
	v_cvt_u32_f32_e32 v5, v5
	s_delay_alu instid0(VALU_DEP_3) | instskip(NEXT) | instid1(VALU_DEP_2)
	v_cvt_u32_f32_e32 v6, v6
	v_xor_b32_e32 v5, v5, v4
	s_delay_alu instid0(VALU_DEP_2) | instskip(NEXT) | instid1(VALU_DEP_1)
	v_xor_b32_e32 v6, v6, v4
	v_sub_co_u32 v6, vcc_lo, v6, v4
	s_delay_alu instid0(VALU_DEP_3) | instskip(SKIP_1) | instid1(VALU_DEP_2)
	v_sub_co_ci_u32_e32 v4, vcc_lo, v5, v4, vcc_lo
	v_cmp_ne_u32_e32 vcc_lo, 0, v3
	v_dual_cndmask_b32 v3, 0, v6 :: v_dual_cndmask_b32 v4, 0, v4
	s_branch .LBB449_421
.LBB449_348:
	s_mov_b32 s2, s37
.LBB449_349:
	s_and_b32 vcc_lo, exec_lo, s25
	s_cbranch_vccz .LBB449_354
; %bb.350:
	v_cmp_eq_u16_e32 vcc_lo, 44, v5
	s_mov_b32 s2, -1
	s_cbranch_vccz .LBB449_354
; %bb.351:
	v_xor_b32_e32 v0, v1, v2
	v_cls_i32_e32 v6, v2
	s_mov_b32 s3, -1
	s_mov_b32 s25, exec_lo
	s_delay_alu instid0(VALU_DEP_2) | instskip(NEXT) | instid1(VALU_DEP_2)
	v_ashrrev_i32_e32 v0, 31, v0
	v_add_nc_u32_e32 v6, -1, v6
	s_delay_alu instid0(VALU_DEP_2) | instskip(NEXT) | instid1(VALU_DEP_1)
	v_add_nc_u32_e32 v0, 32, v0
	v_min_u32_e32 v0, v6, v0
	s_delay_alu instid0(VALU_DEP_1) | instskip(SKIP_1) | instid1(VALU_DEP_2)
	v_lshlrev_b64 v[9:10], v0, v[1:2]
	v_sub_nc_u32_e32 v0, 32, v0
	v_min_u32_e32 v6, 1, v9
	s_delay_alu instid0(VALU_DEP_1) | instskip(NEXT) | instid1(VALU_DEP_1)
	v_or_b32_e32 v6, v10, v6
	v_cvt_f32_i32_e32 v6, v6
	s_delay_alu instid0(VALU_DEP_1) | instskip(SKIP_1) | instid1(VALU_DEP_2)
	v_ldexp_f32 v0, v6, v0
	v_mov_b32_e32 v6, 0xff
	v_bfe_u32 v9, v0, 23, 8
	s_delay_alu instid0(VALU_DEP_1)
	v_cmpx_ne_u32_e32 0xff, v9
; %bb.352:
	v_and_b32_e32 v6, 0x400000, v0
	v_and_or_b32 v9, 0x3fffff, v0, v9
	v_lshrrev_b32_e32 v0, 23, v0
	s_delay_alu instid0(VALU_DEP_3) | instskip(NEXT) | instid1(VALU_DEP_3)
	v_cmp_ne_u32_e32 vcc_lo, 0, v6
	v_cmp_ne_u32_e64 s2, 0, v9
	s_delay_alu instid0(VALU_DEP_1) | instskip(NEXT) | instid1(SALU_CYCLE_1)
	s_and_b32 s2, vcc_lo, s2
	v_cndmask_b32_e64 v6, 0, 1, s2
	s_delay_alu instid0(VALU_DEP_1)
	v_add_nc_u32_e32 v6, v0, v6
; %bb.353:
	s_or_b32 exec_lo, exec_lo, s25
	s_mov_b32 s2, 0
	global_store_b8 v[3:4], v6, off
.LBB449_354:
	s_mov_b32 s25, 0
.LBB449_355:
	s_delay_alu instid0(SALU_CYCLE_1)
	s_and_b32 vcc_lo, exec_lo, s25
	s_cbranch_vccz .LBB449_358
; %bb.356:
	v_cmp_eq_u16_e32 vcc_lo, 29, v5
	s_mov_b32 s2, -1
	s_cbranch_vccz .LBB449_358
; %bb.357:
	s_mov_b32 s3, -1
	s_mov_b32 s2, 0
	global_store_b64 v[3:4], v[1:2], off
.LBB449_358:
	s_mov_b32 s25, 0
.LBB449_359:
	s_delay_alu instid0(SALU_CYCLE_1)
	s_and_b32 vcc_lo, exec_lo, s25
	s_cbranch_vccz .LBB449_375
; %bb.360:
	v_cmp_gt_i16_e32 vcc_lo, 27, v5
	s_mov_b32 s3, -1
	s_cbranch_vccnz .LBB449_366
; %bb.361:
	v_cmp_lt_i16_e32 vcc_lo, 27, v5
	s_cbranch_vccz .LBB449_363
; %bb.362:
	s_mov_b32 s3, 0
	global_store_b32 v[3:4], v1, off
.LBB449_363:
	s_and_not1_b32 vcc_lo, exec_lo, s3
	s_cbranch_vccnz .LBB449_365
; %bb.364:
	global_store_b16 v[3:4], v1, off
.LBB449_365:
	s_mov_b32 s3, 0
.LBB449_366:
	s_delay_alu instid0(SALU_CYCLE_1)
	s_and_not1_b32 vcc_lo, exec_lo, s3
	s_cbranch_vccnz .LBB449_374
; %bb.367:
	v_xor_b32_e32 v0, v1, v2
	v_cls_i32_e32 v6, v2
	s_mov_b32 s3, exec_lo
	s_delay_alu instid0(VALU_DEP_2) | instskip(NEXT) | instid1(VALU_DEP_2)
	v_ashrrev_i32_e32 v0, 31, v0
	v_add_nc_u32_e32 v6, -1, v6
	s_delay_alu instid0(VALU_DEP_2) | instskip(NEXT) | instid1(VALU_DEP_1)
	v_add_nc_u32_e32 v0, 32, v0
	v_min_u32_e32 v0, v6, v0
	s_delay_alu instid0(VALU_DEP_1) | instskip(SKIP_1) | instid1(VALU_DEP_2)
	v_lshlrev_b64 v[9:10], v0, v[1:2]
	v_sub_nc_u32_e32 v0, 32, v0
	v_min_u32_e32 v6, 1, v9
	v_mov_b32_e32 v9, 0x80
	s_delay_alu instid0(VALU_DEP_2) | instskip(NEXT) | instid1(VALU_DEP_1)
	v_or_b32_e32 v6, v10, v6
	v_cvt_f32_i32_e32 v6, v6
	s_delay_alu instid0(VALU_DEP_1) | instskip(NEXT) | instid1(VALU_DEP_1)
	v_ldexp_f32 v0, v6, v0
	v_and_b32_e32 v6, 0x7fffffff, v0
	s_delay_alu instid0(VALU_DEP_1)
	v_cmpx_gt_u32_e32 0x43800000, v6
	s_cbranch_execz .LBB449_373
; %bb.368:
	v_cmp_lt_u32_e32 vcc_lo, 0x3bffffff, v6
	s_mov_b32 s25, 0
                                        ; implicit-def: $vgpr6
	s_and_saveexec_b32 s40, vcc_lo
	s_delay_alu instid0(SALU_CYCLE_1)
	s_xor_b32 s40, exec_lo, s40
	s_cbranch_execz .LBB449_555
; %bb.369:
	v_bfe_u32 v6, v0, 20, 1
	s_mov_b32 s25, exec_lo
	s_delay_alu instid0(VALU_DEP_1) | instskip(NEXT) | instid1(VALU_DEP_1)
	v_add3_u32 v6, v0, v6, 0x487ffff
	v_lshrrev_b32_e32 v6, 20, v6
	s_or_saveexec_b32 s40, s40
                                        ; implicit-def: $sgpr41
	s_delay_alu instid0(SALU_CYCLE_1)
	s_xor_b32 exec_lo, exec_lo, s40
	s_cbranch_execnz .LBB449_556
.LBB449_370:
	s_or_b32 exec_lo, exec_lo, s40
	v_mov_b32_e32 v9, s41
	s_and_saveexec_b32 s40, s25
.LBB449_371:
	v_lshrrev_b32_e32 v0, 24, v0
	s_delay_alu instid0(VALU_DEP_1)
	v_and_or_b32 v9, 0x80, v0, v6
.LBB449_372:
	s_or_b32 exec_lo, exec_lo, s40
.LBB449_373:
	s_delay_alu instid0(SALU_CYCLE_1)
	s_or_b32 exec_lo, exec_lo, s3
	global_store_b8 v[3:4], v9, off
.LBB449_374:
	s_mov_b32 s3, -1
.LBB449_375:
	s_mov_b32 s25, 0
.LBB449_376:
	s_delay_alu instid0(SALU_CYCLE_1)
	s_and_b32 vcc_lo, exec_lo, s25
	s_cbranch_vccz .LBB449_417
; %bb.377:
	v_cmp_lt_i16_e32 vcc_lo, 22, v5
	s_mov_b32 s25, -1
	s_cbranch_vccz .LBB449_409
; %bb.378:
	v_cmp_gt_i16_e32 vcc_lo, 24, v5
	s_mov_b32 s3, -1
	s_cbranch_vccnz .LBB449_398
; %bb.379:
	v_cmp_lt_i16_e32 vcc_lo, 24, v5
	s_cbranch_vccz .LBB449_387
; %bb.380:
	v_xor_b32_e32 v0, v1, v2
	v_cls_i32_e32 v6, v2
	s_mov_b32 s3, exec_lo
	s_delay_alu instid0(VALU_DEP_2) | instskip(NEXT) | instid1(VALU_DEP_2)
	v_ashrrev_i32_e32 v0, 31, v0
	v_add_nc_u32_e32 v6, -1, v6
	s_delay_alu instid0(VALU_DEP_2) | instskip(NEXT) | instid1(VALU_DEP_1)
	v_add_nc_u32_e32 v0, 32, v0
	v_min_u32_e32 v0, v6, v0
	s_delay_alu instid0(VALU_DEP_1) | instskip(SKIP_1) | instid1(VALU_DEP_2)
	v_lshlrev_b64 v[9:10], v0, v[1:2]
	v_sub_nc_u32_e32 v0, 32, v0
	v_min_u32_e32 v6, 1, v9
	v_mov_b32_e32 v9, 0x80
	s_delay_alu instid0(VALU_DEP_2) | instskip(NEXT) | instid1(VALU_DEP_1)
	v_or_b32_e32 v6, v10, v6
	v_cvt_f32_i32_e32 v6, v6
	s_delay_alu instid0(VALU_DEP_1) | instskip(NEXT) | instid1(VALU_DEP_1)
	v_ldexp_f32 v0, v6, v0
	v_and_b32_e32 v6, 0x7fffffff, v0
	s_delay_alu instid0(VALU_DEP_1)
	v_cmpx_gt_u32_e32 0x47800000, v6
	s_cbranch_execz .LBB449_386
; %bb.381:
	v_cmp_lt_u32_e32 vcc_lo, 0x37ffffff, v6
	s_mov_b32 s25, 0
                                        ; implicit-def: $vgpr6
	s_and_saveexec_b32 s40, vcc_lo
	s_delay_alu instid0(SALU_CYCLE_1)
	s_xor_b32 s40, exec_lo, s40
	s_cbranch_execz .LBB449_558
; %bb.382:
	v_bfe_u32 v6, v0, 21, 1
	s_mov_b32 s25, exec_lo
	s_delay_alu instid0(VALU_DEP_1) | instskip(NEXT) | instid1(VALU_DEP_1)
	v_add3_u32 v6, v0, v6, 0x88fffff
	v_lshrrev_b32_e32 v6, 21, v6
	s_or_saveexec_b32 s40, s40
                                        ; implicit-def: $sgpr41
	s_delay_alu instid0(SALU_CYCLE_1)
	s_xor_b32 exec_lo, exec_lo, s40
	s_cbranch_execnz .LBB449_559
.LBB449_383:
	s_or_b32 exec_lo, exec_lo, s40
	v_mov_b32_e32 v9, s41
	s_and_saveexec_b32 s40, s25
.LBB449_384:
	v_lshrrev_b32_e32 v0, 24, v0
	s_delay_alu instid0(VALU_DEP_1)
	v_and_or_b32 v9, 0x80, v0, v6
.LBB449_385:
	s_or_b32 exec_lo, exec_lo, s40
.LBB449_386:
	s_delay_alu instid0(SALU_CYCLE_1)
	s_or_b32 exec_lo, exec_lo, s3
	s_mov_b32 s3, 0
	global_store_b8 v[3:4], v9, off
.LBB449_387:
	s_and_b32 vcc_lo, exec_lo, s3
	s_cbranch_vccz .LBB449_397
; %bb.388:
	v_xor_b32_e32 v0, v1, v2
	v_cls_i32_e32 v6, v2
	s_mov_b32 s3, exec_lo
	s_delay_alu instid0(VALU_DEP_2) | instskip(NEXT) | instid1(VALU_DEP_2)
	v_ashrrev_i32_e32 v0, 31, v0
	v_add_nc_u32_e32 v6, -1, v6
	s_delay_alu instid0(VALU_DEP_2) | instskip(NEXT) | instid1(VALU_DEP_1)
	v_add_nc_u32_e32 v0, 32, v0
	v_min_u32_e32 v0, v6, v0
	s_delay_alu instid0(VALU_DEP_1) | instskip(SKIP_1) | instid1(VALU_DEP_2)
	v_lshlrev_b64 v[9:10], v0, v[1:2]
	v_sub_nc_u32_e32 v0, 32, v0
	v_min_u32_e32 v6, 1, v9
	s_delay_alu instid0(VALU_DEP_1) | instskip(NEXT) | instid1(VALU_DEP_1)
	v_or_b32_e32 v6, v10, v6
	v_cvt_f32_i32_e32 v6, v6
	s_delay_alu instid0(VALU_DEP_1) | instskip(NEXT) | instid1(VALU_DEP_1)
	v_ldexp_f32 v0, v6, v0
                                        ; implicit-def: $vgpr6
	v_and_b32_e32 v9, 0x7fffffff, v0
	s_delay_alu instid0(VALU_DEP_1)
	v_cmpx_gt_u32_e32 0x43f00000, v9
	s_xor_b32 s3, exec_lo, s3
	s_cbranch_execz .LBB449_394
; %bb.389:
	s_mov_b32 s25, exec_lo
                                        ; implicit-def: $vgpr6
	v_cmpx_lt_u32_e32 0x3c7fffff, v9
	s_xor_b32 s25, exec_lo, s25
; %bb.390:
	v_bfe_u32 v6, v0, 20, 1
	s_delay_alu instid0(VALU_DEP_1) | instskip(NEXT) | instid1(VALU_DEP_1)
	v_add3_u32 v6, v0, v6, 0x407ffff
	v_and_b32_e32 v9, 0xff00000, v6
	v_lshrrev_b32_e32 v6, 20, v6
	s_delay_alu instid0(VALU_DEP_2) | instskip(NEXT) | instid1(VALU_DEP_2)
	v_cmp_ne_u32_e32 vcc_lo, 0x7f00000, v9
	v_cndmask_b32_e32 v6, 0x7e, v6, vcc_lo
; %bb.391:
	s_and_not1_saveexec_b32 s25, s25
; %bb.392:
	v_add_f32_e64 v6, 0x46800000, |v0|
; %bb.393:
	s_or_b32 exec_lo, exec_lo, s25
                                        ; implicit-def: $vgpr9
.LBB449_394:
	s_and_not1_saveexec_b32 s3, s3
; %bb.395:
	v_mov_b32_e32 v6, 0x7f
	v_cmp_lt_u32_e32 vcc_lo, 0x7f800000, v9
	s_delay_alu instid0(VALU_DEP_2)
	v_cndmask_b32_e32 v6, 0x7e, v6, vcc_lo
; %bb.396:
	s_or_b32 exec_lo, exec_lo, s3
	v_lshrrev_b32_e32 v0, 24, v0
	s_delay_alu instid0(VALU_DEP_1)
	v_and_or_b32 v0, 0x80, v0, v6
	global_store_b8 v[3:4], v0, off
.LBB449_397:
	s_mov_b32 s3, 0
.LBB449_398:
	s_delay_alu instid0(SALU_CYCLE_1)
	s_and_not1_b32 vcc_lo, exec_lo, s3
	s_cbranch_vccnz .LBB449_408
; %bb.399:
	v_xor_b32_e32 v0, v1, v2
	v_cls_i32_e32 v6, v2
	s_mov_b32 s3, exec_lo
	s_delay_alu instid0(VALU_DEP_2) | instskip(NEXT) | instid1(VALU_DEP_2)
	v_ashrrev_i32_e32 v0, 31, v0
	v_add_nc_u32_e32 v6, -1, v6
	s_delay_alu instid0(VALU_DEP_2) | instskip(NEXT) | instid1(VALU_DEP_1)
	v_add_nc_u32_e32 v0, 32, v0
	v_min_u32_e32 v0, v6, v0
	s_delay_alu instid0(VALU_DEP_1) | instskip(SKIP_1) | instid1(VALU_DEP_2)
	v_lshlrev_b64 v[9:10], v0, v[1:2]
	v_sub_nc_u32_e32 v0, 32, v0
	v_min_u32_e32 v6, 1, v9
	s_delay_alu instid0(VALU_DEP_1) | instskip(NEXT) | instid1(VALU_DEP_1)
	v_or_b32_e32 v6, v10, v6
	v_cvt_f32_i32_e32 v6, v6
	s_delay_alu instid0(VALU_DEP_1) | instskip(NEXT) | instid1(VALU_DEP_1)
	v_ldexp_f32 v0, v6, v0
                                        ; implicit-def: $vgpr6
	v_and_b32_e32 v9, 0x7fffffff, v0
	s_delay_alu instid0(VALU_DEP_1)
	v_cmpx_gt_u32_e32 0x47800000, v9
	s_xor_b32 s3, exec_lo, s3
	s_cbranch_execz .LBB449_405
; %bb.400:
	s_mov_b32 s25, exec_lo
                                        ; implicit-def: $vgpr6
	v_cmpx_lt_u32_e32 0x387fffff, v9
	s_xor_b32 s25, exec_lo, s25
; %bb.401:
	v_bfe_u32 v6, v0, 21, 1
	s_delay_alu instid0(VALU_DEP_1) | instskip(NEXT) | instid1(VALU_DEP_1)
	v_add3_u32 v6, v0, v6, 0x80fffff
	v_lshrrev_b32_e32 v6, 21, v6
; %bb.402:
	s_and_not1_saveexec_b32 s25, s25
; %bb.403:
	v_add_f32_e64 v6, 0x43000000, |v0|
; %bb.404:
	s_or_b32 exec_lo, exec_lo, s25
                                        ; implicit-def: $vgpr9
.LBB449_405:
	s_and_not1_saveexec_b32 s3, s3
; %bb.406:
	v_mov_b32_e32 v6, 0x7f
	v_cmp_lt_u32_e32 vcc_lo, 0x7f800000, v9
	s_delay_alu instid0(VALU_DEP_2)
	v_cndmask_b32_e32 v6, 0x7c, v6, vcc_lo
; %bb.407:
	s_or_b32 exec_lo, exec_lo, s3
	v_lshrrev_b32_e32 v0, 24, v0
	s_delay_alu instid0(VALU_DEP_1)
	v_and_or_b32 v0, 0x80, v0, v6
	global_store_b8 v[3:4], v0, off
.LBB449_408:
	s_mov_b32 s25, 0
	s_mov_b32 s3, -1
.LBB449_409:
	s_and_not1_b32 vcc_lo, exec_lo, s25
	s_cbranch_vccnz .LBB449_417
; %bb.410:
	v_cmp_lt_i16_e32 vcc_lo, 14, v5
	s_mov_b32 s25, -1
	s_cbranch_vccz .LBB449_414
; %bb.411:
	v_cmp_eq_u16_e32 vcc_lo, 15, v5
	s_mov_b32 s2, -1
	s_cbranch_vccz .LBB449_413
; %bb.412:
	v_xor_b32_e32 v0, v1, v2
	v_cls_i32_e32 v6, v2
	s_mov_b32 s3, -1
	s_mov_b32 s2, 0
	s_delay_alu instid0(VALU_DEP_2) | instskip(NEXT) | instid1(VALU_DEP_2)
	v_ashrrev_i32_e32 v0, 31, v0
	v_add_nc_u32_e32 v6, -1, v6
	s_delay_alu instid0(VALU_DEP_2) | instskip(NEXT) | instid1(VALU_DEP_1)
	v_add_nc_u32_e32 v0, 32, v0
	v_min_u32_e32 v0, v6, v0
	s_delay_alu instid0(VALU_DEP_1) | instskip(SKIP_1) | instid1(VALU_DEP_2)
	v_lshlrev_b64 v[9:10], v0, v[1:2]
	v_sub_nc_u32_e32 v0, 32, v0
	v_min_u32_e32 v6, 1, v9
	s_delay_alu instid0(VALU_DEP_1) | instskip(NEXT) | instid1(VALU_DEP_1)
	v_or_b32_e32 v6, v10, v6
	v_cvt_f32_i32_e32 v6, v6
	s_delay_alu instid0(VALU_DEP_1) | instskip(NEXT) | instid1(VALU_DEP_1)
	v_ldexp_f32 v0, v6, v0
	v_bfe_u32 v6, v0, 16, 1
	s_delay_alu instid0(VALU_DEP_1)
	v_add3_u32 v0, v0, v6, 0x7fff
	global_store_d16_hi_b16 v[3:4], v0, off
.LBB449_413:
	s_mov_b32 s25, 0
.LBB449_414:
	s_delay_alu instid0(SALU_CYCLE_1)
	s_and_b32 vcc_lo, exec_lo, s25
	s_cbranch_vccz .LBB449_417
; %bb.415:
	v_cmp_eq_u16_e32 vcc_lo, 11, v5
	s_mov_b32 s2, -1
	s_cbranch_vccz .LBB449_417
; %bb.416:
	v_cmp_ne_u64_e32 vcc_lo, 0, v[1:2]
	s_mov_b32 s3, -1
	s_mov_b32 s2, 0
	v_cndmask_b32_e64 v0, 0, 1, vcc_lo
	global_store_b8 v[3:4], v0, off
.LBB449_417:
.LBB449_418:
	s_and_not1_b32 vcc_lo, exec_lo, s3
	s_cbranch_vccnz .LBB449_331
.LBB449_419:
	v_add_nc_u32_e32 v8, 0x80, v8
	s_mov_b32 s3, -1
	s_branch .LBB449_528
.LBB449_420:
	s_mov_b32 s24, -1
                                        ; implicit-def: $vgpr3_vgpr4
.LBB449_421:
	s_mov_b32 s3, 0
.LBB449_422:
	s_delay_alu instid0(SALU_CYCLE_1)
	s_and_b32 vcc_lo, exec_lo, s3
	s_cbranch_vccz .LBB449_426
; %bb.423:
	v_cmp_eq_u16_e32 vcc_lo, 29, v7
	s_cbranch_vccz .LBB449_425
; %bb.424:
	global_load_b64 v[3:4], v[1:2], off
	s_mov_b32 s2, -1
	s_mov_b32 s24, 0
	s_branch .LBB449_426
.LBB449_425:
	s_mov_b32 s24, -1
                                        ; implicit-def: $vgpr3_vgpr4
.LBB449_426:
	s_mov_b32 s3, 0
.LBB449_427:
	s_delay_alu instid0(SALU_CYCLE_1)
	s_and_b32 vcc_lo, exec_lo, s3
	s_cbranch_vccz .LBB449_445
; %bb.428:
	v_cmp_gt_i16_e32 vcc_lo, 27, v7
	s_cbranch_vccnz .LBB449_431
; %bb.429:
	v_cmp_lt_i16_e32 vcc_lo, 27, v7
	s_cbranch_vccz .LBB449_432
; %bb.430:
	global_load_b32 v3, v[1:2], off
	s_waitcnt vmcnt(1)
	v_mov_b32_e32 v4, 0
	s_mov_b32 s2, 0
	s_branch .LBB449_433
.LBB449_431:
	s_mov_b32 s2, -1
                                        ; implicit-def: $vgpr3_vgpr4
	s_branch .LBB449_436
.LBB449_432:
	s_mov_b32 s2, -1
                                        ; implicit-def: $vgpr3_vgpr4
.LBB449_433:
	s_delay_alu instid0(SALU_CYCLE_1)
	s_and_not1_b32 vcc_lo, exec_lo, s2
	s_cbranch_vccnz .LBB449_435
; %bb.434:
	global_load_u16 v3, v[1:2], off
	s_mov_b32 s2, 0
	s_waitcnt vmcnt(0)
	v_dual_mov_b32 v4, s2 :: v_dual_and_b32 v3, 0xffff, v3
.LBB449_435:
	s_mov_b32 s2, 0
.LBB449_436:
	s_delay_alu instid0(SALU_CYCLE_1)
	s_and_not1_b32 vcc_lo, exec_lo, s2
	s_cbranch_vccnz .LBB449_444
; %bb.437:
	global_load_u8 v5, v[1:2], off
	s_mov_b32 s25, 0
	s_mov_b32 s40, exec_lo
                                        ; implicit-def: $sgpr2_sgpr3
	s_waitcnt vmcnt(0)
	v_cmpx_lt_i16_e32 0x7f, v5
	s_xor_b32 s40, exec_lo, s40
; %bb.438:
	v_cmp_ne_u16_e32 vcc_lo, 0x80, v5
	s_mov_b64 s[2:3], 0
	s_and_b32 s25, vcc_lo, exec_lo
; %bb.439:
	s_or_saveexec_b32 s40, s40
	v_dual_mov_b32 v4, s3 :: v_dual_mov_b32 v3, s2
	s_xor_b32 exec_lo, exec_lo, s40
; %bb.440:
	v_cmp_ne_u16_e32 vcc_lo, 0, v5
	v_mov_b32_e32 v3, 0
	v_mov_b32_e32 v4, 0
	s_and_not1_b32 s2, s25, exec_lo
	s_and_b32 s3, vcc_lo, exec_lo
	s_delay_alu instid0(SALU_CYCLE_1)
	s_or_b32 s25, s2, s3
; %bb.441:
	s_or_b32 exec_lo, exec_lo, s40
	s_and_saveexec_b32 s2, s25
	s_cbranch_execz .LBB449_443
; %bb.442:
	v_and_b32_e32 v3, 0xffff, v5
	v_lshlrev_b32_e32 v5, 24, v5
	s_delay_alu instid0(VALU_DEP_2) | instskip(NEXT) | instid1(VALU_DEP_2)
	v_and_b32_e32 v4, 7, v3
	v_and_b32_e32 v5, 0x80000000, v5
	s_delay_alu instid0(VALU_DEP_2) | instskip(NEXT) | instid1(VALU_DEP_1)
	v_clz_i32_u32_e32 v6, v4
	v_min_u32_e32 v6, 32, v6
	s_delay_alu instid0(VALU_DEP_1) | instskip(SKIP_1) | instid1(VALU_DEP_2)
	v_subrev_nc_u32_e32 v9, 28, v6
	v_sub_nc_u32_e32 v6, 29, v6
	v_lshlrev_b32_e32 v9, v9, v3
	v_bfe_u32 v3, v3, 3, 4
	s_delay_alu instid0(VALU_DEP_2) | instskip(NEXT) | instid1(VALU_DEP_2)
	v_and_b32_e32 v9, 7, v9
	v_cmp_eq_u32_e32 vcc_lo, 0, v3
	s_delay_alu instid0(VALU_DEP_2) | instskip(NEXT) | instid1(VALU_DEP_1)
	v_dual_cndmask_b32 v3, v3, v6 :: v_dual_cndmask_b32 v4, v4, v9
	v_lshl_add_u32 v3, v3, 23, 0x3b800000
	s_delay_alu instid0(VALU_DEP_2) | instskip(NEXT) | instid1(VALU_DEP_1)
	v_lshlrev_b32_e32 v4, 20, v4
	v_or3_b32 v3, v5, v3, v4
	s_delay_alu instid0(VALU_DEP_1) | instskip(NEXT) | instid1(VALU_DEP_1)
	v_trunc_f32_e32 v3, v3
	v_mul_f32_e64 v4, 0x2f800000, |v3|
	v_ashrrev_i32_e32 v6, 31, v3
	s_delay_alu instid0(VALU_DEP_2) | instskip(NEXT) | instid1(VALU_DEP_1)
	v_floor_f32_e32 v4, v4
	v_fma_f32 v5, 0xcf800000, v4, |v3|
	v_cvt_u32_f32_e32 v4, v4
	s_delay_alu instid0(VALU_DEP_2) | instskip(NEXT) | instid1(VALU_DEP_2)
	v_cvt_u32_f32_e32 v3, v5
	v_xor_b32_e32 v4, v4, v6
	s_delay_alu instid0(VALU_DEP_2) | instskip(NEXT) | instid1(VALU_DEP_1)
	v_xor_b32_e32 v3, v3, v6
	v_sub_co_u32 v3, vcc_lo, v3, v6
	s_delay_alu instid0(VALU_DEP_3)
	v_sub_co_ci_u32_e32 v4, vcc_lo, v4, v6, vcc_lo
.LBB449_443:
	s_or_b32 exec_lo, exec_lo, s2
.LBB449_444:
	s_mov_b32 s2, -1
.LBB449_445:
	s_mov_b32 s3, 0
.LBB449_446:
	s_delay_alu instid0(SALU_CYCLE_1)
	s_and_b32 vcc_lo, exec_lo, s3
	s_cbranch_vccz .LBB449_477
; %bb.447:
	v_cmp_lt_i16_e32 vcc_lo, 22, v7
	s_cbranch_vccz .LBB449_457
; %bb.448:
	v_cmp_gt_i16_e32 vcc_lo, 24, v7
	s_cbranch_vccnz .LBB449_458
; %bb.449:
	v_cmp_lt_i16_e32 vcc_lo, 24, v7
	s_cbranch_vccz .LBB449_459
; %bb.450:
	global_load_u8 v5, v[1:2], off
	s_mov_b32 s25, 0
	s_mov_b32 s40, exec_lo
                                        ; implicit-def: $sgpr2_sgpr3
	s_waitcnt vmcnt(0)
	v_cmpx_lt_i16_e32 0x7f, v5
	s_xor_b32 s40, exec_lo, s40
; %bb.451:
	v_cmp_ne_u16_e32 vcc_lo, 0x80, v5
	s_mov_b64 s[2:3], 0
	s_and_b32 s25, vcc_lo, exec_lo
; %bb.452:
	s_or_saveexec_b32 s40, s40
	v_dual_mov_b32 v4, s3 :: v_dual_mov_b32 v3, s2
	s_xor_b32 exec_lo, exec_lo, s40
; %bb.453:
	v_cmp_ne_u16_e32 vcc_lo, 0, v5
	v_mov_b32_e32 v3, 0
	v_mov_b32_e32 v4, 0
	s_and_not1_b32 s2, s25, exec_lo
	s_and_b32 s3, vcc_lo, exec_lo
	s_delay_alu instid0(SALU_CYCLE_1)
	s_or_b32 s25, s2, s3
; %bb.454:
	s_or_b32 exec_lo, exec_lo, s40
	s_and_saveexec_b32 s2, s25
	s_cbranch_execz .LBB449_456
; %bb.455:
	v_and_b32_e32 v3, 0xffff, v5
	v_lshlrev_b32_e32 v5, 24, v5
	s_delay_alu instid0(VALU_DEP_2) | instskip(NEXT) | instid1(VALU_DEP_2)
	v_and_b32_e32 v4, 3, v3
	v_and_b32_e32 v5, 0x80000000, v5
	s_delay_alu instid0(VALU_DEP_2) | instskip(NEXT) | instid1(VALU_DEP_1)
	v_clz_i32_u32_e32 v6, v4
	v_min_u32_e32 v6, 32, v6
	s_delay_alu instid0(VALU_DEP_1) | instskip(SKIP_1) | instid1(VALU_DEP_2)
	v_subrev_nc_u32_e32 v9, 29, v6
	v_sub_nc_u32_e32 v6, 30, v6
	v_lshlrev_b32_e32 v9, v9, v3
	v_bfe_u32 v3, v3, 2, 5
	s_delay_alu instid0(VALU_DEP_2) | instskip(NEXT) | instid1(VALU_DEP_2)
	v_and_b32_e32 v9, 3, v9
	v_cmp_eq_u32_e32 vcc_lo, 0, v3
	s_delay_alu instid0(VALU_DEP_2) | instskip(NEXT) | instid1(VALU_DEP_1)
	v_dual_cndmask_b32 v3, v3, v6 :: v_dual_cndmask_b32 v4, v4, v9
	v_lshl_add_u32 v3, v3, 23, 0x37800000
	s_delay_alu instid0(VALU_DEP_2) | instskip(NEXT) | instid1(VALU_DEP_1)
	v_lshlrev_b32_e32 v4, 21, v4
	v_or3_b32 v3, v5, v3, v4
	s_delay_alu instid0(VALU_DEP_1) | instskip(NEXT) | instid1(VALU_DEP_1)
	v_trunc_f32_e32 v3, v3
	v_mul_f32_e64 v4, 0x2f800000, |v3|
	v_ashrrev_i32_e32 v6, 31, v3
	s_delay_alu instid0(VALU_DEP_2) | instskip(NEXT) | instid1(VALU_DEP_1)
	v_floor_f32_e32 v4, v4
	v_fma_f32 v5, 0xcf800000, v4, |v3|
	v_cvt_u32_f32_e32 v4, v4
	s_delay_alu instid0(VALU_DEP_2) | instskip(NEXT) | instid1(VALU_DEP_2)
	v_cvt_u32_f32_e32 v3, v5
	v_xor_b32_e32 v4, v4, v6
	s_delay_alu instid0(VALU_DEP_2) | instskip(NEXT) | instid1(VALU_DEP_1)
	v_xor_b32_e32 v3, v3, v6
	v_sub_co_u32 v3, vcc_lo, v3, v6
	s_delay_alu instid0(VALU_DEP_3)
	v_sub_co_ci_u32_e32 v4, vcc_lo, v4, v6, vcc_lo
.LBB449_456:
	s_or_b32 exec_lo, exec_lo, s2
	s_mov_b32 s2, 0
	s_branch .LBB449_460
.LBB449_457:
	s_mov_b32 s3, -1
                                        ; implicit-def: $vgpr3_vgpr4
	s_branch .LBB449_466
.LBB449_458:
	s_mov_b32 s2, -1
                                        ; implicit-def: $vgpr3_vgpr4
	s_branch .LBB449_463
.LBB449_459:
	s_mov_b32 s2, -1
                                        ; implicit-def: $vgpr3_vgpr4
.LBB449_460:
	s_delay_alu instid0(SALU_CYCLE_1)
	s_and_b32 vcc_lo, exec_lo, s2
	s_cbranch_vccz .LBB449_462
; %bb.461:
	global_load_u8 v3, v[1:2], off
	s_waitcnt vmcnt(0)
	v_lshlrev_b32_e32 v3, 24, v3
	s_delay_alu instid0(VALU_DEP_1) | instskip(NEXT) | instid1(VALU_DEP_1)
	v_and_b32_e32 v4, 0x7f000000, v3
	v_clz_i32_u32_e32 v5, v4
	v_add_nc_u32_e32 v9, 0x1000000, v4
	v_cmp_ne_u32_e32 vcc_lo, 0, v4
	s_delay_alu instid0(VALU_DEP_3) | instskip(NEXT) | instid1(VALU_DEP_1)
	v_min_u32_e32 v5, 32, v5
	v_sub_nc_u32_e64 v5, v5, 4 clamp
	s_delay_alu instid0(VALU_DEP_1) | instskip(SKIP_1) | instid1(VALU_DEP_2)
	v_lshlrev_b32_e32 v6, v5, v4
	v_lshlrev_b32_e32 v5, 23, v5
	v_lshrrev_b32_e32 v6, 4, v6
	s_delay_alu instid0(VALU_DEP_1) | instskip(SKIP_1) | instid1(VALU_DEP_2)
	v_sub_nc_u32_e32 v5, v6, v5
	v_ashrrev_i32_e32 v6, 8, v9
	v_add_nc_u32_e32 v5, 0x3c000000, v5
	s_delay_alu instid0(VALU_DEP_1) | instskip(NEXT) | instid1(VALU_DEP_1)
	v_and_or_b32 v5, 0x7f800000, v6, v5
	v_cndmask_b32_e32 v4, 0, v5, vcc_lo
	s_delay_alu instid0(VALU_DEP_1) | instskip(NEXT) | instid1(VALU_DEP_1)
	v_and_or_b32 v3, 0x80000000, v3, v4
	v_trunc_f32_e32 v3, v3
	s_delay_alu instid0(VALU_DEP_1) | instskip(SKIP_1) | instid1(VALU_DEP_2)
	v_mul_f32_e64 v4, 0x2f800000, |v3|
	v_ashrrev_i32_e32 v6, 31, v3
	v_floor_f32_e32 v4, v4
	s_delay_alu instid0(VALU_DEP_1) | instskip(SKIP_1) | instid1(VALU_DEP_2)
	v_fma_f32 v5, 0xcf800000, v4, |v3|
	v_cvt_u32_f32_e32 v4, v4
	v_cvt_u32_f32_e32 v3, v5
	s_delay_alu instid0(VALU_DEP_2) | instskip(NEXT) | instid1(VALU_DEP_2)
	v_xor_b32_e32 v4, v4, v6
	v_xor_b32_e32 v3, v3, v6
	s_delay_alu instid0(VALU_DEP_1) | instskip(NEXT) | instid1(VALU_DEP_3)
	v_sub_co_u32 v3, vcc_lo, v3, v6
	v_sub_co_ci_u32_e32 v4, vcc_lo, v4, v6, vcc_lo
.LBB449_462:
	s_mov_b32 s2, 0
.LBB449_463:
	s_delay_alu instid0(SALU_CYCLE_1)
	s_and_not1_b32 vcc_lo, exec_lo, s2
	s_cbranch_vccnz .LBB449_465
; %bb.464:
	global_load_u8 v3, v[1:2], off
	s_waitcnt vmcnt(0)
	v_lshlrev_b32_e32 v4, 25, v3
	v_lshlrev_b16 v3, 8, v3
	s_delay_alu instid0(VALU_DEP_2) | instskip(NEXT) | instid1(VALU_DEP_2)
	v_lshrrev_b32_e32 v5, 4, v4
	v_and_or_b32 v6, 0x7f00, v3, 0.5
	v_bfe_i32 v3, v3, 0, 16
	s_delay_alu instid0(VALU_DEP_3) | instskip(NEXT) | instid1(VALU_DEP_1)
	v_or_b32_e32 v5, 0x70000000, v5
	v_dual_add_f32 v6, -0.5, v6 :: v_dual_mul_f32 v5, 0x7800000, v5
	v_cmp_gt_u32_e32 vcc_lo, 0x8000000, v4
	s_delay_alu instid0(VALU_DEP_2) | instskip(NEXT) | instid1(VALU_DEP_1)
	v_cndmask_b32_e32 v4, v5, v6, vcc_lo
	v_and_or_b32 v3, 0x80000000, v3, v4
	s_delay_alu instid0(VALU_DEP_1) | instskip(NEXT) | instid1(VALU_DEP_1)
	v_trunc_f32_e32 v3, v3
	v_mul_f32_e64 v4, 0x2f800000, |v3|
	v_ashrrev_i32_e32 v6, 31, v3
	s_delay_alu instid0(VALU_DEP_2) | instskip(NEXT) | instid1(VALU_DEP_1)
	v_floor_f32_e32 v4, v4
	v_fma_f32 v5, 0xcf800000, v4, |v3|
	v_cvt_u32_f32_e32 v4, v4
	s_delay_alu instid0(VALU_DEP_2) | instskip(NEXT) | instid1(VALU_DEP_2)
	v_cvt_u32_f32_e32 v3, v5
	v_xor_b32_e32 v4, v4, v6
	s_delay_alu instid0(VALU_DEP_2) | instskip(NEXT) | instid1(VALU_DEP_1)
	v_xor_b32_e32 v3, v3, v6
	v_sub_co_u32 v3, vcc_lo, v3, v6
	s_delay_alu instid0(VALU_DEP_3)
	v_sub_co_ci_u32_e32 v4, vcc_lo, v4, v6, vcc_lo
.LBB449_465:
	s_mov_b32 s3, 0
	s_mov_b32 s2, -1
.LBB449_466:
	s_and_not1_b32 vcc_lo, exec_lo, s3
	s_cbranch_vccnz .LBB449_477
; %bb.467:
	v_cmp_lt_i16_e32 vcc_lo, 14, v7
	s_cbranch_vccz .LBB449_470
; %bb.468:
	v_cmp_eq_u16_e32 vcc_lo, 15, v7
	s_cbranch_vccz .LBB449_471
; %bb.469:
	global_load_u16 v3, v[1:2], off
	s_mov_b32 s2, -1
	s_mov_b32 s24, 0
	s_waitcnt vmcnt(0)
	v_lshlrev_b32_e32 v3, 16, v3
	s_delay_alu instid0(VALU_DEP_1) | instskip(NEXT) | instid1(VALU_DEP_1)
	v_trunc_f32_e32 v3, v3
	v_mul_f32_e64 v4, 0x2f800000, |v3|
	v_ashrrev_i32_e32 v6, 31, v3
	s_delay_alu instid0(VALU_DEP_2) | instskip(NEXT) | instid1(VALU_DEP_1)
	v_floor_f32_e32 v4, v4
	v_fma_f32 v5, 0xcf800000, v4, |v3|
	v_cvt_u32_f32_e32 v4, v4
	s_delay_alu instid0(VALU_DEP_2) | instskip(NEXT) | instid1(VALU_DEP_2)
	v_cvt_u32_f32_e32 v3, v5
	v_xor_b32_e32 v4, v4, v6
	s_delay_alu instid0(VALU_DEP_2) | instskip(NEXT) | instid1(VALU_DEP_1)
	v_xor_b32_e32 v3, v3, v6
	v_sub_co_u32 v3, vcc_lo, v3, v6
	s_delay_alu instid0(VALU_DEP_3)
	v_sub_co_ci_u32_e32 v4, vcc_lo, v4, v6, vcc_lo
	s_branch .LBB449_472
.LBB449_470:
	s_mov_b32 s3, -1
                                        ; implicit-def: $vgpr3_vgpr4
	s_branch .LBB449_473
.LBB449_471:
	s_mov_b32 s24, -1
                                        ; implicit-def: $vgpr3_vgpr4
.LBB449_472:
	s_mov_b32 s3, 0
.LBB449_473:
	s_delay_alu instid0(SALU_CYCLE_1)
	s_and_b32 vcc_lo, exec_lo, s3
	s_cbranch_vccz .LBB449_477
; %bb.474:
	v_cmp_eq_u16_e32 vcc_lo, 11, v7
	s_cbranch_vccz .LBB449_476
; %bb.475:
	global_load_u8 v3, v[1:2], off
	s_mov_b32 s24, 0
	s_mov_b32 s2, -1
	s_waitcnt vmcnt(1)
	v_mov_b32_e32 v4, s24
	s_waitcnt vmcnt(0)
	v_cmp_ne_u16_e32 vcc_lo, 0, v3
	v_cndmask_b32_e64 v3, 0, 1, vcc_lo
	s_branch .LBB449_477
.LBB449_476:
	s_mov_b32 s24, -1
                                        ; implicit-def: $vgpr3_vgpr4
.LBB449_477:
	s_branch .LBB449_284
.LBB449_478:
	v_cmp_gt_i16_e32 vcc_lo, 5, v7
	s_cbranch_vccnz .LBB449_483
; %bb.479:
	v_cmp_gt_i16_e32 vcc_lo, 8, v7
	s_cbranch_vccnz .LBB449_484
; %bb.480:
	;; [unrolled: 3-line block ×3, first 2 shown]
	v_cmp_lt_i16_e32 vcc_lo, 9, v7
	s_cbranch_vccz .LBB449_486
; %bb.482:
	global_load_b64 v[3:4], v[1:2], off
	s_mov_b32 s2, 0
	s_waitcnt vmcnt(0)
	v_trunc_f64_e32 v[3:4], v[3:4]
	s_delay_alu instid0(VALU_DEP_1) | instskip(NEXT) | instid1(VALU_DEP_1)
	v_ldexp_f64 v[5:6], v[3:4], 0xffffffe0
	v_floor_f64_e32 v[5:6], v[5:6]
	s_delay_alu instid0(VALU_DEP_1) | instskip(SKIP_1) | instid1(VALU_DEP_2)
	v_fma_f64 v[9:10], 0xc1f00000, v[5:6], v[3:4]
	v_cvt_i32_f64_e32 v4, v[5:6]
	v_cvt_u32_f64_e32 v3, v[9:10]
	s_branch .LBB449_487
.LBB449_483:
	s_mov_b32 s2, -1
                                        ; implicit-def: $vgpr3_vgpr4
	s_branch .LBB449_505
.LBB449_484:
	s_mov_b32 s2, -1
                                        ; implicit-def: $vgpr3_vgpr4
	s_branch .LBB449_493
.LBB449_485:
	s_mov_b32 s2, -1
                                        ; implicit-def: $vgpr3_vgpr4
	s_branch .LBB449_490
.LBB449_486:
	s_mov_b32 s2, -1
                                        ; implicit-def: $vgpr3_vgpr4
.LBB449_487:
	s_delay_alu instid0(SALU_CYCLE_1)
	s_and_not1_b32 vcc_lo, exec_lo, s2
	s_cbranch_vccnz .LBB449_489
; %bb.488:
	global_load_b32 v3, v[1:2], off
	s_waitcnt vmcnt(0)
	v_trunc_f32_e32 v3, v3
	s_delay_alu instid0(VALU_DEP_1) | instskip(SKIP_1) | instid1(VALU_DEP_2)
	v_mul_f32_e64 v4, 0x2f800000, |v3|
	v_ashrrev_i32_e32 v6, 31, v3
	v_floor_f32_e32 v4, v4
	s_delay_alu instid0(VALU_DEP_1) | instskip(SKIP_1) | instid1(VALU_DEP_2)
	v_fma_f32 v5, 0xcf800000, v4, |v3|
	v_cvt_u32_f32_e32 v4, v4
	v_cvt_u32_f32_e32 v3, v5
	s_delay_alu instid0(VALU_DEP_2) | instskip(NEXT) | instid1(VALU_DEP_2)
	v_xor_b32_e32 v4, v4, v6
	v_xor_b32_e32 v3, v3, v6
	s_delay_alu instid0(VALU_DEP_1) | instskip(NEXT) | instid1(VALU_DEP_3)
	v_sub_co_u32 v3, vcc_lo, v3, v6
	v_sub_co_ci_u32_e32 v4, vcc_lo, v4, v6, vcc_lo
.LBB449_489:
	s_mov_b32 s2, 0
.LBB449_490:
	s_delay_alu instid0(SALU_CYCLE_1)
	s_and_not1_b32 vcc_lo, exec_lo, s2
	s_cbranch_vccnz .LBB449_492
; %bb.491:
	global_load_b32 v3, v[1:2], off
	s_waitcnt vmcnt(0)
	v_cvt_f32_f16_e32 v3, v3
	s_delay_alu instid0(VALU_DEP_1) | instskip(NEXT) | instid1(VALU_DEP_1)
	v_cvt_i32_f32_e32 v3, v3
	v_ashrrev_i32_e32 v4, 31, v3
.LBB449_492:
	s_mov_b32 s2, 0
.LBB449_493:
	s_delay_alu instid0(SALU_CYCLE_1)
	s_and_not1_b32 vcc_lo, exec_lo, s2
	s_cbranch_vccnz .LBB449_504
; %bb.494:
	v_cmp_gt_i16_e32 vcc_lo, 6, v7
	s_cbranch_vccnz .LBB449_497
; %bb.495:
	v_cmp_lt_i16_e32 vcc_lo, 6, v7
	s_cbranch_vccz .LBB449_498
; %bb.496:
	global_load_b64 v[3:4], v[1:2], off
	s_mov_b32 s2, 0
	s_waitcnt vmcnt(0)
	v_trunc_f64_e32 v[3:4], v[3:4]
	s_delay_alu instid0(VALU_DEP_1) | instskip(NEXT) | instid1(VALU_DEP_1)
	v_ldexp_f64 v[5:6], v[3:4], 0xffffffe0
	v_floor_f64_e32 v[5:6], v[5:6]
	s_delay_alu instid0(VALU_DEP_1) | instskip(SKIP_1) | instid1(VALU_DEP_2)
	v_fma_f64 v[9:10], 0xc1f00000, v[5:6], v[3:4]
	v_cvt_i32_f64_e32 v4, v[5:6]
	v_cvt_u32_f64_e32 v3, v[9:10]
	s_branch .LBB449_499
.LBB449_497:
	s_mov_b32 s2, -1
                                        ; implicit-def: $vgpr3_vgpr4
	s_branch .LBB449_502
.LBB449_498:
	s_mov_b32 s2, -1
                                        ; implicit-def: $vgpr3_vgpr4
.LBB449_499:
	s_delay_alu instid0(SALU_CYCLE_1)
	s_and_not1_b32 vcc_lo, exec_lo, s2
	s_cbranch_vccnz .LBB449_501
; %bb.500:
	global_load_b32 v3, v[1:2], off
	s_waitcnt vmcnt(0)
	v_trunc_f32_e32 v3, v3
	s_delay_alu instid0(VALU_DEP_1) | instskip(SKIP_1) | instid1(VALU_DEP_2)
	v_mul_f32_e64 v4, 0x2f800000, |v3|
	v_ashrrev_i32_e32 v6, 31, v3
	v_floor_f32_e32 v4, v4
	s_delay_alu instid0(VALU_DEP_1) | instskip(SKIP_1) | instid1(VALU_DEP_2)
	v_fma_f32 v5, 0xcf800000, v4, |v3|
	v_cvt_u32_f32_e32 v4, v4
	v_cvt_u32_f32_e32 v3, v5
	s_delay_alu instid0(VALU_DEP_2) | instskip(NEXT) | instid1(VALU_DEP_2)
	v_xor_b32_e32 v4, v4, v6
	v_xor_b32_e32 v3, v3, v6
	s_delay_alu instid0(VALU_DEP_1) | instskip(NEXT) | instid1(VALU_DEP_3)
	v_sub_co_u32 v3, vcc_lo, v3, v6
	v_sub_co_ci_u32_e32 v4, vcc_lo, v4, v6, vcc_lo
.LBB449_501:
	s_mov_b32 s2, 0
.LBB449_502:
	s_delay_alu instid0(SALU_CYCLE_1)
	s_and_not1_b32 vcc_lo, exec_lo, s2
	s_cbranch_vccnz .LBB449_504
; %bb.503:
	global_load_u16 v3, v[1:2], off
	s_waitcnt vmcnt(0)
	v_cvt_f32_f16_e32 v3, v3
	s_delay_alu instid0(VALU_DEP_1) | instskip(NEXT) | instid1(VALU_DEP_1)
	v_cvt_i32_f32_e32 v3, v3
	v_ashrrev_i32_e32 v4, 31, v3
.LBB449_504:
	s_mov_b32 s2, 0
.LBB449_505:
	s_delay_alu instid0(SALU_CYCLE_1)
	s_and_not1_b32 vcc_lo, exec_lo, s2
	s_cbranch_vccnz .LBB449_525
; %bb.506:
	v_cmp_gt_i16_e32 vcc_lo, 2, v7
	s_cbranch_vccnz .LBB449_510
; %bb.507:
	v_cmp_gt_i16_e32 vcc_lo, 3, v7
	s_cbranch_vccnz .LBB449_511
; %bb.508:
	v_cmp_lt_i16_e32 vcc_lo, 3, v7
	s_cbranch_vccz .LBB449_512
; %bb.509:
	global_load_b64 v[3:4], v[1:2], off
	s_mov_b32 s2, 0
	s_branch .LBB449_513
.LBB449_510:
	s_mov_b32 s2, -1
                                        ; implicit-def: $vgpr3_vgpr4
	s_branch .LBB449_519
.LBB449_511:
	s_mov_b32 s2, -1
                                        ; implicit-def: $vgpr3_vgpr4
	s_branch .LBB449_516
.LBB449_512:
	s_mov_b32 s2, -1
                                        ; implicit-def: $vgpr3_vgpr4
.LBB449_513:
	s_delay_alu instid0(SALU_CYCLE_1)
	s_and_not1_b32 vcc_lo, exec_lo, s2
	s_cbranch_vccnz .LBB449_515
; %bb.514:
	global_load_b32 v3, v[1:2], off
	s_waitcnt vmcnt(0)
	v_ashrrev_i32_e32 v4, 31, v3
.LBB449_515:
	s_mov_b32 s2, 0
.LBB449_516:
	s_delay_alu instid0(SALU_CYCLE_1)
	s_and_not1_b32 vcc_lo, exec_lo, s2
	s_cbranch_vccnz .LBB449_518
; %bb.517:
	global_load_u16 v3, v[1:2], off
	s_waitcnt vmcnt(0)
	v_bfe_i32 v3, v3, 0, 16
	s_delay_alu instid0(VALU_DEP_1)
	v_ashrrev_i32_e32 v4, 31, v3
.LBB449_518:
	s_mov_b32 s2, 0
.LBB449_519:
	s_delay_alu instid0(SALU_CYCLE_1)
	s_and_not1_b32 vcc_lo, exec_lo, s2
	s_cbranch_vccnz .LBB449_525
; %bb.520:
	v_cmp_lt_i16_e32 vcc_lo, 0, v7
	s_mov_b32 s2, 0
	s_cbranch_vccz .LBB449_522
; %bb.521:
	global_load_i8 v3, v[1:2], off
	s_waitcnt vmcnt(0)
	v_bfe_i32 v3, v3, 0, 16
	s_delay_alu instid0(VALU_DEP_1)
	v_ashrrev_i32_e32 v4, 31, v3
	s_branch .LBB449_523
.LBB449_522:
	s_mov_b32 s2, -1
                                        ; implicit-def: $vgpr3_vgpr4
.LBB449_523:
	s_delay_alu instid0(SALU_CYCLE_1)
	s_and_not1_b32 vcc_lo, exec_lo, s2
	s_cbranch_vccnz .LBB449_525
; %bb.524:
	global_load_u8 v1, v[1:2], off
	s_mov_b32 s2, 0
	s_waitcnt vmcnt(0)
	v_dual_mov_b32 v4, s2 :: v_dual_and_b32 v3, 0xffff, v1
.LBB449_525:
	s_branch .LBB449_285
.LBB449_526:
	s_mov_b32 s3, 0
	s_mov_b32 s2, s37
.LBB449_527:
                                        ; implicit-def: $vgpr8
.LBB449_528:
	s_and_not1_b32 s25, s37, exec_lo
	s_and_b32 s2, s2, exec_lo
	s_and_not1_b32 s40, s38, exec_lo
	s_and_b32 s24, s24, exec_lo
	s_or_b32 s41, s25, s2
	s_or_b32 s40, s40, s24
	s_or_not1_b32 s2, s3, exec_lo
.LBB449_529:
	s_or_b32 exec_lo, exec_lo, s42
	s_mov_b32 s3, 0
	s_mov_b32 s25, 0
	s_mov_b32 s43, 0
                                        ; implicit-def: $vgpr1_vgpr2
                                        ; implicit-def: $vgpr0
                                        ; implicit-def: $vgpr5_vgpr6
	s_and_saveexec_b32 s42, s2
	s_cbranch_execz .LBB449_893
; %bb.530:
	s_mov_b32 s45, -1
	s_mov_b32 s24, s40
	s_mov_b32 s25, s41
	s_mov_b32 s43, exec_lo
	v_cmpx_gt_i32_e64 s34, v8
	s_cbranch_execz .LBB449_798
; %bb.531:
	s_and_not1_b32 vcc_lo, exec_lo, s29
	s_cbranch_vccnz .LBB449_536
; %bb.532:
	v_dual_mov_b32 v0, 0 :: v_dual_mov_b32 v1, 0
	s_and_not1_b32 vcc_lo, exec_lo, s36
	s_mov_b32 s44, 0
	s_cbranch_vccnz .LBB449_541
; %bb.533:
	v_mov_b32_e32 v0, 0
	s_add_i32 s46, s35, 1
	s_cmp_eq_u32 s27, 2
	s_mov_b32 s45, 0
	s_cbranch_scc1 .LBB449_537
; %bb.534:
	v_dual_mov_b32 v1, 0 :: v_dual_mov_b32 v0, 0
	v_mov_b32_e32 v2, v8
	s_and_b32 s45, s46, 28
	s_mov_b32 s47, 0
	s_mov_b64 s[2:3], s[22:23]
	s_mov_b64 s[24:25], s[16:17]
.LBB449_535:                            ; =>This Inner Loop Header: Depth=1
	s_clause 0x1
	s_load_b256 s[48:55], s[24:25], 0x4
	s_load_b128 s[64:67], s[24:25], 0x24
	s_load_b256 s[56:63], s[2:3], 0x0
	s_add_u32 s24, s24, 48
	s_addc_u32 s25, s25, 0
	s_add_i32 s47, s47, 4
	s_add_u32 s2, s2, 32
	s_addc_u32 s3, s3, 0
	s_cmp_eq_u32 s45, s47
	s_waitcnt vmcnt(0) lgkmcnt(0)
	v_mul_hi_u32 v3, s49, v2
	s_delay_alu instid0(VALU_DEP_1) | instskip(NEXT) | instid1(VALU_DEP_1)
	v_add_nc_u32_e32 v3, v2, v3
	v_lshrrev_b32_e32 v3, s50, v3
	s_delay_alu instid0(VALU_DEP_1) | instskip(SKIP_1) | instid1(VALU_DEP_2)
	v_mul_hi_u32 v4, s52, v3
	v_mul_lo_u32 v6, v3, s48
	v_add_nc_u32_e32 v4, v3, v4
	s_delay_alu instid0(VALU_DEP_2) | instskip(NEXT) | instid1(VALU_DEP_2)
	v_sub_nc_u32_e32 v2, v2, v6
	v_lshrrev_b32_e32 v4, s53, v4
	s_delay_alu instid0(VALU_DEP_2) | instskip(SKIP_1) | instid1(VALU_DEP_3)
	v_mul_lo_u32 v6, v2, s56
	v_mul_lo_u32 v10, v2, s57
	v_mul_hi_u32 v5, s55, v4
	s_delay_alu instid0(VALU_DEP_1) | instskip(NEXT) | instid1(VALU_DEP_1)
	v_add_nc_u32_e32 v5, v4, v5
	v_lshrrev_b32_e32 v5, s64, v5
	s_delay_alu instid0(VALU_DEP_1) | instskip(SKIP_1) | instid1(VALU_DEP_2)
	v_mul_hi_u32 v9, s66, v5
	v_mul_lo_u32 v11, v5, s54
	v_add_nc_u32_e32 v2, v5, v9
	v_mul_lo_u32 v9, v4, s51
	s_delay_alu instid0(VALU_DEP_3) | instskip(NEXT) | instid1(VALU_DEP_3)
	v_sub_nc_u32_e32 v4, v4, v11
	v_lshrrev_b32_e32 v2, s67, v2
	s_delay_alu instid0(VALU_DEP_2) | instskip(SKIP_2) | instid1(VALU_DEP_4)
	v_mul_lo_u32 v11, v4, s60
	v_mul_lo_u32 v4, v4, s61
	v_sub_nc_u32_e32 v3, v3, v9
	v_mul_lo_u32 v12, v2, s65
	s_delay_alu instid0(VALU_DEP_2) | instskip(SKIP_1) | instid1(VALU_DEP_3)
	v_mul_lo_u32 v9, v3, s58
	v_mul_lo_u32 v3, v3, s59
	v_sub_nc_u32_e32 v5, v5, v12
	s_delay_alu instid0(VALU_DEP_3) | instskip(NEXT) | instid1(VALU_DEP_2)
	v_add3_u32 v0, v6, v0, v9
	v_mul_lo_u32 v12, v5, s62
	v_mul_lo_u32 v5, v5, s63
	v_add3_u32 v1, v10, v1, v3
	s_delay_alu instid0(VALU_DEP_3) | instskip(NEXT) | instid1(VALU_DEP_2)
	v_add3_u32 v0, v11, v0, v12
	v_add3_u32 v1, v4, v1, v5
	s_cbranch_scc0 .LBB449_535
	s_branch .LBB449_538
.LBB449_536:
	s_mov_b32 s44, -1
                                        ; implicit-def: $vgpr0
                                        ; implicit-def: $vgpr1
	s_branch .LBB449_541
.LBB449_537:
	v_dual_mov_b32 v2, v8 :: v_dual_mov_b32 v1, 0
.LBB449_538:
	s_and_b32 s46, s46, 3
	s_delay_alu instid0(SALU_CYCLE_1)
	s_cmp_eq_u32 s46, 0
	s_cbranch_scc1 .LBB449_541
; %bb.539:
	s_lshl_b32 s2, s45, 3
	s_mul_i32 s24, s45, 12
	s_add_u32 s2, s2, s16
	s_addc_u32 s3, s17, 0
	s_add_u32 s2, s2, 0xc4
	s_addc_u32 s3, s3, 0
	;; [unrolled: 2-line block ×3, first 2 shown]
	.p2align	6
.LBB449_540:                            ; =>This Inner Loop Header: Depth=1
	s_clause 0x1
	s_load_b64 s[48:49], s[24:25], 0x4
	s_load_b32 s45, s[24:25], 0xc
	s_load_b64 s[50:51], s[2:3], 0x0
	s_add_u32 s24, s24, 12
	s_addc_u32 s25, s25, 0
	s_add_u32 s2, s2, 8
	s_addc_u32 s3, s3, 0
	s_add_i32 s46, s46, -1
	s_delay_alu instid0(SALU_CYCLE_1) | instskip(SKIP_2) | instid1(VALU_DEP_1)
	s_cmp_lg_u32 s46, 0
	s_waitcnt vmcnt(0) lgkmcnt(0)
	v_mul_hi_u32 v3, s49, v2
	v_add_nc_u32_e32 v3, v2, v3
	s_delay_alu instid0(VALU_DEP_1) | instskip(NEXT) | instid1(VALU_DEP_1)
	v_lshrrev_b32_e32 v6, s45, v3
	v_mul_lo_u32 v3, v6, s48
	s_delay_alu instid0(VALU_DEP_1) | instskip(NEXT) | instid1(VALU_DEP_1)
	v_sub_nc_u32_e32 v2, v2, v3
	v_mad_u64_u32 v[3:4], null, v2, s50, v[0:1]
	v_mad_u64_u32 v[4:5], null, v2, s51, v[1:2]
	v_mov_b32_e32 v2, v6
	s_delay_alu instid0(VALU_DEP_2)
	v_dual_mov_b32 v0, v3 :: v_dual_mov_b32 v1, v4
	s_cbranch_scc1 .LBB449_540
.LBB449_541:
	s_and_not1_b32 vcc_lo, exec_lo, s44
	s_cbranch_vccnz .LBB449_544
; %bb.542:
	v_mul_hi_u32 v0, s13, v8
	s_and_not1_b32 vcc_lo, exec_lo, s33
	s_delay_alu instid0(VALU_DEP_1) | instskip(NEXT) | instid1(VALU_DEP_1)
	v_add_nc_u32_e32 v0, v8, v0
	v_lshrrev_b32_e32 v2, s14, v0
	s_delay_alu instid0(VALU_DEP_1) | instskip(NEXT) | instid1(VALU_DEP_1)
	v_mul_lo_u32 v0, v2, s12
	v_sub_nc_u32_e32 v1, v8, v0
	s_delay_alu instid0(VALU_DEP_1)
	v_mul_lo_u32 v0, v1, s8
	v_mul_lo_u32 v1, v1, s9
	s_cbranch_vccnz .LBB449_544
; %bb.543:
	s_waitcnt vmcnt(0)
	v_mul_hi_u32 v3, s20, v2
	s_delay_alu instid0(VALU_DEP_1) | instskip(NEXT) | instid1(VALU_DEP_1)
	v_add_nc_u32_e32 v3, v2, v3
	v_lshrrev_b32_e32 v3, s21, v3
	s_delay_alu instid0(VALU_DEP_1) | instskip(NEXT) | instid1(VALU_DEP_1)
	v_mul_lo_u32 v3, v3, s15
	v_sub_nc_u32_e32 v5, v2, v3
	s_delay_alu instid0(VALU_DEP_1) | instskip(NEXT) | instid1(VALU_DEP_1)
	v_mad_u64_u32 v[2:3], null, v5, s10, v[0:1]
	v_mad_u64_u32 v[3:4], null, v5, s11, v[1:2]
	s_delay_alu instid0(VALU_DEP_1)
	v_dual_mov_b32 v0, v2 :: v_dual_mov_b32 v1, v3
.LBB449_544:
	v_cmp_gt_i16_e32 vcc_lo, 11, v7
	s_delay_alu instid0(VALU_DEP_2) | instskip(NEXT) | instid1(VALU_DEP_1)
	v_add_co_u32 v1, s2, s6, v1
	v_add_co_ci_u32_e64 v2, null, s7, 0, s2
	s_mov_b32 s2, 0
	s_cbranch_vccnz .LBB449_551
; %bb.545:
	v_cmp_lt_i16_e32 vcc_lo, 25, v7
	s_cbranch_vccz .LBB449_552
; %bb.546:
	v_cmp_lt_i16_e32 vcc_lo, 28, v7
	s_cbranch_vccz .LBB449_553
	;; [unrolled: 3-line block ×4, first 2 shown]
; %bb.549:
	v_cmp_eq_u16_e32 vcc_lo, 46, v7
	s_mov_b32 s3, 0
	s_cbranch_vccz .LBB449_560
; %bb.550:
	global_load_b32 v3, v[1:2], off
	s_mov_b32 s2, -1
	s_mov_b32 s24, 0
	s_waitcnt vmcnt(0)
	v_lshlrev_b32_e32 v3, 16, v3
	s_delay_alu instid0(VALU_DEP_1) | instskip(NEXT) | instid1(VALU_DEP_1)
	v_trunc_f32_e32 v3, v3
	v_mul_f32_e64 v4, 0x2f800000, |v3|
	v_ashrrev_i32_e32 v6, 31, v3
	s_delay_alu instid0(VALU_DEP_2) | instskip(NEXT) | instid1(VALU_DEP_1)
	v_floor_f32_e32 v4, v4
	v_fma_f32 v5, 0xcf800000, v4, |v3|
	v_cvt_u32_f32_e32 v4, v4
	s_delay_alu instid0(VALU_DEP_2) | instskip(NEXT) | instid1(VALU_DEP_2)
	v_cvt_u32_f32_e32 v3, v5
	v_xor_b32_e32 v4, v4, v6
	s_delay_alu instid0(VALU_DEP_2) | instskip(NEXT) | instid1(VALU_DEP_1)
	v_xor_b32_e32 v3, v3, v6
	v_sub_co_u32 v3, vcc_lo, v3, v6
	s_delay_alu instid0(VALU_DEP_3)
	v_sub_co_ci_u32_e32 v4, vcc_lo, v4, v6, vcc_lo
	s_branch .LBB449_562
.LBB449_551:
	s_mov_b32 s3, -1
	s_mov_b32 s24, s40
                                        ; implicit-def: $vgpr3_vgpr4
	s_branch .LBB449_623
.LBB449_552:
	s_mov_b32 s3, -1
	s_mov_b32 s24, s40
                                        ; implicit-def: $vgpr3_vgpr4
	s_branch .LBB449_591
.LBB449_553:
	s_mov_b32 s3, -1
	s_mov_b32 s24, s40
                                        ; implicit-def: $vgpr3_vgpr4
	s_branch .LBB449_572
.LBB449_554:
	s_mov_b32 s3, -1
	s_mov_b32 s24, s40
                                        ; implicit-def: $vgpr3_vgpr4
	s_branch .LBB449_567
.LBB449_555:
	s_or_saveexec_b32 s40, s40
                                        ; implicit-def: $sgpr41
	s_delay_alu instid0(SALU_CYCLE_1)
	s_xor_b32 exec_lo, exec_lo, s40
	s_cbranch_execz .LBB449_370
.LBB449_556:
	v_add_f32_e64 v6, 0x46000000, |v0|
	s_and_not1_b32 s25, s25, exec_lo
	s_mov_b32 s41, 0
	s_delay_alu instid0(VALU_DEP_1) | instskip(NEXT) | instid1(VALU_DEP_1)
	v_and_b32_e32 v6, 0xff, v6
	v_cmp_ne_u32_e32 vcc_lo, 0, v6
	s_and_b32 s43, vcc_lo, exec_lo
	s_delay_alu instid0(SALU_CYCLE_1)
	s_or_b32 s25, s25, s43
	s_or_b32 exec_lo, exec_lo, s40
	v_mov_b32_e32 v9, s41
	s_and_saveexec_b32 s40, s25
	s_cbranch_execnz .LBB449_371
	s_branch .LBB449_372
.LBB449_557:
	s_mov_b32 s3, -1
	s_mov_b32 s24, s40
	s_branch .LBB449_561
.LBB449_558:
	s_or_saveexec_b32 s40, s40
                                        ; implicit-def: $sgpr41
	s_delay_alu instid0(SALU_CYCLE_1)
	s_xor_b32 exec_lo, exec_lo, s40
	s_cbranch_execz .LBB449_383
.LBB449_559:
	v_add_f32_e64 v6, 0x42800000, |v0|
	s_and_not1_b32 s25, s25, exec_lo
	s_mov_b32 s41, 0
	s_delay_alu instid0(VALU_DEP_1) | instskip(NEXT) | instid1(VALU_DEP_1)
	v_and_b32_e32 v6, 0xff, v6
	v_cmp_ne_u32_e32 vcc_lo, 0, v6
	s_and_b32 s43, vcc_lo, exec_lo
	s_delay_alu instid0(SALU_CYCLE_1)
	s_or_b32 s25, s25, s43
	s_or_b32 exec_lo, exec_lo, s40
	v_mov_b32_e32 v9, s41
	s_and_saveexec_b32 s40, s25
	s_cbranch_execnz .LBB449_384
	s_branch .LBB449_385
.LBB449_560:
	s_mov_b32 s24, -1
.LBB449_561:
                                        ; implicit-def: $vgpr3_vgpr4
.LBB449_562:
	s_and_b32 vcc_lo, exec_lo, s3
	s_cbranch_vccz .LBB449_566
; %bb.563:
	v_cmp_eq_u16_e32 vcc_lo, 44, v7
	s_cbranch_vccz .LBB449_565
; %bb.564:
	global_load_u8 v3, v[1:2], off
	s_mov_b32 s24, 0
	s_mov_b32 s2, -1
	s_waitcnt vmcnt(0)
	v_lshlrev_b32_e32 v4, 23, v3
	s_delay_alu instid0(VALU_DEP_1) | instskip(NEXT) | instid1(VALU_DEP_1)
	v_trunc_f32_e32 v4, v4
	v_mul_f32_e64 v5, 0x2f800000, |v4|
	s_delay_alu instid0(VALU_DEP_1) | instskip(NEXT) | instid1(VALU_DEP_1)
	v_floor_f32_e32 v5, v5
	v_fma_f32 v6, 0xcf800000, v5, |v4|
	v_ashrrev_i32_e32 v4, 31, v4
	v_cvt_u32_f32_e32 v5, v5
	s_delay_alu instid0(VALU_DEP_3) | instskip(NEXT) | instid1(VALU_DEP_2)
	v_cvt_u32_f32_e32 v6, v6
	v_xor_b32_e32 v5, v5, v4
	s_delay_alu instid0(VALU_DEP_2) | instskip(NEXT) | instid1(VALU_DEP_1)
	v_xor_b32_e32 v6, v6, v4
	v_sub_co_u32 v6, vcc_lo, v6, v4
	s_delay_alu instid0(VALU_DEP_3) | instskip(SKIP_1) | instid1(VALU_DEP_2)
	v_sub_co_ci_u32_e32 v4, vcc_lo, v5, v4, vcc_lo
	v_cmp_ne_u32_e32 vcc_lo, 0, v3
	v_dual_cndmask_b32 v3, 0, v6 :: v_dual_cndmask_b32 v4, 0, v4
	s_branch .LBB449_566
.LBB449_565:
	s_mov_b32 s24, -1
                                        ; implicit-def: $vgpr3_vgpr4
.LBB449_566:
	s_mov_b32 s3, 0
.LBB449_567:
	s_delay_alu instid0(SALU_CYCLE_1)
	s_and_b32 vcc_lo, exec_lo, s3
	s_cbranch_vccz .LBB449_571
; %bb.568:
	v_cmp_eq_u16_e32 vcc_lo, 29, v7
	s_cbranch_vccz .LBB449_570
; %bb.569:
	global_load_b64 v[3:4], v[1:2], off
	s_mov_b32 s2, -1
	s_mov_b32 s24, 0
	s_branch .LBB449_571
.LBB449_570:
	s_mov_b32 s24, -1
                                        ; implicit-def: $vgpr3_vgpr4
.LBB449_571:
	s_mov_b32 s3, 0
.LBB449_572:
	s_delay_alu instid0(SALU_CYCLE_1)
	s_and_b32 vcc_lo, exec_lo, s3
	s_cbranch_vccz .LBB449_590
; %bb.573:
	v_cmp_gt_i16_e32 vcc_lo, 27, v7
	s_cbranch_vccnz .LBB449_576
; %bb.574:
	v_cmp_lt_i16_e32 vcc_lo, 27, v7
	s_cbranch_vccz .LBB449_577
; %bb.575:
	global_load_b32 v3, v[1:2], off
	s_waitcnt vmcnt(1)
	v_mov_b32_e32 v4, 0
	s_mov_b32 s2, 0
	s_branch .LBB449_578
.LBB449_576:
	s_mov_b32 s2, -1
                                        ; implicit-def: $vgpr3_vgpr4
	s_branch .LBB449_581
.LBB449_577:
	s_mov_b32 s2, -1
                                        ; implicit-def: $vgpr3_vgpr4
.LBB449_578:
	s_delay_alu instid0(SALU_CYCLE_1)
	s_and_not1_b32 vcc_lo, exec_lo, s2
	s_cbranch_vccnz .LBB449_580
; %bb.579:
	global_load_u16 v3, v[1:2], off
	s_mov_b32 s2, 0
	s_waitcnt vmcnt(0)
	v_dual_mov_b32 v4, s2 :: v_dual_and_b32 v3, 0xffff, v3
.LBB449_580:
	s_mov_b32 s2, 0
.LBB449_581:
	s_delay_alu instid0(SALU_CYCLE_1)
	s_and_not1_b32 vcc_lo, exec_lo, s2
	s_cbranch_vccnz .LBB449_589
; %bb.582:
	global_load_u8 v5, v[1:2], off
	s_mov_b32 s25, 0
	s_mov_b32 s44, exec_lo
                                        ; implicit-def: $sgpr2_sgpr3
	s_waitcnt vmcnt(0)
	v_cmpx_lt_i16_e32 0x7f, v5
	s_xor_b32 s44, exec_lo, s44
; %bb.583:
	v_cmp_ne_u16_e32 vcc_lo, 0x80, v5
	s_mov_b64 s[2:3], 0
	s_and_b32 s25, vcc_lo, exec_lo
; %bb.584:
	s_or_saveexec_b32 s44, s44
	v_dual_mov_b32 v4, s3 :: v_dual_mov_b32 v3, s2
	s_xor_b32 exec_lo, exec_lo, s44
; %bb.585:
	v_cmp_ne_u16_e32 vcc_lo, 0, v5
	v_mov_b32_e32 v3, 0
	v_mov_b32_e32 v4, 0
	s_and_not1_b32 s2, s25, exec_lo
	s_and_b32 s3, vcc_lo, exec_lo
	s_delay_alu instid0(SALU_CYCLE_1)
	s_or_b32 s25, s2, s3
; %bb.586:
	s_or_b32 exec_lo, exec_lo, s44
	s_and_saveexec_b32 s2, s25
	s_cbranch_execz .LBB449_588
; %bb.587:
	v_and_b32_e32 v3, 0xffff, v5
	v_lshlrev_b32_e32 v5, 24, v5
	s_delay_alu instid0(VALU_DEP_2) | instskip(NEXT) | instid1(VALU_DEP_2)
	v_and_b32_e32 v4, 7, v3
	v_and_b32_e32 v5, 0x80000000, v5
	s_delay_alu instid0(VALU_DEP_2) | instskip(NEXT) | instid1(VALU_DEP_1)
	v_clz_i32_u32_e32 v6, v4
	v_min_u32_e32 v6, 32, v6
	s_delay_alu instid0(VALU_DEP_1) | instskip(SKIP_1) | instid1(VALU_DEP_2)
	v_subrev_nc_u32_e32 v9, 28, v6
	v_sub_nc_u32_e32 v6, 29, v6
	v_lshlrev_b32_e32 v9, v9, v3
	v_bfe_u32 v3, v3, 3, 4
	s_delay_alu instid0(VALU_DEP_2) | instskip(NEXT) | instid1(VALU_DEP_2)
	v_and_b32_e32 v9, 7, v9
	v_cmp_eq_u32_e32 vcc_lo, 0, v3
	s_delay_alu instid0(VALU_DEP_2) | instskip(NEXT) | instid1(VALU_DEP_1)
	v_dual_cndmask_b32 v3, v3, v6 :: v_dual_cndmask_b32 v4, v4, v9
	v_lshl_add_u32 v3, v3, 23, 0x3b800000
	s_delay_alu instid0(VALU_DEP_2) | instskip(NEXT) | instid1(VALU_DEP_1)
	v_lshlrev_b32_e32 v4, 20, v4
	v_or3_b32 v3, v5, v3, v4
	s_delay_alu instid0(VALU_DEP_1) | instskip(NEXT) | instid1(VALU_DEP_1)
	v_trunc_f32_e32 v3, v3
	v_mul_f32_e64 v4, 0x2f800000, |v3|
	v_ashrrev_i32_e32 v6, 31, v3
	s_delay_alu instid0(VALU_DEP_2) | instskip(NEXT) | instid1(VALU_DEP_1)
	v_floor_f32_e32 v4, v4
	v_fma_f32 v5, 0xcf800000, v4, |v3|
	v_cvt_u32_f32_e32 v4, v4
	s_delay_alu instid0(VALU_DEP_2) | instskip(NEXT) | instid1(VALU_DEP_2)
	v_cvt_u32_f32_e32 v3, v5
	v_xor_b32_e32 v4, v4, v6
	s_delay_alu instid0(VALU_DEP_2) | instskip(NEXT) | instid1(VALU_DEP_1)
	v_xor_b32_e32 v3, v3, v6
	v_sub_co_u32 v3, vcc_lo, v3, v6
	s_delay_alu instid0(VALU_DEP_3)
	v_sub_co_ci_u32_e32 v4, vcc_lo, v4, v6, vcc_lo
.LBB449_588:
	s_or_b32 exec_lo, exec_lo, s2
.LBB449_589:
	s_mov_b32 s2, -1
.LBB449_590:
	s_mov_b32 s3, 0
.LBB449_591:
	s_delay_alu instid0(SALU_CYCLE_1)
	s_and_b32 vcc_lo, exec_lo, s3
	s_cbranch_vccz .LBB449_622
; %bb.592:
	v_cmp_lt_i16_e32 vcc_lo, 22, v7
	s_cbranch_vccz .LBB449_602
; %bb.593:
	v_cmp_gt_i16_e32 vcc_lo, 24, v7
	s_cbranch_vccnz .LBB449_603
; %bb.594:
	v_cmp_lt_i16_e32 vcc_lo, 24, v7
	s_cbranch_vccz .LBB449_604
; %bb.595:
	global_load_u8 v5, v[1:2], off
	s_mov_b32 s25, 0
	s_mov_b32 s44, exec_lo
                                        ; implicit-def: $sgpr2_sgpr3
	s_waitcnt vmcnt(0)
	v_cmpx_lt_i16_e32 0x7f, v5
	s_xor_b32 s44, exec_lo, s44
; %bb.596:
	v_cmp_ne_u16_e32 vcc_lo, 0x80, v5
	s_mov_b64 s[2:3], 0
	s_and_b32 s25, vcc_lo, exec_lo
; %bb.597:
	s_or_saveexec_b32 s44, s44
	v_dual_mov_b32 v4, s3 :: v_dual_mov_b32 v3, s2
	s_xor_b32 exec_lo, exec_lo, s44
; %bb.598:
	v_cmp_ne_u16_e32 vcc_lo, 0, v5
	v_mov_b32_e32 v3, 0
	v_mov_b32_e32 v4, 0
	s_and_not1_b32 s2, s25, exec_lo
	s_and_b32 s3, vcc_lo, exec_lo
	s_delay_alu instid0(SALU_CYCLE_1)
	s_or_b32 s25, s2, s3
; %bb.599:
	s_or_b32 exec_lo, exec_lo, s44
	s_and_saveexec_b32 s2, s25
	s_cbranch_execz .LBB449_601
; %bb.600:
	v_and_b32_e32 v3, 0xffff, v5
	v_lshlrev_b32_e32 v5, 24, v5
	s_delay_alu instid0(VALU_DEP_2) | instskip(NEXT) | instid1(VALU_DEP_2)
	v_and_b32_e32 v4, 3, v3
	v_and_b32_e32 v5, 0x80000000, v5
	s_delay_alu instid0(VALU_DEP_2) | instskip(NEXT) | instid1(VALU_DEP_1)
	v_clz_i32_u32_e32 v6, v4
	v_min_u32_e32 v6, 32, v6
	s_delay_alu instid0(VALU_DEP_1) | instskip(SKIP_1) | instid1(VALU_DEP_2)
	v_subrev_nc_u32_e32 v9, 29, v6
	v_sub_nc_u32_e32 v6, 30, v6
	v_lshlrev_b32_e32 v9, v9, v3
	v_bfe_u32 v3, v3, 2, 5
	s_delay_alu instid0(VALU_DEP_2) | instskip(NEXT) | instid1(VALU_DEP_2)
	v_and_b32_e32 v9, 3, v9
	v_cmp_eq_u32_e32 vcc_lo, 0, v3
	s_delay_alu instid0(VALU_DEP_2) | instskip(NEXT) | instid1(VALU_DEP_1)
	v_dual_cndmask_b32 v3, v3, v6 :: v_dual_cndmask_b32 v4, v4, v9
	v_lshl_add_u32 v3, v3, 23, 0x37800000
	s_delay_alu instid0(VALU_DEP_2) | instskip(NEXT) | instid1(VALU_DEP_1)
	v_lshlrev_b32_e32 v4, 21, v4
	v_or3_b32 v3, v5, v3, v4
	s_delay_alu instid0(VALU_DEP_1) | instskip(NEXT) | instid1(VALU_DEP_1)
	v_trunc_f32_e32 v3, v3
	v_mul_f32_e64 v4, 0x2f800000, |v3|
	v_ashrrev_i32_e32 v6, 31, v3
	s_delay_alu instid0(VALU_DEP_2) | instskip(NEXT) | instid1(VALU_DEP_1)
	v_floor_f32_e32 v4, v4
	v_fma_f32 v5, 0xcf800000, v4, |v3|
	v_cvt_u32_f32_e32 v4, v4
	s_delay_alu instid0(VALU_DEP_2) | instskip(NEXT) | instid1(VALU_DEP_2)
	v_cvt_u32_f32_e32 v3, v5
	v_xor_b32_e32 v4, v4, v6
	s_delay_alu instid0(VALU_DEP_2) | instskip(NEXT) | instid1(VALU_DEP_1)
	v_xor_b32_e32 v3, v3, v6
	v_sub_co_u32 v3, vcc_lo, v3, v6
	s_delay_alu instid0(VALU_DEP_3)
	v_sub_co_ci_u32_e32 v4, vcc_lo, v4, v6, vcc_lo
.LBB449_601:
	s_or_b32 exec_lo, exec_lo, s2
	s_mov_b32 s2, 0
	s_branch .LBB449_605
.LBB449_602:
	s_mov_b32 s3, -1
                                        ; implicit-def: $vgpr3_vgpr4
	s_branch .LBB449_611
.LBB449_603:
	s_mov_b32 s2, -1
                                        ; implicit-def: $vgpr3_vgpr4
	s_branch .LBB449_608
.LBB449_604:
	s_mov_b32 s2, -1
                                        ; implicit-def: $vgpr3_vgpr4
.LBB449_605:
	s_delay_alu instid0(SALU_CYCLE_1)
	s_and_b32 vcc_lo, exec_lo, s2
	s_cbranch_vccz .LBB449_607
; %bb.606:
	global_load_u8 v3, v[1:2], off
	s_waitcnt vmcnt(0)
	v_lshlrev_b32_e32 v3, 24, v3
	s_delay_alu instid0(VALU_DEP_1) | instskip(NEXT) | instid1(VALU_DEP_1)
	v_and_b32_e32 v4, 0x7f000000, v3
	v_clz_i32_u32_e32 v5, v4
	v_add_nc_u32_e32 v9, 0x1000000, v4
	v_cmp_ne_u32_e32 vcc_lo, 0, v4
	s_delay_alu instid0(VALU_DEP_3) | instskip(NEXT) | instid1(VALU_DEP_1)
	v_min_u32_e32 v5, 32, v5
	v_sub_nc_u32_e64 v5, v5, 4 clamp
	s_delay_alu instid0(VALU_DEP_1) | instskip(SKIP_1) | instid1(VALU_DEP_2)
	v_lshlrev_b32_e32 v6, v5, v4
	v_lshlrev_b32_e32 v5, 23, v5
	v_lshrrev_b32_e32 v6, 4, v6
	s_delay_alu instid0(VALU_DEP_1) | instskip(SKIP_1) | instid1(VALU_DEP_2)
	v_sub_nc_u32_e32 v5, v6, v5
	v_ashrrev_i32_e32 v6, 8, v9
	v_add_nc_u32_e32 v5, 0x3c000000, v5
	s_delay_alu instid0(VALU_DEP_1) | instskip(NEXT) | instid1(VALU_DEP_1)
	v_and_or_b32 v5, 0x7f800000, v6, v5
	v_cndmask_b32_e32 v4, 0, v5, vcc_lo
	s_delay_alu instid0(VALU_DEP_1) | instskip(NEXT) | instid1(VALU_DEP_1)
	v_and_or_b32 v3, 0x80000000, v3, v4
	v_trunc_f32_e32 v3, v3
	s_delay_alu instid0(VALU_DEP_1) | instskip(SKIP_1) | instid1(VALU_DEP_2)
	v_mul_f32_e64 v4, 0x2f800000, |v3|
	v_ashrrev_i32_e32 v6, 31, v3
	v_floor_f32_e32 v4, v4
	s_delay_alu instid0(VALU_DEP_1) | instskip(SKIP_1) | instid1(VALU_DEP_2)
	v_fma_f32 v5, 0xcf800000, v4, |v3|
	v_cvt_u32_f32_e32 v4, v4
	v_cvt_u32_f32_e32 v3, v5
	s_delay_alu instid0(VALU_DEP_2) | instskip(NEXT) | instid1(VALU_DEP_2)
	v_xor_b32_e32 v4, v4, v6
	v_xor_b32_e32 v3, v3, v6
	s_delay_alu instid0(VALU_DEP_1) | instskip(NEXT) | instid1(VALU_DEP_3)
	v_sub_co_u32 v3, vcc_lo, v3, v6
	v_sub_co_ci_u32_e32 v4, vcc_lo, v4, v6, vcc_lo
.LBB449_607:
	s_mov_b32 s2, 0
.LBB449_608:
	s_delay_alu instid0(SALU_CYCLE_1)
	s_and_not1_b32 vcc_lo, exec_lo, s2
	s_cbranch_vccnz .LBB449_610
; %bb.609:
	global_load_u8 v3, v[1:2], off
	s_waitcnt vmcnt(0)
	v_lshlrev_b32_e32 v4, 25, v3
	v_lshlrev_b16 v3, 8, v3
	s_delay_alu instid0(VALU_DEP_2) | instskip(NEXT) | instid1(VALU_DEP_2)
	v_lshrrev_b32_e32 v5, 4, v4
	v_and_or_b32 v6, 0x7f00, v3, 0.5
	v_bfe_i32 v3, v3, 0, 16
	s_delay_alu instid0(VALU_DEP_3) | instskip(NEXT) | instid1(VALU_DEP_1)
	v_or_b32_e32 v5, 0x70000000, v5
	v_dual_add_f32 v6, -0.5, v6 :: v_dual_mul_f32 v5, 0x7800000, v5
	v_cmp_gt_u32_e32 vcc_lo, 0x8000000, v4
	s_delay_alu instid0(VALU_DEP_2) | instskip(NEXT) | instid1(VALU_DEP_1)
	v_cndmask_b32_e32 v4, v5, v6, vcc_lo
	v_and_or_b32 v3, 0x80000000, v3, v4
	s_delay_alu instid0(VALU_DEP_1) | instskip(NEXT) | instid1(VALU_DEP_1)
	v_trunc_f32_e32 v3, v3
	v_mul_f32_e64 v4, 0x2f800000, |v3|
	v_ashrrev_i32_e32 v6, 31, v3
	s_delay_alu instid0(VALU_DEP_2) | instskip(NEXT) | instid1(VALU_DEP_1)
	v_floor_f32_e32 v4, v4
	v_fma_f32 v5, 0xcf800000, v4, |v3|
	v_cvt_u32_f32_e32 v4, v4
	s_delay_alu instid0(VALU_DEP_2) | instskip(NEXT) | instid1(VALU_DEP_2)
	v_cvt_u32_f32_e32 v3, v5
	v_xor_b32_e32 v4, v4, v6
	s_delay_alu instid0(VALU_DEP_2) | instskip(NEXT) | instid1(VALU_DEP_1)
	v_xor_b32_e32 v3, v3, v6
	v_sub_co_u32 v3, vcc_lo, v3, v6
	s_delay_alu instid0(VALU_DEP_3)
	v_sub_co_ci_u32_e32 v4, vcc_lo, v4, v6, vcc_lo
.LBB449_610:
	s_mov_b32 s3, 0
	s_mov_b32 s2, -1
.LBB449_611:
	s_and_not1_b32 vcc_lo, exec_lo, s3
	s_cbranch_vccnz .LBB449_622
; %bb.612:
	v_cmp_lt_i16_e32 vcc_lo, 14, v7
	s_cbranch_vccz .LBB449_615
; %bb.613:
	v_cmp_eq_u16_e32 vcc_lo, 15, v7
	s_cbranch_vccz .LBB449_616
; %bb.614:
	global_load_u16 v3, v[1:2], off
	s_mov_b32 s2, -1
	s_mov_b32 s24, 0
	s_waitcnt vmcnt(0)
	v_lshlrev_b32_e32 v3, 16, v3
	s_delay_alu instid0(VALU_DEP_1) | instskip(NEXT) | instid1(VALU_DEP_1)
	v_trunc_f32_e32 v3, v3
	v_mul_f32_e64 v4, 0x2f800000, |v3|
	v_ashrrev_i32_e32 v6, 31, v3
	s_delay_alu instid0(VALU_DEP_2) | instskip(NEXT) | instid1(VALU_DEP_1)
	v_floor_f32_e32 v4, v4
	v_fma_f32 v5, 0xcf800000, v4, |v3|
	v_cvt_u32_f32_e32 v4, v4
	s_delay_alu instid0(VALU_DEP_2) | instskip(NEXT) | instid1(VALU_DEP_2)
	v_cvt_u32_f32_e32 v3, v5
	v_xor_b32_e32 v4, v4, v6
	s_delay_alu instid0(VALU_DEP_2) | instskip(NEXT) | instid1(VALU_DEP_1)
	v_xor_b32_e32 v3, v3, v6
	v_sub_co_u32 v3, vcc_lo, v3, v6
	s_delay_alu instid0(VALU_DEP_3)
	v_sub_co_ci_u32_e32 v4, vcc_lo, v4, v6, vcc_lo
	s_branch .LBB449_617
.LBB449_615:
	s_mov_b32 s3, -1
                                        ; implicit-def: $vgpr3_vgpr4
	s_branch .LBB449_618
.LBB449_616:
	s_mov_b32 s24, -1
                                        ; implicit-def: $vgpr3_vgpr4
.LBB449_617:
	s_mov_b32 s3, 0
.LBB449_618:
	s_delay_alu instid0(SALU_CYCLE_1)
	s_and_b32 vcc_lo, exec_lo, s3
	s_cbranch_vccz .LBB449_622
; %bb.619:
	v_cmp_eq_u16_e32 vcc_lo, 11, v7
	s_cbranch_vccz .LBB449_621
; %bb.620:
	global_load_u8 v3, v[1:2], off
	s_mov_b32 s24, 0
	s_mov_b32 s2, -1
	s_waitcnt vmcnt(1)
	v_mov_b32_e32 v4, s24
	s_waitcnt vmcnt(0)
	v_cmp_ne_u16_e32 vcc_lo, 0, v3
	v_cndmask_b32_e64 v3, 0, 1, vcc_lo
	s_branch .LBB449_622
.LBB449_621:
	s_mov_b32 s24, -1
                                        ; implicit-def: $vgpr3_vgpr4
.LBB449_622:
	s_mov_b32 s3, 0
.LBB449_623:
	s_delay_alu instid0(SALU_CYCLE_1)
	s_and_b32 vcc_lo, exec_lo, s3
	s_cbranch_vccz .LBB449_672
; %bb.624:
	v_cmp_gt_i16_e32 vcc_lo, 5, v7
	s_cbranch_vccnz .LBB449_629
; %bb.625:
	v_cmp_gt_i16_e32 vcc_lo, 8, v7
	s_cbranch_vccnz .LBB449_630
	;; [unrolled: 3-line block ×3, first 2 shown]
; %bb.627:
	v_cmp_lt_i16_e32 vcc_lo, 9, v7
	s_cbranch_vccz .LBB449_632
; %bb.628:
	global_load_b64 v[3:4], v[1:2], off
	s_mov_b32 s2, 0
	s_waitcnt vmcnt(0)
	v_trunc_f64_e32 v[3:4], v[3:4]
	s_delay_alu instid0(VALU_DEP_1) | instskip(NEXT) | instid1(VALU_DEP_1)
	v_ldexp_f64 v[5:6], v[3:4], 0xffffffe0
	v_floor_f64_e32 v[5:6], v[5:6]
	s_delay_alu instid0(VALU_DEP_1) | instskip(SKIP_1) | instid1(VALU_DEP_2)
	v_fma_f64 v[9:10], 0xc1f00000, v[5:6], v[3:4]
	v_cvt_i32_f64_e32 v4, v[5:6]
	v_cvt_u32_f64_e32 v3, v[9:10]
	s_branch .LBB449_633
.LBB449_629:
	s_mov_b32 s2, -1
                                        ; implicit-def: $vgpr3_vgpr4
	s_branch .LBB449_651
.LBB449_630:
	s_mov_b32 s2, -1
                                        ; implicit-def: $vgpr3_vgpr4
	s_branch .LBB449_639
.LBB449_631:
	s_mov_b32 s2, -1
                                        ; implicit-def: $vgpr3_vgpr4
	s_branch .LBB449_636
.LBB449_632:
	s_mov_b32 s2, -1
                                        ; implicit-def: $vgpr3_vgpr4
.LBB449_633:
	s_delay_alu instid0(SALU_CYCLE_1)
	s_and_not1_b32 vcc_lo, exec_lo, s2
	s_cbranch_vccnz .LBB449_635
; %bb.634:
	global_load_b32 v3, v[1:2], off
	s_waitcnt vmcnt(0)
	v_trunc_f32_e32 v3, v3
	s_delay_alu instid0(VALU_DEP_1) | instskip(SKIP_1) | instid1(VALU_DEP_2)
	v_mul_f32_e64 v4, 0x2f800000, |v3|
	v_ashrrev_i32_e32 v6, 31, v3
	v_floor_f32_e32 v4, v4
	s_delay_alu instid0(VALU_DEP_1) | instskip(SKIP_1) | instid1(VALU_DEP_2)
	v_fma_f32 v5, 0xcf800000, v4, |v3|
	v_cvt_u32_f32_e32 v4, v4
	v_cvt_u32_f32_e32 v3, v5
	s_delay_alu instid0(VALU_DEP_2) | instskip(NEXT) | instid1(VALU_DEP_2)
	v_xor_b32_e32 v4, v4, v6
	v_xor_b32_e32 v3, v3, v6
	s_delay_alu instid0(VALU_DEP_1) | instskip(NEXT) | instid1(VALU_DEP_3)
	v_sub_co_u32 v3, vcc_lo, v3, v6
	v_sub_co_ci_u32_e32 v4, vcc_lo, v4, v6, vcc_lo
.LBB449_635:
	s_mov_b32 s2, 0
.LBB449_636:
	s_delay_alu instid0(SALU_CYCLE_1)
	s_and_not1_b32 vcc_lo, exec_lo, s2
	s_cbranch_vccnz .LBB449_638
; %bb.637:
	global_load_b32 v3, v[1:2], off
	s_waitcnt vmcnt(0)
	v_cvt_f32_f16_e32 v3, v3
	s_delay_alu instid0(VALU_DEP_1) | instskip(NEXT) | instid1(VALU_DEP_1)
	v_cvt_i32_f32_e32 v3, v3
	v_ashrrev_i32_e32 v4, 31, v3
.LBB449_638:
	s_mov_b32 s2, 0
.LBB449_639:
	s_delay_alu instid0(SALU_CYCLE_1)
	s_and_not1_b32 vcc_lo, exec_lo, s2
	s_cbranch_vccnz .LBB449_650
; %bb.640:
	v_cmp_gt_i16_e32 vcc_lo, 6, v7
	s_cbranch_vccnz .LBB449_643
; %bb.641:
	v_cmp_lt_i16_e32 vcc_lo, 6, v7
	s_cbranch_vccz .LBB449_644
; %bb.642:
	global_load_b64 v[3:4], v[1:2], off
	s_mov_b32 s2, 0
	s_waitcnt vmcnt(0)
	v_trunc_f64_e32 v[3:4], v[3:4]
	s_delay_alu instid0(VALU_DEP_1) | instskip(NEXT) | instid1(VALU_DEP_1)
	v_ldexp_f64 v[5:6], v[3:4], 0xffffffe0
	v_floor_f64_e32 v[5:6], v[5:6]
	s_delay_alu instid0(VALU_DEP_1) | instskip(SKIP_1) | instid1(VALU_DEP_2)
	v_fma_f64 v[9:10], 0xc1f00000, v[5:6], v[3:4]
	v_cvt_i32_f64_e32 v4, v[5:6]
	v_cvt_u32_f64_e32 v3, v[9:10]
	s_branch .LBB449_645
.LBB449_643:
	s_mov_b32 s2, -1
                                        ; implicit-def: $vgpr3_vgpr4
	s_branch .LBB449_648
.LBB449_644:
	s_mov_b32 s2, -1
                                        ; implicit-def: $vgpr3_vgpr4
.LBB449_645:
	s_delay_alu instid0(SALU_CYCLE_1)
	s_and_not1_b32 vcc_lo, exec_lo, s2
	s_cbranch_vccnz .LBB449_647
; %bb.646:
	global_load_b32 v3, v[1:2], off
	s_waitcnt vmcnt(0)
	v_trunc_f32_e32 v3, v3
	s_delay_alu instid0(VALU_DEP_1) | instskip(SKIP_1) | instid1(VALU_DEP_2)
	v_mul_f32_e64 v4, 0x2f800000, |v3|
	v_ashrrev_i32_e32 v6, 31, v3
	v_floor_f32_e32 v4, v4
	s_delay_alu instid0(VALU_DEP_1) | instskip(SKIP_1) | instid1(VALU_DEP_2)
	v_fma_f32 v5, 0xcf800000, v4, |v3|
	v_cvt_u32_f32_e32 v4, v4
	v_cvt_u32_f32_e32 v3, v5
	s_delay_alu instid0(VALU_DEP_2) | instskip(NEXT) | instid1(VALU_DEP_2)
	v_xor_b32_e32 v4, v4, v6
	v_xor_b32_e32 v3, v3, v6
	s_delay_alu instid0(VALU_DEP_1) | instskip(NEXT) | instid1(VALU_DEP_3)
	v_sub_co_u32 v3, vcc_lo, v3, v6
	v_sub_co_ci_u32_e32 v4, vcc_lo, v4, v6, vcc_lo
.LBB449_647:
	s_mov_b32 s2, 0
.LBB449_648:
	s_delay_alu instid0(SALU_CYCLE_1)
	s_and_not1_b32 vcc_lo, exec_lo, s2
	s_cbranch_vccnz .LBB449_650
; %bb.649:
	global_load_u16 v3, v[1:2], off
	s_waitcnt vmcnt(0)
	v_cvt_f32_f16_e32 v3, v3
	s_delay_alu instid0(VALU_DEP_1) | instskip(NEXT) | instid1(VALU_DEP_1)
	v_cvt_i32_f32_e32 v3, v3
	v_ashrrev_i32_e32 v4, 31, v3
.LBB449_650:
	s_mov_b32 s2, 0
.LBB449_651:
	s_delay_alu instid0(SALU_CYCLE_1)
	s_and_not1_b32 vcc_lo, exec_lo, s2
	s_cbranch_vccnz .LBB449_671
; %bb.652:
	v_cmp_gt_i16_e32 vcc_lo, 2, v7
	s_cbranch_vccnz .LBB449_656
; %bb.653:
	v_cmp_gt_i16_e32 vcc_lo, 3, v7
	s_cbranch_vccnz .LBB449_657
; %bb.654:
	v_cmp_lt_i16_e32 vcc_lo, 3, v7
	s_cbranch_vccz .LBB449_658
; %bb.655:
	global_load_b64 v[3:4], v[1:2], off
	s_mov_b32 s2, 0
	s_branch .LBB449_659
.LBB449_656:
	s_mov_b32 s2, -1
                                        ; implicit-def: $vgpr3_vgpr4
	s_branch .LBB449_665
.LBB449_657:
	s_mov_b32 s2, -1
                                        ; implicit-def: $vgpr3_vgpr4
	s_branch .LBB449_662
.LBB449_658:
	s_mov_b32 s2, -1
                                        ; implicit-def: $vgpr3_vgpr4
.LBB449_659:
	s_delay_alu instid0(SALU_CYCLE_1)
	s_and_not1_b32 vcc_lo, exec_lo, s2
	s_cbranch_vccnz .LBB449_661
; %bb.660:
	global_load_b32 v3, v[1:2], off
	s_waitcnt vmcnt(0)
	v_ashrrev_i32_e32 v4, 31, v3
.LBB449_661:
	s_mov_b32 s2, 0
.LBB449_662:
	s_delay_alu instid0(SALU_CYCLE_1)
	s_and_not1_b32 vcc_lo, exec_lo, s2
	s_cbranch_vccnz .LBB449_664
; %bb.663:
	global_load_u16 v3, v[1:2], off
	s_waitcnt vmcnt(0)
	v_bfe_i32 v3, v3, 0, 16
	s_delay_alu instid0(VALU_DEP_1)
	v_ashrrev_i32_e32 v4, 31, v3
.LBB449_664:
	s_mov_b32 s2, 0
.LBB449_665:
	s_delay_alu instid0(SALU_CYCLE_1)
	s_and_not1_b32 vcc_lo, exec_lo, s2
	s_cbranch_vccnz .LBB449_671
; %bb.666:
	v_cmp_lt_i16_e32 vcc_lo, 0, v7
	s_mov_b32 s2, 0
	s_cbranch_vccz .LBB449_668
; %bb.667:
	global_load_i8 v3, v[1:2], off
	s_waitcnt vmcnt(0)
	v_bfe_i32 v3, v3, 0, 16
	s_delay_alu instid0(VALU_DEP_1)
	v_ashrrev_i32_e32 v4, 31, v3
	s_branch .LBB449_669
.LBB449_668:
	s_mov_b32 s2, -1
                                        ; implicit-def: $vgpr3_vgpr4
.LBB449_669:
	s_delay_alu instid0(SALU_CYCLE_1)
	s_and_not1_b32 vcc_lo, exec_lo, s2
	s_cbranch_vccnz .LBB449_671
; %bb.670:
	global_load_u8 v1, v[1:2], off
	s_mov_b32 s2, 0
	s_waitcnt vmcnt(0)
	v_dual_mov_b32 v4, s2 :: v_dual_and_b32 v3, 0xffff, v1
.LBB449_671:
	s_mov_b32 s2, -1
.LBB449_672:
	s_delay_alu instid0(SALU_CYCLE_1)
	s_and_not1_b32 vcc_lo, exec_lo, s2
	s_cbranch_vccnz .LBB449_680
; %bb.673:
	s_waitcnt vmcnt(0)
	s_delay_alu instid0(VALU_DEP_1) | instskip(SKIP_2) | instid1(VALU_DEP_1)
	v_cmp_gt_i64_e32 vcc_lo, s[18:19], v[3:4]
	v_and_b32_e64 v5, 0xff, s31
	s_mov_b32 s3, 0
	v_cmp_gt_i16_e64 s2, 11, v5
	v_cndmask_b32_e32 v1, s18, v3, vcc_lo
	v_add_co_u32 v3, s25, s4, v0
	v_cndmask_b32_e32 v2, s19, v4, vcc_lo
	v_add_co_ci_u32_e64 v4, null, s5, 0, s25
	s_mov_b32 s25, -1
	s_and_b32 vcc_lo, exec_lo, s2
	s_mov_b32 s2, s41
	s_cbranch_vccnz .LBB449_681
; %bb.674:
	v_cmp_lt_i16_e32 vcc_lo, 25, v5
	s_cbranch_vccz .LBB449_722
; %bb.675:
	v_cmp_lt_i16_e32 vcc_lo, 28, v5
	s_cbranch_vccz .LBB449_723
	;; [unrolled: 3-line block ×4, first 2 shown]
; %bb.678:
	v_cmp_eq_u16_e32 vcc_lo, 46, v5
	s_mov_b32 s25, 0
	s_mov_b32 s2, -1
	s_cbranch_vccz .LBB449_726
; %bb.679:
	v_xor_b32_e32 v0, v1, v2
	v_cls_i32_e32 v6, v2
	s_mov_b32 s3, -1
	s_mov_b32 s2, 0
	s_delay_alu instid0(VALU_DEP_2) | instskip(NEXT) | instid1(VALU_DEP_2)
	v_ashrrev_i32_e32 v0, 31, v0
	v_add_nc_u32_e32 v6, -1, v6
	s_delay_alu instid0(VALU_DEP_2) | instskip(NEXT) | instid1(VALU_DEP_1)
	v_add_nc_u32_e32 v0, 32, v0
	v_min_u32_e32 v0, v6, v0
	s_delay_alu instid0(VALU_DEP_1) | instskip(SKIP_1) | instid1(VALU_DEP_2)
	v_lshlrev_b64 v[9:10], v0, v[1:2]
	v_sub_nc_u32_e32 v0, 32, v0
	v_min_u32_e32 v6, 1, v9
	s_delay_alu instid0(VALU_DEP_1) | instskip(NEXT) | instid1(VALU_DEP_1)
	v_or_b32_e32 v6, v10, v6
	v_cvt_f32_i32_e32 v6, v6
	s_delay_alu instid0(VALU_DEP_1) | instskip(NEXT) | instid1(VALU_DEP_1)
	v_ldexp_f32 v0, v6, v0
	v_bfe_u32 v6, v0, 16, 1
	s_delay_alu instid0(VALU_DEP_1) | instskip(NEXT) | instid1(VALU_DEP_1)
	v_add3_u32 v0, v0, v6, 0x7fff
	v_lshrrev_b32_e32 v0, 16, v0
	global_store_b32 v[3:4], v0, off
	s_branch .LBB449_726
.LBB449_680:
	s_mov_b32 s3, 0
	s_mov_b32 s2, s41
	s_branch .LBB449_721
.LBB449_681:
	s_and_b32 vcc_lo, exec_lo, s25
	s_cbranch_vccz .LBB449_795
; %bb.682:
	v_cmp_gt_i16_e32 vcc_lo, 5, v5
	s_mov_b32 s3, -1
	s_cbranch_vccnz .LBB449_703
; %bb.683:
	v_cmp_gt_i16_e32 vcc_lo, 8, v5
	s_cbranch_vccnz .LBB449_693
; %bb.684:
	v_cmp_gt_i16_e32 vcc_lo, 9, v5
	s_cbranch_vccnz .LBB449_690
; %bb.685:
	v_cmp_lt_i16_e32 vcc_lo, 9, v5
	s_cbranch_vccz .LBB449_687
; %bb.686:
	v_cvt_f64_i32_e32 v[9:10], v2
	v_cvt_f64_u32_e32 v[11:12], v1
	s_mov_b32 s3, 0
	s_delay_alu instid0(VALU_DEP_2) | instskip(NEXT) | instid1(VALU_DEP_1)
	v_ldexp_f64 v[9:10], v[9:10], 32
	v_add_f64 v[9:10], v[9:10], v[11:12]
	v_mov_b32_e32 v11, 0
	s_delay_alu instid0(VALU_DEP_1)
	v_mov_b32_e32 v12, v11
	global_store_b128 v[3:4], v[9:12], off
.LBB449_687:
	s_and_not1_b32 vcc_lo, exec_lo, s3
	s_cbranch_vccnz .LBB449_689
; %bb.688:
	v_xor_b32_e32 v0, v1, v2
	v_cls_i32_e32 v6, v2
	s_delay_alu instid0(VALU_DEP_2) | instskip(NEXT) | instid1(VALU_DEP_2)
	v_ashrrev_i32_e32 v0, 31, v0
	v_add_nc_u32_e32 v6, -1, v6
	s_delay_alu instid0(VALU_DEP_2) | instskip(NEXT) | instid1(VALU_DEP_1)
	v_add_nc_u32_e32 v0, 32, v0
	v_min_u32_e32 v0, v6, v0
	s_delay_alu instid0(VALU_DEP_1) | instskip(SKIP_1) | instid1(VALU_DEP_2)
	v_lshlrev_b64 v[9:10], v0, v[1:2]
	v_sub_nc_u32_e32 v0, 32, v0
	v_min_u32_e32 v6, 1, v9
	s_delay_alu instid0(VALU_DEP_1) | instskip(SKIP_1) | instid1(VALU_DEP_2)
	v_or_b32_e32 v6, v10, v6
	v_mov_b32_e32 v10, 0
	v_cvt_f32_i32_e32 v6, v6
	s_delay_alu instid0(VALU_DEP_1)
	v_ldexp_f32 v9, v6, v0
	global_store_b64 v[3:4], v[9:10], off
.LBB449_689:
	s_mov_b32 s3, 0
.LBB449_690:
	s_delay_alu instid0(SALU_CYCLE_1)
	s_and_not1_b32 vcc_lo, exec_lo, s3
	s_cbranch_vccnz .LBB449_692
; %bb.691:
	v_xor_b32_e32 v0, v1, v2
	v_cls_i32_e32 v6, v2
	s_delay_alu instid0(VALU_DEP_2) | instskip(NEXT) | instid1(VALU_DEP_2)
	v_ashrrev_i32_e32 v0, 31, v0
	v_add_nc_u32_e32 v6, -1, v6
	s_delay_alu instid0(VALU_DEP_2) | instskip(NEXT) | instid1(VALU_DEP_1)
	v_add_nc_u32_e32 v0, 32, v0
	v_min_u32_e32 v0, v6, v0
	s_delay_alu instid0(VALU_DEP_1) | instskip(SKIP_1) | instid1(VALU_DEP_2)
	v_lshlrev_b64 v[9:10], v0, v[1:2]
	v_sub_nc_u32_e32 v0, 32, v0
	v_min_u32_e32 v6, 1, v9
	s_delay_alu instid0(VALU_DEP_1) | instskip(NEXT) | instid1(VALU_DEP_1)
	v_or_b32_e32 v6, v10, v6
	v_cvt_f32_i32_e32 v6, v6
	s_delay_alu instid0(VALU_DEP_1) | instskip(NEXT) | instid1(VALU_DEP_1)
	v_ldexp_f32 v0, v6, v0
	v_cvt_f16_f32_e32 v0, v0
	s_delay_alu instid0(VALU_DEP_1)
	v_and_b32_e32 v0, 0xffff, v0
	global_store_b32 v[3:4], v0, off
.LBB449_692:
	s_mov_b32 s3, 0
.LBB449_693:
	s_delay_alu instid0(SALU_CYCLE_1)
	s_and_not1_b32 vcc_lo, exec_lo, s3
	s_cbranch_vccnz .LBB449_702
; %bb.694:
	v_cmp_gt_i16_e32 vcc_lo, 6, v5
	s_mov_b32 s3, -1
	s_cbranch_vccnz .LBB449_700
; %bb.695:
	v_cmp_lt_i16_e32 vcc_lo, 6, v5
	s_cbranch_vccz .LBB449_697
; %bb.696:
	v_cvt_f64_i32_e32 v[9:10], v2
	v_cvt_f64_u32_e32 v[11:12], v1
	s_mov_b32 s3, 0
	s_delay_alu instid0(VALU_DEP_2) | instskip(NEXT) | instid1(VALU_DEP_1)
	v_ldexp_f64 v[9:10], v[9:10], 32
	v_add_f64 v[9:10], v[9:10], v[11:12]
	global_store_b64 v[3:4], v[9:10], off
.LBB449_697:
	s_and_not1_b32 vcc_lo, exec_lo, s3
	s_cbranch_vccnz .LBB449_699
; %bb.698:
	v_xor_b32_e32 v0, v1, v2
	v_cls_i32_e32 v6, v2
	s_delay_alu instid0(VALU_DEP_2) | instskip(NEXT) | instid1(VALU_DEP_2)
	v_ashrrev_i32_e32 v0, 31, v0
	v_add_nc_u32_e32 v6, -1, v6
	s_delay_alu instid0(VALU_DEP_2) | instskip(NEXT) | instid1(VALU_DEP_1)
	v_add_nc_u32_e32 v0, 32, v0
	v_min_u32_e32 v0, v6, v0
	s_delay_alu instid0(VALU_DEP_1) | instskip(SKIP_1) | instid1(VALU_DEP_2)
	v_lshlrev_b64 v[9:10], v0, v[1:2]
	v_sub_nc_u32_e32 v0, 32, v0
	v_min_u32_e32 v6, 1, v9
	s_delay_alu instid0(VALU_DEP_1) | instskip(NEXT) | instid1(VALU_DEP_1)
	v_or_b32_e32 v6, v10, v6
	v_cvt_f32_i32_e32 v6, v6
	s_delay_alu instid0(VALU_DEP_1)
	v_ldexp_f32 v0, v6, v0
	global_store_b32 v[3:4], v0, off
.LBB449_699:
	s_mov_b32 s3, 0
.LBB449_700:
	s_delay_alu instid0(SALU_CYCLE_1)
	s_and_not1_b32 vcc_lo, exec_lo, s3
	s_cbranch_vccnz .LBB449_702
; %bb.701:
	v_xor_b32_e32 v0, v1, v2
	v_cls_i32_e32 v6, v2
	s_delay_alu instid0(VALU_DEP_2) | instskip(NEXT) | instid1(VALU_DEP_2)
	v_ashrrev_i32_e32 v0, 31, v0
	v_add_nc_u32_e32 v6, -1, v6
	s_delay_alu instid0(VALU_DEP_2) | instskip(NEXT) | instid1(VALU_DEP_1)
	v_add_nc_u32_e32 v0, 32, v0
	v_min_u32_e32 v0, v6, v0
	s_delay_alu instid0(VALU_DEP_1) | instskip(SKIP_1) | instid1(VALU_DEP_2)
	v_lshlrev_b64 v[9:10], v0, v[1:2]
	v_sub_nc_u32_e32 v0, 32, v0
	v_min_u32_e32 v6, 1, v9
	s_delay_alu instid0(VALU_DEP_1) | instskip(NEXT) | instid1(VALU_DEP_1)
	v_or_b32_e32 v6, v10, v6
	v_cvt_f32_i32_e32 v6, v6
	s_delay_alu instid0(VALU_DEP_1) | instskip(NEXT) | instid1(VALU_DEP_1)
	v_ldexp_f32 v0, v6, v0
	v_cvt_f16_f32_e32 v0, v0
	global_store_b16 v[3:4], v0, off
.LBB449_702:
	s_mov_b32 s3, 0
.LBB449_703:
	s_delay_alu instid0(SALU_CYCLE_1)
	s_and_not1_b32 vcc_lo, exec_lo, s3
	s_cbranch_vccnz .LBB449_719
; %bb.704:
	v_cmp_gt_i16_e32 vcc_lo, 2, v5
	s_mov_b32 s3, -1
	s_cbranch_vccnz .LBB449_714
; %bb.705:
	v_cmp_gt_i16_e32 vcc_lo, 3, v5
	s_cbranch_vccnz .LBB449_711
; %bb.706:
	v_cmp_lt_i16_e32 vcc_lo, 3, v5
	s_cbranch_vccz .LBB449_708
; %bb.707:
	s_mov_b32 s3, 0
	global_store_b64 v[3:4], v[1:2], off
.LBB449_708:
	s_and_not1_b32 vcc_lo, exec_lo, s3
	s_cbranch_vccnz .LBB449_710
; %bb.709:
	global_store_b32 v[3:4], v1, off
.LBB449_710:
	s_mov_b32 s3, 0
.LBB449_711:
	s_delay_alu instid0(SALU_CYCLE_1)
	s_and_not1_b32 vcc_lo, exec_lo, s3
	s_cbranch_vccnz .LBB449_713
; %bb.712:
	global_store_b16 v[3:4], v1, off
.LBB449_713:
	s_mov_b32 s3, 0
.LBB449_714:
	s_delay_alu instid0(SALU_CYCLE_1)
	s_and_not1_b32 vcc_lo, exec_lo, s3
	s_cbranch_vccnz .LBB449_719
; %bb.715:
	v_cmp_lt_i16_e32 vcc_lo, 0, v5
	s_mov_b32 s3, -1
	s_cbranch_vccz .LBB449_717
; %bb.716:
	s_mov_b32 s3, 0
	global_store_b8 v[3:4], v1, off
.LBB449_717:
	s_and_not1_b32 vcc_lo, exec_lo, s3
	s_cbranch_vccnz .LBB449_719
; %bb.718:
	global_store_b8 v[3:4], v1, off
.LBB449_719:
	s_branch .LBB449_796
.LBB449_720:
	s_mov_b32 s3, 0
.LBB449_721:
                                        ; implicit-def: $vgpr8
	s_branch .LBB449_797
.LBB449_722:
	s_mov_b32 s2, s41
	s_branch .LBB449_753
.LBB449_723:
	s_mov_b32 s2, s41
	s_branch .LBB449_736
.LBB449_724:
	s_mov_b32 s2, s41
	s_branch .LBB449_732
.LBB449_725:
	s_mov_b32 s2, s41
.LBB449_726:
	s_and_b32 vcc_lo, exec_lo, s25
	s_cbranch_vccz .LBB449_731
; %bb.727:
	v_cmp_eq_u16_e32 vcc_lo, 44, v5
	s_mov_b32 s2, -1
	s_cbranch_vccz .LBB449_731
; %bb.728:
	v_xor_b32_e32 v0, v1, v2
	v_cls_i32_e32 v6, v2
	s_mov_b32 s3, -1
	s_mov_b32 s25, exec_lo
	s_delay_alu instid0(VALU_DEP_2) | instskip(NEXT) | instid1(VALU_DEP_2)
	v_ashrrev_i32_e32 v0, 31, v0
	v_add_nc_u32_e32 v6, -1, v6
	s_delay_alu instid0(VALU_DEP_2) | instskip(NEXT) | instid1(VALU_DEP_1)
	v_add_nc_u32_e32 v0, 32, v0
	v_min_u32_e32 v0, v6, v0
	s_delay_alu instid0(VALU_DEP_1) | instskip(SKIP_1) | instid1(VALU_DEP_2)
	v_lshlrev_b64 v[9:10], v0, v[1:2]
	v_sub_nc_u32_e32 v0, 32, v0
	v_min_u32_e32 v6, 1, v9
	s_delay_alu instid0(VALU_DEP_1) | instskip(NEXT) | instid1(VALU_DEP_1)
	v_or_b32_e32 v6, v10, v6
	v_cvt_f32_i32_e32 v6, v6
	s_delay_alu instid0(VALU_DEP_1) | instskip(SKIP_1) | instid1(VALU_DEP_2)
	v_ldexp_f32 v0, v6, v0
	v_mov_b32_e32 v6, 0xff
	v_bfe_u32 v9, v0, 23, 8
	s_delay_alu instid0(VALU_DEP_1)
	v_cmpx_ne_u32_e32 0xff, v9
; %bb.729:
	v_and_b32_e32 v6, 0x400000, v0
	v_and_or_b32 v9, 0x3fffff, v0, v9
	v_lshrrev_b32_e32 v0, 23, v0
	s_delay_alu instid0(VALU_DEP_3) | instskip(NEXT) | instid1(VALU_DEP_3)
	v_cmp_ne_u32_e32 vcc_lo, 0, v6
	v_cmp_ne_u32_e64 s2, 0, v9
	s_delay_alu instid0(VALU_DEP_1) | instskip(NEXT) | instid1(SALU_CYCLE_1)
	s_and_b32 s2, vcc_lo, s2
	v_cndmask_b32_e64 v6, 0, 1, s2
	s_delay_alu instid0(VALU_DEP_1)
	v_add_nc_u32_e32 v6, v0, v6
; %bb.730:
	s_or_b32 exec_lo, exec_lo, s25
	s_mov_b32 s2, 0
	global_store_b8 v[3:4], v6, off
.LBB449_731:
	s_mov_b32 s25, 0
.LBB449_732:
	s_delay_alu instid0(SALU_CYCLE_1)
	s_and_b32 vcc_lo, exec_lo, s25
	s_cbranch_vccz .LBB449_735
; %bb.733:
	v_cmp_eq_u16_e32 vcc_lo, 29, v5
	s_mov_b32 s2, -1
	s_cbranch_vccz .LBB449_735
; %bb.734:
	s_mov_b32 s3, -1
	s_mov_b32 s2, 0
	global_store_b64 v[3:4], v[1:2], off
.LBB449_735:
	s_mov_b32 s25, 0
.LBB449_736:
	s_delay_alu instid0(SALU_CYCLE_1)
	s_and_b32 vcc_lo, exec_lo, s25
	s_cbranch_vccz .LBB449_752
; %bb.737:
	v_cmp_gt_i16_e32 vcc_lo, 27, v5
	s_mov_b32 s3, -1
	s_cbranch_vccnz .LBB449_743
; %bb.738:
	v_cmp_lt_i16_e32 vcc_lo, 27, v5
	s_cbranch_vccz .LBB449_740
; %bb.739:
	s_mov_b32 s3, 0
	global_store_b32 v[3:4], v1, off
.LBB449_740:
	s_and_not1_b32 vcc_lo, exec_lo, s3
	s_cbranch_vccnz .LBB449_742
; %bb.741:
	global_store_b16 v[3:4], v1, off
.LBB449_742:
	s_mov_b32 s3, 0
.LBB449_743:
	s_delay_alu instid0(SALU_CYCLE_1)
	s_and_not1_b32 vcc_lo, exec_lo, s3
	s_cbranch_vccnz .LBB449_751
; %bb.744:
	v_xor_b32_e32 v0, v1, v2
	v_cls_i32_e32 v6, v2
	s_mov_b32 s3, exec_lo
	s_delay_alu instid0(VALU_DEP_2) | instskip(NEXT) | instid1(VALU_DEP_2)
	v_ashrrev_i32_e32 v0, 31, v0
	v_add_nc_u32_e32 v6, -1, v6
	s_delay_alu instid0(VALU_DEP_2) | instskip(NEXT) | instid1(VALU_DEP_1)
	v_add_nc_u32_e32 v0, 32, v0
	v_min_u32_e32 v0, v6, v0
	s_delay_alu instid0(VALU_DEP_1) | instskip(SKIP_1) | instid1(VALU_DEP_2)
	v_lshlrev_b64 v[9:10], v0, v[1:2]
	v_sub_nc_u32_e32 v0, 32, v0
	v_min_u32_e32 v6, 1, v9
	v_mov_b32_e32 v9, 0x80
	s_delay_alu instid0(VALU_DEP_2) | instskip(NEXT) | instid1(VALU_DEP_1)
	v_or_b32_e32 v6, v10, v6
	v_cvt_f32_i32_e32 v6, v6
	s_delay_alu instid0(VALU_DEP_1) | instskip(NEXT) | instid1(VALU_DEP_1)
	v_ldexp_f32 v0, v6, v0
	v_and_b32_e32 v6, 0x7fffffff, v0
	s_delay_alu instid0(VALU_DEP_1)
	v_cmpx_gt_u32_e32 0x43800000, v6
	s_cbranch_execz .LBB449_750
; %bb.745:
	v_cmp_lt_u32_e32 vcc_lo, 0x3bffffff, v6
	s_mov_b32 s25, 0
                                        ; implicit-def: $vgpr6
	s_and_saveexec_b32 s44, vcc_lo
	s_delay_alu instid0(SALU_CYCLE_1)
	s_xor_b32 s44, exec_lo, s44
	s_cbranch_execz .LBB449_824
; %bb.746:
	v_bfe_u32 v6, v0, 20, 1
	s_mov_b32 s25, exec_lo
	s_delay_alu instid0(VALU_DEP_1) | instskip(NEXT) | instid1(VALU_DEP_1)
	v_add3_u32 v6, v0, v6, 0x487ffff
	v_lshrrev_b32_e32 v6, 20, v6
	s_or_saveexec_b32 s44, s44
                                        ; implicit-def: $sgpr45
	s_delay_alu instid0(SALU_CYCLE_1)
	s_xor_b32 exec_lo, exec_lo, s44
	s_cbranch_execnz .LBB449_825
.LBB449_747:
	s_or_b32 exec_lo, exec_lo, s44
	v_mov_b32_e32 v9, s45
	s_and_saveexec_b32 s44, s25
.LBB449_748:
	v_lshrrev_b32_e32 v0, 24, v0
	s_delay_alu instid0(VALU_DEP_1)
	v_and_or_b32 v9, 0x80, v0, v6
.LBB449_749:
	s_or_b32 exec_lo, exec_lo, s44
.LBB449_750:
	s_delay_alu instid0(SALU_CYCLE_1)
	s_or_b32 exec_lo, exec_lo, s3
	global_store_b8 v[3:4], v9, off
.LBB449_751:
	s_mov_b32 s3, -1
.LBB449_752:
	s_mov_b32 s25, 0
.LBB449_753:
	s_delay_alu instid0(SALU_CYCLE_1)
	s_and_b32 vcc_lo, exec_lo, s25
	s_cbranch_vccz .LBB449_794
; %bb.754:
	v_cmp_lt_i16_e32 vcc_lo, 22, v5
	s_mov_b32 s25, -1
	s_cbranch_vccz .LBB449_786
; %bb.755:
	v_cmp_gt_i16_e32 vcc_lo, 24, v5
	s_mov_b32 s3, -1
	s_cbranch_vccnz .LBB449_775
; %bb.756:
	v_cmp_lt_i16_e32 vcc_lo, 24, v5
	s_cbranch_vccz .LBB449_764
; %bb.757:
	v_xor_b32_e32 v0, v1, v2
	v_cls_i32_e32 v6, v2
	s_mov_b32 s3, exec_lo
	s_delay_alu instid0(VALU_DEP_2) | instskip(NEXT) | instid1(VALU_DEP_2)
	v_ashrrev_i32_e32 v0, 31, v0
	v_add_nc_u32_e32 v6, -1, v6
	s_delay_alu instid0(VALU_DEP_2) | instskip(NEXT) | instid1(VALU_DEP_1)
	v_add_nc_u32_e32 v0, 32, v0
	v_min_u32_e32 v0, v6, v0
	s_delay_alu instid0(VALU_DEP_1) | instskip(SKIP_1) | instid1(VALU_DEP_2)
	v_lshlrev_b64 v[9:10], v0, v[1:2]
	v_sub_nc_u32_e32 v0, 32, v0
	v_min_u32_e32 v6, 1, v9
	v_mov_b32_e32 v9, 0x80
	s_delay_alu instid0(VALU_DEP_2) | instskip(NEXT) | instid1(VALU_DEP_1)
	v_or_b32_e32 v6, v10, v6
	v_cvt_f32_i32_e32 v6, v6
	s_delay_alu instid0(VALU_DEP_1) | instskip(NEXT) | instid1(VALU_DEP_1)
	v_ldexp_f32 v0, v6, v0
	v_and_b32_e32 v6, 0x7fffffff, v0
	s_delay_alu instid0(VALU_DEP_1)
	v_cmpx_gt_u32_e32 0x47800000, v6
	s_cbranch_execz .LBB449_763
; %bb.758:
	v_cmp_lt_u32_e32 vcc_lo, 0x37ffffff, v6
	s_mov_b32 s25, 0
                                        ; implicit-def: $vgpr6
	s_and_saveexec_b32 s44, vcc_lo
	s_delay_alu instid0(SALU_CYCLE_1)
	s_xor_b32 s44, exec_lo, s44
	s_cbranch_execz .LBB449_827
; %bb.759:
	v_bfe_u32 v6, v0, 21, 1
	s_mov_b32 s25, exec_lo
	s_delay_alu instid0(VALU_DEP_1) | instskip(NEXT) | instid1(VALU_DEP_1)
	v_add3_u32 v6, v0, v6, 0x88fffff
	v_lshrrev_b32_e32 v6, 21, v6
	s_or_saveexec_b32 s44, s44
                                        ; implicit-def: $sgpr45
	s_delay_alu instid0(SALU_CYCLE_1)
	s_xor_b32 exec_lo, exec_lo, s44
	s_cbranch_execnz .LBB449_828
.LBB449_760:
	s_or_b32 exec_lo, exec_lo, s44
	v_mov_b32_e32 v9, s45
	s_and_saveexec_b32 s44, s25
.LBB449_761:
	v_lshrrev_b32_e32 v0, 24, v0
	s_delay_alu instid0(VALU_DEP_1)
	v_and_or_b32 v9, 0x80, v0, v6
.LBB449_762:
	s_or_b32 exec_lo, exec_lo, s44
.LBB449_763:
	s_delay_alu instid0(SALU_CYCLE_1)
	s_or_b32 exec_lo, exec_lo, s3
	s_mov_b32 s3, 0
	global_store_b8 v[3:4], v9, off
.LBB449_764:
	s_and_b32 vcc_lo, exec_lo, s3
	s_cbranch_vccz .LBB449_774
; %bb.765:
	v_xor_b32_e32 v0, v1, v2
	v_cls_i32_e32 v6, v2
	s_mov_b32 s3, exec_lo
	s_delay_alu instid0(VALU_DEP_2) | instskip(NEXT) | instid1(VALU_DEP_2)
	v_ashrrev_i32_e32 v0, 31, v0
	v_add_nc_u32_e32 v6, -1, v6
	s_delay_alu instid0(VALU_DEP_2) | instskip(NEXT) | instid1(VALU_DEP_1)
	v_add_nc_u32_e32 v0, 32, v0
	v_min_u32_e32 v0, v6, v0
	s_delay_alu instid0(VALU_DEP_1) | instskip(SKIP_1) | instid1(VALU_DEP_2)
	v_lshlrev_b64 v[9:10], v0, v[1:2]
	v_sub_nc_u32_e32 v0, 32, v0
	v_min_u32_e32 v6, 1, v9
	s_delay_alu instid0(VALU_DEP_1) | instskip(NEXT) | instid1(VALU_DEP_1)
	v_or_b32_e32 v6, v10, v6
	v_cvt_f32_i32_e32 v6, v6
	s_delay_alu instid0(VALU_DEP_1) | instskip(NEXT) | instid1(VALU_DEP_1)
	v_ldexp_f32 v0, v6, v0
                                        ; implicit-def: $vgpr6
	v_and_b32_e32 v9, 0x7fffffff, v0
	s_delay_alu instid0(VALU_DEP_1)
	v_cmpx_gt_u32_e32 0x43f00000, v9
	s_xor_b32 s3, exec_lo, s3
	s_cbranch_execz .LBB449_771
; %bb.766:
	s_mov_b32 s25, exec_lo
                                        ; implicit-def: $vgpr6
	v_cmpx_lt_u32_e32 0x3c7fffff, v9
	s_xor_b32 s25, exec_lo, s25
; %bb.767:
	v_bfe_u32 v6, v0, 20, 1
	s_delay_alu instid0(VALU_DEP_1) | instskip(NEXT) | instid1(VALU_DEP_1)
	v_add3_u32 v6, v0, v6, 0x407ffff
	v_and_b32_e32 v9, 0xff00000, v6
	v_lshrrev_b32_e32 v6, 20, v6
	s_delay_alu instid0(VALU_DEP_2) | instskip(NEXT) | instid1(VALU_DEP_2)
	v_cmp_ne_u32_e32 vcc_lo, 0x7f00000, v9
	v_cndmask_b32_e32 v6, 0x7e, v6, vcc_lo
; %bb.768:
	s_and_not1_saveexec_b32 s25, s25
; %bb.769:
	v_add_f32_e64 v6, 0x46800000, |v0|
; %bb.770:
	s_or_b32 exec_lo, exec_lo, s25
                                        ; implicit-def: $vgpr9
.LBB449_771:
	s_and_not1_saveexec_b32 s3, s3
; %bb.772:
	v_mov_b32_e32 v6, 0x7f
	v_cmp_lt_u32_e32 vcc_lo, 0x7f800000, v9
	s_delay_alu instid0(VALU_DEP_2)
	v_cndmask_b32_e32 v6, 0x7e, v6, vcc_lo
; %bb.773:
	s_or_b32 exec_lo, exec_lo, s3
	v_lshrrev_b32_e32 v0, 24, v0
	s_delay_alu instid0(VALU_DEP_1)
	v_and_or_b32 v0, 0x80, v0, v6
	global_store_b8 v[3:4], v0, off
.LBB449_774:
	s_mov_b32 s3, 0
.LBB449_775:
	s_delay_alu instid0(SALU_CYCLE_1)
	s_and_not1_b32 vcc_lo, exec_lo, s3
	s_cbranch_vccnz .LBB449_785
; %bb.776:
	v_xor_b32_e32 v0, v1, v2
	v_cls_i32_e32 v6, v2
	s_mov_b32 s3, exec_lo
	s_delay_alu instid0(VALU_DEP_2) | instskip(NEXT) | instid1(VALU_DEP_2)
	v_ashrrev_i32_e32 v0, 31, v0
	v_add_nc_u32_e32 v6, -1, v6
	s_delay_alu instid0(VALU_DEP_2) | instskip(NEXT) | instid1(VALU_DEP_1)
	v_add_nc_u32_e32 v0, 32, v0
	v_min_u32_e32 v0, v6, v0
	s_delay_alu instid0(VALU_DEP_1) | instskip(SKIP_1) | instid1(VALU_DEP_2)
	v_lshlrev_b64 v[9:10], v0, v[1:2]
	v_sub_nc_u32_e32 v0, 32, v0
	v_min_u32_e32 v6, 1, v9
	s_delay_alu instid0(VALU_DEP_1) | instskip(NEXT) | instid1(VALU_DEP_1)
	v_or_b32_e32 v6, v10, v6
	v_cvt_f32_i32_e32 v6, v6
	s_delay_alu instid0(VALU_DEP_1) | instskip(NEXT) | instid1(VALU_DEP_1)
	v_ldexp_f32 v0, v6, v0
                                        ; implicit-def: $vgpr6
	v_and_b32_e32 v9, 0x7fffffff, v0
	s_delay_alu instid0(VALU_DEP_1)
	v_cmpx_gt_u32_e32 0x47800000, v9
	s_xor_b32 s3, exec_lo, s3
	s_cbranch_execz .LBB449_782
; %bb.777:
	s_mov_b32 s25, exec_lo
                                        ; implicit-def: $vgpr6
	v_cmpx_lt_u32_e32 0x387fffff, v9
	s_xor_b32 s25, exec_lo, s25
; %bb.778:
	v_bfe_u32 v6, v0, 21, 1
	s_delay_alu instid0(VALU_DEP_1) | instskip(NEXT) | instid1(VALU_DEP_1)
	v_add3_u32 v6, v0, v6, 0x80fffff
	v_lshrrev_b32_e32 v6, 21, v6
; %bb.779:
	s_and_not1_saveexec_b32 s25, s25
; %bb.780:
	v_add_f32_e64 v6, 0x43000000, |v0|
; %bb.781:
	s_or_b32 exec_lo, exec_lo, s25
                                        ; implicit-def: $vgpr9
.LBB449_782:
	s_and_not1_saveexec_b32 s3, s3
; %bb.783:
	v_mov_b32_e32 v6, 0x7f
	v_cmp_lt_u32_e32 vcc_lo, 0x7f800000, v9
	s_delay_alu instid0(VALU_DEP_2)
	v_cndmask_b32_e32 v6, 0x7c, v6, vcc_lo
; %bb.784:
	s_or_b32 exec_lo, exec_lo, s3
	v_lshrrev_b32_e32 v0, 24, v0
	s_delay_alu instid0(VALU_DEP_1)
	v_and_or_b32 v0, 0x80, v0, v6
	global_store_b8 v[3:4], v0, off
.LBB449_785:
	s_mov_b32 s25, 0
	s_mov_b32 s3, -1
.LBB449_786:
	s_and_not1_b32 vcc_lo, exec_lo, s25
	s_cbranch_vccnz .LBB449_794
; %bb.787:
	v_cmp_lt_i16_e32 vcc_lo, 14, v5
	s_mov_b32 s25, -1
	s_cbranch_vccz .LBB449_791
; %bb.788:
	v_cmp_eq_u16_e32 vcc_lo, 15, v5
	s_mov_b32 s2, -1
	s_cbranch_vccz .LBB449_790
; %bb.789:
	v_xor_b32_e32 v0, v1, v2
	v_cls_i32_e32 v6, v2
	s_mov_b32 s3, -1
	s_mov_b32 s2, 0
	s_delay_alu instid0(VALU_DEP_2) | instskip(NEXT) | instid1(VALU_DEP_2)
	v_ashrrev_i32_e32 v0, 31, v0
	v_add_nc_u32_e32 v6, -1, v6
	s_delay_alu instid0(VALU_DEP_2) | instskip(NEXT) | instid1(VALU_DEP_1)
	v_add_nc_u32_e32 v0, 32, v0
	v_min_u32_e32 v0, v6, v0
	s_delay_alu instid0(VALU_DEP_1) | instskip(SKIP_1) | instid1(VALU_DEP_2)
	v_lshlrev_b64 v[9:10], v0, v[1:2]
	v_sub_nc_u32_e32 v0, 32, v0
	v_min_u32_e32 v6, 1, v9
	s_delay_alu instid0(VALU_DEP_1) | instskip(NEXT) | instid1(VALU_DEP_1)
	v_or_b32_e32 v6, v10, v6
	v_cvt_f32_i32_e32 v6, v6
	s_delay_alu instid0(VALU_DEP_1) | instskip(NEXT) | instid1(VALU_DEP_1)
	v_ldexp_f32 v0, v6, v0
	v_bfe_u32 v6, v0, 16, 1
	s_delay_alu instid0(VALU_DEP_1)
	v_add3_u32 v0, v0, v6, 0x7fff
	global_store_d16_hi_b16 v[3:4], v0, off
.LBB449_790:
	s_mov_b32 s25, 0
.LBB449_791:
	s_delay_alu instid0(SALU_CYCLE_1)
	s_and_b32 vcc_lo, exec_lo, s25
	s_cbranch_vccz .LBB449_794
; %bb.792:
	v_cmp_eq_u16_e32 vcc_lo, 11, v5
	s_mov_b32 s2, -1
	s_cbranch_vccz .LBB449_794
; %bb.793:
	v_cmp_ne_u64_e32 vcc_lo, 0, v[1:2]
	s_mov_b32 s3, -1
	s_mov_b32 s2, 0
	v_cndmask_b32_e64 v0, 0, 1, vcc_lo
	global_store_b8 v[3:4], v0, off
.LBB449_794:
.LBB449_795:
	s_and_not1_b32 vcc_lo, exec_lo, s3
	s_cbranch_vccnz .LBB449_720
.LBB449_796:
	v_add_nc_u32_e32 v8, 0x80, v8
	s_mov_b32 s3, -1
.LBB449_797:
	s_and_not1_b32 s25, s41, exec_lo
	s_and_b32 s2, s2, exec_lo
	s_and_not1_b32 s44, s40, exec_lo
	s_and_b32 s24, s24, exec_lo
	s_or_b32 s25, s25, s2
	s_or_b32 s24, s44, s24
	s_or_not1_b32 s45, s3, exec_lo
.LBB449_798:
	s_or_b32 exec_lo, exec_lo, s43
	s_mov_b32 s2, 0
	s_mov_b32 s3, 0
	;; [unrolled: 1-line block ×3, first 2 shown]
                                        ; implicit-def: $vgpr1_vgpr2
                                        ; implicit-def: $vgpr0
                                        ; implicit-def: $vgpr5_vgpr6
	s_and_saveexec_b32 s43, s45
	s_cbranch_execz .LBB449_892
; %bb.799:
	v_cmp_gt_i32_e32 vcc_lo, s34, v8
	s_mov_b32 s45, s24
                                        ; implicit-def: $vgpr1_vgpr2
                                        ; implicit-def: $vgpr0
                                        ; implicit-def: $vgpr5_vgpr6
	s_and_saveexec_b32 s34, vcc_lo
	s_cbranch_execz .LBB449_891
; %bb.800:
	s_and_not1_b32 vcc_lo, exec_lo, s29
	s_cbranch_vccnz .LBB449_805
; %bb.801:
	v_dual_mov_b32 v0, 0 :: v_dual_mov_b32 v1, 0
	s_and_not1_b32 vcc_lo, exec_lo, s36
	s_mov_b32 s36, 0
	s_cbranch_vccnz .LBB449_810
; %bb.802:
	v_mov_b32_e32 v0, 0
	s_add_i32 s44, s35, 1
	s_cmp_eq_u32 s27, 2
	s_mov_b32 s35, 0
	s_cbranch_scc1 .LBB449_806
; %bb.803:
	v_dual_mov_b32 v1, 0 :: v_dual_mov_b32 v0, 0
	v_mov_b32_e32 v2, v8
	s_and_b32 s35, s44, 28
	s_mov_b32 s45, 0
	s_mov_b64 s[2:3], s[16:17]
.LBB449_804:                            ; =>This Inner Loop Header: Depth=1
	s_clause 0x1
	s_load_b256 s[48:55], s[2:3], 0x4
	s_load_b128 s[64:67], s[2:3], 0x24
	s_load_b256 s[56:63], s[22:23], 0x0
	s_add_u32 s2, s2, 48
	s_addc_u32 s3, s3, 0
	s_add_i32 s45, s45, 4
	s_add_u32 s22, s22, 32
	s_addc_u32 s23, s23, 0
	s_cmp_eq_u32 s35, s45
	s_waitcnt vmcnt(0) lgkmcnt(0)
	v_mul_hi_u32 v3, s49, v2
	s_delay_alu instid0(VALU_DEP_1) | instskip(NEXT) | instid1(VALU_DEP_1)
	v_add_nc_u32_e32 v3, v2, v3
	v_lshrrev_b32_e32 v3, s50, v3
	s_delay_alu instid0(VALU_DEP_1) | instskip(SKIP_1) | instid1(VALU_DEP_2)
	v_mul_hi_u32 v4, s52, v3
	v_mul_lo_u32 v6, v3, s48
	v_add_nc_u32_e32 v4, v3, v4
	s_delay_alu instid0(VALU_DEP_2) | instskip(NEXT) | instid1(VALU_DEP_2)
	v_sub_nc_u32_e32 v2, v2, v6
	v_lshrrev_b32_e32 v4, s53, v4
	s_delay_alu instid0(VALU_DEP_2) | instskip(SKIP_1) | instid1(VALU_DEP_3)
	v_mul_lo_u32 v6, v2, s56
	v_mul_lo_u32 v10, v2, s57
	v_mul_hi_u32 v5, s55, v4
	s_delay_alu instid0(VALU_DEP_1) | instskip(NEXT) | instid1(VALU_DEP_1)
	v_add_nc_u32_e32 v5, v4, v5
	v_lshrrev_b32_e32 v5, s64, v5
	s_delay_alu instid0(VALU_DEP_1) | instskip(SKIP_1) | instid1(VALU_DEP_2)
	v_mul_hi_u32 v9, s66, v5
	v_mul_lo_u32 v11, v5, s54
	v_add_nc_u32_e32 v2, v5, v9
	v_mul_lo_u32 v9, v4, s51
	s_delay_alu instid0(VALU_DEP_3) | instskip(NEXT) | instid1(VALU_DEP_3)
	v_sub_nc_u32_e32 v4, v4, v11
	v_lshrrev_b32_e32 v2, s67, v2
	s_delay_alu instid0(VALU_DEP_2) | instskip(SKIP_2) | instid1(VALU_DEP_4)
	v_mul_lo_u32 v11, v4, s60
	v_mul_lo_u32 v4, v4, s61
	v_sub_nc_u32_e32 v3, v3, v9
	v_mul_lo_u32 v12, v2, s65
	s_delay_alu instid0(VALU_DEP_2) | instskip(SKIP_1) | instid1(VALU_DEP_3)
	v_mul_lo_u32 v9, v3, s58
	v_mul_lo_u32 v3, v3, s59
	v_sub_nc_u32_e32 v5, v5, v12
	s_delay_alu instid0(VALU_DEP_3) | instskip(NEXT) | instid1(VALU_DEP_2)
	v_add3_u32 v0, v6, v0, v9
	v_mul_lo_u32 v12, v5, s62
	v_mul_lo_u32 v5, v5, s63
	v_add3_u32 v1, v10, v1, v3
	s_delay_alu instid0(VALU_DEP_3) | instskip(NEXT) | instid1(VALU_DEP_2)
	v_add3_u32 v0, v11, v0, v12
	v_add3_u32 v1, v4, v1, v5
	s_cbranch_scc0 .LBB449_804
	s_branch .LBB449_807
.LBB449_805:
	s_mov_b32 s36, -1
                                        ; implicit-def: $vgpr0
                                        ; implicit-def: $vgpr1
	s_branch .LBB449_810
.LBB449_806:
	v_dual_mov_b32 v2, v8 :: v_dual_mov_b32 v1, 0
.LBB449_807:
	s_and_b32 s44, s44, 3
	s_delay_alu instid0(SALU_CYCLE_1)
	s_cmp_eq_u32 s44, 0
	s_cbranch_scc1 .LBB449_810
; %bb.808:
	s_lshl_b32 s2, s35, 3
	s_mul_i32 s22, s35, 12
	s_add_u32 s2, s2, s16
	s_addc_u32 s3, s17, 0
	s_add_u32 s2, s2, 0xc4
	s_addc_u32 s3, s3, 0
	;; [unrolled: 2-line block ×3, first 2 shown]
.LBB449_809:                            ; =>This Inner Loop Header: Depth=1
	s_clause 0x1
	s_load_b64 s[46:47], s[22:23], 0x4
	s_load_b32 s35, s[22:23], 0xc
	s_load_b64 s[48:49], s[2:3], 0x0
	s_add_u32 s22, s22, 12
	s_addc_u32 s23, s23, 0
	s_add_u32 s2, s2, 8
	s_addc_u32 s3, s3, 0
	s_add_i32 s44, s44, -1
	s_delay_alu instid0(SALU_CYCLE_1) | instskip(SKIP_2) | instid1(VALU_DEP_1)
	s_cmp_lg_u32 s44, 0
	s_waitcnt vmcnt(0) lgkmcnt(0)
	v_mul_hi_u32 v3, s47, v2
	v_add_nc_u32_e32 v3, v2, v3
	s_delay_alu instid0(VALU_DEP_1) | instskip(NEXT) | instid1(VALU_DEP_1)
	v_lshrrev_b32_e32 v6, s35, v3
	v_mul_lo_u32 v3, v6, s46
	s_delay_alu instid0(VALU_DEP_1) | instskip(NEXT) | instid1(VALU_DEP_1)
	v_sub_nc_u32_e32 v2, v2, v3
	v_mad_u64_u32 v[3:4], null, v2, s48, v[0:1]
	v_mad_u64_u32 v[4:5], null, v2, s49, v[1:2]
	v_mov_b32_e32 v2, v6
	s_delay_alu instid0(VALU_DEP_2)
	v_dual_mov_b32 v0, v3 :: v_dual_mov_b32 v1, v4
	s_cbranch_scc1 .LBB449_809
.LBB449_810:
	s_and_not1_b32 vcc_lo, exec_lo, s36
	s_cbranch_vccnz .LBB449_813
; %bb.811:
	v_mul_hi_u32 v0, s13, v8
	s_and_not1_b32 vcc_lo, exec_lo, s33
	s_delay_alu instid0(VALU_DEP_1) | instskip(NEXT) | instid1(VALU_DEP_1)
	v_add_nc_u32_e32 v0, v8, v0
	v_lshrrev_b32_e32 v2, s14, v0
	s_delay_alu instid0(VALU_DEP_1) | instskip(NEXT) | instid1(VALU_DEP_1)
	v_mul_lo_u32 v0, v2, s12
	v_sub_nc_u32_e32 v1, v8, v0
	s_delay_alu instid0(VALU_DEP_1)
	v_mul_lo_u32 v0, v1, s8
	v_mul_lo_u32 v1, v1, s9
	s_cbranch_vccnz .LBB449_813
; %bb.812:
	s_waitcnt vmcnt(0)
	v_mul_hi_u32 v3, s20, v2
	s_delay_alu instid0(VALU_DEP_1) | instskip(NEXT) | instid1(VALU_DEP_1)
	v_add_nc_u32_e32 v3, v2, v3
	v_lshrrev_b32_e32 v3, s21, v3
	s_delay_alu instid0(VALU_DEP_1) | instskip(NEXT) | instid1(VALU_DEP_1)
	v_mul_lo_u32 v3, v3, s15
	v_sub_nc_u32_e32 v5, v2, v3
	s_delay_alu instid0(VALU_DEP_1) | instskip(NEXT) | instid1(VALU_DEP_1)
	v_mad_u64_u32 v[2:3], null, v5, s10, v[0:1]
	v_mad_u64_u32 v[3:4], null, v5, s11, v[1:2]
	s_delay_alu instid0(VALU_DEP_1)
	v_dual_mov_b32 v0, v2 :: v_dual_mov_b32 v1, v3
.LBB449_813:
	v_cmp_gt_i16_e32 vcc_lo, 11, v7
	s_delay_alu instid0(VALU_DEP_2) | instskip(NEXT) | instid1(VALU_DEP_1)
	v_add_co_u32 v1, s2, s6, v1
	v_add_co_ci_u32_e64 v2, null, s7, 0, s2
	s_mov_b32 s2, 0
	s_cbranch_vccnz .LBB449_820
; %bb.814:
	v_cmp_lt_i16_e32 vcc_lo, 25, v7
	s_mov_b32 s7, 0
	s_cbranch_vccz .LBB449_821
; %bb.815:
	v_cmp_lt_i16_e32 vcc_lo, 28, v7
	s_cbranch_vccz .LBB449_822
; %bb.816:
	v_cmp_lt_i16_e32 vcc_lo, 43, v7
	;; [unrolled: 3-line block ×3, first 2 shown]
	s_cbranch_vccz .LBB449_826
; %bb.818:
	v_cmp_eq_u16_e32 vcc_lo, 46, v7
	s_mov_b32 s3, 0
	s_cbranch_vccz .LBB449_829
; %bb.819:
	global_load_b32 v3, v[1:2], off
	s_mov_b32 s6, 0
	s_mov_b32 s2, -1
	s_waitcnt vmcnt(0)
	v_lshlrev_b32_e32 v3, 16, v3
	s_delay_alu instid0(VALU_DEP_1) | instskip(NEXT) | instid1(VALU_DEP_1)
	v_trunc_f32_e32 v3, v3
	v_mul_f32_e64 v4, 0x2f800000, |v3|
	s_delay_alu instid0(VALU_DEP_1) | instskip(NEXT) | instid1(VALU_DEP_1)
	v_floor_f32_e32 v4, v4
	v_fma_f32 v5, 0xcf800000, v4, |v3|
	v_ashrrev_i32_e32 v3, 31, v3
	v_cvt_u32_f32_e32 v4, v4
	s_delay_alu instid0(VALU_DEP_3) | instskip(NEXT) | instid1(VALU_DEP_2)
	v_cvt_u32_f32_e32 v5, v5
	v_xor_b32_e32 v4, v4, v3
	s_delay_alu instid0(VALU_DEP_2) | instskip(NEXT) | instid1(VALU_DEP_1)
	v_xor_b32_e32 v5, v5, v3
	v_sub_co_u32 v5, vcc_lo, v5, v3
	s_delay_alu instid0(VALU_DEP_3)
	v_sub_co_ci_u32_e32 v6, vcc_lo, v4, v3, vcc_lo
	s_branch .LBB449_831
.LBB449_820:
	s_mov_b32 s3, -1
	s_mov_b32 s7, 0
	s_mov_b32 s6, s24
                                        ; implicit-def: $vgpr5_vgpr6
	s_branch .LBB449_890
.LBB449_821:
	s_mov_b32 s3, -1
	s_mov_b32 s6, s24
                                        ; implicit-def: $vgpr5_vgpr6
	s_branch .LBB449_860
.LBB449_822:
	s_mov_b32 s3, -1
	s_mov_b32 s6, s24
                                        ; implicit-def: $vgpr5_vgpr6
	s_branch .LBB449_841
.LBB449_823:
	s_mov_b32 s3, -1
	s_mov_b32 s6, s24
                                        ; implicit-def: $vgpr5_vgpr6
	s_branch .LBB449_836
.LBB449_824:
	s_or_saveexec_b32 s44, s44
                                        ; implicit-def: $sgpr45
	s_delay_alu instid0(SALU_CYCLE_1)
	s_xor_b32 exec_lo, exec_lo, s44
	s_cbranch_execz .LBB449_747
.LBB449_825:
	v_add_f32_e64 v6, 0x46000000, |v0|
	s_and_not1_b32 s25, s25, exec_lo
	s_mov_b32 s45, 0
	s_delay_alu instid0(VALU_DEP_1) | instskip(NEXT) | instid1(VALU_DEP_1)
	v_and_b32_e32 v6, 0xff, v6
	v_cmp_ne_u32_e32 vcc_lo, 0, v6
	s_and_b32 s46, vcc_lo, exec_lo
	s_delay_alu instid0(SALU_CYCLE_1)
	s_or_b32 s25, s25, s46
	s_or_b32 exec_lo, exec_lo, s44
	v_mov_b32_e32 v9, s45
	s_and_saveexec_b32 s44, s25
	s_cbranch_execnz .LBB449_748
	s_branch .LBB449_749
.LBB449_826:
	s_mov_b32 s3, -1
	s_mov_b32 s6, s24
	s_branch .LBB449_830
.LBB449_827:
	s_or_saveexec_b32 s44, s44
                                        ; implicit-def: $sgpr45
	s_delay_alu instid0(SALU_CYCLE_1)
	s_xor_b32 exec_lo, exec_lo, s44
	s_cbranch_execz .LBB449_760
.LBB449_828:
	v_add_f32_e64 v6, 0x42800000, |v0|
	s_and_not1_b32 s25, s25, exec_lo
	s_mov_b32 s45, 0
	s_delay_alu instid0(VALU_DEP_1) | instskip(NEXT) | instid1(VALU_DEP_1)
	v_and_b32_e32 v6, 0xff, v6
	v_cmp_ne_u32_e32 vcc_lo, 0, v6
	s_and_b32 s46, vcc_lo, exec_lo
	s_delay_alu instid0(SALU_CYCLE_1)
	s_or_b32 s25, s25, s46
	s_or_b32 exec_lo, exec_lo, s44
	v_mov_b32_e32 v9, s45
	s_and_saveexec_b32 s44, s25
	s_cbranch_execnz .LBB449_761
	s_branch .LBB449_762
.LBB449_829:
	s_mov_b32 s6, -1
.LBB449_830:
                                        ; implicit-def: $vgpr5_vgpr6
.LBB449_831:
	s_and_b32 vcc_lo, exec_lo, s3
	s_cbranch_vccz .LBB449_835
; %bb.832:
	v_cmp_eq_u16_e32 vcc_lo, 44, v7
	s_cbranch_vccz .LBB449_834
; %bb.833:
	global_load_u8 v3, v[1:2], off
	s_mov_b32 s6, 0
	s_mov_b32 s2, -1
	s_waitcnt vmcnt(0)
	v_lshlrev_b32_e32 v4, 23, v3
	s_delay_alu instid0(VALU_DEP_1) | instskip(NEXT) | instid1(VALU_DEP_1)
	v_trunc_f32_e32 v4, v4
	v_mul_f32_e64 v5, 0x2f800000, |v4|
	s_delay_alu instid0(VALU_DEP_1) | instskip(NEXT) | instid1(VALU_DEP_1)
	v_floor_f32_e32 v5, v5
	v_fma_f32 v6, 0xcf800000, v5, |v4|
	v_ashrrev_i32_e32 v4, 31, v4
	v_cvt_u32_f32_e32 v5, v5
	s_delay_alu instid0(VALU_DEP_3) | instskip(NEXT) | instid1(VALU_DEP_2)
	v_cvt_u32_f32_e32 v6, v6
	v_xor_b32_e32 v5, v5, v4
	s_delay_alu instid0(VALU_DEP_2) | instskip(NEXT) | instid1(VALU_DEP_1)
	v_xor_b32_e32 v6, v6, v4
	v_sub_co_u32 v8, vcc_lo, v6, v4
	s_delay_alu instid0(VALU_DEP_3) | instskip(SKIP_1) | instid1(VALU_DEP_3)
	v_sub_co_ci_u32_e32 v4, vcc_lo, v5, v4, vcc_lo
	v_cmp_ne_u32_e32 vcc_lo, 0, v3
	v_cndmask_b32_e32 v5, 0, v8, vcc_lo
	s_delay_alu instid0(VALU_DEP_3)
	v_cndmask_b32_e32 v6, 0, v4, vcc_lo
	s_branch .LBB449_835
.LBB449_834:
	s_mov_b32 s6, -1
                                        ; implicit-def: $vgpr5_vgpr6
.LBB449_835:
	s_mov_b32 s3, 0
.LBB449_836:
	s_delay_alu instid0(SALU_CYCLE_1)
	s_and_b32 vcc_lo, exec_lo, s3
	s_cbranch_vccz .LBB449_840
; %bb.837:
	v_cmp_eq_u16_e32 vcc_lo, 29, v7
	s_cbranch_vccz .LBB449_839
; %bb.838:
	global_load_b64 v[5:6], v[1:2], off
	s_mov_b32 s6, 0
	s_mov_b32 s2, -1
	s_branch .LBB449_840
.LBB449_839:
	s_mov_b32 s6, -1
                                        ; implicit-def: $vgpr5_vgpr6
.LBB449_840:
	s_mov_b32 s3, 0
.LBB449_841:
	s_delay_alu instid0(SALU_CYCLE_1)
	s_and_b32 vcc_lo, exec_lo, s3
	s_cbranch_vccz .LBB449_859
; %bb.842:
	v_cmp_gt_i16_e32 vcc_lo, 27, v7
	s_cbranch_vccnz .LBB449_845
; %bb.843:
	v_cmp_lt_i16_e32 vcc_lo, 27, v7
	s_cbranch_vccz .LBB449_846
; %bb.844:
	global_load_b32 v5, v[1:2], off
	s_waitcnt vmcnt(1)
	v_mov_b32_e32 v6, 0
	s_mov_b32 s2, 0
	s_branch .LBB449_847
.LBB449_845:
	s_mov_b32 s2, -1
                                        ; implicit-def: $vgpr5_vgpr6
	s_branch .LBB449_850
.LBB449_846:
	s_mov_b32 s2, -1
                                        ; implicit-def: $vgpr5_vgpr6
.LBB449_847:
	s_delay_alu instid0(SALU_CYCLE_1)
	s_and_not1_b32 vcc_lo, exec_lo, s2
	s_cbranch_vccnz .LBB449_849
; %bb.848:
	global_load_u16 v3, v[1:2], off
	s_mov_b32 s2, 0
	s_waitcnt vmcnt(0)
	v_dual_mov_b32 v6, s2 :: v_dual_and_b32 v5, 0xffff, v3
.LBB449_849:
	s_mov_b32 s2, 0
.LBB449_850:
	s_delay_alu instid0(SALU_CYCLE_1)
	s_and_not1_b32 vcc_lo, exec_lo, s2
	s_cbranch_vccnz .LBB449_858
; %bb.851:
	global_load_u8 v3, v[1:2], off
	s_mov_b32 s8, 0
	s_mov_b32 s9, exec_lo
                                        ; implicit-def: $sgpr2_sgpr3
	s_waitcnt vmcnt(0)
	v_cmpx_lt_i16_e32 0x7f, v3
	s_xor_b32 s9, exec_lo, s9
; %bb.852:
	v_cmp_ne_u16_e32 vcc_lo, 0x80, v3
	s_mov_b64 s[2:3], 0
	s_and_b32 s8, vcc_lo, exec_lo
; %bb.853:
	s_or_saveexec_b32 s9, s9
	v_dual_mov_b32 v6, s3 :: v_dual_mov_b32 v5, s2
	s_xor_b32 exec_lo, exec_lo, s9
; %bb.854:
	v_cmp_ne_u16_e32 vcc_lo, 0, v3
	v_mov_b32_e32 v5, 0
	v_mov_b32_e32 v6, 0
	s_and_not1_b32 s2, s8, exec_lo
	s_and_b32 s3, vcc_lo, exec_lo
	s_delay_alu instid0(SALU_CYCLE_1)
	s_or_b32 s8, s2, s3
; %bb.855:
	s_or_b32 exec_lo, exec_lo, s9
	s_and_saveexec_b32 s2, s8
	s_cbranch_execz .LBB449_857
; %bb.856:
	v_and_b32_e32 v4, 0xffff, v3
	v_lshlrev_b32_e32 v3, 24, v3
	s_delay_alu instid0(VALU_DEP_2) | instskip(NEXT) | instid1(VALU_DEP_2)
	v_and_b32_e32 v5, 7, v4
	v_and_b32_e32 v3, 0x80000000, v3
	s_delay_alu instid0(VALU_DEP_2) | instskip(NEXT) | instid1(VALU_DEP_1)
	v_clz_i32_u32_e32 v6, v5
	v_min_u32_e32 v6, 32, v6
	s_delay_alu instid0(VALU_DEP_1) | instskip(SKIP_1) | instid1(VALU_DEP_2)
	v_subrev_nc_u32_e32 v8, 28, v6
	v_sub_nc_u32_e32 v6, 29, v6
	v_lshlrev_b32_e32 v8, v8, v4
	v_bfe_u32 v4, v4, 3, 4
	s_delay_alu instid0(VALU_DEP_2) | instskip(NEXT) | instid1(VALU_DEP_2)
	v_and_b32_e32 v8, 7, v8
	v_cmp_eq_u32_e32 vcc_lo, 0, v4
	s_delay_alu instid0(VALU_DEP_2) | instskip(NEXT) | instid1(VALU_DEP_1)
	v_dual_cndmask_b32 v4, v4, v6 :: v_dual_cndmask_b32 v5, v5, v8
	v_lshl_add_u32 v4, v4, 23, 0x3b800000
	s_delay_alu instid0(VALU_DEP_2) | instskip(NEXT) | instid1(VALU_DEP_1)
	v_lshlrev_b32_e32 v5, 20, v5
	v_or3_b32 v3, v3, v4, v5
	s_delay_alu instid0(VALU_DEP_1) | instskip(NEXT) | instid1(VALU_DEP_1)
	v_trunc_f32_e32 v3, v3
	v_mul_f32_e64 v4, 0x2f800000, |v3|
	s_delay_alu instid0(VALU_DEP_1) | instskip(NEXT) | instid1(VALU_DEP_1)
	v_floor_f32_e32 v4, v4
	v_fma_f32 v5, 0xcf800000, v4, |v3|
	v_ashrrev_i32_e32 v3, 31, v3
	v_cvt_u32_f32_e32 v4, v4
	s_delay_alu instid0(VALU_DEP_3) | instskip(NEXT) | instid1(VALU_DEP_2)
	v_cvt_u32_f32_e32 v5, v5
	v_xor_b32_e32 v4, v4, v3
	s_delay_alu instid0(VALU_DEP_2) | instskip(NEXT) | instid1(VALU_DEP_1)
	v_xor_b32_e32 v5, v5, v3
	v_sub_co_u32 v5, vcc_lo, v5, v3
	s_delay_alu instid0(VALU_DEP_3)
	v_sub_co_ci_u32_e32 v6, vcc_lo, v4, v3, vcc_lo
.LBB449_857:
	s_or_b32 exec_lo, exec_lo, s2
.LBB449_858:
	s_mov_b32 s2, -1
.LBB449_859:
	s_mov_b32 s3, 0
.LBB449_860:
	s_delay_alu instid0(SALU_CYCLE_1)
	s_and_b32 vcc_lo, exec_lo, s3
	s_cbranch_vccz .LBB449_889
; %bb.861:
	v_cmp_lt_i16_e32 vcc_lo, 22, v7
	s_cbranch_vccz .LBB449_871
; %bb.862:
	v_cmp_gt_i16_e32 vcc_lo, 24, v7
	s_cbranch_vccnz .LBB449_872
; %bb.863:
	v_cmp_lt_i16_e32 vcc_lo, 24, v7
	s_cbranch_vccz .LBB449_873
; %bb.864:
	global_load_u8 v3, v[1:2], off
	s_mov_b32 s8, exec_lo
                                        ; implicit-def: $sgpr2_sgpr3
	s_waitcnt vmcnt(0)
	v_cmpx_lt_i16_e32 0x7f, v3
	s_xor_b32 s8, exec_lo, s8
; %bb.865:
	v_cmp_ne_u16_e32 vcc_lo, 0x80, v3
	s_mov_b64 s[2:3], 0
	s_and_b32 s7, vcc_lo, exec_lo
; %bb.866:
	s_or_saveexec_b32 s8, s8
	v_dual_mov_b32 v6, s3 :: v_dual_mov_b32 v5, s2
	s_xor_b32 exec_lo, exec_lo, s8
; %bb.867:
	v_cmp_ne_u16_e32 vcc_lo, 0, v3
	v_mov_b32_e32 v5, 0
	v_mov_b32_e32 v6, 0
	s_and_not1_b32 s2, s7, exec_lo
	s_and_b32 s3, vcc_lo, exec_lo
	s_delay_alu instid0(SALU_CYCLE_1)
	s_or_b32 s7, s2, s3
; %bb.868:
	s_or_b32 exec_lo, exec_lo, s8
	s_and_saveexec_b32 s2, s7
	s_cbranch_execz .LBB449_870
; %bb.869:
	v_and_b32_e32 v4, 0xffff, v3
	v_lshlrev_b32_e32 v3, 24, v3
	s_delay_alu instid0(VALU_DEP_2) | instskip(NEXT) | instid1(VALU_DEP_2)
	v_and_b32_e32 v5, 3, v4
	v_and_b32_e32 v3, 0x80000000, v3
	s_delay_alu instid0(VALU_DEP_2) | instskip(NEXT) | instid1(VALU_DEP_1)
	v_clz_i32_u32_e32 v6, v5
	v_min_u32_e32 v6, 32, v6
	s_delay_alu instid0(VALU_DEP_1) | instskip(SKIP_1) | instid1(VALU_DEP_2)
	v_subrev_nc_u32_e32 v8, 29, v6
	v_sub_nc_u32_e32 v6, 30, v6
	v_lshlrev_b32_e32 v8, v8, v4
	v_bfe_u32 v4, v4, 2, 5
	s_delay_alu instid0(VALU_DEP_2) | instskip(NEXT) | instid1(VALU_DEP_2)
	v_and_b32_e32 v8, 3, v8
	v_cmp_eq_u32_e32 vcc_lo, 0, v4
	s_delay_alu instid0(VALU_DEP_2) | instskip(NEXT) | instid1(VALU_DEP_1)
	v_dual_cndmask_b32 v4, v4, v6 :: v_dual_cndmask_b32 v5, v5, v8
	v_lshl_add_u32 v4, v4, 23, 0x37800000
	s_delay_alu instid0(VALU_DEP_2) | instskip(NEXT) | instid1(VALU_DEP_1)
	v_lshlrev_b32_e32 v5, 21, v5
	v_or3_b32 v3, v3, v4, v5
	s_delay_alu instid0(VALU_DEP_1) | instskip(NEXT) | instid1(VALU_DEP_1)
	v_trunc_f32_e32 v3, v3
	v_mul_f32_e64 v4, 0x2f800000, |v3|
	s_delay_alu instid0(VALU_DEP_1) | instskip(NEXT) | instid1(VALU_DEP_1)
	v_floor_f32_e32 v4, v4
	v_fma_f32 v5, 0xcf800000, v4, |v3|
	v_ashrrev_i32_e32 v3, 31, v3
	v_cvt_u32_f32_e32 v4, v4
	s_delay_alu instid0(VALU_DEP_3) | instskip(NEXT) | instid1(VALU_DEP_2)
	v_cvt_u32_f32_e32 v5, v5
	v_xor_b32_e32 v4, v4, v3
	s_delay_alu instid0(VALU_DEP_2) | instskip(NEXT) | instid1(VALU_DEP_1)
	v_xor_b32_e32 v5, v5, v3
	v_sub_co_u32 v5, vcc_lo, v5, v3
	s_delay_alu instid0(VALU_DEP_3)
	v_sub_co_ci_u32_e32 v6, vcc_lo, v4, v3, vcc_lo
.LBB449_870:
	s_or_b32 exec_lo, exec_lo, s2
	s_mov_b32 s2, 0
	s_branch .LBB449_874
.LBB449_871:
	s_mov_b32 s3, -1
                                        ; implicit-def: $vgpr5_vgpr6
	s_branch .LBB449_880
.LBB449_872:
	s_mov_b32 s2, -1
                                        ; implicit-def: $vgpr5_vgpr6
	s_branch .LBB449_877
.LBB449_873:
	s_mov_b32 s2, -1
                                        ; implicit-def: $vgpr5_vgpr6
.LBB449_874:
	s_delay_alu instid0(SALU_CYCLE_1)
	s_and_b32 vcc_lo, exec_lo, s2
	s_cbranch_vccz .LBB449_876
; %bb.875:
	global_load_u8 v3, v[1:2], off
	s_waitcnt vmcnt(0)
	v_lshlrev_b32_e32 v3, 24, v3
	s_delay_alu instid0(VALU_DEP_1) | instskip(NEXT) | instid1(VALU_DEP_1)
	v_and_b32_e32 v4, 0x7f000000, v3
	v_clz_i32_u32_e32 v5, v4
	v_add_nc_u32_e32 v8, 0x1000000, v4
	v_cmp_ne_u32_e32 vcc_lo, 0, v4
	s_delay_alu instid0(VALU_DEP_3) | instskip(NEXT) | instid1(VALU_DEP_1)
	v_min_u32_e32 v5, 32, v5
	v_sub_nc_u32_e64 v5, v5, 4 clamp
	s_delay_alu instid0(VALU_DEP_1) | instskip(SKIP_1) | instid1(VALU_DEP_2)
	v_lshlrev_b32_e32 v6, v5, v4
	v_lshlrev_b32_e32 v5, 23, v5
	v_lshrrev_b32_e32 v6, 4, v6
	s_delay_alu instid0(VALU_DEP_1) | instskip(SKIP_1) | instid1(VALU_DEP_2)
	v_sub_nc_u32_e32 v5, v6, v5
	v_ashrrev_i32_e32 v6, 8, v8
	v_add_nc_u32_e32 v5, 0x3c000000, v5
	s_delay_alu instid0(VALU_DEP_1) | instskip(NEXT) | instid1(VALU_DEP_1)
	v_and_or_b32 v5, 0x7f800000, v6, v5
	v_cndmask_b32_e32 v4, 0, v5, vcc_lo
	s_delay_alu instid0(VALU_DEP_1) | instskip(NEXT) | instid1(VALU_DEP_1)
	v_and_or_b32 v3, 0x80000000, v3, v4
	v_trunc_f32_e32 v3, v3
	s_delay_alu instid0(VALU_DEP_1) | instskip(NEXT) | instid1(VALU_DEP_1)
	v_mul_f32_e64 v4, 0x2f800000, |v3|
	v_floor_f32_e32 v4, v4
	s_delay_alu instid0(VALU_DEP_1) | instskip(SKIP_2) | instid1(VALU_DEP_3)
	v_fma_f32 v5, 0xcf800000, v4, |v3|
	v_ashrrev_i32_e32 v3, 31, v3
	v_cvt_u32_f32_e32 v4, v4
	v_cvt_u32_f32_e32 v5, v5
	s_delay_alu instid0(VALU_DEP_2) | instskip(NEXT) | instid1(VALU_DEP_2)
	v_xor_b32_e32 v4, v4, v3
	v_xor_b32_e32 v5, v5, v3
	s_delay_alu instid0(VALU_DEP_1) | instskip(NEXT) | instid1(VALU_DEP_3)
	v_sub_co_u32 v5, vcc_lo, v5, v3
	v_sub_co_ci_u32_e32 v6, vcc_lo, v4, v3, vcc_lo
.LBB449_876:
	s_mov_b32 s2, 0
.LBB449_877:
	s_delay_alu instid0(SALU_CYCLE_1)
	s_and_not1_b32 vcc_lo, exec_lo, s2
	s_cbranch_vccnz .LBB449_879
; %bb.878:
	global_load_u8 v3, v[1:2], off
	s_waitcnt vmcnt(0)
	v_lshlrev_b32_e32 v4, 25, v3
	v_lshlrev_b16 v3, 8, v3
	s_delay_alu instid0(VALU_DEP_2) | instskip(NEXT) | instid1(VALU_DEP_2)
	v_lshrrev_b32_e32 v5, 4, v4
	v_and_or_b32 v6, 0x7f00, v3, 0.5
	v_bfe_i32 v3, v3, 0, 16
	s_delay_alu instid0(VALU_DEP_3) | instskip(NEXT) | instid1(VALU_DEP_1)
	v_or_b32_e32 v5, 0x70000000, v5
	v_dual_add_f32 v6, -0.5, v6 :: v_dual_mul_f32 v5, 0x7800000, v5
	v_cmp_gt_u32_e32 vcc_lo, 0x8000000, v4
	s_delay_alu instid0(VALU_DEP_2) | instskip(NEXT) | instid1(VALU_DEP_1)
	v_cndmask_b32_e32 v4, v5, v6, vcc_lo
	v_and_or_b32 v3, 0x80000000, v3, v4
	s_delay_alu instid0(VALU_DEP_1) | instskip(NEXT) | instid1(VALU_DEP_1)
	v_trunc_f32_e32 v3, v3
	v_mul_f32_e64 v4, 0x2f800000, |v3|
	s_delay_alu instid0(VALU_DEP_1) | instskip(NEXT) | instid1(VALU_DEP_1)
	v_floor_f32_e32 v4, v4
	v_fma_f32 v5, 0xcf800000, v4, |v3|
	v_ashrrev_i32_e32 v3, 31, v3
	v_cvt_u32_f32_e32 v4, v4
	s_delay_alu instid0(VALU_DEP_3) | instskip(NEXT) | instid1(VALU_DEP_2)
	v_cvt_u32_f32_e32 v5, v5
	v_xor_b32_e32 v4, v4, v3
	s_delay_alu instid0(VALU_DEP_2) | instskip(NEXT) | instid1(VALU_DEP_1)
	v_xor_b32_e32 v5, v5, v3
	v_sub_co_u32 v5, vcc_lo, v5, v3
	s_delay_alu instid0(VALU_DEP_3)
	v_sub_co_ci_u32_e32 v6, vcc_lo, v4, v3, vcc_lo
.LBB449_879:
	s_mov_b32 s3, 0
	s_mov_b32 s2, -1
.LBB449_880:
	s_and_not1_b32 vcc_lo, exec_lo, s3
	s_mov_b32 s7, 0
	s_cbranch_vccnz .LBB449_889
; %bb.881:
	v_cmp_lt_i16_e32 vcc_lo, 14, v7
	s_cbranch_vccz .LBB449_884
; %bb.882:
	v_cmp_eq_u16_e32 vcc_lo, 15, v7
	s_cbranch_vccz .LBB449_885
; %bb.883:
	global_load_u16 v3, v[1:2], off
	s_mov_b32 s6, 0
	s_mov_b32 s2, -1
	s_waitcnt vmcnt(0)
	v_lshlrev_b32_e32 v3, 16, v3
	s_delay_alu instid0(VALU_DEP_1) | instskip(NEXT) | instid1(VALU_DEP_1)
	v_trunc_f32_e32 v3, v3
	v_mul_f32_e64 v4, 0x2f800000, |v3|
	s_delay_alu instid0(VALU_DEP_1) | instskip(NEXT) | instid1(VALU_DEP_1)
	v_floor_f32_e32 v4, v4
	v_fma_f32 v5, 0xcf800000, v4, |v3|
	v_ashrrev_i32_e32 v3, 31, v3
	v_cvt_u32_f32_e32 v4, v4
	s_delay_alu instid0(VALU_DEP_3) | instskip(NEXT) | instid1(VALU_DEP_2)
	v_cvt_u32_f32_e32 v5, v5
	v_xor_b32_e32 v4, v4, v3
	s_delay_alu instid0(VALU_DEP_2) | instskip(NEXT) | instid1(VALU_DEP_1)
	v_xor_b32_e32 v5, v5, v3
	v_sub_co_u32 v5, vcc_lo, v5, v3
	s_delay_alu instid0(VALU_DEP_3)
	v_sub_co_ci_u32_e32 v6, vcc_lo, v4, v3, vcc_lo
	s_branch .LBB449_886
.LBB449_884:
	s_mov_b32 s3, -1
                                        ; implicit-def: $vgpr5_vgpr6
	s_branch .LBB449_887
.LBB449_885:
	s_mov_b32 s6, -1
                                        ; implicit-def: $vgpr5_vgpr6
.LBB449_886:
	s_mov_b32 s3, 0
.LBB449_887:
	s_delay_alu instid0(SALU_CYCLE_1)
	s_and_b32 vcc_lo, exec_lo, s3
	s_cbranch_vccz .LBB449_889
; %bb.888:
	v_cmp_ne_u16_e32 vcc_lo, 11, v7
	s_and_not1_b32 s3, s6, exec_lo
	s_mov_b32 s7, -1
                                        ; implicit-def: $vgpr5_vgpr6
	s_and_b32 s6, vcc_lo, exec_lo
	s_delay_alu instid0(SALU_CYCLE_1)
	s_or_b32 s6, s3, s6
.LBB449_889:
	s_mov_b32 s3, 0
.LBB449_890:
	s_and_not1_b32 s8, s24, exec_lo
	s_and_b32 s6, s6, exec_lo
	s_and_b32 s44, s2, exec_lo
	;; [unrolled: 1-line block ×4, first 2 shown]
	s_or_b32 s45, s8, s6
.LBB449_891:
	s_or_b32 exec_lo, exec_lo, s34
	s_delay_alu instid0(SALU_CYCLE_1)
	s_and_not1_b32 s6, s24, exec_lo
	s_and_b32 s7, s45, exec_lo
	s_and_b32 s44, s44, exec_lo
	s_and_b32 s3, s3, exec_lo
	s_and_b32 s2, s2, exec_lo
	s_or_b32 s24, s6, s7
.LBB449_892:
	s_or_b32 exec_lo, exec_lo, s43
	s_delay_alu instid0(SALU_CYCLE_1)
	s_and_not1_b32 s6, s41, exec_lo
	s_and_b32 s7, s25, exec_lo
	s_and_b32 s43, s44, exec_lo
	s_or_b32 s41, s6, s7
	s_and_not1_b32 s6, s40, exec_lo
	s_and_b32 s7, s24, exec_lo
	s_and_b32 s25, s3, exec_lo
	;; [unrolled: 1-line block ×3, first 2 shown]
	s_or_b32 s40, s6, s7
.LBB449_893:
	s_or_b32 exec_lo, exec_lo, s42
	s_delay_alu instid0(SALU_CYCLE_1)
	s_and_not1_b32 s2, s37, exec_lo
	s_and_b32 s6, s41, exec_lo
	s_and_b32 s7, s40, exec_lo
	s_or_b32 s37, s2, s6
	s_and_not1_b32 s6, s38, exec_lo
	s_and_b32 s2, s43, exec_lo
	s_and_b32 s24, s25, exec_lo
	;; [unrolled: 1-line block ×3, first 2 shown]
	s_or_b32 s38, s6, s7
.LBB449_894:
	s_or_b32 exec_lo, exec_lo, s39
	s_mov_b32 s3, 0
	s_and_saveexec_b32 s6, s38
	s_cbranch_execnz .LBB449_906
; %bb.895:
	s_or_b32 exec_lo, exec_lo, s6
	s_and_saveexec_b32 s6, s40
	s_delay_alu instid0(SALU_CYCLE_1)
	s_xor_b32 s6, exec_lo, s6
	s_cbranch_execz .LBB449_897
.LBB449_896:
	global_load_u8 v3, v[1:2], off
	s_mov_b32 s7, 0
	s_or_b32 s2, s2, exec_lo
	s_waitcnt vmcnt(1)
	v_mov_b32_e32 v6, s7
	s_waitcnt vmcnt(0)
	v_cmp_ne_u16_e32 vcc_lo, 0, v3
	v_cndmask_b32_e64 v5, 0, 1, vcc_lo
.LBB449_897:
	s_or_b32 exec_lo, exec_lo, s6
	s_and_saveexec_b32 s6, s24
	s_cbranch_execz .LBB449_945
; %bb.898:
	v_cmp_gt_i16_e32 vcc_lo, 5, v7
	s_cbranch_vccnz .LBB449_903
; %bb.899:
	v_cmp_gt_i16_e32 vcc_lo, 8, v7
	s_cbranch_vccnz .LBB449_904
	;; [unrolled: 3-line block ×3, first 2 shown]
; %bb.901:
	v_cmp_lt_i16_e32 vcc_lo, 9, v7
	s_cbranch_vccz .LBB449_908
; %bb.902:
	global_load_b64 v[3:4], v[1:2], off
	s_mov_b32 s7, 0
	s_waitcnt vmcnt(0)
	v_trunc_f64_e32 v[3:4], v[3:4]
	s_delay_alu instid0(VALU_DEP_1) | instskip(NEXT) | instid1(VALU_DEP_1)
	v_ldexp_f64 v[5:6], v[3:4], 0xffffffe0
	v_floor_f64_e32 v[5:6], v[5:6]
	s_delay_alu instid0(VALU_DEP_1) | instskip(SKIP_1) | instid1(VALU_DEP_2)
	v_fma_f64 v[3:4], 0xc1f00000, v[5:6], v[3:4]
	v_cvt_i32_f64_e32 v6, v[5:6]
	v_cvt_u32_f64_e32 v5, v[3:4]
	s_branch .LBB449_909
.LBB449_903:
                                        ; implicit-def: $vgpr5_vgpr6
	s_branch .LBB449_926
.LBB449_904:
                                        ; implicit-def: $vgpr5_vgpr6
	s_branch .LBB449_915
.LBB449_905:
	s_mov_b32 s7, -1
                                        ; implicit-def: $vgpr5_vgpr6
	s_branch .LBB449_912
.LBB449_906:
	s_cbranch_execnz .LBB449_1176
; %bb.907:
	s_mov_b32 s3, exec_lo
	s_and_not1_b32 s40, s40, exec_lo
                                        ; implicit-def: $vgpr5_vgpr6
	s_or_b32 exec_lo, exec_lo, s6
	s_and_saveexec_b32 s6, s40
	s_delay_alu instid0(SALU_CYCLE_1)
	s_xor_b32 s6, exec_lo, s6
	s_cbranch_execnz .LBB449_896
	s_branch .LBB449_897
.LBB449_908:
	s_mov_b32 s7, -1
                                        ; implicit-def: $vgpr5_vgpr6
.LBB449_909:
	s_delay_alu instid0(SALU_CYCLE_1)
	s_and_not1_b32 vcc_lo, exec_lo, s7
	s_cbranch_vccnz .LBB449_911
; %bb.910:
	global_load_b32 v3, v[1:2], off
	s_waitcnt vmcnt(0)
	v_trunc_f32_e32 v3, v3
	s_delay_alu instid0(VALU_DEP_1) | instskip(NEXT) | instid1(VALU_DEP_1)
	v_mul_f32_e64 v4, 0x2f800000, |v3|
	v_floor_f32_e32 v4, v4
	s_delay_alu instid0(VALU_DEP_1) | instskip(SKIP_2) | instid1(VALU_DEP_3)
	v_fma_f32 v5, 0xcf800000, v4, |v3|
	v_ashrrev_i32_e32 v3, 31, v3
	v_cvt_u32_f32_e32 v4, v4
	v_cvt_u32_f32_e32 v5, v5
	s_delay_alu instid0(VALU_DEP_2) | instskip(NEXT) | instid1(VALU_DEP_2)
	v_xor_b32_e32 v4, v4, v3
	v_xor_b32_e32 v5, v5, v3
	s_delay_alu instid0(VALU_DEP_1) | instskip(NEXT) | instid1(VALU_DEP_3)
	v_sub_co_u32 v5, vcc_lo, v5, v3
	v_sub_co_ci_u32_e32 v6, vcc_lo, v4, v3, vcc_lo
.LBB449_911:
	s_mov_b32 s7, 0
.LBB449_912:
	s_delay_alu instid0(SALU_CYCLE_1)
	s_and_not1_b32 vcc_lo, exec_lo, s7
	s_cbranch_vccnz .LBB449_914
; %bb.913:
	global_load_b32 v3, v[1:2], off
	s_waitcnt vmcnt(0)
	v_cvt_f32_f16_e32 v3, v3
	s_delay_alu instid0(VALU_DEP_1) | instskip(NEXT) | instid1(VALU_DEP_1)
	v_cvt_i32_f32_e32 v5, v3
	v_ashrrev_i32_e32 v6, 31, v5
.LBB449_914:
	s_cbranch_execnz .LBB449_925
.LBB449_915:
	v_cmp_gt_i16_e32 vcc_lo, 6, v7
	s_cbranch_vccnz .LBB449_918
; %bb.916:
	v_cmp_lt_i16_e32 vcc_lo, 6, v7
	s_cbranch_vccz .LBB449_919
; %bb.917:
	global_load_b64 v[3:4], v[1:2], off
	s_mov_b32 s7, 0
	s_waitcnt vmcnt(0)
	v_trunc_f64_e32 v[3:4], v[3:4]
	s_delay_alu instid0(VALU_DEP_1) | instskip(NEXT) | instid1(VALU_DEP_1)
	v_ldexp_f64 v[5:6], v[3:4], 0xffffffe0
	v_floor_f64_e32 v[5:6], v[5:6]
	s_delay_alu instid0(VALU_DEP_1) | instskip(SKIP_1) | instid1(VALU_DEP_2)
	v_fma_f64 v[3:4], 0xc1f00000, v[5:6], v[3:4]
	v_cvt_i32_f64_e32 v6, v[5:6]
	v_cvt_u32_f64_e32 v5, v[3:4]
	s_branch .LBB449_920
.LBB449_918:
	s_mov_b32 s7, -1
                                        ; implicit-def: $vgpr5_vgpr6
	s_branch .LBB449_923
.LBB449_919:
	s_mov_b32 s7, -1
                                        ; implicit-def: $vgpr5_vgpr6
.LBB449_920:
	s_delay_alu instid0(SALU_CYCLE_1)
	s_and_not1_b32 vcc_lo, exec_lo, s7
	s_cbranch_vccnz .LBB449_922
; %bb.921:
	global_load_b32 v3, v[1:2], off
	s_waitcnt vmcnt(0)
	v_trunc_f32_e32 v3, v3
	s_delay_alu instid0(VALU_DEP_1) | instskip(NEXT) | instid1(VALU_DEP_1)
	v_mul_f32_e64 v4, 0x2f800000, |v3|
	v_floor_f32_e32 v4, v4
	s_delay_alu instid0(VALU_DEP_1) | instskip(SKIP_2) | instid1(VALU_DEP_3)
	v_fma_f32 v5, 0xcf800000, v4, |v3|
	v_ashrrev_i32_e32 v3, 31, v3
	v_cvt_u32_f32_e32 v4, v4
	v_cvt_u32_f32_e32 v5, v5
	s_delay_alu instid0(VALU_DEP_2) | instskip(NEXT) | instid1(VALU_DEP_2)
	v_xor_b32_e32 v4, v4, v3
	v_xor_b32_e32 v5, v5, v3
	s_delay_alu instid0(VALU_DEP_1) | instskip(NEXT) | instid1(VALU_DEP_3)
	v_sub_co_u32 v5, vcc_lo, v5, v3
	v_sub_co_ci_u32_e32 v6, vcc_lo, v4, v3, vcc_lo
.LBB449_922:
	s_mov_b32 s7, 0
.LBB449_923:
	s_delay_alu instid0(SALU_CYCLE_1)
	s_and_not1_b32 vcc_lo, exec_lo, s7
	s_cbranch_vccnz .LBB449_925
; %bb.924:
	global_load_u16 v3, v[1:2], off
	s_waitcnt vmcnt(0)
	v_cvt_f32_f16_e32 v3, v3
	s_delay_alu instid0(VALU_DEP_1) | instskip(NEXT) | instid1(VALU_DEP_1)
	v_cvt_i32_f32_e32 v5, v3
	v_ashrrev_i32_e32 v6, 31, v5
.LBB449_925:
	s_cbranch_execnz .LBB449_944
.LBB449_926:
	v_cmp_gt_i16_e32 vcc_lo, 2, v7
	s_cbranch_vccnz .LBB449_930
; %bb.927:
	v_cmp_gt_i16_e32 vcc_lo, 3, v7
	s_cbranch_vccnz .LBB449_931
; %bb.928:
	v_cmp_lt_i16_e32 vcc_lo, 3, v7
	s_cbranch_vccz .LBB449_932
; %bb.929:
	global_load_b64 v[5:6], v[1:2], off
	s_mov_b32 s7, 0
	s_branch .LBB449_933
.LBB449_930:
                                        ; implicit-def: $vgpr5_vgpr6
	s_branch .LBB449_939
.LBB449_931:
	s_mov_b32 s7, -1
                                        ; implicit-def: $vgpr5_vgpr6
	s_branch .LBB449_936
.LBB449_932:
	s_mov_b32 s7, -1
                                        ; implicit-def: $vgpr5_vgpr6
.LBB449_933:
	s_delay_alu instid0(SALU_CYCLE_1)
	s_and_not1_b32 vcc_lo, exec_lo, s7
	s_cbranch_vccnz .LBB449_935
; %bb.934:
	global_load_b32 v5, v[1:2], off
	s_waitcnt vmcnt(0)
	v_ashrrev_i32_e32 v6, 31, v5
.LBB449_935:
	s_mov_b32 s7, 0
.LBB449_936:
	s_delay_alu instid0(SALU_CYCLE_1)
	s_and_not1_b32 vcc_lo, exec_lo, s7
	s_cbranch_vccnz .LBB449_938
; %bb.937:
	global_load_u16 v3, v[1:2], off
	s_waitcnt vmcnt(0)
	v_bfe_i32 v5, v3, 0, 16
	s_delay_alu instid0(VALU_DEP_1)
	v_ashrrev_i32_e32 v6, 31, v5
.LBB449_938:
	s_cbranch_execnz .LBB449_944
.LBB449_939:
	v_cmp_lt_i16_e32 vcc_lo, 0, v7
	s_mov_b32 s7, 0
	s_cbranch_vccz .LBB449_941
; %bb.940:
	global_load_i8 v3, v[1:2], off
	s_waitcnt vmcnt(0)
	v_bfe_i32 v5, v3, 0, 16
	s_delay_alu instid0(VALU_DEP_1)
	v_ashrrev_i32_e32 v6, 31, v5
	s_branch .LBB449_942
.LBB449_941:
	s_mov_b32 s7, -1
                                        ; implicit-def: $vgpr5_vgpr6
.LBB449_942:
	s_delay_alu instid0(SALU_CYCLE_1)
	s_and_not1_b32 vcc_lo, exec_lo, s7
	s_cbranch_vccnz .LBB449_944
; %bb.943:
	global_load_u8 v1, v[1:2], off
	s_mov_b32 s7, 0
	s_waitcnt vmcnt(0)
	v_dual_mov_b32 v6, s7 :: v_dual_and_b32 v5, 0xffff, v1
.LBB449_944:
	s_or_b32 s2, s2, exec_lo
.LBB449_945:
	s_or_b32 exec_lo, exec_lo, s6
	s_mov_b32 s8, 0
	s_mov_b32 s7, 0
                                        ; implicit-def: $vgpr7
                                        ; implicit-def: $vgpr3_vgpr4
                                        ; implicit-def: $vgpr1_vgpr2
	s_and_saveexec_b32 s6, s2
	s_cbranch_execz .LBB449_1022
; %bb.946:
	v_and_b32_e64 v7, 0xff, s31
	s_waitcnt vmcnt(0)
	s_delay_alu instid0(VALU_DEP_2) | instskip(SKIP_1) | instid1(VALU_DEP_1)
	v_cmp_gt_i64_e32 vcc_lo, s[18:19], v[5:6]
	v_add_co_u32 v3, s4, s4, v0
	v_add_co_ci_u32_e64 v4, null, s5, 0, s4
	v_cmp_gt_i16_e64 s2, 11, v7
	v_cndmask_b32_e32 v2, s19, v6, vcc_lo
	v_cndmask_b32_e32 v1, s18, v5, vcc_lo
	s_mov_b32 s4, -1
	s_delay_alu instid0(VALU_DEP_3)
	s_and_b32 vcc_lo, exec_lo, s2
	s_mov_b32 s2, s37
	s_cbranch_vccnz .LBB449_1021
; %bb.947:
	v_cmp_lt_i16_e32 vcc_lo, 25, v7
	s_mov_b32 s2, s37
	s_cbranch_vccz .LBB449_980
; %bb.948:
	v_cmp_lt_i16_e32 vcc_lo, 28, v7
	s_mov_b32 s2, s37
	s_cbranch_vccz .LBB449_964
	;; [unrolled: 4-line block ×4, first 2 shown]
; %bb.951:
	v_cmp_eq_u16_e32 vcc_lo, 46, v7
	s_mov_b32 s2, -1
	s_cbranch_vccz .LBB449_953
; %bb.952:
	v_xor_b32_e32 v0, v1, v2
	v_cls_i32_e32 v5, v2
	s_mov_b32 s2, 0
	s_delay_alu instid0(VALU_DEP_2) | instskip(NEXT) | instid1(VALU_DEP_2)
	v_ashrrev_i32_e32 v0, 31, v0
	v_add_nc_u32_e32 v5, -1, v5
	s_delay_alu instid0(VALU_DEP_2) | instskip(NEXT) | instid1(VALU_DEP_1)
	v_add_nc_u32_e32 v0, 32, v0
	v_min_u32_e32 v0, v5, v0
	s_delay_alu instid0(VALU_DEP_1) | instskip(SKIP_1) | instid1(VALU_DEP_2)
	v_lshlrev_b64 v[5:6], v0, v[1:2]
	v_sub_nc_u32_e32 v0, 32, v0
	v_min_u32_e32 v5, 1, v5
	s_delay_alu instid0(VALU_DEP_1) | instskip(NEXT) | instid1(VALU_DEP_1)
	v_or_b32_e32 v5, v6, v5
	v_cvt_f32_i32_e32 v5, v5
	s_delay_alu instid0(VALU_DEP_1) | instskip(NEXT) | instid1(VALU_DEP_1)
	v_ldexp_f32 v0, v5, v0
	v_bfe_u32 v5, v0, 16, 1
	s_delay_alu instid0(VALU_DEP_1) | instskip(NEXT) | instid1(VALU_DEP_1)
	v_add3_u32 v0, v0, v5, 0x7fff
	v_lshrrev_b32_e32 v0, 16, v0
	global_store_b32 v[3:4], v0, off
.LBB449_953:
	s_mov_b32 s4, 0
.LBB449_954:
	s_delay_alu instid0(SALU_CYCLE_1)
	s_and_b32 vcc_lo, exec_lo, s4
	s_cbranch_vccz .LBB449_959
; %bb.955:
	v_cmp_eq_u16_e32 vcc_lo, 44, v7
	s_mov_b32 s2, -1
	s_cbranch_vccz .LBB449_959
; %bb.956:
	v_xor_b32_e32 v0, v1, v2
	v_cls_i32_e32 v5, v2
	s_mov_b32 s4, exec_lo
	s_delay_alu instid0(VALU_DEP_2) | instskip(NEXT) | instid1(VALU_DEP_2)
	v_ashrrev_i32_e32 v0, 31, v0
	v_add_nc_u32_e32 v5, -1, v5
	s_delay_alu instid0(VALU_DEP_2) | instskip(NEXT) | instid1(VALU_DEP_1)
	v_add_nc_u32_e32 v0, 32, v0
	v_min_u32_e32 v0, v5, v0
	s_delay_alu instid0(VALU_DEP_1) | instskip(SKIP_1) | instid1(VALU_DEP_2)
	v_lshlrev_b64 v[5:6], v0, v[1:2]
	v_sub_nc_u32_e32 v0, 32, v0
	v_min_u32_e32 v5, 1, v5
	s_delay_alu instid0(VALU_DEP_1) | instskip(NEXT) | instid1(VALU_DEP_1)
	v_or_b32_e32 v5, v6, v5
	v_cvt_f32_i32_e32 v5, v5
	s_delay_alu instid0(VALU_DEP_1) | instskip(SKIP_1) | instid1(VALU_DEP_2)
	v_ldexp_f32 v0, v5, v0
	v_mov_b32_e32 v5, 0xff
	v_bfe_u32 v6, v0, 23, 8
	s_delay_alu instid0(VALU_DEP_1)
	v_cmpx_ne_u32_e32 0xff, v6
; %bb.957:
	v_and_b32_e32 v5, 0x400000, v0
	v_and_or_b32 v6, 0x3fffff, v0, v6
	v_lshrrev_b32_e32 v0, 23, v0
	s_delay_alu instid0(VALU_DEP_3) | instskip(NEXT) | instid1(VALU_DEP_3)
	v_cmp_ne_u32_e32 vcc_lo, 0, v5
	v_cmp_ne_u32_e64 s2, 0, v6
	s_delay_alu instid0(VALU_DEP_1) | instskip(NEXT) | instid1(SALU_CYCLE_1)
	s_and_b32 s2, vcc_lo, s2
	v_cndmask_b32_e64 v5, 0, 1, s2
	s_delay_alu instid0(VALU_DEP_1)
	v_add_nc_u32_e32 v5, v0, v5
; %bb.958:
	s_or_b32 exec_lo, exec_lo, s4
	s_mov_b32 s2, 0
	global_store_b8 v[3:4], v5, off
.LBB449_959:
	s_mov_b32 s4, 0
.LBB449_960:
	s_delay_alu instid0(SALU_CYCLE_1)
	s_and_b32 vcc_lo, exec_lo, s4
	s_cbranch_vccz .LBB449_963
; %bb.961:
	v_cmp_eq_u16_e32 vcc_lo, 29, v7
	s_mov_b32 s2, -1
	s_cbranch_vccz .LBB449_963
; %bb.962:
	s_mov_b32 s2, 0
	global_store_b64 v[3:4], v[1:2], off
.LBB449_963:
	s_mov_b32 s4, 0
.LBB449_964:
	s_delay_alu instid0(SALU_CYCLE_1)
	s_and_b32 vcc_lo, exec_lo, s4
	s_cbranch_vccz .LBB449_979
; %bb.965:
	v_cmp_gt_i16_e32 vcc_lo, 27, v7
	s_mov_b32 s4, -1
	s_cbranch_vccnz .LBB449_971
; %bb.966:
	v_cmp_lt_i16_e32 vcc_lo, 27, v7
	s_cbranch_vccz .LBB449_968
; %bb.967:
	s_mov_b32 s4, 0
	global_store_b32 v[3:4], v1, off
.LBB449_968:
	s_and_not1_b32 vcc_lo, exec_lo, s4
	s_cbranch_vccnz .LBB449_970
; %bb.969:
	global_store_b16 v[3:4], v1, off
.LBB449_970:
	s_mov_b32 s4, 0
.LBB449_971:
	s_delay_alu instid0(SALU_CYCLE_1)
	s_and_not1_b32 vcc_lo, exec_lo, s4
	s_cbranch_vccnz .LBB449_979
; %bb.972:
	v_xor_b32_e32 v0, v1, v2
	v_cls_i32_e32 v5, v2
	s_mov_b32 s4, exec_lo
	s_delay_alu instid0(VALU_DEP_2) | instskip(NEXT) | instid1(VALU_DEP_2)
	v_ashrrev_i32_e32 v0, 31, v0
	v_add_nc_u32_e32 v5, -1, v5
	s_delay_alu instid0(VALU_DEP_2) | instskip(NEXT) | instid1(VALU_DEP_1)
	v_add_nc_u32_e32 v0, 32, v0
	v_min_u32_e32 v0, v5, v0
	s_delay_alu instid0(VALU_DEP_1) | instskip(SKIP_1) | instid1(VALU_DEP_2)
	v_lshlrev_b64 v[5:6], v0, v[1:2]
	v_sub_nc_u32_e32 v0, 32, v0
	v_min_u32_e32 v5, 1, v5
	s_delay_alu instid0(VALU_DEP_1) | instskip(SKIP_1) | instid1(VALU_DEP_2)
	v_or_b32_e32 v5, v6, v5
	v_mov_b32_e32 v6, 0x80
	v_cvt_f32_i32_e32 v5, v5
	s_delay_alu instid0(VALU_DEP_1) | instskip(NEXT) | instid1(VALU_DEP_1)
	v_ldexp_f32 v0, v5, v0
	v_and_b32_e32 v5, 0x7fffffff, v0
	s_delay_alu instid0(VALU_DEP_1)
	v_cmpx_gt_u32_e32 0x43800000, v5
	s_cbranch_execz .LBB449_978
; %bb.973:
	v_cmp_lt_u32_e32 vcc_lo, 0x3bffffff, v5
	s_mov_b32 s5, 0
                                        ; implicit-def: $vgpr5
	s_and_saveexec_b32 s7, vcc_lo
	s_delay_alu instid0(SALU_CYCLE_1)
	s_xor_b32 s7, exec_lo, s7
	s_cbranch_execz .LBB449_1262
; %bb.974:
	v_bfe_u32 v5, v0, 20, 1
	s_mov_b32 s5, exec_lo
	s_delay_alu instid0(VALU_DEP_1) | instskip(NEXT) | instid1(VALU_DEP_1)
	v_add3_u32 v5, v0, v5, 0x487ffff
	v_lshrrev_b32_e32 v5, 20, v5
	s_or_saveexec_b32 s7, s7
                                        ; implicit-def: $sgpr8
	s_delay_alu instid0(SALU_CYCLE_1)
	s_xor_b32 exec_lo, exec_lo, s7
	s_cbranch_execnz .LBB449_1263
.LBB449_975:
	s_or_b32 exec_lo, exec_lo, s7
	v_mov_b32_e32 v6, s8
	s_and_saveexec_b32 s7, s5
.LBB449_976:
	v_lshrrev_b32_e32 v0, 24, v0
	s_delay_alu instid0(VALU_DEP_1)
	v_and_or_b32 v6, 0x80, v0, v5
.LBB449_977:
	s_or_b32 exec_lo, exec_lo, s7
.LBB449_978:
	s_delay_alu instid0(SALU_CYCLE_1)
	s_or_b32 exec_lo, exec_lo, s4
	global_store_b8 v[3:4], v6, off
.LBB449_979:
	s_mov_b32 s4, 0
.LBB449_980:
	s_delay_alu instid0(SALU_CYCLE_1)
	s_and_b32 vcc_lo, exec_lo, s4
	s_mov_b32 s4, 0
	s_cbranch_vccz .LBB449_1020
; %bb.981:
	v_cmp_lt_i16_e32 vcc_lo, 22, v7
	s_mov_b32 s5, -1
	s_cbranch_vccz .LBB449_1013
; %bb.982:
	v_cmp_gt_i16_e32 vcc_lo, 24, v7
	s_cbranch_vccnz .LBB449_1002
; %bb.983:
	v_cmp_lt_i16_e32 vcc_lo, 24, v7
	s_cbranch_vccz .LBB449_991
; %bb.984:
	v_xor_b32_e32 v0, v1, v2
	v_cls_i32_e32 v5, v2
	s_mov_b32 s5, exec_lo
	s_delay_alu instid0(VALU_DEP_2) | instskip(NEXT) | instid1(VALU_DEP_2)
	v_ashrrev_i32_e32 v0, 31, v0
	v_add_nc_u32_e32 v5, -1, v5
	s_delay_alu instid0(VALU_DEP_2) | instskip(NEXT) | instid1(VALU_DEP_1)
	v_add_nc_u32_e32 v0, 32, v0
	v_min_u32_e32 v0, v5, v0
	s_delay_alu instid0(VALU_DEP_1) | instskip(SKIP_1) | instid1(VALU_DEP_2)
	v_lshlrev_b64 v[5:6], v0, v[1:2]
	v_sub_nc_u32_e32 v0, 32, v0
	v_min_u32_e32 v5, 1, v5
	s_delay_alu instid0(VALU_DEP_1) | instskip(SKIP_1) | instid1(VALU_DEP_2)
	v_or_b32_e32 v5, v6, v5
	v_mov_b32_e32 v6, 0x80
	v_cvt_f32_i32_e32 v5, v5
	s_delay_alu instid0(VALU_DEP_1) | instskip(NEXT) | instid1(VALU_DEP_1)
	v_ldexp_f32 v0, v5, v0
	v_and_b32_e32 v5, 0x7fffffff, v0
	s_delay_alu instid0(VALU_DEP_1)
	v_cmpx_gt_u32_e32 0x47800000, v5
	s_cbranch_execz .LBB449_990
; %bb.985:
	v_cmp_lt_u32_e32 vcc_lo, 0x37ffffff, v5
	s_mov_b32 s7, 0
                                        ; implicit-def: $vgpr5
	s_and_saveexec_b32 s8, vcc_lo
	s_delay_alu instid0(SALU_CYCLE_1)
	s_xor_b32 s8, exec_lo, s8
	s_cbranch_execz .LBB449_1306
; %bb.986:
	v_bfe_u32 v5, v0, 21, 1
	s_mov_b32 s7, exec_lo
	s_delay_alu instid0(VALU_DEP_1) | instskip(NEXT) | instid1(VALU_DEP_1)
	v_add3_u32 v5, v0, v5, 0x88fffff
	v_lshrrev_b32_e32 v5, 21, v5
	s_or_saveexec_b32 s8, s8
                                        ; implicit-def: $sgpr9
	s_delay_alu instid0(SALU_CYCLE_1)
	s_xor_b32 exec_lo, exec_lo, s8
	s_cbranch_execnz .LBB449_1307
.LBB449_987:
	s_or_b32 exec_lo, exec_lo, s8
	v_mov_b32_e32 v6, s9
	s_and_saveexec_b32 s8, s7
.LBB449_988:
	v_lshrrev_b32_e32 v0, 24, v0
	s_delay_alu instid0(VALU_DEP_1)
	v_and_or_b32 v6, 0x80, v0, v5
.LBB449_989:
	s_or_b32 exec_lo, exec_lo, s8
.LBB449_990:
	s_delay_alu instid0(SALU_CYCLE_1)
	s_or_b32 exec_lo, exec_lo, s5
	s_mov_b32 s5, 0
	global_store_b8 v[3:4], v6, off
.LBB449_991:
	s_and_b32 vcc_lo, exec_lo, s5
	s_cbranch_vccz .LBB449_1001
; %bb.992:
	v_xor_b32_e32 v0, v1, v2
	v_cls_i32_e32 v5, v2
	s_mov_b32 s5, exec_lo
	s_delay_alu instid0(VALU_DEP_2) | instskip(NEXT) | instid1(VALU_DEP_2)
	v_ashrrev_i32_e32 v0, 31, v0
	v_add_nc_u32_e32 v5, -1, v5
	s_delay_alu instid0(VALU_DEP_2) | instskip(NEXT) | instid1(VALU_DEP_1)
	v_add_nc_u32_e32 v0, 32, v0
	v_min_u32_e32 v0, v5, v0
	s_delay_alu instid0(VALU_DEP_1) | instskip(SKIP_1) | instid1(VALU_DEP_2)
	v_lshlrev_b64 v[5:6], v0, v[1:2]
	v_sub_nc_u32_e32 v0, 32, v0
	v_min_u32_e32 v5, 1, v5
	s_delay_alu instid0(VALU_DEP_1) | instskip(NEXT) | instid1(VALU_DEP_1)
	v_or_b32_e32 v5, v6, v5
	v_cvt_f32_i32_e32 v5, v5
	s_delay_alu instid0(VALU_DEP_1) | instskip(NEXT) | instid1(VALU_DEP_1)
	v_ldexp_f32 v0, v5, v0
                                        ; implicit-def: $vgpr5
	v_and_b32_e32 v6, 0x7fffffff, v0
	s_delay_alu instid0(VALU_DEP_1)
	v_cmpx_gt_u32_e32 0x43f00000, v6
	s_xor_b32 s5, exec_lo, s5
	s_cbranch_execz .LBB449_998
; %bb.993:
	s_mov_b32 s7, exec_lo
                                        ; implicit-def: $vgpr5
	v_cmpx_lt_u32_e32 0x3c7fffff, v6
	s_xor_b32 s7, exec_lo, s7
; %bb.994:
	v_bfe_u32 v5, v0, 20, 1
	s_delay_alu instid0(VALU_DEP_1) | instskip(NEXT) | instid1(VALU_DEP_1)
	v_add3_u32 v5, v0, v5, 0x407ffff
	v_and_b32_e32 v6, 0xff00000, v5
	v_lshrrev_b32_e32 v5, 20, v5
	s_delay_alu instid0(VALU_DEP_2) | instskip(NEXT) | instid1(VALU_DEP_2)
	v_cmp_ne_u32_e32 vcc_lo, 0x7f00000, v6
	v_cndmask_b32_e32 v5, 0x7e, v5, vcc_lo
; %bb.995:
	s_and_not1_saveexec_b32 s7, s7
; %bb.996:
	v_add_f32_e64 v5, 0x46800000, |v0|
; %bb.997:
	s_or_b32 exec_lo, exec_lo, s7
                                        ; implicit-def: $vgpr6
.LBB449_998:
	s_and_not1_saveexec_b32 s5, s5
; %bb.999:
	v_mov_b32_e32 v5, 0x7f
	v_cmp_lt_u32_e32 vcc_lo, 0x7f800000, v6
	s_delay_alu instid0(VALU_DEP_2)
	v_cndmask_b32_e32 v5, 0x7e, v5, vcc_lo
; %bb.1000:
	s_or_b32 exec_lo, exec_lo, s5
	v_lshrrev_b32_e32 v0, 24, v0
	s_delay_alu instid0(VALU_DEP_1)
	v_and_or_b32 v0, 0x80, v0, v5
	global_store_b8 v[3:4], v0, off
.LBB449_1001:
	s_mov_b32 s5, 0
.LBB449_1002:
	s_delay_alu instid0(SALU_CYCLE_1)
	s_and_not1_b32 vcc_lo, exec_lo, s5
	s_cbranch_vccnz .LBB449_1012
; %bb.1003:
	v_xor_b32_e32 v0, v1, v2
	v_cls_i32_e32 v5, v2
	s_mov_b32 s5, exec_lo
	s_delay_alu instid0(VALU_DEP_2) | instskip(NEXT) | instid1(VALU_DEP_2)
	v_ashrrev_i32_e32 v0, 31, v0
	v_add_nc_u32_e32 v5, -1, v5
	s_delay_alu instid0(VALU_DEP_2) | instskip(NEXT) | instid1(VALU_DEP_1)
	v_add_nc_u32_e32 v0, 32, v0
	v_min_u32_e32 v0, v5, v0
	s_delay_alu instid0(VALU_DEP_1) | instskip(SKIP_1) | instid1(VALU_DEP_2)
	v_lshlrev_b64 v[5:6], v0, v[1:2]
	v_sub_nc_u32_e32 v0, 32, v0
	v_min_u32_e32 v5, 1, v5
	s_delay_alu instid0(VALU_DEP_1) | instskip(NEXT) | instid1(VALU_DEP_1)
	v_or_b32_e32 v5, v6, v5
	v_cvt_f32_i32_e32 v5, v5
	s_delay_alu instid0(VALU_DEP_1) | instskip(NEXT) | instid1(VALU_DEP_1)
	v_ldexp_f32 v0, v5, v0
                                        ; implicit-def: $vgpr5
	v_and_b32_e32 v6, 0x7fffffff, v0
	s_delay_alu instid0(VALU_DEP_1)
	v_cmpx_gt_u32_e32 0x47800000, v6
	s_xor_b32 s5, exec_lo, s5
	s_cbranch_execz .LBB449_1009
; %bb.1004:
	s_mov_b32 s7, exec_lo
                                        ; implicit-def: $vgpr5
	v_cmpx_lt_u32_e32 0x387fffff, v6
	s_xor_b32 s7, exec_lo, s7
; %bb.1005:
	v_bfe_u32 v5, v0, 21, 1
	s_delay_alu instid0(VALU_DEP_1) | instskip(NEXT) | instid1(VALU_DEP_1)
	v_add3_u32 v5, v0, v5, 0x80fffff
	v_lshrrev_b32_e32 v5, 21, v5
; %bb.1006:
	s_and_not1_saveexec_b32 s7, s7
; %bb.1007:
	v_add_f32_e64 v5, 0x43000000, |v0|
; %bb.1008:
	s_or_b32 exec_lo, exec_lo, s7
                                        ; implicit-def: $vgpr6
.LBB449_1009:
	s_and_not1_saveexec_b32 s5, s5
; %bb.1010:
	v_mov_b32_e32 v5, 0x7f
	v_cmp_lt_u32_e32 vcc_lo, 0x7f800000, v6
	s_delay_alu instid0(VALU_DEP_2)
	v_cndmask_b32_e32 v5, 0x7c, v5, vcc_lo
; %bb.1011:
	s_or_b32 exec_lo, exec_lo, s5
	v_lshrrev_b32_e32 v0, 24, v0
	s_delay_alu instid0(VALU_DEP_1)
	v_and_or_b32 v0, 0x80, v0, v5
	global_store_b8 v[3:4], v0, off
.LBB449_1012:
	s_mov_b32 s5, 0
.LBB449_1013:
	s_delay_alu instid0(SALU_CYCLE_1)
	s_and_not1_b32 vcc_lo, exec_lo, s5
	s_mov_b32 s8, 0
	s_cbranch_vccnz .LBB449_1021
; %bb.1014:
	v_cmp_lt_i16_e32 vcc_lo, 14, v7
	s_mov_b32 s5, -1
	s_cbranch_vccz .LBB449_1018
; %bb.1015:
	v_cmp_eq_u16_e32 vcc_lo, 15, v7
	s_mov_b32 s2, -1
	s_cbranch_vccz .LBB449_1017
; %bb.1016:
	v_xor_b32_e32 v0, v1, v2
	v_cls_i32_e32 v5, v2
	s_mov_b32 s2, 0
	s_delay_alu instid0(VALU_DEP_2) | instskip(NEXT) | instid1(VALU_DEP_2)
	v_ashrrev_i32_e32 v0, 31, v0
	v_add_nc_u32_e32 v5, -1, v5
	s_delay_alu instid0(VALU_DEP_2) | instskip(NEXT) | instid1(VALU_DEP_1)
	v_add_nc_u32_e32 v0, 32, v0
	v_min_u32_e32 v0, v5, v0
	s_delay_alu instid0(VALU_DEP_1) | instskip(SKIP_1) | instid1(VALU_DEP_2)
	v_lshlrev_b64 v[5:6], v0, v[1:2]
	v_sub_nc_u32_e32 v0, 32, v0
	v_min_u32_e32 v5, 1, v5
	s_delay_alu instid0(VALU_DEP_1) | instskip(NEXT) | instid1(VALU_DEP_1)
	v_or_b32_e32 v5, v6, v5
	v_cvt_f32_i32_e32 v5, v5
	s_delay_alu instid0(VALU_DEP_1) | instskip(NEXT) | instid1(VALU_DEP_1)
	v_ldexp_f32 v0, v5, v0
	v_bfe_u32 v5, v0, 16, 1
	s_delay_alu instid0(VALU_DEP_1)
	v_add3_u32 v0, v0, v5, 0x7fff
	global_store_d16_hi_b16 v[3:4], v0, off
.LBB449_1017:
	s_mov_b32 s5, 0
.LBB449_1018:
	s_delay_alu instid0(SALU_CYCLE_1)
	s_and_b32 vcc_lo, exec_lo, s5
	s_cbranch_vccz .LBB449_1021
; %bb.1019:
	v_cmp_ne_u16_e32 vcc_lo, 11, v7
	s_and_not1_b32 s2, s2, exec_lo
	s_mov_b32 s8, -1
	s_and_b32 s5, vcc_lo, exec_lo
	s_delay_alu instid0(SALU_CYCLE_1)
	s_or_b32 s2, s2, s5
	s_branch .LBB449_1021
.LBB449_1020:
	s_mov_b32 s8, 0
.LBB449_1021:
	s_and_b32 s7, s4, exec_lo
	s_and_not1_b32 s4, s37, exec_lo
	s_and_b32 s2, s2, exec_lo
	s_and_b32 s8, s8, exec_lo
	s_or_b32 s37, s4, s2
.LBB449_1022:
	s_or_b32 exec_lo, exec_lo, s6
	s_and_saveexec_b32 s2, s37
	s_cbranch_execnz .LBB449_1136
; %bb.1023:
	s_or_b32 exec_lo, exec_lo, s2
	s_and_saveexec_b32 s2, s8
	s_delay_alu instid0(SALU_CYCLE_1)
	s_xor_b32 s2, exec_lo, s2
	s_cbranch_execz .LBB449_1025
.LBB449_1024:
	v_cmp_ne_u64_e32 vcc_lo, 0, v[1:2]
	v_cndmask_b32_e64 v0, 0, 1, vcc_lo
	s_waitcnt vmcnt(0)
	global_store_b8 v[3:4], v0, off
.LBB449_1025:
	s_or_b32 exec_lo, exec_lo, s2
	s_and_saveexec_b32 s2, s7
	s_delay_alu instid0(SALU_CYCLE_1)
	s_xor_b32 s2, exec_lo, s2
	s_cbranch_execz .LBB449_1063
; %bb.1026:
	v_cmp_gt_i16_e32 vcc_lo, 5, v7
	s_mov_b32 s4, -1
	s_cbranch_vccnz .LBB449_1047
; %bb.1027:
	v_cmp_gt_i16_e32 vcc_lo, 8, v7
	s_cbranch_vccnz .LBB449_1037
; %bb.1028:
	v_cmp_gt_i16_e32 vcc_lo, 9, v7
	s_cbranch_vccnz .LBB449_1034
; %bb.1029:
	v_cmp_lt_i16_e32 vcc_lo, 9, v7
	s_cbranch_vccz .LBB449_1031
; %bb.1030:
	s_waitcnt vmcnt(0)
	v_cvt_f64_i32_e32 v[5:6], v2
	v_cvt_f64_u32_e32 v[8:9], v1
	v_mov_b32_e32 v10, 0
	s_mov_b32 s4, 0
	s_delay_alu instid0(VALU_DEP_1) | instskip(NEXT) | instid1(VALU_DEP_4)
	v_mov_b32_e32 v11, v10
	v_ldexp_f64 v[5:6], v[5:6], 32
	s_delay_alu instid0(VALU_DEP_1)
	v_add_f64 v[8:9], v[5:6], v[8:9]
	global_store_b128 v[3:4], v[8:11], off
.LBB449_1031:
	s_and_not1_b32 vcc_lo, exec_lo, s4
	s_cbranch_vccnz .LBB449_1033
; %bb.1032:
	v_xor_b32_e32 v0, v1, v2
	s_waitcnt vmcnt(0)
	v_cls_i32_e32 v5, v2
	s_delay_alu instid0(VALU_DEP_2) | instskip(NEXT) | instid1(VALU_DEP_2)
	v_ashrrev_i32_e32 v0, 31, v0
	v_add_nc_u32_e32 v5, -1, v5
	s_delay_alu instid0(VALU_DEP_2) | instskip(NEXT) | instid1(VALU_DEP_1)
	v_add_nc_u32_e32 v0, 32, v0
	v_min_u32_e32 v0, v5, v0
	s_delay_alu instid0(VALU_DEP_1) | instskip(SKIP_1) | instid1(VALU_DEP_2)
	v_lshlrev_b64 v[5:6], v0, v[1:2]
	v_sub_nc_u32_e32 v0, 32, v0
	v_min_u32_e32 v5, 1, v5
	s_delay_alu instid0(VALU_DEP_1) | instskip(SKIP_1) | instid1(VALU_DEP_2)
	v_or_b32_e32 v5, v6, v5
	v_mov_b32_e32 v6, 0
	v_cvt_f32_i32_e32 v5, v5
	s_delay_alu instid0(VALU_DEP_1)
	v_ldexp_f32 v5, v5, v0
	global_store_b64 v[3:4], v[5:6], off
.LBB449_1033:
	s_mov_b32 s4, 0
.LBB449_1034:
	s_delay_alu instid0(SALU_CYCLE_1)
	s_and_not1_b32 vcc_lo, exec_lo, s4
	s_cbranch_vccnz .LBB449_1036
; %bb.1035:
	v_xor_b32_e32 v0, v1, v2
	s_waitcnt vmcnt(0)
	v_cls_i32_e32 v5, v2
	s_delay_alu instid0(VALU_DEP_2) | instskip(NEXT) | instid1(VALU_DEP_2)
	v_ashrrev_i32_e32 v0, 31, v0
	v_add_nc_u32_e32 v5, -1, v5
	s_delay_alu instid0(VALU_DEP_2) | instskip(NEXT) | instid1(VALU_DEP_1)
	v_add_nc_u32_e32 v0, 32, v0
	v_min_u32_e32 v0, v5, v0
	s_delay_alu instid0(VALU_DEP_1) | instskip(SKIP_1) | instid1(VALU_DEP_2)
	v_lshlrev_b64 v[5:6], v0, v[1:2]
	v_sub_nc_u32_e32 v0, 32, v0
	v_min_u32_e32 v5, 1, v5
	s_delay_alu instid0(VALU_DEP_1) | instskip(NEXT) | instid1(VALU_DEP_1)
	v_or_b32_e32 v5, v6, v5
	v_cvt_f32_i32_e32 v5, v5
	s_delay_alu instid0(VALU_DEP_1) | instskip(NEXT) | instid1(VALU_DEP_1)
	v_ldexp_f32 v0, v5, v0
	v_cvt_f16_f32_e32 v0, v0
	s_delay_alu instid0(VALU_DEP_1)
	v_and_b32_e32 v0, 0xffff, v0
	global_store_b32 v[3:4], v0, off
.LBB449_1036:
	s_mov_b32 s4, 0
.LBB449_1037:
	s_delay_alu instid0(SALU_CYCLE_1)
	s_and_not1_b32 vcc_lo, exec_lo, s4
	s_cbranch_vccnz .LBB449_1046
; %bb.1038:
	v_cmp_gt_i16_e32 vcc_lo, 6, v7
	s_mov_b32 s4, -1
	s_cbranch_vccnz .LBB449_1044
; %bb.1039:
	v_cmp_lt_i16_e32 vcc_lo, 6, v7
	s_cbranch_vccz .LBB449_1041
; %bb.1040:
	s_waitcnt vmcnt(0)
	v_cvt_f64_i32_e32 v[5:6], v2
	v_cvt_f64_u32_e32 v[8:9], v1
	s_mov_b32 s4, 0
	s_delay_alu instid0(VALU_DEP_2) | instskip(NEXT) | instid1(VALU_DEP_1)
	v_ldexp_f64 v[5:6], v[5:6], 32
	v_add_f64 v[5:6], v[5:6], v[8:9]
	global_store_b64 v[3:4], v[5:6], off
.LBB449_1041:
	s_and_not1_b32 vcc_lo, exec_lo, s4
	s_cbranch_vccnz .LBB449_1043
; %bb.1042:
	v_xor_b32_e32 v0, v1, v2
	s_waitcnt vmcnt(0)
	v_cls_i32_e32 v5, v2
	s_delay_alu instid0(VALU_DEP_2) | instskip(NEXT) | instid1(VALU_DEP_2)
	v_ashrrev_i32_e32 v0, 31, v0
	v_add_nc_u32_e32 v5, -1, v5
	s_delay_alu instid0(VALU_DEP_2) | instskip(NEXT) | instid1(VALU_DEP_1)
	v_add_nc_u32_e32 v0, 32, v0
	v_min_u32_e32 v0, v5, v0
	s_delay_alu instid0(VALU_DEP_1) | instskip(SKIP_1) | instid1(VALU_DEP_2)
	v_lshlrev_b64 v[5:6], v0, v[1:2]
	v_sub_nc_u32_e32 v0, 32, v0
	v_min_u32_e32 v5, 1, v5
	s_delay_alu instid0(VALU_DEP_1) | instskip(NEXT) | instid1(VALU_DEP_1)
	v_or_b32_e32 v5, v6, v5
	v_cvt_f32_i32_e32 v5, v5
	s_delay_alu instid0(VALU_DEP_1)
	v_ldexp_f32 v0, v5, v0
	global_store_b32 v[3:4], v0, off
.LBB449_1043:
	s_mov_b32 s4, 0
.LBB449_1044:
	s_delay_alu instid0(SALU_CYCLE_1)
	s_and_not1_b32 vcc_lo, exec_lo, s4
	s_cbranch_vccnz .LBB449_1046
; %bb.1045:
	v_xor_b32_e32 v0, v1, v2
	s_waitcnt vmcnt(0)
	v_cls_i32_e32 v5, v2
	s_delay_alu instid0(VALU_DEP_2) | instskip(NEXT) | instid1(VALU_DEP_2)
	v_ashrrev_i32_e32 v0, 31, v0
	v_add_nc_u32_e32 v5, -1, v5
	s_delay_alu instid0(VALU_DEP_2) | instskip(NEXT) | instid1(VALU_DEP_1)
	v_add_nc_u32_e32 v0, 32, v0
	v_min_u32_e32 v0, v5, v0
	s_delay_alu instid0(VALU_DEP_1) | instskip(SKIP_1) | instid1(VALU_DEP_2)
	v_lshlrev_b64 v[5:6], v0, v[1:2]
	v_sub_nc_u32_e32 v0, 32, v0
	v_min_u32_e32 v5, 1, v5
	s_delay_alu instid0(VALU_DEP_1) | instskip(NEXT) | instid1(VALU_DEP_1)
	v_or_b32_e32 v5, v6, v5
	v_cvt_f32_i32_e32 v5, v5
	s_delay_alu instid0(VALU_DEP_1) | instskip(NEXT) | instid1(VALU_DEP_1)
	v_ldexp_f32 v0, v5, v0
	v_cvt_f16_f32_e32 v0, v0
	global_store_b16 v[3:4], v0, off
.LBB449_1046:
	s_mov_b32 s4, 0
.LBB449_1047:
	s_delay_alu instid0(SALU_CYCLE_1)
	s_and_not1_b32 vcc_lo, exec_lo, s4
	s_cbranch_vccnz .LBB449_1063
; %bb.1048:
	v_cmp_gt_i16_e32 vcc_lo, 2, v7
	s_mov_b32 s4, -1
	s_cbranch_vccnz .LBB449_1058
; %bb.1049:
	v_cmp_gt_i16_e32 vcc_lo, 3, v7
	s_cbranch_vccnz .LBB449_1055
; %bb.1050:
	v_cmp_lt_i16_e32 vcc_lo, 3, v7
	s_cbranch_vccz .LBB449_1052
; %bb.1051:
	s_mov_b32 s4, 0
	s_waitcnt vmcnt(0)
	global_store_b64 v[3:4], v[1:2], off
.LBB449_1052:
	s_and_not1_b32 vcc_lo, exec_lo, s4
	s_cbranch_vccnz .LBB449_1054
; %bb.1053:
	s_waitcnt vmcnt(0)
	global_store_b32 v[3:4], v1, off
.LBB449_1054:
	s_mov_b32 s4, 0
.LBB449_1055:
	s_delay_alu instid0(SALU_CYCLE_1)
	s_and_not1_b32 vcc_lo, exec_lo, s4
	s_cbranch_vccnz .LBB449_1057
; %bb.1056:
	s_waitcnt vmcnt(0)
	global_store_b16 v[3:4], v1, off
.LBB449_1057:
	s_mov_b32 s4, 0
.LBB449_1058:
	s_delay_alu instid0(SALU_CYCLE_1)
	s_and_not1_b32 vcc_lo, exec_lo, s4
	s_cbranch_vccnz .LBB449_1063
; %bb.1059:
	v_cmp_lt_i16_e32 vcc_lo, 0, v7
	s_mov_b32 s4, -1
	s_cbranch_vccz .LBB449_1061
; %bb.1060:
	s_mov_b32 s4, 0
	s_waitcnt vmcnt(0)
	global_store_b8 v[3:4], v1, off
.LBB449_1061:
	s_and_not1_b32 vcc_lo, exec_lo, s4
	s_cbranch_vccnz .LBB449_1063
; %bb.1062:
	s_waitcnt vmcnt(0)
	global_store_b8 v[3:4], v1, off
.LBB449_1063:
	s_or_b32 exec_lo, exec_lo, s2
	s_delay_alu instid0(SALU_CYCLE_1)
	s_and_b32 s8, s3, exec_lo
                                        ; implicit-def: $vgpr5
                                        ; implicit-def: $vgpr8
.LBB449_1064:
	s_or_saveexec_b32 s9, s30
	s_mov_b32 s2, 0
                                        ; implicit-def: $vgpr0_vgpr1
                                        ; implicit-def: $sgpr6
                                        ; implicit-def: $vgpr2_vgpr3
	s_xor_b32 exec_lo, exec_lo, s9
	s_cbranch_execz .LBB449_2022
; %bb.1065:
	v_cndmask_b32_e64 v0, 0, 1, s29
	s_and_not1_b32 vcc_lo, exec_lo, s29
	s_cbranch_vccnz .LBB449_1071
; %bb.1066:
	s_waitcnt vmcnt(0)
	v_dual_mov_b32 v3, 0 :: v_dual_mov_b32 v4, 0
	s_cmp_lg_u32 s26, 0
	s_mov_b32 s6, 0
	s_cbranch_scc0 .LBB449_1075
; %bb.1067:
	s_min_u32 s7, s27, 15
	v_mov_b32_e32 v3, 0
	s_add_i32 s7, s7, 1
	s_cmp_eq_u32 s27, 2
	s_mov_b32 s10, 0
	s_cbranch_scc1 .LBB449_1072
; %bb.1068:
	v_dual_mov_b32 v4, 0 :: v_dual_mov_b32 v3, 0
	v_mov_b32_e32 v1, v8
	s_add_u32 s2, s16, 0xc4
	s_addc_u32 s3, s17, 0
	s_and_b32 s10, s7, 28
	s_mov_b32 s11, 0
	s_mov_b64 s[4:5], s[16:17]
.LBB449_1069:                           ; =>This Inner Loop Header: Depth=1
	s_clause 0x1
	s_load_b256 s[36:43], s[4:5], 0x4
	s_load_b128 s[12:15], s[4:5], 0x24
	s_load_b256 s[44:51], s[2:3], 0x0
	s_add_u32 s4, s4, 48
	s_addc_u32 s5, s5, 0
	s_add_i32 s11, s11, 4
	s_add_u32 s2, s2, 32
	s_addc_u32 s3, s3, 0
	s_cmp_lg_u32 s10, s11
	s_waitcnt lgkmcnt(0)
	v_mul_hi_u32 v2, s37, v1
	s_delay_alu instid0(VALU_DEP_1) | instskip(NEXT) | instid1(VALU_DEP_1)
	v_add_nc_u32_e32 v2, v1, v2
	v_lshrrev_b32_e32 v2, s38, v2
	s_delay_alu instid0(VALU_DEP_1) | instskip(SKIP_1) | instid1(VALU_DEP_2)
	v_mul_hi_u32 v6, s40, v2
	v_mul_lo_u32 v9, v2, s36
	v_add_nc_u32_e32 v6, v2, v6
	s_delay_alu instid0(VALU_DEP_2) | instskip(NEXT) | instid1(VALU_DEP_2)
	v_sub_nc_u32_e32 v1, v1, v9
	v_lshrrev_b32_e32 v6, s41, v6
	s_delay_alu instid0(VALU_DEP_2) | instskip(SKIP_1) | instid1(VALU_DEP_3)
	v_mul_lo_u32 v9, v1, s44
	v_mul_lo_u32 v11, v1, s45
	v_mul_hi_u32 v7, s43, v6
	s_delay_alu instid0(VALU_DEP_1) | instskip(NEXT) | instid1(VALU_DEP_1)
	v_add_nc_u32_e32 v7, v6, v7
	v_lshrrev_b32_e32 v7, s12, v7
	s_delay_alu instid0(VALU_DEP_1) | instskip(SKIP_1) | instid1(VALU_DEP_2)
	v_mul_hi_u32 v10, s14, v7
	v_mul_lo_u32 v12, v7, s42
	v_add_nc_u32_e32 v1, v7, v10
	v_mul_lo_u32 v10, v6, s39
	s_delay_alu instid0(VALU_DEP_3) | instskip(NEXT) | instid1(VALU_DEP_3)
	v_sub_nc_u32_e32 v6, v6, v12
	v_lshrrev_b32_e32 v1, s15, v1
	s_delay_alu instid0(VALU_DEP_2) | instskip(SKIP_2) | instid1(VALU_DEP_4)
	v_mul_lo_u32 v12, v6, s48
	v_mul_lo_u32 v6, v6, s49
	v_sub_nc_u32_e32 v2, v2, v10
	v_mul_lo_u32 v13, v1, s13
	s_delay_alu instid0(VALU_DEP_2) | instskip(SKIP_1) | instid1(VALU_DEP_3)
	v_mul_lo_u32 v10, v2, s46
	v_mul_lo_u32 v2, v2, s47
	v_sub_nc_u32_e32 v7, v7, v13
	s_delay_alu instid0(VALU_DEP_3) | instskip(NEXT) | instid1(VALU_DEP_2)
	v_add3_u32 v3, v9, v3, v10
	v_mul_lo_u32 v13, v7, s50
	v_mul_lo_u32 v7, v7, s51
	v_add3_u32 v2, v11, v4, v2
	s_delay_alu instid0(VALU_DEP_3) | instskip(NEXT) | instid1(VALU_DEP_2)
	v_add3_u32 v3, v12, v3, v13
	v_add3_u32 v4, v6, v2, v7
	s_cbranch_scc1 .LBB449_1069
; %bb.1070:
	s_and_b32 s7, s7, 3
	s_delay_alu instid0(SALU_CYCLE_1)
	s_cmp_eq_u32 s7, 0
	s_cbranch_scc0 .LBB449_1073
	s_branch .LBB449_1075
.LBB449_1071:
	s_mov_b32 s6, -1
                                        ; implicit-def: $vgpr3
                                        ; implicit-def: $vgpr4
	s_branch .LBB449_1075
.LBB449_1072:
	v_dual_mov_b32 v1, v8 :: v_dual_mov_b32 v4, 0
	s_and_b32 s7, s7, 3
	s_delay_alu instid0(SALU_CYCLE_1)
	s_cmp_eq_u32 s7, 0
	s_cbranch_scc1 .LBB449_1075
.LBB449_1073:
	s_lshl_b32 s2, s10, 3
	s_mul_i32 s4, s10, 12
	s_add_u32 s2, s2, s16
	s_addc_u32 s3, 0, s17
	s_add_u32 s2, s2, 0xc4
	s_addc_u32 s3, s3, 0
	;; [unrolled: 2-line block ×3, first 2 shown]
	.p2align	6
.LBB449_1074:                           ; =>This Inner Loop Header: Depth=1
	s_clause 0x1
	s_load_b64 s[10:11], s[4:5], 0x4
	s_load_b32 s14, s[4:5], 0xc
	s_load_b64 s[12:13], s[2:3], 0x0
	s_add_u32 s4, s4, 12
	s_addc_u32 s5, s5, 0
	s_add_u32 s2, s2, 8
	s_addc_u32 s3, s3, 0
	s_add_i32 s7, s7, -1
	s_delay_alu instid0(SALU_CYCLE_1) | instskip(SKIP_2) | instid1(VALU_DEP_1)
	s_cmp_lg_u32 s7, 0
	s_waitcnt lgkmcnt(0)
	v_mul_hi_u32 v2, s11, v1
	v_add_nc_u32_e32 v2, v1, v2
	s_delay_alu instid0(VALU_DEP_1) | instskip(NEXT) | instid1(VALU_DEP_1)
	v_lshrrev_b32_e32 v9, s14, v2
	v_mul_lo_u32 v2, v9, s10
	s_delay_alu instid0(VALU_DEP_1) | instskip(NEXT) | instid1(VALU_DEP_1)
	v_sub_nc_u32_e32 v1, v1, v2
	v_mad_u64_u32 v[6:7], null, v1, s12, v[3:4]
	v_mad_u64_u32 v[2:3], null, v1, s13, v[4:5]
	v_mov_b32_e32 v1, v9
	s_delay_alu instid0(VALU_DEP_3) | instskip(NEXT) | instid1(VALU_DEP_3)
	v_mov_b32_e32 v3, v6
	v_mov_b32_e32 v4, v2
	s_cbranch_scc1 .LBB449_1074
.LBB449_1075:
	s_and_not1_b32 vcc_lo, exec_lo, s6
	s_cbranch_vccnz .LBB449_1078
; %bb.1076:
	s_clause 0x1
	s_load_b128 s[4:7], s[16:17], 0x4
	s_load_b64 s[2:3], s[16:17], 0xc4
	s_cmp_lt_u32 s26, 2
	s_waitcnt lgkmcnt(0)
	v_mul_hi_u32 v1, s5, v8
	s_delay_alu instid0(VALU_DEP_1) | instskip(NEXT) | instid1(VALU_DEP_1)
	v_add_nc_u32_e32 v1, v8, v1
	v_lshrrev_b32_e32 v1, s6, v1
	s_delay_alu instid0(VALU_DEP_1) | instskip(NEXT) | instid1(VALU_DEP_1)
	v_mul_lo_u32 v2, v1, s4
	v_sub_nc_u32_e32 v2, v8, v2
	s_waitcnt vmcnt(0)
	s_delay_alu instid0(VALU_DEP_1)
	v_mul_lo_u32 v3, v2, s2
	v_mul_lo_u32 v4, v2, s3
	s_cbranch_scc1 .LBB449_1078
; %bb.1077:
	s_clause 0x1
	s_load_b128 s[4:7], s[16:17], 0x10
	s_load_b64 s[2:3], s[16:17], 0xcc
	s_waitcnt lgkmcnt(0)
	v_mul_hi_u32 v2, s5, v1
	s_delay_alu instid0(VALU_DEP_1) | instskip(NEXT) | instid1(VALU_DEP_1)
	v_add_nc_u32_e32 v2, v1, v2
	v_lshrrev_b32_e32 v2, s6, v2
	s_delay_alu instid0(VALU_DEP_1) | instskip(NEXT) | instid1(VALU_DEP_1)
	v_mul_lo_u32 v2, v2, s4
	v_sub_nc_u32_e32 v6, v1, v2
	s_delay_alu instid0(VALU_DEP_1) | instskip(SKIP_1) | instid1(VALU_DEP_1)
	v_mad_u64_u32 v[1:2], null, v6, s2, v[3:4]
	v_mad_u64_u32 v[2:3], null, v6, s3, v[4:5]
	v_dual_mov_b32 v3, v1 :: v_dual_mov_b32 v4, v2
.LBB449_1078:
	v_cmp_ne_u32_e32 vcc_lo, 1, v0
	v_add_nc_u32_e32 v1, 0x80, v8
	s_cbranch_vccnz .LBB449_1084
; %bb.1079:
	v_mov_b32_e32 v2, 0
	s_waitcnt vmcnt(0)
	v_mov_b32_e32 v6, 0
	s_cmp_lg_u32 s26, 0
	s_mov_b32 s6, 0
	s_cbranch_scc0 .LBB449_1088
; %bb.1080:
	s_min_u32 s7, s27, 15
	v_mov_b32_e32 v2, 0
	s_add_i32 s7, s7, 1
	s_cmp_eq_u32 s27, 2
	s_mov_b32 s10, 0
	s_cbranch_scc1 .LBB449_1085
; %bb.1081:
	v_dual_mov_b32 v6, 0 :: v_dual_mov_b32 v7, v1
	v_mov_b32_e32 v2, 0
	s_add_u32 s2, s16, 0xc4
	s_addc_u32 s3, s17, 0
	s_and_b32 s10, s7, 28
	s_mov_b32 s11, 0
	s_mov_b64 s[4:5], s[16:17]
.LBB449_1082:                           ; =>This Inner Loop Header: Depth=1
	s_clause 0x1
	s_load_b256 s[36:43], s[4:5], 0x4
	s_load_b128 s[12:15], s[4:5], 0x24
	s_load_b256 s[44:51], s[2:3], 0x0
	s_add_u32 s4, s4, 48
	s_addc_u32 s5, s5, 0
	s_add_i32 s11, s11, 4
	s_add_u32 s2, s2, 32
	s_addc_u32 s3, s3, 0
	s_cmp_lg_u32 s10, s11
	s_waitcnt lgkmcnt(0)
	v_mul_hi_u32 v9, s37, v7
	s_delay_alu instid0(VALU_DEP_1) | instskip(NEXT) | instid1(VALU_DEP_1)
	v_add_nc_u32_e32 v9, v7, v9
	v_lshrrev_b32_e32 v9, s38, v9
	s_delay_alu instid0(VALU_DEP_1) | instskip(SKIP_1) | instid1(VALU_DEP_2)
	v_mul_hi_u32 v10, s40, v9
	v_mul_lo_u32 v12, v9, s36
	v_add_nc_u32_e32 v10, v9, v10
	s_delay_alu instid0(VALU_DEP_2) | instskip(NEXT) | instid1(VALU_DEP_2)
	v_sub_nc_u32_e32 v7, v7, v12
	v_lshrrev_b32_e32 v10, s41, v10
	s_delay_alu instid0(VALU_DEP_2) | instskip(SKIP_1) | instid1(VALU_DEP_3)
	v_mul_lo_u32 v12, v7, s44
	v_mul_lo_u32 v14, v7, s45
	v_mul_hi_u32 v11, s43, v10
	s_delay_alu instid0(VALU_DEP_1) | instskip(NEXT) | instid1(VALU_DEP_1)
	v_add_nc_u32_e32 v11, v10, v11
	v_lshrrev_b32_e32 v11, s12, v11
	s_delay_alu instid0(VALU_DEP_1) | instskip(SKIP_1) | instid1(VALU_DEP_2)
	v_mul_hi_u32 v13, s14, v11
	v_mul_lo_u32 v15, v11, s42
	v_add_nc_u32_e32 v7, v11, v13
	v_mul_lo_u32 v13, v10, s39
	s_delay_alu instid0(VALU_DEP_3) | instskip(NEXT) | instid1(VALU_DEP_3)
	v_sub_nc_u32_e32 v10, v10, v15
	v_lshrrev_b32_e32 v7, s15, v7
	s_delay_alu instid0(VALU_DEP_2) | instskip(SKIP_2) | instid1(VALU_DEP_4)
	v_mul_lo_u32 v15, v10, s48
	v_mul_lo_u32 v10, v10, s49
	v_sub_nc_u32_e32 v9, v9, v13
	v_mul_lo_u32 v16, v7, s13
	s_delay_alu instid0(VALU_DEP_2) | instskip(SKIP_1) | instid1(VALU_DEP_3)
	v_mul_lo_u32 v13, v9, s46
	v_mul_lo_u32 v9, v9, s47
	v_sub_nc_u32_e32 v11, v11, v16
	s_delay_alu instid0(VALU_DEP_3) | instskip(NEXT) | instid1(VALU_DEP_2)
	v_add3_u32 v2, v12, v2, v13
	v_mul_lo_u32 v16, v11, s50
	v_mul_lo_u32 v11, v11, s51
	v_add3_u32 v6, v14, v6, v9
	s_delay_alu instid0(VALU_DEP_3) | instskip(NEXT) | instid1(VALU_DEP_2)
	v_add3_u32 v2, v15, v2, v16
	v_add3_u32 v6, v10, v6, v11
	s_cbranch_scc1 .LBB449_1082
; %bb.1083:
	s_and_b32 s7, s7, 3
	s_delay_alu instid0(SALU_CYCLE_1)
	s_cmp_eq_u32 s7, 0
	s_cbranch_scc0 .LBB449_1086
	s_branch .LBB449_1088
.LBB449_1084:
	s_mov_b32 s6, -1
                                        ; implicit-def: $vgpr2
                                        ; implicit-def: $vgpr6
	s_branch .LBB449_1088
.LBB449_1085:
	v_dual_mov_b32 v7, v1 :: v_dual_mov_b32 v6, 0
	s_and_b32 s7, s7, 3
	s_delay_alu instid0(SALU_CYCLE_1)
	s_cmp_eq_u32 s7, 0
	s_cbranch_scc1 .LBB449_1088
.LBB449_1086:
	s_lshl_b32 s2, s10, 3
	s_mul_i32 s4, s10, 12
	s_add_u32 s2, s2, s16
	s_addc_u32 s3, 0, s17
	s_add_u32 s2, s2, 0xc4
	s_addc_u32 s3, s3, 0
	s_add_u32 s4, s16, s4
	s_addc_u32 s5, 0, s17
	.p2align	6
.LBB449_1087:                           ; =>This Inner Loop Header: Depth=1
	s_clause 0x1
	s_load_b64 s[10:11], s[4:5], 0x4
	s_load_b32 s14, s[4:5], 0xc
	s_load_b64 s[12:13], s[2:3], 0x0
	s_add_u32 s4, s4, 12
	s_addc_u32 s5, s5, 0
	s_add_u32 s2, s2, 8
	s_addc_u32 s3, s3, 0
	s_add_i32 s7, s7, -1
	s_delay_alu instid0(SALU_CYCLE_1) | instskip(SKIP_2) | instid1(VALU_DEP_1)
	s_cmp_lg_u32 s7, 0
	s_waitcnt lgkmcnt(0)
	v_mul_hi_u32 v9, s11, v7
	v_add_nc_u32_e32 v9, v7, v9
	s_delay_alu instid0(VALU_DEP_1) | instskip(NEXT) | instid1(VALU_DEP_1)
	v_lshrrev_b32_e32 v12, s14, v9
	v_mul_lo_u32 v9, v12, s10
	s_delay_alu instid0(VALU_DEP_1) | instskip(NEXT) | instid1(VALU_DEP_1)
	v_sub_nc_u32_e32 v7, v7, v9
	v_mad_u64_u32 v[9:10], null, v7, s12, v[2:3]
	v_mad_u64_u32 v[10:11], null, v7, s13, v[6:7]
	s_delay_alu instid0(VALU_DEP_2) | instskip(NEXT) | instid1(VALU_DEP_2)
	v_dual_mov_b32 v7, v12 :: v_dual_mov_b32 v2, v9
	v_mov_b32_e32 v6, v10
	s_cbranch_scc1 .LBB449_1087
.LBB449_1088:
	s_and_not1_b32 vcc_lo, exec_lo, s6
	s_cbranch_vccnz .LBB449_1091
; %bb.1089:
	s_clause 0x1
	s_load_b128 s[4:7], s[16:17], 0x4
	s_load_b64 s[2:3], s[16:17], 0xc4
	s_cmp_lt_u32 s26, 2
	s_waitcnt lgkmcnt(0)
	v_mul_hi_u32 v2, s5, v1
	s_delay_alu instid0(VALU_DEP_1) | instskip(NEXT) | instid1(VALU_DEP_1)
	v_add_nc_u32_e32 v2, v1, v2
	v_lshrrev_b32_e32 v7, s6, v2
	s_delay_alu instid0(VALU_DEP_1) | instskip(NEXT) | instid1(VALU_DEP_1)
	v_mul_lo_u32 v2, v7, s4
	v_sub_nc_u32_e32 v1, v1, v2
	s_delay_alu instid0(VALU_DEP_1)
	v_mul_lo_u32 v2, v1, s2
	s_waitcnt vmcnt(0)
	v_mul_lo_u32 v6, v1, s3
	s_cbranch_scc1 .LBB449_1091
; %bb.1090:
	s_clause 0x1
	s_load_b128 s[4:7], s[16:17], 0x10
	s_load_b64 s[2:3], s[16:17], 0xcc
	s_waitcnt lgkmcnt(0)
	v_mul_hi_u32 v1, s5, v7
	s_delay_alu instid0(VALU_DEP_1) | instskip(NEXT) | instid1(VALU_DEP_1)
	v_add_nc_u32_e32 v1, v7, v1
	v_lshrrev_b32_e32 v1, s6, v1
	s_delay_alu instid0(VALU_DEP_1) | instskip(NEXT) | instid1(VALU_DEP_1)
	v_mul_lo_u32 v1, v1, s4
	v_sub_nc_u32_e32 v7, v7, v1
	s_delay_alu instid0(VALU_DEP_1) | instskip(SKIP_1) | instid1(VALU_DEP_2)
	v_mad_u64_u32 v[9:10], null, v7, s2, v[2:3]
	v_mad_u64_u32 v[1:2], null, v7, s3, v[6:7]
	v_mov_b32_e32 v2, v9
	s_delay_alu instid0(VALU_DEP_2)
	v_mov_b32_e32 v6, v1
.LBB449_1091:
	v_cmp_ne_u32_e32 vcc_lo, 1, v0
	v_add_nc_u32_e32 v7, 0x100, v8
	s_cbranch_vccnz .LBB449_1097
; %bb.1092:
	v_dual_mov_b32 v1, 0 :: v_dual_mov_b32 v8, 0
	s_cmp_lg_u32 s26, 0
	s_mov_b32 s6, 0
	s_cbranch_scc0 .LBB449_1101
; %bb.1093:
	s_min_u32 s7, s27, 15
	v_mov_b32_e32 v1, 0
	s_add_i32 s7, s7, 1
	s_cmp_eq_u32 s27, 2
	s_mov_b32 s10, 0
	s_cbranch_scc1 .LBB449_1098
; %bb.1094:
	v_dual_mov_b32 v8, 0 :: v_dual_mov_b32 v1, 0
	v_mov_b32_e32 v9, v7
	s_add_u32 s2, s16, 0xc4
	s_addc_u32 s3, s17, 0
	s_and_b32 s10, s7, 28
	s_mov_b32 s11, 0
	s_mov_b64 s[4:5], s[16:17]
.LBB449_1095:                           ; =>This Inner Loop Header: Depth=1
	s_clause 0x1
	s_load_b256 s[36:43], s[4:5], 0x4
	s_load_b128 s[12:15], s[4:5], 0x24
	s_load_b256 s[44:51], s[2:3], 0x0
	s_add_u32 s4, s4, 48
	s_addc_u32 s5, s5, 0
	s_add_i32 s11, s11, 4
	s_add_u32 s2, s2, 32
	s_addc_u32 s3, s3, 0
	s_cmp_lg_u32 s10, s11
	s_waitcnt lgkmcnt(0)
	v_mul_hi_u32 v10, s37, v9
	s_delay_alu instid0(VALU_DEP_1) | instskip(NEXT) | instid1(VALU_DEP_1)
	v_add_nc_u32_e32 v10, v9, v10
	v_lshrrev_b32_e32 v10, s38, v10
	s_delay_alu instid0(VALU_DEP_1) | instskip(SKIP_1) | instid1(VALU_DEP_2)
	v_mul_hi_u32 v11, s40, v10
	v_mul_lo_u32 v13, v10, s36
	v_add_nc_u32_e32 v11, v10, v11
	s_delay_alu instid0(VALU_DEP_2) | instskip(NEXT) | instid1(VALU_DEP_2)
	v_sub_nc_u32_e32 v9, v9, v13
	v_lshrrev_b32_e32 v11, s41, v11
	s_delay_alu instid0(VALU_DEP_2) | instskip(SKIP_1) | instid1(VALU_DEP_3)
	v_mul_lo_u32 v13, v9, s44
	v_mul_lo_u32 v15, v9, s45
	v_mul_hi_u32 v12, s43, v11
	s_delay_alu instid0(VALU_DEP_1) | instskip(NEXT) | instid1(VALU_DEP_1)
	v_add_nc_u32_e32 v12, v11, v12
	v_lshrrev_b32_e32 v12, s12, v12
	s_delay_alu instid0(VALU_DEP_1) | instskip(SKIP_1) | instid1(VALU_DEP_2)
	v_mul_hi_u32 v14, s14, v12
	v_mul_lo_u32 v16, v12, s42
	v_add_nc_u32_e32 v9, v12, v14
	v_mul_lo_u32 v14, v11, s39
	s_delay_alu instid0(VALU_DEP_3) | instskip(NEXT) | instid1(VALU_DEP_3)
	v_sub_nc_u32_e32 v11, v11, v16
	v_lshrrev_b32_e32 v9, s15, v9
	s_delay_alu instid0(VALU_DEP_2) | instskip(SKIP_2) | instid1(VALU_DEP_4)
	v_mul_lo_u32 v16, v11, s48
	v_mul_lo_u32 v11, v11, s49
	v_sub_nc_u32_e32 v10, v10, v14
	v_mul_lo_u32 v17, v9, s13
	s_delay_alu instid0(VALU_DEP_2) | instskip(SKIP_1) | instid1(VALU_DEP_3)
	v_mul_lo_u32 v14, v10, s46
	v_mul_lo_u32 v10, v10, s47
	v_sub_nc_u32_e32 v12, v12, v17
	s_delay_alu instid0(VALU_DEP_3) | instskip(NEXT) | instid1(VALU_DEP_2)
	v_add3_u32 v1, v13, v1, v14
	v_mul_lo_u32 v17, v12, s50
	v_mul_lo_u32 v12, v12, s51
	v_add3_u32 v8, v15, v8, v10
	s_delay_alu instid0(VALU_DEP_3) | instskip(NEXT) | instid1(VALU_DEP_2)
	v_add3_u32 v1, v16, v1, v17
	v_add3_u32 v8, v11, v8, v12
	s_cbranch_scc1 .LBB449_1095
; %bb.1096:
	s_and_b32 s7, s7, 3
	s_delay_alu instid0(SALU_CYCLE_1)
	s_cmp_eq_u32 s7, 0
	s_cbranch_scc0 .LBB449_1099
	s_branch .LBB449_1101
.LBB449_1097:
	s_mov_b32 s6, -1
                                        ; implicit-def: $vgpr1
                                        ; implicit-def: $vgpr8
	s_branch .LBB449_1101
.LBB449_1098:
	v_dual_mov_b32 v9, v7 :: v_dual_mov_b32 v8, 0
	s_and_b32 s7, s7, 3
	s_delay_alu instid0(SALU_CYCLE_1)
	s_cmp_eq_u32 s7, 0
	s_cbranch_scc1 .LBB449_1101
.LBB449_1099:
	s_lshl_b32 s2, s10, 3
	s_mul_i32 s4, s10, 12
	s_add_u32 s2, s2, s16
	s_addc_u32 s3, 0, s17
	s_add_u32 s2, s2, 0xc4
	s_addc_u32 s3, s3, 0
	;; [unrolled: 2-line block ×3, first 2 shown]
	.p2align	6
.LBB449_1100:                           ; =>This Inner Loop Header: Depth=1
	s_clause 0x1
	s_load_b64 s[10:11], s[4:5], 0x4
	s_load_b32 s14, s[4:5], 0xc
	s_load_b64 s[12:13], s[2:3], 0x0
	s_add_u32 s4, s4, 12
	s_addc_u32 s5, s5, 0
	s_add_u32 s2, s2, 8
	s_addc_u32 s3, s3, 0
	s_add_i32 s7, s7, -1
	s_delay_alu instid0(SALU_CYCLE_1) | instskip(SKIP_2) | instid1(VALU_DEP_1)
	s_cmp_lg_u32 s7, 0
	s_waitcnt lgkmcnt(0)
	v_mul_hi_u32 v10, s11, v9
	v_add_nc_u32_e32 v10, v9, v10
	s_delay_alu instid0(VALU_DEP_1) | instskip(NEXT) | instid1(VALU_DEP_1)
	v_lshrrev_b32_e32 v13, s14, v10
	v_mul_lo_u32 v10, v13, s10
	s_delay_alu instid0(VALU_DEP_1) | instskip(NEXT) | instid1(VALU_DEP_1)
	v_sub_nc_u32_e32 v9, v9, v10
	v_mad_u64_u32 v[10:11], null, v9, s12, v[1:2]
	v_mad_u64_u32 v[11:12], null, v9, s13, v[8:9]
	v_mov_b32_e32 v9, v13
	s_delay_alu instid0(VALU_DEP_2)
	v_dual_mov_b32 v1, v10 :: v_dual_mov_b32 v8, v11
	s_cbranch_scc1 .LBB449_1100
.LBB449_1101:
	s_and_not1_b32 vcc_lo, exec_lo, s6
	s_cbranch_vccnz .LBB449_1104
; %bb.1102:
	s_clause 0x1
	s_load_b128 s[4:7], s[16:17], 0x4
	s_load_b64 s[2:3], s[16:17], 0xc4
	s_cmp_lt_u32 s26, 2
	s_waitcnt lgkmcnt(0)
	v_mul_hi_u32 v1, s5, v7
	s_delay_alu instid0(VALU_DEP_1) | instskip(NEXT) | instid1(VALU_DEP_1)
	v_add_nc_u32_e32 v1, v7, v1
	v_lshrrev_b32_e32 v9, s6, v1
	s_delay_alu instid0(VALU_DEP_1) | instskip(NEXT) | instid1(VALU_DEP_1)
	v_mul_lo_u32 v1, v9, s4
	v_sub_nc_u32_e32 v7, v7, v1
	s_delay_alu instid0(VALU_DEP_1)
	v_mul_lo_u32 v1, v7, s2
	v_mul_lo_u32 v8, v7, s3
	s_cbranch_scc1 .LBB449_1104
; %bb.1103:
	s_clause 0x1
	s_load_b128 s[4:7], s[16:17], 0x10
	s_load_b64 s[2:3], s[16:17], 0xcc
	s_waitcnt lgkmcnt(0)
	v_mul_hi_u32 v7, s5, v9
	s_delay_alu instid0(VALU_DEP_1) | instskip(NEXT) | instid1(VALU_DEP_1)
	v_add_nc_u32_e32 v7, v9, v7
	v_lshrrev_b32_e32 v7, s6, v7
	s_delay_alu instid0(VALU_DEP_1) | instskip(NEXT) | instid1(VALU_DEP_1)
	v_mul_lo_u32 v7, v7, s4
	v_sub_nc_u32_e32 v7, v9, v7
	s_delay_alu instid0(VALU_DEP_1) | instskip(NEXT) | instid1(VALU_DEP_1)
	v_mad_u64_u32 v[9:10], null, v7, s2, v[1:2]
	v_mad_u64_u32 v[10:11], null, v7, s3, v[8:9]
	s_delay_alu instid0(VALU_DEP_1)
	v_dual_mov_b32 v1, v9 :: v_dual_mov_b32 v8, v10
.LBB449_1104:
	v_cmp_ne_u32_e32 vcc_lo, 1, v0
	s_cbranch_vccnz .LBB449_1110
; %bb.1105:
	v_mov_b32_e32 v0, 0
	v_mov_b32_e32 v10, 0
	s_cmp_lg_u32 s26, 0
	s_mov_b32 s6, 0
	s_cbranch_scc0 .LBB449_1114
; %bb.1106:
	s_min_u32 s7, s27, 15
	v_mov_b32_e32 v0, 0
	s_add_i32 s7, s7, 1
	s_cmp_eq_u32 s27, 2
	s_mov_b32 s10, 0
	s_cbranch_scc1 .LBB449_1111
; %bb.1107:
	s_waitcnt vmcnt(0)
	v_dual_mov_b32 v10, 0 :: v_dual_mov_b32 v7, v5
	v_mov_b32_e32 v0, 0
	s_add_u32 s2, s16, 0xc4
	s_addc_u32 s3, s17, 0
	s_and_b32 s10, s7, 28
	s_mov_b32 s11, 0
	s_mov_b64 s[4:5], s[16:17]
.LBB449_1108:                           ; =>This Inner Loop Header: Depth=1
	s_clause 0x1
	s_load_b256 s[36:43], s[4:5], 0x4
	s_load_b128 s[12:15], s[4:5], 0x24
	s_load_b256 s[44:51], s[2:3], 0x0
	s_add_u32 s4, s4, 48
	s_addc_u32 s5, s5, 0
	s_add_i32 s11, s11, 4
	s_add_u32 s2, s2, 32
	s_addc_u32 s3, s3, 0
	s_cmp_lg_u32 s10, s11
	s_waitcnt lgkmcnt(0)
	v_mul_hi_u32 v9, s37, v7
	s_delay_alu instid0(VALU_DEP_1) | instskip(NEXT) | instid1(VALU_DEP_1)
	v_add_nc_u32_e32 v9, v7, v9
	v_lshrrev_b32_e32 v9, s38, v9
	s_delay_alu instid0(VALU_DEP_1) | instskip(SKIP_1) | instid1(VALU_DEP_2)
	v_mul_hi_u32 v11, s40, v9
	v_mul_lo_u32 v13, v9, s36
	v_add_nc_u32_e32 v11, v9, v11
	s_delay_alu instid0(VALU_DEP_2) | instskip(NEXT) | instid1(VALU_DEP_2)
	v_sub_nc_u32_e32 v7, v7, v13
	v_lshrrev_b32_e32 v11, s41, v11
	s_delay_alu instid0(VALU_DEP_2) | instskip(SKIP_1) | instid1(VALU_DEP_3)
	v_mul_lo_u32 v13, v7, s44
	v_mul_lo_u32 v15, v7, s45
	v_mul_hi_u32 v12, s43, v11
	s_delay_alu instid0(VALU_DEP_1) | instskip(NEXT) | instid1(VALU_DEP_1)
	v_add_nc_u32_e32 v12, v11, v12
	v_lshrrev_b32_e32 v12, s12, v12
	s_delay_alu instid0(VALU_DEP_1) | instskip(SKIP_1) | instid1(VALU_DEP_2)
	v_mul_hi_u32 v14, s14, v12
	v_mul_lo_u32 v16, v12, s42
	v_add_nc_u32_e32 v7, v12, v14
	v_mul_lo_u32 v14, v11, s39
	s_delay_alu instid0(VALU_DEP_3) | instskip(NEXT) | instid1(VALU_DEP_3)
	v_sub_nc_u32_e32 v11, v11, v16
	v_lshrrev_b32_e32 v7, s15, v7
	s_delay_alu instid0(VALU_DEP_2) | instskip(SKIP_2) | instid1(VALU_DEP_4)
	v_mul_lo_u32 v16, v11, s48
	v_mul_lo_u32 v11, v11, s49
	v_sub_nc_u32_e32 v9, v9, v14
	v_mul_lo_u32 v17, v7, s13
	s_delay_alu instid0(VALU_DEP_2) | instskip(SKIP_1) | instid1(VALU_DEP_3)
	v_mul_lo_u32 v14, v9, s46
	v_mul_lo_u32 v9, v9, s47
	v_sub_nc_u32_e32 v12, v12, v17
	s_delay_alu instid0(VALU_DEP_3) | instskip(NEXT) | instid1(VALU_DEP_2)
	v_add3_u32 v0, v13, v0, v14
	v_mul_lo_u32 v17, v12, s50
	v_mul_lo_u32 v12, v12, s51
	v_add3_u32 v9, v15, v10, v9
	s_delay_alu instid0(VALU_DEP_3) | instskip(NEXT) | instid1(VALU_DEP_2)
	v_add3_u32 v0, v16, v0, v17
	v_add3_u32 v10, v11, v9, v12
	s_cbranch_scc1 .LBB449_1108
; %bb.1109:
	s_and_b32 s7, s7, 3
	s_delay_alu instid0(SALU_CYCLE_1)
	s_cmp_eq_u32 s7, 0
	s_cbranch_scc0 .LBB449_1112
	s_branch .LBB449_1114
.LBB449_1110:
	s_mov_b32 s6, -1
                                        ; implicit-def: $vgpr0
                                        ; implicit-def: $vgpr10
	s_branch .LBB449_1114
.LBB449_1111:
	s_waitcnt vmcnt(0)
	v_dual_mov_b32 v7, v5 :: v_dual_mov_b32 v10, 0
	s_and_b32 s7, s7, 3
	s_delay_alu instid0(SALU_CYCLE_1)
	s_cmp_eq_u32 s7, 0
	s_cbranch_scc1 .LBB449_1114
.LBB449_1112:
	s_lshl_b32 s2, s10, 3
	s_mul_i32 s4, s10, 12
	s_add_u32 s2, s2, s16
	s_addc_u32 s3, 0, s17
	s_add_u32 s2, s2, 0xc4
	s_addc_u32 s3, s3, 0
	;; [unrolled: 2-line block ×3, first 2 shown]
	.p2align	6
.LBB449_1113:                           ; =>This Inner Loop Header: Depth=1
	s_clause 0x1
	s_load_b64 s[10:11], s[4:5], 0x4
	s_load_b32 s14, s[4:5], 0xc
	s_load_b64 s[12:13], s[2:3], 0x0
	s_add_u32 s4, s4, 12
	s_addc_u32 s5, s5, 0
	s_add_u32 s2, s2, 8
	s_addc_u32 s3, s3, 0
	s_add_i32 s7, s7, -1
	s_delay_alu instid0(SALU_CYCLE_1) | instskip(SKIP_2) | instid1(VALU_DEP_1)
	s_cmp_lg_u32 s7, 0
	s_waitcnt lgkmcnt(0)
	v_mul_hi_u32 v9, s11, v7
	v_add_nc_u32_e32 v9, v7, v9
	s_delay_alu instid0(VALU_DEP_1) | instskip(NEXT) | instid1(VALU_DEP_1)
	v_lshrrev_b32_e32 v9, s14, v9
	v_mul_lo_u32 v11, v9, s10
	s_delay_alu instid0(VALU_DEP_1) | instskip(NEXT) | instid1(VALU_DEP_1)
	v_sub_nc_u32_e32 v7, v7, v11
	v_mad_u64_u32 v[11:12], null, v7, s12, v[0:1]
	s_delay_alu instid0(VALU_DEP_1) | instskip(SKIP_1) | instid1(VALU_DEP_2)
	v_mad_u64_u32 v[12:13], null, v7, s13, v[10:11]
	v_dual_mov_b32 v7, v9 :: v_dual_mov_b32 v0, v11
	v_mov_b32_e32 v10, v12
	s_cbranch_scc1 .LBB449_1113
.LBB449_1114:
	s_and_not1_b32 vcc_lo, exec_lo, s6
	s_cbranch_vccnz .LBB449_1117
; %bb.1115:
	s_clause 0x1
	s_load_b128 s[4:7], s[16:17], 0x4
	s_load_b64 s[2:3], s[16:17], 0xc4
	s_cmp_lt_u32 s26, 2
	s_waitcnt vmcnt(0) lgkmcnt(0)
	v_mul_hi_u32 v0, s5, v5
	s_delay_alu instid0(VALU_DEP_1) | instskip(NEXT) | instid1(VALU_DEP_1)
	v_add_nc_u32_e32 v0, v5, v0
	v_lshrrev_b32_e32 v7, s6, v0
	s_delay_alu instid0(VALU_DEP_1) | instskip(NEXT) | instid1(VALU_DEP_1)
	v_mul_lo_u32 v0, v7, s4
	v_sub_nc_u32_e32 v5, v5, v0
	s_delay_alu instid0(VALU_DEP_1)
	v_mul_lo_u32 v0, v5, s2
	v_mul_lo_u32 v10, v5, s3
	s_cbranch_scc1 .LBB449_1117
; %bb.1116:
	s_clause 0x1
	s_load_b128 s[4:7], s[16:17], 0x10
	s_load_b64 s[2:3], s[16:17], 0xcc
	s_waitcnt lgkmcnt(0)
	v_mul_hi_u32 v5, s5, v7
	s_delay_alu instid0(VALU_DEP_1) | instskip(NEXT) | instid1(VALU_DEP_1)
	v_add_nc_u32_e32 v5, v7, v5
	v_lshrrev_b32_e32 v5, s6, v5
	s_delay_alu instid0(VALU_DEP_1) | instskip(NEXT) | instid1(VALU_DEP_1)
	v_mul_lo_u32 v5, v5, s4
	v_sub_nc_u32_e32 v5, v7, v5
	s_delay_alu instid0(VALU_DEP_1) | instskip(NEXT) | instid1(VALU_DEP_1)
	v_mad_u64_u32 v[11:12], null, v5, s2, v[0:1]
	v_mad_u64_u32 v[12:13], null, v5, s3, v[10:11]
	v_mov_b32_e32 v0, v11
	s_delay_alu instid0(VALU_DEP_2)
	v_mov_b32_e32 v10, v12
.LBB449_1117:
	s_clause 0x1
	s_load_b32 s0, s[0:1], 0x168
	s_load_b128 s[4:7], s[16:17], 0x148
	s_waitcnt lgkmcnt(0)
	s_lshr_b32 s0, s0, 8
	s_delay_alu instid0(SALU_CYCLE_1) | instskip(SKIP_2) | instid1(VALU_DEP_1)
	v_and_b32_e64 v14, 0xff, s0
	s_waitcnt vmcnt(0)
	v_add_co_u32 v11, s0, s6, v4
	v_add_co_ci_u32_e64 v12, null, s7, 0, s0
	s_delay_alu instid0(VALU_DEP_3)
	v_cmp_gt_i16_e32 vcc_lo, 11, v14
	s_mov_b32 s0, 0
	s_cbranch_vccnz .LBB449_1124
; %bb.1118:
	v_cmp_lt_i16_e32 vcc_lo, 25, v14
	s_mov_b32 s3, 0
	s_cbranch_vccz .LBB449_1130
; %bb.1119:
	v_cmp_lt_i16_e32 vcc_lo, 28, v14
	s_cbranch_vccz .LBB449_1132
; %bb.1120:
	v_cmp_lt_i16_e32 vcc_lo, 43, v14
	;; [unrolled: 3-line block ×3, first 2 shown]
	s_cbranch_vccz .LBB449_1138
; %bb.1122:
	v_cmp_eq_u16_e32 vcc_lo, 46, v14
	s_mov_b32 s1, 0
	s_cbranch_vccz .LBB449_1180
; %bb.1123:
	global_load_b32 v4, v[11:12], off
	s_mov_b32 s2, 0
	s_mov_b32 s0, -1
	s_waitcnt vmcnt(0)
	v_lshlrev_b32_e32 v4, 16, v4
	s_delay_alu instid0(VALU_DEP_1) | instskip(NEXT) | instid1(VALU_DEP_1)
	v_trunc_f32_e32 v4, v4
	v_mul_f32_e64 v5, 0x2f800000, |v4|
	v_ashrrev_i32_e32 v9, 31, v4
	s_delay_alu instid0(VALU_DEP_2) | instskip(NEXT) | instid1(VALU_DEP_1)
	v_floor_f32_e32 v5, v5
	v_fma_f32 v7, 0xcf800000, v5, |v4|
	v_cvt_u32_f32_e32 v5, v5
	s_delay_alu instid0(VALU_DEP_2) | instskip(NEXT) | instid1(VALU_DEP_2)
	v_cvt_u32_f32_e32 v4, v7
	v_xor_b32_e32 v5, v5, v9
	s_delay_alu instid0(VALU_DEP_2) | instskip(NEXT) | instid1(VALU_DEP_1)
	v_xor_b32_e32 v4, v4, v9
	v_sub_co_u32 v4, vcc_lo, v4, v9
	s_delay_alu instid0(VALU_DEP_3)
	v_sub_co_ci_u32_e32 v5, vcc_lo, v5, v9, vcc_lo
	s_branch .LBB449_1182
.LBB449_1124:
	s_mov_b32 s10, s8
                                        ; implicit-def: $vgpr4_vgpr5
	s_cbranch_execz .LBB449_1240
; %bb.1125:
	v_cmp_gt_i16_e32 vcc_lo, 5, v14
	s_cbranch_vccnz .LBB449_1131
; %bb.1126:
	v_cmp_gt_i16_e32 vcc_lo, 8, v14
	s_cbranch_vccnz .LBB449_1133
; %bb.1127:
	v_cmp_gt_i16_e32 vcc_lo, 9, v14
	s_cbranch_vccnz .LBB449_1135
; %bb.1128:
	v_cmp_lt_i16_e32 vcc_lo, 9, v14
	s_cbranch_vccz .LBB449_1139
; %bb.1129:
	global_load_b64 v[4:5], v[11:12], off
	s_mov_b32 s0, 0
	s_waitcnt vmcnt(0)
	v_trunc_f64_e32 v[4:5], v[4:5]
	s_delay_alu instid0(VALU_DEP_1) | instskip(NEXT) | instid1(VALU_DEP_1)
	v_ldexp_f64 v[15:16], v[4:5], 0xffffffe0
	v_floor_f64_e32 v[15:16], v[15:16]
	s_delay_alu instid0(VALU_DEP_1) | instskip(SKIP_1) | instid1(VALU_DEP_2)
	v_fma_f64 v[17:18], 0xc1f00000, v[15:16], v[4:5]
	v_cvt_i32_f64_e32 v5, v[15:16]
	v_cvt_u32_f64_e32 v4, v[17:18]
	s_branch .LBB449_1140
.LBB449_1130:
	s_mov_b32 s2, 0
                                        ; implicit-def: $vgpr4_vgpr5
	s_cbranch_execnz .LBB449_1209
	s_branch .LBB449_1236
.LBB449_1131:
                                        ; implicit-def: $vgpr4_vgpr5
	s_branch .LBB449_1157
.LBB449_1132:
	s_mov_b32 s2, 0
                                        ; implicit-def: $vgpr4_vgpr5
	s_cbranch_execz .LBB449_1208
	s_branch .LBB449_1191
.LBB449_1133:
                                        ; implicit-def: $vgpr4_vgpr5
	s_branch .LBB449_1146
.LBB449_1134:
	s_mov_b32 s2, 0
                                        ; implicit-def: $vgpr4_vgpr5
	s_cbranch_execnz .LBB449_1187
	s_branch .LBB449_1190
.LBB449_1135:
	s_mov_b32 s0, -1
                                        ; implicit-def: $vgpr4_vgpr5
	s_branch .LBB449_1143
.LBB449_1136:
	s_cbranch_execnz .LBB449_1178
; %bb.1137:
	s_or_b32 s3, s3, exec_lo
	s_and_not1_b32 s8, s8, exec_lo
	s_or_b32 exec_lo, exec_lo, s2
	s_and_saveexec_b32 s2, s8
	s_delay_alu instid0(SALU_CYCLE_1)
	s_xor_b32 s2, exec_lo, s2
	s_cbranch_execnz .LBB449_1024
	s_branch .LBB449_1025
.LBB449_1138:
	s_mov_b32 s1, -1
	s_mov_b32 s2, 0
	s_branch .LBB449_1181
.LBB449_1139:
	s_mov_b32 s0, -1
                                        ; implicit-def: $vgpr4_vgpr5
.LBB449_1140:
	s_delay_alu instid0(SALU_CYCLE_1)
	s_and_not1_b32 vcc_lo, exec_lo, s0
	s_cbranch_vccnz .LBB449_1142
; %bb.1141:
	global_load_b32 v4, v[11:12], off
	s_waitcnt vmcnt(0)
	v_trunc_f32_e32 v4, v4
	s_delay_alu instid0(VALU_DEP_1) | instskip(SKIP_1) | instid1(VALU_DEP_2)
	v_mul_f32_e64 v5, 0x2f800000, |v4|
	v_ashrrev_i32_e32 v9, 31, v4
	v_floor_f32_e32 v5, v5
	s_delay_alu instid0(VALU_DEP_1) | instskip(SKIP_1) | instid1(VALU_DEP_2)
	v_fma_f32 v7, 0xcf800000, v5, |v4|
	v_cvt_u32_f32_e32 v5, v5
	v_cvt_u32_f32_e32 v4, v7
	s_delay_alu instid0(VALU_DEP_2) | instskip(NEXT) | instid1(VALU_DEP_2)
	v_xor_b32_e32 v5, v5, v9
	v_xor_b32_e32 v4, v4, v9
	s_delay_alu instid0(VALU_DEP_1) | instskip(NEXT) | instid1(VALU_DEP_3)
	v_sub_co_u32 v4, vcc_lo, v4, v9
	v_sub_co_ci_u32_e32 v5, vcc_lo, v5, v9, vcc_lo
.LBB449_1142:
	s_mov_b32 s0, 0
.LBB449_1143:
	s_delay_alu instid0(SALU_CYCLE_1)
	s_and_not1_b32 vcc_lo, exec_lo, s0
	s_cbranch_vccnz .LBB449_1145
; %bb.1144:
	global_load_b32 v4, v[11:12], off
	s_waitcnt vmcnt(0)
	v_cvt_f32_f16_e32 v4, v4
	s_delay_alu instid0(VALU_DEP_1) | instskip(NEXT) | instid1(VALU_DEP_1)
	v_cvt_i32_f32_e32 v4, v4
	v_ashrrev_i32_e32 v5, 31, v4
.LBB449_1145:
	s_cbranch_execnz .LBB449_1156
.LBB449_1146:
	v_cmp_gt_i16_e32 vcc_lo, 6, v14
	s_cbranch_vccnz .LBB449_1149
; %bb.1147:
	v_cmp_lt_i16_e32 vcc_lo, 6, v14
	s_cbranch_vccz .LBB449_1150
; %bb.1148:
	global_load_b64 v[4:5], v[11:12], off
	s_mov_b32 s0, 0
	s_waitcnt vmcnt(0)
	v_trunc_f64_e32 v[4:5], v[4:5]
	s_delay_alu instid0(VALU_DEP_1) | instskip(NEXT) | instid1(VALU_DEP_1)
	v_ldexp_f64 v[15:16], v[4:5], 0xffffffe0
	v_floor_f64_e32 v[15:16], v[15:16]
	s_delay_alu instid0(VALU_DEP_1) | instskip(SKIP_1) | instid1(VALU_DEP_2)
	v_fma_f64 v[17:18], 0xc1f00000, v[15:16], v[4:5]
	v_cvt_i32_f64_e32 v5, v[15:16]
	v_cvt_u32_f64_e32 v4, v[17:18]
	s_branch .LBB449_1151
.LBB449_1149:
	s_mov_b32 s0, -1
                                        ; implicit-def: $vgpr4_vgpr5
	s_branch .LBB449_1154
.LBB449_1150:
	s_mov_b32 s0, -1
                                        ; implicit-def: $vgpr4_vgpr5
.LBB449_1151:
	s_delay_alu instid0(SALU_CYCLE_1)
	s_and_not1_b32 vcc_lo, exec_lo, s0
	s_cbranch_vccnz .LBB449_1153
; %bb.1152:
	global_load_b32 v4, v[11:12], off
	s_waitcnt vmcnt(0)
	v_trunc_f32_e32 v4, v4
	s_delay_alu instid0(VALU_DEP_1) | instskip(SKIP_1) | instid1(VALU_DEP_2)
	v_mul_f32_e64 v5, 0x2f800000, |v4|
	v_ashrrev_i32_e32 v9, 31, v4
	v_floor_f32_e32 v5, v5
	s_delay_alu instid0(VALU_DEP_1) | instskip(SKIP_1) | instid1(VALU_DEP_2)
	v_fma_f32 v7, 0xcf800000, v5, |v4|
	v_cvt_u32_f32_e32 v5, v5
	v_cvt_u32_f32_e32 v4, v7
	s_delay_alu instid0(VALU_DEP_2) | instskip(NEXT) | instid1(VALU_DEP_2)
	v_xor_b32_e32 v5, v5, v9
	v_xor_b32_e32 v4, v4, v9
	s_delay_alu instid0(VALU_DEP_1) | instskip(NEXT) | instid1(VALU_DEP_3)
	v_sub_co_u32 v4, vcc_lo, v4, v9
	v_sub_co_ci_u32_e32 v5, vcc_lo, v5, v9, vcc_lo
.LBB449_1153:
	s_mov_b32 s0, 0
.LBB449_1154:
	s_delay_alu instid0(SALU_CYCLE_1)
	s_and_not1_b32 vcc_lo, exec_lo, s0
	s_cbranch_vccnz .LBB449_1156
; %bb.1155:
	global_load_u16 v4, v[11:12], off
	s_waitcnt vmcnt(0)
	v_cvt_f32_f16_e32 v4, v4
	s_delay_alu instid0(VALU_DEP_1) | instskip(NEXT) | instid1(VALU_DEP_1)
	v_cvt_i32_f32_e32 v4, v4
	v_ashrrev_i32_e32 v5, 31, v4
.LBB449_1156:
	s_cbranch_execnz .LBB449_1175
.LBB449_1157:
	v_cmp_gt_i16_e32 vcc_lo, 2, v14
	s_cbranch_vccnz .LBB449_1161
; %bb.1158:
	v_cmp_gt_i16_e32 vcc_lo, 3, v14
	s_cbranch_vccnz .LBB449_1162
; %bb.1159:
	v_cmp_lt_i16_e32 vcc_lo, 3, v14
	s_cbranch_vccz .LBB449_1163
; %bb.1160:
	global_load_b64 v[4:5], v[11:12], off
	s_mov_b32 s0, 0
	s_branch .LBB449_1164
.LBB449_1161:
                                        ; implicit-def: $vgpr4_vgpr5
	s_branch .LBB449_1170
.LBB449_1162:
	s_mov_b32 s0, -1
                                        ; implicit-def: $vgpr4_vgpr5
	s_branch .LBB449_1167
.LBB449_1163:
	s_mov_b32 s0, -1
                                        ; implicit-def: $vgpr4_vgpr5
.LBB449_1164:
	s_delay_alu instid0(SALU_CYCLE_1)
	s_and_not1_b32 vcc_lo, exec_lo, s0
	s_cbranch_vccnz .LBB449_1166
; %bb.1165:
	global_load_b32 v4, v[11:12], off
	s_waitcnt vmcnt(0)
	v_ashrrev_i32_e32 v5, 31, v4
.LBB449_1166:
	s_mov_b32 s0, 0
.LBB449_1167:
	s_delay_alu instid0(SALU_CYCLE_1)
	s_and_not1_b32 vcc_lo, exec_lo, s0
	s_cbranch_vccnz .LBB449_1169
; %bb.1168:
	global_load_u16 v4, v[11:12], off
	s_waitcnt vmcnt(0)
	v_bfe_i32 v4, v4, 0, 16
	s_delay_alu instid0(VALU_DEP_1)
	v_ashrrev_i32_e32 v5, 31, v4
.LBB449_1169:
	s_cbranch_execnz .LBB449_1175
.LBB449_1170:
	v_cmp_lt_i16_e32 vcc_lo, 0, v14
	s_mov_b32 s0, 0
	s_cbranch_vccz .LBB449_1172
; %bb.1171:
	global_load_i8 v4, v[11:12], off
	s_waitcnt vmcnt(0)
	v_bfe_i32 v4, v4, 0, 16
	s_delay_alu instid0(VALU_DEP_1)
	v_ashrrev_i32_e32 v5, 31, v4
	s_branch .LBB449_1173
.LBB449_1172:
	s_mov_b32 s0, -1
                                        ; implicit-def: $vgpr4_vgpr5
.LBB449_1173:
	s_delay_alu instid0(SALU_CYCLE_1)
	s_and_not1_b32 vcc_lo, exec_lo, s0
	s_cbranch_vccnz .LBB449_1175
; %bb.1174:
	global_load_u8 v4, v[11:12], off
	s_mov_b32 s0, 0
	s_waitcnt vmcnt(0)
	v_dual_mov_b32 v5, s0 :: v_dual_and_b32 v4, 0xffff, v4
.LBB449_1175:
	s_branch .LBB449_1241
.LBB449_1176:
	s_trap 2
	s_sendmsg_rtn_b32 s0, sendmsg(MSG_RTN_GET_DOORBELL)
	s_mov_b32 ttmp2, m0
	s_waitcnt lgkmcnt(0)
	s_and_b32 s0, s0, 0x3ff
	s_delay_alu instid0(SALU_CYCLE_1) | instskip(NEXT) | instid1(SALU_CYCLE_1)
	s_bitset1_b32 s0, 10
	s_mov_b32 m0, s0
	s_sendmsg sendmsg(MSG_INTERRUPT)
	s_mov_b32 m0, ttmp2
.LBB449_1177:                           ; =>This Inner Loop Header: Depth=1
	s_sethalt 5
	s_branch .LBB449_1177
.LBB449_1178:
	s_trap 2
	s_sendmsg_rtn_b32 s0, sendmsg(MSG_RTN_GET_DOORBELL)
	s_mov_b32 ttmp2, m0
	s_waitcnt lgkmcnt(0)
	s_and_b32 s0, s0, 0x3ff
	s_delay_alu instid0(SALU_CYCLE_1) | instskip(NEXT) | instid1(SALU_CYCLE_1)
	s_bitset1_b32 s0, 10
	s_mov_b32 m0, s0
	s_sendmsg sendmsg(MSG_INTERRUPT)
	s_mov_b32 m0, ttmp2
.LBB449_1179:                           ; =>This Inner Loop Header: Depth=1
	s_sethalt 5
	s_branch .LBB449_1179
.LBB449_1180:
	s_mov_b32 s2, -1
.LBB449_1181:
                                        ; implicit-def: $vgpr4_vgpr5
.LBB449_1182:
	s_and_b32 vcc_lo, exec_lo, s1
	s_cbranch_vccz .LBB449_1185
; %bb.1183:
	v_cmp_eq_u16_e32 vcc_lo, 44, v14
	s_cbranch_vccz .LBB449_1186
; %bb.1184:
	global_load_u8 v4, v[11:12], off
	s_mov_b32 s2, 0
	s_mov_b32 s0, -1
	s_waitcnt vmcnt(0)
	v_lshlrev_b32_e32 v5, 23, v4
	s_delay_alu instid0(VALU_DEP_1) | instskip(NEXT) | instid1(VALU_DEP_1)
	v_trunc_f32_e32 v5, v5
	v_mul_f32_e64 v7, 0x2f800000, |v5|
	s_delay_alu instid0(VALU_DEP_1) | instskip(NEXT) | instid1(VALU_DEP_1)
	v_floor_f32_e32 v7, v7
	v_fma_f32 v9, 0xcf800000, v7, |v5|
	v_ashrrev_i32_e32 v5, 31, v5
	v_cvt_u32_f32_e32 v7, v7
	s_delay_alu instid0(VALU_DEP_3) | instskip(NEXT) | instid1(VALU_DEP_2)
	v_cvt_u32_f32_e32 v9, v9
	v_xor_b32_e32 v7, v7, v5
	s_delay_alu instid0(VALU_DEP_2) | instskip(NEXT) | instid1(VALU_DEP_1)
	v_xor_b32_e32 v9, v9, v5
	v_sub_co_u32 v9, vcc_lo, v9, v5
	s_delay_alu instid0(VALU_DEP_3) | instskip(SKIP_1) | instid1(VALU_DEP_3)
	v_sub_co_ci_u32_e32 v5, vcc_lo, v7, v5, vcc_lo
	v_cmp_ne_u32_e32 vcc_lo, 0, v4
	v_cndmask_b32_e32 v4, 0, v9, vcc_lo
	s_delay_alu instid0(VALU_DEP_3)
	v_cndmask_b32_e32 v5, 0, v5, vcc_lo
.LBB449_1185:
	s_branch .LBB449_1190
.LBB449_1186:
	s_mov_b32 s2, -1
                                        ; implicit-def: $vgpr4_vgpr5
	s_branch .LBB449_1190
.LBB449_1187:
	v_cmp_eq_u16_e32 vcc_lo, 29, v14
	s_cbranch_vccz .LBB449_1189
; %bb.1188:
	global_load_b64 v[4:5], v[11:12], off
	s_mov_b32 s2, 0
	s_mov_b32 s0, -1
	s_branch .LBB449_1190
.LBB449_1189:
	s_mov_b32 s2, -1
                                        ; implicit-def: $vgpr4_vgpr5
.LBB449_1190:
	s_branch .LBB449_1208
.LBB449_1191:
	v_cmp_gt_i16_e32 vcc_lo, 27, v14
	s_cbranch_vccnz .LBB449_1194
; %bb.1192:
	v_cmp_lt_i16_e32 vcc_lo, 27, v14
	s_cbranch_vccz .LBB449_1195
; %bb.1193:
	global_load_b32 v4, v[11:12], off
	s_waitcnt vmcnt(1)
	v_mov_b32_e32 v5, 0
	s_mov_b32 s0, 0
	s_branch .LBB449_1196
.LBB449_1194:
	s_mov_b32 s0, -1
                                        ; implicit-def: $vgpr4_vgpr5
	s_branch .LBB449_1199
.LBB449_1195:
	s_mov_b32 s0, -1
                                        ; implicit-def: $vgpr4_vgpr5
.LBB449_1196:
	s_delay_alu instid0(SALU_CYCLE_1)
	s_and_not1_b32 vcc_lo, exec_lo, s0
	s_cbranch_vccnz .LBB449_1198
; %bb.1197:
	global_load_u16 v4, v[11:12], off
	s_mov_b32 s0, 0
	s_waitcnt vmcnt(0)
	v_dual_mov_b32 v5, s0 :: v_dual_and_b32 v4, 0xffff, v4
.LBB449_1198:
	s_mov_b32 s0, 0
.LBB449_1199:
	s_delay_alu instid0(SALU_CYCLE_1)
	s_and_not1_b32 vcc_lo, exec_lo, s0
	s_cbranch_vccnz .LBB449_1207
; %bb.1200:
	global_load_u8 v7, v[11:12], off
	s_mov_b32 s10, 0
	s_mov_b32 s11, exec_lo
                                        ; implicit-def: $sgpr0_sgpr1
	s_waitcnt vmcnt(0)
	v_cmpx_lt_i16_e32 0x7f, v7
	s_xor_b32 s11, exec_lo, s11
; %bb.1201:
	v_cmp_ne_u16_e32 vcc_lo, 0x80, v7
	s_mov_b64 s[0:1], 0
	s_and_b32 s10, vcc_lo, exec_lo
; %bb.1202:
	s_or_saveexec_b32 s11, s11
	v_dual_mov_b32 v5, s1 :: v_dual_mov_b32 v4, s0
	s_xor_b32 exec_lo, exec_lo, s11
; %bb.1203:
	v_cmp_ne_u16_e32 vcc_lo, 0, v7
	v_mov_b32_e32 v4, 0
	v_mov_b32_e32 v5, 0
	s_and_not1_b32 s0, s10, exec_lo
	s_and_b32 s1, vcc_lo, exec_lo
	s_delay_alu instid0(SALU_CYCLE_1)
	s_or_b32 s10, s0, s1
; %bb.1204:
	s_or_b32 exec_lo, exec_lo, s11
	s_and_saveexec_b32 s0, s10
	s_cbranch_execz .LBB449_1206
; %bb.1205:
	v_and_b32_e32 v4, 0xffff, v7
	v_lshlrev_b32_e32 v7, 24, v7
	s_delay_alu instid0(VALU_DEP_2) | instskip(NEXT) | instid1(VALU_DEP_2)
	v_and_b32_e32 v5, 7, v4
	v_and_b32_e32 v7, 0x80000000, v7
	s_delay_alu instid0(VALU_DEP_2) | instskip(NEXT) | instid1(VALU_DEP_1)
	v_clz_i32_u32_e32 v9, v5
	v_min_u32_e32 v9, 32, v9
	s_delay_alu instid0(VALU_DEP_1) | instskip(SKIP_1) | instid1(VALU_DEP_2)
	v_subrev_nc_u32_e32 v13, 28, v9
	v_sub_nc_u32_e32 v9, 29, v9
	v_lshlrev_b32_e32 v13, v13, v4
	v_bfe_u32 v4, v4, 3, 4
	s_delay_alu instid0(VALU_DEP_2) | instskip(NEXT) | instid1(VALU_DEP_2)
	v_and_b32_e32 v13, 7, v13
	v_cmp_eq_u32_e32 vcc_lo, 0, v4
	v_cndmask_b32_e32 v4, v4, v9, vcc_lo
	s_delay_alu instid0(VALU_DEP_3) | instskip(NEXT) | instid1(VALU_DEP_2)
	v_cndmask_b32_e32 v5, v5, v13, vcc_lo
	v_lshl_add_u32 v4, v4, 23, 0x3b800000
	s_delay_alu instid0(VALU_DEP_2) | instskip(NEXT) | instid1(VALU_DEP_1)
	v_lshlrev_b32_e32 v5, 20, v5
	v_or3_b32 v4, v7, v4, v5
	s_delay_alu instid0(VALU_DEP_1) | instskip(NEXT) | instid1(VALU_DEP_1)
	v_trunc_f32_e32 v4, v4
	v_mul_f32_e64 v5, 0x2f800000, |v4|
	v_ashrrev_i32_e32 v9, 31, v4
	s_delay_alu instid0(VALU_DEP_2) | instskip(NEXT) | instid1(VALU_DEP_1)
	v_floor_f32_e32 v5, v5
	v_fma_f32 v7, 0xcf800000, v5, |v4|
	v_cvt_u32_f32_e32 v5, v5
	s_delay_alu instid0(VALU_DEP_2) | instskip(NEXT) | instid1(VALU_DEP_2)
	v_cvt_u32_f32_e32 v4, v7
	v_xor_b32_e32 v5, v5, v9
	s_delay_alu instid0(VALU_DEP_2) | instskip(NEXT) | instid1(VALU_DEP_1)
	v_xor_b32_e32 v4, v4, v9
	v_sub_co_u32 v4, vcc_lo, v4, v9
	s_delay_alu instid0(VALU_DEP_3)
	v_sub_co_ci_u32_e32 v5, vcc_lo, v5, v9, vcc_lo
.LBB449_1206:
	s_or_b32 exec_lo, exec_lo, s0
.LBB449_1207:
	s_mov_b32 s0, -1
.LBB449_1208:
	s_branch .LBB449_1236
.LBB449_1209:
	v_cmp_lt_i16_e32 vcc_lo, 22, v14
	s_cbranch_vccz .LBB449_1219
; %bb.1210:
	v_cmp_gt_i16_e32 vcc_lo, 24, v14
	s_cbranch_vccnz .LBB449_1220
; %bb.1211:
	v_cmp_lt_i16_e32 vcc_lo, 24, v14
	s_cbranch_vccz .LBB449_1221
; %bb.1212:
	global_load_u8 v7, v[11:12], off
	s_mov_b32 s10, exec_lo
                                        ; implicit-def: $sgpr0_sgpr1
	s_waitcnt vmcnt(0)
	v_cmpx_lt_i16_e32 0x7f, v7
	s_xor_b32 s10, exec_lo, s10
; %bb.1213:
	v_cmp_ne_u16_e32 vcc_lo, 0x80, v7
	s_mov_b64 s[0:1], 0
	s_and_b32 s3, vcc_lo, exec_lo
; %bb.1214:
	s_or_saveexec_b32 s10, s10
	v_dual_mov_b32 v5, s1 :: v_dual_mov_b32 v4, s0
	s_xor_b32 exec_lo, exec_lo, s10
; %bb.1215:
	v_cmp_ne_u16_e32 vcc_lo, 0, v7
	v_mov_b32_e32 v4, 0
	v_mov_b32_e32 v5, 0
	s_and_not1_b32 s0, s3, exec_lo
	s_and_b32 s1, vcc_lo, exec_lo
	s_delay_alu instid0(SALU_CYCLE_1)
	s_or_b32 s3, s0, s1
; %bb.1216:
	s_or_b32 exec_lo, exec_lo, s10
	s_and_saveexec_b32 s0, s3
	s_cbranch_execz .LBB449_1218
; %bb.1217:
	v_and_b32_e32 v4, 0xffff, v7
	v_lshlrev_b32_e32 v7, 24, v7
	s_delay_alu instid0(VALU_DEP_2) | instskip(NEXT) | instid1(VALU_DEP_2)
	v_and_b32_e32 v5, 3, v4
	v_and_b32_e32 v7, 0x80000000, v7
	s_delay_alu instid0(VALU_DEP_2) | instskip(NEXT) | instid1(VALU_DEP_1)
	v_clz_i32_u32_e32 v9, v5
	v_min_u32_e32 v9, 32, v9
	s_delay_alu instid0(VALU_DEP_1) | instskip(SKIP_1) | instid1(VALU_DEP_2)
	v_subrev_nc_u32_e32 v13, 29, v9
	v_sub_nc_u32_e32 v9, 30, v9
	v_lshlrev_b32_e32 v13, v13, v4
	v_bfe_u32 v4, v4, 2, 5
	s_delay_alu instid0(VALU_DEP_2) | instskip(NEXT) | instid1(VALU_DEP_2)
	v_and_b32_e32 v13, 3, v13
	v_cmp_eq_u32_e32 vcc_lo, 0, v4
	v_cndmask_b32_e32 v4, v4, v9, vcc_lo
	s_delay_alu instid0(VALU_DEP_3) | instskip(NEXT) | instid1(VALU_DEP_2)
	v_cndmask_b32_e32 v5, v5, v13, vcc_lo
	v_lshl_add_u32 v4, v4, 23, 0x37800000
	s_delay_alu instid0(VALU_DEP_2) | instskip(NEXT) | instid1(VALU_DEP_1)
	v_lshlrev_b32_e32 v5, 21, v5
	v_or3_b32 v4, v7, v4, v5
	s_delay_alu instid0(VALU_DEP_1) | instskip(NEXT) | instid1(VALU_DEP_1)
	v_trunc_f32_e32 v4, v4
	v_mul_f32_e64 v5, 0x2f800000, |v4|
	v_ashrrev_i32_e32 v9, 31, v4
	s_delay_alu instid0(VALU_DEP_2) | instskip(NEXT) | instid1(VALU_DEP_1)
	v_floor_f32_e32 v5, v5
	v_fma_f32 v7, 0xcf800000, v5, |v4|
	v_cvt_u32_f32_e32 v5, v5
	s_delay_alu instid0(VALU_DEP_2) | instskip(NEXT) | instid1(VALU_DEP_2)
	v_cvt_u32_f32_e32 v4, v7
	v_xor_b32_e32 v5, v5, v9
	s_delay_alu instid0(VALU_DEP_2) | instskip(NEXT) | instid1(VALU_DEP_1)
	v_xor_b32_e32 v4, v4, v9
	v_sub_co_u32 v4, vcc_lo, v4, v9
	s_delay_alu instid0(VALU_DEP_3)
	v_sub_co_ci_u32_e32 v5, vcc_lo, v5, v9, vcc_lo
.LBB449_1218:
	s_or_b32 exec_lo, exec_lo, s0
	s_mov_b32 s0, 0
	s_branch .LBB449_1222
.LBB449_1219:
                                        ; implicit-def: $vgpr4_vgpr5
	s_mov_b32 s3, 0
	s_branch .LBB449_1228
.LBB449_1220:
	s_mov_b32 s0, -1
                                        ; implicit-def: $vgpr4_vgpr5
	s_branch .LBB449_1225
.LBB449_1221:
	s_mov_b32 s0, -1
                                        ; implicit-def: $vgpr4_vgpr5
.LBB449_1222:
	s_delay_alu instid0(SALU_CYCLE_1)
	s_and_b32 vcc_lo, exec_lo, s0
	s_cbranch_vccz .LBB449_1224
; %bb.1223:
	global_load_u8 v4, v[11:12], off
	s_waitcnt vmcnt(0)
	v_lshlrev_b32_e32 v4, 24, v4
	s_delay_alu instid0(VALU_DEP_1) | instskip(NEXT) | instid1(VALU_DEP_1)
	v_and_b32_e32 v5, 0x7f000000, v4
	v_clz_i32_u32_e32 v7, v5
	v_add_nc_u32_e32 v13, 0x1000000, v5
	v_cmp_ne_u32_e32 vcc_lo, 0, v5
	s_delay_alu instid0(VALU_DEP_3) | instskip(NEXT) | instid1(VALU_DEP_1)
	v_min_u32_e32 v7, 32, v7
	v_sub_nc_u32_e64 v7, v7, 4 clamp
	s_delay_alu instid0(VALU_DEP_1) | instskip(SKIP_1) | instid1(VALU_DEP_2)
	v_lshlrev_b32_e32 v9, v7, v5
	v_lshlrev_b32_e32 v7, 23, v7
	v_lshrrev_b32_e32 v9, 4, v9
	s_delay_alu instid0(VALU_DEP_1) | instskip(SKIP_1) | instid1(VALU_DEP_2)
	v_sub_nc_u32_e32 v7, v9, v7
	v_ashrrev_i32_e32 v9, 8, v13
	v_add_nc_u32_e32 v7, 0x3c000000, v7
	s_delay_alu instid0(VALU_DEP_1) | instskip(NEXT) | instid1(VALU_DEP_1)
	v_and_or_b32 v7, 0x7f800000, v9, v7
	v_cndmask_b32_e32 v5, 0, v7, vcc_lo
	s_delay_alu instid0(VALU_DEP_1) | instskip(NEXT) | instid1(VALU_DEP_1)
	v_and_or_b32 v4, 0x80000000, v4, v5
	v_trunc_f32_e32 v4, v4
	s_delay_alu instid0(VALU_DEP_1) | instskip(SKIP_1) | instid1(VALU_DEP_2)
	v_mul_f32_e64 v5, 0x2f800000, |v4|
	v_ashrrev_i32_e32 v9, 31, v4
	v_floor_f32_e32 v5, v5
	s_delay_alu instid0(VALU_DEP_1) | instskip(SKIP_1) | instid1(VALU_DEP_2)
	v_fma_f32 v7, 0xcf800000, v5, |v4|
	v_cvt_u32_f32_e32 v5, v5
	v_cvt_u32_f32_e32 v4, v7
	s_delay_alu instid0(VALU_DEP_2) | instskip(NEXT) | instid1(VALU_DEP_2)
	v_xor_b32_e32 v5, v5, v9
	v_xor_b32_e32 v4, v4, v9
	s_delay_alu instid0(VALU_DEP_1) | instskip(NEXT) | instid1(VALU_DEP_3)
	v_sub_co_u32 v4, vcc_lo, v4, v9
	v_sub_co_ci_u32_e32 v5, vcc_lo, v5, v9, vcc_lo
.LBB449_1224:
	s_mov_b32 s0, 0
.LBB449_1225:
	s_delay_alu instid0(SALU_CYCLE_1)
	s_and_not1_b32 vcc_lo, exec_lo, s0
	s_cbranch_vccnz .LBB449_1227
; %bb.1226:
	global_load_u8 v4, v[11:12], off
	s_waitcnt vmcnt(0)
	v_lshlrev_b32_e32 v5, 25, v4
	v_lshlrev_b16 v4, 8, v4
	s_delay_alu instid0(VALU_DEP_2) | instskip(NEXT) | instid1(VALU_DEP_2)
	v_lshrrev_b32_e32 v7, 4, v5
	v_and_or_b32 v9, 0x7f00, v4, 0.5
	v_cmp_gt_u32_e32 vcc_lo, 0x8000000, v5
	v_bfe_i32 v4, v4, 0, 16
	s_delay_alu instid0(VALU_DEP_4) | instskip(NEXT) | instid1(VALU_DEP_4)
	v_or_b32_e32 v7, 0x70000000, v7
	v_add_f32_e32 v9, -0.5, v9
	s_delay_alu instid0(VALU_DEP_2) | instskip(NEXT) | instid1(VALU_DEP_1)
	v_mul_f32_e32 v7, 0x7800000, v7
	v_cndmask_b32_e32 v5, v7, v9, vcc_lo
	s_delay_alu instid0(VALU_DEP_1) | instskip(NEXT) | instid1(VALU_DEP_1)
	v_and_or_b32 v4, 0x80000000, v4, v5
	v_trunc_f32_e32 v4, v4
	s_delay_alu instid0(VALU_DEP_1) | instskip(SKIP_1) | instid1(VALU_DEP_2)
	v_mul_f32_e64 v5, 0x2f800000, |v4|
	v_ashrrev_i32_e32 v9, 31, v4
	v_floor_f32_e32 v5, v5
	s_delay_alu instid0(VALU_DEP_1) | instskip(SKIP_1) | instid1(VALU_DEP_2)
	v_fma_f32 v7, 0xcf800000, v5, |v4|
	v_cvt_u32_f32_e32 v5, v5
	v_cvt_u32_f32_e32 v4, v7
	s_delay_alu instid0(VALU_DEP_2) | instskip(NEXT) | instid1(VALU_DEP_2)
	v_xor_b32_e32 v5, v5, v9
	v_xor_b32_e32 v4, v4, v9
	s_delay_alu instid0(VALU_DEP_1) | instskip(NEXT) | instid1(VALU_DEP_3)
	v_sub_co_u32 v4, vcc_lo, v4, v9
	v_sub_co_ci_u32_e32 v5, vcc_lo, v5, v9, vcc_lo
.LBB449_1227:
	s_mov_b32 s0, -1
	s_mov_b32 s3, 0
	s_cbranch_execnz .LBB449_1236
.LBB449_1228:
	v_cmp_lt_i16_e32 vcc_lo, 14, v14
	s_cbranch_vccz .LBB449_1231
; %bb.1229:
	v_cmp_eq_u16_e32 vcc_lo, 15, v14
	s_cbranch_vccz .LBB449_1232
; %bb.1230:
	global_load_u16 v4, v[11:12], off
	s_mov_b32 s2, 0
	s_mov_b32 s0, -1
	s_waitcnt vmcnt(0)
	v_lshlrev_b32_e32 v4, 16, v4
	s_delay_alu instid0(VALU_DEP_1) | instskip(NEXT) | instid1(VALU_DEP_1)
	v_trunc_f32_e32 v4, v4
	v_mul_f32_e64 v5, 0x2f800000, |v4|
	v_ashrrev_i32_e32 v9, 31, v4
	s_delay_alu instid0(VALU_DEP_2) | instskip(NEXT) | instid1(VALU_DEP_1)
	v_floor_f32_e32 v5, v5
	v_fma_f32 v7, 0xcf800000, v5, |v4|
	v_cvt_u32_f32_e32 v5, v5
	s_delay_alu instid0(VALU_DEP_2) | instskip(NEXT) | instid1(VALU_DEP_2)
	v_cvt_u32_f32_e32 v4, v7
	v_xor_b32_e32 v5, v5, v9
	s_delay_alu instid0(VALU_DEP_2) | instskip(NEXT) | instid1(VALU_DEP_1)
	v_xor_b32_e32 v4, v4, v9
	v_sub_co_u32 v4, vcc_lo, v4, v9
	s_delay_alu instid0(VALU_DEP_3)
	v_sub_co_ci_u32_e32 v5, vcc_lo, v5, v9, vcc_lo
	s_branch .LBB449_1233
.LBB449_1231:
	s_mov_b32 s1, -1
                                        ; implicit-def: $vgpr4_vgpr5
	s_branch .LBB449_1234
.LBB449_1232:
	s_mov_b32 s2, -1
                                        ; implicit-def: $vgpr4_vgpr5
.LBB449_1233:
	s_mov_b32 s1, 0
.LBB449_1234:
	s_delay_alu instid0(SALU_CYCLE_1)
	s_and_b32 vcc_lo, exec_lo, s1
	s_cbranch_vccz .LBB449_1236
; %bb.1235:
	v_cmp_ne_u16_e64 s2, 11, v14
	s_mov_b32 s3, -1
                                        ; implicit-def: $vgpr4_vgpr5
.LBB449_1236:
	s_delay_alu instid0(VALU_DEP_1)
	s_and_b32 vcc_lo, exec_lo, s2
	s_mov_b32 s10, s8
	s_cbranch_vccnz .LBB449_1260
; %bb.1237:
	s_and_not1_b32 vcc_lo, exec_lo, s3
	s_cbranch_vccnz .LBB449_1239
.LBB449_1238:
	global_load_u8 v4, v[11:12], off
	s_mov_b32 s0, 0
	s_waitcnt vmcnt(1)
	v_mov_b32_e32 v5, s0
	s_mov_b32 s0, -1
	s_waitcnt vmcnt(0)
	v_cmp_ne_u16_e32 vcc_lo, 0, v4
	v_cndmask_b32_e64 v4, 0, 1, vcc_lo
.LBB449_1239:
.LBB449_1240:
	s_and_not1_b32 vcc_lo, exec_lo, s0
	s_cbranch_vccnz .LBB449_2020
.LBB449_1241:
	v_cmp_gt_i16_e32 vcc_lo, 11, v14
	v_add_co_u32 v11, s0, s6, v6
	s_delay_alu instid0(VALU_DEP_1)
	v_add_co_ci_u32_e64 v12, null, s7, 0, s0
	s_mov_b32 s0, 0
	s_cbranch_vccnz .LBB449_1248
; %bb.1242:
	v_cmp_lt_i16_e32 vcc_lo, 25, v14
	s_mov_b32 s3, 0
	s_cbranch_vccz .LBB449_1254
; %bb.1243:
	v_cmp_lt_i16_e32 vcc_lo, 28, v14
	s_cbranch_vccz .LBB449_1256
; %bb.1244:
	v_cmp_lt_i16_e32 vcc_lo, 43, v14
	;; [unrolled: 3-line block ×3, first 2 shown]
	s_cbranch_vccz .LBB449_1264
; %bb.1246:
	v_cmp_eq_u16_e32 vcc_lo, 46, v14
	s_mov_b32 s1, 0
	s_cbranch_vccz .LBB449_1308
; %bb.1247:
	global_load_b32 v6, v[11:12], off
	s_mov_b32 s2, 0
	s_mov_b32 s0, -1
	s_waitcnt vmcnt(0)
	v_lshlrev_b32_e32 v6, 16, v6
	s_delay_alu instid0(VALU_DEP_1) | instskip(NEXT) | instid1(VALU_DEP_1)
	v_trunc_f32_e32 v6, v6
	v_mul_f32_e64 v7, 0x2f800000, |v6|
	v_ashrrev_i32_e32 v13, 31, v6
	s_delay_alu instid0(VALU_DEP_2) | instskip(NEXT) | instid1(VALU_DEP_1)
	v_floor_f32_e32 v7, v7
	v_fma_f32 v9, 0xcf800000, v7, |v6|
	v_cvt_u32_f32_e32 v7, v7
	s_delay_alu instid0(VALU_DEP_2) | instskip(NEXT) | instid1(VALU_DEP_2)
	v_cvt_u32_f32_e32 v6, v9
	v_xor_b32_e32 v7, v7, v13
	s_delay_alu instid0(VALU_DEP_2) | instskip(NEXT) | instid1(VALU_DEP_1)
	v_xor_b32_e32 v6, v6, v13
	v_sub_co_u32 v6, vcc_lo, v6, v13
	s_delay_alu instid0(VALU_DEP_3)
	v_sub_co_ci_u32_e32 v7, vcc_lo, v7, v13, vcc_lo
	s_branch .LBB449_1310
.LBB449_1248:
                                        ; implicit-def: $vgpr6_vgpr7
	s_cbranch_execz .LBB449_1371
; %bb.1249:
	v_cmp_gt_i16_e32 vcc_lo, 5, v14
	s_cbranch_vccnz .LBB449_1255
; %bb.1250:
	v_cmp_gt_i16_e32 vcc_lo, 8, v14
	s_cbranch_vccnz .LBB449_1257
	;; [unrolled: 3-line block ×3, first 2 shown]
; %bb.1252:
	v_cmp_lt_i16_e32 vcc_lo, 9, v14
	s_cbranch_vccz .LBB449_1265
; %bb.1253:
	global_load_b64 v[6:7], v[11:12], off
	s_mov_b32 s0, 0
	s_waitcnt vmcnt(0)
	v_trunc_f64_e32 v[6:7], v[6:7]
	s_delay_alu instid0(VALU_DEP_1) | instskip(NEXT) | instid1(VALU_DEP_1)
	v_ldexp_f64 v[15:16], v[6:7], 0xffffffe0
	v_floor_f64_e32 v[15:16], v[15:16]
	s_delay_alu instid0(VALU_DEP_1) | instskip(SKIP_1) | instid1(VALU_DEP_2)
	v_fma_f64 v[17:18], 0xc1f00000, v[15:16], v[6:7]
	v_cvt_i32_f64_e32 v7, v[15:16]
	v_cvt_u32_f64_e32 v6, v[17:18]
	s_branch .LBB449_1266
.LBB449_1254:
	s_mov_b32 s2, 0
                                        ; implicit-def: $vgpr6_vgpr7
	s_cbranch_execnz .LBB449_1339
	s_branch .LBB449_1367
.LBB449_1255:
                                        ; implicit-def: $vgpr6_vgpr7
	s_branch .LBB449_1284
.LBB449_1256:
	s_mov_b32 s1, -1
	s_mov_b32 s2, 0
                                        ; implicit-def: $vgpr6_vgpr7
	s_branch .LBB449_1320
.LBB449_1257:
	s_mov_b32 s0, -1
                                        ; implicit-def: $vgpr6_vgpr7
	s_branch .LBB449_1272
.LBB449_1258:
	s_mov_b32 s1, -1
	s_mov_b32 s2, 0
                                        ; implicit-def: $vgpr6_vgpr7
	s_branch .LBB449_1315
.LBB449_1259:
	s_mov_b32 s0, -1
                                        ; implicit-def: $vgpr6_vgpr7
	s_branch .LBB449_1269
.LBB449_1260:
	s_cbranch_execnz .LBB449_1304
; %bb.1261:
	s_or_b32 s10, s8, exec_lo
                                        ; implicit-def: $vgpr4_vgpr5
	s_cbranch_execz .LBB449_1238
	s_branch .LBB449_1239
.LBB449_1262:
	s_or_saveexec_b32 s7, s7
                                        ; implicit-def: $sgpr8
	s_delay_alu instid0(SALU_CYCLE_1)
	s_xor_b32 exec_lo, exec_lo, s7
	s_cbranch_execz .LBB449_975
.LBB449_1263:
	v_add_f32_e64 v5, 0x46000000, |v0|
	s_and_not1_b32 s5, s5, exec_lo
	s_mov_b32 s8, 0
	s_delay_alu instid0(VALU_DEP_1) | instskip(NEXT) | instid1(VALU_DEP_1)
	v_and_b32_e32 v5, 0xff, v5
	v_cmp_ne_u32_e32 vcc_lo, 0, v5
	s_and_b32 s9, vcc_lo, exec_lo
	s_delay_alu instid0(SALU_CYCLE_1)
	s_or_b32 s5, s5, s9
	s_or_b32 exec_lo, exec_lo, s7
	v_mov_b32_e32 v6, s8
	s_and_saveexec_b32 s7, s5
	s_cbranch_execnz .LBB449_976
	s_branch .LBB449_977
.LBB449_1264:
	s_mov_b32 s1, -1
	s_mov_b32 s2, 0
	s_branch .LBB449_1309
.LBB449_1265:
	s_mov_b32 s0, -1
                                        ; implicit-def: $vgpr6_vgpr7
.LBB449_1266:
	s_delay_alu instid0(SALU_CYCLE_1)
	s_and_not1_b32 vcc_lo, exec_lo, s0
	s_cbranch_vccnz .LBB449_1268
; %bb.1267:
	global_load_b32 v6, v[11:12], off
	s_waitcnt vmcnt(0)
	v_trunc_f32_e32 v6, v6
	s_delay_alu instid0(VALU_DEP_1) | instskip(SKIP_1) | instid1(VALU_DEP_2)
	v_mul_f32_e64 v7, 0x2f800000, |v6|
	v_ashrrev_i32_e32 v13, 31, v6
	v_floor_f32_e32 v7, v7
	s_delay_alu instid0(VALU_DEP_1) | instskip(SKIP_1) | instid1(VALU_DEP_2)
	v_fma_f32 v9, 0xcf800000, v7, |v6|
	v_cvt_u32_f32_e32 v7, v7
	v_cvt_u32_f32_e32 v6, v9
	s_delay_alu instid0(VALU_DEP_2) | instskip(NEXT) | instid1(VALU_DEP_2)
	v_xor_b32_e32 v7, v7, v13
	v_xor_b32_e32 v6, v6, v13
	s_delay_alu instid0(VALU_DEP_1) | instskip(NEXT) | instid1(VALU_DEP_3)
	v_sub_co_u32 v6, vcc_lo, v6, v13
	v_sub_co_ci_u32_e32 v7, vcc_lo, v7, v13, vcc_lo
.LBB449_1268:
	s_mov_b32 s0, 0
.LBB449_1269:
	s_delay_alu instid0(SALU_CYCLE_1)
	s_and_not1_b32 vcc_lo, exec_lo, s0
	s_cbranch_vccnz .LBB449_1271
; %bb.1270:
	global_load_b32 v6, v[11:12], off
	s_waitcnt vmcnt(0)
	v_cvt_f32_f16_e32 v6, v6
	s_delay_alu instid0(VALU_DEP_1) | instskip(NEXT) | instid1(VALU_DEP_1)
	v_cvt_i32_f32_e32 v6, v6
	v_ashrrev_i32_e32 v7, 31, v6
.LBB449_1271:
	s_mov_b32 s0, 0
.LBB449_1272:
	s_delay_alu instid0(SALU_CYCLE_1)
	s_and_not1_b32 vcc_lo, exec_lo, s0
	s_cbranch_vccnz .LBB449_1283
; %bb.1273:
	v_cmp_gt_i16_e32 vcc_lo, 6, v14
	s_cbranch_vccnz .LBB449_1276
; %bb.1274:
	v_cmp_lt_i16_e32 vcc_lo, 6, v14
	s_cbranch_vccz .LBB449_1277
; %bb.1275:
	global_load_b64 v[6:7], v[11:12], off
	s_mov_b32 s0, 0
	s_waitcnt vmcnt(0)
	v_trunc_f64_e32 v[6:7], v[6:7]
	s_delay_alu instid0(VALU_DEP_1) | instskip(NEXT) | instid1(VALU_DEP_1)
	v_ldexp_f64 v[15:16], v[6:7], 0xffffffe0
	v_floor_f64_e32 v[15:16], v[15:16]
	s_delay_alu instid0(VALU_DEP_1) | instskip(SKIP_1) | instid1(VALU_DEP_2)
	v_fma_f64 v[17:18], 0xc1f00000, v[15:16], v[6:7]
	v_cvt_i32_f64_e32 v7, v[15:16]
	v_cvt_u32_f64_e32 v6, v[17:18]
	s_branch .LBB449_1278
.LBB449_1276:
	s_mov_b32 s0, -1
                                        ; implicit-def: $vgpr6_vgpr7
	s_branch .LBB449_1281
.LBB449_1277:
	s_mov_b32 s0, -1
                                        ; implicit-def: $vgpr6_vgpr7
.LBB449_1278:
	s_delay_alu instid0(SALU_CYCLE_1)
	s_and_not1_b32 vcc_lo, exec_lo, s0
	s_cbranch_vccnz .LBB449_1280
; %bb.1279:
	global_load_b32 v6, v[11:12], off
	s_waitcnt vmcnt(0)
	v_trunc_f32_e32 v6, v6
	s_delay_alu instid0(VALU_DEP_1) | instskip(SKIP_1) | instid1(VALU_DEP_2)
	v_mul_f32_e64 v7, 0x2f800000, |v6|
	v_ashrrev_i32_e32 v13, 31, v6
	v_floor_f32_e32 v7, v7
	s_delay_alu instid0(VALU_DEP_1) | instskip(SKIP_1) | instid1(VALU_DEP_2)
	v_fma_f32 v9, 0xcf800000, v7, |v6|
	v_cvt_u32_f32_e32 v7, v7
	v_cvt_u32_f32_e32 v6, v9
	s_delay_alu instid0(VALU_DEP_2) | instskip(NEXT) | instid1(VALU_DEP_2)
	v_xor_b32_e32 v7, v7, v13
	v_xor_b32_e32 v6, v6, v13
	s_delay_alu instid0(VALU_DEP_1) | instskip(NEXT) | instid1(VALU_DEP_3)
	v_sub_co_u32 v6, vcc_lo, v6, v13
	v_sub_co_ci_u32_e32 v7, vcc_lo, v7, v13, vcc_lo
.LBB449_1280:
	s_mov_b32 s0, 0
.LBB449_1281:
	s_delay_alu instid0(SALU_CYCLE_1)
	s_and_not1_b32 vcc_lo, exec_lo, s0
	s_cbranch_vccnz .LBB449_1283
; %bb.1282:
	global_load_u16 v6, v[11:12], off
	s_waitcnt vmcnt(0)
	v_cvt_f32_f16_e32 v6, v6
	s_delay_alu instid0(VALU_DEP_1) | instskip(NEXT) | instid1(VALU_DEP_1)
	v_cvt_i32_f32_e32 v6, v6
	v_ashrrev_i32_e32 v7, 31, v6
.LBB449_1283:
	s_cbranch_execnz .LBB449_1303
.LBB449_1284:
	v_cmp_gt_i16_e32 vcc_lo, 2, v14
	s_cbranch_vccnz .LBB449_1288
; %bb.1285:
	v_cmp_gt_i16_e32 vcc_lo, 3, v14
	s_cbranch_vccnz .LBB449_1289
; %bb.1286:
	v_cmp_lt_i16_e32 vcc_lo, 3, v14
	s_cbranch_vccz .LBB449_1290
; %bb.1287:
	global_load_b64 v[6:7], v[11:12], off
	s_mov_b32 s0, 0
	s_branch .LBB449_1291
.LBB449_1288:
	s_mov_b32 s0, -1
                                        ; implicit-def: $vgpr6_vgpr7
	s_branch .LBB449_1297
.LBB449_1289:
	s_mov_b32 s0, -1
                                        ; implicit-def: $vgpr6_vgpr7
	s_branch .LBB449_1294
.LBB449_1290:
	s_mov_b32 s0, -1
                                        ; implicit-def: $vgpr6_vgpr7
.LBB449_1291:
	s_delay_alu instid0(SALU_CYCLE_1)
	s_and_not1_b32 vcc_lo, exec_lo, s0
	s_cbranch_vccnz .LBB449_1293
; %bb.1292:
	global_load_b32 v6, v[11:12], off
	s_waitcnt vmcnt(0)
	v_ashrrev_i32_e32 v7, 31, v6
.LBB449_1293:
	s_mov_b32 s0, 0
.LBB449_1294:
	s_delay_alu instid0(SALU_CYCLE_1)
	s_and_not1_b32 vcc_lo, exec_lo, s0
	s_cbranch_vccnz .LBB449_1296
; %bb.1295:
	global_load_u16 v6, v[11:12], off
	s_waitcnt vmcnt(0)
	v_bfe_i32 v6, v6, 0, 16
	s_delay_alu instid0(VALU_DEP_1)
	v_ashrrev_i32_e32 v7, 31, v6
.LBB449_1296:
	s_mov_b32 s0, 0
.LBB449_1297:
	s_delay_alu instid0(SALU_CYCLE_1)
	s_and_not1_b32 vcc_lo, exec_lo, s0
	s_cbranch_vccnz .LBB449_1303
; %bb.1298:
	v_cmp_lt_i16_e32 vcc_lo, 0, v14
	s_mov_b32 s0, 0
	s_cbranch_vccz .LBB449_1300
; %bb.1299:
	global_load_i8 v6, v[11:12], off
	s_waitcnt vmcnt(0)
	v_bfe_i32 v6, v6, 0, 16
	s_delay_alu instid0(VALU_DEP_1)
	v_ashrrev_i32_e32 v7, 31, v6
	s_branch .LBB449_1301
.LBB449_1300:
	s_mov_b32 s0, -1
                                        ; implicit-def: $vgpr6_vgpr7
.LBB449_1301:
	s_delay_alu instid0(SALU_CYCLE_1)
	s_and_not1_b32 vcc_lo, exec_lo, s0
	s_cbranch_vccnz .LBB449_1303
; %bb.1302:
	global_load_u8 v6, v[11:12], off
	s_mov_b32 s0, 0
	s_waitcnt vmcnt(0)
	v_dual_mov_b32 v7, s0 :: v_dual_and_b32 v6, 0xffff, v6
.LBB449_1303:
	s_branch .LBB449_1372
.LBB449_1304:
	s_trap 2
	s_sendmsg_rtn_b32 s0, sendmsg(MSG_RTN_GET_DOORBELL)
	s_mov_b32 ttmp2, m0
	s_waitcnt lgkmcnt(0)
	s_and_b32 s0, s0, 0x3ff
	s_delay_alu instid0(SALU_CYCLE_1) | instskip(NEXT) | instid1(SALU_CYCLE_1)
	s_bitset1_b32 s0, 10
	s_mov_b32 m0, s0
	s_sendmsg sendmsg(MSG_INTERRUPT)
	s_mov_b32 m0, ttmp2
.LBB449_1305:                           ; =>This Inner Loop Header: Depth=1
	s_sethalt 5
	s_branch .LBB449_1305
.LBB449_1306:
	s_or_saveexec_b32 s8, s8
                                        ; implicit-def: $sgpr9
	s_delay_alu instid0(SALU_CYCLE_1)
	s_xor_b32 exec_lo, exec_lo, s8
	s_cbranch_execz .LBB449_987
.LBB449_1307:
	v_add_f32_e64 v5, 0x42800000, |v0|
	s_and_not1_b32 s7, s7, exec_lo
	s_mov_b32 s9, 0
	s_delay_alu instid0(VALU_DEP_1) | instskip(NEXT) | instid1(VALU_DEP_1)
	v_and_b32_e32 v5, 0xff, v5
	v_cmp_ne_u32_e32 vcc_lo, 0, v5
	s_and_b32 s10, vcc_lo, exec_lo
	s_delay_alu instid0(SALU_CYCLE_1)
	s_or_b32 s7, s7, s10
	s_or_b32 exec_lo, exec_lo, s8
	v_mov_b32_e32 v6, s9
	s_and_saveexec_b32 s8, s7
	s_cbranch_execnz .LBB449_988
	s_branch .LBB449_989
.LBB449_1308:
	s_mov_b32 s2, -1
.LBB449_1309:
                                        ; implicit-def: $vgpr6_vgpr7
.LBB449_1310:
	s_and_b32 vcc_lo, exec_lo, s1
	s_cbranch_vccz .LBB449_1314
; %bb.1311:
	v_cmp_eq_u16_e32 vcc_lo, 44, v14
	s_cbranch_vccz .LBB449_1313
; %bb.1312:
	global_load_u8 v6, v[11:12], off
	s_mov_b32 s2, 0
	s_mov_b32 s0, -1
	s_waitcnt vmcnt(0)
	v_lshlrev_b32_e32 v7, 23, v6
	s_delay_alu instid0(VALU_DEP_1) | instskip(NEXT) | instid1(VALU_DEP_1)
	v_trunc_f32_e32 v7, v7
	v_mul_f32_e64 v9, 0x2f800000, |v7|
	s_delay_alu instid0(VALU_DEP_1) | instskip(NEXT) | instid1(VALU_DEP_1)
	v_floor_f32_e32 v9, v9
	v_fma_f32 v13, 0xcf800000, v9, |v7|
	v_ashrrev_i32_e32 v7, 31, v7
	v_cvt_u32_f32_e32 v9, v9
	s_delay_alu instid0(VALU_DEP_3) | instskip(NEXT) | instid1(VALU_DEP_2)
	v_cvt_u32_f32_e32 v13, v13
	v_xor_b32_e32 v9, v9, v7
	s_delay_alu instid0(VALU_DEP_2) | instskip(NEXT) | instid1(VALU_DEP_1)
	v_xor_b32_e32 v13, v13, v7
	v_sub_co_u32 v13, vcc_lo, v13, v7
	s_delay_alu instid0(VALU_DEP_3) | instskip(SKIP_1) | instid1(VALU_DEP_2)
	v_sub_co_ci_u32_e32 v7, vcc_lo, v9, v7, vcc_lo
	v_cmp_ne_u32_e32 vcc_lo, 0, v6
	v_dual_cndmask_b32 v6, 0, v13 :: v_dual_cndmask_b32 v7, 0, v7
	s_branch .LBB449_1314
.LBB449_1313:
	s_mov_b32 s2, -1
                                        ; implicit-def: $vgpr6_vgpr7
.LBB449_1314:
	s_mov_b32 s1, 0
.LBB449_1315:
	s_delay_alu instid0(SALU_CYCLE_1)
	s_and_b32 vcc_lo, exec_lo, s1
	s_cbranch_vccz .LBB449_1319
; %bb.1316:
	v_cmp_eq_u16_e32 vcc_lo, 29, v14
	s_cbranch_vccz .LBB449_1318
; %bb.1317:
	global_load_b64 v[6:7], v[11:12], off
	s_mov_b32 s2, 0
	s_mov_b32 s0, -1
	s_branch .LBB449_1319
.LBB449_1318:
	s_mov_b32 s2, -1
                                        ; implicit-def: $vgpr6_vgpr7
.LBB449_1319:
	s_mov_b32 s1, 0
.LBB449_1320:
	s_delay_alu instid0(SALU_CYCLE_1)
	s_and_b32 vcc_lo, exec_lo, s1
	s_cbranch_vccz .LBB449_1338
; %bb.1321:
	v_cmp_gt_i16_e32 vcc_lo, 27, v14
	s_cbranch_vccnz .LBB449_1324
; %bb.1322:
	v_cmp_lt_i16_e32 vcc_lo, 27, v14
	s_cbranch_vccz .LBB449_1325
; %bb.1323:
	global_load_b32 v6, v[11:12], off
	s_waitcnt vmcnt(1)
	v_mov_b32_e32 v7, 0
	s_mov_b32 s0, 0
	s_branch .LBB449_1326
.LBB449_1324:
	s_mov_b32 s0, -1
                                        ; implicit-def: $vgpr6_vgpr7
	s_branch .LBB449_1329
.LBB449_1325:
	s_mov_b32 s0, -1
                                        ; implicit-def: $vgpr6_vgpr7
.LBB449_1326:
	s_delay_alu instid0(SALU_CYCLE_1)
	s_and_not1_b32 vcc_lo, exec_lo, s0
	s_cbranch_vccnz .LBB449_1328
; %bb.1327:
	global_load_u16 v6, v[11:12], off
	s_mov_b32 s0, 0
	s_waitcnt vmcnt(0)
	v_dual_mov_b32 v7, s0 :: v_dual_and_b32 v6, 0xffff, v6
.LBB449_1328:
	s_mov_b32 s0, 0
.LBB449_1329:
	s_delay_alu instid0(SALU_CYCLE_1)
	s_and_not1_b32 vcc_lo, exec_lo, s0
	s_cbranch_vccnz .LBB449_1337
; %bb.1330:
	global_load_u8 v9, v[11:12], off
	s_mov_b32 s11, 0
	s_mov_b32 s12, exec_lo
                                        ; implicit-def: $sgpr0_sgpr1
	s_waitcnt vmcnt(0)
	v_cmpx_lt_i16_e32 0x7f, v9
	s_xor_b32 s12, exec_lo, s12
; %bb.1331:
	v_cmp_ne_u16_e32 vcc_lo, 0x80, v9
	s_mov_b64 s[0:1], 0
	s_and_b32 s11, vcc_lo, exec_lo
; %bb.1332:
	s_or_saveexec_b32 s12, s12
	v_dual_mov_b32 v7, s1 :: v_dual_mov_b32 v6, s0
	s_xor_b32 exec_lo, exec_lo, s12
; %bb.1333:
	v_cmp_ne_u16_e32 vcc_lo, 0, v9
	v_mov_b32_e32 v6, 0
	v_mov_b32_e32 v7, 0
	s_and_not1_b32 s0, s11, exec_lo
	s_and_b32 s1, vcc_lo, exec_lo
	s_delay_alu instid0(SALU_CYCLE_1)
	s_or_b32 s11, s0, s1
; %bb.1334:
	s_or_b32 exec_lo, exec_lo, s12
	s_and_saveexec_b32 s0, s11
	s_cbranch_execz .LBB449_1336
; %bb.1335:
	v_and_b32_e32 v6, 0xffff, v9
	v_lshlrev_b32_e32 v9, 24, v9
	s_delay_alu instid0(VALU_DEP_2) | instskip(NEXT) | instid1(VALU_DEP_2)
	v_and_b32_e32 v7, 7, v6
	v_and_b32_e32 v9, 0x80000000, v9
	s_delay_alu instid0(VALU_DEP_2) | instskip(NEXT) | instid1(VALU_DEP_1)
	v_clz_i32_u32_e32 v13, v7
	v_min_u32_e32 v13, 32, v13
	s_delay_alu instid0(VALU_DEP_1) | instskip(SKIP_1) | instid1(VALU_DEP_2)
	v_subrev_nc_u32_e32 v15, 28, v13
	v_sub_nc_u32_e32 v13, 29, v13
	v_lshlrev_b32_e32 v15, v15, v6
	v_bfe_u32 v6, v6, 3, 4
	s_delay_alu instid0(VALU_DEP_2) | instskip(NEXT) | instid1(VALU_DEP_2)
	v_and_b32_e32 v15, 7, v15
	v_cmp_eq_u32_e32 vcc_lo, 0, v6
	s_delay_alu instid0(VALU_DEP_2) | instskip(NEXT) | instid1(VALU_DEP_1)
	v_dual_cndmask_b32 v6, v6, v13 :: v_dual_cndmask_b32 v7, v7, v15
	v_lshl_add_u32 v6, v6, 23, 0x3b800000
	s_delay_alu instid0(VALU_DEP_2) | instskip(NEXT) | instid1(VALU_DEP_1)
	v_lshlrev_b32_e32 v7, 20, v7
	v_or3_b32 v6, v9, v6, v7
	s_delay_alu instid0(VALU_DEP_1) | instskip(NEXT) | instid1(VALU_DEP_1)
	v_trunc_f32_e32 v6, v6
	v_mul_f32_e64 v7, 0x2f800000, |v6|
	v_ashrrev_i32_e32 v13, 31, v6
	s_delay_alu instid0(VALU_DEP_2) | instskip(NEXT) | instid1(VALU_DEP_1)
	v_floor_f32_e32 v7, v7
	v_fma_f32 v9, 0xcf800000, v7, |v6|
	v_cvt_u32_f32_e32 v7, v7
	s_delay_alu instid0(VALU_DEP_2) | instskip(NEXT) | instid1(VALU_DEP_2)
	v_cvt_u32_f32_e32 v6, v9
	v_xor_b32_e32 v7, v7, v13
	s_delay_alu instid0(VALU_DEP_2) | instskip(NEXT) | instid1(VALU_DEP_1)
	v_xor_b32_e32 v6, v6, v13
	v_sub_co_u32 v6, vcc_lo, v6, v13
	s_delay_alu instid0(VALU_DEP_3)
	v_sub_co_ci_u32_e32 v7, vcc_lo, v7, v13, vcc_lo
.LBB449_1336:
	s_or_b32 exec_lo, exec_lo, s0
.LBB449_1337:
	s_mov_b32 s0, -1
.LBB449_1338:
	s_branch .LBB449_1367
.LBB449_1339:
	v_cmp_lt_i16_e32 vcc_lo, 22, v14
	s_cbranch_vccz .LBB449_1349
; %bb.1340:
	v_cmp_gt_i16_e32 vcc_lo, 24, v14
	s_cbranch_vccnz .LBB449_1350
; %bb.1341:
	v_cmp_lt_i16_e32 vcc_lo, 24, v14
	s_cbranch_vccz .LBB449_1351
; %bb.1342:
	global_load_u8 v9, v[11:12], off
	s_mov_b32 s11, exec_lo
                                        ; implicit-def: $sgpr0_sgpr1
	s_waitcnt vmcnt(0)
	v_cmpx_lt_i16_e32 0x7f, v9
	s_xor_b32 s11, exec_lo, s11
; %bb.1343:
	v_cmp_ne_u16_e32 vcc_lo, 0x80, v9
	s_mov_b64 s[0:1], 0
	s_and_b32 s3, vcc_lo, exec_lo
; %bb.1344:
	s_or_saveexec_b32 s11, s11
	v_dual_mov_b32 v7, s1 :: v_dual_mov_b32 v6, s0
	s_xor_b32 exec_lo, exec_lo, s11
; %bb.1345:
	v_cmp_ne_u16_e32 vcc_lo, 0, v9
	v_mov_b32_e32 v6, 0
	v_mov_b32_e32 v7, 0
	s_and_not1_b32 s0, s3, exec_lo
	s_and_b32 s1, vcc_lo, exec_lo
	s_delay_alu instid0(SALU_CYCLE_1)
	s_or_b32 s3, s0, s1
; %bb.1346:
	s_or_b32 exec_lo, exec_lo, s11
	s_and_saveexec_b32 s0, s3
	s_cbranch_execz .LBB449_1348
; %bb.1347:
	v_and_b32_e32 v6, 0xffff, v9
	v_lshlrev_b32_e32 v9, 24, v9
	s_delay_alu instid0(VALU_DEP_2) | instskip(NEXT) | instid1(VALU_DEP_2)
	v_and_b32_e32 v7, 3, v6
	v_and_b32_e32 v9, 0x80000000, v9
	s_delay_alu instid0(VALU_DEP_2) | instskip(NEXT) | instid1(VALU_DEP_1)
	v_clz_i32_u32_e32 v13, v7
	v_min_u32_e32 v13, 32, v13
	s_delay_alu instid0(VALU_DEP_1) | instskip(SKIP_1) | instid1(VALU_DEP_2)
	v_subrev_nc_u32_e32 v15, 29, v13
	v_sub_nc_u32_e32 v13, 30, v13
	v_lshlrev_b32_e32 v15, v15, v6
	v_bfe_u32 v6, v6, 2, 5
	s_delay_alu instid0(VALU_DEP_2) | instskip(NEXT) | instid1(VALU_DEP_2)
	v_and_b32_e32 v15, 3, v15
	v_cmp_eq_u32_e32 vcc_lo, 0, v6
	s_delay_alu instid0(VALU_DEP_2) | instskip(NEXT) | instid1(VALU_DEP_1)
	v_dual_cndmask_b32 v6, v6, v13 :: v_dual_cndmask_b32 v7, v7, v15
	v_lshl_add_u32 v6, v6, 23, 0x37800000
	s_delay_alu instid0(VALU_DEP_2) | instskip(NEXT) | instid1(VALU_DEP_1)
	v_lshlrev_b32_e32 v7, 21, v7
	v_or3_b32 v6, v9, v6, v7
	s_delay_alu instid0(VALU_DEP_1) | instskip(NEXT) | instid1(VALU_DEP_1)
	v_trunc_f32_e32 v6, v6
	v_mul_f32_e64 v7, 0x2f800000, |v6|
	v_ashrrev_i32_e32 v13, 31, v6
	s_delay_alu instid0(VALU_DEP_2) | instskip(NEXT) | instid1(VALU_DEP_1)
	v_floor_f32_e32 v7, v7
	v_fma_f32 v9, 0xcf800000, v7, |v6|
	v_cvt_u32_f32_e32 v7, v7
	s_delay_alu instid0(VALU_DEP_2) | instskip(NEXT) | instid1(VALU_DEP_2)
	v_cvt_u32_f32_e32 v6, v9
	v_xor_b32_e32 v7, v7, v13
	s_delay_alu instid0(VALU_DEP_2) | instskip(NEXT) | instid1(VALU_DEP_1)
	v_xor_b32_e32 v6, v6, v13
	v_sub_co_u32 v6, vcc_lo, v6, v13
	s_delay_alu instid0(VALU_DEP_3)
	v_sub_co_ci_u32_e32 v7, vcc_lo, v7, v13, vcc_lo
.LBB449_1348:
	s_or_b32 exec_lo, exec_lo, s0
	s_mov_b32 s0, 0
	s_branch .LBB449_1352
.LBB449_1349:
	s_mov_b32 s1, -1
                                        ; implicit-def: $vgpr6_vgpr7
	s_branch .LBB449_1358
.LBB449_1350:
	s_mov_b32 s0, -1
                                        ; implicit-def: $vgpr6_vgpr7
	s_branch .LBB449_1355
.LBB449_1351:
	s_mov_b32 s0, -1
                                        ; implicit-def: $vgpr6_vgpr7
.LBB449_1352:
	s_delay_alu instid0(SALU_CYCLE_1)
	s_and_b32 vcc_lo, exec_lo, s0
	s_cbranch_vccz .LBB449_1354
; %bb.1353:
	global_load_u8 v6, v[11:12], off
	s_waitcnt vmcnt(0)
	v_lshlrev_b32_e32 v6, 24, v6
	s_delay_alu instid0(VALU_DEP_1) | instskip(NEXT) | instid1(VALU_DEP_1)
	v_and_b32_e32 v7, 0x7f000000, v6
	v_clz_i32_u32_e32 v9, v7
	v_add_nc_u32_e32 v15, 0x1000000, v7
	v_cmp_ne_u32_e32 vcc_lo, 0, v7
	s_delay_alu instid0(VALU_DEP_3) | instskip(NEXT) | instid1(VALU_DEP_1)
	v_min_u32_e32 v9, 32, v9
	v_sub_nc_u32_e64 v9, v9, 4 clamp
	s_delay_alu instid0(VALU_DEP_1) | instskip(SKIP_1) | instid1(VALU_DEP_2)
	v_lshlrev_b32_e32 v13, v9, v7
	v_lshlrev_b32_e32 v9, 23, v9
	v_lshrrev_b32_e32 v13, 4, v13
	s_delay_alu instid0(VALU_DEP_1) | instskip(SKIP_1) | instid1(VALU_DEP_2)
	v_sub_nc_u32_e32 v9, v13, v9
	v_ashrrev_i32_e32 v13, 8, v15
	v_add_nc_u32_e32 v9, 0x3c000000, v9
	s_delay_alu instid0(VALU_DEP_1) | instskip(NEXT) | instid1(VALU_DEP_1)
	v_and_or_b32 v9, 0x7f800000, v13, v9
	v_cndmask_b32_e32 v7, 0, v9, vcc_lo
	s_delay_alu instid0(VALU_DEP_1) | instskip(NEXT) | instid1(VALU_DEP_1)
	v_and_or_b32 v6, 0x80000000, v6, v7
	v_trunc_f32_e32 v6, v6
	s_delay_alu instid0(VALU_DEP_1) | instskip(SKIP_1) | instid1(VALU_DEP_2)
	v_mul_f32_e64 v7, 0x2f800000, |v6|
	v_ashrrev_i32_e32 v13, 31, v6
	v_floor_f32_e32 v7, v7
	s_delay_alu instid0(VALU_DEP_1) | instskip(SKIP_1) | instid1(VALU_DEP_2)
	v_fma_f32 v9, 0xcf800000, v7, |v6|
	v_cvt_u32_f32_e32 v7, v7
	v_cvt_u32_f32_e32 v6, v9
	s_delay_alu instid0(VALU_DEP_2) | instskip(NEXT) | instid1(VALU_DEP_2)
	v_xor_b32_e32 v7, v7, v13
	v_xor_b32_e32 v6, v6, v13
	s_delay_alu instid0(VALU_DEP_1) | instskip(NEXT) | instid1(VALU_DEP_3)
	v_sub_co_u32 v6, vcc_lo, v6, v13
	v_sub_co_ci_u32_e32 v7, vcc_lo, v7, v13, vcc_lo
.LBB449_1354:
	s_mov_b32 s0, 0
.LBB449_1355:
	s_delay_alu instid0(SALU_CYCLE_1)
	s_and_not1_b32 vcc_lo, exec_lo, s0
	s_cbranch_vccnz .LBB449_1357
; %bb.1356:
	global_load_u8 v6, v[11:12], off
	s_waitcnt vmcnt(0)
	v_lshlrev_b32_e32 v7, 25, v6
	v_lshlrev_b16 v6, 8, v6
	s_delay_alu instid0(VALU_DEP_2) | instskip(NEXT) | instid1(VALU_DEP_2)
	v_lshrrev_b32_e32 v9, 4, v7
	v_and_or_b32 v13, 0x7f00, v6, 0.5
	v_cmp_gt_u32_e32 vcc_lo, 0x8000000, v7
	v_bfe_i32 v6, v6, 0, 16
	s_delay_alu instid0(VALU_DEP_4) | instskip(NEXT) | instid1(VALU_DEP_4)
	v_or_b32_e32 v9, 0x70000000, v9
	v_add_f32_e32 v13, -0.5, v13
	s_delay_alu instid0(VALU_DEP_2) | instskip(NEXT) | instid1(VALU_DEP_1)
	v_mul_f32_e32 v9, 0x7800000, v9
	v_cndmask_b32_e32 v7, v9, v13, vcc_lo
	s_delay_alu instid0(VALU_DEP_1) | instskip(NEXT) | instid1(VALU_DEP_1)
	v_and_or_b32 v6, 0x80000000, v6, v7
	v_trunc_f32_e32 v6, v6
	s_delay_alu instid0(VALU_DEP_1) | instskip(SKIP_1) | instid1(VALU_DEP_2)
	v_mul_f32_e64 v7, 0x2f800000, |v6|
	v_ashrrev_i32_e32 v13, 31, v6
	v_floor_f32_e32 v7, v7
	s_delay_alu instid0(VALU_DEP_1) | instskip(SKIP_1) | instid1(VALU_DEP_2)
	v_fma_f32 v9, 0xcf800000, v7, |v6|
	v_cvt_u32_f32_e32 v7, v7
	v_cvt_u32_f32_e32 v6, v9
	s_delay_alu instid0(VALU_DEP_2) | instskip(NEXT) | instid1(VALU_DEP_2)
	v_xor_b32_e32 v7, v7, v13
	v_xor_b32_e32 v6, v6, v13
	s_delay_alu instid0(VALU_DEP_1) | instskip(NEXT) | instid1(VALU_DEP_3)
	v_sub_co_u32 v6, vcc_lo, v6, v13
	v_sub_co_ci_u32_e32 v7, vcc_lo, v7, v13, vcc_lo
.LBB449_1357:
	s_mov_b32 s1, 0
	s_mov_b32 s0, -1
.LBB449_1358:
	s_and_not1_b32 vcc_lo, exec_lo, s1
	s_mov_b32 s3, 0
	s_cbranch_vccnz .LBB449_1367
; %bb.1359:
	v_cmp_lt_i16_e32 vcc_lo, 14, v14
	s_cbranch_vccz .LBB449_1362
; %bb.1360:
	v_cmp_eq_u16_e32 vcc_lo, 15, v14
	s_cbranch_vccz .LBB449_1363
; %bb.1361:
	global_load_u16 v6, v[11:12], off
	s_mov_b32 s2, 0
	s_mov_b32 s0, -1
	s_waitcnt vmcnt(0)
	v_lshlrev_b32_e32 v6, 16, v6
	s_delay_alu instid0(VALU_DEP_1) | instskip(NEXT) | instid1(VALU_DEP_1)
	v_trunc_f32_e32 v6, v6
	v_mul_f32_e64 v7, 0x2f800000, |v6|
	v_ashrrev_i32_e32 v13, 31, v6
	s_delay_alu instid0(VALU_DEP_2) | instskip(NEXT) | instid1(VALU_DEP_1)
	v_floor_f32_e32 v7, v7
	v_fma_f32 v9, 0xcf800000, v7, |v6|
	v_cvt_u32_f32_e32 v7, v7
	s_delay_alu instid0(VALU_DEP_2) | instskip(NEXT) | instid1(VALU_DEP_2)
	v_cvt_u32_f32_e32 v6, v9
	v_xor_b32_e32 v7, v7, v13
	s_delay_alu instid0(VALU_DEP_2) | instskip(NEXT) | instid1(VALU_DEP_1)
	v_xor_b32_e32 v6, v6, v13
	v_sub_co_u32 v6, vcc_lo, v6, v13
	s_delay_alu instid0(VALU_DEP_3)
	v_sub_co_ci_u32_e32 v7, vcc_lo, v7, v13, vcc_lo
	s_branch .LBB449_1364
.LBB449_1362:
	s_mov_b32 s1, -1
                                        ; implicit-def: $vgpr6_vgpr7
	s_branch .LBB449_1365
.LBB449_1363:
	s_mov_b32 s2, -1
                                        ; implicit-def: $vgpr6_vgpr7
.LBB449_1364:
	s_mov_b32 s1, 0
.LBB449_1365:
	s_delay_alu instid0(SALU_CYCLE_1)
	s_and_b32 vcc_lo, exec_lo, s1
	s_cbranch_vccz .LBB449_1367
; %bb.1366:
	v_cmp_ne_u16_e64 s2, 11, v14
	s_mov_b32 s3, -1
                                        ; implicit-def: $vgpr6_vgpr7
.LBB449_1367:
	s_delay_alu instid0(VALU_DEP_1)
	s_and_b32 vcc_lo, exec_lo, s2
	s_cbranch_vccnz .LBB449_1391
; %bb.1368:
	s_and_not1_b32 vcc_lo, exec_lo, s3
	s_cbranch_vccnz .LBB449_1370
.LBB449_1369:
	global_load_u8 v6, v[11:12], off
	s_mov_b32 s0, 0
	s_waitcnt vmcnt(1)
	v_mov_b32_e32 v7, s0
	s_mov_b32 s0, -1
	s_waitcnt vmcnt(0)
	v_cmp_ne_u16_e32 vcc_lo, 0, v6
	v_cndmask_b32_e64 v6, 0, 1, vcc_lo
.LBB449_1370:
.LBB449_1371:
	s_and_not1_b32 vcc_lo, exec_lo, s0
	s_cbranch_vccnz .LBB449_2020
.LBB449_1372:
	v_cmp_gt_i16_e32 vcc_lo, 11, v14
	v_add_co_u32 v11, s0, s6, v8
	s_delay_alu instid0(VALU_DEP_1)
	v_add_co_ci_u32_e64 v12, null, s7, 0, s0
	s_mov_b32 s0, 0
	s_cbranch_vccnz .LBB449_1379
; %bb.1373:
	v_cmp_lt_i16_e32 vcc_lo, 25, v14
	s_mov_b32 s3, 0
	s_cbranch_vccz .LBB449_1385
; %bb.1374:
	v_cmp_lt_i16_e32 vcc_lo, 28, v14
	s_cbranch_vccz .LBB449_1387
; %bb.1375:
	v_cmp_lt_i16_e32 vcc_lo, 43, v14
	s_cbranch_vccz .LBB449_1389
; %bb.1376:
	v_cmp_lt_i16_e32 vcc_lo, 45, v14
	s_cbranch_vccz .LBB449_1393
; %bb.1377:
	v_cmp_eq_u16_e32 vcc_lo, 46, v14
	s_mov_b32 s1, 0
	s_cbranch_vccz .LBB449_1436
; %bb.1378:
	global_load_b32 v8, v[11:12], off
	s_mov_b32 s2, 0
	s_mov_b32 s0, -1
	s_waitcnt vmcnt(0)
	v_lshlrev_b32_e32 v8, 16, v8
	s_delay_alu instid0(VALU_DEP_1) | instskip(NEXT) | instid1(VALU_DEP_1)
	v_trunc_f32_e32 v8, v8
	v_mul_f32_e64 v9, 0x2f800000, |v8|
	v_ashrrev_i32_e32 v15, 31, v8
	s_delay_alu instid0(VALU_DEP_2) | instskip(NEXT) | instid1(VALU_DEP_1)
	v_floor_f32_e32 v9, v9
	v_fma_f32 v13, 0xcf800000, v9, |v8|
	v_cvt_u32_f32_e32 v9, v9
	s_delay_alu instid0(VALU_DEP_2) | instskip(NEXT) | instid1(VALU_DEP_2)
	v_cvt_u32_f32_e32 v8, v13
	v_xor_b32_e32 v9, v9, v15
	s_delay_alu instid0(VALU_DEP_2) | instskip(NEXT) | instid1(VALU_DEP_1)
	v_xor_b32_e32 v8, v8, v15
	v_sub_co_u32 v8, vcc_lo, v8, v15
	s_delay_alu instid0(VALU_DEP_3)
	v_sub_co_ci_u32_e32 v9, vcc_lo, v9, v15, vcc_lo
	s_branch .LBB449_1438
.LBB449_1379:
                                        ; implicit-def: $vgpr8_vgpr9
	s_cbranch_execz .LBB449_1500
; %bb.1380:
	v_cmp_gt_i16_e32 vcc_lo, 5, v14
	s_cbranch_vccnz .LBB449_1386
; %bb.1381:
	v_cmp_gt_i16_e32 vcc_lo, 8, v14
	s_cbranch_vccnz .LBB449_1388
	;; [unrolled: 3-line block ×3, first 2 shown]
; %bb.1383:
	v_cmp_lt_i16_e32 vcc_lo, 9, v14
	s_cbranch_vccz .LBB449_1394
; %bb.1384:
	global_load_b64 v[8:9], v[11:12], off
	s_mov_b32 s0, 0
	s_waitcnt vmcnt(0)
	v_trunc_f64_e32 v[8:9], v[8:9]
	s_delay_alu instid0(VALU_DEP_1) | instskip(NEXT) | instid1(VALU_DEP_1)
	v_ldexp_f64 v[15:16], v[8:9], 0xffffffe0
	v_floor_f64_e32 v[15:16], v[15:16]
	s_delay_alu instid0(VALU_DEP_1) | instskip(SKIP_1) | instid1(VALU_DEP_2)
	v_fma_f64 v[17:18], 0xc1f00000, v[15:16], v[8:9]
	v_cvt_i32_f64_e32 v9, v[15:16]
	v_cvt_u32_f64_e32 v8, v[17:18]
	s_branch .LBB449_1395
.LBB449_1385:
	s_mov_b32 s1, -1
	s_mov_b32 s2, 0
                                        ; implicit-def: $vgpr8_vgpr9
	s_branch .LBB449_1467
.LBB449_1386:
	s_mov_b32 s0, -1
                                        ; implicit-def: $vgpr8_vgpr9
	s_branch .LBB449_1413
.LBB449_1387:
	s_mov_b32 s1, -1
	s_mov_b32 s2, 0
                                        ; implicit-def: $vgpr8_vgpr9
	s_branch .LBB449_1448
.LBB449_1388:
	s_mov_b32 s0, -1
                                        ; implicit-def: $vgpr8_vgpr9
	s_branch .LBB449_1401
.LBB449_1389:
	s_mov_b32 s1, -1
	s_mov_b32 s2, 0
                                        ; implicit-def: $vgpr8_vgpr9
	s_branch .LBB449_1443
.LBB449_1390:
	s_mov_b32 s0, -1
                                        ; implicit-def: $vgpr8_vgpr9
	s_branch .LBB449_1398
.LBB449_1391:
	s_cbranch_execnz .LBB449_1434
; %bb.1392:
	s_or_b32 s10, s10, exec_lo
                                        ; implicit-def: $vgpr6_vgpr7
	s_cbranch_execz .LBB449_1369
	s_branch .LBB449_1370
.LBB449_1393:
	s_mov_b32 s1, -1
	s_mov_b32 s2, 0
	s_branch .LBB449_1437
.LBB449_1394:
	s_mov_b32 s0, -1
                                        ; implicit-def: $vgpr8_vgpr9
.LBB449_1395:
	s_delay_alu instid0(SALU_CYCLE_1)
	s_and_not1_b32 vcc_lo, exec_lo, s0
	s_cbranch_vccnz .LBB449_1397
; %bb.1396:
	global_load_b32 v8, v[11:12], off
	s_waitcnt vmcnt(0)
	v_trunc_f32_e32 v8, v8
	s_delay_alu instid0(VALU_DEP_1) | instskip(SKIP_1) | instid1(VALU_DEP_2)
	v_mul_f32_e64 v9, 0x2f800000, |v8|
	v_ashrrev_i32_e32 v15, 31, v8
	v_floor_f32_e32 v9, v9
	s_delay_alu instid0(VALU_DEP_1) | instskip(SKIP_1) | instid1(VALU_DEP_2)
	v_fma_f32 v13, 0xcf800000, v9, |v8|
	v_cvt_u32_f32_e32 v9, v9
	v_cvt_u32_f32_e32 v8, v13
	s_delay_alu instid0(VALU_DEP_2) | instskip(NEXT) | instid1(VALU_DEP_2)
	v_xor_b32_e32 v9, v9, v15
	v_xor_b32_e32 v8, v8, v15
	s_delay_alu instid0(VALU_DEP_1) | instskip(NEXT) | instid1(VALU_DEP_3)
	v_sub_co_u32 v8, vcc_lo, v8, v15
	v_sub_co_ci_u32_e32 v9, vcc_lo, v9, v15, vcc_lo
.LBB449_1397:
	s_mov_b32 s0, 0
.LBB449_1398:
	s_delay_alu instid0(SALU_CYCLE_1)
	s_and_not1_b32 vcc_lo, exec_lo, s0
	s_cbranch_vccnz .LBB449_1400
; %bb.1399:
	global_load_b32 v8, v[11:12], off
	s_waitcnt vmcnt(0)
	v_cvt_f32_f16_e32 v8, v8
	s_delay_alu instid0(VALU_DEP_1) | instskip(NEXT) | instid1(VALU_DEP_1)
	v_cvt_i32_f32_e32 v8, v8
	v_ashrrev_i32_e32 v9, 31, v8
.LBB449_1400:
	s_mov_b32 s0, 0
.LBB449_1401:
	s_delay_alu instid0(SALU_CYCLE_1)
	s_and_not1_b32 vcc_lo, exec_lo, s0
	s_cbranch_vccnz .LBB449_1412
; %bb.1402:
	v_cmp_gt_i16_e32 vcc_lo, 6, v14
	s_cbranch_vccnz .LBB449_1405
; %bb.1403:
	v_cmp_lt_i16_e32 vcc_lo, 6, v14
	s_cbranch_vccz .LBB449_1406
; %bb.1404:
	global_load_b64 v[8:9], v[11:12], off
	s_mov_b32 s0, 0
	s_waitcnt vmcnt(0)
	v_trunc_f64_e32 v[8:9], v[8:9]
	s_delay_alu instid0(VALU_DEP_1) | instskip(NEXT) | instid1(VALU_DEP_1)
	v_ldexp_f64 v[15:16], v[8:9], 0xffffffe0
	v_floor_f64_e32 v[15:16], v[15:16]
	s_delay_alu instid0(VALU_DEP_1) | instskip(SKIP_1) | instid1(VALU_DEP_2)
	v_fma_f64 v[17:18], 0xc1f00000, v[15:16], v[8:9]
	v_cvt_i32_f64_e32 v9, v[15:16]
	v_cvt_u32_f64_e32 v8, v[17:18]
	s_branch .LBB449_1407
.LBB449_1405:
	s_mov_b32 s0, -1
                                        ; implicit-def: $vgpr8_vgpr9
	s_branch .LBB449_1410
.LBB449_1406:
	s_mov_b32 s0, -1
                                        ; implicit-def: $vgpr8_vgpr9
.LBB449_1407:
	s_delay_alu instid0(SALU_CYCLE_1)
	s_and_not1_b32 vcc_lo, exec_lo, s0
	s_cbranch_vccnz .LBB449_1409
; %bb.1408:
	global_load_b32 v8, v[11:12], off
	s_waitcnt vmcnt(0)
	v_trunc_f32_e32 v8, v8
	s_delay_alu instid0(VALU_DEP_1) | instskip(SKIP_1) | instid1(VALU_DEP_2)
	v_mul_f32_e64 v9, 0x2f800000, |v8|
	v_ashrrev_i32_e32 v15, 31, v8
	v_floor_f32_e32 v9, v9
	s_delay_alu instid0(VALU_DEP_1) | instskip(SKIP_1) | instid1(VALU_DEP_2)
	v_fma_f32 v13, 0xcf800000, v9, |v8|
	v_cvt_u32_f32_e32 v9, v9
	v_cvt_u32_f32_e32 v8, v13
	s_delay_alu instid0(VALU_DEP_2) | instskip(NEXT) | instid1(VALU_DEP_2)
	v_xor_b32_e32 v9, v9, v15
	v_xor_b32_e32 v8, v8, v15
	s_delay_alu instid0(VALU_DEP_1) | instskip(NEXT) | instid1(VALU_DEP_3)
	v_sub_co_u32 v8, vcc_lo, v8, v15
	v_sub_co_ci_u32_e32 v9, vcc_lo, v9, v15, vcc_lo
.LBB449_1409:
	s_mov_b32 s0, 0
.LBB449_1410:
	s_delay_alu instid0(SALU_CYCLE_1)
	s_and_not1_b32 vcc_lo, exec_lo, s0
	s_cbranch_vccnz .LBB449_1412
; %bb.1411:
	global_load_u16 v8, v[11:12], off
	s_waitcnt vmcnt(0)
	v_cvt_f32_f16_e32 v8, v8
	s_delay_alu instid0(VALU_DEP_1) | instskip(NEXT) | instid1(VALU_DEP_1)
	v_cvt_i32_f32_e32 v8, v8
	v_ashrrev_i32_e32 v9, 31, v8
.LBB449_1412:
	s_mov_b32 s0, 0
.LBB449_1413:
	s_delay_alu instid0(SALU_CYCLE_1)
	s_and_not1_b32 vcc_lo, exec_lo, s0
	s_cbranch_vccnz .LBB449_1433
; %bb.1414:
	v_cmp_gt_i16_e32 vcc_lo, 2, v14
	s_cbranch_vccnz .LBB449_1418
; %bb.1415:
	v_cmp_gt_i16_e32 vcc_lo, 3, v14
	s_cbranch_vccnz .LBB449_1419
; %bb.1416:
	v_cmp_lt_i16_e32 vcc_lo, 3, v14
	s_cbranch_vccz .LBB449_1420
; %bb.1417:
	global_load_b64 v[8:9], v[11:12], off
	s_mov_b32 s0, 0
	s_branch .LBB449_1421
.LBB449_1418:
	s_mov_b32 s0, -1
                                        ; implicit-def: $vgpr8_vgpr9
	s_branch .LBB449_1427
.LBB449_1419:
	s_mov_b32 s0, -1
                                        ; implicit-def: $vgpr8_vgpr9
	s_branch .LBB449_1424
.LBB449_1420:
	s_mov_b32 s0, -1
                                        ; implicit-def: $vgpr8_vgpr9
.LBB449_1421:
	s_delay_alu instid0(SALU_CYCLE_1)
	s_and_not1_b32 vcc_lo, exec_lo, s0
	s_cbranch_vccnz .LBB449_1423
; %bb.1422:
	global_load_b32 v8, v[11:12], off
	s_waitcnt vmcnt(0)
	v_ashrrev_i32_e32 v9, 31, v8
.LBB449_1423:
	s_mov_b32 s0, 0
.LBB449_1424:
	s_delay_alu instid0(SALU_CYCLE_1)
	s_and_not1_b32 vcc_lo, exec_lo, s0
	s_cbranch_vccnz .LBB449_1426
; %bb.1425:
	global_load_u16 v8, v[11:12], off
	s_waitcnt vmcnt(0)
	v_bfe_i32 v8, v8, 0, 16
	s_delay_alu instid0(VALU_DEP_1)
	v_ashrrev_i32_e32 v9, 31, v8
.LBB449_1426:
	s_mov_b32 s0, 0
.LBB449_1427:
	s_delay_alu instid0(SALU_CYCLE_1)
	s_and_not1_b32 vcc_lo, exec_lo, s0
	s_cbranch_vccnz .LBB449_1433
; %bb.1428:
	v_cmp_lt_i16_e32 vcc_lo, 0, v14
	s_mov_b32 s0, 0
	s_cbranch_vccz .LBB449_1430
; %bb.1429:
	global_load_i8 v8, v[11:12], off
	s_waitcnt vmcnt(0)
	v_bfe_i32 v8, v8, 0, 16
	s_delay_alu instid0(VALU_DEP_1)
	v_ashrrev_i32_e32 v9, 31, v8
	s_branch .LBB449_1431
.LBB449_1430:
	s_mov_b32 s0, -1
                                        ; implicit-def: $vgpr8_vgpr9
.LBB449_1431:
	s_delay_alu instid0(SALU_CYCLE_1)
	s_and_not1_b32 vcc_lo, exec_lo, s0
	s_cbranch_vccnz .LBB449_1433
; %bb.1432:
	global_load_u8 v8, v[11:12], off
	s_mov_b32 s0, 0
	s_waitcnt vmcnt(0)
	v_dual_mov_b32 v9, s0 :: v_dual_and_b32 v8, 0xffff, v8
.LBB449_1433:
	s_branch .LBB449_1501
.LBB449_1434:
	s_trap 2
	s_sendmsg_rtn_b32 s0, sendmsg(MSG_RTN_GET_DOORBELL)
	s_mov_b32 ttmp2, m0
	s_waitcnt lgkmcnt(0)
	s_and_b32 s0, s0, 0x3ff
	s_delay_alu instid0(SALU_CYCLE_1) | instskip(NEXT) | instid1(SALU_CYCLE_1)
	s_bitset1_b32 s0, 10
	s_mov_b32 m0, s0
	s_sendmsg sendmsg(MSG_INTERRUPT)
	s_mov_b32 m0, ttmp2
.LBB449_1435:                           ; =>This Inner Loop Header: Depth=1
	s_sethalt 5
	s_branch .LBB449_1435
.LBB449_1436:
	s_mov_b32 s2, -1
.LBB449_1437:
                                        ; implicit-def: $vgpr8_vgpr9
.LBB449_1438:
	s_and_b32 vcc_lo, exec_lo, s1
	s_cbranch_vccz .LBB449_1442
; %bb.1439:
	v_cmp_eq_u16_e32 vcc_lo, 44, v14
	s_cbranch_vccz .LBB449_1441
; %bb.1440:
	global_load_u8 v8, v[11:12], off
	s_mov_b32 s2, 0
	s_mov_b32 s0, -1
	s_waitcnt vmcnt(0)
	v_lshlrev_b32_e32 v9, 23, v8
	s_delay_alu instid0(VALU_DEP_1) | instskip(NEXT) | instid1(VALU_DEP_1)
	v_trunc_f32_e32 v9, v9
	v_mul_f32_e64 v13, 0x2f800000, |v9|
	s_delay_alu instid0(VALU_DEP_1) | instskip(NEXT) | instid1(VALU_DEP_1)
	v_floor_f32_e32 v13, v13
	v_fma_f32 v15, 0xcf800000, v13, |v9|
	v_ashrrev_i32_e32 v9, 31, v9
	v_cvt_u32_f32_e32 v13, v13
	s_delay_alu instid0(VALU_DEP_3) | instskip(NEXT) | instid1(VALU_DEP_2)
	v_cvt_u32_f32_e32 v15, v15
	v_xor_b32_e32 v13, v13, v9
	s_delay_alu instid0(VALU_DEP_2) | instskip(NEXT) | instid1(VALU_DEP_1)
	v_xor_b32_e32 v15, v15, v9
	v_sub_co_u32 v15, vcc_lo, v15, v9
	s_delay_alu instid0(VALU_DEP_3) | instskip(SKIP_1) | instid1(VALU_DEP_2)
	v_sub_co_ci_u32_e32 v9, vcc_lo, v13, v9, vcc_lo
	v_cmp_ne_u32_e32 vcc_lo, 0, v8
	v_dual_cndmask_b32 v8, 0, v15 :: v_dual_cndmask_b32 v9, 0, v9
	s_branch .LBB449_1442
.LBB449_1441:
	s_mov_b32 s2, -1
                                        ; implicit-def: $vgpr8_vgpr9
.LBB449_1442:
	s_mov_b32 s1, 0
.LBB449_1443:
	s_delay_alu instid0(SALU_CYCLE_1)
	s_and_b32 vcc_lo, exec_lo, s1
	s_cbranch_vccz .LBB449_1447
; %bb.1444:
	v_cmp_eq_u16_e32 vcc_lo, 29, v14
	s_cbranch_vccz .LBB449_1446
; %bb.1445:
	global_load_b64 v[8:9], v[11:12], off
	s_mov_b32 s2, 0
	s_mov_b32 s0, -1
	s_branch .LBB449_1447
.LBB449_1446:
	s_mov_b32 s2, -1
                                        ; implicit-def: $vgpr8_vgpr9
.LBB449_1447:
	s_mov_b32 s1, 0
.LBB449_1448:
	s_delay_alu instid0(SALU_CYCLE_1)
	s_and_b32 vcc_lo, exec_lo, s1
	s_cbranch_vccz .LBB449_1466
; %bb.1449:
	v_cmp_gt_i16_e32 vcc_lo, 27, v14
	s_cbranch_vccnz .LBB449_1452
; %bb.1450:
	v_cmp_lt_i16_e32 vcc_lo, 27, v14
	s_cbranch_vccz .LBB449_1453
; %bb.1451:
	global_load_b32 v8, v[11:12], off
	s_waitcnt vmcnt(1)
	v_mov_b32_e32 v9, 0
	s_mov_b32 s0, 0
	s_branch .LBB449_1454
.LBB449_1452:
	s_mov_b32 s0, -1
                                        ; implicit-def: $vgpr8_vgpr9
	s_branch .LBB449_1457
.LBB449_1453:
	s_mov_b32 s0, -1
                                        ; implicit-def: $vgpr8_vgpr9
.LBB449_1454:
	s_delay_alu instid0(SALU_CYCLE_1)
	s_and_not1_b32 vcc_lo, exec_lo, s0
	s_cbranch_vccnz .LBB449_1456
; %bb.1455:
	global_load_u16 v8, v[11:12], off
	s_mov_b32 s0, 0
	s_waitcnt vmcnt(0)
	v_dual_mov_b32 v9, s0 :: v_dual_and_b32 v8, 0xffff, v8
.LBB449_1456:
	s_mov_b32 s0, 0
.LBB449_1457:
	s_delay_alu instid0(SALU_CYCLE_1)
	s_and_not1_b32 vcc_lo, exec_lo, s0
	s_cbranch_vccnz .LBB449_1465
; %bb.1458:
	global_load_u8 v13, v[11:12], off
	s_mov_b32 s11, 0
	s_mov_b32 s12, exec_lo
                                        ; implicit-def: $sgpr0_sgpr1
	s_waitcnt vmcnt(0)
	v_cmpx_lt_i16_e32 0x7f, v13
	s_xor_b32 s12, exec_lo, s12
; %bb.1459:
	v_cmp_ne_u16_e32 vcc_lo, 0x80, v13
	s_mov_b64 s[0:1], 0
	s_and_b32 s11, vcc_lo, exec_lo
; %bb.1460:
	s_or_saveexec_b32 s12, s12
	v_dual_mov_b32 v9, s1 :: v_dual_mov_b32 v8, s0
	s_xor_b32 exec_lo, exec_lo, s12
; %bb.1461:
	v_cmp_ne_u16_e32 vcc_lo, 0, v13
	v_mov_b32_e32 v8, 0
	v_mov_b32_e32 v9, 0
	s_and_not1_b32 s0, s11, exec_lo
	s_and_b32 s1, vcc_lo, exec_lo
	s_delay_alu instid0(SALU_CYCLE_1)
	s_or_b32 s11, s0, s1
; %bb.1462:
	s_or_b32 exec_lo, exec_lo, s12
	s_and_saveexec_b32 s0, s11
	s_cbranch_execz .LBB449_1464
; %bb.1463:
	v_and_b32_e32 v8, 0xffff, v13
	v_lshlrev_b32_e32 v13, 24, v13
	s_delay_alu instid0(VALU_DEP_2) | instskip(NEXT) | instid1(VALU_DEP_2)
	v_and_b32_e32 v9, 7, v8
	v_and_b32_e32 v13, 0x80000000, v13
	s_delay_alu instid0(VALU_DEP_2) | instskip(NEXT) | instid1(VALU_DEP_1)
	v_clz_i32_u32_e32 v15, v9
	v_min_u32_e32 v15, 32, v15
	s_delay_alu instid0(VALU_DEP_1) | instskip(SKIP_1) | instid1(VALU_DEP_2)
	v_subrev_nc_u32_e32 v16, 28, v15
	v_sub_nc_u32_e32 v15, 29, v15
	v_lshlrev_b32_e32 v16, v16, v8
	v_bfe_u32 v8, v8, 3, 4
	s_delay_alu instid0(VALU_DEP_2) | instskip(NEXT) | instid1(VALU_DEP_2)
	v_and_b32_e32 v16, 7, v16
	v_cmp_eq_u32_e32 vcc_lo, 0, v8
	s_delay_alu instid0(VALU_DEP_2) | instskip(NEXT) | instid1(VALU_DEP_1)
	v_dual_cndmask_b32 v8, v8, v15 :: v_dual_cndmask_b32 v9, v9, v16
	v_lshl_add_u32 v8, v8, 23, 0x3b800000
	s_delay_alu instid0(VALU_DEP_2) | instskip(NEXT) | instid1(VALU_DEP_1)
	v_lshlrev_b32_e32 v9, 20, v9
	v_or3_b32 v8, v13, v8, v9
	s_delay_alu instid0(VALU_DEP_1) | instskip(NEXT) | instid1(VALU_DEP_1)
	v_trunc_f32_e32 v8, v8
	v_mul_f32_e64 v9, 0x2f800000, |v8|
	v_ashrrev_i32_e32 v15, 31, v8
	s_delay_alu instid0(VALU_DEP_2) | instskip(NEXT) | instid1(VALU_DEP_1)
	v_floor_f32_e32 v9, v9
	v_fma_f32 v13, 0xcf800000, v9, |v8|
	v_cvt_u32_f32_e32 v9, v9
	s_delay_alu instid0(VALU_DEP_2) | instskip(NEXT) | instid1(VALU_DEP_2)
	v_cvt_u32_f32_e32 v8, v13
	v_xor_b32_e32 v9, v9, v15
	s_delay_alu instid0(VALU_DEP_2) | instskip(NEXT) | instid1(VALU_DEP_1)
	v_xor_b32_e32 v8, v8, v15
	v_sub_co_u32 v8, vcc_lo, v8, v15
	s_delay_alu instid0(VALU_DEP_3)
	v_sub_co_ci_u32_e32 v9, vcc_lo, v9, v15, vcc_lo
.LBB449_1464:
	s_or_b32 exec_lo, exec_lo, s0
.LBB449_1465:
	s_mov_b32 s0, -1
.LBB449_1466:
	s_mov_b32 s1, 0
.LBB449_1467:
	s_delay_alu instid0(SALU_CYCLE_1)
	s_and_b32 vcc_lo, exec_lo, s1
	s_cbranch_vccz .LBB449_1496
; %bb.1468:
	v_cmp_lt_i16_e32 vcc_lo, 22, v14
	s_cbranch_vccz .LBB449_1478
; %bb.1469:
	v_cmp_gt_i16_e32 vcc_lo, 24, v14
	s_cbranch_vccnz .LBB449_1479
; %bb.1470:
	v_cmp_lt_i16_e32 vcc_lo, 24, v14
	s_cbranch_vccz .LBB449_1480
; %bb.1471:
	global_load_u8 v13, v[11:12], off
	s_mov_b32 s11, exec_lo
                                        ; implicit-def: $sgpr0_sgpr1
	s_waitcnt vmcnt(0)
	v_cmpx_lt_i16_e32 0x7f, v13
	s_xor_b32 s11, exec_lo, s11
; %bb.1472:
	v_cmp_ne_u16_e32 vcc_lo, 0x80, v13
	s_mov_b64 s[0:1], 0
	s_and_b32 s3, vcc_lo, exec_lo
; %bb.1473:
	s_or_saveexec_b32 s11, s11
	v_dual_mov_b32 v9, s1 :: v_dual_mov_b32 v8, s0
	s_xor_b32 exec_lo, exec_lo, s11
; %bb.1474:
	v_cmp_ne_u16_e32 vcc_lo, 0, v13
	v_mov_b32_e32 v8, 0
	v_mov_b32_e32 v9, 0
	s_and_not1_b32 s0, s3, exec_lo
	s_and_b32 s1, vcc_lo, exec_lo
	s_delay_alu instid0(SALU_CYCLE_1)
	s_or_b32 s3, s0, s1
; %bb.1475:
	s_or_b32 exec_lo, exec_lo, s11
	s_and_saveexec_b32 s0, s3
	s_cbranch_execz .LBB449_1477
; %bb.1476:
	v_and_b32_e32 v8, 0xffff, v13
	v_lshlrev_b32_e32 v13, 24, v13
	s_delay_alu instid0(VALU_DEP_2) | instskip(NEXT) | instid1(VALU_DEP_2)
	v_and_b32_e32 v9, 3, v8
	v_and_b32_e32 v13, 0x80000000, v13
	s_delay_alu instid0(VALU_DEP_2) | instskip(NEXT) | instid1(VALU_DEP_1)
	v_clz_i32_u32_e32 v15, v9
	v_min_u32_e32 v15, 32, v15
	s_delay_alu instid0(VALU_DEP_1) | instskip(SKIP_1) | instid1(VALU_DEP_2)
	v_subrev_nc_u32_e32 v16, 29, v15
	v_sub_nc_u32_e32 v15, 30, v15
	v_lshlrev_b32_e32 v16, v16, v8
	v_bfe_u32 v8, v8, 2, 5
	s_delay_alu instid0(VALU_DEP_2) | instskip(NEXT) | instid1(VALU_DEP_2)
	v_and_b32_e32 v16, 3, v16
	v_cmp_eq_u32_e32 vcc_lo, 0, v8
	s_delay_alu instid0(VALU_DEP_2) | instskip(NEXT) | instid1(VALU_DEP_1)
	v_dual_cndmask_b32 v8, v8, v15 :: v_dual_cndmask_b32 v9, v9, v16
	v_lshl_add_u32 v8, v8, 23, 0x37800000
	s_delay_alu instid0(VALU_DEP_2) | instskip(NEXT) | instid1(VALU_DEP_1)
	v_lshlrev_b32_e32 v9, 21, v9
	v_or3_b32 v8, v13, v8, v9
	s_delay_alu instid0(VALU_DEP_1) | instskip(NEXT) | instid1(VALU_DEP_1)
	v_trunc_f32_e32 v8, v8
	v_mul_f32_e64 v9, 0x2f800000, |v8|
	v_ashrrev_i32_e32 v15, 31, v8
	s_delay_alu instid0(VALU_DEP_2) | instskip(NEXT) | instid1(VALU_DEP_1)
	v_floor_f32_e32 v9, v9
	v_fma_f32 v13, 0xcf800000, v9, |v8|
	v_cvt_u32_f32_e32 v9, v9
	s_delay_alu instid0(VALU_DEP_2) | instskip(NEXT) | instid1(VALU_DEP_2)
	v_cvt_u32_f32_e32 v8, v13
	v_xor_b32_e32 v9, v9, v15
	s_delay_alu instid0(VALU_DEP_2) | instskip(NEXT) | instid1(VALU_DEP_1)
	v_xor_b32_e32 v8, v8, v15
	v_sub_co_u32 v8, vcc_lo, v8, v15
	s_delay_alu instid0(VALU_DEP_3)
	v_sub_co_ci_u32_e32 v9, vcc_lo, v9, v15, vcc_lo
.LBB449_1477:
	s_or_b32 exec_lo, exec_lo, s0
	s_mov_b32 s0, 0
	s_branch .LBB449_1481
.LBB449_1478:
	s_mov_b32 s1, -1
                                        ; implicit-def: $vgpr8_vgpr9
	s_branch .LBB449_1487
.LBB449_1479:
	s_mov_b32 s0, -1
                                        ; implicit-def: $vgpr8_vgpr9
	s_branch .LBB449_1484
.LBB449_1480:
	s_mov_b32 s0, -1
                                        ; implicit-def: $vgpr8_vgpr9
.LBB449_1481:
	s_delay_alu instid0(SALU_CYCLE_1)
	s_and_b32 vcc_lo, exec_lo, s0
	s_cbranch_vccz .LBB449_1483
; %bb.1482:
	global_load_u8 v8, v[11:12], off
	s_waitcnt vmcnt(0)
	v_lshlrev_b32_e32 v8, 24, v8
	s_delay_alu instid0(VALU_DEP_1) | instskip(NEXT) | instid1(VALU_DEP_1)
	v_and_b32_e32 v9, 0x7f000000, v8
	v_clz_i32_u32_e32 v13, v9
	v_add_nc_u32_e32 v16, 0x1000000, v9
	v_cmp_ne_u32_e32 vcc_lo, 0, v9
	s_delay_alu instid0(VALU_DEP_3) | instskip(NEXT) | instid1(VALU_DEP_1)
	v_min_u32_e32 v13, 32, v13
	v_sub_nc_u32_e64 v13, v13, 4 clamp
	s_delay_alu instid0(VALU_DEP_1) | instskip(SKIP_1) | instid1(VALU_DEP_2)
	v_lshlrev_b32_e32 v15, v13, v9
	v_lshlrev_b32_e32 v13, 23, v13
	v_lshrrev_b32_e32 v15, 4, v15
	s_delay_alu instid0(VALU_DEP_1) | instskip(SKIP_1) | instid1(VALU_DEP_2)
	v_sub_nc_u32_e32 v13, v15, v13
	v_ashrrev_i32_e32 v15, 8, v16
	v_add_nc_u32_e32 v13, 0x3c000000, v13
	s_delay_alu instid0(VALU_DEP_1) | instskip(NEXT) | instid1(VALU_DEP_1)
	v_and_or_b32 v13, 0x7f800000, v15, v13
	v_cndmask_b32_e32 v9, 0, v13, vcc_lo
	s_delay_alu instid0(VALU_DEP_1) | instskip(NEXT) | instid1(VALU_DEP_1)
	v_and_or_b32 v8, 0x80000000, v8, v9
	v_trunc_f32_e32 v8, v8
	s_delay_alu instid0(VALU_DEP_1) | instskip(SKIP_1) | instid1(VALU_DEP_2)
	v_mul_f32_e64 v9, 0x2f800000, |v8|
	v_ashrrev_i32_e32 v15, 31, v8
	v_floor_f32_e32 v9, v9
	s_delay_alu instid0(VALU_DEP_1) | instskip(SKIP_1) | instid1(VALU_DEP_2)
	v_fma_f32 v13, 0xcf800000, v9, |v8|
	v_cvt_u32_f32_e32 v9, v9
	v_cvt_u32_f32_e32 v8, v13
	s_delay_alu instid0(VALU_DEP_2) | instskip(NEXT) | instid1(VALU_DEP_2)
	v_xor_b32_e32 v9, v9, v15
	v_xor_b32_e32 v8, v8, v15
	s_delay_alu instid0(VALU_DEP_1) | instskip(NEXT) | instid1(VALU_DEP_3)
	v_sub_co_u32 v8, vcc_lo, v8, v15
	v_sub_co_ci_u32_e32 v9, vcc_lo, v9, v15, vcc_lo
.LBB449_1483:
	s_mov_b32 s0, 0
.LBB449_1484:
	s_delay_alu instid0(SALU_CYCLE_1)
	s_and_not1_b32 vcc_lo, exec_lo, s0
	s_cbranch_vccnz .LBB449_1486
; %bb.1485:
	global_load_u8 v8, v[11:12], off
	s_waitcnt vmcnt(0)
	v_lshlrev_b32_e32 v9, 25, v8
	v_lshlrev_b16 v8, 8, v8
	s_delay_alu instid0(VALU_DEP_2) | instskip(NEXT) | instid1(VALU_DEP_2)
	v_lshrrev_b32_e32 v13, 4, v9
	v_and_or_b32 v15, 0x7f00, v8, 0.5
	v_cmp_gt_u32_e32 vcc_lo, 0x8000000, v9
	v_bfe_i32 v8, v8, 0, 16
	s_delay_alu instid0(VALU_DEP_4) | instskip(NEXT) | instid1(VALU_DEP_4)
	v_or_b32_e32 v13, 0x70000000, v13
	v_add_f32_e32 v15, -0.5, v15
	s_delay_alu instid0(VALU_DEP_2) | instskip(NEXT) | instid1(VALU_DEP_1)
	v_mul_f32_e32 v13, 0x7800000, v13
	v_cndmask_b32_e32 v9, v13, v15, vcc_lo
	s_delay_alu instid0(VALU_DEP_1) | instskip(NEXT) | instid1(VALU_DEP_1)
	v_and_or_b32 v8, 0x80000000, v8, v9
	v_trunc_f32_e32 v8, v8
	s_delay_alu instid0(VALU_DEP_1) | instskip(SKIP_1) | instid1(VALU_DEP_2)
	v_mul_f32_e64 v9, 0x2f800000, |v8|
	v_ashrrev_i32_e32 v15, 31, v8
	v_floor_f32_e32 v9, v9
	s_delay_alu instid0(VALU_DEP_1) | instskip(SKIP_1) | instid1(VALU_DEP_2)
	v_fma_f32 v13, 0xcf800000, v9, |v8|
	v_cvt_u32_f32_e32 v9, v9
	v_cvt_u32_f32_e32 v8, v13
	s_delay_alu instid0(VALU_DEP_2) | instskip(NEXT) | instid1(VALU_DEP_2)
	v_xor_b32_e32 v9, v9, v15
	v_xor_b32_e32 v8, v8, v15
	s_delay_alu instid0(VALU_DEP_1) | instskip(NEXT) | instid1(VALU_DEP_3)
	v_sub_co_u32 v8, vcc_lo, v8, v15
	v_sub_co_ci_u32_e32 v9, vcc_lo, v9, v15, vcc_lo
.LBB449_1486:
	s_mov_b32 s1, 0
	s_mov_b32 s0, -1
.LBB449_1487:
	s_and_not1_b32 vcc_lo, exec_lo, s1
	s_mov_b32 s3, 0
	s_cbranch_vccnz .LBB449_1496
; %bb.1488:
	v_cmp_lt_i16_e32 vcc_lo, 14, v14
	s_cbranch_vccz .LBB449_1491
; %bb.1489:
	v_cmp_eq_u16_e32 vcc_lo, 15, v14
	s_cbranch_vccz .LBB449_1492
; %bb.1490:
	global_load_u16 v8, v[11:12], off
	s_mov_b32 s2, 0
	s_mov_b32 s0, -1
	s_waitcnt vmcnt(0)
	v_lshlrev_b32_e32 v8, 16, v8
	s_delay_alu instid0(VALU_DEP_1) | instskip(NEXT) | instid1(VALU_DEP_1)
	v_trunc_f32_e32 v8, v8
	v_mul_f32_e64 v9, 0x2f800000, |v8|
	v_ashrrev_i32_e32 v15, 31, v8
	s_delay_alu instid0(VALU_DEP_2) | instskip(NEXT) | instid1(VALU_DEP_1)
	v_floor_f32_e32 v9, v9
	v_fma_f32 v13, 0xcf800000, v9, |v8|
	v_cvt_u32_f32_e32 v9, v9
	s_delay_alu instid0(VALU_DEP_2) | instskip(NEXT) | instid1(VALU_DEP_2)
	v_cvt_u32_f32_e32 v8, v13
	v_xor_b32_e32 v9, v9, v15
	s_delay_alu instid0(VALU_DEP_2) | instskip(NEXT) | instid1(VALU_DEP_1)
	v_xor_b32_e32 v8, v8, v15
	v_sub_co_u32 v8, vcc_lo, v8, v15
	s_delay_alu instid0(VALU_DEP_3)
	v_sub_co_ci_u32_e32 v9, vcc_lo, v9, v15, vcc_lo
	s_branch .LBB449_1493
.LBB449_1491:
	s_mov_b32 s1, -1
                                        ; implicit-def: $vgpr8_vgpr9
	s_branch .LBB449_1494
.LBB449_1492:
	s_mov_b32 s2, -1
                                        ; implicit-def: $vgpr8_vgpr9
.LBB449_1493:
	s_mov_b32 s1, 0
.LBB449_1494:
	s_delay_alu instid0(SALU_CYCLE_1)
	s_and_b32 vcc_lo, exec_lo, s1
	s_cbranch_vccz .LBB449_1496
; %bb.1495:
	v_cmp_ne_u16_e64 s2, 11, v14
	s_mov_b32 s3, -1
                                        ; implicit-def: $vgpr8_vgpr9
.LBB449_1496:
	s_delay_alu instid0(VALU_DEP_1)
	s_and_b32 vcc_lo, exec_lo, s2
	s_cbranch_vccnz .LBB449_1512
; %bb.1497:
	s_and_not1_b32 vcc_lo, exec_lo, s3
	s_cbranch_vccnz .LBB449_1499
.LBB449_1498:
	global_load_u8 v8, v[11:12], off
	s_mov_b32 s0, 0
	s_waitcnt vmcnt(1)
	v_mov_b32_e32 v9, s0
	s_mov_b32 s0, -1
	s_waitcnt vmcnt(0)
	v_cmp_ne_u16_e32 vcc_lo, 0, v8
	v_cndmask_b32_e64 v8, 0, 1, vcc_lo
.LBB449_1499:
.LBB449_1500:
	s_and_not1_b32 vcc_lo, exec_lo, s0
	s_cbranch_vccnz .LBB449_2020
.LBB449_1501:
	v_cmp_gt_i16_e32 vcc_lo, 11, v14
	v_add_co_u32 v12, s0, s6, v10
	s_delay_alu instid0(VALU_DEP_1)
	v_add_co_ci_u32_e64 v13, null, s7, 0, s0
	s_mov_b32 s0, 0
	s_cbranch_vccnz .LBB449_1508
; %bb.1502:
	v_cmp_lt_i16_e32 vcc_lo, 25, v14
	s_mov_b32 s3, 0
	s_cbranch_vccz .LBB449_1509
; %bb.1503:
	v_cmp_lt_i16_e32 vcc_lo, 28, v14
	s_cbranch_vccz .LBB449_1510
; %bb.1504:
	v_cmp_lt_i16_e32 vcc_lo, 43, v14
	;; [unrolled: 3-line block ×3, first 2 shown]
	s_cbranch_vccz .LBB449_1514
; %bb.1506:
	v_cmp_eq_u16_e32 vcc_lo, 46, v14
	s_mov_b32 s1, 0
	s_cbranch_vccz .LBB449_1517
; %bb.1507:
	global_load_b32 v10, v[12:13], off
	s_mov_b32 s2, 0
	s_mov_b32 s0, -1
	s_waitcnt vmcnt(0)
	v_lshlrev_b32_e32 v10, 16, v10
	s_delay_alu instid0(VALU_DEP_1) | instskip(NEXT) | instid1(VALU_DEP_1)
	v_trunc_f32_e32 v10, v10
	v_mul_f32_e64 v11, 0x2f800000, |v10|
	v_ashrrev_i32_e32 v16, 31, v10
	s_delay_alu instid0(VALU_DEP_2) | instskip(NEXT) | instid1(VALU_DEP_1)
	v_floor_f32_e32 v11, v11
	v_fma_f32 v15, 0xcf800000, v11, |v10|
	v_cvt_u32_f32_e32 v11, v11
	s_delay_alu instid0(VALU_DEP_2) | instskip(NEXT) | instid1(VALU_DEP_2)
	v_cvt_u32_f32_e32 v10, v15
	v_xor_b32_e32 v11, v11, v16
	s_delay_alu instid0(VALU_DEP_2) | instskip(NEXT) | instid1(VALU_DEP_1)
	v_xor_b32_e32 v10, v10, v16
	v_sub_co_u32 v10, vcc_lo, v10, v16
	s_delay_alu instid0(VALU_DEP_3)
	v_sub_co_ci_u32_e32 v11, vcc_lo, v11, v16, vcc_lo
	s_branch .LBB449_1519
.LBB449_1508:
	s_mov_b32 s1, -1
                                        ; implicit-def: $vgpr10_vgpr11
	s_branch .LBB449_1581
.LBB449_1509:
	s_mov_b32 s1, -1
	s_mov_b32 s2, 0
                                        ; implicit-def: $vgpr10_vgpr11
	s_branch .LBB449_1548
.LBB449_1510:
	s_mov_b32 s1, -1
	s_mov_b32 s2, 0
                                        ; implicit-def: $vgpr10_vgpr11
	s_branch .LBB449_1529
.LBB449_1511:
	s_mov_b32 s1, -1
	s_mov_b32 s2, 0
                                        ; implicit-def: $vgpr10_vgpr11
	s_branch .LBB449_1524
.LBB449_1512:
	s_cbranch_execnz .LBB449_1515
; %bb.1513:
	s_or_b32 s10, s10, exec_lo
                                        ; implicit-def: $vgpr8_vgpr9
	s_cbranch_execz .LBB449_1498
	s_branch .LBB449_1499
.LBB449_1514:
	s_mov_b32 s1, -1
	s_mov_b32 s2, 0
	s_branch .LBB449_1518
.LBB449_1515:
	s_trap 2
	s_sendmsg_rtn_b32 s0, sendmsg(MSG_RTN_GET_DOORBELL)
	s_mov_b32 ttmp2, m0
	s_waitcnt lgkmcnt(0)
	s_and_b32 s0, s0, 0x3ff
	s_delay_alu instid0(SALU_CYCLE_1) | instskip(NEXT) | instid1(SALU_CYCLE_1)
	s_bitset1_b32 s0, 10
	s_mov_b32 m0, s0
	s_sendmsg sendmsg(MSG_INTERRUPT)
	s_mov_b32 m0, ttmp2
.LBB449_1516:                           ; =>This Inner Loop Header: Depth=1
	s_sethalt 5
	s_branch .LBB449_1516
.LBB449_1517:
	s_mov_b32 s2, -1
.LBB449_1518:
                                        ; implicit-def: $vgpr10_vgpr11
.LBB449_1519:
	s_and_b32 vcc_lo, exec_lo, s1
	s_cbranch_vccz .LBB449_1523
; %bb.1520:
	v_cmp_eq_u16_e32 vcc_lo, 44, v14
	s_cbranch_vccz .LBB449_1522
; %bb.1521:
	global_load_u8 v10, v[12:13], off
	s_mov_b32 s2, 0
	s_mov_b32 s0, -1
	s_waitcnt vmcnt(0)
	v_lshlrev_b32_e32 v11, 23, v10
	s_delay_alu instid0(VALU_DEP_1) | instskip(NEXT) | instid1(VALU_DEP_1)
	v_trunc_f32_e32 v11, v11
	v_mul_f32_e64 v15, 0x2f800000, |v11|
	s_delay_alu instid0(VALU_DEP_1) | instskip(NEXT) | instid1(VALU_DEP_1)
	v_floor_f32_e32 v15, v15
	v_fma_f32 v16, 0xcf800000, v15, |v11|
	v_ashrrev_i32_e32 v11, 31, v11
	v_cvt_u32_f32_e32 v15, v15
	s_delay_alu instid0(VALU_DEP_3) | instskip(NEXT) | instid1(VALU_DEP_2)
	v_cvt_u32_f32_e32 v16, v16
	v_xor_b32_e32 v15, v15, v11
	s_delay_alu instid0(VALU_DEP_2) | instskip(NEXT) | instid1(VALU_DEP_1)
	v_xor_b32_e32 v16, v16, v11
	v_sub_co_u32 v16, vcc_lo, v16, v11
	s_delay_alu instid0(VALU_DEP_3) | instskip(SKIP_1) | instid1(VALU_DEP_2)
	v_sub_co_ci_u32_e32 v11, vcc_lo, v15, v11, vcc_lo
	v_cmp_ne_u32_e32 vcc_lo, 0, v10
	v_dual_cndmask_b32 v10, 0, v16 :: v_dual_cndmask_b32 v11, 0, v11
	s_branch .LBB449_1523
.LBB449_1522:
	s_mov_b32 s2, -1
                                        ; implicit-def: $vgpr10_vgpr11
.LBB449_1523:
	s_mov_b32 s1, 0
.LBB449_1524:
	s_delay_alu instid0(SALU_CYCLE_1)
	s_and_b32 vcc_lo, exec_lo, s1
	s_cbranch_vccz .LBB449_1528
; %bb.1525:
	v_cmp_eq_u16_e32 vcc_lo, 29, v14
	s_cbranch_vccz .LBB449_1527
; %bb.1526:
	global_load_b64 v[10:11], v[12:13], off
	s_mov_b32 s2, 0
	s_mov_b32 s0, -1
	s_branch .LBB449_1528
.LBB449_1527:
	s_mov_b32 s2, -1
                                        ; implicit-def: $vgpr10_vgpr11
.LBB449_1528:
	s_mov_b32 s1, 0
.LBB449_1529:
	s_delay_alu instid0(SALU_CYCLE_1)
	s_and_b32 vcc_lo, exec_lo, s1
	s_cbranch_vccz .LBB449_1547
; %bb.1530:
	v_cmp_gt_i16_e32 vcc_lo, 27, v14
	s_cbranch_vccnz .LBB449_1533
; %bb.1531:
	v_cmp_lt_i16_e32 vcc_lo, 27, v14
	s_cbranch_vccz .LBB449_1534
; %bb.1532:
	global_load_b32 v10, v[12:13], off
	s_waitcnt vmcnt(1)
	v_mov_b32_e32 v11, 0
	s_mov_b32 s0, 0
	s_branch .LBB449_1535
.LBB449_1533:
	s_mov_b32 s0, -1
                                        ; implicit-def: $vgpr10_vgpr11
	s_branch .LBB449_1538
.LBB449_1534:
	s_mov_b32 s0, -1
                                        ; implicit-def: $vgpr10_vgpr11
.LBB449_1535:
	s_delay_alu instid0(SALU_CYCLE_1)
	s_and_not1_b32 vcc_lo, exec_lo, s0
	s_cbranch_vccnz .LBB449_1537
; %bb.1536:
	global_load_u16 v10, v[12:13], off
	s_mov_b32 s0, 0
	s_waitcnt vmcnt(0)
	v_dual_mov_b32 v11, s0 :: v_dual_and_b32 v10, 0xffff, v10
.LBB449_1537:
	s_mov_b32 s0, 0
.LBB449_1538:
	s_delay_alu instid0(SALU_CYCLE_1)
	s_and_not1_b32 vcc_lo, exec_lo, s0
	s_cbranch_vccnz .LBB449_1546
; %bb.1539:
	global_load_u8 v15, v[12:13], off
	s_mov_b32 s6, 0
	s_mov_b32 s7, exec_lo
                                        ; implicit-def: $sgpr0_sgpr1
	s_waitcnt vmcnt(0)
	v_cmpx_lt_i16_e32 0x7f, v15
	s_xor_b32 s7, exec_lo, s7
; %bb.1540:
	v_cmp_ne_u16_e32 vcc_lo, 0x80, v15
	s_mov_b64 s[0:1], 0
	s_and_b32 s6, vcc_lo, exec_lo
; %bb.1541:
	s_or_saveexec_b32 s7, s7
	v_dual_mov_b32 v11, s1 :: v_dual_mov_b32 v10, s0
	s_xor_b32 exec_lo, exec_lo, s7
; %bb.1542:
	v_cmp_ne_u16_e32 vcc_lo, 0, v15
	v_mov_b32_e32 v10, 0
	v_mov_b32_e32 v11, 0
	s_and_not1_b32 s0, s6, exec_lo
	s_and_b32 s1, vcc_lo, exec_lo
	s_delay_alu instid0(SALU_CYCLE_1)
	s_or_b32 s6, s0, s1
; %bb.1543:
	s_or_b32 exec_lo, exec_lo, s7
	s_and_saveexec_b32 s0, s6
	s_cbranch_execz .LBB449_1545
; %bb.1544:
	v_and_b32_e32 v10, 0xffff, v15
	v_lshlrev_b32_e32 v15, 24, v15
	s_delay_alu instid0(VALU_DEP_2) | instskip(NEXT) | instid1(VALU_DEP_2)
	v_and_b32_e32 v11, 7, v10
	v_and_b32_e32 v15, 0x80000000, v15
	s_delay_alu instid0(VALU_DEP_2) | instskip(NEXT) | instid1(VALU_DEP_1)
	v_clz_i32_u32_e32 v16, v11
	v_min_u32_e32 v16, 32, v16
	s_delay_alu instid0(VALU_DEP_1) | instskip(SKIP_1) | instid1(VALU_DEP_2)
	v_subrev_nc_u32_e32 v17, 28, v16
	v_sub_nc_u32_e32 v16, 29, v16
	v_lshlrev_b32_e32 v17, v17, v10
	v_bfe_u32 v10, v10, 3, 4
	s_delay_alu instid0(VALU_DEP_2) | instskip(NEXT) | instid1(VALU_DEP_2)
	v_and_b32_e32 v17, 7, v17
	v_cmp_eq_u32_e32 vcc_lo, 0, v10
	s_delay_alu instid0(VALU_DEP_2) | instskip(NEXT) | instid1(VALU_DEP_1)
	v_dual_cndmask_b32 v10, v10, v16 :: v_dual_cndmask_b32 v11, v11, v17
	v_lshl_add_u32 v10, v10, 23, 0x3b800000
	s_delay_alu instid0(VALU_DEP_2) | instskip(NEXT) | instid1(VALU_DEP_1)
	v_lshlrev_b32_e32 v11, 20, v11
	v_or3_b32 v10, v15, v10, v11
	s_delay_alu instid0(VALU_DEP_1) | instskip(NEXT) | instid1(VALU_DEP_1)
	v_trunc_f32_e32 v10, v10
	v_mul_f32_e64 v11, 0x2f800000, |v10|
	v_ashrrev_i32_e32 v16, 31, v10
	s_delay_alu instid0(VALU_DEP_2) | instskip(NEXT) | instid1(VALU_DEP_1)
	v_floor_f32_e32 v11, v11
	v_fma_f32 v15, 0xcf800000, v11, |v10|
	v_cvt_u32_f32_e32 v11, v11
	s_delay_alu instid0(VALU_DEP_2) | instskip(NEXT) | instid1(VALU_DEP_2)
	v_cvt_u32_f32_e32 v10, v15
	v_xor_b32_e32 v11, v11, v16
	s_delay_alu instid0(VALU_DEP_2) | instskip(NEXT) | instid1(VALU_DEP_1)
	v_xor_b32_e32 v10, v10, v16
	v_sub_co_u32 v10, vcc_lo, v10, v16
	s_delay_alu instid0(VALU_DEP_3)
	v_sub_co_ci_u32_e32 v11, vcc_lo, v11, v16, vcc_lo
.LBB449_1545:
	s_or_b32 exec_lo, exec_lo, s0
.LBB449_1546:
	s_mov_b32 s0, -1
.LBB449_1547:
	s_mov_b32 s1, 0
.LBB449_1548:
	s_delay_alu instid0(SALU_CYCLE_1)
	s_and_b32 vcc_lo, exec_lo, s1
	s_cbranch_vccz .LBB449_1577
; %bb.1549:
	v_cmp_lt_i16_e32 vcc_lo, 22, v14
	s_cbranch_vccz .LBB449_1559
; %bb.1550:
	v_cmp_gt_i16_e32 vcc_lo, 24, v14
	s_cbranch_vccnz .LBB449_1560
; %bb.1551:
	v_cmp_lt_i16_e32 vcc_lo, 24, v14
	s_cbranch_vccz .LBB449_1561
; %bb.1552:
	global_load_u8 v15, v[12:13], off
	s_mov_b32 s6, exec_lo
                                        ; implicit-def: $sgpr0_sgpr1
	s_waitcnt vmcnt(0)
	v_cmpx_lt_i16_e32 0x7f, v15
	s_xor_b32 s6, exec_lo, s6
; %bb.1553:
	v_cmp_ne_u16_e32 vcc_lo, 0x80, v15
	s_mov_b64 s[0:1], 0
	s_and_b32 s3, vcc_lo, exec_lo
; %bb.1554:
	s_or_saveexec_b32 s6, s6
	v_dual_mov_b32 v11, s1 :: v_dual_mov_b32 v10, s0
	s_xor_b32 exec_lo, exec_lo, s6
; %bb.1555:
	v_cmp_ne_u16_e32 vcc_lo, 0, v15
	v_mov_b32_e32 v10, 0
	v_mov_b32_e32 v11, 0
	s_and_not1_b32 s0, s3, exec_lo
	s_and_b32 s1, vcc_lo, exec_lo
	s_delay_alu instid0(SALU_CYCLE_1)
	s_or_b32 s3, s0, s1
; %bb.1556:
	s_or_b32 exec_lo, exec_lo, s6
	s_and_saveexec_b32 s0, s3
	s_cbranch_execz .LBB449_1558
; %bb.1557:
	v_and_b32_e32 v10, 0xffff, v15
	v_lshlrev_b32_e32 v15, 24, v15
	s_delay_alu instid0(VALU_DEP_2) | instskip(NEXT) | instid1(VALU_DEP_2)
	v_and_b32_e32 v11, 3, v10
	v_and_b32_e32 v15, 0x80000000, v15
	s_delay_alu instid0(VALU_DEP_2) | instskip(NEXT) | instid1(VALU_DEP_1)
	v_clz_i32_u32_e32 v16, v11
	v_min_u32_e32 v16, 32, v16
	s_delay_alu instid0(VALU_DEP_1) | instskip(SKIP_1) | instid1(VALU_DEP_2)
	v_subrev_nc_u32_e32 v17, 29, v16
	v_sub_nc_u32_e32 v16, 30, v16
	v_lshlrev_b32_e32 v17, v17, v10
	v_bfe_u32 v10, v10, 2, 5
	s_delay_alu instid0(VALU_DEP_2) | instskip(NEXT) | instid1(VALU_DEP_2)
	v_and_b32_e32 v17, 3, v17
	v_cmp_eq_u32_e32 vcc_lo, 0, v10
	s_delay_alu instid0(VALU_DEP_2) | instskip(NEXT) | instid1(VALU_DEP_1)
	v_dual_cndmask_b32 v10, v10, v16 :: v_dual_cndmask_b32 v11, v11, v17
	v_lshl_add_u32 v10, v10, 23, 0x37800000
	s_delay_alu instid0(VALU_DEP_2) | instskip(NEXT) | instid1(VALU_DEP_1)
	v_lshlrev_b32_e32 v11, 21, v11
	v_or3_b32 v10, v15, v10, v11
	s_delay_alu instid0(VALU_DEP_1) | instskip(NEXT) | instid1(VALU_DEP_1)
	v_trunc_f32_e32 v10, v10
	v_mul_f32_e64 v11, 0x2f800000, |v10|
	v_ashrrev_i32_e32 v16, 31, v10
	s_delay_alu instid0(VALU_DEP_2) | instskip(NEXT) | instid1(VALU_DEP_1)
	v_floor_f32_e32 v11, v11
	v_fma_f32 v15, 0xcf800000, v11, |v10|
	v_cvt_u32_f32_e32 v11, v11
	s_delay_alu instid0(VALU_DEP_2) | instskip(NEXT) | instid1(VALU_DEP_2)
	v_cvt_u32_f32_e32 v10, v15
	v_xor_b32_e32 v11, v11, v16
	s_delay_alu instid0(VALU_DEP_2) | instskip(NEXT) | instid1(VALU_DEP_1)
	v_xor_b32_e32 v10, v10, v16
	v_sub_co_u32 v10, vcc_lo, v10, v16
	s_delay_alu instid0(VALU_DEP_3)
	v_sub_co_ci_u32_e32 v11, vcc_lo, v11, v16, vcc_lo
.LBB449_1558:
	s_or_b32 exec_lo, exec_lo, s0
	s_mov_b32 s0, 0
	s_branch .LBB449_1562
.LBB449_1559:
	s_mov_b32 s1, -1
                                        ; implicit-def: $vgpr10_vgpr11
	s_branch .LBB449_1568
.LBB449_1560:
	s_mov_b32 s0, -1
                                        ; implicit-def: $vgpr10_vgpr11
	s_branch .LBB449_1565
.LBB449_1561:
	s_mov_b32 s0, -1
                                        ; implicit-def: $vgpr10_vgpr11
.LBB449_1562:
	s_delay_alu instid0(SALU_CYCLE_1)
	s_and_b32 vcc_lo, exec_lo, s0
	s_cbranch_vccz .LBB449_1564
; %bb.1563:
	global_load_u8 v10, v[12:13], off
	s_waitcnt vmcnt(0)
	v_lshlrev_b32_e32 v10, 24, v10
	s_delay_alu instid0(VALU_DEP_1) | instskip(NEXT) | instid1(VALU_DEP_1)
	v_and_b32_e32 v11, 0x7f000000, v10
	v_clz_i32_u32_e32 v15, v11
	v_add_nc_u32_e32 v17, 0x1000000, v11
	v_cmp_ne_u32_e32 vcc_lo, 0, v11
	s_delay_alu instid0(VALU_DEP_3) | instskip(NEXT) | instid1(VALU_DEP_1)
	v_min_u32_e32 v15, 32, v15
	v_sub_nc_u32_e64 v15, v15, 4 clamp
	s_delay_alu instid0(VALU_DEP_1) | instskip(SKIP_1) | instid1(VALU_DEP_2)
	v_lshlrev_b32_e32 v16, v15, v11
	v_lshlrev_b32_e32 v15, 23, v15
	v_lshrrev_b32_e32 v16, 4, v16
	s_delay_alu instid0(VALU_DEP_1) | instskip(SKIP_1) | instid1(VALU_DEP_2)
	v_sub_nc_u32_e32 v15, v16, v15
	v_ashrrev_i32_e32 v16, 8, v17
	v_add_nc_u32_e32 v15, 0x3c000000, v15
	s_delay_alu instid0(VALU_DEP_1) | instskip(NEXT) | instid1(VALU_DEP_1)
	v_and_or_b32 v15, 0x7f800000, v16, v15
	v_cndmask_b32_e32 v11, 0, v15, vcc_lo
	s_delay_alu instid0(VALU_DEP_1) | instskip(NEXT) | instid1(VALU_DEP_1)
	v_and_or_b32 v10, 0x80000000, v10, v11
	v_trunc_f32_e32 v10, v10
	s_delay_alu instid0(VALU_DEP_1) | instskip(SKIP_1) | instid1(VALU_DEP_2)
	v_mul_f32_e64 v11, 0x2f800000, |v10|
	v_ashrrev_i32_e32 v16, 31, v10
	v_floor_f32_e32 v11, v11
	s_delay_alu instid0(VALU_DEP_1) | instskip(SKIP_1) | instid1(VALU_DEP_2)
	v_fma_f32 v15, 0xcf800000, v11, |v10|
	v_cvt_u32_f32_e32 v11, v11
	v_cvt_u32_f32_e32 v10, v15
	s_delay_alu instid0(VALU_DEP_2) | instskip(NEXT) | instid1(VALU_DEP_2)
	v_xor_b32_e32 v11, v11, v16
	v_xor_b32_e32 v10, v10, v16
	s_delay_alu instid0(VALU_DEP_1) | instskip(NEXT) | instid1(VALU_DEP_3)
	v_sub_co_u32 v10, vcc_lo, v10, v16
	v_sub_co_ci_u32_e32 v11, vcc_lo, v11, v16, vcc_lo
.LBB449_1564:
	s_mov_b32 s0, 0
.LBB449_1565:
	s_delay_alu instid0(SALU_CYCLE_1)
	s_and_not1_b32 vcc_lo, exec_lo, s0
	s_cbranch_vccnz .LBB449_1567
; %bb.1566:
	global_load_u8 v10, v[12:13], off
	s_waitcnt vmcnt(0)
	v_lshlrev_b32_e32 v11, 25, v10
	v_lshlrev_b16 v10, 8, v10
	s_delay_alu instid0(VALU_DEP_1) | instskip(SKIP_1) | instid1(VALU_DEP_2)
	v_and_or_b32 v16, 0x7f00, v10, 0.5
	v_bfe_i32 v10, v10, 0, 16
	v_add_f32_e32 v16, -0.5, v16
	v_lshrrev_b32_e32 v15, 4, v11
	v_cmp_gt_u32_e32 vcc_lo, 0x8000000, v11
	s_delay_alu instid0(VALU_DEP_2) | instskip(NEXT) | instid1(VALU_DEP_1)
	v_or_b32_e32 v15, 0x70000000, v15
	v_mul_f32_e32 v15, 0x7800000, v15
	s_delay_alu instid0(VALU_DEP_1) | instskip(NEXT) | instid1(VALU_DEP_1)
	v_cndmask_b32_e32 v11, v15, v16, vcc_lo
	v_and_or_b32 v10, 0x80000000, v10, v11
	s_delay_alu instid0(VALU_DEP_1) | instskip(NEXT) | instid1(VALU_DEP_1)
	v_trunc_f32_e32 v10, v10
	v_mul_f32_e64 v11, 0x2f800000, |v10|
	v_ashrrev_i32_e32 v16, 31, v10
	s_delay_alu instid0(VALU_DEP_2) | instskip(NEXT) | instid1(VALU_DEP_1)
	v_floor_f32_e32 v11, v11
	v_fma_f32 v15, 0xcf800000, v11, |v10|
	v_cvt_u32_f32_e32 v11, v11
	s_delay_alu instid0(VALU_DEP_2) | instskip(NEXT) | instid1(VALU_DEP_2)
	v_cvt_u32_f32_e32 v10, v15
	v_xor_b32_e32 v11, v11, v16
	s_delay_alu instid0(VALU_DEP_2) | instskip(NEXT) | instid1(VALU_DEP_1)
	v_xor_b32_e32 v10, v10, v16
	v_sub_co_u32 v10, vcc_lo, v10, v16
	s_delay_alu instid0(VALU_DEP_3)
	v_sub_co_ci_u32_e32 v11, vcc_lo, v11, v16, vcc_lo
.LBB449_1567:
	s_mov_b32 s1, 0
	s_mov_b32 s0, -1
.LBB449_1568:
	s_and_not1_b32 vcc_lo, exec_lo, s1
	s_mov_b32 s3, 0
	s_cbranch_vccnz .LBB449_1577
; %bb.1569:
	v_cmp_lt_i16_e32 vcc_lo, 14, v14
	s_cbranch_vccz .LBB449_1572
; %bb.1570:
	v_cmp_eq_u16_e32 vcc_lo, 15, v14
	s_cbranch_vccz .LBB449_1573
; %bb.1571:
	global_load_u16 v10, v[12:13], off
	s_mov_b32 s2, 0
	s_mov_b32 s0, -1
	s_waitcnt vmcnt(0)
	v_lshlrev_b32_e32 v10, 16, v10
	s_delay_alu instid0(VALU_DEP_1) | instskip(NEXT) | instid1(VALU_DEP_1)
	v_trunc_f32_e32 v10, v10
	v_mul_f32_e64 v11, 0x2f800000, |v10|
	v_ashrrev_i32_e32 v16, 31, v10
	s_delay_alu instid0(VALU_DEP_2) | instskip(NEXT) | instid1(VALU_DEP_1)
	v_floor_f32_e32 v11, v11
	v_fma_f32 v15, 0xcf800000, v11, |v10|
	v_cvt_u32_f32_e32 v11, v11
	s_delay_alu instid0(VALU_DEP_2) | instskip(NEXT) | instid1(VALU_DEP_2)
	v_cvt_u32_f32_e32 v10, v15
	v_xor_b32_e32 v11, v11, v16
	s_delay_alu instid0(VALU_DEP_2) | instskip(NEXT) | instid1(VALU_DEP_1)
	v_xor_b32_e32 v10, v10, v16
	v_sub_co_u32 v10, vcc_lo, v10, v16
	s_delay_alu instid0(VALU_DEP_3)
	v_sub_co_ci_u32_e32 v11, vcc_lo, v11, v16, vcc_lo
	s_branch .LBB449_1574
.LBB449_1572:
	s_mov_b32 s1, -1
                                        ; implicit-def: $vgpr10_vgpr11
	s_branch .LBB449_1575
.LBB449_1573:
	s_mov_b32 s2, -1
                                        ; implicit-def: $vgpr10_vgpr11
.LBB449_1574:
	s_mov_b32 s1, 0
.LBB449_1575:
	s_delay_alu instid0(SALU_CYCLE_1)
	s_and_b32 vcc_lo, exec_lo, s1
	s_cbranch_vccz .LBB449_1577
; %bb.1576:
	v_cmp_ne_u16_e64 s2, 11, v14
	s_mov_b32 s3, -1
                                        ; implicit-def: $vgpr10_vgpr11
.LBB449_1577:
	s_delay_alu instid0(VALU_DEP_1)
	s_and_b32 vcc_lo, exec_lo, s2
	s_cbranch_vccnz .LBB449_1640
; %bb.1578:
	s_and_not1_b32 vcc_lo, exec_lo, s3
	s_cbranch_vccnz .LBB449_1580
.LBB449_1579:
	global_load_u8 v10, v[12:13], off
	s_mov_b32 s0, 0
	s_waitcnt vmcnt(1)
	v_mov_b32_e32 v11, s0
	s_mov_b32 s0, -1
	s_waitcnt vmcnt(0)
	v_cmp_ne_u16_e32 vcc_lo, 0, v10
	v_cndmask_b32_e64 v10, 0, 1, vcc_lo
.LBB449_1580:
	s_mov_b32 s1, 0
.LBB449_1581:
	s_delay_alu instid0(SALU_CYCLE_1)
	s_and_b32 vcc_lo, exec_lo, s1
	s_cbranch_vccz .LBB449_1630
; %bb.1582:
	v_cmp_gt_i16_e32 vcc_lo, 5, v14
	s_cbranch_vccnz .LBB449_1587
; %bb.1583:
	v_cmp_gt_i16_e32 vcc_lo, 8, v14
	s_cbranch_vccnz .LBB449_1588
	;; [unrolled: 3-line block ×3, first 2 shown]
; %bb.1585:
	v_cmp_lt_i16_e32 vcc_lo, 9, v14
	s_cbranch_vccz .LBB449_1590
; %bb.1586:
	global_load_b64 v[10:11], v[12:13], off
	s_mov_b32 s0, 0
	s_waitcnt vmcnt(0)
	v_trunc_f64_e32 v[10:11], v[10:11]
	s_delay_alu instid0(VALU_DEP_1) | instskip(NEXT) | instid1(VALU_DEP_1)
	v_ldexp_f64 v[15:16], v[10:11], 0xffffffe0
	v_floor_f64_e32 v[15:16], v[15:16]
	s_delay_alu instid0(VALU_DEP_1) | instskip(SKIP_1) | instid1(VALU_DEP_2)
	v_fma_f64 v[17:18], 0xc1f00000, v[15:16], v[10:11]
	v_cvt_i32_f64_e32 v11, v[15:16]
	v_cvt_u32_f64_e32 v10, v[17:18]
	s_branch .LBB449_1591
.LBB449_1587:
	s_mov_b32 s0, -1
                                        ; implicit-def: $vgpr10_vgpr11
	s_branch .LBB449_1609
.LBB449_1588:
	s_mov_b32 s0, -1
                                        ; implicit-def: $vgpr10_vgpr11
	s_branch .LBB449_1597
.LBB449_1589:
	s_mov_b32 s0, -1
                                        ; implicit-def: $vgpr10_vgpr11
	s_branch .LBB449_1594
.LBB449_1590:
	s_mov_b32 s0, -1
                                        ; implicit-def: $vgpr10_vgpr11
.LBB449_1591:
	s_delay_alu instid0(SALU_CYCLE_1)
	s_and_not1_b32 vcc_lo, exec_lo, s0
	s_cbranch_vccnz .LBB449_1593
; %bb.1592:
	global_load_b32 v10, v[12:13], off
	s_waitcnt vmcnt(0)
	v_trunc_f32_e32 v10, v10
	s_delay_alu instid0(VALU_DEP_1) | instskip(SKIP_1) | instid1(VALU_DEP_2)
	v_mul_f32_e64 v11, 0x2f800000, |v10|
	v_ashrrev_i32_e32 v16, 31, v10
	v_floor_f32_e32 v11, v11
	s_delay_alu instid0(VALU_DEP_1) | instskip(SKIP_1) | instid1(VALU_DEP_2)
	v_fma_f32 v15, 0xcf800000, v11, |v10|
	v_cvt_u32_f32_e32 v11, v11
	v_cvt_u32_f32_e32 v10, v15
	s_delay_alu instid0(VALU_DEP_2) | instskip(NEXT) | instid1(VALU_DEP_2)
	v_xor_b32_e32 v11, v11, v16
	v_xor_b32_e32 v10, v10, v16
	s_delay_alu instid0(VALU_DEP_1) | instskip(NEXT) | instid1(VALU_DEP_3)
	v_sub_co_u32 v10, vcc_lo, v10, v16
	v_sub_co_ci_u32_e32 v11, vcc_lo, v11, v16, vcc_lo
.LBB449_1593:
	s_mov_b32 s0, 0
.LBB449_1594:
	s_delay_alu instid0(SALU_CYCLE_1)
	s_and_not1_b32 vcc_lo, exec_lo, s0
	s_cbranch_vccnz .LBB449_1596
; %bb.1595:
	global_load_b32 v10, v[12:13], off
	s_waitcnt vmcnt(0)
	v_cvt_f32_f16_e32 v10, v10
	s_delay_alu instid0(VALU_DEP_1) | instskip(NEXT) | instid1(VALU_DEP_1)
	v_cvt_i32_f32_e32 v10, v10
	v_ashrrev_i32_e32 v11, 31, v10
.LBB449_1596:
	s_mov_b32 s0, 0
.LBB449_1597:
	s_delay_alu instid0(SALU_CYCLE_1)
	s_and_not1_b32 vcc_lo, exec_lo, s0
	s_cbranch_vccnz .LBB449_1608
; %bb.1598:
	v_cmp_gt_i16_e32 vcc_lo, 6, v14
	s_cbranch_vccnz .LBB449_1601
; %bb.1599:
	v_cmp_lt_i16_e32 vcc_lo, 6, v14
	s_cbranch_vccz .LBB449_1602
; %bb.1600:
	global_load_b64 v[10:11], v[12:13], off
	s_mov_b32 s0, 0
	s_waitcnt vmcnt(0)
	v_trunc_f64_e32 v[10:11], v[10:11]
	s_delay_alu instid0(VALU_DEP_1) | instskip(NEXT) | instid1(VALU_DEP_1)
	v_ldexp_f64 v[15:16], v[10:11], 0xffffffe0
	v_floor_f64_e32 v[15:16], v[15:16]
	s_delay_alu instid0(VALU_DEP_1) | instskip(SKIP_1) | instid1(VALU_DEP_2)
	v_fma_f64 v[17:18], 0xc1f00000, v[15:16], v[10:11]
	v_cvt_i32_f64_e32 v11, v[15:16]
	v_cvt_u32_f64_e32 v10, v[17:18]
	s_branch .LBB449_1603
.LBB449_1601:
	s_mov_b32 s0, -1
                                        ; implicit-def: $vgpr10_vgpr11
	s_branch .LBB449_1606
.LBB449_1602:
	s_mov_b32 s0, -1
                                        ; implicit-def: $vgpr10_vgpr11
.LBB449_1603:
	s_delay_alu instid0(SALU_CYCLE_1)
	s_and_not1_b32 vcc_lo, exec_lo, s0
	s_cbranch_vccnz .LBB449_1605
; %bb.1604:
	global_load_b32 v10, v[12:13], off
	s_waitcnt vmcnt(0)
	v_trunc_f32_e32 v10, v10
	s_delay_alu instid0(VALU_DEP_1) | instskip(SKIP_1) | instid1(VALU_DEP_2)
	v_mul_f32_e64 v11, 0x2f800000, |v10|
	v_ashrrev_i32_e32 v16, 31, v10
	v_floor_f32_e32 v11, v11
	s_delay_alu instid0(VALU_DEP_1) | instskip(SKIP_1) | instid1(VALU_DEP_2)
	v_fma_f32 v15, 0xcf800000, v11, |v10|
	v_cvt_u32_f32_e32 v11, v11
	v_cvt_u32_f32_e32 v10, v15
	s_delay_alu instid0(VALU_DEP_2) | instskip(NEXT) | instid1(VALU_DEP_2)
	v_xor_b32_e32 v11, v11, v16
	v_xor_b32_e32 v10, v10, v16
	s_delay_alu instid0(VALU_DEP_1) | instskip(NEXT) | instid1(VALU_DEP_3)
	v_sub_co_u32 v10, vcc_lo, v10, v16
	v_sub_co_ci_u32_e32 v11, vcc_lo, v11, v16, vcc_lo
.LBB449_1605:
	s_mov_b32 s0, 0
.LBB449_1606:
	s_delay_alu instid0(SALU_CYCLE_1)
	s_and_not1_b32 vcc_lo, exec_lo, s0
	s_cbranch_vccnz .LBB449_1608
; %bb.1607:
	global_load_u16 v10, v[12:13], off
	s_waitcnt vmcnt(0)
	v_cvt_f32_f16_e32 v10, v10
	s_delay_alu instid0(VALU_DEP_1) | instskip(NEXT) | instid1(VALU_DEP_1)
	v_cvt_i32_f32_e32 v10, v10
	v_ashrrev_i32_e32 v11, 31, v10
.LBB449_1608:
	s_mov_b32 s0, 0
.LBB449_1609:
	s_delay_alu instid0(SALU_CYCLE_1)
	s_and_not1_b32 vcc_lo, exec_lo, s0
	s_cbranch_vccnz .LBB449_1629
; %bb.1610:
	v_cmp_gt_i16_e32 vcc_lo, 2, v14
	s_cbranch_vccnz .LBB449_1614
; %bb.1611:
	v_cmp_gt_i16_e32 vcc_lo, 3, v14
	s_cbranch_vccnz .LBB449_1615
; %bb.1612:
	v_cmp_lt_i16_e32 vcc_lo, 3, v14
	s_cbranch_vccz .LBB449_1616
; %bb.1613:
	global_load_b64 v[10:11], v[12:13], off
	s_mov_b32 s0, 0
	s_branch .LBB449_1617
.LBB449_1614:
	s_mov_b32 s0, -1
                                        ; implicit-def: $vgpr10_vgpr11
	s_branch .LBB449_1623
.LBB449_1615:
	s_mov_b32 s0, -1
                                        ; implicit-def: $vgpr10_vgpr11
	s_branch .LBB449_1620
.LBB449_1616:
	s_mov_b32 s0, -1
                                        ; implicit-def: $vgpr10_vgpr11
.LBB449_1617:
	s_delay_alu instid0(SALU_CYCLE_1)
	s_and_not1_b32 vcc_lo, exec_lo, s0
	s_cbranch_vccnz .LBB449_1619
; %bb.1618:
	global_load_b32 v10, v[12:13], off
	s_waitcnt vmcnt(0)
	v_ashrrev_i32_e32 v11, 31, v10
.LBB449_1619:
	s_mov_b32 s0, 0
.LBB449_1620:
	s_delay_alu instid0(SALU_CYCLE_1)
	s_and_not1_b32 vcc_lo, exec_lo, s0
	s_cbranch_vccnz .LBB449_1622
; %bb.1621:
	global_load_u16 v10, v[12:13], off
	s_waitcnt vmcnt(0)
	v_bfe_i32 v10, v10, 0, 16
	s_delay_alu instid0(VALU_DEP_1)
	v_ashrrev_i32_e32 v11, 31, v10
.LBB449_1622:
	s_mov_b32 s0, 0
.LBB449_1623:
	s_delay_alu instid0(SALU_CYCLE_1)
	s_and_not1_b32 vcc_lo, exec_lo, s0
	s_cbranch_vccnz .LBB449_1629
; %bb.1624:
	v_cmp_lt_i16_e32 vcc_lo, 0, v14
	s_mov_b32 s0, 0
	s_cbranch_vccz .LBB449_1626
; %bb.1625:
	global_load_i8 v10, v[12:13], off
	s_waitcnt vmcnt(0)
	v_bfe_i32 v10, v10, 0, 16
	s_delay_alu instid0(VALU_DEP_1)
	v_ashrrev_i32_e32 v11, 31, v10
	s_branch .LBB449_1627
.LBB449_1626:
	s_mov_b32 s0, -1
                                        ; implicit-def: $vgpr10_vgpr11
.LBB449_1627:
	s_delay_alu instid0(SALU_CYCLE_1)
	s_and_not1_b32 vcc_lo, exec_lo, s0
	s_cbranch_vccnz .LBB449_1629
; %bb.1628:
	global_load_u8 v10, v[12:13], off
	s_mov_b32 s0, 0
	s_waitcnt vmcnt(0)
	v_dual_mov_b32 v11, s0 :: v_dual_and_b32 v10, 0xffff, v10
.LBB449_1629:
	s_mov_b32 s0, -1
.LBB449_1630:
	s_delay_alu instid0(SALU_CYCLE_1)
	s_and_not1_b32 vcc_lo, exec_lo, s0
	s_cbranch_vccnz .LBB449_2020
; %bb.1631:
	s_clause 0x1
	s_load_b64 s[2:3], s[16:17], 0x158
	s_load_b32 s0, s[16:17], 0x160
	v_add_co_u32 v12, s1, s4, v3
	s_delay_alu instid0(VALU_DEP_1) | instskip(SKIP_4) | instid1(SALU_CYCLE_1)
	v_add_co_ci_u32_e64 v13, null, s5, 0, s1
	s_mov_b32 s7, 0
	s_waitcnt vmcnt(0) lgkmcnt(0)
	v_cmp_gt_i64_e32 vcc_lo, s[2:3], v[4:5]
	s_and_b32 s6, s0, 0xff
	v_cmp_lt_i16_e64 s0, s6, 11
	v_cndmask_b32_e32 v5, s3, v5, vcc_lo
	v_cndmask_b32_e32 v4, s2, v4, vcc_lo
	s_delay_alu instid0(VALU_DEP_3)
	s_and_b32 vcc_lo, exec_lo, s0
	s_mov_b32 s0, -1
	s_cbranch_vccnz .LBB449_1714
; %bb.1632:
	v_cmp_gt_i16_e64 s0, s6, 25
	s_mov_b32 s11, -1
	s_mov_b32 s1, 0
	s_delay_alu instid0(VALU_DEP_1)
	s_and_b32 vcc_lo, exec_lo, s0
	s_mov_b32 s0, 0
	s_cbranch_vccz .LBB449_1670
; %bb.1633:
	v_cmp_gt_i16_e64 s0, s6, 28
	s_delay_alu instid0(VALU_DEP_1)
	s_and_b32 vcc_lo, exec_lo, s0
	s_cbranch_vccz .LBB449_1638
; %bb.1634:
	v_cmp_gt_i16_e64 s0, s6, 43
	s_delay_alu instid0(VALU_DEP_1)
	s_and_b32 vcc_lo, exec_lo, s0
	s_cbranch_vccz .LBB449_1639
; %bb.1635:
	v_cmp_gt_i16_e64 s0, s6, 45
	s_delay_alu instid0(VALU_DEP_1)
	s_and_b32 vcc_lo, exec_lo, s0
	s_cbranch_vccz .LBB449_1642
; %bb.1636:
	v_cmp_eq_u16_e64 s7, s6, 46
	s_mov_b32 s0, -1
	s_mov_b32 s11, 0
	s_delay_alu instid0(VALU_DEP_1)
	s_and_b32 vcc_lo, exec_lo, s7
	s_mov_b32 s7, 0
	s_cbranch_vccz .LBB449_1643
; %bb.1637:
	v_xor_b32_e32 v3, v4, v5
	v_cls_i32_e32 v14, v5
	s_mov_b32 s7, -1
	s_mov_b32 s0, 0
	s_delay_alu instid0(VALU_DEP_2) | instskip(NEXT) | instid1(VALU_DEP_2)
	v_ashrrev_i32_e32 v3, 31, v3
	v_add_nc_u32_e32 v14, -1, v14
	s_delay_alu instid0(VALU_DEP_2) | instskip(NEXT) | instid1(VALU_DEP_1)
	v_add_nc_u32_e32 v3, 32, v3
	v_min_u32_e32 v3, v14, v3
	s_delay_alu instid0(VALU_DEP_1) | instskip(SKIP_1) | instid1(VALU_DEP_2)
	v_lshlrev_b64 v[14:15], v3, v[4:5]
	v_sub_nc_u32_e32 v3, 32, v3
	v_min_u32_e32 v14, 1, v14
	s_delay_alu instid0(VALU_DEP_1) | instskip(NEXT) | instid1(VALU_DEP_1)
	v_or_b32_e32 v14, v15, v14
	v_cvt_f32_i32_e32 v14, v14
	s_delay_alu instid0(VALU_DEP_1) | instskip(NEXT) | instid1(VALU_DEP_1)
	v_ldexp_f32 v3, v14, v3
	v_bfe_u32 v14, v3, 16, 1
	s_delay_alu instid0(VALU_DEP_1) | instskip(NEXT) | instid1(VALU_DEP_1)
	v_add3_u32 v3, v3, v14, 0x7fff
	v_lshrrev_b32_e32 v3, 16, v3
	global_store_b32 v[12:13], v3, off
	s_branch .LBB449_1643
.LBB449_1638:
	s_mov_b32 s0, 0
	s_branch .LBB449_1653
.LBB449_1639:
	s_mov_b32 s0, 0
	s_branch .LBB449_1649
.LBB449_1640:
	s_cbranch_execnz .LBB449_1765
; %bb.1641:
	s_or_b32 s10, s10, exec_lo
                                        ; implicit-def: $vgpr10_vgpr11
	s_cbranch_execz .LBB449_1579
	s_branch .LBB449_1580
.LBB449_1642:
	s_mov_b32 s0, 0
.LBB449_1643:
	s_and_b32 vcc_lo, exec_lo, s11
	s_cbranch_vccz .LBB449_1648
; %bb.1644:
	v_cmp_eq_u16_e64 s0, s6, 44
	s_delay_alu instid0(VALU_DEP_1)
	s_and_b32 vcc_lo, exec_lo, s0
	s_mov_b32 s0, -1
	s_cbranch_vccz .LBB449_1648
; %bb.1645:
	v_xor_b32_e32 v3, v4, v5
	v_cls_i32_e32 v14, v5
	s_mov_b32 s7, -1
	s_mov_b32 s11, exec_lo
	s_delay_alu instid0(VALU_DEP_2) | instskip(NEXT) | instid1(VALU_DEP_2)
	v_ashrrev_i32_e32 v3, 31, v3
	v_add_nc_u32_e32 v14, -1, v14
	s_delay_alu instid0(VALU_DEP_2) | instskip(NEXT) | instid1(VALU_DEP_1)
	v_add_nc_u32_e32 v3, 32, v3
	v_min_u32_e32 v3, v14, v3
	s_delay_alu instid0(VALU_DEP_1) | instskip(SKIP_1) | instid1(VALU_DEP_2)
	v_lshlrev_b64 v[14:15], v3, v[4:5]
	v_sub_nc_u32_e32 v3, 32, v3
	v_min_u32_e32 v14, 1, v14
	s_delay_alu instid0(VALU_DEP_1) | instskip(NEXT) | instid1(VALU_DEP_1)
	v_or_b32_e32 v14, v15, v14
	v_cvt_f32_i32_e32 v14, v14
	s_delay_alu instid0(VALU_DEP_1) | instskip(SKIP_1) | instid1(VALU_DEP_2)
	v_ldexp_f32 v3, v14, v3
	v_mov_b32_e32 v14, 0xff
	v_bfe_u32 v15, v3, 23, 8
	s_delay_alu instid0(VALU_DEP_1)
	v_cmpx_ne_u32_e32 0xff, v15
; %bb.1646:
	v_and_b32_e32 v14, 0x400000, v3
	v_and_or_b32 v15, 0x3fffff, v3, v15
	v_lshrrev_b32_e32 v3, 23, v3
	s_delay_alu instid0(VALU_DEP_3) | instskip(NEXT) | instid1(VALU_DEP_3)
	v_cmp_ne_u32_e32 vcc_lo, 0, v14
	v_cmp_ne_u32_e64 s0, 0, v15
	s_delay_alu instid0(VALU_DEP_1) | instskip(NEXT) | instid1(SALU_CYCLE_1)
	s_and_b32 s0, vcc_lo, s0
	v_cndmask_b32_e64 v14, 0, 1, s0
	s_delay_alu instid0(VALU_DEP_1)
	v_add_nc_u32_e32 v14, v3, v14
; %bb.1647:
	s_or_b32 exec_lo, exec_lo, s11
	s_mov_b32 s0, 0
	global_store_b8 v[12:13], v14, off
.LBB449_1648:
	s_mov_b32 s11, 0
.LBB449_1649:
	s_delay_alu instid0(SALU_CYCLE_1)
	s_and_b32 vcc_lo, exec_lo, s11
	s_cbranch_vccz .LBB449_1652
; %bb.1650:
	v_cmp_eq_u16_e64 s0, s6, 29
	s_delay_alu instid0(VALU_DEP_1)
	s_and_b32 vcc_lo, exec_lo, s0
	s_mov_b32 s0, -1
	s_cbranch_vccz .LBB449_1652
; %bb.1651:
	s_mov_b32 s0, 0
	s_mov_b32 s7, -1
	global_store_b64 v[12:13], v[4:5], off
.LBB449_1652:
	s_mov_b32 s11, 0
.LBB449_1653:
	s_delay_alu instid0(SALU_CYCLE_1)
	s_and_b32 vcc_lo, exec_lo, s11
	s_cbranch_vccz .LBB449_1669
; %bb.1654:
	v_cmp_lt_i16_e64 s7, s6, 27
	s_delay_alu instid0(VALU_DEP_1)
	s_and_b32 vcc_lo, exec_lo, s7
	s_mov_b32 s7, -1
	s_cbranch_vccnz .LBB449_1660
; %bb.1655:
	v_cmp_gt_i16_e64 s7, s6, 27
	s_delay_alu instid0(VALU_DEP_1)
	s_and_b32 vcc_lo, exec_lo, s7
	s_mov_b32 s7, -1
	s_cbranch_vccz .LBB449_1657
; %bb.1656:
	s_mov_b32 s7, 0
	global_store_b32 v[12:13], v4, off
.LBB449_1657:
	s_and_not1_b32 vcc_lo, exec_lo, s7
	s_cbranch_vccnz .LBB449_1659
; %bb.1658:
	global_store_b16 v[12:13], v4, off
.LBB449_1659:
	s_mov_b32 s7, 0
.LBB449_1660:
	s_delay_alu instid0(SALU_CYCLE_1)
	s_and_not1_b32 vcc_lo, exec_lo, s7
	s_cbranch_vccnz .LBB449_1668
; %bb.1661:
	v_xor_b32_e32 v3, v4, v5
	v_cls_i32_e32 v14, v5
	s_mov_b32 s7, exec_lo
	s_delay_alu instid0(VALU_DEP_2) | instskip(NEXT) | instid1(VALU_DEP_2)
	v_ashrrev_i32_e32 v3, 31, v3
	v_add_nc_u32_e32 v14, -1, v14
	s_delay_alu instid0(VALU_DEP_2) | instskip(NEXT) | instid1(VALU_DEP_1)
	v_add_nc_u32_e32 v3, 32, v3
	v_min_u32_e32 v3, v14, v3
	s_delay_alu instid0(VALU_DEP_1) | instskip(SKIP_1) | instid1(VALU_DEP_2)
	v_lshlrev_b64 v[14:15], v3, v[4:5]
	v_sub_nc_u32_e32 v3, 32, v3
	v_min_u32_e32 v14, 1, v14
	s_delay_alu instid0(VALU_DEP_1) | instskip(SKIP_1) | instid1(VALU_DEP_2)
	v_or_b32_e32 v14, v15, v14
	v_mov_b32_e32 v15, 0x80
	v_cvt_f32_i32_e32 v14, v14
	s_delay_alu instid0(VALU_DEP_1) | instskip(NEXT) | instid1(VALU_DEP_1)
	v_ldexp_f32 v3, v14, v3
	v_and_b32_e32 v14, 0x7fffffff, v3
	s_delay_alu instid0(VALU_DEP_1)
	v_cmpx_gt_u32_e32 0x43800000, v14
	s_cbranch_execz .LBB449_1667
; %bb.1662:
	v_cmp_lt_u32_e32 vcc_lo, 0x3bffffff, v14
	s_mov_b32 s11, 0
                                        ; implicit-def: $vgpr14
	s_and_saveexec_b32 s12, vcc_lo
	s_delay_alu instid0(SALU_CYCLE_1)
	s_xor_b32 s12, exec_lo, s12
	s_cbranch_execz .LBB449_1762
; %bb.1663:
	v_bfe_u32 v14, v3, 20, 1
	s_mov_b32 s11, exec_lo
	s_delay_alu instid0(VALU_DEP_1) | instskip(NEXT) | instid1(VALU_DEP_1)
	v_add3_u32 v14, v3, v14, 0x487ffff
	v_lshrrev_b32_e32 v14, 20, v14
	s_or_saveexec_b32 s12, s12
                                        ; implicit-def: $sgpr13
	s_delay_alu instid0(SALU_CYCLE_1)
	s_xor_b32 exec_lo, exec_lo, s12
	s_cbranch_execnz .LBB449_1763
.LBB449_1664:
	s_or_b32 exec_lo, exec_lo, s12
	v_mov_b32_e32 v15, s13
	s_and_saveexec_b32 s12, s11
.LBB449_1665:
	v_lshrrev_b32_e32 v3, 24, v3
	s_delay_alu instid0(VALU_DEP_1)
	v_and_or_b32 v15, 0x80, v3, v14
.LBB449_1666:
	s_or_b32 exec_lo, exec_lo, s12
.LBB449_1667:
	s_delay_alu instid0(SALU_CYCLE_1)
	s_or_b32 exec_lo, exec_lo, s7
	global_store_b8 v[12:13], v15, off
.LBB449_1668:
	s_mov_b32 s7, -1
.LBB449_1669:
	s_mov_b32 s11, 0
.LBB449_1670:
	s_delay_alu instid0(SALU_CYCLE_1)
	s_and_b32 vcc_lo, exec_lo, s11
	s_cbranch_vccz .LBB449_1710
; %bb.1671:
	v_cmp_gt_i16_e64 s1, s6, 22
	s_delay_alu instid0(VALU_DEP_1)
	s_and_b32 vcc_lo, exec_lo, s1
	s_mov_b32 s1, -1
	s_cbranch_vccz .LBB449_1703
; %bb.1672:
	v_cmp_lt_i16_e64 s1, s6, 24
	s_delay_alu instid0(VALU_DEP_1)
	s_and_b32 vcc_lo, exec_lo, s1
	s_mov_b32 s1, -1
	s_cbranch_vccnz .LBB449_1692
; %bb.1673:
	v_cmp_gt_i16_e64 s1, s6, 24
	s_delay_alu instid0(VALU_DEP_1)
	s_and_b32 vcc_lo, exec_lo, s1
	s_mov_b32 s1, -1
	s_cbranch_vccz .LBB449_1681
; %bb.1674:
	v_xor_b32_e32 v3, v4, v5
	v_cls_i32_e32 v14, v5
	s_mov_b32 s1, exec_lo
	s_delay_alu instid0(VALU_DEP_2) | instskip(NEXT) | instid1(VALU_DEP_2)
	v_ashrrev_i32_e32 v3, 31, v3
	v_add_nc_u32_e32 v14, -1, v14
	s_delay_alu instid0(VALU_DEP_2) | instskip(NEXT) | instid1(VALU_DEP_1)
	v_add_nc_u32_e32 v3, 32, v3
	v_min_u32_e32 v3, v14, v3
	s_delay_alu instid0(VALU_DEP_1) | instskip(SKIP_1) | instid1(VALU_DEP_2)
	v_lshlrev_b64 v[14:15], v3, v[4:5]
	v_sub_nc_u32_e32 v3, 32, v3
	v_min_u32_e32 v14, 1, v14
	s_delay_alu instid0(VALU_DEP_1) | instskip(SKIP_1) | instid1(VALU_DEP_2)
	v_or_b32_e32 v14, v15, v14
	v_mov_b32_e32 v15, 0x80
	v_cvt_f32_i32_e32 v14, v14
	s_delay_alu instid0(VALU_DEP_1) | instskip(NEXT) | instid1(VALU_DEP_1)
	v_ldexp_f32 v3, v14, v3
	v_and_b32_e32 v14, 0x7fffffff, v3
	s_delay_alu instid0(VALU_DEP_1)
	v_cmpx_gt_u32_e32 0x47800000, v14
	s_cbranch_execz .LBB449_1680
; %bb.1675:
	v_cmp_lt_u32_e32 vcc_lo, 0x37ffffff, v14
	s_mov_b32 s7, 0
                                        ; implicit-def: $vgpr14
	s_and_saveexec_b32 s11, vcc_lo
	s_delay_alu instid0(SALU_CYCLE_1)
	s_xor_b32 s11, exec_lo, s11
	s_cbranch_execz .LBB449_1769
; %bb.1676:
	v_bfe_u32 v14, v3, 21, 1
	s_mov_b32 s7, exec_lo
	s_delay_alu instid0(VALU_DEP_1) | instskip(NEXT) | instid1(VALU_DEP_1)
	v_add3_u32 v14, v3, v14, 0x88fffff
	v_lshrrev_b32_e32 v14, 21, v14
	s_or_saveexec_b32 s11, s11
                                        ; implicit-def: $sgpr12
	s_delay_alu instid0(SALU_CYCLE_1)
	s_xor_b32 exec_lo, exec_lo, s11
	s_cbranch_execnz .LBB449_1770
.LBB449_1677:
	s_or_b32 exec_lo, exec_lo, s11
	v_mov_b32_e32 v15, s12
	s_and_saveexec_b32 s11, s7
.LBB449_1678:
	v_lshrrev_b32_e32 v3, 24, v3
	s_delay_alu instid0(VALU_DEP_1)
	v_and_or_b32 v15, 0x80, v3, v14
.LBB449_1679:
	s_or_b32 exec_lo, exec_lo, s11
.LBB449_1680:
	s_delay_alu instid0(SALU_CYCLE_1)
	s_or_b32 exec_lo, exec_lo, s1
	s_mov_b32 s1, 0
	global_store_b8 v[12:13], v15, off
.LBB449_1681:
	s_and_b32 vcc_lo, exec_lo, s1
	s_cbranch_vccz .LBB449_1691
; %bb.1682:
	v_xor_b32_e32 v3, v4, v5
	v_cls_i32_e32 v14, v5
	s_mov_b32 s1, exec_lo
	s_delay_alu instid0(VALU_DEP_2) | instskip(NEXT) | instid1(VALU_DEP_2)
	v_ashrrev_i32_e32 v3, 31, v3
	v_add_nc_u32_e32 v14, -1, v14
	s_delay_alu instid0(VALU_DEP_2) | instskip(NEXT) | instid1(VALU_DEP_1)
	v_add_nc_u32_e32 v3, 32, v3
	v_min_u32_e32 v3, v14, v3
	s_delay_alu instid0(VALU_DEP_1) | instskip(SKIP_1) | instid1(VALU_DEP_2)
	v_lshlrev_b64 v[14:15], v3, v[4:5]
	v_sub_nc_u32_e32 v3, 32, v3
	v_min_u32_e32 v14, 1, v14
	s_delay_alu instid0(VALU_DEP_1) | instskip(NEXT) | instid1(VALU_DEP_1)
	v_or_b32_e32 v14, v15, v14
	v_cvt_f32_i32_e32 v14, v14
	s_delay_alu instid0(VALU_DEP_1) | instskip(NEXT) | instid1(VALU_DEP_1)
	v_ldexp_f32 v3, v14, v3
                                        ; implicit-def: $vgpr14
	v_and_b32_e32 v15, 0x7fffffff, v3
	s_delay_alu instid0(VALU_DEP_1)
	v_cmpx_gt_u32_e32 0x43f00000, v15
	s_xor_b32 s1, exec_lo, s1
	s_cbranch_execz .LBB449_1688
; %bb.1683:
	s_mov_b32 s7, exec_lo
                                        ; implicit-def: $vgpr14
	v_cmpx_lt_u32_e32 0x3c7fffff, v15
	s_xor_b32 s7, exec_lo, s7
; %bb.1684:
	v_bfe_u32 v14, v3, 20, 1
	s_delay_alu instid0(VALU_DEP_1) | instskip(NEXT) | instid1(VALU_DEP_1)
	v_add3_u32 v14, v3, v14, 0x407ffff
	v_and_b32_e32 v15, 0xff00000, v14
	v_lshrrev_b32_e32 v14, 20, v14
	s_delay_alu instid0(VALU_DEP_2) | instskip(NEXT) | instid1(VALU_DEP_2)
	v_cmp_ne_u32_e32 vcc_lo, 0x7f00000, v15
	v_cndmask_b32_e32 v14, 0x7e, v14, vcc_lo
; %bb.1685:
	s_and_not1_saveexec_b32 s7, s7
; %bb.1686:
	v_add_f32_e64 v14, 0x46800000, |v3|
; %bb.1687:
	s_or_b32 exec_lo, exec_lo, s7
                                        ; implicit-def: $vgpr15
.LBB449_1688:
	s_and_not1_saveexec_b32 s1, s1
; %bb.1689:
	v_mov_b32_e32 v14, 0x7f
	v_cmp_lt_u32_e32 vcc_lo, 0x7f800000, v15
	s_delay_alu instid0(VALU_DEP_2)
	v_cndmask_b32_e32 v14, 0x7e, v14, vcc_lo
; %bb.1690:
	s_or_b32 exec_lo, exec_lo, s1
	v_lshrrev_b32_e32 v3, 24, v3
	s_delay_alu instid0(VALU_DEP_1)
	v_and_or_b32 v3, 0x80, v3, v14
	global_store_b8 v[12:13], v3, off
.LBB449_1691:
	s_mov_b32 s1, 0
.LBB449_1692:
	s_delay_alu instid0(SALU_CYCLE_1)
	s_and_not1_b32 vcc_lo, exec_lo, s1
	s_cbranch_vccnz .LBB449_1702
; %bb.1693:
	v_xor_b32_e32 v3, v4, v5
	v_cls_i32_e32 v14, v5
	s_mov_b32 s1, exec_lo
	s_delay_alu instid0(VALU_DEP_2) | instskip(NEXT) | instid1(VALU_DEP_2)
	v_ashrrev_i32_e32 v3, 31, v3
	v_add_nc_u32_e32 v14, -1, v14
	s_delay_alu instid0(VALU_DEP_2) | instskip(NEXT) | instid1(VALU_DEP_1)
	v_add_nc_u32_e32 v3, 32, v3
	v_min_u32_e32 v3, v14, v3
	s_delay_alu instid0(VALU_DEP_1) | instskip(SKIP_1) | instid1(VALU_DEP_2)
	v_lshlrev_b64 v[14:15], v3, v[4:5]
	v_sub_nc_u32_e32 v3, 32, v3
	v_min_u32_e32 v14, 1, v14
	s_delay_alu instid0(VALU_DEP_1) | instskip(NEXT) | instid1(VALU_DEP_1)
	v_or_b32_e32 v14, v15, v14
	v_cvt_f32_i32_e32 v14, v14
	s_delay_alu instid0(VALU_DEP_1) | instskip(NEXT) | instid1(VALU_DEP_1)
	v_ldexp_f32 v3, v14, v3
                                        ; implicit-def: $vgpr14
	v_and_b32_e32 v15, 0x7fffffff, v3
	s_delay_alu instid0(VALU_DEP_1)
	v_cmpx_gt_u32_e32 0x47800000, v15
	s_xor_b32 s1, exec_lo, s1
	s_cbranch_execz .LBB449_1699
; %bb.1694:
	s_mov_b32 s7, exec_lo
                                        ; implicit-def: $vgpr14
	v_cmpx_lt_u32_e32 0x387fffff, v15
	s_xor_b32 s7, exec_lo, s7
; %bb.1695:
	v_bfe_u32 v14, v3, 21, 1
	s_delay_alu instid0(VALU_DEP_1) | instskip(NEXT) | instid1(VALU_DEP_1)
	v_add3_u32 v14, v3, v14, 0x80fffff
	v_lshrrev_b32_e32 v14, 21, v14
; %bb.1696:
	s_and_not1_saveexec_b32 s7, s7
; %bb.1697:
	v_add_f32_e64 v14, 0x43000000, |v3|
; %bb.1698:
	s_or_b32 exec_lo, exec_lo, s7
                                        ; implicit-def: $vgpr15
.LBB449_1699:
	s_and_not1_saveexec_b32 s1, s1
; %bb.1700:
	v_mov_b32_e32 v14, 0x7f
	v_cmp_lt_u32_e32 vcc_lo, 0x7f800000, v15
	s_delay_alu instid0(VALU_DEP_2)
	v_cndmask_b32_e32 v14, 0x7c, v14, vcc_lo
; %bb.1701:
	s_or_b32 exec_lo, exec_lo, s1
	v_lshrrev_b32_e32 v3, 24, v3
	s_delay_alu instid0(VALU_DEP_1)
	v_and_or_b32 v3, 0x80, v3, v14
	global_store_b8 v[12:13], v3, off
.LBB449_1702:
	s_mov_b32 s1, 0
	s_mov_b32 s7, -1
.LBB449_1703:
	s_and_not1_b32 vcc_lo, exec_lo, s1
	s_mov_b32 s1, 0
	s_cbranch_vccnz .LBB449_1710
; %bb.1704:
	v_cmp_gt_i16_e64 s1, s6, 14
	s_delay_alu instid0(VALU_DEP_1)
	s_and_b32 vcc_lo, exec_lo, s1
	s_mov_b32 s1, -1
	s_cbranch_vccz .LBB449_1708
; %bb.1705:
	v_cmp_eq_u16_e64 s0, s6, 15
	s_delay_alu instid0(VALU_DEP_1)
	s_and_b32 vcc_lo, exec_lo, s0
	s_mov_b32 s0, -1
	s_cbranch_vccz .LBB449_1707
; %bb.1706:
	v_xor_b32_e32 v3, v4, v5
	v_cls_i32_e32 v14, v5
	s_mov_b32 s7, -1
	s_mov_b32 s0, 0
	s_delay_alu instid0(VALU_DEP_2) | instskip(NEXT) | instid1(VALU_DEP_2)
	v_ashrrev_i32_e32 v3, 31, v3
	v_add_nc_u32_e32 v14, -1, v14
	s_delay_alu instid0(VALU_DEP_2) | instskip(NEXT) | instid1(VALU_DEP_1)
	v_add_nc_u32_e32 v3, 32, v3
	v_min_u32_e32 v3, v14, v3
	s_delay_alu instid0(VALU_DEP_1) | instskip(SKIP_1) | instid1(VALU_DEP_2)
	v_lshlrev_b64 v[14:15], v3, v[4:5]
	v_sub_nc_u32_e32 v3, 32, v3
	v_min_u32_e32 v14, 1, v14
	s_delay_alu instid0(VALU_DEP_1) | instskip(NEXT) | instid1(VALU_DEP_1)
	v_or_b32_e32 v14, v15, v14
	v_cvt_f32_i32_e32 v14, v14
	s_delay_alu instid0(VALU_DEP_1) | instskip(NEXT) | instid1(VALU_DEP_1)
	v_ldexp_f32 v3, v14, v3
	v_bfe_u32 v14, v3, 16, 1
	s_delay_alu instid0(VALU_DEP_1)
	v_add3_u32 v3, v3, v14, 0x7fff
	global_store_d16_hi_b16 v[12:13], v3, off
.LBB449_1707:
	s_mov_b32 s1, 0
.LBB449_1708:
	s_delay_alu instid0(SALU_CYCLE_1)
	s_and_b32 vcc_lo, exec_lo, s1
	s_mov_b32 s1, 0
	s_cbranch_vccz .LBB449_1710
; %bb.1709:
	v_cmp_ne_u16_e64 s0, s6, 11
	s_mov_b32 s1, -1
.LBB449_1710:
	s_delay_alu instid0(VALU_DEP_1)
	s_and_b32 vcc_lo, exec_lo, s0
	s_cbranch_vccnz .LBB449_1767
; %bb.1711:
	s_and_not1_b32 vcc_lo, exec_lo, s1
	s_cbranch_vccnz .LBB449_1713
.LBB449_1712:
	v_cmp_ne_u64_e32 vcc_lo, 0, v[4:5]
	s_mov_b32 s7, -1
	v_cndmask_b32_e64 v3, 0, 1, vcc_lo
	global_store_b8 v[12:13], v3, off
.LBB449_1713:
	s_mov_b32 s0, 0
.LBB449_1714:
	s_delay_alu instid0(SALU_CYCLE_1)
	s_and_b32 vcc_lo, exec_lo, s0
	s_cbranch_vccz .LBB449_1753
; %bb.1715:
	v_cmp_lt_i16_e64 s0, s6, 5
	s_delay_alu instid0(VALU_DEP_1)
	s_and_b32 vcc_lo, exec_lo, s0
	s_mov_b32 s0, -1
	s_cbranch_vccnz .LBB449_1736
; %bb.1716:
	v_cmp_lt_i16_e64 s0, s6, 8
	s_delay_alu instid0(VALU_DEP_1)
	s_and_b32 vcc_lo, exec_lo, s0
	s_mov_b32 s0, -1
	s_cbranch_vccnz .LBB449_1726
	;; [unrolled: 6-line block ×3, first 2 shown]
; %bb.1718:
	v_cmp_gt_i16_e64 s0, s6, 9
	s_delay_alu instid0(VALU_DEP_1)
	s_and_b32 vcc_lo, exec_lo, s0
	s_mov_b32 s0, -1
	s_cbranch_vccz .LBB449_1720
; %bb.1719:
	v_cvt_f64_i32_e32 v[14:15], v5
	v_cvt_f64_u32_e32 v[16:17], v4
	s_mov_b32 s0, 0
	s_delay_alu instid0(VALU_DEP_2) | instskip(NEXT) | instid1(VALU_DEP_1)
	v_ldexp_f64 v[14:15], v[14:15], 32
	v_add_f64 v[14:15], v[14:15], v[16:17]
	v_mov_b32_e32 v16, 0
	s_delay_alu instid0(VALU_DEP_1)
	v_mov_b32_e32 v17, v16
	global_store_b128 v[12:13], v[14:17], off
.LBB449_1720:
	s_and_not1_b32 vcc_lo, exec_lo, s0
	s_cbranch_vccnz .LBB449_1722
; %bb.1721:
	v_xor_b32_e32 v3, v4, v5
	v_cls_i32_e32 v14, v5
	s_delay_alu instid0(VALU_DEP_2) | instskip(NEXT) | instid1(VALU_DEP_2)
	v_ashrrev_i32_e32 v3, 31, v3
	v_add_nc_u32_e32 v14, -1, v14
	s_delay_alu instid0(VALU_DEP_2) | instskip(NEXT) | instid1(VALU_DEP_1)
	v_add_nc_u32_e32 v3, 32, v3
	v_min_u32_e32 v3, v14, v3
	s_delay_alu instid0(VALU_DEP_1) | instskip(SKIP_1) | instid1(VALU_DEP_2)
	v_lshlrev_b64 v[14:15], v3, v[4:5]
	v_sub_nc_u32_e32 v3, 32, v3
	v_min_u32_e32 v14, 1, v14
	s_delay_alu instid0(VALU_DEP_1) | instskip(SKIP_1) | instid1(VALU_DEP_2)
	v_or_b32_e32 v14, v15, v14
	v_mov_b32_e32 v15, 0
	v_cvt_f32_i32_e32 v14, v14
	s_delay_alu instid0(VALU_DEP_1)
	v_ldexp_f32 v14, v14, v3
	global_store_b64 v[12:13], v[14:15], off
.LBB449_1722:
	s_mov_b32 s0, 0
.LBB449_1723:
	s_delay_alu instid0(SALU_CYCLE_1)
	s_and_not1_b32 vcc_lo, exec_lo, s0
	s_cbranch_vccnz .LBB449_1725
; %bb.1724:
	v_xor_b32_e32 v3, v4, v5
	v_cls_i32_e32 v14, v5
	s_delay_alu instid0(VALU_DEP_2) | instskip(NEXT) | instid1(VALU_DEP_2)
	v_ashrrev_i32_e32 v3, 31, v3
	v_add_nc_u32_e32 v14, -1, v14
	s_delay_alu instid0(VALU_DEP_2) | instskip(NEXT) | instid1(VALU_DEP_1)
	v_add_nc_u32_e32 v3, 32, v3
	v_min_u32_e32 v3, v14, v3
	s_delay_alu instid0(VALU_DEP_1) | instskip(SKIP_1) | instid1(VALU_DEP_2)
	v_lshlrev_b64 v[14:15], v3, v[4:5]
	v_sub_nc_u32_e32 v3, 32, v3
	v_min_u32_e32 v14, 1, v14
	s_delay_alu instid0(VALU_DEP_1) | instskip(NEXT) | instid1(VALU_DEP_1)
	v_or_b32_e32 v14, v15, v14
	v_cvt_f32_i32_e32 v14, v14
	s_delay_alu instid0(VALU_DEP_1) | instskip(NEXT) | instid1(VALU_DEP_1)
	v_ldexp_f32 v3, v14, v3
	v_cvt_f16_f32_e32 v3, v3
	s_delay_alu instid0(VALU_DEP_1)
	v_and_b32_e32 v3, 0xffff, v3
	global_store_b32 v[12:13], v3, off
.LBB449_1725:
	s_mov_b32 s0, 0
.LBB449_1726:
	s_delay_alu instid0(SALU_CYCLE_1)
	s_and_not1_b32 vcc_lo, exec_lo, s0
	s_cbranch_vccnz .LBB449_1735
; %bb.1727:
	v_cmp_lt_i16_e64 s0, s6, 6
	s_delay_alu instid0(VALU_DEP_1)
	s_and_b32 vcc_lo, exec_lo, s0
	s_mov_b32 s0, -1
	s_cbranch_vccnz .LBB449_1733
; %bb.1728:
	v_cmp_gt_i16_e64 s0, s6, 6
	s_delay_alu instid0(VALU_DEP_1)
	s_and_b32 vcc_lo, exec_lo, s0
	s_mov_b32 s0, -1
	s_cbranch_vccz .LBB449_1730
; %bb.1729:
	v_cvt_f64_i32_e32 v[14:15], v5
	v_cvt_f64_u32_e32 v[16:17], v4
	s_mov_b32 s0, 0
	s_delay_alu instid0(VALU_DEP_2) | instskip(NEXT) | instid1(VALU_DEP_1)
	v_ldexp_f64 v[14:15], v[14:15], 32
	v_add_f64 v[14:15], v[14:15], v[16:17]
	global_store_b64 v[12:13], v[14:15], off
.LBB449_1730:
	s_and_not1_b32 vcc_lo, exec_lo, s0
	s_cbranch_vccnz .LBB449_1732
; %bb.1731:
	v_xor_b32_e32 v3, v4, v5
	v_cls_i32_e32 v14, v5
	s_delay_alu instid0(VALU_DEP_2) | instskip(NEXT) | instid1(VALU_DEP_2)
	v_ashrrev_i32_e32 v3, 31, v3
	v_add_nc_u32_e32 v14, -1, v14
	s_delay_alu instid0(VALU_DEP_2) | instskip(NEXT) | instid1(VALU_DEP_1)
	v_add_nc_u32_e32 v3, 32, v3
	v_min_u32_e32 v3, v14, v3
	s_delay_alu instid0(VALU_DEP_1) | instskip(SKIP_1) | instid1(VALU_DEP_2)
	v_lshlrev_b64 v[14:15], v3, v[4:5]
	v_sub_nc_u32_e32 v3, 32, v3
	v_min_u32_e32 v14, 1, v14
	s_delay_alu instid0(VALU_DEP_1) | instskip(NEXT) | instid1(VALU_DEP_1)
	v_or_b32_e32 v14, v15, v14
	v_cvt_f32_i32_e32 v14, v14
	s_delay_alu instid0(VALU_DEP_1)
	v_ldexp_f32 v3, v14, v3
	global_store_b32 v[12:13], v3, off
.LBB449_1732:
	s_mov_b32 s0, 0
.LBB449_1733:
	s_delay_alu instid0(SALU_CYCLE_1)
	s_and_not1_b32 vcc_lo, exec_lo, s0
	s_cbranch_vccnz .LBB449_1735
; %bb.1734:
	v_xor_b32_e32 v3, v4, v5
	v_cls_i32_e32 v14, v5
	s_delay_alu instid0(VALU_DEP_2) | instskip(NEXT) | instid1(VALU_DEP_2)
	v_ashrrev_i32_e32 v3, 31, v3
	v_add_nc_u32_e32 v14, -1, v14
	s_delay_alu instid0(VALU_DEP_2) | instskip(NEXT) | instid1(VALU_DEP_1)
	v_add_nc_u32_e32 v3, 32, v3
	v_min_u32_e32 v3, v14, v3
	s_delay_alu instid0(VALU_DEP_1) | instskip(SKIP_1) | instid1(VALU_DEP_2)
	v_lshlrev_b64 v[14:15], v3, v[4:5]
	v_sub_nc_u32_e32 v3, 32, v3
	v_min_u32_e32 v14, 1, v14
	s_delay_alu instid0(VALU_DEP_1) | instskip(NEXT) | instid1(VALU_DEP_1)
	v_or_b32_e32 v14, v15, v14
	v_cvt_f32_i32_e32 v14, v14
	s_delay_alu instid0(VALU_DEP_1) | instskip(NEXT) | instid1(VALU_DEP_1)
	v_ldexp_f32 v3, v14, v3
	v_cvt_f16_f32_e32 v3, v3
	global_store_b16 v[12:13], v3, off
.LBB449_1735:
	s_mov_b32 s0, 0
.LBB449_1736:
	s_delay_alu instid0(SALU_CYCLE_1)
	s_and_not1_b32 vcc_lo, exec_lo, s0
	s_cbranch_vccnz .LBB449_1752
; %bb.1737:
	v_cmp_lt_i16_e64 s0, s6, 2
	s_delay_alu instid0(VALU_DEP_1)
	s_and_b32 vcc_lo, exec_lo, s0
	s_mov_b32 s0, -1
	s_cbranch_vccnz .LBB449_1747
; %bb.1738:
	v_cmp_lt_i16_e64 s0, s6, 3
	s_delay_alu instid0(VALU_DEP_1)
	s_and_b32 vcc_lo, exec_lo, s0
	s_mov_b32 s0, -1
	s_cbranch_vccnz .LBB449_1744
; %bb.1739:
	v_cmp_gt_i16_e64 s0, s6, 3
	s_delay_alu instid0(VALU_DEP_1)
	s_and_b32 vcc_lo, exec_lo, s0
	s_mov_b32 s0, -1
	s_cbranch_vccz .LBB449_1741
; %bb.1740:
	s_mov_b32 s0, 0
	global_store_b64 v[12:13], v[4:5], off
.LBB449_1741:
	s_and_not1_b32 vcc_lo, exec_lo, s0
	s_cbranch_vccnz .LBB449_1743
; %bb.1742:
	global_store_b32 v[12:13], v4, off
.LBB449_1743:
	s_mov_b32 s0, 0
.LBB449_1744:
	s_delay_alu instid0(SALU_CYCLE_1)
	s_and_not1_b32 vcc_lo, exec_lo, s0
	s_cbranch_vccnz .LBB449_1746
; %bb.1745:
	global_store_b16 v[12:13], v4, off
.LBB449_1746:
	s_mov_b32 s0, 0
.LBB449_1747:
	s_delay_alu instid0(SALU_CYCLE_1)
	s_and_not1_b32 vcc_lo, exec_lo, s0
	s_cbranch_vccnz .LBB449_1752
; %bb.1748:
	v_cmp_gt_i16_e64 s0, s6, 0
	s_delay_alu instid0(VALU_DEP_1)
	s_and_b32 vcc_lo, exec_lo, s0
	s_mov_b32 s0, -1
	s_cbranch_vccz .LBB449_1750
; %bb.1749:
	s_mov_b32 s0, 0
	global_store_b8 v[12:13], v4, off
.LBB449_1750:
	s_and_not1_b32 vcc_lo, exec_lo, s0
	s_cbranch_vccnz .LBB449_1752
; %bb.1751:
	global_store_b8 v[12:13], v4, off
.LBB449_1752:
	s_mov_b32 s7, -1
.LBB449_1753:
	s_delay_alu instid0(SALU_CYCLE_1)
	s_and_not1_b32 vcc_lo, exec_lo, s7
	s_cbranch_vccnz .LBB449_2020
; %bb.1754:
	v_cmp_gt_i64_e32 vcc_lo, s[2:3], v[6:7]
	v_cmp_lt_i16_e64 s0, s6, 11
	v_add_co_u32 v5, s1, s4, v2
	s_mov_b32 s7, 0
	v_cndmask_b32_e32 v4, s3, v7, vcc_lo
	v_cndmask_b32_e32 v3, s2, v6, vcc_lo
	v_add_co_ci_u32_e64 v6, null, s5, 0, s1
	s_and_b32 vcc_lo, exec_lo, s0
	s_mov_b32 s0, -1
	s_cbranch_vccnz .LBB449_1843
; %bb.1755:
	v_cmp_gt_i16_e64 s0, s6, 25
	s_mov_b32 s11, -1
	s_mov_b32 s1, 0
	s_delay_alu instid0(VALU_DEP_1)
	s_and_b32 vcc_lo, exec_lo, s0
	s_mov_b32 s0, 0
	s_cbranch_vccz .LBB449_1799
; %bb.1756:
	v_cmp_gt_i16_e64 s0, s6, 28
	s_delay_alu instid0(VALU_DEP_1)
	s_and_b32 vcc_lo, exec_lo, s0
	s_cbranch_vccz .LBB449_1761
; %bb.1757:
	v_cmp_gt_i16_e64 s0, s6, 43
	s_delay_alu instid0(VALU_DEP_1)
	s_and_b32 vcc_lo, exec_lo, s0
	;; [unrolled: 5-line block ×3, first 2 shown]
	s_cbranch_vccz .LBB449_1771
; %bb.1759:
	v_cmp_eq_u16_e64 s7, s6, 46
	s_mov_b32 s0, -1
	s_mov_b32 s11, 0
	s_delay_alu instid0(VALU_DEP_1)
	s_and_b32 vcc_lo, exec_lo, s7
	s_mov_b32 s7, 0
	s_cbranch_vccz .LBB449_1772
; %bb.1760:
	v_xor_b32_e32 v2, v3, v4
	v_cls_i32_e32 v7, v4
	s_mov_b32 s7, -1
	s_mov_b32 s0, 0
	s_delay_alu instid0(VALU_DEP_2) | instskip(NEXT) | instid1(VALU_DEP_2)
	v_ashrrev_i32_e32 v2, 31, v2
	v_add_nc_u32_e32 v7, -1, v7
	s_delay_alu instid0(VALU_DEP_2) | instskip(NEXT) | instid1(VALU_DEP_1)
	v_add_nc_u32_e32 v2, 32, v2
	v_min_u32_e32 v2, v7, v2
	s_delay_alu instid0(VALU_DEP_1) | instskip(SKIP_1) | instid1(VALU_DEP_2)
	v_lshlrev_b64 v[12:13], v2, v[3:4]
	v_sub_nc_u32_e32 v2, 32, v2
	v_min_u32_e32 v7, 1, v12
	s_delay_alu instid0(VALU_DEP_1) | instskip(NEXT) | instid1(VALU_DEP_1)
	v_or_b32_e32 v7, v13, v7
	v_cvt_f32_i32_e32 v7, v7
	s_delay_alu instid0(VALU_DEP_1) | instskip(NEXT) | instid1(VALU_DEP_1)
	v_ldexp_f32 v2, v7, v2
	v_bfe_u32 v7, v2, 16, 1
	s_delay_alu instid0(VALU_DEP_1) | instskip(NEXT) | instid1(VALU_DEP_1)
	v_add3_u32 v2, v2, v7, 0x7fff
	v_lshrrev_b32_e32 v2, 16, v2
	global_store_b32 v[5:6], v2, off
	s_branch .LBB449_1772
.LBB449_1761:
	s_mov_b32 s0, 0
	s_branch .LBB449_1782
.LBB449_1762:
	s_or_saveexec_b32 s12, s12
                                        ; implicit-def: $sgpr13
	s_delay_alu instid0(SALU_CYCLE_1)
	s_xor_b32 exec_lo, exec_lo, s12
	s_cbranch_execz .LBB449_1664
.LBB449_1763:
	v_add_f32_e64 v14, 0x46000000, |v3|
	s_and_not1_b32 s11, s11, exec_lo
	s_mov_b32 s13, 0
	s_delay_alu instid0(VALU_DEP_1) | instskip(NEXT) | instid1(VALU_DEP_1)
	v_and_b32_e32 v14, 0xff, v14
	v_cmp_ne_u32_e32 vcc_lo, 0, v14
	s_and_b32 s14, vcc_lo, exec_lo
	s_delay_alu instid0(SALU_CYCLE_1)
	s_or_b32 s11, s11, s14
	s_or_b32 exec_lo, exec_lo, s12
	v_mov_b32_e32 v15, s13
	s_and_saveexec_b32 s12, s11
	s_cbranch_execnz .LBB449_1665
	s_branch .LBB449_1666
.LBB449_1764:
	s_mov_b32 s0, 0
	s_branch .LBB449_1778
.LBB449_1765:
	s_trap 2
	s_sendmsg_rtn_b32 s0, sendmsg(MSG_RTN_GET_DOORBELL)
	s_mov_b32 ttmp2, m0
	s_waitcnt lgkmcnt(0)
	s_and_b32 s0, s0, 0x3ff
	s_delay_alu instid0(SALU_CYCLE_1) | instskip(NEXT) | instid1(SALU_CYCLE_1)
	s_bitset1_b32 s0, 10
	s_mov_b32 m0, s0
	s_sendmsg sendmsg(MSG_INTERRUPT)
	s_mov_b32 m0, ttmp2
.LBB449_1766:                           ; =>This Inner Loop Header: Depth=1
	s_sethalt 5
	s_branch .LBB449_1766
.LBB449_1767:
	s_cbranch_execnz .LBB449_1894
; %bb.1768:
	s_or_b32 s10, s10, exec_lo
	s_cbranch_execz .LBB449_1712
	s_branch .LBB449_1713
.LBB449_1769:
	s_or_saveexec_b32 s11, s11
                                        ; implicit-def: $sgpr12
	s_delay_alu instid0(SALU_CYCLE_1)
	s_xor_b32 exec_lo, exec_lo, s11
	s_cbranch_execz .LBB449_1677
.LBB449_1770:
	v_add_f32_e64 v14, 0x42800000, |v3|
	s_and_not1_b32 s7, s7, exec_lo
	s_mov_b32 s12, 0
	s_delay_alu instid0(VALU_DEP_1) | instskip(NEXT) | instid1(VALU_DEP_1)
	v_and_b32_e32 v14, 0xff, v14
	v_cmp_ne_u32_e32 vcc_lo, 0, v14
	s_and_b32 s13, vcc_lo, exec_lo
	s_delay_alu instid0(SALU_CYCLE_1)
	s_or_b32 s7, s7, s13
	s_or_b32 exec_lo, exec_lo, s11
	v_mov_b32_e32 v15, s12
	s_and_saveexec_b32 s11, s7
	s_cbranch_execnz .LBB449_1678
	s_branch .LBB449_1679
.LBB449_1771:
	s_mov_b32 s0, 0
.LBB449_1772:
	s_and_b32 vcc_lo, exec_lo, s11
	s_cbranch_vccz .LBB449_1777
; %bb.1773:
	v_cmp_eq_u16_e64 s0, s6, 44
	s_delay_alu instid0(VALU_DEP_1)
	s_and_b32 vcc_lo, exec_lo, s0
	s_mov_b32 s0, -1
	s_cbranch_vccz .LBB449_1777
; %bb.1774:
	v_xor_b32_e32 v2, v3, v4
	v_cls_i32_e32 v7, v4
	s_mov_b32 s7, -1
	s_mov_b32 s11, exec_lo
	s_delay_alu instid0(VALU_DEP_2) | instskip(NEXT) | instid1(VALU_DEP_2)
	v_ashrrev_i32_e32 v2, 31, v2
	v_add_nc_u32_e32 v7, -1, v7
	s_delay_alu instid0(VALU_DEP_2) | instskip(NEXT) | instid1(VALU_DEP_1)
	v_add_nc_u32_e32 v2, 32, v2
	v_min_u32_e32 v2, v7, v2
	s_delay_alu instid0(VALU_DEP_1) | instskip(SKIP_1) | instid1(VALU_DEP_2)
	v_lshlrev_b64 v[12:13], v2, v[3:4]
	v_sub_nc_u32_e32 v2, 32, v2
	v_min_u32_e32 v7, 1, v12
	s_delay_alu instid0(VALU_DEP_1) | instskip(NEXT) | instid1(VALU_DEP_1)
	v_or_b32_e32 v7, v13, v7
	v_cvt_f32_i32_e32 v7, v7
	s_delay_alu instid0(VALU_DEP_1) | instskip(SKIP_1) | instid1(VALU_DEP_2)
	v_ldexp_f32 v2, v7, v2
	v_mov_b32_e32 v7, 0xff
	v_bfe_u32 v12, v2, 23, 8
	s_delay_alu instid0(VALU_DEP_1)
	v_cmpx_ne_u32_e32 0xff, v12
; %bb.1775:
	v_and_b32_e32 v7, 0x400000, v2
	v_and_or_b32 v12, 0x3fffff, v2, v12
	v_lshrrev_b32_e32 v2, 23, v2
	s_delay_alu instid0(VALU_DEP_3) | instskip(NEXT) | instid1(VALU_DEP_3)
	v_cmp_ne_u32_e32 vcc_lo, 0, v7
	v_cmp_ne_u32_e64 s0, 0, v12
	s_delay_alu instid0(VALU_DEP_1) | instskip(NEXT) | instid1(SALU_CYCLE_1)
	s_and_b32 s0, vcc_lo, s0
	v_cndmask_b32_e64 v7, 0, 1, s0
	s_delay_alu instid0(VALU_DEP_1)
	v_add_nc_u32_e32 v7, v2, v7
; %bb.1776:
	s_or_b32 exec_lo, exec_lo, s11
	s_mov_b32 s0, 0
	global_store_b8 v[5:6], v7, off
.LBB449_1777:
	s_mov_b32 s11, 0
.LBB449_1778:
	s_delay_alu instid0(SALU_CYCLE_1)
	s_and_b32 vcc_lo, exec_lo, s11
	s_cbranch_vccz .LBB449_1781
; %bb.1779:
	v_cmp_eq_u16_e64 s0, s6, 29
	s_delay_alu instid0(VALU_DEP_1)
	s_and_b32 vcc_lo, exec_lo, s0
	s_mov_b32 s0, -1
	s_cbranch_vccz .LBB449_1781
; %bb.1780:
	s_mov_b32 s0, 0
	s_mov_b32 s7, -1
	global_store_b64 v[5:6], v[3:4], off
.LBB449_1781:
	s_mov_b32 s11, 0
.LBB449_1782:
	s_delay_alu instid0(SALU_CYCLE_1)
	s_and_b32 vcc_lo, exec_lo, s11
	s_cbranch_vccz .LBB449_1798
; %bb.1783:
	v_cmp_lt_i16_e64 s7, s6, 27
	s_delay_alu instid0(VALU_DEP_1)
	s_and_b32 vcc_lo, exec_lo, s7
	s_mov_b32 s7, -1
	s_cbranch_vccnz .LBB449_1789
; %bb.1784:
	v_cmp_gt_i16_e64 s7, s6, 27
	s_delay_alu instid0(VALU_DEP_1)
	s_and_b32 vcc_lo, exec_lo, s7
	s_mov_b32 s7, -1
	s_cbranch_vccz .LBB449_1786
; %bb.1785:
	s_mov_b32 s7, 0
	global_store_b32 v[5:6], v3, off
.LBB449_1786:
	s_and_not1_b32 vcc_lo, exec_lo, s7
	s_cbranch_vccnz .LBB449_1788
; %bb.1787:
	global_store_b16 v[5:6], v3, off
.LBB449_1788:
	s_mov_b32 s7, 0
.LBB449_1789:
	s_delay_alu instid0(SALU_CYCLE_1)
	s_and_not1_b32 vcc_lo, exec_lo, s7
	s_cbranch_vccnz .LBB449_1797
; %bb.1790:
	v_xor_b32_e32 v2, v3, v4
	v_cls_i32_e32 v7, v4
	s_mov_b32 s7, exec_lo
	s_delay_alu instid0(VALU_DEP_2) | instskip(NEXT) | instid1(VALU_DEP_2)
	v_ashrrev_i32_e32 v2, 31, v2
	v_add_nc_u32_e32 v7, -1, v7
	s_delay_alu instid0(VALU_DEP_2) | instskip(NEXT) | instid1(VALU_DEP_1)
	v_add_nc_u32_e32 v2, 32, v2
	v_min_u32_e32 v2, v7, v2
	s_delay_alu instid0(VALU_DEP_1) | instskip(SKIP_1) | instid1(VALU_DEP_2)
	v_lshlrev_b64 v[12:13], v2, v[3:4]
	v_sub_nc_u32_e32 v2, 32, v2
	v_min_u32_e32 v7, 1, v12
	v_mov_b32_e32 v12, 0x80
	s_delay_alu instid0(VALU_DEP_2) | instskip(NEXT) | instid1(VALU_DEP_1)
	v_or_b32_e32 v7, v13, v7
	v_cvt_f32_i32_e32 v7, v7
	s_delay_alu instid0(VALU_DEP_1) | instskip(NEXT) | instid1(VALU_DEP_1)
	v_ldexp_f32 v2, v7, v2
	v_and_b32_e32 v7, 0x7fffffff, v2
	s_delay_alu instid0(VALU_DEP_1)
	v_cmpx_gt_u32_e32 0x43800000, v7
	s_cbranch_execz .LBB449_1796
; %bb.1791:
	v_cmp_lt_u32_e32 vcc_lo, 0x3bffffff, v7
	s_mov_b32 s11, 0
                                        ; implicit-def: $vgpr7
	s_and_saveexec_b32 s12, vcc_lo
	s_delay_alu instid0(SALU_CYCLE_1)
	s_xor_b32 s12, exec_lo, s12
	s_cbranch_execz .LBB449_1891
; %bb.1792:
	v_bfe_u32 v7, v2, 20, 1
	s_mov_b32 s11, exec_lo
	s_delay_alu instid0(VALU_DEP_1) | instskip(NEXT) | instid1(VALU_DEP_1)
	v_add3_u32 v7, v2, v7, 0x487ffff
	v_lshrrev_b32_e32 v7, 20, v7
	s_or_saveexec_b32 s12, s12
                                        ; implicit-def: $sgpr13
	s_delay_alu instid0(SALU_CYCLE_1)
	s_xor_b32 exec_lo, exec_lo, s12
	s_cbranch_execnz .LBB449_1892
.LBB449_1793:
	s_or_b32 exec_lo, exec_lo, s12
	v_mov_b32_e32 v12, s13
	s_and_saveexec_b32 s12, s11
.LBB449_1794:
	v_lshrrev_b32_e32 v2, 24, v2
	s_delay_alu instid0(VALU_DEP_1)
	v_and_or_b32 v12, 0x80, v2, v7
.LBB449_1795:
	s_or_b32 exec_lo, exec_lo, s12
.LBB449_1796:
	s_delay_alu instid0(SALU_CYCLE_1)
	s_or_b32 exec_lo, exec_lo, s7
	global_store_b8 v[5:6], v12, off
.LBB449_1797:
	s_mov_b32 s7, -1
.LBB449_1798:
	s_mov_b32 s11, 0
.LBB449_1799:
	s_delay_alu instid0(SALU_CYCLE_1)
	s_and_b32 vcc_lo, exec_lo, s11
	s_cbranch_vccz .LBB449_1839
; %bb.1800:
	v_cmp_gt_i16_e64 s1, s6, 22
	s_delay_alu instid0(VALU_DEP_1)
	s_and_b32 vcc_lo, exec_lo, s1
	s_mov_b32 s1, -1
	s_cbranch_vccz .LBB449_1832
; %bb.1801:
	v_cmp_lt_i16_e64 s1, s6, 24
	s_delay_alu instid0(VALU_DEP_1)
	s_and_b32 vcc_lo, exec_lo, s1
	s_mov_b32 s1, -1
	s_cbranch_vccnz .LBB449_1821
; %bb.1802:
	v_cmp_gt_i16_e64 s1, s6, 24
	s_delay_alu instid0(VALU_DEP_1)
	s_and_b32 vcc_lo, exec_lo, s1
	s_mov_b32 s1, -1
	s_cbranch_vccz .LBB449_1810
; %bb.1803:
	v_xor_b32_e32 v2, v3, v4
	v_cls_i32_e32 v7, v4
	s_mov_b32 s1, exec_lo
	s_delay_alu instid0(VALU_DEP_2) | instskip(NEXT) | instid1(VALU_DEP_2)
	v_ashrrev_i32_e32 v2, 31, v2
	v_add_nc_u32_e32 v7, -1, v7
	s_delay_alu instid0(VALU_DEP_2) | instskip(NEXT) | instid1(VALU_DEP_1)
	v_add_nc_u32_e32 v2, 32, v2
	v_min_u32_e32 v2, v7, v2
	s_delay_alu instid0(VALU_DEP_1) | instskip(SKIP_1) | instid1(VALU_DEP_2)
	v_lshlrev_b64 v[12:13], v2, v[3:4]
	v_sub_nc_u32_e32 v2, 32, v2
	v_min_u32_e32 v7, 1, v12
	v_mov_b32_e32 v12, 0x80
	s_delay_alu instid0(VALU_DEP_2) | instskip(NEXT) | instid1(VALU_DEP_1)
	v_or_b32_e32 v7, v13, v7
	v_cvt_f32_i32_e32 v7, v7
	s_delay_alu instid0(VALU_DEP_1) | instskip(NEXT) | instid1(VALU_DEP_1)
	v_ldexp_f32 v2, v7, v2
	v_and_b32_e32 v7, 0x7fffffff, v2
	s_delay_alu instid0(VALU_DEP_1)
	v_cmpx_gt_u32_e32 0x47800000, v7
	s_cbranch_execz .LBB449_1809
; %bb.1804:
	v_cmp_lt_u32_e32 vcc_lo, 0x37ffffff, v7
	s_mov_b32 s7, 0
                                        ; implicit-def: $vgpr7
	s_and_saveexec_b32 s11, vcc_lo
	s_delay_alu instid0(SALU_CYCLE_1)
	s_xor_b32 s11, exec_lo, s11
	s_cbranch_execz .LBB449_1898
; %bb.1805:
	v_bfe_u32 v7, v2, 21, 1
	s_mov_b32 s7, exec_lo
	s_delay_alu instid0(VALU_DEP_1) | instskip(NEXT) | instid1(VALU_DEP_1)
	v_add3_u32 v7, v2, v7, 0x88fffff
	v_lshrrev_b32_e32 v7, 21, v7
	s_or_saveexec_b32 s11, s11
                                        ; implicit-def: $sgpr12
	s_delay_alu instid0(SALU_CYCLE_1)
	s_xor_b32 exec_lo, exec_lo, s11
	s_cbranch_execnz .LBB449_1899
.LBB449_1806:
	s_or_b32 exec_lo, exec_lo, s11
	v_mov_b32_e32 v12, s12
	s_and_saveexec_b32 s11, s7
.LBB449_1807:
	v_lshrrev_b32_e32 v2, 24, v2
	s_delay_alu instid0(VALU_DEP_1)
	v_and_or_b32 v12, 0x80, v2, v7
.LBB449_1808:
	s_or_b32 exec_lo, exec_lo, s11
.LBB449_1809:
	s_delay_alu instid0(SALU_CYCLE_1)
	s_or_b32 exec_lo, exec_lo, s1
	s_mov_b32 s1, 0
	global_store_b8 v[5:6], v12, off
.LBB449_1810:
	s_and_b32 vcc_lo, exec_lo, s1
	s_cbranch_vccz .LBB449_1820
; %bb.1811:
	v_xor_b32_e32 v2, v3, v4
	v_cls_i32_e32 v7, v4
	s_mov_b32 s1, exec_lo
	s_delay_alu instid0(VALU_DEP_2) | instskip(NEXT) | instid1(VALU_DEP_2)
	v_ashrrev_i32_e32 v2, 31, v2
	v_add_nc_u32_e32 v7, -1, v7
	s_delay_alu instid0(VALU_DEP_2) | instskip(NEXT) | instid1(VALU_DEP_1)
	v_add_nc_u32_e32 v2, 32, v2
	v_min_u32_e32 v2, v7, v2
	s_delay_alu instid0(VALU_DEP_1) | instskip(SKIP_1) | instid1(VALU_DEP_2)
	v_lshlrev_b64 v[12:13], v2, v[3:4]
	v_sub_nc_u32_e32 v2, 32, v2
	v_min_u32_e32 v7, 1, v12
	s_delay_alu instid0(VALU_DEP_1) | instskip(NEXT) | instid1(VALU_DEP_1)
	v_or_b32_e32 v7, v13, v7
	v_cvt_f32_i32_e32 v7, v7
	s_delay_alu instid0(VALU_DEP_1) | instskip(NEXT) | instid1(VALU_DEP_1)
	v_ldexp_f32 v2, v7, v2
                                        ; implicit-def: $vgpr7
	v_and_b32_e32 v12, 0x7fffffff, v2
	s_delay_alu instid0(VALU_DEP_1)
	v_cmpx_gt_u32_e32 0x43f00000, v12
	s_xor_b32 s1, exec_lo, s1
	s_cbranch_execz .LBB449_1817
; %bb.1812:
	s_mov_b32 s7, exec_lo
                                        ; implicit-def: $vgpr7
	v_cmpx_lt_u32_e32 0x3c7fffff, v12
	s_xor_b32 s7, exec_lo, s7
; %bb.1813:
	v_bfe_u32 v7, v2, 20, 1
	s_delay_alu instid0(VALU_DEP_1) | instskip(NEXT) | instid1(VALU_DEP_1)
	v_add3_u32 v7, v2, v7, 0x407ffff
	v_and_b32_e32 v12, 0xff00000, v7
	v_lshrrev_b32_e32 v7, 20, v7
	s_delay_alu instid0(VALU_DEP_2) | instskip(NEXT) | instid1(VALU_DEP_2)
	v_cmp_ne_u32_e32 vcc_lo, 0x7f00000, v12
	v_cndmask_b32_e32 v7, 0x7e, v7, vcc_lo
; %bb.1814:
	s_and_not1_saveexec_b32 s7, s7
; %bb.1815:
	v_add_f32_e64 v7, 0x46800000, |v2|
; %bb.1816:
	s_or_b32 exec_lo, exec_lo, s7
                                        ; implicit-def: $vgpr12
.LBB449_1817:
	s_and_not1_saveexec_b32 s1, s1
; %bb.1818:
	v_mov_b32_e32 v7, 0x7f
	v_cmp_lt_u32_e32 vcc_lo, 0x7f800000, v12
	s_delay_alu instid0(VALU_DEP_2)
	v_cndmask_b32_e32 v7, 0x7e, v7, vcc_lo
; %bb.1819:
	s_or_b32 exec_lo, exec_lo, s1
	v_lshrrev_b32_e32 v2, 24, v2
	s_delay_alu instid0(VALU_DEP_1)
	v_and_or_b32 v2, 0x80, v2, v7
	global_store_b8 v[5:6], v2, off
.LBB449_1820:
	s_mov_b32 s1, 0
.LBB449_1821:
	s_delay_alu instid0(SALU_CYCLE_1)
	s_and_not1_b32 vcc_lo, exec_lo, s1
	s_cbranch_vccnz .LBB449_1831
; %bb.1822:
	v_xor_b32_e32 v2, v3, v4
	v_cls_i32_e32 v7, v4
	s_mov_b32 s1, exec_lo
	s_delay_alu instid0(VALU_DEP_2) | instskip(NEXT) | instid1(VALU_DEP_2)
	v_ashrrev_i32_e32 v2, 31, v2
	v_add_nc_u32_e32 v7, -1, v7
	s_delay_alu instid0(VALU_DEP_2) | instskip(NEXT) | instid1(VALU_DEP_1)
	v_add_nc_u32_e32 v2, 32, v2
	v_min_u32_e32 v2, v7, v2
	s_delay_alu instid0(VALU_DEP_1) | instskip(SKIP_1) | instid1(VALU_DEP_2)
	v_lshlrev_b64 v[12:13], v2, v[3:4]
	v_sub_nc_u32_e32 v2, 32, v2
	v_min_u32_e32 v7, 1, v12
	s_delay_alu instid0(VALU_DEP_1) | instskip(NEXT) | instid1(VALU_DEP_1)
	v_or_b32_e32 v7, v13, v7
	v_cvt_f32_i32_e32 v7, v7
	s_delay_alu instid0(VALU_DEP_1) | instskip(NEXT) | instid1(VALU_DEP_1)
	v_ldexp_f32 v2, v7, v2
                                        ; implicit-def: $vgpr7
	v_and_b32_e32 v12, 0x7fffffff, v2
	s_delay_alu instid0(VALU_DEP_1)
	v_cmpx_gt_u32_e32 0x47800000, v12
	s_xor_b32 s1, exec_lo, s1
	s_cbranch_execz .LBB449_1828
; %bb.1823:
	s_mov_b32 s7, exec_lo
                                        ; implicit-def: $vgpr7
	v_cmpx_lt_u32_e32 0x387fffff, v12
	s_xor_b32 s7, exec_lo, s7
; %bb.1824:
	v_bfe_u32 v7, v2, 21, 1
	s_delay_alu instid0(VALU_DEP_1) | instskip(NEXT) | instid1(VALU_DEP_1)
	v_add3_u32 v7, v2, v7, 0x80fffff
	v_lshrrev_b32_e32 v7, 21, v7
; %bb.1825:
	s_and_not1_saveexec_b32 s7, s7
; %bb.1826:
	v_add_f32_e64 v7, 0x43000000, |v2|
; %bb.1827:
	s_or_b32 exec_lo, exec_lo, s7
                                        ; implicit-def: $vgpr12
.LBB449_1828:
	s_and_not1_saveexec_b32 s1, s1
; %bb.1829:
	v_mov_b32_e32 v7, 0x7f
	v_cmp_lt_u32_e32 vcc_lo, 0x7f800000, v12
	s_delay_alu instid0(VALU_DEP_2)
	v_cndmask_b32_e32 v7, 0x7c, v7, vcc_lo
; %bb.1830:
	s_or_b32 exec_lo, exec_lo, s1
	v_lshrrev_b32_e32 v2, 24, v2
	s_delay_alu instid0(VALU_DEP_1)
	v_and_or_b32 v2, 0x80, v2, v7
	global_store_b8 v[5:6], v2, off
.LBB449_1831:
	s_mov_b32 s1, 0
	s_mov_b32 s7, -1
.LBB449_1832:
	s_and_not1_b32 vcc_lo, exec_lo, s1
	s_mov_b32 s1, 0
	s_cbranch_vccnz .LBB449_1839
; %bb.1833:
	v_cmp_gt_i16_e64 s1, s6, 14
	s_delay_alu instid0(VALU_DEP_1)
	s_and_b32 vcc_lo, exec_lo, s1
	s_mov_b32 s1, -1
	s_cbranch_vccz .LBB449_1837
; %bb.1834:
	v_cmp_eq_u16_e64 s0, s6, 15
	s_delay_alu instid0(VALU_DEP_1)
	s_and_b32 vcc_lo, exec_lo, s0
	s_mov_b32 s0, -1
	s_cbranch_vccz .LBB449_1836
; %bb.1835:
	v_xor_b32_e32 v2, v3, v4
	v_cls_i32_e32 v7, v4
	s_mov_b32 s7, -1
	s_mov_b32 s0, 0
	s_delay_alu instid0(VALU_DEP_2) | instskip(NEXT) | instid1(VALU_DEP_2)
	v_ashrrev_i32_e32 v2, 31, v2
	v_add_nc_u32_e32 v7, -1, v7
	s_delay_alu instid0(VALU_DEP_2) | instskip(NEXT) | instid1(VALU_DEP_1)
	v_add_nc_u32_e32 v2, 32, v2
	v_min_u32_e32 v2, v7, v2
	s_delay_alu instid0(VALU_DEP_1) | instskip(SKIP_1) | instid1(VALU_DEP_2)
	v_lshlrev_b64 v[12:13], v2, v[3:4]
	v_sub_nc_u32_e32 v2, 32, v2
	v_min_u32_e32 v7, 1, v12
	s_delay_alu instid0(VALU_DEP_1) | instskip(NEXT) | instid1(VALU_DEP_1)
	v_or_b32_e32 v7, v13, v7
	v_cvt_f32_i32_e32 v7, v7
	s_delay_alu instid0(VALU_DEP_1) | instskip(NEXT) | instid1(VALU_DEP_1)
	v_ldexp_f32 v2, v7, v2
	v_bfe_u32 v7, v2, 16, 1
	s_delay_alu instid0(VALU_DEP_1)
	v_add3_u32 v2, v2, v7, 0x7fff
	global_store_d16_hi_b16 v[5:6], v2, off
.LBB449_1836:
	s_mov_b32 s1, 0
.LBB449_1837:
	s_delay_alu instid0(SALU_CYCLE_1)
	s_and_b32 vcc_lo, exec_lo, s1
	s_mov_b32 s1, 0
	s_cbranch_vccz .LBB449_1839
; %bb.1838:
	v_cmp_ne_u16_e64 s0, s6, 11
	s_mov_b32 s1, -1
.LBB449_1839:
	s_delay_alu instid0(VALU_DEP_1)
	s_and_b32 vcc_lo, exec_lo, s0
	s_cbranch_vccnz .LBB449_1896
; %bb.1840:
	s_and_not1_b32 vcc_lo, exec_lo, s1
	s_cbranch_vccnz .LBB449_1842
.LBB449_1841:
	v_cmp_ne_u64_e32 vcc_lo, 0, v[3:4]
	s_mov_b32 s7, -1
	v_cndmask_b32_e64 v2, 0, 1, vcc_lo
	global_store_b8 v[5:6], v2, off
.LBB449_1842:
	s_mov_b32 s0, 0
.LBB449_1843:
	s_delay_alu instid0(SALU_CYCLE_1)
	s_and_b32 vcc_lo, exec_lo, s0
	s_cbranch_vccz .LBB449_1882
; %bb.1844:
	v_cmp_lt_i16_e64 s0, s6, 5
	s_delay_alu instid0(VALU_DEP_1)
	s_and_b32 vcc_lo, exec_lo, s0
	s_mov_b32 s0, -1
	s_cbranch_vccnz .LBB449_1865
; %bb.1845:
	v_cmp_lt_i16_e64 s0, s6, 8
	s_delay_alu instid0(VALU_DEP_1)
	s_and_b32 vcc_lo, exec_lo, s0
	s_mov_b32 s0, -1
	s_cbranch_vccnz .LBB449_1855
	;; [unrolled: 6-line block ×3, first 2 shown]
; %bb.1847:
	v_cmp_gt_i16_e64 s0, s6, 9
	s_delay_alu instid0(VALU_DEP_1)
	s_and_b32 vcc_lo, exec_lo, s0
	s_mov_b32 s0, -1
	s_cbranch_vccz .LBB449_1849
; %bb.1848:
	v_cvt_f64_i32_e32 v[12:13], v4
	v_cvt_f64_u32_e32 v[14:15], v3
	s_mov_b32 s0, 0
	s_delay_alu instid0(VALU_DEP_2) | instskip(NEXT) | instid1(VALU_DEP_1)
	v_ldexp_f64 v[12:13], v[12:13], 32
	v_add_f64 v[12:13], v[12:13], v[14:15]
	v_mov_b32_e32 v14, 0
	s_delay_alu instid0(VALU_DEP_1)
	v_mov_b32_e32 v15, v14
	global_store_b128 v[5:6], v[12:15], off
.LBB449_1849:
	s_and_not1_b32 vcc_lo, exec_lo, s0
	s_cbranch_vccnz .LBB449_1851
; %bb.1850:
	v_xor_b32_e32 v2, v3, v4
	v_cls_i32_e32 v7, v4
	s_delay_alu instid0(VALU_DEP_2) | instskip(NEXT) | instid1(VALU_DEP_2)
	v_ashrrev_i32_e32 v2, 31, v2
	v_add_nc_u32_e32 v7, -1, v7
	s_delay_alu instid0(VALU_DEP_2) | instskip(NEXT) | instid1(VALU_DEP_1)
	v_add_nc_u32_e32 v2, 32, v2
	v_min_u32_e32 v2, v7, v2
	s_delay_alu instid0(VALU_DEP_1) | instskip(SKIP_1) | instid1(VALU_DEP_2)
	v_lshlrev_b64 v[12:13], v2, v[3:4]
	v_sub_nc_u32_e32 v2, 32, v2
	v_min_u32_e32 v7, 1, v12
	s_delay_alu instid0(VALU_DEP_1) | instskip(SKIP_1) | instid1(VALU_DEP_2)
	v_or_b32_e32 v7, v13, v7
	v_mov_b32_e32 v13, 0
	v_cvt_f32_i32_e32 v7, v7
	s_delay_alu instid0(VALU_DEP_1)
	v_ldexp_f32 v12, v7, v2
	global_store_b64 v[5:6], v[12:13], off
.LBB449_1851:
	s_mov_b32 s0, 0
.LBB449_1852:
	s_delay_alu instid0(SALU_CYCLE_1)
	s_and_not1_b32 vcc_lo, exec_lo, s0
	s_cbranch_vccnz .LBB449_1854
; %bb.1853:
	v_xor_b32_e32 v2, v3, v4
	v_cls_i32_e32 v7, v4
	s_delay_alu instid0(VALU_DEP_2) | instskip(NEXT) | instid1(VALU_DEP_2)
	v_ashrrev_i32_e32 v2, 31, v2
	v_add_nc_u32_e32 v7, -1, v7
	s_delay_alu instid0(VALU_DEP_2) | instskip(NEXT) | instid1(VALU_DEP_1)
	v_add_nc_u32_e32 v2, 32, v2
	v_min_u32_e32 v2, v7, v2
	s_delay_alu instid0(VALU_DEP_1) | instskip(SKIP_1) | instid1(VALU_DEP_2)
	v_lshlrev_b64 v[12:13], v2, v[3:4]
	v_sub_nc_u32_e32 v2, 32, v2
	v_min_u32_e32 v7, 1, v12
	s_delay_alu instid0(VALU_DEP_1) | instskip(NEXT) | instid1(VALU_DEP_1)
	v_or_b32_e32 v7, v13, v7
	v_cvt_f32_i32_e32 v7, v7
	s_delay_alu instid0(VALU_DEP_1) | instskip(NEXT) | instid1(VALU_DEP_1)
	v_ldexp_f32 v2, v7, v2
	v_cvt_f16_f32_e32 v2, v2
	s_delay_alu instid0(VALU_DEP_1)
	v_and_b32_e32 v2, 0xffff, v2
	global_store_b32 v[5:6], v2, off
.LBB449_1854:
	s_mov_b32 s0, 0
.LBB449_1855:
	s_delay_alu instid0(SALU_CYCLE_1)
	s_and_not1_b32 vcc_lo, exec_lo, s0
	s_cbranch_vccnz .LBB449_1864
; %bb.1856:
	v_cmp_lt_i16_e64 s0, s6, 6
	s_delay_alu instid0(VALU_DEP_1)
	s_and_b32 vcc_lo, exec_lo, s0
	s_mov_b32 s0, -1
	s_cbranch_vccnz .LBB449_1862
; %bb.1857:
	v_cmp_gt_i16_e64 s0, s6, 6
	s_delay_alu instid0(VALU_DEP_1)
	s_and_b32 vcc_lo, exec_lo, s0
	s_mov_b32 s0, -1
	s_cbranch_vccz .LBB449_1859
; %bb.1858:
	v_cvt_f64_i32_e32 v[12:13], v4
	v_cvt_f64_u32_e32 v[14:15], v3
	s_mov_b32 s0, 0
	s_delay_alu instid0(VALU_DEP_2) | instskip(NEXT) | instid1(VALU_DEP_1)
	v_ldexp_f64 v[12:13], v[12:13], 32
	v_add_f64 v[12:13], v[12:13], v[14:15]
	global_store_b64 v[5:6], v[12:13], off
.LBB449_1859:
	s_and_not1_b32 vcc_lo, exec_lo, s0
	s_cbranch_vccnz .LBB449_1861
; %bb.1860:
	v_xor_b32_e32 v2, v3, v4
	v_cls_i32_e32 v7, v4
	s_delay_alu instid0(VALU_DEP_2) | instskip(NEXT) | instid1(VALU_DEP_2)
	v_ashrrev_i32_e32 v2, 31, v2
	v_add_nc_u32_e32 v7, -1, v7
	s_delay_alu instid0(VALU_DEP_2) | instskip(NEXT) | instid1(VALU_DEP_1)
	v_add_nc_u32_e32 v2, 32, v2
	v_min_u32_e32 v2, v7, v2
	s_delay_alu instid0(VALU_DEP_1) | instskip(SKIP_1) | instid1(VALU_DEP_2)
	v_lshlrev_b64 v[12:13], v2, v[3:4]
	v_sub_nc_u32_e32 v2, 32, v2
	v_min_u32_e32 v7, 1, v12
	s_delay_alu instid0(VALU_DEP_1) | instskip(NEXT) | instid1(VALU_DEP_1)
	v_or_b32_e32 v7, v13, v7
	v_cvt_f32_i32_e32 v7, v7
	s_delay_alu instid0(VALU_DEP_1)
	v_ldexp_f32 v2, v7, v2
	global_store_b32 v[5:6], v2, off
.LBB449_1861:
	s_mov_b32 s0, 0
.LBB449_1862:
	s_delay_alu instid0(SALU_CYCLE_1)
	s_and_not1_b32 vcc_lo, exec_lo, s0
	s_cbranch_vccnz .LBB449_1864
; %bb.1863:
	v_xor_b32_e32 v2, v3, v4
	v_cls_i32_e32 v7, v4
	s_delay_alu instid0(VALU_DEP_2) | instskip(NEXT) | instid1(VALU_DEP_2)
	v_ashrrev_i32_e32 v2, 31, v2
	v_add_nc_u32_e32 v7, -1, v7
	s_delay_alu instid0(VALU_DEP_2) | instskip(NEXT) | instid1(VALU_DEP_1)
	v_add_nc_u32_e32 v2, 32, v2
	v_min_u32_e32 v2, v7, v2
	s_delay_alu instid0(VALU_DEP_1) | instskip(SKIP_1) | instid1(VALU_DEP_2)
	v_lshlrev_b64 v[12:13], v2, v[3:4]
	v_sub_nc_u32_e32 v2, 32, v2
	v_min_u32_e32 v7, 1, v12
	s_delay_alu instid0(VALU_DEP_1) | instskip(NEXT) | instid1(VALU_DEP_1)
	v_or_b32_e32 v7, v13, v7
	v_cvt_f32_i32_e32 v7, v7
	s_delay_alu instid0(VALU_DEP_1) | instskip(NEXT) | instid1(VALU_DEP_1)
	v_ldexp_f32 v2, v7, v2
	v_cvt_f16_f32_e32 v2, v2
	global_store_b16 v[5:6], v2, off
.LBB449_1864:
	s_mov_b32 s0, 0
.LBB449_1865:
	s_delay_alu instid0(SALU_CYCLE_1)
	s_and_not1_b32 vcc_lo, exec_lo, s0
	s_cbranch_vccnz .LBB449_1881
; %bb.1866:
	v_cmp_lt_i16_e64 s0, s6, 2
	s_delay_alu instid0(VALU_DEP_1)
	s_and_b32 vcc_lo, exec_lo, s0
	s_mov_b32 s0, -1
	s_cbranch_vccnz .LBB449_1876
; %bb.1867:
	v_cmp_lt_i16_e64 s0, s6, 3
	s_delay_alu instid0(VALU_DEP_1)
	s_and_b32 vcc_lo, exec_lo, s0
	s_mov_b32 s0, -1
	s_cbranch_vccnz .LBB449_1873
; %bb.1868:
	v_cmp_gt_i16_e64 s0, s6, 3
	s_delay_alu instid0(VALU_DEP_1)
	s_and_b32 vcc_lo, exec_lo, s0
	s_mov_b32 s0, -1
	s_cbranch_vccz .LBB449_1870
; %bb.1869:
	s_mov_b32 s0, 0
	global_store_b64 v[5:6], v[3:4], off
.LBB449_1870:
	s_and_not1_b32 vcc_lo, exec_lo, s0
	s_cbranch_vccnz .LBB449_1872
; %bb.1871:
	global_store_b32 v[5:6], v3, off
.LBB449_1872:
	s_mov_b32 s0, 0
.LBB449_1873:
	s_delay_alu instid0(SALU_CYCLE_1)
	s_and_not1_b32 vcc_lo, exec_lo, s0
	s_cbranch_vccnz .LBB449_1875
; %bb.1874:
	global_store_b16 v[5:6], v3, off
.LBB449_1875:
	s_mov_b32 s0, 0
.LBB449_1876:
	s_delay_alu instid0(SALU_CYCLE_1)
	s_and_not1_b32 vcc_lo, exec_lo, s0
	s_cbranch_vccnz .LBB449_1881
; %bb.1877:
	v_cmp_gt_i16_e64 s0, s6, 0
	s_delay_alu instid0(VALU_DEP_1)
	s_and_b32 vcc_lo, exec_lo, s0
	s_mov_b32 s0, -1
	s_cbranch_vccz .LBB449_1879
; %bb.1878:
	s_mov_b32 s0, 0
	global_store_b8 v[5:6], v3, off
.LBB449_1879:
	s_and_not1_b32 vcc_lo, exec_lo, s0
	s_cbranch_vccnz .LBB449_1881
; %bb.1880:
	global_store_b8 v[5:6], v3, off
.LBB449_1881:
	s_mov_b32 s7, -1
.LBB449_1882:
	s_delay_alu instid0(SALU_CYCLE_1)
	s_and_not1_b32 vcc_lo, exec_lo, s7
	s_cbranch_vccnz .LBB449_2020
; %bb.1883:
	v_cmp_gt_i64_e32 vcc_lo, s[2:3], v[8:9]
	v_cmp_lt_i16_e64 s0, s6, 11
	v_add_co_u32 v4, s1, s4, v1
	s_delay_alu instid0(VALU_DEP_1)
	v_add_co_ci_u32_e64 v5, null, s5, 0, s1
	v_cndmask_b32_e32 v3, s3, v9, vcc_lo
	v_cndmask_b32_e32 v2, s2, v8, vcc_lo
	s_mov_b32 s7, 0
	s_and_b32 vcc_lo, exec_lo, s0
	s_mov_b32 s0, -1
	s_cbranch_vccnz .LBB449_1972
; %bb.1884:
	v_cmp_gt_i16_e64 s0, s6, 25
	s_mov_b32 s11, -1
	s_mov_b32 s1, 0
	s_delay_alu instid0(VALU_DEP_1)
	s_and_b32 vcc_lo, exec_lo, s0
	s_mov_b32 s0, 0
	s_cbranch_vccz .LBB449_1928
; %bb.1885:
	v_cmp_gt_i16_e64 s0, s6, 28
	s_delay_alu instid0(VALU_DEP_1)
	s_and_b32 vcc_lo, exec_lo, s0
	s_cbranch_vccz .LBB449_1890
; %bb.1886:
	v_cmp_gt_i16_e64 s0, s6, 43
	s_delay_alu instid0(VALU_DEP_1)
	s_and_b32 vcc_lo, exec_lo, s0
	;; [unrolled: 5-line block ×3, first 2 shown]
	s_cbranch_vccz .LBB449_1900
; %bb.1888:
	v_cmp_eq_u16_e64 s7, s6, 46
	s_mov_b32 s0, -1
	s_mov_b32 s11, 0
	s_delay_alu instid0(VALU_DEP_1)
	s_and_b32 vcc_lo, exec_lo, s7
	s_mov_b32 s7, 0
	s_cbranch_vccz .LBB449_1901
; %bb.1889:
	v_xor_b32_e32 v1, v2, v3
	v_cls_i32_e32 v6, v3
	s_mov_b32 s7, -1
	s_mov_b32 s0, 0
	s_delay_alu instid0(VALU_DEP_2) | instskip(NEXT) | instid1(VALU_DEP_2)
	v_ashrrev_i32_e32 v1, 31, v1
	v_add_nc_u32_e32 v6, -1, v6
	s_delay_alu instid0(VALU_DEP_2) | instskip(NEXT) | instid1(VALU_DEP_1)
	v_add_nc_u32_e32 v1, 32, v1
	v_min_u32_e32 v1, v6, v1
	s_delay_alu instid0(VALU_DEP_1) | instskip(SKIP_1) | instid1(VALU_DEP_2)
	v_lshlrev_b64 v[6:7], v1, v[2:3]
	v_sub_nc_u32_e32 v1, 32, v1
	v_min_u32_e32 v6, 1, v6
	s_delay_alu instid0(VALU_DEP_1) | instskip(NEXT) | instid1(VALU_DEP_1)
	v_or_b32_e32 v6, v7, v6
	v_cvt_f32_i32_e32 v6, v6
	s_delay_alu instid0(VALU_DEP_1) | instskip(NEXT) | instid1(VALU_DEP_1)
	v_ldexp_f32 v1, v6, v1
	v_bfe_u32 v6, v1, 16, 1
	s_delay_alu instid0(VALU_DEP_1) | instskip(NEXT) | instid1(VALU_DEP_1)
	v_add3_u32 v1, v1, v6, 0x7fff
	v_lshrrev_b32_e32 v1, 16, v1
	global_store_b32 v[4:5], v1, off
	s_branch .LBB449_1901
.LBB449_1890:
	s_mov_b32 s0, 0
	s_branch .LBB449_1911
.LBB449_1891:
	s_or_saveexec_b32 s12, s12
                                        ; implicit-def: $sgpr13
	s_delay_alu instid0(SALU_CYCLE_1)
	s_xor_b32 exec_lo, exec_lo, s12
	s_cbranch_execz .LBB449_1793
.LBB449_1892:
	v_add_f32_e64 v7, 0x46000000, |v2|
	s_and_not1_b32 s11, s11, exec_lo
	s_mov_b32 s13, 0
	s_delay_alu instid0(VALU_DEP_1) | instskip(NEXT) | instid1(VALU_DEP_1)
	v_and_b32_e32 v7, 0xff, v7
	v_cmp_ne_u32_e32 vcc_lo, 0, v7
	s_and_b32 s14, vcc_lo, exec_lo
	s_delay_alu instid0(SALU_CYCLE_1)
	s_or_b32 s11, s11, s14
	s_or_b32 exec_lo, exec_lo, s12
	v_mov_b32_e32 v12, s13
	s_and_saveexec_b32 s12, s11
	s_cbranch_execnz .LBB449_1794
	s_branch .LBB449_1795
.LBB449_1893:
	s_mov_b32 s0, 0
	s_branch .LBB449_1907
.LBB449_1894:
	s_trap 2
	s_sendmsg_rtn_b32 s0, sendmsg(MSG_RTN_GET_DOORBELL)
	s_mov_b32 ttmp2, m0
	s_waitcnt lgkmcnt(0)
	s_and_b32 s0, s0, 0x3ff
	s_delay_alu instid0(SALU_CYCLE_1) | instskip(NEXT) | instid1(SALU_CYCLE_1)
	s_bitset1_b32 s0, 10
	s_mov_b32 m0, s0
	s_sendmsg sendmsg(MSG_INTERRUPT)
	s_mov_b32 m0, ttmp2
.LBB449_1895:                           ; =>This Inner Loop Header: Depth=1
	s_sethalt 5
	s_branch .LBB449_1895
.LBB449_1896:
	s_cbranch_execnz .LBB449_2069
; %bb.1897:
	s_or_b32 s10, s10, exec_lo
	s_cbranch_execz .LBB449_1841
	s_branch .LBB449_1842
.LBB449_1898:
	s_or_saveexec_b32 s11, s11
                                        ; implicit-def: $sgpr12
	s_delay_alu instid0(SALU_CYCLE_1)
	s_xor_b32 exec_lo, exec_lo, s11
	s_cbranch_execz .LBB449_1806
.LBB449_1899:
	v_add_f32_e64 v7, 0x42800000, |v2|
	s_and_not1_b32 s7, s7, exec_lo
	s_mov_b32 s12, 0
	s_delay_alu instid0(VALU_DEP_1) | instskip(NEXT) | instid1(VALU_DEP_1)
	v_and_b32_e32 v7, 0xff, v7
	v_cmp_ne_u32_e32 vcc_lo, 0, v7
	s_and_b32 s13, vcc_lo, exec_lo
	s_delay_alu instid0(SALU_CYCLE_1)
	s_or_b32 s7, s7, s13
	s_or_b32 exec_lo, exec_lo, s11
	v_mov_b32_e32 v12, s12
	s_and_saveexec_b32 s11, s7
	s_cbranch_execnz .LBB449_1807
	s_branch .LBB449_1808
.LBB449_1900:
	s_mov_b32 s0, 0
.LBB449_1901:
	s_and_b32 vcc_lo, exec_lo, s11
	s_cbranch_vccz .LBB449_1906
; %bb.1902:
	v_cmp_eq_u16_e64 s0, s6, 44
	s_delay_alu instid0(VALU_DEP_1)
	s_and_b32 vcc_lo, exec_lo, s0
	s_mov_b32 s0, -1
	s_cbranch_vccz .LBB449_1906
; %bb.1903:
	v_xor_b32_e32 v1, v2, v3
	v_cls_i32_e32 v6, v3
	s_mov_b32 s7, -1
	s_mov_b32 s11, exec_lo
	s_delay_alu instid0(VALU_DEP_2) | instskip(NEXT) | instid1(VALU_DEP_2)
	v_ashrrev_i32_e32 v1, 31, v1
	v_add_nc_u32_e32 v6, -1, v6
	s_delay_alu instid0(VALU_DEP_2) | instskip(NEXT) | instid1(VALU_DEP_1)
	v_add_nc_u32_e32 v1, 32, v1
	v_min_u32_e32 v1, v6, v1
	s_delay_alu instid0(VALU_DEP_1) | instskip(SKIP_1) | instid1(VALU_DEP_2)
	v_lshlrev_b64 v[6:7], v1, v[2:3]
	v_sub_nc_u32_e32 v1, 32, v1
	v_min_u32_e32 v6, 1, v6
	s_delay_alu instid0(VALU_DEP_1) | instskip(NEXT) | instid1(VALU_DEP_1)
	v_or_b32_e32 v6, v7, v6
	v_cvt_f32_i32_e32 v6, v6
	s_delay_alu instid0(VALU_DEP_1) | instskip(SKIP_1) | instid1(VALU_DEP_2)
	v_ldexp_f32 v1, v6, v1
	v_mov_b32_e32 v6, 0xff
	v_bfe_u32 v7, v1, 23, 8
	s_delay_alu instid0(VALU_DEP_1)
	v_cmpx_ne_u32_e32 0xff, v7
; %bb.1904:
	v_and_b32_e32 v6, 0x400000, v1
	v_and_or_b32 v7, 0x3fffff, v1, v7
	v_lshrrev_b32_e32 v1, 23, v1
	s_delay_alu instid0(VALU_DEP_3) | instskip(NEXT) | instid1(VALU_DEP_3)
	v_cmp_ne_u32_e32 vcc_lo, 0, v6
	v_cmp_ne_u32_e64 s0, 0, v7
	s_delay_alu instid0(VALU_DEP_1) | instskip(NEXT) | instid1(SALU_CYCLE_1)
	s_and_b32 s0, vcc_lo, s0
	v_cndmask_b32_e64 v6, 0, 1, s0
	s_delay_alu instid0(VALU_DEP_1)
	v_add_nc_u32_e32 v6, v1, v6
; %bb.1905:
	s_or_b32 exec_lo, exec_lo, s11
	s_mov_b32 s0, 0
	global_store_b8 v[4:5], v6, off
.LBB449_1906:
	s_mov_b32 s11, 0
.LBB449_1907:
	s_delay_alu instid0(SALU_CYCLE_1)
	s_and_b32 vcc_lo, exec_lo, s11
	s_cbranch_vccz .LBB449_1910
; %bb.1908:
	v_cmp_eq_u16_e64 s0, s6, 29
	s_delay_alu instid0(VALU_DEP_1)
	s_and_b32 vcc_lo, exec_lo, s0
	s_mov_b32 s0, -1
	s_cbranch_vccz .LBB449_1910
; %bb.1909:
	s_mov_b32 s0, 0
	s_mov_b32 s7, -1
	global_store_b64 v[4:5], v[2:3], off
.LBB449_1910:
	s_mov_b32 s11, 0
.LBB449_1911:
	s_delay_alu instid0(SALU_CYCLE_1)
	s_and_b32 vcc_lo, exec_lo, s11
	s_cbranch_vccz .LBB449_1927
; %bb.1912:
	v_cmp_lt_i16_e64 s7, s6, 27
	s_delay_alu instid0(VALU_DEP_1)
	s_and_b32 vcc_lo, exec_lo, s7
	s_mov_b32 s7, -1
	s_cbranch_vccnz .LBB449_1918
; %bb.1913:
	v_cmp_gt_i16_e64 s7, s6, 27
	s_delay_alu instid0(VALU_DEP_1)
	s_and_b32 vcc_lo, exec_lo, s7
	s_mov_b32 s7, -1
	s_cbranch_vccz .LBB449_1915
; %bb.1914:
	s_mov_b32 s7, 0
	global_store_b32 v[4:5], v2, off
.LBB449_1915:
	s_and_not1_b32 vcc_lo, exec_lo, s7
	s_cbranch_vccnz .LBB449_1917
; %bb.1916:
	global_store_b16 v[4:5], v2, off
.LBB449_1917:
	s_mov_b32 s7, 0
.LBB449_1918:
	s_delay_alu instid0(SALU_CYCLE_1)
	s_and_not1_b32 vcc_lo, exec_lo, s7
	s_cbranch_vccnz .LBB449_1926
; %bb.1919:
	v_xor_b32_e32 v1, v2, v3
	v_cls_i32_e32 v6, v3
	s_mov_b32 s7, exec_lo
	s_delay_alu instid0(VALU_DEP_2) | instskip(NEXT) | instid1(VALU_DEP_2)
	v_ashrrev_i32_e32 v1, 31, v1
	v_add_nc_u32_e32 v6, -1, v6
	s_delay_alu instid0(VALU_DEP_2) | instskip(NEXT) | instid1(VALU_DEP_1)
	v_add_nc_u32_e32 v1, 32, v1
	v_min_u32_e32 v1, v6, v1
	s_delay_alu instid0(VALU_DEP_1) | instskip(SKIP_1) | instid1(VALU_DEP_2)
	v_lshlrev_b64 v[6:7], v1, v[2:3]
	v_sub_nc_u32_e32 v1, 32, v1
	v_min_u32_e32 v6, 1, v6
	s_delay_alu instid0(VALU_DEP_1) | instskip(SKIP_1) | instid1(VALU_DEP_2)
	v_or_b32_e32 v6, v7, v6
	v_mov_b32_e32 v7, 0x80
	v_cvt_f32_i32_e32 v6, v6
	s_delay_alu instid0(VALU_DEP_1) | instskip(NEXT) | instid1(VALU_DEP_1)
	v_ldexp_f32 v1, v6, v1
	v_and_b32_e32 v6, 0x7fffffff, v1
	s_delay_alu instid0(VALU_DEP_1)
	v_cmpx_gt_u32_e32 0x43800000, v6
	s_cbranch_execz .LBB449_1925
; %bb.1920:
	v_cmp_lt_u32_e32 vcc_lo, 0x3bffffff, v6
	s_mov_b32 s11, 0
                                        ; implicit-def: $vgpr6
	s_and_saveexec_b32 s12, vcc_lo
	s_delay_alu instid0(SALU_CYCLE_1)
	s_xor_b32 s12, exec_lo, s12
	s_cbranch_execz .LBB449_2066
; %bb.1921:
	v_bfe_u32 v6, v1, 20, 1
	s_mov_b32 s11, exec_lo
	s_delay_alu instid0(VALU_DEP_1) | instskip(NEXT) | instid1(VALU_DEP_1)
	v_add3_u32 v6, v1, v6, 0x487ffff
	v_lshrrev_b32_e32 v6, 20, v6
	s_or_saveexec_b32 s12, s12
                                        ; implicit-def: $sgpr13
	s_delay_alu instid0(SALU_CYCLE_1)
	s_xor_b32 exec_lo, exec_lo, s12
	s_cbranch_execnz .LBB449_2067
.LBB449_1922:
	s_or_b32 exec_lo, exec_lo, s12
	v_mov_b32_e32 v7, s13
	s_and_saveexec_b32 s12, s11
.LBB449_1923:
	v_lshrrev_b32_e32 v1, 24, v1
	s_delay_alu instid0(VALU_DEP_1)
	v_and_or_b32 v7, 0x80, v1, v6
.LBB449_1924:
	s_or_b32 exec_lo, exec_lo, s12
.LBB449_1925:
	s_delay_alu instid0(SALU_CYCLE_1)
	s_or_b32 exec_lo, exec_lo, s7
	global_store_b8 v[4:5], v7, off
.LBB449_1926:
	s_mov_b32 s7, -1
.LBB449_1927:
	s_mov_b32 s11, 0
.LBB449_1928:
	s_delay_alu instid0(SALU_CYCLE_1)
	s_and_b32 vcc_lo, exec_lo, s11
	s_cbranch_vccz .LBB449_1968
; %bb.1929:
	v_cmp_gt_i16_e64 s1, s6, 22
	s_delay_alu instid0(VALU_DEP_1)
	s_and_b32 vcc_lo, exec_lo, s1
	s_mov_b32 s1, -1
	s_cbranch_vccz .LBB449_1961
; %bb.1930:
	v_cmp_lt_i16_e64 s1, s6, 24
	s_delay_alu instid0(VALU_DEP_1)
	s_and_b32 vcc_lo, exec_lo, s1
	s_mov_b32 s1, -1
	s_cbranch_vccnz .LBB449_1950
; %bb.1931:
	v_cmp_gt_i16_e64 s1, s6, 24
	s_delay_alu instid0(VALU_DEP_1)
	s_and_b32 vcc_lo, exec_lo, s1
	s_mov_b32 s1, -1
	s_cbranch_vccz .LBB449_1939
; %bb.1932:
	v_xor_b32_e32 v1, v2, v3
	v_cls_i32_e32 v6, v3
	s_mov_b32 s1, exec_lo
	s_delay_alu instid0(VALU_DEP_2) | instskip(NEXT) | instid1(VALU_DEP_2)
	v_ashrrev_i32_e32 v1, 31, v1
	v_add_nc_u32_e32 v6, -1, v6
	s_delay_alu instid0(VALU_DEP_2) | instskip(NEXT) | instid1(VALU_DEP_1)
	v_add_nc_u32_e32 v1, 32, v1
	v_min_u32_e32 v1, v6, v1
	s_delay_alu instid0(VALU_DEP_1) | instskip(SKIP_1) | instid1(VALU_DEP_2)
	v_lshlrev_b64 v[6:7], v1, v[2:3]
	v_sub_nc_u32_e32 v1, 32, v1
	v_min_u32_e32 v6, 1, v6
	s_delay_alu instid0(VALU_DEP_1) | instskip(SKIP_1) | instid1(VALU_DEP_2)
	v_or_b32_e32 v6, v7, v6
	v_mov_b32_e32 v7, 0x80
	v_cvt_f32_i32_e32 v6, v6
	s_delay_alu instid0(VALU_DEP_1) | instskip(NEXT) | instid1(VALU_DEP_1)
	v_ldexp_f32 v1, v6, v1
	v_and_b32_e32 v6, 0x7fffffff, v1
	s_delay_alu instid0(VALU_DEP_1)
	v_cmpx_gt_u32_e32 0x47800000, v6
	s_cbranch_execz .LBB449_1938
; %bb.1933:
	v_cmp_lt_u32_e32 vcc_lo, 0x37ffffff, v6
	s_mov_b32 s7, 0
                                        ; implicit-def: $vgpr6
	s_and_saveexec_b32 s11, vcc_lo
	s_delay_alu instid0(SALU_CYCLE_1)
	s_xor_b32 s11, exec_lo, s11
	s_cbranch_execz .LBB449_2073
; %bb.1934:
	v_bfe_u32 v6, v1, 21, 1
	s_mov_b32 s7, exec_lo
	s_delay_alu instid0(VALU_DEP_1) | instskip(NEXT) | instid1(VALU_DEP_1)
	v_add3_u32 v6, v1, v6, 0x88fffff
	v_lshrrev_b32_e32 v6, 21, v6
	s_or_saveexec_b32 s11, s11
                                        ; implicit-def: $sgpr12
	s_delay_alu instid0(SALU_CYCLE_1)
	s_xor_b32 exec_lo, exec_lo, s11
	s_cbranch_execnz .LBB449_2074
.LBB449_1935:
	s_or_b32 exec_lo, exec_lo, s11
	v_mov_b32_e32 v7, s12
	s_and_saveexec_b32 s11, s7
.LBB449_1936:
	v_lshrrev_b32_e32 v1, 24, v1
	s_delay_alu instid0(VALU_DEP_1)
	v_and_or_b32 v7, 0x80, v1, v6
.LBB449_1937:
	s_or_b32 exec_lo, exec_lo, s11
.LBB449_1938:
	s_delay_alu instid0(SALU_CYCLE_1)
	s_or_b32 exec_lo, exec_lo, s1
	s_mov_b32 s1, 0
	global_store_b8 v[4:5], v7, off
.LBB449_1939:
	s_and_b32 vcc_lo, exec_lo, s1
	s_cbranch_vccz .LBB449_1949
; %bb.1940:
	v_xor_b32_e32 v1, v2, v3
	v_cls_i32_e32 v6, v3
	s_mov_b32 s1, exec_lo
	s_delay_alu instid0(VALU_DEP_2) | instskip(NEXT) | instid1(VALU_DEP_2)
	v_ashrrev_i32_e32 v1, 31, v1
	v_add_nc_u32_e32 v6, -1, v6
	s_delay_alu instid0(VALU_DEP_2) | instskip(NEXT) | instid1(VALU_DEP_1)
	v_add_nc_u32_e32 v1, 32, v1
	v_min_u32_e32 v1, v6, v1
	s_delay_alu instid0(VALU_DEP_1) | instskip(SKIP_1) | instid1(VALU_DEP_2)
	v_lshlrev_b64 v[6:7], v1, v[2:3]
	v_sub_nc_u32_e32 v1, 32, v1
	v_min_u32_e32 v6, 1, v6
	s_delay_alu instid0(VALU_DEP_1) | instskip(NEXT) | instid1(VALU_DEP_1)
	v_or_b32_e32 v6, v7, v6
	v_cvt_f32_i32_e32 v6, v6
	s_delay_alu instid0(VALU_DEP_1) | instskip(NEXT) | instid1(VALU_DEP_1)
	v_ldexp_f32 v1, v6, v1
                                        ; implicit-def: $vgpr6
	v_and_b32_e32 v7, 0x7fffffff, v1
	s_delay_alu instid0(VALU_DEP_1)
	v_cmpx_gt_u32_e32 0x43f00000, v7
	s_xor_b32 s1, exec_lo, s1
	s_cbranch_execz .LBB449_1946
; %bb.1941:
	s_mov_b32 s7, exec_lo
                                        ; implicit-def: $vgpr6
	v_cmpx_lt_u32_e32 0x3c7fffff, v7
	s_xor_b32 s7, exec_lo, s7
; %bb.1942:
	v_bfe_u32 v6, v1, 20, 1
	s_delay_alu instid0(VALU_DEP_1) | instskip(NEXT) | instid1(VALU_DEP_1)
	v_add3_u32 v6, v1, v6, 0x407ffff
	v_and_b32_e32 v7, 0xff00000, v6
	v_lshrrev_b32_e32 v6, 20, v6
	s_delay_alu instid0(VALU_DEP_2) | instskip(NEXT) | instid1(VALU_DEP_2)
	v_cmp_ne_u32_e32 vcc_lo, 0x7f00000, v7
	v_cndmask_b32_e32 v6, 0x7e, v6, vcc_lo
; %bb.1943:
	s_and_not1_saveexec_b32 s7, s7
; %bb.1944:
	v_add_f32_e64 v6, 0x46800000, |v1|
; %bb.1945:
	s_or_b32 exec_lo, exec_lo, s7
                                        ; implicit-def: $vgpr7
.LBB449_1946:
	s_and_not1_saveexec_b32 s1, s1
; %bb.1947:
	v_mov_b32_e32 v6, 0x7f
	v_cmp_lt_u32_e32 vcc_lo, 0x7f800000, v7
	s_delay_alu instid0(VALU_DEP_2)
	v_cndmask_b32_e32 v6, 0x7e, v6, vcc_lo
; %bb.1948:
	s_or_b32 exec_lo, exec_lo, s1
	v_lshrrev_b32_e32 v1, 24, v1
	s_delay_alu instid0(VALU_DEP_1)
	v_and_or_b32 v1, 0x80, v1, v6
	global_store_b8 v[4:5], v1, off
.LBB449_1949:
	s_mov_b32 s1, 0
.LBB449_1950:
	s_delay_alu instid0(SALU_CYCLE_1)
	s_and_not1_b32 vcc_lo, exec_lo, s1
	s_cbranch_vccnz .LBB449_1960
; %bb.1951:
	v_xor_b32_e32 v1, v2, v3
	v_cls_i32_e32 v6, v3
	s_mov_b32 s1, exec_lo
	s_delay_alu instid0(VALU_DEP_2) | instskip(NEXT) | instid1(VALU_DEP_2)
	v_ashrrev_i32_e32 v1, 31, v1
	v_add_nc_u32_e32 v6, -1, v6
	s_delay_alu instid0(VALU_DEP_2) | instskip(NEXT) | instid1(VALU_DEP_1)
	v_add_nc_u32_e32 v1, 32, v1
	v_min_u32_e32 v1, v6, v1
	s_delay_alu instid0(VALU_DEP_1) | instskip(SKIP_1) | instid1(VALU_DEP_2)
	v_lshlrev_b64 v[6:7], v1, v[2:3]
	v_sub_nc_u32_e32 v1, 32, v1
	v_min_u32_e32 v6, 1, v6
	s_delay_alu instid0(VALU_DEP_1) | instskip(NEXT) | instid1(VALU_DEP_1)
	v_or_b32_e32 v6, v7, v6
	v_cvt_f32_i32_e32 v6, v6
	s_delay_alu instid0(VALU_DEP_1) | instskip(NEXT) | instid1(VALU_DEP_1)
	v_ldexp_f32 v1, v6, v1
                                        ; implicit-def: $vgpr6
	v_and_b32_e32 v7, 0x7fffffff, v1
	s_delay_alu instid0(VALU_DEP_1)
	v_cmpx_gt_u32_e32 0x47800000, v7
	s_xor_b32 s1, exec_lo, s1
	s_cbranch_execz .LBB449_1957
; %bb.1952:
	s_mov_b32 s7, exec_lo
                                        ; implicit-def: $vgpr6
	v_cmpx_lt_u32_e32 0x387fffff, v7
	s_xor_b32 s7, exec_lo, s7
; %bb.1953:
	v_bfe_u32 v6, v1, 21, 1
	s_delay_alu instid0(VALU_DEP_1) | instskip(NEXT) | instid1(VALU_DEP_1)
	v_add3_u32 v6, v1, v6, 0x80fffff
	v_lshrrev_b32_e32 v6, 21, v6
; %bb.1954:
	s_and_not1_saveexec_b32 s7, s7
; %bb.1955:
	v_add_f32_e64 v6, 0x43000000, |v1|
; %bb.1956:
	s_or_b32 exec_lo, exec_lo, s7
                                        ; implicit-def: $vgpr7
.LBB449_1957:
	s_and_not1_saveexec_b32 s1, s1
; %bb.1958:
	v_mov_b32_e32 v6, 0x7f
	v_cmp_lt_u32_e32 vcc_lo, 0x7f800000, v7
	s_delay_alu instid0(VALU_DEP_2)
	v_cndmask_b32_e32 v6, 0x7c, v6, vcc_lo
; %bb.1959:
	s_or_b32 exec_lo, exec_lo, s1
	v_lshrrev_b32_e32 v1, 24, v1
	s_delay_alu instid0(VALU_DEP_1)
	v_and_or_b32 v1, 0x80, v1, v6
	global_store_b8 v[4:5], v1, off
.LBB449_1960:
	s_mov_b32 s1, 0
	s_mov_b32 s7, -1
.LBB449_1961:
	s_and_not1_b32 vcc_lo, exec_lo, s1
	s_mov_b32 s1, 0
	s_cbranch_vccnz .LBB449_1968
; %bb.1962:
	v_cmp_gt_i16_e64 s1, s6, 14
	s_delay_alu instid0(VALU_DEP_1)
	s_and_b32 vcc_lo, exec_lo, s1
	s_mov_b32 s1, -1
	s_cbranch_vccz .LBB449_1966
; %bb.1963:
	v_cmp_eq_u16_e64 s0, s6, 15
	s_delay_alu instid0(VALU_DEP_1)
	s_and_b32 vcc_lo, exec_lo, s0
	s_mov_b32 s0, -1
	s_cbranch_vccz .LBB449_1965
; %bb.1964:
	v_xor_b32_e32 v1, v2, v3
	v_cls_i32_e32 v6, v3
	s_mov_b32 s7, -1
	s_mov_b32 s0, 0
	s_delay_alu instid0(VALU_DEP_2) | instskip(NEXT) | instid1(VALU_DEP_2)
	v_ashrrev_i32_e32 v1, 31, v1
	v_add_nc_u32_e32 v6, -1, v6
	s_delay_alu instid0(VALU_DEP_2) | instskip(NEXT) | instid1(VALU_DEP_1)
	v_add_nc_u32_e32 v1, 32, v1
	v_min_u32_e32 v1, v6, v1
	s_delay_alu instid0(VALU_DEP_1) | instskip(SKIP_1) | instid1(VALU_DEP_2)
	v_lshlrev_b64 v[6:7], v1, v[2:3]
	v_sub_nc_u32_e32 v1, 32, v1
	v_min_u32_e32 v6, 1, v6
	s_delay_alu instid0(VALU_DEP_1) | instskip(NEXT) | instid1(VALU_DEP_1)
	v_or_b32_e32 v6, v7, v6
	v_cvt_f32_i32_e32 v6, v6
	s_delay_alu instid0(VALU_DEP_1) | instskip(NEXT) | instid1(VALU_DEP_1)
	v_ldexp_f32 v1, v6, v1
	v_bfe_u32 v6, v1, 16, 1
	s_delay_alu instid0(VALU_DEP_1)
	v_add3_u32 v1, v1, v6, 0x7fff
	global_store_d16_hi_b16 v[4:5], v1, off
.LBB449_1965:
	s_mov_b32 s1, 0
.LBB449_1966:
	s_delay_alu instid0(SALU_CYCLE_1)
	s_and_b32 vcc_lo, exec_lo, s1
	s_mov_b32 s1, 0
	s_cbranch_vccz .LBB449_1968
; %bb.1967:
	v_cmp_ne_u16_e64 s0, s6, 11
	s_mov_b32 s1, -1
.LBB449_1968:
	s_delay_alu instid0(VALU_DEP_1)
	s_and_b32 vcc_lo, exec_lo, s0
	s_cbranch_vccnz .LBB449_2071
; %bb.1969:
	s_and_not1_b32 vcc_lo, exec_lo, s1
	s_cbranch_vccnz .LBB449_1971
.LBB449_1970:
	v_cmp_ne_u64_e32 vcc_lo, 0, v[2:3]
	s_mov_b32 s7, -1
	v_cndmask_b32_e64 v1, 0, 1, vcc_lo
	global_store_b8 v[4:5], v1, off
.LBB449_1971:
	s_mov_b32 s0, 0
.LBB449_1972:
	s_delay_alu instid0(SALU_CYCLE_1)
	s_and_b32 vcc_lo, exec_lo, s0
	s_cbranch_vccz .LBB449_2011
; %bb.1973:
	v_cmp_lt_i16_e64 s0, s6, 5
	s_delay_alu instid0(VALU_DEP_1)
	s_and_b32 vcc_lo, exec_lo, s0
	s_mov_b32 s0, -1
	s_cbranch_vccnz .LBB449_1994
; %bb.1974:
	v_cmp_lt_i16_e64 s0, s6, 8
	s_delay_alu instid0(VALU_DEP_1)
	s_and_b32 vcc_lo, exec_lo, s0
	s_mov_b32 s0, -1
	s_cbranch_vccnz .LBB449_1984
	;; [unrolled: 6-line block ×3, first 2 shown]
; %bb.1976:
	v_cmp_gt_i16_e64 s0, s6, 9
	s_delay_alu instid0(VALU_DEP_1)
	s_and_b32 vcc_lo, exec_lo, s0
	s_mov_b32 s0, -1
	s_cbranch_vccz .LBB449_1978
; %bb.1977:
	v_cvt_f64_i32_e32 v[6:7], v3
	v_cvt_f64_u32_e32 v[8:9], v2
	s_mov_b32 s0, 0
	s_delay_alu instid0(VALU_DEP_2) | instskip(NEXT) | instid1(VALU_DEP_1)
	v_ldexp_f64 v[6:7], v[6:7], 32
	v_add_f64 v[6:7], v[6:7], v[8:9]
	v_mov_b32_e32 v8, 0
	s_delay_alu instid0(VALU_DEP_1)
	v_mov_b32_e32 v9, v8
	global_store_b128 v[4:5], v[6:9], off
.LBB449_1978:
	s_and_not1_b32 vcc_lo, exec_lo, s0
	s_cbranch_vccnz .LBB449_1980
; %bb.1979:
	v_xor_b32_e32 v1, v2, v3
	v_cls_i32_e32 v6, v3
	s_delay_alu instid0(VALU_DEP_2) | instskip(NEXT) | instid1(VALU_DEP_2)
	v_ashrrev_i32_e32 v1, 31, v1
	v_add_nc_u32_e32 v6, -1, v6
	s_delay_alu instid0(VALU_DEP_2) | instskip(NEXT) | instid1(VALU_DEP_1)
	v_add_nc_u32_e32 v1, 32, v1
	v_min_u32_e32 v1, v6, v1
	s_delay_alu instid0(VALU_DEP_1) | instskip(SKIP_1) | instid1(VALU_DEP_2)
	v_lshlrev_b64 v[6:7], v1, v[2:3]
	v_sub_nc_u32_e32 v1, 32, v1
	v_min_u32_e32 v6, 1, v6
	s_delay_alu instid0(VALU_DEP_1) | instskip(SKIP_1) | instid1(VALU_DEP_2)
	v_or_b32_e32 v6, v7, v6
	v_mov_b32_e32 v7, 0
	v_cvt_f32_i32_e32 v6, v6
	s_delay_alu instid0(VALU_DEP_1)
	v_ldexp_f32 v6, v6, v1
	global_store_b64 v[4:5], v[6:7], off
.LBB449_1980:
	s_mov_b32 s0, 0
.LBB449_1981:
	s_delay_alu instid0(SALU_CYCLE_1)
	s_and_not1_b32 vcc_lo, exec_lo, s0
	s_cbranch_vccnz .LBB449_1983
; %bb.1982:
	v_xor_b32_e32 v1, v2, v3
	v_cls_i32_e32 v6, v3
	s_delay_alu instid0(VALU_DEP_2) | instskip(NEXT) | instid1(VALU_DEP_2)
	v_ashrrev_i32_e32 v1, 31, v1
	v_add_nc_u32_e32 v6, -1, v6
	s_delay_alu instid0(VALU_DEP_2) | instskip(NEXT) | instid1(VALU_DEP_1)
	v_add_nc_u32_e32 v1, 32, v1
	v_min_u32_e32 v1, v6, v1
	s_delay_alu instid0(VALU_DEP_1) | instskip(SKIP_1) | instid1(VALU_DEP_2)
	v_lshlrev_b64 v[6:7], v1, v[2:3]
	v_sub_nc_u32_e32 v1, 32, v1
	v_min_u32_e32 v6, 1, v6
	s_delay_alu instid0(VALU_DEP_1) | instskip(NEXT) | instid1(VALU_DEP_1)
	v_or_b32_e32 v6, v7, v6
	v_cvt_f32_i32_e32 v6, v6
	s_delay_alu instid0(VALU_DEP_1) | instskip(NEXT) | instid1(VALU_DEP_1)
	v_ldexp_f32 v1, v6, v1
	v_cvt_f16_f32_e32 v1, v1
	s_delay_alu instid0(VALU_DEP_1)
	v_and_b32_e32 v1, 0xffff, v1
	global_store_b32 v[4:5], v1, off
.LBB449_1983:
	s_mov_b32 s0, 0
.LBB449_1984:
	s_delay_alu instid0(SALU_CYCLE_1)
	s_and_not1_b32 vcc_lo, exec_lo, s0
	s_cbranch_vccnz .LBB449_1993
; %bb.1985:
	v_cmp_lt_i16_e64 s0, s6, 6
	s_delay_alu instid0(VALU_DEP_1)
	s_and_b32 vcc_lo, exec_lo, s0
	s_mov_b32 s0, -1
	s_cbranch_vccnz .LBB449_1991
; %bb.1986:
	v_cmp_gt_i16_e64 s0, s6, 6
	s_delay_alu instid0(VALU_DEP_1)
	s_and_b32 vcc_lo, exec_lo, s0
	s_mov_b32 s0, -1
	s_cbranch_vccz .LBB449_1988
; %bb.1987:
	v_cvt_f64_i32_e32 v[6:7], v3
	v_cvt_f64_u32_e32 v[8:9], v2
	s_mov_b32 s0, 0
	s_delay_alu instid0(VALU_DEP_2) | instskip(NEXT) | instid1(VALU_DEP_1)
	v_ldexp_f64 v[6:7], v[6:7], 32
	v_add_f64 v[6:7], v[6:7], v[8:9]
	global_store_b64 v[4:5], v[6:7], off
.LBB449_1988:
	s_and_not1_b32 vcc_lo, exec_lo, s0
	s_cbranch_vccnz .LBB449_1990
; %bb.1989:
	v_xor_b32_e32 v1, v2, v3
	v_cls_i32_e32 v6, v3
	s_delay_alu instid0(VALU_DEP_2) | instskip(NEXT) | instid1(VALU_DEP_2)
	v_ashrrev_i32_e32 v1, 31, v1
	v_add_nc_u32_e32 v6, -1, v6
	s_delay_alu instid0(VALU_DEP_2) | instskip(NEXT) | instid1(VALU_DEP_1)
	v_add_nc_u32_e32 v1, 32, v1
	v_min_u32_e32 v1, v6, v1
	s_delay_alu instid0(VALU_DEP_1) | instskip(SKIP_1) | instid1(VALU_DEP_2)
	v_lshlrev_b64 v[6:7], v1, v[2:3]
	v_sub_nc_u32_e32 v1, 32, v1
	v_min_u32_e32 v6, 1, v6
	s_delay_alu instid0(VALU_DEP_1) | instskip(NEXT) | instid1(VALU_DEP_1)
	v_or_b32_e32 v6, v7, v6
	v_cvt_f32_i32_e32 v6, v6
	s_delay_alu instid0(VALU_DEP_1)
	v_ldexp_f32 v1, v6, v1
	global_store_b32 v[4:5], v1, off
.LBB449_1990:
	s_mov_b32 s0, 0
.LBB449_1991:
	s_delay_alu instid0(SALU_CYCLE_1)
	s_and_not1_b32 vcc_lo, exec_lo, s0
	s_cbranch_vccnz .LBB449_1993
; %bb.1992:
	v_xor_b32_e32 v1, v2, v3
	v_cls_i32_e32 v6, v3
	s_delay_alu instid0(VALU_DEP_2) | instskip(NEXT) | instid1(VALU_DEP_2)
	v_ashrrev_i32_e32 v1, 31, v1
	v_add_nc_u32_e32 v6, -1, v6
	s_delay_alu instid0(VALU_DEP_2) | instskip(NEXT) | instid1(VALU_DEP_1)
	v_add_nc_u32_e32 v1, 32, v1
	v_min_u32_e32 v1, v6, v1
	s_delay_alu instid0(VALU_DEP_1) | instskip(SKIP_1) | instid1(VALU_DEP_2)
	v_lshlrev_b64 v[6:7], v1, v[2:3]
	v_sub_nc_u32_e32 v1, 32, v1
	v_min_u32_e32 v6, 1, v6
	s_delay_alu instid0(VALU_DEP_1) | instskip(NEXT) | instid1(VALU_DEP_1)
	v_or_b32_e32 v6, v7, v6
	v_cvt_f32_i32_e32 v6, v6
	s_delay_alu instid0(VALU_DEP_1) | instskip(NEXT) | instid1(VALU_DEP_1)
	v_ldexp_f32 v1, v6, v1
	v_cvt_f16_f32_e32 v1, v1
	global_store_b16 v[4:5], v1, off
.LBB449_1993:
	s_mov_b32 s0, 0
.LBB449_1994:
	s_delay_alu instid0(SALU_CYCLE_1)
	s_and_not1_b32 vcc_lo, exec_lo, s0
	s_cbranch_vccnz .LBB449_2010
; %bb.1995:
	v_cmp_lt_i16_e64 s0, s6, 2
	s_delay_alu instid0(VALU_DEP_1)
	s_and_b32 vcc_lo, exec_lo, s0
	s_mov_b32 s0, -1
	s_cbranch_vccnz .LBB449_2005
; %bb.1996:
	v_cmp_lt_i16_e64 s0, s6, 3
	s_delay_alu instid0(VALU_DEP_1)
	s_and_b32 vcc_lo, exec_lo, s0
	s_mov_b32 s0, -1
	s_cbranch_vccnz .LBB449_2002
; %bb.1997:
	v_cmp_gt_i16_e64 s0, s6, 3
	s_delay_alu instid0(VALU_DEP_1)
	s_and_b32 vcc_lo, exec_lo, s0
	s_mov_b32 s0, -1
	s_cbranch_vccz .LBB449_1999
; %bb.1998:
	s_mov_b32 s0, 0
	global_store_b64 v[4:5], v[2:3], off
.LBB449_1999:
	s_and_not1_b32 vcc_lo, exec_lo, s0
	s_cbranch_vccnz .LBB449_2001
; %bb.2000:
	global_store_b32 v[4:5], v2, off
.LBB449_2001:
	s_mov_b32 s0, 0
.LBB449_2002:
	s_delay_alu instid0(SALU_CYCLE_1)
	s_and_not1_b32 vcc_lo, exec_lo, s0
	s_cbranch_vccnz .LBB449_2004
; %bb.2003:
	global_store_b16 v[4:5], v2, off
.LBB449_2004:
	s_mov_b32 s0, 0
.LBB449_2005:
	s_delay_alu instid0(SALU_CYCLE_1)
	s_and_not1_b32 vcc_lo, exec_lo, s0
	s_cbranch_vccnz .LBB449_2010
; %bb.2006:
	v_cmp_gt_i16_e64 s0, s6, 0
	s_delay_alu instid0(VALU_DEP_1)
	s_and_b32 vcc_lo, exec_lo, s0
	s_mov_b32 s0, -1
	s_cbranch_vccz .LBB449_2008
; %bb.2007:
	s_mov_b32 s0, 0
	global_store_b8 v[4:5], v2, off
.LBB449_2008:
	s_and_not1_b32 vcc_lo, exec_lo, s0
	s_cbranch_vccnz .LBB449_2010
; %bb.2009:
	global_store_b8 v[4:5], v2, off
.LBB449_2010:
	s_mov_b32 s7, -1
.LBB449_2011:
	s_delay_alu instid0(SALU_CYCLE_1)
	s_and_not1_b32 vcc_lo, exec_lo, s7
	s_cbranch_vccnz .LBB449_2020
; %bb.2012:
	v_cmp_gt_i64_e32 vcc_lo, s[2:3], v[10:11]
	v_cmp_lt_i16_e64 s0, s6, 11
	s_mov_b32 s1, 0
	v_cndmask_b32_e32 v2, s2, v10, vcc_lo
	v_add_co_u32 v0, s2, s4, v0
	v_cndmask_b32_e32 v3, s3, v11, vcc_lo
	v_add_co_ci_u32_e64 v1, null, s5, 0, s2
	s_and_b32 vcc_lo, exec_lo, s0
	s_mov_b32 s0, -1
	s_cbranch_vccnz .LBB449_2021
; %bb.2013:
	v_cmp_gt_i16_e64 s0, s6, 25
	s_mov_b32 s2, -1
	s_delay_alu instid0(VALU_DEP_1)
	s_and_b32 vcc_lo, exec_lo, s0
	s_mov_b32 s0, 0
	s_cbranch_vccz .LBB449_2102
; %bb.2014:
	v_cmp_gt_i16_e64 s0, s6, 28
	s_delay_alu instid0(VALU_DEP_1)
	s_and_b32 vcc_lo, exec_lo, s0
	s_cbranch_vccz .LBB449_2065
; %bb.2015:
	v_cmp_gt_i16_e64 s0, s6, 43
	s_delay_alu instid0(VALU_DEP_1)
	s_and_b32 vcc_lo, exec_lo, s0
	;; [unrolled: 5-line block ×3, first 2 shown]
	s_cbranch_vccz .LBB449_2075
; %bb.2017:
	v_cmp_eq_u16_e64 s0, s6, 46
	s_delay_alu instid0(VALU_DEP_1)
	s_and_b32 vcc_lo, exec_lo, s0
	s_mov_b32 s0, -1
	s_cbranch_vccz .LBB449_2019
; %bb.2018:
	v_xor_b32_e32 v4, v2, v3
	v_cls_i32_e32 v5, v3
	s_mov_b32 s0, 0
	s_delay_alu instid0(VALU_DEP_2) | instskip(NEXT) | instid1(VALU_DEP_2)
	v_ashrrev_i32_e32 v4, 31, v4
	v_add_nc_u32_e32 v5, -1, v5
	s_delay_alu instid0(VALU_DEP_2) | instskip(NEXT) | instid1(VALU_DEP_1)
	v_add_nc_u32_e32 v4, 32, v4
	v_min_u32_e32 v6, v5, v4
	s_delay_alu instid0(VALU_DEP_1) | instskip(NEXT) | instid1(VALU_DEP_1)
	v_lshlrev_b64 v[4:5], v6, v[2:3]
	v_min_u32_e32 v4, 1, v4
	s_delay_alu instid0(VALU_DEP_1) | instskip(SKIP_1) | instid1(VALU_DEP_2)
	v_or_b32_e32 v4, v5, v4
	v_sub_nc_u32_e32 v5, 32, v6
	v_cvt_f32_i32_e32 v4, v4
	s_delay_alu instid0(VALU_DEP_1) | instskip(NEXT) | instid1(VALU_DEP_1)
	v_ldexp_f32 v4, v4, v5
	v_bfe_u32 v5, v4, 16, 1
	s_delay_alu instid0(VALU_DEP_1) | instskip(NEXT) | instid1(VALU_DEP_1)
	v_add3_u32 v4, v4, v5, 0x7fff
	v_lshrrev_b32_e32 v4, 16, v4
	global_store_b32 v[0:1], v4, off
.LBB449_2019:
	s_mov_b32 s2, 0
	s_branch .LBB449_2076
.LBB449_2020:
	s_mov_b32 s0, 0
	s_mov_b32 s1, 0
                                        ; implicit-def: $vgpr0_vgpr1
                                        ; implicit-def: $sgpr6
                                        ; implicit-def: $vgpr2_vgpr3
.LBB449_2021:
	s_and_b32 s2, s0, exec_lo
	s_and_not1_b32 s0, s8, exec_lo
	s_and_b32 s3, s10, exec_lo
	s_and_b32 s28, s1, exec_lo
	s_or_b32 s8, s0, s3
.LBB449_2022:
	s_or_b32 exec_lo, exec_lo, s9
	s_and_saveexec_b32 s0, s8
	s_cbranch_execz .LBB449_2025
; %bb.2023:
	; divergent unreachable
	s_or_b32 exec_lo, exec_lo, s0
	s_and_saveexec_b32 s0, s28
	s_delay_alu instid0(SALU_CYCLE_1)
	s_xor_b32 s0, exec_lo, s0
	s_cbranch_execnz .LBB449_2026
.LBB449_2024:
	s_or_b32 exec_lo, exec_lo, s0
	s_and_saveexec_b32 s0, s2
	s_cbranch_execnz .LBB449_2027
	s_branch .LBB449_2064
.LBB449_2025:
	s_or_b32 exec_lo, exec_lo, s0
	s_and_saveexec_b32 s0, s28
	s_delay_alu instid0(SALU_CYCLE_1)
	s_xor_b32 s0, exec_lo, s0
	s_cbranch_execz .LBB449_2024
.LBB449_2026:
	s_waitcnt vmcnt(0)
	v_cmp_ne_u64_e32 vcc_lo, 0, v[2:3]
	v_cndmask_b32_e64 v4, 0, 1, vcc_lo
	global_store_b8 v[0:1], v4, off
	s_or_b32 exec_lo, exec_lo, s0
	s_and_saveexec_b32 s0, s2
	s_cbranch_execz .LBB449_2064
.LBB449_2027:
	v_cmp_lt_i16_e64 s0, s6, 5
	s_delay_alu instid0(VALU_DEP_1)
	s_and_b32 vcc_lo, exec_lo, s0
	s_mov_b32 s0, -1
	s_cbranch_vccnz .LBB449_2048
; %bb.2028:
	v_cmp_lt_i16_e64 s0, s6, 8
	s_delay_alu instid0(VALU_DEP_1)
	s_and_b32 vcc_lo, exec_lo, s0
	s_mov_b32 s0, -1
	s_cbranch_vccnz .LBB449_2038
; %bb.2029:
	;; [unrolled: 6-line block ×3, first 2 shown]
	v_cmp_gt_i16_e64 s0, s6, 9
	s_delay_alu instid0(VALU_DEP_1)
	s_and_b32 vcc_lo, exec_lo, s0
	s_mov_b32 s0, -1
	s_cbranch_vccz .LBB449_2032
; %bb.2031:
	s_waitcnt vmcnt(0)
	v_cvt_f64_i32_e32 v[4:5], v3
	v_cvt_f64_u32_e32 v[6:7], v2
	s_mov_b32 s0, 0
	s_delay_alu instid0(VALU_DEP_2) | instskip(NEXT) | instid1(VALU_DEP_1)
	v_ldexp_f64 v[4:5], v[4:5], 32
	v_add_f64 v[4:5], v[4:5], v[6:7]
	v_mov_b32_e32 v6, 0
	s_delay_alu instid0(VALU_DEP_1)
	v_mov_b32_e32 v7, v6
	global_store_b128 v[0:1], v[4:7], off
.LBB449_2032:
	s_and_not1_b32 vcc_lo, exec_lo, s0
	s_cbranch_vccnz .LBB449_2034
; %bb.2033:
	s_waitcnt vmcnt(0)
	v_xor_b32_e32 v4, v2, v3
	v_cls_i32_e32 v5, v3
	s_delay_alu instid0(VALU_DEP_2) | instskip(NEXT) | instid1(VALU_DEP_2)
	v_ashrrev_i32_e32 v4, 31, v4
	v_add_nc_u32_e32 v5, -1, v5
	s_delay_alu instid0(VALU_DEP_2) | instskip(NEXT) | instid1(VALU_DEP_1)
	v_add_nc_u32_e32 v4, 32, v4
	v_min_u32_e32 v6, v5, v4
	s_delay_alu instid0(VALU_DEP_1) | instskip(NEXT) | instid1(VALU_DEP_1)
	v_lshlrev_b64 v[4:5], v6, v[2:3]
	v_min_u32_e32 v4, 1, v4
	s_delay_alu instid0(VALU_DEP_1) | instskip(SKIP_1) | instid1(VALU_DEP_2)
	v_or_b32_e32 v4, v5, v4
	v_sub_nc_u32_e32 v5, 32, v6
	v_cvt_f32_i32_e32 v4, v4
	s_delay_alu instid0(VALU_DEP_1)
	v_ldexp_f32 v4, v4, v5
	v_mov_b32_e32 v5, 0
	global_store_b64 v[0:1], v[4:5], off
.LBB449_2034:
	s_mov_b32 s0, 0
.LBB449_2035:
	s_delay_alu instid0(SALU_CYCLE_1)
	s_and_not1_b32 vcc_lo, exec_lo, s0
	s_cbranch_vccnz .LBB449_2037
; %bb.2036:
	s_waitcnt vmcnt(0)
	v_xor_b32_e32 v4, v2, v3
	v_cls_i32_e32 v5, v3
	s_delay_alu instid0(VALU_DEP_2) | instskip(NEXT) | instid1(VALU_DEP_2)
	v_ashrrev_i32_e32 v4, 31, v4
	v_add_nc_u32_e32 v5, -1, v5
	s_delay_alu instid0(VALU_DEP_2) | instskip(NEXT) | instid1(VALU_DEP_1)
	v_add_nc_u32_e32 v4, 32, v4
	v_min_u32_e32 v6, v5, v4
	s_delay_alu instid0(VALU_DEP_1) | instskip(NEXT) | instid1(VALU_DEP_1)
	v_lshlrev_b64 v[4:5], v6, v[2:3]
	v_min_u32_e32 v4, 1, v4
	s_delay_alu instid0(VALU_DEP_1) | instskip(SKIP_1) | instid1(VALU_DEP_2)
	v_or_b32_e32 v4, v5, v4
	v_sub_nc_u32_e32 v5, 32, v6
	v_cvt_f32_i32_e32 v4, v4
	s_delay_alu instid0(VALU_DEP_1) | instskip(NEXT) | instid1(VALU_DEP_1)
	v_ldexp_f32 v4, v4, v5
	v_cvt_f16_f32_e32 v4, v4
	s_delay_alu instid0(VALU_DEP_1)
	v_and_b32_e32 v4, 0xffff, v4
	global_store_b32 v[0:1], v4, off
.LBB449_2037:
	s_mov_b32 s0, 0
.LBB449_2038:
	s_delay_alu instid0(SALU_CYCLE_1)
	s_and_not1_b32 vcc_lo, exec_lo, s0
	s_cbranch_vccnz .LBB449_2047
; %bb.2039:
	v_cmp_lt_i16_e64 s0, s6, 6
	s_delay_alu instid0(VALU_DEP_1)
	s_and_b32 vcc_lo, exec_lo, s0
	s_mov_b32 s0, -1
	s_cbranch_vccnz .LBB449_2045
; %bb.2040:
	v_cmp_gt_i16_e64 s0, s6, 6
	s_delay_alu instid0(VALU_DEP_1)
	s_and_b32 vcc_lo, exec_lo, s0
	s_mov_b32 s0, -1
	s_cbranch_vccz .LBB449_2042
; %bb.2041:
	s_waitcnt vmcnt(0)
	v_cvt_f64_i32_e32 v[4:5], v3
	v_cvt_f64_u32_e32 v[6:7], v2
	s_mov_b32 s0, 0
	s_delay_alu instid0(VALU_DEP_2) | instskip(NEXT) | instid1(VALU_DEP_1)
	v_ldexp_f64 v[4:5], v[4:5], 32
	v_add_f64 v[4:5], v[4:5], v[6:7]
	global_store_b64 v[0:1], v[4:5], off
.LBB449_2042:
	s_and_not1_b32 vcc_lo, exec_lo, s0
	s_cbranch_vccnz .LBB449_2044
; %bb.2043:
	s_waitcnt vmcnt(0)
	v_xor_b32_e32 v4, v2, v3
	v_cls_i32_e32 v5, v3
	s_delay_alu instid0(VALU_DEP_2) | instskip(NEXT) | instid1(VALU_DEP_2)
	v_ashrrev_i32_e32 v4, 31, v4
	v_add_nc_u32_e32 v5, -1, v5
	s_delay_alu instid0(VALU_DEP_2) | instskip(NEXT) | instid1(VALU_DEP_1)
	v_add_nc_u32_e32 v4, 32, v4
	v_min_u32_e32 v6, v5, v4
	s_delay_alu instid0(VALU_DEP_1) | instskip(NEXT) | instid1(VALU_DEP_1)
	v_lshlrev_b64 v[4:5], v6, v[2:3]
	v_min_u32_e32 v4, 1, v4
	s_delay_alu instid0(VALU_DEP_1) | instskip(SKIP_1) | instid1(VALU_DEP_2)
	v_or_b32_e32 v4, v5, v4
	v_sub_nc_u32_e32 v5, 32, v6
	v_cvt_f32_i32_e32 v4, v4
	s_delay_alu instid0(VALU_DEP_1)
	v_ldexp_f32 v4, v4, v5
	global_store_b32 v[0:1], v4, off
.LBB449_2044:
	s_mov_b32 s0, 0
.LBB449_2045:
	s_delay_alu instid0(SALU_CYCLE_1)
	s_and_not1_b32 vcc_lo, exec_lo, s0
	s_cbranch_vccnz .LBB449_2047
; %bb.2046:
	s_waitcnt vmcnt(0)
	v_xor_b32_e32 v4, v2, v3
	v_cls_i32_e32 v5, v3
	s_delay_alu instid0(VALU_DEP_2) | instskip(NEXT) | instid1(VALU_DEP_2)
	v_ashrrev_i32_e32 v4, 31, v4
	v_add_nc_u32_e32 v5, -1, v5
	s_delay_alu instid0(VALU_DEP_2) | instskip(NEXT) | instid1(VALU_DEP_1)
	v_add_nc_u32_e32 v4, 32, v4
	v_min_u32_e32 v6, v5, v4
	s_delay_alu instid0(VALU_DEP_1) | instskip(NEXT) | instid1(VALU_DEP_1)
	v_lshlrev_b64 v[4:5], v6, v[2:3]
	v_min_u32_e32 v4, 1, v4
	s_delay_alu instid0(VALU_DEP_1) | instskip(SKIP_1) | instid1(VALU_DEP_2)
	v_or_b32_e32 v4, v5, v4
	v_sub_nc_u32_e32 v5, 32, v6
	v_cvt_f32_i32_e32 v4, v4
	s_delay_alu instid0(VALU_DEP_1) | instskip(NEXT) | instid1(VALU_DEP_1)
	v_ldexp_f32 v4, v4, v5
	v_cvt_f16_f32_e32 v4, v4
	global_store_b16 v[0:1], v4, off
.LBB449_2047:
	s_mov_b32 s0, 0
.LBB449_2048:
	s_delay_alu instid0(SALU_CYCLE_1)
	s_and_not1_b32 vcc_lo, exec_lo, s0
	s_cbranch_vccnz .LBB449_2064
; %bb.2049:
	v_cmp_lt_i16_e64 s0, s6, 2
	s_delay_alu instid0(VALU_DEP_1)
	s_and_b32 vcc_lo, exec_lo, s0
	s_mov_b32 s0, -1
	s_cbranch_vccnz .LBB449_2059
; %bb.2050:
	v_cmp_lt_i16_e64 s0, s6, 3
	s_delay_alu instid0(VALU_DEP_1)
	s_and_b32 vcc_lo, exec_lo, s0
	s_mov_b32 s0, -1
	s_cbranch_vccnz .LBB449_2056
; %bb.2051:
	v_cmp_gt_i16_e64 s0, s6, 3
	s_delay_alu instid0(VALU_DEP_1)
	s_and_b32 vcc_lo, exec_lo, s0
	s_mov_b32 s0, -1
	s_cbranch_vccz .LBB449_2053
; %bb.2052:
	s_mov_b32 s0, 0
	s_waitcnt vmcnt(0)
	global_store_b64 v[0:1], v[2:3], off
.LBB449_2053:
	s_and_not1_b32 vcc_lo, exec_lo, s0
	s_cbranch_vccnz .LBB449_2055
; %bb.2054:
	global_store_b32 v[0:1], v2, off
.LBB449_2055:
	s_mov_b32 s0, 0
.LBB449_2056:
	s_delay_alu instid0(SALU_CYCLE_1)
	s_and_not1_b32 vcc_lo, exec_lo, s0
	s_cbranch_vccnz .LBB449_2058
; %bb.2057:
	global_store_b16 v[0:1], v2, off
.LBB449_2058:
	s_mov_b32 s0, 0
.LBB449_2059:
	s_delay_alu instid0(SALU_CYCLE_1)
	s_and_not1_b32 vcc_lo, exec_lo, s0
	s_cbranch_vccnz .LBB449_2064
; %bb.2060:
	v_cmp_gt_i16_e64 s0, s6, 0
	s_delay_alu instid0(VALU_DEP_1)
	s_and_b32 vcc_lo, exec_lo, s0
	s_mov_b32 s0, -1
	s_cbranch_vccz .LBB449_2062
; %bb.2061:
	s_mov_b32 s0, 0
	global_store_b8 v[0:1], v2, off
.LBB449_2062:
	s_and_not1_b32 vcc_lo, exec_lo, s0
	s_cbranch_vccnz .LBB449_2064
; %bb.2063:
	global_store_b8 v[0:1], v2, off
	s_nop 0
	s_sendmsg sendmsg(MSG_DEALLOC_VGPRS)
	s_endpgm
.LBB449_2064:
	s_nop 0
	s_sendmsg sendmsg(MSG_DEALLOC_VGPRS)
	s_endpgm
.LBB449_2065:
	s_mov_b32 s0, 0
	s_branch .LBB449_2086
.LBB449_2066:
	s_or_saveexec_b32 s12, s12
                                        ; implicit-def: $sgpr13
	s_delay_alu instid0(SALU_CYCLE_1)
	s_xor_b32 exec_lo, exec_lo, s12
	s_cbranch_execz .LBB449_1922
.LBB449_2067:
	v_add_f32_e64 v6, 0x46000000, |v1|
	s_and_not1_b32 s11, s11, exec_lo
	s_mov_b32 s13, 0
	s_delay_alu instid0(VALU_DEP_1) | instskip(NEXT) | instid1(VALU_DEP_1)
	v_and_b32_e32 v6, 0xff, v6
	v_cmp_ne_u32_e32 vcc_lo, 0, v6
	s_and_b32 s14, vcc_lo, exec_lo
	s_delay_alu instid0(SALU_CYCLE_1)
	s_or_b32 s11, s11, s14
	s_or_b32 exec_lo, exec_lo, s12
	v_mov_b32_e32 v7, s13
	s_and_saveexec_b32 s12, s11
	s_cbranch_execnz .LBB449_1923
	s_branch .LBB449_1924
.LBB449_2068:
	s_mov_b32 s0, 0
	s_branch .LBB449_2082
.LBB449_2069:
	s_trap 2
	s_sendmsg_rtn_b32 s0, sendmsg(MSG_RTN_GET_DOORBELL)
	s_mov_b32 ttmp2, m0
	s_waitcnt lgkmcnt(0)
	s_and_b32 s0, s0, 0x3ff
	s_delay_alu instid0(SALU_CYCLE_1) | instskip(NEXT) | instid1(SALU_CYCLE_1)
	s_bitset1_b32 s0, 10
	s_mov_b32 m0, s0
	s_sendmsg sendmsg(MSG_INTERRUPT)
	s_mov_b32 m0, ttmp2
.LBB449_2070:                           ; =>This Inner Loop Header: Depth=1
	s_sethalt 5
	s_branch .LBB449_2070
.LBB449_2071:
	s_cbranch_execnz .LBB449_2146
; %bb.2072:
	s_or_b32 s10, s10, exec_lo
	s_cbranch_execz .LBB449_1970
	s_branch .LBB449_1971
.LBB449_2073:
	s_or_saveexec_b32 s11, s11
                                        ; implicit-def: $sgpr12
	s_delay_alu instid0(SALU_CYCLE_1)
	s_xor_b32 exec_lo, exec_lo, s11
	s_cbranch_execz .LBB449_1935
.LBB449_2074:
	v_add_f32_e64 v6, 0x42800000, |v1|
	s_and_not1_b32 s7, s7, exec_lo
	s_mov_b32 s12, 0
	s_delay_alu instid0(VALU_DEP_1) | instskip(NEXT) | instid1(VALU_DEP_1)
	v_and_b32_e32 v6, 0xff, v6
	v_cmp_ne_u32_e32 vcc_lo, 0, v6
	s_and_b32 s13, vcc_lo, exec_lo
	s_delay_alu instid0(SALU_CYCLE_1)
	s_or_b32 s7, s7, s13
	s_or_b32 exec_lo, exec_lo, s11
	v_mov_b32_e32 v7, s12
	s_and_saveexec_b32 s11, s7
	s_cbranch_execnz .LBB449_1936
	s_branch .LBB449_1937
.LBB449_2075:
	s_mov_b32 s0, 0
.LBB449_2076:
	s_and_b32 vcc_lo, exec_lo, s2
	s_cbranch_vccz .LBB449_2081
; %bb.2077:
	v_cmp_eq_u16_e64 s0, s6, 44
	s_delay_alu instid0(VALU_DEP_1)
	s_and_b32 vcc_lo, exec_lo, s0
	s_mov_b32 s0, -1
	s_cbranch_vccz .LBB449_2081
; %bb.2078:
	v_xor_b32_e32 v4, v2, v3
	v_cls_i32_e32 v5, v3
	s_mov_b32 s2, exec_lo
	s_delay_alu instid0(VALU_DEP_2) | instskip(NEXT) | instid1(VALU_DEP_2)
	v_ashrrev_i32_e32 v4, 31, v4
	v_add_nc_u32_e32 v5, -1, v5
	s_delay_alu instid0(VALU_DEP_2) | instskip(NEXT) | instid1(VALU_DEP_1)
	v_add_nc_u32_e32 v4, 32, v4
	v_min_u32_e32 v6, v5, v4
	s_delay_alu instid0(VALU_DEP_1) | instskip(NEXT) | instid1(VALU_DEP_1)
	v_lshlrev_b64 v[4:5], v6, v[2:3]
	v_min_u32_e32 v4, 1, v4
	s_delay_alu instid0(VALU_DEP_1) | instskip(SKIP_1) | instid1(VALU_DEP_2)
	v_or_b32_e32 v4, v5, v4
	v_sub_nc_u32_e32 v5, 32, v6
	v_cvt_f32_i32_e32 v4, v4
	s_delay_alu instid0(VALU_DEP_1) | instskip(SKIP_1) | instid1(VALU_DEP_2)
	v_ldexp_f32 v4, v4, v5
	v_mov_b32_e32 v5, 0xff
	v_bfe_u32 v6, v4, 23, 8
	s_delay_alu instid0(VALU_DEP_1)
	v_cmpx_ne_u32_e32 0xff, v6
; %bb.2079:
	v_and_b32_e32 v5, 0x400000, v4
	v_and_or_b32 v6, 0x3fffff, v4, v6
	v_lshrrev_b32_e32 v4, 23, v4
	s_delay_alu instid0(VALU_DEP_3) | instskip(NEXT) | instid1(VALU_DEP_3)
	v_cmp_ne_u32_e32 vcc_lo, 0, v5
	v_cmp_ne_u32_e64 s0, 0, v6
	s_delay_alu instid0(VALU_DEP_1) | instskip(NEXT) | instid1(SALU_CYCLE_1)
	s_and_b32 s0, vcc_lo, s0
	v_cndmask_b32_e64 v5, 0, 1, s0
	s_delay_alu instid0(VALU_DEP_1)
	v_add_nc_u32_e32 v5, v4, v5
; %bb.2080:
	s_or_b32 exec_lo, exec_lo, s2
	s_mov_b32 s0, 0
	global_store_b8 v[0:1], v5, off
.LBB449_2081:
	s_mov_b32 s2, 0
.LBB449_2082:
	s_delay_alu instid0(SALU_CYCLE_1)
	s_and_b32 vcc_lo, exec_lo, s2
	s_cbranch_vccz .LBB449_2085
; %bb.2083:
	v_cmp_eq_u16_e64 s0, s6, 29
	s_delay_alu instid0(VALU_DEP_1)
	s_and_b32 vcc_lo, exec_lo, s0
	s_mov_b32 s0, -1
	s_cbranch_vccz .LBB449_2085
; %bb.2084:
	s_mov_b32 s0, 0
	global_store_b64 v[0:1], v[2:3], off
.LBB449_2085:
	s_mov_b32 s2, 0
.LBB449_2086:
	s_delay_alu instid0(SALU_CYCLE_1)
	s_and_b32 vcc_lo, exec_lo, s2
	s_cbranch_vccz .LBB449_2101
; %bb.2087:
	v_cmp_lt_i16_e64 s2, s6, 27
	s_delay_alu instid0(VALU_DEP_1)
	s_and_b32 vcc_lo, exec_lo, s2
	s_mov_b32 s2, -1
	s_cbranch_vccnz .LBB449_2093
; %bb.2088:
	v_cmp_gt_i16_e64 s2, s6, 27
	s_delay_alu instid0(VALU_DEP_1)
	s_and_b32 vcc_lo, exec_lo, s2
	s_mov_b32 s2, -1
	s_cbranch_vccz .LBB449_2090
; %bb.2089:
	s_mov_b32 s2, 0
	global_store_b32 v[0:1], v2, off
.LBB449_2090:
	s_and_not1_b32 vcc_lo, exec_lo, s2
	s_cbranch_vccnz .LBB449_2092
; %bb.2091:
	global_store_b16 v[0:1], v2, off
.LBB449_2092:
	s_mov_b32 s2, 0
.LBB449_2093:
	s_delay_alu instid0(SALU_CYCLE_1)
	s_and_not1_b32 vcc_lo, exec_lo, s2
	s_cbranch_vccnz .LBB449_2101
; %bb.2094:
	v_xor_b32_e32 v4, v2, v3
	v_cls_i32_e32 v5, v3
	s_mov_b32 s2, exec_lo
	s_delay_alu instid0(VALU_DEP_2) | instskip(NEXT) | instid1(VALU_DEP_2)
	v_ashrrev_i32_e32 v4, 31, v4
	v_add_nc_u32_e32 v5, -1, v5
	s_delay_alu instid0(VALU_DEP_2) | instskip(NEXT) | instid1(VALU_DEP_1)
	v_add_nc_u32_e32 v4, 32, v4
	v_min_u32_e32 v6, v5, v4
	s_delay_alu instid0(VALU_DEP_1) | instskip(NEXT) | instid1(VALU_DEP_1)
	v_lshlrev_b64 v[4:5], v6, v[2:3]
	v_min_u32_e32 v4, 1, v4
	s_delay_alu instid0(VALU_DEP_1) | instskip(SKIP_2) | instid1(VALU_DEP_3)
	v_or_b32_e32 v4, v5, v4
	v_sub_nc_u32_e32 v5, 32, v6
	v_mov_b32_e32 v6, 0x80
	v_cvt_f32_i32_e32 v4, v4
	s_delay_alu instid0(VALU_DEP_1) | instskip(NEXT) | instid1(VALU_DEP_1)
	v_ldexp_f32 v4, v4, v5
	v_and_b32_e32 v5, 0x7fffffff, v4
	s_delay_alu instid0(VALU_DEP_1)
	v_cmpx_gt_u32_e32 0x43800000, v5
	s_cbranch_execz .LBB449_2100
; %bb.2095:
	v_cmp_lt_u32_e32 vcc_lo, 0x3bffffff, v5
	s_mov_b32 s3, 0
                                        ; implicit-def: $vgpr5
	s_and_saveexec_b32 s4, vcc_lo
	s_delay_alu instid0(SALU_CYCLE_1)
	s_xor_b32 s4, exec_lo, s4
	s_cbranch_execz .LBB449_2144
; %bb.2096:
	v_bfe_u32 v5, v4, 20, 1
	s_mov_b32 s3, exec_lo
	s_delay_alu instid0(VALU_DEP_1) | instskip(NEXT) | instid1(VALU_DEP_1)
	v_add3_u32 v5, v4, v5, 0x487ffff
	v_lshrrev_b32_e32 v5, 20, v5
	s_or_saveexec_b32 s4, s4
                                        ; implicit-def: $sgpr5
	s_delay_alu instid0(SALU_CYCLE_1)
	s_xor_b32 exec_lo, exec_lo, s4
	s_cbranch_execnz .LBB449_2145
.LBB449_2097:
	s_or_b32 exec_lo, exec_lo, s4
	v_mov_b32_e32 v6, s5
	s_and_saveexec_b32 s4, s3
.LBB449_2098:
	v_lshrrev_b32_e32 v4, 24, v4
	s_delay_alu instid0(VALU_DEP_1)
	v_and_or_b32 v6, 0x80, v4, v5
.LBB449_2099:
	s_or_b32 exec_lo, exec_lo, s4
.LBB449_2100:
	s_delay_alu instid0(SALU_CYCLE_1)
	s_or_b32 exec_lo, exec_lo, s2
	global_store_b8 v[0:1], v6, off
.LBB449_2101:
	s_mov_b32 s2, 0
.LBB449_2102:
	s_delay_alu instid0(SALU_CYCLE_1)
	s_and_b32 vcc_lo, exec_lo, s2
	s_cbranch_vccz .LBB449_2142
; %bb.2103:
	v_cmp_gt_i16_e64 s1, s6, 22
	s_delay_alu instid0(VALU_DEP_1)
	s_and_b32 vcc_lo, exec_lo, s1
	s_mov_b32 s1, -1
	s_cbranch_vccz .LBB449_2135
; %bb.2104:
	v_cmp_lt_i16_e64 s1, s6, 24
	s_delay_alu instid0(VALU_DEP_1)
	s_and_b32 vcc_lo, exec_lo, s1
	s_mov_b32 s1, -1
	s_cbranch_vccnz .LBB449_2124
; %bb.2105:
	v_cmp_gt_i16_e64 s1, s6, 24
	s_delay_alu instid0(VALU_DEP_1)
	s_and_b32 vcc_lo, exec_lo, s1
	s_mov_b32 s1, -1
	s_cbranch_vccz .LBB449_2113
; %bb.2106:
	v_xor_b32_e32 v4, v2, v3
	v_cls_i32_e32 v5, v3
	s_mov_b32 s1, exec_lo
	s_delay_alu instid0(VALU_DEP_2) | instskip(NEXT) | instid1(VALU_DEP_2)
	v_ashrrev_i32_e32 v4, 31, v4
	v_add_nc_u32_e32 v5, -1, v5
	s_delay_alu instid0(VALU_DEP_2) | instskip(NEXT) | instid1(VALU_DEP_1)
	v_add_nc_u32_e32 v4, 32, v4
	v_min_u32_e32 v6, v5, v4
	s_delay_alu instid0(VALU_DEP_1) | instskip(NEXT) | instid1(VALU_DEP_1)
	v_lshlrev_b64 v[4:5], v6, v[2:3]
	v_min_u32_e32 v4, 1, v4
	s_delay_alu instid0(VALU_DEP_1) | instskip(SKIP_2) | instid1(VALU_DEP_3)
	v_or_b32_e32 v4, v5, v4
	v_sub_nc_u32_e32 v5, 32, v6
	v_mov_b32_e32 v6, 0x80
	v_cvt_f32_i32_e32 v4, v4
	s_delay_alu instid0(VALU_DEP_1) | instskip(NEXT) | instid1(VALU_DEP_1)
	v_ldexp_f32 v4, v4, v5
	v_and_b32_e32 v5, 0x7fffffff, v4
	s_delay_alu instid0(VALU_DEP_1)
	v_cmpx_gt_u32_e32 0x47800000, v5
	s_cbranch_execz .LBB449_2112
; %bb.2107:
	v_cmp_lt_u32_e32 vcc_lo, 0x37ffffff, v5
	s_mov_b32 s2, 0
                                        ; implicit-def: $vgpr5
	s_and_saveexec_b32 s3, vcc_lo
	s_delay_alu instid0(SALU_CYCLE_1)
	s_xor_b32 s3, exec_lo, s3
	s_cbranch_execz .LBB449_2150
; %bb.2108:
	v_bfe_u32 v5, v4, 21, 1
	s_mov_b32 s2, exec_lo
	s_delay_alu instid0(VALU_DEP_1) | instskip(NEXT) | instid1(VALU_DEP_1)
	v_add3_u32 v5, v4, v5, 0x88fffff
	v_lshrrev_b32_e32 v5, 21, v5
	s_or_saveexec_b32 s3, s3
                                        ; implicit-def: $sgpr4
	s_delay_alu instid0(SALU_CYCLE_1)
	s_xor_b32 exec_lo, exec_lo, s3
	s_cbranch_execnz .LBB449_2151
.LBB449_2109:
	s_or_b32 exec_lo, exec_lo, s3
	v_mov_b32_e32 v6, s4
	s_and_saveexec_b32 s3, s2
.LBB449_2110:
	v_lshrrev_b32_e32 v4, 24, v4
	s_delay_alu instid0(VALU_DEP_1)
	v_and_or_b32 v6, 0x80, v4, v5
.LBB449_2111:
	s_or_b32 exec_lo, exec_lo, s3
.LBB449_2112:
	s_delay_alu instid0(SALU_CYCLE_1)
	s_or_b32 exec_lo, exec_lo, s1
	s_mov_b32 s1, 0
	global_store_b8 v[0:1], v6, off
.LBB449_2113:
	s_and_b32 vcc_lo, exec_lo, s1
	s_cbranch_vccz .LBB449_2123
; %bb.2114:
	v_xor_b32_e32 v4, v2, v3
	v_cls_i32_e32 v5, v3
	s_mov_b32 s1, exec_lo
	s_delay_alu instid0(VALU_DEP_2) | instskip(NEXT) | instid1(VALU_DEP_2)
	v_ashrrev_i32_e32 v4, 31, v4
	v_add_nc_u32_e32 v5, -1, v5
	s_delay_alu instid0(VALU_DEP_2) | instskip(NEXT) | instid1(VALU_DEP_1)
	v_add_nc_u32_e32 v4, 32, v4
	v_min_u32_e32 v6, v5, v4
	s_delay_alu instid0(VALU_DEP_1) | instskip(NEXT) | instid1(VALU_DEP_1)
	v_lshlrev_b64 v[4:5], v6, v[2:3]
	v_min_u32_e32 v4, 1, v4
	s_delay_alu instid0(VALU_DEP_1) | instskip(SKIP_1) | instid1(VALU_DEP_2)
	v_or_b32_e32 v4, v5, v4
	v_sub_nc_u32_e32 v5, 32, v6
	v_cvt_f32_i32_e32 v4, v4
	s_delay_alu instid0(VALU_DEP_1) | instskip(NEXT) | instid1(VALU_DEP_1)
	v_ldexp_f32 v4, v4, v5
                                        ; implicit-def: $vgpr5
	v_and_b32_e32 v6, 0x7fffffff, v4
	s_delay_alu instid0(VALU_DEP_1)
	v_cmpx_gt_u32_e32 0x43f00000, v6
	s_xor_b32 s1, exec_lo, s1
	s_cbranch_execz .LBB449_2120
; %bb.2115:
	s_mov_b32 s2, exec_lo
                                        ; implicit-def: $vgpr5
	v_cmpx_lt_u32_e32 0x3c7fffff, v6
	s_xor_b32 s2, exec_lo, s2
; %bb.2116:
	v_bfe_u32 v5, v4, 20, 1
	s_delay_alu instid0(VALU_DEP_1) | instskip(NEXT) | instid1(VALU_DEP_1)
	v_add3_u32 v5, v4, v5, 0x407ffff
	v_and_b32_e32 v6, 0xff00000, v5
	v_lshrrev_b32_e32 v5, 20, v5
	s_delay_alu instid0(VALU_DEP_2) | instskip(NEXT) | instid1(VALU_DEP_2)
	v_cmp_ne_u32_e32 vcc_lo, 0x7f00000, v6
	v_cndmask_b32_e32 v5, 0x7e, v5, vcc_lo
; %bb.2117:
	s_and_not1_saveexec_b32 s2, s2
; %bb.2118:
	v_add_f32_e64 v5, 0x46800000, |v4|
; %bb.2119:
	s_or_b32 exec_lo, exec_lo, s2
                                        ; implicit-def: $vgpr6
.LBB449_2120:
	s_and_not1_saveexec_b32 s1, s1
; %bb.2121:
	v_mov_b32_e32 v5, 0x7f
	v_cmp_lt_u32_e32 vcc_lo, 0x7f800000, v6
	s_delay_alu instid0(VALU_DEP_2)
	v_cndmask_b32_e32 v5, 0x7e, v5, vcc_lo
; %bb.2122:
	s_or_b32 exec_lo, exec_lo, s1
	v_lshrrev_b32_e32 v4, 24, v4
	s_delay_alu instid0(VALU_DEP_1)
	v_and_or_b32 v4, 0x80, v4, v5
	global_store_b8 v[0:1], v4, off
.LBB449_2123:
	s_mov_b32 s1, 0
.LBB449_2124:
	s_delay_alu instid0(SALU_CYCLE_1)
	s_and_not1_b32 vcc_lo, exec_lo, s1
	s_cbranch_vccnz .LBB449_2134
; %bb.2125:
	v_xor_b32_e32 v4, v2, v3
	v_cls_i32_e32 v5, v3
	s_mov_b32 s1, exec_lo
	s_delay_alu instid0(VALU_DEP_2) | instskip(NEXT) | instid1(VALU_DEP_2)
	v_ashrrev_i32_e32 v4, 31, v4
	v_add_nc_u32_e32 v5, -1, v5
	s_delay_alu instid0(VALU_DEP_2) | instskip(NEXT) | instid1(VALU_DEP_1)
	v_add_nc_u32_e32 v4, 32, v4
	v_min_u32_e32 v6, v5, v4
	s_delay_alu instid0(VALU_DEP_1) | instskip(NEXT) | instid1(VALU_DEP_1)
	v_lshlrev_b64 v[4:5], v6, v[2:3]
	v_min_u32_e32 v4, 1, v4
	s_delay_alu instid0(VALU_DEP_1) | instskip(SKIP_1) | instid1(VALU_DEP_2)
	v_or_b32_e32 v4, v5, v4
	v_sub_nc_u32_e32 v5, 32, v6
	v_cvt_f32_i32_e32 v4, v4
	s_delay_alu instid0(VALU_DEP_1) | instskip(NEXT) | instid1(VALU_DEP_1)
	v_ldexp_f32 v4, v4, v5
                                        ; implicit-def: $vgpr5
	v_and_b32_e32 v6, 0x7fffffff, v4
	s_delay_alu instid0(VALU_DEP_1)
	v_cmpx_gt_u32_e32 0x47800000, v6
	s_xor_b32 s1, exec_lo, s1
	s_cbranch_execz .LBB449_2131
; %bb.2126:
	s_mov_b32 s2, exec_lo
                                        ; implicit-def: $vgpr5
	v_cmpx_lt_u32_e32 0x387fffff, v6
	s_xor_b32 s2, exec_lo, s2
; %bb.2127:
	v_bfe_u32 v5, v4, 21, 1
	s_delay_alu instid0(VALU_DEP_1) | instskip(NEXT) | instid1(VALU_DEP_1)
	v_add3_u32 v5, v4, v5, 0x80fffff
	v_lshrrev_b32_e32 v5, 21, v5
; %bb.2128:
	s_and_not1_saveexec_b32 s2, s2
; %bb.2129:
	v_add_f32_e64 v5, 0x43000000, |v4|
; %bb.2130:
	s_or_b32 exec_lo, exec_lo, s2
                                        ; implicit-def: $vgpr6
.LBB449_2131:
	s_and_not1_saveexec_b32 s1, s1
; %bb.2132:
	v_mov_b32_e32 v5, 0x7f
	v_cmp_lt_u32_e32 vcc_lo, 0x7f800000, v6
	s_delay_alu instid0(VALU_DEP_2)
	v_cndmask_b32_e32 v5, 0x7c, v5, vcc_lo
; %bb.2133:
	s_or_b32 exec_lo, exec_lo, s1
	v_lshrrev_b32_e32 v4, 24, v4
	s_delay_alu instid0(VALU_DEP_1)
	v_and_or_b32 v4, 0x80, v4, v5
	global_store_b8 v[0:1], v4, off
.LBB449_2134:
	s_mov_b32 s1, 0
.LBB449_2135:
	s_delay_alu instid0(SALU_CYCLE_1)
	s_and_not1_b32 vcc_lo, exec_lo, s1
	s_mov_b32 s1, 0
	s_cbranch_vccnz .LBB449_2142
; %bb.2136:
	v_cmp_gt_i16_e64 s1, s6, 14
	s_delay_alu instid0(VALU_DEP_1)
	s_and_b32 vcc_lo, exec_lo, s1
	s_mov_b32 s1, -1
	s_cbranch_vccz .LBB449_2140
; %bb.2137:
	v_cmp_eq_u16_e64 s0, s6, 15
	s_delay_alu instid0(VALU_DEP_1)
	s_and_b32 vcc_lo, exec_lo, s0
	s_mov_b32 s0, -1
	s_cbranch_vccz .LBB449_2139
; %bb.2138:
	v_xor_b32_e32 v4, v2, v3
	v_cls_i32_e32 v5, v3
	s_mov_b32 s0, 0
	s_delay_alu instid0(VALU_DEP_2) | instskip(NEXT) | instid1(VALU_DEP_2)
	v_ashrrev_i32_e32 v4, 31, v4
	v_add_nc_u32_e32 v5, -1, v5
	s_delay_alu instid0(VALU_DEP_2) | instskip(NEXT) | instid1(VALU_DEP_1)
	v_add_nc_u32_e32 v4, 32, v4
	v_min_u32_e32 v6, v5, v4
	s_delay_alu instid0(VALU_DEP_1) | instskip(NEXT) | instid1(VALU_DEP_1)
	v_lshlrev_b64 v[4:5], v6, v[2:3]
	v_min_u32_e32 v4, 1, v4
	s_delay_alu instid0(VALU_DEP_1) | instskip(SKIP_1) | instid1(VALU_DEP_2)
	v_or_b32_e32 v4, v5, v4
	v_sub_nc_u32_e32 v5, 32, v6
	v_cvt_f32_i32_e32 v4, v4
	s_delay_alu instid0(VALU_DEP_1) | instskip(NEXT) | instid1(VALU_DEP_1)
	v_ldexp_f32 v4, v4, v5
	v_bfe_u32 v5, v4, 16, 1
	s_delay_alu instid0(VALU_DEP_1)
	v_add3_u32 v4, v4, v5, 0x7fff
	global_store_d16_hi_b16 v[0:1], v4, off
.LBB449_2139:
	s_mov_b32 s1, 0
.LBB449_2140:
	s_delay_alu instid0(SALU_CYCLE_1)
	s_and_b32 vcc_lo, exec_lo, s1
	s_mov_b32 s1, 0
	s_cbranch_vccz .LBB449_2142
; %bb.2141:
	v_cmp_ne_u16_e64 s0, s6, 11
	s_mov_b32 s1, -1
.LBB449_2142:
	s_delay_alu instid0(VALU_DEP_1)
	s_and_b32 vcc_lo, exec_lo, s0
	s_cbranch_vccnz .LBB449_2148
.LBB449_2143:
	s_mov_b32 s0, 0
	s_branch .LBB449_2021
.LBB449_2144:
	s_or_saveexec_b32 s4, s4
                                        ; implicit-def: $sgpr5
	s_delay_alu instid0(SALU_CYCLE_1)
	s_xor_b32 exec_lo, exec_lo, s4
	s_cbranch_execz .LBB449_2097
.LBB449_2145:
	v_add_f32_e64 v5, 0x46000000, |v4|
	s_and_not1_b32 s3, s3, exec_lo
	s_mov_b32 s5, 0
	s_delay_alu instid0(VALU_DEP_1) | instskip(NEXT) | instid1(VALU_DEP_1)
	v_and_b32_e32 v5, 0xff, v5
	v_cmp_ne_u32_e32 vcc_lo, 0, v5
	s_and_b32 s7, vcc_lo, exec_lo
	s_delay_alu instid0(SALU_CYCLE_1)
	s_or_b32 s3, s3, s7
	s_or_b32 exec_lo, exec_lo, s4
	v_mov_b32_e32 v6, s5
	s_and_saveexec_b32 s4, s3
	s_cbranch_execnz .LBB449_2098
	s_branch .LBB449_2099
.LBB449_2146:
	s_trap 2
	s_sendmsg_rtn_b32 s0, sendmsg(MSG_RTN_GET_DOORBELL)
	s_mov_b32 ttmp2, m0
	s_waitcnt lgkmcnt(0)
	s_and_b32 s0, s0, 0x3ff
	s_delay_alu instid0(SALU_CYCLE_1) | instskip(NEXT) | instid1(SALU_CYCLE_1)
	s_bitset1_b32 s0, 10
	s_mov_b32 m0, s0
	s_sendmsg sendmsg(MSG_INTERRUPT)
	s_mov_b32 m0, ttmp2
.LBB449_2147:                           ; =>This Inner Loop Header: Depth=1
	s_sethalt 5
	s_branch .LBB449_2147
.LBB449_2148:
	s_cbranch_execnz .LBB449_2152
; %bb.2149:
	s_mov_b32 s1, 0
	s_or_b32 s10, s10, exec_lo
	s_branch .LBB449_2143
.LBB449_2150:
	s_or_saveexec_b32 s3, s3
                                        ; implicit-def: $sgpr4
	s_delay_alu instid0(SALU_CYCLE_1)
	s_xor_b32 exec_lo, exec_lo, s3
	s_cbranch_execz .LBB449_2109
.LBB449_2151:
	v_add_f32_e64 v5, 0x42800000, |v4|
	s_and_not1_b32 s2, s2, exec_lo
	s_mov_b32 s4, 0
	s_delay_alu instid0(VALU_DEP_1) | instskip(NEXT) | instid1(VALU_DEP_1)
	v_and_b32_e32 v5, 0xff, v5
	v_cmp_ne_u32_e32 vcc_lo, 0, v5
	s_and_b32 s5, vcc_lo, exec_lo
	s_delay_alu instid0(SALU_CYCLE_1)
	s_or_b32 s2, s2, s5
	s_or_b32 exec_lo, exec_lo, s3
	v_mov_b32_e32 v6, s4
	s_and_saveexec_b32 s3, s2
	s_cbranch_execnz .LBB449_2110
	s_branch .LBB449_2111
.LBB449_2152:
	s_trap 2
	s_sendmsg_rtn_b32 s0, sendmsg(MSG_RTN_GET_DOORBELL)
	s_mov_b32 ttmp2, m0
	s_waitcnt lgkmcnt(0)
	s_and_b32 s0, s0, 0x3ff
	s_delay_alu instid0(SALU_CYCLE_1) | instskip(NEXT) | instid1(SALU_CYCLE_1)
	s_bitset1_b32 s0, 10
	s_mov_b32 m0, s0
	s_sendmsg sendmsg(MSG_INTERRUPT)
	s_mov_b32 m0, ttmp2
.LBB449_2153:                           ; =>This Inner Loop Header: Depth=1
	s_sethalt 5
	s_branch .LBB449_2153
	.section	.rodata,"a",@progbits
	.p2align	6, 0x0
	.amdhsa_kernel _ZN2at6native32elementwise_kernel_manual_unrollILi128ELi4EZNS0_15gpu_kernel_implIZZZNS0_21clamp_max_kernel_cudaERNS_18TensorIteratorBaseERKN3c106ScalarEENKUlvE_clEvENKUlvE2_clEvEUllE_EEvS4_RKT_EUlibE0_EEviT1_
		.amdhsa_group_segment_fixed_size 0
		.amdhsa_private_segment_fixed_size 0
		.amdhsa_kernarg_size 368
		.amdhsa_user_sgpr_count 15
		.amdhsa_user_sgpr_dispatch_ptr 0
		.amdhsa_user_sgpr_queue_ptr 0
		.amdhsa_user_sgpr_kernarg_segment_ptr 1
		.amdhsa_user_sgpr_dispatch_id 0
		.amdhsa_user_sgpr_private_segment_size 0
		.amdhsa_wavefront_size32 1
		.amdhsa_uses_dynamic_stack 0
		.amdhsa_enable_private_segment 0
		.amdhsa_system_sgpr_workgroup_id_x 1
		.amdhsa_system_sgpr_workgroup_id_y 0
		.amdhsa_system_sgpr_workgroup_id_z 0
		.amdhsa_system_sgpr_workgroup_info 0
		.amdhsa_system_vgpr_workitem_id 0
		.amdhsa_next_free_vgpr 19
		.amdhsa_next_free_sgpr 68
		.amdhsa_reserve_vcc 1
		.amdhsa_float_round_mode_32 0
		.amdhsa_float_round_mode_16_64 0
		.amdhsa_float_denorm_mode_32 3
		.amdhsa_float_denorm_mode_16_64 3
		.amdhsa_dx10_clamp 1
		.amdhsa_ieee_mode 1
		.amdhsa_fp16_overflow 0
		.amdhsa_workgroup_processor_mode 1
		.amdhsa_memory_ordered 1
		.amdhsa_forward_progress 0
		.amdhsa_shared_vgpr_count 0
		.amdhsa_exception_fp_ieee_invalid_op 0
		.amdhsa_exception_fp_denorm_src 0
		.amdhsa_exception_fp_ieee_div_zero 0
		.amdhsa_exception_fp_ieee_overflow 0
		.amdhsa_exception_fp_ieee_underflow 0
		.amdhsa_exception_fp_ieee_inexact 0
		.amdhsa_exception_int_div_zero 0
	.end_amdhsa_kernel
	.section	.text._ZN2at6native32elementwise_kernel_manual_unrollILi128ELi4EZNS0_15gpu_kernel_implIZZZNS0_21clamp_max_kernel_cudaERNS_18TensorIteratorBaseERKN3c106ScalarEENKUlvE_clEvENKUlvE2_clEvEUllE_EEvS4_RKT_EUlibE0_EEviT1_,"axG",@progbits,_ZN2at6native32elementwise_kernel_manual_unrollILi128ELi4EZNS0_15gpu_kernel_implIZZZNS0_21clamp_max_kernel_cudaERNS_18TensorIteratorBaseERKN3c106ScalarEENKUlvE_clEvENKUlvE2_clEvEUllE_EEvS4_RKT_EUlibE0_EEviT1_,comdat
.Lfunc_end449:
	.size	_ZN2at6native32elementwise_kernel_manual_unrollILi128ELi4EZNS0_15gpu_kernel_implIZZZNS0_21clamp_max_kernel_cudaERNS_18TensorIteratorBaseERKN3c106ScalarEENKUlvE_clEvENKUlvE2_clEvEUllE_EEvS4_RKT_EUlibE0_EEviT1_, .Lfunc_end449-_ZN2at6native32elementwise_kernel_manual_unrollILi128ELi4EZNS0_15gpu_kernel_implIZZZNS0_21clamp_max_kernel_cudaERNS_18TensorIteratorBaseERKN3c106ScalarEENKUlvE_clEvENKUlvE2_clEvEUllE_EEvS4_RKT_EUlibE0_EEviT1_
                                        ; -- End function
	.section	.AMDGPU.csdata,"",@progbits
; Kernel info:
; codeLenInByte = 53300
; NumSgprs: 70
; NumVgprs: 19
; ScratchSize: 0
; MemoryBound: 1
; FloatMode: 240
; IeeeMode: 1
; LDSByteSize: 0 bytes/workgroup (compile time only)
; SGPRBlocks: 8
; VGPRBlocks: 2
; NumSGPRsForWavesPerEU: 70
; NumVGPRsForWavesPerEU: 19
; Occupancy: 16
; WaveLimiterHint : 1
; COMPUTE_PGM_RSRC2:SCRATCH_EN: 0
; COMPUTE_PGM_RSRC2:USER_SGPR: 15
; COMPUTE_PGM_RSRC2:TRAP_HANDLER: 0
; COMPUTE_PGM_RSRC2:TGID_X_EN: 1
; COMPUTE_PGM_RSRC2:TGID_Y_EN: 0
; COMPUTE_PGM_RSRC2:TGID_Z_EN: 0
; COMPUTE_PGM_RSRC2:TIDIG_COMP_CNT: 0
	.section	.text._ZN2at6native29vectorized_elementwise_kernelILi16EZZZNS0_21clamp_max_kernel_cudaERNS_18TensorIteratorBaseERKN3c106ScalarEENKUlvE_clEvENKUlvE3_clEvEUlsE_St5arrayIPcLm2EEEEviT0_T1_,"axG",@progbits,_ZN2at6native29vectorized_elementwise_kernelILi16EZZZNS0_21clamp_max_kernel_cudaERNS_18TensorIteratorBaseERKN3c106ScalarEENKUlvE_clEvENKUlvE3_clEvEUlsE_St5arrayIPcLm2EEEEviT0_T1_,comdat
	.globl	_ZN2at6native29vectorized_elementwise_kernelILi16EZZZNS0_21clamp_max_kernel_cudaERNS_18TensorIteratorBaseERKN3c106ScalarEENKUlvE_clEvENKUlvE3_clEvEUlsE_St5arrayIPcLm2EEEEviT0_T1_ ; -- Begin function _ZN2at6native29vectorized_elementwise_kernelILi16EZZZNS0_21clamp_max_kernel_cudaERNS_18TensorIteratorBaseERKN3c106ScalarEENKUlvE_clEvENKUlvE3_clEvEUlsE_St5arrayIPcLm2EEEEviT0_T1_
	.p2align	8
	.type	_ZN2at6native29vectorized_elementwise_kernelILi16EZZZNS0_21clamp_max_kernel_cudaERNS_18TensorIteratorBaseERKN3c106ScalarEENKUlvE_clEvENKUlvE3_clEvEUlsE_St5arrayIPcLm2EEEEviT0_T1_,@function
_ZN2at6native29vectorized_elementwise_kernelILi16EZZZNS0_21clamp_max_kernel_cudaERNS_18TensorIteratorBaseERKN3c106ScalarEENKUlvE_clEvENKUlvE3_clEvEUlsE_St5arrayIPcLm2EEEEviT0_T1_: ; @_ZN2at6native29vectorized_elementwise_kernelILi16EZZZNS0_21clamp_max_kernel_cudaERNS_18TensorIteratorBaseERKN3c106ScalarEENKUlvE_clEvENKUlvE3_clEvEUlsE_St5arrayIPcLm2EEEEviT0_T1_
; %bb.0:
	s_clause 0x1
	s_load_b64 s[8:9], s[0:1], 0x0
	s_load_b128 s[4:7], s[0:1], 0x8
	s_lshl_b32 s2, s15, 11
	s_mov_b32 s0, -1
	s_waitcnt lgkmcnt(0)
	s_sub_i32 s1, s8, s2
	s_delay_alu instid0(SALU_CYCLE_1)
	s_cmpk_gt_i32 s1, 0x7ff
	s_cbranch_scc0 .LBB450_2
; %bb.1:
	s_ashr_i32 s3, s2, 31
	v_lshlrev_b32_e32 v5, 4, v0
	s_lshl_b64 s[10:11], s[2:3], 1
	s_mov_b32 s0, 0
	s_add_u32 s12, s6, s10
	s_addc_u32 s13, s7, s11
	s_add_u32 s10, s4, s10
	global_load_b128 v[1:4], v5, s[12:13]
	s_addc_u32 s11, s5, s11
	s_waitcnt vmcnt(0)
	v_lshrrev_b32_e32 v6, 16, v1
	v_lshrrev_b32_e32 v7, 16, v2
	;; [unrolled: 1-line block ×4, first 2 shown]
	v_min_i16 v1, v1, s9
	v_min_i16 v2, v2, s9
	;; [unrolled: 1-line block ×8, first 2 shown]
	s_delay_alu instid0(VALU_DEP_4) | instskip(NEXT) | instid1(VALU_DEP_4)
	v_perm_b32 v4, v9, v4, 0x5040100
	v_perm_b32 v3, v8, v3, 0x5040100
	s_delay_alu instid0(VALU_DEP_4) | instskip(NEXT) | instid1(VALU_DEP_4)
	v_perm_b32 v2, v7, v2, 0x5040100
	v_perm_b32 v1, v6, v1, 0x5040100
	global_store_b128 v5, v[1:4], s[10:11]
.LBB450_2:
	s_and_not1_b32 vcc_lo, exec_lo, s0
	s_cbranch_vccnz .LBB450_28
; %bb.3:
	v_cmp_gt_i32_e32 vcc_lo, s1, v0
	v_dual_mov_b32 v4, 0 :: v_dual_mov_b32 v5, v0
	v_or_b32_e32 v1, s2, v0
	v_or_b32_e32 v3, 0x100, v0
	v_mov_b32_e32 v2, 0
	s_and_saveexec_b32 s3, vcc_lo
	s_cbranch_execz .LBB450_5
; %bb.4:
	v_mov_b32_e32 v2, 0
	s_delay_alu instid0(VALU_DEP_1) | instskip(NEXT) | instid1(VALU_DEP_1)
	v_lshlrev_b64 v[5:6], 1, v[1:2]
	v_add_co_u32 v5, s0, s6, v5
	s_delay_alu instid0(VALU_DEP_1)
	v_add_co_ci_u32_e64 v6, s0, s7, v6, s0
	global_load_u16 v2, v[5:6], off
	v_or_b32_e32 v5, 0x100, v0
.LBB450_5:
	s_or_b32 exec_lo, exec_lo, s3
	s_delay_alu instid0(SALU_CYCLE_1) | instskip(NEXT) | instid1(VALU_DEP_1)
	s_mov_b32 s3, exec_lo
	v_cmpx_gt_i32_e64 s1, v5
	s_cbranch_execz .LBB450_7
; %bb.6:
	v_dual_mov_b32 v7, 0 :: v_dual_add_nc_u32 v6, s2, v5
	v_add_nc_u32_e32 v5, 0x100, v5
	s_delay_alu instid0(VALU_DEP_2) | instskip(NEXT) | instid1(VALU_DEP_1)
	v_lshlrev_b64 v[6:7], 1, v[6:7]
	v_add_co_u32 v6, s0, s6, v6
	s_delay_alu instid0(VALU_DEP_1)
	v_add_co_ci_u32_e64 v7, s0, s7, v7, s0
	global_load_u16 v4, v[6:7], off
.LBB450_7:
	s_or_b32 exec_lo, exec_lo, s3
	v_dual_mov_b32 v6, 0 :: v_dual_mov_b32 v7, 0
	s_mov_b32 s3, exec_lo
	v_cmpx_gt_i32_e64 s1, v5
	s_cbranch_execz .LBB450_9
; %bb.8:
	v_dual_mov_b32 v8, 0 :: v_dual_add_nc_u32 v7, s2, v5
	v_add_nc_u32_e32 v5, 0x100, v5
	s_delay_alu instid0(VALU_DEP_2) | instskip(NEXT) | instid1(VALU_DEP_1)
	v_lshlrev_b64 v[7:8], 1, v[7:8]
	v_add_co_u32 v7, s0, s6, v7
	s_delay_alu instid0(VALU_DEP_1)
	v_add_co_ci_u32_e64 v8, s0, s7, v8, s0
	global_load_u16 v7, v[7:8], off
.LBB450_9:
	s_or_b32 exec_lo, exec_lo, s3
	s_delay_alu instid0(SALU_CYCLE_1)
	s_mov_b32 s3, exec_lo
	v_cmpx_gt_i32_e64 s1, v5
	s_cbranch_execz .LBB450_11
; %bb.10:
	v_dual_mov_b32 v9, 0 :: v_dual_add_nc_u32 v8, s2, v5
	v_add_nc_u32_e32 v5, 0x100, v5
	s_delay_alu instid0(VALU_DEP_2) | instskip(NEXT) | instid1(VALU_DEP_1)
	v_lshlrev_b64 v[8:9], 1, v[8:9]
	v_add_co_u32 v8, s0, s6, v8
	s_delay_alu instid0(VALU_DEP_1)
	v_add_co_ci_u32_e64 v9, s0, s7, v9, s0
	global_load_u16 v6, v[8:9], off
.LBB450_11:
	s_or_b32 exec_lo, exec_lo, s3
	v_dual_mov_b32 v8, 0 :: v_dual_mov_b32 v9, 0
	s_mov_b32 s3, exec_lo
	v_cmpx_gt_i32_e64 s1, v5
	s_cbranch_execz .LBB450_13
; %bb.12:
	v_dual_mov_b32 v10, 0 :: v_dual_add_nc_u32 v9, s2, v5
	v_add_nc_u32_e32 v5, 0x100, v5
	s_delay_alu instid0(VALU_DEP_2) | instskip(NEXT) | instid1(VALU_DEP_1)
	v_lshlrev_b64 v[9:10], 1, v[9:10]
	v_add_co_u32 v9, s0, s6, v9
	s_delay_alu instid0(VALU_DEP_1)
	v_add_co_ci_u32_e64 v10, s0, s7, v10, s0
	global_load_u16 v9, v[9:10], off
.LBB450_13:
	s_or_b32 exec_lo, exec_lo, s3
	s_delay_alu instid0(SALU_CYCLE_1)
	s_mov_b32 s3, exec_lo
	v_cmpx_gt_i32_e64 s1, v5
	s_cbranch_execz .LBB450_15
; %bb.14:
	v_dual_mov_b32 v11, 0 :: v_dual_add_nc_u32 v10, s2, v5
	v_add_nc_u32_e32 v5, 0x100, v5
	s_delay_alu instid0(VALU_DEP_2) | instskip(NEXT) | instid1(VALU_DEP_1)
	v_lshlrev_b64 v[10:11], 1, v[10:11]
	v_add_co_u32 v10, s0, s6, v10
	s_delay_alu instid0(VALU_DEP_1)
	v_add_co_ci_u32_e64 v11, s0, s7, v11, s0
	global_load_u16 v8, v[10:11], off
.LBB450_15:
	s_or_b32 exec_lo, exec_lo, s3
	v_dual_mov_b32 v10, 0 :: v_dual_mov_b32 v11, 0
	s_mov_b32 s3, exec_lo
	v_cmpx_gt_i32_e64 s1, v5
	s_cbranch_execz .LBB450_17
; %bb.16:
	v_dual_mov_b32 v12, 0 :: v_dual_add_nc_u32 v11, s2, v5
	v_add_nc_u32_e32 v5, 0x100, v5
	s_delay_alu instid0(VALU_DEP_2) | instskip(NEXT) | instid1(VALU_DEP_1)
	v_lshlrev_b64 v[11:12], 1, v[11:12]
	v_add_co_u32 v11, s0, s6, v11
	s_delay_alu instid0(VALU_DEP_1)
	v_add_co_ci_u32_e64 v12, s0, s7, v12, s0
	global_load_u16 v11, v[11:12], off
.LBB450_17:
	s_or_b32 exec_lo, exec_lo, s3
	s_delay_alu instid0(SALU_CYCLE_1)
	s_mov_b32 s3, exec_lo
	v_cmpx_gt_i32_e64 s1, v5
	s_cbranch_execz .LBB450_19
; %bb.18:
	v_dual_mov_b32 v13, 0 :: v_dual_add_nc_u32 v12, s2, v5
	s_delay_alu instid0(VALU_DEP_1) | instskip(NEXT) | instid1(VALU_DEP_1)
	v_lshlrev_b64 v[12:13], 1, v[12:13]
	v_add_co_u32 v12, s0, s6, v12
	s_delay_alu instid0(VALU_DEP_1)
	v_add_co_ci_u32_e64 v13, s0, s7, v13, s0
	global_load_u16 v10, v[12:13], off
.LBB450_19:
	s_or_b32 exec_lo, exec_lo, s3
	s_waitcnt vmcnt(0)
	v_min_i16 v2, v2, s9
	v_min_i16 v4, v4, s9
	v_min_i16 v5, v7, s9
	v_or_b32_e32 v12, 0x300, v0
	v_min_i16 v6, v6, s9
	v_cmp_gt_i32_e64 s0, s1, v3
	v_perm_b32 v4, v4, v2, 0x5040100
	v_min_i16 v9, v9, s9
	v_min_i16 v8, v8, s9
	v_and_b32_e32 v13, 0xffff, v5
	v_or_b32_e32 v14, 0x700, v0
	v_cndmask_b32_e64 v7, v2, v4, s0
	v_perm_b32 v4, v6, v5, 0x5040100
	v_min_i16 v5, v10, s9
	v_or_b32_e32 v10, 0x500, v0
	v_cmp_gt_i32_e64 s0, s1, v12
	v_min_i16 v2, v11, s9
	v_perm_b32 v8, v8, v9, 0x5040100
	s_delay_alu instid0(VALU_DEP_3) | instskip(SKIP_1) | instid1(VALU_DEP_4)
	v_cndmask_b32_e64 v6, v13, v4, s0
	v_cmp_gt_i32_e64 s0, s1, v10
	v_and_b32_e32 v11, 0xffff, v2
	v_perm_b32 v2, v5, v2, 0x5040100
	s_delay_alu instid0(VALU_DEP_3) | instskip(SKIP_1) | instid1(VALU_DEP_1)
	v_cndmask_b32_e64 v5, v9, v8, s0
	v_cmp_gt_i32_e64 s0, s1, v14
	v_cndmask_b32_e64 v4, v11, v2, s0
	s_and_saveexec_b32 s0, vcc_lo
	s_cbranch_execnz .LBB450_29
; %bb.20:
	s_or_b32 exec_lo, exec_lo, s0
	s_delay_alu instid0(SALU_CYCLE_1)
	s_mov_b32 s0, exec_lo
	v_cmpx_gt_i32_e64 s1, v0
	s_cbranch_execnz .LBB450_30
.LBB450_21:
	s_or_b32 exec_lo, exec_lo, s0
	s_delay_alu instid0(SALU_CYCLE_1)
	s_mov_b32 s0, exec_lo
	v_cmpx_gt_i32_e64 s1, v0
	s_cbranch_execnz .LBB450_31
.LBB450_22:
	s_or_b32 exec_lo, exec_lo, s0
	s_delay_alu instid0(SALU_CYCLE_1)
	s_mov_b32 s0, exec_lo
	v_cmpx_gt_i32_e64 s1, v0
	s_cbranch_execnz .LBB450_32
.LBB450_23:
	s_or_b32 exec_lo, exec_lo, s0
	s_delay_alu instid0(SALU_CYCLE_1)
	s_mov_b32 s0, exec_lo
	v_cmpx_gt_i32_e64 s1, v0
	s_cbranch_execnz .LBB450_33
.LBB450_24:
	s_or_b32 exec_lo, exec_lo, s0
	s_delay_alu instid0(SALU_CYCLE_1)
	s_mov_b32 s0, exec_lo
	v_cmpx_gt_i32_e64 s1, v0
	s_cbranch_execnz .LBB450_34
.LBB450_25:
	s_or_b32 exec_lo, exec_lo, s0
	s_delay_alu instid0(SALU_CYCLE_1)
	s_mov_b32 s0, exec_lo
	v_cmpx_gt_i32_e64 s1, v0
	s_cbranch_execnz .LBB450_35
.LBB450_26:
	s_or_b32 exec_lo, exec_lo, s0
	s_delay_alu instid0(SALU_CYCLE_1)
	s_mov_b32 s0, exec_lo
	v_cmpx_gt_i32_e64 s1, v0
	s_cbranch_execz .LBB450_28
.LBB450_27:
	v_dual_mov_b32 v1, 0 :: v_dual_add_nc_u32 v0, s2, v0
	s_delay_alu instid0(VALU_DEP_1) | instskip(NEXT) | instid1(VALU_DEP_1)
	v_lshlrev_b64 v[0:1], 1, v[0:1]
	v_add_co_u32 v0, vcc_lo, s4, v0
	s_delay_alu instid0(VALU_DEP_2)
	v_add_co_ci_u32_e32 v1, vcc_lo, s5, v1, vcc_lo
	global_store_d16_hi_b16 v[0:1], v4, off
.LBB450_28:
	s_nop 0
	s_sendmsg sendmsg(MSG_DEALLOC_VGPRS)
	s_endpgm
.LBB450_29:
	v_mov_b32_e32 v2, 0
	s_delay_alu instid0(VALU_DEP_1) | instskip(NEXT) | instid1(VALU_DEP_1)
	v_lshlrev_b64 v[0:1], 1, v[1:2]
	v_add_co_u32 v8, vcc_lo, s4, v0
	s_delay_alu instid0(VALU_DEP_2) | instskip(SKIP_3) | instid1(SALU_CYCLE_1)
	v_add_co_ci_u32_e32 v9, vcc_lo, s5, v1, vcc_lo
	v_mov_b32_e32 v0, v3
	global_store_b16 v[8:9], v7, off
	s_or_b32 exec_lo, exec_lo, s0
	s_mov_b32 s0, exec_lo
	v_cmpx_gt_i32_e64 s1, v0
	s_cbranch_execz .LBB450_21
.LBB450_30:
	v_dual_mov_b32 v2, 0 :: v_dual_add_nc_u32 v1, s2, v0
	v_add_nc_u32_e32 v0, 0x100, v0
	s_delay_alu instid0(VALU_DEP_2) | instskip(NEXT) | instid1(VALU_DEP_1)
	v_lshlrev_b64 v[1:2], 1, v[1:2]
	v_add_co_u32 v1, vcc_lo, s4, v1
	s_delay_alu instid0(VALU_DEP_2) | instskip(SKIP_2) | instid1(SALU_CYCLE_1)
	v_add_co_ci_u32_e32 v2, vcc_lo, s5, v2, vcc_lo
	global_store_d16_hi_b16 v[1:2], v7, off
	s_or_b32 exec_lo, exec_lo, s0
	s_mov_b32 s0, exec_lo
	v_cmpx_gt_i32_e64 s1, v0
	s_cbranch_execz .LBB450_22
.LBB450_31:
	v_dual_mov_b32 v2, 0 :: v_dual_add_nc_u32 v1, s2, v0
	v_add_nc_u32_e32 v0, 0x100, v0
	s_delay_alu instid0(VALU_DEP_2) | instskip(NEXT) | instid1(VALU_DEP_1)
	v_lshlrev_b64 v[1:2], 1, v[1:2]
	v_add_co_u32 v1, vcc_lo, s4, v1
	s_delay_alu instid0(VALU_DEP_2) | instskip(SKIP_2) | instid1(SALU_CYCLE_1)
	v_add_co_ci_u32_e32 v2, vcc_lo, s5, v2, vcc_lo
	global_store_b16 v[1:2], v6, off
	s_or_b32 exec_lo, exec_lo, s0
	s_mov_b32 s0, exec_lo
	v_cmpx_gt_i32_e64 s1, v0
	s_cbranch_execz .LBB450_23
.LBB450_32:
	v_dual_mov_b32 v2, 0 :: v_dual_add_nc_u32 v1, s2, v0
	v_add_nc_u32_e32 v0, 0x100, v0
	s_delay_alu instid0(VALU_DEP_2) | instskip(NEXT) | instid1(VALU_DEP_1)
	v_lshlrev_b64 v[1:2], 1, v[1:2]
	v_add_co_u32 v1, vcc_lo, s4, v1
	s_delay_alu instid0(VALU_DEP_2) | instskip(SKIP_2) | instid1(SALU_CYCLE_1)
	v_add_co_ci_u32_e32 v2, vcc_lo, s5, v2, vcc_lo
	global_store_d16_hi_b16 v[1:2], v6, off
	s_or_b32 exec_lo, exec_lo, s0
	s_mov_b32 s0, exec_lo
	v_cmpx_gt_i32_e64 s1, v0
	s_cbranch_execz .LBB450_24
.LBB450_33:
	v_dual_mov_b32 v2, 0 :: v_dual_add_nc_u32 v1, s2, v0
	v_add_nc_u32_e32 v0, 0x100, v0
	s_delay_alu instid0(VALU_DEP_2) | instskip(NEXT) | instid1(VALU_DEP_1)
	v_lshlrev_b64 v[1:2], 1, v[1:2]
	v_add_co_u32 v1, vcc_lo, s4, v1
	s_delay_alu instid0(VALU_DEP_2) | instskip(SKIP_2) | instid1(SALU_CYCLE_1)
	v_add_co_ci_u32_e32 v2, vcc_lo, s5, v2, vcc_lo
	global_store_b16 v[1:2], v5, off
	s_or_b32 exec_lo, exec_lo, s0
	s_mov_b32 s0, exec_lo
	v_cmpx_gt_i32_e64 s1, v0
	s_cbranch_execz .LBB450_25
.LBB450_34:
	v_dual_mov_b32 v2, 0 :: v_dual_add_nc_u32 v1, s2, v0
	v_add_nc_u32_e32 v0, 0x100, v0
	s_delay_alu instid0(VALU_DEP_2) | instskip(NEXT) | instid1(VALU_DEP_1)
	v_lshlrev_b64 v[1:2], 1, v[1:2]
	v_add_co_u32 v1, vcc_lo, s4, v1
	s_delay_alu instid0(VALU_DEP_2) | instskip(SKIP_2) | instid1(SALU_CYCLE_1)
	v_add_co_ci_u32_e32 v2, vcc_lo, s5, v2, vcc_lo
	global_store_d16_hi_b16 v[1:2], v5, off
	s_or_b32 exec_lo, exec_lo, s0
	s_mov_b32 s0, exec_lo
	v_cmpx_gt_i32_e64 s1, v0
	s_cbranch_execz .LBB450_26
.LBB450_35:
	v_dual_mov_b32 v2, 0 :: v_dual_add_nc_u32 v1, s2, v0
	v_add_nc_u32_e32 v0, 0x100, v0
	s_delay_alu instid0(VALU_DEP_2) | instskip(NEXT) | instid1(VALU_DEP_1)
	v_lshlrev_b64 v[1:2], 1, v[1:2]
	v_add_co_u32 v1, vcc_lo, s4, v1
	s_delay_alu instid0(VALU_DEP_2) | instskip(SKIP_2) | instid1(SALU_CYCLE_1)
	v_add_co_ci_u32_e32 v2, vcc_lo, s5, v2, vcc_lo
	global_store_b16 v[1:2], v4, off
	s_or_b32 exec_lo, exec_lo, s0
	s_mov_b32 s0, exec_lo
	v_cmpx_gt_i32_e64 s1, v0
	s_cbranch_execnz .LBB450_27
	s_branch .LBB450_28
	.section	.rodata,"a",@progbits
	.p2align	6, 0x0
	.amdhsa_kernel _ZN2at6native29vectorized_elementwise_kernelILi16EZZZNS0_21clamp_max_kernel_cudaERNS_18TensorIteratorBaseERKN3c106ScalarEENKUlvE_clEvENKUlvE3_clEvEUlsE_St5arrayIPcLm2EEEEviT0_T1_
		.amdhsa_group_segment_fixed_size 0
		.amdhsa_private_segment_fixed_size 0
		.amdhsa_kernarg_size 24
		.amdhsa_user_sgpr_count 15
		.amdhsa_user_sgpr_dispatch_ptr 0
		.amdhsa_user_sgpr_queue_ptr 0
		.amdhsa_user_sgpr_kernarg_segment_ptr 1
		.amdhsa_user_sgpr_dispatch_id 0
		.amdhsa_user_sgpr_private_segment_size 0
		.amdhsa_wavefront_size32 1
		.amdhsa_uses_dynamic_stack 0
		.amdhsa_enable_private_segment 0
		.amdhsa_system_sgpr_workgroup_id_x 1
		.amdhsa_system_sgpr_workgroup_id_y 0
		.amdhsa_system_sgpr_workgroup_id_z 0
		.amdhsa_system_sgpr_workgroup_info 0
		.amdhsa_system_vgpr_workitem_id 0
		.amdhsa_next_free_vgpr 15
		.amdhsa_next_free_sgpr 16
		.amdhsa_reserve_vcc 1
		.amdhsa_float_round_mode_32 0
		.amdhsa_float_round_mode_16_64 0
		.amdhsa_float_denorm_mode_32 3
		.amdhsa_float_denorm_mode_16_64 3
		.amdhsa_dx10_clamp 1
		.amdhsa_ieee_mode 1
		.amdhsa_fp16_overflow 0
		.amdhsa_workgroup_processor_mode 1
		.amdhsa_memory_ordered 1
		.amdhsa_forward_progress 0
		.amdhsa_shared_vgpr_count 0
		.amdhsa_exception_fp_ieee_invalid_op 0
		.amdhsa_exception_fp_denorm_src 0
		.amdhsa_exception_fp_ieee_div_zero 0
		.amdhsa_exception_fp_ieee_overflow 0
		.amdhsa_exception_fp_ieee_underflow 0
		.amdhsa_exception_fp_ieee_inexact 0
		.amdhsa_exception_int_div_zero 0
	.end_amdhsa_kernel
	.section	.text._ZN2at6native29vectorized_elementwise_kernelILi16EZZZNS0_21clamp_max_kernel_cudaERNS_18TensorIteratorBaseERKN3c106ScalarEENKUlvE_clEvENKUlvE3_clEvEUlsE_St5arrayIPcLm2EEEEviT0_T1_,"axG",@progbits,_ZN2at6native29vectorized_elementwise_kernelILi16EZZZNS0_21clamp_max_kernel_cudaERNS_18TensorIteratorBaseERKN3c106ScalarEENKUlvE_clEvENKUlvE3_clEvEUlsE_St5arrayIPcLm2EEEEviT0_T1_,comdat
.Lfunc_end450:
	.size	_ZN2at6native29vectorized_elementwise_kernelILi16EZZZNS0_21clamp_max_kernel_cudaERNS_18TensorIteratorBaseERKN3c106ScalarEENKUlvE_clEvENKUlvE3_clEvEUlsE_St5arrayIPcLm2EEEEviT0_T1_, .Lfunc_end450-_ZN2at6native29vectorized_elementwise_kernelILi16EZZZNS0_21clamp_max_kernel_cudaERNS_18TensorIteratorBaseERKN3c106ScalarEENKUlvE_clEvENKUlvE3_clEvEUlsE_St5arrayIPcLm2EEEEviT0_T1_
                                        ; -- End function
	.section	.AMDGPU.csdata,"",@progbits
; Kernel info:
; codeLenInByte = 1860
; NumSgprs: 18
; NumVgprs: 15
; ScratchSize: 0
; MemoryBound: 0
; FloatMode: 240
; IeeeMode: 1
; LDSByteSize: 0 bytes/workgroup (compile time only)
; SGPRBlocks: 2
; VGPRBlocks: 1
; NumSGPRsForWavesPerEU: 18
; NumVGPRsForWavesPerEU: 15
; Occupancy: 16
; WaveLimiterHint : 0
; COMPUTE_PGM_RSRC2:SCRATCH_EN: 0
; COMPUTE_PGM_RSRC2:USER_SGPR: 15
; COMPUTE_PGM_RSRC2:TRAP_HANDLER: 0
; COMPUTE_PGM_RSRC2:TGID_X_EN: 1
; COMPUTE_PGM_RSRC2:TGID_Y_EN: 0
; COMPUTE_PGM_RSRC2:TGID_Z_EN: 0
; COMPUTE_PGM_RSRC2:TIDIG_COMP_CNT: 0
	.section	.text._ZN2at6native29vectorized_elementwise_kernelILi8EZZZNS0_21clamp_max_kernel_cudaERNS_18TensorIteratorBaseERKN3c106ScalarEENKUlvE_clEvENKUlvE3_clEvEUlsE_St5arrayIPcLm2EEEEviT0_T1_,"axG",@progbits,_ZN2at6native29vectorized_elementwise_kernelILi8EZZZNS0_21clamp_max_kernel_cudaERNS_18TensorIteratorBaseERKN3c106ScalarEENKUlvE_clEvENKUlvE3_clEvEUlsE_St5arrayIPcLm2EEEEviT0_T1_,comdat
	.globl	_ZN2at6native29vectorized_elementwise_kernelILi8EZZZNS0_21clamp_max_kernel_cudaERNS_18TensorIteratorBaseERKN3c106ScalarEENKUlvE_clEvENKUlvE3_clEvEUlsE_St5arrayIPcLm2EEEEviT0_T1_ ; -- Begin function _ZN2at6native29vectorized_elementwise_kernelILi8EZZZNS0_21clamp_max_kernel_cudaERNS_18TensorIteratorBaseERKN3c106ScalarEENKUlvE_clEvENKUlvE3_clEvEUlsE_St5arrayIPcLm2EEEEviT0_T1_
	.p2align	8
	.type	_ZN2at6native29vectorized_elementwise_kernelILi8EZZZNS0_21clamp_max_kernel_cudaERNS_18TensorIteratorBaseERKN3c106ScalarEENKUlvE_clEvENKUlvE3_clEvEUlsE_St5arrayIPcLm2EEEEviT0_T1_,@function
_ZN2at6native29vectorized_elementwise_kernelILi8EZZZNS0_21clamp_max_kernel_cudaERNS_18TensorIteratorBaseERKN3c106ScalarEENKUlvE_clEvENKUlvE3_clEvEUlsE_St5arrayIPcLm2EEEEviT0_T1_: ; @_ZN2at6native29vectorized_elementwise_kernelILi8EZZZNS0_21clamp_max_kernel_cudaERNS_18TensorIteratorBaseERKN3c106ScalarEENKUlvE_clEvENKUlvE3_clEvEUlsE_St5arrayIPcLm2EEEEviT0_T1_
; %bb.0:
	s_clause 0x1
	s_load_b64 s[8:9], s[0:1], 0x0
	s_load_b128 s[4:7], s[0:1], 0x8
	s_lshl_b32 s2, s15, 11
	s_mov_b32 s0, -1
	s_waitcnt lgkmcnt(0)
	s_sub_i32 s1, s8, s2
	s_delay_alu instid0(SALU_CYCLE_1)
	s_cmpk_gt_i32 s1, 0x7ff
	s_cbranch_scc0 .LBB451_2
; %bb.1:
	s_ashr_i32 s3, s2, 31
	v_lshlrev_b32_e32 v5, 4, v0
	s_lshl_b64 s[10:11], s[2:3], 1
	s_mov_b32 s0, 0
	s_add_u32 s12, s6, s10
	s_addc_u32 s13, s7, s11
	s_add_u32 s10, s4, s10
	global_load_b128 v[1:4], v5, s[12:13]
	s_addc_u32 s11, s5, s11
	s_waitcnt vmcnt(0)
	v_lshrrev_b32_e32 v6, 16, v1
	v_lshrrev_b32_e32 v7, 16, v2
	v_lshrrev_b32_e32 v8, 16, v3
	v_lshrrev_b32_e32 v9, 16, v4
	v_min_i16 v1, v1, s9
	v_min_i16 v2, v2, s9
	;; [unrolled: 1-line block ×8, first 2 shown]
	s_delay_alu instid0(VALU_DEP_4) | instskip(NEXT) | instid1(VALU_DEP_4)
	v_perm_b32 v4, v9, v4, 0x5040100
	v_perm_b32 v3, v8, v3, 0x5040100
	s_delay_alu instid0(VALU_DEP_4) | instskip(NEXT) | instid1(VALU_DEP_4)
	v_perm_b32 v2, v7, v2, 0x5040100
	v_perm_b32 v1, v6, v1, 0x5040100
	global_store_b128 v5, v[1:4], s[10:11]
.LBB451_2:
	s_and_not1_b32 vcc_lo, exec_lo, s0
	s_cbranch_vccnz .LBB451_28
; %bb.3:
	v_cmp_gt_i32_e32 vcc_lo, s1, v0
	v_dual_mov_b32 v4, 0 :: v_dual_mov_b32 v5, v0
	v_or_b32_e32 v1, s2, v0
	v_or_b32_e32 v3, 0x100, v0
	v_mov_b32_e32 v2, 0
	s_and_saveexec_b32 s3, vcc_lo
	s_cbranch_execz .LBB451_5
; %bb.4:
	v_mov_b32_e32 v2, 0
	s_delay_alu instid0(VALU_DEP_1) | instskip(NEXT) | instid1(VALU_DEP_1)
	v_lshlrev_b64 v[5:6], 1, v[1:2]
	v_add_co_u32 v5, s0, s6, v5
	s_delay_alu instid0(VALU_DEP_1)
	v_add_co_ci_u32_e64 v6, s0, s7, v6, s0
	global_load_u16 v2, v[5:6], off
	v_or_b32_e32 v5, 0x100, v0
.LBB451_5:
	s_or_b32 exec_lo, exec_lo, s3
	s_delay_alu instid0(SALU_CYCLE_1) | instskip(NEXT) | instid1(VALU_DEP_1)
	s_mov_b32 s3, exec_lo
	v_cmpx_gt_i32_e64 s1, v5
	s_cbranch_execz .LBB451_7
; %bb.6:
	v_dual_mov_b32 v7, 0 :: v_dual_add_nc_u32 v6, s2, v5
	v_add_nc_u32_e32 v5, 0x100, v5
	s_delay_alu instid0(VALU_DEP_2) | instskip(NEXT) | instid1(VALU_DEP_1)
	v_lshlrev_b64 v[6:7], 1, v[6:7]
	v_add_co_u32 v6, s0, s6, v6
	s_delay_alu instid0(VALU_DEP_1)
	v_add_co_ci_u32_e64 v7, s0, s7, v7, s0
	global_load_u16 v4, v[6:7], off
.LBB451_7:
	s_or_b32 exec_lo, exec_lo, s3
	v_dual_mov_b32 v6, 0 :: v_dual_mov_b32 v7, 0
	s_mov_b32 s3, exec_lo
	v_cmpx_gt_i32_e64 s1, v5
	s_cbranch_execz .LBB451_9
; %bb.8:
	v_dual_mov_b32 v8, 0 :: v_dual_add_nc_u32 v7, s2, v5
	v_add_nc_u32_e32 v5, 0x100, v5
	s_delay_alu instid0(VALU_DEP_2) | instskip(NEXT) | instid1(VALU_DEP_1)
	v_lshlrev_b64 v[7:8], 1, v[7:8]
	v_add_co_u32 v7, s0, s6, v7
	s_delay_alu instid0(VALU_DEP_1)
	v_add_co_ci_u32_e64 v8, s0, s7, v8, s0
	global_load_u16 v7, v[7:8], off
.LBB451_9:
	s_or_b32 exec_lo, exec_lo, s3
	s_delay_alu instid0(SALU_CYCLE_1)
	s_mov_b32 s3, exec_lo
	v_cmpx_gt_i32_e64 s1, v5
	s_cbranch_execz .LBB451_11
; %bb.10:
	v_dual_mov_b32 v9, 0 :: v_dual_add_nc_u32 v8, s2, v5
	v_add_nc_u32_e32 v5, 0x100, v5
	s_delay_alu instid0(VALU_DEP_2) | instskip(NEXT) | instid1(VALU_DEP_1)
	v_lshlrev_b64 v[8:9], 1, v[8:9]
	v_add_co_u32 v8, s0, s6, v8
	s_delay_alu instid0(VALU_DEP_1)
	v_add_co_ci_u32_e64 v9, s0, s7, v9, s0
	global_load_u16 v6, v[8:9], off
.LBB451_11:
	s_or_b32 exec_lo, exec_lo, s3
	v_dual_mov_b32 v8, 0 :: v_dual_mov_b32 v9, 0
	s_mov_b32 s3, exec_lo
	v_cmpx_gt_i32_e64 s1, v5
	s_cbranch_execz .LBB451_13
; %bb.12:
	v_dual_mov_b32 v10, 0 :: v_dual_add_nc_u32 v9, s2, v5
	v_add_nc_u32_e32 v5, 0x100, v5
	s_delay_alu instid0(VALU_DEP_2) | instskip(NEXT) | instid1(VALU_DEP_1)
	v_lshlrev_b64 v[9:10], 1, v[9:10]
	v_add_co_u32 v9, s0, s6, v9
	s_delay_alu instid0(VALU_DEP_1)
	v_add_co_ci_u32_e64 v10, s0, s7, v10, s0
	global_load_u16 v9, v[9:10], off
.LBB451_13:
	s_or_b32 exec_lo, exec_lo, s3
	s_delay_alu instid0(SALU_CYCLE_1)
	;; [unrolled: 30-line block ×3, first 2 shown]
	s_mov_b32 s3, exec_lo
	v_cmpx_gt_i32_e64 s1, v5
	s_cbranch_execz .LBB451_19
; %bb.18:
	v_dual_mov_b32 v13, 0 :: v_dual_add_nc_u32 v12, s2, v5
	s_delay_alu instid0(VALU_DEP_1) | instskip(NEXT) | instid1(VALU_DEP_1)
	v_lshlrev_b64 v[12:13], 1, v[12:13]
	v_add_co_u32 v12, s0, s6, v12
	s_delay_alu instid0(VALU_DEP_1)
	v_add_co_ci_u32_e64 v13, s0, s7, v13, s0
	global_load_u16 v10, v[12:13], off
.LBB451_19:
	s_or_b32 exec_lo, exec_lo, s3
	s_waitcnt vmcnt(0)
	v_min_i16 v2, v2, s9
	v_min_i16 v4, v4, s9
	;; [unrolled: 1-line block ×3, first 2 shown]
	v_or_b32_e32 v12, 0x300, v0
	v_min_i16 v6, v6, s9
	v_cmp_gt_i32_e64 s0, s1, v3
	v_perm_b32 v4, v4, v2, 0x5040100
	v_min_i16 v9, v9, s9
	v_min_i16 v8, v8, s9
	v_and_b32_e32 v13, 0xffff, v5
	v_or_b32_e32 v14, 0x700, v0
	v_cndmask_b32_e64 v7, v2, v4, s0
	v_perm_b32 v4, v6, v5, 0x5040100
	v_min_i16 v5, v10, s9
	v_or_b32_e32 v10, 0x500, v0
	v_cmp_gt_i32_e64 s0, s1, v12
	v_min_i16 v2, v11, s9
	v_perm_b32 v8, v8, v9, 0x5040100
	s_delay_alu instid0(VALU_DEP_3) | instskip(SKIP_1) | instid1(VALU_DEP_4)
	v_cndmask_b32_e64 v6, v13, v4, s0
	v_cmp_gt_i32_e64 s0, s1, v10
	v_and_b32_e32 v11, 0xffff, v2
	v_perm_b32 v2, v5, v2, 0x5040100
	s_delay_alu instid0(VALU_DEP_3) | instskip(SKIP_1) | instid1(VALU_DEP_1)
	v_cndmask_b32_e64 v5, v9, v8, s0
	v_cmp_gt_i32_e64 s0, s1, v14
	v_cndmask_b32_e64 v4, v11, v2, s0
	s_and_saveexec_b32 s0, vcc_lo
	s_cbranch_execnz .LBB451_29
; %bb.20:
	s_or_b32 exec_lo, exec_lo, s0
	s_delay_alu instid0(SALU_CYCLE_1)
	s_mov_b32 s0, exec_lo
	v_cmpx_gt_i32_e64 s1, v0
	s_cbranch_execnz .LBB451_30
.LBB451_21:
	s_or_b32 exec_lo, exec_lo, s0
	s_delay_alu instid0(SALU_CYCLE_1)
	s_mov_b32 s0, exec_lo
	v_cmpx_gt_i32_e64 s1, v0
	s_cbranch_execnz .LBB451_31
.LBB451_22:
	s_or_b32 exec_lo, exec_lo, s0
	s_delay_alu instid0(SALU_CYCLE_1)
	s_mov_b32 s0, exec_lo
	v_cmpx_gt_i32_e64 s1, v0
	s_cbranch_execnz .LBB451_32
.LBB451_23:
	s_or_b32 exec_lo, exec_lo, s0
	s_delay_alu instid0(SALU_CYCLE_1)
	s_mov_b32 s0, exec_lo
	v_cmpx_gt_i32_e64 s1, v0
	s_cbranch_execnz .LBB451_33
.LBB451_24:
	s_or_b32 exec_lo, exec_lo, s0
	s_delay_alu instid0(SALU_CYCLE_1)
	s_mov_b32 s0, exec_lo
	v_cmpx_gt_i32_e64 s1, v0
	s_cbranch_execnz .LBB451_34
.LBB451_25:
	s_or_b32 exec_lo, exec_lo, s0
	s_delay_alu instid0(SALU_CYCLE_1)
	s_mov_b32 s0, exec_lo
	v_cmpx_gt_i32_e64 s1, v0
	s_cbranch_execnz .LBB451_35
.LBB451_26:
	s_or_b32 exec_lo, exec_lo, s0
	s_delay_alu instid0(SALU_CYCLE_1)
	s_mov_b32 s0, exec_lo
	v_cmpx_gt_i32_e64 s1, v0
	s_cbranch_execz .LBB451_28
.LBB451_27:
	v_dual_mov_b32 v1, 0 :: v_dual_add_nc_u32 v0, s2, v0
	s_delay_alu instid0(VALU_DEP_1) | instskip(NEXT) | instid1(VALU_DEP_1)
	v_lshlrev_b64 v[0:1], 1, v[0:1]
	v_add_co_u32 v0, vcc_lo, s4, v0
	s_delay_alu instid0(VALU_DEP_2)
	v_add_co_ci_u32_e32 v1, vcc_lo, s5, v1, vcc_lo
	global_store_d16_hi_b16 v[0:1], v4, off
.LBB451_28:
	s_nop 0
	s_sendmsg sendmsg(MSG_DEALLOC_VGPRS)
	s_endpgm
.LBB451_29:
	v_mov_b32_e32 v2, 0
	s_delay_alu instid0(VALU_DEP_1) | instskip(NEXT) | instid1(VALU_DEP_1)
	v_lshlrev_b64 v[0:1], 1, v[1:2]
	v_add_co_u32 v8, vcc_lo, s4, v0
	s_delay_alu instid0(VALU_DEP_2) | instskip(SKIP_3) | instid1(SALU_CYCLE_1)
	v_add_co_ci_u32_e32 v9, vcc_lo, s5, v1, vcc_lo
	v_mov_b32_e32 v0, v3
	global_store_b16 v[8:9], v7, off
	s_or_b32 exec_lo, exec_lo, s0
	s_mov_b32 s0, exec_lo
	v_cmpx_gt_i32_e64 s1, v0
	s_cbranch_execz .LBB451_21
.LBB451_30:
	v_dual_mov_b32 v2, 0 :: v_dual_add_nc_u32 v1, s2, v0
	v_add_nc_u32_e32 v0, 0x100, v0
	s_delay_alu instid0(VALU_DEP_2) | instskip(NEXT) | instid1(VALU_DEP_1)
	v_lshlrev_b64 v[1:2], 1, v[1:2]
	v_add_co_u32 v1, vcc_lo, s4, v1
	s_delay_alu instid0(VALU_DEP_2) | instskip(SKIP_2) | instid1(SALU_CYCLE_1)
	v_add_co_ci_u32_e32 v2, vcc_lo, s5, v2, vcc_lo
	global_store_d16_hi_b16 v[1:2], v7, off
	s_or_b32 exec_lo, exec_lo, s0
	s_mov_b32 s0, exec_lo
	v_cmpx_gt_i32_e64 s1, v0
	s_cbranch_execz .LBB451_22
.LBB451_31:
	v_dual_mov_b32 v2, 0 :: v_dual_add_nc_u32 v1, s2, v0
	v_add_nc_u32_e32 v0, 0x100, v0
	s_delay_alu instid0(VALU_DEP_2) | instskip(NEXT) | instid1(VALU_DEP_1)
	v_lshlrev_b64 v[1:2], 1, v[1:2]
	v_add_co_u32 v1, vcc_lo, s4, v1
	s_delay_alu instid0(VALU_DEP_2) | instskip(SKIP_2) | instid1(SALU_CYCLE_1)
	v_add_co_ci_u32_e32 v2, vcc_lo, s5, v2, vcc_lo
	global_store_b16 v[1:2], v6, off
	s_or_b32 exec_lo, exec_lo, s0
	s_mov_b32 s0, exec_lo
	v_cmpx_gt_i32_e64 s1, v0
	s_cbranch_execz .LBB451_23
.LBB451_32:
	v_dual_mov_b32 v2, 0 :: v_dual_add_nc_u32 v1, s2, v0
	v_add_nc_u32_e32 v0, 0x100, v0
	s_delay_alu instid0(VALU_DEP_2) | instskip(NEXT) | instid1(VALU_DEP_1)
	v_lshlrev_b64 v[1:2], 1, v[1:2]
	v_add_co_u32 v1, vcc_lo, s4, v1
	s_delay_alu instid0(VALU_DEP_2) | instskip(SKIP_2) | instid1(SALU_CYCLE_1)
	v_add_co_ci_u32_e32 v2, vcc_lo, s5, v2, vcc_lo
	global_store_d16_hi_b16 v[1:2], v6, off
	s_or_b32 exec_lo, exec_lo, s0
	s_mov_b32 s0, exec_lo
	v_cmpx_gt_i32_e64 s1, v0
	s_cbranch_execz .LBB451_24
.LBB451_33:
	v_dual_mov_b32 v2, 0 :: v_dual_add_nc_u32 v1, s2, v0
	v_add_nc_u32_e32 v0, 0x100, v0
	s_delay_alu instid0(VALU_DEP_2) | instskip(NEXT) | instid1(VALU_DEP_1)
	v_lshlrev_b64 v[1:2], 1, v[1:2]
	v_add_co_u32 v1, vcc_lo, s4, v1
	s_delay_alu instid0(VALU_DEP_2) | instskip(SKIP_2) | instid1(SALU_CYCLE_1)
	v_add_co_ci_u32_e32 v2, vcc_lo, s5, v2, vcc_lo
	global_store_b16 v[1:2], v5, off
	s_or_b32 exec_lo, exec_lo, s0
	s_mov_b32 s0, exec_lo
	v_cmpx_gt_i32_e64 s1, v0
	s_cbranch_execz .LBB451_25
.LBB451_34:
	v_dual_mov_b32 v2, 0 :: v_dual_add_nc_u32 v1, s2, v0
	v_add_nc_u32_e32 v0, 0x100, v0
	s_delay_alu instid0(VALU_DEP_2) | instskip(NEXT) | instid1(VALU_DEP_1)
	v_lshlrev_b64 v[1:2], 1, v[1:2]
	v_add_co_u32 v1, vcc_lo, s4, v1
	s_delay_alu instid0(VALU_DEP_2) | instskip(SKIP_2) | instid1(SALU_CYCLE_1)
	v_add_co_ci_u32_e32 v2, vcc_lo, s5, v2, vcc_lo
	global_store_d16_hi_b16 v[1:2], v5, off
	s_or_b32 exec_lo, exec_lo, s0
	s_mov_b32 s0, exec_lo
	v_cmpx_gt_i32_e64 s1, v0
	s_cbranch_execz .LBB451_26
.LBB451_35:
	v_dual_mov_b32 v2, 0 :: v_dual_add_nc_u32 v1, s2, v0
	v_add_nc_u32_e32 v0, 0x100, v0
	s_delay_alu instid0(VALU_DEP_2) | instskip(NEXT) | instid1(VALU_DEP_1)
	v_lshlrev_b64 v[1:2], 1, v[1:2]
	v_add_co_u32 v1, vcc_lo, s4, v1
	s_delay_alu instid0(VALU_DEP_2) | instskip(SKIP_2) | instid1(SALU_CYCLE_1)
	v_add_co_ci_u32_e32 v2, vcc_lo, s5, v2, vcc_lo
	global_store_b16 v[1:2], v4, off
	s_or_b32 exec_lo, exec_lo, s0
	s_mov_b32 s0, exec_lo
	v_cmpx_gt_i32_e64 s1, v0
	s_cbranch_execnz .LBB451_27
	s_branch .LBB451_28
	.section	.rodata,"a",@progbits
	.p2align	6, 0x0
	.amdhsa_kernel _ZN2at6native29vectorized_elementwise_kernelILi8EZZZNS0_21clamp_max_kernel_cudaERNS_18TensorIteratorBaseERKN3c106ScalarEENKUlvE_clEvENKUlvE3_clEvEUlsE_St5arrayIPcLm2EEEEviT0_T1_
		.amdhsa_group_segment_fixed_size 0
		.amdhsa_private_segment_fixed_size 0
		.amdhsa_kernarg_size 24
		.amdhsa_user_sgpr_count 15
		.amdhsa_user_sgpr_dispatch_ptr 0
		.amdhsa_user_sgpr_queue_ptr 0
		.amdhsa_user_sgpr_kernarg_segment_ptr 1
		.amdhsa_user_sgpr_dispatch_id 0
		.amdhsa_user_sgpr_private_segment_size 0
		.amdhsa_wavefront_size32 1
		.amdhsa_uses_dynamic_stack 0
		.amdhsa_enable_private_segment 0
		.amdhsa_system_sgpr_workgroup_id_x 1
		.amdhsa_system_sgpr_workgroup_id_y 0
		.amdhsa_system_sgpr_workgroup_id_z 0
		.amdhsa_system_sgpr_workgroup_info 0
		.amdhsa_system_vgpr_workitem_id 0
		.amdhsa_next_free_vgpr 15
		.amdhsa_next_free_sgpr 16
		.amdhsa_reserve_vcc 1
		.amdhsa_float_round_mode_32 0
		.amdhsa_float_round_mode_16_64 0
		.amdhsa_float_denorm_mode_32 3
		.amdhsa_float_denorm_mode_16_64 3
		.amdhsa_dx10_clamp 1
		.amdhsa_ieee_mode 1
		.amdhsa_fp16_overflow 0
		.amdhsa_workgroup_processor_mode 1
		.amdhsa_memory_ordered 1
		.amdhsa_forward_progress 0
		.amdhsa_shared_vgpr_count 0
		.amdhsa_exception_fp_ieee_invalid_op 0
		.amdhsa_exception_fp_denorm_src 0
		.amdhsa_exception_fp_ieee_div_zero 0
		.amdhsa_exception_fp_ieee_overflow 0
		.amdhsa_exception_fp_ieee_underflow 0
		.amdhsa_exception_fp_ieee_inexact 0
		.amdhsa_exception_int_div_zero 0
	.end_amdhsa_kernel
	.section	.text._ZN2at6native29vectorized_elementwise_kernelILi8EZZZNS0_21clamp_max_kernel_cudaERNS_18TensorIteratorBaseERKN3c106ScalarEENKUlvE_clEvENKUlvE3_clEvEUlsE_St5arrayIPcLm2EEEEviT0_T1_,"axG",@progbits,_ZN2at6native29vectorized_elementwise_kernelILi8EZZZNS0_21clamp_max_kernel_cudaERNS_18TensorIteratorBaseERKN3c106ScalarEENKUlvE_clEvENKUlvE3_clEvEUlsE_St5arrayIPcLm2EEEEviT0_T1_,comdat
.Lfunc_end451:
	.size	_ZN2at6native29vectorized_elementwise_kernelILi8EZZZNS0_21clamp_max_kernel_cudaERNS_18TensorIteratorBaseERKN3c106ScalarEENKUlvE_clEvENKUlvE3_clEvEUlsE_St5arrayIPcLm2EEEEviT0_T1_, .Lfunc_end451-_ZN2at6native29vectorized_elementwise_kernelILi8EZZZNS0_21clamp_max_kernel_cudaERNS_18TensorIteratorBaseERKN3c106ScalarEENKUlvE_clEvENKUlvE3_clEvEUlsE_St5arrayIPcLm2EEEEviT0_T1_
                                        ; -- End function
	.section	.AMDGPU.csdata,"",@progbits
; Kernel info:
; codeLenInByte = 1860
; NumSgprs: 18
; NumVgprs: 15
; ScratchSize: 0
; MemoryBound: 0
; FloatMode: 240
; IeeeMode: 1
; LDSByteSize: 0 bytes/workgroup (compile time only)
; SGPRBlocks: 2
; VGPRBlocks: 1
; NumSGPRsForWavesPerEU: 18
; NumVGPRsForWavesPerEU: 15
; Occupancy: 16
; WaveLimiterHint : 0
; COMPUTE_PGM_RSRC2:SCRATCH_EN: 0
; COMPUTE_PGM_RSRC2:USER_SGPR: 15
; COMPUTE_PGM_RSRC2:TRAP_HANDLER: 0
; COMPUTE_PGM_RSRC2:TGID_X_EN: 1
; COMPUTE_PGM_RSRC2:TGID_Y_EN: 0
; COMPUTE_PGM_RSRC2:TGID_Z_EN: 0
; COMPUTE_PGM_RSRC2:TIDIG_COMP_CNT: 0
	.section	.text._ZN2at6native29vectorized_elementwise_kernelILi4EZZZNS0_21clamp_max_kernel_cudaERNS_18TensorIteratorBaseERKN3c106ScalarEENKUlvE_clEvENKUlvE3_clEvEUlsE_St5arrayIPcLm2EEEEviT0_T1_,"axG",@progbits,_ZN2at6native29vectorized_elementwise_kernelILi4EZZZNS0_21clamp_max_kernel_cudaERNS_18TensorIteratorBaseERKN3c106ScalarEENKUlvE_clEvENKUlvE3_clEvEUlsE_St5arrayIPcLm2EEEEviT0_T1_,comdat
	.globl	_ZN2at6native29vectorized_elementwise_kernelILi4EZZZNS0_21clamp_max_kernel_cudaERNS_18TensorIteratorBaseERKN3c106ScalarEENKUlvE_clEvENKUlvE3_clEvEUlsE_St5arrayIPcLm2EEEEviT0_T1_ ; -- Begin function _ZN2at6native29vectorized_elementwise_kernelILi4EZZZNS0_21clamp_max_kernel_cudaERNS_18TensorIteratorBaseERKN3c106ScalarEENKUlvE_clEvENKUlvE3_clEvEUlsE_St5arrayIPcLm2EEEEviT0_T1_
	.p2align	8
	.type	_ZN2at6native29vectorized_elementwise_kernelILi4EZZZNS0_21clamp_max_kernel_cudaERNS_18TensorIteratorBaseERKN3c106ScalarEENKUlvE_clEvENKUlvE3_clEvEUlsE_St5arrayIPcLm2EEEEviT0_T1_,@function
_ZN2at6native29vectorized_elementwise_kernelILi4EZZZNS0_21clamp_max_kernel_cudaERNS_18TensorIteratorBaseERKN3c106ScalarEENKUlvE_clEvENKUlvE3_clEvEUlsE_St5arrayIPcLm2EEEEviT0_T1_: ; @_ZN2at6native29vectorized_elementwise_kernelILi4EZZZNS0_21clamp_max_kernel_cudaERNS_18TensorIteratorBaseERKN3c106ScalarEENKUlvE_clEvENKUlvE3_clEvEUlsE_St5arrayIPcLm2EEEEviT0_T1_
; %bb.0:
	s_clause 0x1
	s_load_b64 s[8:9], s[0:1], 0x0
	s_load_b128 s[4:7], s[0:1], 0x8
	s_lshl_b32 s2, s15, 11
	s_mov_b32 s0, -1
	s_waitcnt lgkmcnt(0)
	s_sub_i32 s1, s8, s2
	s_delay_alu instid0(SALU_CYCLE_1)
	s_cmpk_gt_i32 s1, 0x7ff
	s_cbranch_scc0 .LBB452_2
; %bb.1:
	s_ashr_i32 s3, s2, 31
	v_lshlrev_b32_e32 v5, 3, v0
	s_lshl_b64 s[10:11], s[2:3], 1
	s_mov_b32 s0, 0
	s_add_u32 s12, s6, s10
	s_addc_u32 s13, s7, s11
	s_add_u32 s10, s4, s10
	s_clause 0x1
	global_load_b64 v[1:2], v5, s[12:13]
	global_load_b64 v[3:4], v5, s[12:13] offset:2048
	s_addc_u32 s11, s5, s11
	s_waitcnt vmcnt(1)
	v_lshrrev_b32_e32 v6, 16, v1
	v_lshrrev_b32_e32 v7, 16, v2
	s_waitcnt vmcnt(0)
	v_lshrrev_b32_e32 v8, 16, v3
	v_lshrrev_b32_e32 v9, 16, v4
	v_min_i16 v1, v1, s9
	v_min_i16 v2, v2, s9
	;; [unrolled: 1-line block ×8, first 2 shown]
	v_and_b32_e32 v2, 0xffff, v2
	v_and_b32_e32 v1, 0xffff, v1
	v_lshlrev_b32_e32 v7, 16, v7
	v_lshlrev_b32_e32 v6, 16, v6
	v_and_b32_e32 v4, 0xffff, v4
	v_and_b32_e32 v3, 0xffff, v3
	v_lshlrev_b32_e32 v9, 16, v9
	v_lshlrev_b32_e32 v8, 16, v8
	v_or_b32_e32 v2, v7, v2
	v_or_b32_e32 v1, v6, v1
	s_delay_alu instid0(VALU_DEP_4) | instskip(NEXT) | instid1(VALU_DEP_4)
	v_or_b32_e32 v4, v9, v4
	v_or_b32_e32 v3, v8, v3
	s_clause 0x1
	global_store_b64 v5, v[1:2], s[10:11]
	global_store_b64 v5, v[3:4], s[10:11] offset:2048
.LBB452_2:
	s_and_not1_b32 vcc_lo, exec_lo, s0
	s_cbranch_vccnz .LBB452_28
; %bb.3:
	v_cmp_gt_i32_e32 vcc_lo, s1, v0
	v_dual_mov_b32 v4, 0 :: v_dual_mov_b32 v5, v0
	v_or_b32_e32 v1, s2, v0
	v_or_b32_e32 v3, 0x100, v0
	v_mov_b32_e32 v2, 0
	s_and_saveexec_b32 s3, vcc_lo
	s_cbranch_execz .LBB452_5
; %bb.4:
	v_mov_b32_e32 v2, 0
	s_delay_alu instid0(VALU_DEP_1) | instskip(NEXT) | instid1(VALU_DEP_1)
	v_lshlrev_b64 v[5:6], 1, v[1:2]
	v_add_co_u32 v5, s0, s6, v5
	s_delay_alu instid0(VALU_DEP_1)
	v_add_co_ci_u32_e64 v6, s0, s7, v6, s0
	global_load_u16 v2, v[5:6], off
	v_or_b32_e32 v5, 0x100, v0
.LBB452_5:
	s_or_b32 exec_lo, exec_lo, s3
	s_delay_alu instid0(SALU_CYCLE_1) | instskip(NEXT) | instid1(VALU_DEP_1)
	s_mov_b32 s3, exec_lo
	v_cmpx_gt_i32_e64 s1, v5
	s_cbranch_execz .LBB452_7
; %bb.6:
	v_dual_mov_b32 v7, 0 :: v_dual_add_nc_u32 v6, s2, v5
	v_add_nc_u32_e32 v5, 0x100, v5
	s_delay_alu instid0(VALU_DEP_2) | instskip(NEXT) | instid1(VALU_DEP_1)
	v_lshlrev_b64 v[6:7], 1, v[6:7]
	v_add_co_u32 v6, s0, s6, v6
	s_delay_alu instid0(VALU_DEP_1)
	v_add_co_ci_u32_e64 v7, s0, s7, v7, s0
	global_load_u16 v4, v[6:7], off
.LBB452_7:
	s_or_b32 exec_lo, exec_lo, s3
	v_dual_mov_b32 v6, 0 :: v_dual_mov_b32 v7, 0
	s_mov_b32 s3, exec_lo
	v_cmpx_gt_i32_e64 s1, v5
	s_cbranch_execz .LBB452_9
; %bb.8:
	v_dual_mov_b32 v8, 0 :: v_dual_add_nc_u32 v7, s2, v5
	v_add_nc_u32_e32 v5, 0x100, v5
	s_delay_alu instid0(VALU_DEP_2) | instskip(NEXT) | instid1(VALU_DEP_1)
	v_lshlrev_b64 v[7:8], 1, v[7:8]
	v_add_co_u32 v7, s0, s6, v7
	s_delay_alu instid0(VALU_DEP_1)
	v_add_co_ci_u32_e64 v8, s0, s7, v8, s0
	global_load_u16 v7, v[7:8], off
.LBB452_9:
	s_or_b32 exec_lo, exec_lo, s3
	s_delay_alu instid0(SALU_CYCLE_1)
	s_mov_b32 s3, exec_lo
	v_cmpx_gt_i32_e64 s1, v5
	s_cbranch_execz .LBB452_11
; %bb.10:
	v_dual_mov_b32 v9, 0 :: v_dual_add_nc_u32 v8, s2, v5
	v_add_nc_u32_e32 v5, 0x100, v5
	s_delay_alu instid0(VALU_DEP_2) | instskip(NEXT) | instid1(VALU_DEP_1)
	v_lshlrev_b64 v[8:9], 1, v[8:9]
	v_add_co_u32 v8, s0, s6, v8
	s_delay_alu instid0(VALU_DEP_1)
	v_add_co_ci_u32_e64 v9, s0, s7, v9, s0
	global_load_u16 v6, v[8:9], off
.LBB452_11:
	s_or_b32 exec_lo, exec_lo, s3
	v_dual_mov_b32 v8, 0 :: v_dual_mov_b32 v9, 0
	s_mov_b32 s3, exec_lo
	v_cmpx_gt_i32_e64 s1, v5
	s_cbranch_execz .LBB452_13
; %bb.12:
	v_dual_mov_b32 v10, 0 :: v_dual_add_nc_u32 v9, s2, v5
	v_add_nc_u32_e32 v5, 0x100, v5
	s_delay_alu instid0(VALU_DEP_2) | instskip(NEXT) | instid1(VALU_DEP_1)
	v_lshlrev_b64 v[9:10], 1, v[9:10]
	v_add_co_u32 v9, s0, s6, v9
	s_delay_alu instid0(VALU_DEP_1)
	v_add_co_ci_u32_e64 v10, s0, s7, v10, s0
	global_load_u16 v9, v[9:10], off
.LBB452_13:
	s_or_b32 exec_lo, exec_lo, s3
	s_delay_alu instid0(SALU_CYCLE_1)
	;; [unrolled: 30-line block ×3, first 2 shown]
	s_mov_b32 s3, exec_lo
	v_cmpx_gt_i32_e64 s1, v5
	s_cbranch_execz .LBB452_19
; %bb.18:
	v_dual_mov_b32 v13, 0 :: v_dual_add_nc_u32 v12, s2, v5
	s_delay_alu instid0(VALU_DEP_1) | instskip(NEXT) | instid1(VALU_DEP_1)
	v_lshlrev_b64 v[12:13], 1, v[12:13]
	v_add_co_u32 v12, s0, s6, v12
	s_delay_alu instid0(VALU_DEP_1)
	v_add_co_ci_u32_e64 v13, s0, s7, v13, s0
	global_load_u16 v10, v[12:13], off
.LBB452_19:
	s_or_b32 exec_lo, exec_lo, s3
	s_waitcnt vmcnt(0)
	v_min_i16 v2, v2, s9
	v_min_i16 v4, v4, s9
	;; [unrolled: 1-line block ×3, first 2 shown]
	v_or_b32_e32 v12, 0x300, v0
	v_min_i16 v6, v6, s9
	v_cmp_gt_i32_e64 s0, s1, v3
	v_perm_b32 v4, v4, v2, 0x5040100
	v_min_i16 v9, v9, s9
	v_min_i16 v8, v8, s9
	v_and_b32_e32 v13, 0xffff, v5
	v_or_b32_e32 v14, 0x700, v0
	v_cndmask_b32_e64 v7, v2, v4, s0
	v_perm_b32 v4, v6, v5, 0x5040100
	v_min_i16 v5, v10, s9
	v_or_b32_e32 v10, 0x500, v0
	v_cmp_gt_i32_e64 s0, s1, v12
	v_min_i16 v2, v11, s9
	v_perm_b32 v8, v8, v9, 0x5040100
	s_delay_alu instid0(VALU_DEP_3) | instskip(SKIP_1) | instid1(VALU_DEP_4)
	v_cndmask_b32_e64 v6, v13, v4, s0
	v_cmp_gt_i32_e64 s0, s1, v10
	v_and_b32_e32 v11, 0xffff, v2
	v_perm_b32 v2, v5, v2, 0x5040100
	s_delay_alu instid0(VALU_DEP_3) | instskip(SKIP_1) | instid1(VALU_DEP_1)
	v_cndmask_b32_e64 v5, v9, v8, s0
	v_cmp_gt_i32_e64 s0, s1, v14
	v_cndmask_b32_e64 v4, v11, v2, s0
	s_and_saveexec_b32 s0, vcc_lo
	s_cbranch_execnz .LBB452_29
; %bb.20:
	s_or_b32 exec_lo, exec_lo, s0
	s_delay_alu instid0(SALU_CYCLE_1)
	s_mov_b32 s0, exec_lo
	v_cmpx_gt_i32_e64 s1, v0
	s_cbranch_execnz .LBB452_30
.LBB452_21:
	s_or_b32 exec_lo, exec_lo, s0
	s_delay_alu instid0(SALU_CYCLE_1)
	s_mov_b32 s0, exec_lo
	v_cmpx_gt_i32_e64 s1, v0
	s_cbranch_execnz .LBB452_31
.LBB452_22:
	s_or_b32 exec_lo, exec_lo, s0
	s_delay_alu instid0(SALU_CYCLE_1)
	s_mov_b32 s0, exec_lo
	v_cmpx_gt_i32_e64 s1, v0
	s_cbranch_execnz .LBB452_32
.LBB452_23:
	s_or_b32 exec_lo, exec_lo, s0
	s_delay_alu instid0(SALU_CYCLE_1)
	s_mov_b32 s0, exec_lo
	v_cmpx_gt_i32_e64 s1, v0
	s_cbranch_execnz .LBB452_33
.LBB452_24:
	s_or_b32 exec_lo, exec_lo, s0
	s_delay_alu instid0(SALU_CYCLE_1)
	s_mov_b32 s0, exec_lo
	v_cmpx_gt_i32_e64 s1, v0
	s_cbranch_execnz .LBB452_34
.LBB452_25:
	s_or_b32 exec_lo, exec_lo, s0
	s_delay_alu instid0(SALU_CYCLE_1)
	s_mov_b32 s0, exec_lo
	v_cmpx_gt_i32_e64 s1, v0
	s_cbranch_execnz .LBB452_35
.LBB452_26:
	s_or_b32 exec_lo, exec_lo, s0
	s_delay_alu instid0(SALU_CYCLE_1)
	s_mov_b32 s0, exec_lo
	v_cmpx_gt_i32_e64 s1, v0
	s_cbranch_execz .LBB452_28
.LBB452_27:
	v_dual_mov_b32 v1, 0 :: v_dual_add_nc_u32 v0, s2, v0
	s_delay_alu instid0(VALU_DEP_1) | instskip(NEXT) | instid1(VALU_DEP_1)
	v_lshlrev_b64 v[0:1], 1, v[0:1]
	v_add_co_u32 v0, vcc_lo, s4, v0
	s_delay_alu instid0(VALU_DEP_2)
	v_add_co_ci_u32_e32 v1, vcc_lo, s5, v1, vcc_lo
	global_store_d16_hi_b16 v[0:1], v4, off
.LBB452_28:
	s_nop 0
	s_sendmsg sendmsg(MSG_DEALLOC_VGPRS)
	s_endpgm
.LBB452_29:
	v_mov_b32_e32 v2, 0
	s_delay_alu instid0(VALU_DEP_1) | instskip(NEXT) | instid1(VALU_DEP_1)
	v_lshlrev_b64 v[0:1], 1, v[1:2]
	v_add_co_u32 v8, vcc_lo, s4, v0
	s_delay_alu instid0(VALU_DEP_2) | instskip(SKIP_3) | instid1(SALU_CYCLE_1)
	v_add_co_ci_u32_e32 v9, vcc_lo, s5, v1, vcc_lo
	v_mov_b32_e32 v0, v3
	global_store_b16 v[8:9], v7, off
	s_or_b32 exec_lo, exec_lo, s0
	s_mov_b32 s0, exec_lo
	v_cmpx_gt_i32_e64 s1, v0
	s_cbranch_execz .LBB452_21
.LBB452_30:
	v_dual_mov_b32 v2, 0 :: v_dual_add_nc_u32 v1, s2, v0
	v_add_nc_u32_e32 v0, 0x100, v0
	s_delay_alu instid0(VALU_DEP_2) | instskip(NEXT) | instid1(VALU_DEP_1)
	v_lshlrev_b64 v[1:2], 1, v[1:2]
	v_add_co_u32 v1, vcc_lo, s4, v1
	s_delay_alu instid0(VALU_DEP_2) | instskip(SKIP_2) | instid1(SALU_CYCLE_1)
	v_add_co_ci_u32_e32 v2, vcc_lo, s5, v2, vcc_lo
	global_store_d16_hi_b16 v[1:2], v7, off
	s_or_b32 exec_lo, exec_lo, s0
	s_mov_b32 s0, exec_lo
	v_cmpx_gt_i32_e64 s1, v0
	s_cbranch_execz .LBB452_22
.LBB452_31:
	v_dual_mov_b32 v2, 0 :: v_dual_add_nc_u32 v1, s2, v0
	v_add_nc_u32_e32 v0, 0x100, v0
	s_delay_alu instid0(VALU_DEP_2) | instskip(NEXT) | instid1(VALU_DEP_1)
	v_lshlrev_b64 v[1:2], 1, v[1:2]
	v_add_co_u32 v1, vcc_lo, s4, v1
	s_delay_alu instid0(VALU_DEP_2) | instskip(SKIP_2) | instid1(SALU_CYCLE_1)
	v_add_co_ci_u32_e32 v2, vcc_lo, s5, v2, vcc_lo
	global_store_b16 v[1:2], v6, off
	s_or_b32 exec_lo, exec_lo, s0
	s_mov_b32 s0, exec_lo
	v_cmpx_gt_i32_e64 s1, v0
	s_cbranch_execz .LBB452_23
.LBB452_32:
	v_dual_mov_b32 v2, 0 :: v_dual_add_nc_u32 v1, s2, v0
	v_add_nc_u32_e32 v0, 0x100, v0
	s_delay_alu instid0(VALU_DEP_2) | instskip(NEXT) | instid1(VALU_DEP_1)
	v_lshlrev_b64 v[1:2], 1, v[1:2]
	v_add_co_u32 v1, vcc_lo, s4, v1
	s_delay_alu instid0(VALU_DEP_2) | instskip(SKIP_2) | instid1(SALU_CYCLE_1)
	v_add_co_ci_u32_e32 v2, vcc_lo, s5, v2, vcc_lo
	global_store_d16_hi_b16 v[1:2], v6, off
	s_or_b32 exec_lo, exec_lo, s0
	s_mov_b32 s0, exec_lo
	v_cmpx_gt_i32_e64 s1, v0
	s_cbranch_execz .LBB452_24
.LBB452_33:
	v_dual_mov_b32 v2, 0 :: v_dual_add_nc_u32 v1, s2, v0
	v_add_nc_u32_e32 v0, 0x100, v0
	s_delay_alu instid0(VALU_DEP_2) | instskip(NEXT) | instid1(VALU_DEP_1)
	v_lshlrev_b64 v[1:2], 1, v[1:2]
	v_add_co_u32 v1, vcc_lo, s4, v1
	s_delay_alu instid0(VALU_DEP_2) | instskip(SKIP_2) | instid1(SALU_CYCLE_1)
	v_add_co_ci_u32_e32 v2, vcc_lo, s5, v2, vcc_lo
	global_store_b16 v[1:2], v5, off
	s_or_b32 exec_lo, exec_lo, s0
	s_mov_b32 s0, exec_lo
	v_cmpx_gt_i32_e64 s1, v0
	s_cbranch_execz .LBB452_25
.LBB452_34:
	v_dual_mov_b32 v2, 0 :: v_dual_add_nc_u32 v1, s2, v0
	v_add_nc_u32_e32 v0, 0x100, v0
	s_delay_alu instid0(VALU_DEP_2) | instskip(NEXT) | instid1(VALU_DEP_1)
	v_lshlrev_b64 v[1:2], 1, v[1:2]
	v_add_co_u32 v1, vcc_lo, s4, v1
	s_delay_alu instid0(VALU_DEP_2) | instskip(SKIP_2) | instid1(SALU_CYCLE_1)
	v_add_co_ci_u32_e32 v2, vcc_lo, s5, v2, vcc_lo
	global_store_d16_hi_b16 v[1:2], v5, off
	s_or_b32 exec_lo, exec_lo, s0
	s_mov_b32 s0, exec_lo
	v_cmpx_gt_i32_e64 s1, v0
	s_cbranch_execz .LBB452_26
.LBB452_35:
	v_dual_mov_b32 v2, 0 :: v_dual_add_nc_u32 v1, s2, v0
	v_add_nc_u32_e32 v0, 0x100, v0
	s_delay_alu instid0(VALU_DEP_2) | instskip(NEXT) | instid1(VALU_DEP_1)
	v_lshlrev_b64 v[1:2], 1, v[1:2]
	v_add_co_u32 v1, vcc_lo, s4, v1
	s_delay_alu instid0(VALU_DEP_2) | instskip(SKIP_2) | instid1(SALU_CYCLE_1)
	v_add_co_ci_u32_e32 v2, vcc_lo, s5, v2, vcc_lo
	global_store_b16 v[1:2], v4, off
	s_or_b32 exec_lo, exec_lo, s0
	s_mov_b32 s0, exec_lo
	v_cmpx_gt_i32_e64 s1, v0
	s_cbranch_execnz .LBB452_27
	s_branch .LBB452_28
	.section	.rodata,"a",@progbits
	.p2align	6, 0x0
	.amdhsa_kernel _ZN2at6native29vectorized_elementwise_kernelILi4EZZZNS0_21clamp_max_kernel_cudaERNS_18TensorIteratorBaseERKN3c106ScalarEENKUlvE_clEvENKUlvE3_clEvEUlsE_St5arrayIPcLm2EEEEviT0_T1_
		.amdhsa_group_segment_fixed_size 0
		.amdhsa_private_segment_fixed_size 0
		.amdhsa_kernarg_size 24
		.amdhsa_user_sgpr_count 15
		.amdhsa_user_sgpr_dispatch_ptr 0
		.amdhsa_user_sgpr_queue_ptr 0
		.amdhsa_user_sgpr_kernarg_segment_ptr 1
		.amdhsa_user_sgpr_dispatch_id 0
		.amdhsa_user_sgpr_private_segment_size 0
		.amdhsa_wavefront_size32 1
		.amdhsa_uses_dynamic_stack 0
		.amdhsa_enable_private_segment 0
		.amdhsa_system_sgpr_workgroup_id_x 1
		.amdhsa_system_sgpr_workgroup_id_y 0
		.amdhsa_system_sgpr_workgroup_id_z 0
		.amdhsa_system_sgpr_workgroup_info 0
		.amdhsa_system_vgpr_workitem_id 0
		.amdhsa_next_free_vgpr 15
		.amdhsa_next_free_sgpr 16
		.amdhsa_reserve_vcc 1
		.amdhsa_float_round_mode_32 0
		.amdhsa_float_round_mode_16_64 0
		.amdhsa_float_denorm_mode_32 3
		.amdhsa_float_denorm_mode_16_64 3
		.amdhsa_dx10_clamp 1
		.amdhsa_ieee_mode 1
		.amdhsa_fp16_overflow 0
		.amdhsa_workgroup_processor_mode 1
		.amdhsa_memory_ordered 1
		.amdhsa_forward_progress 0
		.amdhsa_shared_vgpr_count 0
		.amdhsa_exception_fp_ieee_invalid_op 0
		.amdhsa_exception_fp_denorm_src 0
		.amdhsa_exception_fp_ieee_div_zero 0
		.amdhsa_exception_fp_ieee_overflow 0
		.amdhsa_exception_fp_ieee_underflow 0
		.amdhsa_exception_fp_ieee_inexact 0
		.amdhsa_exception_int_div_zero 0
	.end_amdhsa_kernel
	.section	.text._ZN2at6native29vectorized_elementwise_kernelILi4EZZZNS0_21clamp_max_kernel_cudaERNS_18TensorIteratorBaseERKN3c106ScalarEENKUlvE_clEvENKUlvE3_clEvEUlsE_St5arrayIPcLm2EEEEviT0_T1_,"axG",@progbits,_ZN2at6native29vectorized_elementwise_kernelILi4EZZZNS0_21clamp_max_kernel_cudaERNS_18TensorIteratorBaseERKN3c106ScalarEENKUlvE_clEvENKUlvE3_clEvEUlsE_St5arrayIPcLm2EEEEviT0_T1_,comdat
.Lfunc_end452:
	.size	_ZN2at6native29vectorized_elementwise_kernelILi4EZZZNS0_21clamp_max_kernel_cudaERNS_18TensorIteratorBaseERKN3c106ScalarEENKUlvE_clEvENKUlvE3_clEvEUlsE_St5arrayIPcLm2EEEEviT0_T1_, .Lfunc_end452-_ZN2at6native29vectorized_elementwise_kernelILi4EZZZNS0_21clamp_max_kernel_cudaERNS_18TensorIteratorBaseERKN3c106ScalarEENKUlvE_clEvENKUlvE3_clEvEUlsE_St5arrayIPcLm2EEEEviT0_T1_
                                        ; -- End function
	.section	.AMDGPU.csdata,"",@progbits
; Kernel info:
; codeLenInByte = 1900
; NumSgprs: 18
; NumVgprs: 15
; ScratchSize: 0
; MemoryBound: 0
; FloatMode: 240
; IeeeMode: 1
; LDSByteSize: 0 bytes/workgroup (compile time only)
; SGPRBlocks: 2
; VGPRBlocks: 1
; NumSGPRsForWavesPerEU: 18
; NumVGPRsForWavesPerEU: 15
; Occupancy: 16
; WaveLimiterHint : 1
; COMPUTE_PGM_RSRC2:SCRATCH_EN: 0
; COMPUTE_PGM_RSRC2:USER_SGPR: 15
; COMPUTE_PGM_RSRC2:TRAP_HANDLER: 0
; COMPUTE_PGM_RSRC2:TGID_X_EN: 1
; COMPUTE_PGM_RSRC2:TGID_Y_EN: 0
; COMPUTE_PGM_RSRC2:TGID_Z_EN: 0
; COMPUTE_PGM_RSRC2:TIDIG_COMP_CNT: 0
	.section	.text._ZN2at6native29vectorized_elementwise_kernelILi2EZZZNS0_21clamp_max_kernel_cudaERNS_18TensorIteratorBaseERKN3c106ScalarEENKUlvE_clEvENKUlvE3_clEvEUlsE_St5arrayIPcLm2EEEEviT0_T1_,"axG",@progbits,_ZN2at6native29vectorized_elementwise_kernelILi2EZZZNS0_21clamp_max_kernel_cudaERNS_18TensorIteratorBaseERKN3c106ScalarEENKUlvE_clEvENKUlvE3_clEvEUlsE_St5arrayIPcLm2EEEEviT0_T1_,comdat
	.globl	_ZN2at6native29vectorized_elementwise_kernelILi2EZZZNS0_21clamp_max_kernel_cudaERNS_18TensorIteratorBaseERKN3c106ScalarEENKUlvE_clEvENKUlvE3_clEvEUlsE_St5arrayIPcLm2EEEEviT0_T1_ ; -- Begin function _ZN2at6native29vectorized_elementwise_kernelILi2EZZZNS0_21clamp_max_kernel_cudaERNS_18TensorIteratorBaseERKN3c106ScalarEENKUlvE_clEvENKUlvE3_clEvEUlsE_St5arrayIPcLm2EEEEviT0_T1_
	.p2align	8
	.type	_ZN2at6native29vectorized_elementwise_kernelILi2EZZZNS0_21clamp_max_kernel_cudaERNS_18TensorIteratorBaseERKN3c106ScalarEENKUlvE_clEvENKUlvE3_clEvEUlsE_St5arrayIPcLm2EEEEviT0_T1_,@function
_ZN2at6native29vectorized_elementwise_kernelILi2EZZZNS0_21clamp_max_kernel_cudaERNS_18TensorIteratorBaseERKN3c106ScalarEENKUlvE_clEvENKUlvE3_clEvEUlsE_St5arrayIPcLm2EEEEviT0_T1_: ; @_ZN2at6native29vectorized_elementwise_kernelILi2EZZZNS0_21clamp_max_kernel_cudaERNS_18TensorIteratorBaseERKN3c106ScalarEENKUlvE_clEvENKUlvE3_clEvEUlsE_St5arrayIPcLm2EEEEviT0_T1_
; %bb.0:
	s_clause 0x1
	s_load_b64 s[8:9], s[0:1], 0x0
	s_load_b128 s[4:7], s[0:1], 0x8
	s_lshl_b32 s2, s15, 11
	s_mov_b32 s0, -1
	s_waitcnt lgkmcnt(0)
	s_sub_i32 s1, s8, s2
	s_delay_alu instid0(SALU_CYCLE_1)
	s_cmpk_gt_i32 s1, 0x7ff
	s_cbranch_scc0 .LBB453_2
; %bb.1:
	s_ashr_i32 s3, s2, 31
	v_lshlrev_b32_e32 v1, 2, v0
	s_lshl_b64 s[10:11], s[2:3], 1
	s_mov_b32 s0, 0
	s_add_u32 s12, s6, s10
	s_addc_u32 s13, s7, s11
	s_add_u32 s10, s4, s10
	s_clause 0x3
	global_load_b32 v2, v1, s[12:13]
	global_load_b32 v3, v1, s[12:13] offset:1024
	global_load_b32 v4, v1, s[12:13] offset:2048
	;; [unrolled: 1-line block ×3, first 2 shown]
	s_addc_u32 s11, s5, s11
	s_waitcnt vmcnt(3)
	v_lshrrev_b32_e32 v6, 16, v2
	s_waitcnt vmcnt(2)
	v_lshrrev_b32_e32 v7, 16, v3
	;; [unrolled: 2-line block ×4, first 2 shown]
	v_min_i16 v2, v2, s9
	v_min_i16 v6, v6, s9
	;; [unrolled: 1-line block ×8, first 2 shown]
	v_and_b32_e32 v2, 0xffff, v2
	v_lshlrev_b32_e32 v6, 16, v6
	v_and_b32_e32 v3, 0xffff, v3
	v_lshlrev_b32_e32 v7, 16, v7
	;; [unrolled: 2-line block ×4, first 2 shown]
	v_or_b32_e32 v2, v6, v2
	v_or_b32_e32 v3, v7, v3
	;; [unrolled: 1-line block ×3, first 2 shown]
	s_delay_alu instid0(VALU_DEP_4)
	v_or_b32_e32 v5, v9, v5
	s_clause 0x3
	global_store_b32 v1, v2, s[10:11]
	global_store_b32 v1, v3, s[10:11] offset:1024
	global_store_b32 v1, v4, s[10:11] offset:2048
	;; [unrolled: 1-line block ×3, first 2 shown]
.LBB453_2:
	s_and_not1_b32 vcc_lo, exec_lo, s0
	s_cbranch_vccnz .LBB453_28
; %bb.3:
	v_cmp_gt_i32_e32 vcc_lo, s1, v0
	v_dual_mov_b32 v4, 0 :: v_dual_mov_b32 v5, v0
	v_or_b32_e32 v1, s2, v0
	v_or_b32_e32 v3, 0x100, v0
	v_mov_b32_e32 v2, 0
	s_and_saveexec_b32 s3, vcc_lo
	s_cbranch_execz .LBB453_5
; %bb.4:
	v_mov_b32_e32 v2, 0
	s_delay_alu instid0(VALU_DEP_1) | instskip(NEXT) | instid1(VALU_DEP_1)
	v_lshlrev_b64 v[5:6], 1, v[1:2]
	v_add_co_u32 v5, s0, s6, v5
	s_delay_alu instid0(VALU_DEP_1)
	v_add_co_ci_u32_e64 v6, s0, s7, v6, s0
	global_load_u16 v2, v[5:6], off
	v_or_b32_e32 v5, 0x100, v0
.LBB453_5:
	s_or_b32 exec_lo, exec_lo, s3
	s_delay_alu instid0(SALU_CYCLE_1) | instskip(NEXT) | instid1(VALU_DEP_1)
	s_mov_b32 s3, exec_lo
	v_cmpx_gt_i32_e64 s1, v5
	s_cbranch_execz .LBB453_7
; %bb.6:
	v_dual_mov_b32 v7, 0 :: v_dual_add_nc_u32 v6, s2, v5
	v_add_nc_u32_e32 v5, 0x100, v5
	s_delay_alu instid0(VALU_DEP_2) | instskip(NEXT) | instid1(VALU_DEP_1)
	v_lshlrev_b64 v[6:7], 1, v[6:7]
	v_add_co_u32 v6, s0, s6, v6
	s_delay_alu instid0(VALU_DEP_1)
	v_add_co_ci_u32_e64 v7, s0, s7, v7, s0
	global_load_u16 v4, v[6:7], off
.LBB453_7:
	s_or_b32 exec_lo, exec_lo, s3
	v_dual_mov_b32 v6, 0 :: v_dual_mov_b32 v7, 0
	s_mov_b32 s3, exec_lo
	v_cmpx_gt_i32_e64 s1, v5
	s_cbranch_execz .LBB453_9
; %bb.8:
	v_dual_mov_b32 v8, 0 :: v_dual_add_nc_u32 v7, s2, v5
	v_add_nc_u32_e32 v5, 0x100, v5
	s_delay_alu instid0(VALU_DEP_2) | instskip(NEXT) | instid1(VALU_DEP_1)
	v_lshlrev_b64 v[7:8], 1, v[7:8]
	v_add_co_u32 v7, s0, s6, v7
	s_delay_alu instid0(VALU_DEP_1)
	v_add_co_ci_u32_e64 v8, s0, s7, v8, s0
	global_load_u16 v7, v[7:8], off
.LBB453_9:
	s_or_b32 exec_lo, exec_lo, s3
	s_delay_alu instid0(SALU_CYCLE_1)
	s_mov_b32 s3, exec_lo
	v_cmpx_gt_i32_e64 s1, v5
	s_cbranch_execz .LBB453_11
; %bb.10:
	v_dual_mov_b32 v9, 0 :: v_dual_add_nc_u32 v8, s2, v5
	v_add_nc_u32_e32 v5, 0x100, v5
	s_delay_alu instid0(VALU_DEP_2) | instskip(NEXT) | instid1(VALU_DEP_1)
	v_lshlrev_b64 v[8:9], 1, v[8:9]
	v_add_co_u32 v8, s0, s6, v8
	s_delay_alu instid0(VALU_DEP_1)
	v_add_co_ci_u32_e64 v9, s0, s7, v9, s0
	global_load_u16 v6, v[8:9], off
.LBB453_11:
	s_or_b32 exec_lo, exec_lo, s3
	v_dual_mov_b32 v8, 0 :: v_dual_mov_b32 v9, 0
	s_mov_b32 s3, exec_lo
	v_cmpx_gt_i32_e64 s1, v5
	s_cbranch_execz .LBB453_13
; %bb.12:
	v_dual_mov_b32 v10, 0 :: v_dual_add_nc_u32 v9, s2, v5
	v_add_nc_u32_e32 v5, 0x100, v5
	s_delay_alu instid0(VALU_DEP_2) | instskip(NEXT) | instid1(VALU_DEP_1)
	v_lshlrev_b64 v[9:10], 1, v[9:10]
	v_add_co_u32 v9, s0, s6, v9
	s_delay_alu instid0(VALU_DEP_1)
	v_add_co_ci_u32_e64 v10, s0, s7, v10, s0
	global_load_u16 v9, v[9:10], off
.LBB453_13:
	s_or_b32 exec_lo, exec_lo, s3
	s_delay_alu instid0(SALU_CYCLE_1)
	;; [unrolled: 30-line block ×3, first 2 shown]
	s_mov_b32 s3, exec_lo
	v_cmpx_gt_i32_e64 s1, v5
	s_cbranch_execz .LBB453_19
; %bb.18:
	v_dual_mov_b32 v13, 0 :: v_dual_add_nc_u32 v12, s2, v5
	s_delay_alu instid0(VALU_DEP_1) | instskip(NEXT) | instid1(VALU_DEP_1)
	v_lshlrev_b64 v[12:13], 1, v[12:13]
	v_add_co_u32 v12, s0, s6, v12
	s_delay_alu instid0(VALU_DEP_1)
	v_add_co_ci_u32_e64 v13, s0, s7, v13, s0
	global_load_u16 v10, v[12:13], off
.LBB453_19:
	s_or_b32 exec_lo, exec_lo, s3
	s_waitcnt vmcnt(0)
	v_min_i16 v2, v2, s9
	v_min_i16 v4, v4, s9
	;; [unrolled: 1-line block ×3, first 2 shown]
	v_or_b32_e32 v12, 0x300, v0
	v_min_i16 v6, v6, s9
	v_cmp_gt_i32_e64 s0, s1, v3
	v_perm_b32 v4, v4, v2, 0x5040100
	v_min_i16 v9, v9, s9
	v_min_i16 v8, v8, s9
	v_and_b32_e32 v13, 0xffff, v5
	v_or_b32_e32 v14, 0x700, v0
	v_cndmask_b32_e64 v7, v2, v4, s0
	v_perm_b32 v4, v6, v5, 0x5040100
	v_min_i16 v5, v10, s9
	v_or_b32_e32 v10, 0x500, v0
	v_cmp_gt_i32_e64 s0, s1, v12
	v_min_i16 v2, v11, s9
	v_perm_b32 v8, v8, v9, 0x5040100
	s_delay_alu instid0(VALU_DEP_3) | instskip(SKIP_1) | instid1(VALU_DEP_4)
	v_cndmask_b32_e64 v6, v13, v4, s0
	v_cmp_gt_i32_e64 s0, s1, v10
	v_and_b32_e32 v11, 0xffff, v2
	v_perm_b32 v2, v5, v2, 0x5040100
	s_delay_alu instid0(VALU_DEP_3) | instskip(SKIP_1) | instid1(VALU_DEP_1)
	v_cndmask_b32_e64 v5, v9, v8, s0
	v_cmp_gt_i32_e64 s0, s1, v14
	v_cndmask_b32_e64 v4, v11, v2, s0
	s_and_saveexec_b32 s0, vcc_lo
	s_cbranch_execnz .LBB453_29
; %bb.20:
	s_or_b32 exec_lo, exec_lo, s0
	s_delay_alu instid0(SALU_CYCLE_1)
	s_mov_b32 s0, exec_lo
	v_cmpx_gt_i32_e64 s1, v0
	s_cbranch_execnz .LBB453_30
.LBB453_21:
	s_or_b32 exec_lo, exec_lo, s0
	s_delay_alu instid0(SALU_CYCLE_1)
	s_mov_b32 s0, exec_lo
	v_cmpx_gt_i32_e64 s1, v0
	s_cbranch_execnz .LBB453_31
.LBB453_22:
	s_or_b32 exec_lo, exec_lo, s0
	s_delay_alu instid0(SALU_CYCLE_1)
	s_mov_b32 s0, exec_lo
	v_cmpx_gt_i32_e64 s1, v0
	s_cbranch_execnz .LBB453_32
.LBB453_23:
	s_or_b32 exec_lo, exec_lo, s0
	s_delay_alu instid0(SALU_CYCLE_1)
	s_mov_b32 s0, exec_lo
	v_cmpx_gt_i32_e64 s1, v0
	s_cbranch_execnz .LBB453_33
.LBB453_24:
	s_or_b32 exec_lo, exec_lo, s0
	s_delay_alu instid0(SALU_CYCLE_1)
	s_mov_b32 s0, exec_lo
	v_cmpx_gt_i32_e64 s1, v0
	s_cbranch_execnz .LBB453_34
.LBB453_25:
	s_or_b32 exec_lo, exec_lo, s0
	s_delay_alu instid0(SALU_CYCLE_1)
	s_mov_b32 s0, exec_lo
	v_cmpx_gt_i32_e64 s1, v0
	s_cbranch_execnz .LBB453_35
.LBB453_26:
	s_or_b32 exec_lo, exec_lo, s0
	s_delay_alu instid0(SALU_CYCLE_1)
	s_mov_b32 s0, exec_lo
	v_cmpx_gt_i32_e64 s1, v0
	s_cbranch_execz .LBB453_28
.LBB453_27:
	v_dual_mov_b32 v1, 0 :: v_dual_add_nc_u32 v0, s2, v0
	s_delay_alu instid0(VALU_DEP_1) | instskip(NEXT) | instid1(VALU_DEP_1)
	v_lshlrev_b64 v[0:1], 1, v[0:1]
	v_add_co_u32 v0, vcc_lo, s4, v0
	s_delay_alu instid0(VALU_DEP_2)
	v_add_co_ci_u32_e32 v1, vcc_lo, s5, v1, vcc_lo
	global_store_d16_hi_b16 v[0:1], v4, off
.LBB453_28:
	s_nop 0
	s_sendmsg sendmsg(MSG_DEALLOC_VGPRS)
	s_endpgm
.LBB453_29:
	v_mov_b32_e32 v2, 0
	s_delay_alu instid0(VALU_DEP_1) | instskip(NEXT) | instid1(VALU_DEP_1)
	v_lshlrev_b64 v[0:1], 1, v[1:2]
	v_add_co_u32 v8, vcc_lo, s4, v0
	s_delay_alu instid0(VALU_DEP_2) | instskip(SKIP_3) | instid1(SALU_CYCLE_1)
	v_add_co_ci_u32_e32 v9, vcc_lo, s5, v1, vcc_lo
	v_mov_b32_e32 v0, v3
	global_store_b16 v[8:9], v7, off
	s_or_b32 exec_lo, exec_lo, s0
	s_mov_b32 s0, exec_lo
	v_cmpx_gt_i32_e64 s1, v0
	s_cbranch_execz .LBB453_21
.LBB453_30:
	v_dual_mov_b32 v2, 0 :: v_dual_add_nc_u32 v1, s2, v0
	v_add_nc_u32_e32 v0, 0x100, v0
	s_delay_alu instid0(VALU_DEP_2) | instskip(NEXT) | instid1(VALU_DEP_1)
	v_lshlrev_b64 v[1:2], 1, v[1:2]
	v_add_co_u32 v1, vcc_lo, s4, v1
	s_delay_alu instid0(VALU_DEP_2) | instskip(SKIP_2) | instid1(SALU_CYCLE_1)
	v_add_co_ci_u32_e32 v2, vcc_lo, s5, v2, vcc_lo
	global_store_d16_hi_b16 v[1:2], v7, off
	s_or_b32 exec_lo, exec_lo, s0
	s_mov_b32 s0, exec_lo
	v_cmpx_gt_i32_e64 s1, v0
	s_cbranch_execz .LBB453_22
.LBB453_31:
	v_dual_mov_b32 v2, 0 :: v_dual_add_nc_u32 v1, s2, v0
	v_add_nc_u32_e32 v0, 0x100, v0
	s_delay_alu instid0(VALU_DEP_2) | instskip(NEXT) | instid1(VALU_DEP_1)
	v_lshlrev_b64 v[1:2], 1, v[1:2]
	v_add_co_u32 v1, vcc_lo, s4, v1
	s_delay_alu instid0(VALU_DEP_2) | instskip(SKIP_2) | instid1(SALU_CYCLE_1)
	v_add_co_ci_u32_e32 v2, vcc_lo, s5, v2, vcc_lo
	global_store_b16 v[1:2], v6, off
	s_or_b32 exec_lo, exec_lo, s0
	s_mov_b32 s0, exec_lo
	v_cmpx_gt_i32_e64 s1, v0
	s_cbranch_execz .LBB453_23
.LBB453_32:
	v_dual_mov_b32 v2, 0 :: v_dual_add_nc_u32 v1, s2, v0
	v_add_nc_u32_e32 v0, 0x100, v0
	s_delay_alu instid0(VALU_DEP_2) | instskip(NEXT) | instid1(VALU_DEP_1)
	v_lshlrev_b64 v[1:2], 1, v[1:2]
	v_add_co_u32 v1, vcc_lo, s4, v1
	s_delay_alu instid0(VALU_DEP_2) | instskip(SKIP_2) | instid1(SALU_CYCLE_1)
	v_add_co_ci_u32_e32 v2, vcc_lo, s5, v2, vcc_lo
	global_store_d16_hi_b16 v[1:2], v6, off
	s_or_b32 exec_lo, exec_lo, s0
	s_mov_b32 s0, exec_lo
	v_cmpx_gt_i32_e64 s1, v0
	s_cbranch_execz .LBB453_24
.LBB453_33:
	v_dual_mov_b32 v2, 0 :: v_dual_add_nc_u32 v1, s2, v0
	v_add_nc_u32_e32 v0, 0x100, v0
	s_delay_alu instid0(VALU_DEP_2) | instskip(NEXT) | instid1(VALU_DEP_1)
	v_lshlrev_b64 v[1:2], 1, v[1:2]
	v_add_co_u32 v1, vcc_lo, s4, v1
	s_delay_alu instid0(VALU_DEP_2) | instskip(SKIP_2) | instid1(SALU_CYCLE_1)
	v_add_co_ci_u32_e32 v2, vcc_lo, s5, v2, vcc_lo
	global_store_b16 v[1:2], v5, off
	s_or_b32 exec_lo, exec_lo, s0
	s_mov_b32 s0, exec_lo
	v_cmpx_gt_i32_e64 s1, v0
	s_cbranch_execz .LBB453_25
.LBB453_34:
	v_dual_mov_b32 v2, 0 :: v_dual_add_nc_u32 v1, s2, v0
	v_add_nc_u32_e32 v0, 0x100, v0
	s_delay_alu instid0(VALU_DEP_2) | instskip(NEXT) | instid1(VALU_DEP_1)
	v_lshlrev_b64 v[1:2], 1, v[1:2]
	v_add_co_u32 v1, vcc_lo, s4, v1
	s_delay_alu instid0(VALU_DEP_2) | instskip(SKIP_2) | instid1(SALU_CYCLE_1)
	v_add_co_ci_u32_e32 v2, vcc_lo, s5, v2, vcc_lo
	global_store_d16_hi_b16 v[1:2], v5, off
	s_or_b32 exec_lo, exec_lo, s0
	s_mov_b32 s0, exec_lo
	v_cmpx_gt_i32_e64 s1, v0
	s_cbranch_execz .LBB453_26
.LBB453_35:
	v_dual_mov_b32 v2, 0 :: v_dual_add_nc_u32 v1, s2, v0
	v_add_nc_u32_e32 v0, 0x100, v0
	s_delay_alu instid0(VALU_DEP_2) | instskip(NEXT) | instid1(VALU_DEP_1)
	v_lshlrev_b64 v[1:2], 1, v[1:2]
	v_add_co_u32 v1, vcc_lo, s4, v1
	s_delay_alu instid0(VALU_DEP_2) | instskip(SKIP_2) | instid1(SALU_CYCLE_1)
	v_add_co_ci_u32_e32 v2, vcc_lo, s5, v2, vcc_lo
	global_store_b16 v[1:2], v4, off
	s_or_b32 exec_lo, exec_lo, s0
	s_mov_b32 s0, exec_lo
	v_cmpx_gt_i32_e64 s1, v0
	s_cbranch_execnz .LBB453_27
	s_branch .LBB453_28
	.section	.rodata,"a",@progbits
	.p2align	6, 0x0
	.amdhsa_kernel _ZN2at6native29vectorized_elementwise_kernelILi2EZZZNS0_21clamp_max_kernel_cudaERNS_18TensorIteratorBaseERKN3c106ScalarEENKUlvE_clEvENKUlvE3_clEvEUlsE_St5arrayIPcLm2EEEEviT0_T1_
		.amdhsa_group_segment_fixed_size 0
		.amdhsa_private_segment_fixed_size 0
		.amdhsa_kernarg_size 24
		.amdhsa_user_sgpr_count 15
		.amdhsa_user_sgpr_dispatch_ptr 0
		.amdhsa_user_sgpr_queue_ptr 0
		.amdhsa_user_sgpr_kernarg_segment_ptr 1
		.amdhsa_user_sgpr_dispatch_id 0
		.amdhsa_user_sgpr_private_segment_size 0
		.amdhsa_wavefront_size32 1
		.amdhsa_uses_dynamic_stack 0
		.amdhsa_enable_private_segment 0
		.amdhsa_system_sgpr_workgroup_id_x 1
		.amdhsa_system_sgpr_workgroup_id_y 0
		.amdhsa_system_sgpr_workgroup_id_z 0
		.amdhsa_system_sgpr_workgroup_info 0
		.amdhsa_system_vgpr_workitem_id 0
		.amdhsa_next_free_vgpr 15
		.amdhsa_next_free_sgpr 16
		.amdhsa_reserve_vcc 1
		.amdhsa_float_round_mode_32 0
		.amdhsa_float_round_mode_16_64 0
		.amdhsa_float_denorm_mode_32 3
		.amdhsa_float_denorm_mode_16_64 3
		.amdhsa_dx10_clamp 1
		.amdhsa_ieee_mode 1
		.amdhsa_fp16_overflow 0
		.amdhsa_workgroup_processor_mode 1
		.amdhsa_memory_ordered 1
		.amdhsa_forward_progress 0
		.amdhsa_shared_vgpr_count 0
		.amdhsa_exception_fp_ieee_invalid_op 0
		.amdhsa_exception_fp_denorm_src 0
		.amdhsa_exception_fp_ieee_div_zero 0
		.amdhsa_exception_fp_ieee_overflow 0
		.amdhsa_exception_fp_ieee_underflow 0
		.amdhsa_exception_fp_ieee_inexact 0
		.amdhsa_exception_int_div_zero 0
	.end_amdhsa_kernel
	.section	.text._ZN2at6native29vectorized_elementwise_kernelILi2EZZZNS0_21clamp_max_kernel_cudaERNS_18TensorIteratorBaseERKN3c106ScalarEENKUlvE_clEvENKUlvE3_clEvEUlsE_St5arrayIPcLm2EEEEviT0_T1_,"axG",@progbits,_ZN2at6native29vectorized_elementwise_kernelILi2EZZZNS0_21clamp_max_kernel_cudaERNS_18TensorIteratorBaseERKN3c106ScalarEENKUlvE_clEvENKUlvE3_clEvEUlsE_St5arrayIPcLm2EEEEviT0_T1_,comdat
.Lfunc_end453:
	.size	_ZN2at6native29vectorized_elementwise_kernelILi2EZZZNS0_21clamp_max_kernel_cudaERNS_18TensorIteratorBaseERKN3c106ScalarEENKUlvE_clEvENKUlvE3_clEvEUlsE_St5arrayIPcLm2EEEEviT0_T1_, .Lfunc_end453-_ZN2at6native29vectorized_elementwise_kernelILi2EZZZNS0_21clamp_max_kernel_cudaERNS_18TensorIteratorBaseERKN3c106ScalarEENKUlvE_clEvENKUlvE3_clEvEUlsE_St5arrayIPcLm2EEEEviT0_T1_
                                        ; -- End function
	.section	.AMDGPU.csdata,"",@progbits
; Kernel info:
; codeLenInByte = 1940
; NumSgprs: 18
; NumVgprs: 15
; ScratchSize: 0
; MemoryBound: 0
; FloatMode: 240
; IeeeMode: 1
; LDSByteSize: 0 bytes/workgroup (compile time only)
; SGPRBlocks: 2
; VGPRBlocks: 1
; NumSGPRsForWavesPerEU: 18
; NumVGPRsForWavesPerEU: 15
; Occupancy: 16
; WaveLimiterHint : 1
; COMPUTE_PGM_RSRC2:SCRATCH_EN: 0
; COMPUTE_PGM_RSRC2:USER_SGPR: 15
; COMPUTE_PGM_RSRC2:TRAP_HANDLER: 0
; COMPUTE_PGM_RSRC2:TGID_X_EN: 1
; COMPUTE_PGM_RSRC2:TGID_Y_EN: 0
; COMPUTE_PGM_RSRC2:TGID_Z_EN: 0
; COMPUTE_PGM_RSRC2:TIDIG_COMP_CNT: 0
	.section	.text._ZN2at6native27unrolled_elementwise_kernelIZZZNS0_21clamp_max_kernel_cudaERNS_18TensorIteratorBaseERKN3c106ScalarEENKUlvE_clEvENKUlvE3_clEvEUlsE_St5arrayIPcLm2EELi4E23TrivialOffsetCalculatorILi1EjESF_NS0_6memory15LoadWithoutCastENSG_16StoreWithoutCastEEEviT_T0_T2_T3_T4_T5_,"axG",@progbits,_ZN2at6native27unrolled_elementwise_kernelIZZZNS0_21clamp_max_kernel_cudaERNS_18TensorIteratorBaseERKN3c106ScalarEENKUlvE_clEvENKUlvE3_clEvEUlsE_St5arrayIPcLm2EELi4E23TrivialOffsetCalculatorILi1EjESF_NS0_6memory15LoadWithoutCastENSG_16StoreWithoutCastEEEviT_T0_T2_T3_T4_T5_,comdat
	.globl	_ZN2at6native27unrolled_elementwise_kernelIZZZNS0_21clamp_max_kernel_cudaERNS_18TensorIteratorBaseERKN3c106ScalarEENKUlvE_clEvENKUlvE3_clEvEUlsE_St5arrayIPcLm2EELi4E23TrivialOffsetCalculatorILi1EjESF_NS0_6memory15LoadWithoutCastENSG_16StoreWithoutCastEEEviT_T0_T2_T3_T4_T5_ ; -- Begin function _ZN2at6native27unrolled_elementwise_kernelIZZZNS0_21clamp_max_kernel_cudaERNS_18TensorIteratorBaseERKN3c106ScalarEENKUlvE_clEvENKUlvE3_clEvEUlsE_St5arrayIPcLm2EELi4E23TrivialOffsetCalculatorILi1EjESF_NS0_6memory15LoadWithoutCastENSG_16StoreWithoutCastEEEviT_T0_T2_T3_T4_T5_
	.p2align	8
	.type	_ZN2at6native27unrolled_elementwise_kernelIZZZNS0_21clamp_max_kernel_cudaERNS_18TensorIteratorBaseERKN3c106ScalarEENKUlvE_clEvENKUlvE3_clEvEUlsE_St5arrayIPcLm2EELi4E23TrivialOffsetCalculatorILi1EjESF_NS0_6memory15LoadWithoutCastENSG_16StoreWithoutCastEEEviT_T0_T2_T3_T4_T5_,@function
_ZN2at6native27unrolled_elementwise_kernelIZZZNS0_21clamp_max_kernel_cudaERNS_18TensorIteratorBaseERKN3c106ScalarEENKUlvE_clEvENKUlvE3_clEvEUlsE_St5arrayIPcLm2EELi4E23TrivialOffsetCalculatorILi1EjESF_NS0_6memory15LoadWithoutCastENSG_16StoreWithoutCastEEEviT_T0_T2_T3_T4_T5_: ; @_ZN2at6native27unrolled_elementwise_kernelIZZZNS0_21clamp_max_kernel_cudaERNS_18TensorIteratorBaseERKN3c106ScalarEENKUlvE_clEvENKUlvE3_clEvEUlsE_St5arrayIPcLm2EELi4E23TrivialOffsetCalculatorILi1EjESF_NS0_6memory15LoadWithoutCastENSG_16StoreWithoutCastEEEviT_T0_T2_T3_T4_T5_
; %bb.0:
	s_clause 0x1
	s_load_b64 s[2:3], s[0:1], 0x0
	s_load_b128 s[4:7], s[0:1], 0x8
	s_lshl_b32 s1, s15, 10
	v_dual_mov_b32 v4, 0 :: v_dual_mov_b32 v5, v0
	v_mov_b32_e32 v2, 0
	v_or_b32_e32 v1, s1, v0
	v_or_b32_e32 v3, 0x100, v0
	s_waitcnt lgkmcnt(0)
	s_sub_i32 s2, s2, s1
	s_delay_alu instid0(SALU_CYCLE_1)
	v_cmp_gt_i32_e32 vcc_lo, s2, v0
	s_and_saveexec_b32 s8, vcc_lo
	s_cbranch_execz .LBB454_2
; %bb.1:
	v_mov_b32_e32 v2, 0
	s_delay_alu instid0(VALU_DEP_1) | instskip(NEXT) | instid1(VALU_DEP_1)
	v_lshlrev_b64 v[5:6], 1, v[1:2]
	v_add_co_u32 v5, s0, s6, v5
	s_delay_alu instid0(VALU_DEP_1)
	v_add_co_ci_u32_e64 v6, s0, s7, v6, s0
	global_load_u16 v2, v[5:6], off
	v_or_b32_e32 v5, 0x100, v0
.LBB454_2:
	s_or_b32 exec_lo, exec_lo, s8
	s_delay_alu instid0(SALU_CYCLE_1) | instskip(NEXT) | instid1(VALU_DEP_1)
	s_mov_b32 s8, exec_lo
	v_cmpx_gt_i32_e64 s2, v5
	s_cbranch_execz .LBB454_4
; %bb.3:
	v_dual_mov_b32 v7, 0 :: v_dual_add_nc_u32 v6, s1, v5
	v_add_nc_u32_e32 v5, 0x100, v5
	s_delay_alu instid0(VALU_DEP_2) | instskip(NEXT) | instid1(VALU_DEP_1)
	v_lshlrev_b64 v[6:7], 1, v[6:7]
	v_add_co_u32 v6, s0, s6, v6
	s_delay_alu instid0(VALU_DEP_1)
	v_add_co_ci_u32_e64 v7, s0, s7, v7, s0
	global_load_u16 v4, v[6:7], off
.LBB454_4:
	s_or_b32 exec_lo, exec_lo, s8
	v_dual_mov_b32 v6, 0 :: v_dual_mov_b32 v7, 0
	s_mov_b32 s8, exec_lo
	v_cmpx_gt_i32_e64 s2, v5
	s_cbranch_execz .LBB454_6
; %bb.5:
	v_dual_mov_b32 v8, 0 :: v_dual_add_nc_u32 v7, s1, v5
	v_add_nc_u32_e32 v5, 0x100, v5
	s_delay_alu instid0(VALU_DEP_2) | instskip(NEXT) | instid1(VALU_DEP_1)
	v_lshlrev_b64 v[7:8], 1, v[7:8]
	v_add_co_u32 v7, s0, s6, v7
	s_delay_alu instid0(VALU_DEP_1)
	v_add_co_ci_u32_e64 v8, s0, s7, v8, s0
	global_load_u16 v7, v[7:8], off
.LBB454_6:
	s_or_b32 exec_lo, exec_lo, s8
	s_delay_alu instid0(SALU_CYCLE_1)
	s_mov_b32 s8, exec_lo
	v_cmpx_gt_i32_e64 s2, v5
	s_cbranch_execz .LBB454_8
; %bb.7:
	v_dual_mov_b32 v6, 0 :: v_dual_add_nc_u32 v5, s1, v5
	s_delay_alu instid0(VALU_DEP_1) | instskip(NEXT) | instid1(VALU_DEP_1)
	v_lshlrev_b64 v[5:6], 1, v[5:6]
	v_add_co_u32 v5, s0, s6, v5
	s_delay_alu instid0(VALU_DEP_1)
	v_add_co_ci_u32_e64 v6, s0, s7, v6, s0
	global_load_u16 v6, v[5:6], off
.LBB454_8:
	s_or_b32 exec_lo, exec_lo, s8
	s_waitcnt vmcnt(0)
	v_min_i16 v2, v2, s3
	v_min_i16 v4, v4, s3
	;; [unrolled: 1-line block ×4, first 2 shown]
	v_or_b32_e32 v7, 0x300, v0
	v_cmp_gt_i32_e64 s0, s2, v3
	v_perm_b32 v4, v4, v2, 0x5040100
	v_and_b32_e32 v8, 0xffff, v5
	v_perm_b32 v6, v6, v5, 0x5040100
	s_delay_alu instid0(VALU_DEP_3) | instskip(SKIP_1) | instid1(VALU_DEP_1)
	v_cndmask_b32_e64 v5, v2, v4, s0
	v_cmp_gt_i32_e64 s0, s2, v7
	v_cndmask_b32_e64 v4, v8, v6, s0
	s_and_saveexec_b32 s0, vcc_lo
	s_cbranch_execnz .LBB454_13
; %bb.9:
	s_or_b32 exec_lo, exec_lo, s0
	s_delay_alu instid0(SALU_CYCLE_1)
	s_mov_b32 s0, exec_lo
	v_cmpx_gt_i32_e64 s2, v0
	s_cbranch_execnz .LBB454_14
.LBB454_10:
	s_or_b32 exec_lo, exec_lo, s0
	s_delay_alu instid0(SALU_CYCLE_1)
	s_mov_b32 s0, exec_lo
	v_cmpx_gt_i32_e64 s2, v0
	s_cbranch_execnz .LBB454_15
.LBB454_11:
	s_or_b32 exec_lo, exec_lo, s0
	s_delay_alu instid0(SALU_CYCLE_1)
	s_mov_b32 s0, exec_lo
	v_cmpx_gt_i32_e64 s2, v0
	s_cbranch_execnz .LBB454_16
.LBB454_12:
	s_nop 0
	s_sendmsg sendmsg(MSG_DEALLOC_VGPRS)
	s_endpgm
.LBB454_13:
	v_mov_b32_e32 v2, 0
	s_delay_alu instid0(VALU_DEP_1) | instskip(NEXT) | instid1(VALU_DEP_1)
	v_lshlrev_b64 v[0:1], 1, v[1:2]
	v_add_co_u32 v6, vcc_lo, s4, v0
	s_delay_alu instid0(VALU_DEP_2) | instskip(SKIP_3) | instid1(SALU_CYCLE_1)
	v_add_co_ci_u32_e32 v7, vcc_lo, s5, v1, vcc_lo
	v_mov_b32_e32 v0, v3
	global_store_b16 v[6:7], v5, off
	s_or_b32 exec_lo, exec_lo, s0
	s_mov_b32 s0, exec_lo
	v_cmpx_gt_i32_e64 s2, v0
	s_cbranch_execz .LBB454_10
.LBB454_14:
	v_dual_mov_b32 v2, 0 :: v_dual_add_nc_u32 v1, s1, v0
	v_add_nc_u32_e32 v0, 0x100, v0
	s_delay_alu instid0(VALU_DEP_2) | instskip(NEXT) | instid1(VALU_DEP_1)
	v_lshlrev_b64 v[1:2], 1, v[1:2]
	v_add_co_u32 v1, vcc_lo, s4, v1
	s_delay_alu instid0(VALU_DEP_2) | instskip(SKIP_2) | instid1(SALU_CYCLE_1)
	v_add_co_ci_u32_e32 v2, vcc_lo, s5, v2, vcc_lo
	global_store_d16_hi_b16 v[1:2], v5, off
	s_or_b32 exec_lo, exec_lo, s0
	s_mov_b32 s0, exec_lo
	v_cmpx_gt_i32_e64 s2, v0
	s_cbranch_execz .LBB454_11
.LBB454_15:
	v_dual_mov_b32 v2, 0 :: v_dual_add_nc_u32 v1, s1, v0
	v_add_nc_u32_e32 v0, 0x100, v0
	s_delay_alu instid0(VALU_DEP_2) | instskip(NEXT) | instid1(VALU_DEP_1)
	v_lshlrev_b64 v[1:2], 1, v[1:2]
	v_add_co_u32 v1, vcc_lo, s4, v1
	s_delay_alu instid0(VALU_DEP_2) | instskip(SKIP_2) | instid1(SALU_CYCLE_1)
	v_add_co_ci_u32_e32 v2, vcc_lo, s5, v2, vcc_lo
	global_store_b16 v[1:2], v4, off
	s_or_b32 exec_lo, exec_lo, s0
	s_mov_b32 s0, exec_lo
	v_cmpx_gt_i32_e64 s2, v0
	s_cbranch_execz .LBB454_12
.LBB454_16:
	v_dual_mov_b32 v1, 0 :: v_dual_add_nc_u32 v0, s1, v0
	s_delay_alu instid0(VALU_DEP_1) | instskip(NEXT) | instid1(VALU_DEP_1)
	v_lshlrev_b64 v[0:1], 1, v[0:1]
	v_add_co_u32 v0, vcc_lo, s4, v0
	s_delay_alu instid0(VALU_DEP_2)
	v_add_co_ci_u32_e32 v1, vcc_lo, s5, v1, vcc_lo
	global_store_d16_hi_b16 v[0:1], v4, off
	s_nop 0
	s_sendmsg sendmsg(MSG_DEALLOC_VGPRS)
	s_endpgm
	.section	.rodata,"a",@progbits
	.p2align	6, 0x0
	.amdhsa_kernel _ZN2at6native27unrolled_elementwise_kernelIZZZNS0_21clamp_max_kernel_cudaERNS_18TensorIteratorBaseERKN3c106ScalarEENKUlvE_clEvENKUlvE3_clEvEUlsE_St5arrayIPcLm2EELi4E23TrivialOffsetCalculatorILi1EjESF_NS0_6memory15LoadWithoutCastENSG_16StoreWithoutCastEEEviT_T0_T2_T3_T4_T5_
		.amdhsa_group_segment_fixed_size 0
		.amdhsa_private_segment_fixed_size 0
		.amdhsa_kernarg_size 28
		.amdhsa_user_sgpr_count 15
		.amdhsa_user_sgpr_dispatch_ptr 0
		.amdhsa_user_sgpr_queue_ptr 0
		.amdhsa_user_sgpr_kernarg_segment_ptr 1
		.amdhsa_user_sgpr_dispatch_id 0
		.amdhsa_user_sgpr_private_segment_size 0
		.amdhsa_wavefront_size32 1
		.amdhsa_uses_dynamic_stack 0
		.amdhsa_enable_private_segment 0
		.amdhsa_system_sgpr_workgroup_id_x 1
		.amdhsa_system_sgpr_workgroup_id_y 0
		.amdhsa_system_sgpr_workgroup_id_z 0
		.amdhsa_system_sgpr_workgroup_info 0
		.amdhsa_system_vgpr_workitem_id 0
		.amdhsa_next_free_vgpr 9
		.amdhsa_next_free_sgpr 16
		.amdhsa_reserve_vcc 1
		.amdhsa_float_round_mode_32 0
		.amdhsa_float_round_mode_16_64 0
		.amdhsa_float_denorm_mode_32 3
		.amdhsa_float_denorm_mode_16_64 3
		.amdhsa_dx10_clamp 1
		.amdhsa_ieee_mode 1
		.amdhsa_fp16_overflow 0
		.amdhsa_workgroup_processor_mode 1
		.amdhsa_memory_ordered 1
		.amdhsa_forward_progress 0
		.amdhsa_shared_vgpr_count 0
		.amdhsa_exception_fp_ieee_invalid_op 0
		.amdhsa_exception_fp_denorm_src 0
		.amdhsa_exception_fp_ieee_div_zero 0
		.amdhsa_exception_fp_ieee_overflow 0
		.amdhsa_exception_fp_ieee_underflow 0
		.amdhsa_exception_fp_ieee_inexact 0
		.amdhsa_exception_int_div_zero 0
	.end_amdhsa_kernel
	.section	.text._ZN2at6native27unrolled_elementwise_kernelIZZZNS0_21clamp_max_kernel_cudaERNS_18TensorIteratorBaseERKN3c106ScalarEENKUlvE_clEvENKUlvE3_clEvEUlsE_St5arrayIPcLm2EELi4E23TrivialOffsetCalculatorILi1EjESF_NS0_6memory15LoadWithoutCastENSG_16StoreWithoutCastEEEviT_T0_T2_T3_T4_T5_,"axG",@progbits,_ZN2at6native27unrolled_elementwise_kernelIZZZNS0_21clamp_max_kernel_cudaERNS_18TensorIteratorBaseERKN3c106ScalarEENKUlvE_clEvENKUlvE3_clEvEUlsE_St5arrayIPcLm2EELi4E23TrivialOffsetCalculatorILi1EjESF_NS0_6memory15LoadWithoutCastENSG_16StoreWithoutCastEEEviT_T0_T2_T3_T4_T5_,comdat
.Lfunc_end454:
	.size	_ZN2at6native27unrolled_elementwise_kernelIZZZNS0_21clamp_max_kernel_cudaERNS_18TensorIteratorBaseERKN3c106ScalarEENKUlvE_clEvENKUlvE3_clEvEUlsE_St5arrayIPcLm2EELi4E23TrivialOffsetCalculatorILi1EjESF_NS0_6memory15LoadWithoutCastENSG_16StoreWithoutCastEEEviT_T0_T2_T3_T4_T5_, .Lfunc_end454-_ZN2at6native27unrolled_elementwise_kernelIZZZNS0_21clamp_max_kernel_cudaERNS_18TensorIteratorBaseERKN3c106ScalarEENKUlvE_clEvENKUlvE3_clEvEUlsE_St5arrayIPcLm2EELi4E23TrivialOffsetCalculatorILi1EjESF_NS0_6memory15LoadWithoutCastENSG_16StoreWithoutCastEEEviT_T0_T2_T3_T4_T5_
                                        ; -- End function
	.section	.AMDGPU.csdata,"",@progbits
; Kernel info:
; codeLenInByte = 832
; NumSgprs: 18
; NumVgprs: 9
; ScratchSize: 0
; MemoryBound: 0
; FloatMode: 240
; IeeeMode: 1
; LDSByteSize: 0 bytes/workgroup (compile time only)
; SGPRBlocks: 2
; VGPRBlocks: 1
; NumSGPRsForWavesPerEU: 18
; NumVGPRsForWavesPerEU: 9
; Occupancy: 16
; WaveLimiterHint : 0
; COMPUTE_PGM_RSRC2:SCRATCH_EN: 0
; COMPUTE_PGM_RSRC2:USER_SGPR: 15
; COMPUTE_PGM_RSRC2:TRAP_HANDLER: 0
; COMPUTE_PGM_RSRC2:TGID_X_EN: 1
; COMPUTE_PGM_RSRC2:TGID_Y_EN: 0
; COMPUTE_PGM_RSRC2:TGID_Z_EN: 0
; COMPUTE_PGM_RSRC2:TIDIG_COMP_CNT: 0
	.section	.text._ZN2at6native32elementwise_kernel_manual_unrollILi128ELi8EZNS0_22gpu_kernel_impl_nocastIZZZNS0_21clamp_max_kernel_cudaERNS_18TensorIteratorBaseERKN3c106ScalarEENKUlvE_clEvENKUlvE3_clEvEUlsE_EEvS4_RKT_EUlibE_EEviT1_,"axG",@progbits,_ZN2at6native32elementwise_kernel_manual_unrollILi128ELi8EZNS0_22gpu_kernel_impl_nocastIZZZNS0_21clamp_max_kernel_cudaERNS_18TensorIteratorBaseERKN3c106ScalarEENKUlvE_clEvENKUlvE3_clEvEUlsE_EEvS4_RKT_EUlibE_EEviT1_,comdat
	.globl	_ZN2at6native32elementwise_kernel_manual_unrollILi128ELi8EZNS0_22gpu_kernel_impl_nocastIZZZNS0_21clamp_max_kernel_cudaERNS_18TensorIteratorBaseERKN3c106ScalarEENKUlvE_clEvENKUlvE3_clEvEUlsE_EEvS4_RKT_EUlibE_EEviT1_ ; -- Begin function _ZN2at6native32elementwise_kernel_manual_unrollILi128ELi8EZNS0_22gpu_kernel_impl_nocastIZZZNS0_21clamp_max_kernel_cudaERNS_18TensorIteratorBaseERKN3c106ScalarEENKUlvE_clEvENKUlvE3_clEvEUlsE_EEvS4_RKT_EUlibE_EEviT1_
	.p2align	8
	.type	_ZN2at6native32elementwise_kernel_manual_unrollILi128ELi8EZNS0_22gpu_kernel_impl_nocastIZZZNS0_21clamp_max_kernel_cudaERNS_18TensorIteratorBaseERKN3c106ScalarEENKUlvE_clEvENKUlvE3_clEvEUlsE_EEvS4_RKT_EUlibE_EEviT1_,@function
_ZN2at6native32elementwise_kernel_manual_unrollILi128ELi8EZNS0_22gpu_kernel_impl_nocastIZZZNS0_21clamp_max_kernel_cudaERNS_18TensorIteratorBaseERKN3c106ScalarEENKUlvE_clEvENKUlvE3_clEvEUlsE_EEvS4_RKT_EUlibE_EEviT1_: ; @_ZN2at6native32elementwise_kernel_manual_unrollILi128ELi8EZNS0_22gpu_kernel_impl_nocastIZZZNS0_21clamp_max_kernel_cudaERNS_18TensorIteratorBaseERKN3c106ScalarEENKUlvE_clEvENKUlvE3_clEvEUlsE_EEvS4_RKT_EUlibE_EEviT1_
; %bb.0:
	s_clause 0x1
	s_load_b32 s22, s[0:1], 0x8
	s_load_b32 s28, s[0:1], 0x0
	v_lshl_or_b32 v12, s15, 10, v0
	s_or_b32 s0, s0, 8
	s_mov_b32 s2, exec_lo
	s_delay_alu instid0(VALU_DEP_1) | instskip(SKIP_2) | instid1(SALU_CYCLE_1)
	v_or_b32_e32 v16, 0x380, v12
	s_waitcnt lgkmcnt(0)
	s_add_i32 s23, s22, -1
	s_cmp_gt_u32 s23, 1
	s_cselect_b32 s24, -1, 0
	v_cmpx_le_i32_e64 s28, v16
	s_xor_b32 s25, exec_lo, s2
	s_cbranch_execz .LBB455_7
; %bb.1:
	s_clause 0x4
	s_load_b128 s[12:15], s[0:1], 0x4
	s_load_b64 s[2:3], s[0:1], 0x14
	s_load_b128 s[8:11], s[0:1], 0xc4
	s_load_b128 s[4:7], s[0:1], 0x148
	s_load_b32 s26, s[0:1], 0x158
	s_cmp_lg_u32 s22, 0
	s_mov_b32 s31, exec_lo
	s_cselect_b32 s30, -1, 0
	s_add_u32 s16, s0, 0xc4
	s_addc_u32 s17, s1, 0
	s_min_u32 s29, s23, 15
	s_cmp_gt_u32 s22, 1
	s_cselect_b32 s27, -1, 0
	v_cmpx_gt_i32_e64 s28, v12
	s_cbranch_execz .LBB455_14
; %bb.2:
	s_and_not1_b32 vcc_lo, exec_lo, s24
	s_cbranch_vccnz .LBB455_21
; %bb.3:
	v_dual_mov_b32 v0, 0 :: v_dual_mov_b32 v1, 0
	s_and_not1_b32 vcc_lo, exec_lo, s30
	s_mov_b32 s33, 0
	s_cbranch_vccnz .LBB455_125
; %bb.4:
	v_mov_b32_e32 v0, 0
	s_add_i32 s35, s29, 1
	s_cmp_eq_u32 s23, 2
	s_mov_b32 s34, 0
	s_cbranch_scc1 .LBB455_121
; %bb.5:
	v_dual_mov_b32 v1, 0 :: v_dual_mov_b32 v0, 0
	v_mov_b32_e32 v2, v12
	s_and_b32 s34, s35, 28
	s_mov_b32 s36, 0
	s_mov_b64 s[18:19], s[16:17]
	s_mov_b64 s[20:21], s[0:1]
.LBB455_6:                              ; =>This Inner Loop Header: Depth=1
	s_clause 0x1
	s_load_b256 s[40:47], s[20:21], 0x4
	s_load_b128 s[56:59], s[20:21], 0x24
	s_load_b256 s[48:55], s[18:19], 0x0
	s_add_u32 s20, s20, 48
	s_addc_u32 s21, s21, 0
	s_add_i32 s36, s36, 4
	s_add_u32 s18, s18, 32
	s_addc_u32 s19, s19, 0
	s_cmp_lg_u32 s34, s36
	s_waitcnt lgkmcnt(0)
	v_mul_hi_u32 v3, s41, v2
	s_delay_alu instid0(VALU_DEP_1) | instskip(NEXT) | instid1(VALU_DEP_1)
	v_add_nc_u32_e32 v3, v2, v3
	v_lshrrev_b32_e32 v3, s42, v3
	s_delay_alu instid0(VALU_DEP_1) | instskip(SKIP_1) | instid1(VALU_DEP_2)
	v_mul_hi_u32 v4, s44, v3
	v_mul_lo_u32 v6, v3, s40
	v_add_nc_u32_e32 v4, v3, v4
	s_delay_alu instid0(VALU_DEP_2) | instskip(NEXT) | instid1(VALU_DEP_2)
	v_sub_nc_u32_e32 v2, v2, v6
	v_lshrrev_b32_e32 v4, s45, v4
	s_delay_alu instid0(VALU_DEP_2) | instskip(SKIP_1) | instid1(VALU_DEP_3)
	v_mul_lo_u32 v6, v2, s48
	v_mul_lo_u32 v8, v2, s49
	v_mul_hi_u32 v5, s47, v4
	s_delay_alu instid0(VALU_DEP_1) | instskip(NEXT) | instid1(VALU_DEP_1)
	v_add_nc_u32_e32 v5, v4, v5
	v_lshrrev_b32_e32 v5, s56, v5
	s_delay_alu instid0(VALU_DEP_1) | instskip(SKIP_1) | instid1(VALU_DEP_2)
	v_mul_hi_u32 v7, s58, v5
	v_mul_lo_u32 v9, v5, s46
	v_add_nc_u32_e32 v2, v5, v7
	v_mul_lo_u32 v7, v4, s43
	s_delay_alu instid0(VALU_DEP_3) | instskip(NEXT) | instid1(VALU_DEP_3)
	v_sub_nc_u32_e32 v4, v4, v9
	v_lshrrev_b32_e32 v2, s59, v2
	s_delay_alu instid0(VALU_DEP_2) | instskip(SKIP_2) | instid1(VALU_DEP_4)
	v_mul_lo_u32 v9, v4, s52
	v_mul_lo_u32 v4, v4, s53
	v_sub_nc_u32_e32 v3, v3, v7
	v_mul_lo_u32 v10, v2, s57
	s_delay_alu instid0(VALU_DEP_2) | instskip(SKIP_1) | instid1(VALU_DEP_3)
	v_mul_lo_u32 v7, v3, s50
	v_mul_lo_u32 v3, v3, s51
	v_sub_nc_u32_e32 v5, v5, v10
	s_delay_alu instid0(VALU_DEP_3) | instskip(NEXT) | instid1(VALU_DEP_2)
	v_add3_u32 v0, v6, v0, v7
	v_mul_lo_u32 v10, v5, s54
	v_mul_lo_u32 v5, v5, s55
	v_add3_u32 v1, v8, v1, v3
	s_delay_alu instid0(VALU_DEP_3) | instskip(NEXT) | instid1(VALU_DEP_2)
	v_add3_u32 v0, v9, v0, v10
	v_add3_u32 v1, v4, v1, v5
	s_cbranch_scc1 .LBB455_6
	s_branch .LBB455_122
.LBB455_7:
	s_and_not1_saveexec_b32 s2, s25
	s_cbranch_execz .LBB455_206
.LBB455_8:
	v_cndmask_b32_e64 v14, 0, 1, s24
	s_and_not1_b32 vcc_lo, exec_lo, s24
	s_cbranch_vccnz .LBB455_20
; %bb.9:
	v_dual_mov_b32 v0, 0 :: v_dual_mov_b32 v1, 0
	s_cmp_lg_u32 s22, 0
	s_mov_b32 s6, 0
	s_cbranch_scc0 .LBB455_26
; %bb.10:
	s_min_u32 s7, s23, 15
	v_mov_b32_e32 v0, 0
	s_add_i32 s7, s7, 1
	s_cmp_eq_u32 s23, 2
	s_mov_b32 s8, 0
	s_cbranch_scc1 .LBB455_23
; %bb.11:
	v_dual_mov_b32 v1, 0 :: v_dual_mov_b32 v0, 0
	v_mov_b32_e32 v2, v12
	s_add_u32 s2, s0, 0xc4
	s_addc_u32 s3, s1, 0
	s_and_b32 s8, s7, 28
	s_mov_b32 s9, 0
	s_mov_b64 s[4:5], s[0:1]
.LBB455_12:                             ; =>This Inner Loop Header: Depth=1
	s_clause 0x1
	s_load_b256 s[12:19], s[4:5], 0x4
	s_load_b128 s[36:39], s[4:5], 0x24
	s_load_b256 s[24:31], s[2:3], 0x0
	s_add_u32 s4, s4, 48
	s_addc_u32 s5, s5, 0
	s_add_i32 s9, s9, 4
	s_add_u32 s2, s2, 32
	s_addc_u32 s3, s3, 0
	s_cmp_lg_u32 s8, s9
	s_waitcnt lgkmcnt(0)
	v_mul_hi_u32 v3, s13, v2
	s_delay_alu instid0(VALU_DEP_1) | instskip(NEXT) | instid1(VALU_DEP_1)
	v_add_nc_u32_e32 v3, v2, v3
	v_lshrrev_b32_e32 v3, s14, v3
	s_delay_alu instid0(VALU_DEP_1) | instskip(SKIP_1) | instid1(VALU_DEP_2)
	v_mul_hi_u32 v4, s16, v3
	v_mul_lo_u32 v6, v3, s12
	v_add_nc_u32_e32 v4, v3, v4
	s_delay_alu instid0(VALU_DEP_2) | instskip(NEXT) | instid1(VALU_DEP_2)
	v_sub_nc_u32_e32 v2, v2, v6
	v_lshrrev_b32_e32 v4, s17, v4
	s_delay_alu instid0(VALU_DEP_2) | instskip(SKIP_1) | instid1(VALU_DEP_3)
	v_mul_lo_u32 v6, v2, s24
	v_mul_lo_u32 v8, v2, s25
	v_mul_hi_u32 v5, s19, v4
	s_delay_alu instid0(VALU_DEP_1) | instskip(NEXT) | instid1(VALU_DEP_1)
	v_add_nc_u32_e32 v5, v4, v5
	v_lshrrev_b32_e32 v5, s36, v5
	s_delay_alu instid0(VALU_DEP_1) | instskip(SKIP_1) | instid1(VALU_DEP_2)
	v_mul_hi_u32 v7, s38, v5
	v_mul_lo_u32 v9, v5, s18
	v_add_nc_u32_e32 v2, v5, v7
	v_mul_lo_u32 v7, v4, s15
	s_delay_alu instid0(VALU_DEP_3) | instskip(NEXT) | instid1(VALU_DEP_3)
	v_sub_nc_u32_e32 v4, v4, v9
	v_lshrrev_b32_e32 v2, s39, v2
	s_delay_alu instid0(VALU_DEP_2) | instskip(SKIP_2) | instid1(VALU_DEP_4)
	v_mul_lo_u32 v9, v4, s28
	v_mul_lo_u32 v4, v4, s29
	v_sub_nc_u32_e32 v3, v3, v7
	v_mul_lo_u32 v10, v2, s37
	s_delay_alu instid0(VALU_DEP_2) | instskip(SKIP_1) | instid1(VALU_DEP_3)
	v_mul_lo_u32 v7, v3, s26
	v_mul_lo_u32 v3, v3, s27
	v_sub_nc_u32_e32 v5, v5, v10
	s_delay_alu instid0(VALU_DEP_3) | instskip(NEXT) | instid1(VALU_DEP_2)
	v_add3_u32 v0, v6, v0, v7
	v_mul_lo_u32 v10, v5, s30
	v_mul_lo_u32 v5, v5, s31
	v_add3_u32 v1, v8, v1, v3
	s_delay_alu instid0(VALU_DEP_3) | instskip(NEXT) | instid1(VALU_DEP_2)
	v_add3_u32 v0, v9, v0, v10
	v_add3_u32 v1, v4, v1, v5
	s_cbranch_scc1 .LBB455_12
; %bb.13:
	s_and_b32 s7, s7, 3
	s_delay_alu instid0(SALU_CYCLE_1)
	s_cmp_eq_u32 s7, 0
	s_cbranch_scc0 .LBB455_24
	s_branch .LBB455_26
.LBB455_14:
	s_or_b32 exec_lo, exec_lo, s31
	s_delay_alu instid0(SALU_CYCLE_1)
	s_mov_b32 s31, exec_lo
	v_cmpx_gt_i32_e64 s28, v12
	s_cbranch_execz .LBB455_129
.LBB455_15:
	s_and_not1_b32 vcc_lo, exec_lo, s24
	s_cbranch_vccnz .LBB455_22
; %bb.16:
	v_dual_mov_b32 v0, 0 :: v_dual_mov_b32 v1, 0
	s_and_not1_b32 vcc_lo, exec_lo, s30
	s_mov_b32 s33, 0
	s_cbranch_vccnz .LBB455_140
; %bb.17:
	v_mov_b32_e32 v0, 0
	s_add_i32 s35, s29, 1
	s_cmp_eq_u32 s23, 2
	s_mov_b32 s34, 0
	s_cbranch_scc1 .LBB455_136
; %bb.18:
	v_dual_mov_b32 v1, 0 :: v_dual_mov_b32 v0, 0
	v_mov_b32_e32 v2, v12
	s_and_b32 s34, s35, 28
	s_mov_b32 s36, 0
	s_mov_b64 s[18:19], s[16:17]
	s_mov_b64 s[20:21], s[0:1]
.LBB455_19:                             ; =>This Inner Loop Header: Depth=1
	s_clause 0x1
	s_load_b256 s[40:47], s[20:21], 0x4
	s_load_b128 s[56:59], s[20:21], 0x24
	s_load_b256 s[48:55], s[18:19], 0x0
	s_add_u32 s20, s20, 48
	s_addc_u32 s21, s21, 0
	s_add_i32 s36, s36, 4
	s_add_u32 s18, s18, 32
	s_addc_u32 s19, s19, 0
	s_cmp_eq_u32 s34, s36
	s_waitcnt lgkmcnt(0)
	v_mul_hi_u32 v3, s41, v2
	s_delay_alu instid0(VALU_DEP_1) | instskip(NEXT) | instid1(VALU_DEP_1)
	v_add_nc_u32_e32 v3, v2, v3
	v_lshrrev_b32_e32 v3, s42, v3
	s_delay_alu instid0(VALU_DEP_1) | instskip(SKIP_1) | instid1(VALU_DEP_2)
	v_mul_hi_u32 v4, s44, v3
	v_mul_lo_u32 v6, v3, s40
	v_add_nc_u32_e32 v4, v3, v4
	s_delay_alu instid0(VALU_DEP_2) | instskip(NEXT) | instid1(VALU_DEP_2)
	v_sub_nc_u32_e32 v2, v2, v6
	v_lshrrev_b32_e32 v4, s45, v4
	s_delay_alu instid0(VALU_DEP_2) | instskip(SKIP_1) | instid1(VALU_DEP_3)
	v_mul_lo_u32 v6, v2, s48
	v_mul_lo_u32 v8, v2, s49
	v_mul_hi_u32 v5, s47, v4
	s_delay_alu instid0(VALU_DEP_1) | instskip(NEXT) | instid1(VALU_DEP_1)
	v_add_nc_u32_e32 v5, v4, v5
	v_lshrrev_b32_e32 v5, s56, v5
	s_delay_alu instid0(VALU_DEP_1) | instskip(SKIP_1) | instid1(VALU_DEP_2)
	v_mul_hi_u32 v7, s58, v5
	v_mul_lo_u32 v9, v5, s46
	v_add_nc_u32_e32 v2, v5, v7
	v_mul_lo_u32 v7, v4, s43
	s_delay_alu instid0(VALU_DEP_3) | instskip(NEXT) | instid1(VALU_DEP_3)
	v_sub_nc_u32_e32 v4, v4, v9
	v_lshrrev_b32_e32 v2, s59, v2
	s_delay_alu instid0(VALU_DEP_2) | instskip(SKIP_2) | instid1(VALU_DEP_4)
	v_mul_lo_u32 v9, v4, s52
	v_mul_lo_u32 v4, v4, s53
	v_sub_nc_u32_e32 v3, v3, v7
	v_mul_lo_u32 v10, v2, s57
	s_delay_alu instid0(VALU_DEP_2) | instskip(SKIP_1) | instid1(VALU_DEP_3)
	v_mul_lo_u32 v7, v3, s50
	v_mul_lo_u32 v3, v3, s51
	v_sub_nc_u32_e32 v5, v5, v10
	s_delay_alu instid0(VALU_DEP_3) | instskip(NEXT) | instid1(VALU_DEP_2)
	v_add3_u32 v0, v6, v0, v7
	v_mul_lo_u32 v10, v5, s54
	v_mul_lo_u32 v5, v5, s55
	v_add3_u32 v1, v8, v1, v3
	s_delay_alu instid0(VALU_DEP_3) | instskip(NEXT) | instid1(VALU_DEP_2)
	v_add3_u32 v0, v9, v0, v10
	v_add3_u32 v1, v4, v1, v5
	s_cbranch_scc0 .LBB455_19
	s_branch .LBB455_137
.LBB455_20:
	s_mov_b32 s6, -1
                                        ; implicit-def: $vgpr0
                                        ; implicit-def: $vgpr1
	s_branch .LBB455_26
.LBB455_21:
	s_mov_b32 s33, -1
                                        ; implicit-def: $vgpr0
                                        ; implicit-def: $vgpr1
	s_branch .LBB455_125
.LBB455_22:
	s_mov_b32 s33, -1
                                        ; implicit-def: $vgpr0
                                        ; implicit-def: $vgpr1
	s_branch .LBB455_140
.LBB455_23:
	v_dual_mov_b32 v2, v12 :: v_dual_mov_b32 v1, 0
	s_and_b32 s7, s7, 3
	s_delay_alu instid0(SALU_CYCLE_1)
	s_cmp_eq_u32 s7, 0
	s_cbranch_scc1 .LBB455_26
.LBB455_24:
	s_lshl_b32 s2, s8, 3
	s_mul_i32 s4, s8, 12
	s_add_u32 s2, s2, s0
	s_addc_u32 s3, 0, s1
	s_add_u32 s2, s2, 0xc4
	s_addc_u32 s3, s3, 0
	;; [unrolled: 2-line block ×3, first 2 shown]
	.p2align	6
.LBB455_25:                             ; =>This Inner Loop Header: Depth=1
	s_clause 0x1
	s_load_b64 s[8:9], s[4:5], 0x4
	s_load_b32 s12, s[4:5], 0xc
	s_load_b64 s[10:11], s[2:3], 0x0
	s_add_u32 s4, s4, 12
	s_addc_u32 s5, s5, 0
	s_add_u32 s2, s2, 8
	s_addc_u32 s3, s3, 0
	s_add_i32 s7, s7, -1
	s_delay_alu instid0(SALU_CYCLE_1) | instskip(SKIP_2) | instid1(VALU_DEP_1)
	s_cmp_lg_u32 s7, 0
	s_waitcnt lgkmcnt(0)
	v_mul_hi_u32 v3, s9, v2
	v_add_nc_u32_e32 v3, v2, v3
	s_delay_alu instid0(VALU_DEP_1) | instskip(NEXT) | instid1(VALU_DEP_1)
	v_lshrrev_b32_e32 v6, s12, v3
	v_mul_lo_u32 v3, v6, s8
	s_delay_alu instid0(VALU_DEP_1) | instskip(NEXT) | instid1(VALU_DEP_1)
	v_sub_nc_u32_e32 v2, v2, v3
	v_mad_u64_u32 v[3:4], null, v2, s10, v[0:1]
	v_mad_u64_u32 v[4:5], null, v2, s11, v[1:2]
	v_mov_b32_e32 v2, v6
	s_delay_alu instid0(VALU_DEP_2)
	v_dual_mov_b32 v0, v3 :: v_dual_mov_b32 v1, v4
	s_cbranch_scc1 .LBB455_25
.LBB455_26:
	s_and_not1_b32 vcc_lo, exec_lo, s6
	s_cbranch_vccnz .LBB455_29
; %bb.27:
	s_clause 0x1
	s_load_b128 s[4:7], s[0:1], 0x4
	s_load_b64 s[2:3], s[0:1], 0xc4
	s_cmp_lt_u32 s22, 2
	s_waitcnt lgkmcnt(0)
	v_mul_hi_u32 v0, s5, v12
	s_delay_alu instid0(VALU_DEP_1) | instskip(NEXT) | instid1(VALU_DEP_1)
	v_add_nc_u32_e32 v0, v12, v0
	v_lshrrev_b32_e32 v2, s6, v0
	s_delay_alu instid0(VALU_DEP_1) | instskip(NEXT) | instid1(VALU_DEP_1)
	v_mul_lo_u32 v0, v2, s4
	v_sub_nc_u32_e32 v1, v12, v0
	s_delay_alu instid0(VALU_DEP_1)
	v_mul_lo_u32 v0, v1, s2
	v_mul_lo_u32 v1, v1, s3
	s_cbranch_scc1 .LBB455_29
; %bb.28:
	s_clause 0x1
	s_load_b128 s[4:7], s[0:1], 0x10
	s_load_b64 s[2:3], s[0:1], 0xcc
	s_waitcnt lgkmcnt(0)
	v_mul_hi_u32 v3, s5, v2
	s_delay_alu instid0(VALU_DEP_1) | instskip(NEXT) | instid1(VALU_DEP_1)
	v_add_nc_u32_e32 v3, v2, v3
	v_lshrrev_b32_e32 v3, s6, v3
	s_delay_alu instid0(VALU_DEP_1) | instskip(NEXT) | instid1(VALU_DEP_1)
	v_mul_lo_u32 v3, v3, s4
	v_sub_nc_u32_e32 v5, v2, v3
	s_delay_alu instid0(VALU_DEP_1) | instskip(NEXT) | instid1(VALU_DEP_1)
	v_mad_u64_u32 v[2:3], null, v5, s2, v[0:1]
	v_mad_u64_u32 v[3:4], null, v5, s3, v[1:2]
	s_delay_alu instid0(VALU_DEP_1)
	v_dual_mov_b32 v0, v2 :: v_dual_mov_b32 v1, v3
.LBB455_29:
	v_cmp_ne_u32_e32 vcc_lo, 1, v14
	v_add_nc_u32_e32 v4, 0x80, v12
	s_cbranch_vccnz .LBB455_35
; %bb.30:
	v_dual_mov_b32 v2, 0 :: v_dual_mov_b32 v3, 0
	s_cmp_lg_u32 s22, 0
	s_mov_b32 s6, 0
	s_cbranch_scc0 .LBB455_39
; %bb.31:
	s_min_u32 s7, s23, 15
	v_mov_b32_e32 v2, 0
	s_add_i32 s7, s7, 1
	s_cmp_eq_u32 s23, 2
	s_mov_b32 s8, 0
	s_cbranch_scc1 .LBB455_36
; %bb.32:
	v_dual_mov_b32 v3, 0 :: v_dual_mov_b32 v2, 0
	v_mov_b32_e32 v5, v4
	s_add_u32 s2, s0, 0xc4
	s_addc_u32 s3, s1, 0
	s_and_b32 s8, s7, 28
	s_mov_b32 s9, 0
	s_mov_b64 s[4:5], s[0:1]
.LBB455_33:                             ; =>This Inner Loop Header: Depth=1
	s_clause 0x1
	s_load_b256 s[12:19], s[4:5], 0x4
	s_load_b128 s[36:39], s[4:5], 0x24
	s_load_b256 s[24:31], s[2:3], 0x0
	s_add_u32 s4, s4, 48
	s_addc_u32 s5, s5, 0
	s_add_i32 s9, s9, 4
	s_add_u32 s2, s2, 32
	s_addc_u32 s3, s3, 0
	s_cmp_lg_u32 s8, s9
	s_waitcnt lgkmcnt(0)
	v_mul_hi_u32 v6, s13, v5
	s_delay_alu instid0(VALU_DEP_1) | instskip(NEXT) | instid1(VALU_DEP_1)
	v_add_nc_u32_e32 v6, v5, v6
	v_lshrrev_b32_e32 v6, s14, v6
	s_delay_alu instid0(VALU_DEP_1) | instskip(SKIP_1) | instid1(VALU_DEP_2)
	v_mul_hi_u32 v7, s16, v6
	v_mul_lo_u32 v9, v6, s12
	v_add_nc_u32_e32 v7, v6, v7
	s_delay_alu instid0(VALU_DEP_2) | instskip(NEXT) | instid1(VALU_DEP_2)
	v_sub_nc_u32_e32 v5, v5, v9
	v_lshrrev_b32_e32 v7, s17, v7
	s_delay_alu instid0(VALU_DEP_2) | instskip(SKIP_1) | instid1(VALU_DEP_3)
	v_mul_lo_u32 v9, v5, s24
	v_mul_lo_u32 v11, v5, s25
	v_mul_hi_u32 v8, s19, v7
	s_delay_alu instid0(VALU_DEP_1) | instskip(NEXT) | instid1(VALU_DEP_1)
	v_add_nc_u32_e32 v8, v7, v8
	v_lshrrev_b32_e32 v8, s36, v8
	s_delay_alu instid0(VALU_DEP_1) | instskip(SKIP_1) | instid1(VALU_DEP_2)
	v_mul_hi_u32 v10, s38, v8
	v_mul_lo_u32 v13, v8, s18
	v_add_nc_u32_e32 v5, v8, v10
	v_mul_lo_u32 v10, v7, s15
	s_delay_alu instid0(VALU_DEP_3) | instskip(NEXT) | instid1(VALU_DEP_3)
	v_sub_nc_u32_e32 v7, v7, v13
	v_lshrrev_b32_e32 v5, s39, v5
	s_delay_alu instid0(VALU_DEP_2) | instskip(SKIP_2) | instid1(VALU_DEP_4)
	v_mul_lo_u32 v13, v7, s28
	v_mul_lo_u32 v7, v7, s29
	v_sub_nc_u32_e32 v6, v6, v10
	v_mul_lo_u32 v15, v5, s37
	s_delay_alu instid0(VALU_DEP_2) | instskip(SKIP_1) | instid1(VALU_DEP_3)
	v_mul_lo_u32 v10, v6, s26
	v_mul_lo_u32 v6, v6, s27
	v_sub_nc_u32_e32 v8, v8, v15
	s_delay_alu instid0(VALU_DEP_3) | instskip(NEXT) | instid1(VALU_DEP_2)
	v_add3_u32 v2, v9, v2, v10
	v_mul_lo_u32 v15, v8, s30
	v_mul_lo_u32 v8, v8, s31
	v_add3_u32 v3, v11, v3, v6
	s_delay_alu instid0(VALU_DEP_3) | instskip(NEXT) | instid1(VALU_DEP_2)
	v_add3_u32 v2, v13, v2, v15
	v_add3_u32 v3, v7, v3, v8
	s_cbranch_scc1 .LBB455_33
; %bb.34:
	s_and_b32 s7, s7, 3
	s_delay_alu instid0(SALU_CYCLE_1)
	s_cmp_eq_u32 s7, 0
	s_cbranch_scc0 .LBB455_37
	s_branch .LBB455_39
.LBB455_35:
	s_mov_b32 s6, -1
                                        ; implicit-def: $vgpr2
                                        ; implicit-def: $vgpr3
	s_branch .LBB455_39
.LBB455_36:
	v_mov_b32_e32 v5, v4
	v_mov_b32_e32 v3, 0
	s_and_b32 s7, s7, 3
	s_delay_alu instid0(SALU_CYCLE_1)
	s_cmp_eq_u32 s7, 0
	s_cbranch_scc1 .LBB455_39
.LBB455_37:
	s_lshl_b32 s2, s8, 3
	s_mul_i32 s4, s8, 12
	s_add_u32 s2, s2, s0
	s_addc_u32 s3, 0, s1
	s_add_u32 s2, s2, 0xc4
	s_addc_u32 s3, s3, 0
	s_add_u32 s4, s0, s4
	s_addc_u32 s5, 0, s1
	.p2align	6
.LBB455_38:                             ; =>This Inner Loop Header: Depth=1
	s_clause 0x1
	s_load_b64 s[8:9], s[4:5], 0x4
	s_load_b32 s12, s[4:5], 0xc
	s_load_b64 s[10:11], s[2:3], 0x0
	s_add_u32 s4, s4, 12
	s_addc_u32 s5, s5, 0
	s_add_u32 s2, s2, 8
	s_addc_u32 s3, s3, 0
	s_add_i32 s7, s7, -1
	s_delay_alu instid0(SALU_CYCLE_1) | instskip(SKIP_2) | instid1(VALU_DEP_1)
	s_cmp_lg_u32 s7, 0
	s_waitcnt lgkmcnt(0)
	v_mul_hi_u32 v6, s9, v5
	v_add_nc_u32_e32 v6, v5, v6
	s_delay_alu instid0(VALU_DEP_1) | instskip(NEXT) | instid1(VALU_DEP_1)
	v_lshrrev_b32_e32 v9, s12, v6
	v_mul_lo_u32 v6, v9, s8
	s_delay_alu instid0(VALU_DEP_1) | instskip(NEXT) | instid1(VALU_DEP_1)
	v_sub_nc_u32_e32 v5, v5, v6
	v_mad_u64_u32 v[6:7], null, v5, s10, v[2:3]
	v_mad_u64_u32 v[7:8], null, v5, s11, v[3:4]
	s_delay_alu instid0(VALU_DEP_2) | instskip(NEXT) | instid1(VALU_DEP_2)
	v_dual_mov_b32 v5, v9 :: v_dual_mov_b32 v2, v6
	v_mov_b32_e32 v3, v7
	s_cbranch_scc1 .LBB455_38
.LBB455_39:
	s_and_not1_b32 vcc_lo, exec_lo, s6
	s_cbranch_vccnz .LBB455_42
; %bb.40:
	s_clause 0x1
	s_load_b128 s[4:7], s[0:1], 0x4
	s_load_b64 s[2:3], s[0:1], 0xc4
	s_cmp_lt_u32 s22, 2
	s_waitcnt lgkmcnt(0)
	v_mul_hi_u32 v2, s5, v4
	s_delay_alu instid0(VALU_DEP_1) | instskip(NEXT) | instid1(VALU_DEP_1)
	v_add_nc_u32_e32 v2, v4, v2
	v_lshrrev_b32_e32 v5, s6, v2
	s_delay_alu instid0(VALU_DEP_1) | instskip(NEXT) | instid1(VALU_DEP_1)
	v_mul_lo_u32 v2, v5, s4
	v_sub_nc_u32_e32 v3, v4, v2
	s_delay_alu instid0(VALU_DEP_1)
	v_mul_lo_u32 v2, v3, s2
	v_mul_lo_u32 v3, v3, s3
	s_cbranch_scc1 .LBB455_42
; %bb.41:
	s_clause 0x1
	s_load_b128 s[4:7], s[0:1], 0x10
	s_load_b64 s[2:3], s[0:1], 0xcc
	s_waitcnt lgkmcnt(0)
	v_mul_hi_u32 v4, s5, v5
	s_delay_alu instid0(VALU_DEP_1) | instskip(NEXT) | instid1(VALU_DEP_1)
	v_add_nc_u32_e32 v4, v5, v4
	v_lshrrev_b32_e32 v4, s6, v4
	s_delay_alu instid0(VALU_DEP_1) | instskip(NEXT) | instid1(VALU_DEP_1)
	v_mul_lo_u32 v4, v4, s4
	v_sub_nc_u32_e32 v7, v5, v4
	s_delay_alu instid0(VALU_DEP_1) | instskip(NEXT) | instid1(VALU_DEP_1)
	v_mad_u64_u32 v[4:5], null, v7, s2, v[2:3]
	v_mad_u64_u32 v[5:6], null, v7, s3, v[3:4]
	s_delay_alu instid0(VALU_DEP_1)
	v_dual_mov_b32 v2, v4 :: v_dual_mov_b32 v3, v5
.LBB455_42:
	v_cmp_ne_u32_e32 vcc_lo, 1, v14
	v_add_nc_u32_e32 v6, 0x100, v12
	s_cbranch_vccnz .LBB455_48
; %bb.43:
	v_dual_mov_b32 v4, 0 :: v_dual_mov_b32 v5, 0
	s_cmp_lg_u32 s22, 0
	s_mov_b32 s6, 0
	s_cbranch_scc0 .LBB455_52
; %bb.44:
	s_min_u32 s7, s23, 15
	v_mov_b32_e32 v4, 0
	s_add_i32 s7, s7, 1
	s_cmp_eq_u32 s23, 2
	s_mov_b32 s8, 0
	s_cbranch_scc1 .LBB455_49
; %bb.45:
	v_dual_mov_b32 v5, 0 :: v_dual_mov_b32 v4, 0
	v_mov_b32_e32 v7, v6
	s_add_u32 s2, s0, 0xc4
	s_addc_u32 s3, s1, 0
	s_and_b32 s8, s7, 28
	s_mov_b32 s9, 0
	s_mov_b64 s[4:5], s[0:1]
.LBB455_46:                             ; =>This Inner Loop Header: Depth=1
	s_clause 0x1
	s_load_b256 s[12:19], s[4:5], 0x4
	s_load_b128 s[36:39], s[4:5], 0x24
	s_load_b256 s[24:31], s[2:3], 0x0
	s_add_u32 s4, s4, 48
	s_addc_u32 s5, s5, 0
	s_add_i32 s9, s9, 4
	s_add_u32 s2, s2, 32
	s_addc_u32 s3, s3, 0
	s_cmp_lg_u32 s8, s9
	s_waitcnt lgkmcnt(0)
	v_mul_hi_u32 v8, s13, v7
	s_delay_alu instid0(VALU_DEP_1) | instskip(NEXT) | instid1(VALU_DEP_1)
	v_add_nc_u32_e32 v8, v7, v8
	v_lshrrev_b32_e32 v8, s14, v8
	s_delay_alu instid0(VALU_DEP_1) | instskip(SKIP_1) | instid1(VALU_DEP_2)
	v_mul_hi_u32 v9, s16, v8
	v_mul_lo_u32 v11, v8, s12
	v_add_nc_u32_e32 v9, v8, v9
	s_delay_alu instid0(VALU_DEP_2) | instskip(NEXT) | instid1(VALU_DEP_2)
	v_sub_nc_u32_e32 v7, v7, v11
	v_lshrrev_b32_e32 v9, s17, v9
	s_delay_alu instid0(VALU_DEP_2) | instskip(SKIP_1) | instid1(VALU_DEP_3)
	v_mul_lo_u32 v11, v7, s24
	v_mul_lo_u32 v15, v7, s25
	v_mul_hi_u32 v10, s19, v9
	s_delay_alu instid0(VALU_DEP_1) | instskip(NEXT) | instid1(VALU_DEP_1)
	v_add_nc_u32_e32 v10, v9, v10
	v_lshrrev_b32_e32 v10, s36, v10
	s_delay_alu instid0(VALU_DEP_1) | instskip(SKIP_1) | instid1(VALU_DEP_2)
	v_mul_hi_u32 v13, s38, v10
	v_mul_lo_u32 v17, v10, s18
	v_add_nc_u32_e32 v7, v10, v13
	v_mul_lo_u32 v13, v9, s15
	s_delay_alu instid0(VALU_DEP_3) | instskip(NEXT) | instid1(VALU_DEP_3)
	v_sub_nc_u32_e32 v9, v9, v17
	v_lshrrev_b32_e32 v7, s39, v7
	s_delay_alu instid0(VALU_DEP_2) | instskip(SKIP_2) | instid1(VALU_DEP_4)
	v_mul_lo_u32 v17, v9, s28
	v_mul_lo_u32 v9, v9, s29
	v_sub_nc_u32_e32 v8, v8, v13
	v_mul_lo_u32 v18, v7, s37
	s_delay_alu instid0(VALU_DEP_2) | instskip(SKIP_1) | instid1(VALU_DEP_3)
	v_mul_lo_u32 v13, v8, s26
	v_mul_lo_u32 v8, v8, s27
	v_sub_nc_u32_e32 v10, v10, v18
	s_delay_alu instid0(VALU_DEP_3) | instskip(NEXT) | instid1(VALU_DEP_2)
	v_add3_u32 v4, v11, v4, v13
	v_mul_lo_u32 v18, v10, s30
	v_mul_lo_u32 v10, v10, s31
	v_add3_u32 v5, v15, v5, v8
	s_delay_alu instid0(VALU_DEP_3) | instskip(NEXT) | instid1(VALU_DEP_2)
	v_add3_u32 v4, v17, v4, v18
	v_add3_u32 v5, v9, v5, v10
	s_cbranch_scc1 .LBB455_46
; %bb.47:
	s_and_b32 s7, s7, 3
	s_delay_alu instid0(SALU_CYCLE_1)
	s_cmp_eq_u32 s7, 0
	s_cbranch_scc0 .LBB455_50
	s_branch .LBB455_52
.LBB455_48:
	s_mov_b32 s6, -1
                                        ; implicit-def: $vgpr4
                                        ; implicit-def: $vgpr5
	s_branch .LBB455_52
.LBB455_49:
	v_mov_b32_e32 v7, v6
	v_mov_b32_e32 v5, 0
	s_and_b32 s7, s7, 3
	s_delay_alu instid0(SALU_CYCLE_1)
	s_cmp_eq_u32 s7, 0
	s_cbranch_scc1 .LBB455_52
.LBB455_50:
	s_lshl_b32 s2, s8, 3
	s_mul_i32 s4, s8, 12
	s_add_u32 s2, s2, s0
	s_addc_u32 s3, 0, s1
	s_add_u32 s2, s2, 0xc4
	s_addc_u32 s3, s3, 0
	;; [unrolled: 2-line block ×3, first 2 shown]
	.p2align	6
.LBB455_51:                             ; =>This Inner Loop Header: Depth=1
	s_clause 0x1
	s_load_b64 s[8:9], s[4:5], 0x4
	s_load_b32 s12, s[4:5], 0xc
	s_load_b64 s[10:11], s[2:3], 0x0
	s_add_u32 s4, s4, 12
	s_addc_u32 s5, s5, 0
	s_add_u32 s2, s2, 8
	s_addc_u32 s3, s3, 0
	s_add_i32 s7, s7, -1
	s_delay_alu instid0(SALU_CYCLE_1) | instskip(SKIP_2) | instid1(VALU_DEP_1)
	s_cmp_lg_u32 s7, 0
	s_waitcnt lgkmcnt(0)
	v_mul_hi_u32 v8, s9, v7
	v_add_nc_u32_e32 v8, v7, v8
	s_delay_alu instid0(VALU_DEP_1) | instskip(NEXT) | instid1(VALU_DEP_1)
	v_lshrrev_b32_e32 v11, s12, v8
	v_mul_lo_u32 v8, v11, s8
	s_delay_alu instid0(VALU_DEP_1) | instskip(NEXT) | instid1(VALU_DEP_1)
	v_sub_nc_u32_e32 v7, v7, v8
	v_mad_u64_u32 v[8:9], null, v7, s10, v[4:5]
	v_mad_u64_u32 v[9:10], null, v7, s11, v[5:6]
	s_delay_alu instid0(VALU_DEP_2) | instskip(NEXT) | instid1(VALU_DEP_2)
	v_dual_mov_b32 v7, v11 :: v_dual_mov_b32 v4, v8
	v_mov_b32_e32 v5, v9
	s_cbranch_scc1 .LBB455_51
.LBB455_52:
	s_and_not1_b32 vcc_lo, exec_lo, s6
	s_cbranch_vccnz .LBB455_55
; %bb.53:
	s_clause 0x1
	s_load_b128 s[4:7], s[0:1], 0x4
	s_load_b64 s[2:3], s[0:1], 0xc4
	s_cmp_lt_u32 s22, 2
	s_waitcnt lgkmcnt(0)
	v_mul_hi_u32 v4, s5, v6
	s_delay_alu instid0(VALU_DEP_1) | instskip(NEXT) | instid1(VALU_DEP_1)
	v_add_nc_u32_e32 v4, v6, v4
	v_lshrrev_b32_e32 v7, s6, v4
	s_delay_alu instid0(VALU_DEP_1) | instskip(NEXT) | instid1(VALU_DEP_1)
	v_mul_lo_u32 v4, v7, s4
	v_sub_nc_u32_e32 v5, v6, v4
	s_delay_alu instid0(VALU_DEP_1)
	v_mul_lo_u32 v4, v5, s2
	v_mul_lo_u32 v5, v5, s3
	s_cbranch_scc1 .LBB455_55
; %bb.54:
	s_clause 0x1
	s_load_b128 s[4:7], s[0:1], 0x10
	s_load_b64 s[2:3], s[0:1], 0xcc
	s_waitcnt lgkmcnt(0)
	v_mul_hi_u32 v6, s5, v7
	s_delay_alu instid0(VALU_DEP_1) | instskip(NEXT) | instid1(VALU_DEP_1)
	v_add_nc_u32_e32 v6, v7, v6
	v_lshrrev_b32_e32 v6, s6, v6
	s_delay_alu instid0(VALU_DEP_1) | instskip(NEXT) | instid1(VALU_DEP_1)
	v_mul_lo_u32 v6, v6, s4
	v_sub_nc_u32_e32 v9, v7, v6
	s_delay_alu instid0(VALU_DEP_1) | instskip(NEXT) | instid1(VALU_DEP_1)
	v_mad_u64_u32 v[6:7], null, v9, s2, v[4:5]
	v_mad_u64_u32 v[7:8], null, v9, s3, v[5:6]
	s_delay_alu instid0(VALU_DEP_1)
	v_dual_mov_b32 v4, v6 :: v_dual_mov_b32 v5, v7
.LBB455_55:
	v_cmp_ne_u32_e32 vcc_lo, 1, v14
	v_add_nc_u32_e32 v8, 0x180, v12
	s_cbranch_vccnz .LBB455_61
; %bb.56:
	v_dual_mov_b32 v6, 0 :: v_dual_mov_b32 v7, 0
	s_cmp_lg_u32 s22, 0
	s_mov_b32 s6, 0
	s_cbranch_scc0 .LBB455_65
; %bb.57:
	s_min_u32 s7, s23, 15
	v_mov_b32_e32 v6, 0
	s_add_i32 s7, s7, 1
	s_cmp_eq_u32 s23, 2
	s_mov_b32 s8, 0
	s_cbranch_scc1 .LBB455_62
; %bb.58:
	v_dual_mov_b32 v7, 0 :: v_dual_mov_b32 v6, 0
	v_mov_b32_e32 v9, v8
	s_add_u32 s2, s0, 0xc4
	s_addc_u32 s3, s1, 0
	s_and_b32 s8, s7, 28
	s_mov_b32 s9, 0
	s_mov_b64 s[4:5], s[0:1]
.LBB455_59:                             ; =>This Inner Loop Header: Depth=1
	s_clause 0x1
	s_load_b256 s[12:19], s[4:5], 0x4
	s_load_b128 s[36:39], s[4:5], 0x24
	s_load_b256 s[24:31], s[2:3], 0x0
	s_add_u32 s4, s4, 48
	s_addc_u32 s5, s5, 0
	s_add_i32 s9, s9, 4
	s_add_u32 s2, s2, 32
	s_addc_u32 s3, s3, 0
	s_cmp_lg_u32 s8, s9
	s_waitcnt lgkmcnt(0)
	v_mul_hi_u32 v10, s13, v9
	s_delay_alu instid0(VALU_DEP_1) | instskip(NEXT) | instid1(VALU_DEP_1)
	v_add_nc_u32_e32 v10, v9, v10
	v_lshrrev_b32_e32 v10, s14, v10
	s_delay_alu instid0(VALU_DEP_1) | instskip(SKIP_1) | instid1(VALU_DEP_2)
	v_mul_hi_u32 v11, s16, v10
	v_mul_lo_u32 v15, v10, s12
	v_add_nc_u32_e32 v11, v10, v11
	s_delay_alu instid0(VALU_DEP_2) | instskip(NEXT) | instid1(VALU_DEP_2)
	v_sub_nc_u32_e32 v9, v9, v15
	v_lshrrev_b32_e32 v11, s17, v11
	s_delay_alu instid0(VALU_DEP_2) | instskip(SKIP_1) | instid1(VALU_DEP_3)
	v_mul_lo_u32 v15, v9, s24
	v_mul_lo_u32 v18, v9, s25
	v_mul_hi_u32 v13, s19, v11
	s_delay_alu instid0(VALU_DEP_1) | instskip(NEXT) | instid1(VALU_DEP_1)
	v_add_nc_u32_e32 v13, v11, v13
	v_lshrrev_b32_e32 v13, s36, v13
	s_delay_alu instid0(VALU_DEP_1) | instskip(SKIP_1) | instid1(VALU_DEP_2)
	v_mul_hi_u32 v17, s38, v13
	v_mul_lo_u32 v19, v13, s18
	v_add_nc_u32_e32 v9, v13, v17
	v_mul_lo_u32 v17, v11, s15
	s_delay_alu instid0(VALU_DEP_3) | instskip(NEXT) | instid1(VALU_DEP_3)
	v_sub_nc_u32_e32 v11, v11, v19
	v_lshrrev_b32_e32 v9, s39, v9
	s_delay_alu instid0(VALU_DEP_2) | instskip(SKIP_2) | instid1(VALU_DEP_4)
	v_mul_lo_u32 v19, v11, s28
	v_mul_lo_u32 v11, v11, s29
	v_sub_nc_u32_e32 v10, v10, v17
	v_mul_lo_u32 v20, v9, s37
	s_delay_alu instid0(VALU_DEP_2) | instskip(SKIP_1) | instid1(VALU_DEP_3)
	v_mul_lo_u32 v17, v10, s26
	v_mul_lo_u32 v10, v10, s27
	v_sub_nc_u32_e32 v13, v13, v20
	s_delay_alu instid0(VALU_DEP_3) | instskip(NEXT) | instid1(VALU_DEP_2)
	v_add3_u32 v6, v15, v6, v17
	v_mul_lo_u32 v20, v13, s30
	v_mul_lo_u32 v13, v13, s31
	v_add3_u32 v7, v18, v7, v10
	s_delay_alu instid0(VALU_DEP_3) | instskip(NEXT) | instid1(VALU_DEP_2)
	v_add3_u32 v6, v19, v6, v20
	v_add3_u32 v7, v11, v7, v13
	s_cbranch_scc1 .LBB455_59
; %bb.60:
	s_and_b32 s7, s7, 3
	s_delay_alu instid0(SALU_CYCLE_1)
	s_cmp_eq_u32 s7, 0
	s_cbranch_scc0 .LBB455_63
	s_branch .LBB455_65
.LBB455_61:
	s_mov_b32 s6, -1
                                        ; implicit-def: $vgpr6
                                        ; implicit-def: $vgpr7
	s_branch .LBB455_65
.LBB455_62:
	v_mov_b32_e32 v9, v8
	v_mov_b32_e32 v7, 0
	s_and_b32 s7, s7, 3
	s_delay_alu instid0(SALU_CYCLE_1)
	s_cmp_eq_u32 s7, 0
	s_cbranch_scc1 .LBB455_65
.LBB455_63:
	s_lshl_b32 s2, s8, 3
	s_mul_i32 s4, s8, 12
	s_add_u32 s2, s2, s0
	s_addc_u32 s3, 0, s1
	s_add_u32 s2, s2, 0xc4
	s_addc_u32 s3, s3, 0
	;; [unrolled: 2-line block ×3, first 2 shown]
	.p2align	6
.LBB455_64:                             ; =>This Inner Loop Header: Depth=1
	s_clause 0x1
	s_load_b64 s[8:9], s[4:5], 0x4
	s_load_b32 s12, s[4:5], 0xc
	s_load_b64 s[10:11], s[2:3], 0x0
	s_add_u32 s4, s4, 12
	s_addc_u32 s5, s5, 0
	s_add_u32 s2, s2, 8
	s_addc_u32 s3, s3, 0
	s_add_i32 s7, s7, -1
	s_delay_alu instid0(SALU_CYCLE_1) | instskip(SKIP_2) | instid1(VALU_DEP_1)
	s_cmp_lg_u32 s7, 0
	s_waitcnt lgkmcnt(0)
	v_mul_hi_u32 v10, s9, v9
	v_add_nc_u32_e32 v10, v9, v10
	s_delay_alu instid0(VALU_DEP_1) | instskip(NEXT) | instid1(VALU_DEP_1)
	v_lshrrev_b32_e32 v13, s12, v10
	v_mul_lo_u32 v10, v13, s8
	s_delay_alu instid0(VALU_DEP_1) | instskip(NEXT) | instid1(VALU_DEP_1)
	v_sub_nc_u32_e32 v9, v9, v10
	v_mad_u64_u32 v[10:11], null, v9, s10, v[6:7]
	v_mad_u64_u32 v[17:18], null, v9, s11, v[7:8]
	s_delay_alu instid0(VALU_DEP_2) | instskip(NEXT) | instid1(VALU_DEP_2)
	v_dual_mov_b32 v9, v13 :: v_dual_mov_b32 v6, v10
	v_mov_b32_e32 v7, v17
	s_cbranch_scc1 .LBB455_64
.LBB455_65:
	s_and_not1_b32 vcc_lo, exec_lo, s6
	s_cbranch_vccnz .LBB455_68
; %bb.66:
	s_clause 0x1
	s_load_b128 s[4:7], s[0:1], 0x4
	s_load_b64 s[2:3], s[0:1], 0xc4
	s_cmp_lt_u32 s22, 2
	s_waitcnt lgkmcnt(0)
	v_mul_hi_u32 v6, s5, v8
	s_delay_alu instid0(VALU_DEP_1) | instskip(NEXT) | instid1(VALU_DEP_1)
	v_add_nc_u32_e32 v6, v8, v6
	v_lshrrev_b32_e32 v9, s6, v6
	s_delay_alu instid0(VALU_DEP_1) | instskip(NEXT) | instid1(VALU_DEP_1)
	v_mul_lo_u32 v6, v9, s4
	v_sub_nc_u32_e32 v7, v8, v6
	s_delay_alu instid0(VALU_DEP_1)
	v_mul_lo_u32 v6, v7, s2
	v_mul_lo_u32 v7, v7, s3
	s_cbranch_scc1 .LBB455_68
; %bb.67:
	s_clause 0x1
	s_load_b128 s[4:7], s[0:1], 0x10
	s_load_b64 s[2:3], s[0:1], 0xcc
	s_waitcnt lgkmcnt(0)
	v_mul_hi_u32 v8, s5, v9
	s_delay_alu instid0(VALU_DEP_1) | instskip(NEXT) | instid1(VALU_DEP_1)
	v_add_nc_u32_e32 v8, v9, v8
	v_lshrrev_b32_e32 v8, s6, v8
	s_delay_alu instid0(VALU_DEP_1) | instskip(NEXT) | instid1(VALU_DEP_1)
	v_mul_lo_u32 v8, v8, s4
	v_sub_nc_u32_e32 v11, v9, v8
	s_delay_alu instid0(VALU_DEP_1) | instskip(NEXT) | instid1(VALU_DEP_1)
	v_mad_u64_u32 v[8:9], null, v11, s2, v[6:7]
	v_mad_u64_u32 v[9:10], null, v11, s3, v[7:8]
	s_delay_alu instid0(VALU_DEP_1)
	v_dual_mov_b32 v6, v8 :: v_dual_mov_b32 v7, v9
.LBB455_68:
	v_cmp_ne_u32_e32 vcc_lo, 1, v14
	v_add_nc_u32_e32 v10, 0x200, v12
	s_cbranch_vccnz .LBB455_74
; %bb.69:
	v_dual_mov_b32 v8, 0 :: v_dual_mov_b32 v9, 0
	s_cmp_lg_u32 s22, 0
	s_mov_b32 s6, 0
	s_cbranch_scc0 .LBB455_78
; %bb.70:
	s_min_u32 s7, s23, 15
	v_mov_b32_e32 v8, 0
	s_add_i32 s7, s7, 1
	s_cmp_eq_u32 s23, 2
	s_mov_b32 s8, 0
	s_cbranch_scc1 .LBB455_75
; %bb.71:
	v_dual_mov_b32 v9, 0 :: v_dual_mov_b32 v8, 0
	v_mov_b32_e32 v11, v10
	s_add_u32 s2, s0, 0xc4
	s_addc_u32 s3, s1, 0
	s_and_b32 s8, s7, 28
	s_mov_b32 s9, 0
	s_mov_b64 s[4:5], s[0:1]
.LBB455_72:                             ; =>This Inner Loop Header: Depth=1
	s_clause 0x1
	s_load_b256 s[12:19], s[4:5], 0x4
	s_load_b128 s[36:39], s[4:5], 0x24
	s_load_b256 s[24:31], s[2:3], 0x0
	s_add_u32 s4, s4, 48
	s_addc_u32 s5, s5, 0
	s_add_i32 s9, s9, 4
	s_add_u32 s2, s2, 32
	s_addc_u32 s3, s3, 0
	s_cmp_lg_u32 s8, s9
	s_waitcnt lgkmcnt(0)
	v_mul_hi_u32 v13, s13, v11
	s_delay_alu instid0(VALU_DEP_1) | instskip(NEXT) | instid1(VALU_DEP_1)
	v_add_nc_u32_e32 v13, v11, v13
	v_lshrrev_b32_e32 v13, s14, v13
	s_delay_alu instid0(VALU_DEP_1) | instskip(SKIP_1) | instid1(VALU_DEP_2)
	v_mul_hi_u32 v15, s16, v13
	v_mul_lo_u32 v18, v13, s12
	v_add_nc_u32_e32 v15, v13, v15
	s_delay_alu instid0(VALU_DEP_2) | instskip(NEXT) | instid1(VALU_DEP_2)
	v_sub_nc_u32_e32 v11, v11, v18
	v_lshrrev_b32_e32 v15, s17, v15
	s_delay_alu instid0(VALU_DEP_2) | instskip(SKIP_1) | instid1(VALU_DEP_3)
	v_mul_lo_u32 v18, v11, s24
	v_mul_lo_u32 v20, v11, s25
	v_mul_hi_u32 v17, s19, v15
	s_delay_alu instid0(VALU_DEP_1) | instskip(NEXT) | instid1(VALU_DEP_1)
	v_add_nc_u32_e32 v17, v15, v17
	v_lshrrev_b32_e32 v17, s36, v17
	s_delay_alu instid0(VALU_DEP_1) | instskip(SKIP_1) | instid1(VALU_DEP_2)
	v_mul_hi_u32 v19, s38, v17
	v_mul_lo_u32 v21, v17, s18
	v_add_nc_u32_e32 v11, v17, v19
	v_mul_lo_u32 v19, v15, s15
	s_delay_alu instid0(VALU_DEP_3) | instskip(NEXT) | instid1(VALU_DEP_3)
	v_sub_nc_u32_e32 v15, v15, v21
	v_lshrrev_b32_e32 v11, s39, v11
	s_delay_alu instid0(VALU_DEP_2) | instskip(SKIP_2) | instid1(VALU_DEP_4)
	v_mul_lo_u32 v21, v15, s28
	v_mul_lo_u32 v15, v15, s29
	v_sub_nc_u32_e32 v13, v13, v19
	v_mul_lo_u32 v22, v11, s37
	s_delay_alu instid0(VALU_DEP_2) | instskip(SKIP_1) | instid1(VALU_DEP_3)
	v_mul_lo_u32 v19, v13, s26
	v_mul_lo_u32 v13, v13, s27
	v_sub_nc_u32_e32 v17, v17, v22
	s_delay_alu instid0(VALU_DEP_3) | instskip(NEXT) | instid1(VALU_DEP_2)
	v_add3_u32 v8, v18, v8, v19
	v_mul_lo_u32 v22, v17, s30
	v_mul_lo_u32 v17, v17, s31
	v_add3_u32 v9, v20, v9, v13
	s_delay_alu instid0(VALU_DEP_3) | instskip(NEXT) | instid1(VALU_DEP_2)
	v_add3_u32 v8, v21, v8, v22
	v_add3_u32 v9, v15, v9, v17
	s_cbranch_scc1 .LBB455_72
; %bb.73:
	s_and_b32 s7, s7, 3
	s_delay_alu instid0(SALU_CYCLE_1)
	s_cmp_eq_u32 s7, 0
	s_cbranch_scc0 .LBB455_76
	s_branch .LBB455_78
.LBB455_74:
	s_mov_b32 s6, -1
                                        ; implicit-def: $vgpr8
                                        ; implicit-def: $vgpr9
	s_branch .LBB455_78
.LBB455_75:
	v_mov_b32_e32 v11, v10
	v_mov_b32_e32 v9, 0
	s_and_b32 s7, s7, 3
	s_delay_alu instid0(SALU_CYCLE_1)
	s_cmp_eq_u32 s7, 0
	s_cbranch_scc1 .LBB455_78
.LBB455_76:
	s_lshl_b32 s2, s8, 3
	s_mul_i32 s4, s8, 12
	s_add_u32 s2, s2, s0
	s_addc_u32 s3, 0, s1
	s_add_u32 s2, s2, 0xc4
	s_addc_u32 s3, s3, 0
	s_add_u32 s4, s0, s4
	s_addc_u32 s5, 0, s1
	.p2align	6
.LBB455_77:                             ; =>This Inner Loop Header: Depth=1
	s_clause 0x1
	s_load_b64 s[8:9], s[4:5], 0x4
	s_load_b32 s12, s[4:5], 0xc
	s_load_b64 s[10:11], s[2:3], 0x0
	s_add_u32 s4, s4, 12
	s_addc_u32 s5, s5, 0
	s_add_u32 s2, s2, 8
	s_addc_u32 s3, s3, 0
	s_add_i32 s7, s7, -1
	s_delay_alu instid0(SALU_CYCLE_1) | instskip(SKIP_2) | instid1(VALU_DEP_1)
	s_cmp_lg_u32 s7, 0
	s_waitcnt lgkmcnt(0)
	v_mul_hi_u32 v13, s9, v11
	v_add_nc_u32_e32 v13, v11, v13
	s_delay_alu instid0(VALU_DEP_1) | instskip(NEXT) | instid1(VALU_DEP_1)
	v_lshrrev_b32_e32 v13, s12, v13
	v_mul_lo_u32 v15, v13, s8
	s_delay_alu instid0(VALU_DEP_1) | instskip(NEXT) | instid1(VALU_DEP_1)
	v_sub_nc_u32_e32 v11, v11, v15
	v_mad_u64_u32 v[17:18], null, v11, s10, v[8:9]
	v_mad_u64_u32 v[18:19], null, v11, s11, v[9:10]
	v_mov_b32_e32 v11, v13
	s_delay_alu instid0(VALU_DEP_2)
	v_dual_mov_b32 v8, v17 :: v_dual_mov_b32 v9, v18
	s_cbranch_scc1 .LBB455_77
.LBB455_78:
	s_and_not1_b32 vcc_lo, exec_lo, s6
	s_cbranch_vccnz .LBB455_81
; %bb.79:
	s_clause 0x1
	s_load_b128 s[4:7], s[0:1], 0x4
	s_load_b64 s[2:3], s[0:1], 0xc4
	s_cmp_lt_u32 s22, 2
	s_waitcnt lgkmcnt(0)
	v_mul_hi_u32 v8, s5, v10
	s_delay_alu instid0(VALU_DEP_1) | instskip(NEXT) | instid1(VALU_DEP_1)
	v_add_nc_u32_e32 v8, v10, v8
	v_lshrrev_b32_e32 v11, s6, v8
	s_delay_alu instid0(VALU_DEP_1) | instskip(NEXT) | instid1(VALU_DEP_1)
	v_mul_lo_u32 v8, v11, s4
	v_sub_nc_u32_e32 v9, v10, v8
	s_delay_alu instid0(VALU_DEP_1)
	v_mul_lo_u32 v8, v9, s2
	v_mul_lo_u32 v9, v9, s3
	s_cbranch_scc1 .LBB455_81
; %bb.80:
	s_clause 0x1
	s_load_b128 s[4:7], s[0:1], 0x10
	s_load_b64 s[2:3], s[0:1], 0xcc
	s_waitcnt lgkmcnt(0)
	v_mul_hi_u32 v10, s5, v11
	s_delay_alu instid0(VALU_DEP_1) | instskip(NEXT) | instid1(VALU_DEP_1)
	v_add_nc_u32_e32 v10, v11, v10
	v_lshrrev_b32_e32 v10, s6, v10
	s_delay_alu instid0(VALU_DEP_1) | instskip(NEXT) | instid1(VALU_DEP_1)
	v_mul_lo_u32 v10, v10, s4
	v_sub_nc_u32_e32 v13, v11, v10
	s_delay_alu instid0(VALU_DEP_1) | instskip(NEXT) | instid1(VALU_DEP_1)
	v_mad_u64_u32 v[10:11], null, v13, s2, v[8:9]
	v_mad_u64_u32 v[17:18], null, v13, s3, v[9:10]
	s_delay_alu instid0(VALU_DEP_1)
	v_dual_mov_b32 v8, v10 :: v_dual_mov_b32 v9, v17
.LBB455_81:
	v_cmp_ne_u32_e32 vcc_lo, 1, v14
	v_add_nc_u32_e32 v13, 0x280, v12
	s_cbranch_vccnz .LBB455_87
; %bb.82:
	v_dual_mov_b32 v10, 0 :: v_dual_mov_b32 v11, 0
	s_cmp_lg_u32 s22, 0
	s_mov_b32 s6, 0
	s_cbranch_scc0 .LBB455_91
; %bb.83:
	s_min_u32 s7, s23, 15
	v_mov_b32_e32 v10, 0
	s_add_i32 s7, s7, 1
	s_cmp_eq_u32 s23, 2
	s_mov_b32 s8, 0
	s_cbranch_scc1 .LBB455_88
; %bb.84:
	v_dual_mov_b32 v11, 0 :: v_dual_mov_b32 v10, 0
	v_mov_b32_e32 v15, v13
	s_add_u32 s2, s0, 0xc4
	s_addc_u32 s3, s1, 0
	s_and_b32 s8, s7, 28
	s_mov_b32 s9, 0
	s_mov_b64 s[4:5], s[0:1]
.LBB455_85:                             ; =>This Inner Loop Header: Depth=1
	s_clause 0x1
	s_load_b256 s[12:19], s[4:5], 0x4
	s_load_b128 s[36:39], s[4:5], 0x24
	s_load_b256 s[24:31], s[2:3], 0x0
	s_add_u32 s4, s4, 48
	s_addc_u32 s5, s5, 0
	s_add_i32 s9, s9, 4
	s_add_u32 s2, s2, 32
	s_addc_u32 s3, s3, 0
	s_cmp_lg_u32 s8, s9
	s_waitcnt lgkmcnt(0)
	v_mul_hi_u32 v17, s13, v15
	s_delay_alu instid0(VALU_DEP_1) | instskip(NEXT) | instid1(VALU_DEP_1)
	v_add_nc_u32_e32 v17, v15, v17
	v_lshrrev_b32_e32 v17, s14, v17
	s_delay_alu instid0(VALU_DEP_1) | instskip(SKIP_1) | instid1(VALU_DEP_2)
	v_mul_hi_u32 v18, s16, v17
	v_mul_lo_u32 v20, v17, s12
	v_add_nc_u32_e32 v18, v17, v18
	s_delay_alu instid0(VALU_DEP_2) | instskip(NEXT) | instid1(VALU_DEP_2)
	v_sub_nc_u32_e32 v15, v15, v20
	v_lshrrev_b32_e32 v18, s17, v18
	s_delay_alu instid0(VALU_DEP_2) | instskip(SKIP_1) | instid1(VALU_DEP_3)
	v_mul_lo_u32 v20, v15, s24
	v_mul_lo_u32 v22, v15, s25
	v_mul_hi_u32 v19, s19, v18
	s_delay_alu instid0(VALU_DEP_1) | instskip(NEXT) | instid1(VALU_DEP_1)
	v_add_nc_u32_e32 v19, v18, v19
	v_lshrrev_b32_e32 v19, s36, v19
	s_delay_alu instid0(VALU_DEP_1) | instskip(SKIP_1) | instid1(VALU_DEP_2)
	v_mul_hi_u32 v21, s38, v19
	v_mul_lo_u32 v23, v19, s18
	v_add_nc_u32_e32 v15, v19, v21
	v_mul_lo_u32 v21, v18, s15
	s_delay_alu instid0(VALU_DEP_3) | instskip(NEXT) | instid1(VALU_DEP_3)
	v_sub_nc_u32_e32 v18, v18, v23
	v_lshrrev_b32_e32 v15, s39, v15
	s_delay_alu instid0(VALU_DEP_2) | instskip(SKIP_2) | instid1(VALU_DEP_4)
	v_mul_lo_u32 v23, v18, s28
	v_mul_lo_u32 v18, v18, s29
	v_sub_nc_u32_e32 v17, v17, v21
	v_mul_lo_u32 v24, v15, s37
	s_delay_alu instid0(VALU_DEP_2) | instskip(SKIP_1) | instid1(VALU_DEP_3)
	v_mul_lo_u32 v21, v17, s26
	v_mul_lo_u32 v17, v17, s27
	v_sub_nc_u32_e32 v19, v19, v24
	s_delay_alu instid0(VALU_DEP_3) | instskip(NEXT) | instid1(VALU_DEP_2)
	v_add3_u32 v10, v20, v10, v21
	v_mul_lo_u32 v24, v19, s30
	v_mul_lo_u32 v19, v19, s31
	v_add3_u32 v11, v22, v11, v17
	s_delay_alu instid0(VALU_DEP_3) | instskip(NEXT) | instid1(VALU_DEP_2)
	v_add3_u32 v10, v23, v10, v24
	v_add3_u32 v11, v18, v11, v19
	s_cbranch_scc1 .LBB455_85
; %bb.86:
	s_and_b32 s7, s7, 3
	s_delay_alu instid0(SALU_CYCLE_1)
	s_cmp_eq_u32 s7, 0
	s_cbranch_scc0 .LBB455_89
	s_branch .LBB455_91
.LBB455_87:
	s_mov_b32 s6, -1
                                        ; implicit-def: $vgpr10
                                        ; implicit-def: $vgpr11
	s_branch .LBB455_91
.LBB455_88:
	v_mov_b32_e32 v15, v13
	v_mov_b32_e32 v11, 0
	s_and_b32 s7, s7, 3
	s_delay_alu instid0(SALU_CYCLE_1)
	s_cmp_eq_u32 s7, 0
	s_cbranch_scc1 .LBB455_91
.LBB455_89:
	s_lshl_b32 s2, s8, 3
	s_mul_i32 s4, s8, 12
	s_add_u32 s2, s2, s0
	s_addc_u32 s3, 0, s1
	s_add_u32 s2, s2, 0xc4
	s_addc_u32 s3, s3, 0
	;; [unrolled: 2-line block ×3, first 2 shown]
	.p2align	6
.LBB455_90:                             ; =>This Inner Loop Header: Depth=1
	s_clause 0x1
	s_load_b64 s[8:9], s[4:5], 0x4
	s_load_b32 s12, s[4:5], 0xc
	s_load_b64 s[10:11], s[2:3], 0x0
	s_add_u32 s4, s4, 12
	s_addc_u32 s5, s5, 0
	s_add_u32 s2, s2, 8
	s_addc_u32 s3, s3, 0
	s_add_i32 s7, s7, -1
	s_delay_alu instid0(SALU_CYCLE_1) | instskip(SKIP_2) | instid1(VALU_DEP_1)
	s_cmp_lg_u32 s7, 0
	s_waitcnt lgkmcnt(0)
	v_mul_hi_u32 v17, s9, v15
	v_add_nc_u32_e32 v17, v15, v17
	s_delay_alu instid0(VALU_DEP_1) | instskip(NEXT) | instid1(VALU_DEP_1)
	v_lshrrev_b32_e32 v20, s12, v17
	v_mul_lo_u32 v17, v20, s8
	s_delay_alu instid0(VALU_DEP_1) | instskip(NEXT) | instid1(VALU_DEP_1)
	v_sub_nc_u32_e32 v15, v15, v17
	v_mad_u64_u32 v[17:18], null, v15, s10, v[10:11]
	v_mad_u64_u32 v[18:19], null, v15, s11, v[11:12]
	s_delay_alu instid0(VALU_DEP_2) | instskip(NEXT) | instid1(VALU_DEP_2)
	v_dual_mov_b32 v15, v20 :: v_dual_mov_b32 v10, v17
	v_mov_b32_e32 v11, v18
	s_cbranch_scc1 .LBB455_90
.LBB455_91:
	s_and_not1_b32 vcc_lo, exec_lo, s6
	s_cbranch_vccnz .LBB455_94
; %bb.92:
	s_clause 0x1
	s_load_b128 s[4:7], s[0:1], 0x4
	s_load_b64 s[2:3], s[0:1], 0xc4
	s_cmp_lt_u32 s22, 2
	s_waitcnt lgkmcnt(0)
	v_mul_hi_u32 v10, s5, v13
	s_delay_alu instid0(VALU_DEP_1) | instskip(NEXT) | instid1(VALU_DEP_1)
	v_add_nc_u32_e32 v10, v13, v10
	v_lshrrev_b32_e32 v15, s6, v10
	s_delay_alu instid0(VALU_DEP_1) | instskip(NEXT) | instid1(VALU_DEP_1)
	v_mul_lo_u32 v10, v15, s4
	v_sub_nc_u32_e32 v11, v13, v10
	s_delay_alu instid0(VALU_DEP_1)
	v_mul_lo_u32 v10, v11, s2
	v_mul_lo_u32 v11, v11, s3
	s_cbranch_scc1 .LBB455_94
; %bb.93:
	s_clause 0x1
	s_load_b128 s[4:7], s[0:1], 0x10
	s_load_b64 s[2:3], s[0:1], 0xcc
	s_waitcnt lgkmcnt(0)
	v_mul_hi_u32 v13, s5, v15
	s_delay_alu instid0(VALU_DEP_1) | instskip(NEXT) | instid1(VALU_DEP_1)
	v_add_nc_u32_e32 v13, v15, v13
	v_lshrrev_b32_e32 v13, s6, v13
	s_delay_alu instid0(VALU_DEP_1) | instskip(NEXT) | instid1(VALU_DEP_1)
	v_mul_lo_u32 v13, v13, s4
	v_sub_nc_u32_e32 v13, v15, v13
	s_delay_alu instid0(VALU_DEP_1) | instskip(SKIP_1) | instid1(VALU_DEP_1)
	v_mad_u64_u32 v[17:18], null, v13, s2, v[10:11]
	v_mad_u64_u32 v[18:19], null, v13, s3, v[11:12]
	v_dual_mov_b32 v10, v17 :: v_dual_mov_b32 v11, v18
.LBB455_94:
	v_cmp_ne_u32_e32 vcc_lo, 1, v14
	v_add_nc_u32_e32 v15, 0x300, v12
	s_cbranch_vccnz .LBB455_100
; %bb.95:
	v_dual_mov_b32 v12, 0 :: v_dual_mov_b32 v13, 0
	s_cmp_lg_u32 s22, 0
	s_mov_b32 s6, 0
	s_cbranch_scc0 .LBB455_104
; %bb.96:
	s_min_u32 s7, s23, 15
	v_mov_b32_e32 v12, 0
	s_add_i32 s7, s7, 1
	s_cmp_eq_u32 s23, 2
	s_mov_b32 s8, 0
	s_cbranch_scc1 .LBB455_101
; %bb.97:
	v_dual_mov_b32 v13, 0 :: v_dual_mov_b32 v12, 0
	v_mov_b32_e32 v17, v15
	s_add_u32 s2, s0, 0xc4
	s_addc_u32 s3, s1, 0
	s_and_b32 s8, s7, 28
	s_mov_b32 s9, 0
	s_mov_b64 s[4:5], s[0:1]
.LBB455_98:                             ; =>This Inner Loop Header: Depth=1
	s_clause 0x1
	s_load_b256 s[12:19], s[4:5], 0x4
	s_load_b128 s[36:39], s[4:5], 0x24
	s_load_b256 s[24:31], s[2:3], 0x0
	s_add_u32 s4, s4, 48
	s_addc_u32 s5, s5, 0
	s_add_i32 s9, s9, 4
	s_add_u32 s2, s2, 32
	s_addc_u32 s3, s3, 0
	s_cmp_lg_u32 s8, s9
	s_waitcnt lgkmcnt(0)
	v_mul_hi_u32 v18, s13, v17
	s_delay_alu instid0(VALU_DEP_1) | instskip(NEXT) | instid1(VALU_DEP_1)
	v_add_nc_u32_e32 v18, v17, v18
	v_lshrrev_b32_e32 v18, s14, v18
	s_delay_alu instid0(VALU_DEP_1) | instskip(SKIP_1) | instid1(VALU_DEP_2)
	v_mul_hi_u32 v19, s16, v18
	v_mul_lo_u32 v21, v18, s12
	v_add_nc_u32_e32 v19, v18, v19
	s_delay_alu instid0(VALU_DEP_2) | instskip(NEXT) | instid1(VALU_DEP_2)
	v_sub_nc_u32_e32 v17, v17, v21
	v_lshrrev_b32_e32 v19, s17, v19
	s_delay_alu instid0(VALU_DEP_2) | instskip(SKIP_1) | instid1(VALU_DEP_3)
	v_mul_lo_u32 v21, v17, s24
	v_mul_lo_u32 v23, v17, s25
	v_mul_hi_u32 v20, s19, v19
	s_delay_alu instid0(VALU_DEP_1) | instskip(NEXT) | instid1(VALU_DEP_1)
	v_add_nc_u32_e32 v20, v19, v20
	v_lshrrev_b32_e32 v20, s36, v20
	s_delay_alu instid0(VALU_DEP_1) | instskip(SKIP_1) | instid1(VALU_DEP_2)
	v_mul_hi_u32 v22, s38, v20
	v_mul_lo_u32 v24, v20, s18
	v_add_nc_u32_e32 v17, v20, v22
	v_mul_lo_u32 v22, v19, s15
	s_delay_alu instid0(VALU_DEP_3) | instskip(NEXT) | instid1(VALU_DEP_3)
	v_sub_nc_u32_e32 v19, v19, v24
	v_lshrrev_b32_e32 v17, s39, v17
	s_delay_alu instid0(VALU_DEP_2) | instskip(SKIP_2) | instid1(VALU_DEP_4)
	v_mul_lo_u32 v24, v19, s28
	v_mul_lo_u32 v19, v19, s29
	v_sub_nc_u32_e32 v18, v18, v22
	v_mul_lo_u32 v25, v17, s37
	s_delay_alu instid0(VALU_DEP_2) | instskip(SKIP_1) | instid1(VALU_DEP_3)
	v_mul_lo_u32 v22, v18, s26
	v_mul_lo_u32 v18, v18, s27
	v_sub_nc_u32_e32 v20, v20, v25
	s_delay_alu instid0(VALU_DEP_3) | instskip(NEXT) | instid1(VALU_DEP_2)
	v_add3_u32 v12, v21, v12, v22
	v_mul_lo_u32 v25, v20, s30
	v_mul_lo_u32 v20, v20, s31
	v_add3_u32 v13, v23, v13, v18
	s_delay_alu instid0(VALU_DEP_3) | instskip(NEXT) | instid1(VALU_DEP_2)
	v_add3_u32 v12, v24, v12, v25
	v_add3_u32 v13, v19, v13, v20
	s_cbranch_scc1 .LBB455_98
; %bb.99:
	s_and_b32 s7, s7, 3
	s_delay_alu instid0(SALU_CYCLE_1)
	s_cmp_eq_u32 s7, 0
	s_cbranch_scc0 .LBB455_102
	s_branch .LBB455_104
.LBB455_100:
	s_mov_b32 s6, -1
                                        ; implicit-def: $vgpr12
                                        ; implicit-def: $vgpr13
	s_branch .LBB455_104
.LBB455_101:
	v_mov_b32_e32 v17, v15
	v_mov_b32_e32 v13, 0
	s_and_b32 s7, s7, 3
	s_delay_alu instid0(SALU_CYCLE_1)
	s_cmp_eq_u32 s7, 0
	s_cbranch_scc1 .LBB455_104
.LBB455_102:
	s_lshl_b32 s2, s8, 3
	s_mul_i32 s4, s8, 12
	s_add_u32 s2, s2, s0
	s_addc_u32 s3, 0, s1
	s_add_u32 s2, s2, 0xc4
	s_addc_u32 s3, s3, 0
	;; [unrolled: 2-line block ×3, first 2 shown]
	.p2align	6
.LBB455_103:                            ; =>This Inner Loop Header: Depth=1
	s_clause 0x1
	s_load_b64 s[8:9], s[4:5], 0x4
	s_load_b32 s12, s[4:5], 0xc
	s_load_b64 s[10:11], s[2:3], 0x0
	s_add_u32 s4, s4, 12
	s_addc_u32 s5, s5, 0
	s_add_u32 s2, s2, 8
	s_addc_u32 s3, s3, 0
	s_add_i32 s7, s7, -1
	s_delay_alu instid0(SALU_CYCLE_1) | instskip(SKIP_2) | instid1(VALU_DEP_1)
	s_cmp_lg_u32 s7, 0
	s_waitcnt lgkmcnt(0)
	v_mul_hi_u32 v18, s9, v17
	v_add_nc_u32_e32 v18, v17, v18
	s_delay_alu instid0(VALU_DEP_1) | instskip(NEXT) | instid1(VALU_DEP_1)
	v_lshrrev_b32_e32 v21, s12, v18
	v_mul_lo_u32 v18, v21, s8
	s_delay_alu instid0(VALU_DEP_1) | instskip(NEXT) | instid1(VALU_DEP_1)
	v_sub_nc_u32_e32 v17, v17, v18
	v_mad_u64_u32 v[18:19], null, v17, s10, v[12:13]
	v_mad_u64_u32 v[19:20], null, v17, s11, v[13:14]
	s_delay_alu instid0(VALU_DEP_2) | instskip(NEXT) | instid1(VALU_DEP_2)
	v_dual_mov_b32 v17, v21 :: v_dual_mov_b32 v12, v18
	v_mov_b32_e32 v13, v19
	s_cbranch_scc1 .LBB455_103
.LBB455_104:
	s_and_not1_b32 vcc_lo, exec_lo, s6
	s_cbranch_vccnz .LBB455_107
; %bb.105:
	s_clause 0x1
	s_load_b128 s[4:7], s[0:1], 0x4
	s_load_b64 s[2:3], s[0:1], 0xc4
	s_cmp_lt_u32 s22, 2
	s_waitcnt lgkmcnt(0)
	v_mul_hi_u32 v12, s5, v15
	s_delay_alu instid0(VALU_DEP_1) | instskip(NEXT) | instid1(VALU_DEP_1)
	v_add_nc_u32_e32 v12, v15, v12
	v_lshrrev_b32_e32 v17, s6, v12
	s_delay_alu instid0(VALU_DEP_1) | instskip(NEXT) | instid1(VALU_DEP_1)
	v_mul_lo_u32 v12, v17, s4
	v_sub_nc_u32_e32 v13, v15, v12
	s_delay_alu instid0(VALU_DEP_1)
	v_mul_lo_u32 v12, v13, s2
	v_mul_lo_u32 v13, v13, s3
	s_cbranch_scc1 .LBB455_107
; %bb.106:
	s_clause 0x1
	s_load_b128 s[4:7], s[0:1], 0x10
	s_load_b64 s[2:3], s[0:1], 0xcc
	s_waitcnt lgkmcnt(0)
	v_mul_hi_u32 v15, s5, v17
	s_delay_alu instid0(VALU_DEP_1) | instskip(NEXT) | instid1(VALU_DEP_1)
	v_add_nc_u32_e32 v15, v17, v15
	v_lshrrev_b32_e32 v15, s6, v15
	s_delay_alu instid0(VALU_DEP_1) | instskip(NEXT) | instid1(VALU_DEP_1)
	v_mul_lo_u32 v15, v15, s4
	v_sub_nc_u32_e32 v15, v17, v15
	s_delay_alu instid0(VALU_DEP_1) | instskip(SKIP_1) | instid1(VALU_DEP_1)
	v_mad_u64_u32 v[17:18], null, v15, s2, v[12:13]
	v_mad_u64_u32 v[18:19], null, v15, s3, v[13:14]
	v_dual_mov_b32 v12, v17 :: v_dual_mov_b32 v13, v18
.LBB455_107:
	v_cmp_ne_u32_e32 vcc_lo, 1, v14
	s_cbranch_vccnz .LBB455_113
; %bb.108:
	v_dual_mov_b32 v14, 0 :: v_dual_mov_b32 v15, 0
	s_cmp_lg_u32 s22, 0
	s_mov_b32 s6, 0
	s_cbranch_scc0 .LBB455_117
; %bb.109:
	s_min_u32 s7, s23, 15
	v_mov_b32_e32 v14, 0
	s_add_i32 s7, s7, 1
	s_cmp_eq_u32 s23, 2
	s_mov_b32 s8, 0
	s_cbranch_scc1 .LBB455_114
; %bb.110:
	v_dual_mov_b32 v15, 0 :: v_dual_mov_b32 v14, 0
	v_mov_b32_e32 v17, v16
	s_add_u32 s2, s0, 0xc4
	s_addc_u32 s3, s1, 0
	s_and_b32 s8, s7, 28
	s_mov_b32 s9, 0
	s_mov_b64 s[4:5], s[0:1]
.LBB455_111:                            ; =>This Inner Loop Header: Depth=1
	s_clause 0x1
	s_load_b256 s[12:19], s[4:5], 0x4
	s_load_b128 s[36:39], s[4:5], 0x24
	s_load_b256 s[24:31], s[2:3], 0x0
	s_add_u32 s4, s4, 48
	s_addc_u32 s5, s5, 0
	s_add_i32 s9, s9, 4
	s_add_u32 s2, s2, 32
	s_addc_u32 s3, s3, 0
	s_cmp_lg_u32 s8, s9
	s_waitcnt lgkmcnt(0)
	v_mul_hi_u32 v18, s13, v17
	s_delay_alu instid0(VALU_DEP_1) | instskip(NEXT) | instid1(VALU_DEP_1)
	v_add_nc_u32_e32 v18, v17, v18
	v_lshrrev_b32_e32 v18, s14, v18
	s_delay_alu instid0(VALU_DEP_1) | instskip(SKIP_1) | instid1(VALU_DEP_2)
	v_mul_hi_u32 v19, s16, v18
	v_mul_lo_u32 v21, v18, s12
	v_add_nc_u32_e32 v19, v18, v19
	s_delay_alu instid0(VALU_DEP_2) | instskip(NEXT) | instid1(VALU_DEP_2)
	v_sub_nc_u32_e32 v17, v17, v21
	v_lshrrev_b32_e32 v19, s17, v19
	s_delay_alu instid0(VALU_DEP_2) | instskip(SKIP_1) | instid1(VALU_DEP_3)
	v_mul_lo_u32 v21, v17, s24
	v_mul_lo_u32 v23, v17, s25
	v_mul_hi_u32 v20, s19, v19
	s_delay_alu instid0(VALU_DEP_1) | instskip(NEXT) | instid1(VALU_DEP_1)
	v_add_nc_u32_e32 v20, v19, v20
	v_lshrrev_b32_e32 v20, s36, v20
	s_delay_alu instid0(VALU_DEP_1) | instskip(SKIP_1) | instid1(VALU_DEP_2)
	v_mul_hi_u32 v22, s38, v20
	v_mul_lo_u32 v24, v20, s18
	v_add_nc_u32_e32 v17, v20, v22
	v_mul_lo_u32 v22, v19, s15
	s_delay_alu instid0(VALU_DEP_3) | instskip(NEXT) | instid1(VALU_DEP_3)
	v_sub_nc_u32_e32 v19, v19, v24
	v_lshrrev_b32_e32 v17, s39, v17
	s_delay_alu instid0(VALU_DEP_2) | instskip(SKIP_2) | instid1(VALU_DEP_4)
	v_mul_lo_u32 v24, v19, s28
	v_mul_lo_u32 v19, v19, s29
	v_sub_nc_u32_e32 v18, v18, v22
	v_mul_lo_u32 v25, v17, s37
	s_delay_alu instid0(VALU_DEP_2) | instskip(SKIP_1) | instid1(VALU_DEP_3)
	v_mul_lo_u32 v22, v18, s26
	v_mul_lo_u32 v18, v18, s27
	v_sub_nc_u32_e32 v20, v20, v25
	s_delay_alu instid0(VALU_DEP_3) | instskip(NEXT) | instid1(VALU_DEP_2)
	v_add3_u32 v14, v21, v14, v22
	v_mul_lo_u32 v25, v20, s30
	v_mul_lo_u32 v20, v20, s31
	v_add3_u32 v15, v23, v15, v18
	s_delay_alu instid0(VALU_DEP_3) | instskip(NEXT) | instid1(VALU_DEP_2)
	v_add3_u32 v14, v24, v14, v25
	v_add3_u32 v15, v19, v15, v20
	s_cbranch_scc1 .LBB455_111
; %bb.112:
	s_and_b32 s7, s7, 3
	s_delay_alu instid0(SALU_CYCLE_1)
	s_cmp_eq_u32 s7, 0
	s_cbranch_scc0 .LBB455_115
	s_branch .LBB455_117
.LBB455_113:
	s_mov_b32 s6, -1
                                        ; implicit-def: $vgpr14
                                        ; implicit-def: $vgpr15
	s_branch .LBB455_117
.LBB455_114:
	v_mov_b32_e32 v17, v16
	v_mov_b32_e32 v15, 0
	s_and_b32 s7, s7, 3
	s_delay_alu instid0(SALU_CYCLE_1)
	s_cmp_eq_u32 s7, 0
	s_cbranch_scc1 .LBB455_117
.LBB455_115:
	s_lshl_b32 s2, s8, 3
	s_mul_i32 s4, s8, 12
	s_add_u32 s2, s2, s0
	s_addc_u32 s3, 0, s1
	s_add_u32 s2, s2, 0xc4
	s_addc_u32 s3, s3, 0
	;; [unrolled: 2-line block ×3, first 2 shown]
	.p2align	6
.LBB455_116:                            ; =>This Inner Loop Header: Depth=1
	s_clause 0x1
	s_load_b64 s[8:9], s[4:5], 0x4
	s_load_b32 s12, s[4:5], 0xc
	s_load_b64 s[10:11], s[2:3], 0x0
	s_add_u32 s4, s4, 12
	s_addc_u32 s5, s5, 0
	s_add_u32 s2, s2, 8
	s_addc_u32 s3, s3, 0
	s_add_i32 s7, s7, -1
	s_delay_alu instid0(SALU_CYCLE_1) | instskip(SKIP_2) | instid1(VALU_DEP_1)
	s_cmp_lg_u32 s7, 0
	s_waitcnt lgkmcnt(0)
	v_mul_hi_u32 v18, s9, v17
	v_add_nc_u32_e32 v18, v17, v18
	s_delay_alu instid0(VALU_DEP_1) | instskip(NEXT) | instid1(VALU_DEP_1)
	v_lshrrev_b32_e32 v21, s12, v18
	v_mul_lo_u32 v18, v21, s8
	s_delay_alu instid0(VALU_DEP_1) | instskip(NEXT) | instid1(VALU_DEP_1)
	v_sub_nc_u32_e32 v17, v17, v18
	v_mad_u64_u32 v[18:19], null, v17, s10, v[14:15]
	v_mad_u64_u32 v[19:20], null, v17, s11, v[15:16]
	s_delay_alu instid0(VALU_DEP_2) | instskip(NEXT) | instid1(VALU_DEP_2)
	v_dual_mov_b32 v17, v21 :: v_dual_mov_b32 v14, v18
	v_mov_b32_e32 v15, v19
	s_cbranch_scc1 .LBB455_116
.LBB455_117:
	s_and_not1_b32 vcc_lo, exec_lo, s6
	s_cbranch_vccnz .LBB455_120
; %bb.118:
	s_clause 0x1
	s_load_b128 s[4:7], s[0:1], 0x4
	s_load_b64 s[2:3], s[0:1], 0xc4
	s_cmp_lt_u32 s22, 2
	s_waitcnt lgkmcnt(0)
	v_mul_hi_u32 v14, s5, v16
	s_delay_alu instid0(VALU_DEP_1) | instskip(NEXT) | instid1(VALU_DEP_1)
	v_add_nc_u32_e32 v14, v16, v14
	v_lshrrev_b32_e32 v17, s6, v14
	s_delay_alu instid0(VALU_DEP_1) | instskip(NEXT) | instid1(VALU_DEP_1)
	v_mul_lo_u32 v14, v17, s4
	v_sub_nc_u32_e32 v15, v16, v14
	s_delay_alu instid0(VALU_DEP_1)
	v_mul_lo_u32 v14, v15, s2
	v_mul_lo_u32 v15, v15, s3
	s_cbranch_scc1 .LBB455_120
; %bb.119:
	s_clause 0x1
	s_load_b128 s[4:7], s[0:1], 0x10
	s_load_b64 s[2:3], s[0:1], 0xcc
	s_waitcnt lgkmcnt(0)
	v_mul_hi_u32 v16, s5, v17
	s_delay_alu instid0(VALU_DEP_1) | instskip(NEXT) | instid1(VALU_DEP_1)
	v_add_nc_u32_e32 v16, v17, v16
	v_lshrrev_b32_e32 v16, s6, v16
	s_delay_alu instid0(VALU_DEP_1) | instskip(NEXT) | instid1(VALU_DEP_1)
	v_mul_lo_u32 v16, v16, s4
	v_sub_nc_u32_e32 v19, v17, v16
	s_delay_alu instid0(VALU_DEP_1) | instskip(NEXT) | instid1(VALU_DEP_1)
	v_mad_u64_u32 v[16:17], null, v19, s2, v[14:15]
	v_mad_u64_u32 v[17:18], null, v19, s3, v[15:16]
	s_delay_alu instid0(VALU_DEP_1)
	v_dual_mov_b32 v14, v16 :: v_dual_mov_b32 v15, v17
.LBB455_120:
	s_clause 0x1
	s_load_b128 s[4:7], s[0:1], 0x148
	s_load_b32 s0, s[0:1], 0x158
	s_waitcnt lgkmcnt(0)
	s_clause 0x7
	global_load_u16 v1, v1, s[6:7]
	global_load_u16 v3, v3, s[6:7]
	;; [unrolled: 1-line block ×8, first 2 shown]
	s_waitcnt vmcnt(7)
	v_min_i16 v1, v1, s0
	s_waitcnt vmcnt(6)
	v_min_i16 v3, v3, s0
	;; [unrolled: 2-line block ×8, first 2 shown]
	s_clause 0x7
	global_store_b16 v0, v1, s[4:5]
	global_store_b16 v2, v3, s[4:5]
	;; [unrolled: 1-line block ×8, first 2 shown]
	s_nop 0
	s_sendmsg sendmsg(MSG_DEALLOC_VGPRS)
	s_endpgm
.LBB455_121:
	v_dual_mov_b32 v2, v12 :: v_dual_mov_b32 v1, 0
.LBB455_122:
	s_and_b32 s35, s35, 3
	s_delay_alu instid0(SALU_CYCLE_1)
	s_cmp_eq_u32 s35, 0
	s_cbranch_scc1 .LBB455_125
; %bb.123:
	s_lshl_b32 s18, s34, 3
	s_mul_i32 s20, s34, 12
	s_add_u32 s18, s18, s0
	s_addc_u32 s19, s1, 0
	s_add_u32 s18, s18, 0xc4
	s_addc_u32 s19, s19, 0
	;; [unrolled: 2-line block ×3, first 2 shown]
	.p2align	6
.LBB455_124:                            ; =>This Inner Loop Header: Depth=1
	s_clause 0x1
	s_load_b64 s[36:37], s[20:21], 0x4
	s_load_b32 s34, s[20:21], 0xc
	s_load_b64 s[38:39], s[18:19], 0x0
	s_add_u32 s20, s20, 12
	s_addc_u32 s21, s21, 0
	s_add_u32 s18, s18, 8
	s_addc_u32 s19, s19, 0
	s_add_i32 s35, s35, -1
	s_delay_alu instid0(SALU_CYCLE_1) | instskip(SKIP_2) | instid1(VALU_DEP_1)
	s_cmp_lg_u32 s35, 0
	s_waitcnt lgkmcnt(0)
	v_mul_hi_u32 v3, s37, v2
	v_add_nc_u32_e32 v3, v2, v3
	s_delay_alu instid0(VALU_DEP_1) | instskip(NEXT) | instid1(VALU_DEP_1)
	v_lshrrev_b32_e32 v6, s34, v3
	v_mul_lo_u32 v3, v6, s36
	s_delay_alu instid0(VALU_DEP_1) | instskip(NEXT) | instid1(VALU_DEP_1)
	v_sub_nc_u32_e32 v2, v2, v3
	v_mad_u64_u32 v[3:4], null, v2, s38, v[0:1]
	v_mad_u64_u32 v[4:5], null, v2, s39, v[1:2]
	v_mov_b32_e32 v2, v6
	s_delay_alu instid0(VALU_DEP_2)
	v_dual_mov_b32 v0, v3 :: v_dual_mov_b32 v1, v4
	s_cbranch_scc1 .LBB455_124
.LBB455_125:
	s_and_not1_b32 vcc_lo, exec_lo, s33
	s_cbranch_vccnz .LBB455_128
; %bb.126:
	s_waitcnt lgkmcnt(0)
	v_mul_hi_u32 v0, s13, v12
	s_and_not1_b32 vcc_lo, exec_lo, s27
	s_delay_alu instid0(VALU_DEP_1) | instskip(NEXT) | instid1(VALU_DEP_1)
	v_add_nc_u32_e32 v0, v12, v0
	v_lshrrev_b32_e32 v2, s14, v0
	s_delay_alu instid0(VALU_DEP_1) | instskip(NEXT) | instid1(VALU_DEP_1)
	v_mul_lo_u32 v0, v2, s12
	v_sub_nc_u32_e32 v1, v12, v0
	s_delay_alu instid0(VALU_DEP_1)
	v_mul_lo_u32 v0, v1, s8
	v_mul_lo_u32 v1, v1, s9
	s_cbranch_vccnz .LBB455_128
; %bb.127:
	v_mul_hi_u32 v3, s2, v2
	s_delay_alu instid0(VALU_DEP_1) | instskip(NEXT) | instid1(VALU_DEP_1)
	v_add_nc_u32_e32 v3, v2, v3
	v_lshrrev_b32_e32 v3, s3, v3
	s_delay_alu instid0(VALU_DEP_1) | instskip(NEXT) | instid1(VALU_DEP_1)
	v_mul_lo_u32 v3, v3, s15
	v_sub_nc_u32_e32 v5, v2, v3
	s_delay_alu instid0(VALU_DEP_1) | instskip(NEXT) | instid1(VALU_DEP_1)
	v_mad_u64_u32 v[2:3], null, v5, s10, v[0:1]
	v_mad_u64_u32 v[3:4], null, v5, s11, v[1:2]
	s_delay_alu instid0(VALU_DEP_1)
	v_dual_mov_b32 v0, v2 :: v_dual_mov_b32 v1, v3
.LBB455_128:
	s_waitcnt lgkmcnt(0)
	global_load_u16 v1, v1, s[6:7]
	v_add_nc_u32_e32 v12, 0x80, v12
	s_waitcnt vmcnt(0)
	v_min_i16 v1, v1, s26
	global_store_b16 v0, v1, s[4:5]
	s_or_b32 exec_lo, exec_lo, s31
	s_delay_alu instid0(SALU_CYCLE_1)
	s_mov_b32 s31, exec_lo
	v_cmpx_gt_i32_e64 s28, v12
	s_cbranch_execnz .LBB455_15
.LBB455_129:
	s_or_b32 exec_lo, exec_lo, s31
	s_delay_alu instid0(SALU_CYCLE_1)
	s_mov_b32 s31, exec_lo
	v_cmpx_gt_i32_e64 s28, v12
	s_cbranch_execz .LBB455_144
.LBB455_130:
	s_and_not1_b32 vcc_lo, exec_lo, s24
	s_cbranch_vccnz .LBB455_135
; %bb.131:
	v_dual_mov_b32 v0, 0 :: v_dual_mov_b32 v1, 0
	s_and_not1_b32 vcc_lo, exec_lo, s30
	s_mov_b32 s33, 0
	s_cbranch_vccnz .LBB455_155
; %bb.132:
	v_mov_b32_e32 v0, 0
	s_add_i32 s35, s29, 1
	s_cmp_eq_u32 s23, 2
	s_mov_b32 s34, 0
	s_cbranch_scc1 .LBB455_151
; %bb.133:
	v_dual_mov_b32 v1, 0 :: v_dual_mov_b32 v0, 0
	v_mov_b32_e32 v2, v12
	s_and_b32 s34, s35, 28
	s_mov_b32 s36, 0
	s_mov_b64 s[18:19], s[16:17]
	s_mov_b64 s[20:21], s[0:1]
.LBB455_134:                            ; =>This Inner Loop Header: Depth=1
	s_clause 0x1
	s_load_b256 s[40:47], s[20:21], 0x4
	s_load_b128 s[56:59], s[20:21], 0x24
	s_load_b256 s[48:55], s[18:19], 0x0
	s_add_u32 s20, s20, 48
	s_addc_u32 s21, s21, 0
	s_add_i32 s36, s36, 4
	s_add_u32 s18, s18, 32
	s_addc_u32 s19, s19, 0
	s_cmp_eq_u32 s34, s36
	s_waitcnt lgkmcnt(0)
	v_mul_hi_u32 v3, s41, v2
	s_delay_alu instid0(VALU_DEP_1) | instskip(NEXT) | instid1(VALU_DEP_1)
	v_add_nc_u32_e32 v3, v2, v3
	v_lshrrev_b32_e32 v3, s42, v3
	s_delay_alu instid0(VALU_DEP_1) | instskip(SKIP_1) | instid1(VALU_DEP_2)
	v_mul_hi_u32 v4, s44, v3
	v_mul_lo_u32 v6, v3, s40
	v_add_nc_u32_e32 v4, v3, v4
	s_delay_alu instid0(VALU_DEP_2) | instskip(NEXT) | instid1(VALU_DEP_2)
	v_sub_nc_u32_e32 v2, v2, v6
	v_lshrrev_b32_e32 v4, s45, v4
	s_delay_alu instid0(VALU_DEP_2) | instskip(SKIP_1) | instid1(VALU_DEP_3)
	v_mul_lo_u32 v6, v2, s48
	v_mul_lo_u32 v8, v2, s49
	v_mul_hi_u32 v5, s47, v4
	s_delay_alu instid0(VALU_DEP_1) | instskip(NEXT) | instid1(VALU_DEP_1)
	v_add_nc_u32_e32 v5, v4, v5
	v_lshrrev_b32_e32 v5, s56, v5
	s_delay_alu instid0(VALU_DEP_1) | instskip(SKIP_1) | instid1(VALU_DEP_2)
	v_mul_hi_u32 v7, s58, v5
	v_mul_lo_u32 v9, v5, s46
	v_add_nc_u32_e32 v2, v5, v7
	v_mul_lo_u32 v7, v4, s43
	s_delay_alu instid0(VALU_DEP_3) | instskip(NEXT) | instid1(VALU_DEP_3)
	v_sub_nc_u32_e32 v4, v4, v9
	v_lshrrev_b32_e32 v2, s59, v2
	s_delay_alu instid0(VALU_DEP_2) | instskip(SKIP_2) | instid1(VALU_DEP_4)
	v_mul_lo_u32 v9, v4, s52
	v_mul_lo_u32 v4, v4, s53
	v_sub_nc_u32_e32 v3, v3, v7
	v_mul_lo_u32 v10, v2, s57
	s_delay_alu instid0(VALU_DEP_2) | instskip(SKIP_1) | instid1(VALU_DEP_3)
	v_mul_lo_u32 v7, v3, s50
	v_mul_lo_u32 v3, v3, s51
	v_sub_nc_u32_e32 v5, v5, v10
	s_delay_alu instid0(VALU_DEP_3) | instskip(NEXT) | instid1(VALU_DEP_2)
	v_add3_u32 v0, v6, v0, v7
	v_mul_lo_u32 v10, v5, s54
	v_mul_lo_u32 v5, v5, s55
	v_add3_u32 v1, v8, v1, v3
	s_delay_alu instid0(VALU_DEP_3) | instskip(NEXT) | instid1(VALU_DEP_2)
	v_add3_u32 v0, v9, v0, v10
	v_add3_u32 v1, v4, v1, v5
	s_cbranch_scc0 .LBB455_134
	s_branch .LBB455_152
.LBB455_135:
	s_mov_b32 s33, -1
                                        ; implicit-def: $vgpr0
                                        ; implicit-def: $vgpr1
	s_branch .LBB455_155
.LBB455_136:
	v_dual_mov_b32 v2, v12 :: v_dual_mov_b32 v1, 0
.LBB455_137:
	s_and_b32 s35, s35, 3
	s_delay_alu instid0(SALU_CYCLE_1)
	s_cmp_eq_u32 s35, 0
	s_cbranch_scc1 .LBB455_140
; %bb.138:
	s_lshl_b32 s18, s34, 3
	s_mul_i32 s20, s34, 12
	s_add_u32 s18, s18, s0
	s_addc_u32 s19, s1, 0
	s_add_u32 s18, s18, 0xc4
	s_addc_u32 s19, s19, 0
	;; [unrolled: 2-line block ×3, first 2 shown]
	.p2align	6
.LBB455_139:                            ; =>This Inner Loop Header: Depth=1
	s_clause 0x1
	s_load_b64 s[36:37], s[20:21], 0x4
	s_load_b32 s34, s[20:21], 0xc
	s_load_b64 s[38:39], s[18:19], 0x0
	s_add_u32 s20, s20, 12
	s_addc_u32 s21, s21, 0
	s_add_u32 s18, s18, 8
	s_addc_u32 s19, s19, 0
	s_add_i32 s35, s35, -1
	s_delay_alu instid0(SALU_CYCLE_1) | instskip(SKIP_2) | instid1(VALU_DEP_1)
	s_cmp_lg_u32 s35, 0
	s_waitcnt lgkmcnt(0)
	v_mul_hi_u32 v3, s37, v2
	v_add_nc_u32_e32 v3, v2, v3
	s_delay_alu instid0(VALU_DEP_1) | instskip(NEXT) | instid1(VALU_DEP_1)
	v_lshrrev_b32_e32 v6, s34, v3
	v_mul_lo_u32 v3, v6, s36
	s_delay_alu instid0(VALU_DEP_1) | instskip(NEXT) | instid1(VALU_DEP_1)
	v_sub_nc_u32_e32 v2, v2, v3
	v_mad_u64_u32 v[3:4], null, v2, s38, v[0:1]
	v_mad_u64_u32 v[4:5], null, v2, s39, v[1:2]
	v_mov_b32_e32 v2, v6
	s_delay_alu instid0(VALU_DEP_2)
	v_dual_mov_b32 v0, v3 :: v_dual_mov_b32 v1, v4
	s_cbranch_scc1 .LBB455_139
.LBB455_140:
	s_and_not1_b32 vcc_lo, exec_lo, s33
	s_cbranch_vccnz .LBB455_143
; %bb.141:
	s_waitcnt lgkmcnt(0)
	v_mul_hi_u32 v0, s13, v12
	s_and_not1_b32 vcc_lo, exec_lo, s27
	s_delay_alu instid0(VALU_DEP_1) | instskip(NEXT) | instid1(VALU_DEP_1)
	v_add_nc_u32_e32 v0, v12, v0
	v_lshrrev_b32_e32 v2, s14, v0
	s_delay_alu instid0(VALU_DEP_1) | instskip(NEXT) | instid1(VALU_DEP_1)
	v_mul_lo_u32 v0, v2, s12
	v_sub_nc_u32_e32 v1, v12, v0
	s_delay_alu instid0(VALU_DEP_1)
	v_mul_lo_u32 v0, v1, s8
	v_mul_lo_u32 v1, v1, s9
	s_cbranch_vccnz .LBB455_143
; %bb.142:
	v_mul_hi_u32 v3, s2, v2
	s_delay_alu instid0(VALU_DEP_1) | instskip(NEXT) | instid1(VALU_DEP_1)
	v_add_nc_u32_e32 v3, v2, v3
	v_lshrrev_b32_e32 v3, s3, v3
	s_delay_alu instid0(VALU_DEP_1) | instskip(NEXT) | instid1(VALU_DEP_1)
	v_mul_lo_u32 v3, v3, s15
	v_sub_nc_u32_e32 v5, v2, v3
	s_delay_alu instid0(VALU_DEP_1) | instskip(NEXT) | instid1(VALU_DEP_1)
	v_mad_u64_u32 v[2:3], null, v5, s10, v[0:1]
	v_mad_u64_u32 v[3:4], null, v5, s11, v[1:2]
	s_delay_alu instid0(VALU_DEP_1)
	v_dual_mov_b32 v0, v2 :: v_dual_mov_b32 v1, v3
.LBB455_143:
	s_waitcnt lgkmcnt(0)
	global_load_u16 v1, v1, s[6:7]
	v_add_nc_u32_e32 v12, 0x80, v12
	s_waitcnt vmcnt(0)
	v_min_i16 v1, v1, s26
	global_store_b16 v0, v1, s[4:5]
	s_or_b32 exec_lo, exec_lo, s31
	s_delay_alu instid0(SALU_CYCLE_1)
	s_mov_b32 s31, exec_lo
	v_cmpx_gt_i32_e64 s28, v12
	s_cbranch_execnz .LBB455_130
.LBB455_144:
	s_or_b32 exec_lo, exec_lo, s31
	s_delay_alu instid0(SALU_CYCLE_1)
	s_mov_b32 s31, exec_lo
	v_cmpx_gt_i32_e64 s28, v12
	s_cbranch_execz .LBB455_159
.LBB455_145:
	s_and_not1_b32 vcc_lo, exec_lo, s24
	s_cbranch_vccnz .LBB455_150
; %bb.146:
	v_dual_mov_b32 v0, 0 :: v_dual_mov_b32 v1, 0
	s_and_not1_b32 vcc_lo, exec_lo, s30
	s_mov_b32 s33, 0
	s_cbranch_vccnz .LBB455_170
; %bb.147:
	v_mov_b32_e32 v0, 0
	s_add_i32 s35, s29, 1
	s_cmp_eq_u32 s23, 2
	s_mov_b32 s34, 0
	s_cbranch_scc1 .LBB455_166
; %bb.148:
	v_dual_mov_b32 v1, 0 :: v_dual_mov_b32 v0, 0
	v_mov_b32_e32 v2, v12
	s_and_b32 s34, s35, 28
	s_mov_b32 s36, 0
	s_mov_b64 s[18:19], s[16:17]
	s_mov_b64 s[20:21], s[0:1]
.LBB455_149:                            ; =>This Inner Loop Header: Depth=1
	s_clause 0x1
	s_load_b256 s[40:47], s[20:21], 0x4
	s_load_b128 s[56:59], s[20:21], 0x24
	s_load_b256 s[48:55], s[18:19], 0x0
	s_add_u32 s20, s20, 48
	s_addc_u32 s21, s21, 0
	s_add_i32 s36, s36, 4
	s_add_u32 s18, s18, 32
	s_addc_u32 s19, s19, 0
	s_cmp_eq_u32 s34, s36
	s_waitcnt lgkmcnt(0)
	v_mul_hi_u32 v3, s41, v2
	s_delay_alu instid0(VALU_DEP_1) | instskip(NEXT) | instid1(VALU_DEP_1)
	v_add_nc_u32_e32 v3, v2, v3
	v_lshrrev_b32_e32 v3, s42, v3
	s_delay_alu instid0(VALU_DEP_1) | instskip(SKIP_1) | instid1(VALU_DEP_2)
	v_mul_hi_u32 v4, s44, v3
	v_mul_lo_u32 v6, v3, s40
	v_add_nc_u32_e32 v4, v3, v4
	s_delay_alu instid0(VALU_DEP_2) | instskip(NEXT) | instid1(VALU_DEP_2)
	v_sub_nc_u32_e32 v2, v2, v6
	v_lshrrev_b32_e32 v4, s45, v4
	s_delay_alu instid0(VALU_DEP_2) | instskip(SKIP_1) | instid1(VALU_DEP_3)
	v_mul_lo_u32 v6, v2, s48
	v_mul_lo_u32 v8, v2, s49
	v_mul_hi_u32 v5, s47, v4
	s_delay_alu instid0(VALU_DEP_1) | instskip(NEXT) | instid1(VALU_DEP_1)
	v_add_nc_u32_e32 v5, v4, v5
	v_lshrrev_b32_e32 v5, s56, v5
	s_delay_alu instid0(VALU_DEP_1) | instskip(SKIP_1) | instid1(VALU_DEP_2)
	v_mul_hi_u32 v7, s58, v5
	v_mul_lo_u32 v9, v5, s46
	v_add_nc_u32_e32 v2, v5, v7
	v_mul_lo_u32 v7, v4, s43
	s_delay_alu instid0(VALU_DEP_3) | instskip(NEXT) | instid1(VALU_DEP_3)
	v_sub_nc_u32_e32 v4, v4, v9
	v_lshrrev_b32_e32 v2, s59, v2
	s_delay_alu instid0(VALU_DEP_2) | instskip(SKIP_2) | instid1(VALU_DEP_4)
	v_mul_lo_u32 v9, v4, s52
	v_mul_lo_u32 v4, v4, s53
	v_sub_nc_u32_e32 v3, v3, v7
	v_mul_lo_u32 v10, v2, s57
	s_delay_alu instid0(VALU_DEP_2) | instskip(SKIP_1) | instid1(VALU_DEP_3)
	v_mul_lo_u32 v7, v3, s50
	v_mul_lo_u32 v3, v3, s51
	v_sub_nc_u32_e32 v5, v5, v10
	s_delay_alu instid0(VALU_DEP_3) | instskip(NEXT) | instid1(VALU_DEP_2)
	v_add3_u32 v0, v6, v0, v7
	v_mul_lo_u32 v10, v5, s54
	v_mul_lo_u32 v5, v5, s55
	v_add3_u32 v1, v8, v1, v3
	s_delay_alu instid0(VALU_DEP_3) | instskip(NEXT) | instid1(VALU_DEP_2)
	v_add3_u32 v0, v9, v0, v10
	v_add3_u32 v1, v4, v1, v5
	s_cbranch_scc0 .LBB455_149
	s_branch .LBB455_167
.LBB455_150:
	s_mov_b32 s33, -1
                                        ; implicit-def: $vgpr0
                                        ; implicit-def: $vgpr1
	s_branch .LBB455_170
.LBB455_151:
	v_dual_mov_b32 v2, v12 :: v_dual_mov_b32 v1, 0
.LBB455_152:
	s_and_b32 s35, s35, 3
	s_delay_alu instid0(SALU_CYCLE_1)
	s_cmp_eq_u32 s35, 0
	s_cbranch_scc1 .LBB455_155
; %bb.153:
	s_lshl_b32 s18, s34, 3
	s_mul_i32 s20, s34, 12
	s_add_u32 s18, s18, s0
	s_addc_u32 s19, s1, 0
	s_add_u32 s18, s18, 0xc4
	s_addc_u32 s19, s19, 0
	;; [unrolled: 2-line block ×3, first 2 shown]
	.p2align	6
.LBB455_154:                            ; =>This Inner Loop Header: Depth=1
	s_clause 0x1
	s_load_b64 s[36:37], s[20:21], 0x4
	s_load_b32 s34, s[20:21], 0xc
	s_load_b64 s[38:39], s[18:19], 0x0
	s_add_u32 s20, s20, 12
	s_addc_u32 s21, s21, 0
	s_add_u32 s18, s18, 8
	s_addc_u32 s19, s19, 0
	s_add_i32 s35, s35, -1
	s_delay_alu instid0(SALU_CYCLE_1) | instskip(SKIP_2) | instid1(VALU_DEP_1)
	s_cmp_lg_u32 s35, 0
	s_waitcnt lgkmcnt(0)
	v_mul_hi_u32 v3, s37, v2
	v_add_nc_u32_e32 v3, v2, v3
	s_delay_alu instid0(VALU_DEP_1) | instskip(NEXT) | instid1(VALU_DEP_1)
	v_lshrrev_b32_e32 v6, s34, v3
	v_mul_lo_u32 v3, v6, s36
	s_delay_alu instid0(VALU_DEP_1) | instskip(NEXT) | instid1(VALU_DEP_1)
	v_sub_nc_u32_e32 v2, v2, v3
	v_mad_u64_u32 v[3:4], null, v2, s38, v[0:1]
	v_mad_u64_u32 v[4:5], null, v2, s39, v[1:2]
	v_mov_b32_e32 v2, v6
	s_delay_alu instid0(VALU_DEP_2)
	v_dual_mov_b32 v0, v3 :: v_dual_mov_b32 v1, v4
	s_cbranch_scc1 .LBB455_154
.LBB455_155:
	s_and_not1_b32 vcc_lo, exec_lo, s33
	s_cbranch_vccnz .LBB455_158
; %bb.156:
	s_waitcnt lgkmcnt(0)
	v_mul_hi_u32 v0, s13, v12
	s_and_not1_b32 vcc_lo, exec_lo, s27
	s_delay_alu instid0(VALU_DEP_1) | instskip(NEXT) | instid1(VALU_DEP_1)
	v_add_nc_u32_e32 v0, v12, v0
	v_lshrrev_b32_e32 v2, s14, v0
	s_delay_alu instid0(VALU_DEP_1) | instskip(NEXT) | instid1(VALU_DEP_1)
	v_mul_lo_u32 v0, v2, s12
	v_sub_nc_u32_e32 v1, v12, v0
	s_delay_alu instid0(VALU_DEP_1)
	v_mul_lo_u32 v0, v1, s8
	v_mul_lo_u32 v1, v1, s9
	s_cbranch_vccnz .LBB455_158
; %bb.157:
	v_mul_hi_u32 v3, s2, v2
	s_delay_alu instid0(VALU_DEP_1) | instskip(NEXT) | instid1(VALU_DEP_1)
	v_add_nc_u32_e32 v3, v2, v3
	v_lshrrev_b32_e32 v3, s3, v3
	s_delay_alu instid0(VALU_DEP_1) | instskip(NEXT) | instid1(VALU_DEP_1)
	v_mul_lo_u32 v3, v3, s15
	v_sub_nc_u32_e32 v5, v2, v3
	s_delay_alu instid0(VALU_DEP_1) | instskip(NEXT) | instid1(VALU_DEP_1)
	v_mad_u64_u32 v[2:3], null, v5, s10, v[0:1]
	v_mad_u64_u32 v[3:4], null, v5, s11, v[1:2]
	s_delay_alu instid0(VALU_DEP_1)
	v_dual_mov_b32 v0, v2 :: v_dual_mov_b32 v1, v3
.LBB455_158:
	s_waitcnt lgkmcnt(0)
	global_load_u16 v1, v1, s[6:7]
	v_add_nc_u32_e32 v12, 0x80, v12
	s_waitcnt vmcnt(0)
	v_min_i16 v1, v1, s26
	global_store_b16 v0, v1, s[4:5]
	s_or_b32 exec_lo, exec_lo, s31
	s_delay_alu instid0(SALU_CYCLE_1)
	s_mov_b32 s31, exec_lo
	v_cmpx_gt_i32_e64 s28, v12
	s_cbranch_execnz .LBB455_145
.LBB455_159:
	s_or_b32 exec_lo, exec_lo, s31
	s_delay_alu instid0(SALU_CYCLE_1)
	s_mov_b32 s31, exec_lo
	v_cmpx_gt_i32_e64 s28, v12
	s_cbranch_execz .LBB455_174
.LBB455_160:
	s_and_not1_b32 vcc_lo, exec_lo, s24
	s_cbranch_vccnz .LBB455_165
; %bb.161:
	v_dual_mov_b32 v0, 0 :: v_dual_mov_b32 v1, 0
	s_and_not1_b32 vcc_lo, exec_lo, s30
	s_mov_b32 s33, 0
	s_cbranch_vccnz .LBB455_185
; %bb.162:
	v_mov_b32_e32 v0, 0
	s_add_i32 s35, s29, 1
	s_cmp_eq_u32 s23, 2
	s_mov_b32 s34, 0
	s_cbranch_scc1 .LBB455_181
; %bb.163:
	v_dual_mov_b32 v1, 0 :: v_dual_mov_b32 v0, 0
	v_mov_b32_e32 v2, v12
	s_and_b32 s34, s35, 28
	s_mov_b32 s36, 0
	s_mov_b64 s[18:19], s[16:17]
	s_mov_b64 s[20:21], s[0:1]
.LBB455_164:                            ; =>This Inner Loop Header: Depth=1
	s_clause 0x1
	s_load_b256 s[40:47], s[20:21], 0x4
	s_load_b128 s[56:59], s[20:21], 0x24
	s_load_b256 s[48:55], s[18:19], 0x0
	s_add_u32 s20, s20, 48
	s_addc_u32 s21, s21, 0
	s_add_i32 s36, s36, 4
	s_add_u32 s18, s18, 32
	s_addc_u32 s19, s19, 0
	s_cmp_eq_u32 s34, s36
	s_waitcnt lgkmcnt(0)
	v_mul_hi_u32 v3, s41, v2
	s_delay_alu instid0(VALU_DEP_1) | instskip(NEXT) | instid1(VALU_DEP_1)
	v_add_nc_u32_e32 v3, v2, v3
	v_lshrrev_b32_e32 v3, s42, v3
	s_delay_alu instid0(VALU_DEP_1) | instskip(SKIP_1) | instid1(VALU_DEP_2)
	v_mul_hi_u32 v4, s44, v3
	v_mul_lo_u32 v6, v3, s40
	v_add_nc_u32_e32 v4, v3, v4
	s_delay_alu instid0(VALU_DEP_2) | instskip(NEXT) | instid1(VALU_DEP_2)
	v_sub_nc_u32_e32 v2, v2, v6
	v_lshrrev_b32_e32 v4, s45, v4
	s_delay_alu instid0(VALU_DEP_2) | instskip(SKIP_1) | instid1(VALU_DEP_3)
	v_mul_lo_u32 v6, v2, s48
	v_mul_lo_u32 v8, v2, s49
	v_mul_hi_u32 v5, s47, v4
	s_delay_alu instid0(VALU_DEP_1) | instskip(NEXT) | instid1(VALU_DEP_1)
	v_add_nc_u32_e32 v5, v4, v5
	v_lshrrev_b32_e32 v5, s56, v5
	s_delay_alu instid0(VALU_DEP_1) | instskip(SKIP_1) | instid1(VALU_DEP_2)
	v_mul_hi_u32 v7, s58, v5
	v_mul_lo_u32 v9, v5, s46
	v_add_nc_u32_e32 v2, v5, v7
	v_mul_lo_u32 v7, v4, s43
	s_delay_alu instid0(VALU_DEP_3) | instskip(NEXT) | instid1(VALU_DEP_3)
	v_sub_nc_u32_e32 v4, v4, v9
	v_lshrrev_b32_e32 v2, s59, v2
	s_delay_alu instid0(VALU_DEP_2) | instskip(SKIP_2) | instid1(VALU_DEP_4)
	v_mul_lo_u32 v9, v4, s52
	v_mul_lo_u32 v4, v4, s53
	v_sub_nc_u32_e32 v3, v3, v7
	v_mul_lo_u32 v10, v2, s57
	s_delay_alu instid0(VALU_DEP_2) | instskip(SKIP_1) | instid1(VALU_DEP_3)
	v_mul_lo_u32 v7, v3, s50
	v_mul_lo_u32 v3, v3, s51
	v_sub_nc_u32_e32 v5, v5, v10
	s_delay_alu instid0(VALU_DEP_3) | instskip(NEXT) | instid1(VALU_DEP_2)
	v_add3_u32 v0, v6, v0, v7
	v_mul_lo_u32 v10, v5, s54
	v_mul_lo_u32 v5, v5, s55
	v_add3_u32 v1, v8, v1, v3
	s_delay_alu instid0(VALU_DEP_3) | instskip(NEXT) | instid1(VALU_DEP_2)
	v_add3_u32 v0, v9, v0, v10
	v_add3_u32 v1, v4, v1, v5
	s_cbranch_scc0 .LBB455_164
	s_branch .LBB455_182
.LBB455_165:
	s_mov_b32 s33, -1
                                        ; implicit-def: $vgpr0
                                        ; implicit-def: $vgpr1
	s_branch .LBB455_185
.LBB455_166:
	v_dual_mov_b32 v2, v12 :: v_dual_mov_b32 v1, 0
.LBB455_167:
	s_and_b32 s35, s35, 3
	s_delay_alu instid0(SALU_CYCLE_1)
	s_cmp_eq_u32 s35, 0
	s_cbranch_scc1 .LBB455_170
; %bb.168:
	s_lshl_b32 s18, s34, 3
	s_mul_i32 s20, s34, 12
	s_add_u32 s18, s18, s0
	s_addc_u32 s19, s1, 0
	s_add_u32 s18, s18, 0xc4
	s_addc_u32 s19, s19, 0
	;; [unrolled: 2-line block ×3, first 2 shown]
	.p2align	6
.LBB455_169:                            ; =>This Inner Loop Header: Depth=1
	s_clause 0x1
	s_load_b64 s[36:37], s[20:21], 0x4
	s_load_b32 s34, s[20:21], 0xc
	s_load_b64 s[38:39], s[18:19], 0x0
	s_add_u32 s20, s20, 12
	s_addc_u32 s21, s21, 0
	s_add_u32 s18, s18, 8
	s_addc_u32 s19, s19, 0
	s_add_i32 s35, s35, -1
	s_delay_alu instid0(SALU_CYCLE_1) | instskip(SKIP_2) | instid1(VALU_DEP_1)
	s_cmp_lg_u32 s35, 0
	s_waitcnt lgkmcnt(0)
	v_mul_hi_u32 v3, s37, v2
	v_add_nc_u32_e32 v3, v2, v3
	s_delay_alu instid0(VALU_DEP_1) | instskip(NEXT) | instid1(VALU_DEP_1)
	v_lshrrev_b32_e32 v6, s34, v3
	v_mul_lo_u32 v3, v6, s36
	s_delay_alu instid0(VALU_DEP_1) | instskip(NEXT) | instid1(VALU_DEP_1)
	v_sub_nc_u32_e32 v2, v2, v3
	v_mad_u64_u32 v[3:4], null, v2, s38, v[0:1]
	v_mad_u64_u32 v[4:5], null, v2, s39, v[1:2]
	v_mov_b32_e32 v2, v6
	s_delay_alu instid0(VALU_DEP_2)
	v_dual_mov_b32 v0, v3 :: v_dual_mov_b32 v1, v4
	s_cbranch_scc1 .LBB455_169
.LBB455_170:
	s_and_not1_b32 vcc_lo, exec_lo, s33
	s_cbranch_vccnz .LBB455_173
; %bb.171:
	s_waitcnt lgkmcnt(0)
	v_mul_hi_u32 v0, s13, v12
	s_and_not1_b32 vcc_lo, exec_lo, s27
	s_delay_alu instid0(VALU_DEP_1) | instskip(NEXT) | instid1(VALU_DEP_1)
	v_add_nc_u32_e32 v0, v12, v0
	v_lshrrev_b32_e32 v2, s14, v0
	s_delay_alu instid0(VALU_DEP_1) | instskip(NEXT) | instid1(VALU_DEP_1)
	v_mul_lo_u32 v0, v2, s12
	v_sub_nc_u32_e32 v1, v12, v0
	s_delay_alu instid0(VALU_DEP_1)
	v_mul_lo_u32 v0, v1, s8
	v_mul_lo_u32 v1, v1, s9
	s_cbranch_vccnz .LBB455_173
; %bb.172:
	v_mul_hi_u32 v3, s2, v2
	s_delay_alu instid0(VALU_DEP_1) | instskip(NEXT) | instid1(VALU_DEP_1)
	v_add_nc_u32_e32 v3, v2, v3
	v_lshrrev_b32_e32 v3, s3, v3
	s_delay_alu instid0(VALU_DEP_1) | instskip(NEXT) | instid1(VALU_DEP_1)
	v_mul_lo_u32 v3, v3, s15
	v_sub_nc_u32_e32 v5, v2, v3
	s_delay_alu instid0(VALU_DEP_1) | instskip(NEXT) | instid1(VALU_DEP_1)
	v_mad_u64_u32 v[2:3], null, v5, s10, v[0:1]
	v_mad_u64_u32 v[3:4], null, v5, s11, v[1:2]
	s_delay_alu instid0(VALU_DEP_1)
	v_dual_mov_b32 v0, v2 :: v_dual_mov_b32 v1, v3
.LBB455_173:
	s_waitcnt lgkmcnt(0)
	global_load_u16 v1, v1, s[6:7]
	v_add_nc_u32_e32 v12, 0x80, v12
	s_waitcnt vmcnt(0)
	v_min_i16 v1, v1, s26
	global_store_b16 v0, v1, s[4:5]
	s_or_b32 exec_lo, exec_lo, s31
	s_delay_alu instid0(SALU_CYCLE_1)
	s_mov_b32 s31, exec_lo
	v_cmpx_gt_i32_e64 s28, v12
	s_cbranch_execnz .LBB455_160
.LBB455_174:
	s_or_b32 exec_lo, exec_lo, s31
	s_delay_alu instid0(SALU_CYCLE_1)
	s_mov_b32 s31, exec_lo
	v_cmpx_gt_i32_e64 s28, v12
	s_cbranch_execz .LBB455_189
.LBB455_175:
	s_and_not1_b32 vcc_lo, exec_lo, s24
	s_cbranch_vccnz .LBB455_180
; %bb.176:
	v_dual_mov_b32 v0, 0 :: v_dual_mov_b32 v1, 0
	s_and_not1_b32 vcc_lo, exec_lo, s30
	s_mov_b32 s33, 0
	s_cbranch_vccnz .LBB455_200
; %bb.177:
	v_mov_b32_e32 v0, 0
	s_add_i32 s35, s29, 1
	s_cmp_eq_u32 s23, 2
	s_mov_b32 s34, 0
	s_cbranch_scc1 .LBB455_196
; %bb.178:
	v_dual_mov_b32 v1, 0 :: v_dual_mov_b32 v0, 0
	v_mov_b32_e32 v2, v12
	s_and_b32 s34, s35, 28
	s_mov_b32 s36, 0
	s_mov_b64 s[18:19], s[16:17]
	s_mov_b64 s[20:21], s[0:1]
.LBB455_179:                            ; =>This Inner Loop Header: Depth=1
	s_clause 0x1
	s_load_b256 s[40:47], s[20:21], 0x4
	s_load_b128 s[56:59], s[20:21], 0x24
	s_load_b256 s[48:55], s[18:19], 0x0
	s_add_u32 s20, s20, 48
	s_addc_u32 s21, s21, 0
	s_add_i32 s36, s36, 4
	s_add_u32 s18, s18, 32
	s_addc_u32 s19, s19, 0
	s_cmp_eq_u32 s34, s36
	s_waitcnt lgkmcnt(0)
	v_mul_hi_u32 v3, s41, v2
	s_delay_alu instid0(VALU_DEP_1) | instskip(NEXT) | instid1(VALU_DEP_1)
	v_add_nc_u32_e32 v3, v2, v3
	v_lshrrev_b32_e32 v3, s42, v3
	s_delay_alu instid0(VALU_DEP_1) | instskip(SKIP_1) | instid1(VALU_DEP_2)
	v_mul_hi_u32 v4, s44, v3
	v_mul_lo_u32 v6, v3, s40
	v_add_nc_u32_e32 v4, v3, v4
	s_delay_alu instid0(VALU_DEP_2) | instskip(NEXT) | instid1(VALU_DEP_2)
	v_sub_nc_u32_e32 v2, v2, v6
	v_lshrrev_b32_e32 v4, s45, v4
	s_delay_alu instid0(VALU_DEP_2) | instskip(SKIP_1) | instid1(VALU_DEP_3)
	v_mul_lo_u32 v6, v2, s48
	v_mul_lo_u32 v8, v2, s49
	v_mul_hi_u32 v5, s47, v4
	s_delay_alu instid0(VALU_DEP_1) | instskip(NEXT) | instid1(VALU_DEP_1)
	v_add_nc_u32_e32 v5, v4, v5
	v_lshrrev_b32_e32 v5, s56, v5
	s_delay_alu instid0(VALU_DEP_1) | instskip(SKIP_1) | instid1(VALU_DEP_2)
	v_mul_hi_u32 v7, s58, v5
	v_mul_lo_u32 v9, v5, s46
	v_add_nc_u32_e32 v2, v5, v7
	v_mul_lo_u32 v7, v4, s43
	s_delay_alu instid0(VALU_DEP_3) | instskip(NEXT) | instid1(VALU_DEP_3)
	v_sub_nc_u32_e32 v4, v4, v9
	v_lshrrev_b32_e32 v2, s59, v2
	s_delay_alu instid0(VALU_DEP_2) | instskip(SKIP_2) | instid1(VALU_DEP_4)
	v_mul_lo_u32 v9, v4, s52
	v_mul_lo_u32 v4, v4, s53
	v_sub_nc_u32_e32 v3, v3, v7
	v_mul_lo_u32 v10, v2, s57
	s_delay_alu instid0(VALU_DEP_2) | instskip(SKIP_1) | instid1(VALU_DEP_3)
	v_mul_lo_u32 v7, v3, s50
	v_mul_lo_u32 v3, v3, s51
	v_sub_nc_u32_e32 v5, v5, v10
	s_delay_alu instid0(VALU_DEP_3) | instskip(NEXT) | instid1(VALU_DEP_2)
	v_add3_u32 v0, v6, v0, v7
	v_mul_lo_u32 v10, v5, s54
	v_mul_lo_u32 v5, v5, s55
	v_add3_u32 v1, v8, v1, v3
	s_delay_alu instid0(VALU_DEP_3) | instskip(NEXT) | instid1(VALU_DEP_2)
	v_add3_u32 v0, v9, v0, v10
	v_add3_u32 v1, v4, v1, v5
	s_cbranch_scc0 .LBB455_179
	s_branch .LBB455_197
.LBB455_180:
	s_mov_b32 s33, -1
                                        ; implicit-def: $vgpr0
                                        ; implicit-def: $vgpr1
	s_branch .LBB455_200
.LBB455_181:
	v_dual_mov_b32 v2, v12 :: v_dual_mov_b32 v1, 0
.LBB455_182:
	s_and_b32 s35, s35, 3
	s_delay_alu instid0(SALU_CYCLE_1)
	s_cmp_eq_u32 s35, 0
	s_cbranch_scc1 .LBB455_185
; %bb.183:
	s_lshl_b32 s18, s34, 3
	s_mul_i32 s20, s34, 12
	s_add_u32 s18, s18, s0
	s_addc_u32 s19, s1, 0
	s_add_u32 s18, s18, 0xc4
	s_addc_u32 s19, s19, 0
	;; [unrolled: 2-line block ×3, first 2 shown]
	.p2align	6
.LBB455_184:                            ; =>This Inner Loop Header: Depth=1
	s_clause 0x1
	s_load_b64 s[36:37], s[20:21], 0x4
	s_load_b32 s34, s[20:21], 0xc
	s_load_b64 s[38:39], s[18:19], 0x0
	s_add_u32 s20, s20, 12
	s_addc_u32 s21, s21, 0
	s_add_u32 s18, s18, 8
	s_addc_u32 s19, s19, 0
	s_add_i32 s35, s35, -1
	s_delay_alu instid0(SALU_CYCLE_1) | instskip(SKIP_2) | instid1(VALU_DEP_1)
	s_cmp_lg_u32 s35, 0
	s_waitcnt lgkmcnt(0)
	v_mul_hi_u32 v3, s37, v2
	v_add_nc_u32_e32 v3, v2, v3
	s_delay_alu instid0(VALU_DEP_1) | instskip(NEXT) | instid1(VALU_DEP_1)
	v_lshrrev_b32_e32 v6, s34, v3
	v_mul_lo_u32 v3, v6, s36
	s_delay_alu instid0(VALU_DEP_1) | instskip(NEXT) | instid1(VALU_DEP_1)
	v_sub_nc_u32_e32 v2, v2, v3
	v_mad_u64_u32 v[3:4], null, v2, s38, v[0:1]
	v_mad_u64_u32 v[4:5], null, v2, s39, v[1:2]
	v_mov_b32_e32 v2, v6
	s_delay_alu instid0(VALU_DEP_2)
	v_dual_mov_b32 v0, v3 :: v_dual_mov_b32 v1, v4
	s_cbranch_scc1 .LBB455_184
.LBB455_185:
	s_and_not1_b32 vcc_lo, exec_lo, s33
	s_cbranch_vccnz .LBB455_188
; %bb.186:
	s_waitcnt lgkmcnt(0)
	v_mul_hi_u32 v0, s13, v12
	s_and_not1_b32 vcc_lo, exec_lo, s27
	s_delay_alu instid0(VALU_DEP_1) | instskip(NEXT) | instid1(VALU_DEP_1)
	v_add_nc_u32_e32 v0, v12, v0
	v_lshrrev_b32_e32 v2, s14, v0
	s_delay_alu instid0(VALU_DEP_1) | instskip(NEXT) | instid1(VALU_DEP_1)
	v_mul_lo_u32 v0, v2, s12
	v_sub_nc_u32_e32 v1, v12, v0
	s_delay_alu instid0(VALU_DEP_1)
	v_mul_lo_u32 v0, v1, s8
	v_mul_lo_u32 v1, v1, s9
	s_cbranch_vccnz .LBB455_188
; %bb.187:
	v_mul_hi_u32 v3, s2, v2
	s_delay_alu instid0(VALU_DEP_1) | instskip(NEXT) | instid1(VALU_DEP_1)
	v_add_nc_u32_e32 v3, v2, v3
	v_lshrrev_b32_e32 v3, s3, v3
	s_delay_alu instid0(VALU_DEP_1) | instskip(NEXT) | instid1(VALU_DEP_1)
	v_mul_lo_u32 v3, v3, s15
	v_sub_nc_u32_e32 v5, v2, v3
	s_delay_alu instid0(VALU_DEP_1) | instskip(NEXT) | instid1(VALU_DEP_1)
	v_mad_u64_u32 v[2:3], null, v5, s10, v[0:1]
	v_mad_u64_u32 v[3:4], null, v5, s11, v[1:2]
	s_delay_alu instid0(VALU_DEP_1)
	v_dual_mov_b32 v0, v2 :: v_dual_mov_b32 v1, v3
.LBB455_188:
	s_waitcnt lgkmcnt(0)
	global_load_u16 v1, v1, s[6:7]
	v_add_nc_u32_e32 v12, 0x80, v12
	s_waitcnt vmcnt(0)
	v_min_i16 v1, v1, s26
	global_store_b16 v0, v1, s[4:5]
	s_or_b32 exec_lo, exec_lo, s31
	s_delay_alu instid0(SALU_CYCLE_1)
	s_mov_b32 s31, exec_lo
	v_cmpx_gt_i32_e64 s28, v12
	s_cbranch_execnz .LBB455_175
.LBB455_189:
	s_or_b32 exec_lo, exec_lo, s31
	s_delay_alu instid0(SALU_CYCLE_1)
	s_mov_b32 s31, exec_lo
	v_cmpx_gt_i32_e64 s28, v12
	s_cbranch_execz .LBB455_204
.LBB455_190:
	s_and_not1_b32 vcc_lo, exec_lo, s24
	s_cbranch_vccnz .LBB455_195
; %bb.191:
	v_dual_mov_b32 v0, 0 :: v_dual_mov_b32 v1, 0
	s_and_not1_b32 vcc_lo, exec_lo, s30
	s_mov_b32 s33, 0
	s_cbranch_vccnz .LBB455_211
; %bb.192:
	v_mov_b32_e32 v0, 0
	s_add_i32 s35, s29, 1
	s_cmp_eq_u32 s23, 2
	s_mov_b32 s34, 0
	s_cbranch_scc1 .LBB455_207
; %bb.193:
	v_dual_mov_b32 v1, 0 :: v_dual_mov_b32 v0, 0
	v_mov_b32_e32 v2, v12
	s_and_b32 s34, s35, 28
	s_mov_b32 s36, 0
	s_mov_b64 s[18:19], s[16:17]
	s_mov_b64 s[20:21], s[0:1]
.LBB455_194:                            ; =>This Inner Loop Header: Depth=1
	s_clause 0x1
	s_load_b256 s[40:47], s[20:21], 0x4
	s_load_b128 s[56:59], s[20:21], 0x24
	s_load_b256 s[48:55], s[18:19], 0x0
	s_add_u32 s20, s20, 48
	s_addc_u32 s21, s21, 0
	s_add_i32 s36, s36, 4
	s_add_u32 s18, s18, 32
	s_addc_u32 s19, s19, 0
	s_cmp_eq_u32 s34, s36
	s_waitcnt lgkmcnt(0)
	v_mul_hi_u32 v3, s41, v2
	s_delay_alu instid0(VALU_DEP_1) | instskip(NEXT) | instid1(VALU_DEP_1)
	v_add_nc_u32_e32 v3, v2, v3
	v_lshrrev_b32_e32 v3, s42, v3
	s_delay_alu instid0(VALU_DEP_1) | instskip(SKIP_1) | instid1(VALU_DEP_2)
	v_mul_hi_u32 v4, s44, v3
	v_mul_lo_u32 v6, v3, s40
	v_add_nc_u32_e32 v4, v3, v4
	s_delay_alu instid0(VALU_DEP_2) | instskip(NEXT) | instid1(VALU_DEP_2)
	v_sub_nc_u32_e32 v2, v2, v6
	v_lshrrev_b32_e32 v4, s45, v4
	s_delay_alu instid0(VALU_DEP_2) | instskip(SKIP_1) | instid1(VALU_DEP_3)
	v_mul_lo_u32 v6, v2, s48
	v_mul_lo_u32 v8, v2, s49
	v_mul_hi_u32 v5, s47, v4
	s_delay_alu instid0(VALU_DEP_1) | instskip(NEXT) | instid1(VALU_DEP_1)
	v_add_nc_u32_e32 v5, v4, v5
	v_lshrrev_b32_e32 v5, s56, v5
	s_delay_alu instid0(VALU_DEP_1) | instskip(SKIP_1) | instid1(VALU_DEP_2)
	v_mul_hi_u32 v7, s58, v5
	v_mul_lo_u32 v9, v5, s46
	v_add_nc_u32_e32 v2, v5, v7
	v_mul_lo_u32 v7, v4, s43
	s_delay_alu instid0(VALU_DEP_3) | instskip(NEXT) | instid1(VALU_DEP_3)
	v_sub_nc_u32_e32 v4, v4, v9
	v_lshrrev_b32_e32 v2, s59, v2
	s_delay_alu instid0(VALU_DEP_2) | instskip(SKIP_2) | instid1(VALU_DEP_4)
	v_mul_lo_u32 v9, v4, s52
	v_mul_lo_u32 v4, v4, s53
	v_sub_nc_u32_e32 v3, v3, v7
	v_mul_lo_u32 v10, v2, s57
	s_delay_alu instid0(VALU_DEP_2) | instskip(SKIP_1) | instid1(VALU_DEP_3)
	v_mul_lo_u32 v7, v3, s50
	v_mul_lo_u32 v3, v3, s51
	v_sub_nc_u32_e32 v5, v5, v10
	s_delay_alu instid0(VALU_DEP_3) | instskip(NEXT) | instid1(VALU_DEP_2)
	v_add3_u32 v0, v6, v0, v7
	v_mul_lo_u32 v10, v5, s54
	v_mul_lo_u32 v5, v5, s55
	v_add3_u32 v1, v8, v1, v3
	s_delay_alu instid0(VALU_DEP_3) | instskip(NEXT) | instid1(VALU_DEP_2)
	v_add3_u32 v0, v9, v0, v10
	v_add3_u32 v1, v4, v1, v5
	s_cbranch_scc0 .LBB455_194
	s_branch .LBB455_208
.LBB455_195:
	s_mov_b32 s33, -1
                                        ; implicit-def: $vgpr0
                                        ; implicit-def: $vgpr1
	s_branch .LBB455_211
.LBB455_196:
	v_dual_mov_b32 v2, v12 :: v_dual_mov_b32 v1, 0
.LBB455_197:
	s_and_b32 s35, s35, 3
	s_delay_alu instid0(SALU_CYCLE_1)
	s_cmp_eq_u32 s35, 0
	s_cbranch_scc1 .LBB455_200
; %bb.198:
	s_lshl_b32 s18, s34, 3
	s_mul_i32 s20, s34, 12
	s_add_u32 s18, s18, s0
	s_addc_u32 s19, s1, 0
	s_add_u32 s18, s18, 0xc4
	s_addc_u32 s19, s19, 0
	;; [unrolled: 2-line block ×3, first 2 shown]
	.p2align	6
.LBB455_199:                            ; =>This Inner Loop Header: Depth=1
	s_clause 0x1
	s_load_b64 s[36:37], s[20:21], 0x4
	s_load_b32 s34, s[20:21], 0xc
	s_load_b64 s[38:39], s[18:19], 0x0
	s_add_u32 s20, s20, 12
	s_addc_u32 s21, s21, 0
	s_add_u32 s18, s18, 8
	s_addc_u32 s19, s19, 0
	s_add_i32 s35, s35, -1
	s_delay_alu instid0(SALU_CYCLE_1) | instskip(SKIP_2) | instid1(VALU_DEP_1)
	s_cmp_lg_u32 s35, 0
	s_waitcnt lgkmcnt(0)
	v_mul_hi_u32 v3, s37, v2
	v_add_nc_u32_e32 v3, v2, v3
	s_delay_alu instid0(VALU_DEP_1) | instskip(NEXT) | instid1(VALU_DEP_1)
	v_lshrrev_b32_e32 v6, s34, v3
	v_mul_lo_u32 v3, v6, s36
	s_delay_alu instid0(VALU_DEP_1) | instskip(NEXT) | instid1(VALU_DEP_1)
	v_sub_nc_u32_e32 v2, v2, v3
	v_mad_u64_u32 v[3:4], null, v2, s38, v[0:1]
	v_mad_u64_u32 v[4:5], null, v2, s39, v[1:2]
	v_mov_b32_e32 v2, v6
	s_delay_alu instid0(VALU_DEP_2)
	v_dual_mov_b32 v0, v3 :: v_dual_mov_b32 v1, v4
	s_cbranch_scc1 .LBB455_199
.LBB455_200:
	s_and_not1_b32 vcc_lo, exec_lo, s33
	s_cbranch_vccnz .LBB455_203
; %bb.201:
	s_waitcnt lgkmcnt(0)
	v_mul_hi_u32 v0, s13, v12
	s_and_not1_b32 vcc_lo, exec_lo, s27
	s_delay_alu instid0(VALU_DEP_1) | instskip(NEXT) | instid1(VALU_DEP_1)
	v_add_nc_u32_e32 v0, v12, v0
	v_lshrrev_b32_e32 v2, s14, v0
	s_delay_alu instid0(VALU_DEP_1) | instskip(NEXT) | instid1(VALU_DEP_1)
	v_mul_lo_u32 v0, v2, s12
	v_sub_nc_u32_e32 v1, v12, v0
	s_delay_alu instid0(VALU_DEP_1)
	v_mul_lo_u32 v0, v1, s8
	v_mul_lo_u32 v1, v1, s9
	s_cbranch_vccnz .LBB455_203
; %bb.202:
	v_mul_hi_u32 v3, s2, v2
	s_delay_alu instid0(VALU_DEP_1) | instskip(NEXT) | instid1(VALU_DEP_1)
	v_add_nc_u32_e32 v3, v2, v3
	v_lshrrev_b32_e32 v3, s3, v3
	s_delay_alu instid0(VALU_DEP_1) | instskip(NEXT) | instid1(VALU_DEP_1)
	v_mul_lo_u32 v3, v3, s15
	v_sub_nc_u32_e32 v5, v2, v3
	s_delay_alu instid0(VALU_DEP_1) | instskip(NEXT) | instid1(VALU_DEP_1)
	v_mad_u64_u32 v[2:3], null, v5, s10, v[0:1]
	v_mad_u64_u32 v[3:4], null, v5, s11, v[1:2]
	s_delay_alu instid0(VALU_DEP_1)
	v_dual_mov_b32 v0, v2 :: v_dual_mov_b32 v1, v3
.LBB455_203:
	s_waitcnt lgkmcnt(0)
	global_load_u16 v1, v1, s[6:7]
	v_add_nc_u32_e32 v12, 0x80, v12
	s_waitcnt vmcnt(0)
	v_min_i16 v1, v1, s26
	global_store_b16 v0, v1, s[4:5]
	s_or_b32 exec_lo, exec_lo, s31
	s_delay_alu instid0(SALU_CYCLE_1)
	s_mov_b32 s31, exec_lo
	v_cmpx_gt_i32_e64 s28, v12
	s_cbranch_execnz .LBB455_190
.LBB455_204:
	s_or_b32 exec_lo, exec_lo, s31
	s_delay_alu instid0(SALU_CYCLE_1)
	s_mov_b32 s20, exec_lo
	v_cmpx_gt_i32_e64 s28, v12
	s_cbranch_execnz .LBB455_215
.LBB455_205:
	s_or_b32 exec_lo, exec_lo, s20
                                        ; implicit-def: $vgpr16
                                        ; implicit-def: $vgpr12
	s_waitcnt lgkmcnt(0)
	s_and_not1_saveexec_b32 s2, s25
	s_cbranch_execnz .LBB455_8
.LBB455_206:
	s_nop 0
	s_sendmsg sendmsg(MSG_DEALLOC_VGPRS)
	s_endpgm
.LBB455_207:
	v_dual_mov_b32 v2, v12 :: v_dual_mov_b32 v1, 0
.LBB455_208:
	s_and_b32 s35, s35, 3
	s_delay_alu instid0(SALU_CYCLE_1)
	s_cmp_eq_u32 s35, 0
	s_cbranch_scc1 .LBB455_211
; %bb.209:
	s_lshl_b32 s18, s34, 3
	s_mul_i32 s20, s34, 12
	s_add_u32 s18, s18, s0
	s_addc_u32 s19, s1, 0
	s_add_u32 s18, s18, 0xc4
	s_addc_u32 s19, s19, 0
	;; [unrolled: 2-line block ×3, first 2 shown]
	.p2align	6
.LBB455_210:                            ; =>This Inner Loop Header: Depth=1
	s_clause 0x1
	s_load_b64 s[36:37], s[20:21], 0x4
	s_load_b32 s34, s[20:21], 0xc
	s_load_b64 s[38:39], s[18:19], 0x0
	s_add_u32 s20, s20, 12
	s_addc_u32 s21, s21, 0
	s_add_u32 s18, s18, 8
	s_addc_u32 s19, s19, 0
	s_add_i32 s35, s35, -1
	s_delay_alu instid0(SALU_CYCLE_1) | instskip(SKIP_2) | instid1(VALU_DEP_1)
	s_cmp_lg_u32 s35, 0
	s_waitcnt lgkmcnt(0)
	v_mul_hi_u32 v3, s37, v2
	v_add_nc_u32_e32 v3, v2, v3
	s_delay_alu instid0(VALU_DEP_1) | instskip(NEXT) | instid1(VALU_DEP_1)
	v_lshrrev_b32_e32 v6, s34, v3
	v_mul_lo_u32 v3, v6, s36
	s_delay_alu instid0(VALU_DEP_1) | instskip(NEXT) | instid1(VALU_DEP_1)
	v_sub_nc_u32_e32 v2, v2, v3
	v_mad_u64_u32 v[3:4], null, v2, s38, v[0:1]
	v_mad_u64_u32 v[4:5], null, v2, s39, v[1:2]
	v_mov_b32_e32 v2, v6
	s_delay_alu instid0(VALU_DEP_2)
	v_dual_mov_b32 v0, v3 :: v_dual_mov_b32 v1, v4
	s_cbranch_scc1 .LBB455_210
.LBB455_211:
	s_and_not1_b32 vcc_lo, exec_lo, s33
	s_cbranch_vccnz .LBB455_214
; %bb.212:
	s_waitcnt lgkmcnt(0)
	v_mul_hi_u32 v0, s13, v12
	s_and_not1_b32 vcc_lo, exec_lo, s27
	s_delay_alu instid0(VALU_DEP_1) | instskip(NEXT) | instid1(VALU_DEP_1)
	v_add_nc_u32_e32 v0, v12, v0
	v_lshrrev_b32_e32 v2, s14, v0
	s_delay_alu instid0(VALU_DEP_1) | instskip(NEXT) | instid1(VALU_DEP_1)
	v_mul_lo_u32 v0, v2, s12
	v_sub_nc_u32_e32 v1, v12, v0
	s_delay_alu instid0(VALU_DEP_1)
	v_mul_lo_u32 v0, v1, s8
	v_mul_lo_u32 v1, v1, s9
	s_cbranch_vccnz .LBB455_214
; %bb.213:
	v_mul_hi_u32 v3, s2, v2
	s_delay_alu instid0(VALU_DEP_1) | instskip(NEXT) | instid1(VALU_DEP_1)
	v_add_nc_u32_e32 v3, v2, v3
	v_lshrrev_b32_e32 v3, s3, v3
	s_delay_alu instid0(VALU_DEP_1) | instskip(NEXT) | instid1(VALU_DEP_1)
	v_mul_lo_u32 v3, v3, s15
	v_sub_nc_u32_e32 v5, v2, v3
	s_delay_alu instid0(VALU_DEP_1) | instskip(NEXT) | instid1(VALU_DEP_1)
	v_mad_u64_u32 v[2:3], null, v5, s10, v[0:1]
	v_mad_u64_u32 v[3:4], null, v5, s11, v[1:2]
	s_delay_alu instid0(VALU_DEP_1)
	v_dual_mov_b32 v0, v2 :: v_dual_mov_b32 v1, v3
.LBB455_214:
	s_waitcnt lgkmcnt(0)
	global_load_u16 v1, v1, s[6:7]
	v_add_nc_u32_e32 v12, 0x80, v12
	s_waitcnt vmcnt(0)
	v_min_i16 v1, v1, s26
	global_store_b16 v0, v1, s[4:5]
	s_or_b32 exec_lo, exec_lo, s31
	s_delay_alu instid0(SALU_CYCLE_1)
	s_mov_b32 s20, exec_lo
	v_cmpx_gt_i32_e64 s28, v12
	s_cbranch_execz .LBB455_205
.LBB455_215:
	s_and_not1_b32 vcc_lo, exec_lo, s24
	s_cbranch_vccnz .LBB455_220
; %bb.216:
	v_dual_mov_b32 v0, 0 :: v_dual_mov_b32 v1, 0
	s_and_not1_b32 vcc_lo, exec_lo, s30
	s_mov_b32 s21, 0
	s_cbranch_vccnz .LBB455_225
; %bb.217:
	v_mov_b32_e32 v0, 0
	s_add_i32 s29, s29, 1
	s_cmp_eq_u32 s23, 2
	s_mov_b32 s28, 0
	s_cbranch_scc1 .LBB455_221
; %bb.218:
	v_dual_mov_b32 v1, 0 :: v_dual_mov_b32 v0, 0
	v_mov_b32_e32 v2, v12
	s_and_b32 s28, s29, 28
	s_mov_b32 s30, 0
	s_mov_b64 s[18:19], s[0:1]
.LBB455_219:                            ; =>This Inner Loop Header: Depth=1
	s_clause 0x1
	s_load_b256 s[36:43], s[18:19], 0x4
	s_load_b128 s[52:55], s[18:19], 0x24
	s_load_b256 s[44:51], s[16:17], 0x0
	s_add_u32 s18, s18, 48
	s_addc_u32 s19, s19, 0
	s_add_i32 s30, s30, 4
	s_add_u32 s16, s16, 32
	s_addc_u32 s17, s17, 0
	s_cmp_eq_u32 s28, s30
	s_waitcnt lgkmcnt(0)
	v_mul_hi_u32 v3, s37, v2
	s_delay_alu instid0(VALU_DEP_1) | instskip(NEXT) | instid1(VALU_DEP_1)
	v_add_nc_u32_e32 v3, v2, v3
	v_lshrrev_b32_e32 v3, s38, v3
	s_delay_alu instid0(VALU_DEP_1) | instskip(SKIP_1) | instid1(VALU_DEP_2)
	v_mul_hi_u32 v4, s40, v3
	v_mul_lo_u32 v6, v3, s36
	v_add_nc_u32_e32 v4, v3, v4
	s_delay_alu instid0(VALU_DEP_2) | instskip(NEXT) | instid1(VALU_DEP_2)
	v_sub_nc_u32_e32 v2, v2, v6
	v_lshrrev_b32_e32 v4, s41, v4
	s_delay_alu instid0(VALU_DEP_2) | instskip(SKIP_1) | instid1(VALU_DEP_3)
	v_mul_lo_u32 v6, v2, s44
	v_mul_lo_u32 v8, v2, s45
	v_mul_hi_u32 v5, s43, v4
	s_delay_alu instid0(VALU_DEP_1) | instskip(NEXT) | instid1(VALU_DEP_1)
	v_add_nc_u32_e32 v5, v4, v5
	v_lshrrev_b32_e32 v5, s52, v5
	s_delay_alu instid0(VALU_DEP_1) | instskip(SKIP_1) | instid1(VALU_DEP_2)
	v_mul_hi_u32 v7, s54, v5
	v_mul_lo_u32 v9, v5, s42
	v_add_nc_u32_e32 v2, v5, v7
	v_mul_lo_u32 v7, v4, s39
	s_delay_alu instid0(VALU_DEP_3) | instskip(NEXT) | instid1(VALU_DEP_3)
	v_sub_nc_u32_e32 v4, v4, v9
	v_lshrrev_b32_e32 v2, s55, v2
	s_delay_alu instid0(VALU_DEP_2) | instskip(SKIP_2) | instid1(VALU_DEP_4)
	v_mul_lo_u32 v9, v4, s48
	v_mul_lo_u32 v4, v4, s49
	v_sub_nc_u32_e32 v3, v3, v7
	v_mul_lo_u32 v10, v2, s53
	s_delay_alu instid0(VALU_DEP_2) | instskip(SKIP_1) | instid1(VALU_DEP_3)
	v_mul_lo_u32 v7, v3, s46
	v_mul_lo_u32 v3, v3, s47
	v_sub_nc_u32_e32 v5, v5, v10
	s_delay_alu instid0(VALU_DEP_3) | instskip(NEXT) | instid1(VALU_DEP_2)
	v_add3_u32 v0, v6, v0, v7
	v_mul_lo_u32 v10, v5, s50
	v_mul_lo_u32 v5, v5, s51
	v_add3_u32 v1, v8, v1, v3
	s_delay_alu instid0(VALU_DEP_3) | instskip(NEXT) | instid1(VALU_DEP_2)
	v_add3_u32 v0, v9, v0, v10
	v_add3_u32 v1, v4, v1, v5
	s_cbranch_scc0 .LBB455_219
	s_branch .LBB455_222
.LBB455_220:
	s_mov_b32 s21, -1
                                        ; implicit-def: $vgpr0
                                        ; implicit-def: $vgpr1
	s_branch .LBB455_225
.LBB455_221:
	v_dual_mov_b32 v2, v12 :: v_dual_mov_b32 v1, 0
.LBB455_222:
	s_and_b32 s29, s29, 3
	s_delay_alu instid0(SALU_CYCLE_1)
	s_cmp_eq_u32 s29, 0
	s_cbranch_scc1 .LBB455_225
; %bb.223:
	s_lshl_b32 s16, s28, 3
	s_mul_i32 s18, s28, 12
	s_add_u32 s16, s16, s0
	s_addc_u32 s17, s1, 0
	s_add_u32 s16, s16, 0xc4
	s_addc_u32 s17, s17, 0
	;; [unrolled: 2-line block ×3, first 2 shown]
	.p2align	6
.LBB455_224:                            ; =>This Inner Loop Header: Depth=1
	s_clause 0x1
	s_load_b64 s[30:31], s[18:19], 0x4
	s_load_b32 s28, s[18:19], 0xc
	s_load_b64 s[34:35], s[16:17], 0x0
	s_add_u32 s18, s18, 12
	s_addc_u32 s19, s19, 0
	s_add_u32 s16, s16, 8
	s_addc_u32 s17, s17, 0
	s_add_i32 s29, s29, -1
	s_delay_alu instid0(SALU_CYCLE_1) | instskip(SKIP_2) | instid1(VALU_DEP_1)
	s_cmp_lg_u32 s29, 0
	s_waitcnt lgkmcnt(0)
	v_mul_hi_u32 v3, s31, v2
	v_add_nc_u32_e32 v3, v2, v3
	s_delay_alu instid0(VALU_DEP_1) | instskip(NEXT) | instid1(VALU_DEP_1)
	v_lshrrev_b32_e32 v6, s28, v3
	v_mul_lo_u32 v3, v6, s30
	s_delay_alu instid0(VALU_DEP_1) | instskip(NEXT) | instid1(VALU_DEP_1)
	v_sub_nc_u32_e32 v2, v2, v3
	v_mad_u64_u32 v[3:4], null, v2, s34, v[0:1]
	v_mad_u64_u32 v[4:5], null, v2, s35, v[1:2]
	v_mov_b32_e32 v2, v6
	s_delay_alu instid0(VALU_DEP_2)
	v_dual_mov_b32 v0, v3 :: v_dual_mov_b32 v1, v4
	s_cbranch_scc1 .LBB455_224
.LBB455_225:
	s_and_not1_b32 vcc_lo, exec_lo, s21
	s_cbranch_vccnz .LBB455_228
; %bb.226:
	s_waitcnt lgkmcnt(0)
	v_mul_hi_u32 v0, s13, v12
	s_and_not1_b32 vcc_lo, exec_lo, s27
	s_delay_alu instid0(VALU_DEP_1) | instskip(NEXT) | instid1(VALU_DEP_1)
	v_add_nc_u32_e32 v0, v12, v0
	v_lshrrev_b32_e32 v2, s14, v0
	s_delay_alu instid0(VALU_DEP_1) | instskip(NEXT) | instid1(VALU_DEP_1)
	v_mul_lo_u32 v0, v2, s12
	v_sub_nc_u32_e32 v1, v12, v0
	s_delay_alu instid0(VALU_DEP_1)
	v_mul_lo_u32 v0, v1, s8
	v_mul_lo_u32 v1, v1, s9
	s_cbranch_vccnz .LBB455_228
; %bb.227:
	v_mul_hi_u32 v3, s2, v2
	s_delay_alu instid0(VALU_DEP_1) | instskip(NEXT) | instid1(VALU_DEP_1)
	v_add_nc_u32_e32 v3, v2, v3
	v_lshrrev_b32_e32 v3, s3, v3
	s_delay_alu instid0(VALU_DEP_1) | instskip(NEXT) | instid1(VALU_DEP_1)
	v_mul_lo_u32 v3, v3, s15
	v_sub_nc_u32_e32 v5, v2, v3
	s_delay_alu instid0(VALU_DEP_1) | instskip(NEXT) | instid1(VALU_DEP_1)
	v_mad_u64_u32 v[2:3], null, v5, s10, v[0:1]
	v_mad_u64_u32 v[3:4], null, v5, s11, v[1:2]
	s_delay_alu instid0(VALU_DEP_1)
	v_dual_mov_b32 v0, v2 :: v_dual_mov_b32 v1, v3
.LBB455_228:
	s_waitcnt lgkmcnt(0)
	global_load_u16 v1, v1, s[6:7]
	s_waitcnt vmcnt(0)
	v_min_i16 v1, v1, s26
	global_store_b16 v0, v1, s[4:5]
	s_or_b32 exec_lo, exec_lo, s20
                                        ; implicit-def: $vgpr16
                                        ; implicit-def: $vgpr12
	s_and_not1_saveexec_b32 s2, s25
	s_cbranch_execz .LBB455_206
	s_branch .LBB455_8
	.section	.rodata,"a",@progbits
	.p2align	6, 0x0
	.amdhsa_kernel _ZN2at6native32elementwise_kernel_manual_unrollILi128ELi8EZNS0_22gpu_kernel_impl_nocastIZZZNS0_21clamp_max_kernel_cudaERNS_18TensorIteratorBaseERKN3c106ScalarEENKUlvE_clEvENKUlvE3_clEvEUlsE_EEvS4_RKT_EUlibE_EEviT1_
		.amdhsa_group_segment_fixed_size 0
		.amdhsa_private_segment_fixed_size 0
		.amdhsa_kernarg_size 360
		.amdhsa_user_sgpr_count 15
		.amdhsa_user_sgpr_dispatch_ptr 0
		.amdhsa_user_sgpr_queue_ptr 0
		.amdhsa_user_sgpr_kernarg_segment_ptr 1
		.amdhsa_user_sgpr_dispatch_id 0
		.amdhsa_user_sgpr_private_segment_size 0
		.amdhsa_wavefront_size32 1
		.amdhsa_uses_dynamic_stack 0
		.amdhsa_enable_private_segment 0
		.amdhsa_system_sgpr_workgroup_id_x 1
		.amdhsa_system_sgpr_workgroup_id_y 0
		.amdhsa_system_sgpr_workgroup_id_z 0
		.amdhsa_system_sgpr_workgroup_info 0
		.amdhsa_system_vgpr_workitem_id 0
		.amdhsa_next_free_vgpr 26
		.amdhsa_next_free_sgpr 60
		.amdhsa_reserve_vcc 1
		.amdhsa_float_round_mode_32 0
		.amdhsa_float_round_mode_16_64 0
		.amdhsa_float_denorm_mode_32 3
		.amdhsa_float_denorm_mode_16_64 3
		.amdhsa_dx10_clamp 1
		.amdhsa_ieee_mode 1
		.amdhsa_fp16_overflow 0
		.amdhsa_workgroup_processor_mode 1
		.amdhsa_memory_ordered 1
		.amdhsa_forward_progress 0
		.amdhsa_shared_vgpr_count 0
		.amdhsa_exception_fp_ieee_invalid_op 0
		.amdhsa_exception_fp_denorm_src 0
		.amdhsa_exception_fp_ieee_div_zero 0
		.amdhsa_exception_fp_ieee_overflow 0
		.amdhsa_exception_fp_ieee_underflow 0
		.amdhsa_exception_fp_ieee_inexact 0
		.amdhsa_exception_int_div_zero 0
	.end_amdhsa_kernel
	.section	.text._ZN2at6native32elementwise_kernel_manual_unrollILi128ELi8EZNS0_22gpu_kernel_impl_nocastIZZZNS0_21clamp_max_kernel_cudaERNS_18TensorIteratorBaseERKN3c106ScalarEENKUlvE_clEvENKUlvE3_clEvEUlsE_EEvS4_RKT_EUlibE_EEviT1_,"axG",@progbits,_ZN2at6native32elementwise_kernel_manual_unrollILi128ELi8EZNS0_22gpu_kernel_impl_nocastIZZZNS0_21clamp_max_kernel_cudaERNS_18TensorIteratorBaseERKN3c106ScalarEENKUlvE_clEvENKUlvE3_clEvEUlsE_EEvS4_RKT_EUlibE_EEviT1_,comdat
.Lfunc_end455:
	.size	_ZN2at6native32elementwise_kernel_manual_unrollILi128ELi8EZNS0_22gpu_kernel_impl_nocastIZZZNS0_21clamp_max_kernel_cudaERNS_18TensorIteratorBaseERKN3c106ScalarEENKUlvE_clEvENKUlvE3_clEvEUlsE_EEvS4_RKT_EUlibE_EEviT1_, .Lfunc_end455-_ZN2at6native32elementwise_kernel_manual_unrollILi128ELi8EZNS0_22gpu_kernel_impl_nocastIZZZNS0_21clamp_max_kernel_cudaERNS_18TensorIteratorBaseERKN3c106ScalarEENKUlvE_clEvENKUlvE3_clEvEUlsE_EEvS4_RKT_EUlibE_EEviT1_
                                        ; -- End function
	.section	.AMDGPU.csdata,"",@progbits
; Kernel info:
; codeLenInByte = 13536
; NumSgprs: 62
; NumVgprs: 26
; ScratchSize: 0
; MemoryBound: 0
; FloatMode: 240
; IeeeMode: 1
; LDSByteSize: 0 bytes/workgroup (compile time only)
; SGPRBlocks: 7
; VGPRBlocks: 3
; NumSGPRsForWavesPerEU: 62
; NumVGPRsForWavesPerEU: 26
; Occupancy: 16
; WaveLimiterHint : 1
; COMPUTE_PGM_RSRC2:SCRATCH_EN: 0
; COMPUTE_PGM_RSRC2:USER_SGPR: 15
; COMPUTE_PGM_RSRC2:TRAP_HANDLER: 0
; COMPUTE_PGM_RSRC2:TGID_X_EN: 1
; COMPUTE_PGM_RSRC2:TGID_Y_EN: 0
; COMPUTE_PGM_RSRC2:TGID_Z_EN: 0
; COMPUTE_PGM_RSRC2:TIDIG_COMP_CNT: 0
	.section	.text._ZN2at6native32elementwise_kernel_manual_unrollILi128ELi4EZNS0_15gpu_kernel_implIZZZNS0_21clamp_max_kernel_cudaERNS_18TensorIteratorBaseERKN3c106ScalarEENKUlvE_clEvENKUlvE3_clEvEUlsE_EEvS4_RKT_EUlibE_EEviT1_,"axG",@progbits,_ZN2at6native32elementwise_kernel_manual_unrollILi128ELi4EZNS0_15gpu_kernel_implIZZZNS0_21clamp_max_kernel_cudaERNS_18TensorIteratorBaseERKN3c106ScalarEENKUlvE_clEvENKUlvE3_clEvEUlsE_EEvS4_RKT_EUlibE_EEviT1_,comdat
	.globl	_ZN2at6native32elementwise_kernel_manual_unrollILi128ELi4EZNS0_15gpu_kernel_implIZZZNS0_21clamp_max_kernel_cudaERNS_18TensorIteratorBaseERKN3c106ScalarEENKUlvE_clEvENKUlvE3_clEvEUlsE_EEvS4_RKT_EUlibE_EEviT1_ ; -- Begin function _ZN2at6native32elementwise_kernel_manual_unrollILi128ELi4EZNS0_15gpu_kernel_implIZZZNS0_21clamp_max_kernel_cudaERNS_18TensorIteratorBaseERKN3c106ScalarEENKUlvE_clEvENKUlvE3_clEvEUlsE_EEvS4_RKT_EUlibE_EEviT1_
	.p2align	8
	.type	_ZN2at6native32elementwise_kernel_manual_unrollILi128ELi4EZNS0_15gpu_kernel_implIZZZNS0_21clamp_max_kernel_cudaERNS_18TensorIteratorBaseERKN3c106ScalarEENKUlvE_clEvENKUlvE3_clEvEUlsE_EEvS4_RKT_EUlibE_EEviT1_,@function
_ZN2at6native32elementwise_kernel_manual_unrollILi128ELi4EZNS0_15gpu_kernel_implIZZZNS0_21clamp_max_kernel_cudaERNS_18TensorIteratorBaseERKN3c106ScalarEENKUlvE_clEvENKUlvE3_clEvEUlsE_EEvS4_RKT_EUlibE_EEviT1_: ; @_ZN2at6native32elementwise_kernel_manual_unrollILi128ELi4EZNS0_15gpu_kernel_implIZZZNS0_21clamp_max_kernel_cudaERNS_18TensorIteratorBaseERKN3c106ScalarEENKUlvE_clEvENKUlvE3_clEvEUlsE_EEvS4_RKT_EUlibE_EEviT1_
; %bb.0:
	s_clause 0x3
	s_load_b32 s8, s[0:1], 0x20
	s_load_b32 s13, s[0:1], 0x0
	s_load_b64 s[2:3], s[0:1], 0x18
	s_load_b128 s[4:7], s[0:1], 0x8
	v_lshl_or_b32 v9, s15, 9, v0
	s_mov_b32 s10, 0
	s_mov_b32 s12, 0
	s_mov_b32 s0, exec_lo
	s_delay_alu instid0(VALU_DEP_1) | instskip(SKIP_3) | instid1(VALU_DEP_1)
	v_or_b32_e32 v0, 0x180, v9
	s_waitcnt lgkmcnt(0)
	s_lshr_b32 s1, s8, 16
	s_lshr_b32 s9, s8, 24
	v_cmpx_le_i32_e64 s13, v0
	s_xor_b32 s11, exec_lo, s0
	s_cbranch_execz .LBB456_1017
; %bb.1:
	s_mov_b32 s18, -1
	s_mov_b32 s16, 0
	s_mov_b32 s14, 0
	s_mov_b32 s15, exec_lo
	v_cmpx_gt_i32_e64 s13, v9
	s_cbranch_execz .LBB456_248
; %bb.2:
	v_mul_lo_u32 v0, v9, s3
	v_cmp_lt_i16_e64 s0, s9, 11
	s_delay_alu instid0(VALU_DEP_2) | instskip(SKIP_1) | instid1(VALU_DEP_2)
	v_ashrrev_i32_e32 v1, 31, v0
	v_add_co_u32 v0, vcc_lo, s6, v0
	v_add_co_ci_u32_e32 v1, vcc_lo, s7, v1, vcc_lo
	s_delay_alu instid0(VALU_DEP_4)
	s_and_b32 vcc_lo, exec_lo, s0
	s_cbranch_vccnz .LBB456_9
; %bb.3:
	v_cmp_gt_i16_e64 s0, s9, 25
	s_delay_alu instid0(VALU_DEP_1)
	s_and_b32 vcc_lo, exec_lo, s0
	s_cbranch_vccz .LBB456_18
; %bb.4:
	v_cmp_gt_i16_e64 s0, s9, 28
	s_delay_alu instid0(VALU_DEP_1)
	s_and_b32 vcc_lo, exec_lo, s0
	s_cbranch_vccz .LBB456_21
	;; [unrolled: 5-line block ×4, first 2 shown]
; %bb.7:
	v_cmp_eq_u16_e64 s0, s9, 46
	s_delay_alu instid0(VALU_DEP_1)
	s_and_b32 vcc_lo, exec_lo, s0
	s_cbranch_vccz .LBB456_27
; %bb.8:
	global_load_b32 v2, v[0:1], off
	s_mov_b32 s0, -1
	s_waitcnt vmcnt(0)
	v_lshlrev_b32_e32 v2, 16, v2
	s_delay_alu instid0(VALU_DEP_1)
	v_cvt_i32_f32_e32 v2, v2
	s_branch .LBB456_29
.LBB456_9:
	s_mov_b32 s0, 0
                                        ; implicit-def: $vgpr2
	s_cbranch_execnz .LBB456_198
.LBB456_10:
	s_and_not1_b32 vcc_lo, exec_lo, s0
	s_cbranch_vccnz .LBB456_245
.LBB456_11:
	v_mul_lo_u32 v0, v9, s2
	s_waitcnt vmcnt(0)
	v_and_b32_e64 v3, 0xff, s1
	s_delay_alu instid0(VALU_DEP_3) | instskip(NEXT) | instid1(VALU_DEP_2)
	v_min_i16 v2, v2, s8
	v_cmp_gt_i16_e32 vcc_lo, 11, v3
	s_delay_alu instid0(VALU_DEP_4) | instskip(SKIP_1) | instid1(VALU_DEP_1)
	v_ashrrev_i32_e32 v1, 31, v0
	v_add_co_u32 v0, s0, s4, v0
	v_add_co_ci_u32_e64 v1, s0, s5, v1, s0
	s_cbranch_vccnz .LBB456_19
; %bb.12:
	v_cmp_lt_i16_e32 vcc_lo, 25, v3
	s_cbranch_vccz .LBB456_22
; %bb.13:
	v_cmp_lt_i16_e32 vcc_lo, 28, v3
	s_cbranch_vccz .LBB456_24
	;; [unrolled: 3-line block ×4, first 2 shown]
; %bb.16:
	v_cmp_eq_u16_e32 vcc_lo, 46, v3
	s_mov_b32 s17, 0
	s_mov_b32 s0, -1
	s_mov_b32 s12, 0
	s_cbranch_vccz .LBB456_33
; %bb.17:
	v_bfe_i32 v4, v2, 0, 16
	s_mov_b32 s12, -1
	s_mov_b32 s0, 0
	s_delay_alu instid0(VALU_DEP_1) | instskip(NEXT) | instid1(VALU_DEP_1)
	v_cvt_f32_i32_e32 v4, v4
	v_bfe_u32 v5, v4, 16, 1
	s_delay_alu instid0(VALU_DEP_1) | instskip(NEXT) | instid1(VALU_DEP_1)
	v_add3_u32 v4, v4, v5, 0x7fff
	v_lshrrev_b32_e32 v4, 16, v4
	global_store_b32 v[0:1], v4, off
	s_branch .LBB456_33
.LBB456_18:
	s_mov_b32 s0, 0
                                        ; implicit-def: $vgpr2
	s_cbranch_execnz .LBB456_165
	s_branch .LBB456_197
.LBB456_19:
	s_mov_b32 s0, 0
	s_mov_b32 s12, 0
	s_cbranch_execnz .LBB456_102
.LBB456_20:
	s_and_not1_b32 vcc_lo, exec_lo, s12
	s_cbranch_vccnz .LBB456_246
	s_branch .LBB456_140
.LBB456_21:
	s_mov_b32 s12, -1
	s_mov_b32 s0, 0
                                        ; implicit-def: $vgpr2
	s_branch .LBB456_148
.LBB456_22:
	s_mov_b32 s17, -1
	s_mov_b32 s0, 0
	s_mov_b32 s12, 0
	s_branch .LBB456_60
.LBB456_23:
	s_mov_b32 s12, -1
	s_mov_b32 s0, 0
                                        ; implicit-def: $vgpr2
	s_branch .LBB456_143
.LBB456_24:
	s_mov_b32 s17, -1
	s_mov_b32 s0, 0
	s_mov_b32 s12, 0
	s_branch .LBB456_43
.LBB456_25:
	s_mov_b32 s12, -1
	s_branch .LBB456_28
.LBB456_26:
	s_mov_b32 s17, -1
	s_mov_b32 s0, 0
	s_mov_b32 s12, 0
	s_branch .LBB456_39
.LBB456_27:
	s_mov_b32 s14, -1
.LBB456_28:
	s_mov_b32 s0, 0
                                        ; implicit-def: $vgpr2
.LBB456_29:
	s_and_b32 vcc_lo, exec_lo, s12
	s_cbranch_vccz .LBB456_142
; %bb.30:
	v_cmp_eq_u16_e64 s12, s9, 44
	s_delay_alu instid0(VALU_DEP_1)
	s_and_b32 vcc_lo, exec_lo, s12
	s_cbranch_vccz .LBB456_141
; %bb.31:
	global_load_u8 v2, v[0:1], off
	s_mov_b32 s14, 0
	s_mov_b32 s0, -1
	s_waitcnt vmcnt(0)
	v_lshlrev_b32_e32 v3, 23, v2
	v_cmp_ne_u32_e32 vcc_lo, 0, v2
	s_delay_alu instid0(VALU_DEP_2) | instskip(NEXT) | instid1(VALU_DEP_1)
	v_cvt_i32_f32_e32 v3, v3
	v_cndmask_b32_e32 v2, 0, v3, vcc_lo
	s_branch .LBB456_142
.LBB456_32:
	s_mov_b32 s17, -1
	s_mov_b32 s0, 0
	s_mov_b32 s12, 0
.LBB456_33:
	s_and_b32 vcc_lo, exec_lo, s17
	s_cbranch_vccz .LBB456_38
; %bb.34:
	v_cmp_eq_u16_e32 vcc_lo, 44, v3
	s_mov_b32 s0, -1
	s_cbranch_vccz .LBB456_38
; %bb.35:
	v_bfe_i32 v4, v2, 0, 16
	v_mov_b32_e32 v5, 0xff
	s_mov_b32 s12, exec_lo
	s_delay_alu instid0(VALU_DEP_2) | instskip(NEXT) | instid1(VALU_DEP_1)
	v_cvt_f32_i32_e32 v4, v4
	v_bfe_u32 v6, v4, 23, 8
	s_delay_alu instid0(VALU_DEP_1)
	v_cmpx_ne_u32_e32 0xff, v6
; %bb.36:
	v_and_b32_e32 v5, 0x400000, v4
	v_and_or_b32 v6, 0x3fffff, v4, v6
	v_lshrrev_b32_e32 v4, 23, v4
	s_delay_alu instid0(VALU_DEP_3) | instskip(NEXT) | instid1(VALU_DEP_3)
	v_cmp_ne_u32_e32 vcc_lo, 0, v5
	v_cmp_ne_u32_e64 s0, 0, v6
	s_delay_alu instid0(VALU_DEP_1) | instskip(NEXT) | instid1(SALU_CYCLE_1)
	s_and_b32 s0, vcc_lo, s0
	v_cndmask_b32_e64 v5, 0, 1, s0
	s_delay_alu instid0(VALU_DEP_1)
	v_add_nc_u32_e32 v5, v4, v5
; %bb.37:
	s_or_b32 exec_lo, exec_lo, s12
	s_mov_b32 s12, -1
	s_mov_b32 s0, 0
	global_store_b8 v[0:1], v5, off
.LBB456_38:
	s_mov_b32 s17, 0
.LBB456_39:
	s_delay_alu instid0(SALU_CYCLE_1)
	s_and_b32 vcc_lo, exec_lo, s17
	s_cbranch_vccz .LBB456_42
; %bb.40:
	v_cmp_eq_u16_e32 vcc_lo, 29, v3
	s_mov_b32 s0, -1
	s_cbranch_vccz .LBB456_42
; %bb.41:
	v_bfe_i32 v4, v2, 0, 16
	s_mov_b32 s0, 0
	s_mov_b32 s12, -1
	s_mov_b32 s17, 0
	s_delay_alu instid0(VALU_DEP_1)
	v_ashrrev_i32_e32 v5, 31, v4
	global_store_b64 v[0:1], v[4:5], off
	s_branch .LBB456_43
.LBB456_42:
	s_mov_b32 s17, 0
.LBB456_43:
	s_delay_alu instid0(SALU_CYCLE_1)
	s_and_b32 vcc_lo, exec_lo, s17
	s_cbranch_vccz .LBB456_59
; %bb.44:
	v_cmp_gt_i16_e32 vcc_lo, 27, v3
	s_mov_b32 s12, -1
	s_cbranch_vccnz .LBB456_50
; %bb.45:
	v_cmp_lt_i16_e32 vcc_lo, 27, v3
	s_cbranch_vccz .LBB456_47
; %bb.46:
	v_bfe_i32 v4, v2, 0, 16
	s_mov_b32 s12, 0
	global_store_b32 v[0:1], v4, off
.LBB456_47:
	s_and_not1_b32 vcc_lo, exec_lo, s12
	s_cbranch_vccnz .LBB456_49
; %bb.48:
	global_store_b16 v[0:1], v2, off
.LBB456_49:
	s_mov_b32 s12, 0
.LBB456_50:
	s_delay_alu instid0(SALU_CYCLE_1)
	s_and_not1_b32 vcc_lo, exec_lo, s12
	s_cbranch_vccnz .LBB456_58
; %bb.51:
	v_bfe_i32 v4, v2, 0, 16
	v_mov_b32_e32 v6, 0x80
	s_mov_b32 s12, exec_lo
	s_delay_alu instid0(VALU_DEP_2) | instskip(NEXT) | instid1(VALU_DEP_1)
	v_cvt_f32_i32_e32 v4, v4
	v_and_b32_e32 v5, 0x7fffffff, v4
	s_delay_alu instid0(VALU_DEP_1)
	v_cmpx_gt_u32_e32 0x43800000, v5
	s_cbranch_execz .LBB456_57
; %bb.52:
	v_cmp_lt_u32_e32 vcc_lo, 0x3bffffff, v5
	s_mov_b32 s17, 0
                                        ; implicit-def: $vgpr5
	s_and_saveexec_b32 s18, vcc_lo
	s_delay_alu instid0(SALU_CYCLE_1)
	s_xor_b32 s18, exec_lo, s18
	s_cbranch_execz .LBB456_272
; %bb.53:
	v_bfe_u32 v5, v4, 20, 1
	s_mov_b32 s17, exec_lo
	s_delay_alu instid0(VALU_DEP_1) | instskip(NEXT) | instid1(VALU_DEP_1)
	v_add3_u32 v5, v4, v5, 0x487ffff
	v_lshrrev_b32_e32 v5, 20, v5
	s_or_saveexec_b32 s18, s18
                                        ; implicit-def: $sgpr19
	s_delay_alu instid0(SALU_CYCLE_1)
	s_xor_b32 exec_lo, exec_lo, s18
	s_cbranch_execnz .LBB456_273
.LBB456_54:
	s_or_b32 exec_lo, exec_lo, s18
	v_mov_b32_e32 v6, s19
	s_and_saveexec_b32 s18, s17
.LBB456_55:
	v_lshrrev_b32_e32 v4, 24, v4
	s_delay_alu instid0(VALU_DEP_1)
	v_and_or_b32 v6, 0x80, v4, v5
.LBB456_56:
	s_or_b32 exec_lo, exec_lo, s18
.LBB456_57:
	s_delay_alu instid0(SALU_CYCLE_1)
	s_or_b32 exec_lo, exec_lo, s12
	global_store_b8 v[0:1], v6, off
.LBB456_58:
	s_mov_b32 s12, -1
.LBB456_59:
	s_mov_b32 s17, 0
.LBB456_60:
	s_delay_alu instid0(SALU_CYCLE_1)
	s_and_b32 vcc_lo, exec_lo, s17
	s_cbranch_vccz .LBB456_101
; %bb.61:
	v_cmp_lt_i16_e32 vcc_lo, 22, v3
	s_mov_b32 s17, -1
	s_cbranch_vccz .LBB456_93
; %bb.62:
	v_cmp_gt_i16_e32 vcc_lo, 24, v3
	s_mov_b32 s12, -1
	s_cbranch_vccnz .LBB456_82
; %bb.63:
	v_cmp_lt_i16_e32 vcc_lo, 24, v3
	s_cbranch_vccz .LBB456_71
; %bb.64:
	v_bfe_i32 v4, v2, 0, 16
	v_mov_b32_e32 v6, 0x80
	s_mov_b32 s12, exec_lo
	s_delay_alu instid0(VALU_DEP_2) | instskip(NEXT) | instid1(VALU_DEP_1)
	v_cvt_f32_i32_e32 v4, v4
	v_and_b32_e32 v5, 0x7fffffff, v4
	s_delay_alu instid0(VALU_DEP_1)
	v_cmpx_gt_u32_e32 0x47800000, v5
	s_cbranch_execz .LBB456_70
; %bb.65:
	v_cmp_lt_u32_e32 vcc_lo, 0x37ffffff, v5
	s_mov_b32 s17, 0
                                        ; implicit-def: $vgpr5
	s_and_saveexec_b32 s18, vcc_lo
	s_delay_alu instid0(SALU_CYCLE_1)
	s_xor_b32 s18, exec_lo, s18
	s_cbranch_execz .LBB456_276
; %bb.66:
	v_bfe_u32 v5, v4, 21, 1
	s_mov_b32 s17, exec_lo
	s_delay_alu instid0(VALU_DEP_1) | instskip(NEXT) | instid1(VALU_DEP_1)
	v_add3_u32 v5, v4, v5, 0x88fffff
	v_lshrrev_b32_e32 v5, 21, v5
	s_or_saveexec_b32 s18, s18
                                        ; implicit-def: $sgpr19
	s_delay_alu instid0(SALU_CYCLE_1)
	s_xor_b32 exec_lo, exec_lo, s18
	s_cbranch_execnz .LBB456_277
.LBB456_67:
	s_or_b32 exec_lo, exec_lo, s18
	v_mov_b32_e32 v6, s19
	s_and_saveexec_b32 s18, s17
.LBB456_68:
	v_lshrrev_b32_e32 v4, 24, v4
	s_delay_alu instid0(VALU_DEP_1)
	v_and_or_b32 v6, 0x80, v4, v5
.LBB456_69:
	s_or_b32 exec_lo, exec_lo, s18
.LBB456_70:
	s_delay_alu instid0(SALU_CYCLE_1)
	s_or_b32 exec_lo, exec_lo, s12
	s_mov_b32 s12, 0
	global_store_b8 v[0:1], v6, off
.LBB456_71:
	s_and_b32 vcc_lo, exec_lo, s12
	s_cbranch_vccz .LBB456_81
; %bb.72:
	v_bfe_i32 v4, v2, 0, 16
	s_mov_b32 s12, exec_lo
                                        ; implicit-def: $vgpr5
	s_delay_alu instid0(VALU_DEP_1) | instskip(NEXT) | instid1(VALU_DEP_1)
	v_cvt_f32_i32_e32 v4, v4
	v_and_b32_e32 v6, 0x7fffffff, v4
	s_delay_alu instid0(VALU_DEP_1)
	v_cmpx_gt_u32_e32 0x43f00000, v6
	s_xor_b32 s12, exec_lo, s12
	s_cbranch_execz .LBB456_78
; %bb.73:
	s_mov_b32 s17, exec_lo
                                        ; implicit-def: $vgpr5
	v_cmpx_lt_u32_e32 0x3c7fffff, v6
	s_xor_b32 s17, exec_lo, s17
; %bb.74:
	v_bfe_u32 v5, v4, 20, 1
	s_delay_alu instid0(VALU_DEP_1) | instskip(NEXT) | instid1(VALU_DEP_1)
	v_add3_u32 v5, v4, v5, 0x407ffff
	v_and_b32_e32 v6, 0xff00000, v5
	v_lshrrev_b32_e32 v5, 20, v5
	s_delay_alu instid0(VALU_DEP_2) | instskip(NEXT) | instid1(VALU_DEP_2)
	v_cmp_ne_u32_e32 vcc_lo, 0x7f00000, v6
	v_cndmask_b32_e32 v5, 0x7e, v5, vcc_lo
; %bb.75:
	s_and_not1_saveexec_b32 s17, s17
; %bb.76:
	v_add_f32_e64 v5, 0x46800000, |v4|
; %bb.77:
	s_or_b32 exec_lo, exec_lo, s17
                                        ; implicit-def: $vgpr6
.LBB456_78:
	s_and_not1_saveexec_b32 s12, s12
; %bb.79:
	v_mov_b32_e32 v5, 0x7f
	v_cmp_lt_u32_e32 vcc_lo, 0x7f800000, v6
	s_delay_alu instid0(VALU_DEP_2)
	v_cndmask_b32_e32 v5, 0x7e, v5, vcc_lo
; %bb.80:
	s_or_b32 exec_lo, exec_lo, s12
	v_lshrrev_b32_e32 v4, 24, v4
	s_delay_alu instid0(VALU_DEP_1)
	v_and_or_b32 v4, 0x80, v4, v5
	global_store_b8 v[0:1], v4, off
.LBB456_81:
	s_mov_b32 s12, 0
.LBB456_82:
	s_delay_alu instid0(SALU_CYCLE_1)
	s_and_not1_b32 vcc_lo, exec_lo, s12
	s_cbranch_vccnz .LBB456_92
; %bb.83:
	v_bfe_i32 v4, v2, 0, 16
	s_mov_b32 s12, exec_lo
                                        ; implicit-def: $vgpr5
	s_delay_alu instid0(VALU_DEP_1) | instskip(NEXT) | instid1(VALU_DEP_1)
	v_cvt_f32_i32_e32 v4, v4
	v_and_b32_e32 v6, 0x7fffffff, v4
	s_delay_alu instid0(VALU_DEP_1)
	v_cmpx_gt_u32_e32 0x47800000, v6
	s_xor_b32 s12, exec_lo, s12
	s_cbranch_execz .LBB456_89
; %bb.84:
	s_mov_b32 s17, exec_lo
                                        ; implicit-def: $vgpr5
	v_cmpx_lt_u32_e32 0x387fffff, v6
	s_xor_b32 s17, exec_lo, s17
; %bb.85:
	v_bfe_u32 v5, v4, 21, 1
	s_delay_alu instid0(VALU_DEP_1) | instskip(NEXT) | instid1(VALU_DEP_1)
	v_add3_u32 v5, v4, v5, 0x80fffff
	v_lshrrev_b32_e32 v5, 21, v5
; %bb.86:
	s_and_not1_saveexec_b32 s17, s17
; %bb.87:
	v_add_f32_e64 v5, 0x43000000, |v4|
; %bb.88:
	s_or_b32 exec_lo, exec_lo, s17
                                        ; implicit-def: $vgpr6
.LBB456_89:
	s_and_not1_saveexec_b32 s12, s12
; %bb.90:
	v_mov_b32_e32 v5, 0x7f
	v_cmp_lt_u32_e32 vcc_lo, 0x7f800000, v6
	s_delay_alu instid0(VALU_DEP_2)
	v_cndmask_b32_e32 v5, 0x7c, v5, vcc_lo
; %bb.91:
	s_or_b32 exec_lo, exec_lo, s12
	v_lshrrev_b32_e32 v4, 24, v4
	s_delay_alu instid0(VALU_DEP_1)
	v_and_or_b32 v4, 0x80, v4, v5
	global_store_b8 v[0:1], v4, off
.LBB456_92:
	s_mov_b32 s17, 0
	s_mov_b32 s12, -1
.LBB456_93:
	s_and_not1_b32 vcc_lo, exec_lo, s17
	s_cbranch_vccnz .LBB456_101
; %bb.94:
	v_cmp_lt_i16_e32 vcc_lo, 14, v3
	s_mov_b32 s17, -1
	s_cbranch_vccz .LBB456_98
; %bb.95:
	v_cmp_eq_u16_e32 vcc_lo, 15, v3
	s_mov_b32 s0, -1
	s_cbranch_vccz .LBB456_97
; %bb.96:
	v_bfe_i32 v4, v2, 0, 16
	s_mov_b32 s12, -1
	s_mov_b32 s0, 0
	s_delay_alu instid0(VALU_DEP_1) | instskip(NEXT) | instid1(VALU_DEP_1)
	v_cvt_f32_i32_e32 v4, v4
	v_bfe_u32 v5, v4, 16, 1
	s_delay_alu instid0(VALU_DEP_1)
	v_add3_u32 v4, v4, v5, 0x7fff
	global_store_d16_hi_b16 v[0:1], v4, off
.LBB456_97:
	s_mov_b32 s17, 0
.LBB456_98:
	s_delay_alu instid0(SALU_CYCLE_1)
	s_and_b32 vcc_lo, exec_lo, s17
	s_cbranch_vccz .LBB456_101
; %bb.99:
	v_cmp_eq_u16_e32 vcc_lo, 11, v3
	s_mov_b32 s0, -1
	s_cbranch_vccz .LBB456_101
; %bb.100:
	v_cmp_ne_u16_e32 vcc_lo, 0, v2
	s_mov_b32 s0, 0
	s_mov_b32 s12, -1
	v_cndmask_b32_e64 v4, 0, 1, vcc_lo
	global_store_b8 v[0:1], v4, off
.LBB456_101:
	s_branch .LBB456_20
.LBB456_102:
	v_cmp_gt_i16_e32 vcc_lo, 5, v3
	s_mov_b32 s12, -1
	s_cbranch_vccnz .LBB456_123
; %bb.103:
	v_cmp_gt_i16_e32 vcc_lo, 8, v3
	s_cbranch_vccnz .LBB456_113
; %bb.104:
	v_cmp_gt_i16_e32 vcc_lo, 9, v3
	s_cbranch_vccnz .LBB456_110
; %bb.105:
	v_cmp_lt_i16_e32 vcc_lo, 9, v3
	s_cbranch_vccz .LBB456_107
; %bb.106:
	v_bfe_i32 v4, v2, 0, 16
	v_mov_b32_e32 v6, 0
	s_mov_b32 s12, 0
	s_delay_alu instid0(VALU_DEP_2) | instskip(NEXT) | instid1(VALU_DEP_2)
	v_cvt_f64_i32_e32 v[4:5], v4
	v_mov_b32_e32 v7, v6
	global_store_b128 v[0:1], v[4:7], off
.LBB456_107:
	s_and_not1_b32 vcc_lo, exec_lo, s12
	s_cbranch_vccnz .LBB456_109
; %bb.108:
	v_bfe_i32 v4, v2, 0, 16
	v_mov_b32_e32 v5, 0
	s_delay_alu instid0(VALU_DEP_2)
	v_cvt_f32_i32_e32 v4, v4
	global_store_b64 v[0:1], v[4:5], off
.LBB456_109:
	s_mov_b32 s12, 0
.LBB456_110:
	s_delay_alu instid0(SALU_CYCLE_1)
	s_and_not1_b32 vcc_lo, exec_lo, s12
	s_cbranch_vccnz .LBB456_112
; %bb.111:
	v_cvt_f16_i16_e32 v4, v2
	s_delay_alu instid0(VALU_DEP_1)
	v_and_b32_e32 v4, 0xffff, v4
	global_store_b32 v[0:1], v4, off
.LBB456_112:
	s_mov_b32 s12, 0
.LBB456_113:
	s_delay_alu instid0(SALU_CYCLE_1)
	s_and_not1_b32 vcc_lo, exec_lo, s12
	s_cbranch_vccnz .LBB456_122
; %bb.114:
	v_cmp_gt_i16_e32 vcc_lo, 6, v3
	s_mov_b32 s12, -1
	s_cbranch_vccnz .LBB456_120
; %bb.115:
	v_cmp_lt_i16_e32 vcc_lo, 6, v3
	s_cbranch_vccz .LBB456_117
; %bb.116:
	v_bfe_i32 v4, v2, 0, 16
	s_mov_b32 s12, 0
	s_delay_alu instid0(VALU_DEP_1)
	v_cvt_f64_i32_e32 v[4:5], v4
	global_store_b64 v[0:1], v[4:5], off
.LBB456_117:
	s_and_not1_b32 vcc_lo, exec_lo, s12
	s_cbranch_vccnz .LBB456_119
; %bb.118:
	v_bfe_i32 v4, v2, 0, 16
	s_delay_alu instid0(VALU_DEP_1)
	v_cvt_f32_i32_e32 v4, v4
	global_store_b32 v[0:1], v4, off
.LBB456_119:
	s_mov_b32 s12, 0
.LBB456_120:
	s_delay_alu instid0(SALU_CYCLE_1)
	s_and_not1_b32 vcc_lo, exec_lo, s12
	s_cbranch_vccnz .LBB456_122
; %bb.121:
	v_cvt_f16_i16_e32 v4, v2
	global_store_b16 v[0:1], v4, off
.LBB456_122:
	s_mov_b32 s12, 0
.LBB456_123:
	s_delay_alu instid0(SALU_CYCLE_1)
	s_and_not1_b32 vcc_lo, exec_lo, s12
	s_cbranch_vccnz .LBB456_139
; %bb.124:
	v_cmp_gt_i16_e32 vcc_lo, 2, v3
	s_mov_b32 s12, -1
	s_cbranch_vccnz .LBB456_134
; %bb.125:
	v_cmp_gt_i16_e32 vcc_lo, 3, v3
	s_cbranch_vccnz .LBB456_131
; %bb.126:
	v_cmp_lt_i16_e32 vcc_lo, 3, v3
	s_cbranch_vccz .LBB456_128
; %bb.127:
	v_bfe_i32 v4, v2, 0, 16
	s_mov_b32 s12, 0
	s_delay_alu instid0(VALU_DEP_1)
	v_ashrrev_i32_e32 v5, 31, v4
	global_store_b64 v[0:1], v[4:5], off
.LBB456_128:
	s_and_not1_b32 vcc_lo, exec_lo, s12
	s_cbranch_vccnz .LBB456_130
; %bb.129:
	v_bfe_i32 v4, v2, 0, 16
	global_store_b32 v[0:1], v4, off
.LBB456_130:
	s_mov_b32 s12, 0
.LBB456_131:
	s_delay_alu instid0(SALU_CYCLE_1)
	s_and_not1_b32 vcc_lo, exec_lo, s12
	s_cbranch_vccnz .LBB456_133
; %bb.132:
	global_store_b16 v[0:1], v2, off
.LBB456_133:
	s_mov_b32 s12, 0
.LBB456_134:
	s_delay_alu instid0(SALU_CYCLE_1)
	s_and_not1_b32 vcc_lo, exec_lo, s12
	s_cbranch_vccnz .LBB456_139
; %bb.135:
	v_cmp_lt_i16_e32 vcc_lo, 0, v3
	s_mov_b32 s12, -1
	s_cbranch_vccz .LBB456_137
; %bb.136:
	s_mov_b32 s12, 0
	global_store_b8 v[0:1], v2, off
.LBB456_137:
	s_and_not1_b32 vcc_lo, exec_lo, s12
	s_cbranch_vccnz .LBB456_139
; %bb.138:
	global_store_b8 v[0:1], v2, off
.LBB456_139:
.LBB456_140:
	v_add_nc_u32_e32 v9, 0x80, v9
	s_mov_b32 s17, -1
	s_branch .LBB456_247
.LBB456_141:
	s_mov_b32 s14, -1
                                        ; implicit-def: $vgpr2
.LBB456_142:
	s_mov_b32 s12, 0
.LBB456_143:
	s_delay_alu instid0(SALU_CYCLE_1)
	s_and_b32 vcc_lo, exec_lo, s12
	s_cbranch_vccz .LBB456_147
; %bb.144:
	v_cmp_eq_u16_e64 s12, s9, 29
	s_delay_alu instid0(VALU_DEP_1)
	s_and_b32 vcc_lo, exec_lo, s12
	s_cbranch_vccz .LBB456_146
; %bb.145:
	global_load_b64 v[2:3], v[0:1], off
	s_mov_b32 s0, -1
	s_mov_b32 s14, 0
	s_branch .LBB456_147
.LBB456_146:
	s_mov_b32 s14, -1
                                        ; implicit-def: $vgpr2
.LBB456_147:
	s_mov_b32 s12, 0
.LBB456_148:
	s_delay_alu instid0(SALU_CYCLE_1)
	s_and_b32 vcc_lo, exec_lo, s12
	s_cbranch_vccz .LBB456_164
; %bb.149:
	v_cmp_lt_i16_e64 s0, s9, 27
	s_delay_alu instid0(VALU_DEP_1)
	s_and_b32 vcc_lo, exec_lo, s0
	s_cbranch_vccnz .LBB456_152
; %bb.150:
	v_cmp_gt_i16_e64 s0, s9, 27
	s_delay_alu instid0(VALU_DEP_1)
	s_and_b32 vcc_lo, exec_lo, s0
	s_cbranch_vccz .LBB456_153
; %bb.151:
	global_load_b32 v2, v[0:1], off
	s_mov_b32 s0, 0
	s_branch .LBB456_154
.LBB456_152:
	s_mov_b32 s0, -1
                                        ; implicit-def: $vgpr2
	s_branch .LBB456_157
.LBB456_153:
	s_mov_b32 s0, -1
                                        ; implicit-def: $vgpr2
.LBB456_154:
	s_delay_alu instid0(SALU_CYCLE_1)
	s_and_not1_b32 vcc_lo, exec_lo, s0
	s_cbranch_vccnz .LBB456_156
; %bb.155:
	global_load_u16 v2, v[0:1], off
.LBB456_156:
	s_mov_b32 s0, 0
.LBB456_157:
	s_delay_alu instid0(SALU_CYCLE_1)
	s_and_not1_b32 vcc_lo, exec_lo, s0
	s_cbranch_vccnz .LBB456_163
; %bb.158:
	global_load_u8 v3, v[0:1], off
	s_mov_b32 s0, 0
	s_mov_b32 s12, exec_lo
                                        ; implicit-def: $sgpr17
	s_waitcnt vmcnt(0)
	v_cmpx_lt_i16_e32 0x7f, v3
	s_xor_b32 s12, exec_lo, s12
	s_cbranch_execz .LBB456_174
; %bb.159:
	v_cmp_ne_u16_e32 vcc_lo, 0x80, v3
	s_mov_b32 s17, 0
	s_and_b32 s0, vcc_lo, exec_lo
	s_or_saveexec_b32 s12, s12
	v_mov_b32_e32 v2, s17
	s_xor_b32 exec_lo, exec_lo, s12
	s_cbranch_execnz .LBB456_175
.LBB456_160:
	s_or_b32 exec_lo, exec_lo, s12
	s_and_saveexec_b32 s12, s0
	s_cbranch_execz .LBB456_162
.LBB456_161:
	v_and_b32_e32 v2, 0xffff, v3
	s_delay_alu instid0(VALU_DEP_1) | instskip(NEXT) | instid1(VALU_DEP_1)
	v_and_b32_e32 v4, 7, v2
	v_clz_i32_u32_e32 v5, v4
	s_delay_alu instid0(VALU_DEP_1) | instskip(NEXT) | instid1(VALU_DEP_1)
	v_min_u32_e32 v5, 32, v5
	v_subrev_nc_u32_e32 v6, 28, v5
	v_sub_nc_u32_e32 v5, 29, v5
	s_delay_alu instid0(VALU_DEP_2) | instskip(SKIP_1) | instid1(VALU_DEP_2)
	v_lshlrev_b32_e32 v6, v6, v2
	v_bfe_u32 v2, v2, 3, 4
	v_and_b32_e32 v6, 7, v6
	s_delay_alu instid0(VALU_DEP_2) | instskip(SKIP_1) | instid1(VALU_DEP_1)
	v_cmp_eq_u32_e32 vcc_lo, 0, v2
	v_dual_cndmask_b32 v2, v2, v5 :: v_dual_lshlrev_b32 v3, 24, v3
	v_dual_cndmask_b32 v4, v4, v6 :: v_dual_and_b32 v3, 0x80000000, v3
	s_delay_alu instid0(VALU_DEP_2) | instskip(NEXT) | instid1(VALU_DEP_2)
	v_lshl_add_u32 v2, v2, 23, 0x3b800000
	v_lshlrev_b32_e32 v4, 20, v4
	s_delay_alu instid0(VALU_DEP_1) | instskip(NEXT) | instid1(VALU_DEP_1)
	v_or3_b32 v2, v3, v2, v4
	v_cvt_i32_f32_e32 v2, v2
.LBB456_162:
	s_or_b32 exec_lo, exec_lo, s12
.LBB456_163:
	s_mov_b32 s0, -1
.LBB456_164:
	s_branch .LBB456_197
.LBB456_165:
	v_cmp_gt_i16_e64 s12, s9, 22
	s_delay_alu instid0(VALU_DEP_1)
	s_and_b32 vcc_lo, exec_lo, s12
	s_cbranch_vccz .LBB456_173
; %bb.166:
	v_cmp_lt_i16_e64 s0, s9, 24
	s_delay_alu instid0(VALU_DEP_1)
	s_and_b32 vcc_lo, exec_lo, s0
	s_cbranch_vccnz .LBB456_176
; %bb.167:
	v_cmp_gt_i16_e64 s0, s9, 24
	s_delay_alu instid0(VALU_DEP_1)
	s_and_b32 vcc_lo, exec_lo, s0
	s_cbranch_vccz .LBB456_177
; %bb.168:
	global_load_u8 v3, v[0:1], off
	s_mov_b32 s0, 0
	s_mov_b32 s12, exec_lo
                                        ; implicit-def: $sgpr17
	s_waitcnt vmcnt(0)
	v_cmpx_lt_i16_e32 0x7f, v3
	s_xor_b32 s12, exec_lo, s12
	s_cbranch_execz .LBB456_189
; %bb.169:
	v_cmp_ne_u16_e32 vcc_lo, 0x80, v3
	s_mov_b32 s17, 0
	s_and_b32 s0, vcc_lo, exec_lo
	s_or_saveexec_b32 s12, s12
	v_mov_b32_e32 v2, s17
	s_xor_b32 exec_lo, exec_lo, s12
	s_cbranch_execnz .LBB456_190
.LBB456_170:
	s_or_b32 exec_lo, exec_lo, s12
	s_and_saveexec_b32 s12, s0
	s_cbranch_execz .LBB456_172
.LBB456_171:
	v_and_b32_e32 v2, 0xffff, v3
	s_delay_alu instid0(VALU_DEP_1) | instskip(NEXT) | instid1(VALU_DEP_1)
	v_and_b32_e32 v4, 3, v2
	v_clz_i32_u32_e32 v5, v4
	s_delay_alu instid0(VALU_DEP_1) | instskip(NEXT) | instid1(VALU_DEP_1)
	v_min_u32_e32 v5, 32, v5
	v_subrev_nc_u32_e32 v6, 29, v5
	v_sub_nc_u32_e32 v5, 30, v5
	s_delay_alu instid0(VALU_DEP_2) | instskip(SKIP_1) | instid1(VALU_DEP_2)
	v_lshlrev_b32_e32 v6, v6, v2
	v_bfe_u32 v2, v2, 2, 5
	v_and_b32_e32 v6, 3, v6
	s_delay_alu instid0(VALU_DEP_2) | instskip(SKIP_1) | instid1(VALU_DEP_1)
	v_cmp_eq_u32_e32 vcc_lo, 0, v2
	v_dual_cndmask_b32 v2, v2, v5 :: v_dual_lshlrev_b32 v3, 24, v3
	v_dual_cndmask_b32 v4, v4, v6 :: v_dual_and_b32 v3, 0x80000000, v3
	s_delay_alu instid0(VALU_DEP_2) | instskip(NEXT) | instid1(VALU_DEP_2)
	v_lshl_add_u32 v2, v2, 23, 0x37800000
	v_lshlrev_b32_e32 v4, 21, v4
	s_delay_alu instid0(VALU_DEP_1) | instskip(NEXT) | instid1(VALU_DEP_1)
	v_or3_b32 v2, v3, v2, v4
	v_cvt_i32_f32_e32 v2, v2
.LBB456_172:
	s_or_b32 exec_lo, exec_lo, s12
	s_mov_b32 s0, 0
	s_branch .LBB456_178
.LBB456_173:
	s_mov_b32 s12, -1
                                        ; implicit-def: $vgpr2
	s_branch .LBB456_184
.LBB456_174:
	s_or_saveexec_b32 s12, s12
	v_mov_b32_e32 v2, s17
	s_xor_b32 exec_lo, exec_lo, s12
	s_cbranch_execz .LBB456_160
.LBB456_175:
	v_cmp_ne_u16_e32 vcc_lo, 0, v3
	v_mov_b32_e32 v2, 0
	s_and_not1_b32 s0, s0, exec_lo
	s_and_b32 s17, vcc_lo, exec_lo
	s_delay_alu instid0(SALU_CYCLE_1)
	s_or_b32 s0, s0, s17
	s_or_b32 exec_lo, exec_lo, s12
	s_and_saveexec_b32 s12, s0
	s_cbranch_execnz .LBB456_161
	s_branch .LBB456_162
.LBB456_176:
	s_mov_b32 s0, -1
                                        ; implicit-def: $vgpr2
	s_branch .LBB456_181
.LBB456_177:
	s_mov_b32 s0, -1
                                        ; implicit-def: $vgpr2
.LBB456_178:
	s_delay_alu instid0(SALU_CYCLE_1)
	s_and_b32 vcc_lo, exec_lo, s0
	s_cbranch_vccz .LBB456_180
; %bb.179:
	global_load_u8 v2, v[0:1], off
	s_waitcnt vmcnt(0)
	v_lshlrev_b32_e32 v2, 24, v2
	s_delay_alu instid0(VALU_DEP_1) | instskip(NEXT) | instid1(VALU_DEP_1)
	v_and_b32_e32 v3, 0x7f000000, v2
	v_clz_i32_u32_e32 v4, v3
	v_add_nc_u32_e32 v6, 0x1000000, v3
	v_cmp_ne_u32_e32 vcc_lo, 0, v3
	s_delay_alu instid0(VALU_DEP_3) | instskip(NEXT) | instid1(VALU_DEP_1)
	v_min_u32_e32 v4, 32, v4
	v_sub_nc_u32_e64 v4, v4, 4 clamp
	s_delay_alu instid0(VALU_DEP_1) | instskip(SKIP_1) | instid1(VALU_DEP_2)
	v_lshlrev_b32_e32 v5, v4, v3
	v_lshlrev_b32_e32 v4, 23, v4
	v_lshrrev_b32_e32 v5, 4, v5
	s_delay_alu instid0(VALU_DEP_1) | instskip(SKIP_1) | instid1(VALU_DEP_2)
	v_sub_nc_u32_e32 v4, v5, v4
	v_ashrrev_i32_e32 v5, 8, v6
	v_add_nc_u32_e32 v4, 0x3c000000, v4
	s_delay_alu instid0(VALU_DEP_1) | instskip(NEXT) | instid1(VALU_DEP_1)
	v_and_or_b32 v4, 0x7f800000, v5, v4
	v_cndmask_b32_e32 v3, 0, v4, vcc_lo
	s_delay_alu instid0(VALU_DEP_1) | instskip(NEXT) | instid1(VALU_DEP_1)
	v_and_or_b32 v2, 0x80000000, v2, v3
	v_cvt_i32_f32_e32 v2, v2
.LBB456_180:
	s_mov_b32 s0, 0
.LBB456_181:
	s_delay_alu instid0(SALU_CYCLE_1)
	s_and_not1_b32 vcc_lo, exec_lo, s0
	s_cbranch_vccnz .LBB456_183
; %bb.182:
	global_load_u8 v2, v[0:1], off
	s_waitcnt vmcnt(0)
	v_lshlrev_b32_e32 v3, 25, v2
	v_lshlrev_b16 v2, 8, v2
	s_delay_alu instid0(VALU_DEP_2) | instskip(NEXT) | instid1(VALU_DEP_2)
	v_lshrrev_b32_e32 v4, 4, v3
	v_and_or_b32 v5, 0x7f00, v2, 0.5
	v_bfe_i32 v2, v2, 0, 16
	s_delay_alu instid0(VALU_DEP_3) | instskip(NEXT) | instid1(VALU_DEP_1)
	v_or_b32_e32 v4, 0x70000000, v4
	v_dual_add_f32 v5, -0.5, v5 :: v_dual_mul_f32 v4, 0x7800000, v4
	v_cmp_gt_u32_e32 vcc_lo, 0x8000000, v3
	s_delay_alu instid0(VALU_DEP_2) | instskip(NEXT) | instid1(VALU_DEP_1)
	v_cndmask_b32_e32 v3, v4, v5, vcc_lo
	v_and_or_b32 v2, 0x80000000, v2, v3
	s_delay_alu instid0(VALU_DEP_1)
	v_cvt_i32_f32_e32 v2, v2
.LBB456_183:
	s_mov_b32 s12, 0
	s_mov_b32 s0, -1
.LBB456_184:
	s_and_not1_b32 vcc_lo, exec_lo, s12
	s_cbranch_vccnz .LBB456_197
; %bb.185:
	v_cmp_gt_i16_e64 s12, s9, 14
	s_delay_alu instid0(VALU_DEP_1)
	s_and_b32 vcc_lo, exec_lo, s12
	s_cbranch_vccz .LBB456_188
; %bb.186:
	v_cmp_eq_u16_e64 s12, s9, 15
	s_delay_alu instid0(VALU_DEP_1)
	s_and_b32 vcc_lo, exec_lo, s12
	s_cbranch_vccz .LBB456_191
; %bb.187:
	global_load_u16 v2, v[0:1], off
	s_mov_b32 s0, -1
	s_mov_b32 s14, 0
	s_waitcnt vmcnt(0)
	v_lshlrev_b32_e32 v2, 16, v2
	s_delay_alu instid0(VALU_DEP_1)
	v_cvt_i32_f32_e32 v2, v2
	s_branch .LBB456_192
.LBB456_188:
	s_mov_b32 s12, -1
                                        ; implicit-def: $vgpr2
	s_branch .LBB456_193
.LBB456_189:
	s_or_saveexec_b32 s12, s12
	v_mov_b32_e32 v2, s17
	s_xor_b32 exec_lo, exec_lo, s12
	s_cbranch_execz .LBB456_170
.LBB456_190:
	v_cmp_ne_u16_e32 vcc_lo, 0, v3
	v_mov_b32_e32 v2, 0
	s_and_not1_b32 s0, s0, exec_lo
	s_and_b32 s17, vcc_lo, exec_lo
	s_delay_alu instid0(SALU_CYCLE_1)
	s_or_b32 s0, s0, s17
	s_or_b32 exec_lo, exec_lo, s12
	s_and_saveexec_b32 s12, s0
	s_cbranch_execnz .LBB456_171
	s_branch .LBB456_172
.LBB456_191:
	s_mov_b32 s14, -1
                                        ; implicit-def: $vgpr2
.LBB456_192:
	s_mov_b32 s12, 0
.LBB456_193:
	s_delay_alu instid0(SALU_CYCLE_1)
	s_and_b32 vcc_lo, exec_lo, s12
	s_cbranch_vccz .LBB456_197
; %bb.194:
	v_cmp_eq_u16_e64 s12, s9, 11
	s_delay_alu instid0(VALU_DEP_1)
	s_and_b32 vcc_lo, exec_lo, s12
	s_cbranch_vccz .LBB456_196
; %bb.195:
	global_load_u8 v2, v[0:1], off
	s_mov_b32 s14, 0
	s_mov_b32 s0, -1
	s_waitcnt vmcnt(0)
	v_cmp_ne_u16_e32 vcc_lo, 0, v2
	v_cndmask_b32_e64 v2, 0, 1, vcc_lo
	s_branch .LBB456_197
.LBB456_196:
	s_mov_b32 s14, -1
                                        ; implicit-def: $vgpr2
.LBB456_197:
	s_branch .LBB456_10
.LBB456_198:
	v_cmp_lt_i16_e64 s0, s9, 5
	s_delay_alu instid0(VALU_DEP_1)
	s_and_b32 vcc_lo, exec_lo, s0
	s_cbranch_vccnz .LBB456_203
; %bb.199:
	v_cmp_lt_i16_e64 s0, s9, 8
	s_delay_alu instid0(VALU_DEP_1)
	s_and_b32 vcc_lo, exec_lo, s0
	s_cbranch_vccnz .LBB456_204
; %bb.200:
	;; [unrolled: 5-line block ×3, first 2 shown]
	v_cmp_gt_i16_e64 s0, s9, 9
	s_delay_alu instid0(VALU_DEP_1)
	s_and_b32 vcc_lo, exec_lo, s0
	s_cbranch_vccz .LBB456_206
; %bb.202:
	global_load_b64 v[2:3], v[0:1], off
	s_mov_b32 s0, 0
	s_waitcnt vmcnt(0)
	v_cvt_i32_f64_e32 v2, v[2:3]
	s_branch .LBB456_207
.LBB456_203:
                                        ; implicit-def: $vgpr2
	s_branch .LBB456_225
.LBB456_204:
	s_mov_b32 s0, -1
                                        ; implicit-def: $vgpr2
	s_branch .LBB456_213
.LBB456_205:
	s_mov_b32 s0, -1
                                        ; implicit-def: $vgpr2
	s_branch .LBB456_210
.LBB456_206:
	s_mov_b32 s0, -1
                                        ; implicit-def: $vgpr2
.LBB456_207:
	s_delay_alu instid0(SALU_CYCLE_1)
	s_and_not1_b32 vcc_lo, exec_lo, s0
	s_cbranch_vccnz .LBB456_209
; %bb.208:
	global_load_b32 v2, v[0:1], off
	s_waitcnt vmcnt(0)
	v_cvt_i32_f32_e32 v2, v2
.LBB456_209:
	s_mov_b32 s0, 0
.LBB456_210:
	s_delay_alu instid0(SALU_CYCLE_1)
	s_and_not1_b32 vcc_lo, exec_lo, s0
	s_cbranch_vccnz .LBB456_212
; %bb.211:
	global_load_b32 v2, v[0:1], off
	s_waitcnt vmcnt(0)
	v_cvt_i16_f16_e32 v2, v2
.LBB456_212:
	s_mov_b32 s0, 0
.LBB456_213:
	s_delay_alu instid0(SALU_CYCLE_1)
	s_and_not1_b32 vcc_lo, exec_lo, s0
	s_cbranch_vccnz .LBB456_224
; %bb.214:
	v_cmp_lt_i16_e64 s0, s9, 6
	s_delay_alu instid0(VALU_DEP_1)
	s_and_b32 vcc_lo, exec_lo, s0
	s_cbranch_vccnz .LBB456_217
; %bb.215:
	v_cmp_gt_i16_e64 s0, s9, 6
	s_delay_alu instid0(VALU_DEP_1)
	s_and_b32 vcc_lo, exec_lo, s0
	s_cbranch_vccz .LBB456_218
; %bb.216:
	global_load_b64 v[2:3], v[0:1], off
	s_mov_b32 s0, 0
	s_waitcnt vmcnt(0)
	v_cvt_i32_f64_e32 v2, v[2:3]
	s_branch .LBB456_219
.LBB456_217:
	s_mov_b32 s0, -1
                                        ; implicit-def: $vgpr2
	s_branch .LBB456_222
.LBB456_218:
	s_mov_b32 s0, -1
                                        ; implicit-def: $vgpr2
.LBB456_219:
	s_delay_alu instid0(SALU_CYCLE_1)
	s_and_not1_b32 vcc_lo, exec_lo, s0
	s_cbranch_vccnz .LBB456_221
; %bb.220:
	global_load_b32 v2, v[0:1], off
	s_waitcnt vmcnt(0)
	v_cvt_i32_f32_e32 v2, v2
.LBB456_221:
	s_mov_b32 s0, 0
.LBB456_222:
	s_delay_alu instid0(SALU_CYCLE_1)
	s_and_not1_b32 vcc_lo, exec_lo, s0
	s_cbranch_vccnz .LBB456_224
; %bb.223:
	global_load_u16 v2, v[0:1], off
	s_waitcnt vmcnt(0)
	v_cvt_i16_f16_e32 v2, v2
.LBB456_224:
	s_cbranch_execnz .LBB456_244
.LBB456_225:
	v_cmp_lt_i16_e64 s0, s9, 2
	s_delay_alu instid0(VALU_DEP_1)
	s_and_b32 vcc_lo, exec_lo, s0
	s_cbranch_vccnz .LBB456_229
; %bb.226:
	v_cmp_lt_i16_e64 s0, s9, 3
	s_delay_alu instid0(VALU_DEP_1)
	s_and_b32 vcc_lo, exec_lo, s0
	s_cbranch_vccnz .LBB456_230
; %bb.227:
	v_cmp_gt_i16_e64 s0, s9, 3
	s_delay_alu instid0(VALU_DEP_1)
	s_and_b32 vcc_lo, exec_lo, s0
	s_cbranch_vccz .LBB456_231
; %bb.228:
	global_load_b64 v[2:3], v[0:1], off
	s_mov_b32 s0, 0
	s_branch .LBB456_232
.LBB456_229:
	s_mov_b32 s0, -1
                                        ; implicit-def: $vgpr2
	s_branch .LBB456_238
.LBB456_230:
	s_mov_b32 s0, -1
                                        ; implicit-def: $vgpr2
	s_branch .LBB456_235
.LBB456_231:
	s_mov_b32 s0, -1
                                        ; implicit-def: $vgpr2
.LBB456_232:
	s_delay_alu instid0(SALU_CYCLE_1)
	s_and_not1_b32 vcc_lo, exec_lo, s0
	s_cbranch_vccnz .LBB456_234
; %bb.233:
	global_load_b32 v2, v[0:1], off
.LBB456_234:
	s_mov_b32 s0, 0
.LBB456_235:
	s_delay_alu instid0(SALU_CYCLE_1)
	s_and_not1_b32 vcc_lo, exec_lo, s0
	s_cbranch_vccnz .LBB456_237
; %bb.236:
	global_load_u16 v2, v[0:1], off
.LBB456_237:
	s_mov_b32 s0, 0
.LBB456_238:
	s_delay_alu instid0(SALU_CYCLE_1)
	s_and_not1_b32 vcc_lo, exec_lo, s0
	s_cbranch_vccnz .LBB456_244
; %bb.239:
	v_cmp_gt_i16_e64 s0, s9, 0
	s_delay_alu instid0(VALU_DEP_1)
	s_and_b32 vcc_lo, exec_lo, s0
	s_mov_b32 s0, 0
	s_cbranch_vccz .LBB456_241
; %bb.240:
	global_load_i8 v2, v[0:1], off
	s_branch .LBB456_242
.LBB456_241:
	s_mov_b32 s0, -1
                                        ; implicit-def: $vgpr2
.LBB456_242:
	s_delay_alu instid0(SALU_CYCLE_1)
	s_and_not1_b32 vcc_lo, exec_lo, s0
	s_cbranch_vccnz .LBB456_244
; %bb.243:
	global_load_u8 v2, v[0:1], off
.LBB456_244:
	s_branch .LBB456_11
.LBB456_245:
	s_mov_b32 s0, 0
.LBB456_246:
	s_mov_b32 s17, 0
                                        ; implicit-def: $vgpr9
.LBB456_247:
	s_and_b32 s12, s0, exec_lo
	s_and_b32 s14, s14, exec_lo
	s_or_not1_b32 s18, s17, exec_lo
.LBB456_248:
	s_or_b32 exec_lo, exec_lo, s15
	s_mov_b32 s17, 0
	s_mov_b32 s0, 0
                                        ; implicit-def: $vgpr0_vgpr1
                                        ; implicit-def: $vgpr2
	s_and_saveexec_b32 s15, s18
	s_cbranch_execz .LBB456_844
; %bb.249:
	s_mov_b32 s0, -1
	s_mov_b32 s16, s14
	s_mov_b32 s17, s12
	s_mov_b32 s18, exec_lo
	v_cmpx_gt_i32_e64 s13, v9
	s_cbranch_execz .LBB456_504
; %bb.250:
	v_mul_lo_u32 v0, v9, s3
	v_cmp_lt_i16_e64 s0, s9, 11
	s_delay_alu instid0(VALU_DEP_2) | instskip(SKIP_1) | instid1(VALU_DEP_2)
	v_ashrrev_i32_e32 v1, 31, v0
	v_add_co_u32 v0, vcc_lo, s6, v0
	v_add_co_ci_u32_e32 v1, vcc_lo, s7, v1, vcc_lo
	s_delay_alu instid0(VALU_DEP_4)
	s_and_b32 vcc_lo, exec_lo, s0
	s_cbranch_vccnz .LBB456_257
; %bb.251:
	v_cmp_gt_i16_e64 s0, s9, 25
	s_delay_alu instid0(VALU_DEP_1)
	s_and_b32 vcc_lo, exec_lo, s0
	s_cbranch_vccz .LBB456_266
; %bb.252:
	v_cmp_gt_i16_e64 s0, s9, 28
	s_delay_alu instid0(VALU_DEP_1)
	s_and_b32 vcc_lo, exec_lo, s0
	s_cbranch_vccz .LBB456_268
	;; [unrolled: 5-line block ×4, first 2 shown]
; %bb.255:
	v_cmp_eq_u16_e64 s0, s9, 46
	s_mov_b32 s17, 0
	s_delay_alu instid0(VALU_DEP_1)
	s_and_b32 vcc_lo, exec_lo, s0
	s_cbranch_vccz .LBB456_278
; %bb.256:
	global_load_b32 v2, v[0:1], off
	s_mov_b32 s0, -1
	s_mov_b32 s16, 0
	s_waitcnt vmcnt(0)
	v_lshlrev_b32_e32 v2, 16, v2
	s_delay_alu instid0(VALU_DEP_1)
	v_cvt_i32_f32_e32 v2, v2
	s_branch .LBB456_280
.LBB456_257:
	s_mov_b32 s0, 0
	s_mov_b32 s16, s14
                                        ; implicit-def: $vgpr2
	s_cbranch_execnz .LBB456_453
.LBB456_258:
	s_and_not1_b32 vcc_lo, exec_lo, s0
	s_cbranch_vccnz .LBB456_501
.LBB456_259:
	v_mul_lo_u32 v0, v9, s2
	s_waitcnt vmcnt(0)
	v_and_b32_e64 v3, 0xff, s1
	s_delay_alu instid0(VALU_DEP_3) | instskip(NEXT) | instid1(VALU_DEP_2)
	v_min_i16 v2, v2, s8
	v_cmp_gt_i16_e32 vcc_lo, 11, v3
	s_delay_alu instid0(VALU_DEP_4) | instskip(SKIP_1) | instid1(VALU_DEP_1)
	v_ashrrev_i32_e32 v1, 31, v0
	v_add_co_u32 v0, s0, s4, v0
	v_add_co_ci_u32_e64 v1, s0, s5, v1, s0
	s_cbranch_vccnz .LBB456_267
; %bb.260:
	v_cmp_lt_i16_e32 vcc_lo, 25, v3
	s_cbranch_vccz .LBB456_269
; %bb.261:
	v_cmp_lt_i16_e32 vcc_lo, 28, v3
	s_cbranch_vccz .LBB456_271
	;; [unrolled: 3-line block ×4, first 2 shown]
; %bb.264:
	v_cmp_eq_u16_e32 vcc_lo, 46, v3
	s_mov_b32 s19, 0
	s_mov_b32 s0, -1
	s_mov_b32 s17, 0
	s_cbranch_vccz .LBB456_284
; %bb.265:
	v_bfe_i32 v4, v2, 0, 16
	s_mov_b32 s17, -1
	s_mov_b32 s0, 0
	s_delay_alu instid0(VALU_DEP_1) | instskip(NEXT) | instid1(VALU_DEP_1)
	v_cvt_f32_i32_e32 v4, v4
	v_bfe_u32 v5, v4, 16, 1
	s_delay_alu instid0(VALU_DEP_1) | instskip(NEXT) | instid1(VALU_DEP_1)
	v_add3_u32 v4, v4, v5, 0x7fff
	v_lshrrev_b32_e32 v4, 16, v4
	global_store_b32 v[0:1], v4, off
	s_branch .LBB456_284
.LBB456_266:
	s_mov_b32 s17, -1
	s_mov_b32 s0, 0
	s_mov_b32 s16, s14
                                        ; implicit-def: $vgpr2
	s_branch .LBB456_419
.LBB456_267:
	s_mov_b32 s19, -1
	s_mov_b32 s17, 0
	s_mov_b32 s0, s12
	s_branch .LBB456_353
.LBB456_268:
	s_mov_b32 s17, -1
	s_mov_b32 s0, 0
	s_mov_b32 s16, s14
                                        ; implicit-def: $vgpr2
	s_branch .LBB456_402
.LBB456_269:
	s_mov_b32 s19, -1
	s_mov_b32 s17, 0
	s_mov_b32 s0, s12
	s_branch .LBB456_311
.LBB456_270:
	s_mov_b32 s17, -1
	s_mov_b32 s0, 0
	s_mov_b32 s16, s14
                                        ; implicit-def: $vgpr2
	s_branch .LBB456_397
.LBB456_271:
	s_mov_b32 s19, -1
	s_mov_b32 s17, 0
	s_mov_b32 s0, s12
	s_branch .LBB456_294
.LBB456_272:
	s_or_saveexec_b32 s18, s18
                                        ; implicit-def: $sgpr19
	s_delay_alu instid0(SALU_CYCLE_1)
	s_xor_b32 exec_lo, exec_lo, s18
	s_cbranch_execz .LBB456_54
.LBB456_273:
	v_add_f32_e64 v5, 0x46000000, |v4|
	s_and_not1_b32 s17, s17, exec_lo
	s_mov_b32 s19, 0
	s_delay_alu instid0(VALU_DEP_1) | instskip(NEXT) | instid1(VALU_DEP_1)
	v_and_b32_e32 v5, 0xff, v5
	v_cmp_ne_u32_e32 vcc_lo, 0, v5
	s_and_b32 s20, vcc_lo, exec_lo
	s_delay_alu instid0(SALU_CYCLE_1)
	s_or_b32 s17, s17, s20
	s_or_b32 exec_lo, exec_lo, s18
	v_mov_b32_e32 v6, s19
	s_and_saveexec_b32 s18, s17
	s_cbranch_execnz .LBB456_55
	s_branch .LBB456_56
.LBB456_274:
	s_mov_b32 s17, -1
	s_mov_b32 s0, 0
	s_mov_b32 s16, s14
	s_branch .LBB456_279
.LBB456_275:
	s_mov_b32 s19, -1
	s_mov_b32 s17, 0
	s_mov_b32 s0, s12
	s_branch .LBB456_290
.LBB456_276:
	s_or_saveexec_b32 s18, s18
                                        ; implicit-def: $sgpr19
	s_delay_alu instid0(SALU_CYCLE_1)
	s_xor_b32 exec_lo, exec_lo, s18
	s_cbranch_execz .LBB456_67
.LBB456_277:
	v_add_f32_e64 v5, 0x42800000, |v4|
	s_and_not1_b32 s17, s17, exec_lo
	s_mov_b32 s19, 0
	s_delay_alu instid0(VALU_DEP_1) | instskip(NEXT) | instid1(VALU_DEP_1)
	v_and_b32_e32 v5, 0xff, v5
	v_cmp_ne_u32_e32 vcc_lo, 0, v5
	s_and_b32 s20, vcc_lo, exec_lo
	s_delay_alu instid0(SALU_CYCLE_1)
	s_or_b32 s17, s17, s20
	s_or_b32 exec_lo, exec_lo, s18
	v_mov_b32_e32 v6, s19
	s_and_saveexec_b32 s18, s17
	s_cbranch_execnz .LBB456_68
	s_branch .LBB456_69
.LBB456_278:
	s_mov_b32 s16, -1
	s_mov_b32 s0, 0
.LBB456_279:
                                        ; implicit-def: $vgpr2
.LBB456_280:
	s_and_b32 vcc_lo, exec_lo, s17
	s_cbranch_vccz .LBB456_396
; %bb.281:
	v_cmp_eq_u16_e64 s16, s9, 44
	s_delay_alu instid0(VALU_DEP_1)
	s_and_b32 vcc_lo, exec_lo, s16
	s_cbranch_vccz .LBB456_395
; %bb.282:
	global_load_u8 v2, v[0:1], off
	s_mov_b32 s16, 0
	s_mov_b32 s0, -1
	s_waitcnt vmcnt(0)
	v_lshlrev_b32_e32 v3, 23, v2
	v_cmp_ne_u32_e32 vcc_lo, 0, v2
	s_delay_alu instid0(VALU_DEP_2) | instskip(NEXT) | instid1(VALU_DEP_1)
	v_cvt_i32_f32_e32 v3, v3
	v_cndmask_b32_e32 v2, 0, v3, vcc_lo
	s_branch .LBB456_396
.LBB456_283:
	s_mov_b32 s19, -1
	s_mov_b32 s17, 0
	s_mov_b32 s0, s12
.LBB456_284:
	s_and_b32 vcc_lo, exec_lo, s19
	s_cbranch_vccz .LBB456_289
; %bb.285:
	v_cmp_eq_u16_e32 vcc_lo, 44, v3
	s_mov_b32 s0, -1
	s_cbranch_vccz .LBB456_289
; %bb.286:
	v_bfe_i32 v4, v2, 0, 16
	v_mov_b32_e32 v5, 0xff
	s_mov_b32 s17, exec_lo
	s_delay_alu instid0(VALU_DEP_2) | instskip(NEXT) | instid1(VALU_DEP_1)
	v_cvt_f32_i32_e32 v4, v4
	v_bfe_u32 v6, v4, 23, 8
	s_delay_alu instid0(VALU_DEP_1)
	v_cmpx_ne_u32_e32 0xff, v6
; %bb.287:
	v_and_b32_e32 v5, 0x400000, v4
	v_and_or_b32 v6, 0x3fffff, v4, v6
	v_lshrrev_b32_e32 v4, 23, v4
	s_delay_alu instid0(VALU_DEP_3) | instskip(NEXT) | instid1(VALU_DEP_3)
	v_cmp_ne_u32_e32 vcc_lo, 0, v5
	v_cmp_ne_u32_e64 s0, 0, v6
	s_delay_alu instid0(VALU_DEP_1) | instskip(NEXT) | instid1(SALU_CYCLE_1)
	s_and_b32 s0, vcc_lo, s0
	v_cndmask_b32_e64 v5, 0, 1, s0
	s_delay_alu instid0(VALU_DEP_1)
	v_add_nc_u32_e32 v5, v4, v5
; %bb.288:
	s_or_b32 exec_lo, exec_lo, s17
	s_mov_b32 s17, -1
	s_mov_b32 s0, 0
	global_store_b8 v[0:1], v5, off
.LBB456_289:
	s_mov_b32 s19, 0
.LBB456_290:
	s_delay_alu instid0(SALU_CYCLE_1)
	s_and_b32 vcc_lo, exec_lo, s19
	s_cbranch_vccz .LBB456_293
; %bb.291:
	v_cmp_eq_u16_e32 vcc_lo, 29, v3
	s_mov_b32 s0, -1
	s_cbranch_vccz .LBB456_293
; %bb.292:
	v_bfe_i32 v4, v2, 0, 16
	s_mov_b32 s0, 0
	s_mov_b32 s17, -1
	s_mov_b32 s19, 0
	s_delay_alu instid0(VALU_DEP_1)
	v_ashrrev_i32_e32 v5, 31, v4
	global_store_b64 v[0:1], v[4:5], off
	s_branch .LBB456_294
.LBB456_293:
	s_mov_b32 s19, 0
.LBB456_294:
	s_delay_alu instid0(SALU_CYCLE_1)
	s_and_b32 vcc_lo, exec_lo, s19
	s_cbranch_vccz .LBB456_310
; %bb.295:
	v_cmp_gt_i16_e32 vcc_lo, 27, v3
	s_mov_b32 s17, -1
	s_cbranch_vccnz .LBB456_301
; %bb.296:
	v_cmp_lt_i16_e32 vcc_lo, 27, v3
	s_cbranch_vccz .LBB456_298
; %bb.297:
	v_bfe_i32 v4, v2, 0, 16
	s_mov_b32 s17, 0
	global_store_b32 v[0:1], v4, off
.LBB456_298:
	s_and_not1_b32 vcc_lo, exec_lo, s17
	s_cbranch_vccnz .LBB456_300
; %bb.299:
	global_store_b16 v[0:1], v2, off
.LBB456_300:
	s_mov_b32 s17, 0
.LBB456_301:
	s_delay_alu instid0(SALU_CYCLE_1)
	s_and_not1_b32 vcc_lo, exec_lo, s17
	s_cbranch_vccnz .LBB456_309
; %bb.302:
	v_bfe_i32 v4, v2, 0, 16
	v_mov_b32_e32 v6, 0x80
	s_mov_b32 s17, exec_lo
	s_delay_alu instid0(VALU_DEP_2) | instskip(NEXT) | instid1(VALU_DEP_1)
	v_cvt_f32_i32_e32 v4, v4
	v_and_b32_e32 v5, 0x7fffffff, v4
	s_delay_alu instid0(VALU_DEP_1)
	v_cmpx_gt_u32_e32 0x43800000, v5
	s_cbranch_execz .LBB456_308
; %bb.303:
	v_cmp_lt_u32_e32 vcc_lo, 0x3bffffff, v5
	s_mov_b32 s19, 0
                                        ; implicit-def: $vgpr5
	s_and_saveexec_b32 s20, vcc_lo
	s_delay_alu instid0(SALU_CYCLE_1)
	s_xor_b32 s20, exec_lo, s20
	s_cbranch_execz .LBB456_517
; %bb.304:
	v_bfe_u32 v5, v4, 20, 1
	s_mov_b32 s19, exec_lo
	s_delay_alu instid0(VALU_DEP_1) | instskip(NEXT) | instid1(VALU_DEP_1)
	v_add3_u32 v5, v4, v5, 0x487ffff
	v_lshrrev_b32_e32 v5, 20, v5
	s_or_saveexec_b32 s20, s20
                                        ; implicit-def: $sgpr21
	s_delay_alu instid0(SALU_CYCLE_1)
	s_xor_b32 exec_lo, exec_lo, s20
	s_cbranch_execnz .LBB456_518
.LBB456_305:
	s_or_b32 exec_lo, exec_lo, s20
	v_mov_b32_e32 v6, s21
	s_and_saveexec_b32 s20, s19
.LBB456_306:
	v_lshrrev_b32_e32 v4, 24, v4
	s_delay_alu instid0(VALU_DEP_1)
	v_and_or_b32 v6, 0x80, v4, v5
.LBB456_307:
	s_or_b32 exec_lo, exec_lo, s20
.LBB456_308:
	s_delay_alu instid0(SALU_CYCLE_1)
	s_or_b32 exec_lo, exec_lo, s17
	global_store_b8 v[0:1], v6, off
.LBB456_309:
	s_mov_b32 s17, -1
.LBB456_310:
	s_mov_b32 s19, 0
.LBB456_311:
	s_delay_alu instid0(SALU_CYCLE_1)
	s_and_b32 vcc_lo, exec_lo, s19
	s_cbranch_vccz .LBB456_352
; %bb.312:
	v_cmp_lt_i16_e32 vcc_lo, 22, v3
	s_mov_b32 s19, -1
	s_cbranch_vccz .LBB456_344
; %bb.313:
	v_cmp_gt_i16_e32 vcc_lo, 24, v3
	s_mov_b32 s17, -1
	s_cbranch_vccnz .LBB456_333
; %bb.314:
	v_cmp_lt_i16_e32 vcc_lo, 24, v3
	s_cbranch_vccz .LBB456_322
; %bb.315:
	v_bfe_i32 v4, v2, 0, 16
	v_mov_b32_e32 v6, 0x80
	s_mov_b32 s17, exec_lo
	s_delay_alu instid0(VALU_DEP_2) | instskip(NEXT) | instid1(VALU_DEP_1)
	v_cvt_f32_i32_e32 v4, v4
	v_and_b32_e32 v5, 0x7fffffff, v4
	s_delay_alu instid0(VALU_DEP_1)
	v_cmpx_gt_u32_e32 0x47800000, v5
	s_cbranch_execz .LBB456_321
; %bb.316:
	v_cmp_lt_u32_e32 vcc_lo, 0x37ffffff, v5
	s_mov_b32 s19, 0
                                        ; implicit-def: $vgpr5
	s_and_saveexec_b32 s20, vcc_lo
	s_delay_alu instid0(SALU_CYCLE_1)
	s_xor_b32 s20, exec_lo, s20
	s_cbranch_execz .LBB456_520
; %bb.317:
	v_bfe_u32 v5, v4, 21, 1
	s_mov_b32 s19, exec_lo
	s_delay_alu instid0(VALU_DEP_1) | instskip(NEXT) | instid1(VALU_DEP_1)
	v_add3_u32 v5, v4, v5, 0x88fffff
	v_lshrrev_b32_e32 v5, 21, v5
	s_or_saveexec_b32 s20, s20
                                        ; implicit-def: $sgpr21
	s_delay_alu instid0(SALU_CYCLE_1)
	s_xor_b32 exec_lo, exec_lo, s20
	s_cbranch_execnz .LBB456_521
.LBB456_318:
	s_or_b32 exec_lo, exec_lo, s20
	v_mov_b32_e32 v6, s21
	s_and_saveexec_b32 s20, s19
.LBB456_319:
	v_lshrrev_b32_e32 v4, 24, v4
	s_delay_alu instid0(VALU_DEP_1)
	v_and_or_b32 v6, 0x80, v4, v5
.LBB456_320:
	s_or_b32 exec_lo, exec_lo, s20
.LBB456_321:
	s_delay_alu instid0(SALU_CYCLE_1)
	s_or_b32 exec_lo, exec_lo, s17
	s_mov_b32 s17, 0
	global_store_b8 v[0:1], v6, off
.LBB456_322:
	s_and_b32 vcc_lo, exec_lo, s17
	s_cbranch_vccz .LBB456_332
; %bb.323:
	v_bfe_i32 v4, v2, 0, 16
	s_mov_b32 s17, exec_lo
                                        ; implicit-def: $vgpr5
	s_delay_alu instid0(VALU_DEP_1) | instskip(NEXT) | instid1(VALU_DEP_1)
	v_cvt_f32_i32_e32 v4, v4
	v_and_b32_e32 v6, 0x7fffffff, v4
	s_delay_alu instid0(VALU_DEP_1)
	v_cmpx_gt_u32_e32 0x43f00000, v6
	s_xor_b32 s17, exec_lo, s17
	s_cbranch_execz .LBB456_329
; %bb.324:
	s_mov_b32 s19, exec_lo
                                        ; implicit-def: $vgpr5
	v_cmpx_lt_u32_e32 0x3c7fffff, v6
	s_xor_b32 s19, exec_lo, s19
; %bb.325:
	v_bfe_u32 v5, v4, 20, 1
	s_delay_alu instid0(VALU_DEP_1) | instskip(NEXT) | instid1(VALU_DEP_1)
	v_add3_u32 v5, v4, v5, 0x407ffff
	v_and_b32_e32 v6, 0xff00000, v5
	v_lshrrev_b32_e32 v5, 20, v5
	s_delay_alu instid0(VALU_DEP_2) | instskip(NEXT) | instid1(VALU_DEP_2)
	v_cmp_ne_u32_e32 vcc_lo, 0x7f00000, v6
	v_cndmask_b32_e32 v5, 0x7e, v5, vcc_lo
; %bb.326:
	s_and_not1_saveexec_b32 s19, s19
; %bb.327:
	v_add_f32_e64 v5, 0x46800000, |v4|
; %bb.328:
	s_or_b32 exec_lo, exec_lo, s19
                                        ; implicit-def: $vgpr6
.LBB456_329:
	s_and_not1_saveexec_b32 s17, s17
; %bb.330:
	v_mov_b32_e32 v5, 0x7f
	v_cmp_lt_u32_e32 vcc_lo, 0x7f800000, v6
	s_delay_alu instid0(VALU_DEP_2)
	v_cndmask_b32_e32 v5, 0x7e, v5, vcc_lo
; %bb.331:
	s_or_b32 exec_lo, exec_lo, s17
	v_lshrrev_b32_e32 v4, 24, v4
	s_delay_alu instid0(VALU_DEP_1)
	v_and_or_b32 v4, 0x80, v4, v5
	global_store_b8 v[0:1], v4, off
.LBB456_332:
	s_mov_b32 s17, 0
.LBB456_333:
	s_delay_alu instid0(SALU_CYCLE_1)
	s_and_not1_b32 vcc_lo, exec_lo, s17
	s_cbranch_vccnz .LBB456_343
; %bb.334:
	v_bfe_i32 v4, v2, 0, 16
	s_mov_b32 s17, exec_lo
                                        ; implicit-def: $vgpr5
	s_delay_alu instid0(VALU_DEP_1) | instskip(NEXT) | instid1(VALU_DEP_1)
	v_cvt_f32_i32_e32 v4, v4
	v_and_b32_e32 v6, 0x7fffffff, v4
	s_delay_alu instid0(VALU_DEP_1)
	v_cmpx_gt_u32_e32 0x47800000, v6
	s_xor_b32 s17, exec_lo, s17
	s_cbranch_execz .LBB456_340
; %bb.335:
	s_mov_b32 s19, exec_lo
                                        ; implicit-def: $vgpr5
	v_cmpx_lt_u32_e32 0x387fffff, v6
	s_xor_b32 s19, exec_lo, s19
; %bb.336:
	v_bfe_u32 v5, v4, 21, 1
	s_delay_alu instid0(VALU_DEP_1) | instskip(NEXT) | instid1(VALU_DEP_1)
	v_add3_u32 v5, v4, v5, 0x80fffff
	v_lshrrev_b32_e32 v5, 21, v5
; %bb.337:
	s_and_not1_saveexec_b32 s19, s19
; %bb.338:
	v_add_f32_e64 v5, 0x43000000, |v4|
; %bb.339:
	s_or_b32 exec_lo, exec_lo, s19
                                        ; implicit-def: $vgpr6
.LBB456_340:
	s_and_not1_saveexec_b32 s17, s17
; %bb.341:
	v_mov_b32_e32 v5, 0x7f
	v_cmp_lt_u32_e32 vcc_lo, 0x7f800000, v6
	s_delay_alu instid0(VALU_DEP_2)
	v_cndmask_b32_e32 v5, 0x7c, v5, vcc_lo
; %bb.342:
	s_or_b32 exec_lo, exec_lo, s17
	v_lshrrev_b32_e32 v4, 24, v4
	s_delay_alu instid0(VALU_DEP_1)
	v_and_or_b32 v4, 0x80, v4, v5
	global_store_b8 v[0:1], v4, off
.LBB456_343:
	s_mov_b32 s19, 0
	s_mov_b32 s17, -1
.LBB456_344:
	s_and_not1_b32 vcc_lo, exec_lo, s19
	s_cbranch_vccnz .LBB456_352
; %bb.345:
	v_cmp_lt_i16_e32 vcc_lo, 14, v3
	s_mov_b32 s19, -1
	s_cbranch_vccz .LBB456_349
; %bb.346:
	v_cmp_eq_u16_e32 vcc_lo, 15, v3
	s_mov_b32 s0, -1
	s_cbranch_vccz .LBB456_348
; %bb.347:
	v_bfe_i32 v4, v2, 0, 16
	s_mov_b32 s17, -1
	s_mov_b32 s0, 0
	s_delay_alu instid0(VALU_DEP_1) | instskip(NEXT) | instid1(VALU_DEP_1)
	v_cvt_f32_i32_e32 v4, v4
	v_bfe_u32 v5, v4, 16, 1
	s_delay_alu instid0(VALU_DEP_1)
	v_add3_u32 v4, v4, v5, 0x7fff
	global_store_d16_hi_b16 v[0:1], v4, off
.LBB456_348:
	s_mov_b32 s19, 0
.LBB456_349:
	s_delay_alu instid0(SALU_CYCLE_1)
	s_and_b32 vcc_lo, exec_lo, s19
	s_cbranch_vccz .LBB456_352
; %bb.350:
	v_cmp_eq_u16_e32 vcc_lo, 11, v3
	s_mov_b32 s0, -1
	s_cbranch_vccz .LBB456_352
; %bb.351:
	v_cmp_ne_u16_e32 vcc_lo, 0, v2
	s_mov_b32 s0, 0
	s_mov_b32 s17, -1
	v_cndmask_b32_e64 v4, 0, 1, vcc_lo
	global_store_b8 v[0:1], v4, off
.LBB456_352:
	s_mov_b32 s19, 0
.LBB456_353:
	s_delay_alu instid0(SALU_CYCLE_1)
	s_and_b32 vcc_lo, exec_lo, s19
	s_cbranch_vccz .LBB456_392
; %bb.354:
	v_cmp_gt_i16_e32 vcc_lo, 5, v3
	s_mov_b32 s17, -1
	s_cbranch_vccnz .LBB456_375
; %bb.355:
	v_cmp_gt_i16_e32 vcc_lo, 8, v3
	s_cbranch_vccnz .LBB456_365
; %bb.356:
	v_cmp_gt_i16_e32 vcc_lo, 9, v3
	s_cbranch_vccnz .LBB456_362
; %bb.357:
	v_cmp_lt_i16_e32 vcc_lo, 9, v3
	s_cbranch_vccz .LBB456_359
; %bb.358:
	v_bfe_i32 v4, v2, 0, 16
	v_mov_b32_e32 v6, 0
	s_mov_b32 s17, 0
	s_delay_alu instid0(VALU_DEP_2) | instskip(NEXT) | instid1(VALU_DEP_2)
	v_cvt_f64_i32_e32 v[4:5], v4
	v_mov_b32_e32 v7, v6
	global_store_b128 v[0:1], v[4:7], off
.LBB456_359:
	s_and_not1_b32 vcc_lo, exec_lo, s17
	s_cbranch_vccnz .LBB456_361
; %bb.360:
	v_bfe_i32 v4, v2, 0, 16
	v_mov_b32_e32 v5, 0
	s_delay_alu instid0(VALU_DEP_2)
	v_cvt_f32_i32_e32 v4, v4
	global_store_b64 v[0:1], v[4:5], off
.LBB456_361:
	s_mov_b32 s17, 0
.LBB456_362:
	s_delay_alu instid0(SALU_CYCLE_1)
	s_and_not1_b32 vcc_lo, exec_lo, s17
	s_cbranch_vccnz .LBB456_364
; %bb.363:
	v_cvt_f16_i16_e32 v4, v2
	s_delay_alu instid0(VALU_DEP_1)
	v_and_b32_e32 v4, 0xffff, v4
	global_store_b32 v[0:1], v4, off
.LBB456_364:
	s_mov_b32 s17, 0
.LBB456_365:
	s_delay_alu instid0(SALU_CYCLE_1)
	s_and_not1_b32 vcc_lo, exec_lo, s17
	s_cbranch_vccnz .LBB456_374
; %bb.366:
	v_cmp_gt_i16_e32 vcc_lo, 6, v3
	s_mov_b32 s17, -1
	s_cbranch_vccnz .LBB456_372
; %bb.367:
	v_cmp_lt_i16_e32 vcc_lo, 6, v3
	s_cbranch_vccz .LBB456_369
; %bb.368:
	v_bfe_i32 v4, v2, 0, 16
	s_mov_b32 s17, 0
	s_delay_alu instid0(VALU_DEP_1)
	v_cvt_f64_i32_e32 v[4:5], v4
	global_store_b64 v[0:1], v[4:5], off
.LBB456_369:
	s_and_not1_b32 vcc_lo, exec_lo, s17
	s_cbranch_vccnz .LBB456_371
; %bb.370:
	v_bfe_i32 v4, v2, 0, 16
	s_delay_alu instid0(VALU_DEP_1)
	v_cvt_f32_i32_e32 v4, v4
	global_store_b32 v[0:1], v4, off
.LBB456_371:
	s_mov_b32 s17, 0
.LBB456_372:
	s_delay_alu instid0(SALU_CYCLE_1)
	s_and_not1_b32 vcc_lo, exec_lo, s17
	s_cbranch_vccnz .LBB456_374
; %bb.373:
	v_cvt_f16_i16_e32 v4, v2
	global_store_b16 v[0:1], v4, off
.LBB456_374:
	s_mov_b32 s17, 0
.LBB456_375:
	s_delay_alu instid0(SALU_CYCLE_1)
	s_and_not1_b32 vcc_lo, exec_lo, s17
	s_cbranch_vccnz .LBB456_391
; %bb.376:
	v_cmp_gt_i16_e32 vcc_lo, 2, v3
	s_mov_b32 s17, -1
	s_cbranch_vccnz .LBB456_386
; %bb.377:
	v_cmp_gt_i16_e32 vcc_lo, 3, v3
	s_cbranch_vccnz .LBB456_383
; %bb.378:
	v_cmp_lt_i16_e32 vcc_lo, 3, v3
	s_cbranch_vccz .LBB456_380
; %bb.379:
	v_bfe_i32 v4, v2, 0, 16
	s_mov_b32 s17, 0
	s_delay_alu instid0(VALU_DEP_1)
	v_ashrrev_i32_e32 v5, 31, v4
	global_store_b64 v[0:1], v[4:5], off
.LBB456_380:
	s_and_not1_b32 vcc_lo, exec_lo, s17
	s_cbranch_vccnz .LBB456_382
; %bb.381:
	v_bfe_i32 v4, v2, 0, 16
	global_store_b32 v[0:1], v4, off
.LBB456_382:
	s_mov_b32 s17, 0
.LBB456_383:
	s_delay_alu instid0(SALU_CYCLE_1)
	s_and_not1_b32 vcc_lo, exec_lo, s17
	s_cbranch_vccnz .LBB456_385
; %bb.384:
	global_store_b16 v[0:1], v2, off
.LBB456_385:
	s_mov_b32 s17, 0
.LBB456_386:
	s_delay_alu instid0(SALU_CYCLE_1)
	s_and_not1_b32 vcc_lo, exec_lo, s17
	s_cbranch_vccnz .LBB456_391
; %bb.387:
	v_cmp_lt_i16_e32 vcc_lo, 0, v3
	s_mov_b32 s17, -1
	s_cbranch_vccz .LBB456_389
; %bb.388:
	s_mov_b32 s17, 0
	global_store_b8 v[0:1], v2, off
.LBB456_389:
	s_and_not1_b32 vcc_lo, exec_lo, s17
	s_cbranch_vccnz .LBB456_391
; %bb.390:
	global_store_b8 v[0:1], v2, off
.LBB456_391:
	s_mov_b32 s17, -1
.LBB456_392:
	s_delay_alu instid0(SALU_CYCLE_1)
	s_and_not1_b32 vcc_lo, exec_lo, s17
	s_cbranch_vccnz .LBB456_394
; %bb.393:
	v_add_nc_u32_e32 v9, 0x80, v9
	s_mov_b32 s19, -1
	s_branch .LBB456_503
.LBB456_394:
	s_mov_b32 s19, 0
	s_branch .LBB456_502
.LBB456_395:
	s_mov_b32 s16, -1
                                        ; implicit-def: $vgpr2
.LBB456_396:
	s_mov_b32 s17, 0
.LBB456_397:
	s_delay_alu instid0(SALU_CYCLE_1)
	s_and_b32 vcc_lo, exec_lo, s17
	s_cbranch_vccz .LBB456_401
; %bb.398:
	v_cmp_eq_u16_e64 s16, s9, 29
	s_delay_alu instid0(VALU_DEP_1)
	s_and_b32 vcc_lo, exec_lo, s16
	s_cbranch_vccz .LBB456_400
; %bb.399:
	global_load_b64 v[2:3], v[0:1], off
	s_mov_b32 s0, -1
	s_mov_b32 s16, 0
	s_branch .LBB456_401
.LBB456_400:
	s_mov_b32 s16, -1
                                        ; implicit-def: $vgpr2
.LBB456_401:
	s_mov_b32 s17, 0
.LBB456_402:
	s_delay_alu instid0(SALU_CYCLE_1)
	s_and_b32 vcc_lo, exec_lo, s17
	s_cbranch_vccz .LBB456_418
; %bb.403:
	v_cmp_lt_i16_e64 s0, s9, 27
	s_delay_alu instid0(VALU_DEP_1)
	s_and_b32 vcc_lo, exec_lo, s0
	s_cbranch_vccnz .LBB456_406
; %bb.404:
	v_cmp_gt_i16_e64 s0, s9, 27
	s_delay_alu instid0(VALU_DEP_1)
	s_and_b32 vcc_lo, exec_lo, s0
	s_cbranch_vccz .LBB456_407
; %bb.405:
	global_load_b32 v2, v[0:1], off
	s_mov_b32 s0, 0
	s_branch .LBB456_408
.LBB456_406:
	s_mov_b32 s0, -1
                                        ; implicit-def: $vgpr2
	s_branch .LBB456_411
.LBB456_407:
	s_mov_b32 s0, -1
                                        ; implicit-def: $vgpr2
.LBB456_408:
	s_delay_alu instid0(SALU_CYCLE_1)
	s_and_not1_b32 vcc_lo, exec_lo, s0
	s_cbranch_vccnz .LBB456_410
; %bb.409:
	global_load_u16 v2, v[0:1], off
.LBB456_410:
	s_mov_b32 s0, 0
.LBB456_411:
	s_delay_alu instid0(SALU_CYCLE_1)
	s_and_not1_b32 vcc_lo, exec_lo, s0
	s_cbranch_vccnz .LBB456_417
; %bb.412:
	global_load_u8 v3, v[0:1], off
	s_mov_b32 s0, 0
	s_mov_b32 s17, exec_lo
                                        ; implicit-def: $sgpr19
	s_waitcnt vmcnt(0)
	v_cmpx_lt_i16_e32 0x7f, v3
	s_xor_b32 s17, exec_lo, s17
	s_cbranch_execz .LBB456_429
; %bb.413:
	v_cmp_ne_u16_e32 vcc_lo, 0x80, v3
	s_mov_b32 s19, 0
	s_and_b32 s0, vcc_lo, exec_lo
	s_or_saveexec_b32 s17, s17
	v_mov_b32_e32 v2, s19
	s_xor_b32 exec_lo, exec_lo, s17
	s_cbranch_execnz .LBB456_430
.LBB456_414:
	s_or_b32 exec_lo, exec_lo, s17
	s_and_saveexec_b32 s17, s0
	s_cbranch_execz .LBB456_416
.LBB456_415:
	v_and_b32_e32 v2, 0xffff, v3
	s_delay_alu instid0(VALU_DEP_1) | instskip(NEXT) | instid1(VALU_DEP_1)
	v_and_b32_e32 v4, 7, v2
	v_clz_i32_u32_e32 v5, v4
	s_delay_alu instid0(VALU_DEP_1) | instskip(NEXT) | instid1(VALU_DEP_1)
	v_min_u32_e32 v5, 32, v5
	v_subrev_nc_u32_e32 v6, 28, v5
	v_sub_nc_u32_e32 v5, 29, v5
	s_delay_alu instid0(VALU_DEP_2) | instskip(SKIP_1) | instid1(VALU_DEP_2)
	v_lshlrev_b32_e32 v6, v6, v2
	v_bfe_u32 v2, v2, 3, 4
	v_and_b32_e32 v6, 7, v6
	s_delay_alu instid0(VALU_DEP_2) | instskip(SKIP_1) | instid1(VALU_DEP_1)
	v_cmp_eq_u32_e32 vcc_lo, 0, v2
	v_dual_cndmask_b32 v2, v2, v5 :: v_dual_lshlrev_b32 v3, 24, v3
	v_dual_cndmask_b32 v4, v4, v6 :: v_dual_and_b32 v3, 0x80000000, v3
	s_delay_alu instid0(VALU_DEP_2) | instskip(NEXT) | instid1(VALU_DEP_2)
	v_lshl_add_u32 v2, v2, 23, 0x3b800000
	v_lshlrev_b32_e32 v4, 20, v4
	s_delay_alu instid0(VALU_DEP_1) | instskip(NEXT) | instid1(VALU_DEP_1)
	v_or3_b32 v2, v3, v2, v4
	v_cvt_i32_f32_e32 v2, v2
.LBB456_416:
	s_or_b32 exec_lo, exec_lo, s17
.LBB456_417:
	s_mov_b32 s0, -1
.LBB456_418:
	s_mov_b32 s17, 0
.LBB456_419:
	s_delay_alu instid0(SALU_CYCLE_1)
	s_and_b32 vcc_lo, exec_lo, s17
	s_cbranch_vccz .LBB456_452
; %bb.420:
	v_cmp_gt_i16_e64 s17, s9, 22
	s_delay_alu instid0(VALU_DEP_1)
	s_and_b32 vcc_lo, exec_lo, s17
	s_cbranch_vccz .LBB456_428
; %bb.421:
	v_cmp_lt_i16_e64 s0, s9, 24
	s_delay_alu instid0(VALU_DEP_1)
	s_and_b32 vcc_lo, exec_lo, s0
	s_cbranch_vccnz .LBB456_431
; %bb.422:
	v_cmp_gt_i16_e64 s0, s9, 24
	s_delay_alu instid0(VALU_DEP_1)
	s_and_b32 vcc_lo, exec_lo, s0
	s_cbranch_vccz .LBB456_432
; %bb.423:
	global_load_u8 v3, v[0:1], off
	s_mov_b32 s0, 0
	s_mov_b32 s17, exec_lo
                                        ; implicit-def: $sgpr19
	s_waitcnt vmcnt(0)
	v_cmpx_lt_i16_e32 0x7f, v3
	s_xor_b32 s17, exec_lo, s17
	s_cbranch_execz .LBB456_444
; %bb.424:
	v_cmp_ne_u16_e32 vcc_lo, 0x80, v3
	s_mov_b32 s19, 0
	s_and_b32 s0, vcc_lo, exec_lo
	s_or_saveexec_b32 s17, s17
	v_mov_b32_e32 v2, s19
	s_xor_b32 exec_lo, exec_lo, s17
	s_cbranch_execnz .LBB456_445
.LBB456_425:
	s_or_b32 exec_lo, exec_lo, s17
	s_and_saveexec_b32 s17, s0
	s_cbranch_execz .LBB456_427
.LBB456_426:
	v_and_b32_e32 v2, 0xffff, v3
	s_delay_alu instid0(VALU_DEP_1) | instskip(NEXT) | instid1(VALU_DEP_1)
	v_and_b32_e32 v4, 3, v2
	v_clz_i32_u32_e32 v5, v4
	s_delay_alu instid0(VALU_DEP_1) | instskip(NEXT) | instid1(VALU_DEP_1)
	v_min_u32_e32 v5, 32, v5
	v_subrev_nc_u32_e32 v6, 29, v5
	v_sub_nc_u32_e32 v5, 30, v5
	s_delay_alu instid0(VALU_DEP_2) | instskip(SKIP_1) | instid1(VALU_DEP_2)
	v_lshlrev_b32_e32 v6, v6, v2
	v_bfe_u32 v2, v2, 2, 5
	v_and_b32_e32 v6, 3, v6
	s_delay_alu instid0(VALU_DEP_2) | instskip(SKIP_1) | instid1(VALU_DEP_1)
	v_cmp_eq_u32_e32 vcc_lo, 0, v2
	v_dual_cndmask_b32 v2, v2, v5 :: v_dual_lshlrev_b32 v3, 24, v3
	v_dual_cndmask_b32 v4, v4, v6 :: v_dual_and_b32 v3, 0x80000000, v3
	s_delay_alu instid0(VALU_DEP_2) | instskip(NEXT) | instid1(VALU_DEP_2)
	v_lshl_add_u32 v2, v2, 23, 0x37800000
	v_lshlrev_b32_e32 v4, 21, v4
	s_delay_alu instid0(VALU_DEP_1) | instskip(NEXT) | instid1(VALU_DEP_1)
	v_or3_b32 v2, v3, v2, v4
	v_cvt_i32_f32_e32 v2, v2
.LBB456_427:
	s_or_b32 exec_lo, exec_lo, s17
	s_mov_b32 s0, 0
	s_branch .LBB456_433
.LBB456_428:
	s_mov_b32 s17, -1
                                        ; implicit-def: $vgpr2
	s_branch .LBB456_439
.LBB456_429:
	s_or_saveexec_b32 s17, s17
	v_mov_b32_e32 v2, s19
	s_xor_b32 exec_lo, exec_lo, s17
	s_cbranch_execz .LBB456_414
.LBB456_430:
	v_cmp_ne_u16_e32 vcc_lo, 0, v3
	v_mov_b32_e32 v2, 0
	s_and_not1_b32 s0, s0, exec_lo
	s_and_b32 s19, vcc_lo, exec_lo
	s_delay_alu instid0(SALU_CYCLE_1)
	s_or_b32 s0, s0, s19
	s_or_b32 exec_lo, exec_lo, s17
	s_and_saveexec_b32 s17, s0
	s_cbranch_execnz .LBB456_415
	s_branch .LBB456_416
.LBB456_431:
	s_mov_b32 s0, -1
                                        ; implicit-def: $vgpr2
	s_branch .LBB456_436
.LBB456_432:
	s_mov_b32 s0, -1
                                        ; implicit-def: $vgpr2
.LBB456_433:
	s_delay_alu instid0(SALU_CYCLE_1)
	s_and_b32 vcc_lo, exec_lo, s0
	s_cbranch_vccz .LBB456_435
; %bb.434:
	global_load_u8 v2, v[0:1], off
	s_waitcnt vmcnt(0)
	v_lshlrev_b32_e32 v2, 24, v2
	s_delay_alu instid0(VALU_DEP_1) | instskip(NEXT) | instid1(VALU_DEP_1)
	v_and_b32_e32 v3, 0x7f000000, v2
	v_clz_i32_u32_e32 v4, v3
	v_add_nc_u32_e32 v6, 0x1000000, v3
	v_cmp_ne_u32_e32 vcc_lo, 0, v3
	s_delay_alu instid0(VALU_DEP_3) | instskip(NEXT) | instid1(VALU_DEP_1)
	v_min_u32_e32 v4, 32, v4
	v_sub_nc_u32_e64 v4, v4, 4 clamp
	s_delay_alu instid0(VALU_DEP_1) | instskip(SKIP_1) | instid1(VALU_DEP_2)
	v_lshlrev_b32_e32 v5, v4, v3
	v_lshlrev_b32_e32 v4, 23, v4
	v_lshrrev_b32_e32 v5, 4, v5
	s_delay_alu instid0(VALU_DEP_1) | instskip(SKIP_1) | instid1(VALU_DEP_2)
	v_sub_nc_u32_e32 v4, v5, v4
	v_ashrrev_i32_e32 v5, 8, v6
	v_add_nc_u32_e32 v4, 0x3c000000, v4
	s_delay_alu instid0(VALU_DEP_1) | instskip(NEXT) | instid1(VALU_DEP_1)
	v_and_or_b32 v4, 0x7f800000, v5, v4
	v_cndmask_b32_e32 v3, 0, v4, vcc_lo
	s_delay_alu instid0(VALU_DEP_1) | instskip(NEXT) | instid1(VALU_DEP_1)
	v_and_or_b32 v2, 0x80000000, v2, v3
	v_cvt_i32_f32_e32 v2, v2
.LBB456_435:
	s_mov_b32 s0, 0
.LBB456_436:
	s_delay_alu instid0(SALU_CYCLE_1)
	s_and_not1_b32 vcc_lo, exec_lo, s0
	s_cbranch_vccnz .LBB456_438
; %bb.437:
	global_load_u8 v2, v[0:1], off
	s_waitcnt vmcnt(0)
	v_lshlrev_b32_e32 v3, 25, v2
	v_lshlrev_b16 v2, 8, v2
	s_delay_alu instid0(VALU_DEP_2) | instskip(NEXT) | instid1(VALU_DEP_2)
	v_lshrrev_b32_e32 v4, 4, v3
	v_and_or_b32 v5, 0x7f00, v2, 0.5
	v_bfe_i32 v2, v2, 0, 16
	s_delay_alu instid0(VALU_DEP_3) | instskip(NEXT) | instid1(VALU_DEP_1)
	v_or_b32_e32 v4, 0x70000000, v4
	v_dual_add_f32 v5, -0.5, v5 :: v_dual_mul_f32 v4, 0x7800000, v4
	v_cmp_gt_u32_e32 vcc_lo, 0x8000000, v3
	s_delay_alu instid0(VALU_DEP_2) | instskip(NEXT) | instid1(VALU_DEP_1)
	v_cndmask_b32_e32 v3, v4, v5, vcc_lo
	v_and_or_b32 v2, 0x80000000, v2, v3
	s_delay_alu instid0(VALU_DEP_1)
	v_cvt_i32_f32_e32 v2, v2
.LBB456_438:
	s_mov_b32 s17, 0
	s_mov_b32 s0, -1
.LBB456_439:
	s_and_not1_b32 vcc_lo, exec_lo, s17
	s_cbranch_vccnz .LBB456_452
; %bb.440:
	v_cmp_gt_i16_e64 s17, s9, 14
	s_delay_alu instid0(VALU_DEP_1)
	s_and_b32 vcc_lo, exec_lo, s17
	s_cbranch_vccz .LBB456_443
; %bb.441:
	v_cmp_eq_u16_e64 s16, s9, 15
	s_delay_alu instid0(VALU_DEP_1)
	s_and_b32 vcc_lo, exec_lo, s16
	s_cbranch_vccz .LBB456_446
; %bb.442:
	global_load_u16 v2, v[0:1], off
	s_mov_b32 s0, -1
	s_mov_b32 s16, 0
	s_waitcnt vmcnt(0)
	v_lshlrev_b32_e32 v2, 16, v2
	s_delay_alu instid0(VALU_DEP_1)
	v_cvt_i32_f32_e32 v2, v2
	s_branch .LBB456_447
.LBB456_443:
	s_mov_b32 s17, -1
                                        ; implicit-def: $vgpr2
	s_branch .LBB456_448
.LBB456_444:
	s_or_saveexec_b32 s17, s17
	v_mov_b32_e32 v2, s19
	s_xor_b32 exec_lo, exec_lo, s17
	s_cbranch_execz .LBB456_425
.LBB456_445:
	v_cmp_ne_u16_e32 vcc_lo, 0, v3
	v_mov_b32_e32 v2, 0
	s_and_not1_b32 s0, s0, exec_lo
	s_and_b32 s19, vcc_lo, exec_lo
	s_delay_alu instid0(SALU_CYCLE_1)
	s_or_b32 s0, s0, s19
	s_or_b32 exec_lo, exec_lo, s17
	s_and_saveexec_b32 s17, s0
	s_cbranch_execnz .LBB456_426
	s_branch .LBB456_427
.LBB456_446:
	s_mov_b32 s16, -1
                                        ; implicit-def: $vgpr2
.LBB456_447:
	s_mov_b32 s17, 0
.LBB456_448:
	s_delay_alu instid0(SALU_CYCLE_1)
	s_and_b32 vcc_lo, exec_lo, s17
	s_cbranch_vccz .LBB456_452
; %bb.449:
	v_cmp_eq_u16_e64 s16, s9, 11
	s_delay_alu instid0(VALU_DEP_1)
	s_and_b32 vcc_lo, exec_lo, s16
	s_cbranch_vccz .LBB456_451
; %bb.450:
	global_load_u8 v2, v[0:1], off
	s_mov_b32 s16, 0
	s_mov_b32 s0, -1
	s_waitcnt vmcnt(0)
	v_cmp_ne_u16_e32 vcc_lo, 0, v2
	v_cndmask_b32_e64 v2, 0, 1, vcc_lo
	s_branch .LBB456_452
.LBB456_451:
	s_mov_b32 s16, -1
                                        ; implicit-def: $vgpr2
.LBB456_452:
	s_branch .LBB456_258
.LBB456_453:
	v_cmp_lt_i16_e64 s0, s9, 5
	s_delay_alu instid0(VALU_DEP_1)
	s_and_b32 vcc_lo, exec_lo, s0
	s_cbranch_vccnz .LBB456_458
; %bb.454:
	v_cmp_lt_i16_e64 s0, s9, 8
	s_delay_alu instid0(VALU_DEP_1)
	s_and_b32 vcc_lo, exec_lo, s0
	s_cbranch_vccnz .LBB456_459
; %bb.455:
	;; [unrolled: 5-line block ×3, first 2 shown]
	v_cmp_gt_i16_e64 s0, s9, 9
	s_delay_alu instid0(VALU_DEP_1)
	s_and_b32 vcc_lo, exec_lo, s0
	s_cbranch_vccz .LBB456_461
; %bb.457:
	global_load_b64 v[2:3], v[0:1], off
	s_mov_b32 s0, 0
	s_waitcnt vmcnt(0)
	v_cvt_i32_f64_e32 v2, v[2:3]
	s_branch .LBB456_462
.LBB456_458:
	s_mov_b32 s0, -1
                                        ; implicit-def: $vgpr2
	s_branch .LBB456_480
.LBB456_459:
	s_mov_b32 s0, -1
                                        ; implicit-def: $vgpr2
	s_branch .LBB456_468
.LBB456_460:
	s_mov_b32 s0, -1
                                        ; implicit-def: $vgpr2
	s_branch .LBB456_465
.LBB456_461:
	s_mov_b32 s0, -1
                                        ; implicit-def: $vgpr2
.LBB456_462:
	s_delay_alu instid0(SALU_CYCLE_1)
	s_and_not1_b32 vcc_lo, exec_lo, s0
	s_cbranch_vccnz .LBB456_464
; %bb.463:
	global_load_b32 v2, v[0:1], off
	s_waitcnt vmcnt(0)
	v_cvt_i32_f32_e32 v2, v2
.LBB456_464:
	s_mov_b32 s0, 0
.LBB456_465:
	s_delay_alu instid0(SALU_CYCLE_1)
	s_and_not1_b32 vcc_lo, exec_lo, s0
	s_cbranch_vccnz .LBB456_467
; %bb.466:
	global_load_b32 v2, v[0:1], off
	s_waitcnt vmcnt(0)
	v_cvt_i16_f16_e32 v2, v2
.LBB456_467:
	s_mov_b32 s0, 0
.LBB456_468:
	s_delay_alu instid0(SALU_CYCLE_1)
	s_and_not1_b32 vcc_lo, exec_lo, s0
	s_cbranch_vccnz .LBB456_479
; %bb.469:
	v_cmp_lt_i16_e64 s0, s9, 6
	s_delay_alu instid0(VALU_DEP_1)
	s_and_b32 vcc_lo, exec_lo, s0
	s_cbranch_vccnz .LBB456_472
; %bb.470:
	v_cmp_gt_i16_e64 s0, s9, 6
	s_delay_alu instid0(VALU_DEP_1)
	s_and_b32 vcc_lo, exec_lo, s0
	s_cbranch_vccz .LBB456_473
; %bb.471:
	global_load_b64 v[2:3], v[0:1], off
	s_mov_b32 s0, 0
	s_waitcnt vmcnt(0)
	v_cvt_i32_f64_e32 v2, v[2:3]
	s_branch .LBB456_474
.LBB456_472:
	s_mov_b32 s0, -1
                                        ; implicit-def: $vgpr2
	s_branch .LBB456_477
.LBB456_473:
	s_mov_b32 s0, -1
                                        ; implicit-def: $vgpr2
.LBB456_474:
	s_delay_alu instid0(SALU_CYCLE_1)
	s_and_not1_b32 vcc_lo, exec_lo, s0
	s_cbranch_vccnz .LBB456_476
; %bb.475:
	global_load_b32 v2, v[0:1], off
	s_waitcnt vmcnt(0)
	v_cvt_i32_f32_e32 v2, v2
.LBB456_476:
	s_mov_b32 s0, 0
.LBB456_477:
	s_delay_alu instid0(SALU_CYCLE_1)
	s_and_not1_b32 vcc_lo, exec_lo, s0
	s_cbranch_vccnz .LBB456_479
; %bb.478:
	global_load_u16 v2, v[0:1], off
	s_waitcnt vmcnt(0)
	v_cvt_i16_f16_e32 v2, v2
.LBB456_479:
	s_mov_b32 s0, 0
.LBB456_480:
	s_delay_alu instid0(SALU_CYCLE_1)
	s_and_not1_b32 vcc_lo, exec_lo, s0
	s_cbranch_vccnz .LBB456_500
; %bb.481:
	v_cmp_lt_i16_e64 s0, s9, 2
	s_delay_alu instid0(VALU_DEP_1)
	s_and_b32 vcc_lo, exec_lo, s0
	s_cbranch_vccnz .LBB456_485
; %bb.482:
	v_cmp_lt_i16_e64 s0, s9, 3
	s_delay_alu instid0(VALU_DEP_1)
	s_and_b32 vcc_lo, exec_lo, s0
	s_cbranch_vccnz .LBB456_486
; %bb.483:
	v_cmp_gt_i16_e64 s0, s9, 3
	s_delay_alu instid0(VALU_DEP_1)
	s_and_b32 vcc_lo, exec_lo, s0
	s_cbranch_vccz .LBB456_487
; %bb.484:
	global_load_b64 v[2:3], v[0:1], off
	s_mov_b32 s0, 0
	s_branch .LBB456_488
.LBB456_485:
	s_mov_b32 s0, -1
                                        ; implicit-def: $vgpr2
	s_branch .LBB456_494
.LBB456_486:
	s_mov_b32 s0, -1
                                        ; implicit-def: $vgpr2
	s_branch .LBB456_491
.LBB456_487:
	s_mov_b32 s0, -1
                                        ; implicit-def: $vgpr2
.LBB456_488:
	s_delay_alu instid0(SALU_CYCLE_1)
	s_and_not1_b32 vcc_lo, exec_lo, s0
	s_cbranch_vccnz .LBB456_490
; %bb.489:
	global_load_b32 v2, v[0:1], off
.LBB456_490:
	s_mov_b32 s0, 0
.LBB456_491:
	s_delay_alu instid0(SALU_CYCLE_1)
	s_and_not1_b32 vcc_lo, exec_lo, s0
	s_cbranch_vccnz .LBB456_493
; %bb.492:
	global_load_u16 v2, v[0:1], off
.LBB456_493:
	s_mov_b32 s0, 0
.LBB456_494:
	s_delay_alu instid0(SALU_CYCLE_1)
	s_and_not1_b32 vcc_lo, exec_lo, s0
	s_cbranch_vccnz .LBB456_500
; %bb.495:
	v_cmp_gt_i16_e64 s0, s9, 0
	s_delay_alu instid0(VALU_DEP_1)
	s_and_b32 vcc_lo, exec_lo, s0
	s_mov_b32 s0, 0
	s_cbranch_vccz .LBB456_497
; %bb.496:
	global_load_i8 v2, v[0:1], off
	s_branch .LBB456_498
.LBB456_497:
	s_mov_b32 s0, -1
                                        ; implicit-def: $vgpr2
.LBB456_498:
	s_delay_alu instid0(SALU_CYCLE_1)
	s_and_not1_b32 vcc_lo, exec_lo, s0
	s_cbranch_vccnz .LBB456_500
; %bb.499:
	global_load_u8 v2, v[0:1], off
.LBB456_500:
	s_branch .LBB456_259
.LBB456_501:
	s_mov_b32 s19, 0
	s_mov_b32 s0, s12
.LBB456_502:
                                        ; implicit-def: $vgpr9
.LBB456_503:
	s_and_not1_b32 s17, s12, exec_lo
	s_and_b32 s0, s0, exec_lo
	s_and_not1_b32 s20, s14, exec_lo
	s_and_b32 s16, s16, exec_lo
	s_or_b32 s17, s17, s0
	s_or_b32 s16, s20, s16
	s_or_not1_b32 s0, s19, exec_lo
.LBB456_504:
	s_or_b32 exec_lo, exec_lo, s18
	s_mov_b32 s19, 0
	s_mov_b32 s20, 0
	;; [unrolled: 1-line block ×3, first 2 shown]
                                        ; implicit-def: $vgpr0_vgpr1
                                        ; implicit-def: $vgpr2
	s_and_saveexec_b32 s18, s0
	s_cbranch_execz .LBB456_843
; %bb.505:
	s_mov_b32 s21, -1
	s_mov_b32 s0, s16
	s_mov_b32 s20, s17
	s_mov_b32 s19, exec_lo
	v_cmpx_gt_i32_e64 s13, v9
	s_cbranch_execz .LBB456_761
; %bb.506:
	v_mul_lo_u32 v0, v9, s3
	v_cmp_lt_i16_e64 s0, s9, 11
	s_delay_alu instid0(VALU_DEP_2) | instskip(SKIP_1) | instid1(VALU_DEP_2)
	v_ashrrev_i32_e32 v1, 31, v0
	v_add_co_u32 v0, vcc_lo, s6, v0
	v_add_co_ci_u32_e32 v1, vcc_lo, s7, v1, vcc_lo
	s_delay_alu instid0(VALU_DEP_4)
	s_and_b32 vcc_lo, exec_lo, s0
	s_cbranch_vccnz .LBB456_513
; %bb.507:
	v_cmp_gt_i16_e64 s0, s9, 25
	s_delay_alu instid0(VALU_DEP_1)
	s_and_b32 vcc_lo, exec_lo, s0
	s_cbranch_vccz .LBB456_514
; %bb.508:
	v_cmp_gt_i16_e64 s0, s9, 28
	s_delay_alu instid0(VALU_DEP_1)
	s_and_b32 vcc_lo, exec_lo, s0
	s_cbranch_vccz .LBB456_515
	;; [unrolled: 5-line block ×4, first 2 shown]
; %bb.511:
	v_cmp_eq_u16_e64 s0, s9, 46
	s_mov_b32 s21, 0
	s_delay_alu instid0(VALU_DEP_1)
	s_and_b32 vcc_lo, exec_lo, s0
	s_cbranch_vccz .LBB456_522
; %bb.512:
	global_load_b32 v2, v[0:1], off
	s_mov_b32 s0, -1
	s_mov_b32 s20, 0
	s_waitcnt vmcnt(0)
	v_lshlrev_b32_e32 v2, 16, v2
	s_delay_alu instid0(VALU_DEP_1)
	v_cvt_i32_f32_e32 v2, v2
	s_branch .LBB456_524
.LBB456_513:
	s_mov_b32 s0, 0
	s_mov_b32 s20, s16
                                        ; implicit-def: $vgpr2
	s_branch .LBB456_585
.LBB456_514:
	s_mov_b32 s0, 0
	s_mov_b32 s20, s16
                                        ; implicit-def: $vgpr2
	s_branch .LBB456_551
.LBB456_515:
	s_mov_b32 s0, 0
	s_mov_b32 s20, s16
                                        ; implicit-def: $vgpr2
	s_branch .LBB456_534
.LBB456_516:
	s_mov_b32 s0, 0
	s_mov_b32 s20, s16
                                        ; implicit-def: $vgpr2
	s_branch .LBB456_529
.LBB456_517:
	s_or_saveexec_b32 s20, s20
                                        ; implicit-def: $sgpr21
	s_delay_alu instid0(SALU_CYCLE_1)
	s_xor_b32 exec_lo, exec_lo, s20
	s_cbranch_execz .LBB456_305
.LBB456_518:
	v_add_f32_e64 v5, 0x46000000, |v4|
	s_and_not1_b32 s19, s19, exec_lo
	s_mov_b32 s21, 0
	s_delay_alu instid0(VALU_DEP_1) | instskip(NEXT) | instid1(VALU_DEP_1)
	v_and_b32_e32 v5, 0xff, v5
	v_cmp_ne_u32_e32 vcc_lo, 0, v5
	s_and_b32 s22, vcc_lo, exec_lo
	s_delay_alu instid0(SALU_CYCLE_1)
	s_or_b32 s19, s19, s22
	s_or_b32 exec_lo, exec_lo, s20
	v_mov_b32_e32 v6, s21
	s_and_saveexec_b32 s20, s19
	s_cbranch_execnz .LBB456_306
	s_branch .LBB456_307
.LBB456_519:
	s_mov_b32 s0, 0
	s_mov_b32 s20, s16
	s_branch .LBB456_523
.LBB456_520:
	s_or_saveexec_b32 s20, s20
                                        ; implicit-def: $sgpr21
	s_delay_alu instid0(SALU_CYCLE_1)
	s_xor_b32 exec_lo, exec_lo, s20
	s_cbranch_execz .LBB456_318
.LBB456_521:
	v_add_f32_e64 v5, 0x42800000, |v4|
	s_and_not1_b32 s19, s19, exec_lo
	s_mov_b32 s21, 0
	s_delay_alu instid0(VALU_DEP_1) | instskip(NEXT) | instid1(VALU_DEP_1)
	v_and_b32_e32 v5, 0xff, v5
	v_cmp_ne_u32_e32 vcc_lo, 0, v5
	s_and_b32 s22, vcc_lo, exec_lo
	s_delay_alu instid0(SALU_CYCLE_1)
	s_or_b32 s19, s19, s22
	s_or_b32 exec_lo, exec_lo, s20
	v_mov_b32_e32 v6, s21
	s_and_saveexec_b32 s20, s19
	s_cbranch_execnz .LBB456_319
	s_branch .LBB456_320
.LBB456_522:
	s_mov_b32 s20, -1
	s_mov_b32 s0, 0
.LBB456_523:
                                        ; implicit-def: $vgpr2
.LBB456_524:
	s_and_b32 vcc_lo, exec_lo, s21
	s_cbranch_vccz .LBB456_528
; %bb.525:
	v_cmp_eq_u16_e64 s20, s9, 44
	s_delay_alu instid0(VALU_DEP_1)
	s_and_b32 vcc_lo, exec_lo, s20
	s_cbranch_vccz .LBB456_527
; %bb.526:
	global_load_u8 v2, v[0:1], off
	s_mov_b32 s20, 0
	s_mov_b32 s0, -1
	s_waitcnt vmcnt(0)
	v_lshlrev_b32_e32 v3, 23, v2
	v_cmp_ne_u32_e32 vcc_lo, 0, v2
	s_delay_alu instid0(VALU_DEP_2) | instskip(NEXT) | instid1(VALU_DEP_1)
	v_cvt_i32_f32_e32 v3, v3
	v_cndmask_b32_e32 v2, 0, v3, vcc_lo
	s_branch .LBB456_528
.LBB456_527:
	s_mov_b32 s20, -1
                                        ; implicit-def: $vgpr2
.LBB456_528:
	s_mov_b32 s21, 0
.LBB456_529:
	s_delay_alu instid0(SALU_CYCLE_1)
	s_and_b32 vcc_lo, exec_lo, s21
	s_cbranch_vccz .LBB456_533
; %bb.530:
	v_cmp_eq_u16_e64 s20, s9, 29
	s_delay_alu instid0(VALU_DEP_1)
	s_and_b32 vcc_lo, exec_lo, s20
	s_cbranch_vccz .LBB456_532
; %bb.531:
	global_load_b64 v[2:3], v[0:1], off
	s_mov_b32 s0, -1
	s_mov_b32 s20, 0
	s_branch .LBB456_533
.LBB456_532:
	s_mov_b32 s20, -1
                                        ; implicit-def: $vgpr2
.LBB456_533:
	s_mov_b32 s21, 0
.LBB456_534:
	s_delay_alu instid0(SALU_CYCLE_1)
	s_and_b32 vcc_lo, exec_lo, s21
	s_cbranch_vccz .LBB456_550
; %bb.535:
	v_cmp_lt_i16_e64 s0, s9, 27
	s_delay_alu instid0(VALU_DEP_1)
	s_and_b32 vcc_lo, exec_lo, s0
	s_cbranch_vccnz .LBB456_538
; %bb.536:
	v_cmp_gt_i16_e64 s0, s9, 27
	s_delay_alu instid0(VALU_DEP_1)
	s_and_b32 vcc_lo, exec_lo, s0
	s_cbranch_vccz .LBB456_539
; %bb.537:
	global_load_b32 v2, v[0:1], off
	s_mov_b32 s0, 0
	s_branch .LBB456_540
.LBB456_538:
	s_mov_b32 s0, -1
                                        ; implicit-def: $vgpr2
	s_branch .LBB456_543
.LBB456_539:
	s_mov_b32 s0, -1
                                        ; implicit-def: $vgpr2
.LBB456_540:
	s_delay_alu instid0(SALU_CYCLE_1)
	s_and_not1_b32 vcc_lo, exec_lo, s0
	s_cbranch_vccnz .LBB456_542
; %bb.541:
	global_load_u16 v2, v[0:1], off
.LBB456_542:
	s_mov_b32 s0, 0
.LBB456_543:
	s_delay_alu instid0(SALU_CYCLE_1)
	s_and_not1_b32 vcc_lo, exec_lo, s0
	s_cbranch_vccnz .LBB456_549
; %bb.544:
	global_load_u8 v3, v[0:1], off
	s_mov_b32 s0, 0
	s_mov_b32 s21, exec_lo
                                        ; implicit-def: $sgpr22
	s_waitcnt vmcnt(0)
	v_cmpx_lt_i16_e32 0x7f, v3
	s_xor_b32 s21, exec_lo, s21
	s_cbranch_execz .LBB456_561
; %bb.545:
	v_cmp_ne_u16_e32 vcc_lo, 0x80, v3
	s_mov_b32 s22, 0
	s_and_b32 s0, vcc_lo, exec_lo
	s_or_saveexec_b32 s21, s21
	v_mov_b32_e32 v2, s22
	s_xor_b32 exec_lo, exec_lo, s21
	s_cbranch_execnz .LBB456_562
.LBB456_546:
	s_or_b32 exec_lo, exec_lo, s21
	s_and_saveexec_b32 s21, s0
	s_cbranch_execz .LBB456_548
.LBB456_547:
	v_and_b32_e32 v2, 0xffff, v3
	s_delay_alu instid0(VALU_DEP_1) | instskip(NEXT) | instid1(VALU_DEP_1)
	v_and_b32_e32 v4, 7, v2
	v_clz_i32_u32_e32 v5, v4
	s_delay_alu instid0(VALU_DEP_1) | instskip(NEXT) | instid1(VALU_DEP_1)
	v_min_u32_e32 v5, 32, v5
	v_subrev_nc_u32_e32 v6, 28, v5
	v_sub_nc_u32_e32 v5, 29, v5
	s_delay_alu instid0(VALU_DEP_2) | instskip(SKIP_1) | instid1(VALU_DEP_2)
	v_lshlrev_b32_e32 v6, v6, v2
	v_bfe_u32 v2, v2, 3, 4
	v_and_b32_e32 v6, 7, v6
	s_delay_alu instid0(VALU_DEP_2) | instskip(SKIP_1) | instid1(VALU_DEP_1)
	v_cmp_eq_u32_e32 vcc_lo, 0, v2
	v_dual_cndmask_b32 v2, v2, v5 :: v_dual_lshlrev_b32 v3, 24, v3
	v_dual_cndmask_b32 v4, v4, v6 :: v_dual_and_b32 v3, 0x80000000, v3
	s_delay_alu instid0(VALU_DEP_2) | instskip(NEXT) | instid1(VALU_DEP_2)
	v_lshl_add_u32 v2, v2, 23, 0x3b800000
	v_lshlrev_b32_e32 v4, 20, v4
	s_delay_alu instid0(VALU_DEP_1) | instskip(NEXT) | instid1(VALU_DEP_1)
	v_or3_b32 v2, v3, v2, v4
	v_cvt_i32_f32_e32 v2, v2
.LBB456_548:
	s_or_b32 exec_lo, exec_lo, s21
.LBB456_549:
	s_mov_b32 s0, -1
.LBB456_550:
	s_mov_b32 s21, 0
.LBB456_551:
	s_delay_alu instid0(SALU_CYCLE_1)
	s_and_b32 vcc_lo, exec_lo, s21
	s_cbranch_vccz .LBB456_584
; %bb.552:
	v_cmp_gt_i16_e64 s21, s9, 22
	s_delay_alu instid0(VALU_DEP_1)
	s_and_b32 vcc_lo, exec_lo, s21
	s_cbranch_vccz .LBB456_560
; %bb.553:
	v_cmp_lt_i16_e64 s0, s9, 24
	s_delay_alu instid0(VALU_DEP_1)
	s_and_b32 vcc_lo, exec_lo, s0
	s_cbranch_vccnz .LBB456_563
; %bb.554:
	v_cmp_gt_i16_e64 s0, s9, 24
	s_delay_alu instid0(VALU_DEP_1)
	s_and_b32 vcc_lo, exec_lo, s0
	s_cbranch_vccz .LBB456_564
; %bb.555:
	global_load_u8 v3, v[0:1], off
	s_mov_b32 s0, 0
	s_mov_b32 s21, exec_lo
                                        ; implicit-def: $sgpr22
	s_waitcnt vmcnt(0)
	v_cmpx_lt_i16_e32 0x7f, v3
	s_xor_b32 s21, exec_lo, s21
	s_cbranch_execz .LBB456_576
; %bb.556:
	v_cmp_ne_u16_e32 vcc_lo, 0x80, v3
	s_mov_b32 s22, 0
	s_and_b32 s0, vcc_lo, exec_lo
	s_or_saveexec_b32 s21, s21
	v_mov_b32_e32 v2, s22
	s_xor_b32 exec_lo, exec_lo, s21
	s_cbranch_execnz .LBB456_577
.LBB456_557:
	s_or_b32 exec_lo, exec_lo, s21
	s_and_saveexec_b32 s21, s0
	s_cbranch_execz .LBB456_559
.LBB456_558:
	v_and_b32_e32 v2, 0xffff, v3
	s_delay_alu instid0(VALU_DEP_1) | instskip(NEXT) | instid1(VALU_DEP_1)
	v_and_b32_e32 v4, 3, v2
	v_clz_i32_u32_e32 v5, v4
	s_delay_alu instid0(VALU_DEP_1) | instskip(NEXT) | instid1(VALU_DEP_1)
	v_min_u32_e32 v5, 32, v5
	v_subrev_nc_u32_e32 v6, 29, v5
	v_sub_nc_u32_e32 v5, 30, v5
	s_delay_alu instid0(VALU_DEP_2) | instskip(SKIP_1) | instid1(VALU_DEP_2)
	v_lshlrev_b32_e32 v6, v6, v2
	v_bfe_u32 v2, v2, 2, 5
	v_and_b32_e32 v6, 3, v6
	s_delay_alu instid0(VALU_DEP_2) | instskip(SKIP_1) | instid1(VALU_DEP_1)
	v_cmp_eq_u32_e32 vcc_lo, 0, v2
	v_dual_cndmask_b32 v2, v2, v5 :: v_dual_lshlrev_b32 v3, 24, v3
	v_dual_cndmask_b32 v4, v4, v6 :: v_dual_and_b32 v3, 0x80000000, v3
	s_delay_alu instid0(VALU_DEP_2) | instskip(NEXT) | instid1(VALU_DEP_2)
	v_lshl_add_u32 v2, v2, 23, 0x37800000
	v_lshlrev_b32_e32 v4, 21, v4
	s_delay_alu instid0(VALU_DEP_1) | instskip(NEXT) | instid1(VALU_DEP_1)
	v_or3_b32 v2, v3, v2, v4
	v_cvt_i32_f32_e32 v2, v2
.LBB456_559:
	s_or_b32 exec_lo, exec_lo, s21
	s_mov_b32 s0, 0
	s_branch .LBB456_565
.LBB456_560:
	s_mov_b32 s21, -1
                                        ; implicit-def: $vgpr2
	s_branch .LBB456_571
.LBB456_561:
	s_or_saveexec_b32 s21, s21
	v_mov_b32_e32 v2, s22
	s_xor_b32 exec_lo, exec_lo, s21
	s_cbranch_execz .LBB456_546
.LBB456_562:
	v_cmp_ne_u16_e32 vcc_lo, 0, v3
	v_mov_b32_e32 v2, 0
	s_and_not1_b32 s0, s0, exec_lo
	s_and_b32 s22, vcc_lo, exec_lo
	s_delay_alu instid0(SALU_CYCLE_1)
	s_or_b32 s0, s0, s22
	s_or_b32 exec_lo, exec_lo, s21
	s_and_saveexec_b32 s21, s0
	s_cbranch_execnz .LBB456_547
	s_branch .LBB456_548
.LBB456_563:
	s_mov_b32 s0, -1
                                        ; implicit-def: $vgpr2
	s_branch .LBB456_568
.LBB456_564:
	s_mov_b32 s0, -1
                                        ; implicit-def: $vgpr2
.LBB456_565:
	s_delay_alu instid0(SALU_CYCLE_1)
	s_and_b32 vcc_lo, exec_lo, s0
	s_cbranch_vccz .LBB456_567
; %bb.566:
	global_load_u8 v2, v[0:1], off
	s_waitcnt vmcnt(0)
	v_lshlrev_b32_e32 v2, 24, v2
	s_delay_alu instid0(VALU_DEP_1) | instskip(NEXT) | instid1(VALU_DEP_1)
	v_and_b32_e32 v3, 0x7f000000, v2
	v_clz_i32_u32_e32 v4, v3
	v_add_nc_u32_e32 v6, 0x1000000, v3
	v_cmp_ne_u32_e32 vcc_lo, 0, v3
	s_delay_alu instid0(VALU_DEP_3) | instskip(NEXT) | instid1(VALU_DEP_1)
	v_min_u32_e32 v4, 32, v4
	v_sub_nc_u32_e64 v4, v4, 4 clamp
	s_delay_alu instid0(VALU_DEP_1) | instskip(SKIP_1) | instid1(VALU_DEP_2)
	v_lshlrev_b32_e32 v5, v4, v3
	v_lshlrev_b32_e32 v4, 23, v4
	v_lshrrev_b32_e32 v5, 4, v5
	s_delay_alu instid0(VALU_DEP_1) | instskip(SKIP_1) | instid1(VALU_DEP_2)
	v_sub_nc_u32_e32 v4, v5, v4
	v_ashrrev_i32_e32 v5, 8, v6
	v_add_nc_u32_e32 v4, 0x3c000000, v4
	s_delay_alu instid0(VALU_DEP_1) | instskip(NEXT) | instid1(VALU_DEP_1)
	v_and_or_b32 v4, 0x7f800000, v5, v4
	v_cndmask_b32_e32 v3, 0, v4, vcc_lo
	s_delay_alu instid0(VALU_DEP_1) | instskip(NEXT) | instid1(VALU_DEP_1)
	v_and_or_b32 v2, 0x80000000, v2, v3
	v_cvt_i32_f32_e32 v2, v2
.LBB456_567:
	s_mov_b32 s0, 0
.LBB456_568:
	s_delay_alu instid0(SALU_CYCLE_1)
	s_and_not1_b32 vcc_lo, exec_lo, s0
	s_cbranch_vccnz .LBB456_570
; %bb.569:
	global_load_u8 v2, v[0:1], off
	s_waitcnt vmcnt(0)
	v_lshlrev_b32_e32 v3, 25, v2
	v_lshlrev_b16 v2, 8, v2
	s_delay_alu instid0(VALU_DEP_2) | instskip(NEXT) | instid1(VALU_DEP_2)
	v_lshrrev_b32_e32 v4, 4, v3
	v_and_or_b32 v5, 0x7f00, v2, 0.5
	v_bfe_i32 v2, v2, 0, 16
	s_delay_alu instid0(VALU_DEP_3) | instskip(NEXT) | instid1(VALU_DEP_1)
	v_or_b32_e32 v4, 0x70000000, v4
	v_dual_add_f32 v5, -0.5, v5 :: v_dual_mul_f32 v4, 0x7800000, v4
	v_cmp_gt_u32_e32 vcc_lo, 0x8000000, v3
	s_delay_alu instid0(VALU_DEP_2) | instskip(NEXT) | instid1(VALU_DEP_1)
	v_cndmask_b32_e32 v3, v4, v5, vcc_lo
	v_and_or_b32 v2, 0x80000000, v2, v3
	s_delay_alu instid0(VALU_DEP_1)
	v_cvt_i32_f32_e32 v2, v2
.LBB456_570:
	s_mov_b32 s21, 0
	s_mov_b32 s0, -1
.LBB456_571:
	s_and_not1_b32 vcc_lo, exec_lo, s21
	s_cbranch_vccnz .LBB456_584
; %bb.572:
	v_cmp_gt_i16_e64 s21, s9, 14
	s_delay_alu instid0(VALU_DEP_1)
	s_and_b32 vcc_lo, exec_lo, s21
	s_cbranch_vccz .LBB456_575
; %bb.573:
	v_cmp_eq_u16_e64 s20, s9, 15
	s_delay_alu instid0(VALU_DEP_1)
	s_and_b32 vcc_lo, exec_lo, s20
	s_cbranch_vccz .LBB456_578
; %bb.574:
	global_load_u16 v2, v[0:1], off
	s_mov_b32 s0, -1
	s_mov_b32 s20, 0
	s_waitcnt vmcnt(0)
	v_lshlrev_b32_e32 v2, 16, v2
	s_delay_alu instid0(VALU_DEP_1)
	v_cvt_i32_f32_e32 v2, v2
	s_branch .LBB456_579
.LBB456_575:
	s_mov_b32 s21, -1
                                        ; implicit-def: $vgpr2
	s_branch .LBB456_580
.LBB456_576:
	s_or_saveexec_b32 s21, s21
	v_mov_b32_e32 v2, s22
	s_xor_b32 exec_lo, exec_lo, s21
	s_cbranch_execz .LBB456_557
.LBB456_577:
	v_cmp_ne_u16_e32 vcc_lo, 0, v3
	v_mov_b32_e32 v2, 0
	s_and_not1_b32 s0, s0, exec_lo
	s_and_b32 s22, vcc_lo, exec_lo
	s_delay_alu instid0(SALU_CYCLE_1)
	s_or_b32 s0, s0, s22
	s_or_b32 exec_lo, exec_lo, s21
	s_and_saveexec_b32 s21, s0
	s_cbranch_execnz .LBB456_558
	s_branch .LBB456_559
.LBB456_578:
	s_mov_b32 s20, -1
                                        ; implicit-def: $vgpr2
.LBB456_579:
	s_mov_b32 s21, 0
.LBB456_580:
	s_delay_alu instid0(SALU_CYCLE_1)
	s_and_b32 vcc_lo, exec_lo, s21
	s_cbranch_vccz .LBB456_584
; %bb.581:
	v_cmp_eq_u16_e64 s20, s9, 11
	s_delay_alu instid0(VALU_DEP_1)
	s_and_b32 vcc_lo, exec_lo, s20
	s_cbranch_vccz .LBB456_583
; %bb.582:
	global_load_u8 v2, v[0:1], off
	s_mov_b32 s20, 0
	s_mov_b32 s0, -1
	s_waitcnt vmcnt(0)
	v_cmp_ne_u16_e32 vcc_lo, 0, v2
	v_cndmask_b32_e64 v2, 0, 1, vcc_lo
	s_branch .LBB456_584
.LBB456_583:
	s_mov_b32 s20, -1
                                        ; implicit-def: $vgpr2
.LBB456_584:
	s_mov_b32 s21, 0
.LBB456_585:
	s_delay_alu instid0(SALU_CYCLE_1)
	s_and_b32 vcc_lo, exec_lo, s21
	s_cbranch_vccz .LBB456_634
; %bb.586:
	v_cmp_lt_i16_e64 s0, s9, 5
	s_delay_alu instid0(VALU_DEP_1)
	s_and_b32 vcc_lo, exec_lo, s0
	s_cbranch_vccnz .LBB456_591
; %bb.587:
	v_cmp_lt_i16_e64 s0, s9, 8
	s_delay_alu instid0(VALU_DEP_1)
	s_and_b32 vcc_lo, exec_lo, s0
	s_cbranch_vccnz .LBB456_592
	;; [unrolled: 5-line block ×3, first 2 shown]
; %bb.589:
	v_cmp_gt_i16_e64 s0, s9, 9
	s_delay_alu instid0(VALU_DEP_1)
	s_and_b32 vcc_lo, exec_lo, s0
	s_cbranch_vccz .LBB456_594
; %bb.590:
	global_load_b64 v[2:3], v[0:1], off
	s_mov_b32 s0, 0
	s_waitcnt vmcnt(0)
	v_cvt_i32_f64_e32 v2, v[2:3]
	s_branch .LBB456_595
.LBB456_591:
	s_mov_b32 s0, -1
                                        ; implicit-def: $vgpr2
	s_branch .LBB456_613
.LBB456_592:
	s_mov_b32 s0, -1
                                        ; implicit-def: $vgpr2
	s_branch .LBB456_601
.LBB456_593:
	s_mov_b32 s0, -1
                                        ; implicit-def: $vgpr2
	s_branch .LBB456_598
.LBB456_594:
	s_mov_b32 s0, -1
                                        ; implicit-def: $vgpr2
.LBB456_595:
	s_delay_alu instid0(SALU_CYCLE_1)
	s_and_not1_b32 vcc_lo, exec_lo, s0
	s_cbranch_vccnz .LBB456_597
; %bb.596:
	global_load_b32 v2, v[0:1], off
	s_waitcnt vmcnt(0)
	v_cvt_i32_f32_e32 v2, v2
.LBB456_597:
	s_mov_b32 s0, 0
.LBB456_598:
	s_delay_alu instid0(SALU_CYCLE_1)
	s_and_not1_b32 vcc_lo, exec_lo, s0
	s_cbranch_vccnz .LBB456_600
; %bb.599:
	global_load_b32 v2, v[0:1], off
	s_waitcnt vmcnt(0)
	v_cvt_i16_f16_e32 v2, v2
.LBB456_600:
	s_mov_b32 s0, 0
.LBB456_601:
	s_delay_alu instid0(SALU_CYCLE_1)
	s_and_not1_b32 vcc_lo, exec_lo, s0
	s_cbranch_vccnz .LBB456_612
; %bb.602:
	v_cmp_lt_i16_e64 s0, s9, 6
	s_delay_alu instid0(VALU_DEP_1)
	s_and_b32 vcc_lo, exec_lo, s0
	s_cbranch_vccnz .LBB456_605
; %bb.603:
	v_cmp_gt_i16_e64 s0, s9, 6
	s_delay_alu instid0(VALU_DEP_1)
	s_and_b32 vcc_lo, exec_lo, s0
	s_cbranch_vccz .LBB456_606
; %bb.604:
	global_load_b64 v[2:3], v[0:1], off
	s_mov_b32 s0, 0
	s_waitcnt vmcnt(0)
	v_cvt_i32_f64_e32 v2, v[2:3]
	s_branch .LBB456_607
.LBB456_605:
	s_mov_b32 s0, -1
                                        ; implicit-def: $vgpr2
	s_branch .LBB456_610
.LBB456_606:
	s_mov_b32 s0, -1
                                        ; implicit-def: $vgpr2
.LBB456_607:
	s_delay_alu instid0(SALU_CYCLE_1)
	s_and_not1_b32 vcc_lo, exec_lo, s0
	s_cbranch_vccnz .LBB456_609
; %bb.608:
	global_load_b32 v2, v[0:1], off
	s_waitcnt vmcnt(0)
	v_cvt_i32_f32_e32 v2, v2
.LBB456_609:
	s_mov_b32 s0, 0
.LBB456_610:
	s_delay_alu instid0(SALU_CYCLE_1)
	s_and_not1_b32 vcc_lo, exec_lo, s0
	s_cbranch_vccnz .LBB456_612
; %bb.611:
	global_load_u16 v2, v[0:1], off
	s_waitcnt vmcnt(0)
	v_cvt_i16_f16_e32 v2, v2
.LBB456_612:
	s_mov_b32 s0, 0
.LBB456_613:
	s_delay_alu instid0(SALU_CYCLE_1)
	s_and_not1_b32 vcc_lo, exec_lo, s0
	s_cbranch_vccnz .LBB456_633
; %bb.614:
	v_cmp_lt_i16_e64 s0, s9, 2
	s_delay_alu instid0(VALU_DEP_1)
	s_and_b32 vcc_lo, exec_lo, s0
	s_cbranch_vccnz .LBB456_618
; %bb.615:
	v_cmp_lt_i16_e64 s0, s9, 3
	s_delay_alu instid0(VALU_DEP_1)
	s_and_b32 vcc_lo, exec_lo, s0
	s_cbranch_vccnz .LBB456_619
; %bb.616:
	v_cmp_gt_i16_e64 s0, s9, 3
	s_delay_alu instid0(VALU_DEP_1)
	s_and_b32 vcc_lo, exec_lo, s0
	s_cbranch_vccz .LBB456_620
; %bb.617:
	global_load_b64 v[2:3], v[0:1], off
	s_mov_b32 s0, 0
	s_branch .LBB456_621
.LBB456_618:
	s_mov_b32 s0, -1
                                        ; implicit-def: $vgpr2
	s_branch .LBB456_627
.LBB456_619:
	s_mov_b32 s0, -1
                                        ; implicit-def: $vgpr2
	s_branch .LBB456_624
.LBB456_620:
	s_mov_b32 s0, -1
                                        ; implicit-def: $vgpr2
.LBB456_621:
	s_delay_alu instid0(SALU_CYCLE_1)
	s_and_not1_b32 vcc_lo, exec_lo, s0
	s_cbranch_vccnz .LBB456_623
; %bb.622:
	global_load_b32 v2, v[0:1], off
.LBB456_623:
	s_mov_b32 s0, 0
.LBB456_624:
	s_delay_alu instid0(SALU_CYCLE_1)
	s_and_not1_b32 vcc_lo, exec_lo, s0
	s_cbranch_vccnz .LBB456_626
; %bb.625:
	global_load_u16 v2, v[0:1], off
.LBB456_626:
	s_mov_b32 s0, 0
.LBB456_627:
	s_delay_alu instid0(SALU_CYCLE_1)
	s_and_not1_b32 vcc_lo, exec_lo, s0
	s_cbranch_vccnz .LBB456_633
; %bb.628:
	v_cmp_gt_i16_e64 s0, s9, 0
	s_delay_alu instid0(VALU_DEP_1)
	s_and_b32 vcc_lo, exec_lo, s0
	s_mov_b32 s0, 0
	s_cbranch_vccz .LBB456_630
; %bb.629:
	global_load_i8 v2, v[0:1], off
	s_branch .LBB456_631
.LBB456_630:
	s_mov_b32 s0, -1
                                        ; implicit-def: $vgpr2
.LBB456_631:
	s_delay_alu instid0(SALU_CYCLE_1)
	s_and_not1_b32 vcc_lo, exec_lo, s0
	s_cbranch_vccnz .LBB456_633
; %bb.632:
	global_load_u8 v2, v[0:1], off
.LBB456_633:
	s_mov_b32 s0, -1
.LBB456_634:
	s_delay_alu instid0(SALU_CYCLE_1)
	s_and_not1_b32 vcc_lo, exec_lo, s0
	s_cbranch_vccnz .LBB456_642
; %bb.635:
	v_mul_lo_u32 v0, v9, s2
	s_waitcnt vmcnt(0)
	v_and_b32_e64 v3, 0xff, s1
	s_delay_alu instid0(VALU_DEP_3) | instskip(NEXT) | instid1(VALU_DEP_2)
	v_min_i16 v2, v2, s8
	v_cmp_gt_i16_e32 vcc_lo, 11, v3
	s_delay_alu instid0(VALU_DEP_4) | instskip(SKIP_1) | instid1(VALU_DEP_1)
	v_ashrrev_i32_e32 v1, 31, v0
	v_add_co_u32 v0, s0, s4, v0
	v_add_co_ci_u32_e64 v1, s0, s5, v1, s0
	s_cbranch_vccnz .LBB456_643
; %bb.636:
	v_cmp_lt_i16_e32 vcc_lo, 25, v3
	s_cbranch_vccz .LBB456_644
; %bb.637:
	v_cmp_lt_i16_e32 vcc_lo, 28, v3
	s_cbranch_vccz .LBB456_645
	;; [unrolled: 3-line block ×4, first 2 shown]
; %bb.640:
	v_cmp_eq_u16_e32 vcc_lo, 46, v3
	s_mov_b32 s22, 0
	s_mov_b32 s0, -1
	s_mov_b32 s21, 0
	s_cbranch_vccz .LBB456_648
; %bb.641:
	v_bfe_i32 v4, v2, 0, 16
	s_mov_b32 s21, -1
	s_mov_b32 s0, 0
	s_delay_alu instid0(VALU_DEP_1) | instskip(NEXT) | instid1(VALU_DEP_1)
	v_cvt_f32_i32_e32 v4, v4
	v_bfe_u32 v5, v4, 16, 1
	s_delay_alu instid0(VALU_DEP_1) | instskip(NEXT) | instid1(VALU_DEP_1)
	v_add3_u32 v4, v4, v5, 0x7fff
	v_lshrrev_b32_e32 v4, 16, v4
	global_store_b32 v[0:1], v4, off
	s_branch .LBB456_648
.LBB456_642:
	s_mov_b32 s21, 0
	s_mov_b32 s0, s17
	s_branch .LBB456_759
.LBB456_643:
	s_mov_b32 s22, -1
	s_mov_b32 s21, 0
	s_mov_b32 s0, s17
	s_branch .LBB456_717
.LBB456_644:
	s_mov_b32 s22, -1
	s_mov_b32 s21, 0
	s_mov_b32 s0, s17
	s_branch .LBB456_675
.LBB456_645:
	s_mov_b32 s22, -1
	s_mov_b32 s21, 0
	s_mov_b32 s0, s17
	s_branch .LBB456_658
.LBB456_646:
	s_mov_b32 s22, -1
	s_mov_b32 s21, 0
	s_mov_b32 s0, s17
	s_branch .LBB456_654
.LBB456_647:
	s_mov_b32 s22, -1
	s_mov_b32 s21, 0
	s_mov_b32 s0, s17
.LBB456_648:
	s_and_b32 vcc_lo, exec_lo, s22
	s_cbranch_vccz .LBB456_653
; %bb.649:
	v_cmp_eq_u16_e32 vcc_lo, 44, v3
	s_mov_b32 s0, -1
	s_cbranch_vccz .LBB456_653
; %bb.650:
	v_bfe_i32 v4, v2, 0, 16
	v_mov_b32_e32 v5, 0xff
	s_mov_b32 s21, exec_lo
	s_delay_alu instid0(VALU_DEP_2) | instskip(NEXT) | instid1(VALU_DEP_1)
	v_cvt_f32_i32_e32 v4, v4
	v_bfe_u32 v6, v4, 23, 8
	s_delay_alu instid0(VALU_DEP_1)
	v_cmpx_ne_u32_e32 0xff, v6
; %bb.651:
	v_and_b32_e32 v5, 0x400000, v4
	v_and_or_b32 v6, 0x3fffff, v4, v6
	v_lshrrev_b32_e32 v4, 23, v4
	s_delay_alu instid0(VALU_DEP_3) | instskip(NEXT) | instid1(VALU_DEP_3)
	v_cmp_ne_u32_e32 vcc_lo, 0, v5
	v_cmp_ne_u32_e64 s0, 0, v6
	s_delay_alu instid0(VALU_DEP_1) | instskip(NEXT) | instid1(SALU_CYCLE_1)
	s_and_b32 s0, vcc_lo, s0
	v_cndmask_b32_e64 v5, 0, 1, s0
	s_delay_alu instid0(VALU_DEP_1)
	v_add_nc_u32_e32 v5, v4, v5
; %bb.652:
	s_or_b32 exec_lo, exec_lo, s21
	s_mov_b32 s21, -1
	s_mov_b32 s0, 0
	global_store_b8 v[0:1], v5, off
.LBB456_653:
	s_mov_b32 s22, 0
.LBB456_654:
	s_delay_alu instid0(SALU_CYCLE_1)
	s_and_b32 vcc_lo, exec_lo, s22
	s_cbranch_vccz .LBB456_657
; %bb.655:
	v_cmp_eq_u16_e32 vcc_lo, 29, v3
	s_mov_b32 s0, -1
	s_cbranch_vccz .LBB456_657
; %bb.656:
	v_bfe_i32 v4, v2, 0, 16
	s_mov_b32 s0, 0
	s_mov_b32 s21, -1
	s_mov_b32 s22, 0
	s_delay_alu instid0(VALU_DEP_1)
	v_ashrrev_i32_e32 v5, 31, v4
	global_store_b64 v[0:1], v[4:5], off
	s_branch .LBB456_658
.LBB456_657:
	s_mov_b32 s22, 0
.LBB456_658:
	s_delay_alu instid0(SALU_CYCLE_1)
	s_and_b32 vcc_lo, exec_lo, s22
	s_cbranch_vccz .LBB456_674
; %bb.659:
	v_cmp_gt_i16_e32 vcc_lo, 27, v3
	s_mov_b32 s21, -1
	s_cbranch_vccnz .LBB456_665
; %bb.660:
	v_cmp_lt_i16_e32 vcc_lo, 27, v3
	s_cbranch_vccz .LBB456_662
; %bb.661:
	v_bfe_i32 v4, v2, 0, 16
	s_mov_b32 s21, 0
	global_store_b32 v[0:1], v4, off
.LBB456_662:
	s_and_not1_b32 vcc_lo, exec_lo, s21
	s_cbranch_vccnz .LBB456_664
; %bb.663:
	global_store_b16 v[0:1], v2, off
.LBB456_664:
	s_mov_b32 s21, 0
.LBB456_665:
	s_delay_alu instid0(SALU_CYCLE_1)
	s_and_not1_b32 vcc_lo, exec_lo, s21
	s_cbranch_vccnz .LBB456_673
; %bb.666:
	v_bfe_i32 v4, v2, 0, 16
	v_mov_b32_e32 v6, 0x80
	s_mov_b32 s21, exec_lo
	s_delay_alu instid0(VALU_DEP_2) | instskip(NEXT) | instid1(VALU_DEP_1)
	v_cvt_f32_i32_e32 v4, v4
	v_and_b32_e32 v5, 0x7fffffff, v4
	s_delay_alu instid0(VALU_DEP_1)
	v_cmpx_gt_u32_e32 0x43800000, v5
	s_cbranch_execz .LBB456_672
; %bb.667:
	v_cmp_lt_u32_e32 vcc_lo, 0x3bffffff, v5
	s_mov_b32 s22, 0
                                        ; implicit-def: $vgpr5
	s_and_saveexec_b32 s23, vcc_lo
	s_delay_alu instid0(SALU_CYCLE_1)
	s_xor_b32 s23, exec_lo, s23
	s_cbranch_execz .LBB456_774
; %bb.668:
	v_bfe_u32 v5, v4, 20, 1
	s_mov_b32 s22, exec_lo
	s_delay_alu instid0(VALU_DEP_1) | instskip(NEXT) | instid1(VALU_DEP_1)
	v_add3_u32 v5, v4, v5, 0x487ffff
	v_lshrrev_b32_e32 v5, 20, v5
	s_or_saveexec_b32 s23, s23
                                        ; implicit-def: $sgpr24
	s_delay_alu instid0(SALU_CYCLE_1)
	s_xor_b32 exec_lo, exec_lo, s23
	s_cbranch_execnz .LBB456_775
.LBB456_669:
	s_or_b32 exec_lo, exec_lo, s23
	v_mov_b32_e32 v6, s24
	s_and_saveexec_b32 s23, s22
.LBB456_670:
	v_lshrrev_b32_e32 v4, 24, v4
	s_delay_alu instid0(VALU_DEP_1)
	v_and_or_b32 v6, 0x80, v4, v5
.LBB456_671:
	s_or_b32 exec_lo, exec_lo, s23
.LBB456_672:
	s_delay_alu instid0(SALU_CYCLE_1)
	s_or_b32 exec_lo, exec_lo, s21
	global_store_b8 v[0:1], v6, off
.LBB456_673:
	s_mov_b32 s21, -1
.LBB456_674:
	s_mov_b32 s22, 0
.LBB456_675:
	s_delay_alu instid0(SALU_CYCLE_1)
	s_and_b32 vcc_lo, exec_lo, s22
	s_cbranch_vccz .LBB456_716
; %bb.676:
	v_cmp_lt_i16_e32 vcc_lo, 22, v3
	s_mov_b32 s22, -1
	s_cbranch_vccz .LBB456_708
; %bb.677:
	v_cmp_gt_i16_e32 vcc_lo, 24, v3
	s_mov_b32 s21, -1
	s_cbranch_vccnz .LBB456_697
; %bb.678:
	v_cmp_lt_i16_e32 vcc_lo, 24, v3
	s_cbranch_vccz .LBB456_686
; %bb.679:
	v_bfe_i32 v4, v2, 0, 16
	v_mov_b32_e32 v6, 0x80
	s_mov_b32 s21, exec_lo
	s_delay_alu instid0(VALU_DEP_2) | instskip(NEXT) | instid1(VALU_DEP_1)
	v_cvt_f32_i32_e32 v4, v4
	v_and_b32_e32 v5, 0x7fffffff, v4
	s_delay_alu instid0(VALU_DEP_1)
	v_cmpx_gt_u32_e32 0x47800000, v5
	s_cbranch_execz .LBB456_685
; %bb.680:
	v_cmp_lt_u32_e32 vcc_lo, 0x37ffffff, v5
	s_mov_b32 s22, 0
                                        ; implicit-def: $vgpr5
	s_and_saveexec_b32 s23, vcc_lo
	s_delay_alu instid0(SALU_CYCLE_1)
	s_xor_b32 s23, exec_lo, s23
	s_cbranch_execz .LBB456_777
; %bb.681:
	v_bfe_u32 v5, v4, 21, 1
	s_mov_b32 s22, exec_lo
	s_delay_alu instid0(VALU_DEP_1) | instskip(NEXT) | instid1(VALU_DEP_1)
	v_add3_u32 v5, v4, v5, 0x88fffff
	v_lshrrev_b32_e32 v5, 21, v5
	s_or_saveexec_b32 s23, s23
                                        ; implicit-def: $sgpr24
	s_delay_alu instid0(SALU_CYCLE_1)
	s_xor_b32 exec_lo, exec_lo, s23
	s_cbranch_execnz .LBB456_778
.LBB456_682:
	s_or_b32 exec_lo, exec_lo, s23
	v_mov_b32_e32 v6, s24
	s_and_saveexec_b32 s23, s22
.LBB456_683:
	v_lshrrev_b32_e32 v4, 24, v4
	s_delay_alu instid0(VALU_DEP_1)
	v_and_or_b32 v6, 0x80, v4, v5
.LBB456_684:
	s_or_b32 exec_lo, exec_lo, s23
.LBB456_685:
	s_delay_alu instid0(SALU_CYCLE_1)
	s_or_b32 exec_lo, exec_lo, s21
	s_mov_b32 s21, 0
	global_store_b8 v[0:1], v6, off
.LBB456_686:
	s_and_b32 vcc_lo, exec_lo, s21
	s_cbranch_vccz .LBB456_696
; %bb.687:
	v_bfe_i32 v4, v2, 0, 16
	s_mov_b32 s21, exec_lo
                                        ; implicit-def: $vgpr5
	s_delay_alu instid0(VALU_DEP_1) | instskip(NEXT) | instid1(VALU_DEP_1)
	v_cvt_f32_i32_e32 v4, v4
	v_and_b32_e32 v6, 0x7fffffff, v4
	s_delay_alu instid0(VALU_DEP_1)
	v_cmpx_gt_u32_e32 0x43f00000, v6
	s_xor_b32 s21, exec_lo, s21
	s_cbranch_execz .LBB456_693
; %bb.688:
	s_mov_b32 s22, exec_lo
                                        ; implicit-def: $vgpr5
	v_cmpx_lt_u32_e32 0x3c7fffff, v6
	s_xor_b32 s22, exec_lo, s22
; %bb.689:
	v_bfe_u32 v5, v4, 20, 1
	s_delay_alu instid0(VALU_DEP_1) | instskip(NEXT) | instid1(VALU_DEP_1)
	v_add3_u32 v5, v4, v5, 0x407ffff
	v_and_b32_e32 v6, 0xff00000, v5
	v_lshrrev_b32_e32 v5, 20, v5
	s_delay_alu instid0(VALU_DEP_2) | instskip(NEXT) | instid1(VALU_DEP_2)
	v_cmp_ne_u32_e32 vcc_lo, 0x7f00000, v6
	v_cndmask_b32_e32 v5, 0x7e, v5, vcc_lo
; %bb.690:
	s_and_not1_saveexec_b32 s22, s22
; %bb.691:
	v_add_f32_e64 v5, 0x46800000, |v4|
; %bb.692:
	s_or_b32 exec_lo, exec_lo, s22
                                        ; implicit-def: $vgpr6
.LBB456_693:
	s_and_not1_saveexec_b32 s21, s21
; %bb.694:
	v_mov_b32_e32 v5, 0x7f
	v_cmp_lt_u32_e32 vcc_lo, 0x7f800000, v6
	s_delay_alu instid0(VALU_DEP_2)
	v_cndmask_b32_e32 v5, 0x7e, v5, vcc_lo
; %bb.695:
	s_or_b32 exec_lo, exec_lo, s21
	v_lshrrev_b32_e32 v4, 24, v4
	s_delay_alu instid0(VALU_DEP_1)
	v_and_or_b32 v4, 0x80, v4, v5
	global_store_b8 v[0:1], v4, off
.LBB456_696:
	s_mov_b32 s21, 0
.LBB456_697:
	s_delay_alu instid0(SALU_CYCLE_1)
	s_and_not1_b32 vcc_lo, exec_lo, s21
	s_cbranch_vccnz .LBB456_707
; %bb.698:
	v_bfe_i32 v4, v2, 0, 16
	s_mov_b32 s21, exec_lo
                                        ; implicit-def: $vgpr5
	s_delay_alu instid0(VALU_DEP_1) | instskip(NEXT) | instid1(VALU_DEP_1)
	v_cvt_f32_i32_e32 v4, v4
	v_and_b32_e32 v6, 0x7fffffff, v4
	s_delay_alu instid0(VALU_DEP_1)
	v_cmpx_gt_u32_e32 0x47800000, v6
	s_xor_b32 s21, exec_lo, s21
	s_cbranch_execz .LBB456_704
; %bb.699:
	s_mov_b32 s22, exec_lo
                                        ; implicit-def: $vgpr5
	v_cmpx_lt_u32_e32 0x387fffff, v6
	s_xor_b32 s22, exec_lo, s22
; %bb.700:
	v_bfe_u32 v5, v4, 21, 1
	s_delay_alu instid0(VALU_DEP_1) | instskip(NEXT) | instid1(VALU_DEP_1)
	v_add3_u32 v5, v4, v5, 0x80fffff
	v_lshrrev_b32_e32 v5, 21, v5
; %bb.701:
	s_and_not1_saveexec_b32 s22, s22
; %bb.702:
	v_add_f32_e64 v5, 0x43000000, |v4|
; %bb.703:
	s_or_b32 exec_lo, exec_lo, s22
                                        ; implicit-def: $vgpr6
.LBB456_704:
	s_and_not1_saveexec_b32 s21, s21
; %bb.705:
	v_mov_b32_e32 v5, 0x7f
	v_cmp_lt_u32_e32 vcc_lo, 0x7f800000, v6
	s_delay_alu instid0(VALU_DEP_2)
	v_cndmask_b32_e32 v5, 0x7c, v5, vcc_lo
; %bb.706:
	s_or_b32 exec_lo, exec_lo, s21
	v_lshrrev_b32_e32 v4, 24, v4
	s_delay_alu instid0(VALU_DEP_1)
	v_and_or_b32 v4, 0x80, v4, v5
	global_store_b8 v[0:1], v4, off
.LBB456_707:
	s_mov_b32 s22, 0
	s_mov_b32 s21, -1
.LBB456_708:
	s_and_not1_b32 vcc_lo, exec_lo, s22
	s_cbranch_vccnz .LBB456_716
; %bb.709:
	v_cmp_lt_i16_e32 vcc_lo, 14, v3
	s_mov_b32 s22, -1
	s_cbranch_vccz .LBB456_713
; %bb.710:
	v_cmp_eq_u16_e32 vcc_lo, 15, v3
	s_mov_b32 s0, -1
	s_cbranch_vccz .LBB456_712
; %bb.711:
	v_bfe_i32 v4, v2, 0, 16
	s_mov_b32 s21, -1
	s_mov_b32 s0, 0
	s_delay_alu instid0(VALU_DEP_1) | instskip(NEXT) | instid1(VALU_DEP_1)
	v_cvt_f32_i32_e32 v4, v4
	v_bfe_u32 v5, v4, 16, 1
	s_delay_alu instid0(VALU_DEP_1)
	v_add3_u32 v4, v4, v5, 0x7fff
	global_store_d16_hi_b16 v[0:1], v4, off
.LBB456_712:
	s_mov_b32 s22, 0
.LBB456_713:
	s_delay_alu instid0(SALU_CYCLE_1)
	s_and_b32 vcc_lo, exec_lo, s22
	s_cbranch_vccz .LBB456_716
; %bb.714:
	v_cmp_eq_u16_e32 vcc_lo, 11, v3
	s_mov_b32 s0, -1
	s_cbranch_vccz .LBB456_716
; %bb.715:
	v_cmp_ne_u16_e32 vcc_lo, 0, v2
	s_mov_b32 s0, 0
	s_mov_b32 s21, -1
	v_cndmask_b32_e64 v4, 0, 1, vcc_lo
	global_store_b8 v[0:1], v4, off
.LBB456_716:
	s_mov_b32 s22, 0
.LBB456_717:
	s_delay_alu instid0(SALU_CYCLE_1)
	s_and_b32 vcc_lo, exec_lo, s22
	s_cbranch_vccz .LBB456_756
; %bb.718:
	v_cmp_gt_i16_e32 vcc_lo, 5, v3
	s_mov_b32 s21, -1
	s_cbranch_vccnz .LBB456_739
; %bb.719:
	v_cmp_gt_i16_e32 vcc_lo, 8, v3
	s_cbranch_vccnz .LBB456_729
; %bb.720:
	v_cmp_gt_i16_e32 vcc_lo, 9, v3
	s_cbranch_vccnz .LBB456_726
; %bb.721:
	v_cmp_lt_i16_e32 vcc_lo, 9, v3
	s_cbranch_vccz .LBB456_723
; %bb.722:
	v_bfe_i32 v4, v2, 0, 16
	v_mov_b32_e32 v6, 0
	s_mov_b32 s21, 0
	s_delay_alu instid0(VALU_DEP_2) | instskip(NEXT) | instid1(VALU_DEP_2)
	v_cvt_f64_i32_e32 v[4:5], v4
	v_mov_b32_e32 v7, v6
	global_store_b128 v[0:1], v[4:7], off
.LBB456_723:
	s_and_not1_b32 vcc_lo, exec_lo, s21
	s_cbranch_vccnz .LBB456_725
; %bb.724:
	v_bfe_i32 v4, v2, 0, 16
	v_mov_b32_e32 v5, 0
	s_delay_alu instid0(VALU_DEP_2)
	v_cvt_f32_i32_e32 v4, v4
	global_store_b64 v[0:1], v[4:5], off
.LBB456_725:
	s_mov_b32 s21, 0
.LBB456_726:
	s_delay_alu instid0(SALU_CYCLE_1)
	s_and_not1_b32 vcc_lo, exec_lo, s21
	s_cbranch_vccnz .LBB456_728
; %bb.727:
	v_cvt_f16_i16_e32 v4, v2
	s_delay_alu instid0(VALU_DEP_1)
	v_and_b32_e32 v4, 0xffff, v4
	global_store_b32 v[0:1], v4, off
.LBB456_728:
	s_mov_b32 s21, 0
.LBB456_729:
	s_delay_alu instid0(SALU_CYCLE_1)
	s_and_not1_b32 vcc_lo, exec_lo, s21
	s_cbranch_vccnz .LBB456_738
; %bb.730:
	v_cmp_gt_i16_e32 vcc_lo, 6, v3
	s_mov_b32 s21, -1
	s_cbranch_vccnz .LBB456_736
; %bb.731:
	v_cmp_lt_i16_e32 vcc_lo, 6, v3
	s_cbranch_vccz .LBB456_733
; %bb.732:
	v_bfe_i32 v4, v2, 0, 16
	s_mov_b32 s21, 0
	s_delay_alu instid0(VALU_DEP_1)
	v_cvt_f64_i32_e32 v[4:5], v4
	global_store_b64 v[0:1], v[4:5], off
.LBB456_733:
	s_and_not1_b32 vcc_lo, exec_lo, s21
	s_cbranch_vccnz .LBB456_735
; %bb.734:
	v_bfe_i32 v4, v2, 0, 16
	s_delay_alu instid0(VALU_DEP_1)
	v_cvt_f32_i32_e32 v4, v4
	global_store_b32 v[0:1], v4, off
.LBB456_735:
	s_mov_b32 s21, 0
.LBB456_736:
	s_delay_alu instid0(SALU_CYCLE_1)
	s_and_not1_b32 vcc_lo, exec_lo, s21
	s_cbranch_vccnz .LBB456_738
; %bb.737:
	v_cvt_f16_i16_e32 v4, v2
	global_store_b16 v[0:1], v4, off
.LBB456_738:
	s_mov_b32 s21, 0
.LBB456_739:
	s_delay_alu instid0(SALU_CYCLE_1)
	s_and_not1_b32 vcc_lo, exec_lo, s21
	s_cbranch_vccnz .LBB456_755
; %bb.740:
	v_cmp_gt_i16_e32 vcc_lo, 2, v3
	s_mov_b32 s21, -1
	s_cbranch_vccnz .LBB456_750
; %bb.741:
	v_cmp_gt_i16_e32 vcc_lo, 3, v3
	s_cbranch_vccnz .LBB456_747
; %bb.742:
	v_cmp_lt_i16_e32 vcc_lo, 3, v3
	s_cbranch_vccz .LBB456_744
; %bb.743:
	v_bfe_i32 v4, v2, 0, 16
	s_mov_b32 s21, 0
	s_delay_alu instid0(VALU_DEP_1)
	v_ashrrev_i32_e32 v5, 31, v4
	global_store_b64 v[0:1], v[4:5], off
.LBB456_744:
	s_and_not1_b32 vcc_lo, exec_lo, s21
	s_cbranch_vccnz .LBB456_746
; %bb.745:
	v_bfe_i32 v4, v2, 0, 16
	global_store_b32 v[0:1], v4, off
.LBB456_746:
	s_mov_b32 s21, 0
.LBB456_747:
	s_delay_alu instid0(SALU_CYCLE_1)
	s_and_not1_b32 vcc_lo, exec_lo, s21
	s_cbranch_vccnz .LBB456_749
; %bb.748:
	global_store_b16 v[0:1], v2, off
.LBB456_749:
	s_mov_b32 s21, 0
.LBB456_750:
	s_delay_alu instid0(SALU_CYCLE_1)
	s_and_not1_b32 vcc_lo, exec_lo, s21
	s_cbranch_vccnz .LBB456_755
; %bb.751:
	v_cmp_lt_i16_e32 vcc_lo, 0, v3
	s_mov_b32 s21, -1
	s_cbranch_vccz .LBB456_753
; %bb.752:
	s_mov_b32 s21, 0
	global_store_b8 v[0:1], v2, off
.LBB456_753:
	s_and_not1_b32 vcc_lo, exec_lo, s21
	s_cbranch_vccnz .LBB456_755
; %bb.754:
	global_store_b8 v[0:1], v2, off
.LBB456_755:
	s_mov_b32 s21, -1
.LBB456_756:
	s_delay_alu instid0(SALU_CYCLE_1)
	s_and_not1_b32 vcc_lo, exec_lo, s21
	s_cbranch_vccnz .LBB456_758
; %bb.757:
	v_add_nc_u32_e32 v9, 0x80, v9
	s_mov_b32 s21, -1
	s_branch .LBB456_760
.LBB456_758:
	s_mov_b32 s21, 0
.LBB456_759:
                                        ; implicit-def: $vgpr9
.LBB456_760:
	s_and_not1_b32 s22, s17, exec_lo
	s_and_b32 s0, s0, exec_lo
	s_and_not1_b32 s23, s16, exec_lo
	s_and_b32 s24, s20, exec_lo
	s_or_b32 s20, s22, s0
	s_or_b32 s0, s23, s24
	s_or_not1_b32 s21, s21, exec_lo
.LBB456_761:
	s_or_b32 exec_lo, exec_lo, s19
	s_mov_b32 s22, 0
	s_mov_b32 s23, 0
	;; [unrolled: 1-line block ×3, first 2 shown]
                                        ; implicit-def: $vgpr0_vgpr1
                                        ; implicit-def: $vgpr2
	s_and_saveexec_b32 s19, s21
	s_cbranch_execz .LBB456_842
; %bb.762:
	v_cmp_gt_i32_e32 vcc_lo, s13, v9
	s_mov_b32 s21, 0
	s_mov_b32 s22, s0
                                        ; implicit-def: $vgpr0_vgpr1
                                        ; implicit-def: $vgpr2
	s_and_saveexec_b32 s13, vcc_lo
	s_cbranch_execz .LBB456_841
; %bb.763:
	v_mul_lo_u32 v0, v9, s3
	v_cmp_lt_i16_e64 s21, s9, 11
	s_delay_alu instid0(VALU_DEP_2) | instskip(SKIP_1) | instid1(VALU_DEP_2)
	v_ashrrev_i32_e32 v1, 31, v0
	v_add_co_u32 v0, vcc_lo, s6, v0
	v_add_co_ci_u32_e32 v1, vcc_lo, s7, v1, vcc_lo
	s_delay_alu instid0(VALU_DEP_4)
	s_and_b32 vcc_lo, exec_lo, s21
	s_cbranch_vccnz .LBB456_770
; %bb.764:
	v_cmp_gt_i16_e64 s21, s9, 25
	s_mov_b32 s22, 0
	s_delay_alu instid0(VALU_DEP_1)
	s_and_b32 vcc_lo, exec_lo, s21
	s_cbranch_vccz .LBB456_771
; %bb.765:
	v_cmp_gt_i16_e64 s21, s9, 28
	s_delay_alu instid0(VALU_DEP_1)
	s_and_b32 vcc_lo, exec_lo, s21
	s_cbranch_vccz .LBB456_772
; %bb.766:
	v_cmp_gt_i16_e64 s21, s9, 43
	;; [unrolled: 5-line block ×3, first 2 shown]
	s_delay_alu instid0(VALU_DEP_1)
	s_and_b32 vcc_lo, exec_lo, s21
	s_cbranch_vccz .LBB456_776
; %bb.768:
	v_cmp_eq_u16_e64 s21, s9, 46
	s_delay_alu instid0(VALU_DEP_1)
	s_and_b32 vcc_lo, exec_lo, s21
	s_cbranch_vccz .LBB456_779
; %bb.769:
	global_load_b32 v2, v[0:1], off
	s_mov_b32 s21, 0
	s_mov_b32 s23, -1
	s_waitcnt vmcnt(0)
	v_lshlrev_b32_e32 v2, 16, v2
	s_delay_alu instid0(VALU_DEP_1)
	v_cvt_i32_f32_e32 v2, v2
	s_branch .LBB456_781
.LBB456_770:
	s_mov_b32 s25, -1
	s_mov_b32 s22, 0
	s_mov_b32 s21, s0
                                        ; implicit-def: $vgpr2
	s_branch .LBB456_840
.LBB456_771:
	s_mov_b32 s24, -1
	s_mov_b32 s21, s0
                                        ; implicit-def: $vgpr2
	s_branch .LBB456_808
.LBB456_772:
	s_mov_b32 s24, -1
	s_mov_b32 s21, s0
                                        ; implicit-def: $vgpr2
	s_branch .LBB456_791
.LBB456_773:
	s_mov_b32 s24, -1
	s_mov_b32 s21, s0
                                        ; implicit-def: $vgpr2
	s_branch .LBB456_786
.LBB456_774:
	s_or_saveexec_b32 s23, s23
                                        ; implicit-def: $sgpr24
	s_delay_alu instid0(SALU_CYCLE_1)
	s_xor_b32 exec_lo, exec_lo, s23
	s_cbranch_execz .LBB456_669
.LBB456_775:
	v_add_f32_e64 v5, 0x46000000, |v4|
	s_and_not1_b32 s22, s22, exec_lo
	s_mov_b32 s24, 0
	s_delay_alu instid0(VALU_DEP_1) | instskip(NEXT) | instid1(VALU_DEP_1)
	v_and_b32_e32 v5, 0xff, v5
	v_cmp_ne_u32_e32 vcc_lo, 0, v5
	s_and_b32 s25, vcc_lo, exec_lo
	s_delay_alu instid0(SALU_CYCLE_1)
	s_or_b32 s22, s22, s25
	s_or_b32 exec_lo, exec_lo, s23
	v_mov_b32_e32 v6, s24
	s_and_saveexec_b32 s23, s22
	s_cbranch_execnz .LBB456_670
	s_branch .LBB456_671
.LBB456_776:
	s_mov_b32 s24, -1
	s_mov_b32 s21, s0
	s_branch .LBB456_780
.LBB456_777:
	s_or_saveexec_b32 s23, s23
                                        ; implicit-def: $sgpr24
	s_delay_alu instid0(SALU_CYCLE_1)
	s_xor_b32 exec_lo, exec_lo, s23
	s_cbranch_execz .LBB456_682
.LBB456_778:
	v_add_f32_e64 v5, 0x42800000, |v4|
	s_and_not1_b32 s22, s22, exec_lo
	s_mov_b32 s24, 0
	s_delay_alu instid0(VALU_DEP_1) | instskip(NEXT) | instid1(VALU_DEP_1)
	v_and_b32_e32 v5, 0xff, v5
	v_cmp_ne_u32_e32 vcc_lo, 0, v5
	s_and_b32 s25, vcc_lo, exec_lo
	s_delay_alu instid0(SALU_CYCLE_1)
	s_or_b32 s22, s22, s25
	s_or_b32 exec_lo, exec_lo, s23
	v_mov_b32_e32 v6, s24
	s_and_saveexec_b32 s23, s22
	s_cbranch_execnz .LBB456_683
	s_branch .LBB456_684
.LBB456_779:
	s_mov_b32 s21, -1
.LBB456_780:
                                        ; implicit-def: $vgpr2
.LBB456_781:
	s_and_b32 vcc_lo, exec_lo, s24
	s_cbranch_vccz .LBB456_785
; %bb.782:
	v_cmp_eq_u16_e64 s21, s9, 44
	s_delay_alu instid0(VALU_DEP_1)
	s_and_b32 vcc_lo, exec_lo, s21
	s_cbranch_vccz .LBB456_784
; %bb.783:
	global_load_u8 v2, v[0:1], off
	s_mov_b32 s21, 0
	s_mov_b32 s23, -1
	s_waitcnt vmcnt(0)
	v_lshlrev_b32_e32 v3, 23, v2
	v_cmp_ne_u32_e32 vcc_lo, 0, v2
	s_delay_alu instid0(VALU_DEP_2) | instskip(NEXT) | instid1(VALU_DEP_1)
	v_cvt_i32_f32_e32 v3, v3
	v_cndmask_b32_e32 v2, 0, v3, vcc_lo
	s_branch .LBB456_785
.LBB456_784:
	s_mov_b32 s21, -1
                                        ; implicit-def: $vgpr2
.LBB456_785:
	s_mov_b32 s24, 0
.LBB456_786:
	s_delay_alu instid0(SALU_CYCLE_1)
	s_and_b32 vcc_lo, exec_lo, s24
	s_cbranch_vccz .LBB456_790
; %bb.787:
	v_cmp_eq_u16_e64 s21, s9, 29
	s_delay_alu instid0(VALU_DEP_1)
	s_and_b32 vcc_lo, exec_lo, s21
	s_cbranch_vccz .LBB456_789
; %bb.788:
	global_load_b64 v[2:3], v[0:1], off
	s_mov_b32 s21, 0
	s_mov_b32 s23, -1
	s_branch .LBB456_790
.LBB456_789:
	s_mov_b32 s21, -1
                                        ; implicit-def: $vgpr2
.LBB456_790:
	s_mov_b32 s24, 0
.LBB456_791:
	s_delay_alu instid0(SALU_CYCLE_1)
	s_and_b32 vcc_lo, exec_lo, s24
	s_cbranch_vccz .LBB456_807
; %bb.792:
	v_cmp_lt_i16_e64 s23, s9, 27
	s_delay_alu instid0(VALU_DEP_1)
	s_and_b32 vcc_lo, exec_lo, s23
	s_cbranch_vccnz .LBB456_795
; %bb.793:
	v_cmp_gt_i16_e64 s23, s9, 27
	s_delay_alu instid0(VALU_DEP_1)
	s_and_b32 vcc_lo, exec_lo, s23
	s_cbranch_vccz .LBB456_796
; %bb.794:
	global_load_b32 v2, v[0:1], off
	s_mov_b32 s23, 0
	s_branch .LBB456_797
.LBB456_795:
	s_mov_b32 s23, -1
                                        ; implicit-def: $vgpr2
	s_branch .LBB456_800
.LBB456_796:
	s_mov_b32 s23, -1
                                        ; implicit-def: $vgpr2
.LBB456_797:
	s_delay_alu instid0(SALU_CYCLE_1)
	s_and_not1_b32 vcc_lo, exec_lo, s23
	s_cbranch_vccnz .LBB456_799
; %bb.798:
	global_load_u16 v2, v[0:1], off
.LBB456_799:
	s_mov_b32 s23, 0
.LBB456_800:
	s_delay_alu instid0(SALU_CYCLE_1)
	s_and_not1_b32 vcc_lo, exec_lo, s23
	s_cbranch_vccnz .LBB456_806
; %bb.801:
	global_load_u8 v3, v[0:1], off
	s_mov_b32 s23, 0
	s_mov_b32 s24, exec_lo
                                        ; implicit-def: $sgpr25
	s_waitcnt vmcnt(0)
	v_cmpx_lt_i16_e32 0x7f, v3
	s_xor_b32 s24, exec_lo, s24
	s_cbranch_execz .LBB456_818
; %bb.802:
	v_cmp_ne_u16_e32 vcc_lo, 0x80, v3
	s_mov_b32 s25, 0
	s_and_b32 s23, vcc_lo, exec_lo
	s_or_saveexec_b32 s24, s24
	v_mov_b32_e32 v2, s25
	s_xor_b32 exec_lo, exec_lo, s24
	s_cbranch_execnz .LBB456_819
.LBB456_803:
	s_or_b32 exec_lo, exec_lo, s24
	s_and_saveexec_b32 s24, s23
	s_cbranch_execz .LBB456_805
.LBB456_804:
	v_and_b32_e32 v2, 0xffff, v3
	s_delay_alu instid0(VALU_DEP_1) | instskip(NEXT) | instid1(VALU_DEP_1)
	v_and_b32_e32 v4, 7, v2
	v_clz_i32_u32_e32 v5, v4
	s_delay_alu instid0(VALU_DEP_1) | instskip(NEXT) | instid1(VALU_DEP_1)
	v_min_u32_e32 v5, 32, v5
	v_subrev_nc_u32_e32 v6, 28, v5
	v_sub_nc_u32_e32 v5, 29, v5
	s_delay_alu instid0(VALU_DEP_2) | instskip(SKIP_1) | instid1(VALU_DEP_2)
	v_lshlrev_b32_e32 v6, v6, v2
	v_bfe_u32 v2, v2, 3, 4
	v_and_b32_e32 v6, 7, v6
	s_delay_alu instid0(VALU_DEP_2) | instskip(SKIP_1) | instid1(VALU_DEP_1)
	v_cmp_eq_u32_e32 vcc_lo, 0, v2
	v_dual_cndmask_b32 v2, v2, v5 :: v_dual_lshlrev_b32 v3, 24, v3
	v_dual_cndmask_b32 v4, v4, v6 :: v_dual_and_b32 v3, 0x80000000, v3
	s_delay_alu instid0(VALU_DEP_2) | instskip(NEXT) | instid1(VALU_DEP_2)
	v_lshl_add_u32 v2, v2, 23, 0x3b800000
	v_lshlrev_b32_e32 v4, 20, v4
	s_delay_alu instid0(VALU_DEP_1) | instskip(NEXT) | instid1(VALU_DEP_1)
	v_or3_b32 v2, v3, v2, v4
	v_cvt_i32_f32_e32 v2, v2
.LBB456_805:
	s_or_b32 exec_lo, exec_lo, s24
.LBB456_806:
	s_mov_b32 s23, -1
.LBB456_807:
	s_mov_b32 s24, 0
.LBB456_808:
	s_delay_alu instid0(SALU_CYCLE_1)
	s_and_b32 vcc_lo, exec_lo, s24
	s_cbranch_vccz .LBB456_839
; %bb.809:
	v_cmp_gt_i16_e64 s22, s9, 22
	s_delay_alu instid0(VALU_DEP_1)
	s_and_b32 vcc_lo, exec_lo, s22
	s_cbranch_vccz .LBB456_817
; %bb.810:
	v_cmp_lt_i16_e64 s22, s9, 24
	s_delay_alu instid0(VALU_DEP_1)
	s_and_b32 vcc_lo, exec_lo, s22
	s_cbranch_vccnz .LBB456_820
; %bb.811:
	v_cmp_gt_i16_e64 s22, s9, 24
	s_delay_alu instid0(VALU_DEP_1)
	s_and_b32 vcc_lo, exec_lo, s22
	s_cbranch_vccz .LBB456_821
; %bb.812:
	global_load_u8 v3, v[0:1], off
	s_mov_b32 s22, 0
	s_mov_b32 s23, exec_lo
                                        ; implicit-def: $sgpr24
	s_waitcnt vmcnt(0)
	v_cmpx_lt_i16_e32 0x7f, v3
	s_xor_b32 s23, exec_lo, s23
	s_cbranch_execz .LBB456_833
; %bb.813:
	v_cmp_ne_u16_e32 vcc_lo, 0x80, v3
	s_mov_b32 s24, 0
	s_and_b32 s22, vcc_lo, exec_lo
	s_or_saveexec_b32 s23, s23
	v_mov_b32_e32 v2, s24
	s_xor_b32 exec_lo, exec_lo, s23
	s_cbranch_execnz .LBB456_834
.LBB456_814:
	s_or_b32 exec_lo, exec_lo, s23
	s_and_saveexec_b32 s23, s22
	s_cbranch_execz .LBB456_816
.LBB456_815:
	v_and_b32_e32 v2, 0xffff, v3
	s_delay_alu instid0(VALU_DEP_1) | instskip(NEXT) | instid1(VALU_DEP_1)
	v_and_b32_e32 v4, 3, v2
	v_clz_i32_u32_e32 v5, v4
	s_delay_alu instid0(VALU_DEP_1) | instskip(NEXT) | instid1(VALU_DEP_1)
	v_min_u32_e32 v5, 32, v5
	v_subrev_nc_u32_e32 v6, 29, v5
	v_sub_nc_u32_e32 v5, 30, v5
	s_delay_alu instid0(VALU_DEP_2) | instskip(SKIP_1) | instid1(VALU_DEP_2)
	v_lshlrev_b32_e32 v6, v6, v2
	v_bfe_u32 v2, v2, 2, 5
	v_and_b32_e32 v6, 3, v6
	s_delay_alu instid0(VALU_DEP_2) | instskip(SKIP_1) | instid1(VALU_DEP_1)
	v_cmp_eq_u32_e32 vcc_lo, 0, v2
	v_dual_cndmask_b32 v2, v2, v5 :: v_dual_lshlrev_b32 v3, 24, v3
	v_dual_cndmask_b32 v4, v4, v6 :: v_dual_and_b32 v3, 0x80000000, v3
	s_delay_alu instid0(VALU_DEP_2) | instskip(NEXT) | instid1(VALU_DEP_2)
	v_lshl_add_u32 v2, v2, 23, 0x37800000
	v_lshlrev_b32_e32 v4, 21, v4
	s_delay_alu instid0(VALU_DEP_1) | instskip(NEXT) | instid1(VALU_DEP_1)
	v_or3_b32 v2, v3, v2, v4
	v_cvt_i32_f32_e32 v2, v2
.LBB456_816:
	s_or_b32 exec_lo, exec_lo, s23
	s_mov_b32 s22, 0
	s_branch .LBB456_822
.LBB456_817:
	s_mov_b32 s22, -1
                                        ; implicit-def: $vgpr2
	s_branch .LBB456_828
.LBB456_818:
	s_or_saveexec_b32 s24, s24
	v_mov_b32_e32 v2, s25
	s_xor_b32 exec_lo, exec_lo, s24
	s_cbranch_execz .LBB456_803
.LBB456_819:
	v_cmp_ne_u16_e32 vcc_lo, 0, v3
	v_mov_b32_e32 v2, 0
	s_and_not1_b32 s23, s23, exec_lo
	s_and_b32 s25, vcc_lo, exec_lo
	s_delay_alu instid0(SALU_CYCLE_1)
	s_or_b32 s23, s23, s25
	s_or_b32 exec_lo, exec_lo, s24
	s_and_saveexec_b32 s24, s23
	s_cbranch_execnz .LBB456_804
	s_branch .LBB456_805
.LBB456_820:
	s_mov_b32 s22, -1
                                        ; implicit-def: $vgpr2
	s_branch .LBB456_825
.LBB456_821:
	s_mov_b32 s22, -1
                                        ; implicit-def: $vgpr2
.LBB456_822:
	s_delay_alu instid0(SALU_CYCLE_1)
	s_and_b32 vcc_lo, exec_lo, s22
	s_cbranch_vccz .LBB456_824
; %bb.823:
	global_load_u8 v2, v[0:1], off
	s_waitcnt vmcnt(0)
	v_lshlrev_b32_e32 v2, 24, v2
	s_delay_alu instid0(VALU_DEP_1) | instskip(NEXT) | instid1(VALU_DEP_1)
	v_and_b32_e32 v3, 0x7f000000, v2
	v_clz_i32_u32_e32 v4, v3
	v_add_nc_u32_e32 v6, 0x1000000, v3
	v_cmp_ne_u32_e32 vcc_lo, 0, v3
	s_delay_alu instid0(VALU_DEP_3) | instskip(NEXT) | instid1(VALU_DEP_1)
	v_min_u32_e32 v4, 32, v4
	v_sub_nc_u32_e64 v4, v4, 4 clamp
	s_delay_alu instid0(VALU_DEP_1) | instskip(SKIP_1) | instid1(VALU_DEP_2)
	v_lshlrev_b32_e32 v5, v4, v3
	v_lshlrev_b32_e32 v4, 23, v4
	v_lshrrev_b32_e32 v5, 4, v5
	s_delay_alu instid0(VALU_DEP_1) | instskip(SKIP_1) | instid1(VALU_DEP_2)
	v_sub_nc_u32_e32 v4, v5, v4
	v_ashrrev_i32_e32 v5, 8, v6
	v_add_nc_u32_e32 v4, 0x3c000000, v4
	s_delay_alu instid0(VALU_DEP_1) | instskip(NEXT) | instid1(VALU_DEP_1)
	v_and_or_b32 v4, 0x7f800000, v5, v4
	v_cndmask_b32_e32 v3, 0, v4, vcc_lo
	s_delay_alu instid0(VALU_DEP_1) | instskip(NEXT) | instid1(VALU_DEP_1)
	v_and_or_b32 v2, 0x80000000, v2, v3
	v_cvt_i32_f32_e32 v2, v2
.LBB456_824:
	s_mov_b32 s22, 0
.LBB456_825:
	s_delay_alu instid0(SALU_CYCLE_1)
	s_and_not1_b32 vcc_lo, exec_lo, s22
	s_cbranch_vccnz .LBB456_827
; %bb.826:
	global_load_u8 v2, v[0:1], off
	s_waitcnt vmcnt(0)
	v_lshlrev_b32_e32 v3, 25, v2
	v_lshlrev_b16 v2, 8, v2
	s_delay_alu instid0(VALU_DEP_2) | instskip(NEXT) | instid1(VALU_DEP_2)
	v_lshrrev_b32_e32 v4, 4, v3
	v_and_or_b32 v5, 0x7f00, v2, 0.5
	v_bfe_i32 v2, v2, 0, 16
	s_delay_alu instid0(VALU_DEP_3) | instskip(NEXT) | instid1(VALU_DEP_1)
	v_or_b32_e32 v4, 0x70000000, v4
	v_dual_add_f32 v5, -0.5, v5 :: v_dual_mul_f32 v4, 0x7800000, v4
	v_cmp_gt_u32_e32 vcc_lo, 0x8000000, v3
	s_delay_alu instid0(VALU_DEP_2) | instskip(NEXT) | instid1(VALU_DEP_1)
	v_cndmask_b32_e32 v3, v4, v5, vcc_lo
	v_and_or_b32 v2, 0x80000000, v2, v3
	s_delay_alu instid0(VALU_DEP_1)
	v_cvt_i32_f32_e32 v2, v2
.LBB456_827:
	s_mov_b32 s22, 0
	s_mov_b32 s23, -1
.LBB456_828:
	s_and_not1_b32 vcc_lo, exec_lo, s22
	s_mov_b32 s22, 0
	s_cbranch_vccnz .LBB456_839
; %bb.829:
	v_cmp_gt_i16_e64 s22, s9, 14
	s_delay_alu instid0(VALU_DEP_1)
	s_and_b32 vcc_lo, exec_lo, s22
	s_cbranch_vccz .LBB456_832
; %bb.830:
	v_cmp_eq_u16_e64 s21, s9, 15
	s_delay_alu instid0(VALU_DEP_1)
	s_and_b32 vcc_lo, exec_lo, s21
	s_cbranch_vccz .LBB456_835
; %bb.831:
	global_load_u16 v2, v[0:1], off
	s_mov_b32 s21, 0
	s_mov_b32 s23, -1
	s_waitcnt vmcnt(0)
	v_lshlrev_b32_e32 v2, 16, v2
	s_delay_alu instid0(VALU_DEP_1)
	v_cvt_i32_f32_e32 v2, v2
	s_branch .LBB456_836
.LBB456_832:
	s_mov_b32 s22, -1
                                        ; implicit-def: $vgpr2
	s_branch .LBB456_837
.LBB456_833:
	s_or_saveexec_b32 s23, s23
	v_mov_b32_e32 v2, s24
	s_xor_b32 exec_lo, exec_lo, s23
	s_cbranch_execz .LBB456_814
.LBB456_834:
	v_cmp_ne_u16_e32 vcc_lo, 0, v3
	v_mov_b32_e32 v2, 0
	s_and_not1_b32 s22, s22, exec_lo
	s_and_b32 s24, vcc_lo, exec_lo
	s_delay_alu instid0(SALU_CYCLE_1)
	s_or_b32 s22, s22, s24
	s_or_b32 exec_lo, exec_lo, s23
	s_and_saveexec_b32 s23, s22
	s_cbranch_execnz .LBB456_815
	s_branch .LBB456_816
.LBB456_835:
	s_mov_b32 s21, -1
                                        ; implicit-def: $vgpr2
.LBB456_836:
	s_mov_b32 s22, 0
.LBB456_837:
	s_delay_alu instid0(SALU_CYCLE_1)
	s_and_b32 vcc_lo, exec_lo, s22
	s_mov_b32 s22, 0
	s_cbranch_vccz .LBB456_839
; %bb.838:
	v_cmp_ne_u16_e64 s22, s9, 11
	s_and_not1_b32 s21, s21, exec_lo
                                        ; implicit-def: $vgpr2
	s_delay_alu instid0(VALU_DEP_1)
	s_and_b32 s24, s22, exec_lo
	s_mov_b32 s22, -1
	s_or_b32 s21, s21, s24
.LBB456_839:
	s_mov_b32 s25, 0
.LBB456_840:
	s_and_b32 s24, s23, exec_lo
	s_and_b32 s23, s25, exec_lo
	s_and_not1_b32 s25, s0, exec_lo
	s_and_b32 s26, s21, exec_lo
	s_and_b32 s21, s22, exec_lo
	s_or_b32 s22, s25, s26
.LBB456_841:
	s_or_b32 exec_lo, exec_lo, s13
	s_delay_alu instid0(SALU_CYCLE_1)
	s_and_not1_b32 s0, s0, exec_lo
	s_and_b32 s13, s22, exec_lo
	s_and_b32 s24, s24, exec_lo
	;; [unrolled: 1-line block ×4, first 2 shown]
	s_or_b32 s0, s0, s13
.LBB456_842:
	s_or_b32 exec_lo, exec_lo, s19
	s_delay_alu instid0(SALU_CYCLE_1)
	s_and_not1_b32 s13, s17, exec_lo
	s_and_b32 s17, s20, exec_lo
	s_and_b32 s0, s0, exec_lo
	s_or_b32 s17, s13, s17
	s_and_not1_b32 s13, s16, exec_lo
	s_and_b32 s21, s24, exec_lo
	s_and_b32 s20, s23, exec_lo
	;; [unrolled: 1-line block ×3, first 2 shown]
	s_or_b32 s16, s13, s0
.LBB456_843:
	s_or_b32 exec_lo, exec_lo, s18
	s_delay_alu instid0(SALU_CYCLE_1)
	s_and_not1_b32 s0, s12, exec_lo
	s_and_b32 s12, s17, exec_lo
	s_and_not1_b32 s13, s14, exec_lo
	s_and_b32 s14, s16, exec_lo
	s_or_b32 s12, s0, s12
	s_and_b32 s0, s21, exec_lo
	s_and_b32 s17, s20, exec_lo
	s_and_b32 s16, s19, exec_lo
	s_or_b32 s14, s13, s14
.LBB456_844:
	s_or_b32 exec_lo, exec_lo, s15
	s_mov_b32 s13, 0
	s_and_saveexec_b32 s15, s14
	s_cbranch_execnz .LBB456_856
; %bb.845:
	s_or_b32 exec_lo, exec_lo, s15
	s_and_saveexec_b32 s14, s16
	s_delay_alu instid0(SALU_CYCLE_1)
	s_xor_b32 s14, exec_lo, s14
	s_cbranch_execz .LBB456_847
.LBB456_846:
	global_load_u8 v2, v[0:1], off
	s_or_b32 s0, s0, exec_lo
	s_waitcnt vmcnt(0)
	v_cmp_ne_u16_e32 vcc_lo, 0, v2
	v_cndmask_b32_e64 v2, 0, 1, vcc_lo
.LBB456_847:
	s_or_b32 exec_lo, exec_lo, s14
	s_and_saveexec_b32 s14, s17
	s_cbranch_execz .LBB456_895
; %bb.848:
	v_cmp_lt_i16_e64 s15, s9, 5
	s_delay_alu instid0(VALU_DEP_1)
	s_and_b32 vcc_lo, exec_lo, s15
	s_cbranch_vccnz .LBB456_853
; %bb.849:
	v_cmp_lt_i16_e64 s15, s9, 8
	s_delay_alu instid0(VALU_DEP_1)
	s_and_b32 vcc_lo, exec_lo, s15
	s_cbranch_vccnz .LBB456_854
; %bb.850:
	v_cmp_lt_i16_e64 s15, s9, 9
	s_delay_alu instid0(VALU_DEP_1)
	s_and_b32 vcc_lo, exec_lo, s15
	s_cbranch_vccnz .LBB456_855
; %bb.851:
	v_cmp_gt_i16_e64 s15, s9, 9
	s_delay_alu instid0(VALU_DEP_1)
	s_and_b32 vcc_lo, exec_lo, s15
	s_cbranch_vccz .LBB456_858
; %bb.852:
	global_load_b64 v[2:3], v[0:1], off
	s_mov_b32 s15, 0
	s_waitcnt vmcnt(0)
	v_cvt_i32_f64_e32 v2, v[2:3]
	s_branch .LBB456_859
.LBB456_853:
                                        ; implicit-def: $vgpr2
	s_branch .LBB456_876
.LBB456_854:
                                        ; implicit-def: $vgpr2
	s_branch .LBB456_865
.LBB456_855:
	s_mov_b32 s15, -1
                                        ; implicit-def: $vgpr2
	s_branch .LBB456_862
.LBB456_856:
	s_cbranch_execnz .LBB456_904
; %bb.857:
	s_mov_b32 s13, exec_lo
	s_and_not1_b32 s16, s16, exec_lo
                                        ; implicit-def: $vgpr2
	s_or_b32 exec_lo, exec_lo, s15
	s_and_saveexec_b32 s14, s16
	s_delay_alu instid0(SALU_CYCLE_1)
	s_xor_b32 s14, exec_lo, s14
	s_cbranch_execnz .LBB456_846
	s_branch .LBB456_847
.LBB456_858:
	s_mov_b32 s15, -1
                                        ; implicit-def: $vgpr2
.LBB456_859:
	s_delay_alu instid0(SALU_CYCLE_1)
	s_and_not1_b32 vcc_lo, exec_lo, s15
	s_cbranch_vccnz .LBB456_861
; %bb.860:
	global_load_b32 v2, v[0:1], off
	s_waitcnt vmcnt(0)
	v_cvt_i32_f32_e32 v2, v2
.LBB456_861:
	s_mov_b32 s15, 0
.LBB456_862:
	s_delay_alu instid0(SALU_CYCLE_1)
	s_and_not1_b32 vcc_lo, exec_lo, s15
	s_cbranch_vccnz .LBB456_864
; %bb.863:
	global_load_b32 v2, v[0:1], off
	s_waitcnt vmcnt(0)
	v_cvt_i16_f16_e32 v2, v2
.LBB456_864:
	s_cbranch_execnz .LBB456_875
.LBB456_865:
	v_cmp_lt_i16_e64 s15, s9, 6
	s_delay_alu instid0(VALU_DEP_1)
	s_and_b32 vcc_lo, exec_lo, s15
	s_cbranch_vccnz .LBB456_868
; %bb.866:
	v_cmp_gt_i16_e64 s15, s9, 6
	s_delay_alu instid0(VALU_DEP_1)
	s_and_b32 vcc_lo, exec_lo, s15
	s_cbranch_vccz .LBB456_869
; %bb.867:
	global_load_b64 v[2:3], v[0:1], off
	s_mov_b32 s15, 0
	s_waitcnt vmcnt(0)
	v_cvt_i32_f64_e32 v2, v[2:3]
	s_branch .LBB456_870
.LBB456_868:
	s_mov_b32 s15, -1
                                        ; implicit-def: $vgpr2
	s_branch .LBB456_873
.LBB456_869:
	s_mov_b32 s15, -1
                                        ; implicit-def: $vgpr2
.LBB456_870:
	s_delay_alu instid0(SALU_CYCLE_1)
	s_and_not1_b32 vcc_lo, exec_lo, s15
	s_cbranch_vccnz .LBB456_872
; %bb.871:
	global_load_b32 v2, v[0:1], off
	s_waitcnt vmcnt(0)
	v_cvt_i32_f32_e32 v2, v2
.LBB456_872:
	s_mov_b32 s15, 0
.LBB456_873:
	s_delay_alu instid0(SALU_CYCLE_1)
	s_and_not1_b32 vcc_lo, exec_lo, s15
	s_cbranch_vccnz .LBB456_875
; %bb.874:
	global_load_u16 v2, v[0:1], off
	s_waitcnt vmcnt(0)
	v_cvt_i16_f16_e32 v2, v2
.LBB456_875:
	s_cbranch_execnz .LBB456_894
.LBB456_876:
	v_cmp_lt_i16_e64 s15, s9, 2
	s_delay_alu instid0(VALU_DEP_1)
	s_and_b32 vcc_lo, exec_lo, s15
	s_cbranch_vccnz .LBB456_880
; %bb.877:
	v_cmp_lt_i16_e64 s15, s9, 3
	s_delay_alu instid0(VALU_DEP_1)
	s_and_b32 vcc_lo, exec_lo, s15
	s_cbranch_vccnz .LBB456_881
; %bb.878:
	v_cmp_gt_i16_e64 s15, s9, 3
	s_delay_alu instid0(VALU_DEP_1)
	s_and_b32 vcc_lo, exec_lo, s15
	s_cbranch_vccz .LBB456_882
; %bb.879:
	global_load_b64 v[2:3], v[0:1], off
	s_mov_b32 s15, 0
	s_branch .LBB456_883
.LBB456_880:
                                        ; implicit-def: $vgpr2
	s_branch .LBB456_889
.LBB456_881:
	s_mov_b32 s15, -1
                                        ; implicit-def: $vgpr2
	s_branch .LBB456_886
.LBB456_882:
	s_mov_b32 s15, -1
                                        ; implicit-def: $vgpr2
.LBB456_883:
	s_delay_alu instid0(SALU_CYCLE_1)
	s_and_not1_b32 vcc_lo, exec_lo, s15
	s_cbranch_vccnz .LBB456_885
; %bb.884:
	global_load_b32 v2, v[0:1], off
.LBB456_885:
	s_mov_b32 s15, 0
.LBB456_886:
	s_delay_alu instid0(SALU_CYCLE_1)
	s_and_not1_b32 vcc_lo, exec_lo, s15
	s_cbranch_vccnz .LBB456_888
; %bb.887:
	global_load_u16 v2, v[0:1], off
.LBB456_888:
	s_cbranch_execnz .LBB456_894
.LBB456_889:
	v_cmp_gt_i16_e64 s15, s9, 0
	s_delay_alu instid0(VALU_DEP_1)
	s_and_b32 vcc_lo, exec_lo, s15
	s_mov_b32 s15, 0
	s_cbranch_vccz .LBB456_891
; %bb.890:
	global_load_i8 v2, v[0:1], off
	s_branch .LBB456_892
.LBB456_891:
	s_mov_b32 s15, -1
                                        ; implicit-def: $vgpr2
.LBB456_892:
	s_delay_alu instid0(SALU_CYCLE_1)
	s_and_not1_b32 vcc_lo, exec_lo, s15
	s_cbranch_vccnz .LBB456_894
; %bb.893:
	global_load_u8 v2, v[0:1], off
.LBB456_894:
	s_or_b32 s0, s0, exec_lo
.LBB456_895:
	s_or_b32 exec_lo, exec_lo, s14
	s_mov_b32 s16, 0
	s_mov_b32 s15, 0
                                        ; implicit-def: $vgpr4
                                        ; implicit-def: $vgpr0_vgpr1
                                        ; implicit-def: $vgpr3
	s_and_saveexec_b32 s14, s0
	s_cbranch_execz .LBB456_975
; %bb.896:
	v_mul_lo_u32 v0, v9, s2
	v_and_b32_e64 v4, 0xff, s1
	s_waitcnt vmcnt(0)
	s_delay_alu instid0(VALU_DEP_3) | instskip(NEXT) | instid1(VALU_DEP_2)
	v_min_i16 v3, v2, s8
	v_cmp_gt_i16_e32 vcc_lo, 11, v4
	s_delay_alu instid0(VALU_DEP_4) | instskip(SKIP_1) | instid1(VALU_DEP_1)
	v_ashrrev_i32_e32 v1, 31, v0
	v_add_co_u32 v0, s0, s4, v0
	v_add_co_ci_u32_e64 v1, s0, s5, v1, s0
	s_cbranch_vccnz .LBB456_903
; %bb.897:
	v_cmp_lt_i16_e32 vcc_lo, 25, v4
	s_mov_b32 s15, -1
	s_mov_b32 s0, s12
	s_cbranch_vccz .LBB456_933
; %bb.898:
	v_cmp_lt_i16_e32 vcc_lo, 28, v4
	s_mov_b32 s0, s12
	s_cbranch_vccz .LBB456_917
; %bb.899:
	v_cmp_lt_i16_e32 vcc_lo, 43, v4
	;; [unrolled: 4-line block ×3, first 2 shown]
	s_mov_b32 s0, s12
	s_cbranch_vccz .LBB456_907
; %bb.901:
	v_cmp_eq_u16_e32 vcc_lo, 46, v4
	s_mov_b32 s0, -1
	s_cbranch_vccz .LBB456_906
; %bb.902:
	v_bfe_i32 v2, v3, 0, 16
	s_mov_b32 s0, 0
	s_mov_b32 s15, 0
	s_delay_alu instid0(VALU_DEP_1) | instskip(NEXT) | instid1(VALU_DEP_1)
	v_cvt_f32_i32_e32 v2, v2
	v_bfe_u32 v5, v2, 16, 1
	s_delay_alu instid0(VALU_DEP_1) | instskip(NEXT) | instid1(VALU_DEP_1)
	v_add3_u32 v2, v2, v5, 0x7fff
	v_lshrrev_b32_e32 v2, 16, v2
	global_store_b32 v[0:1], v2, off
	s_branch .LBB456_907
.LBB456_903:
	s_mov_b32 s15, -1
	s_mov_b32 s0, s12
	s_branch .LBB456_974
.LBB456_904:
	s_trap 2
	s_sendmsg_rtn_b32 s0, sendmsg(MSG_RTN_GET_DOORBELL)
	s_mov_b32 ttmp2, m0
	s_waitcnt lgkmcnt(0)
	s_and_b32 s0, s0, 0x3ff
	s_delay_alu instid0(SALU_CYCLE_1) | instskip(NEXT) | instid1(SALU_CYCLE_1)
	s_bitset1_b32 s0, 10
	s_mov_b32 m0, s0
	s_sendmsg sendmsg(MSG_INTERRUPT)
	s_mov_b32 m0, ttmp2
.LBB456_905:                            ; =>This Inner Loop Header: Depth=1
	s_sethalt 5
	s_branch .LBB456_905
.LBB456_906:
	s_mov_b32 s15, 0
.LBB456_907:
	s_delay_alu instid0(SALU_CYCLE_1)
	s_and_b32 vcc_lo, exec_lo, s15
	s_cbranch_vccz .LBB456_912
; %bb.908:
	v_cmp_eq_u16_e32 vcc_lo, 44, v4
	s_mov_b32 s0, -1
	s_cbranch_vccz .LBB456_912
; %bb.909:
	v_bfe_i32 v2, v3, 0, 16
	v_mov_b32_e32 v5, 0xff
	s_mov_b32 s15, exec_lo
	s_delay_alu instid0(VALU_DEP_2) | instskip(NEXT) | instid1(VALU_DEP_1)
	v_cvt_f32_i32_e32 v2, v2
	v_bfe_u32 v6, v2, 23, 8
	s_delay_alu instid0(VALU_DEP_1)
	v_cmpx_ne_u32_e32 0xff, v6
; %bb.910:
	v_and_b32_e32 v5, 0x400000, v2
	v_and_or_b32 v6, 0x3fffff, v2, v6
	v_lshrrev_b32_e32 v2, 23, v2
	s_delay_alu instid0(VALU_DEP_3) | instskip(NEXT) | instid1(VALU_DEP_3)
	v_cmp_ne_u32_e32 vcc_lo, 0, v5
	v_cmp_ne_u32_e64 s0, 0, v6
	s_delay_alu instid0(VALU_DEP_1) | instskip(NEXT) | instid1(SALU_CYCLE_1)
	s_and_b32 s0, vcc_lo, s0
	v_cndmask_b32_e64 v5, 0, 1, s0
	s_delay_alu instid0(VALU_DEP_1)
	v_add_nc_u32_e32 v5, v2, v5
; %bb.911:
	s_or_b32 exec_lo, exec_lo, s15
	s_mov_b32 s0, 0
	global_store_b8 v[0:1], v5, off
.LBB456_912:
	s_mov_b32 s15, 0
.LBB456_913:
	s_delay_alu instid0(SALU_CYCLE_1)
	s_and_b32 vcc_lo, exec_lo, s15
	s_cbranch_vccz .LBB456_916
; %bb.914:
	v_cmp_eq_u16_e32 vcc_lo, 29, v4
	s_mov_b32 s0, -1
	s_cbranch_vccz .LBB456_916
; %bb.915:
	v_bfe_i32 v5, v3, 0, 16
	s_mov_b32 s0, 0
	s_mov_b32 s15, 0
	s_delay_alu instid0(VALU_DEP_1)
	v_ashrrev_i32_e32 v6, 31, v5
	global_store_b64 v[0:1], v[5:6], off
	s_branch .LBB456_917
.LBB456_916:
	s_mov_b32 s15, 0
.LBB456_917:
	s_delay_alu instid0(SALU_CYCLE_1)
	s_and_b32 vcc_lo, exec_lo, s15
	s_cbranch_vccz .LBB456_932
; %bb.918:
	v_cmp_gt_i16_e32 vcc_lo, 27, v4
	s_mov_b32 s15, -1
	s_cbranch_vccnz .LBB456_924
; %bb.919:
	v_cmp_lt_i16_e32 vcc_lo, 27, v4
	s_cbranch_vccz .LBB456_921
; %bb.920:
	v_bfe_i32 v2, v3, 0, 16
	s_mov_b32 s15, 0
	global_store_b32 v[0:1], v2, off
.LBB456_921:
	s_and_not1_b32 vcc_lo, exec_lo, s15
	s_cbranch_vccnz .LBB456_923
; %bb.922:
	global_store_b16 v[0:1], v3, off
.LBB456_923:
	s_mov_b32 s15, 0
.LBB456_924:
	s_delay_alu instid0(SALU_CYCLE_1)
	s_and_not1_b32 vcc_lo, exec_lo, s15
	s_cbranch_vccnz .LBB456_932
; %bb.925:
	v_bfe_i32 v2, v3, 0, 16
	v_mov_b32_e32 v6, 0x80
	s_mov_b32 s15, exec_lo
	s_delay_alu instid0(VALU_DEP_2) | instskip(NEXT) | instid1(VALU_DEP_1)
	v_cvt_f32_i32_e32 v2, v2
	v_and_b32_e32 v5, 0x7fffffff, v2
	s_delay_alu instid0(VALU_DEP_1)
	v_cmpx_gt_u32_e32 0x43800000, v5
	s_cbranch_execz .LBB456_931
; %bb.926:
	v_cmp_lt_u32_e32 vcc_lo, 0x3bffffff, v5
                                        ; implicit-def: $vgpr5
	s_and_saveexec_b32 s17, vcc_lo
	s_delay_alu instid0(SALU_CYCLE_1)
	s_xor_b32 s17, exec_lo, s17
	s_cbranch_execz .LBB456_1161
; %bb.927:
	v_bfe_u32 v5, v2, 20, 1
	s_mov_b32 s16, exec_lo
	s_delay_alu instid0(VALU_DEP_1) | instskip(NEXT) | instid1(VALU_DEP_1)
	v_add3_u32 v5, v2, v5, 0x487ffff
	v_lshrrev_b32_e32 v5, 20, v5
	s_or_saveexec_b32 s17, s17
                                        ; implicit-def: $sgpr18
	s_delay_alu instid0(SALU_CYCLE_1)
	s_xor_b32 exec_lo, exec_lo, s17
	s_cbranch_execnz .LBB456_1162
.LBB456_928:
	s_or_b32 exec_lo, exec_lo, s17
	v_mov_b32_e32 v6, s18
	s_and_saveexec_b32 s17, s16
.LBB456_929:
	v_lshrrev_b32_e32 v2, 24, v2
	s_delay_alu instid0(VALU_DEP_1)
	v_and_or_b32 v6, 0x80, v2, v5
.LBB456_930:
	s_or_b32 exec_lo, exec_lo, s17
.LBB456_931:
	s_delay_alu instid0(SALU_CYCLE_1)
	s_or_b32 exec_lo, exec_lo, s15
	global_store_b8 v[0:1], v6, off
.LBB456_932:
	s_mov_b32 s15, 0
.LBB456_933:
	s_delay_alu instid0(SALU_CYCLE_1)
	s_and_b32 vcc_lo, exec_lo, s15
	s_mov_b32 s15, 0
	s_cbranch_vccz .LBB456_973
; %bb.934:
	v_cmp_lt_i16_e32 vcc_lo, 22, v4
	s_mov_b32 s16, -1
	s_cbranch_vccz .LBB456_966
; %bb.935:
	v_cmp_gt_i16_e32 vcc_lo, 24, v4
	s_cbranch_vccnz .LBB456_955
; %bb.936:
	v_cmp_lt_i16_e32 vcc_lo, 24, v4
	s_cbranch_vccz .LBB456_944
; %bb.937:
	v_bfe_i32 v2, v3, 0, 16
	v_mov_b32_e32 v6, 0x80
	s_mov_b32 s16, exec_lo
	s_delay_alu instid0(VALU_DEP_2) | instskip(NEXT) | instid1(VALU_DEP_1)
	v_cvt_f32_i32_e32 v2, v2
	v_and_b32_e32 v5, 0x7fffffff, v2
	s_delay_alu instid0(VALU_DEP_1)
	v_cmpx_gt_u32_e32 0x47800000, v5
	s_cbranch_execz .LBB456_943
; %bb.938:
	v_cmp_lt_u32_e32 vcc_lo, 0x37ffffff, v5
	s_mov_b32 s17, 0
                                        ; implicit-def: $vgpr5
	s_and_saveexec_b32 s18, vcc_lo
	s_delay_alu instid0(SALU_CYCLE_1)
	s_xor_b32 s18, exec_lo, s18
	s_cbranch_execz .LBB456_1205
; %bb.939:
	v_bfe_u32 v5, v2, 21, 1
	s_mov_b32 s17, exec_lo
	s_delay_alu instid0(VALU_DEP_1) | instskip(NEXT) | instid1(VALU_DEP_1)
	v_add3_u32 v5, v2, v5, 0x88fffff
	v_lshrrev_b32_e32 v5, 21, v5
	s_or_saveexec_b32 s18, s18
                                        ; implicit-def: $sgpr19
	s_delay_alu instid0(SALU_CYCLE_1)
	s_xor_b32 exec_lo, exec_lo, s18
	s_cbranch_execnz .LBB456_1206
.LBB456_940:
	s_or_b32 exec_lo, exec_lo, s18
	v_mov_b32_e32 v6, s19
	s_and_saveexec_b32 s18, s17
.LBB456_941:
	v_lshrrev_b32_e32 v2, 24, v2
	s_delay_alu instid0(VALU_DEP_1)
	v_and_or_b32 v6, 0x80, v2, v5
.LBB456_942:
	s_or_b32 exec_lo, exec_lo, s18
.LBB456_943:
	s_delay_alu instid0(SALU_CYCLE_1)
	s_or_b32 exec_lo, exec_lo, s16
	s_mov_b32 s16, 0
	global_store_b8 v[0:1], v6, off
.LBB456_944:
	s_and_b32 vcc_lo, exec_lo, s16
	s_cbranch_vccz .LBB456_954
; %bb.945:
	v_bfe_i32 v2, v3, 0, 16
	s_mov_b32 s16, exec_lo
                                        ; implicit-def: $vgpr5
	s_delay_alu instid0(VALU_DEP_1) | instskip(NEXT) | instid1(VALU_DEP_1)
	v_cvt_f32_i32_e32 v2, v2
	v_and_b32_e32 v6, 0x7fffffff, v2
	s_delay_alu instid0(VALU_DEP_1)
	v_cmpx_gt_u32_e32 0x43f00000, v6
	s_xor_b32 s16, exec_lo, s16
	s_cbranch_execz .LBB456_951
; %bb.946:
	s_mov_b32 s17, exec_lo
                                        ; implicit-def: $vgpr5
	v_cmpx_lt_u32_e32 0x3c7fffff, v6
	s_xor_b32 s17, exec_lo, s17
; %bb.947:
	v_bfe_u32 v5, v2, 20, 1
	s_delay_alu instid0(VALU_DEP_1) | instskip(NEXT) | instid1(VALU_DEP_1)
	v_add3_u32 v5, v2, v5, 0x407ffff
	v_and_b32_e32 v6, 0xff00000, v5
	v_lshrrev_b32_e32 v5, 20, v5
	s_delay_alu instid0(VALU_DEP_2) | instskip(NEXT) | instid1(VALU_DEP_2)
	v_cmp_ne_u32_e32 vcc_lo, 0x7f00000, v6
	v_cndmask_b32_e32 v5, 0x7e, v5, vcc_lo
; %bb.948:
	s_and_not1_saveexec_b32 s17, s17
; %bb.949:
	v_add_f32_e64 v5, 0x46800000, |v2|
; %bb.950:
	s_or_b32 exec_lo, exec_lo, s17
                                        ; implicit-def: $vgpr6
.LBB456_951:
	s_and_not1_saveexec_b32 s16, s16
; %bb.952:
	v_mov_b32_e32 v5, 0x7f
	v_cmp_lt_u32_e32 vcc_lo, 0x7f800000, v6
	s_delay_alu instid0(VALU_DEP_2)
	v_cndmask_b32_e32 v5, 0x7e, v5, vcc_lo
; %bb.953:
	s_or_b32 exec_lo, exec_lo, s16
	v_lshrrev_b32_e32 v2, 24, v2
	s_delay_alu instid0(VALU_DEP_1)
	v_and_or_b32 v2, 0x80, v2, v5
	global_store_b8 v[0:1], v2, off
.LBB456_954:
	s_mov_b32 s16, 0
.LBB456_955:
	s_delay_alu instid0(SALU_CYCLE_1)
	s_and_not1_b32 vcc_lo, exec_lo, s16
	s_cbranch_vccnz .LBB456_965
; %bb.956:
	v_bfe_i32 v2, v3, 0, 16
	s_mov_b32 s16, exec_lo
                                        ; implicit-def: $vgpr5
	s_delay_alu instid0(VALU_DEP_1) | instskip(NEXT) | instid1(VALU_DEP_1)
	v_cvt_f32_i32_e32 v2, v2
	v_and_b32_e32 v6, 0x7fffffff, v2
	s_delay_alu instid0(VALU_DEP_1)
	v_cmpx_gt_u32_e32 0x47800000, v6
	s_xor_b32 s16, exec_lo, s16
	s_cbranch_execz .LBB456_962
; %bb.957:
	s_mov_b32 s17, exec_lo
                                        ; implicit-def: $vgpr5
	v_cmpx_lt_u32_e32 0x387fffff, v6
	s_xor_b32 s17, exec_lo, s17
; %bb.958:
	v_bfe_u32 v5, v2, 21, 1
	s_delay_alu instid0(VALU_DEP_1) | instskip(NEXT) | instid1(VALU_DEP_1)
	v_add3_u32 v5, v2, v5, 0x80fffff
	v_lshrrev_b32_e32 v5, 21, v5
; %bb.959:
	s_and_not1_saveexec_b32 s17, s17
; %bb.960:
	v_add_f32_e64 v5, 0x43000000, |v2|
; %bb.961:
	s_or_b32 exec_lo, exec_lo, s17
                                        ; implicit-def: $vgpr6
.LBB456_962:
	s_and_not1_saveexec_b32 s16, s16
; %bb.963:
	v_mov_b32_e32 v5, 0x7f
	v_cmp_lt_u32_e32 vcc_lo, 0x7f800000, v6
	s_delay_alu instid0(VALU_DEP_2)
	v_cndmask_b32_e32 v5, 0x7c, v5, vcc_lo
; %bb.964:
	s_or_b32 exec_lo, exec_lo, s16
	v_lshrrev_b32_e32 v2, 24, v2
	s_delay_alu instid0(VALU_DEP_1)
	v_and_or_b32 v2, 0x80, v2, v5
	global_store_b8 v[0:1], v2, off
.LBB456_965:
	s_mov_b32 s16, 0
.LBB456_966:
	s_delay_alu instid0(SALU_CYCLE_1)
	s_and_not1_b32 vcc_lo, exec_lo, s16
	s_mov_b32 s16, 0
	s_cbranch_vccnz .LBB456_974
; %bb.967:
	v_cmp_lt_i16_e32 vcc_lo, 14, v4
	s_mov_b32 s16, -1
	s_cbranch_vccz .LBB456_971
; %bb.968:
	v_cmp_eq_u16_e32 vcc_lo, 15, v4
	s_mov_b32 s0, -1
	s_cbranch_vccz .LBB456_970
; %bb.969:
	v_bfe_i32 v2, v3, 0, 16
	s_mov_b32 s0, 0
	s_delay_alu instid0(VALU_DEP_1) | instskip(NEXT) | instid1(VALU_DEP_1)
	v_cvt_f32_i32_e32 v2, v2
	v_bfe_u32 v5, v2, 16, 1
	s_delay_alu instid0(VALU_DEP_1)
	v_add3_u32 v2, v2, v5, 0x7fff
	global_store_d16_hi_b16 v[0:1], v2, off
.LBB456_970:
	s_mov_b32 s16, 0
.LBB456_971:
	s_delay_alu instid0(SALU_CYCLE_1)
	s_and_b32 vcc_lo, exec_lo, s16
	s_mov_b32 s16, 0
	s_cbranch_vccz .LBB456_974
; %bb.972:
	v_cmp_ne_u16_e32 vcc_lo, 11, v4
	s_and_not1_b32 s0, s0, exec_lo
	s_mov_b32 s16, -1
	s_and_b32 s17, vcc_lo, exec_lo
	s_delay_alu instid0(SALU_CYCLE_1)
	s_or_b32 s0, s0, s17
	s_branch .LBB456_974
.LBB456_973:
	s_mov_b32 s16, 0
.LBB456_974:
	s_and_not1_b32 s12, s12, exec_lo
	s_and_b32 s0, s0, exec_lo
	s_and_b32 s15, s15, exec_lo
	;; [unrolled: 1-line block ×3, first 2 shown]
	s_or_b32 s12, s12, s0
.LBB456_975:
	s_or_b32 exec_lo, exec_lo, s14
	s_and_saveexec_b32 s0, s12
	s_cbranch_execnz .LBB456_1037
; %bb.976:
	s_or_b32 exec_lo, exec_lo, s0
	s_and_saveexec_b32 s0, s16
	s_delay_alu instid0(SALU_CYCLE_1)
	s_xor_b32 s0, exec_lo, s0
	s_cbranch_execz .LBB456_978
.LBB456_977:
	s_waitcnt vmcnt(0)
	v_cmp_ne_u16_e32 vcc_lo, 0, v3
	v_cndmask_b32_e64 v2, 0, 1, vcc_lo
	global_store_b8 v[0:1], v2, off
.LBB456_978:
	s_or_b32 exec_lo, exec_lo, s0
	s_and_saveexec_b32 s0, s15
	s_delay_alu instid0(SALU_CYCLE_1)
	s_xor_b32 s0, exec_lo, s0
	s_cbranch_execz .LBB456_1016
; %bb.979:
	v_cmp_gt_i16_e32 vcc_lo, 5, v4
	s_mov_b32 s12, -1
	s_cbranch_vccnz .LBB456_1000
; %bb.980:
	v_cmp_gt_i16_e32 vcc_lo, 8, v4
	s_cbranch_vccnz .LBB456_990
; %bb.981:
	v_cmp_gt_i16_e32 vcc_lo, 9, v4
	s_cbranch_vccnz .LBB456_987
; %bb.982:
	v_cmp_lt_i16_e32 vcc_lo, 9, v4
	s_cbranch_vccz .LBB456_984
; %bb.983:
	s_waitcnt vmcnt(0)
	v_bfe_i32 v2, v3, 0, 16
	v_mov_b32_e32 v7, 0
	s_mov_b32 s12, 0
	s_delay_alu instid0(VALU_DEP_2) | instskip(NEXT) | instid1(VALU_DEP_2)
	v_cvt_f64_i32_e32 v[5:6], v2
	v_mov_b32_e32 v8, v7
	global_store_b128 v[0:1], v[5:8], off
.LBB456_984:
	s_and_not1_b32 vcc_lo, exec_lo, s12
	s_cbranch_vccnz .LBB456_986
; %bb.985:
	s_waitcnt vmcnt(0)
	v_bfe_i32 v2, v3, 0, 16
	v_mov_b32_e32 v6, 0
	s_delay_alu instid0(VALU_DEP_2)
	v_cvt_f32_i32_e32 v5, v2
	global_store_b64 v[0:1], v[5:6], off
.LBB456_986:
	s_mov_b32 s12, 0
.LBB456_987:
	s_delay_alu instid0(SALU_CYCLE_1)
	s_and_not1_b32 vcc_lo, exec_lo, s12
	s_cbranch_vccnz .LBB456_989
; %bb.988:
	s_waitcnt vmcnt(0)
	v_cvt_f16_i16_e32 v2, v3
	s_delay_alu instid0(VALU_DEP_1)
	v_and_b32_e32 v2, 0xffff, v2
	global_store_b32 v[0:1], v2, off
.LBB456_989:
	s_mov_b32 s12, 0
.LBB456_990:
	s_delay_alu instid0(SALU_CYCLE_1)
	s_and_not1_b32 vcc_lo, exec_lo, s12
	s_cbranch_vccnz .LBB456_999
; %bb.991:
	v_cmp_gt_i16_e32 vcc_lo, 6, v4
	s_mov_b32 s12, -1
	s_cbranch_vccnz .LBB456_997
; %bb.992:
	v_cmp_lt_i16_e32 vcc_lo, 6, v4
	s_cbranch_vccz .LBB456_994
; %bb.993:
	s_waitcnt vmcnt(0)
	v_bfe_i32 v2, v3, 0, 16
	s_mov_b32 s12, 0
	s_delay_alu instid0(VALU_DEP_1)
	v_cvt_f64_i32_e32 v[5:6], v2
	global_store_b64 v[0:1], v[5:6], off
.LBB456_994:
	s_and_not1_b32 vcc_lo, exec_lo, s12
	s_cbranch_vccnz .LBB456_996
; %bb.995:
	s_waitcnt vmcnt(0)
	v_bfe_i32 v2, v3, 0, 16
	s_delay_alu instid0(VALU_DEP_1)
	v_cvt_f32_i32_e32 v2, v2
	global_store_b32 v[0:1], v2, off
.LBB456_996:
	s_mov_b32 s12, 0
.LBB456_997:
	s_delay_alu instid0(SALU_CYCLE_1)
	s_and_not1_b32 vcc_lo, exec_lo, s12
	s_cbranch_vccnz .LBB456_999
; %bb.998:
	s_waitcnt vmcnt(0)
	v_cvt_f16_i16_e32 v2, v3
	global_store_b16 v[0:1], v2, off
.LBB456_999:
	s_mov_b32 s12, 0
.LBB456_1000:
	s_delay_alu instid0(SALU_CYCLE_1)
	s_and_not1_b32 vcc_lo, exec_lo, s12
	s_cbranch_vccnz .LBB456_1016
; %bb.1001:
	v_cmp_gt_i16_e32 vcc_lo, 2, v4
	s_mov_b32 s12, -1
	s_cbranch_vccnz .LBB456_1011
; %bb.1002:
	v_cmp_gt_i16_e32 vcc_lo, 3, v4
	s_cbranch_vccnz .LBB456_1008
; %bb.1003:
	v_cmp_lt_i16_e32 vcc_lo, 3, v4
	s_cbranch_vccz .LBB456_1005
; %bb.1004:
	s_waitcnt vmcnt(0)
	v_bfe_i32 v5, v3, 0, 16
	s_mov_b32 s12, 0
	s_delay_alu instid0(VALU_DEP_1)
	v_ashrrev_i32_e32 v6, 31, v5
	global_store_b64 v[0:1], v[5:6], off
.LBB456_1005:
	s_and_not1_b32 vcc_lo, exec_lo, s12
	s_cbranch_vccnz .LBB456_1007
; %bb.1006:
	s_waitcnt vmcnt(0)
	v_bfe_i32 v2, v3, 0, 16
	global_store_b32 v[0:1], v2, off
.LBB456_1007:
	s_mov_b32 s12, 0
.LBB456_1008:
	s_delay_alu instid0(SALU_CYCLE_1)
	s_and_not1_b32 vcc_lo, exec_lo, s12
	s_cbranch_vccnz .LBB456_1010
; %bb.1009:
	s_waitcnt vmcnt(0)
	global_store_b16 v[0:1], v3, off
.LBB456_1010:
	s_mov_b32 s12, 0
.LBB456_1011:
	s_delay_alu instid0(SALU_CYCLE_1)
	s_and_not1_b32 vcc_lo, exec_lo, s12
	s_cbranch_vccnz .LBB456_1016
; %bb.1012:
	v_cmp_lt_i16_e32 vcc_lo, 0, v4
	s_mov_b32 s12, -1
	s_cbranch_vccz .LBB456_1014
; %bb.1013:
	s_mov_b32 s12, 0
	s_waitcnt vmcnt(0)
	global_store_b8 v[0:1], v3, off
.LBB456_1014:
	s_and_not1_b32 vcc_lo, exec_lo, s12
	s_cbranch_vccnz .LBB456_1016
; %bb.1015:
	s_waitcnt vmcnt(0)
	global_store_b8 v[0:1], v3, off
.LBB456_1016:
	s_or_b32 exec_lo, exec_lo, s0
	s_delay_alu instid0(SALU_CYCLE_1)
	s_and_b32 s12, s13, exec_lo
                                        ; implicit-def: $vgpr9
.LBB456_1017:
	s_or_saveexec_b32 s11, s11
	s_mov_b32 s0, 0
                                        ; implicit-def: $vgpr7
                                        ; implicit-def: $vgpr0_vgpr1
                                        ; implicit-def: $vgpr2
	s_xor_b32 exec_lo, exec_lo, s11
	s_cbranch_execz .LBB456_1965
; %bb.1018:
	s_waitcnt vmcnt(0)
	v_mul_lo_u32 v2, s3, v9
	v_cmp_lt_i16_e64 s0, s9, 11
	s_delay_alu instid0(VALU_DEP_2) | instskip(SKIP_1) | instid1(VALU_DEP_2)
	v_ashrrev_i32_e32 v1, 31, v2
	v_add_co_u32 v0, vcc_lo, s6, v2
	v_add_co_ci_u32_e32 v1, vcc_lo, s7, v1, vcc_lo
	s_delay_alu instid0(VALU_DEP_4)
	s_and_b32 vcc_lo, exec_lo, s0
	s_cbranch_vccnz .LBB456_1025
; %bb.1019:
	v_cmp_gt_i16_e64 s0, s9, 25
	s_mov_b32 s13, 0
	s_delay_alu instid0(VALU_DEP_1)
	s_and_b32 vcc_lo, exec_lo, s0
	s_cbranch_vccz .LBB456_1031
; %bb.1020:
	v_cmp_gt_i16_e64 s0, s9, 28
	s_delay_alu instid0(VALU_DEP_1)
	s_and_b32 vcc_lo, exec_lo, s0
	s_cbranch_vccz .LBB456_1033
; %bb.1021:
	v_cmp_gt_i16_e64 s0, s9, 43
	s_delay_alu instid0(VALU_DEP_1)
	s_and_b32 vcc_lo, exec_lo, s0
	s_cbranch_vccz .LBB456_1035
; %bb.1022:
	v_cmp_gt_i16_e64 s0, s9, 45
	s_delay_alu instid0(VALU_DEP_1)
	s_and_b32 vcc_lo, exec_lo, s0
	s_cbranch_vccz .LBB456_1039
; %bb.1023:
	v_cmp_eq_u16_e64 s0, s9, 46
	s_delay_alu instid0(VALU_DEP_1)
	s_and_b32 vcc_lo, exec_lo, s0
	s_cbranch_vccz .LBB456_1079
; %bb.1024:
	global_load_b32 v3, v[0:1], off
	s_mov_b32 s0, 0
	s_mov_b32 s14, -1
	s_waitcnt vmcnt(0)
	v_lshlrev_b32_e32 v3, 16, v3
	s_delay_alu instid0(VALU_DEP_1)
	v_cvt_i32_f32_e32 v6, v3
	s_branch .LBB456_1081
.LBB456_1025:
	s_mov_b32 s14, 0
	s_mov_b32 s10, s12
                                        ; implicit-def: $vgpr6
	s_cbranch_execz .LBB456_1139
; %bb.1026:
	v_cmp_lt_i16_e64 s0, s9, 5
	s_delay_alu instid0(VALU_DEP_1)
	s_and_b32 vcc_lo, exec_lo, s0
	s_cbranch_vccnz .LBB456_1032
; %bb.1027:
	v_cmp_lt_i16_e64 s0, s9, 8
	s_delay_alu instid0(VALU_DEP_1)
	s_and_b32 vcc_lo, exec_lo, s0
	s_cbranch_vccnz .LBB456_1034
	;; [unrolled: 5-line block ×3, first 2 shown]
; %bb.1029:
	v_cmp_gt_i16_e64 s0, s9, 9
	s_delay_alu instid0(VALU_DEP_1)
	s_and_b32 vcc_lo, exec_lo, s0
	s_cbranch_vccz .LBB456_1040
; %bb.1030:
	global_load_b64 v[3:4], v[0:1], off
	s_mov_b32 s0, 0
	s_waitcnt vmcnt(0)
	v_cvt_i32_f64_e32 v6, v[3:4]
	s_branch .LBB456_1041
.LBB456_1031:
	s_mov_b32 s14, 0
	s_mov_b32 s0, 0
                                        ; implicit-def: $vgpr6
	s_cbranch_execnz .LBB456_1106
	s_branch .LBB456_1135
.LBB456_1032:
                                        ; implicit-def: $vgpr6
	s_branch .LBB456_1058
.LBB456_1033:
	s_mov_b32 s14, 0
	s_mov_b32 s0, 0
                                        ; implicit-def: $vgpr6
	s_cbranch_execz .LBB456_1105
	s_branch .LBB456_1090
.LBB456_1034:
                                        ; implicit-def: $vgpr6
	s_branch .LBB456_1047
.LBB456_1035:
	s_mov_b32 s14, 0
	s_mov_b32 s0, 0
                                        ; implicit-def: $vgpr6
	s_cbranch_execnz .LBB456_1086
	s_branch .LBB456_1089
.LBB456_1036:
	s_mov_b32 s0, -1
                                        ; implicit-def: $vgpr6
	s_branch .LBB456_1044
.LBB456_1037:
	s_cbranch_execnz .LBB456_1077
; %bb.1038:
	s_or_b32 s13, s13, exec_lo
	s_and_not1_b32 s16, s16, exec_lo
	s_or_b32 exec_lo, exec_lo, s0
	s_and_saveexec_b32 s0, s16
	s_delay_alu instid0(SALU_CYCLE_1)
	s_xor_b32 s0, exec_lo, s0
	s_cbranch_execnz .LBB456_977
	s_branch .LBB456_978
.LBB456_1039:
	s_mov_b32 s10, -1
	s_mov_b32 s14, 0
	s_mov_b32 s0, 0
	s_branch .LBB456_1080
.LBB456_1040:
	s_mov_b32 s0, -1
                                        ; implicit-def: $vgpr6
.LBB456_1041:
	s_delay_alu instid0(SALU_CYCLE_1)
	s_and_not1_b32 vcc_lo, exec_lo, s0
	s_cbranch_vccnz .LBB456_1043
; %bb.1042:
	global_load_b32 v3, v[0:1], off
	s_waitcnt vmcnt(0)
	v_cvt_i32_f32_e32 v6, v3
.LBB456_1043:
	s_mov_b32 s0, 0
.LBB456_1044:
	s_delay_alu instid0(SALU_CYCLE_1)
	s_and_not1_b32 vcc_lo, exec_lo, s0
	s_cbranch_vccnz .LBB456_1046
; %bb.1045:
	global_load_b32 v3, v[0:1], off
	s_waitcnt vmcnt(0)
	v_cvt_i16_f16_e32 v6, v3
.LBB456_1046:
	s_cbranch_execnz .LBB456_1057
.LBB456_1047:
	v_cmp_lt_i16_e64 s0, s9, 6
	s_delay_alu instid0(VALU_DEP_1)
	s_and_b32 vcc_lo, exec_lo, s0
	s_cbranch_vccnz .LBB456_1050
; %bb.1048:
	v_cmp_gt_i16_e64 s0, s9, 6
	s_delay_alu instid0(VALU_DEP_1)
	s_and_b32 vcc_lo, exec_lo, s0
	s_cbranch_vccz .LBB456_1051
; %bb.1049:
	global_load_b64 v[3:4], v[0:1], off
	s_mov_b32 s0, 0
	s_waitcnt vmcnt(0)
	v_cvt_i32_f64_e32 v6, v[3:4]
	s_branch .LBB456_1052
.LBB456_1050:
	s_mov_b32 s0, -1
                                        ; implicit-def: $vgpr6
	s_branch .LBB456_1055
.LBB456_1051:
	s_mov_b32 s0, -1
                                        ; implicit-def: $vgpr6
.LBB456_1052:
	s_delay_alu instid0(SALU_CYCLE_1)
	s_and_not1_b32 vcc_lo, exec_lo, s0
	s_cbranch_vccnz .LBB456_1054
; %bb.1053:
	global_load_b32 v3, v[0:1], off
	s_waitcnt vmcnt(0)
	v_cvt_i32_f32_e32 v6, v3
.LBB456_1054:
	s_mov_b32 s0, 0
.LBB456_1055:
	s_delay_alu instid0(SALU_CYCLE_1)
	s_and_not1_b32 vcc_lo, exec_lo, s0
	s_cbranch_vccnz .LBB456_1057
; %bb.1056:
	global_load_u16 v3, v[0:1], off
	s_waitcnt vmcnt(0)
	v_cvt_i16_f16_e32 v6, v3
.LBB456_1057:
	s_cbranch_execnz .LBB456_1076
.LBB456_1058:
	v_cmp_lt_i16_e64 s0, s9, 2
	s_delay_alu instid0(VALU_DEP_1)
	s_and_b32 vcc_lo, exec_lo, s0
	s_cbranch_vccnz .LBB456_1062
; %bb.1059:
	v_cmp_lt_i16_e64 s0, s9, 3
	s_delay_alu instid0(VALU_DEP_1)
	s_and_b32 vcc_lo, exec_lo, s0
	s_cbranch_vccnz .LBB456_1063
; %bb.1060:
	v_cmp_gt_i16_e64 s0, s9, 3
	s_delay_alu instid0(VALU_DEP_1)
	s_and_b32 vcc_lo, exec_lo, s0
	s_cbranch_vccz .LBB456_1064
; %bb.1061:
	global_load_b64 v[6:7], v[0:1], off
	s_mov_b32 s0, 0
	s_branch .LBB456_1065
.LBB456_1062:
                                        ; implicit-def: $vgpr6
	s_branch .LBB456_1071
.LBB456_1063:
	s_mov_b32 s0, -1
                                        ; implicit-def: $vgpr6
	s_branch .LBB456_1068
.LBB456_1064:
	s_mov_b32 s0, -1
                                        ; implicit-def: $vgpr6
.LBB456_1065:
	s_delay_alu instid0(SALU_CYCLE_1)
	s_and_not1_b32 vcc_lo, exec_lo, s0
	s_cbranch_vccnz .LBB456_1067
; %bb.1066:
	global_load_b32 v6, v[0:1], off
.LBB456_1067:
	s_mov_b32 s0, 0
.LBB456_1068:
	s_delay_alu instid0(SALU_CYCLE_1)
	s_and_not1_b32 vcc_lo, exec_lo, s0
	s_cbranch_vccnz .LBB456_1070
; %bb.1069:
	global_load_u16 v6, v[0:1], off
.LBB456_1070:
	s_cbranch_execnz .LBB456_1076
.LBB456_1071:
	v_cmp_gt_i16_e64 s0, s9, 0
	s_delay_alu instid0(VALU_DEP_1)
	s_and_b32 vcc_lo, exec_lo, s0
	s_mov_b32 s0, 0
	s_cbranch_vccz .LBB456_1073
; %bb.1072:
	global_load_i8 v6, v[0:1], off
	s_branch .LBB456_1074
.LBB456_1073:
	s_mov_b32 s0, -1
                                        ; implicit-def: $vgpr6
.LBB456_1074:
	s_delay_alu instid0(SALU_CYCLE_1)
	s_and_not1_b32 vcc_lo, exec_lo, s0
	s_cbranch_vccnz .LBB456_1076
; %bb.1075:
	global_load_u8 v6, v[0:1], off
.LBB456_1076:
	s_branch .LBB456_1140
.LBB456_1077:
	s_trap 2
	s_sendmsg_rtn_b32 s0, sendmsg(MSG_RTN_GET_DOORBELL)
	s_mov_b32 ttmp2, m0
	s_waitcnt lgkmcnt(0)
	s_and_b32 s0, s0, 0x3ff
	s_delay_alu instid0(SALU_CYCLE_1) | instskip(NEXT) | instid1(SALU_CYCLE_1)
	s_bitset1_b32 s0, 10
	s_mov_b32 m0, s0
	s_sendmsg sendmsg(MSG_INTERRUPT)
	s_mov_b32 m0, ttmp2
.LBB456_1078:                           ; =>This Inner Loop Header: Depth=1
	s_sethalt 5
	s_branch .LBB456_1078
.LBB456_1079:
	s_mov_b32 s0, -1
	s_mov_b32 s14, 0
.LBB456_1080:
                                        ; implicit-def: $vgpr6
.LBB456_1081:
	s_and_b32 vcc_lo, exec_lo, s10
	s_cbranch_vccz .LBB456_1084
; %bb.1082:
	v_cmp_eq_u16_e64 s0, s9, 44
	s_delay_alu instid0(VALU_DEP_1)
	s_and_b32 vcc_lo, exec_lo, s0
	s_cbranch_vccz .LBB456_1085
; %bb.1083:
	global_load_u8 v3, v[0:1], off
	s_mov_b32 s0, 0
	s_mov_b32 s14, -1
	s_waitcnt vmcnt(0)
	v_lshlrev_b32_e32 v4, 23, v3
	v_cmp_ne_u32_e32 vcc_lo, 0, v3
	s_delay_alu instid0(VALU_DEP_2) | instskip(NEXT) | instid1(VALU_DEP_1)
	v_cvt_i32_f32_e32 v4, v4
	v_cndmask_b32_e32 v6, 0, v4, vcc_lo
.LBB456_1084:
	s_branch .LBB456_1089
.LBB456_1085:
	s_mov_b32 s0, -1
                                        ; implicit-def: $vgpr6
	s_branch .LBB456_1089
.LBB456_1086:
	v_cmp_eq_u16_e64 s0, s9, 29
	s_delay_alu instid0(VALU_DEP_1)
	s_and_b32 vcc_lo, exec_lo, s0
	s_cbranch_vccz .LBB456_1088
; %bb.1087:
	global_load_b64 v[6:7], v[0:1], off
	s_mov_b32 s0, 0
	s_mov_b32 s14, -1
	s_branch .LBB456_1089
.LBB456_1088:
	s_mov_b32 s0, -1
                                        ; implicit-def: $vgpr6
.LBB456_1089:
	s_branch .LBB456_1105
.LBB456_1090:
	v_cmp_lt_i16_e64 s10, s9, 27
	s_delay_alu instid0(VALU_DEP_1)
	s_and_b32 vcc_lo, exec_lo, s10
	s_cbranch_vccnz .LBB456_1093
; %bb.1091:
	v_cmp_gt_i16_e64 s10, s9, 27
	s_delay_alu instid0(VALU_DEP_1)
	s_and_b32 vcc_lo, exec_lo, s10
	s_cbranch_vccz .LBB456_1094
; %bb.1092:
	global_load_b32 v6, v[0:1], off
	s_mov_b32 s10, 0
	s_branch .LBB456_1095
.LBB456_1093:
	s_mov_b32 s10, -1
                                        ; implicit-def: $vgpr6
	s_branch .LBB456_1098
.LBB456_1094:
	s_mov_b32 s10, -1
                                        ; implicit-def: $vgpr6
.LBB456_1095:
	s_delay_alu instid0(SALU_CYCLE_1)
	s_and_not1_b32 vcc_lo, exec_lo, s10
	s_cbranch_vccnz .LBB456_1097
; %bb.1096:
	global_load_u16 v6, v[0:1], off
.LBB456_1097:
	s_mov_b32 s10, 0
.LBB456_1098:
	s_delay_alu instid0(SALU_CYCLE_1)
	s_and_not1_b32 vcc_lo, exec_lo, s10
	s_cbranch_vccnz .LBB456_1104
; %bb.1099:
	global_load_u8 v3, v[0:1], off
	s_mov_b32 s10, 0
	s_mov_b32 s14, exec_lo
                                        ; implicit-def: $sgpr15
	s_waitcnt vmcnt(0)
	v_cmpx_lt_i16_e32 0x7f, v3
	s_xor_b32 s14, exec_lo, s14
	s_cbranch_execz .LBB456_1115
; %bb.1100:
	v_cmp_ne_u16_e32 vcc_lo, 0x80, v3
	s_mov_b32 s15, 0
	s_and_b32 s10, vcc_lo, exec_lo
	s_or_saveexec_b32 s14, s14
	v_mov_b32_e32 v6, s15
	s_xor_b32 exec_lo, exec_lo, s14
	s_cbranch_execnz .LBB456_1116
.LBB456_1101:
	s_or_b32 exec_lo, exec_lo, s14
	s_and_saveexec_b32 s14, s10
	s_cbranch_execz .LBB456_1103
.LBB456_1102:
	v_and_b32_e32 v4, 0xffff, v3
	v_lshlrev_b32_e32 v3, 24, v3
	s_delay_alu instid0(VALU_DEP_2) | instskip(NEXT) | instid1(VALU_DEP_2)
	v_and_b32_e32 v5, 7, v4
	v_and_b32_e32 v3, 0x80000000, v3
	s_delay_alu instid0(VALU_DEP_2) | instskip(NEXT) | instid1(VALU_DEP_1)
	v_clz_i32_u32_e32 v6, v5
	v_min_u32_e32 v6, 32, v6
	s_delay_alu instid0(VALU_DEP_1) | instskip(SKIP_1) | instid1(VALU_DEP_2)
	v_subrev_nc_u32_e32 v7, 28, v6
	v_sub_nc_u32_e32 v6, 29, v6
	v_lshlrev_b32_e32 v7, v7, v4
	v_bfe_u32 v4, v4, 3, 4
	s_delay_alu instid0(VALU_DEP_2) | instskip(NEXT) | instid1(VALU_DEP_2)
	v_and_b32_e32 v7, 7, v7
	v_cmp_eq_u32_e32 vcc_lo, 0, v4
	s_delay_alu instid0(VALU_DEP_2) | instskip(NEXT) | instid1(VALU_DEP_1)
	v_dual_cndmask_b32 v4, v4, v6 :: v_dual_cndmask_b32 v5, v5, v7
	v_lshl_add_u32 v4, v4, 23, 0x3b800000
	s_delay_alu instid0(VALU_DEP_2) | instskip(NEXT) | instid1(VALU_DEP_1)
	v_lshlrev_b32_e32 v5, 20, v5
	v_or3_b32 v3, v3, v4, v5
	s_delay_alu instid0(VALU_DEP_1)
	v_cvt_i32_f32_e32 v6, v3
.LBB456_1103:
	s_or_b32 exec_lo, exec_lo, s14
.LBB456_1104:
	s_mov_b32 s14, -1
.LBB456_1105:
	s_branch .LBB456_1135
.LBB456_1106:
	v_cmp_gt_i16_e64 s10, s9, 22
	s_delay_alu instid0(VALU_DEP_1)
	s_and_b32 vcc_lo, exec_lo, s10
	s_cbranch_vccz .LBB456_1114
; %bb.1107:
	v_cmp_lt_i16_e64 s10, s9, 24
	s_delay_alu instid0(VALU_DEP_1)
	s_and_b32 vcc_lo, exec_lo, s10
	s_cbranch_vccnz .LBB456_1117
; %bb.1108:
	v_cmp_gt_i16_e64 s10, s9, 24
	s_delay_alu instid0(VALU_DEP_1)
	s_and_b32 vcc_lo, exec_lo, s10
	s_cbranch_vccz .LBB456_1118
; %bb.1109:
	global_load_u8 v3, v[0:1], off
	s_mov_b32 s10, 0
	s_mov_b32 s13, exec_lo
                                        ; implicit-def: $sgpr14
	s_waitcnt vmcnt(0)
	v_cmpx_lt_i16_e32 0x7f, v3
	s_xor_b32 s13, exec_lo, s13
	s_cbranch_execz .LBB456_1129
; %bb.1110:
	v_cmp_ne_u16_e32 vcc_lo, 0x80, v3
	s_mov_b32 s14, 0
	s_and_b32 s10, vcc_lo, exec_lo
	s_or_saveexec_b32 s13, s13
	v_mov_b32_e32 v6, s14
	s_xor_b32 exec_lo, exec_lo, s13
	s_cbranch_execnz .LBB456_1130
.LBB456_1111:
	s_or_b32 exec_lo, exec_lo, s13
	s_and_saveexec_b32 s13, s10
	s_cbranch_execz .LBB456_1113
.LBB456_1112:
	v_and_b32_e32 v4, 0xffff, v3
	v_lshlrev_b32_e32 v3, 24, v3
	s_delay_alu instid0(VALU_DEP_2) | instskip(NEXT) | instid1(VALU_DEP_2)
	v_and_b32_e32 v5, 3, v4
	v_and_b32_e32 v3, 0x80000000, v3
	s_delay_alu instid0(VALU_DEP_2) | instskip(NEXT) | instid1(VALU_DEP_1)
	v_clz_i32_u32_e32 v6, v5
	v_min_u32_e32 v6, 32, v6
	s_delay_alu instid0(VALU_DEP_1) | instskip(SKIP_1) | instid1(VALU_DEP_2)
	v_subrev_nc_u32_e32 v7, 29, v6
	v_sub_nc_u32_e32 v6, 30, v6
	v_lshlrev_b32_e32 v7, v7, v4
	v_bfe_u32 v4, v4, 2, 5
	s_delay_alu instid0(VALU_DEP_2) | instskip(NEXT) | instid1(VALU_DEP_2)
	v_and_b32_e32 v7, 3, v7
	v_cmp_eq_u32_e32 vcc_lo, 0, v4
	s_delay_alu instid0(VALU_DEP_2) | instskip(NEXT) | instid1(VALU_DEP_1)
	v_dual_cndmask_b32 v4, v4, v6 :: v_dual_cndmask_b32 v5, v5, v7
	v_lshl_add_u32 v4, v4, 23, 0x37800000
	s_delay_alu instid0(VALU_DEP_2) | instskip(NEXT) | instid1(VALU_DEP_1)
	v_lshlrev_b32_e32 v5, 21, v5
	v_or3_b32 v3, v3, v4, v5
	s_delay_alu instid0(VALU_DEP_1)
	v_cvt_i32_f32_e32 v6, v3
.LBB456_1113:
	s_or_b32 exec_lo, exec_lo, s13
	s_mov_b32 s10, 0
	s_branch .LBB456_1119
.LBB456_1114:
                                        ; implicit-def: $vgpr6
	s_mov_b32 s13, 0
	s_branch .LBB456_1125
.LBB456_1115:
	s_or_saveexec_b32 s14, s14
	v_mov_b32_e32 v6, s15
	s_xor_b32 exec_lo, exec_lo, s14
	s_cbranch_execz .LBB456_1101
.LBB456_1116:
	v_cmp_ne_u16_e32 vcc_lo, 0, v3
	v_mov_b32_e32 v6, 0
	s_and_not1_b32 s10, s10, exec_lo
	s_and_b32 s15, vcc_lo, exec_lo
	s_delay_alu instid0(SALU_CYCLE_1)
	s_or_b32 s10, s10, s15
	s_or_b32 exec_lo, exec_lo, s14
	s_and_saveexec_b32 s14, s10
	s_cbranch_execnz .LBB456_1102
	s_branch .LBB456_1103
.LBB456_1117:
	s_mov_b32 s10, -1
                                        ; implicit-def: $vgpr6
	s_branch .LBB456_1122
.LBB456_1118:
	s_mov_b32 s10, -1
                                        ; implicit-def: $vgpr6
.LBB456_1119:
	s_delay_alu instid0(SALU_CYCLE_1)
	s_and_b32 vcc_lo, exec_lo, s10
	s_cbranch_vccz .LBB456_1121
; %bb.1120:
	global_load_u8 v3, v[0:1], off
	s_waitcnt vmcnt(0)
	v_lshlrev_b32_e32 v3, 24, v3
	s_delay_alu instid0(VALU_DEP_1) | instskip(NEXT) | instid1(VALU_DEP_1)
	v_and_b32_e32 v4, 0x7f000000, v3
	v_clz_i32_u32_e32 v5, v4
	v_add_nc_u32_e32 v7, 0x1000000, v4
	v_cmp_ne_u32_e32 vcc_lo, 0, v4
	s_delay_alu instid0(VALU_DEP_3) | instskip(NEXT) | instid1(VALU_DEP_1)
	v_min_u32_e32 v5, 32, v5
	v_sub_nc_u32_e64 v5, v5, 4 clamp
	s_delay_alu instid0(VALU_DEP_1) | instskip(SKIP_1) | instid1(VALU_DEP_2)
	v_lshlrev_b32_e32 v6, v5, v4
	v_lshlrev_b32_e32 v5, 23, v5
	v_lshrrev_b32_e32 v6, 4, v6
	s_delay_alu instid0(VALU_DEP_1) | instskip(SKIP_1) | instid1(VALU_DEP_2)
	v_sub_nc_u32_e32 v5, v6, v5
	v_ashrrev_i32_e32 v6, 8, v7
	v_add_nc_u32_e32 v5, 0x3c000000, v5
	s_delay_alu instid0(VALU_DEP_1) | instskip(NEXT) | instid1(VALU_DEP_1)
	v_and_or_b32 v5, 0x7f800000, v6, v5
	v_cndmask_b32_e32 v4, 0, v5, vcc_lo
	s_delay_alu instid0(VALU_DEP_1) | instskip(NEXT) | instid1(VALU_DEP_1)
	v_and_or_b32 v3, 0x80000000, v3, v4
	v_cvt_i32_f32_e32 v6, v3
.LBB456_1121:
	s_mov_b32 s10, 0
.LBB456_1122:
	s_delay_alu instid0(SALU_CYCLE_1)
	s_and_not1_b32 vcc_lo, exec_lo, s10
	s_cbranch_vccnz .LBB456_1124
; %bb.1123:
	global_load_u8 v3, v[0:1], off
	s_waitcnt vmcnt(0)
	v_lshlrev_b32_e32 v4, 25, v3
	v_lshlrev_b16 v3, 8, v3
	s_delay_alu instid0(VALU_DEP_2) | instskip(NEXT) | instid1(VALU_DEP_2)
	v_lshrrev_b32_e32 v5, 4, v4
	v_and_or_b32 v6, 0x7f00, v3, 0.5
	v_bfe_i32 v3, v3, 0, 16
	s_delay_alu instid0(VALU_DEP_3) | instskip(NEXT) | instid1(VALU_DEP_1)
	v_or_b32_e32 v5, 0x70000000, v5
	v_dual_add_f32 v6, -0.5, v6 :: v_dual_mul_f32 v5, 0x7800000, v5
	v_cmp_gt_u32_e32 vcc_lo, 0x8000000, v4
	s_delay_alu instid0(VALU_DEP_2) | instskip(NEXT) | instid1(VALU_DEP_1)
	v_cndmask_b32_e32 v4, v5, v6, vcc_lo
	v_and_or_b32 v3, 0x80000000, v3, v4
	s_delay_alu instid0(VALU_DEP_1)
	v_cvt_i32_f32_e32 v6, v3
.LBB456_1124:
	s_mov_b32 s14, -1
	s_mov_b32 s13, 0
	s_cbranch_execnz .LBB456_1135
.LBB456_1125:
	v_cmp_gt_i16_e64 s10, s9, 14
	s_delay_alu instid0(VALU_DEP_1)
	s_and_b32 vcc_lo, exec_lo, s10
	s_cbranch_vccz .LBB456_1128
; %bb.1126:
	v_cmp_eq_u16_e64 s0, s9, 15
	s_delay_alu instid0(VALU_DEP_1)
	s_and_b32 vcc_lo, exec_lo, s0
	s_cbranch_vccz .LBB456_1131
; %bb.1127:
	global_load_u16 v3, v[0:1], off
	s_mov_b32 s0, 0
	s_mov_b32 s14, -1
	s_waitcnt vmcnt(0)
	v_lshlrev_b32_e32 v3, 16, v3
	s_delay_alu instid0(VALU_DEP_1)
	v_cvt_i32_f32_e32 v6, v3
	s_branch .LBB456_1132
.LBB456_1128:
	s_mov_b32 s10, -1
                                        ; implicit-def: $vgpr6
	s_branch .LBB456_1133
.LBB456_1129:
	s_or_saveexec_b32 s13, s13
	v_mov_b32_e32 v6, s14
	s_xor_b32 exec_lo, exec_lo, s13
	s_cbranch_execz .LBB456_1111
.LBB456_1130:
	v_cmp_ne_u16_e32 vcc_lo, 0, v3
	v_mov_b32_e32 v6, 0
	s_and_not1_b32 s10, s10, exec_lo
	s_and_b32 s14, vcc_lo, exec_lo
	s_delay_alu instid0(SALU_CYCLE_1)
	s_or_b32 s10, s10, s14
	s_or_b32 exec_lo, exec_lo, s13
	s_and_saveexec_b32 s13, s10
	s_cbranch_execnz .LBB456_1112
	s_branch .LBB456_1113
.LBB456_1131:
	s_mov_b32 s0, -1
                                        ; implicit-def: $vgpr6
.LBB456_1132:
	s_mov_b32 s10, 0
.LBB456_1133:
	s_delay_alu instid0(SALU_CYCLE_1)
	s_and_b32 vcc_lo, exec_lo, s10
	s_cbranch_vccz .LBB456_1135
; %bb.1134:
	v_cmp_ne_u16_e64 s0, s9, 11
	s_mov_b32 s13, -1
                                        ; implicit-def: $vgpr6
.LBB456_1135:
	s_delay_alu instid0(VALU_DEP_1)
	s_and_b32 vcc_lo, exec_lo, s0
	s_mov_b32 s10, s12
	s_cbranch_vccnz .LBB456_1159
; %bb.1136:
	s_and_not1_b32 vcc_lo, exec_lo, s13
	s_cbranch_vccnz .LBB456_1138
.LBB456_1137:
	global_load_u8 v3, v[0:1], off
	s_mov_b32 s14, -1
	s_waitcnt vmcnt(0)
	v_cmp_ne_u16_e32 vcc_lo, 0, v3
	v_cndmask_b32_e64 v6, 0, 1, vcc_lo
.LBB456_1138:
.LBB456_1139:
	s_and_not1_b32 vcc_lo, exec_lo, s14
	s_cbranch_vccnz .LBB456_1963
.LBB456_1140:
	s_lshl_b32 s0, s3, 7
	v_cmp_lt_i16_e64 s3, s9, 11
	v_add_nc_u32_e32 v2, s0, v2
	s_delay_alu instid0(VALU_DEP_1) | instskip(SKIP_1) | instid1(VALU_DEP_2)
	v_ashrrev_i32_e32 v1, 31, v2
	v_add_co_u32 v0, vcc_lo, s6, v2
	v_add_co_ci_u32_e32 v1, vcc_lo, s7, v1, vcc_lo
	s_and_b32 vcc_lo, exec_lo, s3
	s_cbranch_vccnz .LBB456_1147
; %bb.1141:
	v_cmp_gt_i16_e64 s3, s9, 25
	s_mov_b32 s13, 0
	s_delay_alu instid0(VALU_DEP_1)
	s_and_b32 vcc_lo, exec_lo, s3
	s_cbranch_vccz .LBB456_1153
; %bb.1142:
	v_cmp_gt_i16_e64 s3, s9, 28
	s_delay_alu instid0(VALU_DEP_1)
	s_and_b32 vcc_lo, exec_lo, s3
	s_cbranch_vccz .LBB456_1155
; %bb.1143:
	v_cmp_gt_i16_e64 s3, s9, 43
	;; [unrolled: 5-line block ×3, first 2 shown]
	s_delay_alu instid0(VALU_DEP_1)
	s_and_b32 vcc_lo, exec_lo, s3
	s_cbranch_vccz .LBB456_1163
; %bb.1145:
	v_cmp_eq_u16_e64 s3, s9, 46
	s_mov_b32 s15, 0
	s_delay_alu instid0(VALU_DEP_1)
	s_and_b32 vcc_lo, exec_lo, s3
	s_cbranch_vccz .LBB456_1207
; %bb.1146:
	global_load_b32 v3, v[0:1], off
	s_mov_b32 s3, 0
	s_mov_b32 s14, -1
	s_waitcnt vmcnt(0)
	v_lshlrev_b32_e32 v3, 16, v3
	s_delay_alu instid0(VALU_DEP_1)
	v_cvt_i32_f32_e32 v4, v3
	s_branch .LBB456_1209
.LBB456_1147:
	s_mov_b32 s14, 0
                                        ; implicit-def: $vgpr4
	s_cbranch_execz .LBB456_1270
; %bb.1148:
	v_cmp_lt_i16_e64 s3, s9, 5
	s_delay_alu instid0(VALU_DEP_1)
	s_and_b32 vcc_lo, exec_lo, s3
	s_cbranch_vccnz .LBB456_1154
; %bb.1149:
	v_cmp_lt_i16_e64 s3, s9, 8
	s_delay_alu instid0(VALU_DEP_1)
	s_and_b32 vcc_lo, exec_lo, s3
	s_cbranch_vccnz .LBB456_1156
	;; [unrolled: 5-line block ×3, first 2 shown]
; %bb.1151:
	v_cmp_gt_i16_e64 s3, s9, 9
	s_delay_alu instid0(VALU_DEP_1)
	s_and_b32 vcc_lo, exec_lo, s3
	s_cbranch_vccz .LBB456_1164
; %bb.1152:
	global_load_b64 v[3:4], v[0:1], off
	s_mov_b32 s3, 0
	s_waitcnt vmcnt(0)
	v_cvt_i32_f64_e32 v4, v[3:4]
	s_branch .LBB456_1165
.LBB456_1153:
	s_mov_b32 s14, 0
	s_mov_b32 s3, 0
                                        ; implicit-def: $vgpr4
	s_cbranch_execnz .LBB456_1236
	s_branch .LBB456_1266
.LBB456_1154:
                                        ; implicit-def: $vgpr4
	s_branch .LBB456_1183
.LBB456_1155:
	s_mov_b32 s15, -1
	s_mov_b32 s14, 0
	s_mov_b32 s3, 0
                                        ; implicit-def: $vgpr4
	s_branch .LBB456_1219
.LBB456_1156:
	s_mov_b32 s3, -1
                                        ; implicit-def: $vgpr4
	s_branch .LBB456_1171
.LBB456_1157:
	s_mov_b32 s15, -1
	s_mov_b32 s14, 0
	s_mov_b32 s3, 0
                                        ; implicit-def: $vgpr4
	s_branch .LBB456_1214
.LBB456_1158:
	s_mov_b32 s3, -1
                                        ; implicit-def: $vgpr4
	s_branch .LBB456_1168
.LBB456_1159:
	s_cbranch_execnz .LBB456_1203
; %bb.1160:
	s_or_b32 s10, s12, exec_lo
                                        ; implicit-def: $vgpr6
	s_cbranch_execz .LBB456_1137
	s_branch .LBB456_1138
.LBB456_1161:
	s_or_saveexec_b32 s17, s17
                                        ; implicit-def: $sgpr18
	s_delay_alu instid0(SALU_CYCLE_1)
	s_xor_b32 exec_lo, exec_lo, s17
	s_cbranch_execz .LBB456_928
.LBB456_1162:
	v_add_f32_e64 v5, 0x46000000, |v2|
	s_and_not1_b32 s16, s16, exec_lo
	s_mov_b32 s18, 0
	s_delay_alu instid0(VALU_DEP_1) | instskip(NEXT) | instid1(VALU_DEP_1)
	v_and_b32_e32 v5, 0xff, v5
	v_cmp_ne_u32_e32 vcc_lo, 0, v5
	s_and_b32 s19, vcc_lo, exec_lo
	s_delay_alu instid0(SALU_CYCLE_1)
	s_or_b32 s16, s16, s19
	s_or_b32 exec_lo, exec_lo, s17
	v_mov_b32_e32 v6, s18
	s_and_saveexec_b32 s17, s16
	s_cbranch_execnz .LBB456_929
	s_branch .LBB456_930
.LBB456_1163:
	s_mov_b32 s15, -1
	s_mov_b32 s14, 0
	s_mov_b32 s3, 0
	s_branch .LBB456_1208
.LBB456_1164:
	s_mov_b32 s3, -1
                                        ; implicit-def: $vgpr4
.LBB456_1165:
	s_delay_alu instid0(SALU_CYCLE_1)
	s_and_not1_b32 vcc_lo, exec_lo, s3
	s_cbranch_vccnz .LBB456_1167
; %bb.1166:
	global_load_b32 v3, v[0:1], off
	s_waitcnt vmcnt(0)
	v_cvt_i32_f32_e32 v4, v3
.LBB456_1167:
	s_mov_b32 s3, 0
.LBB456_1168:
	s_delay_alu instid0(SALU_CYCLE_1)
	s_and_not1_b32 vcc_lo, exec_lo, s3
	s_cbranch_vccnz .LBB456_1170
; %bb.1169:
	global_load_b32 v3, v[0:1], off
	s_waitcnt vmcnt(0)
	v_cvt_i16_f16_e32 v4, v3
.LBB456_1170:
	s_mov_b32 s3, 0
.LBB456_1171:
	s_delay_alu instid0(SALU_CYCLE_1)
	s_and_not1_b32 vcc_lo, exec_lo, s3
	s_cbranch_vccnz .LBB456_1182
; %bb.1172:
	v_cmp_lt_i16_e64 s3, s9, 6
	s_delay_alu instid0(VALU_DEP_1)
	s_and_b32 vcc_lo, exec_lo, s3
	s_cbranch_vccnz .LBB456_1175
; %bb.1173:
	v_cmp_gt_i16_e64 s3, s9, 6
	s_delay_alu instid0(VALU_DEP_1)
	s_and_b32 vcc_lo, exec_lo, s3
	s_cbranch_vccz .LBB456_1176
; %bb.1174:
	global_load_b64 v[3:4], v[0:1], off
	s_mov_b32 s3, 0
	s_waitcnt vmcnt(0)
	v_cvt_i32_f64_e32 v4, v[3:4]
	s_branch .LBB456_1177
.LBB456_1175:
	s_mov_b32 s3, -1
                                        ; implicit-def: $vgpr4
	s_branch .LBB456_1180
.LBB456_1176:
	s_mov_b32 s3, -1
                                        ; implicit-def: $vgpr4
.LBB456_1177:
	s_delay_alu instid0(SALU_CYCLE_1)
	s_and_not1_b32 vcc_lo, exec_lo, s3
	s_cbranch_vccnz .LBB456_1179
; %bb.1178:
	global_load_b32 v3, v[0:1], off
	s_waitcnt vmcnt(0)
	v_cvt_i32_f32_e32 v4, v3
.LBB456_1179:
	s_mov_b32 s3, 0
.LBB456_1180:
	s_delay_alu instid0(SALU_CYCLE_1)
	s_and_not1_b32 vcc_lo, exec_lo, s3
	s_cbranch_vccnz .LBB456_1182
; %bb.1181:
	global_load_u16 v3, v[0:1], off
	s_waitcnt vmcnt(0)
	v_cvt_i16_f16_e32 v4, v3
.LBB456_1182:
	s_cbranch_execnz .LBB456_1202
.LBB456_1183:
	v_cmp_lt_i16_e64 s3, s9, 2
	s_delay_alu instid0(VALU_DEP_1)
	s_and_b32 vcc_lo, exec_lo, s3
	s_cbranch_vccnz .LBB456_1187
; %bb.1184:
	v_cmp_lt_i16_e64 s3, s9, 3
	s_delay_alu instid0(VALU_DEP_1)
	s_and_b32 vcc_lo, exec_lo, s3
	s_cbranch_vccnz .LBB456_1188
; %bb.1185:
	v_cmp_gt_i16_e64 s3, s9, 3
	s_delay_alu instid0(VALU_DEP_1)
	s_and_b32 vcc_lo, exec_lo, s3
	s_cbranch_vccz .LBB456_1189
; %bb.1186:
	global_load_b64 v[4:5], v[0:1], off
	s_mov_b32 s3, 0
	s_branch .LBB456_1190
.LBB456_1187:
	s_mov_b32 s3, -1
                                        ; implicit-def: $vgpr4
	s_branch .LBB456_1196
.LBB456_1188:
	s_mov_b32 s3, -1
                                        ; implicit-def: $vgpr4
	s_branch .LBB456_1193
.LBB456_1189:
	s_mov_b32 s3, -1
                                        ; implicit-def: $vgpr4
.LBB456_1190:
	s_delay_alu instid0(SALU_CYCLE_1)
	s_and_not1_b32 vcc_lo, exec_lo, s3
	s_cbranch_vccnz .LBB456_1192
; %bb.1191:
	global_load_b32 v4, v[0:1], off
.LBB456_1192:
	s_mov_b32 s3, 0
.LBB456_1193:
	s_delay_alu instid0(SALU_CYCLE_1)
	s_and_not1_b32 vcc_lo, exec_lo, s3
	s_cbranch_vccnz .LBB456_1195
; %bb.1194:
	global_load_u16 v4, v[0:1], off
.LBB456_1195:
	s_mov_b32 s3, 0
.LBB456_1196:
	s_delay_alu instid0(SALU_CYCLE_1)
	s_and_not1_b32 vcc_lo, exec_lo, s3
	s_cbranch_vccnz .LBB456_1202
; %bb.1197:
	v_cmp_gt_i16_e64 s3, s9, 0
	s_delay_alu instid0(VALU_DEP_1)
	s_and_b32 vcc_lo, exec_lo, s3
	s_mov_b32 s3, 0
	s_cbranch_vccz .LBB456_1199
; %bb.1198:
	global_load_i8 v4, v[0:1], off
	s_branch .LBB456_1200
.LBB456_1199:
	s_mov_b32 s3, -1
                                        ; implicit-def: $vgpr4
.LBB456_1200:
	s_delay_alu instid0(SALU_CYCLE_1)
	s_and_not1_b32 vcc_lo, exec_lo, s3
	s_cbranch_vccnz .LBB456_1202
; %bb.1201:
	global_load_u8 v4, v[0:1], off
.LBB456_1202:
	s_branch .LBB456_1271
.LBB456_1203:
	s_trap 2
	s_sendmsg_rtn_b32 s0, sendmsg(MSG_RTN_GET_DOORBELL)
	s_mov_b32 ttmp2, m0
	s_waitcnt lgkmcnt(0)
	s_and_b32 s0, s0, 0x3ff
	s_delay_alu instid0(SALU_CYCLE_1) | instskip(NEXT) | instid1(SALU_CYCLE_1)
	s_bitset1_b32 s0, 10
	s_mov_b32 m0, s0
	s_sendmsg sendmsg(MSG_INTERRUPT)
	s_mov_b32 m0, ttmp2
.LBB456_1204:                           ; =>This Inner Loop Header: Depth=1
	s_sethalt 5
	s_branch .LBB456_1204
.LBB456_1205:
	s_or_saveexec_b32 s18, s18
                                        ; implicit-def: $sgpr19
	s_delay_alu instid0(SALU_CYCLE_1)
	s_xor_b32 exec_lo, exec_lo, s18
	s_cbranch_execz .LBB456_940
.LBB456_1206:
	v_add_f32_e64 v5, 0x42800000, |v2|
	s_and_not1_b32 s17, s17, exec_lo
	s_mov_b32 s19, 0
	s_delay_alu instid0(VALU_DEP_1) | instskip(NEXT) | instid1(VALU_DEP_1)
	v_and_b32_e32 v5, 0xff, v5
	v_cmp_ne_u32_e32 vcc_lo, 0, v5
	s_and_b32 s20, vcc_lo, exec_lo
	s_delay_alu instid0(SALU_CYCLE_1)
	s_or_b32 s17, s17, s20
	s_or_b32 exec_lo, exec_lo, s18
	v_mov_b32_e32 v6, s19
	s_and_saveexec_b32 s18, s17
	s_cbranch_execnz .LBB456_941
	s_branch .LBB456_942
.LBB456_1207:
	s_mov_b32 s3, -1
	s_mov_b32 s14, 0
.LBB456_1208:
                                        ; implicit-def: $vgpr4
.LBB456_1209:
	s_and_b32 vcc_lo, exec_lo, s15
	s_cbranch_vccz .LBB456_1213
; %bb.1210:
	v_cmp_eq_u16_e64 s3, s9, 44
	s_delay_alu instid0(VALU_DEP_1)
	s_and_b32 vcc_lo, exec_lo, s3
	s_cbranch_vccz .LBB456_1212
; %bb.1211:
	global_load_u8 v3, v[0:1], off
	s_mov_b32 s3, 0
	s_mov_b32 s14, -1
	s_waitcnt vmcnt(0)
	v_lshlrev_b32_e32 v4, 23, v3
	v_cmp_ne_u32_e32 vcc_lo, 0, v3
	s_delay_alu instid0(VALU_DEP_2) | instskip(NEXT) | instid1(VALU_DEP_1)
	v_cvt_i32_f32_e32 v4, v4
	v_cndmask_b32_e32 v4, 0, v4, vcc_lo
	s_branch .LBB456_1213
.LBB456_1212:
	s_mov_b32 s3, -1
                                        ; implicit-def: $vgpr4
.LBB456_1213:
	s_mov_b32 s15, 0
.LBB456_1214:
	s_delay_alu instid0(SALU_CYCLE_1)
	s_and_b32 vcc_lo, exec_lo, s15
	s_cbranch_vccz .LBB456_1218
; %bb.1215:
	v_cmp_eq_u16_e64 s3, s9, 29
	s_delay_alu instid0(VALU_DEP_1)
	s_and_b32 vcc_lo, exec_lo, s3
	s_cbranch_vccz .LBB456_1217
; %bb.1216:
	global_load_b64 v[4:5], v[0:1], off
	s_mov_b32 s3, 0
	s_mov_b32 s14, -1
	s_branch .LBB456_1218
.LBB456_1217:
	s_mov_b32 s3, -1
                                        ; implicit-def: $vgpr4
.LBB456_1218:
	s_mov_b32 s15, 0
.LBB456_1219:
	s_delay_alu instid0(SALU_CYCLE_1)
	s_and_b32 vcc_lo, exec_lo, s15
	s_cbranch_vccz .LBB456_1235
; %bb.1220:
	v_cmp_lt_i16_e64 s14, s9, 27
	s_delay_alu instid0(VALU_DEP_1)
	s_and_b32 vcc_lo, exec_lo, s14
	s_cbranch_vccnz .LBB456_1223
; %bb.1221:
	v_cmp_gt_i16_e64 s14, s9, 27
	s_delay_alu instid0(VALU_DEP_1)
	s_and_b32 vcc_lo, exec_lo, s14
	s_cbranch_vccz .LBB456_1224
; %bb.1222:
	global_load_b32 v4, v[0:1], off
	s_mov_b32 s14, 0
	s_branch .LBB456_1225
.LBB456_1223:
	s_mov_b32 s14, -1
                                        ; implicit-def: $vgpr4
	s_branch .LBB456_1228
.LBB456_1224:
	s_mov_b32 s14, -1
                                        ; implicit-def: $vgpr4
.LBB456_1225:
	s_delay_alu instid0(SALU_CYCLE_1)
	s_and_not1_b32 vcc_lo, exec_lo, s14
	s_cbranch_vccnz .LBB456_1227
; %bb.1226:
	global_load_u16 v4, v[0:1], off
.LBB456_1227:
	s_mov_b32 s14, 0
.LBB456_1228:
	s_delay_alu instid0(SALU_CYCLE_1)
	s_and_not1_b32 vcc_lo, exec_lo, s14
	s_cbranch_vccnz .LBB456_1234
; %bb.1229:
	global_load_u8 v3, v[0:1], off
	s_mov_b32 s14, 0
	s_mov_b32 s15, exec_lo
                                        ; implicit-def: $sgpr16
	s_waitcnt vmcnt(0)
	v_cmpx_lt_i16_e32 0x7f, v3
	s_xor_b32 s15, exec_lo, s15
	s_cbranch_execz .LBB456_1245
; %bb.1230:
	v_cmp_ne_u16_e32 vcc_lo, 0x80, v3
	s_mov_b32 s16, 0
	s_and_b32 s14, vcc_lo, exec_lo
	s_or_saveexec_b32 s15, s15
	v_mov_b32_e32 v4, s16
	s_xor_b32 exec_lo, exec_lo, s15
	s_cbranch_execnz .LBB456_1246
.LBB456_1231:
	s_or_b32 exec_lo, exec_lo, s15
	s_and_saveexec_b32 s15, s14
	s_cbranch_execz .LBB456_1233
.LBB456_1232:
	v_and_b32_e32 v4, 0xffff, v3
	v_lshlrev_b32_e32 v3, 24, v3
	s_delay_alu instid0(VALU_DEP_2) | instskip(NEXT) | instid1(VALU_DEP_2)
	v_and_b32_e32 v5, 7, v4
	v_and_b32_e32 v3, 0x80000000, v3
	s_delay_alu instid0(VALU_DEP_2) | instskip(NEXT) | instid1(VALU_DEP_1)
	v_clz_i32_u32_e32 v7, v5
	v_min_u32_e32 v7, 32, v7
	s_delay_alu instid0(VALU_DEP_1) | instskip(SKIP_1) | instid1(VALU_DEP_2)
	v_subrev_nc_u32_e32 v8, 28, v7
	v_sub_nc_u32_e32 v7, 29, v7
	v_lshlrev_b32_e32 v8, v8, v4
	v_bfe_u32 v4, v4, 3, 4
	s_delay_alu instid0(VALU_DEP_2) | instskip(NEXT) | instid1(VALU_DEP_2)
	v_and_b32_e32 v8, 7, v8
	v_cmp_eq_u32_e32 vcc_lo, 0, v4
	s_delay_alu instid0(VALU_DEP_2) | instskip(NEXT) | instid1(VALU_DEP_1)
	v_dual_cndmask_b32 v4, v4, v7 :: v_dual_cndmask_b32 v5, v5, v8
	v_lshl_add_u32 v4, v4, 23, 0x3b800000
	s_delay_alu instid0(VALU_DEP_2) | instskip(NEXT) | instid1(VALU_DEP_1)
	v_lshlrev_b32_e32 v5, 20, v5
	v_or3_b32 v3, v3, v4, v5
	s_delay_alu instid0(VALU_DEP_1)
	v_cvt_i32_f32_e32 v4, v3
.LBB456_1233:
	s_or_b32 exec_lo, exec_lo, s15
.LBB456_1234:
	s_mov_b32 s14, -1
.LBB456_1235:
	s_branch .LBB456_1266
.LBB456_1236:
	v_cmp_gt_i16_e64 s13, s9, 22
	s_delay_alu instid0(VALU_DEP_1)
	s_and_b32 vcc_lo, exec_lo, s13
	s_cbranch_vccz .LBB456_1244
; %bb.1237:
	v_cmp_lt_i16_e64 s13, s9, 24
	s_delay_alu instid0(VALU_DEP_1)
	s_and_b32 vcc_lo, exec_lo, s13
	s_cbranch_vccnz .LBB456_1247
; %bb.1238:
	v_cmp_gt_i16_e64 s13, s9, 24
	s_delay_alu instid0(VALU_DEP_1)
	s_and_b32 vcc_lo, exec_lo, s13
	s_cbranch_vccz .LBB456_1248
; %bb.1239:
	global_load_u8 v3, v[0:1], off
	s_mov_b32 s13, 0
	s_mov_b32 s14, exec_lo
                                        ; implicit-def: $sgpr15
	s_waitcnt vmcnt(0)
	v_cmpx_lt_i16_e32 0x7f, v3
	s_xor_b32 s14, exec_lo, s14
	s_cbranch_execz .LBB456_1260
; %bb.1240:
	v_cmp_ne_u16_e32 vcc_lo, 0x80, v3
	s_mov_b32 s15, 0
	s_and_b32 s13, vcc_lo, exec_lo
	s_or_saveexec_b32 s14, s14
	v_mov_b32_e32 v4, s15
	s_xor_b32 exec_lo, exec_lo, s14
	s_cbranch_execnz .LBB456_1261
.LBB456_1241:
	s_or_b32 exec_lo, exec_lo, s14
	s_and_saveexec_b32 s14, s13
	s_cbranch_execz .LBB456_1243
.LBB456_1242:
	v_and_b32_e32 v4, 0xffff, v3
	v_lshlrev_b32_e32 v3, 24, v3
	s_delay_alu instid0(VALU_DEP_2) | instskip(NEXT) | instid1(VALU_DEP_2)
	v_and_b32_e32 v5, 3, v4
	v_and_b32_e32 v3, 0x80000000, v3
	s_delay_alu instid0(VALU_DEP_2) | instskip(NEXT) | instid1(VALU_DEP_1)
	v_clz_i32_u32_e32 v7, v5
	v_min_u32_e32 v7, 32, v7
	s_delay_alu instid0(VALU_DEP_1) | instskip(SKIP_1) | instid1(VALU_DEP_2)
	v_subrev_nc_u32_e32 v8, 29, v7
	v_sub_nc_u32_e32 v7, 30, v7
	v_lshlrev_b32_e32 v8, v8, v4
	v_bfe_u32 v4, v4, 2, 5
	s_delay_alu instid0(VALU_DEP_2) | instskip(NEXT) | instid1(VALU_DEP_2)
	v_and_b32_e32 v8, 3, v8
	v_cmp_eq_u32_e32 vcc_lo, 0, v4
	s_delay_alu instid0(VALU_DEP_2) | instskip(NEXT) | instid1(VALU_DEP_1)
	v_dual_cndmask_b32 v4, v4, v7 :: v_dual_cndmask_b32 v5, v5, v8
	v_lshl_add_u32 v4, v4, 23, 0x37800000
	s_delay_alu instid0(VALU_DEP_2) | instskip(NEXT) | instid1(VALU_DEP_1)
	v_lshlrev_b32_e32 v5, 21, v5
	v_or3_b32 v3, v3, v4, v5
	s_delay_alu instid0(VALU_DEP_1)
	v_cvt_i32_f32_e32 v4, v3
.LBB456_1243:
	s_or_b32 exec_lo, exec_lo, s14
	s_mov_b32 s13, 0
	s_branch .LBB456_1249
.LBB456_1244:
	s_mov_b32 s13, -1
                                        ; implicit-def: $vgpr4
	s_branch .LBB456_1255
.LBB456_1245:
	s_or_saveexec_b32 s15, s15
	v_mov_b32_e32 v4, s16
	s_xor_b32 exec_lo, exec_lo, s15
	s_cbranch_execz .LBB456_1231
.LBB456_1246:
	v_cmp_ne_u16_e32 vcc_lo, 0, v3
	v_mov_b32_e32 v4, 0
	s_and_not1_b32 s14, s14, exec_lo
	s_and_b32 s16, vcc_lo, exec_lo
	s_delay_alu instid0(SALU_CYCLE_1)
	s_or_b32 s14, s14, s16
	s_or_b32 exec_lo, exec_lo, s15
	s_and_saveexec_b32 s15, s14
	s_cbranch_execnz .LBB456_1232
	s_branch .LBB456_1233
.LBB456_1247:
	s_mov_b32 s13, -1
                                        ; implicit-def: $vgpr4
	s_branch .LBB456_1252
.LBB456_1248:
	s_mov_b32 s13, -1
                                        ; implicit-def: $vgpr4
.LBB456_1249:
	s_delay_alu instid0(SALU_CYCLE_1)
	s_and_b32 vcc_lo, exec_lo, s13
	s_cbranch_vccz .LBB456_1251
; %bb.1250:
	global_load_u8 v3, v[0:1], off
	s_waitcnt vmcnt(0)
	v_lshlrev_b32_e32 v3, 24, v3
	s_delay_alu instid0(VALU_DEP_1) | instskip(NEXT) | instid1(VALU_DEP_1)
	v_and_b32_e32 v4, 0x7f000000, v3
	v_clz_i32_u32_e32 v5, v4
	v_add_nc_u32_e32 v8, 0x1000000, v4
	v_cmp_ne_u32_e32 vcc_lo, 0, v4
	s_delay_alu instid0(VALU_DEP_3) | instskip(NEXT) | instid1(VALU_DEP_1)
	v_min_u32_e32 v5, 32, v5
	v_sub_nc_u32_e64 v5, v5, 4 clamp
	s_delay_alu instid0(VALU_DEP_1) | instskip(SKIP_1) | instid1(VALU_DEP_2)
	v_lshlrev_b32_e32 v7, v5, v4
	v_lshlrev_b32_e32 v5, 23, v5
	v_lshrrev_b32_e32 v7, 4, v7
	s_delay_alu instid0(VALU_DEP_1) | instskip(SKIP_1) | instid1(VALU_DEP_2)
	v_sub_nc_u32_e32 v5, v7, v5
	v_ashrrev_i32_e32 v7, 8, v8
	v_add_nc_u32_e32 v5, 0x3c000000, v5
	s_delay_alu instid0(VALU_DEP_1) | instskip(NEXT) | instid1(VALU_DEP_1)
	v_and_or_b32 v5, 0x7f800000, v7, v5
	v_cndmask_b32_e32 v4, 0, v5, vcc_lo
	s_delay_alu instid0(VALU_DEP_1) | instskip(NEXT) | instid1(VALU_DEP_1)
	v_and_or_b32 v3, 0x80000000, v3, v4
	v_cvt_i32_f32_e32 v4, v3
.LBB456_1251:
	s_mov_b32 s13, 0
.LBB456_1252:
	s_delay_alu instid0(SALU_CYCLE_1)
	s_and_not1_b32 vcc_lo, exec_lo, s13
	s_cbranch_vccnz .LBB456_1254
; %bb.1253:
	global_load_u8 v3, v[0:1], off
	s_waitcnt vmcnt(0)
	v_lshlrev_b32_e32 v4, 25, v3
	v_lshlrev_b16 v3, 8, v3
	s_delay_alu instid0(VALU_DEP_2) | instskip(NEXT) | instid1(VALU_DEP_2)
	v_lshrrev_b32_e32 v5, 4, v4
	v_and_or_b32 v7, 0x7f00, v3, 0.5
	v_bfe_i32 v3, v3, 0, 16
	s_delay_alu instid0(VALU_DEP_3) | instskip(NEXT) | instid1(VALU_DEP_3)
	v_or_b32_e32 v5, 0x70000000, v5
	v_add_f32_e32 v7, -0.5, v7
	s_delay_alu instid0(VALU_DEP_2) | instskip(SKIP_1) | instid1(VALU_DEP_2)
	v_mul_f32_e32 v5, 0x7800000, v5
	v_cmp_gt_u32_e32 vcc_lo, 0x8000000, v4
	v_cndmask_b32_e32 v4, v5, v7, vcc_lo
	s_delay_alu instid0(VALU_DEP_1) | instskip(NEXT) | instid1(VALU_DEP_1)
	v_and_or_b32 v3, 0x80000000, v3, v4
	v_cvt_i32_f32_e32 v4, v3
.LBB456_1254:
	s_mov_b32 s13, 0
	s_mov_b32 s14, -1
.LBB456_1255:
	s_and_not1_b32 vcc_lo, exec_lo, s13
	s_mov_b32 s13, 0
	s_cbranch_vccnz .LBB456_1266
; %bb.1256:
	v_cmp_gt_i16_e64 s13, s9, 14
	s_delay_alu instid0(VALU_DEP_1)
	s_and_b32 vcc_lo, exec_lo, s13
	s_cbranch_vccz .LBB456_1259
; %bb.1257:
	v_cmp_eq_u16_e64 s3, s9, 15
	s_delay_alu instid0(VALU_DEP_1)
	s_and_b32 vcc_lo, exec_lo, s3
	s_cbranch_vccz .LBB456_1262
; %bb.1258:
	global_load_u16 v3, v[0:1], off
	s_mov_b32 s3, 0
	s_mov_b32 s14, -1
	s_waitcnt vmcnt(0)
	v_lshlrev_b32_e32 v3, 16, v3
	s_delay_alu instid0(VALU_DEP_1)
	v_cvt_i32_f32_e32 v4, v3
	s_branch .LBB456_1263
.LBB456_1259:
	s_mov_b32 s13, -1
                                        ; implicit-def: $vgpr4
	s_branch .LBB456_1264
.LBB456_1260:
	s_or_saveexec_b32 s14, s14
	v_mov_b32_e32 v4, s15
	s_xor_b32 exec_lo, exec_lo, s14
	s_cbranch_execz .LBB456_1241
.LBB456_1261:
	v_cmp_ne_u16_e32 vcc_lo, 0, v3
	v_mov_b32_e32 v4, 0
	s_and_not1_b32 s13, s13, exec_lo
	s_and_b32 s15, vcc_lo, exec_lo
	s_delay_alu instid0(SALU_CYCLE_1)
	s_or_b32 s13, s13, s15
	s_or_b32 exec_lo, exec_lo, s14
	s_and_saveexec_b32 s14, s13
	s_cbranch_execnz .LBB456_1242
	s_branch .LBB456_1243
.LBB456_1262:
	s_mov_b32 s3, -1
                                        ; implicit-def: $vgpr4
.LBB456_1263:
	s_mov_b32 s13, 0
.LBB456_1264:
	s_delay_alu instid0(SALU_CYCLE_1)
	s_and_b32 vcc_lo, exec_lo, s13
	s_mov_b32 s13, 0
	s_cbranch_vccz .LBB456_1266
; %bb.1265:
	v_cmp_ne_u16_e64 s3, s9, 11
	s_mov_b32 s13, -1
                                        ; implicit-def: $vgpr4
.LBB456_1266:
	s_delay_alu instid0(VALU_DEP_1)
	s_and_b32 vcc_lo, exec_lo, s3
	s_cbranch_vccnz .LBB456_1290
; %bb.1267:
	s_and_not1_b32 vcc_lo, exec_lo, s13
	s_cbranch_vccnz .LBB456_1269
.LBB456_1268:
	global_load_u8 v3, v[0:1], off
	s_mov_b32 s14, -1
	s_waitcnt vmcnt(0)
	v_cmp_ne_u16_e32 vcc_lo, 0, v3
	v_cndmask_b32_e64 v4, 0, 1, vcc_lo
.LBB456_1269:
.LBB456_1270:
	s_and_not1_b32 vcc_lo, exec_lo, s14
	s_cbranch_vccnz .LBB456_1963
.LBB456_1271:
	s_waitcnt vmcnt(0)
	v_add_nc_u32_e32 v5, s0, v2
	v_cmp_lt_i16_e64 s3, s9, 11
	s_delay_alu instid0(VALU_DEP_2) | instskip(SKIP_1) | instid1(VALU_DEP_2)
	v_ashrrev_i32_e32 v1, 31, v5
	v_add_co_u32 v0, vcc_lo, s6, v5
	v_add_co_ci_u32_e32 v1, vcc_lo, s7, v1, vcc_lo
	s_delay_alu instid0(VALU_DEP_4)
	s_and_b32 vcc_lo, exec_lo, s3
	s_cbranch_vccnz .LBB456_1278
; %bb.1272:
	v_cmp_gt_i16_e64 s3, s9, 25
	s_mov_b32 s13, 0
	s_delay_alu instid0(VALU_DEP_1)
	s_and_b32 vcc_lo, exec_lo, s3
	s_cbranch_vccz .LBB456_1284
; %bb.1273:
	v_cmp_gt_i16_e64 s3, s9, 28
	s_delay_alu instid0(VALU_DEP_1)
	s_and_b32 vcc_lo, exec_lo, s3
	s_cbranch_vccz .LBB456_1286
; %bb.1274:
	v_cmp_gt_i16_e64 s3, s9, 43
	;; [unrolled: 5-line block ×3, first 2 shown]
	s_delay_alu instid0(VALU_DEP_1)
	s_and_b32 vcc_lo, exec_lo, s3
	s_cbranch_vccz .LBB456_1292
; %bb.1276:
	v_cmp_eq_u16_e64 s3, s9, 46
	s_mov_b32 s15, 0
	s_delay_alu instid0(VALU_DEP_1)
	s_and_b32 vcc_lo, exec_lo, s3
	s_cbranch_vccz .LBB456_1335
; %bb.1277:
	global_load_b32 v2, v[0:1], off
	s_mov_b32 s3, 0
	s_mov_b32 s14, -1
	s_waitcnt vmcnt(0)
	v_lshlrev_b32_e32 v2, 16, v2
	s_delay_alu instid0(VALU_DEP_1)
	v_cvt_i32_f32_e32 v2, v2
	s_branch .LBB456_1337
.LBB456_1278:
	s_mov_b32 s14, 0
                                        ; implicit-def: $vgpr2
	s_cbranch_execz .LBB456_1399
; %bb.1279:
	v_cmp_lt_i16_e64 s3, s9, 5
	s_delay_alu instid0(VALU_DEP_1)
	s_and_b32 vcc_lo, exec_lo, s3
	s_cbranch_vccnz .LBB456_1285
; %bb.1280:
	v_cmp_lt_i16_e64 s3, s9, 8
	s_delay_alu instid0(VALU_DEP_1)
	s_and_b32 vcc_lo, exec_lo, s3
	s_cbranch_vccnz .LBB456_1287
	;; [unrolled: 5-line block ×3, first 2 shown]
; %bb.1282:
	v_cmp_gt_i16_e64 s3, s9, 9
	s_delay_alu instid0(VALU_DEP_1)
	s_and_b32 vcc_lo, exec_lo, s3
	s_cbranch_vccz .LBB456_1293
; %bb.1283:
	global_load_b64 v[2:3], v[0:1], off
	s_mov_b32 s3, 0
	s_waitcnt vmcnt(0)
	v_cvt_i32_f64_e32 v2, v[2:3]
	s_branch .LBB456_1294
.LBB456_1284:
	s_mov_b32 s15, -1
	s_mov_b32 s14, 0
	s_mov_b32 s3, 0
                                        ; implicit-def: $vgpr2
	s_branch .LBB456_1364
.LBB456_1285:
	s_mov_b32 s3, -1
                                        ; implicit-def: $vgpr2
	s_branch .LBB456_1312
.LBB456_1286:
	s_mov_b32 s15, -1
	s_mov_b32 s14, 0
	s_mov_b32 s3, 0
                                        ; implicit-def: $vgpr2
	s_branch .LBB456_1347
.LBB456_1287:
	s_mov_b32 s3, -1
                                        ; implicit-def: $vgpr2
	s_branch .LBB456_1300
.LBB456_1288:
	s_mov_b32 s15, -1
	s_mov_b32 s14, 0
	s_mov_b32 s3, 0
                                        ; implicit-def: $vgpr2
	s_branch .LBB456_1342
.LBB456_1289:
	s_mov_b32 s3, -1
                                        ; implicit-def: $vgpr2
	s_branch .LBB456_1297
.LBB456_1290:
	s_cbranch_execnz .LBB456_1333
; %bb.1291:
	s_or_b32 s10, s10, exec_lo
                                        ; implicit-def: $vgpr4
	s_cbranch_execz .LBB456_1268
	s_branch .LBB456_1269
.LBB456_1292:
	s_mov_b32 s15, -1
	s_mov_b32 s14, 0
	s_mov_b32 s3, 0
	s_branch .LBB456_1336
.LBB456_1293:
	s_mov_b32 s3, -1
                                        ; implicit-def: $vgpr2
.LBB456_1294:
	s_delay_alu instid0(SALU_CYCLE_1)
	s_and_not1_b32 vcc_lo, exec_lo, s3
	s_cbranch_vccnz .LBB456_1296
; %bb.1295:
	global_load_b32 v2, v[0:1], off
	s_waitcnt vmcnt(0)
	v_cvt_i32_f32_e32 v2, v2
.LBB456_1296:
	s_mov_b32 s3, 0
.LBB456_1297:
	s_delay_alu instid0(SALU_CYCLE_1)
	s_and_not1_b32 vcc_lo, exec_lo, s3
	s_cbranch_vccnz .LBB456_1299
; %bb.1298:
	global_load_b32 v2, v[0:1], off
	s_waitcnt vmcnt(0)
	v_cvt_i16_f16_e32 v2, v2
.LBB456_1299:
	s_mov_b32 s3, 0
.LBB456_1300:
	s_delay_alu instid0(SALU_CYCLE_1)
	s_and_not1_b32 vcc_lo, exec_lo, s3
	s_cbranch_vccnz .LBB456_1311
; %bb.1301:
	v_cmp_lt_i16_e64 s3, s9, 6
	s_delay_alu instid0(VALU_DEP_1)
	s_and_b32 vcc_lo, exec_lo, s3
	s_cbranch_vccnz .LBB456_1304
; %bb.1302:
	v_cmp_gt_i16_e64 s3, s9, 6
	s_delay_alu instid0(VALU_DEP_1)
	s_and_b32 vcc_lo, exec_lo, s3
	s_cbranch_vccz .LBB456_1305
; %bb.1303:
	global_load_b64 v[2:3], v[0:1], off
	s_mov_b32 s3, 0
	s_waitcnt vmcnt(0)
	v_cvt_i32_f64_e32 v2, v[2:3]
	s_branch .LBB456_1306
.LBB456_1304:
	s_mov_b32 s3, -1
                                        ; implicit-def: $vgpr2
	s_branch .LBB456_1309
.LBB456_1305:
	s_mov_b32 s3, -1
                                        ; implicit-def: $vgpr2
.LBB456_1306:
	s_delay_alu instid0(SALU_CYCLE_1)
	s_and_not1_b32 vcc_lo, exec_lo, s3
	s_cbranch_vccnz .LBB456_1308
; %bb.1307:
	global_load_b32 v2, v[0:1], off
	s_waitcnt vmcnt(0)
	v_cvt_i32_f32_e32 v2, v2
.LBB456_1308:
	s_mov_b32 s3, 0
.LBB456_1309:
	s_delay_alu instid0(SALU_CYCLE_1)
	s_and_not1_b32 vcc_lo, exec_lo, s3
	s_cbranch_vccnz .LBB456_1311
; %bb.1310:
	global_load_u16 v2, v[0:1], off
	s_waitcnt vmcnt(0)
	v_cvt_i16_f16_e32 v2, v2
.LBB456_1311:
	s_mov_b32 s3, 0
.LBB456_1312:
	s_delay_alu instid0(SALU_CYCLE_1)
	s_and_not1_b32 vcc_lo, exec_lo, s3
	s_cbranch_vccnz .LBB456_1332
; %bb.1313:
	v_cmp_lt_i16_e64 s3, s9, 2
	s_delay_alu instid0(VALU_DEP_1)
	s_and_b32 vcc_lo, exec_lo, s3
	s_cbranch_vccnz .LBB456_1317
; %bb.1314:
	v_cmp_lt_i16_e64 s3, s9, 3
	s_delay_alu instid0(VALU_DEP_1)
	s_and_b32 vcc_lo, exec_lo, s3
	s_cbranch_vccnz .LBB456_1318
; %bb.1315:
	v_cmp_gt_i16_e64 s3, s9, 3
	s_delay_alu instid0(VALU_DEP_1)
	s_and_b32 vcc_lo, exec_lo, s3
	s_cbranch_vccz .LBB456_1319
; %bb.1316:
	global_load_b64 v[2:3], v[0:1], off
	s_mov_b32 s3, 0
	s_branch .LBB456_1320
.LBB456_1317:
	s_mov_b32 s3, -1
                                        ; implicit-def: $vgpr2
	s_branch .LBB456_1326
.LBB456_1318:
	s_mov_b32 s3, -1
                                        ; implicit-def: $vgpr2
	s_branch .LBB456_1323
.LBB456_1319:
	s_mov_b32 s3, -1
                                        ; implicit-def: $vgpr2
.LBB456_1320:
	s_delay_alu instid0(SALU_CYCLE_1)
	s_and_not1_b32 vcc_lo, exec_lo, s3
	s_cbranch_vccnz .LBB456_1322
; %bb.1321:
	global_load_b32 v2, v[0:1], off
.LBB456_1322:
	s_mov_b32 s3, 0
.LBB456_1323:
	s_delay_alu instid0(SALU_CYCLE_1)
	s_and_not1_b32 vcc_lo, exec_lo, s3
	s_cbranch_vccnz .LBB456_1325
; %bb.1324:
	global_load_u16 v2, v[0:1], off
.LBB456_1325:
	s_mov_b32 s3, 0
.LBB456_1326:
	s_delay_alu instid0(SALU_CYCLE_1)
	s_and_not1_b32 vcc_lo, exec_lo, s3
	s_cbranch_vccnz .LBB456_1332
; %bb.1327:
	v_cmp_gt_i16_e64 s3, s9, 0
	s_delay_alu instid0(VALU_DEP_1)
	s_and_b32 vcc_lo, exec_lo, s3
	s_mov_b32 s3, 0
	s_cbranch_vccz .LBB456_1329
; %bb.1328:
	global_load_i8 v2, v[0:1], off
	s_branch .LBB456_1330
.LBB456_1329:
	s_mov_b32 s3, -1
                                        ; implicit-def: $vgpr2
.LBB456_1330:
	s_delay_alu instid0(SALU_CYCLE_1)
	s_and_not1_b32 vcc_lo, exec_lo, s3
	s_cbranch_vccnz .LBB456_1332
; %bb.1331:
	global_load_u8 v2, v[0:1], off
.LBB456_1332:
	s_branch .LBB456_1400
.LBB456_1333:
	s_trap 2
	s_sendmsg_rtn_b32 s0, sendmsg(MSG_RTN_GET_DOORBELL)
	s_mov_b32 ttmp2, m0
	s_waitcnt lgkmcnt(0)
	s_and_b32 s0, s0, 0x3ff
	s_delay_alu instid0(SALU_CYCLE_1) | instskip(NEXT) | instid1(SALU_CYCLE_1)
	s_bitset1_b32 s0, 10
	s_mov_b32 m0, s0
	s_sendmsg sendmsg(MSG_INTERRUPT)
	s_mov_b32 m0, ttmp2
.LBB456_1334:                           ; =>This Inner Loop Header: Depth=1
	s_sethalt 5
	s_branch .LBB456_1334
.LBB456_1335:
	s_mov_b32 s3, -1
	s_mov_b32 s14, 0
.LBB456_1336:
                                        ; implicit-def: $vgpr2
.LBB456_1337:
	s_and_b32 vcc_lo, exec_lo, s15
	s_cbranch_vccz .LBB456_1341
; %bb.1338:
	v_cmp_eq_u16_e64 s3, s9, 44
	s_delay_alu instid0(VALU_DEP_1)
	s_and_b32 vcc_lo, exec_lo, s3
	s_cbranch_vccz .LBB456_1340
; %bb.1339:
	global_load_u8 v2, v[0:1], off
	s_mov_b32 s3, 0
	s_mov_b32 s14, -1
	s_waitcnt vmcnt(0)
	v_lshlrev_b32_e32 v3, 23, v2
	v_cmp_ne_u32_e32 vcc_lo, 0, v2
	s_delay_alu instid0(VALU_DEP_2) | instskip(NEXT) | instid1(VALU_DEP_1)
	v_cvt_i32_f32_e32 v3, v3
	v_cndmask_b32_e32 v2, 0, v3, vcc_lo
	s_branch .LBB456_1341
.LBB456_1340:
	s_mov_b32 s3, -1
                                        ; implicit-def: $vgpr2
.LBB456_1341:
	s_mov_b32 s15, 0
.LBB456_1342:
	s_delay_alu instid0(SALU_CYCLE_1)
	s_and_b32 vcc_lo, exec_lo, s15
	s_cbranch_vccz .LBB456_1346
; %bb.1343:
	v_cmp_eq_u16_e64 s3, s9, 29
	s_delay_alu instid0(VALU_DEP_1)
	s_and_b32 vcc_lo, exec_lo, s3
	s_cbranch_vccz .LBB456_1345
; %bb.1344:
	global_load_b64 v[2:3], v[0:1], off
	s_mov_b32 s3, 0
	s_mov_b32 s14, -1
	s_branch .LBB456_1346
.LBB456_1345:
	s_mov_b32 s3, -1
                                        ; implicit-def: $vgpr2
.LBB456_1346:
	s_mov_b32 s15, 0
.LBB456_1347:
	s_delay_alu instid0(SALU_CYCLE_1)
	s_and_b32 vcc_lo, exec_lo, s15
	s_cbranch_vccz .LBB456_1363
; %bb.1348:
	v_cmp_lt_i16_e64 s14, s9, 27
	s_delay_alu instid0(VALU_DEP_1)
	s_and_b32 vcc_lo, exec_lo, s14
	s_cbranch_vccnz .LBB456_1351
; %bb.1349:
	v_cmp_gt_i16_e64 s14, s9, 27
	s_delay_alu instid0(VALU_DEP_1)
	s_and_b32 vcc_lo, exec_lo, s14
	s_cbranch_vccz .LBB456_1352
; %bb.1350:
	global_load_b32 v2, v[0:1], off
	s_mov_b32 s14, 0
	s_branch .LBB456_1353
.LBB456_1351:
	s_mov_b32 s14, -1
                                        ; implicit-def: $vgpr2
	s_branch .LBB456_1356
.LBB456_1352:
	s_mov_b32 s14, -1
                                        ; implicit-def: $vgpr2
.LBB456_1353:
	s_delay_alu instid0(SALU_CYCLE_1)
	s_and_not1_b32 vcc_lo, exec_lo, s14
	s_cbranch_vccnz .LBB456_1355
; %bb.1354:
	global_load_u16 v2, v[0:1], off
.LBB456_1355:
	s_mov_b32 s14, 0
.LBB456_1356:
	s_delay_alu instid0(SALU_CYCLE_1)
	s_and_not1_b32 vcc_lo, exec_lo, s14
	s_cbranch_vccnz .LBB456_1362
; %bb.1357:
	global_load_u8 v3, v[0:1], off
	s_mov_b32 s14, 0
	s_mov_b32 s15, exec_lo
                                        ; implicit-def: $sgpr16
	s_waitcnt vmcnt(0)
	v_cmpx_lt_i16_e32 0x7f, v3
	s_xor_b32 s15, exec_lo, s15
	s_cbranch_execz .LBB456_1374
; %bb.1358:
	v_cmp_ne_u16_e32 vcc_lo, 0x80, v3
	s_mov_b32 s16, 0
	s_and_b32 s14, vcc_lo, exec_lo
	s_or_saveexec_b32 s15, s15
	v_mov_b32_e32 v2, s16
	s_xor_b32 exec_lo, exec_lo, s15
	s_cbranch_execnz .LBB456_1375
.LBB456_1359:
	s_or_b32 exec_lo, exec_lo, s15
	s_and_saveexec_b32 s15, s14
	s_cbranch_execz .LBB456_1361
.LBB456_1360:
	v_and_b32_e32 v2, 0xffff, v3
	v_lshlrev_b32_e32 v3, 24, v3
	s_delay_alu instid0(VALU_DEP_2) | instskip(NEXT) | instid1(VALU_DEP_2)
	v_and_b32_e32 v7, 7, v2
	v_and_b32_e32 v3, 0x80000000, v3
	s_delay_alu instid0(VALU_DEP_2) | instskip(NEXT) | instid1(VALU_DEP_1)
	v_clz_i32_u32_e32 v8, v7
	v_min_u32_e32 v8, 32, v8
	s_delay_alu instid0(VALU_DEP_1) | instskip(SKIP_1) | instid1(VALU_DEP_2)
	v_subrev_nc_u32_e32 v10, 28, v8
	v_sub_nc_u32_e32 v8, 29, v8
	v_lshlrev_b32_e32 v10, v10, v2
	v_bfe_u32 v2, v2, 3, 4
	s_delay_alu instid0(VALU_DEP_2) | instskip(NEXT) | instid1(VALU_DEP_2)
	v_and_b32_e32 v10, 7, v10
	v_cmp_eq_u32_e32 vcc_lo, 0, v2
	s_delay_alu instid0(VALU_DEP_2) | instskip(NEXT) | instid1(VALU_DEP_1)
	v_dual_cndmask_b32 v2, v2, v8 :: v_dual_cndmask_b32 v7, v7, v10
	v_lshl_add_u32 v2, v2, 23, 0x3b800000
	s_delay_alu instid0(VALU_DEP_2) | instskip(NEXT) | instid1(VALU_DEP_1)
	v_lshlrev_b32_e32 v7, 20, v7
	v_or3_b32 v2, v3, v2, v7
	s_delay_alu instid0(VALU_DEP_1)
	v_cvt_i32_f32_e32 v2, v2
.LBB456_1361:
	s_or_b32 exec_lo, exec_lo, s15
.LBB456_1362:
	s_mov_b32 s14, -1
.LBB456_1363:
	s_mov_b32 s15, 0
.LBB456_1364:
	s_delay_alu instid0(SALU_CYCLE_1)
	s_and_b32 vcc_lo, exec_lo, s15
	s_cbranch_vccz .LBB456_1395
; %bb.1365:
	v_cmp_gt_i16_e64 s13, s9, 22
	s_delay_alu instid0(VALU_DEP_1)
	s_and_b32 vcc_lo, exec_lo, s13
	s_cbranch_vccz .LBB456_1373
; %bb.1366:
	v_cmp_lt_i16_e64 s13, s9, 24
	s_delay_alu instid0(VALU_DEP_1)
	s_and_b32 vcc_lo, exec_lo, s13
	s_cbranch_vccnz .LBB456_1376
; %bb.1367:
	v_cmp_gt_i16_e64 s13, s9, 24
	s_delay_alu instid0(VALU_DEP_1)
	s_and_b32 vcc_lo, exec_lo, s13
	s_cbranch_vccz .LBB456_1377
; %bb.1368:
	global_load_u8 v3, v[0:1], off
	s_mov_b32 s13, 0
	s_mov_b32 s14, exec_lo
                                        ; implicit-def: $sgpr15
	s_waitcnt vmcnt(0)
	v_cmpx_lt_i16_e32 0x7f, v3
	s_xor_b32 s14, exec_lo, s14
	s_cbranch_execz .LBB456_1389
; %bb.1369:
	v_cmp_ne_u16_e32 vcc_lo, 0x80, v3
	s_mov_b32 s15, 0
	s_and_b32 s13, vcc_lo, exec_lo
	s_or_saveexec_b32 s14, s14
	v_mov_b32_e32 v2, s15
	s_xor_b32 exec_lo, exec_lo, s14
	s_cbranch_execnz .LBB456_1390
.LBB456_1370:
	s_or_b32 exec_lo, exec_lo, s14
	s_and_saveexec_b32 s14, s13
	s_cbranch_execz .LBB456_1372
.LBB456_1371:
	v_and_b32_e32 v2, 0xffff, v3
	v_lshlrev_b32_e32 v3, 24, v3
	s_delay_alu instid0(VALU_DEP_2) | instskip(NEXT) | instid1(VALU_DEP_2)
	v_and_b32_e32 v7, 3, v2
	v_and_b32_e32 v3, 0x80000000, v3
	s_delay_alu instid0(VALU_DEP_2) | instskip(NEXT) | instid1(VALU_DEP_1)
	v_clz_i32_u32_e32 v8, v7
	v_min_u32_e32 v8, 32, v8
	s_delay_alu instid0(VALU_DEP_1) | instskip(SKIP_1) | instid1(VALU_DEP_2)
	v_subrev_nc_u32_e32 v10, 29, v8
	v_sub_nc_u32_e32 v8, 30, v8
	v_lshlrev_b32_e32 v10, v10, v2
	v_bfe_u32 v2, v2, 2, 5
	s_delay_alu instid0(VALU_DEP_2) | instskip(NEXT) | instid1(VALU_DEP_2)
	v_and_b32_e32 v10, 3, v10
	v_cmp_eq_u32_e32 vcc_lo, 0, v2
	s_delay_alu instid0(VALU_DEP_2) | instskip(NEXT) | instid1(VALU_DEP_1)
	v_dual_cndmask_b32 v2, v2, v8 :: v_dual_cndmask_b32 v7, v7, v10
	v_lshl_add_u32 v2, v2, 23, 0x37800000
	s_delay_alu instid0(VALU_DEP_2) | instskip(NEXT) | instid1(VALU_DEP_1)
	v_lshlrev_b32_e32 v7, 21, v7
	v_or3_b32 v2, v3, v2, v7
	s_delay_alu instid0(VALU_DEP_1)
	v_cvt_i32_f32_e32 v2, v2
.LBB456_1372:
	s_or_b32 exec_lo, exec_lo, s14
	s_mov_b32 s13, 0
	s_branch .LBB456_1378
.LBB456_1373:
	s_mov_b32 s13, -1
                                        ; implicit-def: $vgpr2
	s_branch .LBB456_1384
.LBB456_1374:
	s_or_saveexec_b32 s15, s15
	v_mov_b32_e32 v2, s16
	s_xor_b32 exec_lo, exec_lo, s15
	s_cbranch_execz .LBB456_1359
.LBB456_1375:
	v_cmp_ne_u16_e32 vcc_lo, 0, v3
	v_mov_b32_e32 v2, 0
	s_and_not1_b32 s14, s14, exec_lo
	s_and_b32 s16, vcc_lo, exec_lo
	s_delay_alu instid0(SALU_CYCLE_1)
	s_or_b32 s14, s14, s16
	s_or_b32 exec_lo, exec_lo, s15
	s_and_saveexec_b32 s15, s14
	s_cbranch_execnz .LBB456_1360
	s_branch .LBB456_1361
.LBB456_1376:
	s_mov_b32 s13, -1
                                        ; implicit-def: $vgpr2
	s_branch .LBB456_1381
.LBB456_1377:
	s_mov_b32 s13, -1
                                        ; implicit-def: $vgpr2
.LBB456_1378:
	s_delay_alu instid0(SALU_CYCLE_1)
	s_and_b32 vcc_lo, exec_lo, s13
	s_cbranch_vccz .LBB456_1380
; %bb.1379:
	global_load_u8 v2, v[0:1], off
	s_waitcnt vmcnt(0)
	v_lshlrev_b32_e32 v2, 24, v2
	s_delay_alu instid0(VALU_DEP_1) | instskip(NEXT) | instid1(VALU_DEP_1)
	v_and_b32_e32 v3, 0x7f000000, v2
	v_clz_i32_u32_e32 v7, v3
	v_add_nc_u32_e32 v10, 0x1000000, v3
	v_cmp_ne_u32_e32 vcc_lo, 0, v3
	s_delay_alu instid0(VALU_DEP_3) | instskip(NEXT) | instid1(VALU_DEP_1)
	v_min_u32_e32 v7, 32, v7
	v_sub_nc_u32_e64 v7, v7, 4 clamp
	s_delay_alu instid0(VALU_DEP_1) | instskip(SKIP_1) | instid1(VALU_DEP_2)
	v_lshlrev_b32_e32 v8, v7, v3
	v_lshlrev_b32_e32 v7, 23, v7
	v_lshrrev_b32_e32 v8, 4, v8
	s_delay_alu instid0(VALU_DEP_1) | instskip(SKIP_1) | instid1(VALU_DEP_2)
	v_sub_nc_u32_e32 v7, v8, v7
	v_ashrrev_i32_e32 v8, 8, v10
	v_add_nc_u32_e32 v7, 0x3c000000, v7
	s_delay_alu instid0(VALU_DEP_1) | instskip(NEXT) | instid1(VALU_DEP_1)
	v_and_or_b32 v7, 0x7f800000, v8, v7
	v_cndmask_b32_e32 v3, 0, v7, vcc_lo
	s_delay_alu instid0(VALU_DEP_1) | instskip(NEXT) | instid1(VALU_DEP_1)
	v_and_or_b32 v2, 0x80000000, v2, v3
	v_cvt_i32_f32_e32 v2, v2
.LBB456_1380:
	s_mov_b32 s13, 0
.LBB456_1381:
	s_delay_alu instid0(SALU_CYCLE_1)
	s_and_not1_b32 vcc_lo, exec_lo, s13
	s_cbranch_vccnz .LBB456_1383
; %bb.1382:
	global_load_u8 v2, v[0:1], off
	s_waitcnt vmcnt(0)
	v_lshlrev_b32_e32 v3, 25, v2
	v_lshlrev_b16 v2, 8, v2
	s_delay_alu instid0(VALU_DEP_1) | instskip(SKIP_1) | instid1(VALU_DEP_2)
	v_and_or_b32 v8, 0x7f00, v2, 0.5
	v_bfe_i32 v2, v2, 0, 16
	v_add_f32_e32 v8, -0.5, v8
	v_lshrrev_b32_e32 v7, 4, v3
	v_cmp_gt_u32_e32 vcc_lo, 0x8000000, v3
	s_delay_alu instid0(VALU_DEP_2) | instskip(NEXT) | instid1(VALU_DEP_1)
	v_or_b32_e32 v7, 0x70000000, v7
	v_mul_f32_e32 v7, 0x7800000, v7
	s_delay_alu instid0(VALU_DEP_1) | instskip(NEXT) | instid1(VALU_DEP_1)
	v_cndmask_b32_e32 v3, v7, v8, vcc_lo
	v_and_or_b32 v2, 0x80000000, v2, v3
	s_delay_alu instid0(VALU_DEP_1)
	v_cvt_i32_f32_e32 v2, v2
.LBB456_1383:
	s_mov_b32 s13, 0
	s_mov_b32 s14, -1
.LBB456_1384:
	s_and_not1_b32 vcc_lo, exec_lo, s13
	s_mov_b32 s13, 0
	s_cbranch_vccnz .LBB456_1395
; %bb.1385:
	v_cmp_gt_i16_e64 s13, s9, 14
	s_delay_alu instid0(VALU_DEP_1)
	s_and_b32 vcc_lo, exec_lo, s13
	s_cbranch_vccz .LBB456_1388
; %bb.1386:
	v_cmp_eq_u16_e64 s3, s9, 15
	s_delay_alu instid0(VALU_DEP_1)
	s_and_b32 vcc_lo, exec_lo, s3
	s_cbranch_vccz .LBB456_1391
; %bb.1387:
	global_load_u16 v2, v[0:1], off
	s_mov_b32 s3, 0
	s_mov_b32 s14, -1
	s_waitcnt vmcnt(0)
	v_lshlrev_b32_e32 v2, 16, v2
	s_delay_alu instid0(VALU_DEP_1)
	v_cvt_i32_f32_e32 v2, v2
	s_branch .LBB456_1392
.LBB456_1388:
	s_mov_b32 s13, -1
                                        ; implicit-def: $vgpr2
	s_branch .LBB456_1393
.LBB456_1389:
	s_or_saveexec_b32 s14, s14
	v_mov_b32_e32 v2, s15
	s_xor_b32 exec_lo, exec_lo, s14
	s_cbranch_execz .LBB456_1370
.LBB456_1390:
	v_cmp_ne_u16_e32 vcc_lo, 0, v3
	v_mov_b32_e32 v2, 0
	s_and_not1_b32 s13, s13, exec_lo
	s_and_b32 s15, vcc_lo, exec_lo
	s_delay_alu instid0(SALU_CYCLE_1)
	s_or_b32 s13, s13, s15
	s_or_b32 exec_lo, exec_lo, s14
	s_and_saveexec_b32 s14, s13
	s_cbranch_execnz .LBB456_1371
	s_branch .LBB456_1372
.LBB456_1391:
	s_mov_b32 s3, -1
                                        ; implicit-def: $vgpr2
.LBB456_1392:
	s_mov_b32 s13, 0
.LBB456_1393:
	s_delay_alu instid0(SALU_CYCLE_1)
	s_and_b32 vcc_lo, exec_lo, s13
	s_mov_b32 s13, 0
	s_cbranch_vccz .LBB456_1395
; %bb.1394:
	v_cmp_ne_u16_e64 s3, s9, 11
	s_mov_b32 s13, -1
                                        ; implicit-def: $vgpr2
.LBB456_1395:
	s_delay_alu instid0(VALU_DEP_1)
	s_and_b32 vcc_lo, exec_lo, s3
	s_cbranch_vccnz .LBB456_1411
; %bb.1396:
	s_and_not1_b32 vcc_lo, exec_lo, s13
	s_cbranch_vccnz .LBB456_1398
.LBB456_1397:
	global_load_u8 v2, v[0:1], off
	s_mov_b32 s14, -1
	s_waitcnt vmcnt(0)
	v_cmp_ne_u16_e32 vcc_lo, 0, v2
	v_cndmask_b32_e64 v2, 0, 1, vcc_lo
.LBB456_1398:
.LBB456_1399:
	s_and_not1_b32 vcc_lo, exec_lo, s14
	s_cbranch_vccnz .LBB456_1963
.LBB456_1400:
	v_add_nc_u32_e32 v0, s0, v5
	v_cmp_lt_i16_e64 s0, s9, 11
	s_delay_alu instid0(VALU_DEP_2) | instskip(SKIP_1) | instid1(VALU_DEP_2)
	v_ashrrev_i32_e32 v1, 31, v0
	v_add_co_u32 v7, vcc_lo, s6, v0
	v_add_co_ci_u32_e32 v8, vcc_lo, s7, v1, vcc_lo
	s_delay_alu instid0(VALU_DEP_4)
	s_and_b32 vcc_lo, exec_lo, s0
	s_cbranch_vccnz .LBB456_1407
; %bb.1401:
	v_cmp_gt_i16_e64 s0, s9, 25
	s_mov_b32 s3, 0
	s_delay_alu instid0(VALU_DEP_1)
	s_and_b32 vcc_lo, exec_lo, s0
	s_cbranch_vccz .LBB456_1408
; %bb.1402:
	v_cmp_gt_i16_e64 s0, s9, 28
	s_delay_alu instid0(VALU_DEP_1)
	s_and_b32 vcc_lo, exec_lo, s0
	s_cbranch_vccz .LBB456_1409
; %bb.1403:
	v_cmp_gt_i16_e64 s0, s9, 43
	;; [unrolled: 5-line block ×3, first 2 shown]
	s_delay_alu instid0(VALU_DEP_1)
	s_and_b32 vcc_lo, exec_lo, s0
	s_cbranch_vccz .LBB456_1413
; %bb.1405:
	v_cmp_eq_u16_e64 s0, s9, 46
	s_mov_b32 s7, 0
	s_delay_alu instid0(VALU_DEP_1)
	s_and_b32 vcc_lo, exec_lo, s0
	s_cbranch_vccz .LBB456_1416
; %bb.1406:
	global_load_b32 v0, v[7:8], off
	s_mov_b32 s0, 0
	s_mov_b32 s6, -1
	s_waitcnt vmcnt(0)
	v_lshlrev_b32_e32 v0, 16, v0
	s_delay_alu instid0(VALU_DEP_1)
	v_cvt_i32_f32_e32 v0, v0
	s_branch .LBB456_1418
.LBB456_1407:
	s_mov_b32 s0, -1
	s_mov_b32 s6, 0
                                        ; implicit-def: $vgpr0
	s_branch .LBB456_1480
.LBB456_1408:
	s_mov_b32 s7, -1
	s_mov_b32 s6, 0
	s_mov_b32 s0, 0
                                        ; implicit-def: $vgpr0
	s_branch .LBB456_1445
.LBB456_1409:
	s_mov_b32 s7, -1
	s_mov_b32 s6, 0
	s_mov_b32 s0, 0
                                        ; implicit-def: $vgpr0
	s_branch .LBB456_1428
.LBB456_1410:
	s_mov_b32 s7, -1
	s_mov_b32 s6, 0
	s_mov_b32 s0, 0
                                        ; implicit-def: $vgpr0
	s_branch .LBB456_1423
.LBB456_1411:
	s_cbranch_execnz .LBB456_1414
; %bb.1412:
	s_or_b32 s10, s10, exec_lo
                                        ; implicit-def: $vgpr2
	s_cbranch_execz .LBB456_1397
	s_branch .LBB456_1398
.LBB456_1413:
	s_mov_b32 s7, -1
	s_mov_b32 s6, 0
	s_mov_b32 s0, 0
	s_branch .LBB456_1417
.LBB456_1414:
	s_trap 2
	s_sendmsg_rtn_b32 s0, sendmsg(MSG_RTN_GET_DOORBELL)
	s_mov_b32 ttmp2, m0
	s_waitcnt lgkmcnt(0)
	s_and_b32 s0, s0, 0x3ff
	s_delay_alu instid0(SALU_CYCLE_1) | instskip(NEXT) | instid1(SALU_CYCLE_1)
	s_bitset1_b32 s0, 10
	s_mov_b32 m0, s0
	s_sendmsg sendmsg(MSG_INTERRUPT)
	s_mov_b32 m0, ttmp2
.LBB456_1415:                           ; =>This Inner Loop Header: Depth=1
	s_sethalt 5
	s_branch .LBB456_1415
.LBB456_1416:
	s_mov_b32 s0, -1
	s_mov_b32 s6, 0
.LBB456_1417:
                                        ; implicit-def: $vgpr0
.LBB456_1418:
	s_and_b32 vcc_lo, exec_lo, s7
	s_cbranch_vccz .LBB456_1422
; %bb.1419:
	v_cmp_eq_u16_e64 s0, s9, 44
	s_delay_alu instid0(VALU_DEP_1)
	s_and_b32 vcc_lo, exec_lo, s0
	s_cbranch_vccz .LBB456_1421
; %bb.1420:
	global_load_u8 v0, v[7:8], off
	s_mov_b32 s0, 0
	s_mov_b32 s6, -1
	s_waitcnt vmcnt(0)
	v_lshlrev_b32_e32 v1, 23, v0
	v_cmp_ne_u32_e32 vcc_lo, 0, v0
	s_delay_alu instid0(VALU_DEP_2) | instskip(NEXT) | instid1(VALU_DEP_1)
	v_cvt_i32_f32_e32 v1, v1
	v_cndmask_b32_e32 v0, 0, v1, vcc_lo
	s_branch .LBB456_1422
.LBB456_1421:
	s_mov_b32 s0, -1
                                        ; implicit-def: $vgpr0
.LBB456_1422:
	s_mov_b32 s7, 0
.LBB456_1423:
	s_delay_alu instid0(SALU_CYCLE_1)
	s_and_b32 vcc_lo, exec_lo, s7
	s_cbranch_vccz .LBB456_1427
; %bb.1424:
	v_cmp_eq_u16_e64 s0, s9, 29
	s_delay_alu instid0(VALU_DEP_1)
	s_and_b32 vcc_lo, exec_lo, s0
	s_cbranch_vccz .LBB456_1426
; %bb.1425:
	global_load_b64 v[0:1], v[7:8], off
	s_mov_b32 s0, 0
	s_mov_b32 s6, -1
	s_branch .LBB456_1427
.LBB456_1426:
	s_mov_b32 s0, -1
                                        ; implicit-def: $vgpr0
.LBB456_1427:
	s_mov_b32 s7, 0
.LBB456_1428:
	s_delay_alu instid0(SALU_CYCLE_1)
	s_and_b32 vcc_lo, exec_lo, s7
	s_cbranch_vccz .LBB456_1444
; %bb.1429:
	v_cmp_lt_i16_e64 s6, s9, 27
	s_delay_alu instid0(VALU_DEP_1)
	s_and_b32 vcc_lo, exec_lo, s6
	s_cbranch_vccnz .LBB456_1432
; %bb.1430:
	v_cmp_gt_i16_e64 s6, s9, 27
	s_delay_alu instid0(VALU_DEP_1)
	s_and_b32 vcc_lo, exec_lo, s6
	s_cbranch_vccz .LBB456_1433
; %bb.1431:
	global_load_b32 v0, v[7:8], off
	s_mov_b32 s6, 0
	s_branch .LBB456_1434
.LBB456_1432:
	s_mov_b32 s6, -1
                                        ; implicit-def: $vgpr0
	s_branch .LBB456_1437
.LBB456_1433:
	s_mov_b32 s6, -1
                                        ; implicit-def: $vgpr0
.LBB456_1434:
	s_delay_alu instid0(SALU_CYCLE_1)
	s_and_not1_b32 vcc_lo, exec_lo, s6
	s_cbranch_vccnz .LBB456_1436
; %bb.1435:
	global_load_u16 v0, v[7:8], off
.LBB456_1436:
	s_mov_b32 s6, 0
.LBB456_1437:
	s_delay_alu instid0(SALU_CYCLE_1)
	s_and_not1_b32 vcc_lo, exec_lo, s6
	s_cbranch_vccnz .LBB456_1443
; %bb.1438:
	global_load_u8 v1, v[7:8], off
	s_mov_b32 s6, 0
	s_mov_b32 s7, exec_lo
                                        ; implicit-def: $sgpr13
	s_waitcnt vmcnt(0)
	v_cmpx_lt_i16_e32 0x7f, v1
	s_xor_b32 s7, exec_lo, s7
	s_cbranch_execz .LBB456_1455
; %bb.1439:
	v_cmp_ne_u16_e32 vcc_lo, 0x80, v1
	s_mov_b32 s13, 0
	s_and_b32 s6, vcc_lo, exec_lo
	s_or_saveexec_b32 s7, s7
	v_mov_b32_e32 v0, s13
	s_xor_b32 exec_lo, exec_lo, s7
	s_cbranch_execnz .LBB456_1456
.LBB456_1440:
	s_or_b32 exec_lo, exec_lo, s7
	s_and_saveexec_b32 s7, s6
	s_cbranch_execz .LBB456_1442
.LBB456_1441:
	v_and_b32_e32 v0, 0xffff, v1
	v_lshlrev_b32_e32 v1, 24, v1
	s_delay_alu instid0(VALU_DEP_2) | instskip(NEXT) | instid1(VALU_DEP_2)
	v_and_b32_e32 v3, 7, v0
	v_and_b32_e32 v1, 0x80000000, v1
	s_delay_alu instid0(VALU_DEP_2) | instskip(NEXT) | instid1(VALU_DEP_1)
	v_clz_i32_u32_e32 v5, v3
	v_min_u32_e32 v5, 32, v5
	s_delay_alu instid0(VALU_DEP_1) | instskip(SKIP_1) | instid1(VALU_DEP_2)
	v_subrev_nc_u32_e32 v10, 28, v5
	v_sub_nc_u32_e32 v5, 29, v5
	v_lshlrev_b32_e32 v10, v10, v0
	v_bfe_u32 v0, v0, 3, 4
	s_delay_alu instid0(VALU_DEP_2) | instskip(NEXT) | instid1(VALU_DEP_2)
	v_and_b32_e32 v10, 7, v10
	v_cmp_eq_u32_e32 vcc_lo, 0, v0
	s_delay_alu instid0(VALU_DEP_2) | instskip(NEXT) | instid1(VALU_DEP_1)
	v_dual_cndmask_b32 v0, v0, v5 :: v_dual_cndmask_b32 v3, v3, v10
	v_lshl_add_u32 v0, v0, 23, 0x3b800000
	s_delay_alu instid0(VALU_DEP_2) | instskip(NEXT) | instid1(VALU_DEP_1)
	v_lshlrev_b32_e32 v3, 20, v3
	v_or3_b32 v0, v1, v0, v3
	s_delay_alu instid0(VALU_DEP_1)
	v_cvt_i32_f32_e32 v0, v0
.LBB456_1442:
	s_or_b32 exec_lo, exec_lo, s7
.LBB456_1443:
	s_mov_b32 s6, -1
.LBB456_1444:
	s_mov_b32 s7, 0
.LBB456_1445:
	s_delay_alu instid0(SALU_CYCLE_1)
	s_and_b32 vcc_lo, exec_lo, s7
	s_cbranch_vccz .LBB456_1476
; %bb.1446:
	v_cmp_gt_i16_e64 s3, s9, 22
	s_delay_alu instid0(VALU_DEP_1)
	s_and_b32 vcc_lo, exec_lo, s3
	s_cbranch_vccz .LBB456_1454
; %bb.1447:
	v_cmp_lt_i16_e64 s3, s9, 24
	s_delay_alu instid0(VALU_DEP_1)
	s_and_b32 vcc_lo, exec_lo, s3
	s_cbranch_vccnz .LBB456_1457
; %bb.1448:
	v_cmp_gt_i16_e64 s3, s9, 24
	s_delay_alu instid0(VALU_DEP_1)
	s_and_b32 vcc_lo, exec_lo, s3
	s_cbranch_vccz .LBB456_1458
; %bb.1449:
	global_load_u8 v1, v[7:8], off
	s_mov_b32 s3, 0
	s_mov_b32 s6, exec_lo
                                        ; implicit-def: $sgpr7
	s_waitcnt vmcnt(0)
	v_cmpx_lt_i16_e32 0x7f, v1
	s_xor_b32 s6, exec_lo, s6
	s_cbranch_execz .LBB456_1470
; %bb.1450:
	v_cmp_ne_u16_e32 vcc_lo, 0x80, v1
	s_mov_b32 s7, 0
	s_and_b32 s3, vcc_lo, exec_lo
	s_or_saveexec_b32 s6, s6
	v_mov_b32_e32 v0, s7
	s_xor_b32 exec_lo, exec_lo, s6
	s_cbranch_execnz .LBB456_1471
.LBB456_1451:
	s_or_b32 exec_lo, exec_lo, s6
	s_and_saveexec_b32 s6, s3
	s_cbranch_execz .LBB456_1453
.LBB456_1452:
	v_and_b32_e32 v0, 0xffff, v1
	v_lshlrev_b32_e32 v1, 24, v1
	s_delay_alu instid0(VALU_DEP_2) | instskip(NEXT) | instid1(VALU_DEP_2)
	v_and_b32_e32 v3, 3, v0
	v_and_b32_e32 v1, 0x80000000, v1
	s_delay_alu instid0(VALU_DEP_2) | instskip(NEXT) | instid1(VALU_DEP_1)
	v_clz_i32_u32_e32 v5, v3
	v_min_u32_e32 v5, 32, v5
	s_delay_alu instid0(VALU_DEP_1) | instskip(SKIP_1) | instid1(VALU_DEP_2)
	v_subrev_nc_u32_e32 v10, 29, v5
	v_sub_nc_u32_e32 v5, 30, v5
	v_lshlrev_b32_e32 v10, v10, v0
	v_bfe_u32 v0, v0, 2, 5
	s_delay_alu instid0(VALU_DEP_2) | instskip(NEXT) | instid1(VALU_DEP_2)
	v_and_b32_e32 v10, 3, v10
	v_cmp_eq_u32_e32 vcc_lo, 0, v0
	s_delay_alu instid0(VALU_DEP_2) | instskip(NEXT) | instid1(VALU_DEP_1)
	v_dual_cndmask_b32 v0, v0, v5 :: v_dual_cndmask_b32 v3, v3, v10
	v_lshl_add_u32 v0, v0, 23, 0x37800000
	s_delay_alu instid0(VALU_DEP_2) | instskip(NEXT) | instid1(VALU_DEP_1)
	v_lshlrev_b32_e32 v3, 21, v3
	v_or3_b32 v0, v1, v0, v3
	s_delay_alu instid0(VALU_DEP_1)
	v_cvt_i32_f32_e32 v0, v0
.LBB456_1453:
	s_or_b32 exec_lo, exec_lo, s6
	s_mov_b32 s3, 0
	s_branch .LBB456_1459
.LBB456_1454:
	s_mov_b32 s3, -1
                                        ; implicit-def: $vgpr0
	s_branch .LBB456_1465
.LBB456_1455:
	s_or_saveexec_b32 s7, s7
	v_mov_b32_e32 v0, s13
	s_xor_b32 exec_lo, exec_lo, s7
	s_cbranch_execz .LBB456_1440
.LBB456_1456:
	v_cmp_ne_u16_e32 vcc_lo, 0, v1
	v_mov_b32_e32 v0, 0
	s_and_not1_b32 s6, s6, exec_lo
	s_and_b32 s13, vcc_lo, exec_lo
	s_delay_alu instid0(SALU_CYCLE_1)
	s_or_b32 s6, s6, s13
	s_or_b32 exec_lo, exec_lo, s7
	s_and_saveexec_b32 s7, s6
	s_cbranch_execnz .LBB456_1441
	s_branch .LBB456_1442
.LBB456_1457:
	s_mov_b32 s3, -1
                                        ; implicit-def: $vgpr0
	s_branch .LBB456_1462
.LBB456_1458:
	s_mov_b32 s3, -1
                                        ; implicit-def: $vgpr0
.LBB456_1459:
	s_delay_alu instid0(SALU_CYCLE_1)
	s_and_b32 vcc_lo, exec_lo, s3
	s_cbranch_vccz .LBB456_1461
; %bb.1460:
	global_load_u8 v0, v[7:8], off
	s_waitcnt vmcnt(0)
	v_lshlrev_b32_e32 v0, 24, v0
	s_delay_alu instid0(VALU_DEP_1) | instskip(NEXT) | instid1(VALU_DEP_1)
	v_and_b32_e32 v1, 0x7f000000, v0
	v_clz_i32_u32_e32 v3, v1
	v_add_nc_u32_e32 v10, 0x1000000, v1
	v_cmp_ne_u32_e32 vcc_lo, 0, v1
	s_delay_alu instid0(VALU_DEP_3) | instskip(NEXT) | instid1(VALU_DEP_1)
	v_min_u32_e32 v3, 32, v3
	v_sub_nc_u32_e64 v3, v3, 4 clamp
	s_delay_alu instid0(VALU_DEP_1) | instskip(SKIP_1) | instid1(VALU_DEP_2)
	v_lshlrev_b32_e32 v5, v3, v1
	v_lshlrev_b32_e32 v3, 23, v3
	v_lshrrev_b32_e32 v5, 4, v5
	s_delay_alu instid0(VALU_DEP_1) | instskip(SKIP_1) | instid1(VALU_DEP_2)
	v_sub_nc_u32_e32 v3, v5, v3
	v_ashrrev_i32_e32 v5, 8, v10
	v_add_nc_u32_e32 v3, 0x3c000000, v3
	s_delay_alu instid0(VALU_DEP_1) | instskip(NEXT) | instid1(VALU_DEP_1)
	v_and_or_b32 v3, 0x7f800000, v5, v3
	v_cndmask_b32_e32 v1, 0, v3, vcc_lo
	s_delay_alu instid0(VALU_DEP_1) | instskip(NEXT) | instid1(VALU_DEP_1)
	v_and_or_b32 v0, 0x80000000, v0, v1
	v_cvt_i32_f32_e32 v0, v0
.LBB456_1461:
	s_mov_b32 s3, 0
.LBB456_1462:
	s_delay_alu instid0(SALU_CYCLE_1)
	s_and_not1_b32 vcc_lo, exec_lo, s3
	s_cbranch_vccnz .LBB456_1464
; %bb.1463:
	global_load_u8 v0, v[7:8], off
	s_waitcnt vmcnt(0)
	v_lshlrev_b32_e32 v1, 25, v0
	v_lshlrev_b16 v0, 8, v0
	s_delay_alu instid0(VALU_DEP_2) | instskip(NEXT) | instid1(VALU_DEP_2)
	v_lshrrev_b32_e32 v3, 4, v1
	v_and_or_b32 v5, 0x7f00, v0, 0.5
	v_cmp_gt_u32_e32 vcc_lo, 0x8000000, v1
	v_bfe_i32 v0, v0, 0, 16
	s_delay_alu instid0(VALU_DEP_4) | instskip(NEXT) | instid1(VALU_DEP_4)
	v_or_b32_e32 v3, 0x70000000, v3
	v_add_f32_e32 v5, -0.5, v5
	s_delay_alu instid0(VALU_DEP_2) | instskip(NEXT) | instid1(VALU_DEP_1)
	v_mul_f32_e32 v3, 0x7800000, v3
	v_cndmask_b32_e32 v1, v3, v5, vcc_lo
	s_delay_alu instid0(VALU_DEP_1) | instskip(NEXT) | instid1(VALU_DEP_1)
	v_and_or_b32 v0, 0x80000000, v0, v1
	v_cvt_i32_f32_e32 v0, v0
.LBB456_1464:
	s_mov_b32 s3, 0
	s_mov_b32 s6, -1
.LBB456_1465:
	s_and_not1_b32 vcc_lo, exec_lo, s3
	s_mov_b32 s3, 0
	s_cbranch_vccnz .LBB456_1476
; %bb.1466:
	v_cmp_gt_i16_e64 s3, s9, 14
	s_delay_alu instid0(VALU_DEP_1)
	s_and_b32 vcc_lo, exec_lo, s3
	s_cbranch_vccz .LBB456_1469
; %bb.1467:
	v_cmp_eq_u16_e64 s0, s9, 15
	s_delay_alu instid0(VALU_DEP_1)
	s_and_b32 vcc_lo, exec_lo, s0
	s_cbranch_vccz .LBB456_1472
; %bb.1468:
	global_load_u16 v0, v[7:8], off
	s_mov_b32 s0, 0
	s_mov_b32 s6, -1
	s_waitcnt vmcnt(0)
	v_lshlrev_b32_e32 v0, 16, v0
	s_delay_alu instid0(VALU_DEP_1)
	v_cvt_i32_f32_e32 v0, v0
	s_branch .LBB456_1473
.LBB456_1469:
	s_mov_b32 s3, -1
                                        ; implicit-def: $vgpr0
	s_branch .LBB456_1474
.LBB456_1470:
	s_or_saveexec_b32 s6, s6
	v_mov_b32_e32 v0, s7
	s_xor_b32 exec_lo, exec_lo, s6
	s_cbranch_execz .LBB456_1451
.LBB456_1471:
	v_cmp_ne_u16_e32 vcc_lo, 0, v1
	v_mov_b32_e32 v0, 0
	s_and_not1_b32 s3, s3, exec_lo
	s_and_b32 s7, vcc_lo, exec_lo
	s_delay_alu instid0(SALU_CYCLE_1)
	s_or_b32 s3, s3, s7
	s_or_b32 exec_lo, exec_lo, s6
	s_and_saveexec_b32 s6, s3
	s_cbranch_execnz .LBB456_1452
	s_branch .LBB456_1453
.LBB456_1472:
	s_mov_b32 s0, -1
                                        ; implicit-def: $vgpr0
.LBB456_1473:
	s_mov_b32 s3, 0
.LBB456_1474:
	s_delay_alu instid0(SALU_CYCLE_1)
	s_and_b32 vcc_lo, exec_lo, s3
	s_mov_b32 s3, 0
	s_cbranch_vccz .LBB456_1476
; %bb.1475:
	v_cmp_ne_u16_e64 s0, s9, 11
	s_mov_b32 s3, -1
                                        ; implicit-def: $vgpr0
.LBB456_1476:
	s_delay_alu instid0(VALU_DEP_1)
	s_and_b32 vcc_lo, exec_lo, s0
	s_cbranch_vccnz .LBB456_2009
; %bb.1477:
	s_and_not1_b32 vcc_lo, exec_lo, s3
	s_cbranch_vccnz .LBB456_1479
.LBB456_1478:
	global_load_u8 v0, v[7:8], off
	s_mov_b32 s6, -1
	s_waitcnt vmcnt(0)
	v_cmp_ne_u16_e32 vcc_lo, 0, v0
	v_cndmask_b32_e64 v0, 0, 1, vcc_lo
.LBB456_1479:
	s_mov_b32 s0, 0
.LBB456_1480:
	s_delay_alu instid0(SALU_CYCLE_1)
	s_and_b32 vcc_lo, exec_lo, s0
	s_cbranch_vccz .LBB456_1529
; %bb.1481:
	v_cmp_lt_i16_e64 s0, s9, 5
	s_delay_alu instid0(VALU_DEP_1)
	s_and_b32 vcc_lo, exec_lo, s0
	s_cbranch_vccnz .LBB456_1486
; %bb.1482:
	v_cmp_lt_i16_e64 s0, s9, 8
	s_delay_alu instid0(VALU_DEP_1)
	s_and_b32 vcc_lo, exec_lo, s0
	s_cbranch_vccnz .LBB456_1487
	;; [unrolled: 5-line block ×3, first 2 shown]
; %bb.1484:
	v_cmp_gt_i16_e64 s0, s9, 9
	s_delay_alu instid0(VALU_DEP_1)
	s_and_b32 vcc_lo, exec_lo, s0
	s_cbranch_vccz .LBB456_1489
; %bb.1485:
	global_load_b64 v[0:1], v[7:8], off
	s_mov_b32 s0, 0
	s_waitcnt vmcnt(0)
	v_cvt_i32_f64_e32 v0, v[0:1]
	s_branch .LBB456_1490
.LBB456_1486:
	s_mov_b32 s0, -1
                                        ; implicit-def: $vgpr0
	s_branch .LBB456_1508
.LBB456_1487:
	s_mov_b32 s0, -1
                                        ; implicit-def: $vgpr0
	s_branch .LBB456_1496
.LBB456_1488:
	s_mov_b32 s0, -1
                                        ; implicit-def: $vgpr0
	s_branch .LBB456_1493
.LBB456_1489:
	s_mov_b32 s0, -1
                                        ; implicit-def: $vgpr0
.LBB456_1490:
	s_delay_alu instid0(SALU_CYCLE_1)
	s_and_not1_b32 vcc_lo, exec_lo, s0
	s_cbranch_vccnz .LBB456_1492
; %bb.1491:
	global_load_b32 v0, v[7:8], off
	s_waitcnt vmcnt(0)
	v_cvt_i32_f32_e32 v0, v0
.LBB456_1492:
	s_mov_b32 s0, 0
.LBB456_1493:
	s_delay_alu instid0(SALU_CYCLE_1)
	s_and_not1_b32 vcc_lo, exec_lo, s0
	s_cbranch_vccnz .LBB456_1495
; %bb.1494:
	global_load_b32 v0, v[7:8], off
	s_waitcnt vmcnt(0)
	v_cvt_i16_f16_e32 v0, v0
.LBB456_1495:
	s_mov_b32 s0, 0
.LBB456_1496:
	s_delay_alu instid0(SALU_CYCLE_1)
	s_and_not1_b32 vcc_lo, exec_lo, s0
	s_cbranch_vccnz .LBB456_1507
; %bb.1497:
	v_cmp_lt_i16_e64 s0, s9, 6
	s_delay_alu instid0(VALU_DEP_1)
	s_and_b32 vcc_lo, exec_lo, s0
	s_cbranch_vccnz .LBB456_1500
; %bb.1498:
	v_cmp_gt_i16_e64 s0, s9, 6
	s_delay_alu instid0(VALU_DEP_1)
	s_and_b32 vcc_lo, exec_lo, s0
	s_cbranch_vccz .LBB456_1501
; %bb.1499:
	global_load_b64 v[0:1], v[7:8], off
	s_mov_b32 s0, 0
	s_waitcnt vmcnt(0)
	v_cvt_i32_f64_e32 v0, v[0:1]
	s_branch .LBB456_1502
.LBB456_1500:
	s_mov_b32 s0, -1
                                        ; implicit-def: $vgpr0
	s_branch .LBB456_1505
.LBB456_1501:
	s_mov_b32 s0, -1
                                        ; implicit-def: $vgpr0
.LBB456_1502:
	s_delay_alu instid0(SALU_CYCLE_1)
	s_and_not1_b32 vcc_lo, exec_lo, s0
	s_cbranch_vccnz .LBB456_1504
; %bb.1503:
	global_load_b32 v0, v[7:8], off
	s_waitcnt vmcnt(0)
	v_cvt_i32_f32_e32 v0, v0
.LBB456_1504:
	s_mov_b32 s0, 0
.LBB456_1505:
	s_delay_alu instid0(SALU_CYCLE_1)
	s_and_not1_b32 vcc_lo, exec_lo, s0
	s_cbranch_vccnz .LBB456_1507
; %bb.1506:
	global_load_u16 v0, v[7:8], off
	s_waitcnt vmcnt(0)
	v_cvt_i16_f16_e32 v0, v0
.LBB456_1507:
	s_mov_b32 s0, 0
.LBB456_1508:
	s_delay_alu instid0(SALU_CYCLE_1)
	s_and_not1_b32 vcc_lo, exec_lo, s0
	s_cbranch_vccnz .LBB456_1528
; %bb.1509:
	v_cmp_lt_i16_e64 s0, s9, 2
	s_delay_alu instid0(VALU_DEP_1)
	s_and_b32 vcc_lo, exec_lo, s0
	s_cbranch_vccnz .LBB456_1513
; %bb.1510:
	v_cmp_lt_i16_e64 s0, s9, 3
	s_delay_alu instid0(VALU_DEP_1)
	s_and_b32 vcc_lo, exec_lo, s0
	s_cbranch_vccnz .LBB456_1514
; %bb.1511:
	v_cmp_gt_i16_e64 s0, s9, 3
	s_delay_alu instid0(VALU_DEP_1)
	s_and_b32 vcc_lo, exec_lo, s0
	s_cbranch_vccz .LBB456_1515
; %bb.1512:
	global_load_b64 v[0:1], v[7:8], off
	s_mov_b32 s0, 0
	s_branch .LBB456_1516
.LBB456_1513:
	s_mov_b32 s0, -1
                                        ; implicit-def: $vgpr0
	s_branch .LBB456_1522
.LBB456_1514:
	s_mov_b32 s0, -1
                                        ; implicit-def: $vgpr0
	s_branch .LBB456_1519
.LBB456_1515:
	s_mov_b32 s0, -1
                                        ; implicit-def: $vgpr0
.LBB456_1516:
	s_delay_alu instid0(SALU_CYCLE_1)
	s_and_not1_b32 vcc_lo, exec_lo, s0
	s_cbranch_vccnz .LBB456_1518
; %bb.1517:
	global_load_b32 v0, v[7:8], off
.LBB456_1518:
	s_mov_b32 s0, 0
.LBB456_1519:
	s_delay_alu instid0(SALU_CYCLE_1)
	s_and_not1_b32 vcc_lo, exec_lo, s0
	s_cbranch_vccnz .LBB456_1521
; %bb.1520:
	global_load_u16 v0, v[7:8], off
.LBB456_1521:
	s_mov_b32 s0, 0
.LBB456_1522:
	s_delay_alu instid0(SALU_CYCLE_1)
	s_and_not1_b32 vcc_lo, exec_lo, s0
	s_cbranch_vccnz .LBB456_1528
; %bb.1523:
	v_cmp_gt_i16_e64 s0, s9, 0
	s_delay_alu instid0(VALU_DEP_1)
	s_and_b32 vcc_lo, exec_lo, s0
	s_mov_b32 s0, 0
	s_cbranch_vccz .LBB456_1525
; %bb.1524:
	global_load_i8 v0, v[7:8], off
	s_branch .LBB456_1526
.LBB456_1525:
	s_mov_b32 s0, -1
                                        ; implicit-def: $vgpr0
.LBB456_1526:
	s_delay_alu instid0(SALU_CYCLE_1)
	s_and_not1_b32 vcc_lo, exec_lo, s0
	s_cbranch_vccnz .LBB456_1528
; %bb.1527:
	global_load_u8 v0, v[7:8], off
.LBB456_1528:
	s_mov_b32 s6, -1
.LBB456_1529:
	s_delay_alu instid0(SALU_CYCLE_1)
	s_and_not1_b32 vcc_lo, exec_lo, s6
	s_cbranch_vccnz .LBB456_1963
; %bb.1530:
	s_waitcnt vmcnt(0)
	v_mul_lo_u32 v1, s2, v9
	v_and_b32_e64 v7, 0xff, s1
	v_min_i16 v3, v6, s8
	s_delay_alu instid0(VALU_DEP_2) | instskip(NEXT) | instid1(VALU_DEP_4)
	v_cmp_gt_i16_e32 vcc_lo, 11, v7
	v_ashrrev_i32_e32 v6, 31, v1
	v_add_co_u32 v5, s0, s4, v1
	s_delay_alu instid0(VALU_DEP_1)
	v_add_co_ci_u32_e64 v6, s0, s5, v6, s0
	s_cbranch_vccnz .LBB456_1608
; %bb.1531:
	v_cmp_lt_i16_e32 vcc_lo, 25, v7
	s_mov_b32 s6, -1
	s_mov_b32 s1, 0
	s_mov_b32 s3, 0
	;; [unrolled: 1-line block ×3, first 2 shown]
	s_cbranch_vccz .LBB456_1564
; %bb.1532:
	v_cmp_lt_i16_e32 vcc_lo, 28, v7
	s_cbranch_vccz .LBB456_1547
; %bb.1533:
	v_cmp_lt_i16_e32 vcc_lo, 43, v7
	;; [unrolled: 3-line block ×3, first 2 shown]
	s_cbranch_vccz .LBB456_1537
; %bb.1535:
	v_cmp_eq_u16_e32 vcc_lo, 46, v7
	s_mov_b32 s0, -1
	s_mov_b32 s6, 0
	s_cbranch_vccz .LBB456_1537
; %bb.1536:
	v_bfe_i32 v8, v3, 0, 16
	s_mov_b32 s0, 0
	s_mov_b32 s3, -1
	s_delay_alu instid0(VALU_DEP_1) | instskip(NEXT) | instid1(VALU_DEP_1)
	v_cvt_f32_i32_e32 v8, v8
	v_bfe_u32 v9, v8, 16, 1
	s_delay_alu instid0(VALU_DEP_1) | instskip(NEXT) | instid1(VALU_DEP_1)
	v_add3_u32 v8, v8, v9, 0x7fff
	v_lshrrev_b32_e32 v8, 16, v8
	global_store_b32 v[5:6], v8, off
.LBB456_1537:
	s_and_b32 vcc_lo, exec_lo, s6
	s_cbranch_vccz .LBB456_1542
; %bb.1538:
	v_cmp_eq_u16_e32 vcc_lo, 44, v7
	s_mov_b32 s0, -1
	s_cbranch_vccz .LBB456_1542
; %bb.1539:
	v_bfe_i32 v8, v3, 0, 16
	v_mov_b32_e32 v9, 0xff
	s_mov_b32 s3, exec_lo
	s_delay_alu instid0(VALU_DEP_2) | instskip(NEXT) | instid1(VALU_DEP_1)
	v_cvt_f32_i32_e32 v8, v8
	v_bfe_u32 v10, v8, 23, 8
	s_delay_alu instid0(VALU_DEP_1)
	v_cmpx_ne_u32_e32 0xff, v10
; %bb.1540:
	v_and_b32_e32 v9, 0x400000, v8
	v_and_or_b32 v10, 0x3fffff, v8, v10
	v_lshrrev_b32_e32 v8, 23, v8
	s_delay_alu instid0(VALU_DEP_3) | instskip(NEXT) | instid1(VALU_DEP_3)
	v_cmp_ne_u32_e32 vcc_lo, 0, v9
	v_cmp_ne_u32_e64 s0, 0, v10
	s_delay_alu instid0(VALU_DEP_1) | instskip(NEXT) | instid1(SALU_CYCLE_1)
	s_and_b32 s0, vcc_lo, s0
	v_cndmask_b32_e64 v9, 0, 1, s0
	s_delay_alu instid0(VALU_DEP_1)
	v_add_nc_u32_e32 v9, v8, v9
; %bb.1541:
	s_or_b32 exec_lo, exec_lo, s3
	s_mov_b32 s0, 0
	s_mov_b32 s3, -1
	global_store_b8 v[5:6], v9, off
.LBB456_1542:
	s_mov_b32 s6, 0
.LBB456_1543:
	s_delay_alu instid0(SALU_CYCLE_1)
	s_and_b32 vcc_lo, exec_lo, s6
	s_cbranch_vccz .LBB456_1546
; %bb.1544:
	v_cmp_eq_u16_e32 vcc_lo, 29, v7
	s_mov_b32 s0, -1
	s_cbranch_vccz .LBB456_1546
; %bb.1545:
	v_bfe_i32 v8, v3, 0, 16
	s_mov_b32 s0, 0
	s_mov_b32 s3, -1
	s_delay_alu instid0(VALU_DEP_1)
	v_ashrrev_i32_e32 v9, 31, v8
	global_store_b64 v[5:6], v[8:9], off
.LBB456_1546:
	s_mov_b32 s6, 0
.LBB456_1547:
	s_delay_alu instid0(SALU_CYCLE_1)
	s_and_b32 vcc_lo, exec_lo, s6
	s_cbranch_vccz .LBB456_1563
; %bb.1548:
	v_cmp_gt_i16_e32 vcc_lo, 27, v7
	s_mov_b32 s3, -1
	s_cbranch_vccnz .LBB456_1554
; %bb.1549:
	v_cmp_lt_i16_e32 vcc_lo, 27, v7
	s_cbranch_vccz .LBB456_1551
; %bb.1550:
	v_bfe_i32 v8, v3, 0, 16
	s_mov_b32 s3, 0
	global_store_b32 v[5:6], v8, off
.LBB456_1551:
	s_and_not1_b32 vcc_lo, exec_lo, s3
	s_cbranch_vccnz .LBB456_1553
; %bb.1552:
	global_store_b16 v[5:6], v3, off
.LBB456_1553:
	s_mov_b32 s3, 0
.LBB456_1554:
	s_delay_alu instid0(SALU_CYCLE_1)
	s_and_not1_b32 vcc_lo, exec_lo, s3
	s_cbranch_vccnz .LBB456_1562
; %bb.1555:
	v_bfe_i32 v8, v3, 0, 16
	v_mov_b32_e32 v10, 0x80
	s_mov_b32 s3, exec_lo
	s_delay_alu instid0(VALU_DEP_2) | instskip(NEXT) | instid1(VALU_DEP_1)
	v_cvt_f32_i32_e32 v8, v8
	v_and_b32_e32 v9, 0x7fffffff, v8
	s_delay_alu instid0(VALU_DEP_1)
	v_cmpx_gt_u32_e32 0x43800000, v9
	s_cbranch_execz .LBB456_1561
; %bb.1556:
	v_cmp_lt_u32_e32 vcc_lo, 0x3bffffff, v9
	s_mov_b32 s6, 0
                                        ; implicit-def: $vgpr9
	s_and_saveexec_b32 s7, vcc_lo
	s_delay_alu instid0(SALU_CYCLE_1)
	s_xor_b32 s7, exec_lo, s7
	s_cbranch_execz .LBB456_2011
; %bb.1557:
	v_bfe_u32 v9, v8, 20, 1
	s_mov_b32 s6, exec_lo
	s_delay_alu instid0(VALU_DEP_1) | instskip(NEXT) | instid1(VALU_DEP_1)
	v_add3_u32 v9, v8, v9, 0x487ffff
	v_lshrrev_b32_e32 v9, 20, v9
	s_or_saveexec_b32 s7, s7
                                        ; implicit-def: $sgpr9
	s_delay_alu instid0(SALU_CYCLE_1)
	s_xor_b32 exec_lo, exec_lo, s7
	s_cbranch_execnz .LBB456_2012
.LBB456_1558:
	s_or_b32 exec_lo, exec_lo, s7
	v_mov_b32_e32 v10, s9
	s_and_saveexec_b32 s7, s6
.LBB456_1559:
	v_lshrrev_b32_e32 v8, 24, v8
	s_delay_alu instid0(VALU_DEP_1)
	v_and_or_b32 v10, 0x80, v8, v9
.LBB456_1560:
	s_or_b32 exec_lo, exec_lo, s7
.LBB456_1561:
	s_delay_alu instid0(SALU_CYCLE_1)
	s_or_b32 exec_lo, exec_lo, s3
	global_store_b8 v[5:6], v10, off
.LBB456_1562:
	s_mov_b32 s3, -1
.LBB456_1563:
	s_mov_b32 s6, 0
.LBB456_1564:
	s_delay_alu instid0(SALU_CYCLE_1)
	s_and_b32 vcc_lo, exec_lo, s6
	s_cbranch_vccz .LBB456_1604
; %bb.1565:
	v_cmp_lt_i16_e32 vcc_lo, 22, v7
	s_mov_b32 s1, -1
	s_cbranch_vccz .LBB456_1597
; %bb.1566:
	v_cmp_gt_i16_e32 vcc_lo, 24, v7
	s_cbranch_vccnz .LBB456_1586
; %bb.1567:
	v_cmp_lt_i16_e32 vcc_lo, 24, v7
	s_cbranch_vccz .LBB456_1575
; %bb.1568:
	v_bfe_i32 v8, v3, 0, 16
	v_mov_b32_e32 v10, 0x80
	s_mov_b32 s1, exec_lo
	s_delay_alu instid0(VALU_DEP_2) | instskip(NEXT) | instid1(VALU_DEP_1)
	v_cvt_f32_i32_e32 v8, v8
	v_and_b32_e32 v9, 0x7fffffff, v8
	s_delay_alu instid0(VALU_DEP_1)
	v_cmpx_gt_u32_e32 0x47800000, v9
	s_cbranch_execz .LBB456_1574
; %bb.1569:
	v_cmp_lt_u32_e32 vcc_lo, 0x37ffffff, v9
	s_mov_b32 s3, 0
                                        ; implicit-def: $vgpr9
	s_and_saveexec_b32 s6, vcc_lo
	s_delay_alu instid0(SALU_CYCLE_1)
	s_xor_b32 s6, exec_lo, s6
	s_cbranch_execz .LBB456_2017
; %bb.1570:
	v_bfe_u32 v9, v8, 21, 1
	s_mov_b32 s3, exec_lo
	s_delay_alu instid0(VALU_DEP_1) | instskip(NEXT) | instid1(VALU_DEP_1)
	v_add3_u32 v9, v8, v9, 0x88fffff
	v_lshrrev_b32_e32 v9, 21, v9
	s_or_saveexec_b32 s6, s6
                                        ; implicit-def: $sgpr7
	s_delay_alu instid0(SALU_CYCLE_1)
	s_xor_b32 exec_lo, exec_lo, s6
	s_cbranch_execnz .LBB456_2018
.LBB456_1571:
	s_or_b32 exec_lo, exec_lo, s6
	v_mov_b32_e32 v10, s7
	s_and_saveexec_b32 s6, s3
.LBB456_1572:
	v_lshrrev_b32_e32 v8, 24, v8
	s_delay_alu instid0(VALU_DEP_1)
	v_and_or_b32 v10, 0x80, v8, v9
.LBB456_1573:
	s_or_b32 exec_lo, exec_lo, s6
.LBB456_1574:
	s_delay_alu instid0(SALU_CYCLE_1)
	s_or_b32 exec_lo, exec_lo, s1
	s_mov_b32 s1, 0
	global_store_b8 v[5:6], v10, off
.LBB456_1575:
	s_and_b32 vcc_lo, exec_lo, s1
	s_cbranch_vccz .LBB456_1585
; %bb.1576:
	v_bfe_i32 v8, v3, 0, 16
	s_mov_b32 s1, exec_lo
                                        ; implicit-def: $vgpr9
	s_delay_alu instid0(VALU_DEP_1) | instskip(NEXT) | instid1(VALU_DEP_1)
	v_cvt_f32_i32_e32 v8, v8
	v_and_b32_e32 v10, 0x7fffffff, v8
	s_delay_alu instid0(VALU_DEP_1)
	v_cmpx_gt_u32_e32 0x43f00000, v10
	s_xor_b32 s1, exec_lo, s1
	s_cbranch_execz .LBB456_1582
; %bb.1577:
	s_mov_b32 s3, exec_lo
                                        ; implicit-def: $vgpr9
	v_cmpx_lt_u32_e32 0x3c7fffff, v10
	s_xor_b32 s3, exec_lo, s3
; %bb.1578:
	v_bfe_u32 v9, v8, 20, 1
	s_delay_alu instid0(VALU_DEP_1) | instskip(NEXT) | instid1(VALU_DEP_1)
	v_add3_u32 v9, v8, v9, 0x407ffff
	v_and_b32_e32 v10, 0xff00000, v9
	v_lshrrev_b32_e32 v9, 20, v9
	s_delay_alu instid0(VALU_DEP_2) | instskip(NEXT) | instid1(VALU_DEP_2)
	v_cmp_ne_u32_e32 vcc_lo, 0x7f00000, v10
	v_cndmask_b32_e32 v9, 0x7e, v9, vcc_lo
; %bb.1579:
	s_and_not1_saveexec_b32 s3, s3
; %bb.1580:
	v_add_f32_e64 v9, 0x46800000, |v8|
; %bb.1581:
	s_or_b32 exec_lo, exec_lo, s3
                                        ; implicit-def: $vgpr10
.LBB456_1582:
	s_and_not1_saveexec_b32 s1, s1
; %bb.1583:
	v_mov_b32_e32 v9, 0x7f
	v_cmp_lt_u32_e32 vcc_lo, 0x7f800000, v10
	s_delay_alu instid0(VALU_DEP_2)
	v_cndmask_b32_e32 v9, 0x7e, v9, vcc_lo
; %bb.1584:
	s_or_b32 exec_lo, exec_lo, s1
	v_lshrrev_b32_e32 v8, 24, v8
	s_delay_alu instid0(VALU_DEP_1)
	v_and_or_b32 v8, 0x80, v8, v9
	global_store_b8 v[5:6], v8, off
.LBB456_1585:
	s_mov_b32 s1, 0
.LBB456_1586:
	s_delay_alu instid0(SALU_CYCLE_1)
	s_and_not1_b32 vcc_lo, exec_lo, s1
	s_cbranch_vccnz .LBB456_1596
; %bb.1587:
	v_bfe_i32 v8, v3, 0, 16
	s_mov_b32 s1, exec_lo
                                        ; implicit-def: $vgpr9
	s_delay_alu instid0(VALU_DEP_1) | instskip(NEXT) | instid1(VALU_DEP_1)
	v_cvt_f32_i32_e32 v8, v8
	v_and_b32_e32 v10, 0x7fffffff, v8
	s_delay_alu instid0(VALU_DEP_1)
	v_cmpx_gt_u32_e32 0x47800000, v10
	s_xor_b32 s1, exec_lo, s1
	s_cbranch_execz .LBB456_1593
; %bb.1588:
	s_mov_b32 s3, exec_lo
                                        ; implicit-def: $vgpr9
	v_cmpx_lt_u32_e32 0x387fffff, v10
	s_xor_b32 s3, exec_lo, s3
; %bb.1589:
	v_bfe_u32 v9, v8, 21, 1
	s_delay_alu instid0(VALU_DEP_1) | instskip(NEXT) | instid1(VALU_DEP_1)
	v_add3_u32 v9, v8, v9, 0x80fffff
	v_lshrrev_b32_e32 v9, 21, v9
; %bb.1590:
	s_and_not1_saveexec_b32 s3, s3
; %bb.1591:
	v_add_f32_e64 v9, 0x43000000, |v8|
; %bb.1592:
	s_or_b32 exec_lo, exec_lo, s3
                                        ; implicit-def: $vgpr10
.LBB456_1593:
	s_and_not1_saveexec_b32 s1, s1
; %bb.1594:
	v_mov_b32_e32 v9, 0x7f
	v_cmp_lt_u32_e32 vcc_lo, 0x7f800000, v10
	s_delay_alu instid0(VALU_DEP_2)
	v_cndmask_b32_e32 v9, 0x7c, v9, vcc_lo
; %bb.1595:
	s_or_b32 exec_lo, exec_lo, s1
	v_lshrrev_b32_e32 v8, 24, v8
	s_delay_alu instid0(VALU_DEP_1)
	v_and_or_b32 v8, 0x80, v8, v9
	global_store_b8 v[5:6], v8, off
.LBB456_1596:
	s_mov_b32 s1, 0
	s_mov_b32 s3, -1
.LBB456_1597:
	s_and_not1_b32 vcc_lo, exec_lo, s1
	s_mov_b32 s1, 0
	s_cbranch_vccnz .LBB456_1604
; %bb.1598:
	v_cmp_lt_i16_e32 vcc_lo, 14, v7
	s_mov_b32 s1, -1
	s_cbranch_vccz .LBB456_1602
; %bb.1599:
	v_cmp_eq_u16_e32 vcc_lo, 15, v7
	s_mov_b32 s0, -1
	s_cbranch_vccz .LBB456_1601
; %bb.1600:
	v_bfe_i32 v8, v3, 0, 16
	s_mov_b32 s0, 0
	s_mov_b32 s3, -1
	s_delay_alu instid0(VALU_DEP_1) | instskip(NEXT) | instid1(VALU_DEP_1)
	v_cvt_f32_i32_e32 v8, v8
	v_bfe_u32 v9, v8, 16, 1
	s_delay_alu instid0(VALU_DEP_1)
	v_add3_u32 v8, v8, v9, 0x7fff
	global_store_d16_hi_b16 v[5:6], v8, off
.LBB456_1601:
	s_mov_b32 s1, 0
.LBB456_1602:
	s_delay_alu instid0(SALU_CYCLE_1)
	s_and_b32 vcc_lo, exec_lo, s1
	s_mov_b32 s1, 0
	s_cbranch_vccz .LBB456_1604
; %bb.1603:
	v_cmp_ne_u16_e64 s0, 11, v7
	s_mov_b32 s1, -1
.LBB456_1604:
	s_delay_alu instid0(VALU_DEP_1)
	s_and_b32 vcc_lo, exec_lo, s0
	s_cbranch_vccnz .LBB456_2015
; %bb.1605:
	s_and_not1_b32 vcc_lo, exec_lo, s1
	s_cbranch_vccnz .LBB456_1607
.LBB456_1606:
	v_cmp_ne_u16_e32 vcc_lo, 0, v3
	s_mov_b32 s3, -1
	v_cndmask_b32_e64 v8, 0, 1, vcc_lo
	global_store_b8 v[5:6], v8, off
.LBB456_1607:
	s_mov_b32 s0, 0
	s_branch .LBB456_1609
.LBB456_1608:
	s_mov_b32 s0, -1
	s_mov_b32 s3, 0
.LBB456_1609:
	s_and_b32 vcc_lo, exec_lo, s0
	s_cbranch_vccz .LBB456_1648
; %bb.1610:
	v_cmp_gt_i16_e32 vcc_lo, 5, v7
	s_mov_b32 s0, -1
	s_cbranch_vccnz .LBB456_1631
; %bb.1611:
	v_cmp_gt_i16_e32 vcc_lo, 8, v7
	s_cbranch_vccnz .LBB456_1621
; %bb.1612:
	v_cmp_gt_i16_e32 vcc_lo, 9, v7
	s_cbranch_vccnz .LBB456_1618
; %bb.1613:
	v_cmp_lt_i16_e32 vcc_lo, 9, v7
	s_cbranch_vccz .LBB456_1615
; %bb.1614:
	v_bfe_i32 v8, v3, 0, 16
	v_mov_b32_e32 v10, 0
	s_mov_b32 s0, 0
	s_delay_alu instid0(VALU_DEP_2) | instskip(NEXT) | instid1(VALU_DEP_2)
	v_cvt_f64_i32_e32 v[8:9], v8
	v_mov_b32_e32 v11, v10
	global_store_b128 v[5:6], v[8:11], off
.LBB456_1615:
	s_and_not1_b32 vcc_lo, exec_lo, s0
	s_cbranch_vccnz .LBB456_1617
; %bb.1616:
	v_bfe_i32 v8, v3, 0, 16
	v_mov_b32_e32 v9, 0
	s_delay_alu instid0(VALU_DEP_2)
	v_cvt_f32_i32_e32 v8, v8
	global_store_b64 v[5:6], v[8:9], off
.LBB456_1617:
	s_mov_b32 s0, 0
.LBB456_1618:
	s_delay_alu instid0(SALU_CYCLE_1)
	s_and_not1_b32 vcc_lo, exec_lo, s0
	s_cbranch_vccnz .LBB456_1620
; %bb.1619:
	v_cvt_f16_i16_e32 v8, v3
	s_delay_alu instid0(VALU_DEP_1)
	v_and_b32_e32 v8, 0xffff, v8
	global_store_b32 v[5:6], v8, off
.LBB456_1620:
	s_mov_b32 s0, 0
.LBB456_1621:
	s_delay_alu instid0(SALU_CYCLE_1)
	s_and_not1_b32 vcc_lo, exec_lo, s0
	s_cbranch_vccnz .LBB456_1630
; %bb.1622:
	v_cmp_gt_i16_e32 vcc_lo, 6, v7
	s_mov_b32 s0, -1
	s_cbranch_vccnz .LBB456_1628
; %bb.1623:
	v_cmp_lt_i16_e32 vcc_lo, 6, v7
	s_cbranch_vccz .LBB456_1625
; %bb.1624:
	v_bfe_i32 v8, v3, 0, 16
	s_mov_b32 s0, 0
	s_delay_alu instid0(VALU_DEP_1)
	v_cvt_f64_i32_e32 v[8:9], v8
	global_store_b64 v[5:6], v[8:9], off
.LBB456_1625:
	s_and_not1_b32 vcc_lo, exec_lo, s0
	s_cbranch_vccnz .LBB456_1627
; %bb.1626:
	v_bfe_i32 v8, v3, 0, 16
	s_delay_alu instid0(VALU_DEP_1)
	v_cvt_f32_i32_e32 v8, v8
	global_store_b32 v[5:6], v8, off
.LBB456_1627:
	s_mov_b32 s0, 0
.LBB456_1628:
	s_delay_alu instid0(SALU_CYCLE_1)
	s_and_not1_b32 vcc_lo, exec_lo, s0
	s_cbranch_vccnz .LBB456_1630
; %bb.1629:
	v_cvt_f16_i16_e32 v8, v3
	global_store_b16 v[5:6], v8, off
.LBB456_1630:
	s_mov_b32 s0, 0
.LBB456_1631:
	s_delay_alu instid0(SALU_CYCLE_1)
	s_and_not1_b32 vcc_lo, exec_lo, s0
	s_cbranch_vccnz .LBB456_1647
; %bb.1632:
	v_cmp_gt_i16_e32 vcc_lo, 2, v7
	s_mov_b32 s0, -1
	s_cbranch_vccnz .LBB456_1642
; %bb.1633:
	v_cmp_gt_i16_e32 vcc_lo, 3, v7
	s_cbranch_vccnz .LBB456_1639
; %bb.1634:
	v_cmp_lt_i16_e32 vcc_lo, 3, v7
	s_cbranch_vccz .LBB456_1636
; %bb.1635:
	v_bfe_i32 v8, v3, 0, 16
	s_mov_b32 s0, 0
	s_delay_alu instid0(VALU_DEP_1)
	v_ashrrev_i32_e32 v9, 31, v8
	global_store_b64 v[5:6], v[8:9], off
.LBB456_1636:
	s_and_not1_b32 vcc_lo, exec_lo, s0
	s_cbranch_vccnz .LBB456_1638
; %bb.1637:
	v_bfe_i32 v8, v3, 0, 16
	global_store_b32 v[5:6], v8, off
.LBB456_1638:
	s_mov_b32 s0, 0
.LBB456_1639:
	s_delay_alu instid0(SALU_CYCLE_1)
	s_and_not1_b32 vcc_lo, exec_lo, s0
	s_cbranch_vccnz .LBB456_1641
; %bb.1640:
	global_store_b16 v[5:6], v3, off
.LBB456_1641:
	s_mov_b32 s0, 0
.LBB456_1642:
	s_delay_alu instid0(SALU_CYCLE_1)
	s_and_not1_b32 vcc_lo, exec_lo, s0
	s_cbranch_vccnz .LBB456_1647
; %bb.1643:
	v_cmp_lt_i16_e32 vcc_lo, 0, v7
	s_mov_b32 s0, -1
	s_cbranch_vccz .LBB456_1645
; %bb.1644:
	s_mov_b32 s0, 0
	global_store_b8 v[5:6], v3, off
.LBB456_1645:
	s_and_not1_b32 vcc_lo, exec_lo, s0
	s_cbranch_vccnz .LBB456_1647
; %bb.1646:
	global_store_b8 v[5:6], v3, off
.LBB456_1647:
	s_mov_b32 s3, -1
.LBB456_1648:
	s_delay_alu instid0(SALU_CYCLE_1)
	s_and_not1_b32 vcc_lo, exec_lo, s3
	s_cbranch_vccnz .LBB456_1963
; %bb.1649:
	s_lshl_b32 s1, s2, 7
	v_min_i16 v8, v4, s8
	v_add_nc_u32_e32 v1, s1, v1
	v_cmp_gt_i16_e32 vcc_lo, 11, v7
	s_delay_alu instid0(VALU_DEP_2) | instskip(SKIP_1) | instid1(VALU_DEP_1)
	v_ashrrev_i32_e32 v4, 31, v1
	v_add_co_u32 v3, s0, s4, v1
	v_add_co_ci_u32_e64 v4, s0, s5, v4, s0
	s_cbranch_vccnz .LBB456_1727
; %bb.1650:
	v_cmp_lt_i16_e32 vcc_lo, 25, v7
	s_mov_b32 s6, -1
	s_mov_b32 s2, 0
	s_mov_b32 s3, 0
	;; [unrolled: 1-line block ×3, first 2 shown]
	s_cbranch_vccz .LBB456_1683
; %bb.1651:
	v_cmp_lt_i16_e32 vcc_lo, 28, v7
	s_cbranch_vccz .LBB456_1666
; %bb.1652:
	v_cmp_lt_i16_e32 vcc_lo, 43, v7
	;; [unrolled: 3-line block ×3, first 2 shown]
	s_cbranch_vccz .LBB456_1656
; %bb.1654:
	v_cmp_eq_u16_e32 vcc_lo, 46, v7
	s_mov_b32 s0, -1
	s_mov_b32 s6, 0
	s_cbranch_vccz .LBB456_1656
; %bb.1655:
	v_bfe_i32 v5, v8, 0, 16
	s_mov_b32 s0, 0
	s_mov_b32 s3, -1
	s_delay_alu instid0(VALU_DEP_1) | instskip(NEXT) | instid1(VALU_DEP_1)
	v_cvt_f32_i32_e32 v5, v5
	v_bfe_u32 v6, v5, 16, 1
	s_delay_alu instid0(VALU_DEP_1) | instskip(NEXT) | instid1(VALU_DEP_1)
	v_add3_u32 v5, v5, v6, 0x7fff
	v_lshrrev_b32_e32 v5, 16, v5
	global_store_b32 v[3:4], v5, off
.LBB456_1656:
	s_and_b32 vcc_lo, exec_lo, s6
	s_cbranch_vccz .LBB456_1661
; %bb.1657:
	v_cmp_eq_u16_e32 vcc_lo, 44, v7
	s_mov_b32 s0, -1
	s_cbranch_vccz .LBB456_1661
; %bb.1658:
	v_bfe_i32 v5, v8, 0, 16
	v_mov_b32_e32 v6, 0xff
	s_mov_b32 s3, exec_lo
	s_delay_alu instid0(VALU_DEP_2) | instskip(NEXT) | instid1(VALU_DEP_1)
	v_cvt_f32_i32_e32 v5, v5
	v_bfe_u32 v9, v5, 23, 8
	s_delay_alu instid0(VALU_DEP_1)
	v_cmpx_ne_u32_e32 0xff, v9
; %bb.1659:
	v_and_b32_e32 v6, 0x400000, v5
	v_and_or_b32 v9, 0x3fffff, v5, v9
	v_lshrrev_b32_e32 v5, 23, v5
	s_delay_alu instid0(VALU_DEP_3) | instskip(NEXT) | instid1(VALU_DEP_3)
	v_cmp_ne_u32_e32 vcc_lo, 0, v6
	v_cmp_ne_u32_e64 s0, 0, v9
	s_delay_alu instid0(VALU_DEP_1) | instskip(NEXT) | instid1(SALU_CYCLE_1)
	s_and_b32 s0, vcc_lo, s0
	v_cndmask_b32_e64 v6, 0, 1, s0
	s_delay_alu instid0(VALU_DEP_1)
	v_add_nc_u32_e32 v6, v5, v6
; %bb.1660:
	s_or_b32 exec_lo, exec_lo, s3
	s_mov_b32 s0, 0
	s_mov_b32 s3, -1
	global_store_b8 v[3:4], v6, off
.LBB456_1661:
	s_mov_b32 s6, 0
.LBB456_1662:
	s_delay_alu instid0(SALU_CYCLE_1)
	s_and_b32 vcc_lo, exec_lo, s6
	s_cbranch_vccz .LBB456_1665
; %bb.1663:
	v_cmp_eq_u16_e32 vcc_lo, 29, v7
	s_mov_b32 s0, -1
	s_cbranch_vccz .LBB456_1665
; %bb.1664:
	v_bfe_i32 v5, v8, 0, 16
	s_mov_b32 s0, 0
	s_mov_b32 s3, -1
	s_delay_alu instid0(VALU_DEP_1)
	v_ashrrev_i32_e32 v6, 31, v5
	global_store_b64 v[3:4], v[5:6], off
.LBB456_1665:
	s_mov_b32 s6, 0
.LBB456_1666:
	s_delay_alu instid0(SALU_CYCLE_1)
	s_and_b32 vcc_lo, exec_lo, s6
	s_cbranch_vccz .LBB456_1682
; %bb.1667:
	v_cmp_gt_i16_e32 vcc_lo, 27, v7
	s_mov_b32 s3, -1
	s_cbranch_vccnz .LBB456_1673
; %bb.1668:
	v_cmp_lt_i16_e32 vcc_lo, 27, v7
	s_cbranch_vccz .LBB456_1670
; %bb.1669:
	v_bfe_i32 v5, v8, 0, 16
	s_mov_b32 s3, 0
	global_store_b32 v[3:4], v5, off
.LBB456_1670:
	s_and_not1_b32 vcc_lo, exec_lo, s3
	s_cbranch_vccnz .LBB456_1672
; %bb.1671:
	global_store_b16 v[3:4], v8, off
.LBB456_1672:
	s_mov_b32 s3, 0
.LBB456_1673:
	s_delay_alu instid0(SALU_CYCLE_1)
	s_and_not1_b32 vcc_lo, exec_lo, s3
	s_cbranch_vccnz .LBB456_1681
; %bb.1674:
	v_bfe_i32 v5, v8, 0, 16
	v_mov_b32_e32 v9, 0x80
	s_mov_b32 s3, exec_lo
	s_delay_alu instid0(VALU_DEP_2) | instskip(NEXT) | instid1(VALU_DEP_1)
	v_cvt_f32_i32_e32 v5, v5
	v_and_b32_e32 v6, 0x7fffffff, v5
	s_delay_alu instid0(VALU_DEP_1)
	v_cmpx_gt_u32_e32 0x43800000, v6
	s_cbranch_execz .LBB456_1680
; %bb.1675:
	v_cmp_lt_u32_e32 vcc_lo, 0x3bffffff, v6
	s_mov_b32 s6, 0
                                        ; implicit-def: $vgpr6
	s_and_saveexec_b32 s7, vcc_lo
	s_delay_alu instid0(SALU_CYCLE_1)
	s_xor_b32 s7, exec_lo, s7
	s_cbranch_execz .LBB456_2019
; %bb.1676:
	v_bfe_u32 v6, v5, 20, 1
	s_mov_b32 s6, exec_lo
	s_delay_alu instid0(VALU_DEP_1) | instskip(NEXT) | instid1(VALU_DEP_1)
	v_add3_u32 v6, v5, v6, 0x487ffff
	v_lshrrev_b32_e32 v6, 20, v6
	s_or_saveexec_b32 s7, s7
                                        ; implicit-def: $sgpr9
	s_delay_alu instid0(SALU_CYCLE_1)
	s_xor_b32 exec_lo, exec_lo, s7
	s_cbranch_execnz .LBB456_2020
.LBB456_1677:
	s_or_b32 exec_lo, exec_lo, s7
	v_mov_b32_e32 v9, s9
	s_and_saveexec_b32 s7, s6
.LBB456_1678:
	v_lshrrev_b32_e32 v5, 24, v5
	s_delay_alu instid0(VALU_DEP_1)
	v_and_or_b32 v9, 0x80, v5, v6
.LBB456_1679:
	s_or_b32 exec_lo, exec_lo, s7
.LBB456_1680:
	s_delay_alu instid0(SALU_CYCLE_1)
	s_or_b32 exec_lo, exec_lo, s3
	global_store_b8 v[3:4], v9, off
.LBB456_1681:
	s_mov_b32 s3, -1
.LBB456_1682:
	s_mov_b32 s6, 0
.LBB456_1683:
	s_delay_alu instid0(SALU_CYCLE_1)
	s_and_b32 vcc_lo, exec_lo, s6
	s_cbranch_vccz .LBB456_1723
; %bb.1684:
	v_cmp_lt_i16_e32 vcc_lo, 22, v7
	s_mov_b32 s2, -1
	s_cbranch_vccz .LBB456_1716
; %bb.1685:
	v_cmp_gt_i16_e32 vcc_lo, 24, v7
	s_cbranch_vccnz .LBB456_1705
; %bb.1686:
	v_cmp_lt_i16_e32 vcc_lo, 24, v7
	s_cbranch_vccz .LBB456_1694
; %bb.1687:
	v_bfe_i32 v5, v8, 0, 16
	v_mov_b32_e32 v9, 0x80
	s_mov_b32 s2, exec_lo
	s_delay_alu instid0(VALU_DEP_2) | instskip(NEXT) | instid1(VALU_DEP_1)
	v_cvt_f32_i32_e32 v5, v5
	v_and_b32_e32 v6, 0x7fffffff, v5
	s_delay_alu instid0(VALU_DEP_1)
	v_cmpx_gt_u32_e32 0x47800000, v6
	s_cbranch_execz .LBB456_1693
; %bb.1688:
	v_cmp_lt_u32_e32 vcc_lo, 0x37ffffff, v6
	s_mov_b32 s3, 0
                                        ; implicit-def: $vgpr6
	s_and_saveexec_b32 s6, vcc_lo
	s_delay_alu instid0(SALU_CYCLE_1)
	s_xor_b32 s6, exec_lo, s6
	s_cbranch_execz .LBB456_2025
; %bb.1689:
	v_bfe_u32 v6, v5, 21, 1
	s_mov_b32 s3, exec_lo
	s_delay_alu instid0(VALU_DEP_1) | instskip(NEXT) | instid1(VALU_DEP_1)
	v_add3_u32 v6, v5, v6, 0x88fffff
	v_lshrrev_b32_e32 v6, 21, v6
	s_or_saveexec_b32 s6, s6
                                        ; implicit-def: $sgpr7
	s_delay_alu instid0(SALU_CYCLE_1)
	s_xor_b32 exec_lo, exec_lo, s6
	s_cbranch_execnz .LBB456_2026
.LBB456_1690:
	s_or_b32 exec_lo, exec_lo, s6
	v_mov_b32_e32 v9, s7
	s_and_saveexec_b32 s6, s3
.LBB456_1691:
	v_lshrrev_b32_e32 v5, 24, v5
	s_delay_alu instid0(VALU_DEP_1)
	v_and_or_b32 v9, 0x80, v5, v6
.LBB456_1692:
	s_or_b32 exec_lo, exec_lo, s6
.LBB456_1693:
	s_delay_alu instid0(SALU_CYCLE_1)
	s_or_b32 exec_lo, exec_lo, s2
	s_mov_b32 s2, 0
	global_store_b8 v[3:4], v9, off
.LBB456_1694:
	s_and_b32 vcc_lo, exec_lo, s2
	s_cbranch_vccz .LBB456_1704
; %bb.1695:
	v_bfe_i32 v5, v8, 0, 16
	s_mov_b32 s2, exec_lo
                                        ; implicit-def: $vgpr6
	s_delay_alu instid0(VALU_DEP_1) | instskip(NEXT) | instid1(VALU_DEP_1)
	v_cvt_f32_i32_e32 v5, v5
	v_and_b32_e32 v9, 0x7fffffff, v5
	s_delay_alu instid0(VALU_DEP_1)
	v_cmpx_gt_u32_e32 0x43f00000, v9
	s_xor_b32 s2, exec_lo, s2
	s_cbranch_execz .LBB456_1701
; %bb.1696:
	s_mov_b32 s3, exec_lo
                                        ; implicit-def: $vgpr6
	v_cmpx_lt_u32_e32 0x3c7fffff, v9
	s_xor_b32 s3, exec_lo, s3
; %bb.1697:
	v_bfe_u32 v6, v5, 20, 1
	s_delay_alu instid0(VALU_DEP_1) | instskip(NEXT) | instid1(VALU_DEP_1)
	v_add3_u32 v6, v5, v6, 0x407ffff
	v_and_b32_e32 v9, 0xff00000, v6
	v_lshrrev_b32_e32 v6, 20, v6
	s_delay_alu instid0(VALU_DEP_2) | instskip(NEXT) | instid1(VALU_DEP_2)
	v_cmp_ne_u32_e32 vcc_lo, 0x7f00000, v9
	v_cndmask_b32_e32 v6, 0x7e, v6, vcc_lo
; %bb.1698:
	s_and_not1_saveexec_b32 s3, s3
; %bb.1699:
	v_add_f32_e64 v6, 0x46800000, |v5|
; %bb.1700:
	s_or_b32 exec_lo, exec_lo, s3
                                        ; implicit-def: $vgpr9
.LBB456_1701:
	s_and_not1_saveexec_b32 s2, s2
; %bb.1702:
	v_mov_b32_e32 v6, 0x7f
	v_cmp_lt_u32_e32 vcc_lo, 0x7f800000, v9
	s_delay_alu instid0(VALU_DEP_2)
	v_cndmask_b32_e32 v6, 0x7e, v6, vcc_lo
; %bb.1703:
	s_or_b32 exec_lo, exec_lo, s2
	v_lshrrev_b32_e32 v5, 24, v5
	s_delay_alu instid0(VALU_DEP_1)
	v_and_or_b32 v5, 0x80, v5, v6
	global_store_b8 v[3:4], v5, off
.LBB456_1704:
	s_mov_b32 s2, 0
.LBB456_1705:
	s_delay_alu instid0(SALU_CYCLE_1)
	s_and_not1_b32 vcc_lo, exec_lo, s2
	s_cbranch_vccnz .LBB456_1715
; %bb.1706:
	v_bfe_i32 v5, v8, 0, 16
	s_mov_b32 s2, exec_lo
                                        ; implicit-def: $vgpr6
	s_delay_alu instid0(VALU_DEP_1) | instskip(NEXT) | instid1(VALU_DEP_1)
	v_cvt_f32_i32_e32 v5, v5
	v_and_b32_e32 v9, 0x7fffffff, v5
	s_delay_alu instid0(VALU_DEP_1)
	v_cmpx_gt_u32_e32 0x47800000, v9
	s_xor_b32 s2, exec_lo, s2
	s_cbranch_execz .LBB456_1712
; %bb.1707:
	s_mov_b32 s3, exec_lo
                                        ; implicit-def: $vgpr6
	v_cmpx_lt_u32_e32 0x387fffff, v9
	s_xor_b32 s3, exec_lo, s3
; %bb.1708:
	v_bfe_u32 v6, v5, 21, 1
	s_delay_alu instid0(VALU_DEP_1) | instskip(NEXT) | instid1(VALU_DEP_1)
	v_add3_u32 v6, v5, v6, 0x80fffff
	v_lshrrev_b32_e32 v6, 21, v6
; %bb.1709:
	s_and_not1_saveexec_b32 s3, s3
; %bb.1710:
	v_add_f32_e64 v6, 0x43000000, |v5|
; %bb.1711:
	s_or_b32 exec_lo, exec_lo, s3
                                        ; implicit-def: $vgpr9
.LBB456_1712:
	s_and_not1_saveexec_b32 s2, s2
; %bb.1713:
	v_mov_b32_e32 v6, 0x7f
	v_cmp_lt_u32_e32 vcc_lo, 0x7f800000, v9
	s_delay_alu instid0(VALU_DEP_2)
	v_cndmask_b32_e32 v6, 0x7c, v6, vcc_lo
; %bb.1714:
	s_or_b32 exec_lo, exec_lo, s2
	v_lshrrev_b32_e32 v5, 24, v5
	s_delay_alu instid0(VALU_DEP_1)
	v_and_or_b32 v5, 0x80, v5, v6
	global_store_b8 v[3:4], v5, off
.LBB456_1715:
	s_mov_b32 s2, 0
	s_mov_b32 s3, -1
.LBB456_1716:
	s_and_not1_b32 vcc_lo, exec_lo, s2
	s_mov_b32 s2, 0
	s_cbranch_vccnz .LBB456_1723
; %bb.1717:
	v_cmp_lt_i16_e32 vcc_lo, 14, v7
	s_mov_b32 s2, -1
	s_cbranch_vccz .LBB456_1721
; %bb.1718:
	v_cmp_eq_u16_e32 vcc_lo, 15, v7
	s_mov_b32 s0, -1
	s_cbranch_vccz .LBB456_1720
; %bb.1719:
	v_bfe_i32 v5, v8, 0, 16
	s_mov_b32 s0, 0
	s_mov_b32 s3, -1
	s_delay_alu instid0(VALU_DEP_1) | instskip(NEXT) | instid1(VALU_DEP_1)
	v_cvt_f32_i32_e32 v5, v5
	v_bfe_u32 v6, v5, 16, 1
	s_delay_alu instid0(VALU_DEP_1)
	v_add3_u32 v5, v5, v6, 0x7fff
	global_store_d16_hi_b16 v[3:4], v5, off
.LBB456_1720:
	s_mov_b32 s2, 0
.LBB456_1721:
	s_delay_alu instid0(SALU_CYCLE_1)
	s_and_b32 vcc_lo, exec_lo, s2
	s_mov_b32 s2, 0
	s_cbranch_vccz .LBB456_1723
; %bb.1722:
	v_cmp_ne_u16_e64 s0, 11, v7
	s_mov_b32 s2, -1
.LBB456_1723:
	s_delay_alu instid0(VALU_DEP_1)
	s_and_b32 vcc_lo, exec_lo, s0
	s_cbranch_vccnz .LBB456_2023
; %bb.1724:
	s_and_not1_b32 vcc_lo, exec_lo, s2
	s_cbranch_vccnz .LBB456_1726
.LBB456_1725:
	v_cmp_ne_u16_e32 vcc_lo, 0, v8
	s_mov_b32 s3, -1
	v_cndmask_b32_e64 v5, 0, 1, vcc_lo
	global_store_b8 v[3:4], v5, off
.LBB456_1726:
	s_mov_b32 s0, 0
	s_branch .LBB456_1728
.LBB456_1727:
	s_mov_b32 s0, -1
	s_mov_b32 s3, 0
.LBB456_1728:
	s_and_b32 vcc_lo, exec_lo, s0
	s_cbranch_vccz .LBB456_1767
; %bb.1729:
	v_cmp_gt_i16_e32 vcc_lo, 5, v7
	s_mov_b32 s0, -1
	s_cbranch_vccnz .LBB456_1750
; %bb.1730:
	v_cmp_gt_i16_e32 vcc_lo, 8, v7
	s_cbranch_vccnz .LBB456_1740
; %bb.1731:
	v_cmp_gt_i16_e32 vcc_lo, 9, v7
	s_cbranch_vccnz .LBB456_1737
; %bb.1732:
	v_cmp_lt_i16_e32 vcc_lo, 9, v7
	s_cbranch_vccz .LBB456_1734
; %bb.1733:
	v_bfe_i32 v5, v8, 0, 16
	v_mov_b32_e32 v11, 0
	s_mov_b32 s0, 0
	s_delay_alu instid0(VALU_DEP_2) | instskip(NEXT) | instid1(VALU_DEP_2)
	v_cvt_f64_i32_e32 v[9:10], v5
	v_mov_b32_e32 v12, v11
	global_store_b128 v[3:4], v[9:12], off
.LBB456_1734:
	s_and_not1_b32 vcc_lo, exec_lo, s0
	s_cbranch_vccnz .LBB456_1736
; %bb.1735:
	v_bfe_i32 v5, v8, 0, 16
	v_mov_b32_e32 v6, 0
	s_delay_alu instid0(VALU_DEP_2)
	v_cvt_f32_i32_e32 v5, v5
	global_store_b64 v[3:4], v[5:6], off
.LBB456_1736:
	s_mov_b32 s0, 0
.LBB456_1737:
	s_delay_alu instid0(SALU_CYCLE_1)
	s_and_not1_b32 vcc_lo, exec_lo, s0
	s_cbranch_vccnz .LBB456_1739
; %bb.1738:
	v_cvt_f16_i16_e32 v5, v8
	s_delay_alu instid0(VALU_DEP_1)
	v_and_b32_e32 v5, 0xffff, v5
	global_store_b32 v[3:4], v5, off
.LBB456_1739:
	s_mov_b32 s0, 0
.LBB456_1740:
	s_delay_alu instid0(SALU_CYCLE_1)
	s_and_not1_b32 vcc_lo, exec_lo, s0
	s_cbranch_vccnz .LBB456_1749
; %bb.1741:
	v_cmp_gt_i16_e32 vcc_lo, 6, v7
	s_mov_b32 s0, -1
	s_cbranch_vccnz .LBB456_1747
; %bb.1742:
	v_cmp_lt_i16_e32 vcc_lo, 6, v7
	s_cbranch_vccz .LBB456_1744
; %bb.1743:
	v_bfe_i32 v5, v8, 0, 16
	s_mov_b32 s0, 0
	s_delay_alu instid0(VALU_DEP_1)
	v_cvt_f64_i32_e32 v[5:6], v5
	global_store_b64 v[3:4], v[5:6], off
.LBB456_1744:
	s_and_not1_b32 vcc_lo, exec_lo, s0
	s_cbranch_vccnz .LBB456_1746
; %bb.1745:
	v_bfe_i32 v5, v8, 0, 16
	s_delay_alu instid0(VALU_DEP_1)
	v_cvt_f32_i32_e32 v5, v5
	global_store_b32 v[3:4], v5, off
.LBB456_1746:
	s_mov_b32 s0, 0
.LBB456_1747:
	s_delay_alu instid0(SALU_CYCLE_1)
	s_and_not1_b32 vcc_lo, exec_lo, s0
	s_cbranch_vccnz .LBB456_1749
; %bb.1748:
	v_cvt_f16_i16_e32 v5, v8
	global_store_b16 v[3:4], v5, off
.LBB456_1749:
	s_mov_b32 s0, 0
.LBB456_1750:
	s_delay_alu instid0(SALU_CYCLE_1)
	s_and_not1_b32 vcc_lo, exec_lo, s0
	s_cbranch_vccnz .LBB456_1766
; %bb.1751:
	v_cmp_gt_i16_e32 vcc_lo, 2, v7
	s_mov_b32 s0, -1
	s_cbranch_vccnz .LBB456_1761
; %bb.1752:
	v_cmp_gt_i16_e32 vcc_lo, 3, v7
	s_cbranch_vccnz .LBB456_1758
; %bb.1753:
	v_cmp_lt_i16_e32 vcc_lo, 3, v7
	v_bfe_i32 v5, v8, 0, 16
	s_cbranch_vccz .LBB456_1755
; %bb.1754:
	s_delay_alu instid0(VALU_DEP_1)
	v_ashrrev_i32_e32 v6, 31, v5
	s_mov_b32 s0, 0
	global_store_b64 v[3:4], v[5:6], off
.LBB456_1755:
	s_and_not1_b32 vcc_lo, exec_lo, s0
	s_cbranch_vccnz .LBB456_1757
; %bb.1756:
	global_store_b32 v[3:4], v5, off
.LBB456_1757:
	s_mov_b32 s0, 0
.LBB456_1758:
	s_delay_alu instid0(SALU_CYCLE_1)
	s_and_not1_b32 vcc_lo, exec_lo, s0
	s_cbranch_vccnz .LBB456_1760
; %bb.1759:
	global_store_b16 v[3:4], v8, off
.LBB456_1760:
	s_mov_b32 s0, 0
.LBB456_1761:
	s_delay_alu instid0(SALU_CYCLE_1)
	s_and_not1_b32 vcc_lo, exec_lo, s0
	s_cbranch_vccnz .LBB456_1766
; %bb.1762:
	v_cmp_lt_i16_e32 vcc_lo, 0, v7
	s_mov_b32 s0, -1
	s_cbranch_vccz .LBB456_1764
; %bb.1763:
	s_mov_b32 s0, 0
	global_store_b8 v[3:4], v8, off
.LBB456_1764:
	s_and_not1_b32 vcc_lo, exec_lo, s0
	s_cbranch_vccnz .LBB456_1766
; %bb.1765:
	global_store_b8 v[3:4], v8, off
.LBB456_1766:
	s_mov_b32 s3, -1
.LBB456_1767:
	s_delay_alu instid0(SALU_CYCLE_1)
	s_and_not1_b32 vcc_lo, exec_lo, s3
	s_cbranch_vccnz .LBB456_1963
; %bb.1768:
	v_add_nc_u32_e32 v5, s1, v1
	v_min_i16 v6, v2, s8
	v_cmp_gt_i16_e32 vcc_lo, 11, v7
	s_delay_alu instid0(VALU_DEP_3) | instskip(SKIP_1) | instid1(VALU_DEP_1)
	v_ashrrev_i32_e32 v2, 31, v5
	v_add_co_u32 v1, s0, s4, v5
	v_add_co_ci_u32_e64 v2, s0, s5, v2, s0
	s_cbranch_vccnz .LBB456_1846
; %bb.1769:
	v_cmp_lt_i16_e32 vcc_lo, 25, v7
	s_mov_b32 s6, -1
	s_mov_b32 s2, 0
	s_mov_b32 s3, 0
	;; [unrolled: 1-line block ×3, first 2 shown]
	s_cbranch_vccz .LBB456_1802
; %bb.1770:
	v_cmp_lt_i16_e32 vcc_lo, 28, v7
	s_cbranch_vccz .LBB456_1785
; %bb.1771:
	v_cmp_lt_i16_e32 vcc_lo, 43, v7
	;; [unrolled: 3-line block ×3, first 2 shown]
	s_cbranch_vccz .LBB456_1775
; %bb.1773:
	v_cmp_eq_u16_e32 vcc_lo, 46, v7
	s_mov_b32 s0, -1
	s_mov_b32 s6, 0
	s_cbranch_vccz .LBB456_1775
; %bb.1774:
	v_bfe_i32 v3, v6, 0, 16
	s_mov_b32 s0, 0
	s_mov_b32 s3, -1
	s_delay_alu instid0(VALU_DEP_1) | instskip(NEXT) | instid1(VALU_DEP_1)
	v_cvt_f32_i32_e32 v3, v3
	v_bfe_u32 v4, v3, 16, 1
	s_delay_alu instid0(VALU_DEP_1) | instskip(NEXT) | instid1(VALU_DEP_1)
	v_add3_u32 v3, v3, v4, 0x7fff
	v_lshrrev_b32_e32 v3, 16, v3
	global_store_b32 v[1:2], v3, off
.LBB456_1775:
	s_and_b32 vcc_lo, exec_lo, s6
	s_cbranch_vccz .LBB456_1780
; %bb.1776:
	v_cmp_eq_u16_e32 vcc_lo, 44, v7
	s_mov_b32 s0, -1
	s_cbranch_vccz .LBB456_1780
; %bb.1777:
	v_bfe_i32 v3, v6, 0, 16
	v_mov_b32_e32 v4, 0xff
	s_mov_b32 s3, exec_lo
	s_delay_alu instid0(VALU_DEP_2) | instskip(NEXT) | instid1(VALU_DEP_1)
	v_cvt_f32_i32_e32 v3, v3
	v_bfe_u32 v8, v3, 23, 8
	s_delay_alu instid0(VALU_DEP_1)
	v_cmpx_ne_u32_e32 0xff, v8
; %bb.1778:
	v_and_b32_e32 v4, 0x400000, v3
	v_and_or_b32 v8, 0x3fffff, v3, v8
	v_lshrrev_b32_e32 v3, 23, v3
	s_delay_alu instid0(VALU_DEP_3) | instskip(NEXT) | instid1(VALU_DEP_3)
	v_cmp_ne_u32_e32 vcc_lo, 0, v4
	v_cmp_ne_u32_e64 s0, 0, v8
	s_delay_alu instid0(VALU_DEP_1) | instskip(NEXT) | instid1(SALU_CYCLE_1)
	s_and_b32 s0, vcc_lo, s0
	v_cndmask_b32_e64 v4, 0, 1, s0
	s_delay_alu instid0(VALU_DEP_1)
	v_add_nc_u32_e32 v4, v3, v4
; %bb.1779:
	s_or_b32 exec_lo, exec_lo, s3
	s_mov_b32 s0, 0
	s_mov_b32 s3, -1
	global_store_b8 v[1:2], v4, off
.LBB456_1780:
	s_mov_b32 s6, 0
.LBB456_1781:
	s_delay_alu instid0(SALU_CYCLE_1)
	s_and_b32 vcc_lo, exec_lo, s6
	s_cbranch_vccz .LBB456_1784
; %bb.1782:
	v_cmp_eq_u16_e32 vcc_lo, 29, v7
	s_mov_b32 s0, -1
	s_cbranch_vccz .LBB456_1784
; %bb.1783:
	v_bfe_i32 v3, v6, 0, 16
	s_mov_b32 s0, 0
	s_mov_b32 s3, -1
	s_delay_alu instid0(VALU_DEP_1)
	v_ashrrev_i32_e32 v4, 31, v3
	global_store_b64 v[1:2], v[3:4], off
.LBB456_1784:
	s_mov_b32 s6, 0
.LBB456_1785:
	s_delay_alu instid0(SALU_CYCLE_1)
	s_and_b32 vcc_lo, exec_lo, s6
	s_cbranch_vccz .LBB456_1801
; %bb.1786:
	v_cmp_gt_i16_e32 vcc_lo, 27, v7
	s_mov_b32 s3, -1
	s_cbranch_vccnz .LBB456_1792
; %bb.1787:
	v_cmp_lt_i16_e32 vcc_lo, 27, v7
	s_cbranch_vccz .LBB456_1789
; %bb.1788:
	v_bfe_i32 v3, v6, 0, 16
	s_mov_b32 s3, 0
	global_store_b32 v[1:2], v3, off
.LBB456_1789:
	s_and_not1_b32 vcc_lo, exec_lo, s3
	s_cbranch_vccnz .LBB456_1791
; %bb.1790:
	global_store_b16 v[1:2], v6, off
.LBB456_1791:
	s_mov_b32 s3, 0
.LBB456_1792:
	s_delay_alu instid0(SALU_CYCLE_1)
	s_and_not1_b32 vcc_lo, exec_lo, s3
	s_cbranch_vccnz .LBB456_1800
; %bb.1793:
	v_bfe_i32 v3, v6, 0, 16
	v_mov_b32_e32 v8, 0x80
	s_mov_b32 s3, exec_lo
	s_delay_alu instid0(VALU_DEP_2) | instskip(NEXT) | instid1(VALU_DEP_1)
	v_cvt_f32_i32_e32 v3, v3
	v_and_b32_e32 v4, 0x7fffffff, v3
	s_delay_alu instid0(VALU_DEP_1)
	v_cmpx_gt_u32_e32 0x43800000, v4
	s_cbranch_execz .LBB456_1799
; %bb.1794:
	v_cmp_lt_u32_e32 vcc_lo, 0x3bffffff, v4
	s_mov_b32 s6, 0
                                        ; implicit-def: $vgpr4
	s_and_saveexec_b32 s7, vcc_lo
	s_delay_alu instid0(SALU_CYCLE_1)
	s_xor_b32 s7, exec_lo, s7
	s_cbranch_execz .LBB456_2027
; %bb.1795:
	v_bfe_u32 v4, v3, 20, 1
	s_mov_b32 s6, exec_lo
	s_delay_alu instid0(VALU_DEP_1) | instskip(NEXT) | instid1(VALU_DEP_1)
	v_add3_u32 v4, v3, v4, 0x487ffff
	v_lshrrev_b32_e32 v4, 20, v4
	s_or_saveexec_b32 s7, s7
                                        ; implicit-def: $sgpr9
	s_delay_alu instid0(SALU_CYCLE_1)
	s_xor_b32 exec_lo, exec_lo, s7
	s_cbranch_execnz .LBB456_2028
.LBB456_1796:
	s_or_b32 exec_lo, exec_lo, s7
	v_mov_b32_e32 v8, s9
	s_and_saveexec_b32 s7, s6
.LBB456_1797:
	v_lshrrev_b32_e32 v3, 24, v3
	s_delay_alu instid0(VALU_DEP_1)
	v_and_or_b32 v8, 0x80, v3, v4
.LBB456_1798:
	s_or_b32 exec_lo, exec_lo, s7
.LBB456_1799:
	s_delay_alu instid0(SALU_CYCLE_1)
	s_or_b32 exec_lo, exec_lo, s3
	global_store_b8 v[1:2], v8, off
.LBB456_1800:
	s_mov_b32 s3, -1
.LBB456_1801:
	s_mov_b32 s6, 0
.LBB456_1802:
	s_delay_alu instid0(SALU_CYCLE_1)
	s_and_b32 vcc_lo, exec_lo, s6
	s_cbranch_vccz .LBB456_1842
; %bb.1803:
	v_cmp_lt_i16_e32 vcc_lo, 22, v7
	s_mov_b32 s2, -1
	s_cbranch_vccz .LBB456_1835
; %bb.1804:
	v_cmp_gt_i16_e32 vcc_lo, 24, v7
	s_cbranch_vccnz .LBB456_1824
; %bb.1805:
	v_cmp_lt_i16_e32 vcc_lo, 24, v7
	s_cbranch_vccz .LBB456_1813
; %bb.1806:
	v_bfe_i32 v3, v6, 0, 16
	v_mov_b32_e32 v8, 0x80
	s_mov_b32 s2, exec_lo
	s_delay_alu instid0(VALU_DEP_2) | instskip(NEXT) | instid1(VALU_DEP_1)
	v_cvt_f32_i32_e32 v3, v3
	v_and_b32_e32 v4, 0x7fffffff, v3
	s_delay_alu instid0(VALU_DEP_1)
	v_cmpx_gt_u32_e32 0x47800000, v4
	s_cbranch_execz .LBB456_1812
; %bb.1807:
	v_cmp_lt_u32_e32 vcc_lo, 0x37ffffff, v4
	s_mov_b32 s3, 0
                                        ; implicit-def: $vgpr4
	s_and_saveexec_b32 s6, vcc_lo
	s_delay_alu instid0(SALU_CYCLE_1)
	s_xor_b32 s6, exec_lo, s6
	s_cbranch_execz .LBB456_2033
; %bb.1808:
	v_bfe_u32 v4, v3, 21, 1
	s_mov_b32 s3, exec_lo
	s_delay_alu instid0(VALU_DEP_1) | instskip(NEXT) | instid1(VALU_DEP_1)
	v_add3_u32 v4, v3, v4, 0x88fffff
	v_lshrrev_b32_e32 v4, 21, v4
	s_or_saveexec_b32 s6, s6
                                        ; implicit-def: $sgpr7
	s_delay_alu instid0(SALU_CYCLE_1)
	s_xor_b32 exec_lo, exec_lo, s6
	s_cbranch_execnz .LBB456_2034
.LBB456_1809:
	s_or_b32 exec_lo, exec_lo, s6
	v_mov_b32_e32 v8, s7
	s_and_saveexec_b32 s6, s3
.LBB456_1810:
	v_lshrrev_b32_e32 v3, 24, v3
	s_delay_alu instid0(VALU_DEP_1)
	v_and_or_b32 v8, 0x80, v3, v4
.LBB456_1811:
	s_or_b32 exec_lo, exec_lo, s6
.LBB456_1812:
	s_delay_alu instid0(SALU_CYCLE_1)
	s_or_b32 exec_lo, exec_lo, s2
	s_mov_b32 s2, 0
	global_store_b8 v[1:2], v8, off
.LBB456_1813:
	s_and_b32 vcc_lo, exec_lo, s2
	s_cbranch_vccz .LBB456_1823
; %bb.1814:
	v_bfe_i32 v3, v6, 0, 16
	s_mov_b32 s2, exec_lo
                                        ; implicit-def: $vgpr4
	s_delay_alu instid0(VALU_DEP_1) | instskip(NEXT) | instid1(VALU_DEP_1)
	v_cvt_f32_i32_e32 v3, v3
	v_and_b32_e32 v8, 0x7fffffff, v3
	s_delay_alu instid0(VALU_DEP_1)
	v_cmpx_gt_u32_e32 0x43f00000, v8
	s_xor_b32 s2, exec_lo, s2
	s_cbranch_execz .LBB456_1820
; %bb.1815:
	s_mov_b32 s3, exec_lo
                                        ; implicit-def: $vgpr4
	v_cmpx_lt_u32_e32 0x3c7fffff, v8
	s_xor_b32 s3, exec_lo, s3
; %bb.1816:
	v_bfe_u32 v4, v3, 20, 1
	s_delay_alu instid0(VALU_DEP_1) | instskip(NEXT) | instid1(VALU_DEP_1)
	v_add3_u32 v4, v3, v4, 0x407ffff
	v_and_b32_e32 v8, 0xff00000, v4
	v_lshrrev_b32_e32 v4, 20, v4
	s_delay_alu instid0(VALU_DEP_2) | instskip(NEXT) | instid1(VALU_DEP_2)
	v_cmp_ne_u32_e32 vcc_lo, 0x7f00000, v8
	v_cndmask_b32_e32 v4, 0x7e, v4, vcc_lo
; %bb.1817:
	s_and_not1_saveexec_b32 s3, s3
; %bb.1818:
	v_add_f32_e64 v4, 0x46800000, |v3|
; %bb.1819:
	s_or_b32 exec_lo, exec_lo, s3
                                        ; implicit-def: $vgpr8
.LBB456_1820:
	s_and_not1_saveexec_b32 s2, s2
; %bb.1821:
	v_mov_b32_e32 v4, 0x7f
	v_cmp_lt_u32_e32 vcc_lo, 0x7f800000, v8
	s_delay_alu instid0(VALU_DEP_2)
	v_cndmask_b32_e32 v4, 0x7e, v4, vcc_lo
; %bb.1822:
	s_or_b32 exec_lo, exec_lo, s2
	v_lshrrev_b32_e32 v3, 24, v3
	s_delay_alu instid0(VALU_DEP_1)
	v_and_or_b32 v3, 0x80, v3, v4
	global_store_b8 v[1:2], v3, off
.LBB456_1823:
	s_mov_b32 s2, 0
.LBB456_1824:
	s_delay_alu instid0(SALU_CYCLE_1)
	s_and_not1_b32 vcc_lo, exec_lo, s2
	s_cbranch_vccnz .LBB456_1834
; %bb.1825:
	v_bfe_i32 v3, v6, 0, 16
	s_mov_b32 s2, exec_lo
                                        ; implicit-def: $vgpr4
	s_delay_alu instid0(VALU_DEP_1) | instskip(NEXT) | instid1(VALU_DEP_1)
	v_cvt_f32_i32_e32 v3, v3
	v_and_b32_e32 v8, 0x7fffffff, v3
	s_delay_alu instid0(VALU_DEP_1)
	v_cmpx_gt_u32_e32 0x47800000, v8
	s_xor_b32 s2, exec_lo, s2
	s_cbranch_execz .LBB456_1831
; %bb.1826:
	s_mov_b32 s3, exec_lo
                                        ; implicit-def: $vgpr4
	v_cmpx_lt_u32_e32 0x387fffff, v8
	s_xor_b32 s3, exec_lo, s3
; %bb.1827:
	v_bfe_u32 v4, v3, 21, 1
	s_delay_alu instid0(VALU_DEP_1) | instskip(NEXT) | instid1(VALU_DEP_1)
	v_add3_u32 v4, v3, v4, 0x80fffff
	v_lshrrev_b32_e32 v4, 21, v4
; %bb.1828:
	s_and_not1_saveexec_b32 s3, s3
; %bb.1829:
	v_add_f32_e64 v4, 0x43000000, |v3|
; %bb.1830:
	s_or_b32 exec_lo, exec_lo, s3
                                        ; implicit-def: $vgpr8
.LBB456_1831:
	s_and_not1_saveexec_b32 s2, s2
; %bb.1832:
	v_mov_b32_e32 v4, 0x7f
	v_cmp_lt_u32_e32 vcc_lo, 0x7f800000, v8
	s_delay_alu instid0(VALU_DEP_2)
	v_cndmask_b32_e32 v4, 0x7c, v4, vcc_lo
; %bb.1833:
	s_or_b32 exec_lo, exec_lo, s2
	v_lshrrev_b32_e32 v3, 24, v3
	s_delay_alu instid0(VALU_DEP_1)
	v_and_or_b32 v3, 0x80, v3, v4
	global_store_b8 v[1:2], v3, off
.LBB456_1834:
	s_mov_b32 s2, 0
	s_mov_b32 s3, -1
.LBB456_1835:
	s_and_not1_b32 vcc_lo, exec_lo, s2
	s_mov_b32 s2, 0
	s_cbranch_vccnz .LBB456_1842
; %bb.1836:
	v_cmp_lt_i16_e32 vcc_lo, 14, v7
	s_mov_b32 s2, -1
	s_cbranch_vccz .LBB456_1840
; %bb.1837:
	v_cmp_eq_u16_e32 vcc_lo, 15, v7
	s_mov_b32 s0, -1
	s_cbranch_vccz .LBB456_1839
; %bb.1838:
	v_bfe_i32 v3, v6, 0, 16
	s_mov_b32 s0, 0
	s_mov_b32 s3, -1
	s_delay_alu instid0(VALU_DEP_1) | instskip(NEXT) | instid1(VALU_DEP_1)
	v_cvt_f32_i32_e32 v3, v3
	v_bfe_u32 v4, v3, 16, 1
	s_delay_alu instid0(VALU_DEP_1)
	v_add3_u32 v3, v3, v4, 0x7fff
	global_store_d16_hi_b16 v[1:2], v3, off
.LBB456_1839:
	s_mov_b32 s2, 0
.LBB456_1840:
	s_delay_alu instid0(SALU_CYCLE_1)
	s_and_b32 vcc_lo, exec_lo, s2
	s_mov_b32 s2, 0
	s_cbranch_vccz .LBB456_1842
; %bb.1841:
	v_cmp_ne_u16_e64 s0, 11, v7
	s_mov_b32 s2, -1
.LBB456_1842:
	s_delay_alu instid0(VALU_DEP_1)
	s_and_b32 vcc_lo, exec_lo, s0
	s_cbranch_vccnz .LBB456_2031
; %bb.1843:
	s_and_not1_b32 vcc_lo, exec_lo, s2
	s_cbranch_vccnz .LBB456_1845
.LBB456_1844:
	v_cmp_ne_u16_e32 vcc_lo, 0, v6
	s_mov_b32 s3, -1
	v_cndmask_b32_e64 v3, 0, 1, vcc_lo
	global_store_b8 v[1:2], v3, off
.LBB456_1845:
	s_mov_b32 s0, 0
	s_branch .LBB456_1847
.LBB456_1846:
	s_mov_b32 s0, -1
	s_mov_b32 s3, 0
.LBB456_1847:
	s_and_b32 vcc_lo, exec_lo, s0
	s_cbranch_vccz .LBB456_1886
; %bb.1848:
	v_cmp_gt_i16_e32 vcc_lo, 5, v7
	s_mov_b32 s0, -1
	s_cbranch_vccnz .LBB456_1869
; %bb.1849:
	v_cmp_gt_i16_e32 vcc_lo, 8, v7
	s_cbranch_vccnz .LBB456_1859
; %bb.1850:
	v_cmp_gt_i16_e32 vcc_lo, 9, v7
	s_cbranch_vccnz .LBB456_1856
; %bb.1851:
	v_cmp_lt_i16_e32 vcc_lo, 9, v7
	s_cbranch_vccz .LBB456_1853
; %bb.1852:
	v_bfe_i32 v3, v6, 0, 16
	v_mov_b32_e32 v10, 0
	s_mov_b32 s0, 0
	s_delay_alu instid0(VALU_DEP_2) | instskip(NEXT) | instid1(VALU_DEP_2)
	v_cvt_f64_i32_e32 v[8:9], v3
	v_mov_b32_e32 v11, v10
	global_store_b128 v[1:2], v[8:11], off
.LBB456_1853:
	s_and_not1_b32 vcc_lo, exec_lo, s0
	s_cbranch_vccnz .LBB456_1855
; %bb.1854:
	v_bfe_i32 v3, v6, 0, 16
	v_mov_b32_e32 v4, 0
	s_delay_alu instid0(VALU_DEP_2)
	v_cvt_f32_i32_e32 v3, v3
	global_store_b64 v[1:2], v[3:4], off
.LBB456_1855:
	s_mov_b32 s0, 0
.LBB456_1856:
	s_delay_alu instid0(SALU_CYCLE_1)
	s_and_not1_b32 vcc_lo, exec_lo, s0
	s_cbranch_vccnz .LBB456_1858
; %bb.1857:
	v_cvt_f16_i16_e32 v3, v6
	s_delay_alu instid0(VALU_DEP_1)
	v_and_b32_e32 v3, 0xffff, v3
	global_store_b32 v[1:2], v3, off
.LBB456_1858:
	s_mov_b32 s0, 0
.LBB456_1859:
	s_delay_alu instid0(SALU_CYCLE_1)
	s_and_not1_b32 vcc_lo, exec_lo, s0
	s_cbranch_vccnz .LBB456_1868
; %bb.1860:
	v_cmp_gt_i16_e32 vcc_lo, 6, v7
	s_mov_b32 s0, -1
	s_cbranch_vccnz .LBB456_1866
; %bb.1861:
	v_cmp_lt_i16_e32 vcc_lo, 6, v7
	s_cbranch_vccz .LBB456_1863
; %bb.1862:
	v_bfe_i32 v3, v6, 0, 16
	s_mov_b32 s0, 0
	s_delay_alu instid0(VALU_DEP_1)
	v_cvt_f64_i32_e32 v[3:4], v3
	global_store_b64 v[1:2], v[3:4], off
.LBB456_1863:
	s_and_not1_b32 vcc_lo, exec_lo, s0
	s_cbranch_vccnz .LBB456_1865
; %bb.1864:
	v_bfe_i32 v3, v6, 0, 16
	s_delay_alu instid0(VALU_DEP_1)
	v_cvt_f32_i32_e32 v3, v3
	global_store_b32 v[1:2], v3, off
.LBB456_1865:
	s_mov_b32 s0, 0
.LBB456_1866:
	s_delay_alu instid0(SALU_CYCLE_1)
	s_and_not1_b32 vcc_lo, exec_lo, s0
	s_cbranch_vccnz .LBB456_1868
; %bb.1867:
	v_cvt_f16_i16_e32 v3, v6
	global_store_b16 v[1:2], v3, off
.LBB456_1868:
	s_mov_b32 s0, 0
.LBB456_1869:
	s_delay_alu instid0(SALU_CYCLE_1)
	s_and_not1_b32 vcc_lo, exec_lo, s0
	s_cbranch_vccnz .LBB456_1885
; %bb.1870:
	v_cmp_gt_i16_e32 vcc_lo, 2, v7
	s_mov_b32 s0, -1
	s_cbranch_vccnz .LBB456_1880
; %bb.1871:
	v_cmp_gt_i16_e32 vcc_lo, 3, v7
	s_cbranch_vccnz .LBB456_1877
; %bb.1872:
	v_cmp_lt_i16_e32 vcc_lo, 3, v7
	v_bfe_i32 v3, v6, 0, 16
	s_cbranch_vccz .LBB456_1874
; %bb.1873:
	s_delay_alu instid0(VALU_DEP_1)
	v_ashrrev_i32_e32 v4, 31, v3
	s_mov_b32 s0, 0
	global_store_b64 v[1:2], v[3:4], off
.LBB456_1874:
	s_and_not1_b32 vcc_lo, exec_lo, s0
	s_cbranch_vccnz .LBB456_1876
; %bb.1875:
	global_store_b32 v[1:2], v3, off
.LBB456_1876:
	s_mov_b32 s0, 0
.LBB456_1877:
	s_delay_alu instid0(SALU_CYCLE_1)
	s_and_not1_b32 vcc_lo, exec_lo, s0
	s_cbranch_vccnz .LBB456_1879
; %bb.1878:
	global_store_b16 v[1:2], v6, off
.LBB456_1879:
	s_mov_b32 s0, 0
.LBB456_1880:
	s_delay_alu instid0(SALU_CYCLE_1)
	s_and_not1_b32 vcc_lo, exec_lo, s0
	s_cbranch_vccnz .LBB456_1885
; %bb.1881:
	v_cmp_lt_i16_e32 vcc_lo, 0, v7
	s_mov_b32 s0, -1
	s_cbranch_vccz .LBB456_1883
; %bb.1882:
	s_mov_b32 s0, 0
	global_store_b8 v[1:2], v6, off
.LBB456_1883:
	s_and_not1_b32 vcc_lo, exec_lo, s0
	s_cbranch_vccnz .LBB456_1885
; %bb.1884:
	global_store_b8 v[1:2], v6, off
.LBB456_1885:
	s_mov_b32 s3, -1
.LBB456_1886:
	s_delay_alu instid0(SALU_CYCLE_1)
	s_and_not1_b32 vcc_lo, exec_lo, s3
	s_cbranch_vccnz .LBB456_1963
; %bb.1887:
	v_add_nc_u32_e32 v1, s1, v5
	v_min_i16 v2, v0, s8
	v_cmp_gt_i16_e32 vcc_lo, 11, v7
	s_delay_alu instid0(VALU_DEP_3) | instskip(SKIP_1) | instid1(VALU_DEP_1)
	v_ashrrev_i32_e32 v3, 31, v1
	v_add_co_u32 v0, s0, s4, v1
	v_add_co_ci_u32_e64 v1, s0, s5, v3, s0
	s_cbranch_vccnz .LBB456_2008
; %bb.1888:
	v_cmp_lt_i16_e32 vcc_lo, 25, v7
	s_mov_b32 s2, -1
	s_mov_b32 s1, 0
	s_mov_b32 s0, 0
	s_cbranch_vccz .LBB456_1921
; %bb.1889:
	v_cmp_lt_i16_e32 vcc_lo, 28, v7
	s_cbranch_vccz .LBB456_1905
; %bb.1890:
	v_cmp_lt_i16_e32 vcc_lo, 43, v7
	;; [unrolled: 3-line block ×3, first 2 shown]
	s_cbranch_vccz .LBB456_1895
; %bb.1892:
	v_cmp_eq_u16_e32 vcc_lo, 46, v7
	s_mov_b32 s0, -1
	s_cbranch_vccz .LBB456_1894
; %bb.1893:
	v_bfe_i32 v3, v2, 0, 16
	s_mov_b32 s0, 0
	s_delay_alu instid0(VALU_DEP_1) | instskip(NEXT) | instid1(VALU_DEP_1)
	v_cvt_f32_i32_e32 v3, v3
	v_bfe_u32 v4, v3, 16, 1
	s_delay_alu instid0(VALU_DEP_1) | instskip(NEXT) | instid1(VALU_DEP_1)
	v_add3_u32 v3, v3, v4, 0x7fff
	v_lshrrev_b32_e32 v3, 16, v3
	global_store_b32 v[0:1], v3, off
.LBB456_1894:
	s_mov_b32 s2, 0
.LBB456_1895:
	s_delay_alu instid0(SALU_CYCLE_1)
	s_and_b32 vcc_lo, exec_lo, s2
	s_cbranch_vccz .LBB456_1900
; %bb.1896:
	v_cmp_eq_u16_e32 vcc_lo, 44, v7
	s_mov_b32 s0, -1
	s_cbranch_vccz .LBB456_1900
; %bb.1897:
	v_bfe_i32 v3, v2, 0, 16
	v_mov_b32_e32 v4, 0xff
	s_mov_b32 s2, exec_lo
	s_delay_alu instid0(VALU_DEP_2) | instskip(NEXT) | instid1(VALU_DEP_1)
	v_cvt_f32_i32_e32 v3, v3
	v_bfe_u32 v5, v3, 23, 8
	s_delay_alu instid0(VALU_DEP_1)
	v_cmpx_ne_u32_e32 0xff, v5
; %bb.1898:
	v_and_b32_e32 v4, 0x400000, v3
	v_and_or_b32 v5, 0x3fffff, v3, v5
	v_lshrrev_b32_e32 v3, 23, v3
	s_delay_alu instid0(VALU_DEP_3) | instskip(NEXT) | instid1(VALU_DEP_3)
	v_cmp_ne_u32_e32 vcc_lo, 0, v4
	v_cmp_ne_u32_e64 s0, 0, v5
	s_delay_alu instid0(VALU_DEP_1) | instskip(NEXT) | instid1(SALU_CYCLE_1)
	s_and_b32 s0, vcc_lo, s0
	v_cndmask_b32_e64 v4, 0, 1, s0
	s_delay_alu instid0(VALU_DEP_1)
	v_add_nc_u32_e32 v4, v3, v4
; %bb.1899:
	s_or_b32 exec_lo, exec_lo, s2
	s_mov_b32 s0, 0
	global_store_b8 v[0:1], v4, off
.LBB456_1900:
	s_mov_b32 s2, 0
.LBB456_1901:
	s_delay_alu instid0(SALU_CYCLE_1)
	s_and_b32 vcc_lo, exec_lo, s2
	s_cbranch_vccz .LBB456_1904
; %bb.1902:
	v_cmp_eq_u16_e32 vcc_lo, 29, v7
	s_mov_b32 s0, -1
	s_cbranch_vccz .LBB456_1904
; %bb.1903:
	v_bfe_i32 v3, v2, 0, 16
	s_mov_b32 s0, 0
	s_delay_alu instid0(VALU_DEP_1)
	v_ashrrev_i32_e32 v4, 31, v3
	global_store_b64 v[0:1], v[3:4], off
.LBB456_1904:
	s_mov_b32 s2, 0
.LBB456_1905:
	s_delay_alu instid0(SALU_CYCLE_1)
	s_and_b32 vcc_lo, exec_lo, s2
	s_cbranch_vccz .LBB456_1920
; %bb.1906:
	v_cmp_gt_i16_e32 vcc_lo, 27, v7
	s_mov_b32 s2, -1
	s_cbranch_vccnz .LBB456_1912
; %bb.1907:
	v_cmp_lt_i16_e32 vcc_lo, 27, v7
	s_cbranch_vccz .LBB456_1909
; %bb.1908:
	v_bfe_i32 v3, v2, 0, 16
	s_mov_b32 s2, 0
	global_store_b32 v[0:1], v3, off
.LBB456_1909:
	s_and_not1_b32 vcc_lo, exec_lo, s2
	s_cbranch_vccnz .LBB456_1911
; %bb.1910:
	global_store_b16 v[0:1], v2, off
.LBB456_1911:
	s_mov_b32 s2, 0
.LBB456_1912:
	s_delay_alu instid0(SALU_CYCLE_1)
	s_and_not1_b32 vcc_lo, exec_lo, s2
	s_cbranch_vccnz .LBB456_1920
; %bb.1913:
	v_bfe_i32 v3, v2, 0, 16
	v_mov_b32_e32 v5, 0x80
	s_mov_b32 s2, exec_lo
	s_delay_alu instid0(VALU_DEP_2) | instskip(NEXT) | instid1(VALU_DEP_1)
	v_cvt_f32_i32_e32 v3, v3
	v_and_b32_e32 v4, 0x7fffffff, v3
	s_delay_alu instid0(VALU_DEP_1)
	v_cmpx_gt_u32_e32 0x43800000, v4
	s_cbranch_execz .LBB456_1919
; %bb.1914:
	v_cmp_lt_u32_e32 vcc_lo, 0x3bffffff, v4
	s_mov_b32 s3, 0
                                        ; implicit-def: $vgpr4
	s_and_saveexec_b32 s4, vcc_lo
	s_delay_alu instid0(SALU_CYCLE_1)
	s_xor_b32 s4, exec_lo, s4
	s_cbranch_execz .LBB456_2035
; %bb.1915:
	v_bfe_u32 v4, v3, 20, 1
	s_mov_b32 s3, exec_lo
	s_delay_alu instid0(VALU_DEP_1) | instskip(NEXT) | instid1(VALU_DEP_1)
	v_add3_u32 v4, v3, v4, 0x487ffff
	v_lshrrev_b32_e32 v4, 20, v4
	s_or_saveexec_b32 s4, s4
                                        ; implicit-def: $sgpr5
	s_delay_alu instid0(SALU_CYCLE_1)
	s_xor_b32 exec_lo, exec_lo, s4
	s_cbranch_execnz .LBB456_2036
.LBB456_1916:
	s_or_b32 exec_lo, exec_lo, s4
	v_mov_b32_e32 v5, s5
	s_and_saveexec_b32 s4, s3
.LBB456_1917:
	v_lshrrev_b32_e32 v3, 24, v3
	s_delay_alu instid0(VALU_DEP_1)
	v_and_or_b32 v5, 0x80, v3, v4
.LBB456_1918:
	s_or_b32 exec_lo, exec_lo, s4
.LBB456_1919:
	s_delay_alu instid0(SALU_CYCLE_1)
	s_or_b32 exec_lo, exec_lo, s2
	global_store_b8 v[0:1], v5, off
.LBB456_1920:
	s_mov_b32 s2, 0
.LBB456_1921:
	s_delay_alu instid0(SALU_CYCLE_1)
	s_and_b32 vcc_lo, exec_lo, s2
	s_cbranch_vccz .LBB456_1961
; %bb.1922:
	v_cmp_lt_i16_e32 vcc_lo, 22, v7
	s_mov_b32 s1, -1
	s_cbranch_vccz .LBB456_1954
; %bb.1923:
	v_cmp_gt_i16_e32 vcc_lo, 24, v7
	s_cbranch_vccnz .LBB456_1943
; %bb.1924:
	v_cmp_lt_i16_e32 vcc_lo, 24, v7
	s_cbranch_vccz .LBB456_1932
; %bb.1925:
	v_bfe_i32 v3, v2, 0, 16
	v_mov_b32_e32 v5, 0x80
	s_mov_b32 s1, exec_lo
	s_delay_alu instid0(VALU_DEP_2) | instskip(NEXT) | instid1(VALU_DEP_1)
	v_cvt_f32_i32_e32 v3, v3
	v_and_b32_e32 v4, 0x7fffffff, v3
	s_delay_alu instid0(VALU_DEP_1)
	v_cmpx_gt_u32_e32 0x47800000, v4
	s_cbranch_execz .LBB456_1931
; %bb.1926:
	v_cmp_lt_u32_e32 vcc_lo, 0x37ffffff, v4
	s_mov_b32 s2, 0
                                        ; implicit-def: $vgpr4
	s_and_saveexec_b32 s3, vcc_lo
	s_delay_alu instid0(SALU_CYCLE_1)
	s_xor_b32 s3, exec_lo, s3
	s_cbranch_execz .LBB456_2041
; %bb.1927:
	v_bfe_u32 v4, v3, 21, 1
	s_mov_b32 s2, exec_lo
	s_delay_alu instid0(VALU_DEP_1) | instskip(NEXT) | instid1(VALU_DEP_1)
	v_add3_u32 v4, v3, v4, 0x88fffff
	v_lshrrev_b32_e32 v4, 21, v4
	s_or_saveexec_b32 s3, s3
                                        ; implicit-def: $sgpr4
	s_delay_alu instid0(SALU_CYCLE_1)
	s_xor_b32 exec_lo, exec_lo, s3
	s_cbranch_execnz .LBB456_2042
.LBB456_1928:
	s_or_b32 exec_lo, exec_lo, s3
	v_mov_b32_e32 v5, s4
	s_and_saveexec_b32 s3, s2
.LBB456_1929:
	v_lshrrev_b32_e32 v3, 24, v3
	s_delay_alu instid0(VALU_DEP_1)
	v_and_or_b32 v5, 0x80, v3, v4
.LBB456_1930:
	s_or_b32 exec_lo, exec_lo, s3
.LBB456_1931:
	s_delay_alu instid0(SALU_CYCLE_1)
	s_or_b32 exec_lo, exec_lo, s1
	s_mov_b32 s1, 0
	global_store_b8 v[0:1], v5, off
.LBB456_1932:
	s_and_b32 vcc_lo, exec_lo, s1
	s_cbranch_vccz .LBB456_1942
; %bb.1933:
	v_bfe_i32 v3, v2, 0, 16
	s_mov_b32 s1, exec_lo
                                        ; implicit-def: $vgpr4
	s_delay_alu instid0(VALU_DEP_1) | instskip(NEXT) | instid1(VALU_DEP_1)
	v_cvt_f32_i32_e32 v3, v3
	v_and_b32_e32 v5, 0x7fffffff, v3
	s_delay_alu instid0(VALU_DEP_1)
	v_cmpx_gt_u32_e32 0x43f00000, v5
	s_xor_b32 s1, exec_lo, s1
	s_cbranch_execz .LBB456_1939
; %bb.1934:
	s_mov_b32 s2, exec_lo
                                        ; implicit-def: $vgpr4
	v_cmpx_lt_u32_e32 0x3c7fffff, v5
	s_xor_b32 s2, exec_lo, s2
; %bb.1935:
	v_bfe_u32 v4, v3, 20, 1
	s_delay_alu instid0(VALU_DEP_1) | instskip(NEXT) | instid1(VALU_DEP_1)
	v_add3_u32 v4, v3, v4, 0x407ffff
	v_and_b32_e32 v5, 0xff00000, v4
	v_lshrrev_b32_e32 v4, 20, v4
	s_delay_alu instid0(VALU_DEP_2) | instskip(NEXT) | instid1(VALU_DEP_2)
	v_cmp_ne_u32_e32 vcc_lo, 0x7f00000, v5
	v_cndmask_b32_e32 v4, 0x7e, v4, vcc_lo
; %bb.1936:
	s_and_not1_saveexec_b32 s2, s2
; %bb.1937:
	v_add_f32_e64 v4, 0x46800000, |v3|
; %bb.1938:
	s_or_b32 exec_lo, exec_lo, s2
                                        ; implicit-def: $vgpr5
.LBB456_1939:
	s_and_not1_saveexec_b32 s1, s1
; %bb.1940:
	v_mov_b32_e32 v4, 0x7f
	v_cmp_lt_u32_e32 vcc_lo, 0x7f800000, v5
	s_delay_alu instid0(VALU_DEP_2)
	v_cndmask_b32_e32 v4, 0x7e, v4, vcc_lo
; %bb.1941:
	s_or_b32 exec_lo, exec_lo, s1
	v_lshrrev_b32_e32 v3, 24, v3
	s_delay_alu instid0(VALU_DEP_1)
	v_and_or_b32 v3, 0x80, v3, v4
	global_store_b8 v[0:1], v3, off
.LBB456_1942:
	s_mov_b32 s1, 0
.LBB456_1943:
	s_delay_alu instid0(SALU_CYCLE_1)
	s_and_not1_b32 vcc_lo, exec_lo, s1
	s_cbranch_vccnz .LBB456_1953
; %bb.1944:
	v_bfe_i32 v3, v2, 0, 16
	s_mov_b32 s1, exec_lo
                                        ; implicit-def: $vgpr4
	s_delay_alu instid0(VALU_DEP_1) | instskip(NEXT) | instid1(VALU_DEP_1)
	v_cvt_f32_i32_e32 v3, v3
	v_and_b32_e32 v5, 0x7fffffff, v3
	s_delay_alu instid0(VALU_DEP_1)
	v_cmpx_gt_u32_e32 0x47800000, v5
	s_xor_b32 s1, exec_lo, s1
	s_cbranch_execz .LBB456_1950
; %bb.1945:
	s_mov_b32 s2, exec_lo
                                        ; implicit-def: $vgpr4
	v_cmpx_lt_u32_e32 0x387fffff, v5
	s_xor_b32 s2, exec_lo, s2
; %bb.1946:
	v_bfe_u32 v4, v3, 21, 1
	s_delay_alu instid0(VALU_DEP_1) | instskip(NEXT) | instid1(VALU_DEP_1)
	v_add3_u32 v4, v3, v4, 0x80fffff
	v_lshrrev_b32_e32 v4, 21, v4
; %bb.1947:
	s_and_not1_saveexec_b32 s2, s2
; %bb.1948:
	v_add_f32_e64 v4, 0x43000000, |v3|
; %bb.1949:
	s_or_b32 exec_lo, exec_lo, s2
                                        ; implicit-def: $vgpr5
.LBB456_1950:
	s_and_not1_saveexec_b32 s1, s1
; %bb.1951:
	v_mov_b32_e32 v4, 0x7f
	v_cmp_lt_u32_e32 vcc_lo, 0x7f800000, v5
	s_delay_alu instid0(VALU_DEP_2)
	v_cndmask_b32_e32 v4, 0x7c, v4, vcc_lo
; %bb.1952:
	s_or_b32 exec_lo, exec_lo, s1
	v_lshrrev_b32_e32 v3, 24, v3
	s_delay_alu instid0(VALU_DEP_1)
	v_and_or_b32 v3, 0x80, v3, v4
	global_store_b8 v[0:1], v3, off
.LBB456_1953:
	s_mov_b32 s1, 0
.LBB456_1954:
	s_delay_alu instid0(SALU_CYCLE_1)
	s_and_not1_b32 vcc_lo, exec_lo, s1
	s_mov_b32 s1, 0
	s_cbranch_vccnz .LBB456_1961
; %bb.1955:
	v_cmp_lt_i16_e32 vcc_lo, 14, v7
	s_mov_b32 s1, -1
	s_cbranch_vccz .LBB456_1959
; %bb.1956:
	v_cmp_eq_u16_e32 vcc_lo, 15, v7
	s_mov_b32 s0, -1
	s_cbranch_vccz .LBB456_1958
; %bb.1957:
	v_bfe_i32 v3, v2, 0, 16
	s_mov_b32 s0, 0
	s_delay_alu instid0(VALU_DEP_1) | instskip(NEXT) | instid1(VALU_DEP_1)
	v_cvt_f32_i32_e32 v3, v3
	v_bfe_u32 v4, v3, 16, 1
	s_delay_alu instid0(VALU_DEP_1)
	v_add3_u32 v3, v3, v4, 0x7fff
	global_store_d16_hi_b16 v[0:1], v3, off
.LBB456_1958:
	s_mov_b32 s1, 0
.LBB456_1959:
	s_delay_alu instid0(SALU_CYCLE_1)
	s_and_b32 vcc_lo, exec_lo, s1
	s_mov_b32 s1, 0
	s_cbranch_vccz .LBB456_1961
; %bb.1960:
	v_cmp_ne_u16_e64 s0, 11, v7
	s_mov_b32 s1, -1
.LBB456_1961:
	s_delay_alu instid0(VALU_DEP_1)
	s_and_b32 vcc_lo, exec_lo, s0
	s_cbranch_vccnz .LBB456_2039
.LBB456_1962:
	s_mov_b32 s0, 0
	s_branch .LBB456_1964
.LBB456_1963:
	s_mov_b32 s0, 0
	s_mov_b32 s1, 0
                                        ; implicit-def: $vgpr7
                                        ; implicit-def: $vgpr0_vgpr1
                                        ; implicit-def: $vgpr2
.LBB456_1964:
	s_and_not1_b32 s2, s12, exec_lo
	s_and_b32 s3, s10, exec_lo
	s_and_b32 s0, s0, exec_lo
	;; [unrolled: 1-line block ×3, first 2 shown]
	s_or_b32 s12, s2, s3
.LBB456_1965:
	s_or_b32 exec_lo, exec_lo, s11
	s_and_saveexec_b32 s1, s12
	s_cbranch_execz .LBB456_1968
; %bb.1966:
	; divergent unreachable
	s_or_b32 exec_lo, exec_lo, s1
	s_and_saveexec_b32 s1, s10
	s_delay_alu instid0(SALU_CYCLE_1)
	s_xor_b32 s1, exec_lo, s1
	s_cbranch_execnz .LBB456_1969
.LBB456_1967:
	s_or_b32 exec_lo, exec_lo, s1
	s_and_saveexec_b32 s1, s0
	s_cbranch_execnz .LBB456_1970
	s_branch .LBB456_2007
.LBB456_1968:
	s_or_b32 exec_lo, exec_lo, s1
	s_and_saveexec_b32 s1, s10
	s_delay_alu instid0(SALU_CYCLE_1)
	s_xor_b32 s1, exec_lo, s1
	s_cbranch_execz .LBB456_1967
.LBB456_1969:
	s_waitcnt vmcnt(0)
	v_cmp_ne_u16_e32 vcc_lo, 0, v2
	v_cndmask_b32_e64 v3, 0, 1, vcc_lo
	global_store_b8 v[0:1], v3, off
	s_or_b32 exec_lo, exec_lo, s1
	s_and_saveexec_b32 s1, s0
	s_cbranch_execz .LBB456_2007
.LBB456_1970:
	s_waitcnt vmcnt(0)
	v_cmp_gt_i16_e32 vcc_lo, 5, v7
	s_mov_b32 s0, -1
	s_cbranch_vccnz .LBB456_1991
; %bb.1971:
	v_cmp_gt_i16_e32 vcc_lo, 8, v7
	s_cbranch_vccnz .LBB456_1981
; %bb.1972:
	v_cmp_gt_i16_e32 vcc_lo, 9, v7
	s_cbranch_vccnz .LBB456_1978
; %bb.1973:
	v_cmp_lt_i16_e32 vcc_lo, 9, v7
	s_cbranch_vccz .LBB456_1975
; %bb.1974:
	v_bfe_i32 v3, v2, 0, 16
	v_mov_b32_e32 v5, 0
	s_mov_b32 s0, 0
	s_delay_alu instid0(VALU_DEP_2) | instskip(NEXT) | instid1(VALU_DEP_2)
	v_cvt_f64_i32_e32 v[3:4], v3
	v_mov_b32_e32 v6, v5
	global_store_b128 v[0:1], v[3:6], off
.LBB456_1975:
	s_and_not1_b32 vcc_lo, exec_lo, s0
	s_cbranch_vccnz .LBB456_1977
; %bb.1976:
	v_bfe_i32 v3, v2, 0, 16
	v_mov_b32_e32 v4, 0
	s_delay_alu instid0(VALU_DEP_2)
	v_cvt_f32_i32_e32 v3, v3
	global_store_b64 v[0:1], v[3:4], off
.LBB456_1977:
	s_mov_b32 s0, 0
.LBB456_1978:
	s_delay_alu instid0(SALU_CYCLE_1)
	s_and_not1_b32 vcc_lo, exec_lo, s0
	s_cbranch_vccnz .LBB456_1980
; %bb.1979:
	v_cvt_f16_i16_e32 v3, v2
	s_delay_alu instid0(VALU_DEP_1)
	v_and_b32_e32 v3, 0xffff, v3
	global_store_b32 v[0:1], v3, off
.LBB456_1980:
	s_mov_b32 s0, 0
.LBB456_1981:
	s_delay_alu instid0(SALU_CYCLE_1)
	s_and_not1_b32 vcc_lo, exec_lo, s0
	s_cbranch_vccnz .LBB456_1990
; %bb.1982:
	v_cmp_gt_i16_e32 vcc_lo, 6, v7
	s_mov_b32 s0, -1
	s_cbranch_vccnz .LBB456_1988
; %bb.1983:
	v_cmp_lt_i16_e32 vcc_lo, 6, v7
	s_cbranch_vccz .LBB456_1985
; %bb.1984:
	v_bfe_i32 v3, v2, 0, 16
	s_mov_b32 s0, 0
	s_delay_alu instid0(VALU_DEP_1)
	v_cvt_f64_i32_e32 v[3:4], v3
	global_store_b64 v[0:1], v[3:4], off
.LBB456_1985:
	s_and_not1_b32 vcc_lo, exec_lo, s0
	s_cbranch_vccnz .LBB456_1987
; %bb.1986:
	v_bfe_i32 v3, v2, 0, 16
	s_delay_alu instid0(VALU_DEP_1)
	v_cvt_f32_i32_e32 v3, v3
	global_store_b32 v[0:1], v3, off
.LBB456_1987:
	s_mov_b32 s0, 0
.LBB456_1988:
	s_delay_alu instid0(SALU_CYCLE_1)
	s_and_not1_b32 vcc_lo, exec_lo, s0
	s_cbranch_vccnz .LBB456_1990
; %bb.1989:
	v_cvt_f16_i16_e32 v3, v2
	global_store_b16 v[0:1], v3, off
.LBB456_1990:
	s_mov_b32 s0, 0
.LBB456_1991:
	s_delay_alu instid0(SALU_CYCLE_1)
	s_and_not1_b32 vcc_lo, exec_lo, s0
	s_cbranch_vccnz .LBB456_2007
; %bb.1992:
	v_cmp_gt_i16_e32 vcc_lo, 2, v7
	s_mov_b32 s0, -1
	s_cbranch_vccnz .LBB456_2002
; %bb.1993:
	v_cmp_gt_i16_e32 vcc_lo, 3, v7
	s_cbranch_vccnz .LBB456_1999
; %bb.1994:
	v_cmp_lt_i16_e32 vcc_lo, 3, v7
	s_cbranch_vccz .LBB456_1996
; %bb.1995:
	v_bfe_i32 v3, v2, 0, 16
	s_mov_b32 s0, 0
	s_delay_alu instid0(VALU_DEP_1)
	v_ashrrev_i32_e32 v4, 31, v3
	global_store_b64 v[0:1], v[3:4], off
.LBB456_1996:
	s_and_not1_b32 vcc_lo, exec_lo, s0
	s_cbranch_vccnz .LBB456_1998
; %bb.1997:
	v_bfe_i32 v3, v2, 0, 16
	global_store_b32 v[0:1], v3, off
.LBB456_1998:
	s_mov_b32 s0, 0
.LBB456_1999:
	s_delay_alu instid0(SALU_CYCLE_1)
	s_and_not1_b32 vcc_lo, exec_lo, s0
	s_cbranch_vccnz .LBB456_2001
; %bb.2000:
	global_store_b16 v[0:1], v2, off
.LBB456_2001:
	s_mov_b32 s0, 0
.LBB456_2002:
	s_delay_alu instid0(SALU_CYCLE_1)
	s_and_not1_b32 vcc_lo, exec_lo, s0
	s_cbranch_vccnz .LBB456_2007
; %bb.2003:
	v_cmp_lt_i16_e32 vcc_lo, 0, v7
	s_mov_b32 s0, -1
	s_cbranch_vccz .LBB456_2005
; %bb.2004:
	s_mov_b32 s0, 0
	global_store_b8 v[0:1], v2, off
.LBB456_2005:
	s_and_not1_b32 vcc_lo, exec_lo, s0
	s_cbranch_vccnz .LBB456_2007
; %bb.2006:
	global_store_b8 v[0:1], v2, off
	s_nop 0
	s_sendmsg sendmsg(MSG_DEALLOC_VGPRS)
	s_endpgm
.LBB456_2007:
	s_nop 0
	s_sendmsg sendmsg(MSG_DEALLOC_VGPRS)
	s_endpgm
.LBB456_2008:
	s_mov_b32 s1, 0
	s_mov_b32 s0, -1
	s_branch .LBB456_1964
.LBB456_2009:
	s_cbranch_execnz .LBB456_2013
; %bb.2010:
	s_or_b32 s10, s10, exec_lo
                                        ; implicit-def: $vgpr0
	s_cbranch_execz .LBB456_1478
	s_branch .LBB456_1479
.LBB456_2011:
	s_or_saveexec_b32 s7, s7
                                        ; implicit-def: $sgpr9
	s_delay_alu instid0(SALU_CYCLE_1)
	s_xor_b32 exec_lo, exec_lo, s7
	s_cbranch_execz .LBB456_1558
.LBB456_2012:
	v_add_f32_e64 v9, 0x46000000, |v8|
	s_and_not1_b32 s6, s6, exec_lo
	s_mov_b32 s9, 0
	s_delay_alu instid0(VALU_DEP_1) | instskip(NEXT) | instid1(VALU_DEP_1)
	v_and_b32_e32 v9, 0xff, v9
	v_cmp_ne_u32_e32 vcc_lo, 0, v9
	s_and_b32 s13, vcc_lo, exec_lo
	s_delay_alu instid0(SALU_CYCLE_1)
	s_or_b32 s6, s6, s13
	s_or_b32 exec_lo, exec_lo, s7
	v_mov_b32_e32 v10, s9
	s_and_saveexec_b32 s7, s6
	s_cbranch_execnz .LBB456_1559
	s_branch .LBB456_1560
.LBB456_2013:
	s_trap 2
	s_sendmsg_rtn_b32 s0, sendmsg(MSG_RTN_GET_DOORBELL)
	s_mov_b32 ttmp2, m0
	s_waitcnt lgkmcnt(0)
	s_and_b32 s0, s0, 0x3ff
	s_delay_alu instid0(SALU_CYCLE_1) | instskip(NEXT) | instid1(SALU_CYCLE_1)
	s_bitset1_b32 s0, 10
	s_mov_b32 m0, s0
	s_sendmsg sendmsg(MSG_INTERRUPT)
	s_mov_b32 m0, ttmp2
.LBB456_2014:                           ; =>This Inner Loop Header: Depth=1
	s_sethalt 5
	s_branch .LBB456_2014
.LBB456_2015:
	s_cbranch_execnz .LBB456_2021
; %bb.2016:
	s_or_b32 s10, s10, exec_lo
	s_cbranch_execz .LBB456_1606
	s_branch .LBB456_1607
.LBB456_2017:
	s_or_saveexec_b32 s6, s6
                                        ; implicit-def: $sgpr7
	s_delay_alu instid0(SALU_CYCLE_1)
	s_xor_b32 exec_lo, exec_lo, s6
	s_cbranch_execz .LBB456_1571
.LBB456_2018:
	v_add_f32_e64 v9, 0x42800000, |v8|
	s_and_not1_b32 s3, s3, exec_lo
	s_mov_b32 s7, 0
	s_delay_alu instid0(VALU_DEP_1) | instskip(NEXT) | instid1(VALU_DEP_1)
	v_and_b32_e32 v9, 0xff, v9
	v_cmp_ne_u32_e32 vcc_lo, 0, v9
	s_and_b32 s9, vcc_lo, exec_lo
	s_delay_alu instid0(SALU_CYCLE_1)
	s_or_b32 s3, s3, s9
	s_or_b32 exec_lo, exec_lo, s6
	v_mov_b32_e32 v10, s7
	s_and_saveexec_b32 s6, s3
	s_cbranch_execnz .LBB456_1572
	s_branch .LBB456_1573
.LBB456_2019:
	s_or_saveexec_b32 s7, s7
                                        ; implicit-def: $sgpr9
	s_delay_alu instid0(SALU_CYCLE_1)
	s_xor_b32 exec_lo, exec_lo, s7
	s_cbranch_execz .LBB456_1677
.LBB456_2020:
	v_add_f32_e64 v6, 0x46000000, |v5|
	s_and_not1_b32 s6, s6, exec_lo
	s_mov_b32 s9, 0
	s_delay_alu instid0(VALU_DEP_1) | instskip(NEXT) | instid1(VALU_DEP_1)
	v_and_b32_e32 v6, 0xff, v6
	v_cmp_ne_u32_e32 vcc_lo, 0, v6
	s_and_b32 s13, vcc_lo, exec_lo
	s_delay_alu instid0(SALU_CYCLE_1)
	s_or_b32 s6, s6, s13
	s_or_b32 exec_lo, exec_lo, s7
	v_mov_b32_e32 v9, s9
	s_and_saveexec_b32 s7, s6
	s_cbranch_execnz .LBB456_1678
	s_branch .LBB456_1679
.LBB456_2021:
	s_trap 2
	s_sendmsg_rtn_b32 s0, sendmsg(MSG_RTN_GET_DOORBELL)
	s_mov_b32 ttmp2, m0
	s_waitcnt lgkmcnt(0)
	s_and_b32 s0, s0, 0x3ff
	s_delay_alu instid0(SALU_CYCLE_1) | instskip(NEXT) | instid1(SALU_CYCLE_1)
	s_bitset1_b32 s0, 10
	s_mov_b32 m0, s0
	s_sendmsg sendmsg(MSG_INTERRUPT)
	s_mov_b32 m0, ttmp2
.LBB456_2022:                           ; =>This Inner Loop Header: Depth=1
	s_sethalt 5
	s_branch .LBB456_2022
.LBB456_2023:
	s_cbranch_execnz .LBB456_2029
; %bb.2024:
	s_or_b32 s10, s10, exec_lo
	s_cbranch_execz .LBB456_1725
	s_branch .LBB456_1726
.LBB456_2025:
	s_or_saveexec_b32 s6, s6
                                        ; implicit-def: $sgpr7
	s_delay_alu instid0(SALU_CYCLE_1)
	s_xor_b32 exec_lo, exec_lo, s6
	s_cbranch_execz .LBB456_1690
.LBB456_2026:
	v_add_f32_e64 v6, 0x42800000, |v5|
	s_and_not1_b32 s3, s3, exec_lo
	s_mov_b32 s7, 0
	s_delay_alu instid0(VALU_DEP_1) | instskip(NEXT) | instid1(VALU_DEP_1)
	v_and_b32_e32 v6, 0xff, v6
	v_cmp_ne_u32_e32 vcc_lo, 0, v6
	s_and_b32 s9, vcc_lo, exec_lo
	s_delay_alu instid0(SALU_CYCLE_1)
	s_or_b32 s3, s3, s9
	s_or_b32 exec_lo, exec_lo, s6
	v_mov_b32_e32 v9, s7
	s_and_saveexec_b32 s6, s3
	s_cbranch_execnz .LBB456_1691
	s_branch .LBB456_1692
.LBB456_2027:
	s_or_saveexec_b32 s7, s7
                                        ; implicit-def: $sgpr9
	s_delay_alu instid0(SALU_CYCLE_1)
	s_xor_b32 exec_lo, exec_lo, s7
	s_cbranch_execz .LBB456_1796
.LBB456_2028:
	v_add_f32_e64 v4, 0x46000000, |v3|
	s_and_not1_b32 s6, s6, exec_lo
	s_mov_b32 s9, 0
	s_delay_alu instid0(VALU_DEP_1) | instskip(NEXT) | instid1(VALU_DEP_1)
	v_and_b32_e32 v4, 0xff, v4
	v_cmp_ne_u32_e32 vcc_lo, 0, v4
	s_and_b32 s13, vcc_lo, exec_lo
	s_delay_alu instid0(SALU_CYCLE_1)
	s_or_b32 s6, s6, s13
	s_or_b32 exec_lo, exec_lo, s7
	v_mov_b32_e32 v8, s9
	s_and_saveexec_b32 s7, s6
	s_cbranch_execnz .LBB456_1797
	s_branch .LBB456_1798
.LBB456_2029:
	s_trap 2
	s_sendmsg_rtn_b32 s0, sendmsg(MSG_RTN_GET_DOORBELL)
	s_mov_b32 ttmp2, m0
	s_waitcnt lgkmcnt(0)
	s_and_b32 s0, s0, 0x3ff
	s_delay_alu instid0(SALU_CYCLE_1) | instskip(NEXT) | instid1(SALU_CYCLE_1)
	s_bitset1_b32 s0, 10
	s_mov_b32 m0, s0
	s_sendmsg sendmsg(MSG_INTERRUPT)
	s_mov_b32 m0, ttmp2
.LBB456_2030:                           ; =>This Inner Loop Header: Depth=1
	s_sethalt 5
	s_branch .LBB456_2030
.LBB456_2031:
	s_cbranch_execnz .LBB456_2037
; %bb.2032:
	s_or_b32 s10, s10, exec_lo
	s_cbranch_execz .LBB456_1844
	s_branch .LBB456_1845
.LBB456_2033:
	s_or_saveexec_b32 s6, s6
                                        ; implicit-def: $sgpr7
	s_delay_alu instid0(SALU_CYCLE_1)
	s_xor_b32 exec_lo, exec_lo, s6
	s_cbranch_execz .LBB456_1809
.LBB456_2034:
	v_add_f32_e64 v4, 0x42800000, |v3|
	s_and_not1_b32 s3, s3, exec_lo
	s_mov_b32 s7, 0
	s_delay_alu instid0(VALU_DEP_1) | instskip(NEXT) | instid1(VALU_DEP_1)
	v_and_b32_e32 v4, 0xff, v4
	v_cmp_ne_u32_e32 vcc_lo, 0, v4
	s_and_b32 s9, vcc_lo, exec_lo
	s_delay_alu instid0(SALU_CYCLE_1)
	s_or_b32 s3, s3, s9
	s_or_b32 exec_lo, exec_lo, s6
	v_mov_b32_e32 v8, s7
	s_and_saveexec_b32 s6, s3
	s_cbranch_execnz .LBB456_1810
	s_branch .LBB456_1811
.LBB456_2035:
	s_or_saveexec_b32 s4, s4
                                        ; implicit-def: $sgpr5
	s_delay_alu instid0(SALU_CYCLE_1)
	s_xor_b32 exec_lo, exec_lo, s4
	s_cbranch_execz .LBB456_1916
.LBB456_2036:
	v_add_f32_e64 v4, 0x46000000, |v3|
	s_and_not1_b32 s3, s3, exec_lo
	s_mov_b32 s5, 0
	s_delay_alu instid0(VALU_DEP_1) | instskip(NEXT) | instid1(VALU_DEP_1)
	v_and_b32_e32 v4, 0xff, v4
	v_cmp_ne_u32_e32 vcc_lo, 0, v4
	s_and_b32 s6, vcc_lo, exec_lo
	s_delay_alu instid0(SALU_CYCLE_1)
	s_or_b32 s3, s3, s6
	s_or_b32 exec_lo, exec_lo, s4
	v_mov_b32_e32 v5, s5
	s_and_saveexec_b32 s4, s3
	s_cbranch_execnz .LBB456_1917
	s_branch .LBB456_1918
.LBB456_2037:
	s_trap 2
	s_sendmsg_rtn_b32 s0, sendmsg(MSG_RTN_GET_DOORBELL)
	s_mov_b32 ttmp2, m0
	s_waitcnt lgkmcnt(0)
	s_and_b32 s0, s0, 0x3ff
	s_delay_alu instid0(SALU_CYCLE_1) | instskip(NEXT) | instid1(SALU_CYCLE_1)
	s_bitset1_b32 s0, 10
	s_mov_b32 m0, s0
	s_sendmsg sendmsg(MSG_INTERRUPT)
	s_mov_b32 m0, ttmp2
.LBB456_2038:                           ; =>This Inner Loop Header: Depth=1
	s_sethalt 5
	s_branch .LBB456_2038
.LBB456_2039:
	s_cbranch_execnz .LBB456_2043
; %bb.2040:
	s_mov_b32 s1, 0
	s_or_b32 s10, s10, exec_lo
	s_branch .LBB456_1962
.LBB456_2041:
	s_or_saveexec_b32 s3, s3
                                        ; implicit-def: $sgpr4
	s_delay_alu instid0(SALU_CYCLE_1)
	s_xor_b32 exec_lo, exec_lo, s3
	s_cbranch_execz .LBB456_1928
.LBB456_2042:
	v_add_f32_e64 v4, 0x42800000, |v3|
	s_and_not1_b32 s2, s2, exec_lo
	s_mov_b32 s4, 0
	s_delay_alu instid0(VALU_DEP_1) | instskip(NEXT) | instid1(VALU_DEP_1)
	v_and_b32_e32 v4, 0xff, v4
	v_cmp_ne_u32_e32 vcc_lo, 0, v4
	s_and_b32 s5, vcc_lo, exec_lo
	s_delay_alu instid0(SALU_CYCLE_1)
	s_or_b32 s2, s2, s5
	s_or_b32 exec_lo, exec_lo, s3
	v_mov_b32_e32 v5, s4
	s_and_saveexec_b32 s3, s2
	s_cbranch_execnz .LBB456_1929
	s_branch .LBB456_1930
.LBB456_2043:
	s_trap 2
	s_sendmsg_rtn_b32 s0, sendmsg(MSG_RTN_GET_DOORBELL)
	s_mov_b32 ttmp2, m0
	s_waitcnt lgkmcnt(0)
	s_and_b32 s0, s0, 0x3ff
	s_delay_alu instid0(SALU_CYCLE_1) | instskip(NEXT) | instid1(SALU_CYCLE_1)
	s_bitset1_b32 s0, 10
	s_mov_b32 m0, s0
	s_sendmsg sendmsg(MSG_INTERRUPT)
	s_mov_b32 m0, ttmp2
.LBB456_2044:                           ; =>This Inner Loop Header: Depth=1
	s_sethalt 5
	s_branch .LBB456_2044
	.section	.rodata,"a",@progbits
	.p2align	6, 0x0
	.amdhsa_kernel _ZN2at6native32elementwise_kernel_manual_unrollILi128ELi4EZNS0_15gpu_kernel_implIZZZNS0_21clamp_max_kernel_cudaERNS_18TensorIteratorBaseERKN3c106ScalarEENKUlvE_clEvENKUlvE3_clEvEUlsE_EEvS4_RKT_EUlibE_EEviT1_
		.amdhsa_group_segment_fixed_size 0
		.amdhsa_private_segment_fixed_size 0
		.amdhsa_kernarg_size 40
		.amdhsa_user_sgpr_count 15
		.amdhsa_user_sgpr_dispatch_ptr 0
		.amdhsa_user_sgpr_queue_ptr 0
		.amdhsa_user_sgpr_kernarg_segment_ptr 1
		.amdhsa_user_sgpr_dispatch_id 0
		.amdhsa_user_sgpr_private_segment_size 0
		.amdhsa_wavefront_size32 1
		.amdhsa_uses_dynamic_stack 0
		.amdhsa_enable_private_segment 0
		.amdhsa_system_sgpr_workgroup_id_x 1
		.amdhsa_system_sgpr_workgroup_id_y 0
		.amdhsa_system_sgpr_workgroup_id_z 0
		.amdhsa_system_sgpr_workgroup_info 0
		.amdhsa_system_vgpr_workitem_id 0
		.amdhsa_next_free_vgpr 13
		.amdhsa_next_free_sgpr 27
		.amdhsa_reserve_vcc 1
		.amdhsa_float_round_mode_32 0
		.amdhsa_float_round_mode_16_64 0
		.amdhsa_float_denorm_mode_32 3
		.amdhsa_float_denorm_mode_16_64 3
		.amdhsa_dx10_clamp 1
		.amdhsa_ieee_mode 1
		.amdhsa_fp16_overflow 0
		.amdhsa_workgroup_processor_mode 1
		.amdhsa_memory_ordered 1
		.amdhsa_forward_progress 0
		.amdhsa_shared_vgpr_count 0
		.amdhsa_exception_fp_ieee_invalid_op 0
		.amdhsa_exception_fp_denorm_src 0
		.amdhsa_exception_fp_ieee_div_zero 0
		.amdhsa_exception_fp_ieee_overflow 0
		.amdhsa_exception_fp_ieee_underflow 0
		.amdhsa_exception_fp_ieee_inexact 0
		.amdhsa_exception_int_div_zero 0
	.end_amdhsa_kernel
	.section	.text._ZN2at6native32elementwise_kernel_manual_unrollILi128ELi4EZNS0_15gpu_kernel_implIZZZNS0_21clamp_max_kernel_cudaERNS_18TensorIteratorBaseERKN3c106ScalarEENKUlvE_clEvENKUlvE3_clEvEUlsE_EEvS4_RKT_EUlibE_EEviT1_,"axG",@progbits,_ZN2at6native32elementwise_kernel_manual_unrollILi128ELi4EZNS0_15gpu_kernel_implIZZZNS0_21clamp_max_kernel_cudaERNS_18TensorIteratorBaseERKN3c106ScalarEENKUlvE_clEvENKUlvE3_clEvEUlsE_EEvS4_RKT_EUlibE_EEviT1_,comdat
.Lfunc_end456:
	.size	_ZN2at6native32elementwise_kernel_manual_unrollILi128ELi4EZNS0_15gpu_kernel_implIZZZNS0_21clamp_max_kernel_cudaERNS_18TensorIteratorBaseERKN3c106ScalarEENKUlvE_clEvENKUlvE3_clEvEUlsE_EEvS4_RKT_EUlibE_EEviT1_, .Lfunc_end456-_ZN2at6native32elementwise_kernel_manual_unrollILi128ELi4EZNS0_15gpu_kernel_implIZZZNS0_21clamp_max_kernel_cudaERNS_18TensorIteratorBaseERKN3c106ScalarEENKUlvE_clEvENKUlvE3_clEvEUlsE_EEvS4_RKT_EUlibE_EEviT1_
                                        ; -- End function
	.section	.AMDGPU.csdata,"",@progbits
; Kernel info:
; codeLenInByte = 36176
; NumSgprs: 29
; NumVgprs: 13
; ScratchSize: 0
; MemoryBound: 1
; FloatMode: 240
; IeeeMode: 1
; LDSByteSize: 0 bytes/workgroup (compile time only)
; SGPRBlocks: 3
; VGPRBlocks: 1
; NumSGPRsForWavesPerEU: 29
; NumVGPRsForWavesPerEU: 13
; Occupancy: 16
; WaveLimiterHint : 0
; COMPUTE_PGM_RSRC2:SCRATCH_EN: 0
; COMPUTE_PGM_RSRC2:USER_SGPR: 15
; COMPUTE_PGM_RSRC2:TRAP_HANDLER: 0
; COMPUTE_PGM_RSRC2:TGID_X_EN: 1
; COMPUTE_PGM_RSRC2:TGID_Y_EN: 0
; COMPUTE_PGM_RSRC2:TGID_Z_EN: 0
; COMPUTE_PGM_RSRC2:TIDIG_COMP_CNT: 0
	.section	.text._ZN2at6native32elementwise_kernel_manual_unrollILi128ELi4EZNS0_15gpu_kernel_implIZZZNS0_21clamp_max_kernel_cudaERNS_18TensorIteratorBaseERKN3c106ScalarEENKUlvE_clEvENKUlvE3_clEvEUlsE_EEvS4_RKT_EUlibE0_EEviT1_,"axG",@progbits,_ZN2at6native32elementwise_kernel_manual_unrollILi128ELi4EZNS0_15gpu_kernel_implIZZZNS0_21clamp_max_kernel_cudaERNS_18TensorIteratorBaseERKN3c106ScalarEENKUlvE_clEvENKUlvE3_clEvEUlsE_EEvS4_RKT_EUlibE0_EEviT1_,comdat
	.globl	_ZN2at6native32elementwise_kernel_manual_unrollILi128ELi4EZNS0_15gpu_kernel_implIZZZNS0_21clamp_max_kernel_cudaERNS_18TensorIteratorBaseERKN3c106ScalarEENKUlvE_clEvENKUlvE3_clEvEUlsE_EEvS4_RKT_EUlibE0_EEviT1_ ; -- Begin function _ZN2at6native32elementwise_kernel_manual_unrollILi128ELi4EZNS0_15gpu_kernel_implIZZZNS0_21clamp_max_kernel_cudaERNS_18TensorIteratorBaseERKN3c106ScalarEENKUlvE_clEvENKUlvE3_clEvEUlsE_EEvS4_RKT_EUlibE0_EEviT1_
	.p2align	8
	.type	_ZN2at6native32elementwise_kernel_manual_unrollILi128ELi4EZNS0_15gpu_kernel_implIZZZNS0_21clamp_max_kernel_cudaERNS_18TensorIteratorBaseERKN3c106ScalarEENKUlvE_clEvENKUlvE3_clEvEUlsE_EEvS4_RKT_EUlibE0_EEviT1_,@function
_ZN2at6native32elementwise_kernel_manual_unrollILi128ELi4EZNS0_15gpu_kernel_implIZZZNS0_21clamp_max_kernel_cudaERNS_18TensorIteratorBaseERKN3c106ScalarEENKUlvE_clEvENKUlvE3_clEvEUlsE_EEvS4_RKT_EUlibE0_EEviT1_: ; @_ZN2at6native32elementwise_kernel_manual_unrollILi128ELi4EZNS0_15gpu_kernel_implIZZZNS0_21clamp_max_kernel_cudaERNS_18TensorIteratorBaseERKN3c106ScalarEENKUlvE_clEvENKUlvE3_clEvEUlsE_EEvS4_RKT_EUlibE0_EEviT1_
; %bb.0:
	s_clause 0x1
	s_load_b32 s24, s[0:1], 0x8
	s_load_b32 s34, s[0:1], 0x0
	v_lshl_or_b32 v5, s15, 9, v0
	s_or_b32 s16, s0, 8
	s_mov_b32 s3, -1
	s_mov_b32 s26, 0
	s_mov_b32 s17, s1
	v_or_b32_e32 v8, 0x180, v5
	s_mov_b32 s8, 0
	s_mov_b32 s2, exec_lo
	s_waitcnt lgkmcnt(0)
	s_add_i32 s25, s24, -1
	s_delay_alu instid0(SALU_CYCLE_1)
	s_cmp_gt_u32 s25, 1
	s_cselect_b32 s27, -1, 0
	v_cmpx_le_i32_e64 s34, v8
	s_xor_b32 s28, exec_lo, s2
	s_cbranch_execz .LBB457_1060
; %bb.1:
	s_clause 0x5
	s_load_b128 s[8:11], s[16:17], 0x4
	s_load_b32 s2, s[0:1], 0x160
	s_load_b64 s[18:19], s[16:17], 0x14
	s_load_b128 s[12:15], s[16:17], 0xc4
	s_load_b128 s[4:7], s[16:17], 0x148
	s_load_b32 s29, s[16:17], 0x158
	s_cmp_lg_u32 s24, 0
	s_mov_b32 s40, 0
	s_cselect_b32 s36, -1, 0
	s_add_u32 s20, s16, 0xc4
	s_addc_u32 s21, s17, 0
	s_min_u32 s35, s25, 15
	s_cmp_gt_u32 s24, 1
	s_mov_b32 s38, 0
	s_cselect_b32 s33, -1, 0
	s_mov_b32 s37, 0
	s_mov_b32 s39, exec_lo
	s_waitcnt lgkmcnt(0)
	s_lshr_b32 s30, s2, 16
	s_lshr_b32 s31, s2, 24
	v_cmpx_gt_i32_e64 s34, v5
	s_cbranch_execz .LBB457_259
; %bb.2:
	s_and_not1_b32 vcc_lo, exec_lo, s27
	s_cbranch_vccnz .LBB457_7
; %bb.3:
	v_dual_mov_b32 v0, 0 :: v_dual_mov_b32 v1, 0
	s_and_not1_b32 vcc_lo, exec_lo, s36
	s_cbranch_vccnz .LBB457_12
; %bb.4:
	v_mov_b32_e32 v0, 0
	s_add_i32 s41, s35, 1
	s_cmp_eq_u32 s25, 2
	s_cbranch_scc1 .LBB457_8
; %bb.5:
	v_dual_mov_b32 v1, 0 :: v_dual_mov_b32 v0, 0
	v_mov_b32_e32 v2, v5
	s_and_b32 s38, s41, 28
	s_mov_b32 s42, 0
	s_mov_b64 s[2:3], s[20:21]
	s_mov_b64 s[22:23], s[16:17]
.LBB457_6:                              ; =>This Inner Loop Header: Depth=1
	s_clause 0x1
	s_load_b256 s[44:51], s[22:23], 0x4
	s_load_b128 s[60:63], s[22:23], 0x24
	s_load_b256 s[52:59], s[2:3], 0x0
	s_add_u32 s22, s22, 48
	s_addc_u32 s23, s23, 0
	s_add_i32 s42, s42, 4
	s_add_u32 s2, s2, 32
	s_addc_u32 s3, s3, 0
	s_cmp_lg_u32 s38, s42
	s_waitcnt lgkmcnt(0)
	v_mul_hi_u32 v3, s45, v2
	s_delay_alu instid0(VALU_DEP_1) | instskip(NEXT) | instid1(VALU_DEP_1)
	v_add_nc_u32_e32 v3, v2, v3
	v_lshrrev_b32_e32 v3, s46, v3
	s_delay_alu instid0(VALU_DEP_1) | instskip(SKIP_1) | instid1(VALU_DEP_2)
	v_mul_hi_u32 v4, s48, v3
	v_mul_lo_u32 v7, v3, s44
	v_add_nc_u32_e32 v4, v3, v4
	s_delay_alu instid0(VALU_DEP_2) | instskip(NEXT) | instid1(VALU_DEP_2)
	v_sub_nc_u32_e32 v2, v2, v7
	v_lshrrev_b32_e32 v4, s49, v4
	s_delay_alu instid0(VALU_DEP_2) | instskip(SKIP_1) | instid1(VALU_DEP_3)
	v_mul_lo_u32 v7, v2, s52
	v_mul_lo_u32 v9, v2, s53
	v_mul_hi_u32 v6, s51, v4
	s_delay_alu instid0(VALU_DEP_1) | instskip(NEXT) | instid1(VALU_DEP_1)
	v_add_nc_u32_e32 v6, v4, v6
	v_lshrrev_b32_e32 v6, s60, v6
	s_delay_alu instid0(VALU_DEP_1) | instskip(SKIP_1) | instid1(VALU_DEP_2)
	v_mul_hi_u32 v8, s62, v6
	v_mul_lo_u32 v10, v6, s50
	v_add_nc_u32_e32 v2, v6, v8
	v_mul_lo_u32 v8, v4, s47
	s_delay_alu instid0(VALU_DEP_3) | instskip(NEXT) | instid1(VALU_DEP_3)
	v_sub_nc_u32_e32 v4, v4, v10
	v_lshrrev_b32_e32 v2, s63, v2
	s_delay_alu instid0(VALU_DEP_2) | instskip(SKIP_2) | instid1(VALU_DEP_4)
	v_mul_lo_u32 v10, v4, s56
	v_mul_lo_u32 v4, v4, s57
	v_sub_nc_u32_e32 v3, v3, v8
	v_mul_lo_u32 v11, v2, s61
	s_delay_alu instid0(VALU_DEP_2) | instskip(SKIP_1) | instid1(VALU_DEP_3)
	v_mul_lo_u32 v8, v3, s54
	v_mul_lo_u32 v3, v3, s55
	v_sub_nc_u32_e32 v6, v6, v11
	s_delay_alu instid0(VALU_DEP_3) | instskip(NEXT) | instid1(VALU_DEP_2)
	v_add3_u32 v0, v7, v0, v8
	v_mul_lo_u32 v11, v6, s58
	v_mul_lo_u32 v6, v6, s59
	v_add3_u32 v1, v9, v1, v3
	s_delay_alu instid0(VALU_DEP_3) | instskip(NEXT) | instid1(VALU_DEP_2)
	v_add3_u32 v0, v10, v0, v11
	v_add3_u32 v1, v4, v1, v6
	s_cbranch_scc1 .LBB457_6
	s_branch .LBB457_9
.LBB457_7:
	s_mov_b32 s37, -1
                                        ; implicit-def: $vgpr0
                                        ; implicit-def: $vgpr1
	s_branch .LBB457_12
.LBB457_8:
	v_dual_mov_b32 v2, v5 :: v_dual_mov_b32 v1, 0
.LBB457_9:
	s_and_b32 s41, s41, 3
	s_delay_alu instid0(SALU_CYCLE_1)
	s_cmp_eq_u32 s41, 0
	s_cbranch_scc1 .LBB457_12
; %bb.10:
	s_lshl_b32 s2, s38, 3
	s_mul_i32 s22, s38, 12
	s_add_u32 s2, s2, s16
	s_addc_u32 s3, s17, 0
	s_add_u32 s2, s2, 0xc4
	s_addc_u32 s3, s3, 0
	;; [unrolled: 2-line block ×3, first 2 shown]
	.p2align	6
.LBB457_11:                             ; =>This Inner Loop Header: Depth=1
	s_clause 0x1
	s_load_b64 s[42:43], s[22:23], 0x4
	s_load_b32 s38, s[22:23], 0xc
	s_load_b64 s[44:45], s[2:3], 0x0
	s_add_u32 s22, s22, 12
	s_addc_u32 s23, s23, 0
	s_add_u32 s2, s2, 8
	s_addc_u32 s3, s3, 0
	s_add_i32 s41, s41, -1
	s_delay_alu instid0(SALU_CYCLE_1) | instskip(SKIP_2) | instid1(VALU_DEP_1)
	s_cmp_lg_u32 s41, 0
	s_waitcnt lgkmcnt(0)
	v_mul_hi_u32 v3, s43, v2
	v_add_nc_u32_e32 v3, v2, v3
	s_delay_alu instid0(VALU_DEP_1) | instskip(NEXT) | instid1(VALU_DEP_1)
	v_lshrrev_b32_e32 v8, s38, v3
	v_mul_lo_u32 v3, v8, s42
	s_delay_alu instid0(VALU_DEP_1) | instskip(NEXT) | instid1(VALU_DEP_1)
	v_sub_nc_u32_e32 v2, v2, v3
	v_mad_u64_u32 v[3:4], null, v2, s44, v[0:1]
	v_mad_u64_u32 v[6:7], null, v2, s45, v[1:2]
	v_mov_b32_e32 v2, v8
	s_delay_alu instid0(VALU_DEP_2)
	v_dual_mov_b32 v0, v3 :: v_dual_mov_b32 v1, v6
	s_cbranch_scc1 .LBB457_11
.LBB457_12:
	s_and_not1_b32 vcc_lo, exec_lo, s37
	s_cbranch_vccnz .LBB457_15
; %bb.13:
	v_mul_hi_u32 v0, s9, v5
	s_and_not1_b32 vcc_lo, exec_lo, s33
	s_delay_alu instid0(VALU_DEP_1) | instskip(NEXT) | instid1(VALU_DEP_1)
	v_add_nc_u32_e32 v0, v5, v0
	v_lshrrev_b32_e32 v2, s10, v0
	s_delay_alu instid0(VALU_DEP_1) | instskip(NEXT) | instid1(VALU_DEP_1)
	v_mul_lo_u32 v0, v2, s8
	v_sub_nc_u32_e32 v1, v5, v0
	s_delay_alu instid0(VALU_DEP_1)
	v_mul_lo_u32 v0, v1, s12
	v_mul_lo_u32 v1, v1, s13
	s_cbranch_vccnz .LBB457_15
; %bb.14:
	v_mul_hi_u32 v3, s18, v2
	s_delay_alu instid0(VALU_DEP_1) | instskip(NEXT) | instid1(VALU_DEP_1)
	v_add_nc_u32_e32 v3, v2, v3
	v_lshrrev_b32_e32 v3, s19, v3
	s_delay_alu instid0(VALU_DEP_1) | instskip(NEXT) | instid1(VALU_DEP_1)
	v_mul_lo_u32 v3, v3, s11
	v_sub_nc_u32_e32 v6, v2, v3
	s_delay_alu instid0(VALU_DEP_1) | instskip(NEXT) | instid1(VALU_DEP_1)
	v_mad_u64_u32 v[2:3], null, v6, s14, v[0:1]
	v_mad_u64_u32 v[3:4], null, v6, s15, v[1:2]
	s_delay_alu instid0(VALU_DEP_1)
	v_dual_mov_b32 v0, v2 :: v_dual_mov_b32 v1, v3
.LBB457_15:
	v_cmp_lt_i16_e64 s2, s31, 11
	s_delay_alu instid0(VALU_DEP_2) | instskip(NEXT) | instid1(VALU_DEP_1)
	v_add_co_u32 v1, s3, s6, v1
	v_add_co_ci_u32_e64 v2, null, s7, 0, s3
	s_delay_alu instid0(VALU_DEP_3)
	s_and_b32 vcc_lo, exec_lo, s2
	s_mov_b32 s3, 0
	s_cbranch_vccnz .LBB457_22
; %bb.16:
	v_cmp_gt_i16_e64 s2, s31, 25
	s_delay_alu instid0(VALU_DEP_1)
	s_and_b32 vcc_lo, exec_lo, s2
	s_cbranch_vccz .LBB457_141
; %bb.17:
	v_cmp_gt_i16_e64 s2, s31, 28
	s_delay_alu instid0(VALU_DEP_1)
	s_and_b32 vcc_lo, exec_lo, s2
	s_cbranch_vccz .LBB457_142
	;; [unrolled: 5-line block ×4, first 2 shown]
; %bb.20:
	v_cmp_eq_u16_e64 s2, s31, 46
	s_mov_b32 s22, 0
	s_delay_alu instid0(VALU_DEP_1)
	s_and_b32 vcc_lo, exec_lo, s2
	s_cbranch_vccz .LBB457_145
; %bb.21:
	global_load_b32 v3, v[1:2], off
	s_mov_b32 s2, -1
	s_waitcnt vmcnt(0)
	v_lshlrev_b32_e32 v3, 16, v3
	s_delay_alu instid0(VALU_DEP_1)
	v_cvt_i32_f32_e32 v3, v3
	s_branch .LBB457_147
.LBB457_22:
	s_mov_b32 s2, 0
                                        ; implicit-def: $vgpr3
	s_cbranch_execnz .LBB457_209
.LBB457_23:
	s_and_not1_b32 vcc_lo, exec_lo, s2
	s_cbranch_vccnz .LBB457_256
.LBB457_24:
	s_waitcnt vmcnt(0)
	v_and_b32_e64 v4, 0xff, s30
	v_add_co_u32 v0, s22, s4, v0
	s_delay_alu instid0(VALU_DEP_3) | instskip(SKIP_1) | instid1(VALU_DEP_4)
	v_min_i16 v2, v3, s29
	v_add_co_ci_u32_e64 v1, null, s5, 0, s22
	v_cmp_gt_i16_e32 vcc_lo, 11, v4
	s_mov_b32 s2, 0
	s_mov_b32 s23, -1
	s_mov_b32 s22, 0
	s_cbranch_vccnz .LBB457_101
; %bb.25:
	v_cmp_lt_i16_e32 vcc_lo, 25, v4
	s_cbranch_vccz .LBB457_58
; %bb.26:
	v_cmp_lt_i16_e32 vcc_lo, 28, v4
	s_cbranch_vccz .LBB457_41
	;; [unrolled: 3-line block ×4, first 2 shown]
; %bb.29:
	v_cmp_eq_u16_e32 vcc_lo, 46, v4
	s_mov_b32 s23, 0
	s_mov_b32 s2, -1
	s_cbranch_vccz .LBB457_31
; %bb.30:
	v_bfe_i32 v3, v2, 0, 16
	s_mov_b32 s22, -1
	s_mov_b32 s2, 0
	s_delay_alu instid0(VALU_DEP_1) | instskip(NEXT) | instid1(VALU_DEP_1)
	v_cvt_f32_i32_e32 v3, v3
	v_bfe_u32 v6, v3, 16, 1
	s_delay_alu instid0(VALU_DEP_1) | instskip(NEXT) | instid1(VALU_DEP_1)
	v_add3_u32 v3, v3, v6, 0x7fff
	v_lshrrev_b32_e32 v3, 16, v3
	global_store_b32 v[0:1], v3, off
.LBB457_31:
	s_and_b32 vcc_lo, exec_lo, s23
	s_cbranch_vccz .LBB457_36
; %bb.32:
	v_cmp_eq_u16_e32 vcc_lo, 44, v4
	s_mov_b32 s2, -1
	s_cbranch_vccz .LBB457_36
; %bb.33:
	v_bfe_i32 v3, v2, 0, 16
	v_mov_b32_e32 v6, 0xff
	s_mov_b32 s22, exec_lo
	s_delay_alu instid0(VALU_DEP_2) | instskip(NEXT) | instid1(VALU_DEP_1)
	v_cvt_f32_i32_e32 v3, v3
	v_bfe_u32 v7, v3, 23, 8
	s_delay_alu instid0(VALU_DEP_1)
	v_cmpx_ne_u32_e32 0xff, v7
; %bb.34:
	v_and_b32_e32 v6, 0x400000, v3
	v_and_or_b32 v7, 0x3fffff, v3, v7
	v_lshrrev_b32_e32 v3, 23, v3
	s_delay_alu instid0(VALU_DEP_3) | instskip(NEXT) | instid1(VALU_DEP_3)
	v_cmp_ne_u32_e32 vcc_lo, 0, v6
	v_cmp_ne_u32_e64 s2, 0, v7
	s_delay_alu instid0(VALU_DEP_1) | instskip(NEXT) | instid1(SALU_CYCLE_1)
	s_and_b32 s2, vcc_lo, s2
	v_cndmask_b32_e64 v6, 0, 1, s2
	s_delay_alu instid0(VALU_DEP_1)
	v_add_nc_u32_e32 v6, v3, v6
; %bb.35:
	s_or_b32 exec_lo, exec_lo, s22
	s_mov_b32 s22, -1
	s_mov_b32 s2, 0
	global_store_b8 v[0:1], v6, off
.LBB457_36:
	s_mov_b32 s23, 0
.LBB457_37:
	s_delay_alu instid0(SALU_CYCLE_1)
	s_and_b32 vcc_lo, exec_lo, s23
	s_cbranch_vccz .LBB457_40
; %bb.38:
	v_cmp_eq_u16_e32 vcc_lo, 29, v4
	s_mov_b32 s2, -1
	s_cbranch_vccz .LBB457_40
; %bb.39:
	v_bfe_i32 v6, v2, 0, 16
	s_mov_b32 s2, 0
	s_mov_b32 s22, -1
	s_delay_alu instid0(VALU_DEP_1)
	v_ashrrev_i32_e32 v7, 31, v6
	global_store_b64 v[0:1], v[6:7], off
.LBB457_40:
	s_mov_b32 s23, 0
.LBB457_41:
	s_delay_alu instid0(SALU_CYCLE_1)
	s_and_b32 vcc_lo, exec_lo, s23
	s_cbranch_vccz .LBB457_57
; %bb.42:
	v_cmp_gt_i16_e32 vcc_lo, 27, v4
	s_mov_b32 s22, -1
	s_cbranch_vccnz .LBB457_48
; %bb.43:
	v_cmp_lt_i16_e32 vcc_lo, 27, v4
	s_cbranch_vccz .LBB457_45
; %bb.44:
	v_bfe_i32 v3, v2, 0, 16
	s_mov_b32 s22, 0
	global_store_b32 v[0:1], v3, off
.LBB457_45:
	s_and_not1_b32 vcc_lo, exec_lo, s22
	s_cbranch_vccnz .LBB457_47
; %bb.46:
	global_store_b16 v[0:1], v2, off
.LBB457_47:
	s_mov_b32 s22, 0
.LBB457_48:
	s_delay_alu instid0(SALU_CYCLE_1)
	s_and_not1_b32 vcc_lo, exec_lo, s22
	s_cbranch_vccnz .LBB457_56
; %bb.49:
	v_bfe_i32 v3, v2, 0, 16
	v_mov_b32_e32 v7, 0x80
	s_mov_b32 s22, exec_lo
	s_delay_alu instid0(VALU_DEP_2) | instskip(NEXT) | instid1(VALU_DEP_1)
	v_cvt_f32_i32_e32 v3, v3
	v_and_b32_e32 v6, 0x7fffffff, v3
	s_delay_alu instid0(VALU_DEP_1)
	v_cmpx_gt_u32_e32 0x43800000, v6
	s_cbranch_execz .LBB457_55
; %bb.50:
	v_cmp_lt_u32_e32 vcc_lo, 0x3bffffff, v6
	s_mov_b32 s23, 0
                                        ; implicit-def: $vgpr6
	s_and_saveexec_b32 s37, vcc_lo
	s_delay_alu instid0(SALU_CYCLE_1)
	s_xor_b32 s37, exec_lo, s37
	s_cbranch_execz .LBB457_150
; %bb.51:
	v_bfe_u32 v6, v3, 20, 1
	s_mov_b32 s23, exec_lo
	s_delay_alu instid0(VALU_DEP_1) | instskip(NEXT) | instid1(VALU_DEP_1)
	v_add3_u32 v6, v3, v6, 0x487ffff
	v_lshrrev_b32_e32 v6, 20, v6
	s_or_saveexec_b32 s37, s37
                                        ; implicit-def: $sgpr38
	s_delay_alu instid0(SALU_CYCLE_1)
	s_xor_b32 exec_lo, exec_lo, s37
	s_cbranch_execnz .LBB457_151
.LBB457_52:
	s_or_b32 exec_lo, exec_lo, s37
	v_mov_b32_e32 v7, s38
	s_and_saveexec_b32 s37, s23
.LBB457_53:
	v_lshrrev_b32_e32 v3, 24, v3
	s_delay_alu instid0(VALU_DEP_1)
	v_and_or_b32 v7, 0x80, v3, v6
.LBB457_54:
	s_or_b32 exec_lo, exec_lo, s37
.LBB457_55:
	s_delay_alu instid0(SALU_CYCLE_1)
	s_or_b32 exec_lo, exec_lo, s22
	global_store_b8 v[0:1], v7, off
.LBB457_56:
	s_mov_b32 s22, -1
.LBB457_57:
	s_mov_b32 s23, 0
.LBB457_58:
	s_delay_alu instid0(SALU_CYCLE_1)
	s_and_b32 vcc_lo, exec_lo, s23
	s_cbranch_vccz .LBB457_99
; %bb.59:
	v_cmp_lt_i16_e32 vcc_lo, 22, v4
	s_mov_b32 s23, -1
	s_cbranch_vccz .LBB457_91
; %bb.60:
	v_cmp_gt_i16_e32 vcc_lo, 24, v4
	s_mov_b32 s22, -1
	s_cbranch_vccnz .LBB457_80
; %bb.61:
	v_cmp_lt_i16_e32 vcc_lo, 24, v4
	s_cbranch_vccz .LBB457_69
; %bb.62:
	v_bfe_i32 v3, v2, 0, 16
	v_mov_b32_e32 v7, 0x80
	s_mov_b32 s22, exec_lo
	s_delay_alu instid0(VALU_DEP_2) | instskip(NEXT) | instid1(VALU_DEP_1)
	v_cvt_f32_i32_e32 v3, v3
	v_and_b32_e32 v6, 0x7fffffff, v3
	s_delay_alu instid0(VALU_DEP_1)
	v_cmpx_gt_u32_e32 0x47800000, v6
	s_cbranch_execz .LBB457_68
; %bb.63:
	v_cmp_lt_u32_e32 vcc_lo, 0x37ffffff, v6
	s_mov_b32 s23, 0
                                        ; implicit-def: $vgpr6
	s_and_saveexec_b32 s37, vcc_lo
	s_delay_alu instid0(SALU_CYCLE_1)
	s_xor_b32 s37, exec_lo, s37
	s_cbranch_execz .LBB457_337
; %bb.64:
	v_bfe_u32 v6, v3, 21, 1
	s_mov_b32 s23, exec_lo
	s_delay_alu instid0(VALU_DEP_1) | instskip(NEXT) | instid1(VALU_DEP_1)
	v_add3_u32 v6, v3, v6, 0x88fffff
	v_lshrrev_b32_e32 v6, 21, v6
	s_or_saveexec_b32 s37, s37
                                        ; implicit-def: $sgpr38
	s_delay_alu instid0(SALU_CYCLE_1)
	s_xor_b32 exec_lo, exec_lo, s37
	s_cbranch_execnz .LBB457_338
.LBB457_65:
	s_or_b32 exec_lo, exec_lo, s37
	v_mov_b32_e32 v7, s38
	s_and_saveexec_b32 s37, s23
.LBB457_66:
	v_lshrrev_b32_e32 v3, 24, v3
	s_delay_alu instid0(VALU_DEP_1)
	v_and_or_b32 v7, 0x80, v3, v6
.LBB457_67:
	s_or_b32 exec_lo, exec_lo, s37
.LBB457_68:
	s_delay_alu instid0(SALU_CYCLE_1)
	s_or_b32 exec_lo, exec_lo, s22
	s_mov_b32 s22, 0
	global_store_b8 v[0:1], v7, off
.LBB457_69:
	s_and_b32 vcc_lo, exec_lo, s22
	s_cbranch_vccz .LBB457_79
; %bb.70:
	v_bfe_i32 v3, v2, 0, 16
	s_mov_b32 s22, exec_lo
                                        ; implicit-def: $vgpr6
	s_delay_alu instid0(VALU_DEP_1) | instskip(NEXT) | instid1(VALU_DEP_1)
	v_cvt_f32_i32_e32 v3, v3
	v_and_b32_e32 v7, 0x7fffffff, v3
	s_delay_alu instid0(VALU_DEP_1)
	v_cmpx_gt_u32_e32 0x43f00000, v7
	s_xor_b32 s22, exec_lo, s22
	s_cbranch_execz .LBB457_76
; %bb.71:
	s_mov_b32 s23, exec_lo
                                        ; implicit-def: $vgpr6
	v_cmpx_lt_u32_e32 0x3c7fffff, v7
	s_xor_b32 s23, exec_lo, s23
; %bb.72:
	v_bfe_u32 v6, v3, 20, 1
	s_delay_alu instid0(VALU_DEP_1) | instskip(NEXT) | instid1(VALU_DEP_1)
	v_add3_u32 v6, v3, v6, 0x407ffff
	v_and_b32_e32 v7, 0xff00000, v6
	v_lshrrev_b32_e32 v6, 20, v6
	s_delay_alu instid0(VALU_DEP_2) | instskip(NEXT) | instid1(VALU_DEP_2)
	v_cmp_ne_u32_e32 vcc_lo, 0x7f00000, v7
	v_cndmask_b32_e32 v6, 0x7e, v6, vcc_lo
; %bb.73:
	s_and_not1_saveexec_b32 s23, s23
; %bb.74:
	v_add_f32_e64 v6, 0x46800000, |v3|
; %bb.75:
	s_or_b32 exec_lo, exec_lo, s23
                                        ; implicit-def: $vgpr7
.LBB457_76:
	s_and_not1_saveexec_b32 s22, s22
; %bb.77:
	v_mov_b32_e32 v6, 0x7f
	v_cmp_lt_u32_e32 vcc_lo, 0x7f800000, v7
	s_delay_alu instid0(VALU_DEP_2)
	v_cndmask_b32_e32 v6, 0x7e, v6, vcc_lo
; %bb.78:
	s_or_b32 exec_lo, exec_lo, s22
	v_lshrrev_b32_e32 v3, 24, v3
	s_delay_alu instid0(VALU_DEP_1)
	v_and_or_b32 v3, 0x80, v3, v6
	global_store_b8 v[0:1], v3, off
.LBB457_79:
	s_mov_b32 s22, 0
.LBB457_80:
	s_delay_alu instid0(SALU_CYCLE_1)
	s_and_not1_b32 vcc_lo, exec_lo, s22
	s_cbranch_vccnz .LBB457_90
; %bb.81:
	v_bfe_i32 v3, v2, 0, 16
	s_mov_b32 s22, exec_lo
                                        ; implicit-def: $vgpr6
	s_delay_alu instid0(VALU_DEP_1) | instskip(NEXT) | instid1(VALU_DEP_1)
	v_cvt_f32_i32_e32 v3, v3
	v_and_b32_e32 v7, 0x7fffffff, v3
	s_delay_alu instid0(VALU_DEP_1)
	v_cmpx_gt_u32_e32 0x47800000, v7
	s_xor_b32 s22, exec_lo, s22
	s_cbranch_execz .LBB457_87
; %bb.82:
	s_mov_b32 s23, exec_lo
                                        ; implicit-def: $vgpr6
	v_cmpx_lt_u32_e32 0x387fffff, v7
	s_xor_b32 s23, exec_lo, s23
; %bb.83:
	v_bfe_u32 v6, v3, 21, 1
	s_delay_alu instid0(VALU_DEP_1) | instskip(NEXT) | instid1(VALU_DEP_1)
	v_add3_u32 v6, v3, v6, 0x80fffff
	v_lshrrev_b32_e32 v6, 21, v6
; %bb.84:
	s_and_not1_saveexec_b32 s23, s23
; %bb.85:
	v_add_f32_e64 v6, 0x43000000, |v3|
; %bb.86:
	s_or_b32 exec_lo, exec_lo, s23
                                        ; implicit-def: $vgpr7
.LBB457_87:
	s_and_not1_saveexec_b32 s22, s22
; %bb.88:
	v_mov_b32_e32 v6, 0x7f
	v_cmp_lt_u32_e32 vcc_lo, 0x7f800000, v7
	s_delay_alu instid0(VALU_DEP_2)
	v_cndmask_b32_e32 v6, 0x7c, v6, vcc_lo
; %bb.89:
	s_or_b32 exec_lo, exec_lo, s22
	v_lshrrev_b32_e32 v3, 24, v3
	s_delay_alu instid0(VALU_DEP_1)
	v_and_or_b32 v3, 0x80, v3, v6
	global_store_b8 v[0:1], v3, off
.LBB457_90:
	s_mov_b32 s23, 0
	s_mov_b32 s22, -1
.LBB457_91:
	s_and_not1_b32 vcc_lo, exec_lo, s23
	s_cbranch_vccnz .LBB457_99
; %bb.92:
	v_cmp_lt_i16_e32 vcc_lo, 14, v4
	s_mov_b32 s23, -1
	s_cbranch_vccz .LBB457_96
; %bb.93:
	v_cmp_eq_u16_e32 vcc_lo, 15, v4
	s_mov_b32 s2, -1
	s_cbranch_vccz .LBB457_95
; %bb.94:
	v_bfe_i32 v3, v2, 0, 16
	s_mov_b32 s22, -1
	s_mov_b32 s2, 0
	s_delay_alu instid0(VALU_DEP_1) | instskip(NEXT) | instid1(VALU_DEP_1)
	v_cvt_f32_i32_e32 v3, v3
	v_bfe_u32 v6, v3, 16, 1
	s_delay_alu instid0(VALU_DEP_1)
	v_add3_u32 v3, v3, v6, 0x7fff
	global_store_d16_hi_b16 v[0:1], v3, off
.LBB457_95:
	s_mov_b32 s23, 0
.LBB457_96:
	s_delay_alu instid0(SALU_CYCLE_1)
	s_and_b32 vcc_lo, exec_lo, s23
	s_cbranch_vccz .LBB457_99
; %bb.97:
	v_cmp_eq_u16_e32 vcc_lo, 11, v4
	s_mov_b32 s2, -1
	s_cbranch_vccz .LBB457_99
; %bb.98:
	v_cmp_ne_u16_e32 vcc_lo, 0, v2
	s_mov_b32 s2, 0
	s_mov_b32 s22, -1
	v_cndmask_b32_e64 v3, 0, 1, vcc_lo
	global_store_b8 v[0:1], v3, off
.LBB457_99:
.LBB457_100:
	s_and_not1_b32 vcc_lo, exec_lo, s22
	s_cbranch_vccz .LBB457_140
	s_branch .LBB457_257
.LBB457_101:
	s_and_b32 vcc_lo, exec_lo, s23
	s_cbranch_vccz .LBB457_100
; %bb.102:
	v_cmp_gt_i16_e32 vcc_lo, 5, v4
	s_mov_b32 s22, -1
	s_cbranch_vccnz .LBB457_123
; %bb.103:
	v_cmp_gt_i16_e32 vcc_lo, 8, v4
	s_cbranch_vccnz .LBB457_113
; %bb.104:
	v_cmp_gt_i16_e32 vcc_lo, 9, v4
	s_cbranch_vccnz .LBB457_110
; %bb.105:
	v_cmp_lt_i16_e32 vcc_lo, 9, v4
	s_cbranch_vccz .LBB457_107
; %bb.106:
	v_bfe_i32 v3, v2, 0, 16
	v_mov_b32_e32 v8, 0
	s_mov_b32 s22, 0
	s_delay_alu instid0(VALU_DEP_2) | instskip(NEXT) | instid1(VALU_DEP_2)
	v_cvt_f64_i32_e32 v[6:7], v3
	v_mov_b32_e32 v9, v8
	global_store_b128 v[0:1], v[6:9], off
.LBB457_107:
	s_and_not1_b32 vcc_lo, exec_lo, s22
	s_cbranch_vccnz .LBB457_109
; %bb.108:
	v_bfe_i32 v3, v2, 0, 16
	v_mov_b32_e32 v7, 0
	s_delay_alu instid0(VALU_DEP_2)
	v_cvt_f32_i32_e32 v6, v3
	global_store_b64 v[0:1], v[6:7], off
.LBB457_109:
	s_mov_b32 s22, 0
.LBB457_110:
	s_delay_alu instid0(SALU_CYCLE_1)
	s_and_not1_b32 vcc_lo, exec_lo, s22
	s_cbranch_vccnz .LBB457_112
; %bb.111:
	v_cvt_f16_i16_e32 v3, v2
	s_delay_alu instid0(VALU_DEP_1)
	v_and_b32_e32 v3, 0xffff, v3
	global_store_b32 v[0:1], v3, off
.LBB457_112:
	s_mov_b32 s22, 0
.LBB457_113:
	s_delay_alu instid0(SALU_CYCLE_1)
	s_and_not1_b32 vcc_lo, exec_lo, s22
	s_cbranch_vccnz .LBB457_122
; %bb.114:
	v_cmp_gt_i16_e32 vcc_lo, 6, v4
	s_mov_b32 s22, -1
	s_cbranch_vccnz .LBB457_120
; %bb.115:
	v_cmp_lt_i16_e32 vcc_lo, 6, v4
	s_cbranch_vccz .LBB457_117
; %bb.116:
	v_bfe_i32 v3, v2, 0, 16
	s_mov_b32 s22, 0
	s_delay_alu instid0(VALU_DEP_1)
	v_cvt_f64_i32_e32 v[6:7], v3
	global_store_b64 v[0:1], v[6:7], off
.LBB457_117:
	s_and_not1_b32 vcc_lo, exec_lo, s22
	s_cbranch_vccnz .LBB457_119
; %bb.118:
	v_bfe_i32 v3, v2, 0, 16
	s_delay_alu instid0(VALU_DEP_1)
	v_cvt_f32_i32_e32 v3, v3
	global_store_b32 v[0:1], v3, off
.LBB457_119:
	s_mov_b32 s22, 0
.LBB457_120:
	s_delay_alu instid0(SALU_CYCLE_1)
	s_and_not1_b32 vcc_lo, exec_lo, s22
	s_cbranch_vccnz .LBB457_122
; %bb.121:
	v_cvt_f16_i16_e32 v3, v2
	global_store_b16 v[0:1], v3, off
.LBB457_122:
	s_mov_b32 s22, 0
.LBB457_123:
	s_delay_alu instid0(SALU_CYCLE_1)
	s_and_not1_b32 vcc_lo, exec_lo, s22
	s_cbranch_vccnz .LBB457_139
; %bb.124:
	v_cmp_gt_i16_e32 vcc_lo, 2, v4
	s_mov_b32 s22, -1
	s_cbranch_vccnz .LBB457_134
; %bb.125:
	v_cmp_gt_i16_e32 vcc_lo, 3, v4
	s_cbranch_vccnz .LBB457_131
; %bb.126:
	v_cmp_lt_i16_e32 vcc_lo, 3, v4
	s_cbranch_vccz .LBB457_128
; %bb.127:
	v_bfe_i32 v6, v2, 0, 16
	s_mov_b32 s22, 0
	s_delay_alu instid0(VALU_DEP_1)
	v_ashrrev_i32_e32 v7, 31, v6
	global_store_b64 v[0:1], v[6:7], off
.LBB457_128:
	s_and_not1_b32 vcc_lo, exec_lo, s22
	s_cbranch_vccnz .LBB457_130
; %bb.129:
	v_bfe_i32 v3, v2, 0, 16
	global_store_b32 v[0:1], v3, off
.LBB457_130:
	s_mov_b32 s22, 0
.LBB457_131:
	s_delay_alu instid0(SALU_CYCLE_1)
	s_and_not1_b32 vcc_lo, exec_lo, s22
	s_cbranch_vccnz .LBB457_133
; %bb.132:
	global_store_b16 v[0:1], v2, off
.LBB457_133:
	s_mov_b32 s22, 0
.LBB457_134:
	s_delay_alu instid0(SALU_CYCLE_1)
	s_and_not1_b32 vcc_lo, exec_lo, s22
	s_cbranch_vccnz .LBB457_139
; %bb.135:
	v_cmp_lt_i16_e32 vcc_lo, 0, v4
	s_mov_b32 s22, -1
	s_cbranch_vccz .LBB457_137
; %bb.136:
	s_mov_b32 s22, 0
	global_store_b8 v[0:1], v2, off
.LBB457_137:
	s_and_not1_b32 vcc_lo, exec_lo, s22
	s_cbranch_vccnz .LBB457_139
; %bb.138:
	global_store_b8 v[0:1], v2, off
.LBB457_139:
.LBB457_140:
	v_add_nc_u32_e32 v5, 0x80, v5
	s_mov_b32 s22, -1
	s_branch .LBB457_258
.LBB457_141:
	s_mov_b32 s2, 0
                                        ; implicit-def: $vgpr3
	s_cbranch_execnz .LBB457_176
	s_branch .LBB457_208
.LBB457_142:
	s_mov_b32 s22, -1
	s_mov_b32 s2, 0
                                        ; implicit-def: $vgpr3
	s_branch .LBB457_159
.LBB457_143:
	s_mov_b32 s22, -1
	s_mov_b32 s2, 0
                                        ; implicit-def: $vgpr3
	s_branch .LBB457_154
.LBB457_144:
	s_mov_b32 s22, -1
	s_branch .LBB457_146
.LBB457_145:
	s_mov_b32 s3, -1
.LBB457_146:
	s_mov_b32 s2, 0
                                        ; implicit-def: $vgpr3
.LBB457_147:
	s_and_b32 vcc_lo, exec_lo, s22
	s_cbranch_vccz .LBB457_153
; %bb.148:
	v_cmp_eq_u16_e64 s3, s31, 44
	s_delay_alu instid0(VALU_DEP_1)
	s_and_b32 vcc_lo, exec_lo, s3
	s_cbranch_vccz .LBB457_152
; %bb.149:
	global_load_u8 v3, v[1:2], off
	s_mov_b32 s3, 0
	s_mov_b32 s2, -1
	s_waitcnt vmcnt(0)
	v_lshlrev_b32_e32 v4, 23, v3
	v_cmp_ne_u32_e32 vcc_lo, 0, v3
	s_delay_alu instid0(VALU_DEP_2) | instskip(NEXT) | instid1(VALU_DEP_1)
	v_cvt_i32_f32_e32 v4, v4
	v_cndmask_b32_e32 v3, 0, v4, vcc_lo
	s_branch .LBB457_153
.LBB457_150:
	s_or_saveexec_b32 s37, s37
                                        ; implicit-def: $sgpr38
	s_delay_alu instid0(SALU_CYCLE_1)
	s_xor_b32 exec_lo, exec_lo, s37
	s_cbranch_execz .LBB457_52
.LBB457_151:
	v_add_f32_e64 v6, 0x46000000, |v3|
	s_and_not1_b32 s23, s23, exec_lo
	s_mov_b32 s38, 0
	s_delay_alu instid0(VALU_DEP_1) | instskip(NEXT) | instid1(VALU_DEP_1)
	v_and_b32_e32 v6, 0xff, v6
	v_cmp_ne_u32_e32 vcc_lo, 0, v6
	s_and_b32 s41, vcc_lo, exec_lo
	s_delay_alu instid0(SALU_CYCLE_1)
	s_or_b32 s23, s23, s41
	s_or_b32 exec_lo, exec_lo, s37
	v_mov_b32_e32 v7, s38
	s_and_saveexec_b32 s37, s23
	s_cbranch_execnz .LBB457_53
	s_branch .LBB457_54
.LBB457_152:
	s_mov_b32 s3, -1
                                        ; implicit-def: $vgpr3
.LBB457_153:
	s_mov_b32 s22, 0
.LBB457_154:
	s_delay_alu instid0(SALU_CYCLE_1)
	s_and_b32 vcc_lo, exec_lo, s22
	s_cbranch_vccz .LBB457_158
; %bb.155:
	v_cmp_eq_u16_e64 s3, s31, 29
	s_delay_alu instid0(VALU_DEP_1)
	s_and_b32 vcc_lo, exec_lo, s3
	s_cbranch_vccz .LBB457_157
; %bb.156:
	global_load_b64 v[3:4], v[1:2], off
	s_mov_b32 s2, -1
	s_mov_b32 s3, 0
	s_branch .LBB457_158
.LBB457_157:
	s_mov_b32 s3, -1
                                        ; implicit-def: $vgpr3
.LBB457_158:
	s_mov_b32 s22, 0
.LBB457_159:
	s_delay_alu instid0(SALU_CYCLE_1)
	s_and_b32 vcc_lo, exec_lo, s22
	s_cbranch_vccz .LBB457_175
; %bb.160:
	v_cmp_lt_i16_e64 s2, s31, 27
	s_delay_alu instid0(VALU_DEP_1)
	s_and_b32 vcc_lo, exec_lo, s2
	s_cbranch_vccnz .LBB457_163
; %bb.161:
	v_cmp_gt_i16_e64 s2, s31, 27
	s_delay_alu instid0(VALU_DEP_1)
	s_and_b32 vcc_lo, exec_lo, s2
	s_cbranch_vccz .LBB457_164
; %bb.162:
	global_load_b32 v3, v[1:2], off
	s_mov_b32 s2, 0
	s_branch .LBB457_165
.LBB457_163:
	s_mov_b32 s2, -1
                                        ; implicit-def: $vgpr3
	s_branch .LBB457_168
.LBB457_164:
	s_mov_b32 s2, -1
                                        ; implicit-def: $vgpr3
.LBB457_165:
	s_delay_alu instid0(SALU_CYCLE_1)
	s_and_not1_b32 vcc_lo, exec_lo, s2
	s_cbranch_vccnz .LBB457_167
; %bb.166:
	global_load_u16 v3, v[1:2], off
.LBB457_167:
	s_mov_b32 s2, 0
.LBB457_168:
	s_delay_alu instid0(SALU_CYCLE_1)
	s_and_not1_b32 vcc_lo, exec_lo, s2
	s_cbranch_vccnz .LBB457_174
; %bb.169:
	global_load_u8 v4, v[1:2], off
	s_mov_b32 s2, 0
	s_mov_b32 s22, exec_lo
                                        ; implicit-def: $sgpr23
	s_waitcnt vmcnt(0)
	v_cmpx_lt_i16_e32 0x7f, v4
	s_xor_b32 s22, exec_lo, s22
	s_cbranch_execz .LBB457_185
; %bb.170:
	v_cmp_ne_u16_e32 vcc_lo, 0x80, v4
	s_mov_b32 s23, 0
	s_and_b32 s2, vcc_lo, exec_lo
	s_or_saveexec_b32 s22, s22
	v_mov_b32_e32 v3, s23
	s_xor_b32 exec_lo, exec_lo, s22
	s_cbranch_execnz .LBB457_186
.LBB457_171:
	s_or_b32 exec_lo, exec_lo, s22
	s_and_saveexec_b32 s22, s2
	s_cbranch_execz .LBB457_173
.LBB457_172:
	v_and_b32_e32 v3, 0xffff, v4
	v_lshlrev_b32_e32 v4, 24, v4
	s_delay_alu instid0(VALU_DEP_2) | instskip(NEXT) | instid1(VALU_DEP_2)
	v_and_b32_e32 v6, 7, v3
	v_and_b32_e32 v4, 0x80000000, v4
	s_delay_alu instid0(VALU_DEP_2) | instskip(NEXT) | instid1(VALU_DEP_1)
	v_clz_i32_u32_e32 v7, v6
	v_min_u32_e32 v7, 32, v7
	s_delay_alu instid0(VALU_DEP_1) | instskip(SKIP_1) | instid1(VALU_DEP_2)
	v_subrev_nc_u32_e32 v8, 28, v7
	v_sub_nc_u32_e32 v7, 29, v7
	v_lshlrev_b32_e32 v8, v8, v3
	v_bfe_u32 v3, v3, 3, 4
	s_delay_alu instid0(VALU_DEP_1) | instskip(NEXT) | instid1(VALU_DEP_3)
	v_cmp_eq_u32_e32 vcc_lo, 0, v3
	v_dual_cndmask_b32 v3, v3, v7 :: v_dual_and_b32 v8, 7, v8
	s_delay_alu instid0(VALU_DEP_1) | instskip(NEXT) | instid1(VALU_DEP_2)
	v_cndmask_b32_e32 v6, v6, v8, vcc_lo
	v_lshl_add_u32 v3, v3, 23, 0x3b800000
	s_delay_alu instid0(VALU_DEP_2) | instskip(NEXT) | instid1(VALU_DEP_1)
	v_lshlrev_b32_e32 v6, 20, v6
	v_or3_b32 v3, v4, v3, v6
	s_delay_alu instid0(VALU_DEP_1)
	v_cvt_i32_f32_e32 v3, v3
.LBB457_173:
	s_or_b32 exec_lo, exec_lo, s22
.LBB457_174:
	s_mov_b32 s2, -1
.LBB457_175:
	s_branch .LBB457_208
.LBB457_176:
	v_cmp_gt_i16_e64 s22, s31, 22
	s_delay_alu instid0(VALU_DEP_1)
	s_and_b32 vcc_lo, exec_lo, s22
	s_cbranch_vccz .LBB457_184
; %bb.177:
	v_cmp_lt_i16_e64 s2, s31, 24
	s_delay_alu instid0(VALU_DEP_1)
	s_and_b32 vcc_lo, exec_lo, s2
	s_cbranch_vccnz .LBB457_187
; %bb.178:
	v_cmp_gt_i16_e64 s2, s31, 24
	s_delay_alu instid0(VALU_DEP_1)
	s_and_b32 vcc_lo, exec_lo, s2
	s_cbranch_vccz .LBB457_188
; %bb.179:
	global_load_u8 v4, v[1:2], off
	s_mov_b32 s2, 0
	s_mov_b32 s22, exec_lo
                                        ; implicit-def: $sgpr23
	s_waitcnt vmcnt(0)
	v_cmpx_lt_i16_e32 0x7f, v4
	s_xor_b32 s22, exec_lo, s22
	s_cbranch_execz .LBB457_200
; %bb.180:
	v_cmp_ne_u16_e32 vcc_lo, 0x80, v4
	s_mov_b32 s23, 0
	s_and_b32 s2, vcc_lo, exec_lo
	s_or_saveexec_b32 s22, s22
	v_mov_b32_e32 v3, s23
	s_xor_b32 exec_lo, exec_lo, s22
	s_cbranch_execnz .LBB457_201
.LBB457_181:
	s_or_b32 exec_lo, exec_lo, s22
	s_and_saveexec_b32 s22, s2
	s_cbranch_execz .LBB457_183
.LBB457_182:
	v_and_b32_e32 v3, 0xffff, v4
	v_lshlrev_b32_e32 v4, 24, v4
	s_delay_alu instid0(VALU_DEP_2) | instskip(NEXT) | instid1(VALU_DEP_2)
	v_and_b32_e32 v6, 3, v3
	v_and_b32_e32 v4, 0x80000000, v4
	s_delay_alu instid0(VALU_DEP_2) | instskip(NEXT) | instid1(VALU_DEP_1)
	v_clz_i32_u32_e32 v7, v6
	v_min_u32_e32 v7, 32, v7
	s_delay_alu instid0(VALU_DEP_1) | instskip(SKIP_1) | instid1(VALU_DEP_2)
	v_subrev_nc_u32_e32 v8, 29, v7
	v_sub_nc_u32_e32 v7, 30, v7
	v_lshlrev_b32_e32 v8, v8, v3
	v_bfe_u32 v3, v3, 2, 5
	s_delay_alu instid0(VALU_DEP_1) | instskip(NEXT) | instid1(VALU_DEP_3)
	v_cmp_eq_u32_e32 vcc_lo, 0, v3
	v_dual_cndmask_b32 v3, v3, v7 :: v_dual_and_b32 v8, 3, v8
	s_delay_alu instid0(VALU_DEP_1) | instskip(NEXT) | instid1(VALU_DEP_2)
	v_cndmask_b32_e32 v6, v6, v8, vcc_lo
	v_lshl_add_u32 v3, v3, 23, 0x37800000
	s_delay_alu instid0(VALU_DEP_2) | instskip(NEXT) | instid1(VALU_DEP_1)
	v_lshlrev_b32_e32 v6, 21, v6
	v_or3_b32 v3, v4, v3, v6
	s_delay_alu instid0(VALU_DEP_1)
	v_cvt_i32_f32_e32 v3, v3
.LBB457_183:
	s_or_b32 exec_lo, exec_lo, s22
	s_mov_b32 s2, 0
	s_branch .LBB457_189
.LBB457_184:
	s_mov_b32 s22, -1
                                        ; implicit-def: $vgpr3
	s_branch .LBB457_195
.LBB457_185:
	s_or_saveexec_b32 s22, s22
	v_mov_b32_e32 v3, s23
	s_xor_b32 exec_lo, exec_lo, s22
	s_cbranch_execz .LBB457_171
.LBB457_186:
	v_cmp_ne_u16_e32 vcc_lo, 0, v4
	v_mov_b32_e32 v3, 0
	s_and_not1_b32 s2, s2, exec_lo
	s_and_b32 s23, vcc_lo, exec_lo
	s_delay_alu instid0(SALU_CYCLE_1)
	s_or_b32 s2, s2, s23
	s_or_b32 exec_lo, exec_lo, s22
	s_and_saveexec_b32 s22, s2
	s_cbranch_execnz .LBB457_172
	s_branch .LBB457_173
.LBB457_187:
	s_mov_b32 s2, -1
                                        ; implicit-def: $vgpr3
	s_branch .LBB457_192
.LBB457_188:
	s_mov_b32 s2, -1
                                        ; implicit-def: $vgpr3
.LBB457_189:
	s_delay_alu instid0(SALU_CYCLE_1)
	s_and_b32 vcc_lo, exec_lo, s2
	s_cbranch_vccz .LBB457_191
; %bb.190:
	global_load_u8 v3, v[1:2], off
	s_waitcnt vmcnt(0)
	v_lshlrev_b32_e32 v3, 24, v3
	s_delay_alu instid0(VALU_DEP_1) | instskip(NEXT) | instid1(VALU_DEP_1)
	v_and_b32_e32 v4, 0x7f000000, v3
	v_clz_i32_u32_e32 v6, v4
	v_add_nc_u32_e32 v8, 0x1000000, v4
	v_cmp_ne_u32_e32 vcc_lo, 0, v4
	s_delay_alu instid0(VALU_DEP_3) | instskip(NEXT) | instid1(VALU_DEP_1)
	v_min_u32_e32 v6, 32, v6
	v_sub_nc_u32_e64 v6, v6, 4 clamp
	s_delay_alu instid0(VALU_DEP_1) | instskip(SKIP_1) | instid1(VALU_DEP_2)
	v_lshlrev_b32_e32 v7, v6, v4
	v_lshlrev_b32_e32 v6, 23, v6
	v_lshrrev_b32_e32 v7, 4, v7
	s_delay_alu instid0(VALU_DEP_1) | instskip(SKIP_1) | instid1(VALU_DEP_2)
	v_sub_nc_u32_e32 v6, v7, v6
	v_ashrrev_i32_e32 v7, 8, v8
	v_add_nc_u32_e32 v6, 0x3c000000, v6
	s_delay_alu instid0(VALU_DEP_1) | instskip(NEXT) | instid1(VALU_DEP_1)
	v_and_or_b32 v6, 0x7f800000, v7, v6
	v_cndmask_b32_e32 v4, 0, v6, vcc_lo
	s_delay_alu instid0(VALU_DEP_1) | instskip(NEXT) | instid1(VALU_DEP_1)
	v_and_or_b32 v3, 0x80000000, v3, v4
	v_cvt_i32_f32_e32 v3, v3
.LBB457_191:
	s_mov_b32 s2, 0
.LBB457_192:
	s_delay_alu instid0(SALU_CYCLE_1)
	s_and_not1_b32 vcc_lo, exec_lo, s2
	s_cbranch_vccnz .LBB457_194
; %bb.193:
	global_load_u8 v3, v[1:2], off
	s_waitcnt vmcnt(0)
	v_lshlrev_b32_e32 v4, 25, v3
	v_lshlrev_b16 v3, 8, v3
	s_delay_alu instid0(VALU_DEP_2) | instskip(NEXT) | instid1(VALU_DEP_2)
	v_lshrrev_b32_e32 v6, 4, v4
	v_and_or_b32 v7, 0x7f00, v3, 0.5
	v_cmp_gt_u32_e32 vcc_lo, 0x8000000, v4
	v_bfe_i32 v3, v3, 0, 16
	s_delay_alu instid0(VALU_DEP_4) | instskip(NEXT) | instid1(VALU_DEP_1)
	v_or_b32_e32 v6, 0x70000000, v6
	v_dual_add_f32 v7, -0.5, v7 :: v_dual_mul_f32 v6, 0x7800000, v6
	s_delay_alu instid0(VALU_DEP_1) | instskip(NEXT) | instid1(VALU_DEP_1)
	v_cndmask_b32_e32 v4, v6, v7, vcc_lo
	v_and_or_b32 v3, 0x80000000, v3, v4
	s_delay_alu instid0(VALU_DEP_1)
	v_cvt_i32_f32_e32 v3, v3
.LBB457_194:
	s_mov_b32 s22, 0
	s_mov_b32 s2, -1
.LBB457_195:
	s_and_not1_b32 vcc_lo, exec_lo, s22
	s_cbranch_vccnz .LBB457_208
; %bb.196:
	v_cmp_gt_i16_e64 s22, s31, 14
	s_delay_alu instid0(VALU_DEP_1)
	s_and_b32 vcc_lo, exec_lo, s22
	s_cbranch_vccz .LBB457_199
; %bb.197:
	v_cmp_eq_u16_e64 s3, s31, 15
	s_delay_alu instid0(VALU_DEP_1)
	s_and_b32 vcc_lo, exec_lo, s3
	s_cbranch_vccz .LBB457_202
; %bb.198:
	global_load_u16 v3, v[1:2], off
	s_mov_b32 s2, -1
	s_mov_b32 s3, 0
	s_waitcnt vmcnt(0)
	v_lshlrev_b32_e32 v3, 16, v3
	s_delay_alu instid0(VALU_DEP_1)
	v_cvt_i32_f32_e32 v3, v3
	s_branch .LBB457_203
.LBB457_199:
	s_mov_b32 s22, -1
                                        ; implicit-def: $vgpr3
	s_branch .LBB457_204
.LBB457_200:
	s_or_saveexec_b32 s22, s22
	v_mov_b32_e32 v3, s23
	s_xor_b32 exec_lo, exec_lo, s22
	s_cbranch_execz .LBB457_181
.LBB457_201:
	v_cmp_ne_u16_e32 vcc_lo, 0, v4
	v_mov_b32_e32 v3, 0
	s_and_not1_b32 s2, s2, exec_lo
	s_and_b32 s23, vcc_lo, exec_lo
	s_delay_alu instid0(SALU_CYCLE_1)
	s_or_b32 s2, s2, s23
	s_or_b32 exec_lo, exec_lo, s22
	s_and_saveexec_b32 s22, s2
	s_cbranch_execnz .LBB457_182
	s_branch .LBB457_183
.LBB457_202:
	s_mov_b32 s3, -1
                                        ; implicit-def: $vgpr3
.LBB457_203:
	s_mov_b32 s22, 0
.LBB457_204:
	s_delay_alu instid0(SALU_CYCLE_1)
	s_and_b32 vcc_lo, exec_lo, s22
	s_cbranch_vccz .LBB457_208
; %bb.205:
	v_cmp_eq_u16_e64 s3, s31, 11
	s_delay_alu instid0(VALU_DEP_1)
	s_and_b32 vcc_lo, exec_lo, s3
	s_cbranch_vccz .LBB457_207
; %bb.206:
	global_load_u8 v3, v[1:2], off
	s_mov_b32 s3, 0
	s_mov_b32 s2, -1
	s_waitcnt vmcnt(0)
	v_cmp_ne_u16_e32 vcc_lo, 0, v3
	v_cndmask_b32_e64 v3, 0, 1, vcc_lo
	s_branch .LBB457_208
.LBB457_207:
	s_mov_b32 s3, -1
                                        ; implicit-def: $vgpr3
.LBB457_208:
	s_branch .LBB457_23
.LBB457_209:
	v_cmp_lt_i16_e64 s2, s31, 5
	s_delay_alu instid0(VALU_DEP_1)
	s_and_b32 vcc_lo, exec_lo, s2
	s_cbranch_vccnz .LBB457_214
; %bb.210:
	v_cmp_lt_i16_e64 s2, s31, 8
	s_delay_alu instid0(VALU_DEP_1)
	s_and_b32 vcc_lo, exec_lo, s2
	s_cbranch_vccnz .LBB457_215
; %bb.211:
	;; [unrolled: 5-line block ×3, first 2 shown]
	v_cmp_gt_i16_e64 s2, s31, 9
	s_delay_alu instid0(VALU_DEP_1)
	s_and_b32 vcc_lo, exec_lo, s2
	s_cbranch_vccz .LBB457_217
; %bb.213:
	global_load_b64 v[3:4], v[1:2], off
	s_mov_b32 s2, 0
	s_waitcnt vmcnt(0)
	v_cvt_i32_f64_e32 v3, v[3:4]
	s_branch .LBB457_218
.LBB457_214:
                                        ; implicit-def: $vgpr3
	s_branch .LBB457_236
.LBB457_215:
	s_mov_b32 s2, -1
                                        ; implicit-def: $vgpr3
	s_branch .LBB457_224
.LBB457_216:
	s_mov_b32 s2, -1
                                        ; implicit-def: $vgpr3
	s_branch .LBB457_221
.LBB457_217:
	s_mov_b32 s2, -1
                                        ; implicit-def: $vgpr3
.LBB457_218:
	s_delay_alu instid0(SALU_CYCLE_1)
	s_and_not1_b32 vcc_lo, exec_lo, s2
	s_cbranch_vccnz .LBB457_220
; %bb.219:
	global_load_b32 v3, v[1:2], off
	s_waitcnt vmcnt(0)
	v_cvt_i32_f32_e32 v3, v3
.LBB457_220:
	s_mov_b32 s2, 0
.LBB457_221:
	s_delay_alu instid0(SALU_CYCLE_1)
	s_and_not1_b32 vcc_lo, exec_lo, s2
	s_cbranch_vccnz .LBB457_223
; %bb.222:
	global_load_b32 v3, v[1:2], off
	s_waitcnt vmcnt(0)
	v_cvt_i16_f16_e32 v3, v3
.LBB457_223:
	s_mov_b32 s2, 0
.LBB457_224:
	s_delay_alu instid0(SALU_CYCLE_1)
	s_and_not1_b32 vcc_lo, exec_lo, s2
	s_cbranch_vccnz .LBB457_235
; %bb.225:
	v_cmp_lt_i16_e64 s2, s31, 6
	s_delay_alu instid0(VALU_DEP_1)
	s_and_b32 vcc_lo, exec_lo, s2
	s_cbranch_vccnz .LBB457_228
; %bb.226:
	v_cmp_gt_i16_e64 s2, s31, 6
	s_delay_alu instid0(VALU_DEP_1)
	s_and_b32 vcc_lo, exec_lo, s2
	s_cbranch_vccz .LBB457_229
; %bb.227:
	global_load_b64 v[3:4], v[1:2], off
	s_mov_b32 s2, 0
	s_waitcnt vmcnt(0)
	v_cvt_i32_f64_e32 v3, v[3:4]
	s_branch .LBB457_230
.LBB457_228:
	s_mov_b32 s2, -1
                                        ; implicit-def: $vgpr3
	s_branch .LBB457_233
.LBB457_229:
	s_mov_b32 s2, -1
                                        ; implicit-def: $vgpr3
.LBB457_230:
	s_delay_alu instid0(SALU_CYCLE_1)
	s_and_not1_b32 vcc_lo, exec_lo, s2
	s_cbranch_vccnz .LBB457_232
; %bb.231:
	global_load_b32 v3, v[1:2], off
	s_waitcnt vmcnt(0)
	v_cvt_i32_f32_e32 v3, v3
.LBB457_232:
	s_mov_b32 s2, 0
.LBB457_233:
	s_delay_alu instid0(SALU_CYCLE_1)
	s_and_not1_b32 vcc_lo, exec_lo, s2
	s_cbranch_vccnz .LBB457_235
; %bb.234:
	global_load_u16 v3, v[1:2], off
	s_waitcnt vmcnt(0)
	v_cvt_i16_f16_e32 v3, v3
.LBB457_235:
	s_cbranch_execnz .LBB457_255
.LBB457_236:
	v_cmp_lt_i16_e64 s2, s31, 2
	s_delay_alu instid0(VALU_DEP_1)
	s_and_b32 vcc_lo, exec_lo, s2
	s_cbranch_vccnz .LBB457_240
; %bb.237:
	v_cmp_lt_i16_e64 s2, s31, 3
	s_delay_alu instid0(VALU_DEP_1)
	s_and_b32 vcc_lo, exec_lo, s2
	s_cbranch_vccnz .LBB457_241
; %bb.238:
	v_cmp_gt_i16_e64 s2, s31, 3
	s_delay_alu instid0(VALU_DEP_1)
	s_and_b32 vcc_lo, exec_lo, s2
	s_cbranch_vccz .LBB457_242
; %bb.239:
	global_load_b64 v[3:4], v[1:2], off
	s_mov_b32 s2, 0
	s_branch .LBB457_243
.LBB457_240:
	s_mov_b32 s2, -1
                                        ; implicit-def: $vgpr3
	s_branch .LBB457_249
.LBB457_241:
	s_mov_b32 s2, -1
                                        ; implicit-def: $vgpr3
	s_branch .LBB457_246
.LBB457_242:
	s_mov_b32 s2, -1
                                        ; implicit-def: $vgpr3
.LBB457_243:
	s_delay_alu instid0(SALU_CYCLE_1)
	s_and_not1_b32 vcc_lo, exec_lo, s2
	s_cbranch_vccnz .LBB457_245
; %bb.244:
	global_load_b32 v3, v[1:2], off
.LBB457_245:
	s_mov_b32 s2, 0
.LBB457_246:
	s_delay_alu instid0(SALU_CYCLE_1)
	s_and_not1_b32 vcc_lo, exec_lo, s2
	s_cbranch_vccnz .LBB457_248
; %bb.247:
	global_load_u16 v3, v[1:2], off
.LBB457_248:
	s_mov_b32 s2, 0
.LBB457_249:
	s_delay_alu instid0(SALU_CYCLE_1)
	s_and_not1_b32 vcc_lo, exec_lo, s2
	s_cbranch_vccnz .LBB457_255
; %bb.250:
	v_cmp_gt_i16_e64 s2, s31, 0
	s_delay_alu instid0(VALU_DEP_1)
	s_and_b32 vcc_lo, exec_lo, s2
	s_mov_b32 s2, 0
	s_cbranch_vccz .LBB457_252
; %bb.251:
	global_load_i8 v3, v[1:2], off
	s_branch .LBB457_253
.LBB457_252:
	s_mov_b32 s2, -1
                                        ; implicit-def: $vgpr3
.LBB457_253:
	s_delay_alu instid0(SALU_CYCLE_1)
	s_and_not1_b32 vcc_lo, exec_lo, s2
	s_cbranch_vccnz .LBB457_255
; %bb.254:
	global_load_u8 v3, v[1:2], off
.LBB457_255:
	s_branch .LBB457_24
.LBB457_256:
	s_mov_b32 s2, 0
.LBB457_257:
	s_mov_b32 s22, 0
                                        ; implicit-def: $vgpr5
.LBB457_258:
	s_and_b32 s37, s2, exec_lo
	s_and_b32 s38, s3, exec_lo
	s_or_not1_b32 s3, s22, exec_lo
.LBB457_259:
	s_or_b32 exec_lo, exec_lo, s39
	s_mov_b32 s22, 0
	s_mov_b32 s2, 0
                                        ; implicit-def: $vgpr1_vgpr2
                                        ; implicit-def: $vgpr0
                                        ; implicit-def: $vgpr3
	s_and_saveexec_b32 s39, s3
	s_cbranch_execz .LBB457_890
; %bb.260:
	s_mov_b32 s2, -1
	s_mov_b32 s40, s38
	s_mov_b32 s41, s37
	s_mov_b32 s42, exec_lo
	v_cmpx_gt_i32_e64 s34, v5
	s_cbranch_execz .LBB457_525
; %bb.261:
	s_and_not1_b32 vcc_lo, exec_lo, s27
	s_cbranch_vccnz .LBB457_266
; %bb.262:
	v_dual_mov_b32 v0, 0 :: v_dual_mov_b32 v1, 0
	s_and_not1_b32 vcc_lo, exec_lo, s36
	s_mov_b32 s40, 0
	s_cbranch_vccnz .LBB457_271
; %bb.263:
	v_mov_b32_e32 v0, 0
	s_add_i32 s43, s35, 1
	s_cmp_eq_u32 s25, 2
	s_mov_b32 s41, 0
	s_cbranch_scc1 .LBB457_267
; %bb.264:
	v_dual_mov_b32 v1, 0 :: v_dual_mov_b32 v0, 0
	v_mov_b32_e32 v2, v5
	s_and_b32 s41, s43, 28
	s_mov_b32 s44, 0
	s_mov_b64 s[2:3], s[20:21]
	s_mov_b64 s[22:23], s[16:17]
.LBB457_265:                            ; =>This Inner Loop Header: Depth=1
	s_clause 0x1
	s_load_b256 s[48:55], s[22:23], 0x4
	s_load_b128 s[64:67], s[22:23], 0x24
	s_load_b256 s[56:63], s[2:3], 0x0
	s_add_u32 s22, s22, 48
	s_addc_u32 s23, s23, 0
	s_add_i32 s44, s44, 4
	s_add_u32 s2, s2, 32
	s_addc_u32 s3, s3, 0
	s_cmp_eq_u32 s41, s44
	s_waitcnt vmcnt(0) lgkmcnt(0)
	v_mul_hi_u32 v3, s49, v2
	s_delay_alu instid0(VALU_DEP_1) | instskip(NEXT) | instid1(VALU_DEP_1)
	v_add_nc_u32_e32 v3, v2, v3
	v_lshrrev_b32_e32 v3, s50, v3
	s_delay_alu instid0(VALU_DEP_1) | instskip(SKIP_1) | instid1(VALU_DEP_2)
	v_mul_hi_u32 v4, s52, v3
	v_mul_lo_u32 v7, v3, s48
	v_add_nc_u32_e32 v4, v3, v4
	s_delay_alu instid0(VALU_DEP_2) | instskip(NEXT) | instid1(VALU_DEP_2)
	v_sub_nc_u32_e32 v2, v2, v7
	v_lshrrev_b32_e32 v4, s53, v4
	s_delay_alu instid0(VALU_DEP_2) | instskip(SKIP_1) | instid1(VALU_DEP_3)
	v_mul_lo_u32 v7, v2, s56
	v_mul_lo_u32 v9, v2, s57
	v_mul_hi_u32 v6, s55, v4
	s_delay_alu instid0(VALU_DEP_1) | instskip(NEXT) | instid1(VALU_DEP_1)
	v_add_nc_u32_e32 v6, v4, v6
	v_lshrrev_b32_e32 v6, s64, v6
	s_delay_alu instid0(VALU_DEP_1) | instskip(SKIP_1) | instid1(VALU_DEP_2)
	v_mul_hi_u32 v8, s66, v6
	v_mul_lo_u32 v10, v6, s54
	v_add_nc_u32_e32 v2, v6, v8
	v_mul_lo_u32 v8, v4, s51
	s_delay_alu instid0(VALU_DEP_3) | instskip(NEXT) | instid1(VALU_DEP_3)
	v_sub_nc_u32_e32 v4, v4, v10
	v_lshrrev_b32_e32 v2, s67, v2
	s_delay_alu instid0(VALU_DEP_2) | instskip(SKIP_2) | instid1(VALU_DEP_4)
	v_mul_lo_u32 v10, v4, s60
	v_mul_lo_u32 v4, v4, s61
	v_sub_nc_u32_e32 v3, v3, v8
	v_mul_lo_u32 v11, v2, s65
	s_delay_alu instid0(VALU_DEP_2) | instskip(SKIP_1) | instid1(VALU_DEP_3)
	v_mul_lo_u32 v8, v3, s58
	v_mul_lo_u32 v3, v3, s59
	v_sub_nc_u32_e32 v6, v6, v11
	s_delay_alu instid0(VALU_DEP_3) | instskip(NEXT) | instid1(VALU_DEP_2)
	v_add3_u32 v0, v7, v0, v8
	v_mul_lo_u32 v11, v6, s62
	v_mul_lo_u32 v6, v6, s63
	v_add3_u32 v1, v9, v1, v3
	s_delay_alu instid0(VALU_DEP_3) | instskip(NEXT) | instid1(VALU_DEP_2)
	v_add3_u32 v0, v10, v0, v11
	v_add3_u32 v1, v4, v1, v6
	s_cbranch_scc0 .LBB457_265
	s_branch .LBB457_268
.LBB457_266:
	s_mov_b32 s40, -1
                                        ; implicit-def: $vgpr0
                                        ; implicit-def: $vgpr1
	s_branch .LBB457_271
.LBB457_267:
	v_dual_mov_b32 v2, v5 :: v_dual_mov_b32 v1, 0
.LBB457_268:
	s_and_b32 s43, s43, 3
	s_delay_alu instid0(SALU_CYCLE_1)
	s_cmp_eq_u32 s43, 0
	s_cbranch_scc1 .LBB457_271
; %bb.269:
	s_lshl_b32 s2, s41, 3
	s_mul_i32 s22, s41, 12
	s_add_u32 s2, s2, s16
	s_addc_u32 s3, s17, 0
	s_add_u32 s2, s2, 0xc4
	s_addc_u32 s3, s3, 0
	;; [unrolled: 2-line block ×3, first 2 shown]
	.p2align	6
.LBB457_270:                            ; =>This Inner Loop Header: Depth=1
	s_clause 0x1
	s_load_b64 s[44:45], s[22:23], 0x4
	s_load_b32 s41, s[22:23], 0xc
	s_load_b64 s[46:47], s[2:3], 0x0
	s_add_u32 s22, s22, 12
	s_addc_u32 s23, s23, 0
	s_add_u32 s2, s2, 8
	s_addc_u32 s3, s3, 0
	s_add_i32 s43, s43, -1
	s_delay_alu instid0(SALU_CYCLE_1) | instskip(SKIP_2) | instid1(VALU_DEP_1)
	s_cmp_lg_u32 s43, 0
	s_waitcnt vmcnt(0) lgkmcnt(0)
	v_mul_hi_u32 v3, s45, v2
	v_add_nc_u32_e32 v3, v2, v3
	s_delay_alu instid0(VALU_DEP_1) | instskip(NEXT) | instid1(VALU_DEP_1)
	v_lshrrev_b32_e32 v8, s41, v3
	v_mul_lo_u32 v3, v8, s44
	s_delay_alu instid0(VALU_DEP_1) | instskip(NEXT) | instid1(VALU_DEP_1)
	v_sub_nc_u32_e32 v2, v2, v3
	v_mad_u64_u32 v[3:4], null, v2, s46, v[0:1]
	v_mad_u64_u32 v[6:7], null, v2, s47, v[1:2]
	v_mov_b32_e32 v2, v8
	s_delay_alu instid0(VALU_DEP_2)
	v_dual_mov_b32 v0, v3 :: v_dual_mov_b32 v1, v6
	s_cbranch_scc1 .LBB457_270
.LBB457_271:
	s_and_not1_b32 vcc_lo, exec_lo, s40
	s_cbranch_vccnz .LBB457_274
; %bb.272:
	v_mul_hi_u32 v0, s9, v5
	s_and_not1_b32 vcc_lo, exec_lo, s33
	s_delay_alu instid0(VALU_DEP_1) | instskip(NEXT) | instid1(VALU_DEP_1)
	v_add_nc_u32_e32 v0, v5, v0
	v_lshrrev_b32_e32 v2, s10, v0
	s_delay_alu instid0(VALU_DEP_1) | instskip(NEXT) | instid1(VALU_DEP_1)
	v_mul_lo_u32 v0, v2, s8
	v_sub_nc_u32_e32 v1, v5, v0
	s_delay_alu instid0(VALU_DEP_1)
	v_mul_lo_u32 v0, v1, s12
	v_mul_lo_u32 v1, v1, s13
	s_cbranch_vccnz .LBB457_274
; %bb.273:
	s_waitcnt vmcnt(0)
	v_mul_hi_u32 v3, s18, v2
	s_delay_alu instid0(VALU_DEP_1) | instskip(NEXT) | instid1(VALU_DEP_1)
	v_add_nc_u32_e32 v3, v2, v3
	v_lshrrev_b32_e32 v3, s19, v3
	s_delay_alu instid0(VALU_DEP_1) | instskip(NEXT) | instid1(VALU_DEP_1)
	v_mul_lo_u32 v3, v3, s11
	v_sub_nc_u32_e32 v6, v2, v3
	s_delay_alu instid0(VALU_DEP_1) | instskip(NEXT) | instid1(VALU_DEP_1)
	v_mad_u64_u32 v[2:3], null, v6, s14, v[0:1]
	v_mad_u64_u32 v[3:4], null, v6, s15, v[1:2]
	s_delay_alu instid0(VALU_DEP_1)
	v_dual_mov_b32 v0, v2 :: v_dual_mov_b32 v1, v3
.LBB457_274:
	v_cmp_lt_i16_e64 s2, s31, 11
	s_delay_alu instid0(VALU_DEP_2) | instskip(NEXT) | instid1(VALU_DEP_1)
	v_add_co_u32 v1, s3, s6, v1
	v_add_co_ci_u32_e64 v2, null, s7, 0, s3
	s_delay_alu instid0(VALU_DEP_3)
	s_and_b32 vcc_lo, exec_lo, s2
	s_mov_b32 s2, 0
	s_cbranch_vccnz .LBB457_281
; %bb.275:
	v_cmp_gt_i16_e64 s2, s31, 25
	s_delay_alu instid0(VALU_DEP_1)
	s_and_b32 vcc_lo, exec_lo, s2
	s_cbranch_vccz .LBB457_330
; %bb.276:
	v_cmp_gt_i16_e64 s2, s31, 28
	s_delay_alu instid0(VALU_DEP_1)
	s_and_b32 vcc_lo, exec_lo, s2
	s_cbranch_vccz .LBB457_331
	;; [unrolled: 5-line block ×4, first 2 shown]
; %bb.279:
	v_cmp_eq_u16_e64 s2, s31, 46
	s_mov_b32 s22, 0
	s_delay_alu instid0(VALU_DEP_1)
	s_and_b32 vcc_lo, exec_lo, s2
	s_cbranch_vccz .LBB457_339
; %bb.280:
	global_load_b32 v3, v[1:2], off
	s_mov_b32 s2, -1
	s_mov_b32 s3, 0
	s_waitcnt vmcnt(0)
	v_lshlrev_b32_e32 v3, 16, v3
	s_delay_alu instid0(VALU_DEP_1)
	v_cvt_i32_f32_e32 v3, v3
	s_branch .LBB457_341
.LBB457_281:
	s_mov_b32 s3, s38
                                        ; implicit-def: $vgpr3
	s_cbranch_execnz .LBB457_474
.LBB457_282:
	s_and_not1_b32 vcc_lo, exec_lo, s2
	s_cbranch_vccnz .LBB457_522
.LBB457_283:
	s_waitcnt vmcnt(0)
	v_and_b32_e64 v4, 0xff, s30
	v_add_co_u32 v0, s2, s4, v0
	s_delay_alu instid0(VALU_DEP_3) | instskip(SKIP_1) | instid1(VALU_DEP_4)
	v_min_i16 v2, v3, s29
	v_add_co_ci_u32_e64 v1, null, s5, 0, s2
	v_cmp_gt_i16_e32 vcc_lo, 11, v4
	s_mov_b32 s22, 0
	s_mov_b32 s23, -1
	s_mov_b32 s2, s37
	s_cbranch_vccnz .LBB457_290
; %bb.284:
	v_cmp_lt_i16_e32 vcc_lo, 25, v4
	s_cbranch_vccz .LBB457_332
; %bb.285:
	v_cmp_lt_i16_e32 vcc_lo, 28, v4
	s_cbranch_vccz .LBB457_334
	;; [unrolled: 3-line block ×4, first 2 shown]
; %bb.288:
	v_cmp_eq_u16_e32 vcc_lo, 46, v4
	s_mov_b32 s23, 0
	s_mov_b32 s2, -1
	s_cbranch_vccz .LBB457_345
; %bb.289:
	v_bfe_i32 v3, v2, 0, 16
	s_mov_b32 s22, -1
	s_mov_b32 s2, 0
	s_delay_alu instid0(VALU_DEP_1) | instskip(NEXT) | instid1(VALU_DEP_1)
	v_cvt_f32_i32_e32 v3, v3
	v_bfe_u32 v6, v3, 16, 1
	s_delay_alu instid0(VALU_DEP_1) | instskip(NEXT) | instid1(VALU_DEP_1)
	v_add3_u32 v3, v3, v6, 0x7fff
	v_lshrrev_b32_e32 v3, 16, v3
	global_store_b32 v[0:1], v3, off
	s_branch .LBB457_345
.LBB457_290:
	s_and_b32 vcc_lo, exec_lo, s23
	s_cbranch_vccz .LBB457_414
; %bb.291:
	v_cmp_gt_i16_e32 vcc_lo, 5, v4
	s_mov_b32 s22, -1
	s_cbranch_vccnz .LBB457_312
; %bb.292:
	v_cmp_gt_i16_e32 vcc_lo, 8, v4
	s_cbranch_vccnz .LBB457_302
; %bb.293:
	v_cmp_gt_i16_e32 vcc_lo, 9, v4
	s_cbranch_vccnz .LBB457_299
; %bb.294:
	v_cmp_lt_i16_e32 vcc_lo, 9, v4
	s_cbranch_vccz .LBB457_296
; %bb.295:
	v_bfe_i32 v3, v2, 0, 16
	v_mov_b32_e32 v8, 0
	s_mov_b32 s22, 0
	s_delay_alu instid0(VALU_DEP_2) | instskip(NEXT) | instid1(VALU_DEP_2)
	v_cvt_f64_i32_e32 v[6:7], v3
	v_mov_b32_e32 v9, v8
	global_store_b128 v[0:1], v[6:9], off
.LBB457_296:
	s_and_not1_b32 vcc_lo, exec_lo, s22
	s_cbranch_vccnz .LBB457_298
; %bb.297:
	v_bfe_i32 v3, v2, 0, 16
	v_mov_b32_e32 v7, 0
	s_delay_alu instid0(VALU_DEP_2)
	v_cvt_f32_i32_e32 v6, v3
	global_store_b64 v[0:1], v[6:7], off
.LBB457_298:
	s_mov_b32 s22, 0
.LBB457_299:
	s_delay_alu instid0(SALU_CYCLE_1)
	s_and_not1_b32 vcc_lo, exec_lo, s22
	s_cbranch_vccnz .LBB457_301
; %bb.300:
	v_cvt_f16_i16_e32 v3, v2
	s_delay_alu instid0(VALU_DEP_1)
	v_and_b32_e32 v3, 0xffff, v3
	global_store_b32 v[0:1], v3, off
.LBB457_301:
	s_mov_b32 s22, 0
.LBB457_302:
	s_delay_alu instid0(SALU_CYCLE_1)
	s_and_not1_b32 vcc_lo, exec_lo, s22
	s_cbranch_vccnz .LBB457_311
; %bb.303:
	v_cmp_gt_i16_e32 vcc_lo, 6, v4
	s_mov_b32 s22, -1
	s_cbranch_vccnz .LBB457_309
; %bb.304:
	v_cmp_lt_i16_e32 vcc_lo, 6, v4
	s_cbranch_vccz .LBB457_306
; %bb.305:
	v_bfe_i32 v3, v2, 0, 16
	s_mov_b32 s22, 0
	s_delay_alu instid0(VALU_DEP_1)
	v_cvt_f64_i32_e32 v[6:7], v3
	global_store_b64 v[0:1], v[6:7], off
.LBB457_306:
	s_and_not1_b32 vcc_lo, exec_lo, s22
	s_cbranch_vccnz .LBB457_308
; %bb.307:
	v_bfe_i32 v3, v2, 0, 16
	s_delay_alu instid0(VALU_DEP_1)
	v_cvt_f32_i32_e32 v3, v3
	global_store_b32 v[0:1], v3, off
.LBB457_308:
	s_mov_b32 s22, 0
.LBB457_309:
	s_delay_alu instid0(SALU_CYCLE_1)
	s_and_not1_b32 vcc_lo, exec_lo, s22
	s_cbranch_vccnz .LBB457_311
; %bb.310:
	v_cvt_f16_i16_e32 v3, v2
	global_store_b16 v[0:1], v3, off
.LBB457_311:
	s_mov_b32 s22, 0
.LBB457_312:
	s_delay_alu instid0(SALU_CYCLE_1)
	s_and_not1_b32 vcc_lo, exec_lo, s22
	s_cbranch_vccnz .LBB457_328
; %bb.313:
	v_cmp_gt_i16_e32 vcc_lo, 2, v4
	s_mov_b32 s22, -1
	s_cbranch_vccnz .LBB457_323
; %bb.314:
	v_cmp_gt_i16_e32 vcc_lo, 3, v4
	s_cbranch_vccnz .LBB457_320
; %bb.315:
	v_cmp_lt_i16_e32 vcc_lo, 3, v4
	s_cbranch_vccz .LBB457_317
; %bb.316:
	v_bfe_i32 v6, v2, 0, 16
	s_mov_b32 s22, 0
	s_delay_alu instid0(VALU_DEP_1)
	v_ashrrev_i32_e32 v7, 31, v6
	global_store_b64 v[0:1], v[6:7], off
.LBB457_317:
	s_and_not1_b32 vcc_lo, exec_lo, s22
	s_cbranch_vccnz .LBB457_319
; %bb.318:
	v_bfe_i32 v3, v2, 0, 16
	global_store_b32 v[0:1], v3, off
.LBB457_319:
	s_mov_b32 s22, 0
.LBB457_320:
	s_delay_alu instid0(SALU_CYCLE_1)
	s_and_not1_b32 vcc_lo, exec_lo, s22
	s_cbranch_vccnz .LBB457_322
; %bb.321:
	global_store_b16 v[0:1], v2, off
.LBB457_322:
	s_mov_b32 s22, 0
.LBB457_323:
	s_delay_alu instid0(SALU_CYCLE_1)
	s_and_not1_b32 vcc_lo, exec_lo, s22
	s_cbranch_vccnz .LBB457_328
; %bb.324:
	v_cmp_lt_i16_e32 vcc_lo, 0, v4
	s_mov_b32 s22, -1
	s_cbranch_vccz .LBB457_326
; %bb.325:
	s_mov_b32 s22, 0
	global_store_b8 v[0:1], v2, off
.LBB457_326:
	s_and_not1_b32 vcc_lo, exec_lo, s22
	s_cbranch_vccnz .LBB457_328
; %bb.327:
	global_store_b8 v[0:1], v2, off
.LBB457_328:
	s_branch .LBB457_415
.LBB457_329:
	s_mov_b32 s22, 0
	s_branch .LBB457_523
.LBB457_330:
	s_mov_b32 s22, -1
	s_mov_b32 s2, 0
	s_mov_b32 s3, s38
                                        ; implicit-def: $vgpr3
	s_branch .LBB457_440
.LBB457_331:
	s_mov_b32 s22, -1
	s_mov_b32 s2, 0
	s_mov_b32 s3, s38
                                        ; implicit-def: $vgpr3
	s_branch .LBB457_423
.LBB457_332:
	s_mov_b32 s2, s37
	s_branch .LBB457_372
.LBB457_333:
	s_mov_b32 s22, -1
	s_mov_b32 s2, 0
	s_mov_b32 s3, s38
                                        ; implicit-def: $vgpr3
	s_branch .LBB457_418
.LBB457_334:
	s_mov_b32 s2, s37
	s_branch .LBB457_355
.LBB457_335:
	s_mov_b32 s22, -1
	s_mov_b32 s2, 0
	s_mov_b32 s3, s38
	s_branch .LBB457_340
.LBB457_336:
	s_mov_b32 s2, s37
	s_branch .LBB457_351
.LBB457_337:
	s_or_saveexec_b32 s37, s37
                                        ; implicit-def: $sgpr38
	s_delay_alu instid0(SALU_CYCLE_1)
	s_xor_b32 exec_lo, exec_lo, s37
	s_cbranch_execz .LBB457_65
.LBB457_338:
	v_add_f32_e64 v6, 0x42800000, |v3|
	s_and_not1_b32 s23, s23, exec_lo
	s_mov_b32 s38, 0
	s_delay_alu instid0(VALU_DEP_1) | instskip(NEXT) | instid1(VALU_DEP_1)
	v_and_b32_e32 v6, 0xff, v6
	v_cmp_ne_u32_e32 vcc_lo, 0, v6
	s_and_b32 s41, vcc_lo, exec_lo
	s_delay_alu instid0(SALU_CYCLE_1)
	s_or_b32 s23, s23, s41
	s_or_b32 exec_lo, exec_lo, s37
	v_mov_b32_e32 v7, s38
	s_and_saveexec_b32 s37, s23
	s_cbranch_execnz .LBB457_66
	s_branch .LBB457_67
.LBB457_339:
	s_mov_b32 s3, -1
	s_mov_b32 s2, 0
.LBB457_340:
                                        ; implicit-def: $vgpr3
.LBB457_341:
	s_and_b32 vcc_lo, exec_lo, s22
	s_cbranch_vccz .LBB457_417
; %bb.342:
	v_cmp_eq_u16_e64 s3, s31, 44
	s_delay_alu instid0(VALU_DEP_1)
	s_and_b32 vcc_lo, exec_lo, s3
	s_cbranch_vccz .LBB457_416
; %bb.343:
	global_load_u8 v3, v[1:2], off
	s_mov_b32 s3, 0
	s_mov_b32 s2, -1
	s_waitcnt vmcnt(0)
	v_lshlrev_b32_e32 v4, 23, v3
	v_cmp_ne_u32_e32 vcc_lo, 0, v3
	s_delay_alu instid0(VALU_DEP_2) | instskip(NEXT) | instid1(VALU_DEP_1)
	v_cvt_i32_f32_e32 v4, v4
	v_cndmask_b32_e32 v3, 0, v4, vcc_lo
	s_branch .LBB457_417
.LBB457_344:
	s_mov_b32 s2, s37
.LBB457_345:
	s_and_b32 vcc_lo, exec_lo, s23
	s_cbranch_vccz .LBB457_350
; %bb.346:
	v_cmp_eq_u16_e32 vcc_lo, 44, v4
	s_mov_b32 s2, -1
	s_cbranch_vccz .LBB457_350
; %bb.347:
	v_bfe_i32 v3, v2, 0, 16
	v_mov_b32_e32 v6, 0xff
	s_mov_b32 s22, exec_lo
	s_delay_alu instid0(VALU_DEP_2) | instskip(NEXT) | instid1(VALU_DEP_1)
	v_cvt_f32_i32_e32 v3, v3
	v_bfe_u32 v7, v3, 23, 8
	s_delay_alu instid0(VALU_DEP_1)
	v_cmpx_ne_u32_e32 0xff, v7
; %bb.348:
	v_and_b32_e32 v6, 0x400000, v3
	v_and_or_b32 v7, 0x3fffff, v3, v7
	v_lshrrev_b32_e32 v3, 23, v3
	s_delay_alu instid0(VALU_DEP_3) | instskip(NEXT) | instid1(VALU_DEP_3)
	v_cmp_ne_u32_e32 vcc_lo, 0, v6
	v_cmp_ne_u32_e64 s2, 0, v7
	s_delay_alu instid0(VALU_DEP_1) | instskip(NEXT) | instid1(SALU_CYCLE_1)
	s_and_b32 s2, vcc_lo, s2
	v_cndmask_b32_e64 v6, 0, 1, s2
	s_delay_alu instid0(VALU_DEP_1)
	v_add_nc_u32_e32 v6, v3, v6
; %bb.349:
	s_or_b32 exec_lo, exec_lo, s22
	s_mov_b32 s22, -1
	s_mov_b32 s2, 0
	global_store_b8 v[0:1], v6, off
.LBB457_350:
	s_mov_b32 s23, 0
.LBB457_351:
	s_delay_alu instid0(SALU_CYCLE_1)
	s_and_b32 vcc_lo, exec_lo, s23
	s_cbranch_vccz .LBB457_354
; %bb.352:
	v_cmp_eq_u16_e32 vcc_lo, 29, v4
	s_mov_b32 s2, -1
	s_cbranch_vccz .LBB457_354
; %bb.353:
	v_bfe_i32 v6, v2, 0, 16
	s_mov_b32 s2, 0
	s_mov_b32 s22, -1
	s_mov_b32 s23, 0
	s_delay_alu instid0(VALU_DEP_1)
	v_ashrrev_i32_e32 v7, 31, v6
	global_store_b64 v[0:1], v[6:7], off
	s_branch .LBB457_355
.LBB457_354:
	s_mov_b32 s23, 0
.LBB457_355:
	s_delay_alu instid0(SALU_CYCLE_1)
	s_and_b32 vcc_lo, exec_lo, s23
	s_cbranch_vccz .LBB457_371
; %bb.356:
	v_cmp_gt_i16_e32 vcc_lo, 27, v4
	s_mov_b32 s22, -1
	s_cbranch_vccnz .LBB457_362
; %bb.357:
	v_cmp_lt_i16_e32 vcc_lo, 27, v4
	s_cbranch_vccz .LBB457_359
; %bb.358:
	v_bfe_i32 v3, v2, 0, 16
	s_mov_b32 s22, 0
	global_store_b32 v[0:1], v3, off
.LBB457_359:
	s_and_not1_b32 vcc_lo, exec_lo, s22
	s_cbranch_vccnz .LBB457_361
; %bb.360:
	global_store_b16 v[0:1], v2, off
.LBB457_361:
	s_mov_b32 s22, 0
.LBB457_362:
	s_delay_alu instid0(SALU_CYCLE_1)
	s_and_not1_b32 vcc_lo, exec_lo, s22
	s_cbranch_vccnz .LBB457_370
; %bb.363:
	v_bfe_i32 v3, v2, 0, 16
	v_mov_b32_e32 v7, 0x80
	s_mov_b32 s22, exec_lo
	s_delay_alu instid0(VALU_DEP_2) | instskip(NEXT) | instid1(VALU_DEP_1)
	v_cvt_f32_i32_e32 v3, v3
	v_and_b32_e32 v6, 0x7fffffff, v3
	s_delay_alu instid0(VALU_DEP_1)
	v_cmpx_gt_u32_e32 0x43800000, v6
	s_cbranch_execz .LBB457_369
; %bb.364:
	v_cmp_lt_u32_e32 vcc_lo, 0x3bffffff, v6
	s_mov_b32 s23, 0
                                        ; implicit-def: $vgpr6
	s_and_saveexec_b32 s40, vcc_lo
	s_delay_alu instid0(SALU_CYCLE_1)
	s_xor_b32 s40, exec_lo, s40
	s_cbranch_execz .LBB457_551
; %bb.365:
	v_bfe_u32 v6, v3, 20, 1
	s_mov_b32 s23, exec_lo
	s_delay_alu instid0(VALU_DEP_1) | instskip(NEXT) | instid1(VALU_DEP_1)
	v_add3_u32 v6, v3, v6, 0x487ffff
	v_lshrrev_b32_e32 v6, 20, v6
	s_or_saveexec_b32 s40, s40
                                        ; implicit-def: $sgpr41
	s_delay_alu instid0(SALU_CYCLE_1)
	s_xor_b32 exec_lo, exec_lo, s40
	s_cbranch_execnz .LBB457_552
.LBB457_366:
	s_or_b32 exec_lo, exec_lo, s40
	v_mov_b32_e32 v7, s41
	s_and_saveexec_b32 s40, s23
.LBB457_367:
	v_lshrrev_b32_e32 v3, 24, v3
	s_delay_alu instid0(VALU_DEP_1)
	v_and_or_b32 v7, 0x80, v3, v6
.LBB457_368:
	s_or_b32 exec_lo, exec_lo, s40
.LBB457_369:
	s_delay_alu instid0(SALU_CYCLE_1)
	s_or_b32 exec_lo, exec_lo, s22
	global_store_b8 v[0:1], v7, off
.LBB457_370:
	s_mov_b32 s22, -1
.LBB457_371:
	s_mov_b32 s23, 0
.LBB457_372:
	s_delay_alu instid0(SALU_CYCLE_1)
	s_and_b32 vcc_lo, exec_lo, s23
	s_cbranch_vccz .LBB457_413
; %bb.373:
	v_cmp_lt_i16_e32 vcc_lo, 22, v4
	s_mov_b32 s23, -1
	s_cbranch_vccz .LBB457_405
; %bb.374:
	v_cmp_gt_i16_e32 vcc_lo, 24, v4
	s_mov_b32 s22, -1
	s_cbranch_vccnz .LBB457_394
; %bb.375:
	v_cmp_lt_i16_e32 vcc_lo, 24, v4
	s_cbranch_vccz .LBB457_383
; %bb.376:
	v_bfe_i32 v3, v2, 0, 16
	v_mov_b32_e32 v7, 0x80
	s_mov_b32 s22, exec_lo
	s_delay_alu instid0(VALU_DEP_2) | instskip(NEXT) | instid1(VALU_DEP_1)
	v_cvt_f32_i32_e32 v3, v3
	v_and_b32_e32 v6, 0x7fffffff, v3
	s_delay_alu instid0(VALU_DEP_1)
	v_cmpx_gt_u32_e32 0x47800000, v6
	s_cbranch_execz .LBB457_382
; %bb.377:
	v_cmp_lt_u32_e32 vcc_lo, 0x37ffffff, v6
	s_mov_b32 s23, 0
                                        ; implicit-def: $vgpr6
	s_and_saveexec_b32 s40, vcc_lo
	s_delay_alu instid0(SALU_CYCLE_1)
	s_xor_b32 s40, exec_lo, s40
	s_cbranch_execz .LBB457_554
; %bb.378:
	v_bfe_u32 v6, v3, 21, 1
	s_mov_b32 s23, exec_lo
	s_delay_alu instid0(VALU_DEP_1) | instskip(NEXT) | instid1(VALU_DEP_1)
	v_add3_u32 v6, v3, v6, 0x88fffff
	v_lshrrev_b32_e32 v6, 21, v6
	s_or_saveexec_b32 s40, s40
                                        ; implicit-def: $sgpr41
	s_delay_alu instid0(SALU_CYCLE_1)
	s_xor_b32 exec_lo, exec_lo, s40
	s_cbranch_execnz .LBB457_555
.LBB457_379:
	s_or_b32 exec_lo, exec_lo, s40
	v_mov_b32_e32 v7, s41
	s_and_saveexec_b32 s40, s23
.LBB457_380:
	v_lshrrev_b32_e32 v3, 24, v3
	s_delay_alu instid0(VALU_DEP_1)
	v_and_or_b32 v7, 0x80, v3, v6
.LBB457_381:
	s_or_b32 exec_lo, exec_lo, s40
.LBB457_382:
	s_delay_alu instid0(SALU_CYCLE_1)
	s_or_b32 exec_lo, exec_lo, s22
	s_mov_b32 s22, 0
	global_store_b8 v[0:1], v7, off
.LBB457_383:
	s_and_b32 vcc_lo, exec_lo, s22
	s_cbranch_vccz .LBB457_393
; %bb.384:
	v_bfe_i32 v3, v2, 0, 16
	s_mov_b32 s22, exec_lo
                                        ; implicit-def: $vgpr6
	s_delay_alu instid0(VALU_DEP_1) | instskip(NEXT) | instid1(VALU_DEP_1)
	v_cvt_f32_i32_e32 v3, v3
	v_and_b32_e32 v7, 0x7fffffff, v3
	s_delay_alu instid0(VALU_DEP_1)
	v_cmpx_gt_u32_e32 0x43f00000, v7
	s_xor_b32 s22, exec_lo, s22
	s_cbranch_execz .LBB457_390
; %bb.385:
	s_mov_b32 s23, exec_lo
                                        ; implicit-def: $vgpr6
	v_cmpx_lt_u32_e32 0x3c7fffff, v7
	s_xor_b32 s23, exec_lo, s23
; %bb.386:
	v_bfe_u32 v6, v3, 20, 1
	s_delay_alu instid0(VALU_DEP_1) | instskip(NEXT) | instid1(VALU_DEP_1)
	v_add3_u32 v6, v3, v6, 0x407ffff
	v_and_b32_e32 v7, 0xff00000, v6
	v_lshrrev_b32_e32 v6, 20, v6
	s_delay_alu instid0(VALU_DEP_2) | instskip(NEXT) | instid1(VALU_DEP_2)
	v_cmp_ne_u32_e32 vcc_lo, 0x7f00000, v7
	v_cndmask_b32_e32 v6, 0x7e, v6, vcc_lo
; %bb.387:
	s_and_not1_saveexec_b32 s23, s23
; %bb.388:
	v_add_f32_e64 v6, 0x46800000, |v3|
; %bb.389:
	s_or_b32 exec_lo, exec_lo, s23
                                        ; implicit-def: $vgpr7
.LBB457_390:
	s_and_not1_saveexec_b32 s22, s22
; %bb.391:
	v_mov_b32_e32 v6, 0x7f
	v_cmp_lt_u32_e32 vcc_lo, 0x7f800000, v7
	s_delay_alu instid0(VALU_DEP_2)
	v_cndmask_b32_e32 v6, 0x7e, v6, vcc_lo
; %bb.392:
	s_or_b32 exec_lo, exec_lo, s22
	v_lshrrev_b32_e32 v3, 24, v3
	s_delay_alu instid0(VALU_DEP_1)
	v_and_or_b32 v3, 0x80, v3, v6
	global_store_b8 v[0:1], v3, off
.LBB457_393:
	s_mov_b32 s22, 0
.LBB457_394:
	s_delay_alu instid0(SALU_CYCLE_1)
	s_and_not1_b32 vcc_lo, exec_lo, s22
	s_cbranch_vccnz .LBB457_404
; %bb.395:
	v_bfe_i32 v3, v2, 0, 16
	s_mov_b32 s22, exec_lo
                                        ; implicit-def: $vgpr6
	s_delay_alu instid0(VALU_DEP_1) | instskip(NEXT) | instid1(VALU_DEP_1)
	v_cvt_f32_i32_e32 v3, v3
	v_and_b32_e32 v7, 0x7fffffff, v3
	s_delay_alu instid0(VALU_DEP_1)
	v_cmpx_gt_u32_e32 0x47800000, v7
	s_xor_b32 s22, exec_lo, s22
	s_cbranch_execz .LBB457_401
; %bb.396:
	s_mov_b32 s23, exec_lo
                                        ; implicit-def: $vgpr6
	v_cmpx_lt_u32_e32 0x387fffff, v7
	s_xor_b32 s23, exec_lo, s23
; %bb.397:
	v_bfe_u32 v6, v3, 21, 1
	s_delay_alu instid0(VALU_DEP_1) | instskip(NEXT) | instid1(VALU_DEP_1)
	v_add3_u32 v6, v3, v6, 0x80fffff
	v_lshrrev_b32_e32 v6, 21, v6
; %bb.398:
	s_and_not1_saveexec_b32 s23, s23
; %bb.399:
	v_add_f32_e64 v6, 0x43000000, |v3|
; %bb.400:
	s_or_b32 exec_lo, exec_lo, s23
                                        ; implicit-def: $vgpr7
.LBB457_401:
	s_and_not1_saveexec_b32 s22, s22
; %bb.402:
	v_mov_b32_e32 v6, 0x7f
	v_cmp_lt_u32_e32 vcc_lo, 0x7f800000, v7
	s_delay_alu instid0(VALU_DEP_2)
	v_cndmask_b32_e32 v6, 0x7c, v6, vcc_lo
; %bb.403:
	s_or_b32 exec_lo, exec_lo, s22
	v_lshrrev_b32_e32 v3, 24, v3
	s_delay_alu instid0(VALU_DEP_1)
	v_and_or_b32 v3, 0x80, v3, v6
	global_store_b8 v[0:1], v3, off
.LBB457_404:
	s_mov_b32 s23, 0
	s_mov_b32 s22, -1
.LBB457_405:
	s_and_not1_b32 vcc_lo, exec_lo, s23
	s_cbranch_vccnz .LBB457_413
; %bb.406:
	v_cmp_lt_i16_e32 vcc_lo, 14, v4
	s_mov_b32 s23, -1
	s_cbranch_vccz .LBB457_410
; %bb.407:
	v_cmp_eq_u16_e32 vcc_lo, 15, v4
	s_mov_b32 s2, -1
	s_cbranch_vccz .LBB457_409
; %bb.408:
	v_bfe_i32 v3, v2, 0, 16
	s_mov_b32 s22, -1
	s_mov_b32 s2, 0
	s_delay_alu instid0(VALU_DEP_1) | instskip(NEXT) | instid1(VALU_DEP_1)
	v_cvt_f32_i32_e32 v3, v3
	v_bfe_u32 v6, v3, 16, 1
	s_delay_alu instid0(VALU_DEP_1)
	v_add3_u32 v3, v3, v6, 0x7fff
	global_store_d16_hi_b16 v[0:1], v3, off
.LBB457_409:
	s_mov_b32 s23, 0
.LBB457_410:
	s_delay_alu instid0(SALU_CYCLE_1)
	s_and_b32 vcc_lo, exec_lo, s23
	s_cbranch_vccz .LBB457_413
; %bb.411:
	v_cmp_eq_u16_e32 vcc_lo, 11, v4
	s_mov_b32 s2, -1
	s_cbranch_vccz .LBB457_413
; %bb.412:
	v_cmp_ne_u16_e32 vcc_lo, 0, v2
	s_mov_b32 s2, 0
	s_mov_b32 s22, -1
	v_cndmask_b32_e64 v3, 0, 1, vcc_lo
	global_store_b8 v[0:1], v3, off
.LBB457_413:
.LBB457_414:
	s_and_not1_b32 vcc_lo, exec_lo, s22
	s_cbranch_vccnz .LBB457_329
.LBB457_415:
	v_add_nc_u32_e32 v5, 0x80, v5
	s_mov_b32 s22, -1
	s_branch .LBB457_524
.LBB457_416:
	s_mov_b32 s3, -1
                                        ; implicit-def: $vgpr3
.LBB457_417:
	s_mov_b32 s22, 0
.LBB457_418:
	s_delay_alu instid0(SALU_CYCLE_1)
	s_and_b32 vcc_lo, exec_lo, s22
	s_cbranch_vccz .LBB457_422
; %bb.419:
	v_cmp_eq_u16_e64 s3, s31, 29
	s_delay_alu instid0(VALU_DEP_1)
	s_and_b32 vcc_lo, exec_lo, s3
	s_cbranch_vccz .LBB457_421
; %bb.420:
	global_load_b64 v[3:4], v[1:2], off
	s_mov_b32 s2, -1
	s_mov_b32 s3, 0
	s_branch .LBB457_422
.LBB457_421:
	s_mov_b32 s3, -1
                                        ; implicit-def: $vgpr3
.LBB457_422:
	s_mov_b32 s22, 0
.LBB457_423:
	s_delay_alu instid0(SALU_CYCLE_1)
	s_and_b32 vcc_lo, exec_lo, s22
	s_cbranch_vccz .LBB457_439
; %bb.424:
	v_cmp_lt_i16_e64 s2, s31, 27
	s_delay_alu instid0(VALU_DEP_1)
	s_and_b32 vcc_lo, exec_lo, s2
	s_cbranch_vccnz .LBB457_427
; %bb.425:
	v_cmp_gt_i16_e64 s2, s31, 27
	s_delay_alu instid0(VALU_DEP_1)
	s_and_b32 vcc_lo, exec_lo, s2
	s_cbranch_vccz .LBB457_428
; %bb.426:
	global_load_b32 v3, v[1:2], off
	s_mov_b32 s2, 0
	s_branch .LBB457_429
.LBB457_427:
	s_mov_b32 s2, -1
                                        ; implicit-def: $vgpr3
	s_branch .LBB457_432
.LBB457_428:
	s_mov_b32 s2, -1
                                        ; implicit-def: $vgpr3
.LBB457_429:
	s_delay_alu instid0(SALU_CYCLE_1)
	s_and_not1_b32 vcc_lo, exec_lo, s2
	s_cbranch_vccnz .LBB457_431
; %bb.430:
	global_load_u16 v3, v[1:2], off
.LBB457_431:
	s_mov_b32 s2, 0
.LBB457_432:
	s_delay_alu instid0(SALU_CYCLE_1)
	s_and_not1_b32 vcc_lo, exec_lo, s2
	s_cbranch_vccnz .LBB457_438
; %bb.433:
	global_load_u8 v4, v[1:2], off
	s_mov_b32 s2, 0
	s_mov_b32 s22, exec_lo
                                        ; implicit-def: $sgpr23
	s_waitcnt vmcnt(0)
	v_cmpx_lt_i16_e32 0x7f, v4
	s_xor_b32 s22, exec_lo, s22
	s_cbranch_execz .LBB457_450
; %bb.434:
	v_cmp_ne_u16_e32 vcc_lo, 0x80, v4
	s_mov_b32 s23, 0
	s_and_b32 s2, vcc_lo, exec_lo
	s_or_saveexec_b32 s22, s22
	v_mov_b32_e32 v3, s23
	s_xor_b32 exec_lo, exec_lo, s22
	s_cbranch_execnz .LBB457_451
.LBB457_435:
	s_or_b32 exec_lo, exec_lo, s22
	s_and_saveexec_b32 s22, s2
	s_cbranch_execz .LBB457_437
.LBB457_436:
	v_and_b32_e32 v3, 0xffff, v4
	v_lshlrev_b32_e32 v4, 24, v4
	s_delay_alu instid0(VALU_DEP_2) | instskip(NEXT) | instid1(VALU_DEP_2)
	v_and_b32_e32 v6, 7, v3
	v_and_b32_e32 v4, 0x80000000, v4
	s_delay_alu instid0(VALU_DEP_2) | instskip(NEXT) | instid1(VALU_DEP_1)
	v_clz_i32_u32_e32 v7, v6
	v_min_u32_e32 v7, 32, v7
	s_delay_alu instid0(VALU_DEP_1) | instskip(SKIP_1) | instid1(VALU_DEP_2)
	v_subrev_nc_u32_e32 v8, 28, v7
	v_sub_nc_u32_e32 v7, 29, v7
	v_lshlrev_b32_e32 v8, v8, v3
	v_bfe_u32 v3, v3, 3, 4
	s_delay_alu instid0(VALU_DEP_1) | instskip(NEXT) | instid1(VALU_DEP_3)
	v_cmp_eq_u32_e32 vcc_lo, 0, v3
	v_dual_cndmask_b32 v3, v3, v7 :: v_dual_and_b32 v8, 7, v8
	s_delay_alu instid0(VALU_DEP_1) | instskip(NEXT) | instid1(VALU_DEP_2)
	v_cndmask_b32_e32 v6, v6, v8, vcc_lo
	v_lshl_add_u32 v3, v3, 23, 0x3b800000
	s_delay_alu instid0(VALU_DEP_2) | instskip(NEXT) | instid1(VALU_DEP_1)
	v_lshlrev_b32_e32 v6, 20, v6
	v_or3_b32 v3, v4, v3, v6
	s_delay_alu instid0(VALU_DEP_1)
	v_cvt_i32_f32_e32 v3, v3
.LBB457_437:
	s_or_b32 exec_lo, exec_lo, s22
.LBB457_438:
	s_mov_b32 s2, -1
.LBB457_439:
	s_mov_b32 s22, 0
.LBB457_440:
	s_delay_alu instid0(SALU_CYCLE_1)
	s_and_b32 vcc_lo, exec_lo, s22
	s_cbranch_vccz .LBB457_473
; %bb.441:
	v_cmp_gt_i16_e64 s22, s31, 22
	s_delay_alu instid0(VALU_DEP_1)
	s_and_b32 vcc_lo, exec_lo, s22
	s_cbranch_vccz .LBB457_449
; %bb.442:
	v_cmp_lt_i16_e64 s2, s31, 24
	s_delay_alu instid0(VALU_DEP_1)
	s_and_b32 vcc_lo, exec_lo, s2
	s_cbranch_vccnz .LBB457_452
; %bb.443:
	v_cmp_gt_i16_e64 s2, s31, 24
	s_delay_alu instid0(VALU_DEP_1)
	s_and_b32 vcc_lo, exec_lo, s2
	s_cbranch_vccz .LBB457_453
; %bb.444:
	global_load_u8 v4, v[1:2], off
	s_mov_b32 s2, 0
	s_mov_b32 s22, exec_lo
                                        ; implicit-def: $sgpr23
	s_waitcnt vmcnt(0)
	v_cmpx_lt_i16_e32 0x7f, v4
	s_xor_b32 s22, exec_lo, s22
	s_cbranch_execz .LBB457_465
; %bb.445:
	v_cmp_ne_u16_e32 vcc_lo, 0x80, v4
	s_mov_b32 s23, 0
	s_and_b32 s2, vcc_lo, exec_lo
	s_or_saveexec_b32 s22, s22
	v_mov_b32_e32 v3, s23
	s_xor_b32 exec_lo, exec_lo, s22
	s_cbranch_execnz .LBB457_466
.LBB457_446:
	s_or_b32 exec_lo, exec_lo, s22
	s_and_saveexec_b32 s22, s2
	s_cbranch_execz .LBB457_448
.LBB457_447:
	v_and_b32_e32 v3, 0xffff, v4
	v_lshlrev_b32_e32 v4, 24, v4
	s_delay_alu instid0(VALU_DEP_2) | instskip(NEXT) | instid1(VALU_DEP_2)
	v_and_b32_e32 v6, 3, v3
	v_and_b32_e32 v4, 0x80000000, v4
	s_delay_alu instid0(VALU_DEP_2) | instskip(NEXT) | instid1(VALU_DEP_1)
	v_clz_i32_u32_e32 v7, v6
	v_min_u32_e32 v7, 32, v7
	s_delay_alu instid0(VALU_DEP_1) | instskip(SKIP_1) | instid1(VALU_DEP_2)
	v_subrev_nc_u32_e32 v8, 29, v7
	v_sub_nc_u32_e32 v7, 30, v7
	v_lshlrev_b32_e32 v8, v8, v3
	v_bfe_u32 v3, v3, 2, 5
	s_delay_alu instid0(VALU_DEP_1) | instskip(NEXT) | instid1(VALU_DEP_3)
	v_cmp_eq_u32_e32 vcc_lo, 0, v3
	v_dual_cndmask_b32 v3, v3, v7 :: v_dual_and_b32 v8, 3, v8
	s_delay_alu instid0(VALU_DEP_1) | instskip(NEXT) | instid1(VALU_DEP_2)
	v_cndmask_b32_e32 v6, v6, v8, vcc_lo
	v_lshl_add_u32 v3, v3, 23, 0x37800000
	s_delay_alu instid0(VALU_DEP_2) | instskip(NEXT) | instid1(VALU_DEP_1)
	v_lshlrev_b32_e32 v6, 21, v6
	v_or3_b32 v3, v4, v3, v6
	s_delay_alu instid0(VALU_DEP_1)
	v_cvt_i32_f32_e32 v3, v3
.LBB457_448:
	s_or_b32 exec_lo, exec_lo, s22
	s_mov_b32 s2, 0
	s_branch .LBB457_454
.LBB457_449:
	s_mov_b32 s22, -1
                                        ; implicit-def: $vgpr3
	s_branch .LBB457_460
.LBB457_450:
	s_or_saveexec_b32 s22, s22
	v_mov_b32_e32 v3, s23
	s_xor_b32 exec_lo, exec_lo, s22
	s_cbranch_execz .LBB457_435
.LBB457_451:
	v_cmp_ne_u16_e32 vcc_lo, 0, v4
	v_mov_b32_e32 v3, 0
	s_and_not1_b32 s2, s2, exec_lo
	s_and_b32 s23, vcc_lo, exec_lo
	s_delay_alu instid0(SALU_CYCLE_1)
	s_or_b32 s2, s2, s23
	s_or_b32 exec_lo, exec_lo, s22
	s_and_saveexec_b32 s22, s2
	s_cbranch_execnz .LBB457_436
	s_branch .LBB457_437
.LBB457_452:
	s_mov_b32 s2, -1
                                        ; implicit-def: $vgpr3
	s_branch .LBB457_457
.LBB457_453:
	s_mov_b32 s2, -1
                                        ; implicit-def: $vgpr3
.LBB457_454:
	s_delay_alu instid0(SALU_CYCLE_1)
	s_and_b32 vcc_lo, exec_lo, s2
	s_cbranch_vccz .LBB457_456
; %bb.455:
	global_load_u8 v3, v[1:2], off
	s_waitcnt vmcnt(0)
	v_lshlrev_b32_e32 v3, 24, v3
	s_delay_alu instid0(VALU_DEP_1) | instskip(NEXT) | instid1(VALU_DEP_1)
	v_and_b32_e32 v4, 0x7f000000, v3
	v_clz_i32_u32_e32 v6, v4
	v_add_nc_u32_e32 v8, 0x1000000, v4
	v_cmp_ne_u32_e32 vcc_lo, 0, v4
	s_delay_alu instid0(VALU_DEP_3) | instskip(NEXT) | instid1(VALU_DEP_1)
	v_min_u32_e32 v6, 32, v6
	v_sub_nc_u32_e64 v6, v6, 4 clamp
	s_delay_alu instid0(VALU_DEP_1) | instskip(SKIP_1) | instid1(VALU_DEP_2)
	v_lshlrev_b32_e32 v7, v6, v4
	v_lshlrev_b32_e32 v6, 23, v6
	v_lshrrev_b32_e32 v7, 4, v7
	s_delay_alu instid0(VALU_DEP_1) | instskip(SKIP_1) | instid1(VALU_DEP_2)
	v_sub_nc_u32_e32 v6, v7, v6
	v_ashrrev_i32_e32 v7, 8, v8
	v_add_nc_u32_e32 v6, 0x3c000000, v6
	s_delay_alu instid0(VALU_DEP_1) | instskip(NEXT) | instid1(VALU_DEP_1)
	v_and_or_b32 v6, 0x7f800000, v7, v6
	v_cndmask_b32_e32 v4, 0, v6, vcc_lo
	s_delay_alu instid0(VALU_DEP_1) | instskip(NEXT) | instid1(VALU_DEP_1)
	v_and_or_b32 v3, 0x80000000, v3, v4
	v_cvt_i32_f32_e32 v3, v3
.LBB457_456:
	s_mov_b32 s2, 0
.LBB457_457:
	s_delay_alu instid0(SALU_CYCLE_1)
	s_and_not1_b32 vcc_lo, exec_lo, s2
	s_cbranch_vccnz .LBB457_459
; %bb.458:
	global_load_u8 v3, v[1:2], off
	s_waitcnt vmcnt(0)
	v_lshlrev_b32_e32 v4, 25, v3
	v_lshlrev_b16 v3, 8, v3
	s_delay_alu instid0(VALU_DEP_2) | instskip(NEXT) | instid1(VALU_DEP_2)
	v_lshrrev_b32_e32 v6, 4, v4
	v_and_or_b32 v7, 0x7f00, v3, 0.5
	v_cmp_gt_u32_e32 vcc_lo, 0x8000000, v4
	v_bfe_i32 v3, v3, 0, 16
	s_delay_alu instid0(VALU_DEP_4) | instskip(NEXT) | instid1(VALU_DEP_1)
	v_or_b32_e32 v6, 0x70000000, v6
	v_dual_add_f32 v7, -0.5, v7 :: v_dual_mul_f32 v6, 0x7800000, v6
	s_delay_alu instid0(VALU_DEP_1) | instskip(NEXT) | instid1(VALU_DEP_1)
	v_cndmask_b32_e32 v4, v6, v7, vcc_lo
	v_and_or_b32 v3, 0x80000000, v3, v4
	s_delay_alu instid0(VALU_DEP_1)
	v_cvt_i32_f32_e32 v3, v3
.LBB457_459:
	s_mov_b32 s22, 0
	s_mov_b32 s2, -1
.LBB457_460:
	s_and_not1_b32 vcc_lo, exec_lo, s22
	s_cbranch_vccnz .LBB457_473
; %bb.461:
	v_cmp_gt_i16_e64 s22, s31, 14
	s_delay_alu instid0(VALU_DEP_1)
	s_and_b32 vcc_lo, exec_lo, s22
	s_cbranch_vccz .LBB457_464
; %bb.462:
	v_cmp_eq_u16_e64 s3, s31, 15
	s_delay_alu instid0(VALU_DEP_1)
	s_and_b32 vcc_lo, exec_lo, s3
	s_cbranch_vccz .LBB457_467
; %bb.463:
	global_load_u16 v3, v[1:2], off
	s_mov_b32 s2, -1
	s_mov_b32 s3, 0
	s_waitcnt vmcnt(0)
	v_lshlrev_b32_e32 v3, 16, v3
	s_delay_alu instid0(VALU_DEP_1)
	v_cvt_i32_f32_e32 v3, v3
	s_branch .LBB457_468
.LBB457_464:
	s_mov_b32 s22, -1
                                        ; implicit-def: $vgpr3
	s_branch .LBB457_469
.LBB457_465:
	s_or_saveexec_b32 s22, s22
	v_mov_b32_e32 v3, s23
	s_xor_b32 exec_lo, exec_lo, s22
	s_cbranch_execz .LBB457_446
.LBB457_466:
	v_cmp_ne_u16_e32 vcc_lo, 0, v4
	v_mov_b32_e32 v3, 0
	s_and_not1_b32 s2, s2, exec_lo
	s_and_b32 s23, vcc_lo, exec_lo
	s_delay_alu instid0(SALU_CYCLE_1)
	s_or_b32 s2, s2, s23
	s_or_b32 exec_lo, exec_lo, s22
	s_and_saveexec_b32 s22, s2
	s_cbranch_execnz .LBB457_447
	s_branch .LBB457_448
.LBB457_467:
	s_mov_b32 s3, -1
                                        ; implicit-def: $vgpr3
.LBB457_468:
	s_mov_b32 s22, 0
.LBB457_469:
	s_delay_alu instid0(SALU_CYCLE_1)
	s_and_b32 vcc_lo, exec_lo, s22
	s_cbranch_vccz .LBB457_473
; %bb.470:
	v_cmp_eq_u16_e64 s3, s31, 11
	s_delay_alu instid0(VALU_DEP_1)
	s_and_b32 vcc_lo, exec_lo, s3
	s_cbranch_vccz .LBB457_472
; %bb.471:
	global_load_u8 v3, v[1:2], off
	s_mov_b32 s3, 0
	s_mov_b32 s2, -1
	s_waitcnt vmcnt(0)
	v_cmp_ne_u16_e32 vcc_lo, 0, v3
	v_cndmask_b32_e64 v3, 0, 1, vcc_lo
	s_branch .LBB457_473
.LBB457_472:
	s_mov_b32 s3, -1
                                        ; implicit-def: $vgpr3
.LBB457_473:
	s_branch .LBB457_282
.LBB457_474:
	v_cmp_lt_i16_e64 s2, s31, 5
	s_delay_alu instid0(VALU_DEP_1)
	s_and_b32 vcc_lo, exec_lo, s2
	s_cbranch_vccnz .LBB457_479
; %bb.475:
	v_cmp_lt_i16_e64 s2, s31, 8
	s_delay_alu instid0(VALU_DEP_1)
	s_and_b32 vcc_lo, exec_lo, s2
	s_cbranch_vccnz .LBB457_480
; %bb.476:
	;; [unrolled: 5-line block ×3, first 2 shown]
	v_cmp_gt_i16_e64 s2, s31, 9
	s_delay_alu instid0(VALU_DEP_1)
	s_and_b32 vcc_lo, exec_lo, s2
	s_cbranch_vccz .LBB457_482
; %bb.478:
	global_load_b64 v[3:4], v[1:2], off
	s_mov_b32 s2, 0
	s_waitcnt vmcnt(0)
	v_cvt_i32_f64_e32 v3, v[3:4]
	s_branch .LBB457_483
.LBB457_479:
	s_mov_b32 s2, -1
                                        ; implicit-def: $vgpr3
	s_branch .LBB457_501
.LBB457_480:
	s_mov_b32 s2, -1
                                        ; implicit-def: $vgpr3
	s_branch .LBB457_489
.LBB457_481:
	s_mov_b32 s2, -1
                                        ; implicit-def: $vgpr3
	s_branch .LBB457_486
.LBB457_482:
	s_mov_b32 s2, -1
                                        ; implicit-def: $vgpr3
.LBB457_483:
	s_delay_alu instid0(SALU_CYCLE_1)
	s_and_not1_b32 vcc_lo, exec_lo, s2
	s_cbranch_vccnz .LBB457_485
; %bb.484:
	global_load_b32 v3, v[1:2], off
	s_waitcnt vmcnt(0)
	v_cvt_i32_f32_e32 v3, v3
.LBB457_485:
	s_mov_b32 s2, 0
.LBB457_486:
	s_delay_alu instid0(SALU_CYCLE_1)
	s_and_not1_b32 vcc_lo, exec_lo, s2
	s_cbranch_vccnz .LBB457_488
; %bb.487:
	global_load_b32 v3, v[1:2], off
	s_waitcnt vmcnt(0)
	v_cvt_i16_f16_e32 v3, v3
.LBB457_488:
	s_mov_b32 s2, 0
.LBB457_489:
	s_delay_alu instid0(SALU_CYCLE_1)
	s_and_not1_b32 vcc_lo, exec_lo, s2
	s_cbranch_vccnz .LBB457_500
; %bb.490:
	v_cmp_lt_i16_e64 s2, s31, 6
	s_delay_alu instid0(VALU_DEP_1)
	s_and_b32 vcc_lo, exec_lo, s2
	s_cbranch_vccnz .LBB457_493
; %bb.491:
	v_cmp_gt_i16_e64 s2, s31, 6
	s_delay_alu instid0(VALU_DEP_1)
	s_and_b32 vcc_lo, exec_lo, s2
	s_cbranch_vccz .LBB457_494
; %bb.492:
	global_load_b64 v[3:4], v[1:2], off
	s_mov_b32 s2, 0
	s_waitcnt vmcnt(0)
	v_cvt_i32_f64_e32 v3, v[3:4]
	s_branch .LBB457_495
.LBB457_493:
	s_mov_b32 s2, -1
                                        ; implicit-def: $vgpr3
	s_branch .LBB457_498
.LBB457_494:
	s_mov_b32 s2, -1
                                        ; implicit-def: $vgpr3
.LBB457_495:
	s_delay_alu instid0(SALU_CYCLE_1)
	s_and_not1_b32 vcc_lo, exec_lo, s2
	s_cbranch_vccnz .LBB457_497
; %bb.496:
	global_load_b32 v3, v[1:2], off
	s_waitcnt vmcnt(0)
	v_cvt_i32_f32_e32 v3, v3
.LBB457_497:
	s_mov_b32 s2, 0
.LBB457_498:
	s_delay_alu instid0(SALU_CYCLE_1)
	s_and_not1_b32 vcc_lo, exec_lo, s2
	s_cbranch_vccnz .LBB457_500
; %bb.499:
	global_load_u16 v3, v[1:2], off
	s_waitcnt vmcnt(0)
	v_cvt_i16_f16_e32 v3, v3
.LBB457_500:
	s_mov_b32 s2, 0
.LBB457_501:
	s_delay_alu instid0(SALU_CYCLE_1)
	s_and_not1_b32 vcc_lo, exec_lo, s2
	s_cbranch_vccnz .LBB457_521
; %bb.502:
	v_cmp_lt_i16_e64 s2, s31, 2
	s_delay_alu instid0(VALU_DEP_1)
	s_and_b32 vcc_lo, exec_lo, s2
	s_cbranch_vccnz .LBB457_506
; %bb.503:
	v_cmp_lt_i16_e64 s2, s31, 3
	s_delay_alu instid0(VALU_DEP_1)
	s_and_b32 vcc_lo, exec_lo, s2
	s_cbranch_vccnz .LBB457_507
; %bb.504:
	v_cmp_gt_i16_e64 s2, s31, 3
	s_delay_alu instid0(VALU_DEP_1)
	s_and_b32 vcc_lo, exec_lo, s2
	s_cbranch_vccz .LBB457_508
; %bb.505:
	global_load_b64 v[3:4], v[1:2], off
	s_mov_b32 s2, 0
	s_branch .LBB457_509
.LBB457_506:
	s_mov_b32 s2, -1
                                        ; implicit-def: $vgpr3
	s_branch .LBB457_515
.LBB457_507:
	s_mov_b32 s2, -1
                                        ; implicit-def: $vgpr3
	s_branch .LBB457_512
.LBB457_508:
	s_mov_b32 s2, -1
                                        ; implicit-def: $vgpr3
.LBB457_509:
	s_delay_alu instid0(SALU_CYCLE_1)
	s_and_not1_b32 vcc_lo, exec_lo, s2
	s_cbranch_vccnz .LBB457_511
; %bb.510:
	global_load_b32 v3, v[1:2], off
.LBB457_511:
	s_mov_b32 s2, 0
.LBB457_512:
	s_delay_alu instid0(SALU_CYCLE_1)
	s_and_not1_b32 vcc_lo, exec_lo, s2
	s_cbranch_vccnz .LBB457_514
; %bb.513:
	global_load_u16 v3, v[1:2], off
.LBB457_514:
	s_mov_b32 s2, 0
.LBB457_515:
	s_delay_alu instid0(SALU_CYCLE_1)
	s_and_not1_b32 vcc_lo, exec_lo, s2
	s_cbranch_vccnz .LBB457_521
; %bb.516:
	v_cmp_gt_i16_e64 s2, s31, 0
	s_delay_alu instid0(VALU_DEP_1)
	s_and_b32 vcc_lo, exec_lo, s2
	s_mov_b32 s2, 0
	s_cbranch_vccz .LBB457_518
; %bb.517:
	global_load_i8 v3, v[1:2], off
	s_branch .LBB457_519
.LBB457_518:
	s_mov_b32 s2, -1
                                        ; implicit-def: $vgpr3
.LBB457_519:
	s_delay_alu instid0(SALU_CYCLE_1)
	s_and_not1_b32 vcc_lo, exec_lo, s2
	s_cbranch_vccnz .LBB457_521
; %bb.520:
	global_load_u8 v3, v[1:2], off
.LBB457_521:
	s_branch .LBB457_283
.LBB457_522:
	s_mov_b32 s22, 0
	s_mov_b32 s2, s37
.LBB457_523:
                                        ; implicit-def: $vgpr5
.LBB457_524:
	s_and_not1_b32 s23, s37, exec_lo
	s_and_b32 s2, s2, exec_lo
	s_and_not1_b32 s40, s38, exec_lo
	s_and_b32 s3, s3, exec_lo
	s_or_b32 s41, s23, s2
	s_or_b32 s40, s40, s3
	s_or_not1_b32 s2, s22, exec_lo
.LBB457_525:
	s_or_b32 exec_lo, exec_lo, s42
	s_mov_b32 s3, 0
	s_mov_b32 s23, 0
	;; [unrolled: 1-line block ×3, first 2 shown]
                                        ; implicit-def: $vgpr1_vgpr2
                                        ; implicit-def: $vgpr0
                                        ; implicit-def: $vgpr3
	s_and_saveexec_b32 s42, s2
	s_cbranch_execz .LBB457_889
; %bb.526:
	s_mov_b32 s45, -1
	s_mov_b32 s22, s40
	s_mov_b32 s23, s41
	s_mov_b32 s43, exec_lo
	v_cmpx_gt_i32_e64 s34, v5
	s_cbranch_execz .LBB457_794
; %bb.527:
	s_and_not1_b32 vcc_lo, exec_lo, s27
	s_cbranch_vccnz .LBB457_532
; %bb.528:
	v_dual_mov_b32 v0, 0 :: v_dual_mov_b32 v1, 0
	s_and_not1_b32 vcc_lo, exec_lo, s36
	s_mov_b32 s44, 0
	s_cbranch_vccnz .LBB457_537
; %bb.529:
	v_mov_b32_e32 v0, 0
	s_add_i32 s46, s35, 1
	s_cmp_eq_u32 s25, 2
	s_mov_b32 s45, 0
	s_cbranch_scc1 .LBB457_533
; %bb.530:
	v_dual_mov_b32 v1, 0 :: v_dual_mov_b32 v0, 0
	v_mov_b32_e32 v2, v5
	s_and_b32 s45, s46, 28
	s_mov_b32 s47, 0
	s_mov_b64 s[2:3], s[20:21]
	s_mov_b64 s[22:23], s[16:17]
.LBB457_531:                            ; =>This Inner Loop Header: Depth=1
	s_clause 0x1
	s_load_b256 s[48:55], s[22:23], 0x4
	s_load_b128 s[64:67], s[22:23], 0x24
	s_load_b256 s[56:63], s[2:3], 0x0
	s_add_u32 s22, s22, 48
	s_addc_u32 s23, s23, 0
	s_add_i32 s47, s47, 4
	s_add_u32 s2, s2, 32
	s_addc_u32 s3, s3, 0
	s_cmp_eq_u32 s45, s47
	s_waitcnt vmcnt(0) lgkmcnt(0)
	v_mul_hi_u32 v3, s49, v2
	s_delay_alu instid0(VALU_DEP_1) | instskip(NEXT) | instid1(VALU_DEP_1)
	v_add_nc_u32_e32 v3, v2, v3
	v_lshrrev_b32_e32 v3, s50, v3
	s_delay_alu instid0(VALU_DEP_1) | instskip(SKIP_1) | instid1(VALU_DEP_2)
	v_mul_hi_u32 v4, s52, v3
	v_mul_lo_u32 v7, v3, s48
	v_add_nc_u32_e32 v4, v3, v4
	s_delay_alu instid0(VALU_DEP_2) | instskip(NEXT) | instid1(VALU_DEP_2)
	v_sub_nc_u32_e32 v2, v2, v7
	v_lshrrev_b32_e32 v4, s53, v4
	s_delay_alu instid0(VALU_DEP_2) | instskip(SKIP_1) | instid1(VALU_DEP_3)
	v_mul_lo_u32 v7, v2, s56
	v_mul_lo_u32 v9, v2, s57
	v_mul_hi_u32 v6, s55, v4
	s_delay_alu instid0(VALU_DEP_1) | instskip(NEXT) | instid1(VALU_DEP_1)
	v_add_nc_u32_e32 v6, v4, v6
	v_lshrrev_b32_e32 v6, s64, v6
	s_delay_alu instid0(VALU_DEP_1) | instskip(SKIP_1) | instid1(VALU_DEP_2)
	v_mul_hi_u32 v8, s66, v6
	v_mul_lo_u32 v10, v6, s54
	v_add_nc_u32_e32 v2, v6, v8
	v_mul_lo_u32 v8, v4, s51
	s_delay_alu instid0(VALU_DEP_3) | instskip(NEXT) | instid1(VALU_DEP_3)
	v_sub_nc_u32_e32 v4, v4, v10
	v_lshrrev_b32_e32 v2, s67, v2
	s_delay_alu instid0(VALU_DEP_2) | instskip(SKIP_2) | instid1(VALU_DEP_4)
	v_mul_lo_u32 v10, v4, s60
	v_mul_lo_u32 v4, v4, s61
	v_sub_nc_u32_e32 v3, v3, v8
	v_mul_lo_u32 v11, v2, s65
	s_delay_alu instid0(VALU_DEP_2) | instskip(SKIP_1) | instid1(VALU_DEP_3)
	v_mul_lo_u32 v8, v3, s58
	v_mul_lo_u32 v3, v3, s59
	v_sub_nc_u32_e32 v6, v6, v11
	s_delay_alu instid0(VALU_DEP_3) | instskip(NEXT) | instid1(VALU_DEP_2)
	v_add3_u32 v0, v7, v0, v8
	v_mul_lo_u32 v11, v6, s62
	v_mul_lo_u32 v6, v6, s63
	v_add3_u32 v1, v9, v1, v3
	s_delay_alu instid0(VALU_DEP_3) | instskip(NEXT) | instid1(VALU_DEP_2)
	v_add3_u32 v0, v10, v0, v11
	v_add3_u32 v1, v4, v1, v6
	s_cbranch_scc0 .LBB457_531
	s_branch .LBB457_534
.LBB457_532:
	s_mov_b32 s44, -1
                                        ; implicit-def: $vgpr0
                                        ; implicit-def: $vgpr1
	s_branch .LBB457_537
.LBB457_533:
	v_dual_mov_b32 v2, v5 :: v_dual_mov_b32 v1, 0
.LBB457_534:
	s_and_b32 s46, s46, 3
	s_delay_alu instid0(SALU_CYCLE_1)
	s_cmp_eq_u32 s46, 0
	s_cbranch_scc1 .LBB457_537
; %bb.535:
	s_lshl_b32 s2, s45, 3
	s_mul_i32 s22, s45, 12
	s_add_u32 s2, s2, s16
	s_addc_u32 s3, s17, 0
	s_add_u32 s2, s2, 0xc4
	s_addc_u32 s3, s3, 0
	;; [unrolled: 2-line block ×3, first 2 shown]
	.p2align	6
.LBB457_536:                            ; =>This Inner Loop Header: Depth=1
	s_clause 0x1
	s_load_b64 s[48:49], s[22:23], 0x4
	s_load_b32 s45, s[22:23], 0xc
	s_load_b64 s[50:51], s[2:3], 0x0
	s_add_u32 s22, s22, 12
	s_addc_u32 s23, s23, 0
	s_add_u32 s2, s2, 8
	s_addc_u32 s3, s3, 0
	s_add_i32 s46, s46, -1
	s_delay_alu instid0(SALU_CYCLE_1) | instskip(SKIP_2) | instid1(VALU_DEP_1)
	s_cmp_lg_u32 s46, 0
	s_waitcnt vmcnt(0) lgkmcnt(0)
	v_mul_hi_u32 v3, s49, v2
	v_add_nc_u32_e32 v3, v2, v3
	s_delay_alu instid0(VALU_DEP_1) | instskip(NEXT) | instid1(VALU_DEP_1)
	v_lshrrev_b32_e32 v8, s45, v3
	v_mul_lo_u32 v3, v8, s48
	s_delay_alu instid0(VALU_DEP_1) | instskip(NEXT) | instid1(VALU_DEP_1)
	v_sub_nc_u32_e32 v2, v2, v3
	v_mad_u64_u32 v[3:4], null, v2, s50, v[0:1]
	v_mad_u64_u32 v[6:7], null, v2, s51, v[1:2]
	v_mov_b32_e32 v2, v8
	s_delay_alu instid0(VALU_DEP_2)
	v_dual_mov_b32 v0, v3 :: v_dual_mov_b32 v1, v6
	s_cbranch_scc1 .LBB457_536
.LBB457_537:
	s_and_not1_b32 vcc_lo, exec_lo, s44
	s_cbranch_vccnz .LBB457_540
; %bb.538:
	v_mul_hi_u32 v0, s9, v5
	s_and_not1_b32 vcc_lo, exec_lo, s33
	s_delay_alu instid0(VALU_DEP_1) | instskip(NEXT) | instid1(VALU_DEP_1)
	v_add_nc_u32_e32 v0, v5, v0
	v_lshrrev_b32_e32 v2, s10, v0
	s_delay_alu instid0(VALU_DEP_1) | instskip(NEXT) | instid1(VALU_DEP_1)
	v_mul_lo_u32 v0, v2, s8
	v_sub_nc_u32_e32 v1, v5, v0
	s_delay_alu instid0(VALU_DEP_1)
	v_mul_lo_u32 v0, v1, s12
	v_mul_lo_u32 v1, v1, s13
	s_cbranch_vccnz .LBB457_540
; %bb.539:
	s_waitcnt vmcnt(0)
	v_mul_hi_u32 v3, s18, v2
	s_delay_alu instid0(VALU_DEP_1) | instskip(NEXT) | instid1(VALU_DEP_1)
	v_add_nc_u32_e32 v3, v2, v3
	v_lshrrev_b32_e32 v3, s19, v3
	s_delay_alu instid0(VALU_DEP_1) | instskip(NEXT) | instid1(VALU_DEP_1)
	v_mul_lo_u32 v3, v3, s11
	v_sub_nc_u32_e32 v6, v2, v3
	s_delay_alu instid0(VALU_DEP_1) | instskip(NEXT) | instid1(VALU_DEP_1)
	v_mad_u64_u32 v[2:3], null, v6, s14, v[0:1]
	v_mad_u64_u32 v[3:4], null, v6, s15, v[1:2]
	s_delay_alu instid0(VALU_DEP_1)
	v_dual_mov_b32 v0, v2 :: v_dual_mov_b32 v1, v3
.LBB457_540:
	v_cmp_lt_i16_e64 s2, s31, 11
	s_delay_alu instid0(VALU_DEP_2) | instskip(NEXT) | instid1(VALU_DEP_1)
	v_add_co_u32 v1, s3, s6, v1
	v_add_co_ci_u32_e64 v2, null, s7, 0, s3
	s_delay_alu instid0(VALU_DEP_3)
	s_and_b32 vcc_lo, exec_lo, s2
	s_mov_b32 s2, 0
	s_cbranch_vccnz .LBB457_547
; %bb.541:
	v_cmp_gt_i16_e64 s2, s31, 25
	s_delay_alu instid0(VALU_DEP_1)
	s_and_b32 vcc_lo, exec_lo, s2
	s_cbranch_vccz .LBB457_548
; %bb.542:
	v_cmp_gt_i16_e64 s2, s31, 28
	s_delay_alu instid0(VALU_DEP_1)
	s_and_b32 vcc_lo, exec_lo, s2
	s_cbranch_vccz .LBB457_549
	;; [unrolled: 5-line block ×4, first 2 shown]
; %bb.545:
	v_cmp_eq_u16_e64 s2, s31, 46
	s_mov_b32 s22, 0
	s_delay_alu instid0(VALU_DEP_1)
	s_and_b32 vcc_lo, exec_lo, s2
	s_cbranch_vccz .LBB457_556
; %bb.546:
	global_load_b32 v3, v[1:2], off
	s_mov_b32 s2, -1
	s_mov_b32 s3, 0
	s_waitcnt vmcnt(0)
	v_lshlrev_b32_e32 v3, 16, v3
	s_delay_alu instid0(VALU_DEP_1)
	v_cvt_i32_f32_e32 v3, v3
	s_branch .LBB457_558
.LBB457_547:
	s_mov_b32 s22, -1
	s_mov_b32 s3, s40
                                        ; implicit-def: $vgpr3
	s_branch .LBB457_619
.LBB457_548:
	s_mov_b32 s22, -1
	s_mov_b32 s2, 0
	s_mov_b32 s3, s40
                                        ; implicit-def: $vgpr3
	s_branch .LBB457_585
.LBB457_549:
	s_mov_b32 s22, -1
	s_mov_b32 s2, 0
	s_mov_b32 s3, s40
                                        ; implicit-def: $vgpr3
	s_branch .LBB457_568
.LBB457_550:
	s_mov_b32 s22, -1
	s_mov_b32 s2, 0
	s_mov_b32 s3, s40
                                        ; implicit-def: $vgpr3
	s_branch .LBB457_563
.LBB457_551:
	s_or_saveexec_b32 s40, s40
                                        ; implicit-def: $sgpr41
	s_delay_alu instid0(SALU_CYCLE_1)
	s_xor_b32 exec_lo, exec_lo, s40
	s_cbranch_execz .LBB457_366
.LBB457_552:
	v_add_f32_e64 v6, 0x46000000, |v3|
	s_and_not1_b32 s23, s23, exec_lo
	s_mov_b32 s41, 0
	s_delay_alu instid0(VALU_DEP_1) | instskip(NEXT) | instid1(VALU_DEP_1)
	v_and_b32_e32 v6, 0xff, v6
	v_cmp_ne_u32_e32 vcc_lo, 0, v6
	s_and_b32 s43, vcc_lo, exec_lo
	s_delay_alu instid0(SALU_CYCLE_1)
	s_or_b32 s23, s23, s43
	s_or_b32 exec_lo, exec_lo, s40
	v_mov_b32_e32 v7, s41
	s_and_saveexec_b32 s40, s23
	s_cbranch_execnz .LBB457_367
	s_branch .LBB457_368
.LBB457_553:
	s_mov_b32 s22, -1
	s_mov_b32 s2, 0
	s_mov_b32 s3, s40
	s_branch .LBB457_557
.LBB457_554:
	s_or_saveexec_b32 s40, s40
                                        ; implicit-def: $sgpr41
	s_delay_alu instid0(SALU_CYCLE_1)
	s_xor_b32 exec_lo, exec_lo, s40
	s_cbranch_execz .LBB457_379
.LBB457_555:
	v_add_f32_e64 v6, 0x42800000, |v3|
	s_and_not1_b32 s23, s23, exec_lo
	s_mov_b32 s41, 0
	s_delay_alu instid0(VALU_DEP_1) | instskip(NEXT) | instid1(VALU_DEP_1)
	v_and_b32_e32 v6, 0xff, v6
	v_cmp_ne_u32_e32 vcc_lo, 0, v6
	s_and_b32 s43, vcc_lo, exec_lo
	s_delay_alu instid0(SALU_CYCLE_1)
	s_or_b32 s23, s23, s43
	s_or_b32 exec_lo, exec_lo, s40
	v_mov_b32_e32 v7, s41
	s_and_saveexec_b32 s40, s23
	s_cbranch_execnz .LBB457_380
	s_branch .LBB457_381
.LBB457_556:
	s_mov_b32 s3, -1
	s_mov_b32 s2, 0
.LBB457_557:
                                        ; implicit-def: $vgpr3
.LBB457_558:
	s_and_b32 vcc_lo, exec_lo, s22
	s_cbranch_vccz .LBB457_562
; %bb.559:
	v_cmp_eq_u16_e64 s3, s31, 44
	s_delay_alu instid0(VALU_DEP_1)
	s_and_b32 vcc_lo, exec_lo, s3
	s_cbranch_vccz .LBB457_561
; %bb.560:
	global_load_u8 v3, v[1:2], off
	s_mov_b32 s3, 0
	s_mov_b32 s2, -1
	s_waitcnt vmcnt(0)
	v_lshlrev_b32_e32 v4, 23, v3
	v_cmp_ne_u32_e32 vcc_lo, 0, v3
	s_delay_alu instid0(VALU_DEP_2) | instskip(NEXT) | instid1(VALU_DEP_1)
	v_cvt_i32_f32_e32 v4, v4
	v_cndmask_b32_e32 v3, 0, v4, vcc_lo
	s_branch .LBB457_562
.LBB457_561:
	s_mov_b32 s3, -1
                                        ; implicit-def: $vgpr3
.LBB457_562:
	s_mov_b32 s22, 0
.LBB457_563:
	s_delay_alu instid0(SALU_CYCLE_1)
	s_and_b32 vcc_lo, exec_lo, s22
	s_cbranch_vccz .LBB457_567
; %bb.564:
	v_cmp_eq_u16_e64 s3, s31, 29
	s_delay_alu instid0(VALU_DEP_1)
	s_and_b32 vcc_lo, exec_lo, s3
	s_cbranch_vccz .LBB457_566
; %bb.565:
	global_load_b64 v[3:4], v[1:2], off
	s_mov_b32 s2, -1
	s_mov_b32 s3, 0
	s_branch .LBB457_567
.LBB457_566:
	s_mov_b32 s3, -1
                                        ; implicit-def: $vgpr3
.LBB457_567:
	s_mov_b32 s22, 0
.LBB457_568:
	s_delay_alu instid0(SALU_CYCLE_1)
	s_and_b32 vcc_lo, exec_lo, s22
	s_cbranch_vccz .LBB457_584
; %bb.569:
	v_cmp_lt_i16_e64 s2, s31, 27
	s_delay_alu instid0(VALU_DEP_1)
	s_and_b32 vcc_lo, exec_lo, s2
	s_cbranch_vccnz .LBB457_572
; %bb.570:
	v_cmp_gt_i16_e64 s2, s31, 27
	s_delay_alu instid0(VALU_DEP_1)
	s_and_b32 vcc_lo, exec_lo, s2
	s_cbranch_vccz .LBB457_573
; %bb.571:
	global_load_b32 v3, v[1:2], off
	s_mov_b32 s2, 0
	s_branch .LBB457_574
.LBB457_572:
	s_mov_b32 s2, -1
                                        ; implicit-def: $vgpr3
	s_branch .LBB457_577
.LBB457_573:
	s_mov_b32 s2, -1
                                        ; implicit-def: $vgpr3
.LBB457_574:
	s_delay_alu instid0(SALU_CYCLE_1)
	s_and_not1_b32 vcc_lo, exec_lo, s2
	s_cbranch_vccnz .LBB457_576
; %bb.575:
	global_load_u16 v3, v[1:2], off
.LBB457_576:
	s_mov_b32 s2, 0
.LBB457_577:
	s_delay_alu instid0(SALU_CYCLE_1)
	s_and_not1_b32 vcc_lo, exec_lo, s2
	s_cbranch_vccnz .LBB457_583
; %bb.578:
	global_load_u8 v4, v[1:2], off
	s_mov_b32 s2, 0
	s_mov_b32 s22, exec_lo
                                        ; implicit-def: $sgpr23
	s_waitcnt vmcnt(0)
	v_cmpx_lt_i16_e32 0x7f, v4
	s_xor_b32 s22, exec_lo, s22
	s_cbranch_execz .LBB457_595
; %bb.579:
	v_cmp_ne_u16_e32 vcc_lo, 0x80, v4
	s_mov_b32 s23, 0
	s_and_b32 s2, vcc_lo, exec_lo
	s_or_saveexec_b32 s22, s22
	v_mov_b32_e32 v3, s23
	s_xor_b32 exec_lo, exec_lo, s22
	s_cbranch_execnz .LBB457_596
.LBB457_580:
	s_or_b32 exec_lo, exec_lo, s22
	s_and_saveexec_b32 s22, s2
	s_cbranch_execz .LBB457_582
.LBB457_581:
	v_and_b32_e32 v3, 0xffff, v4
	v_lshlrev_b32_e32 v4, 24, v4
	s_delay_alu instid0(VALU_DEP_2) | instskip(NEXT) | instid1(VALU_DEP_2)
	v_and_b32_e32 v6, 7, v3
	v_and_b32_e32 v4, 0x80000000, v4
	s_delay_alu instid0(VALU_DEP_2) | instskip(NEXT) | instid1(VALU_DEP_1)
	v_clz_i32_u32_e32 v7, v6
	v_min_u32_e32 v7, 32, v7
	s_delay_alu instid0(VALU_DEP_1) | instskip(SKIP_1) | instid1(VALU_DEP_2)
	v_subrev_nc_u32_e32 v8, 28, v7
	v_sub_nc_u32_e32 v7, 29, v7
	v_lshlrev_b32_e32 v8, v8, v3
	v_bfe_u32 v3, v3, 3, 4
	s_delay_alu instid0(VALU_DEP_1) | instskip(NEXT) | instid1(VALU_DEP_3)
	v_cmp_eq_u32_e32 vcc_lo, 0, v3
	v_dual_cndmask_b32 v3, v3, v7 :: v_dual_and_b32 v8, 7, v8
	s_delay_alu instid0(VALU_DEP_1) | instskip(NEXT) | instid1(VALU_DEP_2)
	v_cndmask_b32_e32 v6, v6, v8, vcc_lo
	v_lshl_add_u32 v3, v3, 23, 0x3b800000
	s_delay_alu instid0(VALU_DEP_2) | instskip(NEXT) | instid1(VALU_DEP_1)
	v_lshlrev_b32_e32 v6, 20, v6
	v_or3_b32 v3, v4, v3, v6
	s_delay_alu instid0(VALU_DEP_1)
	v_cvt_i32_f32_e32 v3, v3
.LBB457_582:
	s_or_b32 exec_lo, exec_lo, s22
.LBB457_583:
	s_mov_b32 s2, -1
.LBB457_584:
	s_mov_b32 s22, 0
.LBB457_585:
	s_delay_alu instid0(SALU_CYCLE_1)
	s_and_b32 vcc_lo, exec_lo, s22
	s_cbranch_vccz .LBB457_618
; %bb.586:
	v_cmp_gt_i16_e64 s22, s31, 22
	s_delay_alu instid0(VALU_DEP_1)
	s_and_b32 vcc_lo, exec_lo, s22
	s_cbranch_vccz .LBB457_594
; %bb.587:
	v_cmp_lt_i16_e64 s2, s31, 24
	s_delay_alu instid0(VALU_DEP_1)
	s_and_b32 vcc_lo, exec_lo, s2
	s_cbranch_vccnz .LBB457_597
; %bb.588:
	v_cmp_gt_i16_e64 s2, s31, 24
	s_delay_alu instid0(VALU_DEP_1)
	s_and_b32 vcc_lo, exec_lo, s2
	s_cbranch_vccz .LBB457_598
; %bb.589:
	global_load_u8 v4, v[1:2], off
	s_mov_b32 s2, 0
	s_mov_b32 s22, exec_lo
                                        ; implicit-def: $sgpr23
	s_waitcnt vmcnt(0)
	v_cmpx_lt_i16_e32 0x7f, v4
	s_xor_b32 s22, exec_lo, s22
	s_cbranch_execz .LBB457_610
; %bb.590:
	v_cmp_ne_u16_e32 vcc_lo, 0x80, v4
	s_mov_b32 s23, 0
	s_and_b32 s2, vcc_lo, exec_lo
	s_or_saveexec_b32 s22, s22
	v_mov_b32_e32 v3, s23
	s_xor_b32 exec_lo, exec_lo, s22
	s_cbranch_execnz .LBB457_611
.LBB457_591:
	s_or_b32 exec_lo, exec_lo, s22
	s_and_saveexec_b32 s22, s2
	s_cbranch_execz .LBB457_593
.LBB457_592:
	v_and_b32_e32 v3, 0xffff, v4
	v_lshlrev_b32_e32 v4, 24, v4
	s_delay_alu instid0(VALU_DEP_2) | instskip(NEXT) | instid1(VALU_DEP_2)
	v_and_b32_e32 v6, 3, v3
	v_and_b32_e32 v4, 0x80000000, v4
	s_delay_alu instid0(VALU_DEP_2) | instskip(NEXT) | instid1(VALU_DEP_1)
	v_clz_i32_u32_e32 v7, v6
	v_min_u32_e32 v7, 32, v7
	s_delay_alu instid0(VALU_DEP_1) | instskip(SKIP_1) | instid1(VALU_DEP_2)
	v_subrev_nc_u32_e32 v8, 29, v7
	v_sub_nc_u32_e32 v7, 30, v7
	v_lshlrev_b32_e32 v8, v8, v3
	v_bfe_u32 v3, v3, 2, 5
	s_delay_alu instid0(VALU_DEP_1) | instskip(NEXT) | instid1(VALU_DEP_3)
	v_cmp_eq_u32_e32 vcc_lo, 0, v3
	v_dual_cndmask_b32 v3, v3, v7 :: v_dual_and_b32 v8, 3, v8
	s_delay_alu instid0(VALU_DEP_1) | instskip(NEXT) | instid1(VALU_DEP_2)
	v_cndmask_b32_e32 v6, v6, v8, vcc_lo
	v_lshl_add_u32 v3, v3, 23, 0x37800000
	s_delay_alu instid0(VALU_DEP_2) | instskip(NEXT) | instid1(VALU_DEP_1)
	v_lshlrev_b32_e32 v6, 21, v6
	v_or3_b32 v3, v4, v3, v6
	s_delay_alu instid0(VALU_DEP_1)
	v_cvt_i32_f32_e32 v3, v3
.LBB457_593:
	s_or_b32 exec_lo, exec_lo, s22
	s_mov_b32 s2, 0
	s_branch .LBB457_599
.LBB457_594:
	s_mov_b32 s22, -1
                                        ; implicit-def: $vgpr3
	s_branch .LBB457_605
.LBB457_595:
	s_or_saveexec_b32 s22, s22
	v_mov_b32_e32 v3, s23
	s_xor_b32 exec_lo, exec_lo, s22
	s_cbranch_execz .LBB457_580
.LBB457_596:
	v_cmp_ne_u16_e32 vcc_lo, 0, v4
	v_mov_b32_e32 v3, 0
	s_and_not1_b32 s2, s2, exec_lo
	s_and_b32 s23, vcc_lo, exec_lo
	s_delay_alu instid0(SALU_CYCLE_1)
	s_or_b32 s2, s2, s23
	s_or_b32 exec_lo, exec_lo, s22
	s_and_saveexec_b32 s22, s2
	s_cbranch_execnz .LBB457_581
	s_branch .LBB457_582
.LBB457_597:
	s_mov_b32 s2, -1
                                        ; implicit-def: $vgpr3
	s_branch .LBB457_602
.LBB457_598:
	s_mov_b32 s2, -1
                                        ; implicit-def: $vgpr3
.LBB457_599:
	s_delay_alu instid0(SALU_CYCLE_1)
	s_and_b32 vcc_lo, exec_lo, s2
	s_cbranch_vccz .LBB457_601
; %bb.600:
	global_load_u8 v3, v[1:2], off
	s_waitcnt vmcnt(0)
	v_lshlrev_b32_e32 v3, 24, v3
	s_delay_alu instid0(VALU_DEP_1) | instskip(NEXT) | instid1(VALU_DEP_1)
	v_and_b32_e32 v4, 0x7f000000, v3
	v_clz_i32_u32_e32 v6, v4
	v_add_nc_u32_e32 v8, 0x1000000, v4
	v_cmp_ne_u32_e32 vcc_lo, 0, v4
	s_delay_alu instid0(VALU_DEP_3) | instskip(NEXT) | instid1(VALU_DEP_1)
	v_min_u32_e32 v6, 32, v6
	v_sub_nc_u32_e64 v6, v6, 4 clamp
	s_delay_alu instid0(VALU_DEP_1) | instskip(SKIP_1) | instid1(VALU_DEP_2)
	v_lshlrev_b32_e32 v7, v6, v4
	v_lshlrev_b32_e32 v6, 23, v6
	v_lshrrev_b32_e32 v7, 4, v7
	s_delay_alu instid0(VALU_DEP_1) | instskip(SKIP_1) | instid1(VALU_DEP_2)
	v_sub_nc_u32_e32 v6, v7, v6
	v_ashrrev_i32_e32 v7, 8, v8
	v_add_nc_u32_e32 v6, 0x3c000000, v6
	s_delay_alu instid0(VALU_DEP_1) | instskip(NEXT) | instid1(VALU_DEP_1)
	v_and_or_b32 v6, 0x7f800000, v7, v6
	v_cndmask_b32_e32 v4, 0, v6, vcc_lo
	s_delay_alu instid0(VALU_DEP_1) | instskip(NEXT) | instid1(VALU_DEP_1)
	v_and_or_b32 v3, 0x80000000, v3, v4
	v_cvt_i32_f32_e32 v3, v3
.LBB457_601:
	s_mov_b32 s2, 0
.LBB457_602:
	s_delay_alu instid0(SALU_CYCLE_1)
	s_and_not1_b32 vcc_lo, exec_lo, s2
	s_cbranch_vccnz .LBB457_604
; %bb.603:
	global_load_u8 v3, v[1:2], off
	s_waitcnt vmcnt(0)
	v_lshlrev_b32_e32 v4, 25, v3
	v_lshlrev_b16 v3, 8, v3
	s_delay_alu instid0(VALU_DEP_2) | instskip(NEXT) | instid1(VALU_DEP_2)
	v_lshrrev_b32_e32 v6, 4, v4
	v_and_or_b32 v7, 0x7f00, v3, 0.5
	v_cmp_gt_u32_e32 vcc_lo, 0x8000000, v4
	v_bfe_i32 v3, v3, 0, 16
	s_delay_alu instid0(VALU_DEP_4) | instskip(NEXT) | instid1(VALU_DEP_1)
	v_or_b32_e32 v6, 0x70000000, v6
	v_dual_add_f32 v7, -0.5, v7 :: v_dual_mul_f32 v6, 0x7800000, v6
	s_delay_alu instid0(VALU_DEP_1) | instskip(NEXT) | instid1(VALU_DEP_1)
	v_cndmask_b32_e32 v4, v6, v7, vcc_lo
	v_and_or_b32 v3, 0x80000000, v3, v4
	s_delay_alu instid0(VALU_DEP_1)
	v_cvt_i32_f32_e32 v3, v3
.LBB457_604:
	s_mov_b32 s22, 0
	s_mov_b32 s2, -1
.LBB457_605:
	s_and_not1_b32 vcc_lo, exec_lo, s22
	s_cbranch_vccnz .LBB457_618
; %bb.606:
	v_cmp_gt_i16_e64 s22, s31, 14
	s_delay_alu instid0(VALU_DEP_1)
	s_and_b32 vcc_lo, exec_lo, s22
	s_cbranch_vccz .LBB457_609
; %bb.607:
	v_cmp_eq_u16_e64 s3, s31, 15
	s_delay_alu instid0(VALU_DEP_1)
	s_and_b32 vcc_lo, exec_lo, s3
	s_cbranch_vccz .LBB457_612
; %bb.608:
	global_load_u16 v3, v[1:2], off
	s_mov_b32 s2, -1
	s_mov_b32 s3, 0
	s_waitcnt vmcnt(0)
	v_lshlrev_b32_e32 v3, 16, v3
	s_delay_alu instid0(VALU_DEP_1)
	v_cvt_i32_f32_e32 v3, v3
	s_branch .LBB457_613
.LBB457_609:
	s_mov_b32 s22, -1
                                        ; implicit-def: $vgpr3
	s_branch .LBB457_614
.LBB457_610:
	s_or_saveexec_b32 s22, s22
	v_mov_b32_e32 v3, s23
	s_xor_b32 exec_lo, exec_lo, s22
	s_cbranch_execz .LBB457_591
.LBB457_611:
	v_cmp_ne_u16_e32 vcc_lo, 0, v4
	v_mov_b32_e32 v3, 0
	s_and_not1_b32 s2, s2, exec_lo
	s_and_b32 s23, vcc_lo, exec_lo
	s_delay_alu instid0(SALU_CYCLE_1)
	s_or_b32 s2, s2, s23
	s_or_b32 exec_lo, exec_lo, s22
	s_and_saveexec_b32 s22, s2
	s_cbranch_execnz .LBB457_592
	s_branch .LBB457_593
.LBB457_612:
	s_mov_b32 s3, -1
                                        ; implicit-def: $vgpr3
.LBB457_613:
	s_mov_b32 s22, 0
.LBB457_614:
	s_delay_alu instid0(SALU_CYCLE_1)
	s_and_b32 vcc_lo, exec_lo, s22
	s_cbranch_vccz .LBB457_618
; %bb.615:
	v_cmp_eq_u16_e64 s3, s31, 11
	s_delay_alu instid0(VALU_DEP_1)
	s_and_b32 vcc_lo, exec_lo, s3
	s_cbranch_vccz .LBB457_617
; %bb.616:
	global_load_u8 v3, v[1:2], off
	s_mov_b32 s3, 0
	s_mov_b32 s2, -1
	s_waitcnt vmcnt(0)
	v_cmp_ne_u16_e32 vcc_lo, 0, v3
	v_cndmask_b32_e64 v3, 0, 1, vcc_lo
	s_branch .LBB457_618
.LBB457_617:
	s_mov_b32 s3, -1
                                        ; implicit-def: $vgpr3
.LBB457_618:
	s_mov_b32 s22, 0
.LBB457_619:
	s_delay_alu instid0(SALU_CYCLE_1)
	s_and_b32 vcc_lo, exec_lo, s22
	s_cbranch_vccz .LBB457_668
; %bb.620:
	v_cmp_lt_i16_e64 s2, s31, 5
	s_delay_alu instid0(VALU_DEP_1)
	s_and_b32 vcc_lo, exec_lo, s2
	s_cbranch_vccnz .LBB457_625
; %bb.621:
	v_cmp_lt_i16_e64 s2, s31, 8
	s_delay_alu instid0(VALU_DEP_1)
	s_and_b32 vcc_lo, exec_lo, s2
	s_cbranch_vccnz .LBB457_626
; %bb.622:
	v_cmp_lt_i16_e64 s2, s31, 9
	s_delay_alu instid0(VALU_DEP_1)
	s_and_b32 vcc_lo, exec_lo, s2
	s_cbranch_vccnz .LBB457_627
; %bb.623:
	v_cmp_gt_i16_e64 s2, s31, 9
	s_delay_alu instid0(VALU_DEP_1)
	s_and_b32 vcc_lo, exec_lo, s2
	s_cbranch_vccz .LBB457_628
; %bb.624:
	global_load_b64 v[3:4], v[1:2], off
	s_mov_b32 s2, 0
	s_waitcnt vmcnt(0)
	v_cvt_i32_f64_e32 v3, v[3:4]
	s_branch .LBB457_629
.LBB457_625:
	s_mov_b32 s2, -1
                                        ; implicit-def: $vgpr3
	s_branch .LBB457_647
.LBB457_626:
	s_mov_b32 s2, -1
                                        ; implicit-def: $vgpr3
	s_branch .LBB457_635
.LBB457_627:
	s_mov_b32 s2, -1
                                        ; implicit-def: $vgpr3
	s_branch .LBB457_632
.LBB457_628:
	s_mov_b32 s2, -1
                                        ; implicit-def: $vgpr3
.LBB457_629:
	s_delay_alu instid0(SALU_CYCLE_1)
	s_and_not1_b32 vcc_lo, exec_lo, s2
	s_cbranch_vccnz .LBB457_631
; %bb.630:
	global_load_b32 v3, v[1:2], off
	s_waitcnt vmcnt(0)
	v_cvt_i32_f32_e32 v3, v3
.LBB457_631:
	s_mov_b32 s2, 0
.LBB457_632:
	s_delay_alu instid0(SALU_CYCLE_1)
	s_and_not1_b32 vcc_lo, exec_lo, s2
	s_cbranch_vccnz .LBB457_634
; %bb.633:
	global_load_b32 v3, v[1:2], off
	s_waitcnt vmcnt(0)
	v_cvt_i16_f16_e32 v3, v3
.LBB457_634:
	s_mov_b32 s2, 0
.LBB457_635:
	s_delay_alu instid0(SALU_CYCLE_1)
	s_and_not1_b32 vcc_lo, exec_lo, s2
	s_cbranch_vccnz .LBB457_646
; %bb.636:
	v_cmp_lt_i16_e64 s2, s31, 6
	s_delay_alu instid0(VALU_DEP_1)
	s_and_b32 vcc_lo, exec_lo, s2
	s_cbranch_vccnz .LBB457_639
; %bb.637:
	v_cmp_gt_i16_e64 s2, s31, 6
	s_delay_alu instid0(VALU_DEP_1)
	s_and_b32 vcc_lo, exec_lo, s2
	s_cbranch_vccz .LBB457_640
; %bb.638:
	global_load_b64 v[3:4], v[1:2], off
	s_mov_b32 s2, 0
	s_waitcnt vmcnt(0)
	v_cvt_i32_f64_e32 v3, v[3:4]
	s_branch .LBB457_641
.LBB457_639:
	s_mov_b32 s2, -1
                                        ; implicit-def: $vgpr3
	s_branch .LBB457_644
.LBB457_640:
	s_mov_b32 s2, -1
                                        ; implicit-def: $vgpr3
.LBB457_641:
	s_delay_alu instid0(SALU_CYCLE_1)
	s_and_not1_b32 vcc_lo, exec_lo, s2
	s_cbranch_vccnz .LBB457_643
; %bb.642:
	global_load_b32 v3, v[1:2], off
	s_waitcnt vmcnt(0)
	v_cvt_i32_f32_e32 v3, v3
.LBB457_643:
	s_mov_b32 s2, 0
.LBB457_644:
	s_delay_alu instid0(SALU_CYCLE_1)
	s_and_not1_b32 vcc_lo, exec_lo, s2
	s_cbranch_vccnz .LBB457_646
; %bb.645:
	global_load_u16 v3, v[1:2], off
	s_waitcnt vmcnt(0)
	v_cvt_i16_f16_e32 v3, v3
.LBB457_646:
	s_mov_b32 s2, 0
.LBB457_647:
	s_delay_alu instid0(SALU_CYCLE_1)
	s_and_not1_b32 vcc_lo, exec_lo, s2
	s_cbranch_vccnz .LBB457_667
; %bb.648:
	v_cmp_lt_i16_e64 s2, s31, 2
	s_delay_alu instid0(VALU_DEP_1)
	s_and_b32 vcc_lo, exec_lo, s2
	s_cbranch_vccnz .LBB457_652
; %bb.649:
	v_cmp_lt_i16_e64 s2, s31, 3
	s_delay_alu instid0(VALU_DEP_1)
	s_and_b32 vcc_lo, exec_lo, s2
	s_cbranch_vccnz .LBB457_653
; %bb.650:
	v_cmp_gt_i16_e64 s2, s31, 3
	s_delay_alu instid0(VALU_DEP_1)
	s_and_b32 vcc_lo, exec_lo, s2
	s_cbranch_vccz .LBB457_654
; %bb.651:
	global_load_b64 v[3:4], v[1:2], off
	s_mov_b32 s2, 0
	s_branch .LBB457_655
.LBB457_652:
	s_mov_b32 s2, -1
                                        ; implicit-def: $vgpr3
	s_branch .LBB457_661
.LBB457_653:
	s_mov_b32 s2, -1
                                        ; implicit-def: $vgpr3
	s_branch .LBB457_658
.LBB457_654:
	s_mov_b32 s2, -1
                                        ; implicit-def: $vgpr3
.LBB457_655:
	s_delay_alu instid0(SALU_CYCLE_1)
	s_and_not1_b32 vcc_lo, exec_lo, s2
	s_cbranch_vccnz .LBB457_657
; %bb.656:
	global_load_b32 v3, v[1:2], off
.LBB457_657:
	s_mov_b32 s2, 0
.LBB457_658:
	s_delay_alu instid0(SALU_CYCLE_1)
	s_and_not1_b32 vcc_lo, exec_lo, s2
	s_cbranch_vccnz .LBB457_660
; %bb.659:
	global_load_u16 v3, v[1:2], off
.LBB457_660:
	s_mov_b32 s2, 0
.LBB457_661:
	s_delay_alu instid0(SALU_CYCLE_1)
	s_and_not1_b32 vcc_lo, exec_lo, s2
	s_cbranch_vccnz .LBB457_667
; %bb.662:
	v_cmp_gt_i16_e64 s2, s31, 0
	s_delay_alu instid0(VALU_DEP_1)
	s_and_b32 vcc_lo, exec_lo, s2
	s_mov_b32 s2, 0
	s_cbranch_vccz .LBB457_664
; %bb.663:
	global_load_i8 v3, v[1:2], off
	s_branch .LBB457_665
.LBB457_664:
	s_mov_b32 s2, -1
                                        ; implicit-def: $vgpr3
.LBB457_665:
	s_delay_alu instid0(SALU_CYCLE_1)
	s_and_not1_b32 vcc_lo, exec_lo, s2
	s_cbranch_vccnz .LBB457_667
; %bb.666:
	global_load_u8 v3, v[1:2], off
.LBB457_667:
	s_mov_b32 s2, -1
.LBB457_668:
	s_delay_alu instid0(SALU_CYCLE_1)
	s_and_not1_b32 vcc_lo, exec_lo, s2
	s_cbranch_vccnz .LBB457_676
; %bb.669:
	s_waitcnt vmcnt(0)
	v_and_b32_e64 v4, 0xff, s30
	v_add_co_u32 v0, s2, s4, v0
	s_delay_alu instid0(VALU_DEP_3) | instskip(SKIP_1) | instid1(VALU_DEP_4)
	v_min_i16 v2, v3, s29
	v_add_co_ci_u32_e64 v1, null, s5, 0, s2
	v_cmp_gt_i16_e32 vcc_lo, 11, v4
	s_mov_b32 s22, 0
	s_mov_b32 s23, -1
	s_mov_b32 s2, s41
	s_cbranch_vccnz .LBB457_677
; %bb.670:
	v_cmp_lt_i16_e32 vcc_lo, 25, v4
	s_cbranch_vccz .LBB457_718
; %bb.671:
	v_cmp_lt_i16_e32 vcc_lo, 28, v4
	s_cbranch_vccz .LBB457_719
	;; [unrolled: 3-line block ×4, first 2 shown]
; %bb.674:
	v_cmp_eq_u16_e32 vcc_lo, 46, v4
	s_mov_b32 s23, 0
	s_mov_b32 s2, -1
	s_cbranch_vccz .LBB457_722
; %bb.675:
	v_bfe_i32 v3, v2, 0, 16
	s_mov_b32 s22, -1
	s_mov_b32 s2, 0
	s_delay_alu instid0(VALU_DEP_1) | instskip(NEXT) | instid1(VALU_DEP_1)
	v_cvt_f32_i32_e32 v3, v3
	v_bfe_u32 v6, v3, 16, 1
	s_delay_alu instid0(VALU_DEP_1) | instskip(NEXT) | instid1(VALU_DEP_1)
	v_add3_u32 v3, v3, v6, 0x7fff
	v_lshrrev_b32_e32 v3, 16, v3
	global_store_b32 v[0:1], v3, off
	s_branch .LBB457_722
.LBB457_676:
	s_mov_b32 s44, 0
	s_mov_b32 s2, s41
	s_branch .LBB457_717
.LBB457_677:
	s_and_b32 vcc_lo, exec_lo, s23
	s_cbranch_vccz .LBB457_791
; %bb.678:
	v_cmp_gt_i16_e32 vcc_lo, 5, v4
	s_mov_b32 s22, -1
	s_cbranch_vccnz .LBB457_699
; %bb.679:
	v_cmp_gt_i16_e32 vcc_lo, 8, v4
	s_cbranch_vccnz .LBB457_689
; %bb.680:
	v_cmp_gt_i16_e32 vcc_lo, 9, v4
	s_cbranch_vccnz .LBB457_686
; %bb.681:
	v_cmp_lt_i16_e32 vcc_lo, 9, v4
	s_cbranch_vccz .LBB457_683
; %bb.682:
	v_bfe_i32 v3, v2, 0, 16
	v_mov_b32_e32 v8, 0
	s_mov_b32 s22, 0
	s_delay_alu instid0(VALU_DEP_2) | instskip(NEXT) | instid1(VALU_DEP_2)
	v_cvt_f64_i32_e32 v[6:7], v3
	v_mov_b32_e32 v9, v8
	global_store_b128 v[0:1], v[6:9], off
.LBB457_683:
	s_and_not1_b32 vcc_lo, exec_lo, s22
	s_cbranch_vccnz .LBB457_685
; %bb.684:
	v_bfe_i32 v3, v2, 0, 16
	v_mov_b32_e32 v7, 0
	s_delay_alu instid0(VALU_DEP_2)
	v_cvt_f32_i32_e32 v6, v3
	global_store_b64 v[0:1], v[6:7], off
.LBB457_685:
	s_mov_b32 s22, 0
.LBB457_686:
	s_delay_alu instid0(SALU_CYCLE_1)
	s_and_not1_b32 vcc_lo, exec_lo, s22
	s_cbranch_vccnz .LBB457_688
; %bb.687:
	v_cvt_f16_i16_e32 v3, v2
	s_delay_alu instid0(VALU_DEP_1)
	v_and_b32_e32 v3, 0xffff, v3
	global_store_b32 v[0:1], v3, off
.LBB457_688:
	s_mov_b32 s22, 0
.LBB457_689:
	s_delay_alu instid0(SALU_CYCLE_1)
	s_and_not1_b32 vcc_lo, exec_lo, s22
	s_cbranch_vccnz .LBB457_698
; %bb.690:
	v_cmp_gt_i16_e32 vcc_lo, 6, v4
	s_mov_b32 s22, -1
	s_cbranch_vccnz .LBB457_696
; %bb.691:
	v_cmp_lt_i16_e32 vcc_lo, 6, v4
	s_cbranch_vccz .LBB457_693
; %bb.692:
	v_bfe_i32 v3, v2, 0, 16
	s_mov_b32 s22, 0
	s_delay_alu instid0(VALU_DEP_1)
	v_cvt_f64_i32_e32 v[6:7], v3
	global_store_b64 v[0:1], v[6:7], off
.LBB457_693:
	s_and_not1_b32 vcc_lo, exec_lo, s22
	s_cbranch_vccnz .LBB457_695
; %bb.694:
	v_bfe_i32 v3, v2, 0, 16
	s_delay_alu instid0(VALU_DEP_1)
	v_cvt_f32_i32_e32 v3, v3
	global_store_b32 v[0:1], v3, off
.LBB457_695:
	s_mov_b32 s22, 0
.LBB457_696:
	s_delay_alu instid0(SALU_CYCLE_1)
	s_and_not1_b32 vcc_lo, exec_lo, s22
	s_cbranch_vccnz .LBB457_698
; %bb.697:
	v_cvt_f16_i16_e32 v3, v2
	global_store_b16 v[0:1], v3, off
.LBB457_698:
	s_mov_b32 s22, 0
.LBB457_699:
	s_delay_alu instid0(SALU_CYCLE_1)
	s_and_not1_b32 vcc_lo, exec_lo, s22
	s_cbranch_vccnz .LBB457_715
; %bb.700:
	v_cmp_gt_i16_e32 vcc_lo, 2, v4
	s_mov_b32 s22, -1
	s_cbranch_vccnz .LBB457_710
; %bb.701:
	v_cmp_gt_i16_e32 vcc_lo, 3, v4
	s_cbranch_vccnz .LBB457_707
; %bb.702:
	v_cmp_lt_i16_e32 vcc_lo, 3, v4
	s_cbranch_vccz .LBB457_704
; %bb.703:
	v_bfe_i32 v6, v2, 0, 16
	s_mov_b32 s22, 0
	s_delay_alu instid0(VALU_DEP_1)
	v_ashrrev_i32_e32 v7, 31, v6
	global_store_b64 v[0:1], v[6:7], off
.LBB457_704:
	s_and_not1_b32 vcc_lo, exec_lo, s22
	s_cbranch_vccnz .LBB457_706
; %bb.705:
	v_bfe_i32 v3, v2, 0, 16
	global_store_b32 v[0:1], v3, off
.LBB457_706:
	s_mov_b32 s22, 0
.LBB457_707:
	s_delay_alu instid0(SALU_CYCLE_1)
	s_and_not1_b32 vcc_lo, exec_lo, s22
	s_cbranch_vccnz .LBB457_709
; %bb.708:
	global_store_b16 v[0:1], v2, off
.LBB457_709:
	s_mov_b32 s22, 0
.LBB457_710:
	s_delay_alu instid0(SALU_CYCLE_1)
	s_and_not1_b32 vcc_lo, exec_lo, s22
	s_cbranch_vccnz .LBB457_715
; %bb.711:
	v_cmp_lt_i16_e32 vcc_lo, 0, v4
	s_mov_b32 s22, -1
	s_cbranch_vccz .LBB457_713
; %bb.712:
	s_mov_b32 s22, 0
	global_store_b8 v[0:1], v2, off
.LBB457_713:
	s_and_not1_b32 vcc_lo, exec_lo, s22
	s_cbranch_vccnz .LBB457_715
; %bb.714:
	global_store_b8 v[0:1], v2, off
.LBB457_715:
	s_branch .LBB457_792
.LBB457_716:
	s_mov_b32 s44, 0
.LBB457_717:
                                        ; implicit-def: $vgpr5
	s_branch .LBB457_793
.LBB457_718:
	s_mov_b32 s2, s41
	s_branch .LBB457_749
.LBB457_719:
	s_mov_b32 s2, s41
	s_branch .LBB457_732
.LBB457_720:
	s_mov_b32 s2, s41
	s_branch .LBB457_728
.LBB457_721:
	s_mov_b32 s2, s41
.LBB457_722:
	s_and_b32 vcc_lo, exec_lo, s23
	s_cbranch_vccz .LBB457_727
; %bb.723:
	v_cmp_eq_u16_e32 vcc_lo, 44, v4
	s_mov_b32 s2, -1
	s_cbranch_vccz .LBB457_727
; %bb.724:
	v_bfe_i32 v3, v2, 0, 16
	v_mov_b32_e32 v6, 0xff
	s_mov_b32 s22, exec_lo
	s_delay_alu instid0(VALU_DEP_2) | instskip(NEXT) | instid1(VALU_DEP_1)
	v_cvt_f32_i32_e32 v3, v3
	v_bfe_u32 v7, v3, 23, 8
	s_delay_alu instid0(VALU_DEP_1)
	v_cmpx_ne_u32_e32 0xff, v7
; %bb.725:
	v_and_b32_e32 v6, 0x400000, v3
	v_and_or_b32 v7, 0x3fffff, v3, v7
	v_lshrrev_b32_e32 v3, 23, v3
	s_delay_alu instid0(VALU_DEP_3) | instskip(NEXT) | instid1(VALU_DEP_3)
	v_cmp_ne_u32_e32 vcc_lo, 0, v6
	v_cmp_ne_u32_e64 s2, 0, v7
	s_delay_alu instid0(VALU_DEP_1) | instskip(NEXT) | instid1(SALU_CYCLE_1)
	s_and_b32 s2, vcc_lo, s2
	v_cndmask_b32_e64 v6, 0, 1, s2
	s_delay_alu instid0(VALU_DEP_1)
	v_add_nc_u32_e32 v6, v3, v6
; %bb.726:
	s_or_b32 exec_lo, exec_lo, s22
	s_mov_b32 s22, -1
	s_mov_b32 s2, 0
	global_store_b8 v[0:1], v6, off
.LBB457_727:
	s_mov_b32 s23, 0
.LBB457_728:
	s_delay_alu instid0(SALU_CYCLE_1)
	s_and_b32 vcc_lo, exec_lo, s23
	s_cbranch_vccz .LBB457_731
; %bb.729:
	v_cmp_eq_u16_e32 vcc_lo, 29, v4
	s_mov_b32 s2, -1
	s_cbranch_vccz .LBB457_731
; %bb.730:
	v_bfe_i32 v6, v2, 0, 16
	s_mov_b32 s2, 0
	s_mov_b32 s22, -1
	s_mov_b32 s23, 0
	s_delay_alu instid0(VALU_DEP_1)
	v_ashrrev_i32_e32 v7, 31, v6
	global_store_b64 v[0:1], v[6:7], off
	s_branch .LBB457_732
.LBB457_731:
	s_mov_b32 s23, 0
.LBB457_732:
	s_delay_alu instid0(SALU_CYCLE_1)
	s_and_b32 vcc_lo, exec_lo, s23
	s_cbranch_vccz .LBB457_748
; %bb.733:
	v_cmp_gt_i16_e32 vcc_lo, 27, v4
	s_mov_b32 s22, -1
	s_cbranch_vccnz .LBB457_739
; %bb.734:
	v_cmp_lt_i16_e32 vcc_lo, 27, v4
	s_cbranch_vccz .LBB457_736
; %bb.735:
	v_bfe_i32 v3, v2, 0, 16
	s_mov_b32 s22, 0
	global_store_b32 v[0:1], v3, off
.LBB457_736:
	s_and_not1_b32 vcc_lo, exec_lo, s22
	s_cbranch_vccnz .LBB457_738
; %bb.737:
	global_store_b16 v[0:1], v2, off
.LBB457_738:
	s_mov_b32 s22, 0
.LBB457_739:
	s_delay_alu instid0(SALU_CYCLE_1)
	s_and_not1_b32 vcc_lo, exec_lo, s22
	s_cbranch_vccnz .LBB457_747
; %bb.740:
	v_bfe_i32 v3, v2, 0, 16
	v_mov_b32_e32 v7, 0x80
	s_mov_b32 s22, exec_lo
	s_delay_alu instid0(VALU_DEP_2) | instskip(NEXT) | instid1(VALU_DEP_1)
	v_cvt_f32_i32_e32 v3, v3
	v_and_b32_e32 v6, 0x7fffffff, v3
	s_delay_alu instid0(VALU_DEP_1)
	v_cmpx_gt_u32_e32 0x43800000, v6
	s_cbranch_execz .LBB457_746
; %bb.741:
	v_cmp_lt_u32_e32 vcc_lo, 0x3bffffff, v6
	s_mov_b32 s23, 0
                                        ; implicit-def: $vgpr6
	s_and_saveexec_b32 s44, vcc_lo
	s_delay_alu instid0(SALU_CYCLE_1)
	s_xor_b32 s44, exec_lo, s44
	s_cbranch_execz .LBB457_820
; %bb.742:
	v_bfe_u32 v6, v3, 20, 1
	s_mov_b32 s23, exec_lo
	s_delay_alu instid0(VALU_DEP_1) | instskip(NEXT) | instid1(VALU_DEP_1)
	v_add3_u32 v6, v3, v6, 0x487ffff
	v_lshrrev_b32_e32 v6, 20, v6
	s_or_saveexec_b32 s44, s44
                                        ; implicit-def: $sgpr45
	s_delay_alu instid0(SALU_CYCLE_1)
	s_xor_b32 exec_lo, exec_lo, s44
	s_cbranch_execnz .LBB457_821
.LBB457_743:
	s_or_b32 exec_lo, exec_lo, s44
	v_mov_b32_e32 v7, s45
	s_and_saveexec_b32 s44, s23
.LBB457_744:
	v_lshrrev_b32_e32 v3, 24, v3
	s_delay_alu instid0(VALU_DEP_1)
	v_and_or_b32 v7, 0x80, v3, v6
.LBB457_745:
	s_or_b32 exec_lo, exec_lo, s44
.LBB457_746:
	s_delay_alu instid0(SALU_CYCLE_1)
	s_or_b32 exec_lo, exec_lo, s22
	global_store_b8 v[0:1], v7, off
.LBB457_747:
	s_mov_b32 s22, -1
.LBB457_748:
	s_mov_b32 s23, 0
.LBB457_749:
	s_delay_alu instid0(SALU_CYCLE_1)
	s_and_b32 vcc_lo, exec_lo, s23
	s_cbranch_vccz .LBB457_790
; %bb.750:
	v_cmp_lt_i16_e32 vcc_lo, 22, v4
	s_mov_b32 s23, -1
	s_cbranch_vccz .LBB457_782
; %bb.751:
	v_cmp_gt_i16_e32 vcc_lo, 24, v4
	s_mov_b32 s22, -1
	s_cbranch_vccnz .LBB457_771
; %bb.752:
	v_cmp_lt_i16_e32 vcc_lo, 24, v4
	s_cbranch_vccz .LBB457_760
; %bb.753:
	v_bfe_i32 v3, v2, 0, 16
	v_mov_b32_e32 v7, 0x80
	s_mov_b32 s22, exec_lo
	s_delay_alu instid0(VALU_DEP_2) | instskip(NEXT) | instid1(VALU_DEP_1)
	v_cvt_f32_i32_e32 v3, v3
	v_and_b32_e32 v6, 0x7fffffff, v3
	s_delay_alu instid0(VALU_DEP_1)
	v_cmpx_gt_u32_e32 0x47800000, v6
	s_cbranch_execz .LBB457_759
; %bb.754:
	v_cmp_lt_u32_e32 vcc_lo, 0x37ffffff, v6
	s_mov_b32 s23, 0
                                        ; implicit-def: $vgpr6
	s_and_saveexec_b32 s44, vcc_lo
	s_delay_alu instid0(SALU_CYCLE_1)
	s_xor_b32 s44, exec_lo, s44
	s_cbranch_execz .LBB457_823
; %bb.755:
	v_bfe_u32 v6, v3, 21, 1
	s_mov_b32 s23, exec_lo
	s_delay_alu instid0(VALU_DEP_1) | instskip(NEXT) | instid1(VALU_DEP_1)
	v_add3_u32 v6, v3, v6, 0x88fffff
	v_lshrrev_b32_e32 v6, 21, v6
	s_or_saveexec_b32 s44, s44
                                        ; implicit-def: $sgpr45
	s_delay_alu instid0(SALU_CYCLE_1)
	s_xor_b32 exec_lo, exec_lo, s44
	s_cbranch_execnz .LBB457_824
.LBB457_756:
	s_or_b32 exec_lo, exec_lo, s44
	v_mov_b32_e32 v7, s45
	s_and_saveexec_b32 s44, s23
.LBB457_757:
	v_lshrrev_b32_e32 v3, 24, v3
	s_delay_alu instid0(VALU_DEP_1)
	v_and_or_b32 v7, 0x80, v3, v6
.LBB457_758:
	s_or_b32 exec_lo, exec_lo, s44
.LBB457_759:
	s_delay_alu instid0(SALU_CYCLE_1)
	s_or_b32 exec_lo, exec_lo, s22
	s_mov_b32 s22, 0
	global_store_b8 v[0:1], v7, off
.LBB457_760:
	s_and_b32 vcc_lo, exec_lo, s22
	s_cbranch_vccz .LBB457_770
; %bb.761:
	v_bfe_i32 v3, v2, 0, 16
	s_mov_b32 s22, exec_lo
                                        ; implicit-def: $vgpr6
	s_delay_alu instid0(VALU_DEP_1) | instskip(NEXT) | instid1(VALU_DEP_1)
	v_cvt_f32_i32_e32 v3, v3
	v_and_b32_e32 v7, 0x7fffffff, v3
	s_delay_alu instid0(VALU_DEP_1)
	v_cmpx_gt_u32_e32 0x43f00000, v7
	s_xor_b32 s22, exec_lo, s22
	s_cbranch_execz .LBB457_767
; %bb.762:
	s_mov_b32 s23, exec_lo
                                        ; implicit-def: $vgpr6
	v_cmpx_lt_u32_e32 0x3c7fffff, v7
	s_xor_b32 s23, exec_lo, s23
; %bb.763:
	v_bfe_u32 v6, v3, 20, 1
	s_delay_alu instid0(VALU_DEP_1) | instskip(NEXT) | instid1(VALU_DEP_1)
	v_add3_u32 v6, v3, v6, 0x407ffff
	v_and_b32_e32 v7, 0xff00000, v6
	v_lshrrev_b32_e32 v6, 20, v6
	s_delay_alu instid0(VALU_DEP_2) | instskip(NEXT) | instid1(VALU_DEP_2)
	v_cmp_ne_u32_e32 vcc_lo, 0x7f00000, v7
	v_cndmask_b32_e32 v6, 0x7e, v6, vcc_lo
; %bb.764:
	s_and_not1_saveexec_b32 s23, s23
; %bb.765:
	v_add_f32_e64 v6, 0x46800000, |v3|
; %bb.766:
	s_or_b32 exec_lo, exec_lo, s23
                                        ; implicit-def: $vgpr7
.LBB457_767:
	s_and_not1_saveexec_b32 s22, s22
; %bb.768:
	v_mov_b32_e32 v6, 0x7f
	v_cmp_lt_u32_e32 vcc_lo, 0x7f800000, v7
	s_delay_alu instid0(VALU_DEP_2)
	v_cndmask_b32_e32 v6, 0x7e, v6, vcc_lo
; %bb.769:
	s_or_b32 exec_lo, exec_lo, s22
	v_lshrrev_b32_e32 v3, 24, v3
	s_delay_alu instid0(VALU_DEP_1)
	v_and_or_b32 v3, 0x80, v3, v6
	global_store_b8 v[0:1], v3, off
.LBB457_770:
	s_mov_b32 s22, 0
.LBB457_771:
	s_delay_alu instid0(SALU_CYCLE_1)
	s_and_not1_b32 vcc_lo, exec_lo, s22
	s_cbranch_vccnz .LBB457_781
; %bb.772:
	v_bfe_i32 v3, v2, 0, 16
	s_mov_b32 s22, exec_lo
                                        ; implicit-def: $vgpr6
	s_delay_alu instid0(VALU_DEP_1) | instskip(NEXT) | instid1(VALU_DEP_1)
	v_cvt_f32_i32_e32 v3, v3
	v_and_b32_e32 v7, 0x7fffffff, v3
	s_delay_alu instid0(VALU_DEP_1)
	v_cmpx_gt_u32_e32 0x47800000, v7
	s_xor_b32 s22, exec_lo, s22
	s_cbranch_execz .LBB457_778
; %bb.773:
	s_mov_b32 s23, exec_lo
                                        ; implicit-def: $vgpr6
	v_cmpx_lt_u32_e32 0x387fffff, v7
	s_xor_b32 s23, exec_lo, s23
; %bb.774:
	v_bfe_u32 v6, v3, 21, 1
	s_delay_alu instid0(VALU_DEP_1) | instskip(NEXT) | instid1(VALU_DEP_1)
	v_add3_u32 v6, v3, v6, 0x80fffff
	v_lshrrev_b32_e32 v6, 21, v6
; %bb.775:
	s_and_not1_saveexec_b32 s23, s23
; %bb.776:
	v_add_f32_e64 v6, 0x43000000, |v3|
; %bb.777:
	s_or_b32 exec_lo, exec_lo, s23
                                        ; implicit-def: $vgpr7
.LBB457_778:
	s_and_not1_saveexec_b32 s22, s22
; %bb.779:
	v_mov_b32_e32 v6, 0x7f
	v_cmp_lt_u32_e32 vcc_lo, 0x7f800000, v7
	s_delay_alu instid0(VALU_DEP_2)
	v_cndmask_b32_e32 v6, 0x7c, v6, vcc_lo
; %bb.780:
	s_or_b32 exec_lo, exec_lo, s22
	v_lshrrev_b32_e32 v3, 24, v3
	s_delay_alu instid0(VALU_DEP_1)
	v_and_or_b32 v3, 0x80, v3, v6
	global_store_b8 v[0:1], v3, off
.LBB457_781:
	s_mov_b32 s23, 0
	s_mov_b32 s22, -1
.LBB457_782:
	s_and_not1_b32 vcc_lo, exec_lo, s23
	s_cbranch_vccnz .LBB457_790
; %bb.783:
	v_cmp_lt_i16_e32 vcc_lo, 14, v4
	s_mov_b32 s23, -1
	s_cbranch_vccz .LBB457_787
; %bb.784:
	v_cmp_eq_u16_e32 vcc_lo, 15, v4
	s_mov_b32 s2, -1
	s_cbranch_vccz .LBB457_786
; %bb.785:
	v_bfe_i32 v3, v2, 0, 16
	s_mov_b32 s22, -1
	s_mov_b32 s2, 0
	s_delay_alu instid0(VALU_DEP_1) | instskip(NEXT) | instid1(VALU_DEP_1)
	v_cvt_f32_i32_e32 v3, v3
	v_bfe_u32 v6, v3, 16, 1
	s_delay_alu instid0(VALU_DEP_1)
	v_add3_u32 v3, v3, v6, 0x7fff
	global_store_d16_hi_b16 v[0:1], v3, off
.LBB457_786:
	s_mov_b32 s23, 0
.LBB457_787:
	s_delay_alu instid0(SALU_CYCLE_1)
	s_and_b32 vcc_lo, exec_lo, s23
	s_cbranch_vccz .LBB457_790
; %bb.788:
	v_cmp_eq_u16_e32 vcc_lo, 11, v4
	s_mov_b32 s2, -1
	s_cbranch_vccz .LBB457_790
; %bb.789:
	v_cmp_ne_u16_e32 vcc_lo, 0, v2
	s_mov_b32 s2, 0
	s_mov_b32 s22, -1
	v_cndmask_b32_e64 v3, 0, 1, vcc_lo
	global_store_b8 v[0:1], v3, off
.LBB457_790:
.LBB457_791:
	s_and_not1_b32 vcc_lo, exec_lo, s22
	s_cbranch_vccnz .LBB457_716
.LBB457_792:
	v_add_nc_u32_e32 v5, 0x80, v5
	s_mov_b32 s44, -1
.LBB457_793:
	s_and_not1_b32 s22, s41, exec_lo
	s_and_b32 s2, s2, exec_lo
	s_and_not1_b32 s45, s40, exec_lo
	s_and_b32 s3, s3, exec_lo
	s_or_b32 s23, s22, s2
	s_or_b32 s22, s45, s3
	s_or_not1_b32 s45, s44, exec_lo
.LBB457_794:
	s_or_b32 exec_lo, exec_lo, s43
	s_mov_b32 s2, 0
	s_mov_b32 s3, 0
	;; [unrolled: 1-line block ×3, first 2 shown]
                                        ; implicit-def: $vgpr1_vgpr2
                                        ; implicit-def: $vgpr0
                                        ; implicit-def: $vgpr3
	s_and_saveexec_b32 s43, s45
	s_cbranch_execz .LBB457_888
; %bb.795:
	v_cmp_gt_i32_e32 vcc_lo, s34, v5
	s_mov_b32 s46, s22
	s_mov_b32 s45, 0
                                        ; implicit-def: $vgpr1_vgpr2
                                        ; implicit-def: $vgpr0
                                        ; implicit-def: $vgpr3
	s_and_saveexec_b32 s34, vcc_lo
	s_cbranch_execz .LBB457_887
; %bb.796:
	s_and_not1_b32 vcc_lo, exec_lo, s27
	s_cbranch_vccnz .LBB457_801
; %bb.797:
	v_dual_mov_b32 v0, 0 :: v_dual_mov_b32 v1, 0
	s_and_not1_b32 vcc_lo, exec_lo, s36
	s_mov_b32 s36, 0
	s_cbranch_vccnz .LBB457_806
; %bb.798:
	v_mov_b32_e32 v0, 0
	s_add_i32 s44, s35, 1
	s_cmp_eq_u32 s25, 2
	s_mov_b32 s35, 0
	s_cbranch_scc1 .LBB457_802
; %bb.799:
	v_dual_mov_b32 v1, 0 :: v_dual_mov_b32 v0, 0
	v_mov_b32_e32 v2, v5
	s_and_b32 s35, s44, 28
	s_mov_b64 s[2:3], s[16:17]
.LBB457_800:                            ; =>This Inner Loop Header: Depth=1
	s_clause 0x1
	s_load_b256 s[48:55], s[2:3], 0x4
	s_load_b128 s[64:67], s[2:3], 0x24
	s_load_b256 s[56:63], s[20:21], 0x0
	s_add_u32 s2, s2, 48
	s_addc_u32 s3, s3, 0
	s_add_i32 s45, s45, 4
	s_add_u32 s20, s20, 32
	s_addc_u32 s21, s21, 0
	s_cmp_eq_u32 s35, s45
	s_waitcnt vmcnt(0) lgkmcnt(0)
	v_mul_hi_u32 v3, s49, v2
	s_delay_alu instid0(VALU_DEP_1) | instskip(NEXT) | instid1(VALU_DEP_1)
	v_add_nc_u32_e32 v3, v2, v3
	v_lshrrev_b32_e32 v3, s50, v3
	s_delay_alu instid0(VALU_DEP_1) | instskip(SKIP_1) | instid1(VALU_DEP_2)
	v_mul_hi_u32 v4, s52, v3
	v_mul_lo_u32 v7, v3, s48
	v_add_nc_u32_e32 v4, v3, v4
	s_delay_alu instid0(VALU_DEP_2) | instskip(NEXT) | instid1(VALU_DEP_2)
	v_sub_nc_u32_e32 v2, v2, v7
	v_lshrrev_b32_e32 v4, s53, v4
	s_delay_alu instid0(VALU_DEP_2) | instskip(SKIP_1) | instid1(VALU_DEP_3)
	v_mul_lo_u32 v7, v2, s56
	v_mul_lo_u32 v9, v2, s57
	v_mul_hi_u32 v6, s55, v4
	s_delay_alu instid0(VALU_DEP_1) | instskip(NEXT) | instid1(VALU_DEP_1)
	v_add_nc_u32_e32 v6, v4, v6
	v_lshrrev_b32_e32 v6, s64, v6
	s_delay_alu instid0(VALU_DEP_1) | instskip(SKIP_1) | instid1(VALU_DEP_2)
	v_mul_hi_u32 v8, s66, v6
	v_mul_lo_u32 v10, v6, s54
	v_add_nc_u32_e32 v2, v6, v8
	v_mul_lo_u32 v8, v4, s51
	s_delay_alu instid0(VALU_DEP_3) | instskip(NEXT) | instid1(VALU_DEP_3)
	v_sub_nc_u32_e32 v4, v4, v10
	v_lshrrev_b32_e32 v2, s67, v2
	s_delay_alu instid0(VALU_DEP_2) | instskip(SKIP_2) | instid1(VALU_DEP_4)
	v_mul_lo_u32 v10, v4, s60
	v_mul_lo_u32 v4, v4, s61
	v_sub_nc_u32_e32 v3, v3, v8
	v_mul_lo_u32 v11, v2, s65
	s_delay_alu instid0(VALU_DEP_2) | instskip(SKIP_1) | instid1(VALU_DEP_3)
	v_mul_lo_u32 v8, v3, s58
	v_mul_lo_u32 v3, v3, s59
	v_sub_nc_u32_e32 v6, v6, v11
	s_delay_alu instid0(VALU_DEP_3) | instskip(NEXT) | instid1(VALU_DEP_2)
	v_add3_u32 v0, v7, v0, v8
	v_mul_lo_u32 v11, v6, s62
	v_mul_lo_u32 v6, v6, s63
	v_add3_u32 v1, v9, v1, v3
	s_delay_alu instid0(VALU_DEP_3) | instskip(NEXT) | instid1(VALU_DEP_2)
	v_add3_u32 v0, v10, v0, v11
	v_add3_u32 v1, v4, v1, v6
	s_cbranch_scc0 .LBB457_800
	s_branch .LBB457_803
.LBB457_801:
	s_mov_b32 s36, -1
                                        ; implicit-def: $vgpr0
                                        ; implicit-def: $vgpr1
	s_branch .LBB457_806
.LBB457_802:
	v_dual_mov_b32 v2, v5 :: v_dual_mov_b32 v1, 0
.LBB457_803:
	s_and_b32 s44, s44, 3
	s_delay_alu instid0(SALU_CYCLE_1)
	s_cmp_eq_u32 s44, 0
	s_cbranch_scc1 .LBB457_806
; %bb.804:
	s_lshl_b32 s2, s35, 3
	s_mul_i32 s20, s35, 12
	s_add_u32 s2, s2, s16
	s_addc_u32 s3, s17, 0
	s_add_u32 s2, s2, 0xc4
	s_addc_u32 s3, s3, 0
	;; [unrolled: 2-line block ×3, first 2 shown]
.LBB457_805:                            ; =>This Inner Loop Header: Depth=1
	s_clause 0x1
	s_load_b64 s[46:47], s[20:21], 0x4
	s_load_b32 s35, s[20:21], 0xc
	s_load_b64 s[48:49], s[2:3], 0x0
	s_add_u32 s20, s20, 12
	s_addc_u32 s21, s21, 0
	s_add_u32 s2, s2, 8
	s_addc_u32 s3, s3, 0
	s_add_i32 s44, s44, -1
	s_delay_alu instid0(SALU_CYCLE_1) | instskip(SKIP_2) | instid1(VALU_DEP_1)
	s_cmp_lg_u32 s44, 0
	s_waitcnt vmcnt(0) lgkmcnt(0)
	v_mul_hi_u32 v3, s47, v2
	v_add_nc_u32_e32 v3, v2, v3
	s_delay_alu instid0(VALU_DEP_1) | instskip(NEXT) | instid1(VALU_DEP_1)
	v_lshrrev_b32_e32 v8, s35, v3
	v_mul_lo_u32 v3, v8, s46
	s_delay_alu instid0(VALU_DEP_1) | instskip(NEXT) | instid1(VALU_DEP_1)
	v_sub_nc_u32_e32 v2, v2, v3
	v_mad_u64_u32 v[3:4], null, v2, s48, v[0:1]
	v_mad_u64_u32 v[6:7], null, v2, s49, v[1:2]
	v_mov_b32_e32 v2, v8
	s_delay_alu instid0(VALU_DEP_2)
	v_dual_mov_b32 v0, v3 :: v_dual_mov_b32 v1, v6
	s_cbranch_scc1 .LBB457_805
.LBB457_806:
	s_and_not1_b32 vcc_lo, exec_lo, s36
	s_cbranch_vccnz .LBB457_809
; %bb.807:
	v_mul_hi_u32 v0, s9, v5
	s_and_not1_b32 vcc_lo, exec_lo, s33
	s_delay_alu instid0(VALU_DEP_1) | instskip(NEXT) | instid1(VALU_DEP_1)
	v_add_nc_u32_e32 v0, v5, v0
	v_lshrrev_b32_e32 v2, s10, v0
	s_delay_alu instid0(VALU_DEP_1) | instskip(NEXT) | instid1(VALU_DEP_1)
	v_mul_lo_u32 v0, v2, s8
	v_sub_nc_u32_e32 v1, v5, v0
	s_delay_alu instid0(VALU_DEP_1)
	v_mul_lo_u32 v0, v1, s12
	v_mul_lo_u32 v1, v1, s13
	s_cbranch_vccnz .LBB457_809
; %bb.808:
	s_waitcnt vmcnt(0)
	v_mul_hi_u32 v3, s18, v2
	s_delay_alu instid0(VALU_DEP_1) | instskip(NEXT) | instid1(VALU_DEP_1)
	v_add_nc_u32_e32 v3, v2, v3
	v_lshrrev_b32_e32 v3, s19, v3
	s_delay_alu instid0(VALU_DEP_1) | instskip(NEXT) | instid1(VALU_DEP_1)
	v_mul_lo_u32 v3, v3, s11
	v_sub_nc_u32_e32 v5, v2, v3
	s_delay_alu instid0(VALU_DEP_1) | instskip(NEXT) | instid1(VALU_DEP_1)
	v_mad_u64_u32 v[2:3], null, v5, s14, v[0:1]
	v_mad_u64_u32 v[3:4], null, v5, s15, v[1:2]
	s_delay_alu instid0(VALU_DEP_1)
	v_dual_mov_b32 v0, v2 :: v_dual_mov_b32 v1, v3
.LBB457_809:
	v_cmp_lt_i16_e64 s2, s31, 11
	s_delay_alu instid0(VALU_DEP_2) | instskip(NEXT) | instid1(VALU_DEP_1)
	v_add_co_u32 v1, s3, s6, v1
	v_add_co_ci_u32_e64 v2, null, s7, 0, s3
	s_delay_alu instid0(VALU_DEP_3)
	s_and_b32 vcc_lo, exec_lo, s2
	s_mov_b32 s6, 0
	s_cbranch_vccnz .LBB457_816
; %bb.810:
	v_cmp_gt_i16_e64 s2, s31, 25
	s_mov_b32 s3, 0
	s_delay_alu instid0(VALU_DEP_1)
	s_and_b32 vcc_lo, exec_lo, s2
	s_cbranch_vccz .LBB457_817
; %bb.811:
	v_cmp_gt_i16_e64 s2, s31, 28
	s_delay_alu instid0(VALU_DEP_1)
	s_and_b32 vcc_lo, exec_lo, s2
	s_cbranch_vccz .LBB457_818
; %bb.812:
	v_cmp_gt_i16_e64 s2, s31, 43
	;; [unrolled: 5-line block ×3, first 2 shown]
	s_delay_alu instid0(VALU_DEP_1)
	s_and_b32 vcc_lo, exec_lo, s2
	s_cbranch_vccz .LBB457_822
; %bb.814:
	v_cmp_eq_u16_e64 s2, s31, 46
	s_mov_b32 s7, 0
	s_delay_alu instid0(VALU_DEP_1)
	s_and_b32 vcc_lo, exec_lo, s2
	s_cbranch_vccz .LBB457_825
; %bb.815:
	global_load_b32 v3, v[1:2], off
	s_mov_b32 s2, 0
	s_mov_b32 s6, -1
	s_waitcnt vmcnt(0)
	v_lshlrev_b32_e32 v3, 16, v3
	s_delay_alu instid0(VALU_DEP_1)
	v_cvt_i32_f32_e32 v3, v3
	s_branch .LBB457_827
.LBB457_816:
	s_mov_b32 s7, -1
	s_mov_b32 s3, 0
	s_mov_b32 s2, s22
                                        ; implicit-def: $vgpr3
	s_branch .LBB457_886
.LBB457_817:
	s_mov_b32 s7, -1
	s_mov_b32 s2, s22
                                        ; implicit-def: $vgpr3
	s_branch .LBB457_854
.LBB457_818:
	s_mov_b32 s7, -1
	s_mov_b32 s2, s22
                                        ; implicit-def: $vgpr3
	s_branch .LBB457_837
.LBB457_819:
	s_mov_b32 s7, -1
	s_mov_b32 s2, s22
                                        ; implicit-def: $vgpr3
	s_branch .LBB457_832
.LBB457_820:
	s_or_saveexec_b32 s44, s44
                                        ; implicit-def: $sgpr45
	s_delay_alu instid0(SALU_CYCLE_1)
	s_xor_b32 exec_lo, exec_lo, s44
	s_cbranch_execz .LBB457_743
.LBB457_821:
	v_add_f32_e64 v6, 0x46000000, |v3|
	s_and_not1_b32 s23, s23, exec_lo
	s_mov_b32 s45, 0
	s_delay_alu instid0(VALU_DEP_1) | instskip(NEXT) | instid1(VALU_DEP_1)
	v_and_b32_e32 v6, 0xff, v6
	v_cmp_ne_u32_e32 vcc_lo, 0, v6
	s_and_b32 s46, vcc_lo, exec_lo
	s_delay_alu instid0(SALU_CYCLE_1)
	s_or_b32 s23, s23, s46
	s_or_b32 exec_lo, exec_lo, s44
	v_mov_b32_e32 v7, s45
	s_and_saveexec_b32 s44, s23
	s_cbranch_execnz .LBB457_744
	s_branch .LBB457_745
.LBB457_822:
	s_mov_b32 s7, -1
	s_mov_b32 s2, s22
	s_branch .LBB457_826
.LBB457_823:
	s_or_saveexec_b32 s44, s44
                                        ; implicit-def: $sgpr45
	s_delay_alu instid0(SALU_CYCLE_1)
	s_xor_b32 exec_lo, exec_lo, s44
	s_cbranch_execz .LBB457_756
.LBB457_824:
	v_add_f32_e64 v6, 0x42800000, |v3|
	s_and_not1_b32 s23, s23, exec_lo
	s_mov_b32 s45, 0
	s_delay_alu instid0(VALU_DEP_1) | instskip(NEXT) | instid1(VALU_DEP_1)
	v_and_b32_e32 v6, 0xff, v6
	v_cmp_ne_u32_e32 vcc_lo, 0, v6
	s_and_b32 s46, vcc_lo, exec_lo
	s_delay_alu instid0(SALU_CYCLE_1)
	s_or_b32 s23, s23, s46
	s_or_b32 exec_lo, exec_lo, s44
	v_mov_b32_e32 v7, s45
	s_and_saveexec_b32 s44, s23
	s_cbranch_execnz .LBB457_757
	s_branch .LBB457_758
.LBB457_825:
	s_mov_b32 s2, -1
.LBB457_826:
                                        ; implicit-def: $vgpr3
.LBB457_827:
	s_and_b32 vcc_lo, exec_lo, s7
	s_cbranch_vccz .LBB457_831
; %bb.828:
	v_cmp_eq_u16_e64 s2, s31, 44
	s_delay_alu instid0(VALU_DEP_1)
	s_and_b32 vcc_lo, exec_lo, s2
	s_cbranch_vccz .LBB457_830
; %bb.829:
	global_load_u8 v3, v[1:2], off
	s_mov_b32 s2, 0
	s_mov_b32 s6, -1
	s_waitcnt vmcnt(0)
	v_lshlrev_b32_e32 v4, 23, v3
	v_cmp_ne_u32_e32 vcc_lo, 0, v3
	s_delay_alu instid0(VALU_DEP_2) | instskip(NEXT) | instid1(VALU_DEP_1)
	v_cvt_i32_f32_e32 v4, v4
	v_cndmask_b32_e32 v3, 0, v4, vcc_lo
	s_branch .LBB457_831
.LBB457_830:
	s_mov_b32 s2, -1
                                        ; implicit-def: $vgpr3
.LBB457_831:
	s_mov_b32 s7, 0
.LBB457_832:
	s_delay_alu instid0(SALU_CYCLE_1)
	s_and_b32 vcc_lo, exec_lo, s7
	s_cbranch_vccz .LBB457_836
; %bb.833:
	v_cmp_eq_u16_e64 s2, s31, 29
	s_delay_alu instid0(VALU_DEP_1)
	s_and_b32 vcc_lo, exec_lo, s2
	s_cbranch_vccz .LBB457_835
; %bb.834:
	global_load_b64 v[3:4], v[1:2], off
	s_mov_b32 s2, 0
	s_mov_b32 s6, -1
	s_branch .LBB457_836
.LBB457_835:
	s_mov_b32 s2, -1
                                        ; implicit-def: $vgpr3
.LBB457_836:
	s_mov_b32 s7, 0
.LBB457_837:
	s_delay_alu instid0(SALU_CYCLE_1)
	s_and_b32 vcc_lo, exec_lo, s7
	s_cbranch_vccz .LBB457_853
; %bb.838:
	v_cmp_lt_i16_e64 s6, s31, 27
	s_delay_alu instid0(VALU_DEP_1)
	s_and_b32 vcc_lo, exec_lo, s6
	s_cbranch_vccnz .LBB457_841
; %bb.839:
	v_cmp_gt_i16_e64 s6, s31, 27
	s_delay_alu instid0(VALU_DEP_1)
	s_and_b32 vcc_lo, exec_lo, s6
	s_cbranch_vccz .LBB457_842
; %bb.840:
	global_load_b32 v3, v[1:2], off
	s_mov_b32 s6, 0
	s_branch .LBB457_843
.LBB457_841:
	s_mov_b32 s6, -1
                                        ; implicit-def: $vgpr3
	s_branch .LBB457_846
.LBB457_842:
	s_mov_b32 s6, -1
                                        ; implicit-def: $vgpr3
.LBB457_843:
	s_delay_alu instid0(SALU_CYCLE_1)
	s_and_not1_b32 vcc_lo, exec_lo, s6
	s_cbranch_vccnz .LBB457_845
; %bb.844:
	global_load_u16 v3, v[1:2], off
.LBB457_845:
	s_mov_b32 s6, 0
.LBB457_846:
	s_delay_alu instid0(SALU_CYCLE_1)
	s_and_not1_b32 vcc_lo, exec_lo, s6
	s_cbranch_vccnz .LBB457_852
; %bb.847:
	global_load_u8 v4, v[1:2], off
	s_mov_b32 s6, 0
	s_mov_b32 s7, exec_lo
                                        ; implicit-def: $sgpr8
	s_waitcnt vmcnt(0)
	v_cmpx_lt_i16_e32 0x7f, v4
	s_xor_b32 s7, exec_lo, s7
	s_cbranch_execz .LBB457_864
; %bb.848:
	v_cmp_ne_u16_e32 vcc_lo, 0x80, v4
	s_mov_b32 s8, 0
	s_and_b32 s6, vcc_lo, exec_lo
	s_or_saveexec_b32 s7, s7
	v_mov_b32_e32 v3, s8
	s_xor_b32 exec_lo, exec_lo, s7
	s_cbranch_execnz .LBB457_865
.LBB457_849:
	s_or_b32 exec_lo, exec_lo, s7
	s_and_saveexec_b32 s7, s6
	s_cbranch_execz .LBB457_851
.LBB457_850:
	v_and_b32_e32 v3, 0xffff, v4
	s_delay_alu instid0(VALU_DEP_1) | instskip(NEXT) | instid1(VALU_DEP_1)
	v_and_b32_e32 v5, 7, v3
	v_clz_i32_u32_e32 v6, v5
	s_delay_alu instid0(VALU_DEP_1) | instskip(NEXT) | instid1(VALU_DEP_1)
	v_min_u32_e32 v6, 32, v6
	v_subrev_nc_u32_e32 v7, 28, v6
	v_sub_nc_u32_e32 v6, 29, v6
	s_delay_alu instid0(VALU_DEP_2) | instskip(SKIP_1) | instid1(VALU_DEP_2)
	v_lshlrev_b32_e32 v7, v7, v3
	v_bfe_u32 v3, v3, 3, 4
	v_and_b32_e32 v7, 7, v7
	s_delay_alu instid0(VALU_DEP_2) | instskip(SKIP_1) | instid1(VALU_DEP_1)
	v_cmp_eq_u32_e32 vcc_lo, 0, v3
	v_dual_cndmask_b32 v3, v3, v6 :: v_dual_lshlrev_b32 v4, 24, v4
	v_dual_cndmask_b32 v5, v5, v7 :: v_dual_and_b32 v4, 0x80000000, v4
	s_delay_alu instid0(VALU_DEP_2) | instskip(NEXT) | instid1(VALU_DEP_2)
	v_lshl_add_u32 v3, v3, 23, 0x3b800000
	v_lshlrev_b32_e32 v5, 20, v5
	s_delay_alu instid0(VALU_DEP_1) | instskip(NEXT) | instid1(VALU_DEP_1)
	v_or3_b32 v3, v4, v3, v5
	v_cvt_i32_f32_e32 v3, v3
.LBB457_851:
	s_or_b32 exec_lo, exec_lo, s7
.LBB457_852:
	s_mov_b32 s6, -1
.LBB457_853:
	s_mov_b32 s7, 0
.LBB457_854:
	s_delay_alu instid0(SALU_CYCLE_1)
	s_and_b32 vcc_lo, exec_lo, s7
	s_cbranch_vccz .LBB457_885
; %bb.855:
	v_cmp_gt_i16_e64 s3, s31, 22
	s_delay_alu instid0(VALU_DEP_1)
	s_and_b32 vcc_lo, exec_lo, s3
	s_cbranch_vccz .LBB457_863
; %bb.856:
	v_cmp_lt_i16_e64 s3, s31, 24
	s_delay_alu instid0(VALU_DEP_1)
	s_and_b32 vcc_lo, exec_lo, s3
	s_cbranch_vccnz .LBB457_866
; %bb.857:
	v_cmp_gt_i16_e64 s3, s31, 24
	s_delay_alu instid0(VALU_DEP_1)
	s_and_b32 vcc_lo, exec_lo, s3
	s_cbranch_vccz .LBB457_867
; %bb.858:
	global_load_u8 v4, v[1:2], off
	s_mov_b32 s3, 0
	s_mov_b32 s6, exec_lo
                                        ; implicit-def: $sgpr7
	s_waitcnt vmcnt(0)
	v_cmpx_lt_i16_e32 0x7f, v4
	s_xor_b32 s6, exec_lo, s6
	s_cbranch_execz .LBB457_879
; %bb.859:
	v_cmp_ne_u16_e32 vcc_lo, 0x80, v4
	s_mov_b32 s7, 0
	s_and_b32 s3, vcc_lo, exec_lo
	s_or_saveexec_b32 s6, s6
	v_mov_b32_e32 v3, s7
	s_xor_b32 exec_lo, exec_lo, s6
	s_cbranch_execnz .LBB457_880
.LBB457_860:
	s_or_b32 exec_lo, exec_lo, s6
	s_and_saveexec_b32 s6, s3
	s_cbranch_execz .LBB457_862
.LBB457_861:
	v_and_b32_e32 v3, 0xffff, v4
	s_delay_alu instid0(VALU_DEP_1) | instskip(NEXT) | instid1(VALU_DEP_1)
	v_and_b32_e32 v5, 3, v3
	v_clz_i32_u32_e32 v6, v5
	s_delay_alu instid0(VALU_DEP_1) | instskip(NEXT) | instid1(VALU_DEP_1)
	v_min_u32_e32 v6, 32, v6
	v_subrev_nc_u32_e32 v7, 29, v6
	v_sub_nc_u32_e32 v6, 30, v6
	s_delay_alu instid0(VALU_DEP_2) | instskip(SKIP_1) | instid1(VALU_DEP_2)
	v_lshlrev_b32_e32 v7, v7, v3
	v_bfe_u32 v3, v3, 2, 5
	v_and_b32_e32 v7, 3, v7
	s_delay_alu instid0(VALU_DEP_2) | instskip(SKIP_1) | instid1(VALU_DEP_1)
	v_cmp_eq_u32_e32 vcc_lo, 0, v3
	v_dual_cndmask_b32 v3, v3, v6 :: v_dual_lshlrev_b32 v4, 24, v4
	v_dual_cndmask_b32 v5, v5, v7 :: v_dual_and_b32 v4, 0x80000000, v4
	s_delay_alu instid0(VALU_DEP_2) | instskip(NEXT) | instid1(VALU_DEP_2)
	v_lshl_add_u32 v3, v3, 23, 0x37800000
	v_lshlrev_b32_e32 v5, 21, v5
	s_delay_alu instid0(VALU_DEP_1) | instskip(NEXT) | instid1(VALU_DEP_1)
	v_or3_b32 v3, v4, v3, v5
	v_cvt_i32_f32_e32 v3, v3
.LBB457_862:
	s_or_b32 exec_lo, exec_lo, s6
	s_mov_b32 s3, 0
	s_branch .LBB457_868
.LBB457_863:
	s_mov_b32 s3, -1
                                        ; implicit-def: $vgpr3
	s_branch .LBB457_874
.LBB457_864:
	s_or_saveexec_b32 s7, s7
	v_mov_b32_e32 v3, s8
	s_xor_b32 exec_lo, exec_lo, s7
	s_cbranch_execz .LBB457_849
.LBB457_865:
	v_cmp_ne_u16_e32 vcc_lo, 0, v4
	v_mov_b32_e32 v3, 0
	s_and_not1_b32 s6, s6, exec_lo
	s_and_b32 s8, vcc_lo, exec_lo
	s_delay_alu instid0(SALU_CYCLE_1)
	s_or_b32 s6, s6, s8
	s_or_b32 exec_lo, exec_lo, s7
	s_and_saveexec_b32 s7, s6
	s_cbranch_execnz .LBB457_850
	s_branch .LBB457_851
.LBB457_866:
	s_mov_b32 s3, -1
                                        ; implicit-def: $vgpr3
	s_branch .LBB457_871
.LBB457_867:
	s_mov_b32 s3, -1
                                        ; implicit-def: $vgpr3
.LBB457_868:
	s_delay_alu instid0(SALU_CYCLE_1)
	s_and_b32 vcc_lo, exec_lo, s3
	s_cbranch_vccz .LBB457_870
; %bb.869:
	global_load_u8 v3, v[1:2], off
	s_waitcnt vmcnt(0)
	v_lshlrev_b32_e32 v3, 24, v3
	s_delay_alu instid0(VALU_DEP_1) | instskip(NEXT) | instid1(VALU_DEP_1)
	v_and_b32_e32 v4, 0x7f000000, v3
	v_clz_i32_u32_e32 v5, v4
	v_add_nc_u32_e32 v7, 0x1000000, v4
	v_cmp_ne_u32_e32 vcc_lo, 0, v4
	s_delay_alu instid0(VALU_DEP_3) | instskip(NEXT) | instid1(VALU_DEP_1)
	v_min_u32_e32 v5, 32, v5
	v_sub_nc_u32_e64 v5, v5, 4 clamp
	s_delay_alu instid0(VALU_DEP_1) | instskip(SKIP_1) | instid1(VALU_DEP_2)
	v_lshlrev_b32_e32 v6, v5, v4
	v_lshlrev_b32_e32 v5, 23, v5
	v_lshrrev_b32_e32 v6, 4, v6
	s_delay_alu instid0(VALU_DEP_1) | instskip(SKIP_1) | instid1(VALU_DEP_2)
	v_sub_nc_u32_e32 v5, v6, v5
	v_ashrrev_i32_e32 v6, 8, v7
	v_add_nc_u32_e32 v5, 0x3c000000, v5
	s_delay_alu instid0(VALU_DEP_1) | instskip(NEXT) | instid1(VALU_DEP_1)
	v_and_or_b32 v5, 0x7f800000, v6, v5
	v_cndmask_b32_e32 v4, 0, v5, vcc_lo
	s_delay_alu instid0(VALU_DEP_1) | instskip(NEXT) | instid1(VALU_DEP_1)
	v_and_or_b32 v3, 0x80000000, v3, v4
	v_cvt_i32_f32_e32 v3, v3
.LBB457_870:
	s_mov_b32 s3, 0
.LBB457_871:
	s_delay_alu instid0(SALU_CYCLE_1)
	s_and_not1_b32 vcc_lo, exec_lo, s3
	s_cbranch_vccnz .LBB457_873
; %bb.872:
	global_load_u8 v3, v[1:2], off
	s_waitcnt vmcnt(0)
	v_lshlrev_b32_e32 v4, 25, v3
	v_lshlrev_b16 v3, 8, v3
	s_delay_alu instid0(VALU_DEP_2) | instskip(NEXT) | instid1(VALU_DEP_2)
	v_lshrrev_b32_e32 v5, 4, v4
	v_and_or_b32 v6, 0x7f00, v3, 0.5
	v_bfe_i32 v3, v3, 0, 16
	s_delay_alu instid0(VALU_DEP_3) | instskip(NEXT) | instid1(VALU_DEP_1)
	v_or_b32_e32 v5, 0x70000000, v5
	v_dual_add_f32 v6, -0.5, v6 :: v_dual_mul_f32 v5, 0x7800000, v5
	v_cmp_gt_u32_e32 vcc_lo, 0x8000000, v4
	s_delay_alu instid0(VALU_DEP_2) | instskip(NEXT) | instid1(VALU_DEP_1)
	v_cndmask_b32_e32 v4, v5, v6, vcc_lo
	v_and_or_b32 v3, 0x80000000, v3, v4
	s_delay_alu instid0(VALU_DEP_1)
	v_cvt_i32_f32_e32 v3, v3
.LBB457_873:
	s_mov_b32 s3, 0
	s_mov_b32 s6, -1
.LBB457_874:
	s_and_not1_b32 vcc_lo, exec_lo, s3
	s_mov_b32 s3, 0
	s_cbranch_vccnz .LBB457_885
; %bb.875:
	v_cmp_gt_i16_e64 s3, s31, 14
	s_delay_alu instid0(VALU_DEP_1)
	s_and_b32 vcc_lo, exec_lo, s3
	s_cbranch_vccz .LBB457_878
; %bb.876:
	v_cmp_eq_u16_e64 s2, s31, 15
	s_delay_alu instid0(VALU_DEP_1)
	s_and_b32 vcc_lo, exec_lo, s2
	s_cbranch_vccz .LBB457_881
; %bb.877:
	global_load_u16 v3, v[1:2], off
	s_mov_b32 s2, 0
	s_mov_b32 s6, -1
	s_waitcnt vmcnt(0)
	v_lshlrev_b32_e32 v3, 16, v3
	s_delay_alu instid0(VALU_DEP_1)
	v_cvt_i32_f32_e32 v3, v3
	s_branch .LBB457_882
.LBB457_878:
	s_mov_b32 s3, -1
                                        ; implicit-def: $vgpr3
	s_branch .LBB457_883
.LBB457_879:
	s_or_saveexec_b32 s6, s6
	v_mov_b32_e32 v3, s7
	s_xor_b32 exec_lo, exec_lo, s6
	s_cbranch_execz .LBB457_860
.LBB457_880:
	v_cmp_ne_u16_e32 vcc_lo, 0, v4
	v_mov_b32_e32 v3, 0
	s_and_not1_b32 s3, s3, exec_lo
	s_and_b32 s7, vcc_lo, exec_lo
	s_delay_alu instid0(SALU_CYCLE_1)
	s_or_b32 s3, s3, s7
	s_or_b32 exec_lo, exec_lo, s6
	s_and_saveexec_b32 s6, s3
	s_cbranch_execnz .LBB457_861
	s_branch .LBB457_862
.LBB457_881:
	s_mov_b32 s2, -1
                                        ; implicit-def: $vgpr3
.LBB457_882:
	s_mov_b32 s3, 0
.LBB457_883:
	s_delay_alu instid0(SALU_CYCLE_1)
	s_and_b32 vcc_lo, exec_lo, s3
	s_mov_b32 s3, 0
	s_cbranch_vccz .LBB457_885
; %bb.884:
	v_cmp_ne_u16_e64 s3, s31, 11
	s_and_not1_b32 s2, s2, exec_lo
                                        ; implicit-def: $vgpr3
	s_delay_alu instid0(VALU_DEP_1)
	s_and_b32 s7, s3, exec_lo
	s_mov_b32 s3, -1
	s_or_b32 s2, s2, s7
.LBB457_885:
	s_mov_b32 s7, 0
.LBB457_886:
	s_and_b32 s44, s6, exec_lo
	s_and_b32 s45, s7, exec_lo
	s_and_not1_b32 s6, s22, exec_lo
	s_and_b32 s7, s2, exec_lo
	s_and_b32 s2, s3, exec_lo
	s_or_b32 s46, s6, s7
.LBB457_887:
	s_or_b32 exec_lo, exec_lo, s34
	s_delay_alu instid0(SALU_CYCLE_1)
	s_and_not1_b32 s6, s22, exec_lo
	s_and_b32 s7, s46, exec_lo
	s_and_b32 s44, s44, exec_lo
	;; [unrolled: 1-line block ×4, first 2 shown]
	s_or_b32 s22, s6, s7
.LBB457_888:
	s_or_b32 exec_lo, exec_lo, s43
	s_delay_alu instid0(SALU_CYCLE_1)
	s_and_not1_b32 s6, s41, exec_lo
	s_and_b32 s7, s23, exec_lo
	s_and_b32 s43, s44, exec_lo
	s_or_b32 s41, s6, s7
	s_and_not1_b32 s6, s40, exec_lo
	s_and_b32 s7, s22, exec_lo
	s_and_b32 s23, s3, exec_lo
	;; [unrolled: 1-line block ×3, first 2 shown]
	s_or_b32 s40, s6, s7
.LBB457_889:
	s_or_b32 exec_lo, exec_lo, s42
	s_delay_alu instid0(SALU_CYCLE_1)
	s_and_not1_b32 s2, s37, exec_lo
	s_and_b32 s6, s41, exec_lo
	s_and_b32 s7, s40, exec_lo
	s_or_b32 s37, s2, s6
	s_and_not1_b32 s6, s38, exec_lo
	s_and_b32 s2, s43, exec_lo
	s_and_b32 s22, s23, exec_lo
	;; [unrolled: 1-line block ×3, first 2 shown]
	s_or_b32 s38, s6, s7
.LBB457_890:
	s_or_b32 exec_lo, exec_lo, s39
	s_mov_b32 s3, 0
	s_and_saveexec_b32 s6, s38
	s_cbranch_execnz .LBB457_902
; %bb.891:
	s_or_b32 exec_lo, exec_lo, s6
	s_and_saveexec_b32 s6, s40
	s_delay_alu instid0(SALU_CYCLE_1)
	s_xor_b32 s6, exec_lo, s6
	s_cbranch_execz .LBB457_893
.LBB457_892:
	global_load_u8 v3, v[1:2], off
	s_or_b32 s2, s2, exec_lo
	s_waitcnt vmcnt(0)
	v_cmp_ne_u16_e32 vcc_lo, 0, v3
	v_cndmask_b32_e64 v3, 0, 1, vcc_lo
.LBB457_893:
	s_or_b32 exec_lo, exec_lo, s6
	s_and_saveexec_b32 s6, s22
	s_cbranch_execz .LBB457_941
; %bb.894:
	v_cmp_lt_i16_e64 s7, s31, 5
	s_delay_alu instid0(VALU_DEP_1)
	s_and_b32 vcc_lo, exec_lo, s7
	s_cbranch_vccnz .LBB457_899
; %bb.895:
	v_cmp_lt_i16_e64 s7, s31, 8
	s_delay_alu instid0(VALU_DEP_1)
	s_and_b32 vcc_lo, exec_lo, s7
	s_cbranch_vccnz .LBB457_900
	;; [unrolled: 5-line block ×3, first 2 shown]
; %bb.897:
	v_cmp_gt_i16_e64 s7, s31, 9
	s_delay_alu instid0(VALU_DEP_1)
	s_and_b32 vcc_lo, exec_lo, s7
	s_cbranch_vccz .LBB457_904
; %bb.898:
	global_load_b64 v[3:4], v[1:2], off
	s_mov_b32 s7, 0
	s_waitcnt vmcnt(0)
	v_cvt_i32_f64_e32 v3, v[3:4]
	s_branch .LBB457_905
.LBB457_899:
                                        ; implicit-def: $vgpr3
	s_branch .LBB457_922
.LBB457_900:
                                        ; implicit-def: $vgpr3
	s_branch .LBB457_911
.LBB457_901:
	s_mov_b32 s7, -1
                                        ; implicit-def: $vgpr3
	s_branch .LBB457_908
.LBB457_902:
	s_cbranch_execnz .LBB457_1172
; %bb.903:
	s_mov_b32 s3, exec_lo
	s_and_not1_b32 s40, s40, exec_lo
                                        ; implicit-def: $vgpr3
	s_or_b32 exec_lo, exec_lo, s6
	s_and_saveexec_b32 s6, s40
	s_delay_alu instid0(SALU_CYCLE_1)
	s_xor_b32 s6, exec_lo, s6
	s_cbranch_execnz .LBB457_892
	s_branch .LBB457_893
.LBB457_904:
	s_mov_b32 s7, -1
                                        ; implicit-def: $vgpr3
.LBB457_905:
	s_delay_alu instid0(SALU_CYCLE_1)
	s_and_not1_b32 vcc_lo, exec_lo, s7
	s_cbranch_vccnz .LBB457_907
; %bb.906:
	global_load_b32 v3, v[1:2], off
	s_waitcnt vmcnt(0)
	v_cvt_i32_f32_e32 v3, v3
.LBB457_907:
	s_mov_b32 s7, 0
.LBB457_908:
	s_delay_alu instid0(SALU_CYCLE_1)
	s_and_not1_b32 vcc_lo, exec_lo, s7
	s_cbranch_vccnz .LBB457_910
; %bb.909:
	global_load_b32 v3, v[1:2], off
	s_waitcnt vmcnt(0)
	v_cvt_i16_f16_e32 v3, v3
.LBB457_910:
	s_cbranch_execnz .LBB457_921
.LBB457_911:
	v_cmp_lt_i16_e64 s7, s31, 6
	s_delay_alu instid0(VALU_DEP_1)
	s_and_b32 vcc_lo, exec_lo, s7
	s_cbranch_vccnz .LBB457_914
; %bb.912:
	v_cmp_gt_i16_e64 s7, s31, 6
	s_delay_alu instid0(VALU_DEP_1)
	s_and_b32 vcc_lo, exec_lo, s7
	s_cbranch_vccz .LBB457_915
; %bb.913:
	global_load_b64 v[3:4], v[1:2], off
	s_mov_b32 s7, 0
	s_waitcnt vmcnt(0)
	v_cvt_i32_f64_e32 v3, v[3:4]
	s_branch .LBB457_916
.LBB457_914:
	s_mov_b32 s7, -1
                                        ; implicit-def: $vgpr3
	s_branch .LBB457_919
.LBB457_915:
	s_mov_b32 s7, -1
                                        ; implicit-def: $vgpr3
.LBB457_916:
	s_delay_alu instid0(SALU_CYCLE_1)
	s_and_not1_b32 vcc_lo, exec_lo, s7
	s_cbranch_vccnz .LBB457_918
; %bb.917:
	global_load_b32 v3, v[1:2], off
	s_waitcnt vmcnt(0)
	v_cvt_i32_f32_e32 v3, v3
.LBB457_918:
	s_mov_b32 s7, 0
.LBB457_919:
	s_delay_alu instid0(SALU_CYCLE_1)
	s_and_not1_b32 vcc_lo, exec_lo, s7
	s_cbranch_vccnz .LBB457_921
; %bb.920:
	global_load_u16 v3, v[1:2], off
	s_waitcnt vmcnt(0)
	v_cvt_i16_f16_e32 v3, v3
.LBB457_921:
	s_cbranch_execnz .LBB457_940
.LBB457_922:
	v_cmp_lt_i16_e64 s7, s31, 2
	s_delay_alu instid0(VALU_DEP_1)
	s_and_b32 vcc_lo, exec_lo, s7
	s_cbranch_vccnz .LBB457_926
; %bb.923:
	v_cmp_lt_i16_e64 s7, s31, 3
	s_delay_alu instid0(VALU_DEP_1)
	s_and_b32 vcc_lo, exec_lo, s7
	s_cbranch_vccnz .LBB457_927
; %bb.924:
	v_cmp_gt_i16_e64 s7, s31, 3
	s_delay_alu instid0(VALU_DEP_1)
	s_and_b32 vcc_lo, exec_lo, s7
	s_cbranch_vccz .LBB457_928
; %bb.925:
	global_load_b64 v[3:4], v[1:2], off
	s_mov_b32 s7, 0
	s_branch .LBB457_929
.LBB457_926:
                                        ; implicit-def: $vgpr3
	s_branch .LBB457_935
.LBB457_927:
	s_mov_b32 s7, -1
                                        ; implicit-def: $vgpr3
	s_branch .LBB457_932
.LBB457_928:
	s_mov_b32 s7, -1
                                        ; implicit-def: $vgpr3
.LBB457_929:
	s_delay_alu instid0(SALU_CYCLE_1)
	s_and_not1_b32 vcc_lo, exec_lo, s7
	s_cbranch_vccnz .LBB457_931
; %bb.930:
	global_load_b32 v3, v[1:2], off
.LBB457_931:
	s_mov_b32 s7, 0
.LBB457_932:
	s_delay_alu instid0(SALU_CYCLE_1)
	s_and_not1_b32 vcc_lo, exec_lo, s7
	s_cbranch_vccnz .LBB457_934
; %bb.933:
	global_load_u16 v3, v[1:2], off
.LBB457_934:
	s_cbranch_execnz .LBB457_940
.LBB457_935:
	v_cmp_gt_i16_e64 s7, s31, 0
	s_delay_alu instid0(VALU_DEP_1)
	s_and_b32 vcc_lo, exec_lo, s7
	s_mov_b32 s7, 0
	s_cbranch_vccz .LBB457_937
; %bb.936:
	global_load_i8 v3, v[1:2], off
	s_branch .LBB457_938
.LBB457_937:
	s_mov_b32 s7, -1
                                        ; implicit-def: $vgpr3
.LBB457_938:
	s_delay_alu instid0(SALU_CYCLE_1)
	s_and_not1_b32 vcc_lo, exec_lo, s7
	s_cbranch_vccnz .LBB457_940
; %bb.939:
	global_load_u8 v3, v[1:2], off
.LBB457_940:
	s_or_b32 s2, s2, exec_lo
.LBB457_941:
	s_or_b32 exec_lo, exec_lo, s6
	s_mov_b32 s8, 0
	s_mov_b32 s7, 0
                                        ; implicit-def: $vgpr5
                                        ; implicit-def: $vgpr1_vgpr2
                                        ; implicit-def: $vgpr4
	s_and_saveexec_b32 s6, s2
	s_cbranch_execz .LBB457_1018
; %bb.942:
	v_and_b32_e64 v5, 0xff, s30
	v_add_co_u32 v1, s2, s4, v0
	s_waitcnt vmcnt(0)
	s_delay_alu instid0(VALU_DEP_3)
	v_min_i16 v4, v3, s29
	v_add_co_ci_u32_e64 v2, null, s5, 0, s2
	v_cmp_gt_i16_e32 vcc_lo, 11, v5
	s_mov_b32 s4, -1
	s_mov_b32 s2, s37
	s_cbranch_vccnz .LBB457_1017
; %bb.943:
	v_cmp_lt_i16_e32 vcc_lo, 25, v5
	s_mov_b32 s2, s37
	s_cbranch_vccz .LBB457_976
; %bb.944:
	v_cmp_lt_i16_e32 vcc_lo, 28, v5
	s_mov_b32 s2, s37
	s_cbranch_vccz .LBB457_960
	;; [unrolled: 4-line block ×4, first 2 shown]
; %bb.947:
	v_cmp_eq_u16_e32 vcc_lo, 46, v5
	s_mov_b32 s2, -1
	s_cbranch_vccz .LBB457_949
; %bb.948:
	v_bfe_i32 v0, v4, 0, 16
	s_mov_b32 s2, 0
	s_delay_alu instid0(VALU_DEP_1) | instskip(NEXT) | instid1(VALU_DEP_1)
	v_cvt_f32_i32_e32 v0, v0
	v_bfe_u32 v3, v0, 16, 1
	s_delay_alu instid0(VALU_DEP_1) | instskip(NEXT) | instid1(VALU_DEP_1)
	v_add3_u32 v0, v0, v3, 0x7fff
	v_lshrrev_b32_e32 v0, 16, v0
	global_store_b32 v[1:2], v0, off
.LBB457_949:
	s_mov_b32 s4, 0
.LBB457_950:
	s_delay_alu instid0(SALU_CYCLE_1)
	s_and_b32 vcc_lo, exec_lo, s4
	s_cbranch_vccz .LBB457_955
; %bb.951:
	v_cmp_eq_u16_e32 vcc_lo, 44, v5
	s_mov_b32 s2, -1
	s_cbranch_vccz .LBB457_955
; %bb.952:
	v_bfe_i32 v0, v4, 0, 16
	v_mov_b32_e32 v3, 0xff
	s_mov_b32 s4, exec_lo
	s_delay_alu instid0(VALU_DEP_2) | instskip(NEXT) | instid1(VALU_DEP_1)
	v_cvt_f32_i32_e32 v0, v0
	v_bfe_u32 v6, v0, 23, 8
	s_delay_alu instid0(VALU_DEP_1)
	v_cmpx_ne_u32_e32 0xff, v6
; %bb.953:
	v_and_b32_e32 v3, 0x400000, v0
	v_and_or_b32 v6, 0x3fffff, v0, v6
	v_lshrrev_b32_e32 v0, 23, v0
	s_delay_alu instid0(VALU_DEP_3) | instskip(NEXT) | instid1(VALU_DEP_3)
	v_cmp_ne_u32_e32 vcc_lo, 0, v3
	v_cmp_ne_u32_e64 s2, 0, v6
	s_delay_alu instid0(VALU_DEP_1) | instskip(NEXT) | instid1(SALU_CYCLE_1)
	s_and_b32 s2, vcc_lo, s2
	v_cndmask_b32_e64 v3, 0, 1, s2
	s_delay_alu instid0(VALU_DEP_1)
	v_add_nc_u32_e32 v3, v0, v3
; %bb.954:
	s_or_b32 exec_lo, exec_lo, s4
	s_mov_b32 s2, 0
	global_store_b8 v[1:2], v3, off
.LBB457_955:
	s_mov_b32 s4, 0
.LBB457_956:
	s_delay_alu instid0(SALU_CYCLE_1)
	s_and_b32 vcc_lo, exec_lo, s4
	s_cbranch_vccz .LBB457_959
; %bb.957:
	v_cmp_eq_u16_e32 vcc_lo, 29, v5
	s_mov_b32 s2, -1
	s_cbranch_vccz .LBB457_959
; %bb.958:
	v_bfe_i32 v6, v4, 0, 16
	s_mov_b32 s2, 0
	s_delay_alu instid0(VALU_DEP_1)
	v_ashrrev_i32_e32 v7, 31, v6
	global_store_b64 v[1:2], v[6:7], off
.LBB457_959:
	s_mov_b32 s4, 0
.LBB457_960:
	s_delay_alu instid0(SALU_CYCLE_1)
	s_and_b32 vcc_lo, exec_lo, s4
	s_cbranch_vccz .LBB457_975
; %bb.961:
	v_cmp_gt_i16_e32 vcc_lo, 27, v5
	s_mov_b32 s4, -1
	s_cbranch_vccnz .LBB457_967
; %bb.962:
	v_cmp_lt_i16_e32 vcc_lo, 27, v5
	s_cbranch_vccz .LBB457_964
; %bb.963:
	v_bfe_i32 v0, v4, 0, 16
	s_mov_b32 s4, 0
	global_store_b32 v[1:2], v0, off
.LBB457_964:
	s_and_not1_b32 vcc_lo, exec_lo, s4
	s_cbranch_vccnz .LBB457_966
; %bb.965:
	global_store_b16 v[1:2], v4, off
.LBB457_966:
	s_mov_b32 s4, 0
.LBB457_967:
	s_delay_alu instid0(SALU_CYCLE_1)
	s_and_not1_b32 vcc_lo, exec_lo, s4
	s_cbranch_vccnz .LBB457_975
; %bb.968:
	v_bfe_i32 v0, v4, 0, 16
	v_mov_b32_e32 v6, 0x80
	s_mov_b32 s4, exec_lo
	s_delay_alu instid0(VALU_DEP_2) | instskip(NEXT) | instid1(VALU_DEP_1)
	v_cvt_f32_i32_e32 v0, v0
	v_and_b32_e32 v3, 0x7fffffff, v0
	s_delay_alu instid0(VALU_DEP_1)
	v_cmpx_gt_u32_e32 0x43800000, v3
	s_cbranch_execz .LBB457_974
; %bb.969:
	v_cmp_lt_u32_e32 vcc_lo, 0x3bffffff, v3
	s_mov_b32 s5, 0
                                        ; implicit-def: $vgpr3
	s_and_saveexec_b32 s7, vcc_lo
	s_delay_alu instid0(SALU_CYCLE_1)
	s_xor_b32 s7, exec_lo, s7
	s_cbranch_execz .LBB457_1258
; %bb.970:
	v_bfe_u32 v3, v0, 20, 1
	s_mov_b32 s5, exec_lo
	s_delay_alu instid0(VALU_DEP_1) | instskip(NEXT) | instid1(VALU_DEP_1)
	v_add3_u32 v3, v0, v3, 0x487ffff
	v_lshrrev_b32_e32 v3, 20, v3
	s_or_saveexec_b32 s7, s7
                                        ; implicit-def: $sgpr8
	s_delay_alu instid0(SALU_CYCLE_1)
	s_xor_b32 exec_lo, exec_lo, s7
	s_cbranch_execnz .LBB457_1259
.LBB457_971:
	s_or_b32 exec_lo, exec_lo, s7
	v_mov_b32_e32 v6, s8
	s_and_saveexec_b32 s7, s5
.LBB457_972:
	v_lshrrev_b32_e32 v0, 24, v0
	s_delay_alu instid0(VALU_DEP_1)
	v_and_or_b32 v6, 0x80, v0, v3
.LBB457_973:
	s_or_b32 exec_lo, exec_lo, s7
.LBB457_974:
	s_delay_alu instid0(SALU_CYCLE_1)
	s_or_b32 exec_lo, exec_lo, s4
	global_store_b8 v[1:2], v6, off
.LBB457_975:
	s_mov_b32 s4, 0
.LBB457_976:
	s_delay_alu instid0(SALU_CYCLE_1)
	s_and_b32 vcc_lo, exec_lo, s4
	s_mov_b32 s4, 0
	s_cbranch_vccz .LBB457_1016
; %bb.977:
	v_cmp_lt_i16_e32 vcc_lo, 22, v5
	s_mov_b32 s5, -1
	s_cbranch_vccz .LBB457_1009
; %bb.978:
	v_cmp_gt_i16_e32 vcc_lo, 24, v5
	s_cbranch_vccnz .LBB457_998
; %bb.979:
	v_cmp_lt_i16_e32 vcc_lo, 24, v5
	s_cbranch_vccz .LBB457_987
; %bb.980:
	v_bfe_i32 v0, v4, 0, 16
	v_mov_b32_e32 v6, 0x80
	s_mov_b32 s5, exec_lo
	s_delay_alu instid0(VALU_DEP_2) | instskip(NEXT) | instid1(VALU_DEP_1)
	v_cvt_f32_i32_e32 v0, v0
	v_and_b32_e32 v3, 0x7fffffff, v0
	s_delay_alu instid0(VALU_DEP_1)
	v_cmpx_gt_u32_e32 0x47800000, v3
	s_cbranch_execz .LBB457_986
; %bb.981:
	v_cmp_lt_u32_e32 vcc_lo, 0x37ffffff, v3
	s_mov_b32 s7, 0
                                        ; implicit-def: $vgpr3
	s_and_saveexec_b32 s8, vcc_lo
	s_delay_alu instid0(SALU_CYCLE_1)
	s_xor_b32 s8, exec_lo, s8
	s_cbranch_execz .LBB457_1302
; %bb.982:
	v_bfe_u32 v3, v0, 21, 1
	s_mov_b32 s7, exec_lo
	s_delay_alu instid0(VALU_DEP_1) | instskip(NEXT) | instid1(VALU_DEP_1)
	v_add3_u32 v3, v0, v3, 0x88fffff
	v_lshrrev_b32_e32 v3, 21, v3
	s_or_saveexec_b32 s8, s8
                                        ; implicit-def: $sgpr9
	s_delay_alu instid0(SALU_CYCLE_1)
	s_xor_b32 exec_lo, exec_lo, s8
	s_cbranch_execnz .LBB457_1303
.LBB457_983:
	s_or_b32 exec_lo, exec_lo, s8
	v_mov_b32_e32 v6, s9
	s_and_saveexec_b32 s8, s7
.LBB457_984:
	v_lshrrev_b32_e32 v0, 24, v0
	s_delay_alu instid0(VALU_DEP_1)
	v_and_or_b32 v6, 0x80, v0, v3
.LBB457_985:
	s_or_b32 exec_lo, exec_lo, s8
.LBB457_986:
	s_delay_alu instid0(SALU_CYCLE_1)
	s_or_b32 exec_lo, exec_lo, s5
	s_mov_b32 s5, 0
	global_store_b8 v[1:2], v6, off
.LBB457_987:
	s_and_b32 vcc_lo, exec_lo, s5
	s_cbranch_vccz .LBB457_997
; %bb.988:
	v_bfe_i32 v0, v4, 0, 16
	s_mov_b32 s5, exec_lo
                                        ; implicit-def: $vgpr3
	s_delay_alu instid0(VALU_DEP_1) | instskip(NEXT) | instid1(VALU_DEP_1)
	v_cvt_f32_i32_e32 v0, v0
	v_and_b32_e32 v6, 0x7fffffff, v0
	s_delay_alu instid0(VALU_DEP_1)
	v_cmpx_gt_u32_e32 0x43f00000, v6
	s_xor_b32 s5, exec_lo, s5
	s_cbranch_execz .LBB457_994
; %bb.989:
	s_mov_b32 s7, exec_lo
                                        ; implicit-def: $vgpr3
	v_cmpx_lt_u32_e32 0x3c7fffff, v6
	s_xor_b32 s7, exec_lo, s7
; %bb.990:
	v_bfe_u32 v3, v0, 20, 1
	s_delay_alu instid0(VALU_DEP_1) | instskip(NEXT) | instid1(VALU_DEP_1)
	v_add3_u32 v3, v0, v3, 0x407ffff
	v_and_b32_e32 v6, 0xff00000, v3
	v_lshrrev_b32_e32 v3, 20, v3
	s_delay_alu instid0(VALU_DEP_2) | instskip(NEXT) | instid1(VALU_DEP_2)
	v_cmp_ne_u32_e32 vcc_lo, 0x7f00000, v6
	v_cndmask_b32_e32 v3, 0x7e, v3, vcc_lo
; %bb.991:
	s_and_not1_saveexec_b32 s7, s7
; %bb.992:
	v_add_f32_e64 v3, 0x46800000, |v0|
; %bb.993:
	s_or_b32 exec_lo, exec_lo, s7
                                        ; implicit-def: $vgpr6
.LBB457_994:
	s_and_not1_saveexec_b32 s5, s5
; %bb.995:
	v_mov_b32_e32 v3, 0x7f
	v_cmp_lt_u32_e32 vcc_lo, 0x7f800000, v6
	s_delay_alu instid0(VALU_DEP_2)
	v_cndmask_b32_e32 v3, 0x7e, v3, vcc_lo
; %bb.996:
	s_or_b32 exec_lo, exec_lo, s5
	v_lshrrev_b32_e32 v0, 24, v0
	s_delay_alu instid0(VALU_DEP_1)
	v_and_or_b32 v0, 0x80, v0, v3
	global_store_b8 v[1:2], v0, off
.LBB457_997:
	s_mov_b32 s5, 0
.LBB457_998:
	s_delay_alu instid0(SALU_CYCLE_1)
	s_and_not1_b32 vcc_lo, exec_lo, s5
	s_cbranch_vccnz .LBB457_1008
; %bb.999:
	v_bfe_i32 v0, v4, 0, 16
	s_mov_b32 s5, exec_lo
                                        ; implicit-def: $vgpr3
	s_delay_alu instid0(VALU_DEP_1) | instskip(NEXT) | instid1(VALU_DEP_1)
	v_cvt_f32_i32_e32 v0, v0
	v_and_b32_e32 v6, 0x7fffffff, v0
	s_delay_alu instid0(VALU_DEP_1)
	v_cmpx_gt_u32_e32 0x47800000, v6
	s_xor_b32 s5, exec_lo, s5
	s_cbranch_execz .LBB457_1005
; %bb.1000:
	s_mov_b32 s7, exec_lo
                                        ; implicit-def: $vgpr3
	v_cmpx_lt_u32_e32 0x387fffff, v6
	s_xor_b32 s7, exec_lo, s7
; %bb.1001:
	v_bfe_u32 v3, v0, 21, 1
	s_delay_alu instid0(VALU_DEP_1) | instskip(NEXT) | instid1(VALU_DEP_1)
	v_add3_u32 v3, v0, v3, 0x80fffff
	v_lshrrev_b32_e32 v3, 21, v3
; %bb.1002:
	s_and_not1_saveexec_b32 s7, s7
; %bb.1003:
	v_add_f32_e64 v3, 0x43000000, |v0|
; %bb.1004:
	s_or_b32 exec_lo, exec_lo, s7
                                        ; implicit-def: $vgpr6
.LBB457_1005:
	s_and_not1_saveexec_b32 s5, s5
; %bb.1006:
	v_mov_b32_e32 v3, 0x7f
	v_cmp_lt_u32_e32 vcc_lo, 0x7f800000, v6
	s_delay_alu instid0(VALU_DEP_2)
	v_cndmask_b32_e32 v3, 0x7c, v3, vcc_lo
; %bb.1007:
	s_or_b32 exec_lo, exec_lo, s5
	v_lshrrev_b32_e32 v0, 24, v0
	s_delay_alu instid0(VALU_DEP_1)
	v_and_or_b32 v0, 0x80, v0, v3
	global_store_b8 v[1:2], v0, off
.LBB457_1008:
	s_mov_b32 s5, 0
.LBB457_1009:
	s_delay_alu instid0(SALU_CYCLE_1)
	s_and_not1_b32 vcc_lo, exec_lo, s5
	s_mov_b32 s8, 0
	s_cbranch_vccnz .LBB457_1017
; %bb.1010:
	v_cmp_lt_i16_e32 vcc_lo, 14, v5
	s_mov_b32 s5, -1
	s_cbranch_vccz .LBB457_1014
; %bb.1011:
	v_cmp_eq_u16_e32 vcc_lo, 15, v5
	s_mov_b32 s2, -1
	s_cbranch_vccz .LBB457_1013
; %bb.1012:
	v_bfe_i32 v0, v4, 0, 16
	s_mov_b32 s2, 0
	s_delay_alu instid0(VALU_DEP_1) | instskip(NEXT) | instid1(VALU_DEP_1)
	v_cvt_f32_i32_e32 v0, v0
	v_bfe_u32 v3, v0, 16, 1
	s_delay_alu instid0(VALU_DEP_1)
	v_add3_u32 v0, v0, v3, 0x7fff
	global_store_d16_hi_b16 v[1:2], v0, off
.LBB457_1013:
	s_mov_b32 s5, 0
.LBB457_1014:
	s_delay_alu instid0(SALU_CYCLE_1)
	s_and_b32 vcc_lo, exec_lo, s5
	s_cbranch_vccz .LBB457_1017
; %bb.1015:
	v_cmp_ne_u16_e32 vcc_lo, 11, v5
	s_and_not1_b32 s2, s2, exec_lo
	s_mov_b32 s8, -1
	s_and_b32 s5, vcc_lo, exec_lo
	s_delay_alu instid0(SALU_CYCLE_1)
	s_or_b32 s2, s2, s5
	s_branch .LBB457_1017
.LBB457_1016:
	s_mov_b32 s8, 0
.LBB457_1017:
	s_and_b32 s7, s4, exec_lo
	s_and_not1_b32 s4, s37, exec_lo
	s_and_b32 s2, s2, exec_lo
	s_and_b32 s8, s8, exec_lo
	s_or_b32 s37, s4, s2
.LBB457_1018:
	s_or_b32 exec_lo, exec_lo, s6
	s_and_saveexec_b32 s2, s37
	s_cbranch_execnz .LBB457_1132
; %bb.1019:
	s_or_b32 exec_lo, exec_lo, s2
	s_and_saveexec_b32 s2, s8
	s_delay_alu instid0(SALU_CYCLE_1)
	s_xor_b32 s2, exec_lo, s2
	s_cbranch_execz .LBB457_1021
.LBB457_1020:
	s_waitcnt vmcnt(0)
	v_cmp_ne_u16_e32 vcc_lo, 0, v4
	v_cndmask_b32_e64 v0, 0, 1, vcc_lo
	global_store_b8 v[1:2], v0, off
.LBB457_1021:
	s_or_b32 exec_lo, exec_lo, s2
	s_and_saveexec_b32 s2, s7
	s_delay_alu instid0(SALU_CYCLE_1)
	s_xor_b32 s2, exec_lo, s2
	s_cbranch_execz .LBB457_1059
; %bb.1022:
	v_cmp_gt_i16_e32 vcc_lo, 5, v5
	s_mov_b32 s4, -1
	s_cbranch_vccnz .LBB457_1043
; %bb.1023:
	v_cmp_gt_i16_e32 vcc_lo, 8, v5
	s_cbranch_vccnz .LBB457_1033
; %bb.1024:
	v_cmp_gt_i16_e32 vcc_lo, 9, v5
	s_cbranch_vccnz .LBB457_1030
; %bb.1025:
	v_cmp_lt_i16_e32 vcc_lo, 9, v5
	s_cbranch_vccz .LBB457_1027
; %bb.1026:
	s_waitcnt vmcnt(0)
	v_bfe_i32 v0, v4, 0, 16
	v_mov_b32_e32 v8, 0
	s_mov_b32 s4, 0
	s_delay_alu instid0(VALU_DEP_2) | instskip(NEXT) | instid1(VALU_DEP_2)
	v_cvt_f64_i32_e32 v[6:7], v0
	v_mov_b32_e32 v9, v8
	global_store_b128 v[1:2], v[6:9], off
.LBB457_1027:
	s_and_not1_b32 vcc_lo, exec_lo, s4
	s_cbranch_vccnz .LBB457_1029
; %bb.1028:
	s_waitcnt vmcnt(0)
	v_bfe_i32 v0, v4, 0, 16
	v_mov_b32_e32 v7, 0
	s_delay_alu instid0(VALU_DEP_2)
	v_cvt_f32_i32_e32 v6, v0
	global_store_b64 v[1:2], v[6:7], off
.LBB457_1029:
	s_mov_b32 s4, 0
.LBB457_1030:
	s_delay_alu instid0(SALU_CYCLE_1)
	s_and_not1_b32 vcc_lo, exec_lo, s4
	s_cbranch_vccnz .LBB457_1032
; %bb.1031:
	s_waitcnt vmcnt(0)
	v_cvt_f16_i16_e32 v0, v4
	s_delay_alu instid0(VALU_DEP_1)
	v_and_b32_e32 v0, 0xffff, v0
	global_store_b32 v[1:2], v0, off
.LBB457_1032:
	s_mov_b32 s4, 0
.LBB457_1033:
	s_delay_alu instid0(SALU_CYCLE_1)
	s_and_not1_b32 vcc_lo, exec_lo, s4
	s_cbranch_vccnz .LBB457_1042
; %bb.1034:
	v_cmp_gt_i16_e32 vcc_lo, 6, v5
	s_mov_b32 s4, -1
	s_cbranch_vccnz .LBB457_1040
; %bb.1035:
	v_cmp_lt_i16_e32 vcc_lo, 6, v5
	s_cbranch_vccz .LBB457_1037
; %bb.1036:
	s_waitcnt vmcnt(0)
	v_bfe_i32 v0, v4, 0, 16
	s_mov_b32 s4, 0
	s_delay_alu instid0(VALU_DEP_1)
	v_cvt_f64_i32_e32 v[6:7], v0
	global_store_b64 v[1:2], v[6:7], off
.LBB457_1037:
	s_and_not1_b32 vcc_lo, exec_lo, s4
	s_cbranch_vccnz .LBB457_1039
; %bb.1038:
	s_waitcnt vmcnt(0)
	v_bfe_i32 v0, v4, 0, 16
	s_delay_alu instid0(VALU_DEP_1)
	v_cvt_f32_i32_e32 v0, v0
	global_store_b32 v[1:2], v0, off
.LBB457_1039:
	s_mov_b32 s4, 0
.LBB457_1040:
	s_delay_alu instid0(SALU_CYCLE_1)
	s_and_not1_b32 vcc_lo, exec_lo, s4
	s_cbranch_vccnz .LBB457_1042
; %bb.1041:
	s_waitcnt vmcnt(0)
	v_cvt_f16_i16_e32 v0, v4
	global_store_b16 v[1:2], v0, off
.LBB457_1042:
	s_mov_b32 s4, 0
.LBB457_1043:
	s_delay_alu instid0(SALU_CYCLE_1)
	s_and_not1_b32 vcc_lo, exec_lo, s4
	s_cbranch_vccnz .LBB457_1059
; %bb.1044:
	v_cmp_gt_i16_e32 vcc_lo, 2, v5
	s_mov_b32 s4, -1
	s_cbranch_vccnz .LBB457_1054
; %bb.1045:
	v_cmp_gt_i16_e32 vcc_lo, 3, v5
	s_cbranch_vccnz .LBB457_1051
; %bb.1046:
	v_cmp_lt_i16_e32 vcc_lo, 3, v5
	s_cbranch_vccz .LBB457_1048
; %bb.1047:
	s_waitcnt vmcnt(0)
	v_bfe_i32 v6, v4, 0, 16
	s_mov_b32 s4, 0
	s_delay_alu instid0(VALU_DEP_1)
	v_ashrrev_i32_e32 v7, 31, v6
	global_store_b64 v[1:2], v[6:7], off
.LBB457_1048:
	s_and_not1_b32 vcc_lo, exec_lo, s4
	s_cbranch_vccnz .LBB457_1050
; %bb.1049:
	s_waitcnt vmcnt(0)
	v_bfe_i32 v0, v4, 0, 16
	global_store_b32 v[1:2], v0, off
.LBB457_1050:
	s_mov_b32 s4, 0
.LBB457_1051:
	s_delay_alu instid0(SALU_CYCLE_1)
	s_and_not1_b32 vcc_lo, exec_lo, s4
	s_cbranch_vccnz .LBB457_1053
; %bb.1052:
	s_waitcnt vmcnt(0)
	global_store_b16 v[1:2], v4, off
.LBB457_1053:
	s_mov_b32 s4, 0
.LBB457_1054:
	s_delay_alu instid0(SALU_CYCLE_1)
	s_and_not1_b32 vcc_lo, exec_lo, s4
	s_cbranch_vccnz .LBB457_1059
; %bb.1055:
	v_cmp_lt_i16_e32 vcc_lo, 0, v5
	s_mov_b32 s4, -1
	s_cbranch_vccz .LBB457_1057
; %bb.1056:
	s_mov_b32 s4, 0
	s_waitcnt vmcnt(0)
	global_store_b8 v[1:2], v4, off
.LBB457_1057:
	s_and_not1_b32 vcc_lo, exec_lo, s4
	s_cbranch_vccnz .LBB457_1059
; %bb.1058:
	s_waitcnt vmcnt(0)
	global_store_b8 v[1:2], v4, off
.LBB457_1059:
	s_or_b32 exec_lo, exec_lo, s2
	s_delay_alu instid0(SALU_CYCLE_1)
	s_and_b32 s8, s3, exec_lo
                                        ; implicit-def: $vgpr8
                                        ; implicit-def: $vgpr5
.LBB457_1060:
	s_or_saveexec_b32 s9, s28
	s_mov_b32 s3, 0
                                        ; implicit-def: $vgpr0_vgpr1
                                        ; implicit-def: $vgpr9
                                        ; implicit-def: $vgpr2
	s_xor_b32 exec_lo, exec_lo, s9
	s_cbranch_execz .LBB457_2059
; %bb.1061:
	v_cndmask_b32_e64 v0, 0, 1, s27
	s_and_not1_b32 vcc_lo, exec_lo, s27
	s_cbranch_vccnz .LBB457_1067
; %bb.1062:
	s_waitcnt vmcnt(0)
	v_mov_b32_e32 v3, 0
	v_mov_b32_e32 v7, 0
	s_cmp_lg_u32 s24, 0
	s_mov_b32 s6, 0
	s_cbranch_scc0 .LBB457_1071
; %bb.1063:
	s_min_u32 s7, s25, 15
	v_mov_b32_e32 v3, 0
	s_add_i32 s7, s7, 1
	s_cmp_eq_u32 s25, 2
	s_mov_b32 s10, 0
	s_cbranch_scc1 .LBB457_1068
; %bb.1064:
	v_mov_b32_e32 v7, 0
	v_mov_b32_e32 v3, 0
	;; [unrolled: 1-line block ×3, first 2 shown]
	s_add_u32 s2, s16, 0xc4
	s_addc_u32 s3, s17, 0
	s_and_b32 s10, s7, 28
	s_mov_b32 s11, 0
	s_mov_b64 s[4:5], s[16:17]
.LBB457_1065:                           ; =>This Inner Loop Header: Depth=1
	s_clause 0x1
	s_load_b256 s[36:43], s[4:5], 0x4
	s_load_b128 s[12:15], s[4:5], 0x24
	s_load_b256 s[44:51], s[2:3], 0x0
	s_add_u32 s4, s4, 48
	s_addc_u32 s5, s5, 0
	s_add_i32 s11, s11, 4
	s_add_u32 s2, s2, 32
	s_addc_u32 s3, s3, 0
	s_cmp_lg_u32 s10, s11
	s_waitcnt lgkmcnt(0)
	v_mul_hi_u32 v2, s37, v1
	s_delay_alu instid0(VALU_DEP_1) | instskip(NEXT) | instid1(VALU_DEP_1)
	v_add_nc_u32_e32 v2, v1, v2
	v_lshrrev_b32_e32 v2, s38, v2
	s_delay_alu instid0(VALU_DEP_1) | instskip(SKIP_1) | instid1(VALU_DEP_2)
	v_mul_hi_u32 v4, s40, v2
	v_mul_lo_u32 v9, v2, s36
	v_add_nc_u32_e32 v4, v2, v4
	s_delay_alu instid0(VALU_DEP_2) | instskip(NEXT) | instid1(VALU_DEP_2)
	v_sub_nc_u32_e32 v1, v1, v9
	v_lshrrev_b32_e32 v4, s41, v4
	s_delay_alu instid0(VALU_DEP_2) | instskip(SKIP_1) | instid1(VALU_DEP_3)
	v_mul_lo_u32 v9, v1, s44
	v_mul_lo_u32 v11, v1, s45
	v_mul_hi_u32 v6, s43, v4
	s_delay_alu instid0(VALU_DEP_1) | instskip(NEXT) | instid1(VALU_DEP_1)
	v_add_nc_u32_e32 v6, v4, v6
	v_lshrrev_b32_e32 v6, s12, v6
	s_delay_alu instid0(VALU_DEP_1) | instskip(SKIP_1) | instid1(VALU_DEP_2)
	v_mul_hi_u32 v10, s14, v6
	v_mul_lo_u32 v12, v6, s42
	v_add_nc_u32_e32 v1, v6, v10
	v_mul_lo_u32 v10, v4, s39
	s_delay_alu instid0(VALU_DEP_3) | instskip(NEXT) | instid1(VALU_DEP_3)
	v_sub_nc_u32_e32 v4, v4, v12
	v_lshrrev_b32_e32 v1, s15, v1
	s_delay_alu instid0(VALU_DEP_2) | instskip(SKIP_2) | instid1(VALU_DEP_4)
	v_mul_lo_u32 v12, v4, s48
	v_mul_lo_u32 v4, v4, s49
	v_sub_nc_u32_e32 v2, v2, v10
	v_mul_lo_u32 v13, v1, s13
	s_delay_alu instid0(VALU_DEP_2) | instskip(SKIP_1) | instid1(VALU_DEP_3)
	v_mul_lo_u32 v10, v2, s46
	v_mul_lo_u32 v2, v2, s47
	v_sub_nc_u32_e32 v6, v6, v13
	s_delay_alu instid0(VALU_DEP_3) | instskip(NEXT) | instid1(VALU_DEP_2)
	v_add3_u32 v3, v9, v3, v10
	v_mul_lo_u32 v13, v6, s50
	v_mul_lo_u32 v6, v6, s51
	v_add3_u32 v2, v11, v7, v2
	s_delay_alu instid0(VALU_DEP_3) | instskip(NEXT) | instid1(VALU_DEP_2)
	v_add3_u32 v3, v12, v3, v13
	v_add3_u32 v7, v4, v2, v6
	s_cbranch_scc1 .LBB457_1065
; %bb.1066:
	s_and_b32 s7, s7, 3
	s_delay_alu instid0(SALU_CYCLE_1)
	s_cmp_eq_u32 s7, 0
	s_cbranch_scc0 .LBB457_1069
	s_branch .LBB457_1071
.LBB457_1067:
	s_mov_b32 s6, -1
                                        ; implicit-def: $vgpr3
                                        ; implicit-def: $vgpr7
	s_branch .LBB457_1071
.LBB457_1068:
	v_mov_b32_e32 v1, v5
	v_mov_b32_e32 v7, 0
	s_and_b32 s7, s7, 3
	s_delay_alu instid0(SALU_CYCLE_1)
	s_cmp_eq_u32 s7, 0
	s_cbranch_scc1 .LBB457_1071
.LBB457_1069:
	s_lshl_b32 s2, s10, 3
	s_mul_i32 s4, s10, 12
	s_add_u32 s2, s2, s16
	s_addc_u32 s3, 0, s17
	s_add_u32 s2, s2, 0xc4
	s_addc_u32 s3, s3, 0
	;; [unrolled: 2-line block ×3, first 2 shown]
	.p2align	6
.LBB457_1070:                           ; =>This Inner Loop Header: Depth=1
	s_clause 0x1
	s_load_b64 s[10:11], s[4:5], 0x4
	s_load_b32 s14, s[4:5], 0xc
	s_load_b64 s[12:13], s[2:3], 0x0
	s_add_u32 s4, s4, 12
	s_addc_u32 s5, s5, 0
	s_add_u32 s2, s2, 8
	s_addc_u32 s3, s3, 0
	s_add_i32 s7, s7, -1
	s_delay_alu instid0(SALU_CYCLE_1) | instskip(SKIP_2) | instid1(VALU_DEP_1)
	s_cmp_lg_u32 s7, 0
	s_waitcnt lgkmcnt(0)
	v_mul_hi_u32 v2, s11, v1
	v_add_nc_u32_e32 v2, v1, v2
	s_delay_alu instid0(VALU_DEP_1) | instskip(NEXT) | instid1(VALU_DEP_1)
	v_lshrrev_b32_e32 v4, s14, v2
	v_mul_lo_u32 v2, v4, s10
	s_delay_alu instid0(VALU_DEP_1) | instskip(NEXT) | instid1(VALU_DEP_1)
	v_sub_nc_u32_e32 v1, v1, v2
	v_mad_u64_u32 v[9:10], null, v1, s12, v[3:4]
	v_mad_u64_u32 v[2:3], null, v1, s13, v[7:8]
	v_mov_b32_e32 v1, v4
	s_delay_alu instid0(VALU_DEP_3) | instskip(NEXT) | instid1(VALU_DEP_3)
	v_mov_b32_e32 v3, v9
	v_mov_b32_e32 v7, v2
	s_cbranch_scc1 .LBB457_1070
.LBB457_1071:
	s_and_not1_b32 vcc_lo, exec_lo, s6
	s_cbranch_vccnz .LBB457_1074
; %bb.1072:
	s_clause 0x1
	s_load_b128 s[4:7], s[16:17], 0x4
	s_load_b64 s[2:3], s[16:17], 0xc4
	s_cmp_lt_u32 s24, 2
	s_waitcnt lgkmcnt(0)
	v_mul_hi_u32 v1, s5, v5
	s_delay_alu instid0(VALU_DEP_1) | instskip(NEXT) | instid1(VALU_DEP_1)
	v_add_nc_u32_e32 v1, v5, v1
	v_lshrrev_b32_e32 v1, s6, v1
	s_delay_alu instid0(VALU_DEP_1) | instskip(NEXT) | instid1(VALU_DEP_1)
	v_mul_lo_u32 v2, v1, s4
	v_sub_nc_u32_e32 v2, v5, v2
	s_waitcnt vmcnt(0)
	s_delay_alu instid0(VALU_DEP_1)
	v_mul_lo_u32 v3, v2, s2
	v_mul_lo_u32 v7, v2, s3
	s_cbranch_scc1 .LBB457_1074
; %bb.1073:
	s_clause 0x1
	s_load_b128 s[4:7], s[16:17], 0x10
	s_load_b64 s[2:3], s[16:17], 0xcc
	s_waitcnt lgkmcnt(0)
	v_mul_hi_u32 v2, s5, v1
	s_delay_alu instid0(VALU_DEP_1) | instskip(NEXT) | instid1(VALU_DEP_1)
	v_add_nc_u32_e32 v2, v1, v2
	v_lshrrev_b32_e32 v2, s6, v2
	s_delay_alu instid0(VALU_DEP_1) | instskip(NEXT) | instid1(VALU_DEP_1)
	v_mul_lo_u32 v2, v2, s4
	v_sub_nc_u32_e32 v4, v1, v2
	s_delay_alu instid0(VALU_DEP_1) | instskip(SKIP_1) | instid1(VALU_DEP_2)
	v_mad_u64_u32 v[1:2], null, v4, s2, v[3:4]
	v_mad_u64_u32 v[2:3], null, v4, s3, v[7:8]
	v_mov_b32_e32 v3, v1
	s_delay_alu instid0(VALU_DEP_2)
	v_mov_b32_e32 v7, v2
.LBB457_1074:
	v_cmp_ne_u32_e32 vcc_lo, 1, v0
	v_add_nc_u32_e32 v1, 0x80, v5
	s_cbranch_vccnz .LBB457_1080
; %bb.1075:
	v_mov_b32_e32 v2, 0
	v_mov_b32_e32 v6, 0
	s_cmp_lg_u32 s24, 0
	s_mov_b32 s6, 0
	s_cbranch_scc0 .LBB457_1084
; %bb.1076:
	s_min_u32 s7, s25, 15
	v_mov_b32_e32 v2, 0
	s_add_i32 s7, s7, 1
	s_cmp_eq_u32 s25, 2
	s_mov_b32 s10, 0
	s_cbranch_scc1 .LBB457_1081
; %bb.1077:
	v_mov_b32_e32 v6, 0
	v_mov_b32_e32 v2, 0
	s_waitcnt vmcnt(0)
	v_mov_b32_e32 v4, v1
	s_add_u32 s2, s16, 0xc4
	s_addc_u32 s3, s17, 0
	s_and_b32 s10, s7, 28
	s_mov_b32 s11, 0
	s_mov_b64 s[4:5], s[16:17]
.LBB457_1078:                           ; =>This Inner Loop Header: Depth=1
	s_clause 0x1
	s_load_b256 s[36:43], s[4:5], 0x4
	s_load_b128 s[12:15], s[4:5], 0x24
	s_load_b256 s[44:51], s[2:3], 0x0
	s_add_u32 s4, s4, 48
	s_addc_u32 s5, s5, 0
	s_add_i32 s11, s11, 4
	s_add_u32 s2, s2, 32
	s_addc_u32 s3, s3, 0
	s_cmp_lg_u32 s10, s11
	s_waitcnt lgkmcnt(0)
	v_mul_hi_u32 v9, s37, v4
	s_delay_alu instid0(VALU_DEP_1) | instskip(NEXT) | instid1(VALU_DEP_1)
	v_add_nc_u32_e32 v9, v4, v9
	v_lshrrev_b32_e32 v9, s38, v9
	s_delay_alu instid0(VALU_DEP_1) | instskip(SKIP_1) | instid1(VALU_DEP_2)
	v_mul_hi_u32 v10, s40, v9
	v_mul_lo_u32 v12, v9, s36
	v_add_nc_u32_e32 v10, v9, v10
	s_delay_alu instid0(VALU_DEP_2) | instskip(NEXT) | instid1(VALU_DEP_2)
	v_sub_nc_u32_e32 v4, v4, v12
	v_lshrrev_b32_e32 v10, s41, v10
	s_delay_alu instid0(VALU_DEP_2) | instskip(SKIP_1) | instid1(VALU_DEP_3)
	v_mul_lo_u32 v12, v4, s44
	v_mul_lo_u32 v14, v4, s45
	v_mul_hi_u32 v11, s43, v10
	s_delay_alu instid0(VALU_DEP_1) | instskip(NEXT) | instid1(VALU_DEP_1)
	v_add_nc_u32_e32 v11, v10, v11
	v_lshrrev_b32_e32 v11, s12, v11
	s_delay_alu instid0(VALU_DEP_1) | instskip(SKIP_1) | instid1(VALU_DEP_2)
	v_mul_hi_u32 v13, s14, v11
	v_mul_lo_u32 v15, v11, s42
	v_add_nc_u32_e32 v4, v11, v13
	v_mul_lo_u32 v13, v10, s39
	s_delay_alu instid0(VALU_DEP_3) | instskip(NEXT) | instid1(VALU_DEP_3)
	v_sub_nc_u32_e32 v10, v10, v15
	v_lshrrev_b32_e32 v4, s15, v4
	s_delay_alu instid0(VALU_DEP_2) | instskip(SKIP_2) | instid1(VALU_DEP_4)
	v_mul_lo_u32 v15, v10, s48
	v_mul_lo_u32 v10, v10, s49
	v_sub_nc_u32_e32 v9, v9, v13
	v_mul_lo_u32 v16, v4, s13
	s_delay_alu instid0(VALU_DEP_2) | instskip(SKIP_1) | instid1(VALU_DEP_3)
	v_mul_lo_u32 v13, v9, s46
	v_mul_lo_u32 v9, v9, s47
	v_sub_nc_u32_e32 v11, v11, v16
	s_delay_alu instid0(VALU_DEP_3) | instskip(NEXT) | instid1(VALU_DEP_2)
	v_add3_u32 v2, v12, v2, v13
	v_mul_lo_u32 v16, v11, s50
	v_mul_lo_u32 v11, v11, s51
	v_add3_u32 v6, v14, v6, v9
	s_delay_alu instid0(VALU_DEP_3) | instskip(NEXT) | instid1(VALU_DEP_2)
	v_add3_u32 v2, v15, v2, v16
	v_add3_u32 v6, v10, v6, v11
	s_cbranch_scc1 .LBB457_1078
; %bb.1079:
	s_and_b32 s7, s7, 3
	s_delay_alu instid0(SALU_CYCLE_1)
	s_cmp_eq_u32 s7, 0
	s_cbranch_scc0 .LBB457_1082
	s_branch .LBB457_1084
.LBB457_1080:
	s_mov_b32 s6, -1
                                        ; implicit-def: $vgpr2
                                        ; implicit-def: $vgpr6
	s_branch .LBB457_1084
.LBB457_1081:
	s_waitcnt vmcnt(0)
	v_mov_b32_e32 v4, v1
	v_mov_b32_e32 v6, 0
	s_and_b32 s7, s7, 3
	s_delay_alu instid0(SALU_CYCLE_1)
	s_cmp_eq_u32 s7, 0
	s_cbranch_scc1 .LBB457_1084
.LBB457_1082:
	s_lshl_b32 s2, s10, 3
	s_mul_i32 s4, s10, 12
	s_add_u32 s2, s2, s16
	s_addc_u32 s3, 0, s17
	s_add_u32 s2, s2, 0xc4
	s_addc_u32 s3, s3, 0
	;; [unrolled: 2-line block ×3, first 2 shown]
	.p2align	6
.LBB457_1083:                           ; =>This Inner Loop Header: Depth=1
	s_clause 0x1
	s_load_b64 s[10:11], s[4:5], 0x4
	s_load_b32 s14, s[4:5], 0xc
	s_load_b64 s[12:13], s[2:3], 0x0
	s_add_u32 s4, s4, 12
	s_addc_u32 s5, s5, 0
	s_add_u32 s2, s2, 8
	s_addc_u32 s3, s3, 0
	s_add_i32 s7, s7, -1
	s_delay_alu instid0(SALU_CYCLE_1) | instskip(SKIP_2) | instid1(VALU_DEP_1)
	s_cmp_lg_u32 s7, 0
	s_waitcnt lgkmcnt(0)
	v_mul_hi_u32 v9, s11, v4
	v_add_nc_u32_e32 v9, v4, v9
	s_delay_alu instid0(VALU_DEP_1) | instskip(NEXT) | instid1(VALU_DEP_1)
	v_lshrrev_b32_e32 v12, s14, v9
	v_mul_lo_u32 v9, v12, s10
	s_delay_alu instid0(VALU_DEP_1) | instskip(NEXT) | instid1(VALU_DEP_1)
	v_sub_nc_u32_e32 v4, v4, v9
	v_mad_u64_u32 v[9:10], null, v4, s12, v[2:3]
	v_mad_u64_u32 v[10:11], null, v4, s13, v[6:7]
	v_mov_b32_e32 v4, v12
	s_delay_alu instid0(VALU_DEP_3) | instskip(NEXT) | instid1(VALU_DEP_3)
	v_mov_b32_e32 v2, v9
	v_mov_b32_e32 v6, v10
	s_cbranch_scc1 .LBB457_1083
.LBB457_1084:
	s_and_not1_b32 vcc_lo, exec_lo, s6
	s_cbranch_vccnz .LBB457_1087
; %bb.1085:
	s_clause 0x1
	s_load_b128 s[4:7], s[16:17], 0x4
	s_load_b64 s[2:3], s[16:17], 0xc4
	s_cmp_lt_u32 s24, 2
	s_waitcnt lgkmcnt(0)
	v_mul_hi_u32 v2, s5, v1
	s_delay_alu instid0(VALU_DEP_1) | instskip(SKIP_1) | instid1(VALU_DEP_1)
	v_add_nc_u32_e32 v2, v1, v2
	s_waitcnt vmcnt(0)
	v_lshrrev_b32_e32 v4, s6, v2
	s_delay_alu instid0(VALU_DEP_1) | instskip(NEXT) | instid1(VALU_DEP_1)
	v_mul_lo_u32 v2, v4, s4
	v_sub_nc_u32_e32 v1, v1, v2
	s_delay_alu instid0(VALU_DEP_1)
	v_mul_lo_u32 v2, v1, s2
	v_mul_lo_u32 v6, v1, s3
	s_cbranch_scc1 .LBB457_1087
; %bb.1086:
	s_clause 0x1
	s_load_b128 s[4:7], s[16:17], 0x10
	s_load_b64 s[2:3], s[16:17], 0xcc
	s_waitcnt lgkmcnt(0)
	v_mul_hi_u32 v1, s5, v4
	s_delay_alu instid0(VALU_DEP_1) | instskip(NEXT) | instid1(VALU_DEP_1)
	v_add_nc_u32_e32 v1, v4, v1
	v_lshrrev_b32_e32 v1, s6, v1
	s_delay_alu instid0(VALU_DEP_1) | instskip(NEXT) | instid1(VALU_DEP_1)
	v_mul_lo_u32 v1, v1, s4
	v_sub_nc_u32_e32 v4, v4, v1
	s_delay_alu instid0(VALU_DEP_1) | instskip(SKIP_1) | instid1(VALU_DEP_2)
	v_mad_u64_u32 v[9:10], null, v4, s2, v[2:3]
	v_mad_u64_u32 v[1:2], null, v4, s3, v[6:7]
	v_mov_b32_e32 v2, v9
	s_delay_alu instid0(VALU_DEP_2)
	v_mov_b32_e32 v6, v1
.LBB457_1087:
	v_cmp_ne_u32_e32 vcc_lo, 1, v0
	s_waitcnt vmcnt(0)
	v_add_nc_u32_e32 v4, 0x100, v5
	s_cbranch_vccnz .LBB457_1093
; %bb.1088:
	v_mov_b32_e32 v1, 0
	v_mov_b32_e32 v5, 0
	s_cmp_lg_u32 s24, 0
	s_mov_b32 s6, 0
	s_cbranch_scc0 .LBB457_1097
; %bb.1089:
	s_min_u32 s7, s25, 15
	v_mov_b32_e32 v1, 0
	s_add_i32 s7, s7, 1
	s_cmp_eq_u32 s25, 2
	s_mov_b32 s10, 0
	s_cbranch_scc1 .LBB457_1094
; %bb.1090:
	v_mov_b32_e32 v5, 0
	v_mov_b32_e32 v1, 0
	;; [unrolled: 1-line block ×3, first 2 shown]
	s_add_u32 s2, s16, 0xc4
	s_addc_u32 s3, s17, 0
	s_and_b32 s10, s7, 28
	s_mov_b32 s11, 0
	s_mov_b64 s[4:5], s[16:17]
.LBB457_1091:                           ; =>This Inner Loop Header: Depth=1
	s_clause 0x1
	s_load_b256 s[36:43], s[4:5], 0x4
	s_load_b128 s[12:15], s[4:5], 0x24
	s_load_b256 s[44:51], s[2:3], 0x0
	s_add_u32 s4, s4, 48
	s_addc_u32 s5, s5, 0
	s_add_i32 s11, s11, 4
	s_add_u32 s2, s2, 32
	s_addc_u32 s3, s3, 0
	s_cmp_lg_u32 s10, s11
	s_waitcnt lgkmcnt(0)
	v_mul_hi_u32 v10, s37, v9
	s_delay_alu instid0(VALU_DEP_1) | instskip(NEXT) | instid1(VALU_DEP_1)
	v_add_nc_u32_e32 v10, v9, v10
	v_lshrrev_b32_e32 v10, s38, v10
	s_delay_alu instid0(VALU_DEP_1) | instskip(SKIP_1) | instid1(VALU_DEP_2)
	v_mul_hi_u32 v11, s40, v10
	v_mul_lo_u32 v13, v10, s36
	v_add_nc_u32_e32 v11, v10, v11
	s_delay_alu instid0(VALU_DEP_2) | instskip(NEXT) | instid1(VALU_DEP_2)
	v_sub_nc_u32_e32 v9, v9, v13
	v_lshrrev_b32_e32 v11, s41, v11
	s_delay_alu instid0(VALU_DEP_2) | instskip(SKIP_1) | instid1(VALU_DEP_3)
	v_mul_lo_u32 v13, v9, s44
	v_mul_lo_u32 v15, v9, s45
	v_mul_hi_u32 v12, s43, v11
	s_delay_alu instid0(VALU_DEP_1) | instskip(NEXT) | instid1(VALU_DEP_1)
	v_add_nc_u32_e32 v12, v11, v12
	v_lshrrev_b32_e32 v12, s12, v12
	s_delay_alu instid0(VALU_DEP_1) | instskip(SKIP_1) | instid1(VALU_DEP_2)
	v_mul_hi_u32 v14, s14, v12
	v_mul_lo_u32 v16, v12, s42
	v_add_nc_u32_e32 v9, v12, v14
	v_mul_lo_u32 v14, v11, s39
	s_delay_alu instid0(VALU_DEP_3) | instskip(NEXT) | instid1(VALU_DEP_3)
	v_sub_nc_u32_e32 v11, v11, v16
	v_lshrrev_b32_e32 v9, s15, v9
	s_delay_alu instid0(VALU_DEP_2) | instskip(SKIP_2) | instid1(VALU_DEP_4)
	v_mul_lo_u32 v16, v11, s48
	v_mul_lo_u32 v11, v11, s49
	v_sub_nc_u32_e32 v10, v10, v14
	v_mul_lo_u32 v17, v9, s13
	s_delay_alu instid0(VALU_DEP_2) | instskip(SKIP_1) | instid1(VALU_DEP_3)
	v_mul_lo_u32 v14, v10, s46
	v_mul_lo_u32 v10, v10, s47
	v_sub_nc_u32_e32 v12, v12, v17
	s_delay_alu instid0(VALU_DEP_3) | instskip(NEXT) | instid1(VALU_DEP_2)
	v_add3_u32 v1, v13, v1, v14
	v_mul_lo_u32 v17, v12, s50
	v_mul_lo_u32 v12, v12, s51
	v_add3_u32 v5, v15, v5, v10
	s_delay_alu instid0(VALU_DEP_3) | instskip(NEXT) | instid1(VALU_DEP_2)
	v_add3_u32 v1, v16, v1, v17
	v_add3_u32 v5, v11, v5, v12
	s_cbranch_scc1 .LBB457_1091
; %bb.1092:
	s_and_b32 s7, s7, 3
	s_delay_alu instid0(SALU_CYCLE_1)
	s_cmp_eq_u32 s7, 0
	s_cbranch_scc0 .LBB457_1095
	s_branch .LBB457_1097
.LBB457_1093:
	s_mov_b32 s6, -1
                                        ; implicit-def: $vgpr1
                                        ; implicit-def: $vgpr5
	s_branch .LBB457_1097
.LBB457_1094:
	v_mov_b32_e32 v9, v4
	v_mov_b32_e32 v5, 0
	s_and_b32 s7, s7, 3
	s_delay_alu instid0(SALU_CYCLE_1)
	s_cmp_eq_u32 s7, 0
	s_cbranch_scc1 .LBB457_1097
.LBB457_1095:
	s_lshl_b32 s2, s10, 3
	s_mul_i32 s4, s10, 12
	s_add_u32 s2, s2, s16
	s_addc_u32 s3, 0, s17
	s_add_u32 s2, s2, 0xc4
	s_addc_u32 s3, s3, 0
	;; [unrolled: 2-line block ×3, first 2 shown]
	.p2align	6
.LBB457_1096:                           ; =>This Inner Loop Header: Depth=1
	s_clause 0x1
	s_load_b64 s[10:11], s[4:5], 0x4
	s_load_b32 s14, s[4:5], 0xc
	s_load_b64 s[12:13], s[2:3], 0x0
	s_add_u32 s4, s4, 12
	s_addc_u32 s5, s5, 0
	s_add_u32 s2, s2, 8
	s_addc_u32 s3, s3, 0
	s_add_i32 s7, s7, -1
	s_delay_alu instid0(SALU_CYCLE_1) | instskip(SKIP_2) | instid1(VALU_DEP_1)
	s_cmp_lg_u32 s7, 0
	s_waitcnt lgkmcnt(0)
	v_mul_hi_u32 v10, s11, v9
	v_add_nc_u32_e32 v10, v9, v10
	s_delay_alu instid0(VALU_DEP_1) | instskip(NEXT) | instid1(VALU_DEP_1)
	v_lshrrev_b32_e32 v13, s14, v10
	v_mul_lo_u32 v10, v13, s10
	s_delay_alu instid0(VALU_DEP_1) | instskip(NEXT) | instid1(VALU_DEP_1)
	v_sub_nc_u32_e32 v9, v9, v10
	v_mad_u64_u32 v[10:11], null, v9, s12, v[1:2]
	v_mad_u64_u32 v[11:12], null, v9, s13, v[5:6]
	v_mov_b32_e32 v9, v13
	s_delay_alu instid0(VALU_DEP_3) | instskip(NEXT) | instid1(VALU_DEP_3)
	v_mov_b32_e32 v1, v10
	v_mov_b32_e32 v5, v11
	s_cbranch_scc1 .LBB457_1096
.LBB457_1097:
	s_and_not1_b32 vcc_lo, exec_lo, s6
	s_cbranch_vccnz .LBB457_1100
; %bb.1098:
	s_clause 0x1
	s_load_b128 s[4:7], s[16:17], 0x4
	s_load_b64 s[2:3], s[16:17], 0xc4
	s_cmp_lt_u32 s24, 2
	s_waitcnt lgkmcnt(0)
	v_mul_hi_u32 v1, s5, v4
	s_delay_alu instid0(VALU_DEP_1) | instskip(NEXT) | instid1(VALU_DEP_1)
	v_add_nc_u32_e32 v1, v4, v1
	v_lshrrev_b32_e32 v9, s6, v1
	s_delay_alu instid0(VALU_DEP_1) | instskip(NEXT) | instid1(VALU_DEP_1)
	v_mul_lo_u32 v1, v9, s4
	v_sub_nc_u32_e32 v4, v4, v1
	s_delay_alu instid0(VALU_DEP_1)
	v_mul_lo_u32 v1, v4, s2
	v_mul_lo_u32 v5, v4, s3
	s_cbranch_scc1 .LBB457_1100
; %bb.1099:
	s_clause 0x1
	s_load_b128 s[4:7], s[16:17], 0x10
	s_load_b64 s[2:3], s[16:17], 0xcc
	s_waitcnt lgkmcnt(0)
	v_mul_hi_u32 v4, s5, v9
	s_delay_alu instid0(VALU_DEP_1) | instskip(NEXT) | instid1(VALU_DEP_1)
	v_add_nc_u32_e32 v4, v9, v4
	v_lshrrev_b32_e32 v4, s6, v4
	s_delay_alu instid0(VALU_DEP_1) | instskip(NEXT) | instid1(VALU_DEP_1)
	v_mul_lo_u32 v4, v4, s4
	v_sub_nc_u32_e32 v4, v9, v4
	s_delay_alu instid0(VALU_DEP_1) | instskip(SKIP_1) | instid1(VALU_DEP_2)
	v_mad_u64_u32 v[9:10], null, v4, s2, v[1:2]
	v_mad_u64_u32 v[10:11], null, v4, s3, v[5:6]
	v_mov_b32_e32 v1, v9
	s_delay_alu instid0(VALU_DEP_2)
	v_mov_b32_e32 v5, v10
.LBB457_1100:
	v_cmp_ne_u32_e32 vcc_lo, 1, v0
	s_cbranch_vccnz .LBB457_1106
; %bb.1101:
	v_mov_b32_e32 v0, 0
	v_mov_b32_e32 v4, 0
	s_cmp_lg_u32 s24, 0
	s_mov_b32 s6, 0
	s_cbranch_scc0 .LBB457_1110
; %bb.1102:
	s_min_u32 s7, s25, 15
	v_mov_b32_e32 v0, 0
	s_add_i32 s7, s7, 1
	s_cmp_eq_u32 s25, 2
	s_mov_b32 s10, 0
	s_cbranch_scc1 .LBB457_1107
; %bb.1103:
	v_dual_mov_b32 v4, 0 :: v_dual_mov_b32 v9, v8
	v_mov_b32_e32 v0, 0
	s_add_u32 s2, s16, 0xc4
	s_addc_u32 s3, s17, 0
	s_and_b32 s10, s7, 28
	s_mov_b32 s11, 0
	s_mov_b64 s[4:5], s[16:17]
.LBB457_1104:                           ; =>This Inner Loop Header: Depth=1
	s_clause 0x1
	s_load_b256 s[36:43], s[4:5], 0x4
	s_load_b128 s[12:15], s[4:5], 0x24
	s_load_b256 s[44:51], s[2:3], 0x0
	s_add_u32 s4, s4, 48
	s_addc_u32 s5, s5, 0
	s_add_i32 s11, s11, 4
	s_add_u32 s2, s2, 32
	s_addc_u32 s3, s3, 0
	s_cmp_lg_u32 s10, s11
	s_waitcnt lgkmcnt(0)
	v_mul_hi_u32 v10, s37, v9
	s_delay_alu instid0(VALU_DEP_1) | instskip(NEXT) | instid1(VALU_DEP_1)
	v_add_nc_u32_e32 v10, v9, v10
	v_lshrrev_b32_e32 v10, s38, v10
	s_delay_alu instid0(VALU_DEP_1) | instskip(SKIP_1) | instid1(VALU_DEP_2)
	v_mul_hi_u32 v11, s40, v10
	v_mul_lo_u32 v13, v10, s36
	v_add_nc_u32_e32 v11, v10, v11
	s_delay_alu instid0(VALU_DEP_2) | instskip(NEXT) | instid1(VALU_DEP_2)
	v_sub_nc_u32_e32 v9, v9, v13
	v_lshrrev_b32_e32 v11, s41, v11
	s_delay_alu instid0(VALU_DEP_2) | instskip(SKIP_1) | instid1(VALU_DEP_3)
	v_mul_lo_u32 v13, v9, s44
	v_mul_lo_u32 v15, v9, s45
	v_mul_hi_u32 v12, s43, v11
	s_delay_alu instid0(VALU_DEP_1) | instskip(NEXT) | instid1(VALU_DEP_1)
	v_add_nc_u32_e32 v12, v11, v12
	v_lshrrev_b32_e32 v12, s12, v12
	s_delay_alu instid0(VALU_DEP_1) | instskip(SKIP_1) | instid1(VALU_DEP_2)
	v_mul_hi_u32 v14, s14, v12
	v_mul_lo_u32 v16, v12, s42
	v_add_nc_u32_e32 v9, v12, v14
	v_mul_lo_u32 v14, v11, s39
	s_delay_alu instid0(VALU_DEP_3) | instskip(NEXT) | instid1(VALU_DEP_3)
	v_sub_nc_u32_e32 v11, v11, v16
	v_lshrrev_b32_e32 v9, s15, v9
	s_delay_alu instid0(VALU_DEP_2) | instskip(SKIP_2) | instid1(VALU_DEP_4)
	v_mul_lo_u32 v16, v11, s48
	v_mul_lo_u32 v11, v11, s49
	v_sub_nc_u32_e32 v10, v10, v14
	v_mul_lo_u32 v17, v9, s13
	s_delay_alu instid0(VALU_DEP_2) | instskip(SKIP_1) | instid1(VALU_DEP_3)
	v_mul_lo_u32 v14, v10, s46
	v_mul_lo_u32 v10, v10, s47
	v_sub_nc_u32_e32 v12, v12, v17
	s_delay_alu instid0(VALU_DEP_3) | instskip(NEXT) | instid1(VALU_DEP_2)
	v_add3_u32 v0, v13, v0, v14
	v_mul_lo_u32 v17, v12, s50
	v_mul_lo_u32 v12, v12, s51
	v_add3_u32 v4, v15, v4, v10
	s_delay_alu instid0(VALU_DEP_3) | instskip(NEXT) | instid1(VALU_DEP_2)
	v_add3_u32 v0, v16, v0, v17
	v_add3_u32 v4, v11, v4, v12
	s_cbranch_scc1 .LBB457_1104
; %bb.1105:
	s_and_b32 s7, s7, 3
	s_delay_alu instid0(SALU_CYCLE_1)
	s_cmp_eq_u32 s7, 0
	s_cbranch_scc0 .LBB457_1108
	s_branch .LBB457_1110
.LBB457_1106:
	s_mov_b32 s6, -1
                                        ; implicit-def: $vgpr0
                                        ; implicit-def: $vgpr4
	s_branch .LBB457_1110
.LBB457_1107:
	v_dual_mov_b32 v9, v8 :: v_dual_mov_b32 v4, 0
	s_and_b32 s7, s7, 3
	s_delay_alu instid0(SALU_CYCLE_1)
	s_cmp_eq_u32 s7, 0
	s_cbranch_scc1 .LBB457_1110
.LBB457_1108:
	s_lshl_b32 s2, s10, 3
	s_mul_i32 s4, s10, 12
	s_add_u32 s2, s2, s16
	s_addc_u32 s3, 0, s17
	s_add_u32 s2, s2, 0xc4
	s_addc_u32 s3, s3, 0
	;; [unrolled: 2-line block ×3, first 2 shown]
	.p2align	6
.LBB457_1109:                           ; =>This Inner Loop Header: Depth=1
	s_clause 0x1
	s_load_b64 s[10:11], s[4:5], 0x4
	s_load_b32 s14, s[4:5], 0xc
	s_load_b64 s[12:13], s[2:3], 0x0
	s_add_u32 s4, s4, 12
	s_addc_u32 s5, s5, 0
	s_add_u32 s2, s2, 8
	s_addc_u32 s3, s3, 0
	s_add_i32 s7, s7, -1
	s_delay_alu instid0(SALU_CYCLE_1) | instskip(SKIP_2) | instid1(VALU_DEP_1)
	s_cmp_lg_u32 s7, 0
	s_waitcnt lgkmcnt(0)
	v_mul_hi_u32 v10, s11, v9
	v_add_nc_u32_e32 v10, v9, v10
	s_delay_alu instid0(VALU_DEP_1) | instskip(NEXT) | instid1(VALU_DEP_1)
	v_lshrrev_b32_e32 v13, s14, v10
	v_mul_lo_u32 v10, v13, s10
	s_delay_alu instid0(VALU_DEP_1) | instskip(NEXT) | instid1(VALU_DEP_1)
	v_sub_nc_u32_e32 v9, v9, v10
	v_mad_u64_u32 v[10:11], null, v9, s12, v[0:1]
	v_mad_u64_u32 v[11:12], null, v9, s13, v[4:5]
	s_delay_alu instid0(VALU_DEP_2) | instskip(NEXT) | instid1(VALU_DEP_2)
	v_dual_mov_b32 v9, v13 :: v_dual_mov_b32 v0, v10
	v_mov_b32_e32 v4, v11
	s_cbranch_scc1 .LBB457_1109
.LBB457_1110:
	s_and_not1_b32 vcc_lo, exec_lo, s6
	s_cbranch_vccnz .LBB457_1113
; %bb.1111:
	s_clause 0x1
	s_load_b128 s[4:7], s[16:17], 0x4
	s_load_b64 s[2:3], s[16:17], 0xc4
	s_cmp_lt_u32 s24, 2
	s_waitcnt lgkmcnt(0)
	v_mul_hi_u32 v0, s5, v8
	s_delay_alu instid0(VALU_DEP_1) | instskip(NEXT) | instid1(VALU_DEP_1)
	v_add_nc_u32_e32 v0, v8, v0
	v_lshrrev_b32_e32 v9, s6, v0
	s_delay_alu instid0(VALU_DEP_1) | instskip(NEXT) | instid1(VALU_DEP_1)
	v_mul_lo_u32 v0, v9, s4
	v_sub_nc_u32_e32 v4, v8, v0
	s_delay_alu instid0(VALU_DEP_1)
	v_mul_lo_u32 v0, v4, s2
	v_mul_lo_u32 v4, v4, s3
	s_cbranch_scc1 .LBB457_1113
; %bb.1112:
	s_clause 0x1
	s_load_b128 s[4:7], s[16:17], 0x10
	s_load_b64 s[2:3], s[16:17], 0xcc
	s_waitcnt lgkmcnt(0)
	v_mul_hi_u32 v8, s5, v9
	s_delay_alu instid0(VALU_DEP_1) | instskip(NEXT) | instid1(VALU_DEP_1)
	v_add_nc_u32_e32 v8, v9, v8
	v_lshrrev_b32_e32 v8, s6, v8
	s_delay_alu instid0(VALU_DEP_1) | instskip(NEXT) | instid1(VALU_DEP_1)
	v_mul_lo_u32 v8, v8, s4
	v_sub_nc_u32_e32 v11, v9, v8
	s_delay_alu instid0(VALU_DEP_1) | instskip(SKIP_1) | instid1(VALU_DEP_2)
	v_mad_u64_u32 v[8:9], null, v11, s2, v[0:1]
	v_mad_u64_u32 v[9:10], null, v11, s3, v[4:5]
	v_mov_b32_e32 v0, v8
	s_delay_alu instid0(VALU_DEP_2)
	v_mov_b32_e32 v4, v9
.LBB457_1113:
	s_clause 0x1
	s_load_b32 s0, s[0:1], 0x160
	s_load_b128 s[4:7], s[16:17], 0x148
	s_mov_b32 s10, 0
	s_waitcnt lgkmcnt(0)
	s_lshr_b32 s2, s0, 24
	v_add_co_u32 v7, s3, s6, v7
	v_cmp_lt_i16_e64 s1, s2, 11
	v_add_co_ci_u32_e64 v8, null, s7, 0, s3
	s_delay_alu instid0(VALU_DEP_2)
	s_and_b32 vcc_lo, exec_lo, s1
	s_cbranch_vccnz .LBB457_1120
; %bb.1114:
	v_cmp_gt_i16_e64 s1, s2, 25
	s_mov_b32 s3, 0
	s_delay_alu instid0(VALU_DEP_1)
	s_and_b32 vcc_lo, exec_lo, s1
	s_cbranch_vccz .LBB457_1126
; %bb.1115:
	v_cmp_gt_i16_e64 s1, s2, 28
	s_delay_alu instid0(VALU_DEP_1)
	s_and_b32 vcc_lo, exec_lo, s1
	s_cbranch_vccz .LBB457_1128
; %bb.1116:
	v_cmp_gt_i16_e64 s1, s2, 43
	;; [unrolled: 5-line block ×3, first 2 shown]
	s_delay_alu instid0(VALU_DEP_1)
	s_and_b32 vcc_lo, exec_lo, s1
	s_cbranch_vccz .LBB457_1134
; %bb.1118:
	v_cmp_eq_u16_e64 s1, s2, 46
	s_mov_b32 s11, 0
	s_delay_alu instid0(VALU_DEP_1)
	s_and_b32 vcc_lo, exec_lo, s1
	s_cbranch_vccz .LBB457_1176
; %bb.1119:
	global_load_b32 v9, v[7:8], off
	s_mov_b32 s1, 0
	s_mov_b32 s10, -1
	s_waitcnt vmcnt(0)
	v_lshlrev_b32_e32 v9, 16, v9
	s_delay_alu instid0(VALU_DEP_1)
	v_cvt_i32_f32_e32 v10, v9
	s_branch .LBB457_1178
.LBB457_1120:
	s_mov_b32 s1, s8
                                        ; implicit-def: $vgpr10
	s_cbranch_execz .LBB457_1236
; %bb.1121:
	v_cmp_lt_i16_e64 s3, s2, 5
	s_delay_alu instid0(VALU_DEP_1)
	s_and_b32 vcc_lo, exec_lo, s3
	s_cbranch_vccnz .LBB457_1127
; %bb.1122:
	v_cmp_lt_i16_e64 s3, s2, 8
	s_delay_alu instid0(VALU_DEP_1)
	s_and_b32 vcc_lo, exec_lo, s3
	s_cbranch_vccnz .LBB457_1129
; %bb.1123:
	v_cmp_lt_i16_e64 s3, s2, 9
	s_delay_alu instid0(VALU_DEP_1)
	s_and_b32 vcc_lo, exec_lo, s3
	s_cbranch_vccnz .LBB457_1131
; %bb.1124:
	v_cmp_gt_i16_e64 s3, s2, 9
	s_delay_alu instid0(VALU_DEP_1)
	s_and_b32 vcc_lo, exec_lo, s3
	s_cbranch_vccz .LBB457_1135
; %bb.1125:
	global_load_b64 v[9:10], v[7:8], off
	s_mov_b32 s3, 0
	s_waitcnt vmcnt(0)
	v_cvt_i32_f64_e32 v10, v[9:10]
	s_branch .LBB457_1136
.LBB457_1126:
	s_mov_b32 s1, 0
                                        ; implicit-def: $vgpr10
	s_cbranch_execnz .LBB457_1203
	s_branch .LBB457_1232
.LBB457_1127:
                                        ; implicit-def: $vgpr10
	s_branch .LBB457_1153
.LBB457_1128:
	s_mov_b32 s1, 0
                                        ; implicit-def: $vgpr10
	s_cbranch_execz .LBB457_1202
	s_branch .LBB457_1187
.LBB457_1129:
                                        ; implicit-def: $vgpr10
	s_branch .LBB457_1142
.LBB457_1130:
	s_mov_b32 s1, 0
                                        ; implicit-def: $vgpr10
	s_cbranch_execnz .LBB457_1183
	s_branch .LBB457_1186
.LBB457_1131:
	s_mov_b32 s3, -1
                                        ; implicit-def: $vgpr10
	s_branch .LBB457_1139
.LBB457_1132:
	s_cbranch_execnz .LBB457_1174
; %bb.1133:
	s_or_b32 s3, s3, exec_lo
	s_and_not1_b32 s8, s8, exec_lo
	s_or_b32 exec_lo, exec_lo, s2
	s_and_saveexec_b32 s2, s8
	s_delay_alu instid0(SALU_CYCLE_1)
	s_xor_b32 s2, exec_lo, s2
	s_cbranch_execnz .LBB457_1020
	s_branch .LBB457_1021
.LBB457_1134:
	s_mov_b32 s11, -1
	s_mov_b32 s1, 0
	s_branch .LBB457_1177
.LBB457_1135:
	s_mov_b32 s3, -1
                                        ; implicit-def: $vgpr10
.LBB457_1136:
	s_delay_alu instid0(SALU_CYCLE_1)
	s_and_not1_b32 vcc_lo, exec_lo, s3
	s_cbranch_vccnz .LBB457_1138
; %bb.1137:
	global_load_b32 v9, v[7:8], off
	s_waitcnt vmcnt(0)
	v_cvt_i32_f32_e32 v10, v9
.LBB457_1138:
	s_mov_b32 s3, 0
.LBB457_1139:
	s_delay_alu instid0(SALU_CYCLE_1)
	s_and_not1_b32 vcc_lo, exec_lo, s3
	s_cbranch_vccnz .LBB457_1141
; %bb.1140:
	global_load_b32 v9, v[7:8], off
	s_waitcnt vmcnt(0)
	v_cvt_i16_f16_e32 v10, v9
.LBB457_1141:
	s_cbranch_execnz .LBB457_1152
.LBB457_1142:
	v_cmp_lt_i16_e64 s3, s2, 6
	s_delay_alu instid0(VALU_DEP_1)
	s_and_b32 vcc_lo, exec_lo, s3
	s_cbranch_vccnz .LBB457_1145
; %bb.1143:
	v_cmp_gt_i16_e64 s3, s2, 6
	s_delay_alu instid0(VALU_DEP_1)
	s_and_b32 vcc_lo, exec_lo, s3
	s_cbranch_vccz .LBB457_1146
; %bb.1144:
	global_load_b64 v[9:10], v[7:8], off
	s_mov_b32 s3, 0
	s_waitcnt vmcnt(0)
	v_cvt_i32_f64_e32 v10, v[9:10]
	s_branch .LBB457_1147
.LBB457_1145:
	s_mov_b32 s3, -1
                                        ; implicit-def: $vgpr10
	s_branch .LBB457_1150
.LBB457_1146:
	s_mov_b32 s3, -1
                                        ; implicit-def: $vgpr10
.LBB457_1147:
	s_delay_alu instid0(SALU_CYCLE_1)
	s_and_not1_b32 vcc_lo, exec_lo, s3
	s_cbranch_vccnz .LBB457_1149
; %bb.1148:
	global_load_b32 v9, v[7:8], off
	s_waitcnt vmcnt(0)
	v_cvt_i32_f32_e32 v10, v9
.LBB457_1149:
	s_mov_b32 s3, 0
.LBB457_1150:
	s_delay_alu instid0(SALU_CYCLE_1)
	s_and_not1_b32 vcc_lo, exec_lo, s3
	s_cbranch_vccnz .LBB457_1152
; %bb.1151:
	global_load_u16 v9, v[7:8], off
	s_waitcnt vmcnt(0)
	v_cvt_i16_f16_e32 v10, v9
.LBB457_1152:
	s_cbranch_execnz .LBB457_1171
.LBB457_1153:
	v_cmp_lt_i16_e64 s3, s2, 2
	s_delay_alu instid0(VALU_DEP_1)
	s_and_b32 vcc_lo, exec_lo, s3
	s_cbranch_vccnz .LBB457_1157
; %bb.1154:
	v_cmp_lt_i16_e64 s3, s2, 3
	s_delay_alu instid0(VALU_DEP_1)
	s_and_b32 vcc_lo, exec_lo, s3
	s_cbranch_vccnz .LBB457_1158
; %bb.1155:
	v_cmp_gt_i16_e64 s3, s2, 3
	s_delay_alu instid0(VALU_DEP_1)
	s_and_b32 vcc_lo, exec_lo, s3
	s_cbranch_vccz .LBB457_1159
; %bb.1156:
	global_load_b64 v[10:11], v[7:8], off
	s_mov_b32 s3, 0
	s_branch .LBB457_1160
.LBB457_1157:
                                        ; implicit-def: $vgpr10
	s_branch .LBB457_1166
.LBB457_1158:
	s_mov_b32 s3, -1
                                        ; implicit-def: $vgpr10
	s_branch .LBB457_1163
.LBB457_1159:
	s_mov_b32 s3, -1
                                        ; implicit-def: $vgpr10
.LBB457_1160:
	s_delay_alu instid0(SALU_CYCLE_1)
	s_and_not1_b32 vcc_lo, exec_lo, s3
	s_cbranch_vccnz .LBB457_1162
; %bb.1161:
	global_load_b32 v10, v[7:8], off
.LBB457_1162:
	s_mov_b32 s3, 0
.LBB457_1163:
	s_delay_alu instid0(SALU_CYCLE_1)
	s_and_not1_b32 vcc_lo, exec_lo, s3
	s_cbranch_vccnz .LBB457_1165
; %bb.1164:
	global_load_u16 v10, v[7:8], off
.LBB457_1165:
	s_cbranch_execnz .LBB457_1171
.LBB457_1166:
	v_cmp_gt_i16_e64 s3, s2, 0
	s_delay_alu instid0(VALU_DEP_1)
	s_and_b32 vcc_lo, exec_lo, s3
	s_mov_b32 s3, 0
	s_cbranch_vccz .LBB457_1168
; %bb.1167:
	global_load_i8 v10, v[7:8], off
	s_branch .LBB457_1169
.LBB457_1168:
	s_mov_b32 s3, -1
                                        ; implicit-def: $vgpr10
.LBB457_1169:
	s_delay_alu instid0(SALU_CYCLE_1)
	s_and_not1_b32 vcc_lo, exec_lo, s3
	s_cbranch_vccnz .LBB457_1171
; %bb.1170:
	global_load_u8 v10, v[7:8], off
.LBB457_1171:
	s_branch .LBB457_1237
.LBB457_1172:
	s_trap 2
	s_sendmsg_rtn_b32 s0, sendmsg(MSG_RTN_GET_DOORBELL)
	s_mov_b32 ttmp2, m0
	s_waitcnt lgkmcnt(0)
	s_and_b32 s0, s0, 0x3ff
	s_delay_alu instid0(SALU_CYCLE_1) | instskip(NEXT) | instid1(SALU_CYCLE_1)
	s_bitset1_b32 s0, 10
	s_mov_b32 m0, s0
	s_sendmsg sendmsg(MSG_INTERRUPT)
	s_mov_b32 m0, ttmp2
.LBB457_1173:                           ; =>This Inner Loop Header: Depth=1
	s_sethalt 5
	s_branch .LBB457_1173
.LBB457_1174:
	s_trap 2
	s_sendmsg_rtn_b32 s0, sendmsg(MSG_RTN_GET_DOORBELL)
	s_mov_b32 ttmp2, m0
	s_waitcnt lgkmcnt(0)
	s_and_b32 s0, s0, 0x3ff
	s_delay_alu instid0(SALU_CYCLE_1) | instskip(NEXT) | instid1(SALU_CYCLE_1)
	s_bitset1_b32 s0, 10
	s_mov_b32 m0, s0
	s_sendmsg sendmsg(MSG_INTERRUPT)
	s_mov_b32 m0, ttmp2
.LBB457_1175:                           ; =>This Inner Loop Header: Depth=1
	s_sethalt 5
	s_branch .LBB457_1175
.LBB457_1176:
	s_mov_b32 s1, -1
.LBB457_1177:
                                        ; implicit-def: $vgpr10
.LBB457_1178:
	s_and_b32 vcc_lo, exec_lo, s11
	s_cbranch_vccz .LBB457_1181
; %bb.1179:
	v_cmp_eq_u16_e64 s1, s2, 44
	s_delay_alu instid0(VALU_DEP_1)
	s_and_b32 vcc_lo, exec_lo, s1
	s_cbranch_vccz .LBB457_1182
; %bb.1180:
	global_load_u8 v9, v[7:8], off
	s_mov_b32 s1, 0
	s_mov_b32 s10, -1
	s_waitcnt vmcnt(0)
	v_lshlrev_b32_e32 v10, 23, v9
	v_cmp_ne_u32_e32 vcc_lo, 0, v9
	s_delay_alu instid0(VALU_DEP_2) | instskip(NEXT) | instid1(VALU_DEP_1)
	v_cvt_i32_f32_e32 v10, v10
	v_cndmask_b32_e32 v10, 0, v10, vcc_lo
.LBB457_1181:
	s_branch .LBB457_1186
.LBB457_1182:
	s_mov_b32 s1, -1
                                        ; implicit-def: $vgpr10
	s_branch .LBB457_1186
.LBB457_1183:
	v_cmp_eq_u16_e64 s1, s2, 29
	s_delay_alu instid0(VALU_DEP_1)
	s_and_b32 vcc_lo, exec_lo, s1
	s_cbranch_vccz .LBB457_1185
; %bb.1184:
	global_load_b64 v[10:11], v[7:8], off
	s_mov_b32 s1, 0
	s_mov_b32 s10, -1
	s_branch .LBB457_1186
.LBB457_1185:
	s_mov_b32 s1, -1
                                        ; implicit-def: $vgpr10
.LBB457_1186:
	s_branch .LBB457_1202
.LBB457_1187:
	v_cmp_lt_i16_e64 s10, s2, 27
	s_delay_alu instid0(VALU_DEP_1)
	s_and_b32 vcc_lo, exec_lo, s10
	s_cbranch_vccnz .LBB457_1190
; %bb.1188:
	v_cmp_gt_i16_e64 s10, s2, 27
	s_delay_alu instid0(VALU_DEP_1)
	s_and_b32 vcc_lo, exec_lo, s10
	s_cbranch_vccz .LBB457_1191
; %bb.1189:
	global_load_b32 v10, v[7:8], off
	s_mov_b32 s10, 0
	s_branch .LBB457_1192
.LBB457_1190:
	s_mov_b32 s10, -1
                                        ; implicit-def: $vgpr10
	s_branch .LBB457_1195
.LBB457_1191:
	s_mov_b32 s10, -1
                                        ; implicit-def: $vgpr10
.LBB457_1192:
	s_delay_alu instid0(SALU_CYCLE_1)
	s_and_not1_b32 vcc_lo, exec_lo, s10
	s_cbranch_vccnz .LBB457_1194
; %bb.1193:
	global_load_u16 v10, v[7:8], off
.LBB457_1194:
	s_mov_b32 s10, 0
.LBB457_1195:
	s_delay_alu instid0(SALU_CYCLE_1)
	s_and_not1_b32 vcc_lo, exec_lo, s10
	s_cbranch_vccnz .LBB457_1201
; %bb.1196:
	global_load_u8 v9, v[7:8], off
	s_mov_b32 s10, 0
	s_mov_b32 s11, exec_lo
                                        ; implicit-def: $sgpr12
	s_waitcnt vmcnt(0)
	v_cmpx_lt_i16_e32 0x7f, v9
	s_xor_b32 s11, exec_lo, s11
	s_cbranch_execz .LBB457_1212
; %bb.1197:
	v_cmp_ne_u16_e32 vcc_lo, 0x80, v9
	s_mov_b32 s12, 0
	s_and_b32 s10, vcc_lo, exec_lo
	s_or_saveexec_b32 s11, s11
	v_mov_b32_e32 v10, s12
	s_xor_b32 exec_lo, exec_lo, s11
	s_cbranch_execnz .LBB457_1213
.LBB457_1198:
	s_or_b32 exec_lo, exec_lo, s11
	s_and_saveexec_b32 s11, s10
	s_cbranch_execz .LBB457_1200
.LBB457_1199:
	v_and_b32_e32 v10, 0xffff, v9
	v_lshlrev_b32_e32 v9, 24, v9
	s_delay_alu instid0(VALU_DEP_2) | instskip(NEXT) | instid1(VALU_DEP_2)
	v_and_b32_e32 v11, 7, v10
	v_and_b32_e32 v9, 0x80000000, v9
	s_delay_alu instid0(VALU_DEP_2) | instskip(NEXT) | instid1(VALU_DEP_1)
	v_clz_i32_u32_e32 v12, v11
	v_min_u32_e32 v12, 32, v12
	s_delay_alu instid0(VALU_DEP_1) | instskip(SKIP_1) | instid1(VALU_DEP_2)
	v_subrev_nc_u32_e32 v13, 28, v12
	v_sub_nc_u32_e32 v12, 29, v12
	v_lshlrev_b32_e32 v13, v13, v10
	v_bfe_u32 v10, v10, 3, 4
	s_delay_alu instid0(VALU_DEP_2) | instskip(NEXT) | instid1(VALU_DEP_2)
	v_and_b32_e32 v13, 7, v13
	v_cmp_eq_u32_e32 vcc_lo, 0, v10
	s_delay_alu instid0(VALU_DEP_2) | instskip(NEXT) | instid1(VALU_DEP_1)
	v_dual_cndmask_b32 v10, v10, v12 :: v_dual_cndmask_b32 v11, v11, v13
	v_lshl_add_u32 v10, v10, 23, 0x3b800000
	s_delay_alu instid0(VALU_DEP_2) | instskip(NEXT) | instid1(VALU_DEP_1)
	v_lshlrev_b32_e32 v11, 20, v11
	v_or3_b32 v9, v9, v10, v11
	s_delay_alu instid0(VALU_DEP_1)
	v_cvt_i32_f32_e32 v10, v9
.LBB457_1200:
	s_or_b32 exec_lo, exec_lo, s11
.LBB457_1201:
	s_mov_b32 s10, -1
.LBB457_1202:
	s_branch .LBB457_1232
.LBB457_1203:
	v_cmp_gt_i16_e64 s3, s2, 22
	s_delay_alu instid0(VALU_DEP_1)
	s_and_b32 vcc_lo, exec_lo, s3
	s_cbranch_vccz .LBB457_1211
; %bb.1204:
	v_cmp_lt_i16_e64 s3, s2, 24
	s_delay_alu instid0(VALU_DEP_1)
	s_and_b32 vcc_lo, exec_lo, s3
	s_cbranch_vccnz .LBB457_1214
; %bb.1205:
	v_cmp_gt_i16_e64 s3, s2, 24
	s_delay_alu instid0(VALU_DEP_1)
	s_and_b32 vcc_lo, exec_lo, s3
	s_cbranch_vccz .LBB457_1215
; %bb.1206:
	global_load_u8 v9, v[7:8], off
	s_mov_b32 s3, 0
	s_mov_b32 s10, exec_lo
                                        ; implicit-def: $sgpr11
	s_waitcnt vmcnt(0)
	v_cmpx_lt_i16_e32 0x7f, v9
	s_xor_b32 s10, exec_lo, s10
	s_cbranch_execz .LBB457_1226
; %bb.1207:
	v_cmp_ne_u16_e32 vcc_lo, 0x80, v9
	s_mov_b32 s11, 0
	s_and_b32 s3, vcc_lo, exec_lo
	s_or_saveexec_b32 s10, s10
	v_mov_b32_e32 v10, s11
	s_xor_b32 exec_lo, exec_lo, s10
	s_cbranch_execnz .LBB457_1227
.LBB457_1208:
	s_or_b32 exec_lo, exec_lo, s10
	s_and_saveexec_b32 s10, s3
	s_cbranch_execz .LBB457_1210
.LBB457_1209:
	v_and_b32_e32 v10, 0xffff, v9
	v_lshlrev_b32_e32 v9, 24, v9
	s_delay_alu instid0(VALU_DEP_2) | instskip(NEXT) | instid1(VALU_DEP_2)
	v_and_b32_e32 v11, 3, v10
	v_and_b32_e32 v9, 0x80000000, v9
	s_delay_alu instid0(VALU_DEP_2) | instskip(NEXT) | instid1(VALU_DEP_1)
	v_clz_i32_u32_e32 v12, v11
	v_min_u32_e32 v12, 32, v12
	s_delay_alu instid0(VALU_DEP_1) | instskip(SKIP_1) | instid1(VALU_DEP_2)
	v_subrev_nc_u32_e32 v13, 29, v12
	v_sub_nc_u32_e32 v12, 30, v12
	v_lshlrev_b32_e32 v13, v13, v10
	v_bfe_u32 v10, v10, 2, 5
	s_delay_alu instid0(VALU_DEP_2) | instskip(NEXT) | instid1(VALU_DEP_2)
	v_and_b32_e32 v13, 3, v13
	v_cmp_eq_u32_e32 vcc_lo, 0, v10
	s_delay_alu instid0(VALU_DEP_2) | instskip(NEXT) | instid1(VALU_DEP_1)
	v_dual_cndmask_b32 v10, v10, v12 :: v_dual_cndmask_b32 v11, v11, v13
	v_lshl_add_u32 v10, v10, 23, 0x37800000
	s_delay_alu instid0(VALU_DEP_2) | instskip(NEXT) | instid1(VALU_DEP_1)
	v_lshlrev_b32_e32 v11, 21, v11
	v_or3_b32 v9, v9, v10, v11
	s_delay_alu instid0(VALU_DEP_1)
	v_cvt_i32_f32_e32 v10, v9
.LBB457_1210:
	s_or_b32 exec_lo, exec_lo, s10
	s_mov_b32 s3, 0
	s_branch .LBB457_1216
.LBB457_1211:
                                        ; implicit-def: $vgpr10
	s_mov_b32 s3, 0
	s_branch .LBB457_1222
.LBB457_1212:
	s_or_saveexec_b32 s11, s11
	v_mov_b32_e32 v10, s12
	s_xor_b32 exec_lo, exec_lo, s11
	s_cbranch_execz .LBB457_1198
.LBB457_1213:
	v_cmp_ne_u16_e32 vcc_lo, 0, v9
	v_mov_b32_e32 v10, 0
	s_and_not1_b32 s10, s10, exec_lo
	s_and_b32 s12, vcc_lo, exec_lo
	s_delay_alu instid0(SALU_CYCLE_1)
	s_or_b32 s10, s10, s12
	s_or_b32 exec_lo, exec_lo, s11
	s_and_saveexec_b32 s11, s10
	s_cbranch_execnz .LBB457_1199
	s_branch .LBB457_1200
.LBB457_1214:
	s_mov_b32 s3, -1
                                        ; implicit-def: $vgpr10
	s_branch .LBB457_1219
.LBB457_1215:
	s_mov_b32 s3, -1
                                        ; implicit-def: $vgpr10
.LBB457_1216:
	s_delay_alu instid0(SALU_CYCLE_1)
	s_and_b32 vcc_lo, exec_lo, s3
	s_cbranch_vccz .LBB457_1218
; %bb.1217:
	global_load_u8 v9, v[7:8], off
	s_waitcnt vmcnt(0)
	v_lshlrev_b32_e32 v9, 24, v9
	s_delay_alu instid0(VALU_DEP_1) | instskip(NEXT) | instid1(VALU_DEP_1)
	v_and_b32_e32 v10, 0x7f000000, v9
	v_clz_i32_u32_e32 v11, v10
	v_add_nc_u32_e32 v13, 0x1000000, v10
	v_cmp_ne_u32_e32 vcc_lo, 0, v10
	s_delay_alu instid0(VALU_DEP_3) | instskip(NEXT) | instid1(VALU_DEP_1)
	v_min_u32_e32 v11, 32, v11
	v_sub_nc_u32_e64 v11, v11, 4 clamp
	s_delay_alu instid0(VALU_DEP_1) | instskip(SKIP_1) | instid1(VALU_DEP_2)
	v_lshlrev_b32_e32 v12, v11, v10
	v_lshlrev_b32_e32 v11, 23, v11
	v_lshrrev_b32_e32 v12, 4, v12
	s_delay_alu instid0(VALU_DEP_1) | instskip(SKIP_1) | instid1(VALU_DEP_2)
	v_sub_nc_u32_e32 v11, v12, v11
	v_ashrrev_i32_e32 v12, 8, v13
	v_add_nc_u32_e32 v11, 0x3c000000, v11
	s_delay_alu instid0(VALU_DEP_1) | instskip(NEXT) | instid1(VALU_DEP_1)
	v_and_or_b32 v11, 0x7f800000, v12, v11
	v_cndmask_b32_e32 v10, 0, v11, vcc_lo
	s_delay_alu instid0(VALU_DEP_1) | instskip(NEXT) | instid1(VALU_DEP_1)
	v_and_or_b32 v9, 0x80000000, v9, v10
	v_cvt_i32_f32_e32 v10, v9
.LBB457_1218:
	s_mov_b32 s3, 0
.LBB457_1219:
	s_delay_alu instid0(SALU_CYCLE_1)
	s_and_not1_b32 vcc_lo, exec_lo, s3
	s_cbranch_vccnz .LBB457_1221
; %bb.1220:
	global_load_u8 v9, v[7:8], off
	s_waitcnt vmcnt(0)
	v_lshlrev_b32_e32 v10, 25, v9
	v_lshlrev_b16 v9, 8, v9
	s_delay_alu instid0(VALU_DEP_2) | instskip(NEXT) | instid1(VALU_DEP_2)
	v_lshrrev_b32_e32 v11, 4, v10
	v_and_or_b32 v12, 0x7f00, v9, 0.5
	v_bfe_i32 v9, v9, 0, 16
	s_delay_alu instid0(VALU_DEP_3) | instskip(NEXT) | instid1(VALU_DEP_1)
	v_or_b32_e32 v11, 0x70000000, v11
	v_dual_add_f32 v12, -0.5, v12 :: v_dual_mul_f32 v11, 0x7800000, v11
	v_cmp_gt_u32_e32 vcc_lo, 0x8000000, v10
	s_delay_alu instid0(VALU_DEP_2) | instskip(NEXT) | instid1(VALU_DEP_1)
	v_cndmask_b32_e32 v10, v11, v12, vcc_lo
	v_and_or_b32 v9, 0x80000000, v9, v10
	s_delay_alu instid0(VALU_DEP_1)
	v_cvt_i32_f32_e32 v10, v9
.LBB457_1221:
	s_mov_b32 s10, -1
	s_mov_b32 s3, 0
	s_cbranch_execnz .LBB457_1232
.LBB457_1222:
	v_cmp_gt_i16_e64 s3, s2, 14
	s_delay_alu instid0(VALU_DEP_1)
	s_and_b32 vcc_lo, exec_lo, s3
	s_cbranch_vccz .LBB457_1225
; %bb.1223:
	v_cmp_eq_u16_e64 s1, s2, 15
	s_delay_alu instid0(VALU_DEP_1)
	s_and_b32 vcc_lo, exec_lo, s1
	s_cbranch_vccz .LBB457_1228
; %bb.1224:
	global_load_u16 v9, v[7:8], off
	s_mov_b32 s1, 0
	s_mov_b32 s10, -1
	s_waitcnt vmcnt(0)
	v_lshlrev_b32_e32 v9, 16, v9
	s_delay_alu instid0(VALU_DEP_1)
	v_cvt_i32_f32_e32 v10, v9
	s_branch .LBB457_1229
.LBB457_1225:
	s_mov_b32 s3, -1
                                        ; implicit-def: $vgpr10
	s_branch .LBB457_1230
.LBB457_1226:
	s_or_saveexec_b32 s10, s10
	v_mov_b32_e32 v10, s11
	s_xor_b32 exec_lo, exec_lo, s10
	s_cbranch_execz .LBB457_1208
.LBB457_1227:
	v_cmp_ne_u16_e32 vcc_lo, 0, v9
	v_mov_b32_e32 v10, 0
	s_and_not1_b32 s3, s3, exec_lo
	s_and_b32 s11, vcc_lo, exec_lo
	s_delay_alu instid0(SALU_CYCLE_1)
	s_or_b32 s3, s3, s11
	s_or_b32 exec_lo, exec_lo, s10
	s_and_saveexec_b32 s10, s3
	s_cbranch_execnz .LBB457_1209
	s_branch .LBB457_1210
.LBB457_1228:
	s_mov_b32 s1, -1
                                        ; implicit-def: $vgpr10
.LBB457_1229:
	s_mov_b32 s3, 0
.LBB457_1230:
	s_delay_alu instid0(SALU_CYCLE_1)
	s_and_b32 vcc_lo, exec_lo, s3
	s_mov_b32 s3, 0
	s_cbranch_vccz .LBB457_1232
; %bb.1231:
	v_cmp_ne_u16_e64 s1, s2, 11
	s_mov_b32 s3, -1
                                        ; implicit-def: $vgpr10
.LBB457_1232:
	s_delay_alu instid0(VALU_DEP_1)
	s_and_b32 vcc_lo, exec_lo, s1
	s_mov_b32 s1, s8
	s_cbranch_vccnz .LBB457_1256
; %bb.1233:
	s_and_not1_b32 vcc_lo, exec_lo, s3
	s_cbranch_vccnz .LBB457_1235
.LBB457_1234:
	global_load_u8 v9, v[7:8], off
	s_mov_b32 s10, -1
	s_waitcnt vmcnt(0)
	v_cmp_ne_u16_e32 vcc_lo, 0, v9
	v_cndmask_b32_e64 v10, 0, 1, vcc_lo
.LBB457_1235:
.LBB457_1236:
	s_and_not1_b32 vcc_lo, exec_lo, s10
	s_cbranch_vccnz .LBB457_2057
.LBB457_1237:
	v_cmp_lt_i16_e64 s3, s2, 11
	v_add_co_u32 v6, s10, s6, v6
	s_delay_alu instid0(VALU_DEP_1) | instskip(NEXT) | instid1(VALU_DEP_3)
	v_add_co_ci_u32_e64 v7, null, s7, 0, s10
	s_and_b32 vcc_lo, exec_lo, s3
	s_mov_b32 s11, 0
	s_cbranch_vccnz .LBB457_1244
; %bb.1238:
	v_cmp_gt_i16_e64 s3, s2, 25
	s_mov_b32 s10, 0
	s_delay_alu instid0(VALU_DEP_1)
	s_and_b32 vcc_lo, exec_lo, s3
	s_cbranch_vccz .LBB457_1250
; %bb.1239:
	v_cmp_gt_i16_e64 s3, s2, 28
	s_delay_alu instid0(VALU_DEP_1)
	s_and_b32 vcc_lo, exec_lo, s3
	s_cbranch_vccz .LBB457_1252
; %bb.1240:
	v_cmp_gt_i16_e64 s3, s2, 43
	;; [unrolled: 5-line block ×3, first 2 shown]
	s_delay_alu instid0(VALU_DEP_1)
	s_and_b32 vcc_lo, exec_lo, s3
	s_cbranch_vccz .LBB457_1260
; %bb.1242:
	v_cmp_eq_u16_e64 s3, s2, 46
	s_mov_b32 s12, 0
	s_delay_alu instid0(VALU_DEP_1)
	s_and_b32 vcc_lo, exec_lo, s3
	s_cbranch_vccz .LBB457_1304
; %bb.1243:
	global_load_b32 v8, v[6:7], off
	s_mov_b32 s3, 0
	s_mov_b32 s11, -1
	s_waitcnt vmcnt(0)
	v_lshlrev_b32_e32 v8, 16, v8
	s_delay_alu instid0(VALU_DEP_1)
	v_cvt_i32_f32_e32 v8, v8
	s_branch .LBB457_1306
.LBB457_1244:
                                        ; implicit-def: $vgpr8
	s_cbranch_execz .LBB457_1367
; %bb.1245:
	v_cmp_lt_i16_e64 s3, s2, 5
	s_delay_alu instid0(VALU_DEP_1)
	s_and_b32 vcc_lo, exec_lo, s3
	s_cbranch_vccnz .LBB457_1251
; %bb.1246:
	v_cmp_lt_i16_e64 s3, s2, 8
	s_delay_alu instid0(VALU_DEP_1)
	s_and_b32 vcc_lo, exec_lo, s3
	s_cbranch_vccnz .LBB457_1253
	;; [unrolled: 5-line block ×3, first 2 shown]
; %bb.1248:
	v_cmp_gt_i16_e64 s3, s2, 9
	s_delay_alu instid0(VALU_DEP_1)
	s_and_b32 vcc_lo, exec_lo, s3
	s_cbranch_vccz .LBB457_1261
; %bb.1249:
	global_load_b64 v[8:9], v[6:7], off
	s_mov_b32 s3, 0
	s_waitcnt vmcnt(0)
	v_cvt_i32_f64_e32 v8, v[8:9]
	s_branch .LBB457_1262
.LBB457_1250:
	s_mov_b32 s3, 0
                                        ; implicit-def: $vgpr8
	s_cbranch_execnz .LBB457_1333
	s_branch .LBB457_1363
.LBB457_1251:
                                        ; implicit-def: $vgpr8
	s_branch .LBB457_1280
.LBB457_1252:
	s_mov_b32 s12, -1
	s_mov_b32 s3, 0
                                        ; implicit-def: $vgpr8
	s_branch .LBB457_1316
.LBB457_1253:
	s_mov_b32 s3, -1
                                        ; implicit-def: $vgpr8
	s_branch .LBB457_1268
.LBB457_1254:
	s_mov_b32 s12, -1
	s_mov_b32 s3, 0
                                        ; implicit-def: $vgpr8
	s_branch .LBB457_1311
.LBB457_1255:
	s_mov_b32 s3, -1
                                        ; implicit-def: $vgpr8
	s_branch .LBB457_1265
.LBB457_1256:
	s_cbranch_execnz .LBB457_1300
; %bb.1257:
	s_or_b32 s1, s8, exec_lo
                                        ; implicit-def: $vgpr10
	s_cbranch_execz .LBB457_1234
	s_branch .LBB457_1235
.LBB457_1258:
	s_or_saveexec_b32 s7, s7
                                        ; implicit-def: $sgpr8
	s_delay_alu instid0(SALU_CYCLE_1)
	s_xor_b32 exec_lo, exec_lo, s7
	s_cbranch_execz .LBB457_971
.LBB457_1259:
	v_add_f32_e64 v3, 0x46000000, |v0|
	s_and_not1_b32 s5, s5, exec_lo
	s_mov_b32 s8, 0
	s_delay_alu instid0(VALU_DEP_1) | instskip(NEXT) | instid1(VALU_DEP_1)
	v_and_b32_e32 v3, 0xff, v3
	v_cmp_ne_u32_e32 vcc_lo, 0, v3
	s_and_b32 s9, vcc_lo, exec_lo
	s_delay_alu instid0(SALU_CYCLE_1)
	s_or_b32 s5, s5, s9
	s_or_b32 exec_lo, exec_lo, s7
	v_mov_b32_e32 v6, s8
	s_and_saveexec_b32 s7, s5
	s_cbranch_execnz .LBB457_972
	s_branch .LBB457_973
.LBB457_1260:
	s_mov_b32 s12, -1
	s_mov_b32 s3, 0
	s_branch .LBB457_1305
.LBB457_1261:
	s_mov_b32 s3, -1
                                        ; implicit-def: $vgpr8
.LBB457_1262:
	s_delay_alu instid0(SALU_CYCLE_1)
	s_and_not1_b32 vcc_lo, exec_lo, s3
	s_cbranch_vccnz .LBB457_1264
; %bb.1263:
	global_load_b32 v8, v[6:7], off
	s_waitcnt vmcnt(0)
	v_cvt_i32_f32_e32 v8, v8
.LBB457_1264:
	s_mov_b32 s3, 0
.LBB457_1265:
	s_delay_alu instid0(SALU_CYCLE_1)
	s_and_not1_b32 vcc_lo, exec_lo, s3
	s_cbranch_vccnz .LBB457_1267
; %bb.1266:
	global_load_b32 v8, v[6:7], off
	s_waitcnt vmcnt(0)
	v_cvt_i16_f16_e32 v8, v8
.LBB457_1267:
	s_mov_b32 s3, 0
.LBB457_1268:
	s_delay_alu instid0(SALU_CYCLE_1)
	s_and_not1_b32 vcc_lo, exec_lo, s3
	s_cbranch_vccnz .LBB457_1279
; %bb.1269:
	v_cmp_lt_i16_e64 s3, s2, 6
	s_delay_alu instid0(VALU_DEP_1)
	s_and_b32 vcc_lo, exec_lo, s3
	s_cbranch_vccnz .LBB457_1272
; %bb.1270:
	v_cmp_gt_i16_e64 s3, s2, 6
	s_delay_alu instid0(VALU_DEP_1)
	s_and_b32 vcc_lo, exec_lo, s3
	s_cbranch_vccz .LBB457_1273
; %bb.1271:
	global_load_b64 v[8:9], v[6:7], off
	s_mov_b32 s3, 0
	s_waitcnt vmcnt(0)
	v_cvt_i32_f64_e32 v8, v[8:9]
	s_branch .LBB457_1274
.LBB457_1272:
	s_mov_b32 s3, -1
                                        ; implicit-def: $vgpr8
	s_branch .LBB457_1277
.LBB457_1273:
	s_mov_b32 s3, -1
                                        ; implicit-def: $vgpr8
.LBB457_1274:
	s_delay_alu instid0(SALU_CYCLE_1)
	s_and_not1_b32 vcc_lo, exec_lo, s3
	s_cbranch_vccnz .LBB457_1276
; %bb.1275:
	global_load_b32 v8, v[6:7], off
	s_waitcnt vmcnt(0)
	v_cvt_i32_f32_e32 v8, v8
.LBB457_1276:
	s_mov_b32 s3, 0
.LBB457_1277:
	s_delay_alu instid0(SALU_CYCLE_1)
	s_and_not1_b32 vcc_lo, exec_lo, s3
	s_cbranch_vccnz .LBB457_1279
; %bb.1278:
	global_load_u16 v8, v[6:7], off
	s_waitcnt vmcnt(0)
	v_cvt_i16_f16_e32 v8, v8
.LBB457_1279:
	s_cbranch_execnz .LBB457_1299
.LBB457_1280:
	v_cmp_lt_i16_e64 s3, s2, 2
	s_delay_alu instid0(VALU_DEP_1)
	s_and_b32 vcc_lo, exec_lo, s3
	s_cbranch_vccnz .LBB457_1284
; %bb.1281:
	v_cmp_lt_i16_e64 s3, s2, 3
	s_delay_alu instid0(VALU_DEP_1)
	s_and_b32 vcc_lo, exec_lo, s3
	s_cbranch_vccnz .LBB457_1285
; %bb.1282:
	v_cmp_gt_i16_e64 s3, s2, 3
	s_delay_alu instid0(VALU_DEP_1)
	s_and_b32 vcc_lo, exec_lo, s3
	s_cbranch_vccz .LBB457_1286
; %bb.1283:
	global_load_b64 v[8:9], v[6:7], off
	s_mov_b32 s3, 0
	s_branch .LBB457_1287
.LBB457_1284:
	s_mov_b32 s3, -1
                                        ; implicit-def: $vgpr8
	s_branch .LBB457_1293
.LBB457_1285:
	s_mov_b32 s3, -1
                                        ; implicit-def: $vgpr8
	s_branch .LBB457_1290
.LBB457_1286:
	s_mov_b32 s3, -1
                                        ; implicit-def: $vgpr8
.LBB457_1287:
	s_delay_alu instid0(SALU_CYCLE_1)
	s_and_not1_b32 vcc_lo, exec_lo, s3
	s_cbranch_vccnz .LBB457_1289
; %bb.1288:
	global_load_b32 v8, v[6:7], off
.LBB457_1289:
	s_mov_b32 s3, 0
.LBB457_1290:
	s_delay_alu instid0(SALU_CYCLE_1)
	s_and_not1_b32 vcc_lo, exec_lo, s3
	s_cbranch_vccnz .LBB457_1292
; %bb.1291:
	global_load_u16 v8, v[6:7], off
.LBB457_1292:
	s_mov_b32 s3, 0
.LBB457_1293:
	s_delay_alu instid0(SALU_CYCLE_1)
	s_and_not1_b32 vcc_lo, exec_lo, s3
	s_cbranch_vccnz .LBB457_1299
; %bb.1294:
	v_cmp_gt_i16_e64 s3, s2, 0
	s_delay_alu instid0(VALU_DEP_1)
	s_and_b32 vcc_lo, exec_lo, s3
	s_mov_b32 s3, 0
	s_cbranch_vccz .LBB457_1296
; %bb.1295:
	global_load_i8 v8, v[6:7], off
	s_branch .LBB457_1297
.LBB457_1296:
	s_mov_b32 s3, -1
                                        ; implicit-def: $vgpr8
.LBB457_1297:
	s_delay_alu instid0(SALU_CYCLE_1)
	s_and_not1_b32 vcc_lo, exec_lo, s3
	s_cbranch_vccnz .LBB457_1299
; %bb.1298:
	global_load_u8 v8, v[6:7], off
.LBB457_1299:
	s_branch .LBB457_1368
.LBB457_1300:
	s_trap 2
	s_sendmsg_rtn_b32 s0, sendmsg(MSG_RTN_GET_DOORBELL)
	s_mov_b32 ttmp2, m0
	s_waitcnt lgkmcnt(0)
	s_and_b32 s0, s0, 0x3ff
	s_delay_alu instid0(SALU_CYCLE_1) | instskip(NEXT) | instid1(SALU_CYCLE_1)
	s_bitset1_b32 s0, 10
	s_mov_b32 m0, s0
	s_sendmsg sendmsg(MSG_INTERRUPT)
	s_mov_b32 m0, ttmp2
.LBB457_1301:                           ; =>This Inner Loop Header: Depth=1
	s_sethalt 5
	s_branch .LBB457_1301
.LBB457_1302:
	s_or_saveexec_b32 s8, s8
                                        ; implicit-def: $sgpr9
	s_delay_alu instid0(SALU_CYCLE_1)
	s_xor_b32 exec_lo, exec_lo, s8
	s_cbranch_execz .LBB457_983
.LBB457_1303:
	v_add_f32_e64 v3, 0x42800000, |v0|
	s_and_not1_b32 s7, s7, exec_lo
	s_mov_b32 s9, 0
	s_delay_alu instid0(VALU_DEP_1) | instskip(NEXT) | instid1(VALU_DEP_1)
	v_and_b32_e32 v3, 0xff, v3
	v_cmp_ne_u32_e32 vcc_lo, 0, v3
	s_and_b32 s10, vcc_lo, exec_lo
	s_delay_alu instid0(SALU_CYCLE_1)
	s_or_b32 s7, s7, s10
	s_or_b32 exec_lo, exec_lo, s8
	v_mov_b32_e32 v6, s9
	s_and_saveexec_b32 s8, s7
	s_cbranch_execnz .LBB457_984
	s_branch .LBB457_985
.LBB457_1304:
	s_mov_b32 s3, -1
.LBB457_1305:
                                        ; implicit-def: $vgpr8
.LBB457_1306:
	s_and_b32 vcc_lo, exec_lo, s12
	s_cbranch_vccz .LBB457_1310
; %bb.1307:
	v_cmp_eq_u16_e64 s3, s2, 44
	s_delay_alu instid0(VALU_DEP_1)
	s_and_b32 vcc_lo, exec_lo, s3
	s_cbranch_vccz .LBB457_1309
; %bb.1308:
	global_load_u8 v8, v[6:7], off
	s_mov_b32 s3, 0
	s_mov_b32 s11, -1
	s_waitcnt vmcnt(0)
	v_lshlrev_b32_e32 v9, 23, v8
	v_cmp_ne_u32_e32 vcc_lo, 0, v8
	s_delay_alu instid0(VALU_DEP_2) | instskip(NEXT) | instid1(VALU_DEP_1)
	v_cvt_i32_f32_e32 v9, v9
	v_cndmask_b32_e32 v8, 0, v9, vcc_lo
	s_branch .LBB457_1310
.LBB457_1309:
	s_mov_b32 s3, -1
                                        ; implicit-def: $vgpr8
.LBB457_1310:
	s_mov_b32 s12, 0
.LBB457_1311:
	s_delay_alu instid0(SALU_CYCLE_1)
	s_and_b32 vcc_lo, exec_lo, s12
	s_cbranch_vccz .LBB457_1315
; %bb.1312:
	v_cmp_eq_u16_e64 s3, s2, 29
	s_delay_alu instid0(VALU_DEP_1)
	s_and_b32 vcc_lo, exec_lo, s3
	s_cbranch_vccz .LBB457_1314
; %bb.1313:
	global_load_b64 v[8:9], v[6:7], off
	s_mov_b32 s3, 0
	s_mov_b32 s11, -1
	s_branch .LBB457_1315
.LBB457_1314:
	s_mov_b32 s3, -1
                                        ; implicit-def: $vgpr8
.LBB457_1315:
	s_mov_b32 s12, 0
.LBB457_1316:
	s_delay_alu instid0(SALU_CYCLE_1)
	s_and_b32 vcc_lo, exec_lo, s12
	s_cbranch_vccz .LBB457_1332
; %bb.1317:
	v_cmp_lt_i16_e64 s11, s2, 27
	s_delay_alu instid0(VALU_DEP_1)
	s_and_b32 vcc_lo, exec_lo, s11
	s_cbranch_vccnz .LBB457_1320
; %bb.1318:
	v_cmp_gt_i16_e64 s11, s2, 27
	s_delay_alu instid0(VALU_DEP_1)
	s_and_b32 vcc_lo, exec_lo, s11
	s_cbranch_vccz .LBB457_1321
; %bb.1319:
	global_load_b32 v8, v[6:7], off
	s_mov_b32 s11, 0
	s_branch .LBB457_1322
.LBB457_1320:
	s_mov_b32 s11, -1
                                        ; implicit-def: $vgpr8
	s_branch .LBB457_1325
.LBB457_1321:
	s_mov_b32 s11, -1
                                        ; implicit-def: $vgpr8
.LBB457_1322:
	s_delay_alu instid0(SALU_CYCLE_1)
	s_and_not1_b32 vcc_lo, exec_lo, s11
	s_cbranch_vccnz .LBB457_1324
; %bb.1323:
	global_load_u16 v8, v[6:7], off
.LBB457_1324:
	s_mov_b32 s11, 0
.LBB457_1325:
	s_delay_alu instid0(SALU_CYCLE_1)
	s_and_not1_b32 vcc_lo, exec_lo, s11
	s_cbranch_vccnz .LBB457_1331
; %bb.1326:
	global_load_u8 v9, v[6:7], off
	s_mov_b32 s11, 0
	s_mov_b32 s12, exec_lo
                                        ; implicit-def: $sgpr13
	s_waitcnt vmcnt(0)
	v_cmpx_lt_i16_e32 0x7f, v9
	s_xor_b32 s12, exec_lo, s12
	s_cbranch_execz .LBB457_1342
; %bb.1327:
	v_cmp_ne_u16_e32 vcc_lo, 0x80, v9
	s_mov_b32 s13, 0
	s_and_b32 s11, vcc_lo, exec_lo
	s_or_saveexec_b32 s12, s12
	v_mov_b32_e32 v8, s13
	s_xor_b32 exec_lo, exec_lo, s12
	s_cbranch_execnz .LBB457_1343
.LBB457_1328:
	s_or_b32 exec_lo, exec_lo, s12
	s_and_saveexec_b32 s12, s11
	s_cbranch_execz .LBB457_1330
.LBB457_1329:
	v_and_b32_e32 v8, 0xffff, v9
	v_lshlrev_b32_e32 v9, 24, v9
	s_delay_alu instid0(VALU_DEP_2) | instskip(NEXT) | instid1(VALU_DEP_2)
	v_and_b32_e32 v11, 7, v8
	v_and_b32_e32 v9, 0x80000000, v9
	s_delay_alu instid0(VALU_DEP_2) | instskip(NEXT) | instid1(VALU_DEP_1)
	v_clz_i32_u32_e32 v12, v11
	v_min_u32_e32 v12, 32, v12
	s_delay_alu instid0(VALU_DEP_1) | instskip(SKIP_1) | instid1(VALU_DEP_2)
	v_subrev_nc_u32_e32 v13, 28, v12
	v_sub_nc_u32_e32 v12, 29, v12
	v_lshlrev_b32_e32 v13, v13, v8
	v_bfe_u32 v8, v8, 3, 4
	s_delay_alu instid0(VALU_DEP_1) | instskip(NEXT) | instid1(VALU_DEP_3)
	v_cmp_eq_u32_e32 vcc_lo, 0, v8
	v_dual_cndmask_b32 v8, v8, v12 :: v_dual_and_b32 v13, 7, v13
	s_delay_alu instid0(VALU_DEP_1) | instskip(NEXT) | instid1(VALU_DEP_2)
	v_cndmask_b32_e32 v11, v11, v13, vcc_lo
	v_lshl_add_u32 v8, v8, 23, 0x3b800000
	s_delay_alu instid0(VALU_DEP_2) | instskip(NEXT) | instid1(VALU_DEP_1)
	v_lshlrev_b32_e32 v11, 20, v11
	v_or3_b32 v8, v9, v8, v11
	s_delay_alu instid0(VALU_DEP_1)
	v_cvt_i32_f32_e32 v8, v8
.LBB457_1330:
	s_or_b32 exec_lo, exec_lo, s12
.LBB457_1331:
	s_mov_b32 s11, -1
.LBB457_1332:
	s_branch .LBB457_1363
.LBB457_1333:
	v_cmp_gt_i16_e64 s10, s2, 22
	s_delay_alu instid0(VALU_DEP_1)
	s_and_b32 vcc_lo, exec_lo, s10
	s_cbranch_vccz .LBB457_1341
; %bb.1334:
	v_cmp_lt_i16_e64 s10, s2, 24
	s_delay_alu instid0(VALU_DEP_1)
	s_and_b32 vcc_lo, exec_lo, s10
	s_cbranch_vccnz .LBB457_1344
; %bb.1335:
	v_cmp_gt_i16_e64 s10, s2, 24
	s_delay_alu instid0(VALU_DEP_1)
	s_and_b32 vcc_lo, exec_lo, s10
	s_cbranch_vccz .LBB457_1345
; %bb.1336:
	global_load_u8 v9, v[6:7], off
	s_mov_b32 s10, 0
	s_mov_b32 s11, exec_lo
                                        ; implicit-def: $sgpr12
	s_waitcnt vmcnt(0)
	v_cmpx_lt_i16_e32 0x7f, v9
	s_xor_b32 s11, exec_lo, s11
	s_cbranch_execz .LBB457_1357
; %bb.1337:
	v_cmp_ne_u16_e32 vcc_lo, 0x80, v9
	s_mov_b32 s12, 0
	s_and_b32 s10, vcc_lo, exec_lo
	s_or_saveexec_b32 s11, s11
	v_mov_b32_e32 v8, s12
	s_xor_b32 exec_lo, exec_lo, s11
	s_cbranch_execnz .LBB457_1358
.LBB457_1338:
	s_or_b32 exec_lo, exec_lo, s11
	s_and_saveexec_b32 s11, s10
	s_cbranch_execz .LBB457_1340
.LBB457_1339:
	v_and_b32_e32 v8, 0xffff, v9
	v_lshlrev_b32_e32 v9, 24, v9
	s_delay_alu instid0(VALU_DEP_2) | instskip(NEXT) | instid1(VALU_DEP_2)
	v_and_b32_e32 v11, 3, v8
	v_and_b32_e32 v9, 0x80000000, v9
	s_delay_alu instid0(VALU_DEP_2) | instskip(NEXT) | instid1(VALU_DEP_1)
	v_clz_i32_u32_e32 v12, v11
	v_min_u32_e32 v12, 32, v12
	s_delay_alu instid0(VALU_DEP_1) | instskip(SKIP_1) | instid1(VALU_DEP_2)
	v_subrev_nc_u32_e32 v13, 29, v12
	v_sub_nc_u32_e32 v12, 30, v12
	v_lshlrev_b32_e32 v13, v13, v8
	v_bfe_u32 v8, v8, 2, 5
	s_delay_alu instid0(VALU_DEP_1) | instskip(NEXT) | instid1(VALU_DEP_3)
	v_cmp_eq_u32_e32 vcc_lo, 0, v8
	v_dual_cndmask_b32 v8, v8, v12 :: v_dual_and_b32 v13, 3, v13
	s_delay_alu instid0(VALU_DEP_1) | instskip(NEXT) | instid1(VALU_DEP_2)
	v_cndmask_b32_e32 v11, v11, v13, vcc_lo
	v_lshl_add_u32 v8, v8, 23, 0x37800000
	s_delay_alu instid0(VALU_DEP_2) | instskip(NEXT) | instid1(VALU_DEP_1)
	v_lshlrev_b32_e32 v11, 21, v11
	v_or3_b32 v8, v9, v8, v11
	s_delay_alu instid0(VALU_DEP_1)
	v_cvt_i32_f32_e32 v8, v8
.LBB457_1340:
	s_or_b32 exec_lo, exec_lo, s11
	s_mov_b32 s10, 0
	s_branch .LBB457_1346
.LBB457_1341:
	s_mov_b32 s10, -1
                                        ; implicit-def: $vgpr8
	s_branch .LBB457_1352
.LBB457_1342:
	s_or_saveexec_b32 s12, s12
	v_mov_b32_e32 v8, s13
	s_xor_b32 exec_lo, exec_lo, s12
	s_cbranch_execz .LBB457_1328
.LBB457_1343:
	v_cmp_ne_u16_e32 vcc_lo, 0, v9
	v_mov_b32_e32 v8, 0
	s_and_not1_b32 s11, s11, exec_lo
	s_and_b32 s13, vcc_lo, exec_lo
	s_delay_alu instid0(SALU_CYCLE_1)
	s_or_b32 s11, s11, s13
	s_or_b32 exec_lo, exec_lo, s12
	s_and_saveexec_b32 s12, s11
	s_cbranch_execnz .LBB457_1329
	s_branch .LBB457_1330
.LBB457_1344:
	s_mov_b32 s10, -1
                                        ; implicit-def: $vgpr8
	s_branch .LBB457_1349
.LBB457_1345:
	s_mov_b32 s10, -1
                                        ; implicit-def: $vgpr8
.LBB457_1346:
	s_delay_alu instid0(SALU_CYCLE_1)
	s_and_b32 vcc_lo, exec_lo, s10
	s_cbranch_vccz .LBB457_1348
; %bb.1347:
	global_load_u8 v8, v[6:7], off
	s_waitcnt vmcnt(0)
	v_lshlrev_b32_e32 v8, 24, v8
	s_delay_alu instid0(VALU_DEP_1) | instskip(NEXT) | instid1(VALU_DEP_1)
	v_and_b32_e32 v9, 0x7f000000, v8
	v_clz_i32_u32_e32 v11, v9
	v_add_nc_u32_e32 v13, 0x1000000, v9
	v_cmp_ne_u32_e32 vcc_lo, 0, v9
	s_delay_alu instid0(VALU_DEP_3) | instskip(NEXT) | instid1(VALU_DEP_1)
	v_min_u32_e32 v11, 32, v11
	v_sub_nc_u32_e64 v11, v11, 4 clamp
	s_delay_alu instid0(VALU_DEP_1) | instskip(SKIP_1) | instid1(VALU_DEP_2)
	v_lshlrev_b32_e32 v12, v11, v9
	v_lshlrev_b32_e32 v11, 23, v11
	v_lshrrev_b32_e32 v12, 4, v12
	s_delay_alu instid0(VALU_DEP_1) | instskip(SKIP_1) | instid1(VALU_DEP_2)
	v_sub_nc_u32_e32 v11, v12, v11
	v_ashrrev_i32_e32 v12, 8, v13
	v_add_nc_u32_e32 v11, 0x3c000000, v11
	s_delay_alu instid0(VALU_DEP_1) | instskip(NEXT) | instid1(VALU_DEP_1)
	v_and_or_b32 v11, 0x7f800000, v12, v11
	v_cndmask_b32_e32 v9, 0, v11, vcc_lo
	s_delay_alu instid0(VALU_DEP_1) | instskip(NEXT) | instid1(VALU_DEP_1)
	v_and_or_b32 v8, 0x80000000, v8, v9
	v_cvt_i32_f32_e32 v8, v8
.LBB457_1348:
	s_mov_b32 s10, 0
.LBB457_1349:
	s_delay_alu instid0(SALU_CYCLE_1)
	s_and_not1_b32 vcc_lo, exec_lo, s10
	s_cbranch_vccnz .LBB457_1351
; %bb.1350:
	global_load_u8 v8, v[6:7], off
	s_waitcnt vmcnt(0)
	v_lshlrev_b32_e32 v9, 25, v8
	v_lshlrev_b16 v8, 8, v8
	s_delay_alu instid0(VALU_DEP_2) | instskip(NEXT) | instid1(VALU_DEP_2)
	v_lshrrev_b32_e32 v11, 4, v9
	v_and_or_b32 v12, 0x7f00, v8, 0.5
	v_cmp_gt_u32_e32 vcc_lo, 0x8000000, v9
	v_bfe_i32 v8, v8, 0, 16
	s_delay_alu instid0(VALU_DEP_4) | instskip(NEXT) | instid1(VALU_DEP_1)
	v_or_b32_e32 v11, 0x70000000, v11
	v_dual_add_f32 v12, -0.5, v12 :: v_dual_mul_f32 v11, 0x7800000, v11
	s_delay_alu instid0(VALU_DEP_1) | instskip(NEXT) | instid1(VALU_DEP_1)
	v_cndmask_b32_e32 v9, v11, v12, vcc_lo
	v_and_or_b32 v8, 0x80000000, v8, v9
	s_delay_alu instid0(VALU_DEP_1)
	v_cvt_i32_f32_e32 v8, v8
.LBB457_1351:
	s_mov_b32 s10, 0
	s_mov_b32 s11, -1
.LBB457_1352:
	s_and_not1_b32 vcc_lo, exec_lo, s10
	s_mov_b32 s10, 0
	s_cbranch_vccnz .LBB457_1363
; %bb.1353:
	v_cmp_gt_i16_e64 s10, s2, 14
	s_delay_alu instid0(VALU_DEP_1)
	s_and_b32 vcc_lo, exec_lo, s10
	s_cbranch_vccz .LBB457_1356
; %bb.1354:
	v_cmp_eq_u16_e64 s3, s2, 15
	s_delay_alu instid0(VALU_DEP_1)
	s_and_b32 vcc_lo, exec_lo, s3
	s_cbranch_vccz .LBB457_1359
; %bb.1355:
	global_load_u16 v8, v[6:7], off
	s_mov_b32 s3, 0
	s_mov_b32 s11, -1
	s_waitcnt vmcnt(0)
	v_lshlrev_b32_e32 v8, 16, v8
	s_delay_alu instid0(VALU_DEP_1)
	v_cvt_i32_f32_e32 v8, v8
	s_branch .LBB457_1360
.LBB457_1356:
	s_mov_b32 s10, -1
                                        ; implicit-def: $vgpr8
	s_branch .LBB457_1361
.LBB457_1357:
	s_or_saveexec_b32 s11, s11
	v_mov_b32_e32 v8, s12
	s_xor_b32 exec_lo, exec_lo, s11
	s_cbranch_execz .LBB457_1338
.LBB457_1358:
	v_cmp_ne_u16_e32 vcc_lo, 0, v9
	v_mov_b32_e32 v8, 0
	s_and_not1_b32 s10, s10, exec_lo
	s_and_b32 s12, vcc_lo, exec_lo
	s_delay_alu instid0(SALU_CYCLE_1)
	s_or_b32 s10, s10, s12
	s_or_b32 exec_lo, exec_lo, s11
	s_and_saveexec_b32 s11, s10
	s_cbranch_execnz .LBB457_1339
	s_branch .LBB457_1340
.LBB457_1359:
	s_mov_b32 s3, -1
                                        ; implicit-def: $vgpr8
.LBB457_1360:
	s_mov_b32 s10, 0
.LBB457_1361:
	s_delay_alu instid0(SALU_CYCLE_1)
	s_and_b32 vcc_lo, exec_lo, s10
	s_mov_b32 s10, 0
	s_cbranch_vccz .LBB457_1363
; %bb.1362:
	v_cmp_ne_u16_e64 s3, s2, 11
	s_mov_b32 s10, -1
                                        ; implicit-def: $vgpr8
.LBB457_1363:
	s_delay_alu instid0(VALU_DEP_1)
	s_and_b32 vcc_lo, exec_lo, s3
	s_cbranch_vccnz .LBB457_1387
; %bb.1364:
	s_and_not1_b32 vcc_lo, exec_lo, s10
	s_cbranch_vccnz .LBB457_1366
.LBB457_1365:
	global_load_u8 v8, v[6:7], off
	s_mov_b32 s11, -1
	s_waitcnt vmcnt(0)
	v_cmp_ne_u16_e32 vcc_lo, 0, v8
	v_cndmask_b32_e64 v8, 0, 1, vcc_lo
.LBB457_1366:
.LBB457_1367:
	s_and_not1_b32 vcc_lo, exec_lo, s11
	s_cbranch_vccnz .LBB457_2057
.LBB457_1368:
	v_cmp_lt_i16_e64 s3, s2, 11
	s_waitcnt vmcnt(0)
	v_add_co_u32 v11, s10, s6, v5
	s_delay_alu instid0(VALU_DEP_1) | instskip(NEXT) | instid1(VALU_DEP_3)
	v_add_co_ci_u32_e64 v12, null, s7, 0, s10
	s_and_b32 vcc_lo, exec_lo, s3
	s_mov_b32 s11, 0
	s_cbranch_vccnz .LBB457_1375
; %bb.1369:
	v_cmp_gt_i16_e64 s3, s2, 25
	s_mov_b32 s10, 0
	s_delay_alu instid0(VALU_DEP_1)
	s_and_b32 vcc_lo, exec_lo, s3
	s_cbranch_vccz .LBB457_1381
; %bb.1370:
	v_cmp_gt_i16_e64 s3, s2, 28
	s_delay_alu instid0(VALU_DEP_1)
	s_and_b32 vcc_lo, exec_lo, s3
	s_cbranch_vccz .LBB457_1383
; %bb.1371:
	v_cmp_gt_i16_e64 s3, s2, 43
	;; [unrolled: 5-line block ×3, first 2 shown]
	s_delay_alu instid0(VALU_DEP_1)
	s_and_b32 vcc_lo, exec_lo, s3
	s_cbranch_vccz .LBB457_1389
; %bb.1373:
	v_cmp_eq_u16_e64 s3, s2, 46
	s_mov_b32 s12, 0
	s_delay_alu instid0(VALU_DEP_1)
	s_and_b32 vcc_lo, exec_lo, s3
	s_cbranch_vccz .LBB457_1432
; %bb.1374:
	global_load_b32 v5, v[11:12], off
	s_mov_b32 s3, 0
	s_mov_b32 s11, -1
	s_waitcnt vmcnt(0)
	v_lshlrev_b32_e32 v5, 16, v5
	s_delay_alu instid0(VALU_DEP_1)
	v_cvt_i32_f32_e32 v6, v5
	s_branch .LBB457_1434
.LBB457_1375:
                                        ; implicit-def: $vgpr6
	s_cbranch_execz .LBB457_1496
; %bb.1376:
	v_cmp_lt_i16_e64 s3, s2, 5
	s_delay_alu instid0(VALU_DEP_1)
	s_and_b32 vcc_lo, exec_lo, s3
	s_cbranch_vccnz .LBB457_1382
; %bb.1377:
	v_cmp_lt_i16_e64 s3, s2, 8
	s_delay_alu instid0(VALU_DEP_1)
	s_and_b32 vcc_lo, exec_lo, s3
	s_cbranch_vccnz .LBB457_1384
	;; [unrolled: 5-line block ×3, first 2 shown]
; %bb.1379:
	v_cmp_gt_i16_e64 s3, s2, 9
	s_delay_alu instid0(VALU_DEP_1)
	s_and_b32 vcc_lo, exec_lo, s3
	s_cbranch_vccz .LBB457_1390
; %bb.1380:
	global_load_b64 v[5:6], v[11:12], off
	s_mov_b32 s3, 0
	s_waitcnt vmcnt(0)
	v_cvt_i32_f64_e32 v6, v[5:6]
	s_branch .LBB457_1391
.LBB457_1381:
	s_mov_b32 s12, -1
	s_mov_b32 s3, 0
                                        ; implicit-def: $vgpr6
	s_branch .LBB457_1461
.LBB457_1382:
	s_mov_b32 s3, -1
                                        ; implicit-def: $vgpr6
	s_branch .LBB457_1409
.LBB457_1383:
	s_mov_b32 s12, -1
	s_mov_b32 s3, 0
                                        ; implicit-def: $vgpr6
	s_branch .LBB457_1444
.LBB457_1384:
	s_mov_b32 s3, -1
                                        ; implicit-def: $vgpr6
	s_branch .LBB457_1397
.LBB457_1385:
	s_mov_b32 s12, -1
	s_mov_b32 s3, 0
                                        ; implicit-def: $vgpr6
	s_branch .LBB457_1439
.LBB457_1386:
	s_mov_b32 s3, -1
                                        ; implicit-def: $vgpr6
	s_branch .LBB457_1394
.LBB457_1387:
	s_cbranch_execnz .LBB457_1430
; %bb.1388:
	s_or_b32 s1, s1, exec_lo
                                        ; implicit-def: $vgpr8
	s_cbranch_execz .LBB457_1365
	s_branch .LBB457_1366
.LBB457_1389:
	s_mov_b32 s12, -1
	s_mov_b32 s3, 0
	s_branch .LBB457_1433
.LBB457_1390:
	s_mov_b32 s3, -1
                                        ; implicit-def: $vgpr6
.LBB457_1391:
	s_delay_alu instid0(SALU_CYCLE_1)
	s_and_not1_b32 vcc_lo, exec_lo, s3
	s_cbranch_vccnz .LBB457_1393
; %bb.1392:
	global_load_b32 v5, v[11:12], off
	s_waitcnt vmcnt(0)
	v_cvt_i32_f32_e32 v6, v5
.LBB457_1393:
	s_mov_b32 s3, 0
.LBB457_1394:
	s_delay_alu instid0(SALU_CYCLE_1)
	s_and_not1_b32 vcc_lo, exec_lo, s3
	s_cbranch_vccnz .LBB457_1396
; %bb.1395:
	global_load_b32 v5, v[11:12], off
	s_waitcnt vmcnt(0)
	v_cvt_i16_f16_e32 v6, v5
.LBB457_1396:
	s_mov_b32 s3, 0
.LBB457_1397:
	s_delay_alu instid0(SALU_CYCLE_1)
	s_and_not1_b32 vcc_lo, exec_lo, s3
	s_cbranch_vccnz .LBB457_1408
; %bb.1398:
	v_cmp_lt_i16_e64 s3, s2, 6
	s_delay_alu instid0(VALU_DEP_1)
	s_and_b32 vcc_lo, exec_lo, s3
	s_cbranch_vccnz .LBB457_1401
; %bb.1399:
	v_cmp_gt_i16_e64 s3, s2, 6
	s_delay_alu instid0(VALU_DEP_1)
	s_and_b32 vcc_lo, exec_lo, s3
	s_cbranch_vccz .LBB457_1402
; %bb.1400:
	global_load_b64 v[5:6], v[11:12], off
	s_mov_b32 s3, 0
	s_waitcnt vmcnt(0)
	v_cvt_i32_f64_e32 v6, v[5:6]
	s_branch .LBB457_1403
.LBB457_1401:
	s_mov_b32 s3, -1
                                        ; implicit-def: $vgpr6
	s_branch .LBB457_1406
.LBB457_1402:
	s_mov_b32 s3, -1
                                        ; implicit-def: $vgpr6
.LBB457_1403:
	s_delay_alu instid0(SALU_CYCLE_1)
	s_and_not1_b32 vcc_lo, exec_lo, s3
	s_cbranch_vccnz .LBB457_1405
; %bb.1404:
	global_load_b32 v5, v[11:12], off
	s_waitcnt vmcnt(0)
	v_cvt_i32_f32_e32 v6, v5
.LBB457_1405:
	s_mov_b32 s3, 0
.LBB457_1406:
	s_delay_alu instid0(SALU_CYCLE_1)
	s_and_not1_b32 vcc_lo, exec_lo, s3
	s_cbranch_vccnz .LBB457_1408
; %bb.1407:
	global_load_u16 v5, v[11:12], off
	s_waitcnt vmcnt(0)
	v_cvt_i16_f16_e32 v6, v5
.LBB457_1408:
	s_mov_b32 s3, 0
.LBB457_1409:
	s_delay_alu instid0(SALU_CYCLE_1)
	s_and_not1_b32 vcc_lo, exec_lo, s3
	s_cbranch_vccnz .LBB457_1429
; %bb.1410:
	v_cmp_lt_i16_e64 s3, s2, 2
	s_delay_alu instid0(VALU_DEP_1)
	s_and_b32 vcc_lo, exec_lo, s3
	s_cbranch_vccnz .LBB457_1414
; %bb.1411:
	v_cmp_lt_i16_e64 s3, s2, 3
	s_delay_alu instid0(VALU_DEP_1)
	s_and_b32 vcc_lo, exec_lo, s3
	s_cbranch_vccnz .LBB457_1415
; %bb.1412:
	v_cmp_gt_i16_e64 s3, s2, 3
	s_delay_alu instid0(VALU_DEP_1)
	s_and_b32 vcc_lo, exec_lo, s3
	s_cbranch_vccz .LBB457_1416
; %bb.1413:
	global_load_b64 v[6:7], v[11:12], off
	s_mov_b32 s3, 0
	s_branch .LBB457_1417
.LBB457_1414:
	s_mov_b32 s3, -1
                                        ; implicit-def: $vgpr6
	s_branch .LBB457_1423
.LBB457_1415:
	s_mov_b32 s3, -1
                                        ; implicit-def: $vgpr6
	s_branch .LBB457_1420
.LBB457_1416:
	s_mov_b32 s3, -1
                                        ; implicit-def: $vgpr6
.LBB457_1417:
	s_delay_alu instid0(SALU_CYCLE_1)
	s_and_not1_b32 vcc_lo, exec_lo, s3
	s_cbranch_vccnz .LBB457_1419
; %bb.1418:
	global_load_b32 v6, v[11:12], off
.LBB457_1419:
	s_mov_b32 s3, 0
.LBB457_1420:
	s_delay_alu instid0(SALU_CYCLE_1)
	s_and_not1_b32 vcc_lo, exec_lo, s3
	s_cbranch_vccnz .LBB457_1422
; %bb.1421:
	global_load_u16 v6, v[11:12], off
.LBB457_1422:
	s_mov_b32 s3, 0
.LBB457_1423:
	s_delay_alu instid0(SALU_CYCLE_1)
	s_and_not1_b32 vcc_lo, exec_lo, s3
	s_cbranch_vccnz .LBB457_1429
; %bb.1424:
	v_cmp_gt_i16_e64 s3, s2, 0
	s_delay_alu instid0(VALU_DEP_1)
	s_and_b32 vcc_lo, exec_lo, s3
	s_mov_b32 s3, 0
	s_cbranch_vccz .LBB457_1426
; %bb.1425:
	global_load_i8 v6, v[11:12], off
	s_branch .LBB457_1427
.LBB457_1426:
	s_mov_b32 s3, -1
                                        ; implicit-def: $vgpr6
.LBB457_1427:
	s_delay_alu instid0(SALU_CYCLE_1)
	s_and_not1_b32 vcc_lo, exec_lo, s3
	s_cbranch_vccnz .LBB457_1429
; %bb.1428:
	global_load_u8 v6, v[11:12], off
.LBB457_1429:
	s_branch .LBB457_1497
.LBB457_1430:
	s_trap 2
	s_sendmsg_rtn_b32 s0, sendmsg(MSG_RTN_GET_DOORBELL)
	s_mov_b32 ttmp2, m0
	s_waitcnt lgkmcnt(0)
	s_and_b32 s0, s0, 0x3ff
	s_delay_alu instid0(SALU_CYCLE_1) | instskip(NEXT) | instid1(SALU_CYCLE_1)
	s_bitset1_b32 s0, 10
	s_mov_b32 m0, s0
	s_sendmsg sendmsg(MSG_INTERRUPT)
	s_mov_b32 m0, ttmp2
.LBB457_1431:                           ; =>This Inner Loop Header: Depth=1
	s_sethalt 5
	s_branch .LBB457_1431
.LBB457_1432:
	s_mov_b32 s3, -1
.LBB457_1433:
                                        ; implicit-def: $vgpr6
.LBB457_1434:
	s_and_b32 vcc_lo, exec_lo, s12
	s_cbranch_vccz .LBB457_1438
; %bb.1435:
	v_cmp_eq_u16_e64 s3, s2, 44
	s_delay_alu instid0(VALU_DEP_1)
	s_and_b32 vcc_lo, exec_lo, s3
	s_cbranch_vccz .LBB457_1437
; %bb.1436:
	global_load_u8 v5, v[11:12], off
	s_mov_b32 s3, 0
	s_mov_b32 s11, -1
	s_waitcnt vmcnt(0)
	v_lshlrev_b32_e32 v6, 23, v5
	v_cmp_ne_u32_e32 vcc_lo, 0, v5
	s_delay_alu instid0(VALU_DEP_2) | instskip(NEXT) | instid1(VALU_DEP_1)
	v_cvt_i32_f32_e32 v6, v6
	v_cndmask_b32_e32 v6, 0, v6, vcc_lo
	s_branch .LBB457_1438
.LBB457_1437:
	s_mov_b32 s3, -1
                                        ; implicit-def: $vgpr6
.LBB457_1438:
	s_mov_b32 s12, 0
.LBB457_1439:
	s_delay_alu instid0(SALU_CYCLE_1)
	s_and_b32 vcc_lo, exec_lo, s12
	s_cbranch_vccz .LBB457_1443
; %bb.1440:
	v_cmp_eq_u16_e64 s3, s2, 29
	s_delay_alu instid0(VALU_DEP_1)
	s_and_b32 vcc_lo, exec_lo, s3
	s_cbranch_vccz .LBB457_1442
; %bb.1441:
	global_load_b64 v[6:7], v[11:12], off
	s_mov_b32 s3, 0
	s_mov_b32 s11, -1
	s_branch .LBB457_1443
.LBB457_1442:
	s_mov_b32 s3, -1
                                        ; implicit-def: $vgpr6
.LBB457_1443:
	s_mov_b32 s12, 0
.LBB457_1444:
	s_delay_alu instid0(SALU_CYCLE_1)
	s_and_b32 vcc_lo, exec_lo, s12
	s_cbranch_vccz .LBB457_1460
; %bb.1445:
	v_cmp_lt_i16_e64 s11, s2, 27
	s_delay_alu instid0(VALU_DEP_1)
	s_and_b32 vcc_lo, exec_lo, s11
	s_cbranch_vccnz .LBB457_1448
; %bb.1446:
	v_cmp_gt_i16_e64 s11, s2, 27
	s_delay_alu instid0(VALU_DEP_1)
	s_and_b32 vcc_lo, exec_lo, s11
	s_cbranch_vccz .LBB457_1449
; %bb.1447:
	global_load_b32 v6, v[11:12], off
	s_mov_b32 s11, 0
	s_branch .LBB457_1450
.LBB457_1448:
	s_mov_b32 s11, -1
                                        ; implicit-def: $vgpr6
	s_branch .LBB457_1453
.LBB457_1449:
	s_mov_b32 s11, -1
                                        ; implicit-def: $vgpr6
.LBB457_1450:
	s_delay_alu instid0(SALU_CYCLE_1)
	s_and_not1_b32 vcc_lo, exec_lo, s11
	s_cbranch_vccnz .LBB457_1452
; %bb.1451:
	global_load_u16 v6, v[11:12], off
.LBB457_1452:
	s_mov_b32 s11, 0
.LBB457_1453:
	s_delay_alu instid0(SALU_CYCLE_1)
	s_and_not1_b32 vcc_lo, exec_lo, s11
	s_cbranch_vccnz .LBB457_1459
; %bb.1454:
	global_load_u8 v5, v[11:12], off
	s_mov_b32 s11, 0
	s_mov_b32 s12, exec_lo
                                        ; implicit-def: $sgpr13
	s_waitcnt vmcnt(0)
	v_cmpx_lt_i16_e32 0x7f, v5
	s_xor_b32 s12, exec_lo, s12
	s_cbranch_execz .LBB457_1471
; %bb.1455:
	v_cmp_ne_u16_e32 vcc_lo, 0x80, v5
	s_mov_b32 s13, 0
	s_and_b32 s11, vcc_lo, exec_lo
	s_or_saveexec_b32 s12, s12
	v_mov_b32_e32 v6, s13
	s_xor_b32 exec_lo, exec_lo, s12
	s_cbranch_execnz .LBB457_1472
.LBB457_1456:
	s_or_b32 exec_lo, exec_lo, s12
	s_and_saveexec_b32 s12, s11
	s_cbranch_execz .LBB457_1458
.LBB457_1457:
	v_and_b32_e32 v6, 0xffff, v5
	v_lshlrev_b32_e32 v5, 24, v5
	s_delay_alu instid0(VALU_DEP_2) | instskip(NEXT) | instid1(VALU_DEP_2)
	v_and_b32_e32 v7, 7, v6
	v_and_b32_e32 v5, 0x80000000, v5
	s_delay_alu instid0(VALU_DEP_2) | instskip(NEXT) | instid1(VALU_DEP_1)
	v_clz_i32_u32_e32 v9, v7
	v_min_u32_e32 v9, 32, v9
	s_delay_alu instid0(VALU_DEP_1) | instskip(SKIP_1) | instid1(VALU_DEP_2)
	v_subrev_nc_u32_e32 v13, 28, v9
	v_sub_nc_u32_e32 v9, 29, v9
	v_lshlrev_b32_e32 v13, v13, v6
	v_bfe_u32 v6, v6, 3, 4
	s_delay_alu instid0(VALU_DEP_2) | instskip(NEXT) | instid1(VALU_DEP_2)
	v_and_b32_e32 v13, 7, v13
	v_cmp_eq_u32_e32 vcc_lo, 0, v6
	v_cndmask_b32_e32 v6, v6, v9, vcc_lo
	s_delay_alu instid0(VALU_DEP_3) | instskip(NEXT) | instid1(VALU_DEP_2)
	v_cndmask_b32_e32 v7, v7, v13, vcc_lo
	v_lshl_add_u32 v6, v6, 23, 0x3b800000
	s_delay_alu instid0(VALU_DEP_2) | instskip(NEXT) | instid1(VALU_DEP_1)
	v_lshlrev_b32_e32 v7, 20, v7
	v_or3_b32 v5, v5, v6, v7
	s_delay_alu instid0(VALU_DEP_1)
	v_cvt_i32_f32_e32 v6, v5
.LBB457_1458:
	s_or_b32 exec_lo, exec_lo, s12
.LBB457_1459:
	s_mov_b32 s11, -1
.LBB457_1460:
	s_mov_b32 s12, 0
.LBB457_1461:
	s_delay_alu instid0(SALU_CYCLE_1)
	s_and_b32 vcc_lo, exec_lo, s12
	s_cbranch_vccz .LBB457_1492
; %bb.1462:
	v_cmp_gt_i16_e64 s10, s2, 22
	s_delay_alu instid0(VALU_DEP_1)
	s_and_b32 vcc_lo, exec_lo, s10
	s_cbranch_vccz .LBB457_1470
; %bb.1463:
	v_cmp_lt_i16_e64 s10, s2, 24
	s_delay_alu instid0(VALU_DEP_1)
	s_and_b32 vcc_lo, exec_lo, s10
	s_cbranch_vccnz .LBB457_1473
; %bb.1464:
	v_cmp_gt_i16_e64 s10, s2, 24
	s_delay_alu instid0(VALU_DEP_1)
	s_and_b32 vcc_lo, exec_lo, s10
	s_cbranch_vccz .LBB457_1474
; %bb.1465:
	global_load_u8 v5, v[11:12], off
	s_mov_b32 s10, 0
	s_mov_b32 s11, exec_lo
                                        ; implicit-def: $sgpr12
	s_waitcnt vmcnt(0)
	v_cmpx_lt_i16_e32 0x7f, v5
	s_xor_b32 s11, exec_lo, s11
	s_cbranch_execz .LBB457_1486
; %bb.1466:
	v_cmp_ne_u16_e32 vcc_lo, 0x80, v5
	s_mov_b32 s12, 0
	s_and_b32 s10, vcc_lo, exec_lo
	s_or_saveexec_b32 s11, s11
	v_mov_b32_e32 v6, s12
	s_xor_b32 exec_lo, exec_lo, s11
	s_cbranch_execnz .LBB457_1487
.LBB457_1467:
	s_or_b32 exec_lo, exec_lo, s11
	s_and_saveexec_b32 s11, s10
	s_cbranch_execz .LBB457_1469
.LBB457_1468:
	v_and_b32_e32 v6, 0xffff, v5
	v_lshlrev_b32_e32 v5, 24, v5
	s_delay_alu instid0(VALU_DEP_2) | instskip(NEXT) | instid1(VALU_DEP_2)
	v_and_b32_e32 v7, 3, v6
	v_and_b32_e32 v5, 0x80000000, v5
	s_delay_alu instid0(VALU_DEP_2) | instskip(NEXT) | instid1(VALU_DEP_1)
	v_clz_i32_u32_e32 v9, v7
	v_min_u32_e32 v9, 32, v9
	s_delay_alu instid0(VALU_DEP_1) | instskip(SKIP_1) | instid1(VALU_DEP_2)
	v_subrev_nc_u32_e32 v13, 29, v9
	v_sub_nc_u32_e32 v9, 30, v9
	v_lshlrev_b32_e32 v13, v13, v6
	v_bfe_u32 v6, v6, 2, 5
	s_delay_alu instid0(VALU_DEP_2) | instskip(NEXT) | instid1(VALU_DEP_2)
	v_and_b32_e32 v13, 3, v13
	v_cmp_eq_u32_e32 vcc_lo, 0, v6
	v_cndmask_b32_e32 v6, v6, v9, vcc_lo
	s_delay_alu instid0(VALU_DEP_3) | instskip(NEXT) | instid1(VALU_DEP_2)
	v_cndmask_b32_e32 v7, v7, v13, vcc_lo
	v_lshl_add_u32 v6, v6, 23, 0x37800000
	s_delay_alu instid0(VALU_DEP_2) | instskip(NEXT) | instid1(VALU_DEP_1)
	v_lshlrev_b32_e32 v7, 21, v7
	v_or3_b32 v5, v5, v6, v7
	s_delay_alu instid0(VALU_DEP_1)
	v_cvt_i32_f32_e32 v6, v5
.LBB457_1469:
	s_or_b32 exec_lo, exec_lo, s11
	s_mov_b32 s10, 0
	s_branch .LBB457_1475
.LBB457_1470:
	s_mov_b32 s10, -1
                                        ; implicit-def: $vgpr6
	s_branch .LBB457_1481
.LBB457_1471:
	s_or_saveexec_b32 s12, s12
	v_mov_b32_e32 v6, s13
	s_xor_b32 exec_lo, exec_lo, s12
	s_cbranch_execz .LBB457_1456
.LBB457_1472:
	v_cmp_ne_u16_e32 vcc_lo, 0, v5
	v_mov_b32_e32 v6, 0
	s_and_not1_b32 s11, s11, exec_lo
	s_and_b32 s13, vcc_lo, exec_lo
	s_delay_alu instid0(SALU_CYCLE_1)
	s_or_b32 s11, s11, s13
	s_or_b32 exec_lo, exec_lo, s12
	s_and_saveexec_b32 s12, s11
	s_cbranch_execnz .LBB457_1457
	s_branch .LBB457_1458
.LBB457_1473:
	s_mov_b32 s10, -1
                                        ; implicit-def: $vgpr6
	s_branch .LBB457_1478
.LBB457_1474:
	s_mov_b32 s10, -1
                                        ; implicit-def: $vgpr6
.LBB457_1475:
	s_delay_alu instid0(SALU_CYCLE_1)
	s_and_b32 vcc_lo, exec_lo, s10
	s_cbranch_vccz .LBB457_1477
; %bb.1476:
	global_load_u8 v5, v[11:12], off
	s_waitcnt vmcnt(0)
	v_lshlrev_b32_e32 v5, 24, v5
	s_delay_alu instid0(VALU_DEP_1) | instskip(NEXT) | instid1(VALU_DEP_1)
	v_and_b32_e32 v6, 0x7f000000, v5
	v_clz_i32_u32_e32 v7, v6
	v_add_nc_u32_e32 v13, 0x1000000, v6
	v_cmp_ne_u32_e32 vcc_lo, 0, v6
	s_delay_alu instid0(VALU_DEP_3) | instskip(NEXT) | instid1(VALU_DEP_1)
	v_min_u32_e32 v7, 32, v7
	v_sub_nc_u32_e64 v7, v7, 4 clamp
	s_delay_alu instid0(VALU_DEP_1) | instskip(SKIP_1) | instid1(VALU_DEP_2)
	v_lshlrev_b32_e32 v9, v7, v6
	v_lshlrev_b32_e32 v7, 23, v7
	v_lshrrev_b32_e32 v9, 4, v9
	s_delay_alu instid0(VALU_DEP_1) | instskip(SKIP_1) | instid1(VALU_DEP_2)
	v_sub_nc_u32_e32 v7, v9, v7
	v_ashrrev_i32_e32 v9, 8, v13
	v_add_nc_u32_e32 v7, 0x3c000000, v7
	s_delay_alu instid0(VALU_DEP_1) | instskip(NEXT) | instid1(VALU_DEP_1)
	v_and_or_b32 v7, 0x7f800000, v9, v7
	v_cndmask_b32_e32 v6, 0, v7, vcc_lo
	s_delay_alu instid0(VALU_DEP_1) | instskip(NEXT) | instid1(VALU_DEP_1)
	v_and_or_b32 v5, 0x80000000, v5, v6
	v_cvt_i32_f32_e32 v6, v5
.LBB457_1477:
	s_mov_b32 s10, 0
.LBB457_1478:
	s_delay_alu instid0(SALU_CYCLE_1)
	s_and_not1_b32 vcc_lo, exec_lo, s10
	s_cbranch_vccnz .LBB457_1480
; %bb.1479:
	global_load_u8 v5, v[11:12], off
	s_waitcnt vmcnt(0)
	v_lshlrev_b32_e32 v6, 25, v5
	v_lshlrev_b16 v5, 8, v5
	s_delay_alu instid0(VALU_DEP_2) | instskip(NEXT) | instid1(VALU_DEP_2)
	v_lshrrev_b32_e32 v7, 4, v6
	v_and_or_b32 v9, 0x7f00, v5, 0.5
	v_bfe_i32 v5, v5, 0, 16
	s_delay_alu instid0(VALU_DEP_3) | instskip(NEXT) | instid1(VALU_DEP_3)
	v_or_b32_e32 v7, 0x70000000, v7
	v_add_f32_e32 v9, -0.5, v9
	s_delay_alu instid0(VALU_DEP_2) | instskip(SKIP_1) | instid1(VALU_DEP_2)
	v_mul_f32_e32 v7, 0x7800000, v7
	v_cmp_gt_u32_e32 vcc_lo, 0x8000000, v6
	v_cndmask_b32_e32 v6, v7, v9, vcc_lo
	s_delay_alu instid0(VALU_DEP_1) | instskip(NEXT) | instid1(VALU_DEP_1)
	v_and_or_b32 v5, 0x80000000, v5, v6
	v_cvt_i32_f32_e32 v6, v5
.LBB457_1480:
	s_mov_b32 s10, 0
	s_mov_b32 s11, -1
.LBB457_1481:
	s_and_not1_b32 vcc_lo, exec_lo, s10
	s_mov_b32 s10, 0
	s_cbranch_vccnz .LBB457_1492
; %bb.1482:
	v_cmp_gt_i16_e64 s10, s2, 14
	s_delay_alu instid0(VALU_DEP_1)
	s_and_b32 vcc_lo, exec_lo, s10
	s_cbranch_vccz .LBB457_1485
; %bb.1483:
	v_cmp_eq_u16_e64 s3, s2, 15
	s_delay_alu instid0(VALU_DEP_1)
	s_and_b32 vcc_lo, exec_lo, s3
	s_cbranch_vccz .LBB457_1488
; %bb.1484:
	global_load_u16 v5, v[11:12], off
	s_mov_b32 s3, 0
	s_mov_b32 s11, -1
	s_waitcnt vmcnt(0)
	v_lshlrev_b32_e32 v5, 16, v5
	s_delay_alu instid0(VALU_DEP_1)
	v_cvt_i32_f32_e32 v6, v5
	s_branch .LBB457_1489
.LBB457_1485:
	s_mov_b32 s10, -1
                                        ; implicit-def: $vgpr6
	s_branch .LBB457_1490
.LBB457_1486:
	s_or_saveexec_b32 s11, s11
	v_mov_b32_e32 v6, s12
	s_xor_b32 exec_lo, exec_lo, s11
	s_cbranch_execz .LBB457_1467
.LBB457_1487:
	v_cmp_ne_u16_e32 vcc_lo, 0, v5
	v_mov_b32_e32 v6, 0
	s_and_not1_b32 s10, s10, exec_lo
	s_and_b32 s12, vcc_lo, exec_lo
	s_delay_alu instid0(SALU_CYCLE_1)
	s_or_b32 s10, s10, s12
	s_or_b32 exec_lo, exec_lo, s11
	s_and_saveexec_b32 s11, s10
	s_cbranch_execnz .LBB457_1468
	s_branch .LBB457_1469
.LBB457_1488:
	s_mov_b32 s3, -1
                                        ; implicit-def: $vgpr6
.LBB457_1489:
	s_mov_b32 s10, 0
.LBB457_1490:
	s_delay_alu instid0(SALU_CYCLE_1)
	s_and_b32 vcc_lo, exec_lo, s10
	s_mov_b32 s10, 0
	s_cbranch_vccz .LBB457_1492
; %bb.1491:
	v_cmp_ne_u16_e64 s3, s2, 11
	s_mov_b32 s10, -1
                                        ; implicit-def: $vgpr6
.LBB457_1492:
	s_delay_alu instid0(VALU_DEP_1)
	s_and_b32 vcc_lo, exec_lo, s3
	s_cbranch_vccnz .LBB457_1508
; %bb.1493:
	s_and_not1_b32 vcc_lo, exec_lo, s10
	s_cbranch_vccnz .LBB457_1495
.LBB457_1494:
	global_load_u8 v5, v[11:12], off
	s_mov_b32 s11, -1
	s_waitcnt vmcnt(0)
	v_cmp_ne_u16_e32 vcc_lo, 0, v5
	v_cndmask_b32_e64 v6, 0, 1, vcc_lo
.LBB457_1495:
.LBB457_1496:
	s_and_not1_b32 vcc_lo, exec_lo, s11
	s_cbranch_vccnz .LBB457_2057
.LBB457_1497:
	v_cmp_lt_i16_e64 s3, s2, 11
	v_add_co_u32 v11, s6, s6, v4
	s_delay_alu instid0(VALU_DEP_1) | instskip(NEXT) | instid1(VALU_DEP_3)
	v_add_co_ci_u32_e64 v12, null, s7, 0, s6
	s_and_b32 vcc_lo, exec_lo, s3
	s_mov_b32 s7, 0
	s_cbranch_vccnz .LBB457_1504
; %bb.1498:
	v_cmp_gt_i16_e64 s3, s2, 25
	s_mov_b32 s6, 0
	s_delay_alu instid0(VALU_DEP_1)
	s_and_b32 vcc_lo, exec_lo, s3
	s_cbranch_vccz .LBB457_1505
; %bb.1499:
	v_cmp_gt_i16_e64 s3, s2, 28
	s_delay_alu instid0(VALU_DEP_1)
	s_and_b32 vcc_lo, exec_lo, s3
	s_cbranch_vccz .LBB457_1506
; %bb.1500:
	v_cmp_gt_i16_e64 s3, s2, 43
	;; [unrolled: 5-line block ×3, first 2 shown]
	s_delay_alu instid0(VALU_DEP_1)
	s_and_b32 vcc_lo, exec_lo, s3
	s_cbranch_vccz .LBB457_1510
; %bb.1502:
	v_cmp_eq_u16_e64 s3, s2, 46
	s_mov_b32 s10, 0
	s_delay_alu instid0(VALU_DEP_1)
	s_and_b32 vcc_lo, exec_lo, s3
	s_cbranch_vccz .LBB457_1513
; %bb.1503:
	global_load_b32 v4, v[11:12], off
	s_mov_b32 s3, 0
	s_mov_b32 s7, -1
	s_waitcnt vmcnt(0)
	v_lshlrev_b32_e32 v4, 16, v4
	s_delay_alu instid0(VALU_DEP_1)
	v_cvt_i32_f32_e32 v4, v4
	s_branch .LBB457_1515
.LBB457_1504:
	s_mov_b32 s3, -1
                                        ; implicit-def: $vgpr4
	s_branch .LBB457_1577
.LBB457_1505:
	s_mov_b32 s10, -1
	s_mov_b32 s3, 0
                                        ; implicit-def: $vgpr4
	s_branch .LBB457_1542
.LBB457_1506:
	s_mov_b32 s10, -1
	s_mov_b32 s3, 0
                                        ; implicit-def: $vgpr4
	s_branch .LBB457_1525
.LBB457_1507:
	s_mov_b32 s10, -1
	s_mov_b32 s3, 0
                                        ; implicit-def: $vgpr4
	s_branch .LBB457_1520
.LBB457_1508:
	s_cbranch_execnz .LBB457_1511
; %bb.1509:
	s_or_b32 s1, s1, exec_lo
                                        ; implicit-def: $vgpr6
	s_cbranch_execz .LBB457_1494
	s_branch .LBB457_1495
.LBB457_1510:
	s_mov_b32 s10, -1
	s_mov_b32 s3, 0
	s_branch .LBB457_1514
.LBB457_1511:
	s_trap 2
	s_sendmsg_rtn_b32 s0, sendmsg(MSG_RTN_GET_DOORBELL)
	s_mov_b32 ttmp2, m0
	s_waitcnt lgkmcnt(0)
	s_and_b32 s0, s0, 0x3ff
	s_delay_alu instid0(SALU_CYCLE_1) | instskip(NEXT) | instid1(SALU_CYCLE_1)
	s_bitset1_b32 s0, 10
	s_mov_b32 m0, s0
	s_sendmsg sendmsg(MSG_INTERRUPT)
	s_mov_b32 m0, ttmp2
.LBB457_1512:                           ; =>This Inner Loop Header: Depth=1
	s_sethalt 5
	s_branch .LBB457_1512
.LBB457_1513:
	s_mov_b32 s3, -1
.LBB457_1514:
                                        ; implicit-def: $vgpr4
.LBB457_1515:
	s_and_b32 vcc_lo, exec_lo, s10
	s_cbranch_vccz .LBB457_1519
; %bb.1516:
	v_cmp_eq_u16_e64 s3, s2, 44
	s_delay_alu instid0(VALU_DEP_1)
	s_and_b32 vcc_lo, exec_lo, s3
	s_cbranch_vccz .LBB457_1518
; %bb.1517:
	global_load_u8 v4, v[11:12], off
	s_mov_b32 s3, 0
	s_mov_b32 s7, -1
	s_waitcnt vmcnt(0)
	v_lshlrev_b32_e32 v5, 23, v4
	v_cmp_ne_u32_e32 vcc_lo, 0, v4
	s_delay_alu instid0(VALU_DEP_2) | instskip(NEXT) | instid1(VALU_DEP_1)
	v_cvt_i32_f32_e32 v5, v5
	v_cndmask_b32_e32 v4, 0, v5, vcc_lo
	s_branch .LBB457_1519
.LBB457_1518:
	s_mov_b32 s3, -1
                                        ; implicit-def: $vgpr4
.LBB457_1519:
	s_mov_b32 s10, 0
.LBB457_1520:
	s_delay_alu instid0(SALU_CYCLE_1)
	s_and_b32 vcc_lo, exec_lo, s10
	s_cbranch_vccz .LBB457_1524
; %bb.1521:
	v_cmp_eq_u16_e64 s3, s2, 29
	s_delay_alu instid0(VALU_DEP_1)
	s_and_b32 vcc_lo, exec_lo, s3
	s_cbranch_vccz .LBB457_1523
; %bb.1522:
	global_load_b64 v[4:5], v[11:12], off
	s_mov_b32 s3, 0
	s_mov_b32 s7, -1
	s_branch .LBB457_1524
.LBB457_1523:
	s_mov_b32 s3, -1
                                        ; implicit-def: $vgpr4
.LBB457_1524:
	s_mov_b32 s10, 0
.LBB457_1525:
	s_delay_alu instid0(SALU_CYCLE_1)
	s_and_b32 vcc_lo, exec_lo, s10
	s_cbranch_vccz .LBB457_1541
; %bb.1526:
	v_cmp_lt_i16_e64 s7, s2, 27
	s_delay_alu instid0(VALU_DEP_1)
	s_and_b32 vcc_lo, exec_lo, s7
	s_cbranch_vccnz .LBB457_1529
; %bb.1527:
	v_cmp_gt_i16_e64 s7, s2, 27
	s_delay_alu instid0(VALU_DEP_1)
	s_and_b32 vcc_lo, exec_lo, s7
	s_cbranch_vccz .LBB457_1530
; %bb.1528:
	global_load_b32 v4, v[11:12], off
	s_mov_b32 s7, 0
	s_branch .LBB457_1531
.LBB457_1529:
	s_mov_b32 s7, -1
                                        ; implicit-def: $vgpr4
	s_branch .LBB457_1534
.LBB457_1530:
	s_mov_b32 s7, -1
                                        ; implicit-def: $vgpr4
.LBB457_1531:
	s_delay_alu instid0(SALU_CYCLE_1)
	s_and_not1_b32 vcc_lo, exec_lo, s7
	s_cbranch_vccnz .LBB457_1533
; %bb.1532:
	global_load_u16 v4, v[11:12], off
.LBB457_1533:
	s_mov_b32 s7, 0
.LBB457_1534:
	s_delay_alu instid0(SALU_CYCLE_1)
	s_and_not1_b32 vcc_lo, exec_lo, s7
	s_cbranch_vccnz .LBB457_1540
; %bb.1535:
	global_load_u8 v5, v[11:12], off
	s_mov_b32 s7, 0
	s_mov_b32 s10, exec_lo
                                        ; implicit-def: $sgpr11
	s_waitcnt vmcnt(0)
	v_cmpx_lt_i16_e32 0x7f, v5
	s_xor_b32 s10, exec_lo, s10
	s_cbranch_execz .LBB457_1552
; %bb.1536:
	v_cmp_ne_u16_e32 vcc_lo, 0x80, v5
	s_mov_b32 s11, 0
	s_and_b32 s7, vcc_lo, exec_lo
	s_or_saveexec_b32 s10, s10
	v_mov_b32_e32 v4, s11
	s_xor_b32 exec_lo, exec_lo, s10
	s_cbranch_execnz .LBB457_1553
.LBB457_1537:
	s_or_b32 exec_lo, exec_lo, s10
	s_and_saveexec_b32 s10, s7
	s_cbranch_execz .LBB457_1539
.LBB457_1538:
	v_and_b32_e32 v4, 0xffff, v5
	v_lshlrev_b32_e32 v5, 24, v5
	s_delay_alu instid0(VALU_DEP_2) | instskip(NEXT) | instid1(VALU_DEP_2)
	v_and_b32_e32 v7, 7, v4
	v_and_b32_e32 v5, 0x80000000, v5
	s_delay_alu instid0(VALU_DEP_2) | instskip(NEXT) | instid1(VALU_DEP_1)
	v_clz_i32_u32_e32 v9, v7
	v_min_u32_e32 v9, 32, v9
	s_delay_alu instid0(VALU_DEP_1) | instskip(SKIP_1) | instid1(VALU_DEP_2)
	v_subrev_nc_u32_e32 v13, 28, v9
	v_sub_nc_u32_e32 v9, 29, v9
	v_lshlrev_b32_e32 v13, v13, v4
	v_bfe_u32 v4, v4, 3, 4
	s_delay_alu instid0(VALU_DEP_2) | instskip(NEXT) | instid1(VALU_DEP_2)
	v_and_b32_e32 v13, 7, v13
	v_cmp_eq_u32_e32 vcc_lo, 0, v4
	v_cndmask_b32_e32 v4, v4, v9, vcc_lo
	s_delay_alu instid0(VALU_DEP_3) | instskip(NEXT) | instid1(VALU_DEP_2)
	v_cndmask_b32_e32 v7, v7, v13, vcc_lo
	v_lshl_add_u32 v4, v4, 23, 0x3b800000
	s_delay_alu instid0(VALU_DEP_2) | instskip(NEXT) | instid1(VALU_DEP_1)
	v_lshlrev_b32_e32 v7, 20, v7
	v_or3_b32 v4, v5, v4, v7
	s_delay_alu instid0(VALU_DEP_1)
	v_cvt_i32_f32_e32 v4, v4
.LBB457_1539:
	s_or_b32 exec_lo, exec_lo, s10
.LBB457_1540:
	s_mov_b32 s7, -1
.LBB457_1541:
	s_mov_b32 s10, 0
.LBB457_1542:
	s_delay_alu instid0(SALU_CYCLE_1)
	s_and_b32 vcc_lo, exec_lo, s10
	s_cbranch_vccz .LBB457_1573
; %bb.1543:
	v_cmp_gt_i16_e64 s6, s2, 22
	s_delay_alu instid0(VALU_DEP_1)
	s_and_b32 vcc_lo, exec_lo, s6
	s_cbranch_vccz .LBB457_1551
; %bb.1544:
	v_cmp_lt_i16_e64 s6, s2, 24
	s_delay_alu instid0(VALU_DEP_1)
	s_and_b32 vcc_lo, exec_lo, s6
	s_cbranch_vccnz .LBB457_1554
; %bb.1545:
	v_cmp_gt_i16_e64 s6, s2, 24
	s_delay_alu instid0(VALU_DEP_1)
	s_and_b32 vcc_lo, exec_lo, s6
	s_cbranch_vccz .LBB457_1555
; %bb.1546:
	global_load_u8 v5, v[11:12], off
	s_mov_b32 s6, 0
	s_mov_b32 s7, exec_lo
                                        ; implicit-def: $sgpr10
	s_waitcnt vmcnt(0)
	v_cmpx_lt_i16_e32 0x7f, v5
	s_xor_b32 s7, exec_lo, s7
	s_cbranch_execz .LBB457_1567
; %bb.1547:
	v_cmp_ne_u16_e32 vcc_lo, 0x80, v5
	s_mov_b32 s10, 0
	s_and_b32 s6, vcc_lo, exec_lo
	s_or_saveexec_b32 s7, s7
	v_mov_b32_e32 v4, s10
	s_xor_b32 exec_lo, exec_lo, s7
	s_cbranch_execnz .LBB457_1568
.LBB457_1548:
	s_or_b32 exec_lo, exec_lo, s7
	s_and_saveexec_b32 s7, s6
	s_cbranch_execz .LBB457_1550
.LBB457_1549:
	v_and_b32_e32 v4, 0xffff, v5
	v_lshlrev_b32_e32 v5, 24, v5
	s_delay_alu instid0(VALU_DEP_2) | instskip(NEXT) | instid1(VALU_DEP_2)
	v_and_b32_e32 v7, 3, v4
	v_and_b32_e32 v5, 0x80000000, v5
	s_delay_alu instid0(VALU_DEP_2) | instskip(NEXT) | instid1(VALU_DEP_1)
	v_clz_i32_u32_e32 v9, v7
	v_min_u32_e32 v9, 32, v9
	s_delay_alu instid0(VALU_DEP_1) | instskip(SKIP_1) | instid1(VALU_DEP_2)
	v_subrev_nc_u32_e32 v13, 29, v9
	v_sub_nc_u32_e32 v9, 30, v9
	v_lshlrev_b32_e32 v13, v13, v4
	v_bfe_u32 v4, v4, 2, 5
	s_delay_alu instid0(VALU_DEP_2) | instskip(NEXT) | instid1(VALU_DEP_2)
	v_and_b32_e32 v13, 3, v13
	v_cmp_eq_u32_e32 vcc_lo, 0, v4
	v_cndmask_b32_e32 v4, v4, v9, vcc_lo
	s_delay_alu instid0(VALU_DEP_3) | instskip(NEXT) | instid1(VALU_DEP_2)
	v_cndmask_b32_e32 v7, v7, v13, vcc_lo
	v_lshl_add_u32 v4, v4, 23, 0x37800000
	s_delay_alu instid0(VALU_DEP_2) | instskip(NEXT) | instid1(VALU_DEP_1)
	v_lshlrev_b32_e32 v7, 21, v7
	v_or3_b32 v4, v5, v4, v7
	s_delay_alu instid0(VALU_DEP_1)
	v_cvt_i32_f32_e32 v4, v4
.LBB457_1550:
	s_or_b32 exec_lo, exec_lo, s7
	s_mov_b32 s6, 0
	s_branch .LBB457_1556
.LBB457_1551:
	s_mov_b32 s6, -1
                                        ; implicit-def: $vgpr4
	s_branch .LBB457_1562
.LBB457_1552:
	s_or_saveexec_b32 s10, s10
	v_mov_b32_e32 v4, s11
	s_xor_b32 exec_lo, exec_lo, s10
	s_cbranch_execz .LBB457_1537
.LBB457_1553:
	v_cmp_ne_u16_e32 vcc_lo, 0, v5
	v_mov_b32_e32 v4, 0
	s_and_not1_b32 s7, s7, exec_lo
	s_and_b32 s11, vcc_lo, exec_lo
	s_delay_alu instid0(SALU_CYCLE_1)
	s_or_b32 s7, s7, s11
	s_or_b32 exec_lo, exec_lo, s10
	s_and_saveexec_b32 s10, s7
	s_cbranch_execnz .LBB457_1538
	s_branch .LBB457_1539
.LBB457_1554:
	s_mov_b32 s6, -1
                                        ; implicit-def: $vgpr4
	s_branch .LBB457_1559
.LBB457_1555:
	s_mov_b32 s6, -1
                                        ; implicit-def: $vgpr4
.LBB457_1556:
	s_delay_alu instid0(SALU_CYCLE_1)
	s_and_b32 vcc_lo, exec_lo, s6
	s_cbranch_vccz .LBB457_1558
; %bb.1557:
	global_load_u8 v4, v[11:12], off
	s_waitcnt vmcnt(0)
	v_lshlrev_b32_e32 v4, 24, v4
	s_delay_alu instid0(VALU_DEP_1) | instskip(NEXT) | instid1(VALU_DEP_1)
	v_and_b32_e32 v5, 0x7f000000, v4
	v_clz_i32_u32_e32 v7, v5
	v_add_nc_u32_e32 v13, 0x1000000, v5
	v_cmp_ne_u32_e32 vcc_lo, 0, v5
	s_delay_alu instid0(VALU_DEP_3) | instskip(NEXT) | instid1(VALU_DEP_1)
	v_min_u32_e32 v7, 32, v7
	v_sub_nc_u32_e64 v7, v7, 4 clamp
	s_delay_alu instid0(VALU_DEP_1) | instskip(SKIP_1) | instid1(VALU_DEP_2)
	v_lshlrev_b32_e32 v9, v7, v5
	v_lshlrev_b32_e32 v7, 23, v7
	v_lshrrev_b32_e32 v9, 4, v9
	s_delay_alu instid0(VALU_DEP_1) | instskip(SKIP_1) | instid1(VALU_DEP_2)
	v_sub_nc_u32_e32 v7, v9, v7
	v_ashrrev_i32_e32 v9, 8, v13
	v_add_nc_u32_e32 v7, 0x3c000000, v7
	s_delay_alu instid0(VALU_DEP_1) | instskip(NEXT) | instid1(VALU_DEP_1)
	v_and_or_b32 v7, 0x7f800000, v9, v7
	v_cndmask_b32_e32 v5, 0, v7, vcc_lo
	s_delay_alu instid0(VALU_DEP_1) | instskip(NEXT) | instid1(VALU_DEP_1)
	v_and_or_b32 v4, 0x80000000, v4, v5
	v_cvt_i32_f32_e32 v4, v4
.LBB457_1558:
	s_mov_b32 s6, 0
.LBB457_1559:
	s_delay_alu instid0(SALU_CYCLE_1)
	s_and_not1_b32 vcc_lo, exec_lo, s6
	s_cbranch_vccnz .LBB457_1561
; %bb.1560:
	global_load_u8 v4, v[11:12], off
	s_waitcnt vmcnt(0)
	v_lshlrev_b32_e32 v5, 25, v4
	v_lshlrev_b16 v4, 8, v4
	s_delay_alu instid0(VALU_DEP_2) | instskip(NEXT) | instid1(VALU_DEP_2)
	v_lshrrev_b32_e32 v7, 4, v5
	v_and_or_b32 v9, 0x7f00, v4, 0.5
	v_cmp_gt_u32_e32 vcc_lo, 0x8000000, v5
	v_bfe_i32 v4, v4, 0, 16
	s_delay_alu instid0(VALU_DEP_4) | instskip(NEXT) | instid1(VALU_DEP_4)
	v_or_b32_e32 v7, 0x70000000, v7
	v_add_f32_e32 v9, -0.5, v9
	s_delay_alu instid0(VALU_DEP_2) | instskip(NEXT) | instid1(VALU_DEP_1)
	v_mul_f32_e32 v7, 0x7800000, v7
	v_cndmask_b32_e32 v5, v7, v9, vcc_lo
	s_delay_alu instid0(VALU_DEP_1) | instskip(NEXT) | instid1(VALU_DEP_1)
	v_and_or_b32 v4, 0x80000000, v4, v5
	v_cvt_i32_f32_e32 v4, v4
.LBB457_1561:
	s_mov_b32 s6, 0
	s_mov_b32 s7, -1
.LBB457_1562:
	s_and_not1_b32 vcc_lo, exec_lo, s6
	s_mov_b32 s6, 0
	s_cbranch_vccnz .LBB457_1573
; %bb.1563:
	v_cmp_gt_i16_e64 s6, s2, 14
	s_delay_alu instid0(VALU_DEP_1)
	s_and_b32 vcc_lo, exec_lo, s6
	s_cbranch_vccz .LBB457_1566
; %bb.1564:
	v_cmp_eq_u16_e64 s3, s2, 15
	s_delay_alu instid0(VALU_DEP_1)
	s_and_b32 vcc_lo, exec_lo, s3
	s_cbranch_vccz .LBB457_1569
; %bb.1565:
	global_load_u16 v4, v[11:12], off
	s_mov_b32 s3, 0
	s_mov_b32 s7, -1
	s_waitcnt vmcnt(0)
	v_lshlrev_b32_e32 v4, 16, v4
	s_delay_alu instid0(VALU_DEP_1)
	v_cvt_i32_f32_e32 v4, v4
	s_branch .LBB457_1570
.LBB457_1566:
	s_mov_b32 s6, -1
                                        ; implicit-def: $vgpr4
	s_branch .LBB457_1571
.LBB457_1567:
	s_or_saveexec_b32 s7, s7
	v_mov_b32_e32 v4, s10
	s_xor_b32 exec_lo, exec_lo, s7
	s_cbranch_execz .LBB457_1548
.LBB457_1568:
	v_cmp_ne_u16_e32 vcc_lo, 0, v5
	v_mov_b32_e32 v4, 0
	s_and_not1_b32 s6, s6, exec_lo
	s_and_b32 s10, vcc_lo, exec_lo
	s_delay_alu instid0(SALU_CYCLE_1)
	s_or_b32 s6, s6, s10
	s_or_b32 exec_lo, exec_lo, s7
	s_and_saveexec_b32 s7, s6
	s_cbranch_execnz .LBB457_1549
	s_branch .LBB457_1550
.LBB457_1569:
	s_mov_b32 s3, -1
                                        ; implicit-def: $vgpr4
.LBB457_1570:
	s_mov_b32 s6, 0
.LBB457_1571:
	s_delay_alu instid0(SALU_CYCLE_1)
	s_and_b32 vcc_lo, exec_lo, s6
	s_mov_b32 s6, 0
	s_cbranch_vccz .LBB457_1573
; %bb.1572:
	v_cmp_ne_u16_e64 s3, s2, 11
	s_mov_b32 s6, -1
                                        ; implicit-def: $vgpr4
.LBB457_1573:
	s_delay_alu instid0(VALU_DEP_1)
	s_and_b32 vcc_lo, exec_lo, s3
	s_cbranch_vccnz .LBB457_2102
; %bb.1574:
	s_and_not1_b32 vcc_lo, exec_lo, s6
	s_cbranch_vccnz .LBB457_1576
.LBB457_1575:
	global_load_u8 v4, v[11:12], off
	s_mov_b32 s7, -1
	s_waitcnt vmcnt(0)
	v_cmp_ne_u16_e32 vcc_lo, 0, v4
	v_cndmask_b32_e64 v4, 0, 1, vcc_lo
.LBB457_1576:
	s_mov_b32 s3, 0
.LBB457_1577:
	s_delay_alu instid0(SALU_CYCLE_1)
	s_and_b32 vcc_lo, exec_lo, s3
	s_cbranch_vccz .LBB457_1626
; %bb.1578:
	v_cmp_lt_i16_e64 s3, s2, 5
	s_delay_alu instid0(VALU_DEP_1)
	s_and_b32 vcc_lo, exec_lo, s3
	s_cbranch_vccnz .LBB457_1583
; %bb.1579:
	v_cmp_lt_i16_e64 s3, s2, 8
	s_delay_alu instid0(VALU_DEP_1)
	s_and_b32 vcc_lo, exec_lo, s3
	s_cbranch_vccnz .LBB457_1584
	;; [unrolled: 5-line block ×3, first 2 shown]
; %bb.1581:
	v_cmp_gt_i16_e64 s3, s2, 9
	s_delay_alu instid0(VALU_DEP_1)
	s_and_b32 vcc_lo, exec_lo, s3
	s_cbranch_vccz .LBB457_1586
; %bb.1582:
	global_load_b64 v[4:5], v[11:12], off
	s_mov_b32 s3, 0
	s_waitcnt vmcnt(0)
	v_cvt_i32_f64_e32 v4, v[4:5]
	s_branch .LBB457_1587
.LBB457_1583:
	s_mov_b32 s3, -1
                                        ; implicit-def: $vgpr4
	s_branch .LBB457_1605
.LBB457_1584:
	s_mov_b32 s3, -1
                                        ; implicit-def: $vgpr4
	s_branch .LBB457_1593
.LBB457_1585:
	s_mov_b32 s3, -1
                                        ; implicit-def: $vgpr4
	s_branch .LBB457_1590
.LBB457_1586:
	s_mov_b32 s3, -1
                                        ; implicit-def: $vgpr4
.LBB457_1587:
	s_delay_alu instid0(SALU_CYCLE_1)
	s_and_not1_b32 vcc_lo, exec_lo, s3
	s_cbranch_vccnz .LBB457_1589
; %bb.1588:
	global_load_b32 v4, v[11:12], off
	s_waitcnt vmcnt(0)
	v_cvt_i32_f32_e32 v4, v4
.LBB457_1589:
	s_mov_b32 s3, 0
.LBB457_1590:
	s_delay_alu instid0(SALU_CYCLE_1)
	s_and_not1_b32 vcc_lo, exec_lo, s3
	s_cbranch_vccnz .LBB457_1592
; %bb.1591:
	global_load_b32 v4, v[11:12], off
	s_waitcnt vmcnt(0)
	v_cvt_i16_f16_e32 v4, v4
.LBB457_1592:
	s_mov_b32 s3, 0
.LBB457_1593:
	s_delay_alu instid0(SALU_CYCLE_1)
	s_and_not1_b32 vcc_lo, exec_lo, s3
	s_cbranch_vccnz .LBB457_1604
; %bb.1594:
	v_cmp_lt_i16_e64 s3, s2, 6
	s_delay_alu instid0(VALU_DEP_1)
	s_and_b32 vcc_lo, exec_lo, s3
	s_cbranch_vccnz .LBB457_1597
; %bb.1595:
	v_cmp_gt_i16_e64 s3, s2, 6
	s_delay_alu instid0(VALU_DEP_1)
	s_and_b32 vcc_lo, exec_lo, s3
	s_cbranch_vccz .LBB457_1598
; %bb.1596:
	global_load_b64 v[4:5], v[11:12], off
	s_mov_b32 s3, 0
	s_waitcnt vmcnt(0)
	v_cvt_i32_f64_e32 v4, v[4:5]
	s_branch .LBB457_1599
.LBB457_1597:
	s_mov_b32 s3, -1
                                        ; implicit-def: $vgpr4
	s_branch .LBB457_1602
.LBB457_1598:
	s_mov_b32 s3, -1
                                        ; implicit-def: $vgpr4
.LBB457_1599:
	s_delay_alu instid0(SALU_CYCLE_1)
	s_and_not1_b32 vcc_lo, exec_lo, s3
	s_cbranch_vccnz .LBB457_1601
; %bb.1600:
	global_load_b32 v4, v[11:12], off
	s_waitcnt vmcnt(0)
	v_cvt_i32_f32_e32 v4, v4
.LBB457_1601:
	s_mov_b32 s3, 0
.LBB457_1602:
	s_delay_alu instid0(SALU_CYCLE_1)
	s_and_not1_b32 vcc_lo, exec_lo, s3
	s_cbranch_vccnz .LBB457_1604
; %bb.1603:
	global_load_u16 v4, v[11:12], off
	s_waitcnt vmcnt(0)
	v_cvt_i16_f16_e32 v4, v4
.LBB457_1604:
	s_mov_b32 s3, 0
.LBB457_1605:
	s_delay_alu instid0(SALU_CYCLE_1)
	s_and_not1_b32 vcc_lo, exec_lo, s3
	s_cbranch_vccnz .LBB457_1625
; %bb.1606:
	v_cmp_lt_i16_e64 s3, s2, 2
	s_delay_alu instid0(VALU_DEP_1)
	s_and_b32 vcc_lo, exec_lo, s3
	s_cbranch_vccnz .LBB457_1610
; %bb.1607:
	v_cmp_lt_i16_e64 s3, s2, 3
	s_delay_alu instid0(VALU_DEP_1)
	s_and_b32 vcc_lo, exec_lo, s3
	s_cbranch_vccnz .LBB457_1611
; %bb.1608:
	v_cmp_gt_i16_e64 s3, s2, 3
	s_delay_alu instid0(VALU_DEP_1)
	s_and_b32 vcc_lo, exec_lo, s3
	s_cbranch_vccz .LBB457_1612
; %bb.1609:
	global_load_b64 v[4:5], v[11:12], off
	s_mov_b32 s3, 0
	s_branch .LBB457_1613
.LBB457_1610:
	s_mov_b32 s3, -1
                                        ; implicit-def: $vgpr4
	s_branch .LBB457_1619
.LBB457_1611:
	s_mov_b32 s3, -1
                                        ; implicit-def: $vgpr4
	s_branch .LBB457_1616
.LBB457_1612:
	s_mov_b32 s3, -1
                                        ; implicit-def: $vgpr4
.LBB457_1613:
	s_delay_alu instid0(SALU_CYCLE_1)
	s_and_not1_b32 vcc_lo, exec_lo, s3
	s_cbranch_vccnz .LBB457_1615
; %bb.1614:
	global_load_b32 v4, v[11:12], off
.LBB457_1615:
	s_mov_b32 s3, 0
.LBB457_1616:
	s_delay_alu instid0(SALU_CYCLE_1)
	s_and_not1_b32 vcc_lo, exec_lo, s3
	s_cbranch_vccnz .LBB457_1618
; %bb.1617:
	global_load_u16 v4, v[11:12], off
.LBB457_1618:
	s_mov_b32 s3, 0
.LBB457_1619:
	s_delay_alu instid0(SALU_CYCLE_1)
	s_and_not1_b32 vcc_lo, exec_lo, s3
	s_cbranch_vccnz .LBB457_1625
; %bb.1620:
	v_cmp_gt_i16_e64 s2, s2, 0
	s_delay_alu instid0(VALU_DEP_1)
	s_and_b32 vcc_lo, exec_lo, s2
	s_mov_b32 s2, 0
	s_cbranch_vccz .LBB457_1622
; %bb.1621:
	global_load_i8 v4, v[11:12], off
	s_branch .LBB457_1623
.LBB457_1622:
	s_mov_b32 s2, -1
                                        ; implicit-def: $vgpr4
.LBB457_1623:
	s_delay_alu instid0(SALU_CYCLE_1)
	s_and_not1_b32 vcc_lo, exec_lo, s2
	s_cbranch_vccnz .LBB457_1625
; %bb.1624:
	global_load_u8 v4, v[11:12], off
.LBB457_1625:
	s_mov_b32 s7, -1
.LBB457_1626:
	s_delay_alu instid0(SALU_CYCLE_1)
	s_and_not1_b32 vcc_lo, exec_lo, s7
	s_cbranch_vccnz .LBB457_2057
; %bb.1627:
	s_load_b32 s2, s[16:17], 0x158
	s_lshr_b32 s0, s0, 16
	s_mov_b32 s6, 0
	v_and_b32_e64 v9, 0xff, s0
	v_add_co_u32 v11, s0, s4, v3
	s_delay_alu instid0(VALU_DEP_1) | instskip(NEXT) | instid1(VALU_DEP_3)
	v_add_co_ci_u32_e64 v12, null, s5, 0, s0
	v_cmp_gt_i16_e32 vcc_lo, 11, v9
	s_mov_b32 s0, -1
	s_waitcnt lgkmcnt(0)
	v_min_i16 v3, v10, s2
	s_cbranch_vccnz .LBB457_1705
; %bb.1628:
	v_cmp_lt_i16_e32 vcc_lo, 25, v9
	s_mov_b32 s7, -1
	s_mov_b32 s3, 0
	s_mov_b32 s0, 0
	s_cbranch_vccz .LBB457_1661
; %bb.1629:
	v_cmp_lt_i16_e32 vcc_lo, 28, v9
	s_cbranch_vccz .LBB457_1644
; %bb.1630:
	v_cmp_lt_i16_e32 vcc_lo, 43, v9
	;; [unrolled: 3-line block ×3, first 2 shown]
	s_cbranch_vccz .LBB457_1634
; %bb.1632:
	v_cmp_eq_u16_e32 vcc_lo, 46, v9
	s_mov_b32 s0, -1
	s_mov_b32 s7, 0
	s_cbranch_vccz .LBB457_1634
; %bb.1633:
	s_waitcnt vmcnt(0)
	v_bfe_i32 v5, v3, 0, 16
	s_mov_b32 s0, 0
	s_mov_b32 s6, -1
	s_delay_alu instid0(VALU_DEP_1) | instskip(NEXT) | instid1(VALU_DEP_1)
	v_cvt_f32_i32_e32 v5, v5
	v_bfe_u32 v7, v5, 16, 1
	s_delay_alu instid0(VALU_DEP_1) | instskip(NEXT) | instid1(VALU_DEP_1)
	v_add3_u32 v5, v5, v7, 0x7fff
	v_lshrrev_b32_e32 v5, 16, v5
	global_store_b32 v[11:12], v5, off
.LBB457_1634:
	s_and_b32 vcc_lo, exec_lo, s7
	s_cbranch_vccz .LBB457_1639
; %bb.1635:
	v_cmp_eq_u16_e32 vcc_lo, 44, v9
	s_mov_b32 s0, -1
	s_cbranch_vccz .LBB457_1639
; %bb.1636:
	s_waitcnt vmcnt(0)
	v_bfe_i32 v5, v3, 0, 16
	v_mov_b32_e32 v7, 0xff
	s_mov_b32 s6, exec_lo
	s_delay_alu instid0(VALU_DEP_2) | instskip(NEXT) | instid1(VALU_DEP_1)
	v_cvt_f32_i32_e32 v5, v5
	v_bfe_u32 v10, v5, 23, 8
	s_delay_alu instid0(VALU_DEP_1)
	v_cmpx_ne_u32_e32 0xff, v10
; %bb.1637:
	v_and_b32_e32 v7, 0x400000, v5
	v_and_or_b32 v10, 0x3fffff, v5, v10
	v_lshrrev_b32_e32 v5, 23, v5
	s_delay_alu instid0(VALU_DEP_3) | instskip(NEXT) | instid1(VALU_DEP_3)
	v_cmp_ne_u32_e32 vcc_lo, 0, v7
	v_cmp_ne_u32_e64 s0, 0, v10
	s_delay_alu instid0(VALU_DEP_1) | instskip(NEXT) | instid1(SALU_CYCLE_1)
	s_and_b32 s0, vcc_lo, s0
	v_cndmask_b32_e64 v7, 0, 1, s0
	s_delay_alu instid0(VALU_DEP_1)
	v_add_nc_u32_e32 v7, v5, v7
; %bb.1638:
	s_or_b32 exec_lo, exec_lo, s6
	s_mov_b32 s0, 0
	s_mov_b32 s6, -1
	global_store_b8 v[11:12], v7, off
.LBB457_1639:
	s_mov_b32 s7, 0
.LBB457_1640:
	s_delay_alu instid0(SALU_CYCLE_1)
	s_and_b32 vcc_lo, exec_lo, s7
	s_cbranch_vccz .LBB457_1643
; %bb.1641:
	v_cmp_eq_u16_e32 vcc_lo, 29, v9
	s_mov_b32 s0, -1
	s_cbranch_vccz .LBB457_1643
; %bb.1642:
	v_bfe_i32 v13, v3, 0, 16
	s_mov_b32 s0, 0
	s_mov_b32 s6, -1
	s_delay_alu instid0(VALU_DEP_1)
	v_ashrrev_i32_e32 v14, 31, v13
	global_store_b64 v[11:12], v[13:14], off
.LBB457_1643:
	s_mov_b32 s7, 0
.LBB457_1644:
	s_delay_alu instid0(SALU_CYCLE_1)
	s_and_b32 vcc_lo, exec_lo, s7
	s_cbranch_vccz .LBB457_1660
; %bb.1645:
	v_cmp_gt_i16_e32 vcc_lo, 27, v9
	s_mov_b32 s6, -1
	s_cbranch_vccnz .LBB457_1651
; %bb.1646:
	v_cmp_lt_i16_e32 vcc_lo, 27, v9
	s_cbranch_vccz .LBB457_1648
; %bb.1647:
	s_waitcnt vmcnt(0)
	v_bfe_i32 v5, v3, 0, 16
	s_mov_b32 s6, 0
	global_store_b32 v[11:12], v5, off
.LBB457_1648:
	s_and_not1_b32 vcc_lo, exec_lo, s6
	s_cbranch_vccnz .LBB457_1650
; %bb.1649:
	global_store_b16 v[11:12], v3, off
.LBB457_1650:
	s_mov_b32 s6, 0
.LBB457_1651:
	s_delay_alu instid0(SALU_CYCLE_1)
	s_and_not1_b32 vcc_lo, exec_lo, s6
	s_cbranch_vccnz .LBB457_1659
; %bb.1652:
	s_waitcnt vmcnt(0)
	v_bfe_i32 v5, v3, 0, 16
	v_mov_b32_e32 v10, 0x80
	s_mov_b32 s6, exec_lo
	s_delay_alu instid0(VALU_DEP_2) | instskip(NEXT) | instid1(VALU_DEP_1)
	v_cvt_f32_i32_e32 v5, v5
	v_and_b32_e32 v7, 0x7fffffff, v5
	s_delay_alu instid0(VALU_DEP_1)
	v_cmpx_gt_u32_e32 0x43800000, v7
	s_cbranch_execz .LBB457_1658
; %bb.1653:
	v_cmp_lt_u32_e32 vcc_lo, 0x3bffffff, v7
	s_mov_b32 s7, 0
                                        ; implicit-def: $vgpr7
	s_and_saveexec_b32 s10, vcc_lo
	s_delay_alu instid0(SALU_CYCLE_1)
	s_xor_b32 s10, exec_lo, s10
	s_cbranch_execz .LBB457_2104
; %bb.1654:
	v_bfe_u32 v7, v5, 20, 1
	s_mov_b32 s7, exec_lo
	s_delay_alu instid0(VALU_DEP_1) | instskip(NEXT) | instid1(VALU_DEP_1)
	v_add3_u32 v7, v5, v7, 0x487ffff
	v_lshrrev_b32_e32 v7, 20, v7
	s_or_saveexec_b32 s10, s10
                                        ; implicit-def: $sgpr11
	s_delay_alu instid0(SALU_CYCLE_1)
	s_xor_b32 exec_lo, exec_lo, s10
	s_cbranch_execnz .LBB457_2105
.LBB457_1655:
	s_or_b32 exec_lo, exec_lo, s10
	v_mov_b32_e32 v10, s11
	s_and_saveexec_b32 s10, s7
.LBB457_1656:
	v_lshrrev_b32_e32 v5, 24, v5
	s_delay_alu instid0(VALU_DEP_1)
	v_and_or_b32 v10, 0x80, v5, v7
.LBB457_1657:
	s_or_b32 exec_lo, exec_lo, s10
.LBB457_1658:
	s_delay_alu instid0(SALU_CYCLE_1)
	s_or_b32 exec_lo, exec_lo, s6
	global_store_b8 v[11:12], v10, off
.LBB457_1659:
	s_mov_b32 s6, -1
.LBB457_1660:
	s_mov_b32 s7, 0
.LBB457_1661:
	s_delay_alu instid0(SALU_CYCLE_1)
	s_and_b32 vcc_lo, exec_lo, s7
	s_cbranch_vccz .LBB457_1701
; %bb.1662:
	v_cmp_lt_i16_e32 vcc_lo, 22, v9
	s_mov_b32 s3, -1
	s_cbranch_vccz .LBB457_1694
; %bb.1663:
	v_cmp_gt_i16_e32 vcc_lo, 24, v9
	s_cbranch_vccnz .LBB457_1683
; %bb.1664:
	v_cmp_lt_i16_e32 vcc_lo, 24, v9
	s_cbranch_vccz .LBB457_1672
; %bb.1665:
	s_waitcnt vmcnt(0)
	v_bfe_i32 v5, v3, 0, 16
	v_mov_b32_e32 v10, 0x80
	s_mov_b32 s3, exec_lo
	s_delay_alu instid0(VALU_DEP_2) | instskip(NEXT) | instid1(VALU_DEP_1)
	v_cvt_f32_i32_e32 v5, v5
	v_and_b32_e32 v7, 0x7fffffff, v5
	s_delay_alu instid0(VALU_DEP_1)
	v_cmpx_gt_u32_e32 0x47800000, v7
	s_cbranch_execz .LBB457_1671
; %bb.1666:
	v_cmp_lt_u32_e32 vcc_lo, 0x37ffffff, v7
	s_mov_b32 s6, 0
                                        ; implicit-def: $vgpr7
	s_and_saveexec_b32 s7, vcc_lo
	s_delay_alu instid0(SALU_CYCLE_1)
	s_xor_b32 s7, exec_lo, s7
	s_cbranch_execz .LBB457_2110
; %bb.1667:
	v_bfe_u32 v7, v5, 21, 1
	s_mov_b32 s6, exec_lo
	s_delay_alu instid0(VALU_DEP_1) | instskip(NEXT) | instid1(VALU_DEP_1)
	v_add3_u32 v7, v5, v7, 0x88fffff
	v_lshrrev_b32_e32 v7, 21, v7
	s_or_saveexec_b32 s7, s7
                                        ; implicit-def: $sgpr10
	s_delay_alu instid0(SALU_CYCLE_1)
	s_xor_b32 exec_lo, exec_lo, s7
	s_cbranch_execnz .LBB457_2111
.LBB457_1668:
	s_or_b32 exec_lo, exec_lo, s7
	v_mov_b32_e32 v10, s10
	s_and_saveexec_b32 s7, s6
.LBB457_1669:
	v_lshrrev_b32_e32 v5, 24, v5
	s_delay_alu instid0(VALU_DEP_1)
	v_and_or_b32 v10, 0x80, v5, v7
.LBB457_1670:
	s_or_b32 exec_lo, exec_lo, s7
.LBB457_1671:
	s_delay_alu instid0(SALU_CYCLE_1)
	s_or_b32 exec_lo, exec_lo, s3
	s_mov_b32 s3, 0
	global_store_b8 v[11:12], v10, off
.LBB457_1672:
	s_and_b32 vcc_lo, exec_lo, s3
	s_cbranch_vccz .LBB457_1682
; %bb.1673:
	s_waitcnt vmcnt(0)
	v_bfe_i32 v5, v3, 0, 16
	s_mov_b32 s3, exec_lo
                                        ; implicit-def: $vgpr7
	s_delay_alu instid0(VALU_DEP_1) | instskip(NEXT) | instid1(VALU_DEP_1)
	v_cvt_f32_i32_e32 v5, v5
	v_and_b32_e32 v10, 0x7fffffff, v5
	s_delay_alu instid0(VALU_DEP_1)
	v_cmpx_gt_u32_e32 0x43f00000, v10
	s_xor_b32 s3, exec_lo, s3
	s_cbranch_execz .LBB457_1679
; %bb.1674:
	s_mov_b32 s6, exec_lo
                                        ; implicit-def: $vgpr7
	v_cmpx_lt_u32_e32 0x3c7fffff, v10
	s_xor_b32 s6, exec_lo, s6
; %bb.1675:
	v_bfe_u32 v7, v5, 20, 1
	s_delay_alu instid0(VALU_DEP_1) | instskip(NEXT) | instid1(VALU_DEP_1)
	v_add3_u32 v7, v5, v7, 0x407ffff
	v_and_b32_e32 v10, 0xff00000, v7
	v_lshrrev_b32_e32 v7, 20, v7
	s_delay_alu instid0(VALU_DEP_2) | instskip(NEXT) | instid1(VALU_DEP_2)
	v_cmp_ne_u32_e32 vcc_lo, 0x7f00000, v10
	v_cndmask_b32_e32 v7, 0x7e, v7, vcc_lo
; %bb.1676:
	s_and_not1_saveexec_b32 s6, s6
; %bb.1677:
	v_add_f32_e64 v7, 0x46800000, |v5|
; %bb.1678:
	s_or_b32 exec_lo, exec_lo, s6
                                        ; implicit-def: $vgpr10
.LBB457_1679:
	s_and_not1_saveexec_b32 s3, s3
; %bb.1680:
	v_mov_b32_e32 v7, 0x7f
	v_cmp_lt_u32_e32 vcc_lo, 0x7f800000, v10
	s_delay_alu instid0(VALU_DEP_2)
	v_cndmask_b32_e32 v7, 0x7e, v7, vcc_lo
; %bb.1681:
	s_or_b32 exec_lo, exec_lo, s3
	v_lshrrev_b32_e32 v5, 24, v5
	s_delay_alu instid0(VALU_DEP_1)
	v_and_or_b32 v5, 0x80, v5, v7
	global_store_b8 v[11:12], v5, off
.LBB457_1682:
	s_mov_b32 s3, 0
.LBB457_1683:
	s_delay_alu instid0(SALU_CYCLE_1)
	s_and_not1_b32 vcc_lo, exec_lo, s3
	s_cbranch_vccnz .LBB457_1693
; %bb.1684:
	s_waitcnt vmcnt(0)
	v_bfe_i32 v5, v3, 0, 16
	s_mov_b32 s3, exec_lo
                                        ; implicit-def: $vgpr7
	s_delay_alu instid0(VALU_DEP_1) | instskip(NEXT) | instid1(VALU_DEP_1)
	v_cvt_f32_i32_e32 v5, v5
	v_and_b32_e32 v10, 0x7fffffff, v5
	s_delay_alu instid0(VALU_DEP_1)
	v_cmpx_gt_u32_e32 0x47800000, v10
	s_xor_b32 s3, exec_lo, s3
	s_cbranch_execz .LBB457_1690
; %bb.1685:
	s_mov_b32 s6, exec_lo
                                        ; implicit-def: $vgpr7
	v_cmpx_lt_u32_e32 0x387fffff, v10
	s_xor_b32 s6, exec_lo, s6
; %bb.1686:
	v_bfe_u32 v7, v5, 21, 1
	s_delay_alu instid0(VALU_DEP_1) | instskip(NEXT) | instid1(VALU_DEP_1)
	v_add3_u32 v7, v5, v7, 0x80fffff
	v_lshrrev_b32_e32 v7, 21, v7
; %bb.1687:
	s_and_not1_saveexec_b32 s6, s6
; %bb.1688:
	v_add_f32_e64 v7, 0x43000000, |v5|
; %bb.1689:
	s_or_b32 exec_lo, exec_lo, s6
                                        ; implicit-def: $vgpr10
.LBB457_1690:
	s_and_not1_saveexec_b32 s3, s3
; %bb.1691:
	v_mov_b32_e32 v7, 0x7f
	v_cmp_lt_u32_e32 vcc_lo, 0x7f800000, v10
	s_delay_alu instid0(VALU_DEP_2)
	v_cndmask_b32_e32 v7, 0x7c, v7, vcc_lo
; %bb.1692:
	s_or_b32 exec_lo, exec_lo, s3
	v_lshrrev_b32_e32 v5, 24, v5
	s_delay_alu instid0(VALU_DEP_1)
	v_and_or_b32 v5, 0x80, v5, v7
	global_store_b8 v[11:12], v5, off
.LBB457_1693:
	s_mov_b32 s3, 0
	s_mov_b32 s6, -1
.LBB457_1694:
	s_and_not1_b32 vcc_lo, exec_lo, s3
	s_mov_b32 s3, 0
	s_cbranch_vccnz .LBB457_1701
; %bb.1695:
	v_cmp_lt_i16_e32 vcc_lo, 14, v9
	s_mov_b32 s3, -1
	s_cbranch_vccz .LBB457_1699
; %bb.1696:
	v_cmp_eq_u16_e32 vcc_lo, 15, v9
	s_mov_b32 s0, -1
	s_cbranch_vccz .LBB457_1698
; %bb.1697:
	s_waitcnt vmcnt(0)
	v_bfe_i32 v5, v3, 0, 16
	s_mov_b32 s0, 0
	s_mov_b32 s6, -1
	s_delay_alu instid0(VALU_DEP_1) | instskip(NEXT) | instid1(VALU_DEP_1)
	v_cvt_f32_i32_e32 v5, v5
	v_bfe_u32 v7, v5, 16, 1
	s_delay_alu instid0(VALU_DEP_1)
	v_add3_u32 v5, v5, v7, 0x7fff
	global_store_d16_hi_b16 v[11:12], v5, off
.LBB457_1698:
	s_mov_b32 s3, 0
.LBB457_1699:
	s_delay_alu instid0(SALU_CYCLE_1)
	s_and_b32 vcc_lo, exec_lo, s3
	s_mov_b32 s3, 0
	s_cbranch_vccz .LBB457_1701
; %bb.1700:
	v_cmp_ne_u16_e64 s0, 11, v9
	s_mov_b32 s3, -1
.LBB457_1701:
	s_delay_alu instid0(VALU_DEP_1)
	s_and_b32 vcc_lo, exec_lo, s0
	s_cbranch_vccnz .LBB457_2108
; %bb.1702:
	s_and_not1_b32 vcc_lo, exec_lo, s3
	s_cbranch_vccnz .LBB457_1704
.LBB457_1703:
	v_cmp_ne_u16_e32 vcc_lo, 0, v3
	s_mov_b32 s6, -1
	s_waitcnt vmcnt(0)
	v_cndmask_b32_e64 v5, 0, 1, vcc_lo
	global_store_b8 v[11:12], v5, off
.LBB457_1704:
	s_mov_b32 s0, 0
.LBB457_1705:
	s_delay_alu instid0(SALU_CYCLE_1)
	s_and_b32 vcc_lo, exec_lo, s0
	s_cbranch_vccz .LBB457_1744
; %bb.1706:
	v_cmp_gt_i16_e32 vcc_lo, 5, v9
	s_mov_b32 s0, -1
	s_cbranch_vccnz .LBB457_1727
; %bb.1707:
	v_cmp_gt_i16_e32 vcc_lo, 8, v9
	s_cbranch_vccnz .LBB457_1717
; %bb.1708:
	v_cmp_gt_i16_e32 vcc_lo, 9, v9
	s_cbranch_vccnz .LBB457_1714
; %bb.1709:
	v_cmp_lt_i16_e32 vcc_lo, 9, v9
	s_cbranch_vccz .LBB457_1711
; %bb.1710:
	s_waitcnt vmcnt(0)
	v_bfe_i32 v5, v3, 0, 16
	v_mov_b32_e32 v15, 0
	s_mov_b32 s0, 0
	s_delay_alu instid0(VALU_DEP_2) | instskip(NEXT) | instid1(VALU_DEP_2)
	v_cvt_f64_i32_e32 v[13:14], v5
	v_mov_b32_e32 v16, v15
	global_store_b128 v[11:12], v[13:16], off
.LBB457_1711:
	s_and_not1_b32 vcc_lo, exec_lo, s0
	s_cbranch_vccnz .LBB457_1713
; %bb.1712:
	s_waitcnt vmcnt(0)
	v_bfe_i32 v5, v3, 0, 16
	v_mov_b32_e32 v14, 0
	s_delay_alu instid0(VALU_DEP_2)
	v_cvt_f32_i32_e32 v13, v5
	global_store_b64 v[11:12], v[13:14], off
.LBB457_1713:
	s_mov_b32 s0, 0
.LBB457_1714:
	s_delay_alu instid0(SALU_CYCLE_1)
	s_and_not1_b32 vcc_lo, exec_lo, s0
	s_cbranch_vccnz .LBB457_1716
; %bb.1715:
	s_waitcnt vmcnt(0)
	v_cvt_f16_i16_e32 v5, v3
	s_delay_alu instid0(VALU_DEP_1)
	v_and_b32_e32 v5, 0xffff, v5
	global_store_b32 v[11:12], v5, off
.LBB457_1716:
	s_mov_b32 s0, 0
.LBB457_1717:
	s_delay_alu instid0(SALU_CYCLE_1)
	s_and_not1_b32 vcc_lo, exec_lo, s0
	s_cbranch_vccnz .LBB457_1726
; %bb.1718:
	v_cmp_gt_i16_e32 vcc_lo, 6, v9
	s_mov_b32 s0, -1
	s_cbranch_vccnz .LBB457_1724
; %bb.1719:
	v_cmp_lt_i16_e32 vcc_lo, 6, v9
	s_cbranch_vccz .LBB457_1721
; %bb.1720:
	s_waitcnt vmcnt(0)
	v_bfe_i32 v5, v3, 0, 16
	s_mov_b32 s0, 0
	s_delay_alu instid0(VALU_DEP_1)
	v_cvt_f64_i32_e32 v[13:14], v5
	global_store_b64 v[11:12], v[13:14], off
.LBB457_1721:
	s_and_not1_b32 vcc_lo, exec_lo, s0
	s_cbranch_vccnz .LBB457_1723
; %bb.1722:
	s_waitcnt vmcnt(0)
	v_bfe_i32 v5, v3, 0, 16
	s_delay_alu instid0(VALU_DEP_1)
	v_cvt_f32_i32_e32 v5, v5
	global_store_b32 v[11:12], v5, off
.LBB457_1723:
	s_mov_b32 s0, 0
.LBB457_1724:
	s_delay_alu instid0(SALU_CYCLE_1)
	s_and_not1_b32 vcc_lo, exec_lo, s0
	s_cbranch_vccnz .LBB457_1726
; %bb.1725:
	s_waitcnt vmcnt(0)
	v_cvt_f16_i16_e32 v5, v3
	global_store_b16 v[11:12], v5, off
.LBB457_1726:
	s_mov_b32 s0, 0
.LBB457_1727:
	s_delay_alu instid0(SALU_CYCLE_1)
	s_and_not1_b32 vcc_lo, exec_lo, s0
	s_cbranch_vccnz .LBB457_1743
; %bb.1728:
	v_cmp_gt_i16_e32 vcc_lo, 2, v9
	s_mov_b32 s0, -1
	s_cbranch_vccnz .LBB457_1738
; %bb.1729:
	v_cmp_gt_i16_e32 vcc_lo, 3, v9
	s_cbranch_vccnz .LBB457_1735
; %bb.1730:
	v_cmp_lt_i16_e32 vcc_lo, 3, v9
	s_cbranch_vccz .LBB457_1732
; %bb.1731:
	v_bfe_i32 v13, v3, 0, 16
	s_mov_b32 s0, 0
	s_delay_alu instid0(VALU_DEP_1)
	v_ashrrev_i32_e32 v14, 31, v13
	global_store_b64 v[11:12], v[13:14], off
.LBB457_1732:
	s_and_not1_b32 vcc_lo, exec_lo, s0
	s_cbranch_vccnz .LBB457_1734
; %bb.1733:
	s_waitcnt vmcnt(0)
	v_bfe_i32 v5, v3, 0, 16
	global_store_b32 v[11:12], v5, off
.LBB457_1734:
	s_mov_b32 s0, 0
.LBB457_1735:
	s_delay_alu instid0(SALU_CYCLE_1)
	s_and_not1_b32 vcc_lo, exec_lo, s0
	s_cbranch_vccnz .LBB457_1737
; %bb.1736:
	global_store_b16 v[11:12], v3, off
.LBB457_1737:
	s_mov_b32 s0, 0
.LBB457_1738:
	s_delay_alu instid0(SALU_CYCLE_1)
	s_and_not1_b32 vcc_lo, exec_lo, s0
	s_cbranch_vccnz .LBB457_1743
; %bb.1739:
	v_cmp_lt_i16_e32 vcc_lo, 0, v9
	s_mov_b32 s0, -1
	s_cbranch_vccz .LBB457_1741
; %bb.1740:
	s_mov_b32 s0, 0
	global_store_b8 v[11:12], v3, off
.LBB457_1741:
	s_and_not1_b32 vcc_lo, exec_lo, s0
	s_cbranch_vccnz .LBB457_1743
; %bb.1742:
	global_store_b8 v[11:12], v3, off
.LBB457_1743:
	s_mov_b32 s6, -1
.LBB457_1744:
	s_delay_alu instid0(SALU_CYCLE_1)
	s_and_not1_b32 vcc_lo, exec_lo, s6
	s_cbranch_vccnz .LBB457_2057
; %bb.1745:
	v_cmp_gt_i16_e32 vcc_lo, 11, v9
	v_add_co_u32 v2, s0, s4, v2
	s_waitcnt vmcnt(0)
	v_min_i16 v5, v8, s2
	v_add_co_ci_u32_e64 v3, null, s5, 0, s0
	s_mov_b32 s6, 0
	s_mov_b32 s0, -1
	s_cbranch_vccnz .LBB457_1823
; %bb.1746:
	v_cmp_lt_i16_e32 vcc_lo, 25, v9
	s_mov_b32 s7, -1
	s_mov_b32 s3, 0
	s_mov_b32 s0, 0
	s_cbranch_vccz .LBB457_1779
; %bb.1747:
	v_cmp_lt_i16_e32 vcc_lo, 28, v9
	s_cbranch_vccz .LBB457_1762
; %bb.1748:
	v_cmp_lt_i16_e32 vcc_lo, 43, v9
	;; [unrolled: 3-line block ×3, first 2 shown]
	s_cbranch_vccz .LBB457_1752
; %bb.1750:
	v_cmp_eq_u16_e32 vcc_lo, 46, v9
	s_mov_b32 s0, -1
	s_mov_b32 s7, 0
	s_cbranch_vccz .LBB457_1752
; %bb.1751:
	v_bfe_i32 v7, v5, 0, 16
	s_mov_b32 s0, 0
	s_mov_b32 s6, -1
	s_delay_alu instid0(VALU_DEP_1) | instskip(NEXT) | instid1(VALU_DEP_1)
	v_cvt_f32_i32_e32 v7, v7
	v_bfe_u32 v8, v7, 16, 1
	s_delay_alu instid0(VALU_DEP_1) | instskip(NEXT) | instid1(VALU_DEP_1)
	v_add3_u32 v7, v7, v8, 0x7fff
	v_lshrrev_b32_e32 v7, 16, v7
	global_store_b32 v[2:3], v7, off
.LBB457_1752:
	s_and_b32 vcc_lo, exec_lo, s7
	s_cbranch_vccz .LBB457_1757
; %bb.1753:
	v_cmp_eq_u16_e32 vcc_lo, 44, v9
	s_mov_b32 s0, -1
	s_cbranch_vccz .LBB457_1757
; %bb.1754:
	v_bfe_i32 v7, v5, 0, 16
	v_mov_b32_e32 v8, 0xff
	s_mov_b32 s6, exec_lo
	s_delay_alu instid0(VALU_DEP_2) | instskip(NEXT) | instid1(VALU_DEP_1)
	v_cvt_f32_i32_e32 v7, v7
	v_bfe_u32 v10, v7, 23, 8
	s_delay_alu instid0(VALU_DEP_1)
	v_cmpx_ne_u32_e32 0xff, v10
; %bb.1755:
	v_and_b32_e32 v8, 0x400000, v7
	v_and_or_b32 v10, 0x3fffff, v7, v10
	v_lshrrev_b32_e32 v7, 23, v7
	s_delay_alu instid0(VALU_DEP_3) | instskip(NEXT) | instid1(VALU_DEP_3)
	v_cmp_ne_u32_e32 vcc_lo, 0, v8
	v_cmp_ne_u32_e64 s0, 0, v10
	s_delay_alu instid0(VALU_DEP_1) | instskip(NEXT) | instid1(SALU_CYCLE_1)
	s_and_b32 s0, vcc_lo, s0
	v_cndmask_b32_e64 v8, 0, 1, s0
	s_delay_alu instid0(VALU_DEP_1)
	v_add_nc_u32_e32 v8, v7, v8
; %bb.1756:
	s_or_b32 exec_lo, exec_lo, s6
	s_mov_b32 s0, 0
	s_mov_b32 s6, -1
	global_store_b8 v[2:3], v8, off
.LBB457_1757:
	s_mov_b32 s7, 0
.LBB457_1758:
	s_delay_alu instid0(SALU_CYCLE_1)
	s_and_b32 vcc_lo, exec_lo, s7
	s_cbranch_vccz .LBB457_1761
; %bb.1759:
	v_cmp_eq_u16_e32 vcc_lo, 29, v9
	s_mov_b32 s0, -1
	s_cbranch_vccz .LBB457_1761
; %bb.1760:
	v_bfe_i32 v7, v5, 0, 16
	s_mov_b32 s0, 0
	s_mov_b32 s6, -1
	s_delay_alu instid0(VALU_DEP_1)
	v_ashrrev_i32_e32 v8, 31, v7
	global_store_b64 v[2:3], v[7:8], off
.LBB457_1761:
	s_mov_b32 s7, 0
.LBB457_1762:
	s_delay_alu instid0(SALU_CYCLE_1)
	s_and_b32 vcc_lo, exec_lo, s7
	s_cbranch_vccz .LBB457_1778
; %bb.1763:
	v_cmp_gt_i16_e32 vcc_lo, 27, v9
	s_mov_b32 s6, -1
	s_cbranch_vccnz .LBB457_1769
; %bb.1764:
	v_cmp_lt_i16_e32 vcc_lo, 27, v9
	s_cbranch_vccz .LBB457_1766
; %bb.1765:
	v_bfe_i32 v7, v5, 0, 16
	s_mov_b32 s6, 0
	global_store_b32 v[2:3], v7, off
.LBB457_1766:
	s_and_not1_b32 vcc_lo, exec_lo, s6
	s_cbranch_vccnz .LBB457_1768
; %bb.1767:
	global_store_b16 v[2:3], v5, off
.LBB457_1768:
	s_mov_b32 s6, 0
.LBB457_1769:
	s_delay_alu instid0(SALU_CYCLE_1)
	s_and_not1_b32 vcc_lo, exec_lo, s6
	s_cbranch_vccnz .LBB457_1777
; %bb.1770:
	v_bfe_i32 v7, v5, 0, 16
	v_mov_b32_e32 v10, 0x80
	s_mov_b32 s6, exec_lo
	s_delay_alu instid0(VALU_DEP_2) | instskip(NEXT) | instid1(VALU_DEP_1)
	v_cvt_f32_i32_e32 v7, v7
	v_and_b32_e32 v8, 0x7fffffff, v7
	s_delay_alu instid0(VALU_DEP_1)
	v_cmpx_gt_u32_e32 0x43800000, v8
	s_cbranch_execz .LBB457_1776
; %bb.1771:
	v_cmp_lt_u32_e32 vcc_lo, 0x3bffffff, v8
	s_mov_b32 s7, 0
                                        ; implicit-def: $vgpr8
	s_and_saveexec_b32 s10, vcc_lo
	s_delay_alu instid0(SALU_CYCLE_1)
	s_xor_b32 s10, exec_lo, s10
	s_cbranch_execz .LBB457_2112
; %bb.1772:
	v_bfe_u32 v8, v7, 20, 1
	s_mov_b32 s7, exec_lo
	s_delay_alu instid0(VALU_DEP_1) | instskip(NEXT) | instid1(VALU_DEP_1)
	v_add3_u32 v8, v7, v8, 0x487ffff
	v_lshrrev_b32_e32 v8, 20, v8
	s_or_saveexec_b32 s10, s10
                                        ; implicit-def: $sgpr11
	s_delay_alu instid0(SALU_CYCLE_1)
	s_xor_b32 exec_lo, exec_lo, s10
	s_cbranch_execnz .LBB457_2113
.LBB457_1773:
	s_or_b32 exec_lo, exec_lo, s10
	v_mov_b32_e32 v10, s11
	s_and_saveexec_b32 s10, s7
.LBB457_1774:
	v_lshrrev_b32_e32 v7, 24, v7
	s_delay_alu instid0(VALU_DEP_1)
	v_and_or_b32 v10, 0x80, v7, v8
.LBB457_1775:
	s_or_b32 exec_lo, exec_lo, s10
.LBB457_1776:
	s_delay_alu instid0(SALU_CYCLE_1)
	s_or_b32 exec_lo, exec_lo, s6
	global_store_b8 v[2:3], v10, off
.LBB457_1777:
	s_mov_b32 s6, -1
.LBB457_1778:
	s_mov_b32 s7, 0
.LBB457_1779:
	s_delay_alu instid0(SALU_CYCLE_1)
	s_and_b32 vcc_lo, exec_lo, s7
	s_cbranch_vccz .LBB457_1819
; %bb.1780:
	v_cmp_lt_i16_e32 vcc_lo, 22, v9
	s_mov_b32 s3, -1
	s_cbranch_vccz .LBB457_1812
; %bb.1781:
	v_cmp_gt_i16_e32 vcc_lo, 24, v9
	s_cbranch_vccnz .LBB457_1801
; %bb.1782:
	v_cmp_lt_i16_e32 vcc_lo, 24, v9
	s_cbranch_vccz .LBB457_1790
; %bb.1783:
	v_bfe_i32 v7, v5, 0, 16
	v_mov_b32_e32 v10, 0x80
	s_mov_b32 s3, exec_lo
	s_delay_alu instid0(VALU_DEP_2) | instskip(NEXT) | instid1(VALU_DEP_1)
	v_cvt_f32_i32_e32 v7, v7
	v_and_b32_e32 v8, 0x7fffffff, v7
	s_delay_alu instid0(VALU_DEP_1)
	v_cmpx_gt_u32_e32 0x47800000, v8
	s_cbranch_execz .LBB457_1789
; %bb.1784:
	v_cmp_lt_u32_e32 vcc_lo, 0x37ffffff, v8
	s_mov_b32 s6, 0
                                        ; implicit-def: $vgpr8
	s_and_saveexec_b32 s7, vcc_lo
	s_delay_alu instid0(SALU_CYCLE_1)
	s_xor_b32 s7, exec_lo, s7
	s_cbranch_execz .LBB457_2118
; %bb.1785:
	v_bfe_u32 v8, v7, 21, 1
	s_mov_b32 s6, exec_lo
	s_delay_alu instid0(VALU_DEP_1) | instskip(NEXT) | instid1(VALU_DEP_1)
	v_add3_u32 v8, v7, v8, 0x88fffff
	v_lshrrev_b32_e32 v8, 21, v8
	s_or_saveexec_b32 s7, s7
                                        ; implicit-def: $sgpr10
	s_delay_alu instid0(SALU_CYCLE_1)
	s_xor_b32 exec_lo, exec_lo, s7
	s_cbranch_execnz .LBB457_2119
.LBB457_1786:
	s_or_b32 exec_lo, exec_lo, s7
	v_mov_b32_e32 v10, s10
	s_and_saveexec_b32 s7, s6
.LBB457_1787:
	v_lshrrev_b32_e32 v7, 24, v7
	s_delay_alu instid0(VALU_DEP_1)
	v_and_or_b32 v10, 0x80, v7, v8
.LBB457_1788:
	s_or_b32 exec_lo, exec_lo, s7
.LBB457_1789:
	s_delay_alu instid0(SALU_CYCLE_1)
	s_or_b32 exec_lo, exec_lo, s3
	s_mov_b32 s3, 0
	global_store_b8 v[2:3], v10, off
.LBB457_1790:
	s_and_b32 vcc_lo, exec_lo, s3
	s_cbranch_vccz .LBB457_1800
; %bb.1791:
	v_bfe_i32 v7, v5, 0, 16
	s_mov_b32 s3, exec_lo
                                        ; implicit-def: $vgpr8
	s_delay_alu instid0(VALU_DEP_1) | instskip(NEXT) | instid1(VALU_DEP_1)
	v_cvt_f32_i32_e32 v7, v7
	v_and_b32_e32 v10, 0x7fffffff, v7
	s_delay_alu instid0(VALU_DEP_1)
	v_cmpx_gt_u32_e32 0x43f00000, v10
	s_xor_b32 s3, exec_lo, s3
	s_cbranch_execz .LBB457_1797
; %bb.1792:
	s_mov_b32 s6, exec_lo
                                        ; implicit-def: $vgpr8
	v_cmpx_lt_u32_e32 0x3c7fffff, v10
	s_xor_b32 s6, exec_lo, s6
; %bb.1793:
	v_bfe_u32 v8, v7, 20, 1
	s_delay_alu instid0(VALU_DEP_1) | instskip(NEXT) | instid1(VALU_DEP_1)
	v_add3_u32 v8, v7, v8, 0x407ffff
	v_and_b32_e32 v10, 0xff00000, v8
	v_lshrrev_b32_e32 v8, 20, v8
	s_delay_alu instid0(VALU_DEP_2) | instskip(NEXT) | instid1(VALU_DEP_2)
	v_cmp_ne_u32_e32 vcc_lo, 0x7f00000, v10
	v_cndmask_b32_e32 v8, 0x7e, v8, vcc_lo
; %bb.1794:
	s_and_not1_saveexec_b32 s6, s6
; %bb.1795:
	v_add_f32_e64 v8, 0x46800000, |v7|
; %bb.1796:
	s_or_b32 exec_lo, exec_lo, s6
                                        ; implicit-def: $vgpr10
.LBB457_1797:
	s_and_not1_saveexec_b32 s3, s3
; %bb.1798:
	v_mov_b32_e32 v8, 0x7f
	v_cmp_lt_u32_e32 vcc_lo, 0x7f800000, v10
	s_delay_alu instid0(VALU_DEP_2)
	v_cndmask_b32_e32 v8, 0x7e, v8, vcc_lo
; %bb.1799:
	s_or_b32 exec_lo, exec_lo, s3
	v_lshrrev_b32_e32 v7, 24, v7
	s_delay_alu instid0(VALU_DEP_1)
	v_and_or_b32 v7, 0x80, v7, v8
	global_store_b8 v[2:3], v7, off
.LBB457_1800:
	s_mov_b32 s3, 0
.LBB457_1801:
	s_delay_alu instid0(SALU_CYCLE_1)
	s_and_not1_b32 vcc_lo, exec_lo, s3
	s_cbranch_vccnz .LBB457_1811
; %bb.1802:
	v_bfe_i32 v7, v5, 0, 16
	s_mov_b32 s3, exec_lo
                                        ; implicit-def: $vgpr8
	s_delay_alu instid0(VALU_DEP_1) | instskip(NEXT) | instid1(VALU_DEP_1)
	v_cvt_f32_i32_e32 v7, v7
	v_and_b32_e32 v10, 0x7fffffff, v7
	s_delay_alu instid0(VALU_DEP_1)
	v_cmpx_gt_u32_e32 0x47800000, v10
	s_xor_b32 s3, exec_lo, s3
	s_cbranch_execz .LBB457_1808
; %bb.1803:
	s_mov_b32 s6, exec_lo
                                        ; implicit-def: $vgpr8
	v_cmpx_lt_u32_e32 0x387fffff, v10
	s_xor_b32 s6, exec_lo, s6
; %bb.1804:
	v_bfe_u32 v8, v7, 21, 1
	s_delay_alu instid0(VALU_DEP_1) | instskip(NEXT) | instid1(VALU_DEP_1)
	v_add3_u32 v8, v7, v8, 0x80fffff
	v_lshrrev_b32_e32 v8, 21, v8
; %bb.1805:
	s_and_not1_saveexec_b32 s6, s6
; %bb.1806:
	v_add_f32_e64 v8, 0x43000000, |v7|
; %bb.1807:
	s_or_b32 exec_lo, exec_lo, s6
                                        ; implicit-def: $vgpr10
.LBB457_1808:
	s_and_not1_saveexec_b32 s3, s3
; %bb.1809:
	v_mov_b32_e32 v8, 0x7f
	v_cmp_lt_u32_e32 vcc_lo, 0x7f800000, v10
	s_delay_alu instid0(VALU_DEP_2)
	v_cndmask_b32_e32 v8, 0x7c, v8, vcc_lo
; %bb.1810:
	s_or_b32 exec_lo, exec_lo, s3
	v_lshrrev_b32_e32 v7, 24, v7
	s_delay_alu instid0(VALU_DEP_1)
	v_and_or_b32 v7, 0x80, v7, v8
	global_store_b8 v[2:3], v7, off
.LBB457_1811:
	s_mov_b32 s3, 0
	s_mov_b32 s6, -1
.LBB457_1812:
	s_and_not1_b32 vcc_lo, exec_lo, s3
	s_mov_b32 s3, 0
	s_cbranch_vccnz .LBB457_1819
; %bb.1813:
	v_cmp_lt_i16_e32 vcc_lo, 14, v9
	s_mov_b32 s3, -1
	s_cbranch_vccz .LBB457_1817
; %bb.1814:
	v_cmp_eq_u16_e32 vcc_lo, 15, v9
	s_mov_b32 s0, -1
	s_cbranch_vccz .LBB457_1816
; %bb.1815:
	v_bfe_i32 v7, v5, 0, 16
	s_mov_b32 s0, 0
	s_mov_b32 s6, -1
	s_delay_alu instid0(VALU_DEP_1) | instskip(NEXT) | instid1(VALU_DEP_1)
	v_cvt_f32_i32_e32 v7, v7
	v_bfe_u32 v8, v7, 16, 1
	s_delay_alu instid0(VALU_DEP_1)
	v_add3_u32 v7, v7, v8, 0x7fff
	global_store_d16_hi_b16 v[2:3], v7, off
.LBB457_1816:
	s_mov_b32 s3, 0
.LBB457_1817:
	s_delay_alu instid0(SALU_CYCLE_1)
	s_and_b32 vcc_lo, exec_lo, s3
	s_mov_b32 s3, 0
	s_cbranch_vccz .LBB457_1819
; %bb.1818:
	v_cmp_ne_u16_e64 s0, 11, v9
	s_mov_b32 s3, -1
.LBB457_1819:
	s_delay_alu instid0(VALU_DEP_1)
	s_and_b32 vcc_lo, exec_lo, s0
	s_cbranch_vccnz .LBB457_2116
; %bb.1820:
	s_and_not1_b32 vcc_lo, exec_lo, s3
	s_cbranch_vccnz .LBB457_1822
.LBB457_1821:
	v_cmp_ne_u16_e32 vcc_lo, 0, v5
	s_mov_b32 s6, -1
	v_cndmask_b32_e64 v7, 0, 1, vcc_lo
	global_store_b8 v[2:3], v7, off
.LBB457_1822:
	s_mov_b32 s0, 0
.LBB457_1823:
	s_delay_alu instid0(SALU_CYCLE_1)
	s_and_b32 vcc_lo, exec_lo, s0
	s_cbranch_vccz .LBB457_1862
; %bb.1824:
	v_cmp_gt_i16_e32 vcc_lo, 5, v9
	s_mov_b32 s0, -1
	s_cbranch_vccnz .LBB457_1845
; %bb.1825:
	v_cmp_gt_i16_e32 vcc_lo, 8, v9
	s_cbranch_vccnz .LBB457_1835
; %bb.1826:
	v_cmp_gt_i16_e32 vcc_lo, 9, v9
	s_cbranch_vccnz .LBB457_1832
; %bb.1827:
	v_cmp_lt_i16_e32 vcc_lo, 9, v9
	s_cbranch_vccz .LBB457_1829
; %bb.1828:
	v_bfe_i32 v7, v5, 0, 16
	v_mov_b32_e32 v12, 0
	s_mov_b32 s0, 0
	s_delay_alu instid0(VALU_DEP_2) | instskip(NEXT) | instid1(VALU_DEP_2)
	v_cvt_f64_i32_e32 v[10:11], v7
	v_mov_b32_e32 v13, v12
	global_store_b128 v[2:3], v[10:13], off
.LBB457_1829:
	s_and_not1_b32 vcc_lo, exec_lo, s0
	s_cbranch_vccnz .LBB457_1831
; %bb.1830:
	v_bfe_i32 v7, v5, 0, 16
	v_mov_b32_e32 v8, 0
	s_delay_alu instid0(VALU_DEP_2)
	v_cvt_f32_i32_e32 v7, v7
	global_store_b64 v[2:3], v[7:8], off
.LBB457_1831:
	s_mov_b32 s0, 0
.LBB457_1832:
	s_delay_alu instid0(SALU_CYCLE_1)
	s_and_not1_b32 vcc_lo, exec_lo, s0
	s_cbranch_vccnz .LBB457_1834
; %bb.1833:
	v_cvt_f16_i16_e32 v7, v5
	s_delay_alu instid0(VALU_DEP_1)
	v_and_b32_e32 v7, 0xffff, v7
	global_store_b32 v[2:3], v7, off
.LBB457_1834:
	s_mov_b32 s0, 0
.LBB457_1835:
	s_delay_alu instid0(SALU_CYCLE_1)
	s_and_not1_b32 vcc_lo, exec_lo, s0
	s_cbranch_vccnz .LBB457_1844
; %bb.1836:
	v_cmp_gt_i16_e32 vcc_lo, 6, v9
	s_mov_b32 s0, -1
	s_cbranch_vccnz .LBB457_1842
; %bb.1837:
	v_cmp_lt_i16_e32 vcc_lo, 6, v9
	s_cbranch_vccz .LBB457_1839
; %bb.1838:
	v_bfe_i32 v7, v5, 0, 16
	s_mov_b32 s0, 0
	s_delay_alu instid0(VALU_DEP_1)
	v_cvt_f64_i32_e32 v[7:8], v7
	global_store_b64 v[2:3], v[7:8], off
.LBB457_1839:
	s_and_not1_b32 vcc_lo, exec_lo, s0
	s_cbranch_vccnz .LBB457_1841
; %bb.1840:
	v_bfe_i32 v7, v5, 0, 16
	s_delay_alu instid0(VALU_DEP_1)
	v_cvt_f32_i32_e32 v7, v7
	global_store_b32 v[2:3], v7, off
.LBB457_1841:
	s_mov_b32 s0, 0
.LBB457_1842:
	s_delay_alu instid0(SALU_CYCLE_1)
	s_and_not1_b32 vcc_lo, exec_lo, s0
	s_cbranch_vccnz .LBB457_1844
; %bb.1843:
	v_cvt_f16_i16_e32 v7, v5
	global_store_b16 v[2:3], v7, off
.LBB457_1844:
	s_mov_b32 s0, 0
.LBB457_1845:
	s_delay_alu instid0(SALU_CYCLE_1)
	s_and_not1_b32 vcc_lo, exec_lo, s0
	s_cbranch_vccnz .LBB457_1861
; %bb.1846:
	v_cmp_gt_i16_e32 vcc_lo, 2, v9
	s_mov_b32 s0, -1
	s_cbranch_vccnz .LBB457_1856
; %bb.1847:
	v_cmp_gt_i16_e32 vcc_lo, 3, v9
	s_cbranch_vccnz .LBB457_1853
; %bb.1848:
	v_cmp_lt_i16_e32 vcc_lo, 3, v9
	v_bfe_i32 v7, v5, 0, 16
	s_cbranch_vccz .LBB457_1850
; %bb.1849:
	s_delay_alu instid0(VALU_DEP_1)
	v_ashrrev_i32_e32 v8, 31, v7
	s_mov_b32 s0, 0
	global_store_b64 v[2:3], v[7:8], off
.LBB457_1850:
	s_and_not1_b32 vcc_lo, exec_lo, s0
	s_cbranch_vccnz .LBB457_1852
; %bb.1851:
	global_store_b32 v[2:3], v7, off
.LBB457_1852:
	s_mov_b32 s0, 0
.LBB457_1853:
	s_delay_alu instid0(SALU_CYCLE_1)
	s_and_not1_b32 vcc_lo, exec_lo, s0
	s_cbranch_vccnz .LBB457_1855
; %bb.1854:
	global_store_b16 v[2:3], v5, off
.LBB457_1855:
	s_mov_b32 s0, 0
.LBB457_1856:
	s_delay_alu instid0(SALU_CYCLE_1)
	s_and_not1_b32 vcc_lo, exec_lo, s0
	s_cbranch_vccnz .LBB457_1861
; %bb.1857:
	v_cmp_lt_i16_e32 vcc_lo, 0, v9
	s_mov_b32 s0, -1
	s_cbranch_vccz .LBB457_1859
; %bb.1858:
	s_mov_b32 s0, 0
	global_store_b8 v[2:3], v5, off
.LBB457_1859:
	s_and_not1_b32 vcc_lo, exec_lo, s0
	s_cbranch_vccnz .LBB457_1861
; %bb.1860:
	global_store_b8 v[2:3], v5, off
.LBB457_1861:
	s_mov_b32 s6, -1
.LBB457_1862:
	s_delay_alu instid0(SALU_CYCLE_1)
	s_and_not1_b32 vcc_lo, exec_lo, s6
	s_cbranch_vccnz .LBB457_2057
; %bb.1863:
	v_cmp_gt_i16_e32 vcc_lo, 11, v9
	v_add_co_u32 v1, s0, s4, v1
	v_min_i16 v3, v6, s2
	v_add_co_ci_u32_e64 v2, null, s5, 0, s0
	s_mov_b32 s6, 0
	s_mov_b32 s0, -1
	s_cbranch_vccnz .LBB457_1941
; %bb.1864:
	v_cmp_lt_i16_e32 vcc_lo, 25, v9
	s_mov_b32 s7, -1
	s_mov_b32 s3, 0
	s_mov_b32 s0, 0
	s_cbranch_vccz .LBB457_1897
; %bb.1865:
	v_cmp_lt_i16_e32 vcc_lo, 28, v9
	s_cbranch_vccz .LBB457_1880
; %bb.1866:
	v_cmp_lt_i16_e32 vcc_lo, 43, v9
	;; [unrolled: 3-line block ×3, first 2 shown]
	s_cbranch_vccz .LBB457_1870
; %bb.1868:
	v_cmp_eq_u16_e32 vcc_lo, 46, v9
	s_mov_b32 s0, -1
	s_mov_b32 s7, 0
	s_cbranch_vccz .LBB457_1870
; %bb.1869:
	v_bfe_i32 v5, v3, 0, 16
	s_mov_b32 s0, 0
	s_mov_b32 s6, -1
	s_delay_alu instid0(VALU_DEP_1) | instskip(NEXT) | instid1(VALU_DEP_1)
	v_cvt_f32_i32_e32 v5, v5
	v_bfe_u32 v6, v5, 16, 1
	s_delay_alu instid0(VALU_DEP_1) | instskip(NEXT) | instid1(VALU_DEP_1)
	v_add3_u32 v5, v5, v6, 0x7fff
	v_lshrrev_b32_e32 v5, 16, v5
	global_store_b32 v[1:2], v5, off
.LBB457_1870:
	s_and_b32 vcc_lo, exec_lo, s7
	s_cbranch_vccz .LBB457_1875
; %bb.1871:
	v_cmp_eq_u16_e32 vcc_lo, 44, v9
	s_mov_b32 s0, -1
	s_cbranch_vccz .LBB457_1875
; %bb.1872:
	v_bfe_i32 v5, v3, 0, 16
	v_mov_b32_e32 v6, 0xff
	s_mov_b32 s6, exec_lo
	s_delay_alu instid0(VALU_DEP_2) | instskip(NEXT) | instid1(VALU_DEP_1)
	v_cvt_f32_i32_e32 v5, v5
	v_bfe_u32 v7, v5, 23, 8
	s_delay_alu instid0(VALU_DEP_1)
	v_cmpx_ne_u32_e32 0xff, v7
; %bb.1873:
	v_and_b32_e32 v6, 0x400000, v5
	v_and_or_b32 v7, 0x3fffff, v5, v7
	v_lshrrev_b32_e32 v5, 23, v5
	s_delay_alu instid0(VALU_DEP_3) | instskip(NEXT) | instid1(VALU_DEP_3)
	v_cmp_ne_u32_e32 vcc_lo, 0, v6
	v_cmp_ne_u32_e64 s0, 0, v7
	s_delay_alu instid0(VALU_DEP_1) | instskip(NEXT) | instid1(SALU_CYCLE_1)
	s_and_b32 s0, vcc_lo, s0
	v_cndmask_b32_e64 v6, 0, 1, s0
	s_delay_alu instid0(VALU_DEP_1)
	v_add_nc_u32_e32 v6, v5, v6
; %bb.1874:
	s_or_b32 exec_lo, exec_lo, s6
	s_mov_b32 s0, 0
	s_mov_b32 s6, -1
	global_store_b8 v[1:2], v6, off
.LBB457_1875:
	s_mov_b32 s7, 0
.LBB457_1876:
	s_delay_alu instid0(SALU_CYCLE_1)
	s_and_b32 vcc_lo, exec_lo, s7
	s_cbranch_vccz .LBB457_1879
; %bb.1877:
	v_cmp_eq_u16_e32 vcc_lo, 29, v9
	s_mov_b32 s0, -1
	s_cbranch_vccz .LBB457_1879
; %bb.1878:
	v_bfe_i32 v5, v3, 0, 16
	s_mov_b32 s0, 0
	s_mov_b32 s6, -1
	s_delay_alu instid0(VALU_DEP_1)
	v_ashrrev_i32_e32 v6, 31, v5
	global_store_b64 v[1:2], v[5:6], off
.LBB457_1879:
	s_mov_b32 s7, 0
.LBB457_1880:
	s_delay_alu instid0(SALU_CYCLE_1)
	s_and_b32 vcc_lo, exec_lo, s7
	s_cbranch_vccz .LBB457_1896
; %bb.1881:
	v_cmp_gt_i16_e32 vcc_lo, 27, v9
	s_mov_b32 s6, -1
	s_cbranch_vccnz .LBB457_1887
; %bb.1882:
	v_cmp_lt_i16_e32 vcc_lo, 27, v9
	s_cbranch_vccz .LBB457_1884
; %bb.1883:
	v_bfe_i32 v5, v3, 0, 16
	s_mov_b32 s6, 0
	global_store_b32 v[1:2], v5, off
.LBB457_1884:
	s_and_not1_b32 vcc_lo, exec_lo, s6
	s_cbranch_vccnz .LBB457_1886
; %bb.1885:
	global_store_b16 v[1:2], v3, off
.LBB457_1886:
	s_mov_b32 s6, 0
.LBB457_1887:
	s_delay_alu instid0(SALU_CYCLE_1)
	s_and_not1_b32 vcc_lo, exec_lo, s6
	s_cbranch_vccnz .LBB457_1895
; %bb.1888:
	v_bfe_i32 v5, v3, 0, 16
	v_mov_b32_e32 v7, 0x80
	s_mov_b32 s6, exec_lo
	s_delay_alu instid0(VALU_DEP_2) | instskip(NEXT) | instid1(VALU_DEP_1)
	v_cvt_f32_i32_e32 v5, v5
	v_and_b32_e32 v6, 0x7fffffff, v5
	s_delay_alu instid0(VALU_DEP_1)
	v_cmpx_gt_u32_e32 0x43800000, v6
	s_cbranch_execz .LBB457_1894
; %bb.1889:
	v_cmp_lt_u32_e32 vcc_lo, 0x3bffffff, v6
	s_mov_b32 s7, 0
                                        ; implicit-def: $vgpr6
	s_and_saveexec_b32 s10, vcc_lo
	s_delay_alu instid0(SALU_CYCLE_1)
	s_xor_b32 s10, exec_lo, s10
	s_cbranch_execz .LBB457_2120
; %bb.1890:
	v_bfe_u32 v6, v5, 20, 1
	s_mov_b32 s7, exec_lo
	s_delay_alu instid0(VALU_DEP_1) | instskip(NEXT) | instid1(VALU_DEP_1)
	v_add3_u32 v6, v5, v6, 0x487ffff
	v_lshrrev_b32_e32 v6, 20, v6
	s_or_saveexec_b32 s10, s10
                                        ; implicit-def: $sgpr11
	s_delay_alu instid0(SALU_CYCLE_1)
	s_xor_b32 exec_lo, exec_lo, s10
	s_cbranch_execnz .LBB457_2121
.LBB457_1891:
	s_or_b32 exec_lo, exec_lo, s10
	v_mov_b32_e32 v7, s11
	s_and_saveexec_b32 s10, s7
.LBB457_1892:
	v_lshrrev_b32_e32 v5, 24, v5
	s_delay_alu instid0(VALU_DEP_1)
	v_and_or_b32 v7, 0x80, v5, v6
.LBB457_1893:
	s_or_b32 exec_lo, exec_lo, s10
.LBB457_1894:
	s_delay_alu instid0(SALU_CYCLE_1)
	s_or_b32 exec_lo, exec_lo, s6
	global_store_b8 v[1:2], v7, off
.LBB457_1895:
	s_mov_b32 s6, -1
.LBB457_1896:
	s_mov_b32 s7, 0
.LBB457_1897:
	s_delay_alu instid0(SALU_CYCLE_1)
	s_and_b32 vcc_lo, exec_lo, s7
	s_cbranch_vccz .LBB457_1937
; %bb.1898:
	v_cmp_lt_i16_e32 vcc_lo, 22, v9
	s_mov_b32 s3, -1
	s_cbranch_vccz .LBB457_1930
; %bb.1899:
	v_cmp_gt_i16_e32 vcc_lo, 24, v9
	s_cbranch_vccnz .LBB457_1919
; %bb.1900:
	v_cmp_lt_i16_e32 vcc_lo, 24, v9
	s_cbranch_vccz .LBB457_1908
; %bb.1901:
	v_bfe_i32 v5, v3, 0, 16
	v_mov_b32_e32 v7, 0x80
	s_mov_b32 s3, exec_lo
	s_delay_alu instid0(VALU_DEP_2) | instskip(NEXT) | instid1(VALU_DEP_1)
	v_cvt_f32_i32_e32 v5, v5
	v_and_b32_e32 v6, 0x7fffffff, v5
	s_delay_alu instid0(VALU_DEP_1)
	v_cmpx_gt_u32_e32 0x47800000, v6
	s_cbranch_execz .LBB457_1907
; %bb.1902:
	v_cmp_lt_u32_e32 vcc_lo, 0x37ffffff, v6
	s_mov_b32 s6, 0
                                        ; implicit-def: $vgpr6
	s_and_saveexec_b32 s7, vcc_lo
	s_delay_alu instid0(SALU_CYCLE_1)
	s_xor_b32 s7, exec_lo, s7
	s_cbranch_execz .LBB457_2126
; %bb.1903:
	v_bfe_u32 v6, v5, 21, 1
	s_mov_b32 s6, exec_lo
	s_delay_alu instid0(VALU_DEP_1) | instskip(NEXT) | instid1(VALU_DEP_1)
	v_add3_u32 v6, v5, v6, 0x88fffff
	v_lshrrev_b32_e32 v6, 21, v6
	s_or_saveexec_b32 s7, s7
                                        ; implicit-def: $sgpr10
	s_delay_alu instid0(SALU_CYCLE_1)
	s_xor_b32 exec_lo, exec_lo, s7
	s_cbranch_execnz .LBB457_2127
.LBB457_1904:
	s_or_b32 exec_lo, exec_lo, s7
	v_mov_b32_e32 v7, s10
	s_and_saveexec_b32 s7, s6
.LBB457_1905:
	v_lshrrev_b32_e32 v5, 24, v5
	s_delay_alu instid0(VALU_DEP_1)
	v_and_or_b32 v7, 0x80, v5, v6
.LBB457_1906:
	s_or_b32 exec_lo, exec_lo, s7
.LBB457_1907:
	s_delay_alu instid0(SALU_CYCLE_1)
	s_or_b32 exec_lo, exec_lo, s3
	s_mov_b32 s3, 0
	global_store_b8 v[1:2], v7, off
.LBB457_1908:
	s_and_b32 vcc_lo, exec_lo, s3
	s_cbranch_vccz .LBB457_1918
; %bb.1909:
	v_bfe_i32 v5, v3, 0, 16
	s_mov_b32 s3, exec_lo
                                        ; implicit-def: $vgpr6
	s_delay_alu instid0(VALU_DEP_1) | instskip(NEXT) | instid1(VALU_DEP_1)
	v_cvt_f32_i32_e32 v5, v5
	v_and_b32_e32 v7, 0x7fffffff, v5
	s_delay_alu instid0(VALU_DEP_1)
	v_cmpx_gt_u32_e32 0x43f00000, v7
	s_xor_b32 s3, exec_lo, s3
	s_cbranch_execz .LBB457_1915
; %bb.1910:
	s_mov_b32 s6, exec_lo
                                        ; implicit-def: $vgpr6
	v_cmpx_lt_u32_e32 0x3c7fffff, v7
	s_xor_b32 s6, exec_lo, s6
; %bb.1911:
	v_bfe_u32 v6, v5, 20, 1
	s_delay_alu instid0(VALU_DEP_1) | instskip(NEXT) | instid1(VALU_DEP_1)
	v_add3_u32 v6, v5, v6, 0x407ffff
	v_and_b32_e32 v7, 0xff00000, v6
	v_lshrrev_b32_e32 v6, 20, v6
	s_delay_alu instid0(VALU_DEP_2) | instskip(NEXT) | instid1(VALU_DEP_2)
	v_cmp_ne_u32_e32 vcc_lo, 0x7f00000, v7
	v_cndmask_b32_e32 v6, 0x7e, v6, vcc_lo
; %bb.1912:
	s_and_not1_saveexec_b32 s6, s6
; %bb.1913:
	v_add_f32_e64 v6, 0x46800000, |v5|
; %bb.1914:
	s_or_b32 exec_lo, exec_lo, s6
                                        ; implicit-def: $vgpr7
.LBB457_1915:
	s_and_not1_saveexec_b32 s3, s3
; %bb.1916:
	v_mov_b32_e32 v6, 0x7f
	v_cmp_lt_u32_e32 vcc_lo, 0x7f800000, v7
	s_delay_alu instid0(VALU_DEP_2)
	v_cndmask_b32_e32 v6, 0x7e, v6, vcc_lo
; %bb.1917:
	s_or_b32 exec_lo, exec_lo, s3
	v_lshrrev_b32_e32 v5, 24, v5
	s_delay_alu instid0(VALU_DEP_1)
	v_and_or_b32 v5, 0x80, v5, v6
	global_store_b8 v[1:2], v5, off
.LBB457_1918:
	s_mov_b32 s3, 0
.LBB457_1919:
	s_delay_alu instid0(SALU_CYCLE_1)
	s_and_not1_b32 vcc_lo, exec_lo, s3
	s_cbranch_vccnz .LBB457_1929
; %bb.1920:
	v_bfe_i32 v5, v3, 0, 16
	s_mov_b32 s3, exec_lo
                                        ; implicit-def: $vgpr6
	s_delay_alu instid0(VALU_DEP_1) | instskip(NEXT) | instid1(VALU_DEP_1)
	v_cvt_f32_i32_e32 v5, v5
	v_and_b32_e32 v7, 0x7fffffff, v5
	s_delay_alu instid0(VALU_DEP_1)
	v_cmpx_gt_u32_e32 0x47800000, v7
	s_xor_b32 s3, exec_lo, s3
	s_cbranch_execz .LBB457_1926
; %bb.1921:
	s_mov_b32 s6, exec_lo
                                        ; implicit-def: $vgpr6
	v_cmpx_lt_u32_e32 0x387fffff, v7
	s_xor_b32 s6, exec_lo, s6
; %bb.1922:
	v_bfe_u32 v6, v5, 21, 1
	s_delay_alu instid0(VALU_DEP_1) | instskip(NEXT) | instid1(VALU_DEP_1)
	v_add3_u32 v6, v5, v6, 0x80fffff
	v_lshrrev_b32_e32 v6, 21, v6
; %bb.1923:
	s_and_not1_saveexec_b32 s6, s6
; %bb.1924:
	v_add_f32_e64 v6, 0x43000000, |v5|
; %bb.1925:
	s_or_b32 exec_lo, exec_lo, s6
                                        ; implicit-def: $vgpr7
.LBB457_1926:
	s_and_not1_saveexec_b32 s3, s3
; %bb.1927:
	v_mov_b32_e32 v6, 0x7f
	v_cmp_lt_u32_e32 vcc_lo, 0x7f800000, v7
	s_delay_alu instid0(VALU_DEP_2)
	v_cndmask_b32_e32 v6, 0x7c, v6, vcc_lo
; %bb.1928:
	s_or_b32 exec_lo, exec_lo, s3
	v_lshrrev_b32_e32 v5, 24, v5
	s_delay_alu instid0(VALU_DEP_1)
	v_and_or_b32 v5, 0x80, v5, v6
	global_store_b8 v[1:2], v5, off
.LBB457_1929:
	s_mov_b32 s3, 0
	s_mov_b32 s6, -1
.LBB457_1930:
	s_and_not1_b32 vcc_lo, exec_lo, s3
	s_mov_b32 s3, 0
	s_cbranch_vccnz .LBB457_1937
; %bb.1931:
	v_cmp_lt_i16_e32 vcc_lo, 14, v9
	s_mov_b32 s3, -1
	s_cbranch_vccz .LBB457_1935
; %bb.1932:
	v_cmp_eq_u16_e32 vcc_lo, 15, v9
	s_mov_b32 s0, -1
	s_cbranch_vccz .LBB457_1934
; %bb.1933:
	v_bfe_i32 v5, v3, 0, 16
	s_mov_b32 s0, 0
	s_mov_b32 s6, -1
	s_delay_alu instid0(VALU_DEP_1) | instskip(NEXT) | instid1(VALU_DEP_1)
	v_cvt_f32_i32_e32 v5, v5
	v_bfe_u32 v6, v5, 16, 1
	s_delay_alu instid0(VALU_DEP_1)
	v_add3_u32 v5, v5, v6, 0x7fff
	global_store_d16_hi_b16 v[1:2], v5, off
.LBB457_1934:
	s_mov_b32 s3, 0
.LBB457_1935:
	s_delay_alu instid0(SALU_CYCLE_1)
	s_and_b32 vcc_lo, exec_lo, s3
	s_mov_b32 s3, 0
	s_cbranch_vccz .LBB457_1937
; %bb.1936:
	v_cmp_ne_u16_e64 s0, 11, v9
	s_mov_b32 s3, -1
.LBB457_1937:
	s_delay_alu instid0(VALU_DEP_1)
	s_and_b32 vcc_lo, exec_lo, s0
	s_cbranch_vccnz .LBB457_2124
; %bb.1938:
	s_and_not1_b32 vcc_lo, exec_lo, s3
	s_cbranch_vccnz .LBB457_1940
.LBB457_1939:
	v_cmp_ne_u16_e32 vcc_lo, 0, v3
	s_mov_b32 s6, -1
	v_cndmask_b32_e64 v5, 0, 1, vcc_lo
	global_store_b8 v[1:2], v5, off
.LBB457_1940:
	s_mov_b32 s0, 0
.LBB457_1941:
	s_delay_alu instid0(SALU_CYCLE_1)
	s_and_b32 vcc_lo, exec_lo, s0
	s_cbranch_vccz .LBB457_1980
; %bb.1942:
	v_cmp_gt_i16_e32 vcc_lo, 5, v9
	s_mov_b32 s0, -1
	s_cbranch_vccnz .LBB457_1963
; %bb.1943:
	v_cmp_gt_i16_e32 vcc_lo, 8, v9
	s_cbranch_vccnz .LBB457_1953
; %bb.1944:
	v_cmp_gt_i16_e32 vcc_lo, 9, v9
	s_cbranch_vccnz .LBB457_1950
; %bb.1945:
	v_cmp_lt_i16_e32 vcc_lo, 9, v9
	s_cbranch_vccz .LBB457_1947
; %bb.1946:
	v_bfe_i32 v5, v3, 0, 16
	v_mov_b32_e32 v7, 0
	s_mov_b32 s0, 0
	s_delay_alu instid0(VALU_DEP_2) | instskip(NEXT) | instid1(VALU_DEP_2)
	v_cvt_f64_i32_e32 v[5:6], v5
	v_mov_b32_e32 v8, v7
	global_store_b128 v[1:2], v[5:8], off
.LBB457_1947:
	s_and_not1_b32 vcc_lo, exec_lo, s0
	s_cbranch_vccnz .LBB457_1949
; %bb.1948:
	v_bfe_i32 v5, v3, 0, 16
	v_mov_b32_e32 v6, 0
	s_delay_alu instid0(VALU_DEP_2)
	v_cvt_f32_i32_e32 v5, v5
	global_store_b64 v[1:2], v[5:6], off
.LBB457_1949:
	s_mov_b32 s0, 0
.LBB457_1950:
	s_delay_alu instid0(SALU_CYCLE_1)
	s_and_not1_b32 vcc_lo, exec_lo, s0
	s_cbranch_vccnz .LBB457_1952
; %bb.1951:
	v_cvt_f16_i16_e32 v5, v3
	s_delay_alu instid0(VALU_DEP_1)
	v_and_b32_e32 v5, 0xffff, v5
	global_store_b32 v[1:2], v5, off
.LBB457_1952:
	s_mov_b32 s0, 0
.LBB457_1953:
	s_delay_alu instid0(SALU_CYCLE_1)
	s_and_not1_b32 vcc_lo, exec_lo, s0
	s_cbranch_vccnz .LBB457_1962
; %bb.1954:
	v_cmp_gt_i16_e32 vcc_lo, 6, v9
	s_mov_b32 s0, -1
	s_cbranch_vccnz .LBB457_1960
; %bb.1955:
	v_cmp_lt_i16_e32 vcc_lo, 6, v9
	s_cbranch_vccz .LBB457_1957
; %bb.1956:
	v_bfe_i32 v5, v3, 0, 16
	s_mov_b32 s0, 0
	s_delay_alu instid0(VALU_DEP_1)
	v_cvt_f64_i32_e32 v[5:6], v5
	global_store_b64 v[1:2], v[5:6], off
.LBB457_1957:
	s_and_not1_b32 vcc_lo, exec_lo, s0
	s_cbranch_vccnz .LBB457_1959
; %bb.1958:
	v_bfe_i32 v5, v3, 0, 16
	s_delay_alu instid0(VALU_DEP_1)
	v_cvt_f32_i32_e32 v5, v5
	global_store_b32 v[1:2], v5, off
.LBB457_1959:
	s_mov_b32 s0, 0
.LBB457_1960:
	s_delay_alu instid0(SALU_CYCLE_1)
	s_and_not1_b32 vcc_lo, exec_lo, s0
	s_cbranch_vccnz .LBB457_1962
; %bb.1961:
	v_cvt_f16_i16_e32 v5, v3
	global_store_b16 v[1:2], v5, off
.LBB457_1962:
	s_mov_b32 s0, 0
.LBB457_1963:
	s_delay_alu instid0(SALU_CYCLE_1)
	s_and_not1_b32 vcc_lo, exec_lo, s0
	s_cbranch_vccnz .LBB457_1979
; %bb.1964:
	v_cmp_gt_i16_e32 vcc_lo, 2, v9
	s_mov_b32 s0, -1
	s_cbranch_vccnz .LBB457_1974
; %bb.1965:
	v_cmp_gt_i16_e32 vcc_lo, 3, v9
	s_cbranch_vccnz .LBB457_1971
; %bb.1966:
	v_cmp_lt_i16_e32 vcc_lo, 3, v9
	v_bfe_i32 v5, v3, 0, 16
	s_cbranch_vccz .LBB457_1968
; %bb.1967:
	s_delay_alu instid0(VALU_DEP_1)
	v_ashrrev_i32_e32 v6, 31, v5
	s_mov_b32 s0, 0
	global_store_b64 v[1:2], v[5:6], off
.LBB457_1968:
	s_and_not1_b32 vcc_lo, exec_lo, s0
	s_cbranch_vccnz .LBB457_1970
; %bb.1969:
	global_store_b32 v[1:2], v5, off
.LBB457_1970:
	s_mov_b32 s0, 0
.LBB457_1971:
	s_delay_alu instid0(SALU_CYCLE_1)
	s_and_not1_b32 vcc_lo, exec_lo, s0
	s_cbranch_vccnz .LBB457_1973
; %bb.1972:
	global_store_b16 v[1:2], v3, off
.LBB457_1973:
	s_mov_b32 s0, 0
.LBB457_1974:
	s_delay_alu instid0(SALU_CYCLE_1)
	s_and_not1_b32 vcc_lo, exec_lo, s0
	s_cbranch_vccnz .LBB457_1979
; %bb.1975:
	v_cmp_lt_i16_e32 vcc_lo, 0, v9
	s_mov_b32 s0, -1
	s_cbranch_vccz .LBB457_1977
; %bb.1976:
	s_mov_b32 s0, 0
	global_store_b8 v[1:2], v3, off
.LBB457_1977:
	s_and_not1_b32 vcc_lo, exec_lo, s0
	s_cbranch_vccnz .LBB457_1979
; %bb.1978:
	global_store_b8 v[1:2], v3, off
.LBB457_1979:
	s_mov_b32 s6, -1
.LBB457_1980:
	s_delay_alu instid0(SALU_CYCLE_1)
	s_and_not1_b32 vcc_lo, exec_lo, s6
	s_cbranch_vccnz .LBB457_2057
; %bb.1981:
	v_cmp_gt_i16_e32 vcc_lo, 11, v9
	v_add_co_u32 v0, s0, s4, v0
	v_min_i16 v2, v4, s2
	v_add_co_ci_u32_e64 v1, null, s5, 0, s0
	s_mov_b32 s2, 0
	s_mov_b32 s0, -1
	s_cbranch_vccnz .LBB457_2058
; %bb.1982:
	v_cmp_lt_i16_e32 vcc_lo, 25, v9
	s_mov_b32 s3, -1
	s_mov_b32 s0, 0
	s_cbranch_vccz .LBB457_2015
; %bb.1983:
	v_cmp_lt_i16_e32 vcc_lo, 28, v9
	s_cbranch_vccz .LBB457_1999
; %bb.1984:
	v_cmp_lt_i16_e32 vcc_lo, 43, v9
	;; [unrolled: 3-line block ×3, first 2 shown]
	s_cbranch_vccz .LBB457_1989
; %bb.1986:
	v_cmp_eq_u16_e32 vcc_lo, 46, v9
	s_mov_b32 s0, -1
	s_cbranch_vccz .LBB457_1988
; %bb.1987:
	v_bfe_i32 v3, v2, 0, 16
	s_mov_b32 s0, 0
	s_delay_alu instid0(VALU_DEP_1) | instskip(NEXT) | instid1(VALU_DEP_1)
	v_cvt_f32_i32_e32 v3, v3
	v_bfe_u32 v4, v3, 16, 1
	s_delay_alu instid0(VALU_DEP_1) | instskip(NEXT) | instid1(VALU_DEP_1)
	v_add3_u32 v3, v3, v4, 0x7fff
	v_lshrrev_b32_e32 v3, 16, v3
	global_store_b32 v[0:1], v3, off
.LBB457_1988:
	s_mov_b32 s3, 0
.LBB457_1989:
	s_delay_alu instid0(SALU_CYCLE_1)
	s_and_b32 vcc_lo, exec_lo, s3
	s_cbranch_vccz .LBB457_1994
; %bb.1990:
	v_cmp_eq_u16_e32 vcc_lo, 44, v9
	s_mov_b32 s0, -1
	s_cbranch_vccz .LBB457_1994
; %bb.1991:
	v_bfe_i32 v3, v2, 0, 16
	v_mov_b32_e32 v4, 0xff
	s_mov_b32 s3, exec_lo
	s_delay_alu instid0(VALU_DEP_2) | instskip(NEXT) | instid1(VALU_DEP_1)
	v_cvt_f32_i32_e32 v3, v3
	v_bfe_u32 v5, v3, 23, 8
	s_delay_alu instid0(VALU_DEP_1)
	v_cmpx_ne_u32_e32 0xff, v5
; %bb.1992:
	v_and_b32_e32 v4, 0x400000, v3
	v_and_or_b32 v5, 0x3fffff, v3, v5
	v_lshrrev_b32_e32 v3, 23, v3
	s_delay_alu instid0(VALU_DEP_3) | instskip(NEXT) | instid1(VALU_DEP_3)
	v_cmp_ne_u32_e32 vcc_lo, 0, v4
	v_cmp_ne_u32_e64 s0, 0, v5
	s_delay_alu instid0(VALU_DEP_1) | instskip(NEXT) | instid1(SALU_CYCLE_1)
	s_and_b32 s0, vcc_lo, s0
	v_cndmask_b32_e64 v4, 0, 1, s0
	s_delay_alu instid0(VALU_DEP_1)
	v_add_nc_u32_e32 v4, v3, v4
; %bb.1993:
	s_or_b32 exec_lo, exec_lo, s3
	s_mov_b32 s0, 0
	global_store_b8 v[0:1], v4, off
.LBB457_1994:
	s_mov_b32 s3, 0
.LBB457_1995:
	s_delay_alu instid0(SALU_CYCLE_1)
	s_and_b32 vcc_lo, exec_lo, s3
	s_cbranch_vccz .LBB457_1998
; %bb.1996:
	v_cmp_eq_u16_e32 vcc_lo, 29, v9
	s_mov_b32 s0, -1
	s_cbranch_vccz .LBB457_1998
; %bb.1997:
	v_bfe_i32 v3, v2, 0, 16
	s_mov_b32 s0, 0
	s_delay_alu instid0(VALU_DEP_1)
	v_ashrrev_i32_e32 v4, 31, v3
	global_store_b64 v[0:1], v[3:4], off
.LBB457_1998:
	s_mov_b32 s3, 0
.LBB457_1999:
	s_delay_alu instid0(SALU_CYCLE_1)
	s_and_b32 vcc_lo, exec_lo, s3
	s_cbranch_vccz .LBB457_2014
; %bb.2000:
	v_cmp_gt_i16_e32 vcc_lo, 27, v9
	s_mov_b32 s3, -1
	s_cbranch_vccnz .LBB457_2006
; %bb.2001:
	v_cmp_lt_i16_e32 vcc_lo, 27, v9
	s_cbranch_vccz .LBB457_2003
; %bb.2002:
	v_bfe_i32 v3, v2, 0, 16
	s_mov_b32 s3, 0
	global_store_b32 v[0:1], v3, off
.LBB457_2003:
	s_and_not1_b32 vcc_lo, exec_lo, s3
	s_cbranch_vccnz .LBB457_2005
; %bb.2004:
	global_store_b16 v[0:1], v2, off
.LBB457_2005:
	s_mov_b32 s3, 0
.LBB457_2006:
	s_delay_alu instid0(SALU_CYCLE_1)
	s_and_not1_b32 vcc_lo, exec_lo, s3
	s_cbranch_vccnz .LBB457_2014
; %bb.2007:
	v_bfe_i32 v3, v2, 0, 16
	v_mov_b32_e32 v5, 0x80
	s_mov_b32 s3, exec_lo
	s_delay_alu instid0(VALU_DEP_2) | instskip(NEXT) | instid1(VALU_DEP_1)
	v_cvt_f32_i32_e32 v3, v3
	v_and_b32_e32 v4, 0x7fffffff, v3
	s_delay_alu instid0(VALU_DEP_1)
	v_cmpx_gt_u32_e32 0x43800000, v4
	s_cbranch_execz .LBB457_2013
; %bb.2008:
	v_cmp_lt_u32_e32 vcc_lo, 0x3bffffff, v4
	s_mov_b32 s4, 0
                                        ; implicit-def: $vgpr4
	s_and_saveexec_b32 s5, vcc_lo
	s_delay_alu instid0(SALU_CYCLE_1)
	s_xor_b32 s5, exec_lo, s5
	s_cbranch_execz .LBB457_2128
; %bb.2009:
	v_bfe_u32 v4, v3, 20, 1
	s_mov_b32 s4, exec_lo
	s_delay_alu instid0(VALU_DEP_1) | instskip(NEXT) | instid1(VALU_DEP_1)
	v_add3_u32 v4, v3, v4, 0x487ffff
	v_lshrrev_b32_e32 v4, 20, v4
	s_or_saveexec_b32 s5, s5
                                        ; implicit-def: $sgpr6
	s_delay_alu instid0(SALU_CYCLE_1)
	s_xor_b32 exec_lo, exec_lo, s5
	s_cbranch_execnz .LBB457_2129
.LBB457_2010:
	s_or_b32 exec_lo, exec_lo, s5
	v_mov_b32_e32 v5, s6
	s_and_saveexec_b32 s5, s4
.LBB457_2011:
	v_lshrrev_b32_e32 v3, 24, v3
	s_delay_alu instid0(VALU_DEP_1)
	v_and_or_b32 v5, 0x80, v3, v4
.LBB457_2012:
	s_or_b32 exec_lo, exec_lo, s5
.LBB457_2013:
	s_delay_alu instid0(SALU_CYCLE_1)
	s_or_b32 exec_lo, exec_lo, s3
	global_store_b8 v[0:1], v5, off
.LBB457_2014:
	s_mov_b32 s3, 0
.LBB457_2015:
	s_delay_alu instid0(SALU_CYCLE_1)
	s_and_b32 vcc_lo, exec_lo, s3
	s_cbranch_vccz .LBB457_2055
; %bb.2016:
	v_cmp_lt_i16_e32 vcc_lo, 22, v9
	s_mov_b32 s2, -1
	s_cbranch_vccz .LBB457_2048
; %bb.2017:
	v_cmp_gt_i16_e32 vcc_lo, 24, v9
	s_cbranch_vccnz .LBB457_2037
; %bb.2018:
	v_cmp_lt_i16_e32 vcc_lo, 24, v9
	s_cbranch_vccz .LBB457_2026
; %bb.2019:
	v_bfe_i32 v3, v2, 0, 16
	v_mov_b32_e32 v5, 0x80
	s_mov_b32 s2, exec_lo
	s_delay_alu instid0(VALU_DEP_2) | instskip(NEXT) | instid1(VALU_DEP_1)
	v_cvt_f32_i32_e32 v3, v3
	v_and_b32_e32 v4, 0x7fffffff, v3
	s_delay_alu instid0(VALU_DEP_1)
	v_cmpx_gt_u32_e32 0x47800000, v4
	s_cbranch_execz .LBB457_2025
; %bb.2020:
	v_cmp_lt_u32_e32 vcc_lo, 0x37ffffff, v4
	s_mov_b32 s3, 0
                                        ; implicit-def: $vgpr4
	s_and_saveexec_b32 s4, vcc_lo
	s_delay_alu instid0(SALU_CYCLE_1)
	s_xor_b32 s4, exec_lo, s4
	s_cbranch_execz .LBB457_2134
; %bb.2021:
	v_bfe_u32 v4, v3, 21, 1
	s_mov_b32 s3, exec_lo
	s_delay_alu instid0(VALU_DEP_1) | instskip(NEXT) | instid1(VALU_DEP_1)
	v_add3_u32 v4, v3, v4, 0x88fffff
	v_lshrrev_b32_e32 v4, 21, v4
	s_or_saveexec_b32 s4, s4
                                        ; implicit-def: $sgpr5
	s_delay_alu instid0(SALU_CYCLE_1)
	s_xor_b32 exec_lo, exec_lo, s4
	s_cbranch_execnz .LBB457_2135
.LBB457_2022:
	s_or_b32 exec_lo, exec_lo, s4
	v_mov_b32_e32 v5, s5
	s_and_saveexec_b32 s4, s3
.LBB457_2023:
	v_lshrrev_b32_e32 v3, 24, v3
	s_delay_alu instid0(VALU_DEP_1)
	v_and_or_b32 v5, 0x80, v3, v4
.LBB457_2024:
	s_or_b32 exec_lo, exec_lo, s4
.LBB457_2025:
	s_delay_alu instid0(SALU_CYCLE_1)
	s_or_b32 exec_lo, exec_lo, s2
	s_mov_b32 s2, 0
	global_store_b8 v[0:1], v5, off
.LBB457_2026:
	s_and_b32 vcc_lo, exec_lo, s2
	s_cbranch_vccz .LBB457_2036
; %bb.2027:
	v_bfe_i32 v3, v2, 0, 16
	s_mov_b32 s2, exec_lo
                                        ; implicit-def: $vgpr4
	s_delay_alu instid0(VALU_DEP_1) | instskip(NEXT) | instid1(VALU_DEP_1)
	v_cvt_f32_i32_e32 v3, v3
	v_and_b32_e32 v5, 0x7fffffff, v3
	s_delay_alu instid0(VALU_DEP_1)
	v_cmpx_gt_u32_e32 0x43f00000, v5
	s_xor_b32 s2, exec_lo, s2
	s_cbranch_execz .LBB457_2033
; %bb.2028:
	s_mov_b32 s3, exec_lo
                                        ; implicit-def: $vgpr4
	v_cmpx_lt_u32_e32 0x3c7fffff, v5
	s_xor_b32 s3, exec_lo, s3
; %bb.2029:
	v_bfe_u32 v4, v3, 20, 1
	s_delay_alu instid0(VALU_DEP_1) | instskip(NEXT) | instid1(VALU_DEP_1)
	v_add3_u32 v4, v3, v4, 0x407ffff
	v_and_b32_e32 v5, 0xff00000, v4
	v_lshrrev_b32_e32 v4, 20, v4
	s_delay_alu instid0(VALU_DEP_2) | instskip(NEXT) | instid1(VALU_DEP_2)
	v_cmp_ne_u32_e32 vcc_lo, 0x7f00000, v5
	v_cndmask_b32_e32 v4, 0x7e, v4, vcc_lo
; %bb.2030:
	s_and_not1_saveexec_b32 s3, s3
; %bb.2031:
	v_add_f32_e64 v4, 0x46800000, |v3|
; %bb.2032:
	s_or_b32 exec_lo, exec_lo, s3
                                        ; implicit-def: $vgpr5
.LBB457_2033:
	s_and_not1_saveexec_b32 s2, s2
; %bb.2034:
	v_mov_b32_e32 v4, 0x7f
	v_cmp_lt_u32_e32 vcc_lo, 0x7f800000, v5
	s_delay_alu instid0(VALU_DEP_2)
	v_cndmask_b32_e32 v4, 0x7e, v4, vcc_lo
; %bb.2035:
	s_or_b32 exec_lo, exec_lo, s2
	v_lshrrev_b32_e32 v3, 24, v3
	s_delay_alu instid0(VALU_DEP_1)
	v_and_or_b32 v3, 0x80, v3, v4
	global_store_b8 v[0:1], v3, off
.LBB457_2036:
	s_mov_b32 s2, 0
.LBB457_2037:
	s_delay_alu instid0(SALU_CYCLE_1)
	s_and_not1_b32 vcc_lo, exec_lo, s2
	s_cbranch_vccnz .LBB457_2047
; %bb.2038:
	v_bfe_i32 v3, v2, 0, 16
	s_mov_b32 s2, exec_lo
                                        ; implicit-def: $vgpr4
	s_delay_alu instid0(VALU_DEP_1) | instskip(NEXT) | instid1(VALU_DEP_1)
	v_cvt_f32_i32_e32 v3, v3
	v_and_b32_e32 v5, 0x7fffffff, v3
	s_delay_alu instid0(VALU_DEP_1)
	v_cmpx_gt_u32_e32 0x47800000, v5
	s_xor_b32 s2, exec_lo, s2
	s_cbranch_execz .LBB457_2044
; %bb.2039:
	s_mov_b32 s3, exec_lo
                                        ; implicit-def: $vgpr4
	v_cmpx_lt_u32_e32 0x387fffff, v5
	s_xor_b32 s3, exec_lo, s3
; %bb.2040:
	v_bfe_u32 v4, v3, 21, 1
	s_delay_alu instid0(VALU_DEP_1) | instskip(NEXT) | instid1(VALU_DEP_1)
	v_add3_u32 v4, v3, v4, 0x80fffff
	v_lshrrev_b32_e32 v4, 21, v4
; %bb.2041:
	s_and_not1_saveexec_b32 s3, s3
; %bb.2042:
	v_add_f32_e64 v4, 0x43000000, |v3|
; %bb.2043:
	s_or_b32 exec_lo, exec_lo, s3
                                        ; implicit-def: $vgpr5
.LBB457_2044:
	s_and_not1_saveexec_b32 s2, s2
; %bb.2045:
	v_mov_b32_e32 v4, 0x7f
	v_cmp_lt_u32_e32 vcc_lo, 0x7f800000, v5
	s_delay_alu instid0(VALU_DEP_2)
	v_cndmask_b32_e32 v4, 0x7c, v4, vcc_lo
; %bb.2046:
	s_or_b32 exec_lo, exec_lo, s2
	v_lshrrev_b32_e32 v3, 24, v3
	s_delay_alu instid0(VALU_DEP_1)
	v_and_or_b32 v3, 0x80, v3, v4
	global_store_b8 v[0:1], v3, off
.LBB457_2047:
	s_mov_b32 s2, 0
.LBB457_2048:
	s_delay_alu instid0(SALU_CYCLE_1)
	s_and_not1_b32 vcc_lo, exec_lo, s2
	s_mov_b32 s2, 0
	s_cbranch_vccnz .LBB457_2055
; %bb.2049:
	v_cmp_lt_i16_e32 vcc_lo, 14, v9
	s_mov_b32 s2, -1
	s_cbranch_vccz .LBB457_2053
; %bb.2050:
	v_cmp_eq_u16_e32 vcc_lo, 15, v9
	s_mov_b32 s0, -1
	s_cbranch_vccz .LBB457_2052
; %bb.2051:
	v_bfe_i32 v3, v2, 0, 16
	s_mov_b32 s0, 0
	s_delay_alu instid0(VALU_DEP_1) | instskip(NEXT) | instid1(VALU_DEP_1)
	v_cvt_f32_i32_e32 v3, v3
	v_bfe_u32 v4, v3, 16, 1
	s_delay_alu instid0(VALU_DEP_1)
	v_add3_u32 v3, v3, v4, 0x7fff
	global_store_d16_hi_b16 v[0:1], v3, off
.LBB457_2052:
	s_mov_b32 s2, 0
.LBB457_2053:
	s_delay_alu instid0(SALU_CYCLE_1)
	s_and_b32 vcc_lo, exec_lo, s2
	s_mov_b32 s2, 0
	s_cbranch_vccz .LBB457_2055
; %bb.2054:
	v_cmp_ne_u16_e64 s0, 11, v9
	s_mov_b32 s2, -1
.LBB457_2055:
	s_delay_alu instid0(VALU_DEP_1)
	s_and_b32 vcc_lo, exec_lo, s0
	s_cbranch_vccnz .LBB457_2132
.LBB457_2056:
	s_mov_b32 s0, 0
	s_branch .LBB457_2058
.LBB457_2057:
	s_mov_b32 s0, 0
	s_mov_b32 s2, 0
                                        ; implicit-def: $vgpr0_vgpr1
                                        ; implicit-def: $vgpr9
                                        ; implicit-def: $vgpr2
.LBB457_2058:
	s_and_b32 s3, s0, exec_lo
	s_and_not1_b32 s0, s8, exec_lo
	s_and_b32 s1, s1, exec_lo
	s_and_b32 s26, s2, exec_lo
	s_or_b32 s8, s0, s1
.LBB457_2059:
	s_or_b32 exec_lo, exec_lo, s9
	s_and_saveexec_b32 s0, s8
	s_cbranch_execz .LBB457_2062
; %bb.2060:
	; divergent unreachable
	s_or_b32 exec_lo, exec_lo, s0
	s_and_saveexec_b32 s0, s26
	s_delay_alu instid0(SALU_CYCLE_1)
	s_xor_b32 s0, exec_lo, s0
	s_cbranch_execnz .LBB457_2063
.LBB457_2061:
	s_or_b32 exec_lo, exec_lo, s0
	s_and_saveexec_b32 s0, s3
	s_cbranch_execnz .LBB457_2064
	s_branch .LBB457_2101
.LBB457_2062:
	s_or_b32 exec_lo, exec_lo, s0
	s_and_saveexec_b32 s0, s26
	s_delay_alu instid0(SALU_CYCLE_1)
	s_xor_b32 s0, exec_lo, s0
	s_cbranch_execz .LBB457_2061
.LBB457_2063:
	v_cmp_ne_u16_e32 vcc_lo, 0, v2
	s_waitcnt vmcnt(0)
	v_cndmask_b32_e64 v3, 0, 1, vcc_lo
	global_store_b8 v[0:1], v3, off
	s_or_b32 exec_lo, exec_lo, s0
	s_and_saveexec_b32 s0, s3
	s_cbranch_execz .LBB457_2101
.LBB457_2064:
	s_waitcnt vmcnt(0)
	v_cmp_gt_i16_e32 vcc_lo, 5, v9
	s_mov_b32 s0, -1
	s_cbranch_vccnz .LBB457_2085
; %bb.2065:
	v_cmp_gt_i16_e32 vcc_lo, 8, v9
	s_cbranch_vccnz .LBB457_2075
; %bb.2066:
	v_cmp_gt_i16_e32 vcc_lo, 9, v9
	s_cbranch_vccnz .LBB457_2072
; %bb.2067:
	v_cmp_lt_i16_e32 vcc_lo, 9, v9
	s_cbranch_vccz .LBB457_2069
; %bb.2068:
	v_bfe_i32 v3, v2, 0, 16
	v_mov_b32_e32 v5, 0
	s_mov_b32 s0, 0
	s_delay_alu instid0(VALU_DEP_2) | instskip(NEXT) | instid1(VALU_DEP_2)
	v_cvt_f64_i32_e32 v[3:4], v3
	v_mov_b32_e32 v6, v5
	global_store_b128 v[0:1], v[3:6], off
.LBB457_2069:
	s_and_not1_b32 vcc_lo, exec_lo, s0
	s_cbranch_vccnz .LBB457_2071
; %bb.2070:
	v_bfe_i32 v3, v2, 0, 16
	v_mov_b32_e32 v4, 0
	s_delay_alu instid0(VALU_DEP_2)
	v_cvt_f32_i32_e32 v3, v3
	global_store_b64 v[0:1], v[3:4], off
.LBB457_2071:
	s_mov_b32 s0, 0
.LBB457_2072:
	s_delay_alu instid0(SALU_CYCLE_1)
	s_and_not1_b32 vcc_lo, exec_lo, s0
	s_cbranch_vccnz .LBB457_2074
; %bb.2073:
	v_cvt_f16_i16_e32 v3, v2
	s_delay_alu instid0(VALU_DEP_1)
	v_and_b32_e32 v3, 0xffff, v3
	global_store_b32 v[0:1], v3, off
.LBB457_2074:
	s_mov_b32 s0, 0
.LBB457_2075:
	s_delay_alu instid0(SALU_CYCLE_1)
	s_and_not1_b32 vcc_lo, exec_lo, s0
	s_cbranch_vccnz .LBB457_2084
; %bb.2076:
	v_cmp_gt_i16_e32 vcc_lo, 6, v9
	s_mov_b32 s0, -1
	s_cbranch_vccnz .LBB457_2082
; %bb.2077:
	v_cmp_lt_i16_e32 vcc_lo, 6, v9
	s_cbranch_vccz .LBB457_2079
; %bb.2078:
	v_bfe_i32 v3, v2, 0, 16
	s_mov_b32 s0, 0
	s_delay_alu instid0(VALU_DEP_1)
	v_cvt_f64_i32_e32 v[3:4], v3
	global_store_b64 v[0:1], v[3:4], off
.LBB457_2079:
	s_and_not1_b32 vcc_lo, exec_lo, s0
	s_cbranch_vccnz .LBB457_2081
; %bb.2080:
	v_bfe_i32 v3, v2, 0, 16
	s_delay_alu instid0(VALU_DEP_1)
	v_cvt_f32_i32_e32 v3, v3
	global_store_b32 v[0:1], v3, off
.LBB457_2081:
	s_mov_b32 s0, 0
.LBB457_2082:
	s_delay_alu instid0(SALU_CYCLE_1)
	s_and_not1_b32 vcc_lo, exec_lo, s0
	s_cbranch_vccnz .LBB457_2084
; %bb.2083:
	v_cvt_f16_i16_e32 v3, v2
	global_store_b16 v[0:1], v3, off
.LBB457_2084:
	s_mov_b32 s0, 0
.LBB457_2085:
	s_delay_alu instid0(SALU_CYCLE_1)
	s_and_not1_b32 vcc_lo, exec_lo, s0
	s_cbranch_vccnz .LBB457_2101
; %bb.2086:
	v_cmp_gt_i16_e32 vcc_lo, 2, v9
	s_mov_b32 s0, -1
	s_cbranch_vccnz .LBB457_2096
; %bb.2087:
	v_cmp_gt_i16_e32 vcc_lo, 3, v9
	s_cbranch_vccnz .LBB457_2093
; %bb.2088:
	v_cmp_lt_i16_e32 vcc_lo, 3, v9
	s_cbranch_vccz .LBB457_2090
; %bb.2089:
	v_bfe_i32 v3, v2, 0, 16
	s_mov_b32 s0, 0
	s_delay_alu instid0(VALU_DEP_1)
	v_ashrrev_i32_e32 v4, 31, v3
	global_store_b64 v[0:1], v[3:4], off
.LBB457_2090:
	s_and_not1_b32 vcc_lo, exec_lo, s0
	s_cbranch_vccnz .LBB457_2092
; %bb.2091:
	v_bfe_i32 v3, v2, 0, 16
	global_store_b32 v[0:1], v3, off
.LBB457_2092:
	s_mov_b32 s0, 0
.LBB457_2093:
	s_delay_alu instid0(SALU_CYCLE_1)
	s_and_not1_b32 vcc_lo, exec_lo, s0
	s_cbranch_vccnz .LBB457_2095
; %bb.2094:
	global_store_b16 v[0:1], v2, off
.LBB457_2095:
	s_mov_b32 s0, 0
.LBB457_2096:
	s_delay_alu instid0(SALU_CYCLE_1)
	s_and_not1_b32 vcc_lo, exec_lo, s0
	s_cbranch_vccnz .LBB457_2101
; %bb.2097:
	v_cmp_lt_i16_e32 vcc_lo, 0, v9
	s_mov_b32 s0, -1
	s_cbranch_vccz .LBB457_2099
; %bb.2098:
	s_mov_b32 s0, 0
	global_store_b8 v[0:1], v2, off
.LBB457_2099:
	s_and_not1_b32 vcc_lo, exec_lo, s0
	s_cbranch_vccnz .LBB457_2101
; %bb.2100:
	global_store_b8 v[0:1], v2, off
	s_nop 0
	s_sendmsg sendmsg(MSG_DEALLOC_VGPRS)
	s_endpgm
.LBB457_2101:
	s_nop 0
	s_sendmsg sendmsg(MSG_DEALLOC_VGPRS)
	s_endpgm
.LBB457_2102:
	s_cbranch_execnz .LBB457_2106
; %bb.2103:
	s_or_b32 s1, s1, exec_lo
                                        ; implicit-def: $vgpr4
	s_cbranch_execz .LBB457_1575
	s_branch .LBB457_1576
.LBB457_2104:
	s_or_saveexec_b32 s10, s10
                                        ; implicit-def: $sgpr11
	s_delay_alu instid0(SALU_CYCLE_1)
	s_xor_b32 exec_lo, exec_lo, s10
	s_cbranch_execz .LBB457_1655
.LBB457_2105:
	v_add_f32_e64 v7, 0x46000000, |v5|
	s_and_not1_b32 s7, s7, exec_lo
	s_mov_b32 s11, 0
	s_delay_alu instid0(VALU_DEP_1) | instskip(NEXT) | instid1(VALU_DEP_1)
	v_and_b32_e32 v7, 0xff, v7
	v_cmp_ne_u32_e32 vcc_lo, 0, v7
	s_and_b32 s12, vcc_lo, exec_lo
	s_delay_alu instid0(SALU_CYCLE_1)
	s_or_b32 s7, s7, s12
	s_or_b32 exec_lo, exec_lo, s10
	v_mov_b32_e32 v10, s11
	s_and_saveexec_b32 s10, s7
	s_cbranch_execnz .LBB457_1656
	s_branch .LBB457_1657
.LBB457_2106:
	s_trap 2
	s_sendmsg_rtn_b32 s0, sendmsg(MSG_RTN_GET_DOORBELL)
	s_mov_b32 ttmp2, m0
	s_waitcnt lgkmcnt(0)
	s_and_b32 s0, s0, 0x3ff
	s_delay_alu instid0(SALU_CYCLE_1) | instskip(NEXT) | instid1(SALU_CYCLE_1)
	s_bitset1_b32 s0, 10
	s_mov_b32 m0, s0
	s_sendmsg sendmsg(MSG_INTERRUPT)
	s_mov_b32 m0, ttmp2
.LBB457_2107:                           ; =>This Inner Loop Header: Depth=1
	s_sethalt 5
	s_branch .LBB457_2107
.LBB457_2108:
	s_cbranch_execnz .LBB457_2114
; %bb.2109:
	s_or_b32 s1, s1, exec_lo
	s_cbranch_execz .LBB457_1703
	s_branch .LBB457_1704
.LBB457_2110:
	s_or_saveexec_b32 s7, s7
                                        ; implicit-def: $sgpr10
	s_delay_alu instid0(SALU_CYCLE_1)
	s_xor_b32 exec_lo, exec_lo, s7
	s_cbranch_execz .LBB457_1668
.LBB457_2111:
	v_add_f32_e64 v7, 0x42800000, |v5|
	s_and_not1_b32 s6, s6, exec_lo
	s_mov_b32 s10, 0
	s_delay_alu instid0(VALU_DEP_1) | instskip(NEXT) | instid1(VALU_DEP_1)
	v_and_b32_e32 v7, 0xff, v7
	v_cmp_ne_u32_e32 vcc_lo, 0, v7
	s_and_b32 s11, vcc_lo, exec_lo
	s_delay_alu instid0(SALU_CYCLE_1)
	s_or_b32 s6, s6, s11
	s_or_b32 exec_lo, exec_lo, s7
	v_mov_b32_e32 v10, s10
	s_and_saveexec_b32 s7, s6
	s_cbranch_execnz .LBB457_1669
	s_branch .LBB457_1670
.LBB457_2112:
	s_or_saveexec_b32 s10, s10
                                        ; implicit-def: $sgpr11
	s_delay_alu instid0(SALU_CYCLE_1)
	s_xor_b32 exec_lo, exec_lo, s10
	s_cbranch_execz .LBB457_1773
.LBB457_2113:
	v_add_f32_e64 v8, 0x46000000, |v7|
	s_and_not1_b32 s7, s7, exec_lo
	s_mov_b32 s11, 0
	s_delay_alu instid0(VALU_DEP_1) | instskip(NEXT) | instid1(VALU_DEP_1)
	v_and_b32_e32 v8, 0xff, v8
	v_cmp_ne_u32_e32 vcc_lo, 0, v8
	s_and_b32 s12, vcc_lo, exec_lo
	s_delay_alu instid0(SALU_CYCLE_1)
	s_or_b32 s7, s7, s12
	s_or_b32 exec_lo, exec_lo, s10
	v_mov_b32_e32 v10, s11
	s_and_saveexec_b32 s10, s7
	s_cbranch_execnz .LBB457_1774
	s_branch .LBB457_1775
.LBB457_2114:
	s_trap 2
	s_sendmsg_rtn_b32 s0, sendmsg(MSG_RTN_GET_DOORBELL)
	s_mov_b32 ttmp2, m0
	s_waitcnt lgkmcnt(0)
	s_and_b32 s0, s0, 0x3ff
	s_delay_alu instid0(SALU_CYCLE_1) | instskip(NEXT) | instid1(SALU_CYCLE_1)
	s_bitset1_b32 s0, 10
	s_mov_b32 m0, s0
	s_sendmsg sendmsg(MSG_INTERRUPT)
	s_mov_b32 m0, ttmp2
.LBB457_2115:                           ; =>This Inner Loop Header: Depth=1
	s_sethalt 5
	s_branch .LBB457_2115
.LBB457_2116:
	s_cbranch_execnz .LBB457_2122
; %bb.2117:
	s_or_b32 s1, s1, exec_lo
	s_cbranch_execz .LBB457_1821
	s_branch .LBB457_1822
.LBB457_2118:
	s_or_saveexec_b32 s7, s7
                                        ; implicit-def: $sgpr10
	s_delay_alu instid0(SALU_CYCLE_1)
	s_xor_b32 exec_lo, exec_lo, s7
	s_cbranch_execz .LBB457_1786
.LBB457_2119:
	v_add_f32_e64 v8, 0x42800000, |v7|
	s_and_not1_b32 s6, s6, exec_lo
	s_mov_b32 s10, 0
	s_delay_alu instid0(VALU_DEP_1) | instskip(NEXT) | instid1(VALU_DEP_1)
	v_and_b32_e32 v8, 0xff, v8
	v_cmp_ne_u32_e32 vcc_lo, 0, v8
	s_and_b32 s11, vcc_lo, exec_lo
	s_delay_alu instid0(SALU_CYCLE_1)
	s_or_b32 s6, s6, s11
	s_or_b32 exec_lo, exec_lo, s7
	v_mov_b32_e32 v10, s10
	s_and_saveexec_b32 s7, s6
	s_cbranch_execnz .LBB457_1787
	s_branch .LBB457_1788
.LBB457_2120:
	s_or_saveexec_b32 s10, s10
                                        ; implicit-def: $sgpr11
	s_delay_alu instid0(SALU_CYCLE_1)
	s_xor_b32 exec_lo, exec_lo, s10
	s_cbranch_execz .LBB457_1891
.LBB457_2121:
	v_add_f32_e64 v6, 0x46000000, |v5|
	s_and_not1_b32 s7, s7, exec_lo
	s_mov_b32 s11, 0
	s_delay_alu instid0(VALU_DEP_1) | instskip(NEXT) | instid1(VALU_DEP_1)
	v_and_b32_e32 v6, 0xff, v6
	v_cmp_ne_u32_e32 vcc_lo, 0, v6
	s_and_b32 s12, vcc_lo, exec_lo
	s_delay_alu instid0(SALU_CYCLE_1)
	s_or_b32 s7, s7, s12
	s_or_b32 exec_lo, exec_lo, s10
	v_mov_b32_e32 v7, s11
	s_and_saveexec_b32 s10, s7
	s_cbranch_execnz .LBB457_1892
	s_branch .LBB457_1893
.LBB457_2122:
	s_trap 2
	s_sendmsg_rtn_b32 s0, sendmsg(MSG_RTN_GET_DOORBELL)
	s_mov_b32 ttmp2, m0
	s_waitcnt lgkmcnt(0)
	s_and_b32 s0, s0, 0x3ff
	s_delay_alu instid0(SALU_CYCLE_1) | instskip(NEXT) | instid1(SALU_CYCLE_1)
	s_bitset1_b32 s0, 10
	s_mov_b32 m0, s0
	s_sendmsg sendmsg(MSG_INTERRUPT)
	s_mov_b32 m0, ttmp2
.LBB457_2123:                           ; =>This Inner Loop Header: Depth=1
	s_sethalt 5
	s_branch .LBB457_2123
.LBB457_2124:
	s_cbranch_execnz .LBB457_2130
; %bb.2125:
	s_or_b32 s1, s1, exec_lo
	s_cbranch_execz .LBB457_1939
	s_branch .LBB457_1940
.LBB457_2126:
	s_or_saveexec_b32 s7, s7
                                        ; implicit-def: $sgpr10
	s_delay_alu instid0(SALU_CYCLE_1)
	s_xor_b32 exec_lo, exec_lo, s7
	s_cbranch_execz .LBB457_1904
.LBB457_2127:
	v_add_f32_e64 v6, 0x42800000, |v5|
	s_and_not1_b32 s6, s6, exec_lo
	s_mov_b32 s10, 0
	s_delay_alu instid0(VALU_DEP_1) | instskip(NEXT) | instid1(VALU_DEP_1)
	v_and_b32_e32 v6, 0xff, v6
	v_cmp_ne_u32_e32 vcc_lo, 0, v6
	s_and_b32 s11, vcc_lo, exec_lo
	s_delay_alu instid0(SALU_CYCLE_1)
	s_or_b32 s6, s6, s11
	s_or_b32 exec_lo, exec_lo, s7
	v_mov_b32_e32 v7, s10
	s_and_saveexec_b32 s7, s6
	s_cbranch_execnz .LBB457_1905
	s_branch .LBB457_1906
.LBB457_2128:
	s_or_saveexec_b32 s5, s5
                                        ; implicit-def: $sgpr6
	s_delay_alu instid0(SALU_CYCLE_1)
	s_xor_b32 exec_lo, exec_lo, s5
	s_cbranch_execz .LBB457_2010
.LBB457_2129:
	v_add_f32_e64 v4, 0x46000000, |v3|
	s_and_not1_b32 s4, s4, exec_lo
	s_mov_b32 s6, 0
	s_delay_alu instid0(VALU_DEP_1) | instskip(NEXT) | instid1(VALU_DEP_1)
	v_and_b32_e32 v4, 0xff, v4
	v_cmp_ne_u32_e32 vcc_lo, 0, v4
	s_and_b32 s7, vcc_lo, exec_lo
	s_delay_alu instid0(SALU_CYCLE_1)
	s_or_b32 s4, s4, s7
	s_or_b32 exec_lo, exec_lo, s5
	v_mov_b32_e32 v5, s6
	s_and_saveexec_b32 s5, s4
	s_cbranch_execnz .LBB457_2011
	s_branch .LBB457_2012
.LBB457_2130:
	s_trap 2
	s_sendmsg_rtn_b32 s0, sendmsg(MSG_RTN_GET_DOORBELL)
	s_mov_b32 ttmp2, m0
	s_waitcnt lgkmcnt(0)
	s_and_b32 s0, s0, 0x3ff
	s_delay_alu instid0(SALU_CYCLE_1) | instskip(NEXT) | instid1(SALU_CYCLE_1)
	s_bitset1_b32 s0, 10
	s_mov_b32 m0, s0
	s_sendmsg sendmsg(MSG_INTERRUPT)
	s_mov_b32 m0, ttmp2
.LBB457_2131:                           ; =>This Inner Loop Header: Depth=1
	s_sethalt 5
	s_branch .LBB457_2131
.LBB457_2132:
	s_cbranch_execnz .LBB457_2136
; %bb.2133:
	s_mov_b32 s2, 0
	s_or_b32 s1, s1, exec_lo
	s_branch .LBB457_2056
.LBB457_2134:
	s_or_saveexec_b32 s4, s4
                                        ; implicit-def: $sgpr5
	s_delay_alu instid0(SALU_CYCLE_1)
	s_xor_b32 exec_lo, exec_lo, s4
	s_cbranch_execz .LBB457_2022
.LBB457_2135:
	v_add_f32_e64 v4, 0x42800000, |v3|
	s_and_not1_b32 s3, s3, exec_lo
	s_mov_b32 s5, 0
	s_delay_alu instid0(VALU_DEP_1) | instskip(NEXT) | instid1(VALU_DEP_1)
	v_and_b32_e32 v4, 0xff, v4
	v_cmp_ne_u32_e32 vcc_lo, 0, v4
	s_and_b32 s6, vcc_lo, exec_lo
	s_delay_alu instid0(SALU_CYCLE_1)
	s_or_b32 s3, s3, s6
	s_or_b32 exec_lo, exec_lo, s4
	v_mov_b32_e32 v5, s5
	s_and_saveexec_b32 s4, s3
	s_cbranch_execnz .LBB457_2023
	s_branch .LBB457_2024
.LBB457_2136:
	s_trap 2
	s_sendmsg_rtn_b32 s0, sendmsg(MSG_RTN_GET_DOORBELL)
	s_mov_b32 ttmp2, m0
	s_waitcnt lgkmcnt(0)
	s_and_b32 s0, s0, 0x3ff
	s_delay_alu instid0(SALU_CYCLE_1) | instskip(NEXT) | instid1(SALU_CYCLE_1)
	s_bitset1_b32 s0, 10
	s_mov_b32 m0, s0
	s_sendmsg sendmsg(MSG_INTERRUPT)
	s_mov_b32 m0, ttmp2
.LBB457_2137:                           ; =>This Inner Loop Header: Depth=1
	s_sethalt 5
	s_branch .LBB457_2137
	.section	.rodata,"a",@progbits
	.p2align	6, 0x0
	.amdhsa_kernel _ZN2at6native32elementwise_kernel_manual_unrollILi128ELi4EZNS0_15gpu_kernel_implIZZZNS0_21clamp_max_kernel_cudaERNS_18TensorIteratorBaseERKN3c106ScalarEENKUlvE_clEvENKUlvE3_clEvEUlsE_EEvS4_RKT_EUlibE0_EEviT1_
		.amdhsa_group_segment_fixed_size 0
		.amdhsa_private_segment_fixed_size 0
		.amdhsa_kernarg_size 360
		.amdhsa_user_sgpr_count 15
		.amdhsa_user_sgpr_dispatch_ptr 0
		.amdhsa_user_sgpr_queue_ptr 0
		.amdhsa_user_sgpr_kernarg_segment_ptr 1
		.amdhsa_user_sgpr_dispatch_id 0
		.amdhsa_user_sgpr_private_segment_size 0
		.amdhsa_wavefront_size32 1
		.amdhsa_uses_dynamic_stack 0
		.amdhsa_enable_private_segment 0
		.amdhsa_system_sgpr_workgroup_id_x 1
		.amdhsa_system_sgpr_workgroup_id_y 0
		.amdhsa_system_sgpr_workgroup_id_z 0
		.amdhsa_system_sgpr_workgroup_info 0
		.amdhsa_system_vgpr_workitem_id 0
		.amdhsa_next_free_vgpr 18
		.amdhsa_next_free_sgpr 68
		.amdhsa_reserve_vcc 1
		.amdhsa_float_round_mode_32 0
		.amdhsa_float_round_mode_16_64 0
		.amdhsa_float_denorm_mode_32 3
		.amdhsa_float_denorm_mode_16_64 3
		.amdhsa_dx10_clamp 1
		.amdhsa_ieee_mode 1
		.amdhsa_fp16_overflow 0
		.amdhsa_workgroup_processor_mode 1
		.amdhsa_memory_ordered 1
		.amdhsa_forward_progress 0
		.amdhsa_shared_vgpr_count 0
		.amdhsa_exception_fp_ieee_invalid_op 0
		.amdhsa_exception_fp_denorm_src 0
		.amdhsa_exception_fp_ieee_div_zero 0
		.amdhsa_exception_fp_ieee_overflow 0
		.amdhsa_exception_fp_ieee_underflow 0
		.amdhsa_exception_fp_ieee_inexact 0
		.amdhsa_exception_int_div_zero 0
	.end_amdhsa_kernel
	.section	.text._ZN2at6native32elementwise_kernel_manual_unrollILi128ELi4EZNS0_15gpu_kernel_implIZZZNS0_21clamp_max_kernel_cudaERNS_18TensorIteratorBaseERKN3c106ScalarEENKUlvE_clEvENKUlvE3_clEvEUlsE_EEvS4_RKT_EUlibE0_EEviT1_,"axG",@progbits,_ZN2at6native32elementwise_kernel_manual_unrollILi128ELi4EZNS0_15gpu_kernel_implIZZZNS0_21clamp_max_kernel_cudaERNS_18TensorIteratorBaseERKN3c106ScalarEENKUlvE_clEvENKUlvE3_clEvEUlsE_EEvS4_RKT_EUlibE0_EEviT1_,comdat
.Lfunc_end457:
	.size	_ZN2at6native32elementwise_kernel_manual_unrollILi128ELi4EZNS0_15gpu_kernel_implIZZZNS0_21clamp_max_kernel_cudaERNS_18TensorIteratorBaseERKN3c106ScalarEENKUlvE_clEvENKUlvE3_clEvEUlsE_EEvS4_RKT_EUlibE0_EEviT1_, .Lfunc_end457-_ZN2at6native32elementwise_kernel_manual_unrollILi128ELi4EZNS0_15gpu_kernel_implIZZZNS0_21clamp_max_kernel_cudaERNS_18TensorIteratorBaseERKN3c106ScalarEENKUlvE_clEvENKUlvE3_clEvEUlsE_EEvS4_RKT_EUlibE0_EEviT1_
                                        ; -- End function
	.section	.AMDGPU.csdata,"",@progbits
; Kernel info:
; codeLenInByte = 42160
; NumSgprs: 70
; NumVgprs: 18
; ScratchSize: 0
; MemoryBound: 1
; FloatMode: 240
; IeeeMode: 1
; LDSByteSize: 0 bytes/workgroup (compile time only)
; SGPRBlocks: 8
; VGPRBlocks: 2
; NumSGPRsForWavesPerEU: 70
; NumVGPRsForWavesPerEU: 18
; Occupancy: 16
; WaveLimiterHint : 1
; COMPUTE_PGM_RSRC2:SCRATCH_EN: 0
; COMPUTE_PGM_RSRC2:USER_SGPR: 15
; COMPUTE_PGM_RSRC2:TRAP_HANDLER: 0
; COMPUTE_PGM_RSRC2:TGID_X_EN: 1
; COMPUTE_PGM_RSRC2:TGID_Y_EN: 0
; COMPUTE_PGM_RSRC2:TGID_Z_EN: 0
; COMPUTE_PGM_RSRC2:TIDIG_COMP_CNT: 0
	.section	.text._ZN2at6native29vectorized_elementwise_kernelILi16EZZZNS0_21clamp_max_kernel_cudaERNS_18TensorIteratorBaseERKN3c106ScalarEENKUlvE_clEvENKUlvE4_clEvEUldE_St5arrayIPcLm2EEEEviT0_T1_,"axG",@progbits,_ZN2at6native29vectorized_elementwise_kernelILi16EZZZNS0_21clamp_max_kernel_cudaERNS_18TensorIteratorBaseERKN3c106ScalarEENKUlvE_clEvENKUlvE4_clEvEUldE_St5arrayIPcLm2EEEEviT0_T1_,comdat
	.globl	_ZN2at6native29vectorized_elementwise_kernelILi16EZZZNS0_21clamp_max_kernel_cudaERNS_18TensorIteratorBaseERKN3c106ScalarEENKUlvE_clEvENKUlvE4_clEvEUldE_St5arrayIPcLm2EEEEviT0_T1_ ; -- Begin function _ZN2at6native29vectorized_elementwise_kernelILi16EZZZNS0_21clamp_max_kernel_cudaERNS_18TensorIteratorBaseERKN3c106ScalarEENKUlvE_clEvENKUlvE4_clEvEUldE_St5arrayIPcLm2EEEEviT0_T1_
	.p2align	8
	.type	_ZN2at6native29vectorized_elementwise_kernelILi16EZZZNS0_21clamp_max_kernel_cudaERNS_18TensorIteratorBaseERKN3c106ScalarEENKUlvE_clEvENKUlvE4_clEvEUldE_St5arrayIPcLm2EEEEviT0_T1_,@function
_ZN2at6native29vectorized_elementwise_kernelILi16EZZZNS0_21clamp_max_kernel_cudaERNS_18TensorIteratorBaseERKN3c106ScalarEENKUlvE_clEvENKUlvE4_clEvEUldE_St5arrayIPcLm2EEEEviT0_T1_: ; @_ZN2at6native29vectorized_elementwise_kernelILi16EZZZNS0_21clamp_max_kernel_cudaERNS_18TensorIteratorBaseERKN3c106ScalarEENKUlvE_clEvENKUlvE4_clEvEUldE_St5arrayIPcLm2EEEEviT0_T1_
; %bb.0:
	s_clause 0x2
	s_load_b128 s[4:7], s[0:1], 0x8
	s_load_b32 s2, s[0:1], 0x0
	s_load_b64 s[8:9], s[0:1], 0x18
	s_mov_b32 s0, -1
	s_waitcnt lgkmcnt(0)
	v_max_f64 v[1:2], s[4:5], s[4:5]
	s_lshl_b32 s4, s15, 10
	s_delay_alu instid0(SALU_CYCLE_1) | instskip(NEXT) | instid1(SALU_CYCLE_1)
	s_sub_i32 s10, s2, s4
	s_cmpk_gt_i32 s10, 0x3ff
	s_cbranch_scc0 .LBB458_2
; %bb.1:
	s_ashr_i32 s5, s4, 31
	v_lshlrev_b32_e32 v19, 5, v0
	s_lshl_b64 s[12:13], s[4:5], 3
	s_delay_alu instid0(SALU_CYCLE_1)
	s_add_u32 s0, s8, s12
	s_addc_u32 s1, s9, s13
	s_clause 0x1
	global_load_b128 v[3:6], v19, s[0:1]
	global_load_b128 v[7:10], v19, s[0:1] offset:16
	s_waitcnt vmcnt(1)
	v_max_f64 v[11:12], v[3:4], v[3:4]
	v_max_f64 v[13:14], v[5:6], v[5:6]
	s_waitcnt vmcnt(0)
	v_max_f64 v[15:16], v[7:8], v[7:8]
	v_max_f64 v[17:18], v[9:10], v[9:10]
	v_cmp_u_f64_e32 vcc_lo, v[3:4], v[3:4]
	v_cmp_u_f64_e64 s0, v[5:6], v[5:6]
	v_cmp_u_f64_e64 s1, v[7:8], v[7:8]
	;; [unrolled: 1-line block ×3, first 2 shown]
	v_min_f64 v[11:12], v[11:12], v[1:2]
	v_min_f64 v[13:14], v[13:14], v[1:2]
	;; [unrolled: 1-line block ×4, first 2 shown]
	s_delay_alu instid0(VALU_DEP_4) | instskip(NEXT) | instid1(VALU_DEP_4)
	v_dual_cndmask_b32 v4, v12, v4 :: v_dual_cndmask_b32 v3, v11, v3
	v_cndmask_b32_e64 v6, v14, v6, s0
	v_cndmask_b32_e64 v5, v13, v5, s0
	;; [unrolled: 1-line block ×6, first 2 shown]
	s_add_u32 s2, s6, s12
	s_addc_u32 s3, s7, s13
	s_mov_b32 s0, 0
	s_clause 0x1
	global_store_b128 v19, v[3:6], s[2:3]
	global_store_b128 v19, v[7:10], s[2:3] offset:16
.LBB458_2:
	s_and_not1_b32 vcc_lo, exec_lo, s0
	s_cbranch_vccnz .LBB458_16
; %bb.3:
	v_dual_mov_b32 v5, 0 :: v_dual_mov_b32 v4, v0
	v_mov_b32_e32 v6, 0
	v_cmp_gt_i32_e32 vcc_lo, s10, v0
	v_or_b32_e32 v3, s4, v0
	v_or_b32_e32 v15, 0x100, v0
	s_delay_alu instid0(VALU_DEP_4)
	v_dual_mov_b32 v8, v6 :: v_dual_mov_b32 v7, v5
	s_and_saveexec_b32 s1, vcc_lo
	s_cbranch_execz .LBB458_5
; %bb.4:
	v_mov_b32_e32 v4, 0
	s_delay_alu instid0(VALU_DEP_1) | instskip(SKIP_1) | instid1(VALU_DEP_2)
	v_lshlrev_b64 v[7:8], 3, v[3:4]
	v_or_b32_e32 v4, 0x100, v0
	v_add_co_u32 v7, s0, s8, v7
	s_delay_alu instid0(VALU_DEP_1)
	v_add_co_ci_u32_e64 v8, s0, s9, v8, s0
	global_load_b64 v[7:8], v[7:8], off
.LBB458_5:
	s_or_b32 exec_lo, exec_lo, s1
	s_delay_alu instid0(SALU_CYCLE_1)
	s_mov_b32 s1, exec_lo
	v_cmpx_gt_i32_e64 s10, v4
	s_cbranch_execz .LBB458_7
; %bb.6:
	v_dual_mov_b32 v6, 0 :: v_dual_add_nc_u32 v5, s4, v4
	v_add_nc_u32_e32 v4, 0x100, v4
	s_delay_alu instid0(VALU_DEP_2) | instskip(NEXT) | instid1(VALU_DEP_1)
	v_lshlrev_b64 v[5:6], 3, v[5:6]
	v_add_co_u32 v5, s0, s8, v5
	s_delay_alu instid0(VALU_DEP_1)
	v_add_co_ci_u32_e64 v6, s0, s9, v6, s0
	global_load_b64 v[5:6], v[5:6], off
.LBB458_7:
	s_or_b32 exec_lo, exec_lo, s1
	v_mov_b32_e32 v9, 0
	v_mov_b32_e32 v10, 0
	s_mov_b32 s1, exec_lo
	s_delay_alu instid0(VALU_DEP_1)
	v_dual_mov_b32 v12, v10 :: v_dual_mov_b32 v11, v9
	v_cmpx_gt_i32_e64 s10, v4
	s_cbranch_execz .LBB458_9
; %bb.8:
	v_dual_mov_b32 v12, 0 :: v_dual_add_nc_u32 v11, s4, v4
	v_add_nc_u32_e32 v4, 0x100, v4
	s_delay_alu instid0(VALU_DEP_2) | instskip(NEXT) | instid1(VALU_DEP_1)
	v_lshlrev_b64 v[11:12], 3, v[11:12]
	v_add_co_u32 v11, s0, s8, v11
	s_delay_alu instid0(VALU_DEP_1)
	v_add_co_ci_u32_e64 v12, s0, s9, v12, s0
	global_load_b64 v[11:12], v[11:12], off
.LBB458_9:
	s_or_b32 exec_lo, exec_lo, s1
	s_delay_alu instid0(SALU_CYCLE_1)
	s_mov_b32 s1, exec_lo
	v_cmpx_gt_i32_e64 s10, v4
	s_cbranch_execz .LBB458_11
; %bb.10:
	v_dual_mov_b32 v10, 0 :: v_dual_add_nc_u32 v9, s4, v4
	s_delay_alu instid0(VALU_DEP_1) | instskip(NEXT) | instid1(VALU_DEP_1)
	v_lshlrev_b64 v[9:10], 3, v[9:10]
	v_add_co_u32 v9, s0, s8, v9
	s_delay_alu instid0(VALU_DEP_1)
	v_add_co_ci_u32_e64 v10, s0, s9, v10, s0
	global_load_b64 v[9:10], v[9:10], off
.LBB458_11:
	s_or_b32 exec_lo, exec_lo, s1
	s_waitcnt vmcnt(0)
	v_max_f64 v[13:14], v[7:8], v[7:8]
	v_max_f64 v[16:17], v[5:6], v[5:6]
	;; [unrolled: 1-line block ×4, first 2 shown]
	v_cmp_u_f64_e64 s0, v[7:8], v[7:8]
	v_cmp_u_f64_e64 s1, v[5:6], v[5:6]
	;; [unrolled: 1-line block ×4, first 2 shown]
	v_min_f64 v[13:14], v[13:14], v[1:2]
	v_min_f64 v[16:17], v[16:17], v[1:2]
	;; [unrolled: 1-line block ×4, first 2 shown]
	s_delay_alu instid0(VALU_DEP_4)
	v_cndmask_b32_e64 v14, v14, v8, s0
	v_cndmask_b32_e64 v13, v13, v7, s0
	v_cndmask_b32_e64 v8, v17, v6, s1
	v_cndmask_b32_e64 v7, v16, v5, s1
	v_cndmask_b32_e64 v6, v19, v12, s2
	v_cndmask_b32_e64 v5, v18, v11, s2
	v_cndmask_b32_e64 v2, v2, v10, s3
	v_cndmask_b32_e64 v1, v1, v9, s3
	s_and_saveexec_b32 s0, vcc_lo
	s_cbranch_execnz .LBB458_17
; %bb.12:
	s_or_b32 exec_lo, exec_lo, s0
	s_delay_alu instid0(SALU_CYCLE_1)
	s_mov_b32 s0, exec_lo
	v_cmpx_gt_i32_e64 s10, v0
	s_cbranch_execnz .LBB458_18
.LBB458_13:
	s_or_b32 exec_lo, exec_lo, s0
	s_delay_alu instid0(SALU_CYCLE_1)
	s_mov_b32 s0, exec_lo
	v_cmpx_gt_i32_e64 s10, v0
	s_cbranch_execnz .LBB458_19
.LBB458_14:
	s_or_b32 exec_lo, exec_lo, s0
	s_delay_alu instid0(SALU_CYCLE_1)
	s_mov_b32 s0, exec_lo
	v_cmpx_gt_i32_e64 s10, v0
	s_cbranch_execz .LBB458_16
.LBB458_15:
	v_dual_mov_b32 v4, 0 :: v_dual_add_nc_u32 v3, s4, v0
	s_delay_alu instid0(VALU_DEP_1) | instskip(NEXT) | instid1(VALU_DEP_1)
	v_lshlrev_b64 v[3:4], 3, v[3:4]
	v_add_co_u32 v3, vcc_lo, s6, v3
	s_delay_alu instid0(VALU_DEP_2)
	v_add_co_ci_u32_e32 v4, vcc_lo, s7, v4, vcc_lo
	global_store_b64 v[3:4], v[1:2], off
.LBB458_16:
	s_nop 0
	s_sendmsg sendmsg(MSG_DEALLOC_VGPRS)
	s_endpgm
.LBB458_17:
	v_mov_b32_e32 v4, 0
	v_mov_b32_e32 v0, v15
	s_delay_alu instid0(VALU_DEP_2) | instskip(NEXT) | instid1(VALU_DEP_1)
	v_lshlrev_b64 v[3:4], 3, v[3:4]
	v_add_co_u32 v3, vcc_lo, s6, v3
	s_delay_alu instid0(VALU_DEP_2) | instskip(SKIP_2) | instid1(SALU_CYCLE_1)
	v_add_co_ci_u32_e32 v4, vcc_lo, s7, v4, vcc_lo
	global_store_b64 v[3:4], v[13:14], off
	s_or_b32 exec_lo, exec_lo, s0
	s_mov_b32 s0, exec_lo
	v_cmpx_gt_i32_e64 s10, v0
	s_cbranch_execz .LBB458_13
.LBB458_18:
	v_dual_mov_b32 v4, 0 :: v_dual_add_nc_u32 v3, s4, v0
	v_add_nc_u32_e32 v0, 0x100, v0
	s_delay_alu instid0(VALU_DEP_2) | instskip(NEXT) | instid1(VALU_DEP_1)
	v_lshlrev_b64 v[3:4], 3, v[3:4]
	v_add_co_u32 v3, vcc_lo, s6, v3
	s_delay_alu instid0(VALU_DEP_2) | instskip(SKIP_2) | instid1(SALU_CYCLE_1)
	v_add_co_ci_u32_e32 v4, vcc_lo, s7, v4, vcc_lo
	global_store_b64 v[3:4], v[7:8], off
	s_or_b32 exec_lo, exec_lo, s0
	s_mov_b32 s0, exec_lo
	v_cmpx_gt_i32_e64 s10, v0
	s_cbranch_execz .LBB458_14
.LBB458_19:
	v_dual_mov_b32 v4, 0 :: v_dual_add_nc_u32 v3, s4, v0
	v_add_nc_u32_e32 v0, 0x100, v0
	s_delay_alu instid0(VALU_DEP_2) | instskip(NEXT) | instid1(VALU_DEP_1)
	v_lshlrev_b64 v[3:4], 3, v[3:4]
	v_add_co_u32 v3, vcc_lo, s6, v3
	s_delay_alu instid0(VALU_DEP_2) | instskip(SKIP_2) | instid1(SALU_CYCLE_1)
	v_add_co_ci_u32_e32 v4, vcc_lo, s7, v4, vcc_lo
	global_store_b64 v[3:4], v[5:6], off
	s_or_b32 exec_lo, exec_lo, s0
	s_mov_b32 s0, exec_lo
	v_cmpx_gt_i32_e64 s10, v0
	s_cbranch_execnz .LBB458_15
	s_branch .LBB458_16
	.section	.rodata,"a",@progbits
	.p2align	6, 0x0
	.amdhsa_kernel _ZN2at6native29vectorized_elementwise_kernelILi16EZZZNS0_21clamp_max_kernel_cudaERNS_18TensorIteratorBaseERKN3c106ScalarEENKUlvE_clEvENKUlvE4_clEvEUldE_St5arrayIPcLm2EEEEviT0_T1_
		.amdhsa_group_segment_fixed_size 0
		.amdhsa_private_segment_fixed_size 0
		.amdhsa_kernarg_size 32
		.amdhsa_user_sgpr_count 15
		.amdhsa_user_sgpr_dispatch_ptr 0
		.amdhsa_user_sgpr_queue_ptr 0
		.amdhsa_user_sgpr_kernarg_segment_ptr 1
		.amdhsa_user_sgpr_dispatch_id 0
		.amdhsa_user_sgpr_private_segment_size 0
		.amdhsa_wavefront_size32 1
		.amdhsa_uses_dynamic_stack 0
		.amdhsa_enable_private_segment 0
		.amdhsa_system_sgpr_workgroup_id_x 1
		.amdhsa_system_sgpr_workgroup_id_y 0
		.amdhsa_system_sgpr_workgroup_id_z 0
		.amdhsa_system_sgpr_workgroup_info 0
		.amdhsa_system_vgpr_workitem_id 0
		.amdhsa_next_free_vgpr 22
		.amdhsa_next_free_sgpr 16
		.amdhsa_reserve_vcc 1
		.amdhsa_float_round_mode_32 0
		.amdhsa_float_round_mode_16_64 0
		.amdhsa_float_denorm_mode_32 3
		.amdhsa_float_denorm_mode_16_64 3
		.amdhsa_dx10_clamp 1
		.amdhsa_ieee_mode 1
		.amdhsa_fp16_overflow 0
		.amdhsa_workgroup_processor_mode 1
		.amdhsa_memory_ordered 1
		.amdhsa_forward_progress 0
		.amdhsa_shared_vgpr_count 0
		.amdhsa_exception_fp_ieee_invalid_op 0
		.amdhsa_exception_fp_denorm_src 0
		.amdhsa_exception_fp_ieee_div_zero 0
		.amdhsa_exception_fp_ieee_overflow 0
		.amdhsa_exception_fp_ieee_underflow 0
		.amdhsa_exception_fp_ieee_inexact 0
		.amdhsa_exception_int_div_zero 0
	.end_amdhsa_kernel
	.section	.text._ZN2at6native29vectorized_elementwise_kernelILi16EZZZNS0_21clamp_max_kernel_cudaERNS_18TensorIteratorBaseERKN3c106ScalarEENKUlvE_clEvENKUlvE4_clEvEUldE_St5arrayIPcLm2EEEEviT0_T1_,"axG",@progbits,_ZN2at6native29vectorized_elementwise_kernelILi16EZZZNS0_21clamp_max_kernel_cudaERNS_18TensorIteratorBaseERKN3c106ScalarEENKUlvE_clEvENKUlvE4_clEvEUldE_St5arrayIPcLm2EEEEviT0_T1_,comdat
.Lfunc_end458:
	.size	_ZN2at6native29vectorized_elementwise_kernelILi16EZZZNS0_21clamp_max_kernel_cudaERNS_18TensorIteratorBaseERKN3c106ScalarEENKUlvE_clEvENKUlvE4_clEvEUldE_St5arrayIPcLm2EEEEviT0_T1_, .Lfunc_end458-_ZN2at6native29vectorized_elementwise_kernelILi16EZZZNS0_21clamp_max_kernel_cudaERNS_18TensorIteratorBaseERKN3c106ScalarEENKUlvE_clEvENKUlvE4_clEvEUldE_St5arrayIPcLm2EEEEviT0_T1_
                                        ; -- End function
	.section	.AMDGPU.csdata,"",@progbits
; Kernel info:
; codeLenInByte = 1176
; NumSgprs: 18
; NumVgprs: 22
; ScratchSize: 0
; MemoryBound: 0
; FloatMode: 240
; IeeeMode: 1
; LDSByteSize: 0 bytes/workgroup (compile time only)
; SGPRBlocks: 2
; VGPRBlocks: 2
; NumSGPRsForWavesPerEU: 18
; NumVGPRsForWavesPerEU: 22
; Occupancy: 16
; WaveLimiterHint : 0
; COMPUTE_PGM_RSRC2:SCRATCH_EN: 0
; COMPUTE_PGM_RSRC2:USER_SGPR: 15
; COMPUTE_PGM_RSRC2:TRAP_HANDLER: 0
; COMPUTE_PGM_RSRC2:TGID_X_EN: 1
; COMPUTE_PGM_RSRC2:TGID_Y_EN: 0
; COMPUTE_PGM_RSRC2:TGID_Z_EN: 0
; COMPUTE_PGM_RSRC2:TIDIG_COMP_CNT: 0
	.section	.text._ZN2at6native29vectorized_elementwise_kernelILi8EZZZNS0_21clamp_max_kernel_cudaERNS_18TensorIteratorBaseERKN3c106ScalarEENKUlvE_clEvENKUlvE4_clEvEUldE_St5arrayIPcLm2EEEEviT0_T1_,"axG",@progbits,_ZN2at6native29vectorized_elementwise_kernelILi8EZZZNS0_21clamp_max_kernel_cudaERNS_18TensorIteratorBaseERKN3c106ScalarEENKUlvE_clEvENKUlvE4_clEvEUldE_St5arrayIPcLm2EEEEviT0_T1_,comdat
	.globl	_ZN2at6native29vectorized_elementwise_kernelILi8EZZZNS0_21clamp_max_kernel_cudaERNS_18TensorIteratorBaseERKN3c106ScalarEENKUlvE_clEvENKUlvE4_clEvEUldE_St5arrayIPcLm2EEEEviT0_T1_ ; -- Begin function _ZN2at6native29vectorized_elementwise_kernelILi8EZZZNS0_21clamp_max_kernel_cudaERNS_18TensorIteratorBaseERKN3c106ScalarEENKUlvE_clEvENKUlvE4_clEvEUldE_St5arrayIPcLm2EEEEviT0_T1_
	.p2align	8
	.type	_ZN2at6native29vectorized_elementwise_kernelILi8EZZZNS0_21clamp_max_kernel_cudaERNS_18TensorIteratorBaseERKN3c106ScalarEENKUlvE_clEvENKUlvE4_clEvEUldE_St5arrayIPcLm2EEEEviT0_T1_,@function
_ZN2at6native29vectorized_elementwise_kernelILi8EZZZNS0_21clamp_max_kernel_cudaERNS_18TensorIteratorBaseERKN3c106ScalarEENKUlvE_clEvENKUlvE4_clEvEUldE_St5arrayIPcLm2EEEEviT0_T1_: ; @_ZN2at6native29vectorized_elementwise_kernelILi8EZZZNS0_21clamp_max_kernel_cudaERNS_18TensorIteratorBaseERKN3c106ScalarEENKUlvE_clEvENKUlvE4_clEvEUldE_St5arrayIPcLm2EEEEviT0_T1_
; %bb.0:
	s_clause 0x2
	s_load_b128 s[4:7], s[0:1], 0x8
	s_load_b32 s2, s[0:1], 0x0
	s_load_b64 s[8:9], s[0:1], 0x18
	s_mov_b32 s0, -1
	s_waitcnt lgkmcnt(0)
	v_max_f64 v[1:2], s[4:5], s[4:5]
	s_lshl_b32 s4, s15, 10
	s_delay_alu instid0(SALU_CYCLE_1) | instskip(NEXT) | instid1(SALU_CYCLE_1)
	s_sub_i32 s10, s2, s4
	s_cmpk_gt_i32 s10, 0x3ff
	s_cbranch_scc0 .LBB459_2
; %bb.1:
	s_ashr_i32 s5, s4, 31
	v_lshlrev_b32_e32 v19, 5, v0
	s_lshl_b64 s[12:13], s[4:5], 3
	s_delay_alu instid0(SALU_CYCLE_1)
	s_add_u32 s0, s8, s12
	s_addc_u32 s1, s9, s13
	s_clause 0x1
	global_load_b128 v[3:6], v19, s[0:1]
	global_load_b128 v[7:10], v19, s[0:1] offset:16
	s_waitcnt vmcnt(1)
	v_max_f64 v[11:12], v[3:4], v[3:4]
	v_max_f64 v[13:14], v[5:6], v[5:6]
	s_waitcnt vmcnt(0)
	v_max_f64 v[15:16], v[7:8], v[7:8]
	v_max_f64 v[17:18], v[9:10], v[9:10]
	v_cmp_u_f64_e32 vcc_lo, v[3:4], v[3:4]
	v_cmp_u_f64_e64 s0, v[5:6], v[5:6]
	v_cmp_u_f64_e64 s1, v[7:8], v[7:8]
	;; [unrolled: 1-line block ×3, first 2 shown]
	v_min_f64 v[11:12], v[11:12], v[1:2]
	v_min_f64 v[13:14], v[13:14], v[1:2]
	;; [unrolled: 1-line block ×4, first 2 shown]
	s_delay_alu instid0(VALU_DEP_4) | instskip(NEXT) | instid1(VALU_DEP_4)
	v_dual_cndmask_b32 v4, v12, v4 :: v_dual_cndmask_b32 v3, v11, v3
	v_cndmask_b32_e64 v6, v14, v6, s0
	v_cndmask_b32_e64 v5, v13, v5, s0
	;; [unrolled: 1-line block ×6, first 2 shown]
	s_add_u32 s2, s6, s12
	s_addc_u32 s3, s7, s13
	s_mov_b32 s0, 0
	s_clause 0x1
	global_store_b128 v19, v[3:6], s[2:3]
	global_store_b128 v19, v[7:10], s[2:3] offset:16
.LBB459_2:
	s_and_not1_b32 vcc_lo, exec_lo, s0
	s_cbranch_vccnz .LBB459_16
; %bb.3:
	v_dual_mov_b32 v5, 0 :: v_dual_mov_b32 v4, v0
	v_mov_b32_e32 v6, 0
	v_cmp_gt_i32_e32 vcc_lo, s10, v0
	v_or_b32_e32 v3, s4, v0
	v_or_b32_e32 v15, 0x100, v0
	s_delay_alu instid0(VALU_DEP_4)
	v_dual_mov_b32 v8, v6 :: v_dual_mov_b32 v7, v5
	s_and_saveexec_b32 s1, vcc_lo
	s_cbranch_execz .LBB459_5
; %bb.4:
	v_mov_b32_e32 v4, 0
	s_delay_alu instid0(VALU_DEP_1) | instskip(SKIP_1) | instid1(VALU_DEP_2)
	v_lshlrev_b64 v[7:8], 3, v[3:4]
	v_or_b32_e32 v4, 0x100, v0
	v_add_co_u32 v7, s0, s8, v7
	s_delay_alu instid0(VALU_DEP_1)
	v_add_co_ci_u32_e64 v8, s0, s9, v8, s0
	global_load_b64 v[7:8], v[7:8], off
.LBB459_5:
	s_or_b32 exec_lo, exec_lo, s1
	s_delay_alu instid0(SALU_CYCLE_1)
	s_mov_b32 s1, exec_lo
	v_cmpx_gt_i32_e64 s10, v4
	s_cbranch_execz .LBB459_7
; %bb.6:
	v_dual_mov_b32 v6, 0 :: v_dual_add_nc_u32 v5, s4, v4
	v_add_nc_u32_e32 v4, 0x100, v4
	s_delay_alu instid0(VALU_DEP_2) | instskip(NEXT) | instid1(VALU_DEP_1)
	v_lshlrev_b64 v[5:6], 3, v[5:6]
	v_add_co_u32 v5, s0, s8, v5
	s_delay_alu instid0(VALU_DEP_1)
	v_add_co_ci_u32_e64 v6, s0, s9, v6, s0
	global_load_b64 v[5:6], v[5:6], off
.LBB459_7:
	s_or_b32 exec_lo, exec_lo, s1
	v_mov_b32_e32 v9, 0
	v_mov_b32_e32 v10, 0
	s_mov_b32 s1, exec_lo
	s_delay_alu instid0(VALU_DEP_1)
	v_dual_mov_b32 v12, v10 :: v_dual_mov_b32 v11, v9
	v_cmpx_gt_i32_e64 s10, v4
	s_cbranch_execz .LBB459_9
; %bb.8:
	v_dual_mov_b32 v12, 0 :: v_dual_add_nc_u32 v11, s4, v4
	v_add_nc_u32_e32 v4, 0x100, v4
	s_delay_alu instid0(VALU_DEP_2) | instskip(NEXT) | instid1(VALU_DEP_1)
	v_lshlrev_b64 v[11:12], 3, v[11:12]
	v_add_co_u32 v11, s0, s8, v11
	s_delay_alu instid0(VALU_DEP_1)
	v_add_co_ci_u32_e64 v12, s0, s9, v12, s0
	global_load_b64 v[11:12], v[11:12], off
.LBB459_9:
	s_or_b32 exec_lo, exec_lo, s1
	s_delay_alu instid0(SALU_CYCLE_1)
	s_mov_b32 s1, exec_lo
	v_cmpx_gt_i32_e64 s10, v4
	s_cbranch_execz .LBB459_11
; %bb.10:
	v_dual_mov_b32 v10, 0 :: v_dual_add_nc_u32 v9, s4, v4
	s_delay_alu instid0(VALU_DEP_1) | instskip(NEXT) | instid1(VALU_DEP_1)
	v_lshlrev_b64 v[9:10], 3, v[9:10]
	v_add_co_u32 v9, s0, s8, v9
	s_delay_alu instid0(VALU_DEP_1)
	v_add_co_ci_u32_e64 v10, s0, s9, v10, s0
	global_load_b64 v[9:10], v[9:10], off
.LBB459_11:
	s_or_b32 exec_lo, exec_lo, s1
	s_waitcnt vmcnt(0)
	v_max_f64 v[13:14], v[7:8], v[7:8]
	v_max_f64 v[16:17], v[5:6], v[5:6]
	;; [unrolled: 1-line block ×4, first 2 shown]
	v_cmp_u_f64_e64 s0, v[7:8], v[7:8]
	v_cmp_u_f64_e64 s1, v[5:6], v[5:6]
	;; [unrolled: 1-line block ×4, first 2 shown]
	v_min_f64 v[13:14], v[13:14], v[1:2]
	v_min_f64 v[16:17], v[16:17], v[1:2]
	;; [unrolled: 1-line block ×4, first 2 shown]
	s_delay_alu instid0(VALU_DEP_4)
	v_cndmask_b32_e64 v14, v14, v8, s0
	v_cndmask_b32_e64 v13, v13, v7, s0
	;; [unrolled: 1-line block ×8, first 2 shown]
	s_and_saveexec_b32 s0, vcc_lo
	s_cbranch_execnz .LBB459_17
; %bb.12:
	s_or_b32 exec_lo, exec_lo, s0
	s_delay_alu instid0(SALU_CYCLE_1)
	s_mov_b32 s0, exec_lo
	v_cmpx_gt_i32_e64 s10, v0
	s_cbranch_execnz .LBB459_18
.LBB459_13:
	s_or_b32 exec_lo, exec_lo, s0
	s_delay_alu instid0(SALU_CYCLE_1)
	s_mov_b32 s0, exec_lo
	v_cmpx_gt_i32_e64 s10, v0
	s_cbranch_execnz .LBB459_19
.LBB459_14:
	s_or_b32 exec_lo, exec_lo, s0
	s_delay_alu instid0(SALU_CYCLE_1)
	s_mov_b32 s0, exec_lo
	v_cmpx_gt_i32_e64 s10, v0
	s_cbranch_execz .LBB459_16
.LBB459_15:
	v_dual_mov_b32 v4, 0 :: v_dual_add_nc_u32 v3, s4, v0
	s_delay_alu instid0(VALU_DEP_1) | instskip(NEXT) | instid1(VALU_DEP_1)
	v_lshlrev_b64 v[3:4], 3, v[3:4]
	v_add_co_u32 v3, vcc_lo, s6, v3
	s_delay_alu instid0(VALU_DEP_2)
	v_add_co_ci_u32_e32 v4, vcc_lo, s7, v4, vcc_lo
	global_store_b64 v[3:4], v[1:2], off
.LBB459_16:
	s_nop 0
	s_sendmsg sendmsg(MSG_DEALLOC_VGPRS)
	s_endpgm
.LBB459_17:
	v_mov_b32_e32 v4, 0
	v_mov_b32_e32 v0, v15
	s_delay_alu instid0(VALU_DEP_2) | instskip(NEXT) | instid1(VALU_DEP_1)
	v_lshlrev_b64 v[3:4], 3, v[3:4]
	v_add_co_u32 v3, vcc_lo, s6, v3
	s_delay_alu instid0(VALU_DEP_2) | instskip(SKIP_2) | instid1(SALU_CYCLE_1)
	v_add_co_ci_u32_e32 v4, vcc_lo, s7, v4, vcc_lo
	global_store_b64 v[3:4], v[13:14], off
	s_or_b32 exec_lo, exec_lo, s0
	s_mov_b32 s0, exec_lo
	v_cmpx_gt_i32_e64 s10, v0
	s_cbranch_execz .LBB459_13
.LBB459_18:
	v_dual_mov_b32 v4, 0 :: v_dual_add_nc_u32 v3, s4, v0
	v_add_nc_u32_e32 v0, 0x100, v0
	s_delay_alu instid0(VALU_DEP_2) | instskip(NEXT) | instid1(VALU_DEP_1)
	v_lshlrev_b64 v[3:4], 3, v[3:4]
	v_add_co_u32 v3, vcc_lo, s6, v3
	s_delay_alu instid0(VALU_DEP_2) | instskip(SKIP_2) | instid1(SALU_CYCLE_1)
	v_add_co_ci_u32_e32 v4, vcc_lo, s7, v4, vcc_lo
	global_store_b64 v[3:4], v[7:8], off
	s_or_b32 exec_lo, exec_lo, s0
	s_mov_b32 s0, exec_lo
	v_cmpx_gt_i32_e64 s10, v0
	s_cbranch_execz .LBB459_14
.LBB459_19:
	v_dual_mov_b32 v4, 0 :: v_dual_add_nc_u32 v3, s4, v0
	v_add_nc_u32_e32 v0, 0x100, v0
	s_delay_alu instid0(VALU_DEP_2) | instskip(NEXT) | instid1(VALU_DEP_1)
	v_lshlrev_b64 v[3:4], 3, v[3:4]
	v_add_co_u32 v3, vcc_lo, s6, v3
	s_delay_alu instid0(VALU_DEP_2) | instskip(SKIP_2) | instid1(SALU_CYCLE_1)
	v_add_co_ci_u32_e32 v4, vcc_lo, s7, v4, vcc_lo
	global_store_b64 v[3:4], v[5:6], off
	s_or_b32 exec_lo, exec_lo, s0
	s_mov_b32 s0, exec_lo
	v_cmpx_gt_i32_e64 s10, v0
	s_cbranch_execnz .LBB459_15
	s_branch .LBB459_16
	.section	.rodata,"a",@progbits
	.p2align	6, 0x0
	.amdhsa_kernel _ZN2at6native29vectorized_elementwise_kernelILi8EZZZNS0_21clamp_max_kernel_cudaERNS_18TensorIteratorBaseERKN3c106ScalarEENKUlvE_clEvENKUlvE4_clEvEUldE_St5arrayIPcLm2EEEEviT0_T1_
		.amdhsa_group_segment_fixed_size 0
		.amdhsa_private_segment_fixed_size 0
		.amdhsa_kernarg_size 32
		.amdhsa_user_sgpr_count 15
		.amdhsa_user_sgpr_dispatch_ptr 0
		.amdhsa_user_sgpr_queue_ptr 0
		.amdhsa_user_sgpr_kernarg_segment_ptr 1
		.amdhsa_user_sgpr_dispatch_id 0
		.amdhsa_user_sgpr_private_segment_size 0
		.amdhsa_wavefront_size32 1
		.amdhsa_uses_dynamic_stack 0
		.amdhsa_enable_private_segment 0
		.amdhsa_system_sgpr_workgroup_id_x 1
		.amdhsa_system_sgpr_workgroup_id_y 0
		.amdhsa_system_sgpr_workgroup_id_z 0
		.amdhsa_system_sgpr_workgroup_info 0
		.amdhsa_system_vgpr_workitem_id 0
		.amdhsa_next_free_vgpr 22
		.amdhsa_next_free_sgpr 16
		.amdhsa_reserve_vcc 1
		.amdhsa_float_round_mode_32 0
		.amdhsa_float_round_mode_16_64 0
		.amdhsa_float_denorm_mode_32 3
		.amdhsa_float_denorm_mode_16_64 3
		.amdhsa_dx10_clamp 1
		.amdhsa_ieee_mode 1
		.amdhsa_fp16_overflow 0
		.amdhsa_workgroup_processor_mode 1
		.amdhsa_memory_ordered 1
		.amdhsa_forward_progress 0
		.amdhsa_shared_vgpr_count 0
		.amdhsa_exception_fp_ieee_invalid_op 0
		.amdhsa_exception_fp_denorm_src 0
		.amdhsa_exception_fp_ieee_div_zero 0
		.amdhsa_exception_fp_ieee_overflow 0
		.amdhsa_exception_fp_ieee_underflow 0
		.amdhsa_exception_fp_ieee_inexact 0
		.amdhsa_exception_int_div_zero 0
	.end_amdhsa_kernel
	.section	.text._ZN2at6native29vectorized_elementwise_kernelILi8EZZZNS0_21clamp_max_kernel_cudaERNS_18TensorIteratorBaseERKN3c106ScalarEENKUlvE_clEvENKUlvE4_clEvEUldE_St5arrayIPcLm2EEEEviT0_T1_,"axG",@progbits,_ZN2at6native29vectorized_elementwise_kernelILi8EZZZNS0_21clamp_max_kernel_cudaERNS_18TensorIteratorBaseERKN3c106ScalarEENKUlvE_clEvENKUlvE4_clEvEUldE_St5arrayIPcLm2EEEEviT0_T1_,comdat
.Lfunc_end459:
	.size	_ZN2at6native29vectorized_elementwise_kernelILi8EZZZNS0_21clamp_max_kernel_cudaERNS_18TensorIteratorBaseERKN3c106ScalarEENKUlvE_clEvENKUlvE4_clEvEUldE_St5arrayIPcLm2EEEEviT0_T1_, .Lfunc_end459-_ZN2at6native29vectorized_elementwise_kernelILi8EZZZNS0_21clamp_max_kernel_cudaERNS_18TensorIteratorBaseERKN3c106ScalarEENKUlvE_clEvENKUlvE4_clEvEUldE_St5arrayIPcLm2EEEEviT0_T1_
                                        ; -- End function
	.section	.AMDGPU.csdata,"",@progbits
; Kernel info:
; codeLenInByte = 1176
; NumSgprs: 18
; NumVgprs: 22
; ScratchSize: 0
; MemoryBound: 0
; FloatMode: 240
; IeeeMode: 1
; LDSByteSize: 0 bytes/workgroup (compile time only)
; SGPRBlocks: 2
; VGPRBlocks: 2
; NumSGPRsForWavesPerEU: 18
; NumVGPRsForWavesPerEU: 22
; Occupancy: 16
; WaveLimiterHint : 0
; COMPUTE_PGM_RSRC2:SCRATCH_EN: 0
; COMPUTE_PGM_RSRC2:USER_SGPR: 15
; COMPUTE_PGM_RSRC2:TRAP_HANDLER: 0
; COMPUTE_PGM_RSRC2:TGID_X_EN: 1
; COMPUTE_PGM_RSRC2:TGID_Y_EN: 0
; COMPUTE_PGM_RSRC2:TGID_Z_EN: 0
; COMPUTE_PGM_RSRC2:TIDIG_COMP_CNT: 0
	.section	.text._ZN2at6native29vectorized_elementwise_kernelILi4EZZZNS0_21clamp_max_kernel_cudaERNS_18TensorIteratorBaseERKN3c106ScalarEENKUlvE_clEvENKUlvE4_clEvEUldE_St5arrayIPcLm2EEEEviT0_T1_,"axG",@progbits,_ZN2at6native29vectorized_elementwise_kernelILi4EZZZNS0_21clamp_max_kernel_cudaERNS_18TensorIteratorBaseERKN3c106ScalarEENKUlvE_clEvENKUlvE4_clEvEUldE_St5arrayIPcLm2EEEEviT0_T1_,comdat
	.globl	_ZN2at6native29vectorized_elementwise_kernelILi4EZZZNS0_21clamp_max_kernel_cudaERNS_18TensorIteratorBaseERKN3c106ScalarEENKUlvE_clEvENKUlvE4_clEvEUldE_St5arrayIPcLm2EEEEviT0_T1_ ; -- Begin function _ZN2at6native29vectorized_elementwise_kernelILi4EZZZNS0_21clamp_max_kernel_cudaERNS_18TensorIteratorBaseERKN3c106ScalarEENKUlvE_clEvENKUlvE4_clEvEUldE_St5arrayIPcLm2EEEEviT0_T1_
	.p2align	8
	.type	_ZN2at6native29vectorized_elementwise_kernelILi4EZZZNS0_21clamp_max_kernel_cudaERNS_18TensorIteratorBaseERKN3c106ScalarEENKUlvE_clEvENKUlvE4_clEvEUldE_St5arrayIPcLm2EEEEviT0_T1_,@function
_ZN2at6native29vectorized_elementwise_kernelILi4EZZZNS0_21clamp_max_kernel_cudaERNS_18TensorIteratorBaseERKN3c106ScalarEENKUlvE_clEvENKUlvE4_clEvEUldE_St5arrayIPcLm2EEEEviT0_T1_: ; @_ZN2at6native29vectorized_elementwise_kernelILi4EZZZNS0_21clamp_max_kernel_cudaERNS_18TensorIteratorBaseERKN3c106ScalarEENKUlvE_clEvENKUlvE4_clEvEUldE_St5arrayIPcLm2EEEEviT0_T1_
; %bb.0:
	s_clause 0x2
	s_load_b128 s[4:7], s[0:1], 0x8
	s_load_b32 s2, s[0:1], 0x0
	s_load_b64 s[8:9], s[0:1], 0x18
	s_mov_b32 s0, -1
	s_waitcnt lgkmcnt(0)
	v_max_f64 v[1:2], s[4:5], s[4:5]
	s_lshl_b32 s4, s15, 10
	s_delay_alu instid0(SALU_CYCLE_1) | instskip(NEXT) | instid1(SALU_CYCLE_1)
	s_sub_i32 s10, s2, s4
	s_cmpk_gt_i32 s10, 0x3ff
	s_cbranch_scc0 .LBB460_2
; %bb.1:
	s_ashr_i32 s5, s4, 31
	v_lshlrev_b32_e32 v19, 5, v0
	s_lshl_b64 s[12:13], s[4:5], 3
	s_delay_alu instid0(SALU_CYCLE_1)
	s_add_u32 s0, s8, s12
	s_addc_u32 s1, s9, s13
	s_clause 0x1
	global_load_b128 v[3:6], v19, s[0:1]
	global_load_b128 v[7:10], v19, s[0:1] offset:16
	s_waitcnt vmcnt(1)
	v_max_f64 v[11:12], v[3:4], v[3:4]
	v_max_f64 v[13:14], v[5:6], v[5:6]
	s_waitcnt vmcnt(0)
	v_max_f64 v[15:16], v[7:8], v[7:8]
	v_max_f64 v[17:18], v[9:10], v[9:10]
	v_cmp_u_f64_e32 vcc_lo, v[3:4], v[3:4]
	v_cmp_u_f64_e64 s0, v[5:6], v[5:6]
	v_cmp_u_f64_e64 s1, v[7:8], v[7:8]
	;; [unrolled: 1-line block ×3, first 2 shown]
	v_min_f64 v[11:12], v[11:12], v[1:2]
	v_min_f64 v[13:14], v[13:14], v[1:2]
	;; [unrolled: 1-line block ×4, first 2 shown]
	s_delay_alu instid0(VALU_DEP_4) | instskip(NEXT) | instid1(VALU_DEP_4)
	v_dual_cndmask_b32 v4, v12, v4 :: v_dual_cndmask_b32 v3, v11, v3
	v_cndmask_b32_e64 v6, v14, v6, s0
	v_cndmask_b32_e64 v5, v13, v5, s0
	;; [unrolled: 1-line block ×6, first 2 shown]
	s_add_u32 s2, s6, s12
	s_addc_u32 s3, s7, s13
	s_mov_b32 s0, 0
	s_clause 0x1
	global_store_b128 v19, v[3:6], s[2:3]
	global_store_b128 v19, v[7:10], s[2:3] offset:16
.LBB460_2:
	s_and_not1_b32 vcc_lo, exec_lo, s0
	s_cbranch_vccnz .LBB460_16
; %bb.3:
	v_dual_mov_b32 v5, 0 :: v_dual_mov_b32 v4, v0
	v_mov_b32_e32 v6, 0
	v_cmp_gt_i32_e32 vcc_lo, s10, v0
	v_or_b32_e32 v3, s4, v0
	v_or_b32_e32 v15, 0x100, v0
	s_delay_alu instid0(VALU_DEP_4)
	v_dual_mov_b32 v8, v6 :: v_dual_mov_b32 v7, v5
	s_and_saveexec_b32 s1, vcc_lo
	s_cbranch_execz .LBB460_5
; %bb.4:
	v_mov_b32_e32 v4, 0
	s_delay_alu instid0(VALU_DEP_1) | instskip(SKIP_1) | instid1(VALU_DEP_2)
	v_lshlrev_b64 v[7:8], 3, v[3:4]
	v_or_b32_e32 v4, 0x100, v0
	v_add_co_u32 v7, s0, s8, v7
	s_delay_alu instid0(VALU_DEP_1)
	v_add_co_ci_u32_e64 v8, s0, s9, v8, s0
	global_load_b64 v[7:8], v[7:8], off
.LBB460_5:
	s_or_b32 exec_lo, exec_lo, s1
	s_delay_alu instid0(SALU_CYCLE_1)
	s_mov_b32 s1, exec_lo
	v_cmpx_gt_i32_e64 s10, v4
	s_cbranch_execz .LBB460_7
; %bb.6:
	v_dual_mov_b32 v6, 0 :: v_dual_add_nc_u32 v5, s4, v4
	v_add_nc_u32_e32 v4, 0x100, v4
	s_delay_alu instid0(VALU_DEP_2) | instskip(NEXT) | instid1(VALU_DEP_1)
	v_lshlrev_b64 v[5:6], 3, v[5:6]
	v_add_co_u32 v5, s0, s8, v5
	s_delay_alu instid0(VALU_DEP_1)
	v_add_co_ci_u32_e64 v6, s0, s9, v6, s0
	global_load_b64 v[5:6], v[5:6], off
.LBB460_7:
	s_or_b32 exec_lo, exec_lo, s1
	v_mov_b32_e32 v9, 0
	v_mov_b32_e32 v10, 0
	s_mov_b32 s1, exec_lo
	s_delay_alu instid0(VALU_DEP_1)
	v_dual_mov_b32 v12, v10 :: v_dual_mov_b32 v11, v9
	v_cmpx_gt_i32_e64 s10, v4
	s_cbranch_execz .LBB460_9
; %bb.8:
	v_dual_mov_b32 v12, 0 :: v_dual_add_nc_u32 v11, s4, v4
	v_add_nc_u32_e32 v4, 0x100, v4
	s_delay_alu instid0(VALU_DEP_2) | instskip(NEXT) | instid1(VALU_DEP_1)
	v_lshlrev_b64 v[11:12], 3, v[11:12]
	v_add_co_u32 v11, s0, s8, v11
	s_delay_alu instid0(VALU_DEP_1)
	v_add_co_ci_u32_e64 v12, s0, s9, v12, s0
	global_load_b64 v[11:12], v[11:12], off
.LBB460_9:
	s_or_b32 exec_lo, exec_lo, s1
	s_delay_alu instid0(SALU_CYCLE_1)
	s_mov_b32 s1, exec_lo
	v_cmpx_gt_i32_e64 s10, v4
	s_cbranch_execz .LBB460_11
; %bb.10:
	v_dual_mov_b32 v10, 0 :: v_dual_add_nc_u32 v9, s4, v4
	s_delay_alu instid0(VALU_DEP_1) | instskip(NEXT) | instid1(VALU_DEP_1)
	v_lshlrev_b64 v[9:10], 3, v[9:10]
	v_add_co_u32 v9, s0, s8, v9
	s_delay_alu instid0(VALU_DEP_1)
	v_add_co_ci_u32_e64 v10, s0, s9, v10, s0
	global_load_b64 v[9:10], v[9:10], off
.LBB460_11:
	s_or_b32 exec_lo, exec_lo, s1
	s_waitcnt vmcnt(0)
	v_max_f64 v[13:14], v[7:8], v[7:8]
	v_max_f64 v[16:17], v[5:6], v[5:6]
	;; [unrolled: 1-line block ×4, first 2 shown]
	v_cmp_u_f64_e64 s0, v[7:8], v[7:8]
	v_cmp_u_f64_e64 s1, v[5:6], v[5:6]
	;; [unrolled: 1-line block ×4, first 2 shown]
	v_min_f64 v[13:14], v[13:14], v[1:2]
	v_min_f64 v[16:17], v[16:17], v[1:2]
	;; [unrolled: 1-line block ×4, first 2 shown]
	s_delay_alu instid0(VALU_DEP_4)
	v_cndmask_b32_e64 v14, v14, v8, s0
	v_cndmask_b32_e64 v13, v13, v7, s0
	;; [unrolled: 1-line block ×8, first 2 shown]
	s_and_saveexec_b32 s0, vcc_lo
	s_cbranch_execnz .LBB460_17
; %bb.12:
	s_or_b32 exec_lo, exec_lo, s0
	s_delay_alu instid0(SALU_CYCLE_1)
	s_mov_b32 s0, exec_lo
	v_cmpx_gt_i32_e64 s10, v0
	s_cbranch_execnz .LBB460_18
.LBB460_13:
	s_or_b32 exec_lo, exec_lo, s0
	s_delay_alu instid0(SALU_CYCLE_1)
	s_mov_b32 s0, exec_lo
	v_cmpx_gt_i32_e64 s10, v0
	s_cbranch_execnz .LBB460_19
.LBB460_14:
	s_or_b32 exec_lo, exec_lo, s0
	s_delay_alu instid0(SALU_CYCLE_1)
	s_mov_b32 s0, exec_lo
	v_cmpx_gt_i32_e64 s10, v0
	s_cbranch_execz .LBB460_16
.LBB460_15:
	v_dual_mov_b32 v4, 0 :: v_dual_add_nc_u32 v3, s4, v0
	s_delay_alu instid0(VALU_DEP_1) | instskip(NEXT) | instid1(VALU_DEP_1)
	v_lshlrev_b64 v[3:4], 3, v[3:4]
	v_add_co_u32 v3, vcc_lo, s6, v3
	s_delay_alu instid0(VALU_DEP_2)
	v_add_co_ci_u32_e32 v4, vcc_lo, s7, v4, vcc_lo
	global_store_b64 v[3:4], v[1:2], off
.LBB460_16:
	s_nop 0
	s_sendmsg sendmsg(MSG_DEALLOC_VGPRS)
	s_endpgm
.LBB460_17:
	v_mov_b32_e32 v4, 0
	v_mov_b32_e32 v0, v15
	s_delay_alu instid0(VALU_DEP_2) | instskip(NEXT) | instid1(VALU_DEP_1)
	v_lshlrev_b64 v[3:4], 3, v[3:4]
	v_add_co_u32 v3, vcc_lo, s6, v3
	s_delay_alu instid0(VALU_DEP_2) | instskip(SKIP_2) | instid1(SALU_CYCLE_1)
	v_add_co_ci_u32_e32 v4, vcc_lo, s7, v4, vcc_lo
	global_store_b64 v[3:4], v[13:14], off
	s_or_b32 exec_lo, exec_lo, s0
	s_mov_b32 s0, exec_lo
	v_cmpx_gt_i32_e64 s10, v0
	s_cbranch_execz .LBB460_13
.LBB460_18:
	v_dual_mov_b32 v4, 0 :: v_dual_add_nc_u32 v3, s4, v0
	v_add_nc_u32_e32 v0, 0x100, v0
	s_delay_alu instid0(VALU_DEP_2) | instskip(NEXT) | instid1(VALU_DEP_1)
	v_lshlrev_b64 v[3:4], 3, v[3:4]
	v_add_co_u32 v3, vcc_lo, s6, v3
	s_delay_alu instid0(VALU_DEP_2) | instskip(SKIP_2) | instid1(SALU_CYCLE_1)
	v_add_co_ci_u32_e32 v4, vcc_lo, s7, v4, vcc_lo
	global_store_b64 v[3:4], v[7:8], off
	s_or_b32 exec_lo, exec_lo, s0
	s_mov_b32 s0, exec_lo
	v_cmpx_gt_i32_e64 s10, v0
	s_cbranch_execz .LBB460_14
.LBB460_19:
	v_dual_mov_b32 v4, 0 :: v_dual_add_nc_u32 v3, s4, v0
	v_add_nc_u32_e32 v0, 0x100, v0
	s_delay_alu instid0(VALU_DEP_2) | instskip(NEXT) | instid1(VALU_DEP_1)
	v_lshlrev_b64 v[3:4], 3, v[3:4]
	v_add_co_u32 v3, vcc_lo, s6, v3
	s_delay_alu instid0(VALU_DEP_2) | instskip(SKIP_2) | instid1(SALU_CYCLE_1)
	v_add_co_ci_u32_e32 v4, vcc_lo, s7, v4, vcc_lo
	global_store_b64 v[3:4], v[5:6], off
	s_or_b32 exec_lo, exec_lo, s0
	s_mov_b32 s0, exec_lo
	v_cmpx_gt_i32_e64 s10, v0
	s_cbranch_execnz .LBB460_15
	s_branch .LBB460_16
	.section	.rodata,"a",@progbits
	.p2align	6, 0x0
	.amdhsa_kernel _ZN2at6native29vectorized_elementwise_kernelILi4EZZZNS0_21clamp_max_kernel_cudaERNS_18TensorIteratorBaseERKN3c106ScalarEENKUlvE_clEvENKUlvE4_clEvEUldE_St5arrayIPcLm2EEEEviT0_T1_
		.amdhsa_group_segment_fixed_size 0
		.amdhsa_private_segment_fixed_size 0
		.amdhsa_kernarg_size 32
		.amdhsa_user_sgpr_count 15
		.amdhsa_user_sgpr_dispatch_ptr 0
		.amdhsa_user_sgpr_queue_ptr 0
		.amdhsa_user_sgpr_kernarg_segment_ptr 1
		.amdhsa_user_sgpr_dispatch_id 0
		.amdhsa_user_sgpr_private_segment_size 0
		.amdhsa_wavefront_size32 1
		.amdhsa_uses_dynamic_stack 0
		.amdhsa_enable_private_segment 0
		.amdhsa_system_sgpr_workgroup_id_x 1
		.amdhsa_system_sgpr_workgroup_id_y 0
		.amdhsa_system_sgpr_workgroup_id_z 0
		.amdhsa_system_sgpr_workgroup_info 0
		.amdhsa_system_vgpr_workitem_id 0
		.amdhsa_next_free_vgpr 22
		.amdhsa_next_free_sgpr 16
		.amdhsa_reserve_vcc 1
		.amdhsa_float_round_mode_32 0
		.amdhsa_float_round_mode_16_64 0
		.amdhsa_float_denorm_mode_32 3
		.amdhsa_float_denorm_mode_16_64 3
		.amdhsa_dx10_clamp 1
		.amdhsa_ieee_mode 1
		.amdhsa_fp16_overflow 0
		.amdhsa_workgroup_processor_mode 1
		.amdhsa_memory_ordered 1
		.amdhsa_forward_progress 0
		.amdhsa_shared_vgpr_count 0
		.amdhsa_exception_fp_ieee_invalid_op 0
		.amdhsa_exception_fp_denorm_src 0
		.amdhsa_exception_fp_ieee_div_zero 0
		.amdhsa_exception_fp_ieee_overflow 0
		.amdhsa_exception_fp_ieee_underflow 0
		.amdhsa_exception_fp_ieee_inexact 0
		.amdhsa_exception_int_div_zero 0
	.end_amdhsa_kernel
	.section	.text._ZN2at6native29vectorized_elementwise_kernelILi4EZZZNS0_21clamp_max_kernel_cudaERNS_18TensorIteratorBaseERKN3c106ScalarEENKUlvE_clEvENKUlvE4_clEvEUldE_St5arrayIPcLm2EEEEviT0_T1_,"axG",@progbits,_ZN2at6native29vectorized_elementwise_kernelILi4EZZZNS0_21clamp_max_kernel_cudaERNS_18TensorIteratorBaseERKN3c106ScalarEENKUlvE_clEvENKUlvE4_clEvEUldE_St5arrayIPcLm2EEEEviT0_T1_,comdat
.Lfunc_end460:
	.size	_ZN2at6native29vectorized_elementwise_kernelILi4EZZZNS0_21clamp_max_kernel_cudaERNS_18TensorIteratorBaseERKN3c106ScalarEENKUlvE_clEvENKUlvE4_clEvEUldE_St5arrayIPcLm2EEEEviT0_T1_, .Lfunc_end460-_ZN2at6native29vectorized_elementwise_kernelILi4EZZZNS0_21clamp_max_kernel_cudaERNS_18TensorIteratorBaseERKN3c106ScalarEENKUlvE_clEvENKUlvE4_clEvEUldE_St5arrayIPcLm2EEEEviT0_T1_
                                        ; -- End function
	.section	.AMDGPU.csdata,"",@progbits
; Kernel info:
; codeLenInByte = 1176
; NumSgprs: 18
; NumVgprs: 22
; ScratchSize: 0
; MemoryBound: 0
; FloatMode: 240
; IeeeMode: 1
; LDSByteSize: 0 bytes/workgroup (compile time only)
; SGPRBlocks: 2
; VGPRBlocks: 2
; NumSGPRsForWavesPerEU: 18
; NumVGPRsForWavesPerEU: 22
; Occupancy: 16
; WaveLimiterHint : 0
; COMPUTE_PGM_RSRC2:SCRATCH_EN: 0
; COMPUTE_PGM_RSRC2:USER_SGPR: 15
; COMPUTE_PGM_RSRC2:TRAP_HANDLER: 0
; COMPUTE_PGM_RSRC2:TGID_X_EN: 1
; COMPUTE_PGM_RSRC2:TGID_Y_EN: 0
; COMPUTE_PGM_RSRC2:TGID_Z_EN: 0
; COMPUTE_PGM_RSRC2:TIDIG_COMP_CNT: 0
	.section	.text._ZN2at6native29vectorized_elementwise_kernelILi2EZZZNS0_21clamp_max_kernel_cudaERNS_18TensorIteratorBaseERKN3c106ScalarEENKUlvE_clEvENKUlvE4_clEvEUldE_St5arrayIPcLm2EEEEviT0_T1_,"axG",@progbits,_ZN2at6native29vectorized_elementwise_kernelILi2EZZZNS0_21clamp_max_kernel_cudaERNS_18TensorIteratorBaseERKN3c106ScalarEENKUlvE_clEvENKUlvE4_clEvEUldE_St5arrayIPcLm2EEEEviT0_T1_,comdat
	.globl	_ZN2at6native29vectorized_elementwise_kernelILi2EZZZNS0_21clamp_max_kernel_cudaERNS_18TensorIteratorBaseERKN3c106ScalarEENKUlvE_clEvENKUlvE4_clEvEUldE_St5arrayIPcLm2EEEEviT0_T1_ ; -- Begin function _ZN2at6native29vectorized_elementwise_kernelILi2EZZZNS0_21clamp_max_kernel_cudaERNS_18TensorIteratorBaseERKN3c106ScalarEENKUlvE_clEvENKUlvE4_clEvEUldE_St5arrayIPcLm2EEEEviT0_T1_
	.p2align	8
	.type	_ZN2at6native29vectorized_elementwise_kernelILi2EZZZNS0_21clamp_max_kernel_cudaERNS_18TensorIteratorBaseERKN3c106ScalarEENKUlvE_clEvENKUlvE4_clEvEUldE_St5arrayIPcLm2EEEEviT0_T1_,@function
_ZN2at6native29vectorized_elementwise_kernelILi2EZZZNS0_21clamp_max_kernel_cudaERNS_18TensorIteratorBaseERKN3c106ScalarEENKUlvE_clEvENKUlvE4_clEvEUldE_St5arrayIPcLm2EEEEviT0_T1_: ; @_ZN2at6native29vectorized_elementwise_kernelILi2EZZZNS0_21clamp_max_kernel_cudaERNS_18TensorIteratorBaseERKN3c106ScalarEENKUlvE_clEvENKUlvE4_clEvEUldE_St5arrayIPcLm2EEEEviT0_T1_
; %bb.0:
	s_clause 0x2
	s_load_b128 s[4:7], s[0:1], 0x8
	s_load_b32 s2, s[0:1], 0x0
	s_load_b64 s[8:9], s[0:1], 0x18
	s_mov_b32 s0, -1
	s_waitcnt lgkmcnt(0)
	v_max_f64 v[1:2], s[4:5], s[4:5]
	s_lshl_b32 s4, s15, 10
	s_delay_alu instid0(SALU_CYCLE_1) | instskip(NEXT) | instid1(SALU_CYCLE_1)
	s_sub_i32 s10, s2, s4
	s_cmpk_gt_i32 s10, 0x3ff
	s_cbranch_scc0 .LBB461_2
; %bb.1:
	s_ashr_i32 s5, s4, 31
	v_lshlrev_b32_e32 v19, 4, v0
	s_lshl_b64 s[12:13], s[4:5], 3
	s_delay_alu instid0(SALU_CYCLE_1) | instskip(SKIP_1) | instid1(VALU_DEP_1)
	s_add_u32 s0, s8, s12
	s_addc_u32 s1, s9, s13
	v_add_co_u32 v3, s2, s0, v19
	s_delay_alu instid0(VALU_DEP_1) | instskip(SKIP_1) | instid1(VALU_DEP_2)
	v_add_co_ci_u32_e64 v4, null, s1, 0, s2
	s_add_u32 s12, s6, s12
	v_add_co_u32 v7, vcc_lo, 0x1000, v3
	s_delay_alu instid0(VALU_DEP_2)
	v_add_co_ci_u32_e32 v8, vcc_lo, 0, v4, vcc_lo
	s_addc_u32 s13, s7, s13
	v_add_co_u32 v20, s3, s12, v19
	s_clause 0x1
	global_load_b128 v[3:6], v19, s[0:1]
	global_load_b128 v[7:10], v[7:8], off
	v_add_co_ci_u32_e64 v21, null, s13, 0, s3
	s_waitcnt vmcnt(1)
	v_max_f64 v[11:12], v[3:4], v[3:4]
	v_max_f64 v[13:14], v[5:6], v[5:6]
	s_waitcnt vmcnt(0)
	v_max_f64 v[15:16], v[7:8], v[7:8]
	v_max_f64 v[17:18], v[9:10], v[9:10]
	v_cmp_u_f64_e32 vcc_lo, v[3:4], v[3:4]
	v_cmp_u_f64_e64 s0, v[5:6], v[5:6]
	v_cmp_u_f64_e64 s1, v[7:8], v[7:8]
	;; [unrolled: 1-line block ×3, first 2 shown]
	v_min_f64 v[11:12], v[11:12], v[1:2]
	v_min_f64 v[13:14], v[13:14], v[1:2]
	;; [unrolled: 1-line block ×4, first 2 shown]
	s_delay_alu instid0(VALU_DEP_4)
	v_dual_cndmask_b32 v4, v12, v4 :: v_dual_cndmask_b32 v3, v11, v3
	v_add_co_u32 v11, vcc_lo, 0x1000, v20
	v_cndmask_b32_e64 v6, v14, v6, s0
	v_cndmask_b32_e64 v5, v13, v5, s0
	;; [unrolled: 1-line block ×6, first 2 shown]
	v_add_co_ci_u32_e32 v12, vcc_lo, 0, v21, vcc_lo
	s_mov_b32 s0, 0
	s_clause 0x1
	global_store_b128 v19, v[3:6], s[12:13]
	global_store_b128 v[11:12], v[7:10], off
.LBB461_2:
	s_and_not1_b32 vcc_lo, exec_lo, s0
	s_cbranch_vccnz .LBB461_16
; %bb.3:
	v_dual_mov_b32 v5, 0 :: v_dual_mov_b32 v4, v0
	v_mov_b32_e32 v6, 0
	v_cmp_gt_i32_e32 vcc_lo, s10, v0
	v_or_b32_e32 v3, s4, v0
	v_or_b32_e32 v15, 0x100, v0
	s_delay_alu instid0(VALU_DEP_4)
	v_dual_mov_b32 v8, v6 :: v_dual_mov_b32 v7, v5
	s_and_saveexec_b32 s1, vcc_lo
	s_cbranch_execz .LBB461_5
; %bb.4:
	v_mov_b32_e32 v4, 0
	s_delay_alu instid0(VALU_DEP_1) | instskip(SKIP_1) | instid1(VALU_DEP_2)
	v_lshlrev_b64 v[7:8], 3, v[3:4]
	v_or_b32_e32 v4, 0x100, v0
	v_add_co_u32 v7, s0, s8, v7
	s_delay_alu instid0(VALU_DEP_1)
	v_add_co_ci_u32_e64 v8, s0, s9, v8, s0
	global_load_b64 v[7:8], v[7:8], off
.LBB461_5:
	s_or_b32 exec_lo, exec_lo, s1
	s_delay_alu instid0(SALU_CYCLE_1)
	s_mov_b32 s1, exec_lo
	v_cmpx_gt_i32_e64 s10, v4
	s_cbranch_execz .LBB461_7
; %bb.6:
	v_dual_mov_b32 v6, 0 :: v_dual_add_nc_u32 v5, s4, v4
	v_add_nc_u32_e32 v4, 0x100, v4
	s_delay_alu instid0(VALU_DEP_2) | instskip(NEXT) | instid1(VALU_DEP_1)
	v_lshlrev_b64 v[5:6], 3, v[5:6]
	v_add_co_u32 v5, s0, s8, v5
	s_delay_alu instid0(VALU_DEP_1)
	v_add_co_ci_u32_e64 v6, s0, s9, v6, s0
	global_load_b64 v[5:6], v[5:6], off
.LBB461_7:
	s_or_b32 exec_lo, exec_lo, s1
	v_mov_b32_e32 v9, 0
	v_mov_b32_e32 v10, 0
	s_mov_b32 s1, exec_lo
	s_delay_alu instid0(VALU_DEP_1)
	v_dual_mov_b32 v12, v10 :: v_dual_mov_b32 v11, v9
	v_cmpx_gt_i32_e64 s10, v4
	s_cbranch_execz .LBB461_9
; %bb.8:
	v_dual_mov_b32 v12, 0 :: v_dual_add_nc_u32 v11, s4, v4
	v_add_nc_u32_e32 v4, 0x100, v4
	s_delay_alu instid0(VALU_DEP_2) | instskip(NEXT) | instid1(VALU_DEP_1)
	v_lshlrev_b64 v[11:12], 3, v[11:12]
	v_add_co_u32 v11, s0, s8, v11
	s_delay_alu instid0(VALU_DEP_1)
	v_add_co_ci_u32_e64 v12, s0, s9, v12, s0
	global_load_b64 v[11:12], v[11:12], off
.LBB461_9:
	s_or_b32 exec_lo, exec_lo, s1
	s_delay_alu instid0(SALU_CYCLE_1)
	s_mov_b32 s1, exec_lo
	v_cmpx_gt_i32_e64 s10, v4
	s_cbranch_execz .LBB461_11
; %bb.10:
	v_dual_mov_b32 v10, 0 :: v_dual_add_nc_u32 v9, s4, v4
	s_delay_alu instid0(VALU_DEP_1) | instskip(NEXT) | instid1(VALU_DEP_1)
	v_lshlrev_b64 v[9:10], 3, v[9:10]
	v_add_co_u32 v9, s0, s8, v9
	s_delay_alu instid0(VALU_DEP_1)
	v_add_co_ci_u32_e64 v10, s0, s9, v10, s0
	global_load_b64 v[9:10], v[9:10], off
.LBB461_11:
	s_or_b32 exec_lo, exec_lo, s1
	s_waitcnt vmcnt(0)
	v_max_f64 v[13:14], v[7:8], v[7:8]
	v_max_f64 v[16:17], v[5:6], v[5:6]
	;; [unrolled: 1-line block ×4, first 2 shown]
	v_cmp_u_f64_e64 s0, v[7:8], v[7:8]
	v_cmp_u_f64_e64 s1, v[5:6], v[5:6]
	;; [unrolled: 1-line block ×4, first 2 shown]
	v_min_f64 v[13:14], v[13:14], v[1:2]
	v_min_f64 v[16:17], v[16:17], v[1:2]
	;; [unrolled: 1-line block ×4, first 2 shown]
	s_delay_alu instid0(VALU_DEP_4)
	v_cndmask_b32_e64 v14, v14, v8, s0
	v_cndmask_b32_e64 v13, v13, v7, s0
	;; [unrolled: 1-line block ×8, first 2 shown]
	s_and_saveexec_b32 s0, vcc_lo
	s_cbranch_execnz .LBB461_17
; %bb.12:
	s_or_b32 exec_lo, exec_lo, s0
	s_delay_alu instid0(SALU_CYCLE_1)
	s_mov_b32 s0, exec_lo
	v_cmpx_gt_i32_e64 s10, v0
	s_cbranch_execnz .LBB461_18
.LBB461_13:
	s_or_b32 exec_lo, exec_lo, s0
	s_delay_alu instid0(SALU_CYCLE_1)
	s_mov_b32 s0, exec_lo
	v_cmpx_gt_i32_e64 s10, v0
	s_cbranch_execnz .LBB461_19
.LBB461_14:
	s_or_b32 exec_lo, exec_lo, s0
	s_delay_alu instid0(SALU_CYCLE_1)
	s_mov_b32 s0, exec_lo
	v_cmpx_gt_i32_e64 s10, v0
	s_cbranch_execz .LBB461_16
.LBB461_15:
	v_dual_mov_b32 v4, 0 :: v_dual_add_nc_u32 v3, s4, v0
	s_delay_alu instid0(VALU_DEP_1) | instskip(NEXT) | instid1(VALU_DEP_1)
	v_lshlrev_b64 v[3:4], 3, v[3:4]
	v_add_co_u32 v3, vcc_lo, s6, v3
	s_delay_alu instid0(VALU_DEP_2)
	v_add_co_ci_u32_e32 v4, vcc_lo, s7, v4, vcc_lo
	global_store_b64 v[3:4], v[1:2], off
.LBB461_16:
	s_nop 0
	s_sendmsg sendmsg(MSG_DEALLOC_VGPRS)
	s_endpgm
.LBB461_17:
	v_mov_b32_e32 v4, 0
	v_mov_b32_e32 v0, v15
	s_delay_alu instid0(VALU_DEP_2) | instskip(NEXT) | instid1(VALU_DEP_1)
	v_lshlrev_b64 v[3:4], 3, v[3:4]
	v_add_co_u32 v3, vcc_lo, s6, v3
	s_delay_alu instid0(VALU_DEP_2) | instskip(SKIP_2) | instid1(SALU_CYCLE_1)
	v_add_co_ci_u32_e32 v4, vcc_lo, s7, v4, vcc_lo
	global_store_b64 v[3:4], v[13:14], off
	s_or_b32 exec_lo, exec_lo, s0
	s_mov_b32 s0, exec_lo
	v_cmpx_gt_i32_e64 s10, v0
	s_cbranch_execz .LBB461_13
.LBB461_18:
	v_dual_mov_b32 v4, 0 :: v_dual_add_nc_u32 v3, s4, v0
	v_add_nc_u32_e32 v0, 0x100, v0
	s_delay_alu instid0(VALU_DEP_2) | instskip(NEXT) | instid1(VALU_DEP_1)
	v_lshlrev_b64 v[3:4], 3, v[3:4]
	v_add_co_u32 v3, vcc_lo, s6, v3
	s_delay_alu instid0(VALU_DEP_2) | instskip(SKIP_2) | instid1(SALU_CYCLE_1)
	v_add_co_ci_u32_e32 v4, vcc_lo, s7, v4, vcc_lo
	global_store_b64 v[3:4], v[7:8], off
	s_or_b32 exec_lo, exec_lo, s0
	s_mov_b32 s0, exec_lo
	v_cmpx_gt_i32_e64 s10, v0
	s_cbranch_execz .LBB461_14
.LBB461_19:
	v_dual_mov_b32 v4, 0 :: v_dual_add_nc_u32 v3, s4, v0
	v_add_nc_u32_e32 v0, 0x100, v0
	s_delay_alu instid0(VALU_DEP_2) | instskip(NEXT) | instid1(VALU_DEP_1)
	v_lshlrev_b64 v[3:4], 3, v[3:4]
	v_add_co_u32 v3, vcc_lo, s6, v3
	s_delay_alu instid0(VALU_DEP_2) | instskip(SKIP_2) | instid1(SALU_CYCLE_1)
	v_add_co_ci_u32_e32 v4, vcc_lo, s7, v4, vcc_lo
	global_store_b64 v[3:4], v[5:6], off
	s_or_b32 exec_lo, exec_lo, s0
	s_mov_b32 s0, exec_lo
	v_cmpx_gt_i32_e64 s10, v0
	s_cbranch_execnz .LBB461_15
	s_branch .LBB461_16
	.section	.rodata,"a",@progbits
	.p2align	6, 0x0
	.amdhsa_kernel _ZN2at6native29vectorized_elementwise_kernelILi2EZZZNS0_21clamp_max_kernel_cudaERNS_18TensorIteratorBaseERKN3c106ScalarEENKUlvE_clEvENKUlvE4_clEvEUldE_St5arrayIPcLm2EEEEviT0_T1_
		.amdhsa_group_segment_fixed_size 0
		.amdhsa_private_segment_fixed_size 0
		.amdhsa_kernarg_size 32
		.amdhsa_user_sgpr_count 15
		.amdhsa_user_sgpr_dispatch_ptr 0
		.amdhsa_user_sgpr_queue_ptr 0
		.amdhsa_user_sgpr_kernarg_segment_ptr 1
		.amdhsa_user_sgpr_dispatch_id 0
		.amdhsa_user_sgpr_private_segment_size 0
		.amdhsa_wavefront_size32 1
		.amdhsa_uses_dynamic_stack 0
		.amdhsa_enable_private_segment 0
		.amdhsa_system_sgpr_workgroup_id_x 1
		.amdhsa_system_sgpr_workgroup_id_y 0
		.amdhsa_system_sgpr_workgroup_id_z 0
		.amdhsa_system_sgpr_workgroup_info 0
		.amdhsa_system_vgpr_workitem_id 0
		.amdhsa_next_free_vgpr 22
		.amdhsa_next_free_sgpr 16
		.amdhsa_reserve_vcc 1
		.amdhsa_float_round_mode_32 0
		.amdhsa_float_round_mode_16_64 0
		.amdhsa_float_denorm_mode_32 3
		.amdhsa_float_denorm_mode_16_64 3
		.amdhsa_dx10_clamp 1
		.amdhsa_ieee_mode 1
		.amdhsa_fp16_overflow 0
		.amdhsa_workgroup_processor_mode 1
		.amdhsa_memory_ordered 1
		.amdhsa_forward_progress 0
		.amdhsa_shared_vgpr_count 0
		.amdhsa_exception_fp_ieee_invalid_op 0
		.amdhsa_exception_fp_denorm_src 0
		.amdhsa_exception_fp_ieee_div_zero 0
		.amdhsa_exception_fp_ieee_overflow 0
		.amdhsa_exception_fp_ieee_underflow 0
		.amdhsa_exception_fp_ieee_inexact 0
		.amdhsa_exception_int_div_zero 0
	.end_amdhsa_kernel
	.section	.text._ZN2at6native29vectorized_elementwise_kernelILi2EZZZNS0_21clamp_max_kernel_cudaERNS_18TensorIteratorBaseERKN3c106ScalarEENKUlvE_clEvENKUlvE4_clEvEUldE_St5arrayIPcLm2EEEEviT0_T1_,"axG",@progbits,_ZN2at6native29vectorized_elementwise_kernelILi2EZZZNS0_21clamp_max_kernel_cudaERNS_18TensorIteratorBaseERKN3c106ScalarEENKUlvE_clEvENKUlvE4_clEvEUldE_St5arrayIPcLm2EEEEviT0_T1_,comdat
.Lfunc_end461:
	.size	_ZN2at6native29vectorized_elementwise_kernelILi2EZZZNS0_21clamp_max_kernel_cudaERNS_18TensorIteratorBaseERKN3c106ScalarEENKUlvE_clEvENKUlvE4_clEvEUldE_St5arrayIPcLm2EEEEviT0_T1_, .Lfunc_end461-_ZN2at6native29vectorized_elementwise_kernelILi2EZZZNS0_21clamp_max_kernel_cudaERNS_18TensorIteratorBaseERKN3c106ScalarEENKUlvE_clEvENKUlvE4_clEvEUldE_St5arrayIPcLm2EEEEviT0_T1_
                                        ; -- End function
	.section	.AMDGPU.csdata,"",@progbits
; Kernel info:
; codeLenInByte = 1248
; NumSgprs: 18
; NumVgprs: 22
; ScratchSize: 0
; MemoryBound: 0
; FloatMode: 240
; IeeeMode: 1
; LDSByteSize: 0 bytes/workgroup (compile time only)
; SGPRBlocks: 2
; VGPRBlocks: 2
; NumSGPRsForWavesPerEU: 18
; NumVGPRsForWavesPerEU: 22
; Occupancy: 16
; WaveLimiterHint : 1
; COMPUTE_PGM_RSRC2:SCRATCH_EN: 0
; COMPUTE_PGM_RSRC2:USER_SGPR: 15
; COMPUTE_PGM_RSRC2:TRAP_HANDLER: 0
; COMPUTE_PGM_RSRC2:TGID_X_EN: 1
; COMPUTE_PGM_RSRC2:TGID_Y_EN: 0
; COMPUTE_PGM_RSRC2:TGID_Z_EN: 0
; COMPUTE_PGM_RSRC2:TIDIG_COMP_CNT: 0
	.section	.text._ZN2at6native27unrolled_elementwise_kernelIZZZNS0_21clamp_max_kernel_cudaERNS_18TensorIteratorBaseERKN3c106ScalarEENKUlvE_clEvENKUlvE4_clEvEUldE_St5arrayIPcLm2EELi4E23TrivialOffsetCalculatorILi1EjESF_NS0_6memory15LoadWithoutCastENSG_16StoreWithoutCastEEEviT_T0_T2_T3_T4_T5_,"axG",@progbits,_ZN2at6native27unrolled_elementwise_kernelIZZZNS0_21clamp_max_kernel_cudaERNS_18TensorIteratorBaseERKN3c106ScalarEENKUlvE_clEvENKUlvE4_clEvEUldE_St5arrayIPcLm2EELi4E23TrivialOffsetCalculatorILi1EjESF_NS0_6memory15LoadWithoutCastENSG_16StoreWithoutCastEEEviT_T0_T2_T3_T4_T5_,comdat
	.globl	_ZN2at6native27unrolled_elementwise_kernelIZZZNS0_21clamp_max_kernel_cudaERNS_18TensorIteratorBaseERKN3c106ScalarEENKUlvE_clEvENKUlvE4_clEvEUldE_St5arrayIPcLm2EELi4E23TrivialOffsetCalculatorILi1EjESF_NS0_6memory15LoadWithoutCastENSG_16StoreWithoutCastEEEviT_T0_T2_T3_T4_T5_ ; -- Begin function _ZN2at6native27unrolled_elementwise_kernelIZZZNS0_21clamp_max_kernel_cudaERNS_18TensorIteratorBaseERKN3c106ScalarEENKUlvE_clEvENKUlvE4_clEvEUldE_St5arrayIPcLm2EELi4E23TrivialOffsetCalculatorILi1EjESF_NS0_6memory15LoadWithoutCastENSG_16StoreWithoutCastEEEviT_T0_T2_T3_T4_T5_
	.p2align	8
	.type	_ZN2at6native27unrolled_elementwise_kernelIZZZNS0_21clamp_max_kernel_cudaERNS_18TensorIteratorBaseERKN3c106ScalarEENKUlvE_clEvENKUlvE4_clEvEUldE_St5arrayIPcLm2EELi4E23TrivialOffsetCalculatorILi1EjESF_NS0_6memory15LoadWithoutCastENSG_16StoreWithoutCastEEEviT_T0_T2_T3_T4_T5_,@function
_ZN2at6native27unrolled_elementwise_kernelIZZZNS0_21clamp_max_kernel_cudaERNS_18TensorIteratorBaseERKN3c106ScalarEENKUlvE_clEvENKUlvE4_clEvEUldE_St5arrayIPcLm2EELi4E23TrivialOffsetCalculatorILi1EjESF_NS0_6memory15LoadWithoutCastENSG_16StoreWithoutCastEEEviT_T0_T2_T3_T4_T5_: ; @_ZN2at6native27unrolled_elementwise_kernelIZZZNS0_21clamp_max_kernel_cudaERNS_18TensorIteratorBaseERKN3c106ScalarEENKUlvE_clEvENKUlvE4_clEvEUldE_St5arrayIPcLm2EELi4E23TrivialOffsetCalculatorILi1EjESF_NS0_6memory15LoadWithoutCastENSG_16StoreWithoutCastEEEviT_T0_T2_T3_T4_T5_
; %bb.0:
	s_clause 0x1
	s_load_b32 s2, s[0:1], 0x0
	s_load_b64 s[8:9], s[0:1], 0x18
	v_dual_mov_b32 v3, 0 :: v_dual_mov_b32 v2, v0
	v_mov_b32_e32 v4, 0
	s_lshl_b32 s10, s15, 10
	v_or_b32_e32 v15, 0x100, v0
	v_or_b32_e32 v1, s10, v0
	s_delay_alu instid0(VALU_DEP_3) | instskip(SKIP_2) | instid1(SALU_CYCLE_1)
	v_dual_mov_b32 v6, v4 :: v_dual_mov_b32 v5, v3
	s_waitcnt lgkmcnt(0)
	s_sub_i32 s11, s2, s10
	v_cmp_gt_i32_e32 vcc_lo, s11, v0
	s_and_saveexec_b32 s3, vcc_lo
	s_cbranch_execz .LBB462_2
; %bb.1:
	v_mov_b32_e32 v2, 0
	s_delay_alu instid0(VALU_DEP_1) | instskip(SKIP_1) | instid1(VALU_DEP_2)
	v_lshlrev_b64 v[5:6], 3, v[1:2]
	v_or_b32_e32 v2, 0x100, v0
	v_add_co_u32 v5, s2, s8, v5
	s_delay_alu instid0(VALU_DEP_1)
	v_add_co_ci_u32_e64 v6, s2, s9, v6, s2
	global_load_b64 v[5:6], v[5:6], off
.LBB462_2:
	s_or_b32 exec_lo, exec_lo, s3
	s_load_b128 s[4:7], s[0:1], 0x8
	s_mov_b32 s1, exec_lo
	v_cmpx_gt_i32_e64 s11, v2
	s_cbranch_execz .LBB462_4
; %bb.3:
	v_dual_mov_b32 v4, 0 :: v_dual_add_nc_u32 v3, s10, v2
	v_add_nc_u32_e32 v2, 0x100, v2
	s_delay_alu instid0(VALU_DEP_2) | instskip(NEXT) | instid1(VALU_DEP_1)
	v_lshlrev_b64 v[3:4], 3, v[3:4]
	v_add_co_u32 v3, s0, s8, v3
	s_delay_alu instid0(VALU_DEP_1)
	v_add_co_ci_u32_e64 v4, s0, s9, v4, s0
	global_load_b64 v[3:4], v[3:4], off
.LBB462_4:
	s_or_b32 exec_lo, exec_lo, s1
	v_mov_b32_e32 v7, 0
	v_mov_b32_e32 v8, 0
	s_mov_b32 s1, exec_lo
	s_delay_alu instid0(VALU_DEP_1)
	v_dual_mov_b32 v10, v8 :: v_dual_mov_b32 v9, v7
	v_cmpx_gt_i32_e64 s11, v2
	s_cbranch_execz .LBB462_6
; %bb.5:
	v_dual_mov_b32 v10, 0 :: v_dual_add_nc_u32 v9, s10, v2
	v_add_nc_u32_e32 v2, 0x100, v2
	s_delay_alu instid0(VALU_DEP_2) | instskip(NEXT) | instid1(VALU_DEP_1)
	v_lshlrev_b64 v[9:10], 3, v[9:10]
	v_add_co_u32 v9, s0, s8, v9
	s_delay_alu instid0(VALU_DEP_1)
	v_add_co_ci_u32_e64 v10, s0, s9, v10, s0
	global_load_b64 v[9:10], v[9:10], off
.LBB462_6:
	s_or_b32 exec_lo, exec_lo, s1
	s_delay_alu instid0(SALU_CYCLE_1)
	s_mov_b32 s1, exec_lo
	v_cmpx_gt_i32_e64 s11, v2
	s_cbranch_execz .LBB462_8
; %bb.7:
	v_dual_mov_b32 v8, 0 :: v_dual_add_nc_u32 v7, s10, v2
	s_delay_alu instid0(VALU_DEP_1) | instskip(NEXT) | instid1(VALU_DEP_1)
	v_lshlrev_b64 v[7:8], 3, v[7:8]
	v_add_co_u32 v7, s0, s8, v7
	s_delay_alu instid0(VALU_DEP_1)
	v_add_co_ci_u32_e64 v8, s0, s9, v8, s0
	global_load_b64 v[7:8], v[7:8], off
.LBB462_8:
	s_or_b32 exec_lo, exec_lo, s1
	s_waitcnt lgkmcnt(0)
	v_max_f64 v[11:12], s[4:5], s[4:5]
	s_waitcnt vmcnt(0)
	v_max_f64 v[13:14], v[5:6], v[5:6]
	v_max_f64 v[16:17], v[3:4], v[3:4]
	;; [unrolled: 1-line block ×4, first 2 shown]
	v_cmp_u_f64_e64 s0, v[5:6], v[5:6]
	v_cmp_u_f64_e64 s1, v[3:4], v[3:4]
	;; [unrolled: 1-line block ×4, first 2 shown]
	v_min_f64 v[13:14], v[13:14], v[11:12]
	v_min_f64 v[16:17], v[16:17], v[11:12]
	;; [unrolled: 1-line block ×4, first 2 shown]
	s_delay_alu instid0(VALU_DEP_4)
	v_cndmask_b32_e64 v14, v14, v6, s0
	v_cndmask_b32_e64 v13, v13, v5, s0
	;; [unrolled: 1-line block ×8, first 2 shown]
	s_and_saveexec_b32 s0, vcc_lo
	s_cbranch_execnz .LBB462_13
; %bb.9:
	s_or_b32 exec_lo, exec_lo, s0
	s_delay_alu instid0(SALU_CYCLE_1)
	s_mov_b32 s0, exec_lo
	v_cmpx_gt_i32_e64 s11, v0
	s_cbranch_execnz .LBB462_14
.LBB462_10:
	s_or_b32 exec_lo, exec_lo, s0
	s_delay_alu instid0(SALU_CYCLE_1)
	s_mov_b32 s0, exec_lo
	v_cmpx_gt_i32_e64 s11, v0
	s_cbranch_execnz .LBB462_15
.LBB462_11:
	s_or_b32 exec_lo, exec_lo, s0
	s_delay_alu instid0(SALU_CYCLE_1)
	s_mov_b32 s0, exec_lo
	v_cmpx_gt_i32_e64 s11, v0
	s_cbranch_execnz .LBB462_16
.LBB462_12:
	s_nop 0
	s_sendmsg sendmsg(MSG_DEALLOC_VGPRS)
	s_endpgm
.LBB462_13:
	v_mov_b32_e32 v2, 0
	s_delay_alu instid0(VALU_DEP_1) | instskip(NEXT) | instid1(VALU_DEP_1)
	v_lshlrev_b64 v[0:1], 3, v[1:2]
	v_add_co_u32 v7, vcc_lo, s6, v0
	s_delay_alu instid0(VALU_DEP_2) | instskip(SKIP_3) | instid1(SALU_CYCLE_1)
	v_add_co_ci_u32_e32 v8, vcc_lo, s7, v1, vcc_lo
	v_mov_b32_e32 v0, v15
	global_store_b64 v[7:8], v[13:14], off
	s_or_b32 exec_lo, exec_lo, s0
	s_mov_b32 s0, exec_lo
	v_cmpx_gt_i32_e64 s11, v0
	s_cbranch_execz .LBB462_10
.LBB462_14:
	v_dual_mov_b32 v2, 0 :: v_dual_add_nc_u32 v1, s10, v0
	v_add_nc_u32_e32 v0, 0x100, v0
	s_delay_alu instid0(VALU_DEP_2) | instskip(NEXT) | instid1(VALU_DEP_1)
	v_lshlrev_b64 v[1:2], 3, v[1:2]
	v_add_co_u32 v1, vcc_lo, s6, v1
	s_delay_alu instid0(VALU_DEP_2) | instskip(SKIP_2) | instid1(SALU_CYCLE_1)
	v_add_co_ci_u32_e32 v2, vcc_lo, s7, v2, vcc_lo
	global_store_b64 v[1:2], v[11:12], off
	s_or_b32 exec_lo, exec_lo, s0
	s_mov_b32 s0, exec_lo
	v_cmpx_gt_i32_e64 s11, v0
	s_cbranch_execz .LBB462_11
.LBB462_15:
	v_dual_mov_b32 v2, 0 :: v_dual_add_nc_u32 v1, s10, v0
	v_add_nc_u32_e32 v0, 0x100, v0
	s_delay_alu instid0(VALU_DEP_2) | instskip(NEXT) | instid1(VALU_DEP_1)
	v_lshlrev_b64 v[1:2], 3, v[1:2]
	v_add_co_u32 v1, vcc_lo, s6, v1
	s_delay_alu instid0(VALU_DEP_2) | instskip(SKIP_2) | instid1(SALU_CYCLE_1)
	v_add_co_ci_u32_e32 v2, vcc_lo, s7, v2, vcc_lo
	global_store_b64 v[1:2], v[5:6], off
	s_or_b32 exec_lo, exec_lo, s0
	s_mov_b32 s0, exec_lo
	v_cmpx_gt_i32_e64 s11, v0
	s_cbranch_execz .LBB462_12
.LBB462_16:
	v_dual_mov_b32 v1, 0 :: v_dual_add_nc_u32 v0, s10, v0
	s_delay_alu instid0(VALU_DEP_1) | instskip(NEXT) | instid1(VALU_DEP_1)
	v_lshlrev_b64 v[0:1], 3, v[0:1]
	v_add_co_u32 v0, vcc_lo, s6, v0
	s_delay_alu instid0(VALU_DEP_2)
	v_add_co_ci_u32_e32 v1, vcc_lo, s7, v1, vcc_lo
	global_store_b64 v[0:1], v[3:4], off
	s_nop 0
	s_sendmsg sendmsg(MSG_DEALLOC_VGPRS)
	s_endpgm
	.section	.rodata,"a",@progbits
	.p2align	6, 0x0
	.amdhsa_kernel _ZN2at6native27unrolled_elementwise_kernelIZZZNS0_21clamp_max_kernel_cudaERNS_18TensorIteratorBaseERKN3c106ScalarEENKUlvE_clEvENKUlvE4_clEvEUldE_St5arrayIPcLm2EELi4E23TrivialOffsetCalculatorILi1EjESF_NS0_6memory15LoadWithoutCastENSG_16StoreWithoutCastEEEviT_T0_T2_T3_T4_T5_
		.amdhsa_group_segment_fixed_size 0
		.amdhsa_private_segment_fixed_size 0
		.amdhsa_kernarg_size 36
		.amdhsa_user_sgpr_count 15
		.amdhsa_user_sgpr_dispatch_ptr 0
		.amdhsa_user_sgpr_queue_ptr 0
		.amdhsa_user_sgpr_kernarg_segment_ptr 1
		.amdhsa_user_sgpr_dispatch_id 0
		.amdhsa_user_sgpr_private_segment_size 0
		.amdhsa_wavefront_size32 1
		.amdhsa_uses_dynamic_stack 0
		.amdhsa_enable_private_segment 0
		.amdhsa_system_sgpr_workgroup_id_x 1
		.amdhsa_system_sgpr_workgroup_id_y 0
		.amdhsa_system_sgpr_workgroup_id_z 0
		.amdhsa_system_sgpr_workgroup_info 0
		.amdhsa_system_vgpr_workitem_id 0
		.amdhsa_next_free_vgpr 22
		.amdhsa_next_free_sgpr 16
		.amdhsa_reserve_vcc 1
		.amdhsa_float_round_mode_32 0
		.amdhsa_float_round_mode_16_64 0
		.amdhsa_float_denorm_mode_32 3
		.amdhsa_float_denorm_mode_16_64 3
		.amdhsa_dx10_clamp 1
		.amdhsa_ieee_mode 1
		.amdhsa_fp16_overflow 0
		.amdhsa_workgroup_processor_mode 1
		.amdhsa_memory_ordered 1
		.amdhsa_forward_progress 0
		.amdhsa_shared_vgpr_count 0
		.amdhsa_exception_fp_ieee_invalid_op 0
		.amdhsa_exception_fp_denorm_src 0
		.amdhsa_exception_fp_ieee_div_zero 0
		.amdhsa_exception_fp_ieee_overflow 0
		.amdhsa_exception_fp_ieee_underflow 0
		.amdhsa_exception_fp_ieee_inexact 0
		.amdhsa_exception_int_div_zero 0
	.end_amdhsa_kernel
	.section	.text._ZN2at6native27unrolled_elementwise_kernelIZZZNS0_21clamp_max_kernel_cudaERNS_18TensorIteratorBaseERKN3c106ScalarEENKUlvE_clEvENKUlvE4_clEvEUldE_St5arrayIPcLm2EELi4E23TrivialOffsetCalculatorILi1EjESF_NS0_6memory15LoadWithoutCastENSG_16StoreWithoutCastEEEviT_T0_T2_T3_T4_T5_,"axG",@progbits,_ZN2at6native27unrolled_elementwise_kernelIZZZNS0_21clamp_max_kernel_cudaERNS_18TensorIteratorBaseERKN3c106ScalarEENKUlvE_clEvENKUlvE4_clEvEUldE_St5arrayIPcLm2EELi4E23TrivialOffsetCalculatorILi1EjESF_NS0_6memory15LoadWithoutCastENSG_16StoreWithoutCastEEEviT_T0_T2_T3_T4_T5_,comdat
.Lfunc_end462:
	.size	_ZN2at6native27unrolled_elementwise_kernelIZZZNS0_21clamp_max_kernel_cudaERNS_18TensorIteratorBaseERKN3c106ScalarEENKUlvE_clEvENKUlvE4_clEvEUldE_St5arrayIPcLm2EELi4E23TrivialOffsetCalculatorILi1EjESF_NS0_6memory15LoadWithoutCastENSG_16StoreWithoutCastEEEviT_T0_T2_T3_T4_T5_, .Lfunc_end462-_ZN2at6native27unrolled_elementwise_kernelIZZZNS0_21clamp_max_kernel_cudaERNS_18TensorIteratorBaseERKN3c106ScalarEENKUlvE_clEvENKUlvE4_clEvEUldE_St5arrayIPcLm2EELi4E23TrivialOffsetCalculatorILi1EjESF_NS0_6memory15LoadWithoutCastENSG_16StoreWithoutCastEEEviT_T0_T2_T3_T4_T5_
                                        ; -- End function
	.section	.AMDGPU.csdata,"",@progbits
; Kernel info:
; codeLenInByte = 924
; NumSgprs: 18
; NumVgprs: 22
; ScratchSize: 0
; MemoryBound: 0
; FloatMode: 240
; IeeeMode: 1
; LDSByteSize: 0 bytes/workgroup (compile time only)
; SGPRBlocks: 2
; VGPRBlocks: 2
; NumSGPRsForWavesPerEU: 18
; NumVGPRsForWavesPerEU: 22
; Occupancy: 16
; WaveLimiterHint : 0
; COMPUTE_PGM_RSRC2:SCRATCH_EN: 0
; COMPUTE_PGM_RSRC2:USER_SGPR: 15
; COMPUTE_PGM_RSRC2:TRAP_HANDLER: 0
; COMPUTE_PGM_RSRC2:TGID_X_EN: 1
; COMPUTE_PGM_RSRC2:TGID_Y_EN: 0
; COMPUTE_PGM_RSRC2:TGID_Z_EN: 0
; COMPUTE_PGM_RSRC2:TIDIG_COMP_CNT: 0
	.section	.text._ZN2at6native32elementwise_kernel_manual_unrollILi128ELi4EZNS0_22gpu_kernel_impl_nocastIZZZNS0_21clamp_max_kernel_cudaERNS_18TensorIteratorBaseERKN3c106ScalarEENKUlvE_clEvENKUlvE4_clEvEUldE_EEvS4_RKT_EUlibE_EEviT1_,"axG",@progbits,_ZN2at6native32elementwise_kernel_manual_unrollILi128ELi4EZNS0_22gpu_kernel_impl_nocastIZZZNS0_21clamp_max_kernel_cudaERNS_18TensorIteratorBaseERKN3c106ScalarEENKUlvE_clEvENKUlvE4_clEvEUldE_EEvS4_RKT_EUlibE_EEviT1_,comdat
	.globl	_ZN2at6native32elementwise_kernel_manual_unrollILi128ELi4EZNS0_22gpu_kernel_impl_nocastIZZZNS0_21clamp_max_kernel_cudaERNS_18TensorIteratorBaseERKN3c106ScalarEENKUlvE_clEvENKUlvE4_clEvEUldE_EEvS4_RKT_EUlibE_EEviT1_ ; -- Begin function _ZN2at6native32elementwise_kernel_manual_unrollILi128ELi4EZNS0_22gpu_kernel_impl_nocastIZZZNS0_21clamp_max_kernel_cudaERNS_18TensorIteratorBaseERKN3c106ScalarEENKUlvE_clEvENKUlvE4_clEvEUldE_EEvS4_RKT_EUlibE_EEviT1_
	.p2align	8
	.type	_ZN2at6native32elementwise_kernel_manual_unrollILi128ELi4EZNS0_22gpu_kernel_impl_nocastIZZZNS0_21clamp_max_kernel_cudaERNS_18TensorIteratorBaseERKN3c106ScalarEENKUlvE_clEvENKUlvE4_clEvEUldE_EEvS4_RKT_EUlibE_EEviT1_,@function
_ZN2at6native32elementwise_kernel_manual_unrollILi128ELi4EZNS0_22gpu_kernel_impl_nocastIZZZNS0_21clamp_max_kernel_cudaERNS_18TensorIteratorBaseERKN3c106ScalarEENKUlvE_clEvENKUlvE4_clEvEUldE_EEvS4_RKT_EUlibE_EEviT1_: ; @_ZN2at6native32elementwise_kernel_manual_unrollILi128ELi4EZNS0_22gpu_kernel_impl_nocastIZZZNS0_21clamp_max_kernel_cudaERNS_18TensorIteratorBaseERKN3c106ScalarEENKUlvE_clEvENKUlvE4_clEvEUldE_EEvS4_RKT_EUlibE_EEviT1_
; %bb.0:
	s_clause 0x1
	s_load_b32 s24, s[0:1], 0x8
	s_load_b32 s29, s[0:1], 0x0
	v_lshl_or_b32 v4, s15, 9, v0
	s_or_b32 s0, s0, 8
	s_mov_b32 s2, exec_lo
	s_delay_alu instid0(VALU_DEP_1) | instskip(SKIP_2) | instid1(SALU_CYCLE_1)
	v_or_b32_e32 v8, 0x180, v4
	s_waitcnt lgkmcnt(0)
	s_add_i32 s25, s24, -1
	s_cmp_gt_u32 s25, 1
	s_cselect_b32 s26, -1, 0
	v_cmpx_le_i32_e64 s29, v8
	s_xor_b32 s27, exec_lo, s2
	s_cbranch_execz .LBB463_7
; %bb.1:
	s_clause 0x4
	s_load_b128 s[8:11], s[0:1], 0x4
	s_load_b64 s[16:17], s[0:1], 0x14
	s_load_b64 s[2:3], s[0:1], 0x158
	s_load_b128 s[12:15], s[0:1], 0xc4
	s_load_b128 s[4:7], s[0:1], 0x148
	s_cmp_lg_u32 s24, 0
	s_mov_b32 s33, exec_lo
	s_cselect_b32 s31, -1, 0
	s_add_u32 s18, s0, 0xc4
	s_addc_u32 s19, s1, 0
	s_min_u32 s30, s25, 15
	s_cmp_gt_u32 s24, 1
	s_cselect_b32 s28, -1, 0
	v_cmpx_gt_i32_e64 s29, v4
	s_cbranch_execz .LBB463_14
; %bb.2:
	s_and_not1_b32 vcc_lo, exec_lo, s26
	s_cbranch_vccnz .LBB463_21
; %bb.3:
	v_dual_mov_b32 v0, 0 :: v_dual_mov_b32 v1, 0
	s_and_not1_b32 vcc_lo, exec_lo, s31
	s_mov_b32 s34, 0
	s_cbranch_vccnz .LBB463_73
; %bb.4:
	v_mov_b32_e32 v0, 0
	s_add_i32 s36, s30, 1
	s_cmp_eq_u32 s25, 2
	s_mov_b32 s35, 0
	s_cbranch_scc1 .LBB463_69
; %bb.5:
	v_dual_mov_b32 v1, 0 :: v_dual_mov_b32 v0, 0
	v_mov_b32_e32 v2, v4
	s_and_b32 s35, s36, 28
	s_mov_b32 s37, 0
	s_mov_b64 s[20:21], s[18:19]
	s_mov_b64 s[22:23], s[0:1]
.LBB463_6:                              ; =>This Inner Loop Header: Depth=1
	s_clause 0x1
	s_load_b256 s[40:47], s[22:23], 0x4
	s_load_b128 s[56:59], s[22:23], 0x24
	s_load_b256 s[48:55], s[20:21], 0x0
	s_add_u32 s22, s22, 48
	s_addc_u32 s23, s23, 0
	s_add_i32 s37, s37, 4
	s_add_u32 s20, s20, 32
	s_addc_u32 s21, s21, 0
	s_cmp_lg_u32 s35, s37
	s_waitcnt lgkmcnt(0)
	v_mul_hi_u32 v3, s41, v2
	s_delay_alu instid0(VALU_DEP_1) | instskip(NEXT) | instid1(VALU_DEP_1)
	v_add_nc_u32_e32 v3, v2, v3
	v_lshrrev_b32_e32 v3, s42, v3
	s_delay_alu instid0(VALU_DEP_1) | instskip(SKIP_1) | instid1(VALU_DEP_2)
	v_mul_hi_u32 v5, s44, v3
	v_mul_lo_u32 v7, v3, s40
	v_add_nc_u32_e32 v5, v3, v5
	s_delay_alu instid0(VALU_DEP_2) | instskip(NEXT) | instid1(VALU_DEP_2)
	v_sub_nc_u32_e32 v2, v2, v7
	v_lshrrev_b32_e32 v5, s45, v5
	s_delay_alu instid0(VALU_DEP_2) | instskip(SKIP_1) | instid1(VALU_DEP_3)
	v_mul_lo_u32 v7, v2, s48
	v_mul_lo_u32 v9, v2, s49
	v_mul_hi_u32 v6, s47, v5
	s_delay_alu instid0(VALU_DEP_1) | instskip(NEXT) | instid1(VALU_DEP_1)
	v_add_nc_u32_e32 v6, v5, v6
	v_lshrrev_b32_e32 v6, s56, v6
	s_delay_alu instid0(VALU_DEP_1) | instskip(SKIP_1) | instid1(VALU_DEP_2)
	v_mul_hi_u32 v8, s58, v6
	v_mul_lo_u32 v10, v6, s46
	v_add_nc_u32_e32 v2, v6, v8
	v_mul_lo_u32 v8, v5, s43
	s_delay_alu instid0(VALU_DEP_3) | instskip(NEXT) | instid1(VALU_DEP_3)
	v_sub_nc_u32_e32 v5, v5, v10
	v_lshrrev_b32_e32 v2, s59, v2
	s_delay_alu instid0(VALU_DEP_2) | instskip(SKIP_2) | instid1(VALU_DEP_4)
	v_mul_lo_u32 v10, v5, s52
	v_mul_lo_u32 v5, v5, s53
	v_sub_nc_u32_e32 v3, v3, v8
	v_mul_lo_u32 v11, v2, s57
	s_delay_alu instid0(VALU_DEP_2) | instskip(SKIP_1) | instid1(VALU_DEP_3)
	v_mul_lo_u32 v8, v3, s50
	v_mul_lo_u32 v3, v3, s51
	v_sub_nc_u32_e32 v6, v6, v11
	s_delay_alu instid0(VALU_DEP_3) | instskip(NEXT) | instid1(VALU_DEP_2)
	v_add3_u32 v0, v7, v0, v8
	v_mul_lo_u32 v11, v6, s54
	v_mul_lo_u32 v6, v6, s55
	v_add3_u32 v1, v9, v1, v3
	s_delay_alu instid0(VALU_DEP_3) | instskip(NEXT) | instid1(VALU_DEP_2)
	v_add3_u32 v0, v10, v0, v11
	v_add3_u32 v1, v5, v1, v6
	s_cbranch_scc1 .LBB463_6
	s_branch .LBB463_70
.LBB463_7:
	s_and_not1_saveexec_b32 s2, s27
	s_cbranch_execz .LBB463_94
.LBB463_8:
	v_cndmask_b32_e64 v6, 0, 1, s26
	s_and_not1_b32 vcc_lo, exec_lo, s26
	s_cbranch_vccnz .LBB463_20
; %bb.9:
	v_dual_mov_b32 v0, 0 :: v_dual_mov_b32 v1, 0
	s_cmp_lg_u32 s24, 0
	s_mov_b32 s6, 0
	s_cbranch_scc0 .LBB463_26
; %bb.10:
	s_min_u32 s7, s25, 15
	v_mov_b32_e32 v0, 0
	s_add_i32 s7, s7, 1
	s_cmp_eq_u32 s25, 2
	s_mov_b32 s8, 0
	s_cbranch_scc1 .LBB463_23
; %bb.11:
	v_dual_mov_b32 v1, 0 :: v_dual_mov_b32 v0, 0
	v_mov_b32_e32 v2, v4
	s_add_u32 s2, s0, 0xc4
	s_addc_u32 s3, s1, 0
	s_and_b32 s8, s7, 28
	s_mov_b32 s9, 0
	s_mov_b64 s[4:5], s[0:1]
.LBB463_12:                             ; =>This Inner Loop Header: Depth=1
	s_clause 0x1
	s_load_b256 s[12:19], s[4:5], 0x4
	s_load_b128 s[20:23], s[4:5], 0x24
	s_load_b256 s[36:43], s[2:3], 0x0
	s_add_u32 s4, s4, 48
	s_addc_u32 s5, s5, 0
	s_add_i32 s9, s9, 4
	s_add_u32 s2, s2, 32
	s_addc_u32 s3, s3, 0
	s_cmp_lg_u32 s8, s9
	s_waitcnt lgkmcnt(0)
	v_mul_hi_u32 v3, s13, v2
	s_delay_alu instid0(VALU_DEP_1) | instskip(NEXT) | instid1(VALU_DEP_1)
	v_add_nc_u32_e32 v3, v2, v3
	v_lshrrev_b32_e32 v3, s14, v3
	s_delay_alu instid0(VALU_DEP_1) | instskip(SKIP_1) | instid1(VALU_DEP_2)
	v_mul_hi_u32 v5, s16, v3
	v_mul_lo_u32 v9, v3, s12
	v_add_nc_u32_e32 v5, v3, v5
	s_delay_alu instid0(VALU_DEP_2) | instskip(NEXT) | instid1(VALU_DEP_2)
	v_sub_nc_u32_e32 v2, v2, v9
	v_lshrrev_b32_e32 v5, s17, v5
	s_delay_alu instid0(VALU_DEP_2) | instskip(SKIP_1) | instid1(VALU_DEP_3)
	v_mul_lo_u32 v9, v2, s36
	v_mul_lo_u32 v11, v2, s37
	v_mul_hi_u32 v7, s19, v5
	s_delay_alu instid0(VALU_DEP_1) | instskip(NEXT) | instid1(VALU_DEP_1)
	v_add_nc_u32_e32 v7, v5, v7
	v_lshrrev_b32_e32 v7, s20, v7
	s_delay_alu instid0(VALU_DEP_1) | instskip(SKIP_1) | instid1(VALU_DEP_2)
	v_mul_hi_u32 v10, s22, v7
	v_mul_lo_u32 v12, v7, s18
	v_add_nc_u32_e32 v2, v7, v10
	v_mul_lo_u32 v10, v5, s15
	s_delay_alu instid0(VALU_DEP_3) | instskip(NEXT) | instid1(VALU_DEP_3)
	v_sub_nc_u32_e32 v5, v5, v12
	v_lshrrev_b32_e32 v2, s23, v2
	s_delay_alu instid0(VALU_DEP_2) | instskip(SKIP_2) | instid1(VALU_DEP_4)
	v_mul_lo_u32 v12, v5, s40
	v_mul_lo_u32 v5, v5, s41
	v_sub_nc_u32_e32 v3, v3, v10
	v_mul_lo_u32 v13, v2, s21
	s_delay_alu instid0(VALU_DEP_2) | instskip(SKIP_1) | instid1(VALU_DEP_3)
	v_mul_lo_u32 v10, v3, s38
	v_mul_lo_u32 v3, v3, s39
	v_sub_nc_u32_e32 v7, v7, v13
	s_delay_alu instid0(VALU_DEP_3) | instskip(NEXT) | instid1(VALU_DEP_2)
	v_add3_u32 v0, v9, v0, v10
	v_mul_lo_u32 v13, v7, s42
	v_mul_lo_u32 v7, v7, s43
	v_add3_u32 v1, v11, v1, v3
	s_delay_alu instid0(VALU_DEP_3) | instskip(NEXT) | instid1(VALU_DEP_2)
	v_add3_u32 v0, v12, v0, v13
	v_add3_u32 v1, v5, v1, v7
	s_cbranch_scc1 .LBB463_12
; %bb.13:
	s_and_b32 s7, s7, 3
	s_delay_alu instid0(SALU_CYCLE_1)
	s_cmp_eq_u32 s7, 0
	s_cbranch_scc0 .LBB463_24
	s_branch .LBB463_26
.LBB463_14:
	s_or_b32 exec_lo, exec_lo, s33
	s_delay_alu instid0(SALU_CYCLE_1)
	s_mov_b32 s33, exec_lo
	v_cmpx_gt_i32_e64 s29, v4
	s_cbranch_execz .LBB463_77
.LBB463_15:
	s_and_not1_b32 vcc_lo, exec_lo, s26
	s_cbranch_vccnz .LBB463_22
; %bb.16:
	v_dual_mov_b32 v0, 0 :: v_dual_mov_b32 v1, 0
	s_and_not1_b32 vcc_lo, exec_lo, s31
	s_mov_b32 s34, 0
	s_cbranch_vccnz .LBB463_88
; %bb.17:
	v_mov_b32_e32 v0, 0
	s_add_i32 s36, s30, 1
	s_cmp_eq_u32 s25, 2
	s_mov_b32 s35, 0
	s_cbranch_scc1 .LBB463_84
; %bb.18:
	v_dual_mov_b32 v1, 0 :: v_dual_mov_b32 v0, 0
	v_mov_b32_e32 v2, v4
	s_and_b32 s35, s36, 28
	s_mov_b32 s37, 0
	s_mov_b64 s[20:21], s[18:19]
	s_mov_b64 s[22:23], s[0:1]
.LBB463_19:                             ; =>This Inner Loop Header: Depth=1
	s_clause 0x1
	s_load_b256 s[40:47], s[22:23], 0x4
	s_load_b128 s[56:59], s[22:23], 0x24
	s_load_b256 s[48:55], s[20:21], 0x0
	s_add_u32 s22, s22, 48
	s_addc_u32 s23, s23, 0
	s_add_i32 s37, s37, 4
	s_add_u32 s20, s20, 32
	s_addc_u32 s21, s21, 0
	s_cmp_eq_u32 s35, s37
	s_waitcnt lgkmcnt(0)
	v_mul_hi_u32 v3, s41, v2
	s_delay_alu instid0(VALU_DEP_1) | instskip(NEXT) | instid1(VALU_DEP_1)
	v_add_nc_u32_e32 v3, v2, v3
	v_lshrrev_b32_e32 v3, s42, v3
	s_delay_alu instid0(VALU_DEP_1) | instskip(SKIP_1) | instid1(VALU_DEP_2)
	v_mul_hi_u32 v5, s44, v3
	v_mul_lo_u32 v7, v3, s40
	v_add_nc_u32_e32 v5, v3, v5
	s_delay_alu instid0(VALU_DEP_2) | instskip(NEXT) | instid1(VALU_DEP_2)
	v_sub_nc_u32_e32 v2, v2, v7
	v_lshrrev_b32_e32 v5, s45, v5
	s_delay_alu instid0(VALU_DEP_2) | instskip(SKIP_1) | instid1(VALU_DEP_3)
	v_mul_lo_u32 v7, v2, s48
	v_mul_lo_u32 v9, v2, s49
	v_mul_hi_u32 v6, s47, v5
	s_delay_alu instid0(VALU_DEP_1) | instskip(NEXT) | instid1(VALU_DEP_1)
	v_add_nc_u32_e32 v6, v5, v6
	v_lshrrev_b32_e32 v6, s56, v6
	s_delay_alu instid0(VALU_DEP_1) | instskip(SKIP_1) | instid1(VALU_DEP_2)
	v_mul_hi_u32 v8, s58, v6
	v_mul_lo_u32 v10, v6, s46
	v_add_nc_u32_e32 v2, v6, v8
	v_mul_lo_u32 v8, v5, s43
	s_delay_alu instid0(VALU_DEP_3) | instskip(NEXT) | instid1(VALU_DEP_3)
	v_sub_nc_u32_e32 v5, v5, v10
	v_lshrrev_b32_e32 v2, s59, v2
	s_delay_alu instid0(VALU_DEP_2) | instskip(SKIP_2) | instid1(VALU_DEP_4)
	v_mul_lo_u32 v10, v5, s52
	v_mul_lo_u32 v5, v5, s53
	v_sub_nc_u32_e32 v3, v3, v8
	v_mul_lo_u32 v11, v2, s57
	s_delay_alu instid0(VALU_DEP_2) | instskip(SKIP_1) | instid1(VALU_DEP_3)
	v_mul_lo_u32 v8, v3, s50
	v_mul_lo_u32 v3, v3, s51
	v_sub_nc_u32_e32 v6, v6, v11
	s_delay_alu instid0(VALU_DEP_3) | instskip(NEXT) | instid1(VALU_DEP_2)
	v_add3_u32 v0, v7, v0, v8
	v_mul_lo_u32 v11, v6, s54
	v_mul_lo_u32 v6, v6, s55
	v_add3_u32 v1, v9, v1, v3
	s_delay_alu instid0(VALU_DEP_3) | instskip(NEXT) | instid1(VALU_DEP_2)
	v_add3_u32 v0, v10, v0, v11
	v_add3_u32 v1, v5, v1, v6
	s_cbranch_scc0 .LBB463_19
	s_branch .LBB463_85
.LBB463_20:
	s_mov_b32 s6, -1
                                        ; implicit-def: $vgpr0
                                        ; implicit-def: $vgpr1
	s_branch .LBB463_26
.LBB463_21:
	s_mov_b32 s34, -1
                                        ; implicit-def: $vgpr0
                                        ; implicit-def: $vgpr1
	s_branch .LBB463_73
.LBB463_22:
	s_mov_b32 s34, -1
                                        ; implicit-def: $vgpr0
                                        ; implicit-def: $vgpr1
	s_branch .LBB463_88
.LBB463_23:
	v_dual_mov_b32 v2, v4 :: v_dual_mov_b32 v1, 0
	s_and_b32 s7, s7, 3
	s_delay_alu instid0(SALU_CYCLE_1)
	s_cmp_eq_u32 s7, 0
	s_cbranch_scc1 .LBB463_26
.LBB463_24:
	s_lshl_b32 s2, s8, 3
	s_mul_i32 s4, s8, 12
	s_add_u32 s2, s2, s0
	s_addc_u32 s3, 0, s1
	s_add_u32 s2, s2, 0xc4
	s_addc_u32 s3, s3, 0
	;; [unrolled: 2-line block ×3, first 2 shown]
	.p2align	6
.LBB463_25:                             ; =>This Inner Loop Header: Depth=1
	s_clause 0x1
	s_load_b64 s[8:9], s[4:5], 0x4
	s_load_b32 s12, s[4:5], 0xc
	s_load_b64 s[10:11], s[2:3], 0x0
	s_add_u32 s4, s4, 12
	s_addc_u32 s5, s5, 0
	s_add_u32 s2, s2, 8
	s_addc_u32 s3, s3, 0
	s_add_i32 s7, s7, -1
	s_delay_alu instid0(SALU_CYCLE_1) | instskip(SKIP_2) | instid1(VALU_DEP_1)
	s_cmp_lg_u32 s7, 0
	s_waitcnt lgkmcnt(0)
	v_mul_hi_u32 v3, s9, v2
	v_add_nc_u32_e32 v3, v2, v3
	s_delay_alu instid0(VALU_DEP_1) | instskip(NEXT) | instid1(VALU_DEP_1)
	v_lshrrev_b32_e32 v3, s12, v3
	v_mul_lo_u32 v5, v3, s8
	s_delay_alu instid0(VALU_DEP_1) | instskip(NEXT) | instid1(VALU_DEP_1)
	v_sub_nc_u32_e32 v2, v2, v5
	v_mad_u64_u32 v[9:10], null, v2, s10, v[0:1]
	v_mad_u64_u32 v[10:11], null, v2, s11, v[1:2]
	v_mov_b32_e32 v2, v3
	s_delay_alu instid0(VALU_DEP_2)
	v_dual_mov_b32 v0, v9 :: v_dual_mov_b32 v1, v10
	s_cbranch_scc1 .LBB463_25
.LBB463_26:
	s_and_not1_b32 vcc_lo, exec_lo, s6
	s_cbranch_vccnz .LBB463_29
; %bb.27:
	s_clause 0x1
	s_load_b128 s[4:7], s[0:1], 0x4
	s_load_b64 s[2:3], s[0:1], 0xc4
	s_cmp_lt_u32 s24, 2
	s_waitcnt lgkmcnt(0)
	v_mul_hi_u32 v0, s5, v4
	s_delay_alu instid0(VALU_DEP_1) | instskip(NEXT) | instid1(VALU_DEP_1)
	v_add_nc_u32_e32 v0, v4, v0
	v_lshrrev_b32_e32 v2, s6, v0
	s_delay_alu instid0(VALU_DEP_1) | instskip(NEXT) | instid1(VALU_DEP_1)
	v_mul_lo_u32 v0, v2, s4
	v_sub_nc_u32_e32 v1, v4, v0
	s_delay_alu instid0(VALU_DEP_1)
	v_mul_lo_u32 v0, v1, s2
	v_mul_lo_u32 v1, v1, s3
	s_cbranch_scc1 .LBB463_29
; %bb.28:
	s_clause 0x1
	s_load_b128 s[4:7], s[0:1], 0x10
	s_load_b64 s[2:3], s[0:1], 0xcc
	s_waitcnt lgkmcnt(0)
	v_mul_hi_u32 v3, s5, v2
	s_delay_alu instid0(VALU_DEP_1) | instskip(NEXT) | instid1(VALU_DEP_1)
	v_add_nc_u32_e32 v3, v2, v3
	v_lshrrev_b32_e32 v3, s6, v3
	s_delay_alu instid0(VALU_DEP_1) | instskip(NEXT) | instid1(VALU_DEP_1)
	v_mul_lo_u32 v3, v3, s4
	v_sub_nc_u32_e32 v5, v2, v3
	s_delay_alu instid0(VALU_DEP_1) | instskip(NEXT) | instid1(VALU_DEP_1)
	v_mad_u64_u32 v[2:3], null, v5, s2, v[0:1]
	v_mad_u64_u32 v[9:10], null, v5, s3, v[1:2]
	s_delay_alu instid0(VALU_DEP_1)
	v_dual_mov_b32 v0, v2 :: v_dual_mov_b32 v1, v9
.LBB463_29:
	v_cmp_ne_u32_e32 vcc_lo, 1, v6
	v_add_nc_u32_e32 v5, 0x80, v4
	s_cbranch_vccnz .LBB463_35
; %bb.30:
	v_dual_mov_b32 v2, 0 :: v_dual_mov_b32 v3, 0
	s_cmp_lg_u32 s24, 0
	s_mov_b32 s6, 0
	s_cbranch_scc0 .LBB463_39
; %bb.31:
	s_min_u32 s7, s25, 15
	v_mov_b32_e32 v2, 0
	s_add_i32 s7, s7, 1
	s_cmp_eq_u32 s25, 2
	s_mov_b32 s8, 0
	s_cbranch_scc1 .LBB463_36
; %bb.32:
	v_dual_mov_b32 v3, 0 :: v_dual_mov_b32 v2, 0
	v_mov_b32_e32 v7, v5
	s_add_u32 s2, s0, 0xc4
	s_addc_u32 s3, s1, 0
	s_and_b32 s8, s7, 28
	s_mov_b32 s9, 0
	s_mov_b64 s[4:5], s[0:1]
.LBB463_33:                             ; =>This Inner Loop Header: Depth=1
	s_clause 0x1
	s_load_b256 s[12:19], s[4:5], 0x4
	s_load_b128 s[20:23], s[4:5], 0x24
	s_load_b256 s[36:43], s[2:3], 0x0
	s_add_u32 s4, s4, 48
	s_addc_u32 s5, s5, 0
	s_add_i32 s9, s9, 4
	s_add_u32 s2, s2, 32
	s_addc_u32 s3, s3, 0
	s_cmp_lg_u32 s8, s9
	s_waitcnt lgkmcnt(0)
	v_mul_hi_u32 v9, s13, v7
	s_delay_alu instid0(VALU_DEP_1) | instskip(NEXT) | instid1(VALU_DEP_1)
	v_add_nc_u32_e32 v9, v7, v9
	v_lshrrev_b32_e32 v9, s14, v9
	s_delay_alu instid0(VALU_DEP_1) | instskip(SKIP_1) | instid1(VALU_DEP_2)
	v_mul_hi_u32 v10, s16, v9
	v_mul_lo_u32 v12, v9, s12
	v_add_nc_u32_e32 v10, v9, v10
	s_delay_alu instid0(VALU_DEP_2) | instskip(NEXT) | instid1(VALU_DEP_2)
	v_sub_nc_u32_e32 v7, v7, v12
	v_lshrrev_b32_e32 v10, s17, v10
	s_delay_alu instid0(VALU_DEP_2) | instskip(SKIP_1) | instid1(VALU_DEP_3)
	v_mul_lo_u32 v12, v7, s36
	v_mul_lo_u32 v14, v7, s37
	v_mul_hi_u32 v11, s19, v10
	s_delay_alu instid0(VALU_DEP_1) | instskip(NEXT) | instid1(VALU_DEP_1)
	v_add_nc_u32_e32 v11, v10, v11
	v_lshrrev_b32_e32 v11, s20, v11
	s_delay_alu instid0(VALU_DEP_1) | instskip(SKIP_1) | instid1(VALU_DEP_2)
	v_mul_hi_u32 v13, s22, v11
	v_mul_lo_u32 v15, v11, s18
	v_add_nc_u32_e32 v7, v11, v13
	v_mul_lo_u32 v13, v10, s15
	s_delay_alu instid0(VALU_DEP_3) | instskip(NEXT) | instid1(VALU_DEP_3)
	v_sub_nc_u32_e32 v10, v10, v15
	v_lshrrev_b32_e32 v7, s23, v7
	s_delay_alu instid0(VALU_DEP_2) | instskip(SKIP_2) | instid1(VALU_DEP_4)
	v_mul_lo_u32 v15, v10, s40
	v_mul_lo_u32 v10, v10, s41
	v_sub_nc_u32_e32 v9, v9, v13
	v_mul_lo_u32 v16, v7, s21
	s_delay_alu instid0(VALU_DEP_2) | instskip(SKIP_1) | instid1(VALU_DEP_3)
	v_mul_lo_u32 v13, v9, s38
	v_mul_lo_u32 v9, v9, s39
	v_sub_nc_u32_e32 v11, v11, v16
	s_delay_alu instid0(VALU_DEP_3) | instskip(NEXT) | instid1(VALU_DEP_2)
	v_add3_u32 v2, v12, v2, v13
	v_mul_lo_u32 v16, v11, s42
	v_mul_lo_u32 v11, v11, s43
	v_add3_u32 v3, v14, v3, v9
	s_delay_alu instid0(VALU_DEP_3) | instskip(NEXT) | instid1(VALU_DEP_2)
	v_add3_u32 v2, v15, v2, v16
	v_add3_u32 v3, v10, v3, v11
	s_cbranch_scc1 .LBB463_33
; %bb.34:
	s_and_b32 s7, s7, 3
	s_delay_alu instid0(SALU_CYCLE_1)
	s_cmp_eq_u32 s7, 0
	s_cbranch_scc0 .LBB463_37
	s_branch .LBB463_39
.LBB463_35:
	s_mov_b32 s6, -1
                                        ; implicit-def: $vgpr2
                                        ; implicit-def: $vgpr3
	s_branch .LBB463_39
.LBB463_36:
	v_mov_b32_e32 v7, v5
	v_mov_b32_e32 v3, 0
	s_and_b32 s7, s7, 3
	s_delay_alu instid0(SALU_CYCLE_1)
	s_cmp_eq_u32 s7, 0
	s_cbranch_scc1 .LBB463_39
.LBB463_37:
	s_lshl_b32 s2, s8, 3
	s_mul_i32 s4, s8, 12
	s_add_u32 s2, s2, s0
	s_addc_u32 s3, 0, s1
	s_add_u32 s2, s2, 0xc4
	s_addc_u32 s3, s3, 0
	;; [unrolled: 2-line block ×3, first 2 shown]
	.p2align	6
.LBB463_38:                             ; =>This Inner Loop Header: Depth=1
	s_clause 0x1
	s_load_b64 s[8:9], s[4:5], 0x4
	s_load_b32 s12, s[4:5], 0xc
	s_load_b64 s[10:11], s[2:3], 0x0
	s_add_u32 s4, s4, 12
	s_addc_u32 s5, s5, 0
	s_add_u32 s2, s2, 8
	s_addc_u32 s3, s3, 0
	s_add_i32 s7, s7, -1
	s_delay_alu instid0(SALU_CYCLE_1) | instskip(SKIP_2) | instid1(VALU_DEP_1)
	s_cmp_lg_u32 s7, 0
	s_waitcnt lgkmcnt(0)
	v_mul_hi_u32 v9, s9, v7
	v_add_nc_u32_e32 v9, v7, v9
	s_delay_alu instid0(VALU_DEP_1) | instskip(NEXT) | instid1(VALU_DEP_1)
	v_lshrrev_b32_e32 v12, s12, v9
	v_mul_lo_u32 v9, v12, s8
	s_delay_alu instid0(VALU_DEP_1) | instskip(NEXT) | instid1(VALU_DEP_1)
	v_sub_nc_u32_e32 v7, v7, v9
	v_mad_u64_u32 v[9:10], null, v7, s10, v[2:3]
	v_mad_u64_u32 v[10:11], null, v7, s11, v[3:4]
	s_delay_alu instid0(VALU_DEP_2) | instskip(NEXT) | instid1(VALU_DEP_2)
	v_dual_mov_b32 v7, v12 :: v_dual_mov_b32 v2, v9
	v_mov_b32_e32 v3, v10
	s_cbranch_scc1 .LBB463_38
.LBB463_39:
	s_and_not1_b32 vcc_lo, exec_lo, s6
	s_cbranch_vccnz .LBB463_42
; %bb.40:
	s_clause 0x1
	s_load_b128 s[4:7], s[0:1], 0x4
	s_load_b64 s[2:3], s[0:1], 0xc4
	s_cmp_lt_u32 s24, 2
	s_waitcnt lgkmcnt(0)
	v_mul_hi_u32 v2, s5, v5
	s_delay_alu instid0(VALU_DEP_1) | instskip(NEXT) | instid1(VALU_DEP_1)
	v_add_nc_u32_e32 v2, v5, v2
	v_lshrrev_b32_e32 v7, s6, v2
	s_delay_alu instid0(VALU_DEP_1) | instskip(NEXT) | instid1(VALU_DEP_1)
	v_mul_lo_u32 v2, v7, s4
	v_sub_nc_u32_e32 v3, v5, v2
	s_delay_alu instid0(VALU_DEP_1)
	v_mul_lo_u32 v2, v3, s2
	v_mul_lo_u32 v3, v3, s3
	s_cbranch_scc1 .LBB463_42
; %bb.41:
	s_clause 0x1
	s_load_b128 s[4:7], s[0:1], 0x10
	s_load_b64 s[2:3], s[0:1], 0xcc
	s_waitcnt lgkmcnt(0)
	v_mul_hi_u32 v5, s5, v7
	s_delay_alu instid0(VALU_DEP_1) | instskip(NEXT) | instid1(VALU_DEP_1)
	v_add_nc_u32_e32 v5, v7, v5
	v_lshrrev_b32_e32 v5, s6, v5
	s_delay_alu instid0(VALU_DEP_1) | instskip(NEXT) | instid1(VALU_DEP_1)
	v_mul_lo_u32 v5, v5, s4
	v_sub_nc_u32_e32 v5, v7, v5
	s_delay_alu instid0(VALU_DEP_1) | instskip(SKIP_1) | instid1(VALU_DEP_1)
	v_mad_u64_u32 v[9:10], null, v5, s2, v[2:3]
	v_mad_u64_u32 v[10:11], null, v5, s3, v[3:4]
	v_dual_mov_b32 v2, v9 :: v_dual_mov_b32 v3, v10
.LBB463_42:
	v_cmp_ne_u32_e32 vcc_lo, 1, v6
	v_add_nc_u32_e32 v7, 0x100, v4
	s_cbranch_vccnz .LBB463_48
; %bb.43:
	v_dual_mov_b32 v4, 0 :: v_dual_mov_b32 v5, 0
	s_cmp_lg_u32 s24, 0
	s_mov_b32 s6, 0
	s_cbranch_scc0 .LBB463_52
; %bb.44:
	s_min_u32 s7, s25, 15
	v_mov_b32_e32 v4, 0
	s_add_i32 s7, s7, 1
	s_cmp_eq_u32 s25, 2
	s_mov_b32 s8, 0
	s_cbranch_scc1 .LBB463_49
; %bb.45:
	v_dual_mov_b32 v5, 0 :: v_dual_mov_b32 v4, 0
	v_mov_b32_e32 v9, v7
	s_add_u32 s2, s0, 0xc4
	s_addc_u32 s3, s1, 0
	s_and_b32 s8, s7, 28
	s_mov_b32 s9, 0
	s_mov_b64 s[4:5], s[0:1]
.LBB463_46:                             ; =>This Inner Loop Header: Depth=1
	s_clause 0x1
	s_load_b256 s[12:19], s[4:5], 0x4
	s_load_b128 s[20:23], s[4:5], 0x24
	s_load_b256 s[36:43], s[2:3], 0x0
	s_add_u32 s4, s4, 48
	s_addc_u32 s5, s5, 0
	s_add_i32 s9, s9, 4
	s_add_u32 s2, s2, 32
	s_addc_u32 s3, s3, 0
	s_cmp_lg_u32 s8, s9
	s_waitcnt lgkmcnt(0)
	v_mul_hi_u32 v10, s13, v9
	s_delay_alu instid0(VALU_DEP_1) | instskip(NEXT) | instid1(VALU_DEP_1)
	v_add_nc_u32_e32 v10, v9, v10
	v_lshrrev_b32_e32 v10, s14, v10
	s_delay_alu instid0(VALU_DEP_1) | instskip(SKIP_1) | instid1(VALU_DEP_2)
	v_mul_hi_u32 v11, s16, v10
	v_mul_lo_u32 v13, v10, s12
	v_add_nc_u32_e32 v11, v10, v11
	s_delay_alu instid0(VALU_DEP_2) | instskip(NEXT) | instid1(VALU_DEP_2)
	v_sub_nc_u32_e32 v9, v9, v13
	v_lshrrev_b32_e32 v11, s17, v11
	s_delay_alu instid0(VALU_DEP_2) | instskip(SKIP_1) | instid1(VALU_DEP_3)
	v_mul_lo_u32 v13, v9, s36
	v_mul_lo_u32 v15, v9, s37
	v_mul_hi_u32 v12, s19, v11
	s_delay_alu instid0(VALU_DEP_1) | instskip(NEXT) | instid1(VALU_DEP_1)
	v_add_nc_u32_e32 v12, v11, v12
	v_lshrrev_b32_e32 v12, s20, v12
	s_delay_alu instid0(VALU_DEP_1) | instskip(SKIP_1) | instid1(VALU_DEP_2)
	v_mul_hi_u32 v14, s22, v12
	v_mul_lo_u32 v16, v12, s18
	v_add_nc_u32_e32 v9, v12, v14
	v_mul_lo_u32 v14, v11, s15
	s_delay_alu instid0(VALU_DEP_3) | instskip(NEXT) | instid1(VALU_DEP_3)
	v_sub_nc_u32_e32 v11, v11, v16
	v_lshrrev_b32_e32 v9, s23, v9
	s_delay_alu instid0(VALU_DEP_2) | instskip(SKIP_2) | instid1(VALU_DEP_4)
	v_mul_lo_u32 v16, v11, s40
	v_mul_lo_u32 v11, v11, s41
	v_sub_nc_u32_e32 v10, v10, v14
	v_mul_lo_u32 v17, v9, s21
	s_delay_alu instid0(VALU_DEP_2) | instskip(SKIP_1) | instid1(VALU_DEP_3)
	v_mul_lo_u32 v14, v10, s38
	v_mul_lo_u32 v10, v10, s39
	v_sub_nc_u32_e32 v12, v12, v17
	s_delay_alu instid0(VALU_DEP_3) | instskip(NEXT) | instid1(VALU_DEP_2)
	v_add3_u32 v4, v13, v4, v14
	v_mul_lo_u32 v17, v12, s42
	v_mul_lo_u32 v12, v12, s43
	v_add3_u32 v5, v15, v5, v10
	s_delay_alu instid0(VALU_DEP_3) | instskip(NEXT) | instid1(VALU_DEP_2)
	v_add3_u32 v4, v16, v4, v17
	v_add3_u32 v5, v11, v5, v12
	s_cbranch_scc1 .LBB463_46
; %bb.47:
	s_and_b32 s7, s7, 3
	s_delay_alu instid0(SALU_CYCLE_1)
	s_cmp_eq_u32 s7, 0
	s_cbranch_scc0 .LBB463_50
	s_branch .LBB463_52
.LBB463_48:
	s_mov_b32 s6, -1
                                        ; implicit-def: $vgpr4
                                        ; implicit-def: $vgpr5
	s_branch .LBB463_52
.LBB463_49:
	v_mov_b32_e32 v9, v7
	v_mov_b32_e32 v5, 0
	s_and_b32 s7, s7, 3
	s_delay_alu instid0(SALU_CYCLE_1)
	s_cmp_eq_u32 s7, 0
	s_cbranch_scc1 .LBB463_52
.LBB463_50:
	s_lshl_b32 s2, s8, 3
	s_mul_i32 s4, s8, 12
	s_add_u32 s2, s2, s0
	s_addc_u32 s3, 0, s1
	s_add_u32 s2, s2, 0xc4
	s_addc_u32 s3, s3, 0
	;; [unrolled: 2-line block ×3, first 2 shown]
	.p2align	6
.LBB463_51:                             ; =>This Inner Loop Header: Depth=1
	s_clause 0x1
	s_load_b64 s[8:9], s[4:5], 0x4
	s_load_b32 s12, s[4:5], 0xc
	s_load_b64 s[10:11], s[2:3], 0x0
	s_add_u32 s4, s4, 12
	s_addc_u32 s5, s5, 0
	s_add_u32 s2, s2, 8
	s_addc_u32 s3, s3, 0
	s_add_i32 s7, s7, -1
	s_delay_alu instid0(SALU_CYCLE_1) | instskip(SKIP_2) | instid1(VALU_DEP_1)
	s_cmp_lg_u32 s7, 0
	s_waitcnt lgkmcnt(0)
	v_mul_hi_u32 v10, s9, v9
	v_add_nc_u32_e32 v10, v9, v10
	s_delay_alu instid0(VALU_DEP_1) | instskip(NEXT) | instid1(VALU_DEP_1)
	v_lshrrev_b32_e32 v13, s12, v10
	v_mul_lo_u32 v10, v13, s8
	s_delay_alu instid0(VALU_DEP_1) | instskip(NEXT) | instid1(VALU_DEP_1)
	v_sub_nc_u32_e32 v9, v9, v10
	v_mad_u64_u32 v[10:11], null, v9, s10, v[4:5]
	v_mad_u64_u32 v[11:12], null, v9, s11, v[5:6]
	s_delay_alu instid0(VALU_DEP_2) | instskip(NEXT) | instid1(VALU_DEP_2)
	v_dual_mov_b32 v9, v13 :: v_dual_mov_b32 v4, v10
	v_mov_b32_e32 v5, v11
	s_cbranch_scc1 .LBB463_51
.LBB463_52:
	s_and_not1_b32 vcc_lo, exec_lo, s6
	s_cbranch_vccnz .LBB463_55
; %bb.53:
	s_clause 0x1
	s_load_b128 s[4:7], s[0:1], 0x4
	s_load_b64 s[2:3], s[0:1], 0xc4
	s_cmp_lt_u32 s24, 2
	s_waitcnt lgkmcnt(0)
	v_mul_hi_u32 v4, s5, v7
	s_delay_alu instid0(VALU_DEP_1) | instskip(NEXT) | instid1(VALU_DEP_1)
	v_add_nc_u32_e32 v4, v7, v4
	v_lshrrev_b32_e32 v9, s6, v4
	s_delay_alu instid0(VALU_DEP_1) | instskip(NEXT) | instid1(VALU_DEP_1)
	v_mul_lo_u32 v4, v9, s4
	v_sub_nc_u32_e32 v5, v7, v4
	s_delay_alu instid0(VALU_DEP_1)
	v_mul_lo_u32 v4, v5, s2
	v_mul_lo_u32 v5, v5, s3
	s_cbranch_scc1 .LBB463_55
; %bb.54:
	s_clause 0x1
	s_load_b128 s[4:7], s[0:1], 0x10
	s_load_b64 s[2:3], s[0:1], 0xcc
	s_waitcnt lgkmcnt(0)
	v_mul_hi_u32 v7, s5, v9
	s_delay_alu instid0(VALU_DEP_1) | instskip(NEXT) | instid1(VALU_DEP_1)
	v_add_nc_u32_e32 v7, v9, v7
	v_lshrrev_b32_e32 v7, s6, v7
	s_delay_alu instid0(VALU_DEP_1) | instskip(NEXT) | instid1(VALU_DEP_1)
	v_mul_lo_u32 v7, v7, s4
	v_sub_nc_u32_e32 v7, v9, v7
	s_delay_alu instid0(VALU_DEP_1) | instskip(SKIP_1) | instid1(VALU_DEP_1)
	v_mad_u64_u32 v[9:10], null, v7, s2, v[4:5]
	v_mad_u64_u32 v[10:11], null, v7, s3, v[5:6]
	v_dual_mov_b32 v4, v9 :: v_dual_mov_b32 v5, v10
.LBB463_55:
	v_cmp_ne_u32_e32 vcc_lo, 1, v6
	s_cbranch_vccnz .LBB463_61
; %bb.56:
	v_dual_mov_b32 v6, 0 :: v_dual_mov_b32 v7, 0
	s_cmp_lg_u32 s24, 0
	s_mov_b32 s6, 0
	s_cbranch_scc0 .LBB463_65
; %bb.57:
	s_min_u32 s7, s25, 15
	v_mov_b32_e32 v6, 0
	s_add_i32 s7, s7, 1
	s_cmp_eq_u32 s25, 2
	s_mov_b32 s8, 0
	s_cbranch_scc1 .LBB463_62
; %bb.58:
	v_dual_mov_b32 v7, 0 :: v_dual_mov_b32 v6, 0
	v_mov_b32_e32 v9, v8
	s_add_u32 s2, s0, 0xc4
	s_addc_u32 s3, s1, 0
	s_and_b32 s8, s7, 28
	s_mov_b32 s9, 0
	s_mov_b64 s[4:5], s[0:1]
.LBB463_59:                             ; =>This Inner Loop Header: Depth=1
	s_clause 0x1
	s_load_b256 s[12:19], s[4:5], 0x4
	s_load_b128 s[20:23], s[4:5], 0x24
	s_load_b256 s[36:43], s[2:3], 0x0
	s_add_u32 s4, s4, 48
	s_addc_u32 s5, s5, 0
	s_add_i32 s9, s9, 4
	s_add_u32 s2, s2, 32
	s_addc_u32 s3, s3, 0
	s_cmp_lg_u32 s8, s9
	s_waitcnt lgkmcnt(0)
	v_mul_hi_u32 v10, s13, v9
	s_delay_alu instid0(VALU_DEP_1) | instskip(NEXT) | instid1(VALU_DEP_1)
	v_add_nc_u32_e32 v10, v9, v10
	v_lshrrev_b32_e32 v10, s14, v10
	s_delay_alu instid0(VALU_DEP_1) | instskip(SKIP_1) | instid1(VALU_DEP_2)
	v_mul_hi_u32 v11, s16, v10
	v_mul_lo_u32 v13, v10, s12
	v_add_nc_u32_e32 v11, v10, v11
	s_delay_alu instid0(VALU_DEP_2) | instskip(NEXT) | instid1(VALU_DEP_2)
	v_sub_nc_u32_e32 v9, v9, v13
	v_lshrrev_b32_e32 v11, s17, v11
	s_delay_alu instid0(VALU_DEP_2) | instskip(SKIP_1) | instid1(VALU_DEP_3)
	v_mul_lo_u32 v13, v9, s36
	v_mul_lo_u32 v15, v9, s37
	v_mul_hi_u32 v12, s19, v11
	s_delay_alu instid0(VALU_DEP_1) | instskip(NEXT) | instid1(VALU_DEP_1)
	v_add_nc_u32_e32 v12, v11, v12
	v_lshrrev_b32_e32 v12, s20, v12
	s_delay_alu instid0(VALU_DEP_1) | instskip(SKIP_1) | instid1(VALU_DEP_2)
	v_mul_hi_u32 v14, s22, v12
	v_mul_lo_u32 v16, v12, s18
	v_add_nc_u32_e32 v9, v12, v14
	v_mul_lo_u32 v14, v11, s15
	s_delay_alu instid0(VALU_DEP_3) | instskip(NEXT) | instid1(VALU_DEP_3)
	v_sub_nc_u32_e32 v11, v11, v16
	v_lshrrev_b32_e32 v9, s23, v9
	s_delay_alu instid0(VALU_DEP_2) | instskip(SKIP_2) | instid1(VALU_DEP_4)
	v_mul_lo_u32 v16, v11, s40
	v_mul_lo_u32 v11, v11, s41
	v_sub_nc_u32_e32 v10, v10, v14
	v_mul_lo_u32 v17, v9, s21
	s_delay_alu instid0(VALU_DEP_2) | instskip(SKIP_1) | instid1(VALU_DEP_3)
	v_mul_lo_u32 v14, v10, s38
	v_mul_lo_u32 v10, v10, s39
	v_sub_nc_u32_e32 v12, v12, v17
	s_delay_alu instid0(VALU_DEP_3) | instskip(NEXT) | instid1(VALU_DEP_2)
	v_add3_u32 v6, v13, v6, v14
	v_mul_lo_u32 v17, v12, s42
	v_mul_lo_u32 v12, v12, s43
	v_add3_u32 v7, v15, v7, v10
	s_delay_alu instid0(VALU_DEP_3) | instskip(NEXT) | instid1(VALU_DEP_2)
	v_add3_u32 v6, v16, v6, v17
	v_add3_u32 v7, v11, v7, v12
	s_cbranch_scc1 .LBB463_59
; %bb.60:
	s_and_b32 s7, s7, 3
	s_delay_alu instid0(SALU_CYCLE_1)
	s_cmp_eq_u32 s7, 0
	s_cbranch_scc0 .LBB463_63
	s_branch .LBB463_65
.LBB463_61:
	s_mov_b32 s6, -1
                                        ; implicit-def: $vgpr6
                                        ; implicit-def: $vgpr7
	s_branch .LBB463_65
.LBB463_62:
	v_mov_b32_e32 v9, v8
	v_mov_b32_e32 v7, 0
	s_and_b32 s7, s7, 3
	s_delay_alu instid0(SALU_CYCLE_1)
	s_cmp_eq_u32 s7, 0
	s_cbranch_scc1 .LBB463_65
.LBB463_63:
	s_lshl_b32 s2, s8, 3
	s_mul_i32 s4, s8, 12
	s_add_u32 s2, s2, s0
	s_addc_u32 s3, 0, s1
	s_add_u32 s2, s2, 0xc4
	s_addc_u32 s3, s3, 0
	s_add_u32 s4, s0, s4
	s_addc_u32 s5, 0, s1
	.p2align	6
.LBB463_64:                             ; =>This Inner Loop Header: Depth=1
	s_clause 0x1
	s_load_b64 s[8:9], s[4:5], 0x4
	s_load_b32 s12, s[4:5], 0xc
	s_load_b64 s[10:11], s[2:3], 0x0
	s_add_u32 s4, s4, 12
	s_addc_u32 s5, s5, 0
	s_add_u32 s2, s2, 8
	s_addc_u32 s3, s3, 0
	s_add_i32 s7, s7, -1
	s_delay_alu instid0(SALU_CYCLE_1) | instskip(SKIP_2) | instid1(VALU_DEP_1)
	s_cmp_lg_u32 s7, 0
	s_waitcnt lgkmcnt(0)
	v_mul_hi_u32 v10, s9, v9
	v_add_nc_u32_e32 v10, v9, v10
	s_delay_alu instid0(VALU_DEP_1) | instskip(NEXT) | instid1(VALU_DEP_1)
	v_lshrrev_b32_e32 v13, s12, v10
	v_mul_lo_u32 v10, v13, s8
	s_delay_alu instid0(VALU_DEP_1) | instskip(NEXT) | instid1(VALU_DEP_1)
	v_sub_nc_u32_e32 v9, v9, v10
	v_mad_u64_u32 v[10:11], null, v9, s10, v[6:7]
	v_mad_u64_u32 v[11:12], null, v9, s11, v[7:8]
	s_delay_alu instid0(VALU_DEP_2) | instskip(NEXT) | instid1(VALU_DEP_2)
	v_dual_mov_b32 v9, v13 :: v_dual_mov_b32 v6, v10
	v_mov_b32_e32 v7, v11
	s_cbranch_scc1 .LBB463_64
.LBB463_65:
	s_and_not1_b32 vcc_lo, exec_lo, s6
	s_cbranch_vccnz .LBB463_68
; %bb.66:
	s_clause 0x1
	s_load_b128 s[4:7], s[0:1], 0x4
	s_load_b64 s[2:3], s[0:1], 0xc4
	s_cmp_lt_u32 s24, 2
	s_waitcnt lgkmcnt(0)
	v_mul_hi_u32 v6, s5, v8
	s_delay_alu instid0(VALU_DEP_1) | instskip(NEXT) | instid1(VALU_DEP_1)
	v_add_nc_u32_e32 v6, v8, v6
	v_lshrrev_b32_e32 v9, s6, v6
	s_delay_alu instid0(VALU_DEP_1) | instskip(NEXT) | instid1(VALU_DEP_1)
	v_mul_lo_u32 v6, v9, s4
	v_sub_nc_u32_e32 v7, v8, v6
	s_delay_alu instid0(VALU_DEP_1)
	v_mul_lo_u32 v6, v7, s2
	v_mul_lo_u32 v7, v7, s3
	s_cbranch_scc1 .LBB463_68
; %bb.67:
	s_clause 0x1
	s_load_b128 s[4:7], s[0:1], 0x10
	s_load_b64 s[2:3], s[0:1], 0xcc
	s_waitcnt lgkmcnt(0)
	v_mul_hi_u32 v8, s5, v9
	s_delay_alu instid0(VALU_DEP_1) | instskip(NEXT) | instid1(VALU_DEP_1)
	v_add_nc_u32_e32 v8, v9, v8
	v_lshrrev_b32_e32 v8, s6, v8
	s_delay_alu instid0(VALU_DEP_1) | instskip(NEXT) | instid1(VALU_DEP_1)
	v_mul_lo_u32 v8, v8, s4
	v_sub_nc_u32_e32 v11, v9, v8
	s_delay_alu instid0(VALU_DEP_1) | instskip(NEXT) | instid1(VALU_DEP_1)
	v_mad_u64_u32 v[8:9], null, v11, s2, v[6:7]
	v_mad_u64_u32 v[9:10], null, v11, s3, v[7:8]
	s_delay_alu instid0(VALU_DEP_1)
	v_dual_mov_b32 v6, v8 :: v_dual_mov_b32 v7, v9
.LBB463_68:
	s_clause 0x1
	s_load_b128 s[4:7], s[0:1], 0x148
	s_load_b64 s[0:1], s[0:1], 0x158
	s_waitcnt lgkmcnt(0)
	s_clause 0x3
	global_load_b64 v[8:9], v1, s[6:7]
	global_load_b64 v[10:11], v3, s[6:7]
	;; [unrolled: 1-line block ×4, first 2 shown]
	v_max_f64 v[16:17], s[0:1], s[0:1]
	s_waitcnt vmcnt(3)
	v_max_f64 v[18:19], v[8:9], v[8:9]
	s_waitcnt vmcnt(2)
	;; [unrolled: 2-line block ×4, first 2 shown]
	v_max_f64 v[24:25], v[14:15], v[14:15]
	v_cmp_u_f64_e32 vcc_lo, v[8:9], v[8:9]
	v_cmp_u_f64_e64 s0, v[10:11], v[10:11]
	v_cmp_u_f64_e64 s1, v[12:13], v[12:13]
	v_cmp_u_f64_e64 s2, v[14:15], v[14:15]
	v_min_f64 v[18:19], v[18:19], v[16:17]
	v_min_f64 v[20:21], v[20:21], v[16:17]
	;; [unrolled: 1-line block ×4, first 2 shown]
	s_delay_alu instid0(VALU_DEP_4) | instskip(NEXT) | instid1(VALU_DEP_4)
	v_dual_cndmask_b32 v9, v19, v9 :: v_dual_cndmask_b32 v8, v18, v8
	v_cndmask_b32_e64 v11, v21, v11, s0
	v_cndmask_b32_e64 v10, v20, v10, s0
	;; [unrolled: 1-line block ×6, first 2 shown]
	s_clause 0x3
	global_store_b64 v0, v[8:9], s[4:5]
	global_store_b64 v2, v[10:11], s[4:5]
	;; [unrolled: 1-line block ×4, first 2 shown]
	s_nop 0
	s_sendmsg sendmsg(MSG_DEALLOC_VGPRS)
	s_endpgm
.LBB463_69:
	v_dual_mov_b32 v2, v4 :: v_dual_mov_b32 v1, 0
.LBB463_70:
	s_and_b32 s36, s36, 3
	s_delay_alu instid0(SALU_CYCLE_1)
	s_cmp_eq_u32 s36, 0
	s_cbranch_scc1 .LBB463_73
; %bb.71:
	s_lshl_b32 s20, s35, 3
	s_mul_i32 s22, s35, 12
	s_add_u32 s20, s20, s0
	s_addc_u32 s21, s1, 0
	s_add_u32 s20, s20, 0xc4
	s_addc_u32 s21, s21, 0
	;; [unrolled: 2-line block ×3, first 2 shown]
	.p2align	6
.LBB463_72:                             ; =>This Inner Loop Header: Depth=1
	s_clause 0x1
	s_load_b64 s[38:39], s[22:23], 0x4
	s_load_b32 s35, s[22:23], 0xc
	s_load_b64 s[40:41], s[20:21], 0x0
	s_add_u32 s22, s22, 12
	s_addc_u32 s23, s23, 0
	s_add_u32 s20, s20, 8
	s_addc_u32 s21, s21, 0
	s_add_i32 s36, s36, -1
	s_delay_alu instid0(SALU_CYCLE_1) | instskip(SKIP_2) | instid1(VALU_DEP_1)
	s_cmp_lg_u32 s36, 0
	s_waitcnt lgkmcnt(0)
	v_mul_hi_u32 v3, s39, v2
	v_add_nc_u32_e32 v3, v2, v3
	s_delay_alu instid0(VALU_DEP_1) | instskip(NEXT) | instid1(VALU_DEP_1)
	v_lshrrev_b32_e32 v3, s35, v3
	v_mul_lo_u32 v5, v3, s38
	s_delay_alu instid0(VALU_DEP_1) | instskip(NEXT) | instid1(VALU_DEP_1)
	v_sub_nc_u32_e32 v2, v2, v5
	v_mad_u64_u32 v[5:6], null, v2, s40, v[0:1]
	v_mad_u64_u32 v[6:7], null, v2, s41, v[1:2]
	v_mov_b32_e32 v2, v3
	s_delay_alu instid0(VALU_DEP_2)
	v_dual_mov_b32 v0, v5 :: v_dual_mov_b32 v1, v6
	s_cbranch_scc1 .LBB463_72
.LBB463_73:
	s_and_not1_b32 vcc_lo, exec_lo, s34
	s_cbranch_vccnz .LBB463_76
; %bb.74:
	s_waitcnt lgkmcnt(0)
	v_mul_hi_u32 v0, s9, v4
	s_and_not1_b32 vcc_lo, exec_lo, s28
	s_delay_alu instid0(VALU_DEP_1) | instskip(NEXT) | instid1(VALU_DEP_1)
	v_add_nc_u32_e32 v0, v4, v0
	v_lshrrev_b32_e32 v2, s10, v0
	s_delay_alu instid0(VALU_DEP_1) | instskip(NEXT) | instid1(VALU_DEP_1)
	v_mul_lo_u32 v0, v2, s8
	v_sub_nc_u32_e32 v1, v4, v0
	s_delay_alu instid0(VALU_DEP_1)
	v_mul_lo_u32 v0, v1, s12
	v_mul_lo_u32 v1, v1, s13
	s_cbranch_vccnz .LBB463_76
; %bb.75:
	v_mul_hi_u32 v3, s16, v2
	s_delay_alu instid0(VALU_DEP_1) | instskip(NEXT) | instid1(VALU_DEP_1)
	v_add_nc_u32_e32 v3, v2, v3
	v_lshrrev_b32_e32 v3, s17, v3
	s_delay_alu instid0(VALU_DEP_1) | instskip(NEXT) | instid1(VALU_DEP_1)
	v_mul_lo_u32 v3, v3, s11
	v_sub_nc_u32_e32 v7, v2, v3
	s_delay_alu instid0(VALU_DEP_1) | instskip(NEXT) | instid1(VALU_DEP_1)
	v_mad_u64_u32 v[2:3], null, v7, s14, v[0:1]
	v_mad_u64_u32 v[5:6], null, v7, s15, v[1:2]
	s_delay_alu instid0(VALU_DEP_1)
	v_dual_mov_b32 v0, v2 :: v_dual_mov_b32 v1, v5
.LBB463_76:
	s_waitcnt lgkmcnt(0)
	global_load_b64 v[1:2], v1, s[6:7]
	v_max_f64 v[5:6], s[2:3], s[2:3]
	v_add_nc_u32_e32 v4, 0x80, v4
	s_waitcnt vmcnt(0)
	v_max_f64 v[7:8], v[1:2], v[1:2]
	v_cmp_u_f64_e32 vcc_lo, v[1:2], v[1:2]
	s_delay_alu instid0(VALU_DEP_2) | instskip(NEXT) | instid1(VALU_DEP_1)
	v_min_f64 v[5:6], v[7:8], v[5:6]
	v_dual_cndmask_b32 v2, v6, v2 :: v_dual_cndmask_b32 v1, v5, v1
	global_store_b64 v0, v[1:2], s[4:5]
	s_or_b32 exec_lo, exec_lo, s33
	s_delay_alu instid0(SALU_CYCLE_1)
	s_mov_b32 s33, exec_lo
	v_cmpx_gt_i32_e64 s29, v4
	s_cbranch_execnz .LBB463_15
.LBB463_77:
	s_or_b32 exec_lo, exec_lo, s33
	s_delay_alu instid0(SALU_CYCLE_1)
	s_mov_b32 s33, exec_lo
	v_cmpx_gt_i32_e64 s29, v4
	s_cbranch_execz .LBB463_92
.LBB463_78:
	s_and_not1_b32 vcc_lo, exec_lo, s26
	s_cbranch_vccnz .LBB463_83
; %bb.79:
	v_dual_mov_b32 v0, 0 :: v_dual_mov_b32 v1, 0
	s_and_not1_b32 vcc_lo, exec_lo, s31
	s_mov_b32 s34, 0
	s_cbranch_vccnz .LBB463_99
; %bb.80:
	v_mov_b32_e32 v0, 0
	s_add_i32 s36, s30, 1
	s_cmp_eq_u32 s25, 2
	s_mov_b32 s35, 0
	s_cbranch_scc1 .LBB463_95
; %bb.81:
	v_dual_mov_b32 v1, 0 :: v_dual_mov_b32 v0, 0
	v_mov_b32_e32 v2, v4
	s_and_b32 s35, s36, 28
	s_mov_b32 s37, 0
	s_mov_b64 s[20:21], s[18:19]
	s_mov_b64 s[22:23], s[0:1]
.LBB463_82:                             ; =>This Inner Loop Header: Depth=1
	s_clause 0x1
	s_load_b256 s[40:47], s[22:23], 0x4
	s_load_b128 s[56:59], s[22:23], 0x24
	s_load_b256 s[48:55], s[20:21], 0x0
	s_add_u32 s22, s22, 48
	s_addc_u32 s23, s23, 0
	s_add_i32 s37, s37, 4
	s_add_u32 s20, s20, 32
	s_addc_u32 s21, s21, 0
	s_cmp_eq_u32 s35, s37
	s_waitcnt lgkmcnt(0)
	v_mul_hi_u32 v3, s41, v2
	s_delay_alu instid0(VALU_DEP_1) | instskip(NEXT) | instid1(VALU_DEP_1)
	v_add_nc_u32_e32 v3, v2, v3
	v_lshrrev_b32_e32 v3, s42, v3
	s_delay_alu instid0(VALU_DEP_1) | instskip(SKIP_1) | instid1(VALU_DEP_2)
	v_mul_hi_u32 v5, s44, v3
	v_mul_lo_u32 v7, v3, s40
	v_add_nc_u32_e32 v5, v3, v5
	s_delay_alu instid0(VALU_DEP_2) | instskip(NEXT) | instid1(VALU_DEP_2)
	v_sub_nc_u32_e32 v2, v2, v7
	v_lshrrev_b32_e32 v5, s45, v5
	s_delay_alu instid0(VALU_DEP_2) | instskip(SKIP_1) | instid1(VALU_DEP_3)
	v_mul_lo_u32 v7, v2, s48
	v_mul_lo_u32 v9, v2, s49
	v_mul_hi_u32 v6, s47, v5
	s_delay_alu instid0(VALU_DEP_1) | instskip(NEXT) | instid1(VALU_DEP_1)
	v_add_nc_u32_e32 v6, v5, v6
	v_lshrrev_b32_e32 v6, s56, v6
	s_delay_alu instid0(VALU_DEP_1) | instskip(SKIP_1) | instid1(VALU_DEP_2)
	v_mul_hi_u32 v8, s58, v6
	v_mul_lo_u32 v10, v6, s46
	v_add_nc_u32_e32 v2, v6, v8
	v_mul_lo_u32 v8, v5, s43
	s_delay_alu instid0(VALU_DEP_3) | instskip(NEXT) | instid1(VALU_DEP_3)
	v_sub_nc_u32_e32 v5, v5, v10
	v_lshrrev_b32_e32 v2, s59, v2
	s_delay_alu instid0(VALU_DEP_2) | instskip(SKIP_2) | instid1(VALU_DEP_4)
	v_mul_lo_u32 v10, v5, s52
	v_mul_lo_u32 v5, v5, s53
	v_sub_nc_u32_e32 v3, v3, v8
	v_mul_lo_u32 v11, v2, s57
	s_delay_alu instid0(VALU_DEP_2) | instskip(SKIP_1) | instid1(VALU_DEP_3)
	v_mul_lo_u32 v8, v3, s50
	v_mul_lo_u32 v3, v3, s51
	v_sub_nc_u32_e32 v6, v6, v11
	s_delay_alu instid0(VALU_DEP_3) | instskip(NEXT) | instid1(VALU_DEP_2)
	v_add3_u32 v0, v7, v0, v8
	v_mul_lo_u32 v11, v6, s54
	v_mul_lo_u32 v6, v6, s55
	v_add3_u32 v1, v9, v1, v3
	s_delay_alu instid0(VALU_DEP_3) | instskip(NEXT) | instid1(VALU_DEP_2)
	v_add3_u32 v0, v10, v0, v11
	v_add3_u32 v1, v5, v1, v6
	s_cbranch_scc0 .LBB463_82
	s_branch .LBB463_96
.LBB463_83:
	s_mov_b32 s34, -1
                                        ; implicit-def: $vgpr0
                                        ; implicit-def: $vgpr1
	s_branch .LBB463_99
.LBB463_84:
	v_dual_mov_b32 v2, v4 :: v_dual_mov_b32 v1, 0
.LBB463_85:
	s_and_b32 s36, s36, 3
	s_delay_alu instid0(SALU_CYCLE_1)
	s_cmp_eq_u32 s36, 0
	s_cbranch_scc1 .LBB463_88
; %bb.86:
	s_lshl_b32 s20, s35, 3
	s_mul_i32 s22, s35, 12
	s_add_u32 s20, s20, s0
	s_addc_u32 s21, s1, 0
	s_add_u32 s20, s20, 0xc4
	s_addc_u32 s21, s21, 0
	;; [unrolled: 2-line block ×3, first 2 shown]
	.p2align	6
.LBB463_87:                             ; =>This Inner Loop Header: Depth=1
	s_clause 0x1
	s_load_b64 s[38:39], s[22:23], 0x4
	s_load_b32 s35, s[22:23], 0xc
	s_load_b64 s[40:41], s[20:21], 0x0
	s_add_u32 s22, s22, 12
	s_addc_u32 s23, s23, 0
	s_add_u32 s20, s20, 8
	s_addc_u32 s21, s21, 0
	s_add_i32 s36, s36, -1
	s_delay_alu instid0(SALU_CYCLE_1) | instskip(SKIP_2) | instid1(VALU_DEP_1)
	s_cmp_lg_u32 s36, 0
	s_waitcnt lgkmcnt(0)
	v_mul_hi_u32 v3, s39, v2
	v_add_nc_u32_e32 v3, v2, v3
	s_delay_alu instid0(VALU_DEP_1) | instskip(NEXT) | instid1(VALU_DEP_1)
	v_lshrrev_b32_e32 v3, s35, v3
	v_mul_lo_u32 v5, v3, s38
	s_delay_alu instid0(VALU_DEP_1) | instskip(NEXT) | instid1(VALU_DEP_1)
	v_sub_nc_u32_e32 v2, v2, v5
	v_mad_u64_u32 v[5:6], null, v2, s40, v[0:1]
	v_mad_u64_u32 v[6:7], null, v2, s41, v[1:2]
	v_mov_b32_e32 v2, v3
	s_delay_alu instid0(VALU_DEP_2)
	v_dual_mov_b32 v0, v5 :: v_dual_mov_b32 v1, v6
	s_cbranch_scc1 .LBB463_87
.LBB463_88:
	s_and_not1_b32 vcc_lo, exec_lo, s34
	s_cbranch_vccnz .LBB463_91
; %bb.89:
	s_waitcnt lgkmcnt(0)
	v_mul_hi_u32 v0, s9, v4
	s_and_not1_b32 vcc_lo, exec_lo, s28
	s_delay_alu instid0(VALU_DEP_1) | instskip(NEXT) | instid1(VALU_DEP_1)
	v_add_nc_u32_e32 v0, v4, v0
	v_lshrrev_b32_e32 v2, s10, v0
	s_delay_alu instid0(VALU_DEP_1) | instskip(NEXT) | instid1(VALU_DEP_1)
	v_mul_lo_u32 v0, v2, s8
	v_sub_nc_u32_e32 v1, v4, v0
	s_delay_alu instid0(VALU_DEP_1)
	v_mul_lo_u32 v0, v1, s12
	v_mul_lo_u32 v1, v1, s13
	s_cbranch_vccnz .LBB463_91
; %bb.90:
	v_mul_hi_u32 v3, s16, v2
	s_delay_alu instid0(VALU_DEP_1) | instskip(NEXT) | instid1(VALU_DEP_1)
	v_add_nc_u32_e32 v3, v2, v3
	v_lshrrev_b32_e32 v3, s17, v3
	s_delay_alu instid0(VALU_DEP_1) | instskip(NEXT) | instid1(VALU_DEP_1)
	v_mul_lo_u32 v3, v3, s11
	v_sub_nc_u32_e32 v7, v2, v3
	s_delay_alu instid0(VALU_DEP_1) | instskip(NEXT) | instid1(VALU_DEP_1)
	v_mad_u64_u32 v[2:3], null, v7, s14, v[0:1]
	v_mad_u64_u32 v[5:6], null, v7, s15, v[1:2]
	s_delay_alu instid0(VALU_DEP_1)
	v_dual_mov_b32 v0, v2 :: v_dual_mov_b32 v1, v5
.LBB463_91:
	s_waitcnt lgkmcnt(0)
	global_load_b64 v[1:2], v1, s[6:7]
	v_max_f64 v[5:6], s[2:3], s[2:3]
	v_add_nc_u32_e32 v4, 0x80, v4
	s_waitcnt vmcnt(0)
	v_max_f64 v[7:8], v[1:2], v[1:2]
	v_cmp_u_f64_e32 vcc_lo, v[1:2], v[1:2]
	s_delay_alu instid0(VALU_DEP_2) | instskip(NEXT) | instid1(VALU_DEP_1)
	v_min_f64 v[5:6], v[7:8], v[5:6]
	v_dual_cndmask_b32 v2, v6, v2 :: v_dual_cndmask_b32 v1, v5, v1
	global_store_b64 v0, v[1:2], s[4:5]
	s_or_b32 exec_lo, exec_lo, s33
	s_delay_alu instid0(SALU_CYCLE_1)
	s_mov_b32 s33, exec_lo
	v_cmpx_gt_i32_e64 s29, v4
	s_cbranch_execnz .LBB463_78
.LBB463_92:
	s_or_b32 exec_lo, exec_lo, s33
	s_delay_alu instid0(SALU_CYCLE_1)
	s_mov_b32 s22, exec_lo
	v_cmpx_gt_i32_e64 s29, v4
	s_cbranch_execnz .LBB463_103
.LBB463_93:
	s_or_b32 exec_lo, exec_lo, s22
                                        ; implicit-def: $vgpr8
                                        ; implicit-def: $vgpr4
	s_waitcnt lgkmcnt(0)
	s_and_not1_saveexec_b32 s2, s27
	s_cbranch_execnz .LBB463_8
.LBB463_94:
	s_nop 0
	s_sendmsg sendmsg(MSG_DEALLOC_VGPRS)
	s_endpgm
.LBB463_95:
	v_dual_mov_b32 v2, v4 :: v_dual_mov_b32 v1, 0
.LBB463_96:
	s_and_b32 s36, s36, 3
	s_delay_alu instid0(SALU_CYCLE_1)
	s_cmp_eq_u32 s36, 0
	s_cbranch_scc1 .LBB463_99
; %bb.97:
	s_lshl_b32 s20, s35, 3
	s_mul_i32 s22, s35, 12
	s_add_u32 s20, s20, s0
	s_addc_u32 s21, s1, 0
	s_add_u32 s20, s20, 0xc4
	s_addc_u32 s21, s21, 0
	;; [unrolled: 2-line block ×3, first 2 shown]
	.p2align	6
.LBB463_98:                             ; =>This Inner Loop Header: Depth=1
	s_clause 0x1
	s_load_b64 s[38:39], s[22:23], 0x4
	s_load_b32 s35, s[22:23], 0xc
	s_load_b64 s[40:41], s[20:21], 0x0
	s_add_u32 s22, s22, 12
	s_addc_u32 s23, s23, 0
	s_add_u32 s20, s20, 8
	s_addc_u32 s21, s21, 0
	s_add_i32 s36, s36, -1
	s_delay_alu instid0(SALU_CYCLE_1) | instskip(SKIP_2) | instid1(VALU_DEP_1)
	s_cmp_lg_u32 s36, 0
	s_waitcnt lgkmcnt(0)
	v_mul_hi_u32 v3, s39, v2
	v_add_nc_u32_e32 v3, v2, v3
	s_delay_alu instid0(VALU_DEP_1) | instskip(NEXT) | instid1(VALU_DEP_1)
	v_lshrrev_b32_e32 v3, s35, v3
	v_mul_lo_u32 v5, v3, s38
	s_delay_alu instid0(VALU_DEP_1) | instskip(NEXT) | instid1(VALU_DEP_1)
	v_sub_nc_u32_e32 v2, v2, v5
	v_mad_u64_u32 v[5:6], null, v2, s40, v[0:1]
	v_mad_u64_u32 v[6:7], null, v2, s41, v[1:2]
	v_mov_b32_e32 v2, v3
	s_delay_alu instid0(VALU_DEP_2)
	v_dual_mov_b32 v0, v5 :: v_dual_mov_b32 v1, v6
	s_cbranch_scc1 .LBB463_98
.LBB463_99:
	s_and_not1_b32 vcc_lo, exec_lo, s34
	s_cbranch_vccnz .LBB463_102
; %bb.100:
	s_waitcnt lgkmcnt(0)
	v_mul_hi_u32 v0, s9, v4
	s_and_not1_b32 vcc_lo, exec_lo, s28
	s_delay_alu instid0(VALU_DEP_1) | instskip(NEXT) | instid1(VALU_DEP_1)
	v_add_nc_u32_e32 v0, v4, v0
	v_lshrrev_b32_e32 v2, s10, v0
	s_delay_alu instid0(VALU_DEP_1) | instskip(NEXT) | instid1(VALU_DEP_1)
	v_mul_lo_u32 v0, v2, s8
	v_sub_nc_u32_e32 v1, v4, v0
	s_delay_alu instid0(VALU_DEP_1)
	v_mul_lo_u32 v0, v1, s12
	v_mul_lo_u32 v1, v1, s13
	s_cbranch_vccnz .LBB463_102
; %bb.101:
	v_mul_hi_u32 v3, s16, v2
	s_delay_alu instid0(VALU_DEP_1) | instskip(NEXT) | instid1(VALU_DEP_1)
	v_add_nc_u32_e32 v3, v2, v3
	v_lshrrev_b32_e32 v3, s17, v3
	s_delay_alu instid0(VALU_DEP_1) | instskip(NEXT) | instid1(VALU_DEP_1)
	v_mul_lo_u32 v3, v3, s11
	v_sub_nc_u32_e32 v7, v2, v3
	s_delay_alu instid0(VALU_DEP_1) | instskip(NEXT) | instid1(VALU_DEP_1)
	v_mad_u64_u32 v[2:3], null, v7, s14, v[0:1]
	v_mad_u64_u32 v[5:6], null, v7, s15, v[1:2]
	s_delay_alu instid0(VALU_DEP_1)
	v_dual_mov_b32 v0, v2 :: v_dual_mov_b32 v1, v5
.LBB463_102:
	s_waitcnt lgkmcnt(0)
	global_load_b64 v[1:2], v1, s[6:7]
	v_max_f64 v[5:6], s[2:3], s[2:3]
	v_add_nc_u32_e32 v4, 0x80, v4
	s_waitcnt vmcnt(0)
	v_max_f64 v[7:8], v[1:2], v[1:2]
	v_cmp_u_f64_e32 vcc_lo, v[1:2], v[1:2]
	s_delay_alu instid0(VALU_DEP_2) | instskip(NEXT) | instid1(VALU_DEP_1)
	v_min_f64 v[5:6], v[7:8], v[5:6]
	v_dual_cndmask_b32 v2, v6, v2 :: v_dual_cndmask_b32 v1, v5, v1
	global_store_b64 v0, v[1:2], s[4:5]
	s_or_b32 exec_lo, exec_lo, s33
	s_delay_alu instid0(SALU_CYCLE_1)
	s_mov_b32 s22, exec_lo
	v_cmpx_gt_i32_e64 s29, v4
	s_cbranch_execz .LBB463_93
.LBB463_103:
	s_and_not1_b32 vcc_lo, exec_lo, s26
	s_cbranch_vccnz .LBB463_108
; %bb.104:
	v_dual_mov_b32 v0, 0 :: v_dual_mov_b32 v1, 0
	s_and_not1_b32 vcc_lo, exec_lo, s31
	s_mov_b32 s23, 0
	s_cbranch_vccnz .LBB463_113
; %bb.105:
	v_mov_b32_e32 v0, 0
	s_add_i32 s30, s30, 1
	s_cmp_eq_u32 s25, 2
	s_mov_b32 s29, 0
	s_cbranch_scc1 .LBB463_109
; %bb.106:
	v_dual_mov_b32 v1, 0 :: v_dual_mov_b32 v0, 0
	v_mov_b32_e32 v2, v4
	s_and_b32 s29, s30, 28
	s_mov_b32 s31, 0
	s_mov_b64 s[20:21], s[0:1]
.LBB463_107:                            ; =>This Inner Loop Header: Depth=1
	s_clause 0x1
	s_load_b256 s[36:43], s[20:21], 0x4
	s_load_b128 s[52:55], s[20:21], 0x24
	s_load_b256 s[44:51], s[18:19], 0x0
	s_add_u32 s20, s20, 48
	s_addc_u32 s21, s21, 0
	s_add_i32 s31, s31, 4
	s_add_u32 s18, s18, 32
	s_addc_u32 s19, s19, 0
	s_cmp_eq_u32 s29, s31
	s_waitcnt lgkmcnt(0)
	v_mul_hi_u32 v3, s37, v2
	s_delay_alu instid0(VALU_DEP_1) | instskip(NEXT) | instid1(VALU_DEP_1)
	v_add_nc_u32_e32 v3, v2, v3
	v_lshrrev_b32_e32 v3, s38, v3
	s_delay_alu instid0(VALU_DEP_1) | instskip(SKIP_1) | instid1(VALU_DEP_2)
	v_mul_hi_u32 v5, s40, v3
	v_mul_lo_u32 v7, v3, s36
	v_add_nc_u32_e32 v5, v3, v5
	s_delay_alu instid0(VALU_DEP_2) | instskip(NEXT) | instid1(VALU_DEP_2)
	v_sub_nc_u32_e32 v2, v2, v7
	v_lshrrev_b32_e32 v5, s41, v5
	s_delay_alu instid0(VALU_DEP_2) | instskip(SKIP_1) | instid1(VALU_DEP_3)
	v_mul_lo_u32 v7, v2, s44
	v_mul_lo_u32 v9, v2, s45
	v_mul_hi_u32 v6, s43, v5
	s_delay_alu instid0(VALU_DEP_1) | instskip(NEXT) | instid1(VALU_DEP_1)
	v_add_nc_u32_e32 v6, v5, v6
	v_lshrrev_b32_e32 v6, s52, v6
	s_delay_alu instid0(VALU_DEP_1) | instskip(SKIP_1) | instid1(VALU_DEP_2)
	v_mul_hi_u32 v8, s54, v6
	v_mul_lo_u32 v10, v6, s42
	v_add_nc_u32_e32 v2, v6, v8
	v_mul_lo_u32 v8, v5, s39
	s_delay_alu instid0(VALU_DEP_3) | instskip(NEXT) | instid1(VALU_DEP_3)
	v_sub_nc_u32_e32 v5, v5, v10
	v_lshrrev_b32_e32 v2, s55, v2
	s_delay_alu instid0(VALU_DEP_2) | instskip(SKIP_2) | instid1(VALU_DEP_4)
	v_mul_lo_u32 v10, v5, s48
	v_mul_lo_u32 v5, v5, s49
	v_sub_nc_u32_e32 v3, v3, v8
	v_mul_lo_u32 v11, v2, s53
	s_delay_alu instid0(VALU_DEP_2) | instskip(SKIP_1) | instid1(VALU_DEP_3)
	v_mul_lo_u32 v8, v3, s46
	v_mul_lo_u32 v3, v3, s47
	v_sub_nc_u32_e32 v6, v6, v11
	s_delay_alu instid0(VALU_DEP_3) | instskip(NEXT) | instid1(VALU_DEP_2)
	v_add3_u32 v0, v7, v0, v8
	v_mul_lo_u32 v11, v6, s50
	v_mul_lo_u32 v6, v6, s51
	v_add3_u32 v1, v9, v1, v3
	s_delay_alu instid0(VALU_DEP_3) | instskip(NEXT) | instid1(VALU_DEP_2)
	v_add3_u32 v0, v10, v0, v11
	v_add3_u32 v1, v5, v1, v6
	s_cbranch_scc0 .LBB463_107
	s_branch .LBB463_110
.LBB463_108:
	s_mov_b32 s23, -1
                                        ; implicit-def: $vgpr0
                                        ; implicit-def: $vgpr1
	s_branch .LBB463_113
.LBB463_109:
	v_dual_mov_b32 v2, v4 :: v_dual_mov_b32 v1, 0
.LBB463_110:
	s_and_b32 s30, s30, 3
	s_delay_alu instid0(SALU_CYCLE_1)
	s_cmp_eq_u32 s30, 0
	s_cbranch_scc1 .LBB463_113
; %bb.111:
	s_lshl_b32 s18, s29, 3
	s_mul_i32 s20, s29, 12
	s_add_u32 s18, s18, s0
	s_addc_u32 s19, s1, 0
	s_add_u32 s18, s18, 0xc4
	s_addc_u32 s19, s19, 0
	;; [unrolled: 2-line block ×3, first 2 shown]
	.p2align	6
.LBB463_112:                            ; =>This Inner Loop Header: Depth=1
	s_clause 0x1
	s_load_b64 s[34:35], s[20:21], 0x4
	s_load_b32 s29, s[20:21], 0xc
	s_load_b64 s[36:37], s[18:19], 0x0
	s_add_u32 s20, s20, 12
	s_addc_u32 s21, s21, 0
	s_add_u32 s18, s18, 8
	s_addc_u32 s19, s19, 0
	s_add_i32 s30, s30, -1
	s_delay_alu instid0(SALU_CYCLE_1) | instskip(SKIP_2) | instid1(VALU_DEP_1)
	s_cmp_lg_u32 s30, 0
	s_waitcnt lgkmcnt(0)
	v_mul_hi_u32 v3, s35, v2
	v_add_nc_u32_e32 v3, v2, v3
	s_delay_alu instid0(VALU_DEP_1) | instskip(NEXT) | instid1(VALU_DEP_1)
	v_lshrrev_b32_e32 v3, s29, v3
	v_mul_lo_u32 v5, v3, s34
	s_delay_alu instid0(VALU_DEP_1) | instskip(NEXT) | instid1(VALU_DEP_1)
	v_sub_nc_u32_e32 v2, v2, v5
	v_mad_u64_u32 v[5:6], null, v2, s36, v[0:1]
	v_mad_u64_u32 v[6:7], null, v2, s37, v[1:2]
	v_mov_b32_e32 v2, v3
	s_delay_alu instid0(VALU_DEP_2)
	v_dual_mov_b32 v0, v5 :: v_dual_mov_b32 v1, v6
	s_cbranch_scc1 .LBB463_112
.LBB463_113:
	s_and_not1_b32 vcc_lo, exec_lo, s23
	s_cbranch_vccnz .LBB463_116
; %bb.114:
	s_waitcnt lgkmcnt(0)
	v_mul_hi_u32 v0, s9, v4
	s_and_not1_b32 vcc_lo, exec_lo, s28
	s_delay_alu instid0(VALU_DEP_1) | instskip(NEXT) | instid1(VALU_DEP_1)
	v_add_nc_u32_e32 v0, v4, v0
	v_lshrrev_b32_e32 v2, s10, v0
	s_delay_alu instid0(VALU_DEP_1) | instskip(NEXT) | instid1(VALU_DEP_1)
	v_mul_lo_u32 v0, v2, s8
	v_sub_nc_u32_e32 v1, v4, v0
	s_delay_alu instid0(VALU_DEP_1)
	v_mul_lo_u32 v0, v1, s12
	v_mul_lo_u32 v1, v1, s13
	s_cbranch_vccnz .LBB463_116
; %bb.115:
	v_mul_hi_u32 v3, s16, v2
	s_delay_alu instid0(VALU_DEP_1) | instskip(NEXT) | instid1(VALU_DEP_1)
	v_add_nc_u32_e32 v3, v2, v3
	v_lshrrev_b32_e32 v3, s17, v3
	s_delay_alu instid0(VALU_DEP_1) | instskip(NEXT) | instid1(VALU_DEP_1)
	v_mul_lo_u32 v3, v3, s11
	v_sub_nc_u32_e32 v5, v2, v3
	s_delay_alu instid0(VALU_DEP_1) | instskip(NEXT) | instid1(VALU_DEP_1)
	v_mad_u64_u32 v[2:3], null, v5, s14, v[0:1]
	v_mad_u64_u32 v[3:4], null, v5, s15, v[1:2]
	s_delay_alu instid0(VALU_DEP_1)
	v_dual_mov_b32 v0, v2 :: v_dual_mov_b32 v1, v3
.LBB463_116:
	s_waitcnt lgkmcnt(0)
	global_load_b64 v[1:2], v1, s[6:7]
	v_max_f64 v[3:4], s[2:3], s[2:3]
	s_waitcnt vmcnt(0)
	v_max_f64 v[5:6], v[1:2], v[1:2]
	v_cmp_u_f64_e32 vcc_lo, v[1:2], v[1:2]
	s_delay_alu instid0(VALU_DEP_2) | instskip(NEXT) | instid1(VALU_DEP_1)
	v_min_f64 v[3:4], v[5:6], v[3:4]
	v_dual_cndmask_b32 v2, v4, v2 :: v_dual_cndmask_b32 v1, v3, v1
	global_store_b64 v0, v[1:2], s[4:5]
	s_or_b32 exec_lo, exec_lo, s22
                                        ; implicit-def: $vgpr8
                                        ; implicit-def: $vgpr4
	s_and_not1_saveexec_b32 s2, s27
	s_cbranch_execz .LBB463_94
	s_branch .LBB463_8
	.section	.rodata,"a",@progbits
	.p2align	6, 0x0
	.amdhsa_kernel _ZN2at6native32elementwise_kernel_manual_unrollILi128ELi4EZNS0_22gpu_kernel_impl_nocastIZZZNS0_21clamp_max_kernel_cudaERNS_18TensorIteratorBaseERKN3c106ScalarEENKUlvE_clEvENKUlvE4_clEvEUldE_EEvS4_RKT_EUlibE_EEviT1_
		.amdhsa_group_segment_fixed_size 0
		.amdhsa_private_segment_fixed_size 0
		.amdhsa_kernarg_size 360
		.amdhsa_user_sgpr_count 15
		.amdhsa_user_sgpr_dispatch_ptr 0
		.amdhsa_user_sgpr_queue_ptr 0
		.amdhsa_user_sgpr_kernarg_segment_ptr 1
		.amdhsa_user_sgpr_dispatch_id 0
		.amdhsa_user_sgpr_private_segment_size 0
		.amdhsa_wavefront_size32 1
		.amdhsa_uses_dynamic_stack 0
		.amdhsa_enable_private_segment 0
		.amdhsa_system_sgpr_workgroup_id_x 1
		.amdhsa_system_sgpr_workgroup_id_y 0
		.amdhsa_system_sgpr_workgroup_id_z 0
		.amdhsa_system_sgpr_workgroup_info 0
		.amdhsa_system_vgpr_workitem_id 0
		.amdhsa_next_free_vgpr 26
		.amdhsa_next_free_sgpr 60
		.amdhsa_reserve_vcc 1
		.amdhsa_float_round_mode_32 0
		.amdhsa_float_round_mode_16_64 0
		.amdhsa_float_denorm_mode_32 3
		.amdhsa_float_denorm_mode_16_64 3
		.amdhsa_dx10_clamp 1
		.amdhsa_ieee_mode 1
		.amdhsa_fp16_overflow 0
		.amdhsa_workgroup_processor_mode 1
		.amdhsa_memory_ordered 1
		.amdhsa_forward_progress 0
		.amdhsa_shared_vgpr_count 0
		.amdhsa_exception_fp_ieee_invalid_op 0
		.amdhsa_exception_fp_denorm_src 0
		.amdhsa_exception_fp_ieee_div_zero 0
		.amdhsa_exception_fp_ieee_overflow 0
		.amdhsa_exception_fp_ieee_underflow 0
		.amdhsa_exception_fp_ieee_inexact 0
		.amdhsa_exception_int_div_zero 0
	.end_amdhsa_kernel
	.section	.text._ZN2at6native32elementwise_kernel_manual_unrollILi128ELi4EZNS0_22gpu_kernel_impl_nocastIZZZNS0_21clamp_max_kernel_cudaERNS_18TensorIteratorBaseERKN3c106ScalarEENKUlvE_clEvENKUlvE4_clEvEUldE_EEvS4_RKT_EUlibE_EEviT1_,"axG",@progbits,_ZN2at6native32elementwise_kernel_manual_unrollILi128ELi4EZNS0_22gpu_kernel_impl_nocastIZZZNS0_21clamp_max_kernel_cudaERNS_18TensorIteratorBaseERKN3c106ScalarEENKUlvE_clEvENKUlvE4_clEvEUldE_EEvS4_RKT_EUlibE_EEviT1_,comdat
.Lfunc_end463:
	.size	_ZN2at6native32elementwise_kernel_manual_unrollILi128ELi4EZNS0_22gpu_kernel_impl_nocastIZZZNS0_21clamp_max_kernel_cudaERNS_18TensorIteratorBaseERKN3c106ScalarEENKUlvE_clEvENKUlvE4_clEvEUldE_EEvS4_RKT_EUlibE_EEviT1_, .Lfunc_end463-_ZN2at6native32elementwise_kernel_manual_unrollILi128ELi4EZNS0_22gpu_kernel_impl_nocastIZZZNS0_21clamp_max_kernel_cudaERNS_18TensorIteratorBaseERKN3c106ScalarEENKUlvE_clEvENKUlvE4_clEvEUldE_EEvS4_RKT_EUlibE_EEviT1_
                                        ; -- End function
	.section	.AMDGPU.csdata,"",@progbits
; Kernel info:
; codeLenInByte = 7120
; NumSgprs: 62
; NumVgprs: 26
; ScratchSize: 0
; MemoryBound: 0
; FloatMode: 240
; IeeeMode: 1
; LDSByteSize: 0 bytes/workgroup (compile time only)
; SGPRBlocks: 7
; VGPRBlocks: 3
; NumSGPRsForWavesPerEU: 62
; NumVGPRsForWavesPerEU: 26
; Occupancy: 16
; WaveLimiterHint : 1
; COMPUTE_PGM_RSRC2:SCRATCH_EN: 0
; COMPUTE_PGM_RSRC2:USER_SGPR: 15
; COMPUTE_PGM_RSRC2:TRAP_HANDLER: 0
; COMPUTE_PGM_RSRC2:TGID_X_EN: 1
; COMPUTE_PGM_RSRC2:TGID_Y_EN: 0
; COMPUTE_PGM_RSRC2:TGID_Z_EN: 0
; COMPUTE_PGM_RSRC2:TIDIG_COMP_CNT: 0
	.section	.text._ZN2at6native32elementwise_kernel_manual_unrollILi128ELi4EZNS0_15gpu_kernel_implIZZZNS0_21clamp_max_kernel_cudaERNS_18TensorIteratorBaseERKN3c106ScalarEENKUlvE_clEvENKUlvE4_clEvEUldE_EEvS4_RKT_EUlibE_EEviT1_,"axG",@progbits,_ZN2at6native32elementwise_kernel_manual_unrollILi128ELi4EZNS0_15gpu_kernel_implIZZZNS0_21clamp_max_kernel_cudaERNS_18TensorIteratorBaseERKN3c106ScalarEENKUlvE_clEvENKUlvE4_clEvEUldE_EEvS4_RKT_EUlibE_EEviT1_,comdat
	.globl	_ZN2at6native32elementwise_kernel_manual_unrollILi128ELi4EZNS0_15gpu_kernel_implIZZZNS0_21clamp_max_kernel_cudaERNS_18TensorIteratorBaseERKN3c106ScalarEENKUlvE_clEvENKUlvE4_clEvEUldE_EEvS4_RKT_EUlibE_EEviT1_ ; -- Begin function _ZN2at6native32elementwise_kernel_manual_unrollILi128ELi4EZNS0_15gpu_kernel_implIZZZNS0_21clamp_max_kernel_cudaERNS_18TensorIteratorBaseERKN3c106ScalarEENKUlvE_clEvENKUlvE4_clEvEUldE_EEvS4_RKT_EUlibE_EEviT1_
	.p2align	8
	.type	_ZN2at6native32elementwise_kernel_manual_unrollILi128ELi4EZNS0_15gpu_kernel_implIZZZNS0_21clamp_max_kernel_cudaERNS_18TensorIteratorBaseERKN3c106ScalarEENKUlvE_clEvENKUlvE4_clEvEUldE_EEvS4_RKT_EUlibE_EEviT1_,@function
_ZN2at6native32elementwise_kernel_manual_unrollILi128ELi4EZNS0_15gpu_kernel_implIZZZNS0_21clamp_max_kernel_cudaERNS_18TensorIteratorBaseERKN3c106ScalarEENKUlvE_clEvENKUlvE4_clEvEUldE_EEvS4_RKT_EUlibE_EEviT1_: ; @_ZN2at6native32elementwise_kernel_manual_unrollILi128ELi4EZNS0_15gpu_kernel_implIZZZNS0_21clamp_max_kernel_cudaERNS_18TensorIteratorBaseERKN3c106ScalarEENKUlvE_clEvENKUlvE4_clEvEUldE_EEvS4_RKT_EUlibE_EEviT1_
; %bb.0:
	s_clause 0x2
	s_load_b32 s2, s[0:1], 0x28
	s_load_b32 s14, s[0:1], 0x0
	s_load_b256 s[4:11], s[0:1], 0x8
	v_lshl_or_b32 v12, s15, 9, v0
	s_mov_b32 s3, 0
	s_mov_b32 s13, 0
	s_mov_b32 s0, exec_lo
	s_delay_alu instid0(VALU_DEP_1) | instskip(SKIP_2) | instid1(VALU_DEP_2)
	v_or_b32_e32 v0, 0x180, v12
	s_waitcnt lgkmcnt(0)
	v_lshrrev_b16 v10, 8, s2
	v_cmpx_le_i32_e64 s14, v0
	s_xor_b32 s12, exec_lo, s0
	s_cbranch_execz .LBB464_1032
; %bb.1:
	s_mov_b32 s1, -1
	s_mov_b32 s17, 0
	s_mov_b32 s15, 0
	s_mov_b32 s16, exec_lo
	v_cmpx_gt_i32_e64 s14, v12
	s_cbranch_execz .LBB464_251
; %bb.2:
	v_mul_lo_u32 v0, v12, s9
	v_cmp_gt_i16_e32 vcc_lo, 11, v10
	s_delay_alu instid0(VALU_DEP_2) | instskip(SKIP_1) | instid1(VALU_DEP_1)
	v_ashrrev_i32_e32 v1, 31, v0
	v_add_co_u32 v0, s0, s6, v0
	v_add_co_ci_u32_e64 v1, s0, s7, v1, s0
	s_cbranch_vccnz .LBB464_9
; %bb.3:
	v_cmp_lt_i16_e32 vcc_lo, 25, v10
	s_cbranch_vccz .LBB464_18
; %bb.4:
	v_cmp_lt_i16_e32 vcc_lo, 28, v10
	s_cbranch_vccz .LBB464_21
	;; [unrolled: 3-line block ×4, first 2 shown]
; %bb.7:
	v_cmp_eq_u16_e32 vcc_lo, 46, v10
	s_mov_b32 s1, 0
	s_cbranch_vccz .LBB464_26
; %bb.8:
	global_load_b32 v2, v[0:1], off
	s_mov_b32 s0, -1
	s_waitcnt vmcnt(0)
	v_lshlrev_b32_e32 v2, 16, v2
	s_delay_alu instid0(VALU_DEP_1)
	v_cvt_f64_f32_e32 v[2:3], v2
	s_branch .LBB464_28
.LBB464_9:
	s_mov_b32 s0, 0
                                        ; implicit-def: $vgpr2_vgpr3
	s_and_b32 vcc_lo, exec_lo, s1
	s_cbranch_vccnz .LBB464_201
.LBB464_10:
	s_and_not1_b32 vcc_lo, exec_lo, s0
	s_cbranch_vccnz .LBB464_248
.LBB464_11:
	v_max_f64 v[0:1], s[10:11], s[10:11]
	s_waitcnt vmcnt(0)
	s_delay_alu instid0(VALU_DEP_2) | instskip(SKIP_2) | instid1(VALU_DEP_1)
	v_max_f64 v[4:5], v[2:3], v[2:3]
	v_cmp_u_f64_e32 vcc_lo, v[2:3], v[2:3]
	v_and_b32_e64 v6, 0xff, s2
	v_cmp_gt_i16_e64 s0, 11, v6
	s_delay_alu instid0(VALU_DEP_4) | instskip(SKIP_1) | instid1(VALU_DEP_1)
	v_min_f64 v[0:1], v[4:5], v[0:1]
	v_mul_lo_u32 v4, v12, s8
	v_ashrrev_i32_e32 v5, 31, v4
	v_add_co_u32 v4, s1, s4, v4
	s_delay_alu instid0(VALU_DEP_1)
	v_add_co_ci_u32_e64 v5, s1, s5, v5, s1
	v_dual_cndmask_b32 v1, v1, v3 :: v_dual_cndmask_b32 v0, v0, v2
	s_and_b32 vcc_lo, exec_lo, s0
	s_cbranch_vccnz .LBB464_19
; %bb.12:
	v_cmp_lt_i16_e32 vcc_lo, 25, v6
	s_cbranch_vccz .LBB464_22
; %bb.13:
	v_cmp_lt_i16_e32 vcc_lo, 28, v6
	s_cbranch_vccz .LBB464_24
	;; [unrolled: 3-line block ×4, first 2 shown]
; %bb.16:
	v_cmp_eq_u16_e32 vcc_lo, 46, v6
	s_mov_b32 s13, 0
	s_mov_b32 s0, -1
	s_mov_b32 s1, 0
	s_cbranch_vccz .LBB464_32
; %bb.17:
	v_cvt_f32_f64_e32 v2, v[0:1]
	s_mov_b32 s1, -1
	s_mov_b32 s0, 0
	s_delay_alu instid0(VALU_DEP_1) | instskip(SKIP_1) | instid1(VALU_DEP_2)
	v_bfe_u32 v3, v2, 16, 1
	v_cmp_o_f32_e32 vcc_lo, v2, v2
	v_add3_u32 v3, v2, v3, 0x7fff
	s_delay_alu instid0(VALU_DEP_1) | instskip(NEXT) | instid1(VALU_DEP_1)
	v_lshrrev_b32_e32 v3, 16, v3
	v_cndmask_b32_e32 v2, 0x7fc0, v3, vcc_lo
	global_store_b32 v[4:5], v2, off
	s_branch .LBB464_32
.LBB464_18:
	s_mov_b32 s0, 0
                                        ; implicit-def: $vgpr2_vgpr3
	s_and_b32 vcc_lo, exec_lo, s1
	s_cbranch_vccnz .LBB464_168
	s_branch .LBB464_200
.LBB464_19:
	s_mov_b32 s0, 0
	s_mov_b32 s1, 0
	s_cbranch_execnz .LBB464_101
.LBB464_20:
	s_and_not1_b32 vcc_lo, exec_lo, s1
	s_cbranch_vccnz .LBB464_249
	s_branch .LBB464_139
.LBB464_21:
	s_mov_b32 s0, 0
                                        ; implicit-def: $vgpr2_vgpr3
	s_branch .LBB464_147
.LBB464_22:
	s_mov_b32 s13, -1
	s_mov_b32 s0, 0
	s_mov_b32 s1, 0
	s_branch .LBB464_59
.LBB464_23:
	s_mov_b32 s0, 0
                                        ; implicit-def: $vgpr2_vgpr3
	s_branch .LBB464_142
.LBB464_24:
	s_mov_b32 s13, -1
	s_mov_b32 s0, 0
	s_mov_b32 s1, 0
	s_branch .LBB464_42
.LBB464_25:
	s_mov_b32 s13, -1
	s_mov_b32 s0, 0
	s_mov_b32 s1, 0
	s_branch .LBB464_38
.LBB464_26:
	s_mov_b32 s15, -1
.LBB464_27:
	s_mov_b32 s0, 0
                                        ; implicit-def: $vgpr2_vgpr3
.LBB464_28:
	s_and_b32 vcc_lo, exec_lo, s1
	s_cbranch_vccz .LBB464_141
; %bb.29:
	v_cmp_eq_u16_e32 vcc_lo, 44, v10
	s_cbranch_vccz .LBB464_140
; %bb.30:
	global_load_u8 v4, v[0:1], off
	s_mov_b32 s15, 0
	s_mov_b32 s0, -1
	s_waitcnt vmcnt(0)
	v_cmp_ne_u32_e32 vcc_lo, 0xff, v4
	v_lshlrev_b32_e32 v2, 23, v4
	s_delay_alu instid0(VALU_DEP_1) | instskip(NEXT) | instid1(VALU_DEP_1)
	v_cvt_f64_f32_e32 v[2:3], v2
	v_cndmask_b32_e32 v3, 0x7ff80000, v3, vcc_lo
	s_delay_alu instid0(VALU_DEP_2) | instskip(SKIP_1) | instid1(VALU_DEP_3)
	v_cndmask_b32_e32 v2, 0x20000000, v2, vcc_lo
	v_cmp_ne_u32_e32 vcc_lo, 0, v4
	v_cndmask_b32_e32 v3, 0x38000000, v3, vcc_lo
	s_delay_alu instid0(VALU_DEP_3)
	v_cndmask_b32_e32 v2, 0, v2, vcc_lo
	s_branch .LBB464_141
.LBB464_31:
	s_mov_b32 s13, -1
	s_mov_b32 s0, 0
	s_mov_b32 s1, 0
.LBB464_32:
	s_and_b32 vcc_lo, exec_lo, s13
	s_cbranch_vccz .LBB464_37
; %bb.33:
	v_cmp_eq_u16_e32 vcc_lo, 44, v6
	s_mov_b32 s0, -1
	s_cbranch_vccz .LBB464_37
; %bb.34:
	v_cvt_f32_f64_e32 v2, v[0:1]
	v_mov_b32_e32 v3, 0xff
	s_mov_b32 s1, exec_lo
	s_delay_alu instid0(VALU_DEP_2) | instskip(NEXT) | instid1(VALU_DEP_1)
	v_bfe_u32 v7, v2, 23, 8
	v_cmpx_ne_u32_e32 0xff, v7
; %bb.35:
	v_and_b32_e32 v3, 0x400000, v2
	v_and_or_b32 v7, 0x3fffff, v2, v7
	v_lshrrev_b32_e32 v2, 23, v2
	s_delay_alu instid0(VALU_DEP_3) | instskip(NEXT) | instid1(VALU_DEP_3)
	v_cmp_ne_u32_e32 vcc_lo, 0, v3
	v_cmp_ne_u32_e64 s0, 0, v7
	s_delay_alu instid0(VALU_DEP_1) | instskip(NEXT) | instid1(SALU_CYCLE_1)
	s_and_b32 s0, vcc_lo, s0
	v_cndmask_b32_e64 v3, 0, 1, s0
	s_delay_alu instid0(VALU_DEP_1)
	v_add_nc_u32_e32 v3, v2, v3
; %bb.36:
	s_or_b32 exec_lo, exec_lo, s1
	s_mov_b32 s1, -1
	s_mov_b32 s0, 0
	global_store_b8 v[4:5], v3, off
.LBB464_37:
	s_mov_b32 s13, 0
.LBB464_38:
	s_delay_alu instid0(SALU_CYCLE_1)
	s_and_b32 vcc_lo, exec_lo, s13
	s_cbranch_vccz .LBB464_41
; %bb.39:
	v_cmp_eq_u16_e32 vcc_lo, 29, v6
	s_mov_b32 s0, -1
	s_cbranch_vccz .LBB464_41
; %bb.40:
	v_trunc_f64_e32 v[2:3], v[0:1]
	s_mov_b32 s1, -1
	s_mov_b32 s0, 0
	s_mov_b32 s13, 0
	s_delay_alu instid0(VALU_DEP_1) | instskip(NEXT) | instid1(VALU_DEP_1)
	v_ldexp_f64 v[7:8], v[2:3], 0xffffffe0
	v_floor_f64_e32 v[7:8], v[7:8]
	s_delay_alu instid0(VALU_DEP_1) | instskip(SKIP_1) | instid1(VALU_DEP_2)
	v_fma_f64 v[2:3], 0xc1f00000, v[7:8], v[2:3]
	v_cvt_u32_f64_e32 v8, v[7:8]
	v_cvt_u32_f64_e32 v7, v[2:3]
	global_store_b64 v[4:5], v[7:8], off
	s_branch .LBB464_42
.LBB464_41:
	s_mov_b32 s13, 0
.LBB464_42:
	s_delay_alu instid0(SALU_CYCLE_1)
	s_and_b32 vcc_lo, exec_lo, s13
	s_cbranch_vccz .LBB464_58
; %bb.43:
	v_cmp_gt_i16_e32 vcc_lo, 27, v6
	s_mov_b32 s1, -1
	s_cbranch_vccnz .LBB464_49
; %bb.44:
	v_cmp_lt_i16_e32 vcc_lo, 27, v6
	s_cbranch_vccz .LBB464_46
; %bb.45:
	v_cvt_u32_f64_e32 v2, v[0:1]
	s_mov_b32 s1, 0
	global_store_b32 v[4:5], v2, off
.LBB464_46:
	s_and_not1_b32 vcc_lo, exec_lo, s1
	s_cbranch_vccnz .LBB464_48
; %bb.47:
	v_cvt_u32_f64_e32 v2, v[0:1]
	global_store_b16 v[4:5], v2, off
.LBB464_48:
	s_mov_b32 s1, 0
.LBB464_49:
	s_delay_alu instid0(SALU_CYCLE_1)
	s_and_not1_b32 vcc_lo, exec_lo, s1
	s_cbranch_vccnz .LBB464_57
; %bb.50:
	v_cvt_f32_f64_e32 v2, v[0:1]
	v_mov_b32_e32 v7, 0x80
	s_mov_b32 s1, exec_lo
	s_delay_alu instid0(VALU_DEP_2) | instskip(NEXT) | instid1(VALU_DEP_1)
	v_and_b32_e32 v3, 0x7fffffff, v2
	v_cmpx_gt_u32_e32 0x43800000, v3
	s_cbranch_execz .LBB464_56
; %bb.51:
	v_cmp_lt_u32_e32 vcc_lo, 0x3bffffff, v3
	s_mov_b32 s13, 0
                                        ; implicit-def: $vgpr3
	s_and_saveexec_b32 s18, vcc_lo
	s_delay_alu instid0(SALU_CYCLE_1)
	s_xor_b32 s18, exec_lo, s18
	s_cbranch_execz .LBB464_275
; %bb.52:
	v_bfe_u32 v3, v2, 20, 1
	s_mov_b32 s13, exec_lo
	s_delay_alu instid0(VALU_DEP_1) | instskip(NEXT) | instid1(VALU_DEP_1)
	v_add3_u32 v3, v2, v3, 0x487ffff
	v_lshrrev_b32_e32 v3, 20, v3
	s_or_saveexec_b32 s18, s18
                                        ; implicit-def: $sgpr19
	s_delay_alu instid0(SALU_CYCLE_1)
	s_xor_b32 exec_lo, exec_lo, s18
	s_cbranch_execnz .LBB464_276
.LBB464_53:
	s_or_b32 exec_lo, exec_lo, s18
	v_mov_b32_e32 v7, s19
	s_and_saveexec_b32 s18, s13
.LBB464_54:
	v_lshrrev_b32_e32 v2, 24, v2
	s_delay_alu instid0(VALU_DEP_1)
	v_and_or_b32 v7, 0x80, v2, v3
.LBB464_55:
	s_or_b32 exec_lo, exec_lo, s18
.LBB464_56:
	s_delay_alu instid0(SALU_CYCLE_1)
	s_or_b32 exec_lo, exec_lo, s1
	global_store_b8 v[4:5], v7, off
.LBB464_57:
	s_mov_b32 s1, -1
.LBB464_58:
	s_mov_b32 s13, 0
.LBB464_59:
	s_delay_alu instid0(SALU_CYCLE_1)
	s_and_b32 vcc_lo, exec_lo, s13
	s_cbranch_vccz .LBB464_100
; %bb.60:
	v_cmp_lt_i16_e32 vcc_lo, 22, v6
	s_mov_b32 s13, -1
	s_cbranch_vccz .LBB464_92
; %bb.61:
	v_cmp_gt_i16_e32 vcc_lo, 24, v6
	s_mov_b32 s1, -1
	s_cbranch_vccnz .LBB464_81
; %bb.62:
	v_cmp_lt_i16_e32 vcc_lo, 24, v6
	s_cbranch_vccz .LBB464_70
; %bb.63:
	v_cvt_f32_f64_e32 v2, v[0:1]
	v_mov_b32_e32 v7, 0x80
	s_mov_b32 s1, exec_lo
	s_delay_alu instid0(VALU_DEP_2) | instskip(NEXT) | instid1(VALU_DEP_1)
	v_and_b32_e32 v3, 0x7fffffff, v2
	v_cmpx_gt_u32_e32 0x47800000, v3
	s_cbranch_execz .LBB464_69
; %bb.64:
	v_cmp_lt_u32_e32 vcc_lo, 0x37ffffff, v3
	s_mov_b32 s13, 0
                                        ; implicit-def: $vgpr3
	s_and_saveexec_b32 s18, vcc_lo
	s_delay_alu instid0(SALU_CYCLE_1)
	s_xor_b32 s18, exec_lo, s18
	s_cbranch_execz .LBB464_279
; %bb.65:
	v_bfe_u32 v3, v2, 21, 1
	s_mov_b32 s13, exec_lo
	s_delay_alu instid0(VALU_DEP_1) | instskip(NEXT) | instid1(VALU_DEP_1)
	v_add3_u32 v3, v2, v3, 0x88fffff
	v_lshrrev_b32_e32 v3, 21, v3
	s_or_saveexec_b32 s18, s18
                                        ; implicit-def: $sgpr19
	s_delay_alu instid0(SALU_CYCLE_1)
	s_xor_b32 exec_lo, exec_lo, s18
	s_cbranch_execnz .LBB464_280
.LBB464_66:
	s_or_b32 exec_lo, exec_lo, s18
	v_mov_b32_e32 v7, s19
	s_and_saveexec_b32 s18, s13
.LBB464_67:
	v_lshrrev_b32_e32 v2, 24, v2
	s_delay_alu instid0(VALU_DEP_1)
	v_and_or_b32 v7, 0x80, v2, v3
.LBB464_68:
	s_or_b32 exec_lo, exec_lo, s18
.LBB464_69:
	s_delay_alu instid0(SALU_CYCLE_1)
	s_or_b32 exec_lo, exec_lo, s1
	s_mov_b32 s1, 0
	global_store_b8 v[4:5], v7, off
.LBB464_70:
	s_and_b32 vcc_lo, exec_lo, s1
	s_cbranch_vccz .LBB464_80
; %bb.71:
	v_cvt_f32_f64_e32 v2, v[0:1]
	s_mov_b32 s1, exec_lo
                                        ; implicit-def: $vgpr3
	s_delay_alu instid0(VALU_DEP_1) | instskip(NEXT) | instid1(VALU_DEP_1)
	v_and_b32_e32 v7, 0x7fffffff, v2
	v_cmpx_gt_u32_e32 0x43f00000, v7
	s_xor_b32 s1, exec_lo, s1
	s_cbranch_execz .LBB464_77
; %bb.72:
	s_mov_b32 s13, exec_lo
                                        ; implicit-def: $vgpr3
	v_cmpx_lt_u32_e32 0x3c7fffff, v7
	s_xor_b32 s13, exec_lo, s13
; %bb.73:
	v_bfe_u32 v3, v2, 20, 1
	s_delay_alu instid0(VALU_DEP_1) | instskip(NEXT) | instid1(VALU_DEP_1)
	v_add3_u32 v3, v2, v3, 0x407ffff
	v_and_b32_e32 v7, 0xff00000, v3
	v_lshrrev_b32_e32 v3, 20, v3
	s_delay_alu instid0(VALU_DEP_2) | instskip(NEXT) | instid1(VALU_DEP_2)
	v_cmp_ne_u32_e32 vcc_lo, 0x7f00000, v7
	v_cndmask_b32_e32 v3, 0x7e, v3, vcc_lo
; %bb.74:
	s_and_not1_saveexec_b32 s13, s13
; %bb.75:
	v_add_f32_e64 v3, 0x46800000, |v2|
; %bb.76:
	s_or_b32 exec_lo, exec_lo, s13
                                        ; implicit-def: $vgpr7
.LBB464_77:
	s_and_not1_saveexec_b32 s1, s1
; %bb.78:
	v_mov_b32_e32 v3, 0x7f
	v_cmp_lt_u32_e32 vcc_lo, 0x7f800000, v7
	s_delay_alu instid0(VALU_DEP_2)
	v_cndmask_b32_e32 v3, 0x7e, v3, vcc_lo
; %bb.79:
	s_or_b32 exec_lo, exec_lo, s1
	v_lshrrev_b32_e32 v2, 24, v2
	s_delay_alu instid0(VALU_DEP_1)
	v_and_or_b32 v2, 0x80, v2, v3
	global_store_b8 v[4:5], v2, off
.LBB464_80:
	s_mov_b32 s1, 0
.LBB464_81:
	s_delay_alu instid0(SALU_CYCLE_1)
	s_and_not1_b32 vcc_lo, exec_lo, s1
	s_cbranch_vccnz .LBB464_91
; %bb.82:
	v_cvt_f32_f64_e32 v2, v[0:1]
	s_mov_b32 s1, exec_lo
                                        ; implicit-def: $vgpr3
	s_delay_alu instid0(VALU_DEP_1) | instskip(NEXT) | instid1(VALU_DEP_1)
	v_and_b32_e32 v7, 0x7fffffff, v2
	v_cmpx_gt_u32_e32 0x47800000, v7
	s_xor_b32 s1, exec_lo, s1
	s_cbranch_execz .LBB464_88
; %bb.83:
	s_mov_b32 s13, exec_lo
                                        ; implicit-def: $vgpr3
	v_cmpx_lt_u32_e32 0x387fffff, v7
	s_xor_b32 s13, exec_lo, s13
; %bb.84:
	v_bfe_u32 v3, v2, 21, 1
	s_delay_alu instid0(VALU_DEP_1) | instskip(NEXT) | instid1(VALU_DEP_1)
	v_add3_u32 v3, v2, v3, 0x80fffff
	v_lshrrev_b32_e32 v3, 21, v3
; %bb.85:
	s_and_not1_saveexec_b32 s13, s13
; %bb.86:
	v_add_f32_e64 v3, 0x43000000, |v2|
; %bb.87:
	s_or_b32 exec_lo, exec_lo, s13
                                        ; implicit-def: $vgpr7
.LBB464_88:
	s_and_not1_saveexec_b32 s1, s1
; %bb.89:
	v_mov_b32_e32 v3, 0x7f
	v_cmp_lt_u32_e32 vcc_lo, 0x7f800000, v7
	s_delay_alu instid0(VALU_DEP_2)
	v_cndmask_b32_e32 v3, 0x7c, v3, vcc_lo
; %bb.90:
	s_or_b32 exec_lo, exec_lo, s1
	v_lshrrev_b32_e32 v2, 24, v2
	s_delay_alu instid0(VALU_DEP_1)
	v_and_or_b32 v2, 0x80, v2, v3
	global_store_b8 v[4:5], v2, off
.LBB464_91:
	s_mov_b32 s13, 0
	s_mov_b32 s1, -1
.LBB464_92:
	s_and_not1_b32 vcc_lo, exec_lo, s13
	s_cbranch_vccnz .LBB464_100
; %bb.93:
	v_cmp_lt_i16_e32 vcc_lo, 14, v6
	s_mov_b32 s13, -1
	s_cbranch_vccz .LBB464_97
; %bb.94:
	v_cmp_eq_u16_e32 vcc_lo, 15, v6
	s_mov_b32 s0, -1
	s_cbranch_vccz .LBB464_96
; %bb.95:
	v_cvt_f32_f64_e32 v2, v[0:1]
	s_mov_b32 s1, -1
	s_mov_b32 s0, 0
	s_delay_alu instid0(VALU_DEP_1) | instskip(SKIP_1) | instid1(VALU_DEP_2)
	v_bfe_u32 v3, v2, 16, 1
	v_cmp_o_f32_e32 vcc_lo, v2, v2
	v_add3_u32 v3, v2, v3, 0x7fff
	s_delay_alu instid0(VALU_DEP_1) | instskip(NEXT) | instid1(VALU_DEP_1)
	v_lshrrev_b32_e32 v3, 16, v3
	v_cndmask_b32_e32 v2, 0x7fc0, v3, vcc_lo
	global_store_b16 v[4:5], v2, off
.LBB464_96:
	s_mov_b32 s13, 0
.LBB464_97:
	s_delay_alu instid0(SALU_CYCLE_1)
	s_and_b32 vcc_lo, exec_lo, s13
	s_cbranch_vccz .LBB464_100
; %bb.98:
	v_cmp_eq_u16_e32 vcc_lo, 11, v6
	s_mov_b32 s0, -1
	s_cbranch_vccz .LBB464_100
; %bb.99:
	v_cmp_neq_f64_e32 vcc_lo, 0, v[0:1]
	s_mov_b32 s1, -1
	s_mov_b32 s0, 0
	v_cndmask_b32_e64 v2, 0, 1, vcc_lo
	global_store_b8 v[4:5], v2, off
.LBB464_100:
	s_branch .LBB464_20
.LBB464_101:
	v_cmp_gt_i16_e32 vcc_lo, 5, v6
	s_mov_b32 s1, -1
	s_cbranch_vccnz .LBB464_122
; %bb.102:
	v_cmp_gt_i16_e32 vcc_lo, 8, v6
	s_cbranch_vccnz .LBB464_112
; %bb.103:
	v_cmp_gt_i16_e32 vcc_lo, 9, v6
	s_cbranch_vccnz .LBB464_109
; %bb.104:
	v_cmp_lt_i16_e32 vcc_lo, 9, v6
	s_cbranch_vccz .LBB464_106
; %bb.105:
	v_mov_b32_e32 v2, 0
	s_mov_b32 s1, 0
	s_delay_alu instid0(VALU_DEP_1)
	v_mov_b32_e32 v3, v2
	global_store_b128 v[4:5], v[0:3], off
.LBB464_106:
	s_and_not1_b32 vcc_lo, exec_lo, s1
	s_cbranch_vccnz .LBB464_108
; %bb.107:
	v_cvt_f32_f64_e32 v2, v[0:1]
	v_mov_b32_e32 v3, 0
	global_store_b64 v[4:5], v[2:3], off
.LBB464_108:
	s_mov_b32 s1, 0
.LBB464_109:
	s_delay_alu instid0(SALU_CYCLE_1)
	s_and_not1_b32 vcc_lo, exec_lo, s1
	s_cbranch_vccnz .LBB464_111
; %bb.110:
	v_cvt_f32_f64_e32 v2, v[0:1]
	s_delay_alu instid0(VALU_DEP_1) | instskip(NEXT) | instid1(VALU_DEP_1)
	v_cvt_f16_f32_e32 v2, v2
	v_and_b32_e32 v2, 0xffff, v2
	global_store_b32 v[4:5], v2, off
.LBB464_111:
	s_mov_b32 s1, 0
.LBB464_112:
	s_delay_alu instid0(SALU_CYCLE_1)
	s_and_not1_b32 vcc_lo, exec_lo, s1
	s_cbranch_vccnz .LBB464_121
; %bb.113:
	v_cmp_gt_i16_e32 vcc_lo, 6, v6
	s_mov_b32 s1, -1
	s_cbranch_vccnz .LBB464_119
; %bb.114:
	v_cmp_lt_i16_e32 vcc_lo, 6, v6
	s_cbranch_vccz .LBB464_116
; %bb.115:
	s_mov_b32 s1, 0
	global_store_b64 v[4:5], v[0:1], off
.LBB464_116:
	s_and_not1_b32 vcc_lo, exec_lo, s1
	s_cbranch_vccnz .LBB464_118
; %bb.117:
	v_cvt_f32_f64_e32 v2, v[0:1]
	global_store_b32 v[4:5], v2, off
.LBB464_118:
	s_mov_b32 s1, 0
.LBB464_119:
	s_delay_alu instid0(SALU_CYCLE_1)
	s_and_not1_b32 vcc_lo, exec_lo, s1
	s_cbranch_vccnz .LBB464_121
; %bb.120:
	v_cvt_f32_f64_e32 v2, v[0:1]
	s_delay_alu instid0(VALU_DEP_1)
	v_cvt_f16_f32_e32 v2, v2
	global_store_b16 v[4:5], v2, off
.LBB464_121:
	s_mov_b32 s1, 0
.LBB464_122:
	s_delay_alu instid0(SALU_CYCLE_1)
	s_and_not1_b32 vcc_lo, exec_lo, s1
	s_cbranch_vccnz .LBB464_138
; %bb.123:
	v_cmp_gt_i16_e32 vcc_lo, 2, v6
	s_mov_b32 s1, -1
	s_cbranch_vccnz .LBB464_133
; %bb.124:
	v_cmp_gt_i16_e32 vcc_lo, 3, v6
	s_cbranch_vccnz .LBB464_130
; %bb.125:
	v_cmp_lt_i16_e32 vcc_lo, 3, v6
	s_cbranch_vccz .LBB464_127
; %bb.126:
	v_trunc_f64_e32 v[2:3], v[0:1]
	s_mov_b32 s1, 0
	s_delay_alu instid0(VALU_DEP_1) | instskip(NEXT) | instid1(VALU_DEP_1)
	v_ldexp_f64 v[7:8], v[2:3], 0xffffffe0
	v_floor_f64_e32 v[7:8], v[7:8]
	s_delay_alu instid0(VALU_DEP_1) | instskip(SKIP_1) | instid1(VALU_DEP_2)
	v_fma_f64 v[2:3], 0xc1f00000, v[7:8], v[2:3]
	v_cvt_i32_f64_e32 v8, v[7:8]
	v_cvt_u32_f64_e32 v7, v[2:3]
	global_store_b64 v[4:5], v[7:8], off
.LBB464_127:
	s_and_not1_b32 vcc_lo, exec_lo, s1
	s_cbranch_vccnz .LBB464_129
; %bb.128:
	v_cvt_i32_f64_e32 v2, v[0:1]
	global_store_b32 v[4:5], v2, off
.LBB464_129:
	s_mov_b32 s1, 0
.LBB464_130:
	s_delay_alu instid0(SALU_CYCLE_1)
	s_and_not1_b32 vcc_lo, exec_lo, s1
	s_cbranch_vccnz .LBB464_132
; %bb.131:
	v_cvt_i32_f64_e32 v2, v[0:1]
	global_store_b16 v[4:5], v2, off
.LBB464_132:
	s_mov_b32 s1, 0
.LBB464_133:
	s_delay_alu instid0(SALU_CYCLE_1)
	s_and_not1_b32 vcc_lo, exec_lo, s1
	s_cbranch_vccnz .LBB464_138
; %bb.134:
	v_cmp_lt_i16_e32 vcc_lo, 0, v6
	s_mov_b32 s1, -1
	s_cbranch_vccz .LBB464_136
; %bb.135:
	v_cvt_i32_f64_e32 v2, v[0:1]
	s_mov_b32 s1, 0
	global_store_b8 v[4:5], v2, off
.LBB464_136:
	s_and_not1_b32 vcc_lo, exec_lo, s1
	s_cbranch_vccnz .LBB464_138
; %bb.137:
	v_trunc_f64_e32 v[0:1], v[0:1]
	s_delay_alu instid0(VALU_DEP_1) | instskip(NEXT) | instid1(VALU_DEP_1)
	v_ldexp_f64 v[2:3], v[0:1], 0xffffffe0
	v_floor_f64_e32 v[2:3], v[2:3]
	s_delay_alu instid0(VALU_DEP_1) | instskip(NEXT) | instid1(VALU_DEP_1)
	v_fma_f64 v[0:1], 0xc1f00000, v[2:3], v[0:1]
	v_cvt_u32_f64_e32 v0, v[0:1]
	global_store_b8 v[4:5], v0, off
.LBB464_138:
.LBB464_139:
	v_add_nc_u32_e32 v12, 0x80, v12
	s_mov_b32 s1, -1
	s_branch .LBB464_250
.LBB464_140:
	s_mov_b32 s15, -1
                                        ; implicit-def: $vgpr2_vgpr3
.LBB464_141:
	s_mov_b32 s1, 0
.LBB464_142:
	s_delay_alu instid0(SALU_CYCLE_1)
	s_and_b32 vcc_lo, exec_lo, s1
	s_cbranch_vccz .LBB464_146
; %bb.143:
	v_cmp_eq_u16_e32 vcc_lo, 29, v10
	s_cbranch_vccz .LBB464_145
; %bb.144:
	global_load_b64 v[2:3], v[0:1], off
	s_mov_b32 s0, -1
	s_mov_b32 s15, 0
	s_mov_b32 s1, 0
	s_waitcnt vmcnt(0)
	v_cvt_f64_u32_e32 v[3:4], v3
	v_cvt_f64_u32_e32 v[5:6], v2
	s_delay_alu instid0(VALU_DEP_2) | instskip(NEXT) | instid1(VALU_DEP_1)
	v_ldexp_f64 v[3:4], v[3:4], 32
	v_add_f64 v[2:3], v[3:4], v[5:6]
	s_branch .LBB464_147
.LBB464_145:
	s_mov_b32 s15, -1
                                        ; implicit-def: $vgpr2_vgpr3
.LBB464_146:
	s_mov_b32 s1, 0
.LBB464_147:
	s_delay_alu instid0(SALU_CYCLE_1)
	s_and_b32 vcc_lo, exec_lo, s1
	s_cbranch_vccz .LBB464_167
; %bb.148:
	v_cmp_gt_i16_e32 vcc_lo, 27, v10
	s_cbranch_vccnz .LBB464_151
; %bb.149:
	v_cmp_lt_i16_e32 vcc_lo, 27, v10
	s_cbranch_vccz .LBB464_152
; %bb.150:
	global_load_b32 v2, v[0:1], off
	s_mov_b32 s0, 0
	s_waitcnt vmcnt(0)
	v_cvt_f64_u32_e32 v[2:3], v2
	s_branch .LBB464_153
.LBB464_151:
	s_mov_b32 s0, -1
                                        ; implicit-def: $vgpr2_vgpr3
	s_branch .LBB464_156
.LBB464_152:
	s_mov_b32 s0, -1
                                        ; implicit-def: $vgpr2_vgpr3
.LBB464_153:
	s_delay_alu instid0(SALU_CYCLE_1)
	s_and_not1_b32 vcc_lo, exec_lo, s0
	s_cbranch_vccnz .LBB464_155
; %bb.154:
	global_load_u16 v2, v[0:1], off
	s_waitcnt vmcnt(0)
	v_cvt_f64_u32_e32 v[2:3], v2
.LBB464_155:
	s_mov_b32 s0, 0
.LBB464_156:
	s_delay_alu instid0(SALU_CYCLE_1)
	s_and_not1_b32 vcc_lo, exec_lo, s0
	s_cbranch_vccnz .LBB464_166
; %bb.157:
	global_load_u8 v4, v[0:1], off
	s_mov_b32 s18, exec_lo
                                        ; implicit-def: $sgpr0_sgpr1
	s_waitcnt vmcnt(0)
	v_cmpx_lt_i16_e32 0x7f, v4
	s_xor_b32 s18, exec_lo, s18
	s_cbranch_execz .LBB464_161
; %bb.158:
	s_mov_b32 s19, -1
	s_mov_b32 s13, exec_lo
                                        ; implicit-def: $sgpr0_sgpr1
	v_cmpx_eq_u16_e32 0x80, v4
; %bb.159:
	s_mov_b32 s1, 0x7ff80000
	s_brev_b32 s0, 4
	s_xor_b32 s19, exec_lo, -1
; %bb.160:
	s_or_b32 exec_lo, exec_lo, s13
	s_delay_alu instid0(SALU_CYCLE_1)
	s_and_b32 s13, s19, exec_lo
.LBB464_161:
	s_or_saveexec_b32 s18, s18
	v_dual_mov_b32 v3, s1 :: v_dual_mov_b32 v2, s0
	s_xor_b32 exec_lo, exec_lo, s18
; %bb.162:
	v_cmp_ne_u16_e32 vcc_lo, 0, v4
	v_mov_b32_e32 v2, 0
	v_mov_b32_e32 v3, 0
	s_and_not1_b32 s0, s13, exec_lo
	s_and_b32 s1, vcc_lo, exec_lo
	s_delay_alu instid0(SALU_CYCLE_1)
	s_or_b32 s13, s0, s1
; %bb.163:
	s_or_b32 exec_lo, exec_lo, s18
	s_and_saveexec_b32 s0, s13
	s_cbranch_execz .LBB464_165
; %bb.164:
	v_and_b32_e32 v2, 0xffff, v4
	v_lshlrev_b32_e32 v4, 24, v4
	s_delay_alu instid0(VALU_DEP_2) | instskip(NEXT) | instid1(VALU_DEP_2)
	v_and_b32_e32 v3, 7, v2
	v_and_b32_e32 v4, 0x80000000, v4
	s_delay_alu instid0(VALU_DEP_2) | instskip(NEXT) | instid1(VALU_DEP_1)
	v_clz_i32_u32_e32 v5, v3
	v_min_u32_e32 v5, 32, v5
	s_delay_alu instid0(VALU_DEP_1) | instskip(SKIP_1) | instid1(VALU_DEP_2)
	v_subrev_nc_u32_e32 v6, 28, v5
	v_sub_nc_u32_e32 v5, 29, v5
	v_lshlrev_b32_e32 v6, v6, v2
	v_bfe_u32 v2, v2, 3, 4
	s_delay_alu instid0(VALU_DEP_2) | instskip(NEXT) | instid1(VALU_DEP_2)
	v_and_b32_e32 v6, 7, v6
	v_cmp_eq_u32_e32 vcc_lo, 0, v2
	s_delay_alu instid0(VALU_DEP_2) | instskip(NEXT) | instid1(VALU_DEP_1)
	v_dual_cndmask_b32 v2, v2, v5 :: v_dual_cndmask_b32 v3, v3, v6
	v_lshl_add_u32 v2, v2, 23, 0x3b800000
	s_delay_alu instid0(VALU_DEP_2) | instskip(NEXT) | instid1(VALU_DEP_1)
	v_lshlrev_b32_e32 v3, 20, v3
	v_or3_b32 v2, v4, v2, v3
	s_delay_alu instid0(VALU_DEP_1)
	v_cvt_f64_f32_e32 v[2:3], v2
.LBB464_165:
	s_or_b32 exec_lo, exec_lo, s0
.LBB464_166:
	s_mov_b32 s0, -1
.LBB464_167:
	s_branch .LBB464_200
.LBB464_168:
	v_cmp_lt_i16_e32 vcc_lo, 22, v10
	s_cbranch_vccz .LBB464_180
; %bb.169:
	v_cmp_gt_i16_e32 vcc_lo, 24, v10
	s_cbranch_vccnz .LBB464_181
; %bb.170:
	v_cmp_lt_i16_e32 vcc_lo, 24, v10
	s_cbranch_vccz .LBB464_182
; %bb.171:
	global_load_u8 v4, v[0:1], off
	s_mov_b32 s13, 0
	s_mov_b32 s18, exec_lo
                                        ; implicit-def: $sgpr0_sgpr1
	s_waitcnt vmcnt(0)
	v_cmpx_lt_i16_e32 0x7f, v4
	s_xor_b32 s18, exec_lo, s18
	s_cbranch_execz .LBB464_175
; %bb.172:
	s_mov_b32 s19, -1
	s_mov_b32 s13, exec_lo
                                        ; implicit-def: $sgpr0_sgpr1
	v_cmpx_eq_u16_e32 0x80, v4
; %bb.173:
	s_mov_b32 s1, 0x7ff80000
	s_brev_b32 s0, 4
	s_xor_b32 s19, exec_lo, -1
; %bb.174:
	s_or_b32 exec_lo, exec_lo, s13
	s_delay_alu instid0(SALU_CYCLE_1)
	s_and_b32 s13, s19, exec_lo
.LBB464_175:
	s_or_saveexec_b32 s18, s18
	v_dual_mov_b32 v3, s1 :: v_dual_mov_b32 v2, s0
	s_xor_b32 exec_lo, exec_lo, s18
; %bb.176:
	v_cmp_ne_u16_e32 vcc_lo, 0, v4
	v_mov_b32_e32 v2, 0
	v_mov_b32_e32 v3, 0
	s_and_not1_b32 s0, s13, exec_lo
	s_and_b32 s1, vcc_lo, exec_lo
	s_delay_alu instid0(SALU_CYCLE_1)
	s_or_b32 s13, s0, s1
; %bb.177:
	s_or_b32 exec_lo, exec_lo, s18
	s_and_saveexec_b32 s0, s13
	s_cbranch_execz .LBB464_179
; %bb.178:
	v_and_b32_e32 v2, 0xffff, v4
	v_lshlrev_b32_e32 v4, 24, v4
	s_delay_alu instid0(VALU_DEP_2) | instskip(NEXT) | instid1(VALU_DEP_2)
	v_and_b32_e32 v3, 3, v2
	v_and_b32_e32 v4, 0x80000000, v4
	s_delay_alu instid0(VALU_DEP_2) | instskip(NEXT) | instid1(VALU_DEP_1)
	v_clz_i32_u32_e32 v5, v3
	v_min_u32_e32 v5, 32, v5
	s_delay_alu instid0(VALU_DEP_1) | instskip(SKIP_1) | instid1(VALU_DEP_2)
	v_subrev_nc_u32_e32 v6, 29, v5
	v_sub_nc_u32_e32 v5, 30, v5
	v_lshlrev_b32_e32 v6, v6, v2
	v_bfe_u32 v2, v2, 2, 5
	s_delay_alu instid0(VALU_DEP_2) | instskip(NEXT) | instid1(VALU_DEP_2)
	v_and_b32_e32 v6, 3, v6
	v_cmp_eq_u32_e32 vcc_lo, 0, v2
	s_delay_alu instid0(VALU_DEP_2) | instskip(NEXT) | instid1(VALU_DEP_1)
	v_dual_cndmask_b32 v2, v2, v5 :: v_dual_cndmask_b32 v3, v3, v6
	v_lshl_add_u32 v2, v2, 23, 0x37800000
	s_delay_alu instid0(VALU_DEP_2) | instskip(NEXT) | instid1(VALU_DEP_1)
	v_lshlrev_b32_e32 v3, 21, v3
	v_or3_b32 v2, v4, v2, v3
	s_delay_alu instid0(VALU_DEP_1)
	v_cvt_f64_f32_e32 v[2:3], v2
.LBB464_179:
	s_or_b32 exec_lo, exec_lo, s0
	s_mov_b32 s0, 0
	s_branch .LBB464_183
.LBB464_180:
	s_mov_b32 s1, -1
                                        ; implicit-def: $vgpr2_vgpr3
	s_branch .LBB464_189
.LBB464_181:
	s_mov_b32 s0, -1
                                        ; implicit-def: $vgpr2_vgpr3
	s_branch .LBB464_186
.LBB464_182:
	s_mov_b32 s0, -1
                                        ; implicit-def: $vgpr2_vgpr3
.LBB464_183:
	s_delay_alu instid0(SALU_CYCLE_1)
	s_and_b32 vcc_lo, exec_lo, s0
	s_cbranch_vccz .LBB464_185
; %bb.184:
	global_load_u8 v2, v[0:1], off
	s_waitcnt vmcnt(0)
	v_lshlrev_b32_e32 v2, 24, v2
	s_delay_alu instid0(VALU_DEP_1) | instskip(NEXT) | instid1(VALU_DEP_1)
	v_and_b32_e32 v3, 0x7f000000, v2
	v_clz_i32_u32_e32 v4, v3
	v_add_nc_u32_e32 v6, 0x1000000, v3
	v_cmp_ne_u32_e32 vcc_lo, 0, v3
	s_delay_alu instid0(VALU_DEP_3) | instskip(NEXT) | instid1(VALU_DEP_1)
	v_min_u32_e32 v4, 32, v4
	v_sub_nc_u32_e64 v4, v4, 4 clamp
	s_delay_alu instid0(VALU_DEP_1) | instskip(SKIP_1) | instid1(VALU_DEP_2)
	v_lshlrev_b32_e32 v5, v4, v3
	v_lshlrev_b32_e32 v4, 23, v4
	v_lshrrev_b32_e32 v5, 4, v5
	s_delay_alu instid0(VALU_DEP_1) | instskip(SKIP_1) | instid1(VALU_DEP_2)
	v_sub_nc_u32_e32 v4, v5, v4
	v_ashrrev_i32_e32 v5, 8, v6
	v_add_nc_u32_e32 v4, 0x3c000000, v4
	s_delay_alu instid0(VALU_DEP_1) | instskip(NEXT) | instid1(VALU_DEP_1)
	v_and_or_b32 v4, 0x7f800000, v5, v4
	v_cndmask_b32_e32 v3, 0, v4, vcc_lo
	s_delay_alu instid0(VALU_DEP_1) | instskip(NEXT) | instid1(VALU_DEP_1)
	v_and_or_b32 v2, 0x80000000, v2, v3
	v_cvt_f64_f32_e32 v[2:3], v2
.LBB464_185:
	s_mov_b32 s0, 0
.LBB464_186:
	s_delay_alu instid0(SALU_CYCLE_1)
	s_and_not1_b32 vcc_lo, exec_lo, s0
	s_cbranch_vccnz .LBB464_188
; %bb.187:
	global_load_u8 v2, v[0:1], off
	s_waitcnt vmcnt(0)
	v_lshlrev_b32_e32 v3, 25, v2
	v_lshlrev_b16 v2, 8, v2
	s_delay_alu instid0(VALU_DEP_2) | instskip(NEXT) | instid1(VALU_DEP_2)
	v_lshrrev_b32_e32 v4, 4, v3
	v_and_or_b32 v5, 0x7f00, v2, 0.5
	v_bfe_i32 v2, v2, 0, 16
	s_delay_alu instid0(VALU_DEP_3) | instskip(NEXT) | instid1(VALU_DEP_1)
	v_or_b32_e32 v4, 0x70000000, v4
	v_dual_add_f32 v5, -0.5, v5 :: v_dual_mul_f32 v4, 0x7800000, v4
	v_cmp_gt_u32_e32 vcc_lo, 0x8000000, v3
	s_delay_alu instid0(VALU_DEP_2) | instskip(NEXT) | instid1(VALU_DEP_1)
	v_cndmask_b32_e32 v3, v4, v5, vcc_lo
	v_and_or_b32 v2, 0x80000000, v2, v3
	s_delay_alu instid0(VALU_DEP_1)
	v_cvt_f64_f32_e32 v[2:3], v2
.LBB464_188:
	s_mov_b32 s1, 0
	s_mov_b32 s0, -1
.LBB464_189:
	s_and_not1_b32 vcc_lo, exec_lo, s1
	s_cbranch_vccnz .LBB464_200
; %bb.190:
	v_cmp_lt_i16_e32 vcc_lo, 14, v10
	s_cbranch_vccz .LBB464_193
; %bb.191:
	v_cmp_eq_u16_e32 vcc_lo, 15, v10
	s_cbranch_vccz .LBB464_194
; %bb.192:
	global_load_u16 v2, v[0:1], off
	s_mov_b32 s0, -1
	s_mov_b32 s15, 0
	s_waitcnt vmcnt(0)
	v_lshlrev_b32_e32 v2, 16, v2
	s_delay_alu instid0(VALU_DEP_1)
	v_cvt_f64_f32_e32 v[2:3], v2
	s_branch .LBB464_195
.LBB464_193:
	s_mov_b32 s1, -1
                                        ; implicit-def: $vgpr2_vgpr3
	s_branch .LBB464_196
.LBB464_194:
	s_mov_b32 s15, -1
                                        ; implicit-def: $vgpr2_vgpr3
.LBB464_195:
	s_mov_b32 s1, 0
.LBB464_196:
	s_delay_alu instid0(SALU_CYCLE_1)
	s_and_b32 vcc_lo, exec_lo, s1
	s_cbranch_vccz .LBB464_200
; %bb.197:
	v_cmp_eq_u16_e32 vcc_lo, 11, v10
	s_cbranch_vccz .LBB464_199
; %bb.198:
	global_load_u8 v2, v[0:1], off
	s_mov_b32 s15, 0
	s_mov_b32 s0, -1
	s_waitcnt vmcnt(0)
	v_cmp_ne_u16_e32 vcc_lo, 0, v2
	v_mov_b32_e32 v2, 0
	v_cndmask_b32_e64 v3, 0, 0x3ff00000, vcc_lo
	s_branch .LBB464_200
.LBB464_199:
	s_mov_b32 s15, -1
                                        ; implicit-def: $vgpr2_vgpr3
.LBB464_200:
	s_branch .LBB464_10
.LBB464_201:
	v_cmp_gt_i16_e32 vcc_lo, 5, v10
	s_cbranch_vccnz .LBB464_206
; %bb.202:
	v_cmp_gt_i16_e32 vcc_lo, 8, v10
	s_cbranch_vccnz .LBB464_207
; %bb.203:
	;; [unrolled: 3-line block ×3, first 2 shown]
	v_cmp_lt_i16_e32 vcc_lo, 9, v10
	s_cbranch_vccz .LBB464_209
; %bb.205:
	global_load_b64 v[2:3], v[0:1], off
	s_mov_b32 s0, 0
	s_branch .LBB464_210
.LBB464_206:
                                        ; implicit-def: $vgpr2_vgpr3
	s_branch .LBB464_228
.LBB464_207:
	s_mov_b32 s0, -1
                                        ; implicit-def: $vgpr2_vgpr3
	s_branch .LBB464_216
.LBB464_208:
	s_mov_b32 s0, -1
                                        ; implicit-def: $vgpr2_vgpr3
	s_branch .LBB464_213
.LBB464_209:
	s_mov_b32 s0, -1
                                        ; implicit-def: $vgpr2_vgpr3
.LBB464_210:
	s_delay_alu instid0(SALU_CYCLE_1)
	s_and_not1_b32 vcc_lo, exec_lo, s0
	s_cbranch_vccnz .LBB464_212
; %bb.211:
	global_load_b32 v2, v[0:1], off
	s_waitcnt vmcnt(0)
	v_cvt_f64_f32_e32 v[2:3], v2
.LBB464_212:
	s_mov_b32 s0, 0
.LBB464_213:
	s_delay_alu instid0(SALU_CYCLE_1)
	s_and_not1_b32 vcc_lo, exec_lo, s0
	s_cbranch_vccnz .LBB464_215
; %bb.214:
	global_load_b32 v2, v[0:1], off
	s_waitcnt vmcnt(0)
	v_cvt_f32_f16_e32 v2, v2
	s_delay_alu instid0(VALU_DEP_1)
	v_cvt_f64_f32_e32 v[2:3], v2
.LBB464_215:
	s_mov_b32 s0, 0
.LBB464_216:
	s_delay_alu instid0(SALU_CYCLE_1)
	s_and_not1_b32 vcc_lo, exec_lo, s0
	s_cbranch_vccnz .LBB464_227
; %bb.217:
	v_cmp_gt_i16_e32 vcc_lo, 6, v10
	s_cbranch_vccnz .LBB464_220
; %bb.218:
	v_cmp_lt_i16_e32 vcc_lo, 6, v10
	s_cbranch_vccz .LBB464_221
; %bb.219:
	global_load_b64 v[2:3], v[0:1], off
	s_mov_b32 s0, 0
	s_branch .LBB464_222
.LBB464_220:
	s_mov_b32 s0, -1
                                        ; implicit-def: $vgpr2_vgpr3
	s_branch .LBB464_225
.LBB464_221:
	s_mov_b32 s0, -1
                                        ; implicit-def: $vgpr2_vgpr3
.LBB464_222:
	s_delay_alu instid0(SALU_CYCLE_1)
	s_and_not1_b32 vcc_lo, exec_lo, s0
	s_cbranch_vccnz .LBB464_224
; %bb.223:
	global_load_b32 v2, v[0:1], off
	s_waitcnt vmcnt(0)
	v_cvt_f64_f32_e32 v[2:3], v2
.LBB464_224:
	s_mov_b32 s0, 0
.LBB464_225:
	s_delay_alu instid0(SALU_CYCLE_1)
	s_and_not1_b32 vcc_lo, exec_lo, s0
	s_cbranch_vccnz .LBB464_227
; %bb.226:
	global_load_u16 v2, v[0:1], off
	s_waitcnt vmcnt(0)
	v_cvt_f32_f16_e32 v2, v2
	s_delay_alu instid0(VALU_DEP_1)
	v_cvt_f64_f32_e32 v[2:3], v2
.LBB464_227:
	s_cbranch_execnz .LBB464_247
.LBB464_228:
	v_cmp_gt_i16_e32 vcc_lo, 2, v10
	s_cbranch_vccnz .LBB464_232
; %bb.229:
	v_cmp_gt_i16_e32 vcc_lo, 3, v10
	s_cbranch_vccnz .LBB464_233
; %bb.230:
	v_cmp_lt_i16_e32 vcc_lo, 3, v10
	s_cbranch_vccz .LBB464_234
; %bb.231:
	global_load_b64 v[2:3], v[0:1], off
	s_mov_b32 s0, 0
	s_waitcnt vmcnt(0)
	v_cvt_f64_i32_e32 v[3:4], v3
	v_cvt_f64_u32_e32 v[5:6], v2
	s_delay_alu instid0(VALU_DEP_2) | instskip(NEXT) | instid1(VALU_DEP_1)
	v_ldexp_f64 v[3:4], v[3:4], 32
	v_add_f64 v[2:3], v[3:4], v[5:6]
	s_branch .LBB464_235
.LBB464_232:
	s_mov_b32 s0, -1
                                        ; implicit-def: $vgpr2_vgpr3
	s_branch .LBB464_241
.LBB464_233:
	s_mov_b32 s0, -1
                                        ; implicit-def: $vgpr2_vgpr3
	s_branch .LBB464_238
.LBB464_234:
	s_mov_b32 s0, -1
                                        ; implicit-def: $vgpr2_vgpr3
.LBB464_235:
	s_delay_alu instid0(SALU_CYCLE_1)
	s_and_not1_b32 vcc_lo, exec_lo, s0
	s_cbranch_vccnz .LBB464_237
; %bb.236:
	global_load_b32 v2, v[0:1], off
	s_waitcnt vmcnt(0)
	v_cvt_f64_i32_e32 v[2:3], v2
.LBB464_237:
	s_mov_b32 s0, 0
.LBB464_238:
	s_delay_alu instid0(SALU_CYCLE_1)
	s_and_not1_b32 vcc_lo, exec_lo, s0
	s_cbranch_vccnz .LBB464_240
; %bb.239:
	global_load_i16 v2, v[0:1], off
	s_waitcnt vmcnt(0)
	v_cvt_f64_i32_e32 v[2:3], v2
.LBB464_240:
	s_mov_b32 s0, 0
.LBB464_241:
	s_delay_alu instid0(SALU_CYCLE_1)
	s_and_not1_b32 vcc_lo, exec_lo, s0
	s_cbranch_vccnz .LBB464_247
; %bb.242:
	v_cmp_lt_i16_e32 vcc_lo, 0, v10
	s_mov_b32 s0, 0
	s_cbranch_vccz .LBB464_244
; %bb.243:
	global_load_i8 v2, v[0:1], off
	s_waitcnt vmcnt(0)
	v_cvt_f64_i32_e32 v[2:3], v2
	s_branch .LBB464_245
.LBB464_244:
	s_mov_b32 s0, -1
                                        ; implicit-def: $vgpr2_vgpr3
.LBB464_245:
	s_delay_alu instid0(SALU_CYCLE_1)
	s_and_not1_b32 vcc_lo, exec_lo, s0
	s_cbranch_vccnz .LBB464_247
; %bb.246:
	global_load_u8 v0, v[0:1], off
	s_waitcnt vmcnt(0)
	v_cvt_f64_u32_e32 v[2:3], v0
.LBB464_247:
	s_branch .LBB464_11
.LBB464_248:
	s_mov_b32 s0, 0
.LBB464_249:
	s_mov_b32 s1, 0
                                        ; implicit-def: $vgpr12
.LBB464_250:
	s_and_b32 s13, s0, exec_lo
	s_and_b32 s15, s15, exec_lo
	s_or_not1_b32 s1, s1, exec_lo
.LBB464_251:
	s_or_b32 exec_lo, exec_lo, s16
	s_mov_b32 s18, 0
	s_mov_b32 s0, 0
                                        ; implicit-def: $vgpr0_vgpr1
                                        ; implicit-def: $vgpr2_vgpr3
	s_and_saveexec_b32 s16, s1
	s_cbranch_execz .LBB464_859
; %bb.252:
	s_mov_b32 s21, -1
	s_mov_b32 s17, s15
	s_mov_b32 s18, s13
	s_mov_b32 s19, exec_lo
	v_cmpx_gt_i32_e64 s14, v12
	s_cbranch_execz .LBB464_511
; %bb.253:
	v_mul_lo_u32 v0, v12, s9
	v_cmp_gt_i16_e32 vcc_lo, 11, v10
	s_delay_alu instid0(VALU_DEP_2) | instskip(SKIP_1) | instid1(VALU_DEP_1)
	v_ashrrev_i32_e32 v1, 31, v0
	v_add_co_u32 v0, s0, s6, v0
	v_add_co_ci_u32_e64 v1, s0, s7, v1, s0
	s_cbranch_vccnz .LBB464_260
; %bb.254:
	v_cmp_lt_i16_e32 vcc_lo, 25, v10
	s_cbranch_vccz .LBB464_269
; %bb.255:
	v_cmp_lt_i16_e32 vcc_lo, 28, v10
	s_cbranch_vccz .LBB464_271
; %bb.256:
	v_cmp_lt_i16_e32 vcc_lo, 43, v10
	s_cbranch_vccz .LBB464_273
; %bb.257:
	v_cmp_lt_i16_e32 vcc_lo, 45, v10
	s_cbranch_vccz .LBB464_277
; %bb.258:
	v_cmp_eq_u16_e32 vcc_lo, 46, v10
	s_mov_b32 s1, 0
	s_cbranch_vccz .LBB464_281
; %bb.259:
	global_load_b32 v2, v[0:1], off
	s_mov_b32 s0, -1
	s_mov_b32 s17, 0
	s_waitcnt vmcnt(0)
	v_lshlrev_b32_e32 v2, 16, v2
	s_delay_alu instid0(VALU_DEP_1)
	v_cvt_f64_f32_e32 v[2:3], v2
	s_branch .LBB464_283
.LBB464_260:
	s_mov_b32 s0, 0
	s_mov_b32 s17, s15
                                        ; implicit-def: $vgpr2_vgpr3
	s_cbranch_execnz .LBB464_460
.LBB464_261:
	s_and_not1_b32 vcc_lo, exec_lo, s0
	s_cbranch_vccnz .LBB464_508
.LBB464_262:
	v_max_f64 v[0:1], s[10:11], s[10:11]
	s_waitcnt vmcnt(0)
	s_delay_alu instid0(VALU_DEP_2) | instskip(SKIP_2) | instid1(VALU_DEP_1)
	v_max_f64 v[4:5], v[2:3], v[2:3]
	v_cmp_u_f64_e32 vcc_lo, v[2:3], v[2:3]
	v_and_b32_e64 v6, 0xff, s2
	v_cmp_gt_i16_e64 s0, 11, v6
	s_delay_alu instid0(VALU_DEP_4) | instskip(SKIP_1) | instid1(VALU_DEP_1)
	v_min_f64 v[0:1], v[4:5], v[0:1]
	v_mul_lo_u32 v4, v12, s8
	v_ashrrev_i32_e32 v5, 31, v4
	v_add_co_u32 v4, s1, s4, v4
	s_delay_alu instid0(VALU_DEP_1)
	v_add_co_ci_u32_e64 v5, s1, s5, v5, s1
	v_dual_cndmask_b32 v1, v1, v3 :: v_dual_cndmask_b32 v0, v0, v2
	s_and_b32 vcc_lo, exec_lo, s0
	s_cbranch_vccnz .LBB464_270
; %bb.263:
	v_cmp_lt_i16_e32 vcc_lo, 25, v6
	s_cbranch_vccz .LBB464_272
; %bb.264:
	v_cmp_lt_i16_e32 vcc_lo, 28, v6
	s_cbranch_vccz .LBB464_274
	;; [unrolled: 3-line block ×4, first 2 shown]
; %bb.267:
	v_cmp_eq_u16_e32 vcc_lo, 46, v6
	s_mov_b32 s18, 0
	s_mov_b32 s0, -1
	s_mov_b32 s1, 0
	s_cbranch_vccz .LBB464_287
; %bb.268:
	v_cvt_f32_f64_e32 v2, v[0:1]
	s_mov_b32 s1, -1
	s_mov_b32 s0, 0
	s_delay_alu instid0(VALU_DEP_1) | instskip(SKIP_1) | instid1(VALU_DEP_2)
	v_bfe_u32 v3, v2, 16, 1
	v_cmp_o_f32_e32 vcc_lo, v2, v2
	v_add3_u32 v3, v2, v3, 0x7fff
	s_delay_alu instid0(VALU_DEP_1) | instskip(NEXT) | instid1(VALU_DEP_1)
	v_lshrrev_b32_e32 v3, 16, v3
	v_cndmask_b32_e32 v2, 0x7fc0, v3, vcc_lo
	global_store_b32 v[4:5], v2, off
	s_branch .LBB464_287
.LBB464_269:
	s_mov_b32 s1, -1
	s_mov_b32 s0, 0
	s_mov_b32 s17, s15
                                        ; implicit-def: $vgpr2_vgpr3
	s_branch .LBB464_426
.LBB464_270:
	s_mov_b32 s18, -1
	s_mov_b32 s1, 0
	s_mov_b32 s0, s13
	s_branch .LBB464_356
.LBB464_271:
	s_mov_b32 s1, -1
	s_mov_b32 s0, 0
	s_mov_b32 s17, s15
                                        ; implicit-def: $vgpr2_vgpr3
	s_branch .LBB464_405
.LBB464_272:
	s_mov_b32 s18, -1
	s_mov_b32 s1, 0
	s_mov_b32 s0, s13
	s_branch .LBB464_314
.LBB464_273:
	s_mov_b32 s1, -1
	s_mov_b32 s0, 0
	s_mov_b32 s17, s15
                                        ; implicit-def: $vgpr2_vgpr3
	s_branch .LBB464_400
.LBB464_274:
	s_mov_b32 s18, -1
	s_mov_b32 s1, 0
	s_mov_b32 s0, s13
	s_branch .LBB464_297
.LBB464_275:
	s_or_saveexec_b32 s18, s18
                                        ; implicit-def: $sgpr19
	s_delay_alu instid0(SALU_CYCLE_1)
	s_xor_b32 exec_lo, exec_lo, s18
	s_cbranch_execz .LBB464_53
.LBB464_276:
	v_add_f32_e64 v3, 0x46000000, |v2|
	s_and_not1_b32 s13, s13, exec_lo
	s_mov_b32 s19, 0
	s_delay_alu instid0(VALU_DEP_1) | instskip(NEXT) | instid1(VALU_DEP_1)
	v_and_b32_e32 v3, 0xff, v3
	v_cmp_ne_u32_e32 vcc_lo, 0, v3
	s_and_b32 s20, vcc_lo, exec_lo
	s_delay_alu instid0(SALU_CYCLE_1)
	s_or_b32 s13, s13, s20
	s_or_b32 exec_lo, exec_lo, s18
	v_mov_b32_e32 v7, s19
	s_and_saveexec_b32 s18, s13
	s_cbranch_execnz .LBB464_54
	s_branch .LBB464_55
.LBB464_277:
	s_mov_b32 s1, -1
	s_mov_b32 s0, 0
	s_mov_b32 s17, s15
	s_branch .LBB464_282
.LBB464_278:
	s_mov_b32 s18, -1
	s_mov_b32 s1, 0
	s_mov_b32 s0, s13
	s_branch .LBB464_293
.LBB464_279:
	s_or_saveexec_b32 s18, s18
                                        ; implicit-def: $sgpr19
	s_delay_alu instid0(SALU_CYCLE_1)
	s_xor_b32 exec_lo, exec_lo, s18
	s_cbranch_execz .LBB464_66
.LBB464_280:
	v_add_f32_e64 v3, 0x42800000, |v2|
	s_and_not1_b32 s13, s13, exec_lo
	s_mov_b32 s19, 0
	s_delay_alu instid0(VALU_DEP_1) | instskip(NEXT) | instid1(VALU_DEP_1)
	v_and_b32_e32 v3, 0xff, v3
	v_cmp_ne_u32_e32 vcc_lo, 0, v3
	s_and_b32 s20, vcc_lo, exec_lo
	s_delay_alu instid0(SALU_CYCLE_1)
	s_or_b32 s13, s13, s20
	s_or_b32 exec_lo, exec_lo, s18
	v_mov_b32_e32 v7, s19
	s_and_saveexec_b32 s18, s13
	s_cbranch_execnz .LBB464_67
	s_branch .LBB464_68
.LBB464_281:
	s_mov_b32 s17, -1
	s_mov_b32 s0, 0
.LBB464_282:
                                        ; implicit-def: $vgpr2_vgpr3
.LBB464_283:
	s_and_b32 vcc_lo, exec_lo, s1
	s_cbranch_vccz .LBB464_399
; %bb.284:
	v_cmp_eq_u16_e32 vcc_lo, 44, v10
	s_cbranch_vccz .LBB464_398
; %bb.285:
	global_load_u8 v4, v[0:1], off
	s_mov_b32 s17, 0
	s_mov_b32 s0, -1
	s_waitcnt vmcnt(0)
	v_cmp_ne_u32_e32 vcc_lo, 0xff, v4
	v_lshlrev_b32_e32 v2, 23, v4
	s_delay_alu instid0(VALU_DEP_1) | instskip(NEXT) | instid1(VALU_DEP_1)
	v_cvt_f64_f32_e32 v[2:3], v2
	v_cndmask_b32_e32 v3, 0x7ff80000, v3, vcc_lo
	s_delay_alu instid0(VALU_DEP_2) | instskip(SKIP_1) | instid1(VALU_DEP_3)
	v_cndmask_b32_e32 v2, 0x20000000, v2, vcc_lo
	v_cmp_ne_u32_e32 vcc_lo, 0, v4
	v_cndmask_b32_e32 v3, 0x38000000, v3, vcc_lo
	s_delay_alu instid0(VALU_DEP_3)
	v_cndmask_b32_e32 v2, 0, v2, vcc_lo
	s_branch .LBB464_399
.LBB464_286:
	s_mov_b32 s18, -1
	s_mov_b32 s1, 0
	s_mov_b32 s0, s13
.LBB464_287:
	s_and_b32 vcc_lo, exec_lo, s18
	s_cbranch_vccz .LBB464_292
; %bb.288:
	v_cmp_eq_u16_e32 vcc_lo, 44, v6
	s_mov_b32 s0, -1
	s_cbranch_vccz .LBB464_292
; %bb.289:
	v_cvt_f32_f64_e32 v2, v[0:1]
	v_mov_b32_e32 v3, 0xff
	s_mov_b32 s1, exec_lo
	s_delay_alu instid0(VALU_DEP_2) | instskip(NEXT) | instid1(VALU_DEP_1)
	v_bfe_u32 v7, v2, 23, 8
	v_cmpx_ne_u32_e32 0xff, v7
; %bb.290:
	v_and_b32_e32 v3, 0x400000, v2
	v_and_or_b32 v7, 0x3fffff, v2, v7
	v_lshrrev_b32_e32 v2, 23, v2
	s_delay_alu instid0(VALU_DEP_3) | instskip(NEXT) | instid1(VALU_DEP_3)
	v_cmp_ne_u32_e32 vcc_lo, 0, v3
	v_cmp_ne_u32_e64 s0, 0, v7
	s_delay_alu instid0(VALU_DEP_1) | instskip(NEXT) | instid1(SALU_CYCLE_1)
	s_and_b32 s0, vcc_lo, s0
	v_cndmask_b32_e64 v3, 0, 1, s0
	s_delay_alu instid0(VALU_DEP_1)
	v_add_nc_u32_e32 v3, v2, v3
; %bb.291:
	s_or_b32 exec_lo, exec_lo, s1
	s_mov_b32 s1, -1
	s_mov_b32 s0, 0
	global_store_b8 v[4:5], v3, off
.LBB464_292:
	s_mov_b32 s18, 0
.LBB464_293:
	s_delay_alu instid0(SALU_CYCLE_1)
	s_and_b32 vcc_lo, exec_lo, s18
	s_cbranch_vccz .LBB464_296
; %bb.294:
	v_cmp_eq_u16_e32 vcc_lo, 29, v6
	s_mov_b32 s0, -1
	s_cbranch_vccz .LBB464_296
; %bb.295:
	v_trunc_f64_e32 v[2:3], v[0:1]
	s_mov_b32 s1, -1
	s_mov_b32 s0, 0
	s_mov_b32 s18, 0
	s_delay_alu instid0(VALU_DEP_1) | instskip(NEXT) | instid1(VALU_DEP_1)
	v_ldexp_f64 v[7:8], v[2:3], 0xffffffe0
	v_floor_f64_e32 v[7:8], v[7:8]
	s_delay_alu instid0(VALU_DEP_1) | instskip(SKIP_1) | instid1(VALU_DEP_2)
	v_fma_f64 v[2:3], 0xc1f00000, v[7:8], v[2:3]
	v_cvt_u32_f64_e32 v8, v[7:8]
	v_cvt_u32_f64_e32 v7, v[2:3]
	global_store_b64 v[4:5], v[7:8], off
	s_branch .LBB464_297
.LBB464_296:
	s_mov_b32 s18, 0
.LBB464_297:
	s_delay_alu instid0(SALU_CYCLE_1)
	s_and_b32 vcc_lo, exec_lo, s18
	s_cbranch_vccz .LBB464_313
; %bb.298:
	v_cmp_gt_i16_e32 vcc_lo, 27, v6
	s_mov_b32 s1, -1
	s_cbranch_vccnz .LBB464_304
; %bb.299:
	v_cmp_lt_i16_e32 vcc_lo, 27, v6
	s_cbranch_vccz .LBB464_301
; %bb.300:
	v_cvt_u32_f64_e32 v2, v[0:1]
	s_mov_b32 s1, 0
	global_store_b32 v[4:5], v2, off
.LBB464_301:
	s_and_not1_b32 vcc_lo, exec_lo, s1
	s_cbranch_vccnz .LBB464_303
; %bb.302:
	v_cvt_u32_f64_e32 v2, v[0:1]
	global_store_b16 v[4:5], v2, off
.LBB464_303:
	s_mov_b32 s1, 0
.LBB464_304:
	s_delay_alu instid0(SALU_CYCLE_1)
	s_and_not1_b32 vcc_lo, exec_lo, s1
	s_cbranch_vccnz .LBB464_312
; %bb.305:
	v_cvt_f32_f64_e32 v2, v[0:1]
	v_mov_b32_e32 v7, 0x80
	s_mov_b32 s1, exec_lo
	s_delay_alu instid0(VALU_DEP_2) | instskip(NEXT) | instid1(VALU_DEP_1)
	v_and_b32_e32 v3, 0x7fffffff, v2
	v_cmpx_gt_u32_e32 0x43800000, v3
	s_cbranch_execz .LBB464_311
; %bb.306:
	v_cmp_lt_u32_e32 vcc_lo, 0x3bffffff, v3
	s_mov_b32 s18, 0
                                        ; implicit-def: $vgpr3
	s_and_saveexec_b32 s20, vcc_lo
	s_delay_alu instid0(SALU_CYCLE_1)
	s_xor_b32 s20, exec_lo, s20
	s_cbranch_execz .LBB464_524
; %bb.307:
	v_bfe_u32 v3, v2, 20, 1
	s_mov_b32 s18, exec_lo
	s_delay_alu instid0(VALU_DEP_1) | instskip(NEXT) | instid1(VALU_DEP_1)
	v_add3_u32 v3, v2, v3, 0x487ffff
	v_lshrrev_b32_e32 v3, 20, v3
	s_or_saveexec_b32 s20, s20
                                        ; implicit-def: $sgpr21
	s_delay_alu instid0(SALU_CYCLE_1)
	s_xor_b32 exec_lo, exec_lo, s20
	s_cbranch_execnz .LBB464_525
.LBB464_308:
	s_or_b32 exec_lo, exec_lo, s20
	v_mov_b32_e32 v7, s21
	s_and_saveexec_b32 s20, s18
.LBB464_309:
	v_lshrrev_b32_e32 v2, 24, v2
	s_delay_alu instid0(VALU_DEP_1)
	v_and_or_b32 v7, 0x80, v2, v3
.LBB464_310:
	s_or_b32 exec_lo, exec_lo, s20
.LBB464_311:
	s_delay_alu instid0(SALU_CYCLE_1)
	s_or_b32 exec_lo, exec_lo, s1
	global_store_b8 v[4:5], v7, off
.LBB464_312:
	s_mov_b32 s1, -1
.LBB464_313:
	s_mov_b32 s18, 0
.LBB464_314:
	s_delay_alu instid0(SALU_CYCLE_1)
	s_and_b32 vcc_lo, exec_lo, s18
	s_cbranch_vccz .LBB464_355
; %bb.315:
	v_cmp_lt_i16_e32 vcc_lo, 22, v6
	s_mov_b32 s18, -1
	s_cbranch_vccz .LBB464_347
; %bb.316:
	v_cmp_gt_i16_e32 vcc_lo, 24, v6
	s_mov_b32 s1, -1
	s_cbranch_vccnz .LBB464_336
; %bb.317:
	v_cmp_lt_i16_e32 vcc_lo, 24, v6
	s_cbranch_vccz .LBB464_325
; %bb.318:
	v_cvt_f32_f64_e32 v2, v[0:1]
	v_mov_b32_e32 v7, 0x80
	s_mov_b32 s1, exec_lo
	s_delay_alu instid0(VALU_DEP_2) | instskip(NEXT) | instid1(VALU_DEP_1)
	v_and_b32_e32 v3, 0x7fffffff, v2
	v_cmpx_gt_u32_e32 0x47800000, v3
	s_cbranch_execz .LBB464_324
; %bb.319:
	v_cmp_lt_u32_e32 vcc_lo, 0x37ffffff, v3
	s_mov_b32 s18, 0
                                        ; implicit-def: $vgpr3
	s_and_saveexec_b32 s20, vcc_lo
	s_delay_alu instid0(SALU_CYCLE_1)
	s_xor_b32 s20, exec_lo, s20
	s_cbranch_execz .LBB464_527
; %bb.320:
	v_bfe_u32 v3, v2, 21, 1
	s_mov_b32 s18, exec_lo
	s_delay_alu instid0(VALU_DEP_1) | instskip(NEXT) | instid1(VALU_DEP_1)
	v_add3_u32 v3, v2, v3, 0x88fffff
	v_lshrrev_b32_e32 v3, 21, v3
	s_or_saveexec_b32 s20, s20
                                        ; implicit-def: $sgpr21
	s_delay_alu instid0(SALU_CYCLE_1)
	s_xor_b32 exec_lo, exec_lo, s20
	s_cbranch_execnz .LBB464_528
.LBB464_321:
	s_or_b32 exec_lo, exec_lo, s20
	v_mov_b32_e32 v7, s21
	s_and_saveexec_b32 s20, s18
.LBB464_322:
	v_lshrrev_b32_e32 v2, 24, v2
	s_delay_alu instid0(VALU_DEP_1)
	v_and_or_b32 v7, 0x80, v2, v3
.LBB464_323:
	s_or_b32 exec_lo, exec_lo, s20
.LBB464_324:
	s_delay_alu instid0(SALU_CYCLE_1)
	s_or_b32 exec_lo, exec_lo, s1
	s_mov_b32 s1, 0
	global_store_b8 v[4:5], v7, off
.LBB464_325:
	s_and_b32 vcc_lo, exec_lo, s1
	s_cbranch_vccz .LBB464_335
; %bb.326:
	v_cvt_f32_f64_e32 v2, v[0:1]
	s_mov_b32 s1, exec_lo
                                        ; implicit-def: $vgpr3
	s_delay_alu instid0(VALU_DEP_1) | instskip(NEXT) | instid1(VALU_DEP_1)
	v_and_b32_e32 v7, 0x7fffffff, v2
	v_cmpx_gt_u32_e32 0x43f00000, v7
	s_xor_b32 s1, exec_lo, s1
	s_cbranch_execz .LBB464_332
; %bb.327:
	s_mov_b32 s18, exec_lo
                                        ; implicit-def: $vgpr3
	v_cmpx_lt_u32_e32 0x3c7fffff, v7
	s_xor_b32 s18, exec_lo, s18
; %bb.328:
	v_bfe_u32 v3, v2, 20, 1
	s_delay_alu instid0(VALU_DEP_1) | instskip(NEXT) | instid1(VALU_DEP_1)
	v_add3_u32 v3, v2, v3, 0x407ffff
	v_and_b32_e32 v7, 0xff00000, v3
	v_lshrrev_b32_e32 v3, 20, v3
	s_delay_alu instid0(VALU_DEP_2) | instskip(NEXT) | instid1(VALU_DEP_2)
	v_cmp_ne_u32_e32 vcc_lo, 0x7f00000, v7
	v_cndmask_b32_e32 v3, 0x7e, v3, vcc_lo
; %bb.329:
	s_and_not1_saveexec_b32 s18, s18
; %bb.330:
	v_add_f32_e64 v3, 0x46800000, |v2|
; %bb.331:
	s_or_b32 exec_lo, exec_lo, s18
                                        ; implicit-def: $vgpr7
.LBB464_332:
	s_and_not1_saveexec_b32 s1, s1
; %bb.333:
	v_mov_b32_e32 v3, 0x7f
	v_cmp_lt_u32_e32 vcc_lo, 0x7f800000, v7
	s_delay_alu instid0(VALU_DEP_2)
	v_cndmask_b32_e32 v3, 0x7e, v3, vcc_lo
; %bb.334:
	s_or_b32 exec_lo, exec_lo, s1
	v_lshrrev_b32_e32 v2, 24, v2
	s_delay_alu instid0(VALU_DEP_1)
	v_and_or_b32 v2, 0x80, v2, v3
	global_store_b8 v[4:5], v2, off
.LBB464_335:
	s_mov_b32 s1, 0
.LBB464_336:
	s_delay_alu instid0(SALU_CYCLE_1)
	s_and_not1_b32 vcc_lo, exec_lo, s1
	s_cbranch_vccnz .LBB464_346
; %bb.337:
	v_cvt_f32_f64_e32 v2, v[0:1]
	s_mov_b32 s1, exec_lo
                                        ; implicit-def: $vgpr3
	s_delay_alu instid0(VALU_DEP_1) | instskip(NEXT) | instid1(VALU_DEP_1)
	v_and_b32_e32 v7, 0x7fffffff, v2
	v_cmpx_gt_u32_e32 0x47800000, v7
	s_xor_b32 s1, exec_lo, s1
	s_cbranch_execz .LBB464_343
; %bb.338:
	s_mov_b32 s18, exec_lo
                                        ; implicit-def: $vgpr3
	v_cmpx_lt_u32_e32 0x387fffff, v7
	s_xor_b32 s18, exec_lo, s18
; %bb.339:
	v_bfe_u32 v3, v2, 21, 1
	s_delay_alu instid0(VALU_DEP_1) | instskip(NEXT) | instid1(VALU_DEP_1)
	v_add3_u32 v3, v2, v3, 0x80fffff
	v_lshrrev_b32_e32 v3, 21, v3
; %bb.340:
	s_and_not1_saveexec_b32 s18, s18
; %bb.341:
	v_add_f32_e64 v3, 0x43000000, |v2|
; %bb.342:
	s_or_b32 exec_lo, exec_lo, s18
                                        ; implicit-def: $vgpr7
.LBB464_343:
	s_and_not1_saveexec_b32 s1, s1
; %bb.344:
	v_mov_b32_e32 v3, 0x7f
	v_cmp_lt_u32_e32 vcc_lo, 0x7f800000, v7
	s_delay_alu instid0(VALU_DEP_2)
	v_cndmask_b32_e32 v3, 0x7c, v3, vcc_lo
; %bb.345:
	s_or_b32 exec_lo, exec_lo, s1
	v_lshrrev_b32_e32 v2, 24, v2
	s_delay_alu instid0(VALU_DEP_1)
	v_and_or_b32 v2, 0x80, v2, v3
	global_store_b8 v[4:5], v2, off
.LBB464_346:
	s_mov_b32 s18, 0
	s_mov_b32 s1, -1
.LBB464_347:
	s_and_not1_b32 vcc_lo, exec_lo, s18
	s_cbranch_vccnz .LBB464_355
; %bb.348:
	v_cmp_lt_i16_e32 vcc_lo, 14, v6
	s_mov_b32 s18, -1
	s_cbranch_vccz .LBB464_352
; %bb.349:
	v_cmp_eq_u16_e32 vcc_lo, 15, v6
	s_mov_b32 s0, -1
	s_cbranch_vccz .LBB464_351
; %bb.350:
	v_cvt_f32_f64_e32 v2, v[0:1]
	s_mov_b32 s1, -1
	s_mov_b32 s0, 0
	s_delay_alu instid0(VALU_DEP_1) | instskip(SKIP_1) | instid1(VALU_DEP_2)
	v_bfe_u32 v3, v2, 16, 1
	v_cmp_o_f32_e32 vcc_lo, v2, v2
	v_add3_u32 v3, v2, v3, 0x7fff
	s_delay_alu instid0(VALU_DEP_1) | instskip(NEXT) | instid1(VALU_DEP_1)
	v_lshrrev_b32_e32 v3, 16, v3
	v_cndmask_b32_e32 v2, 0x7fc0, v3, vcc_lo
	global_store_b16 v[4:5], v2, off
.LBB464_351:
	s_mov_b32 s18, 0
.LBB464_352:
	s_delay_alu instid0(SALU_CYCLE_1)
	s_and_b32 vcc_lo, exec_lo, s18
	s_cbranch_vccz .LBB464_355
; %bb.353:
	v_cmp_eq_u16_e32 vcc_lo, 11, v6
	s_mov_b32 s0, -1
	s_cbranch_vccz .LBB464_355
; %bb.354:
	v_cmp_neq_f64_e32 vcc_lo, 0, v[0:1]
	s_mov_b32 s1, -1
	s_mov_b32 s0, 0
	v_cndmask_b32_e64 v2, 0, 1, vcc_lo
	global_store_b8 v[4:5], v2, off
.LBB464_355:
	s_mov_b32 s18, 0
.LBB464_356:
	s_delay_alu instid0(SALU_CYCLE_1)
	s_and_b32 vcc_lo, exec_lo, s18
	s_cbranch_vccz .LBB464_395
; %bb.357:
	v_cmp_gt_i16_e32 vcc_lo, 5, v6
	s_mov_b32 s1, -1
	s_cbranch_vccnz .LBB464_378
; %bb.358:
	v_cmp_gt_i16_e32 vcc_lo, 8, v6
	s_cbranch_vccnz .LBB464_368
; %bb.359:
	v_cmp_gt_i16_e32 vcc_lo, 9, v6
	s_cbranch_vccnz .LBB464_365
; %bb.360:
	v_cmp_lt_i16_e32 vcc_lo, 9, v6
	s_cbranch_vccz .LBB464_362
; %bb.361:
	v_mov_b32_e32 v2, 0
	s_mov_b32 s1, 0
	s_delay_alu instid0(VALU_DEP_1)
	v_mov_b32_e32 v3, v2
	global_store_b128 v[4:5], v[0:3], off
.LBB464_362:
	s_and_not1_b32 vcc_lo, exec_lo, s1
	s_cbranch_vccnz .LBB464_364
; %bb.363:
	v_cvt_f32_f64_e32 v2, v[0:1]
	v_mov_b32_e32 v3, 0
	global_store_b64 v[4:5], v[2:3], off
.LBB464_364:
	s_mov_b32 s1, 0
.LBB464_365:
	s_delay_alu instid0(SALU_CYCLE_1)
	s_and_not1_b32 vcc_lo, exec_lo, s1
	s_cbranch_vccnz .LBB464_367
; %bb.366:
	v_cvt_f32_f64_e32 v2, v[0:1]
	s_delay_alu instid0(VALU_DEP_1) | instskip(NEXT) | instid1(VALU_DEP_1)
	v_cvt_f16_f32_e32 v2, v2
	v_and_b32_e32 v2, 0xffff, v2
	global_store_b32 v[4:5], v2, off
.LBB464_367:
	s_mov_b32 s1, 0
.LBB464_368:
	s_delay_alu instid0(SALU_CYCLE_1)
	s_and_not1_b32 vcc_lo, exec_lo, s1
	s_cbranch_vccnz .LBB464_377
; %bb.369:
	v_cmp_gt_i16_e32 vcc_lo, 6, v6
	s_mov_b32 s1, -1
	s_cbranch_vccnz .LBB464_375
; %bb.370:
	v_cmp_lt_i16_e32 vcc_lo, 6, v6
	s_cbranch_vccz .LBB464_372
; %bb.371:
	s_mov_b32 s1, 0
	global_store_b64 v[4:5], v[0:1], off
.LBB464_372:
	s_and_not1_b32 vcc_lo, exec_lo, s1
	s_cbranch_vccnz .LBB464_374
; %bb.373:
	v_cvt_f32_f64_e32 v2, v[0:1]
	global_store_b32 v[4:5], v2, off
.LBB464_374:
	s_mov_b32 s1, 0
.LBB464_375:
	s_delay_alu instid0(SALU_CYCLE_1)
	s_and_not1_b32 vcc_lo, exec_lo, s1
	s_cbranch_vccnz .LBB464_377
; %bb.376:
	v_cvt_f32_f64_e32 v2, v[0:1]
	s_delay_alu instid0(VALU_DEP_1)
	v_cvt_f16_f32_e32 v2, v2
	global_store_b16 v[4:5], v2, off
.LBB464_377:
	s_mov_b32 s1, 0
.LBB464_378:
	s_delay_alu instid0(SALU_CYCLE_1)
	s_and_not1_b32 vcc_lo, exec_lo, s1
	s_cbranch_vccnz .LBB464_394
; %bb.379:
	v_cmp_gt_i16_e32 vcc_lo, 2, v6
	s_mov_b32 s1, -1
	s_cbranch_vccnz .LBB464_389
; %bb.380:
	v_cmp_gt_i16_e32 vcc_lo, 3, v6
	s_cbranch_vccnz .LBB464_386
; %bb.381:
	v_cmp_lt_i16_e32 vcc_lo, 3, v6
	s_cbranch_vccz .LBB464_383
; %bb.382:
	v_trunc_f64_e32 v[2:3], v[0:1]
	s_mov_b32 s1, 0
	s_delay_alu instid0(VALU_DEP_1) | instskip(NEXT) | instid1(VALU_DEP_1)
	v_ldexp_f64 v[7:8], v[2:3], 0xffffffe0
	v_floor_f64_e32 v[7:8], v[7:8]
	s_delay_alu instid0(VALU_DEP_1) | instskip(SKIP_1) | instid1(VALU_DEP_2)
	v_fma_f64 v[2:3], 0xc1f00000, v[7:8], v[2:3]
	v_cvt_i32_f64_e32 v8, v[7:8]
	v_cvt_u32_f64_e32 v7, v[2:3]
	global_store_b64 v[4:5], v[7:8], off
.LBB464_383:
	s_and_not1_b32 vcc_lo, exec_lo, s1
	s_cbranch_vccnz .LBB464_385
; %bb.384:
	v_cvt_i32_f64_e32 v2, v[0:1]
	global_store_b32 v[4:5], v2, off
.LBB464_385:
	s_mov_b32 s1, 0
.LBB464_386:
	s_delay_alu instid0(SALU_CYCLE_1)
	s_and_not1_b32 vcc_lo, exec_lo, s1
	s_cbranch_vccnz .LBB464_388
; %bb.387:
	v_cvt_i32_f64_e32 v2, v[0:1]
	global_store_b16 v[4:5], v2, off
.LBB464_388:
	s_mov_b32 s1, 0
.LBB464_389:
	s_delay_alu instid0(SALU_CYCLE_1)
	s_and_not1_b32 vcc_lo, exec_lo, s1
	s_cbranch_vccnz .LBB464_394
; %bb.390:
	v_cmp_lt_i16_e32 vcc_lo, 0, v6
	s_mov_b32 s1, -1
	s_cbranch_vccz .LBB464_392
; %bb.391:
	v_cvt_i32_f64_e32 v2, v[0:1]
	s_mov_b32 s1, 0
	global_store_b8 v[4:5], v2, off
.LBB464_392:
	s_and_not1_b32 vcc_lo, exec_lo, s1
	s_cbranch_vccnz .LBB464_394
; %bb.393:
	v_trunc_f64_e32 v[0:1], v[0:1]
	s_delay_alu instid0(VALU_DEP_1) | instskip(NEXT) | instid1(VALU_DEP_1)
	v_ldexp_f64 v[2:3], v[0:1], 0xffffffe0
	v_floor_f64_e32 v[2:3], v[2:3]
	s_delay_alu instid0(VALU_DEP_1) | instskip(NEXT) | instid1(VALU_DEP_1)
	v_fma_f64 v[0:1], 0xc1f00000, v[2:3], v[0:1]
	v_cvt_u32_f64_e32 v0, v[0:1]
	global_store_b8 v[4:5], v0, off
.LBB464_394:
	s_mov_b32 s1, -1
.LBB464_395:
	s_delay_alu instid0(SALU_CYCLE_1)
	s_and_not1_b32 vcc_lo, exec_lo, s1
	s_cbranch_vccnz .LBB464_397
; %bb.396:
	v_add_nc_u32_e32 v12, 0x80, v12
	s_mov_b32 s1, -1
	s_branch .LBB464_510
.LBB464_397:
	s_mov_b32 s1, 0
	s_branch .LBB464_509
.LBB464_398:
	s_mov_b32 s17, -1
                                        ; implicit-def: $vgpr2_vgpr3
.LBB464_399:
	s_mov_b32 s1, 0
.LBB464_400:
	s_delay_alu instid0(SALU_CYCLE_1)
	s_and_b32 vcc_lo, exec_lo, s1
	s_cbranch_vccz .LBB464_404
; %bb.401:
	v_cmp_eq_u16_e32 vcc_lo, 29, v10
	s_cbranch_vccz .LBB464_403
; %bb.402:
	global_load_b64 v[2:3], v[0:1], off
	s_mov_b32 s0, -1
	s_mov_b32 s17, 0
	s_mov_b32 s1, 0
	s_waitcnt vmcnt(0)
	v_cvt_f64_u32_e32 v[3:4], v3
	v_cvt_f64_u32_e32 v[5:6], v2
	s_delay_alu instid0(VALU_DEP_2) | instskip(NEXT) | instid1(VALU_DEP_1)
	v_ldexp_f64 v[3:4], v[3:4], 32
	v_add_f64 v[2:3], v[3:4], v[5:6]
	s_branch .LBB464_405
.LBB464_403:
	s_mov_b32 s17, -1
                                        ; implicit-def: $vgpr2_vgpr3
.LBB464_404:
	s_mov_b32 s1, 0
.LBB464_405:
	s_delay_alu instid0(SALU_CYCLE_1)
	s_and_b32 vcc_lo, exec_lo, s1
	s_cbranch_vccz .LBB464_425
; %bb.406:
	v_cmp_gt_i16_e32 vcc_lo, 27, v10
	s_cbranch_vccnz .LBB464_409
; %bb.407:
	v_cmp_lt_i16_e32 vcc_lo, 27, v10
	s_cbranch_vccz .LBB464_410
; %bb.408:
	global_load_b32 v2, v[0:1], off
	s_mov_b32 s0, 0
	s_waitcnt vmcnt(0)
	v_cvt_f64_u32_e32 v[2:3], v2
	s_branch .LBB464_411
.LBB464_409:
	s_mov_b32 s0, -1
                                        ; implicit-def: $vgpr2_vgpr3
	s_branch .LBB464_414
.LBB464_410:
	s_mov_b32 s0, -1
                                        ; implicit-def: $vgpr2_vgpr3
.LBB464_411:
	s_delay_alu instid0(SALU_CYCLE_1)
	s_and_not1_b32 vcc_lo, exec_lo, s0
	s_cbranch_vccnz .LBB464_413
; %bb.412:
	global_load_u16 v2, v[0:1], off
	s_waitcnt vmcnt(0)
	v_cvt_f64_u32_e32 v[2:3], v2
.LBB464_413:
	s_mov_b32 s0, 0
.LBB464_414:
	s_delay_alu instid0(SALU_CYCLE_1)
	s_and_not1_b32 vcc_lo, exec_lo, s0
	s_cbranch_vccnz .LBB464_424
; %bb.415:
	global_load_u8 v4, v[0:1], off
	s_mov_b32 s18, 0
	s_mov_b32 s20, exec_lo
                                        ; implicit-def: $sgpr0_sgpr1
	s_waitcnt vmcnt(0)
	v_cmpx_lt_i16_e32 0x7f, v4
	s_xor_b32 s20, exec_lo, s20
	s_cbranch_execz .LBB464_419
; %bb.416:
	s_mov_b32 s18, exec_lo
                                        ; implicit-def: $sgpr0_sgpr1
	v_cmpx_eq_u16_e32 0x80, v4
; %bb.417:
	s_mov_b32 s1, 0x7ff80000
	s_brev_b32 s0, 4
	s_xor_b32 s21, exec_lo, -1
; %bb.418:
	s_or_b32 exec_lo, exec_lo, s18
	s_delay_alu instid0(SALU_CYCLE_1)
	s_and_b32 s18, s21, exec_lo
.LBB464_419:
	s_or_saveexec_b32 s20, s20
	v_dual_mov_b32 v3, s1 :: v_dual_mov_b32 v2, s0
	s_xor_b32 exec_lo, exec_lo, s20
; %bb.420:
	v_cmp_ne_u16_e32 vcc_lo, 0, v4
	v_mov_b32_e32 v2, 0
	v_mov_b32_e32 v3, 0
	s_and_not1_b32 s0, s18, exec_lo
	s_and_b32 s1, vcc_lo, exec_lo
	s_delay_alu instid0(SALU_CYCLE_1)
	s_or_b32 s18, s0, s1
; %bb.421:
	s_or_b32 exec_lo, exec_lo, s20
	s_and_saveexec_b32 s0, s18
	s_cbranch_execz .LBB464_423
; %bb.422:
	v_and_b32_e32 v2, 0xffff, v4
	v_lshlrev_b32_e32 v4, 24, v4
	s_delay_alu instid0(VALU_DEP_2) | instskip(NEXT) | instid1(VALU_DEP_2)
	v_and_b32_e32 v3, 7, v2
	v_and_b32_e32 v4, 0x80000000, v4
	s_delay_alu instid0(VALU_DEP_2) | instskip(NEXT) | instid1(VALU_DEP_1)
	v_clz_i32_u32_e32 v5, v3
	v_min_u32_e32 v5, 32, v5
	s_delay_alu instid0(VALU_DEP_1) | instskip(SKIP_1) | instid1(VALU_DEP_2)
	v_subrev_nc_u32_e32 v6, 28, v5
	v_sub_nc_u32_e32 v5, 29, v5
	v_lshlrev_b32_e32 v6, v6, v2
	v_bfe_u32 v2, v2, 3, 4
	s_delay_alu instid0(VALU_DEP_2) | instskip(NEXT) | instid1(VALU_DEP_2)
	v_and_b32_e32 v6, 7, v6
	v_cmp_eq_u32_e32 vcc_lo, 0, v2
	s_delay_alu instid0(VALU_DEP_2) | instskip(NEXT) | instid1(VALU_DEP_1)
	v_dual_cndmask_b32 v2, v2, v5 :: v_dual_cndmask_b32 v3, v3, v6
	v_lshl_add_u32 v2, v2, 23, 0x3b800000
	s_delay_alu instid0(VALU_DEP_2) | instskip(NEXT) | instid1(VALU_DEP_1)
	v_lshlrev_b32_e32 v3, 20, v3
	v_or3_b32 v2, v4, v2, v3
	s_delay_alu instid0(VALU_DEP_1)
	v_cvt_f64_f32_e32 v[2:3], v2
.LBB464_423:
	s_or_b32 exec_lo, exec_lo, s0
.LBB464_424:
	s_mov_b32 s0, -1
.LBB464_425:
	s_mov_b32 s1, 0
.LBB464_426:
	s_delay_alu instid0(SALU_CYCLE_1)
	s_and_b32 vcc_lo, exec_lo, s1
	s_cbranch_vccz .LBB464_459
; %bb.427:
	v_cmp_lt_i16_e32 vcc_lo, 22, v10
	s_cbranch_vccz .LBB464_439
; %bb.428:
	v_cmp_gt_i16_e32 vcc_lo, 24, v10
	s_cbranch_vccnz .LBB464_440
; %bb.429:
	v_cmp_lt_i16_e32 vcc_lo, 24, v10
	s_cbranch_vccz .LBB464_441
; %bb.430:
	global_load_u8 v4, v[0:1], off
	s_mov_b32 s18, 0
	s_mov_b32 s20, exec_lo
                                        ; implicit-def: $sgpr0_sgpr1
	s_waitcnt vmcnt(0)
	v_cmpx_lt_i16_e32 0x7f, v4
	s_xor_b32 s20, exec_lo, s20
	s_cbranch_execz .LBB464_434
; %bb.431:
	s_mov_b32 s21, -1
	s_mov_b32 s18, exec_lo
                                        ; implicit-def: $sgpr0_sgpr1
	v_cmpx_eq_u16_e32 0x80, v4
; %bb.432:
	s_mov_b32 s1, 0x7ff80000
	s_brev_b32 s0, 4
	s_xor_b32 s21, exec_lo, -1
; %bb.433:
	s_or_b32 exec_lo, exec_lo, s18
	s_delay_alu instid0(SALU_CYCLE_1)
	s_and_b32 s18, s21, exec_lo
.LBB464_434:
	s_or_saveexec_b32 s20, s20
	v_dual_mov_b32 v3, s1 :: v_dual_mov_b32 v2, s0
	s_xor_b32 exec_lo, exec_lo, s20
; %bb.435:
	v_cmp_ne_u16_e32 vcc_lo, 0, v4
	v_mov_b32_e32 v2, 0
	v_mov_b32_e32 v3, 0
	s_and_not1_b32 s0, s18, exec_lo
	s_and_b32 s1, vcc_lo, exec_lo
	s_delay_alu instid0(SALU_CYCLE_1)
	s_or_b32 s18, s0, s1
; %bb.436:
	s_or_b32 exec_lo, exec_lo, s20
	s_and_saveexec_b32 s0, s18
	s_cbranch_execz .LBB464_438
; %bb.437:
	v_and_b32_e32 v2, 0xffff, v4
	v_lshlrev_b32_e32 v4, 24, v4
	s_delay_alu instid0(VALU_DEP_2) | instskip(NEXT) | instid1(VALU_DEP_2)
	v_and_b32_e32 v3, 3, v2
	v_and_b32_e32 v4, 0x80000000, v4
	s_delay_alu instid0(VALU_DEP_2) | instskip(NEXT) | instid1(VALU_DEP_1)
	v_clz_i32_u32_e32 v5, v3
	v_min_u32_e32 v5, 32, v5
	s_delay_alu instid0(VALU_DEP_1) | instskip(SKIP_1) | instid1(VALU_DEP_2)
	v_subrev_nc_u32_e32 v6, 29, v5
	v_sub_nc_u32_e32 v5, 30, v5
	v_lshlrev_b32_e32 v6, v6, v2
	v_bfe_u32 v2, v2, 2, 5
	s_delay_alu instid0(VALU_DEP_2) | instskip(NEXT) | instid1(VALU_DEP_2)
	v_and_b32_e32 v6, 3, v6
	v_cmp_eq_u32_e32 vcc_lo, 0, v2
	s_delay_alu instid0(VALU_DEP_2) | instskip(NEXT) | instid1(VALU_DEP_1)
	v_dual_cndmask_b32 v2, v2, v5 :: v_dual_cndmask_b32 v3, v3, v6
	v_lshl_add_u32 v2, v2, 23, 0x37800000
	s_delay_alu instid0(VALU_DEP_2) | instskip(NEXT) | instid1(VALU_DEP_1)
	v_lshlrev_b32_e32 v3, 21, v3
	v_or3_b32 v2, v4, v2, v3
	s_delay_alu instid0(VALU_DEP_1)
	v_cvt_f64_f32_e32 v[2:3], v2
.LBB464_438:
	s_or_b32 exec_lo, exec_lo, s0
	s_mov_b32 s0, 0
	s_branch .LBB464_442
.LBB464_439:
	s_mov_b32 s1, -1
                                        ; implicit-def: $vgpr2_vgpr3
	s_branch .LBB464_448
.LBB464_440:
	s_mov_b32 s0, -1
                                        ; implicit-def: $vgpr2_vgpr3
	s_branch .LBB464_445
.LBB464_441:
	s_mov_b32 s0, -1
                                        ; implicit-def: $vgpr2_vgpr3
.LBB464_442:
	s_delay_alu instid0(SALU_CYCLE_1)
	s_and_b32 vcc_lo, exec_lo, s0
	s_cbranch_vccz .LBB464_444
; %bb.443:
	global_load_u8 v2, v[0:1], off
	s_waitcnt vmcnt(0)
	v_lshlrev_b32_e32 v2, 24, v2
	s_delay_alu instid0(VALU_DEP_1) | instskip(NEXT) | instid1(VALU_DEP_1)
	v_and_b32_e32 v3, 0x7f000000, v2
	v_clz_i32_u32_e32 v4, v3
	v_add_nc_u32_e32 v6, 0x1000000, v3
	v_cmp_ne_u32_e32 vcc_lo, 0, v3
	s_delay_alu instid0(VALU_DEP_3) | instskip(NEXT) | instid1(VALU_DEP_1)
	v_min_u32_e32 v4, 32, v4
	v_sub_nc_u32_e64 v4, v4, 4 clamp
	s_delay_alu instid0(VALU_DEP_1) | instskip(SKIP_1) | instid1(VALU_DEP_2)
	v_lshlrev_b32_e32 v5, v4, v3
	v_lshlrev_b32_e32 v4, 23, v4
	v_lshrrev_b32_e32 v5, 4, v5
	s_delay_alu instid0(VALU_DEP_1) | instskip(SKIP_1) | instid1(VALU_DEP_2)
	v_sub_nc_u32_e32 v4, v5, v4
	v_ashrrev_i32_e32 v5, 8, v6
	v_add_nc_u32_e32 v4, 0x3c000000, v4
	s_delay_alu instid0(VALU_DEP_1) | instskip(NEXT) | instid1(VALU_DEP_1)
	v_and_or_b32 v4, 0x7f800000, v5, v4
	v_cndmask_b32_e32 v3, 0, v4, vcc_lo
	s_delay_alu instid0(VALU_DEP_1) | instskip(NEXT) | instid1(VALU_DEP_1)
	v_and_or_b32 v2, 0x80000000, v2, v3
	v_cvt_f64_f32_e32 v[2:3], v2
.LBB464_444:
	s_mov_b32 s0, 0
.LBB464_445:
	s_delay_alu instid0(SALU_CYCLE_1)
	s_and_not1_b32 vcc_lo, exec_lo, s0
	s_cbranch_vccnz .LBB464_447
; %bb.446:
	global_load_u8 v2, v[0:1], off
	s_waitcnt vmcnt(0)
	v_lshlrev_b32_e32 v3, 25, v2
	v_lshlrev_b16 v2, 8, v2
	s_delay_alu instid0(VALU_DEP_2) | instskip(NEXT) | instid1(VALU_DEP_2)
	v_lshrrev_b32_e32 v4, 4, v3
	v_and_or_b32 v5, 0x7f00, v2, 0.5
	v_bfe_i32 v2, v2, 0, 16
	s_delay_alu instid0(VALU_DEP_3) | instskip(NEXT) | instid1(VALU_DEP_1)
	v_or_b32_e32 v4, 0x70000000, v4
	v_dual_add_f32 v5, -0.5, v5 :: v_dual_mul_f32 v4, 0x7800000, v4
	v_cmp_gt_u32_e32 vcc_lo, 0x8000000, v3
	s_delay_alu instid0(VALU_DEP_2) | instskip(NEXT) | instid1(VALU_DEP_1)
	v_cndmask_b32_e32 v3, v4, v5, vcc_lo
	v_and_or_b32 v2, 0x80000000, v2, v3
	s_delay_alu instid0(VALU_DEP_1)
	v_cvt_f64_f32_e32 v[2:3], v2
.LBB464_447:
	s_mov_b32 s1, 0
	s_mov_b32 s0, -1
.LBB464_448:
	s_and_not1_b32 vcc_lo, exec_lo, s1
	s_cbranch_vccnz .LBB464_459
; %bb.449:
	v_cmp_lt_i16_e32 vcc_lo, 14, v10
	s_cbranch_vccz .LBB464_452
; %bb.450:
	v_cmp_eq_u16_e32 vcc_lo, 15, v10
	s_cbranch_vccz .LBB464_453
; %bb.451:
	global_load_u16 v2, v[0:1], off
	s_mov_b32 s0, -1
	s_mov_b32 s17, 0
	s_waitcnt vmcnt(0)
	v_lshlrev_b32_e32 v2, 16, v2
	s_delay_alu instid0(VALU_DEP_1)
	v_cvt_f64_f32_e32 v[2:3], v2
	s_branch .LBB464_454
.LBB464_452:
	s_mov_b32 s1, -1
                                        ; implicit-def: $vgpr2_vgpr3
	s_branch .LBB464_455
.LBB464_453:
	s_mov_b32 s17, -1
                                        ; implicit-def: $vgpr2_vgpr3
.LBB464_454:
	s_mov_b32 s1, 0
.LBB464_455:
	s_delay_alu instid0(SALU_CYCLE_1)
	s_and_b32 vcc_lo, exec_lo, s1
	s_cbranch_vccz .LBB464_459
; %bb.456:
	v_cmp_eq_u16_e32 vcc_lo, 11, v10
	s_cbranch_vccz .LBB464_458
; %bb.457:
	global_load_u8 v2, v[0:1], off
	s_mov_b32 s17, 0
	s_mov_b32 s0, -1
	s_waitcnt vmcnt(0)
	v_cmp_ne_u16_e32 vcc_lo, 0, v2
	v_mov_b32_e32 v2, 0
	v_cndmask_b32_e64 v3, 0, 0x3ff00000, vcc_lo
	s_branch .LBB464_459
.LBB464_458:
	s_mov_b32 s17, -1
                                        ; implicit-def: $vgpr2_vgpr3
.LBB464_459:
	s_branch .LBB464_261
.LBB464_460:
	v_cmp_gt_i16_e32 vcc_lo, 5, v10
	s_cbranch_vccnz .LBB464_465
; %bb.461:
	v_cmp_gt_i16_e32 vcc_lo, 8, v10
	s_cbranch_vccnz .LBB464_466
; %bb.462:
	;; [unrolled: 3-line block ×3, first 2 shown]
	v_cmp_lt_i16_e32 vcc_lo, 9, v10
	s_cbranch_vccz .LBB464_468
; %bb.464:
	global_load_b64 v[2:3], v[0:1], off
	s_mov_b32 s0, 0
	s_branch .LBB464_469
.LBB464_465:
	s_mov_b32 s0, -1
                                        ; implicit-def: $vgpr2_vgpr3
	s_branch .LBB464_487
.LBB464_466:
	s_mov_b32 s0, -1
                                        ; implicit-def: $vgpr2_vgpr3
	s_branch .LBB464_475
.LBB464_467:
	s_mov_b32 s0, -1
                                        ; implicit-def: $vgpr2_vgpr3
	s_branch .LBB464_472
.LBB464_468:
	s_mov_b32 s0, -1
                                        ; implicit-def: $vgpr2_vgpr3
.LBB464_469:
	s_delay_alu instid0(SALU_CYCLE_1)
	s_and_not1_b32 vcc_lo, exec_lo, s0
	s_cbranch_vccnz .LBB464_471
; %bb.470:
	global_load_b32 v2, v[0:1], off
	s_waitcnt vmcnt(0)
	v_cvt_f64_f32_e32 v[2:3], v2
.LBB464_471:
	s_mov_b32 s0, 0
.LBB464_472:
	s_delay_alu instid0(SALU_CYCLE_1)
	s_and_not1_b32 vcc_lo, exec_lo, s0
	s_cbranch_vccnz .LBB464_474
; %bb.473:
	global_load_b32 v2, v[0:1], off
	s_waitcnt vmcnt(0)
	v_cvt_f32_f16_e32 v2, v2
	s_delay_alu instid0(VALU_DEP_1)
	v_cvt_f64_f32_e32 v[2:3], v2
.LBB464_474:
	s_mov_b32 s0, 0
.LBB464_475:
	s_delay_alu instid0(SALU_CYCLE_1)
	s_and_not1_b32 vcc_lo, exec_lo, s0
	s_cbranch_vccnz .LBB464_486
; %bb.476:
	v_cmp_gt_i16_e32 vcc_lo, 6, v10
	s_cbranch_vccnz .LBB464_479
; %bb.477:
	v_cmp_lt_i16_e32 vcc_lo, 6, v10
	s_cbranch_vccz .LBB464_480
; %bb.478:
	global_load_b64 v[2:3], v[0:1], off
	s_mov_b32 s0, 0
	s_branch .LBB464_481
.LBB464_479:
	s_mov_b32 s0, -1
                                        ; implicit-def: $vgpr2_vgpr3
	s_branch .LBB464_484
.LBB464_480:
	s_mov_b32 s0, -1
                                        ; implicit-def: $vgpr2_vgpr3
.LBB464_481:
	s_delay_alu instid0(SALU_CYCLE_1)
	s_and_not1_b32 vcc_lo, exec_lo, s0
	s_cbranch_vccnz .LBB464_483
; %bb.482:
	global_load_b32 v2, v[0:1], off
	s_waitcnt vmcnt(0)
	v_cvt_f64_f32_e32 v[2:3], v2
.LBB464_483:
	s_mov_b32 s0, 0
.LBB464_484:
	s_delay_alu instid0(SALU_CYCLE_1)
	s_and_not1_b32 vcc_lo, exec_lo, s0
	s_cbranch_vccnz .LBB464_486
; %bb.485:
	global_load_u16 v2, v[0:1], off
	s_waitcnt vmcnt(0)
	v_cvt_f32_f16_e32 v2, v2
	s_delay_alu instid0(VALU_DEP_1)
	v_cvt_f64_f32_e32 v[2:3], v2
.LBB464_486:
	s_mov_b32 s0, 0
.LBB464_487:
	s_delay_alu instid0(SALU_CYCLE_1)
	s_and_not1_b32 vcc_lo, exec_lo, s0
	s_cbranch_vccnz .LBB464_507
; %bb.488:
	v_cmp_gt_i16_e32 vcc_lo, 2, v10
	s_cbranch_vccnz .LBB464_492
; %bb.489:
	v_cmp_gt_i16_e32 vcc_lo, 3, v10
	s_cbranch_vccnz .LBB464_493
; %bb.490:
	v_cmp_lt_i16_e32 vcc_lo, 3, v10
	s_cbranch_vccz .LBB464_494
; %bb.491:
	global_load_b64 v[2:3], v[0:1], off
	s_mov_b32 s0, 0
	s_waitcnt vmcnt(0)
	v_cvt_f64_i32_e32 v[3:4], v3
	v_cvt_f64_u32_e32 v[5:6], v2
	s_delay_alu instid0(VALU_DEP_2) | instskip(NEXT) | instid1(VALU_DEP_1)
	v_ldexp_f64 v[3:4], v[3:4], 32
	v_add_f64 v[2:3], v[3:4], v[5:6]
	s_branch .LBB464_495
.LBB464_492:
	s_mov_b32 s0, -1
                                        ; implicit-def: $vgpr2_vgpr3
	s_branch .LBB464_501
.LBB464_493:
	s_mov_b32 s0, -1
                                        ; implicit-def: $vgpr2_vgpr3
	s_branch .LBB464_498
.LBB464_494:
	s_mov_b32 s0, -1
                                        ; implicit-def: $vgpr2_vgpr3
.LBB464_495:
	s_delay_alu instid0(SALU_CYCLE_1)
	s_and_not1_b32 vcc_lo, exec_lo, s0
	s_cbranch_vccnz .LBB464_497
; %bb.496:
	global_load_b32 v2, v[0:1], off
	s_waitcnt vmcnt(0)
	v_cvt_f64_i32_e32 v[2:3], v2
.LBB464_497:
	s_mov_b32 s0, 0
.LBB464_498:
	s_delay_alu instid0(SALU_CYCLE_1)
	s_and_not1_b32 vcc_lo, exec_lo, s0
	s_cbranch_vccnz .LBB464_500
; %bb.499:
	global_load_i16 v2, v[0:1], off
	s_waitcnt vmcnt(0)
	v_cvt_f64_i32_e32 v[2:3], v2
.LBB464_500:
	s_mov_b32 s0, 0
.LBB464_501:
	s_delay_alu instid0(SALU_CYCLE_1)
	s_and_not1_b32 vcc_lo, exec_lo, s0
	s_cbranch_vccnz .LBB464_507
; %bb.502:
	v_cmp_lt_i16_e32 vcc_lo, 0, v10
	s_mov_b32 s0, 0
	s_cbranch_vccz .LBB464_504
; %bb.503:
	global_load_i8 v2, v[0:1], off
	s_waitcnt vmcnt(0)
	v_cvt_f64_i32_e32 v[2:3], v2
	s_branch .LBB464_505
.LBB464_504:
	s_mov_b32 s0, -1
                                        ; implicit-def: $vgpr2_vgpr3
.LBB464_505:
	s_delay_alu instid0(SALU_CYCLE_1)
	s_and_not1_b32 vcc_lo, exec_lo, s0
	s_cbranch_vccnz .LBB464_507
; %bb.506:
	global_load_u8 v0, v[0:1], off
	s_waitcnt vmcnt(0)
	v_cvt_f64_u32_e32 v[2:3], v0
.LBB464_507:
	s_branch .LBB464_262
.LBB464_508:
	s_mov_b32 s1, 0
	s_mov_b32 s0, s13
.LBB464_509:
                                        ; implicit-def: $vgpr12
.LBB464_510:
	s_and_not1_b32 s18, s13, exec_lo
	s_and_b32 s0, s0, exec_lo
	s_and_not1_b32 s20, s15, exec_lo
	s_and_b32 s17, s17, exec_lo
	s_or_b32 s18, s18, s0
	s_or_b32 s17, s20, s17
	s_or_not1_b32 s21, s1, exec_lo
.LBB464_511:
	s_or_b32 exec_lo, exec_lo, s19
	s_mov_b32 s1, 0
	s_mov_b32 s20, 0
	;; [unrolled: 1-line block ×3, first 2 shown]
                                        ; implicit-def: $vgpr0_vgpr1
                                        ; implicit-def: $vgpr2_vgpr3
	s_and_saveexec_b32 s19, s21
	s_cbranch_execz .LBB464_858
; %bb.512:
	s_mov_b32 s0, -1
	s_mov_b32 s21, s17
	s_mov_b32 s22, s18
	s_mov_b32 s20, exec_lo
	v_cmpx_gt_i32_e64 s14, v12
	s_cbranch_execz .LBB464_772
; %bb.513:
	v_mul_lo_u32 v0, v12, s9
	v_cmp_gt_i16_e32 vcc_lo, 11, v10
	s_delay_alu instid0(VALU_DEP_2) | instskip(SKIP_1) | instid1(VALU_DEP_1)
	v_ashrrev_i32_e32 v1, 31, v0
	v_add_co_u32 v0, s0, s6, v0
	v_add_co_ci_u32_e64 v1, s0, s7, v1, s0
	s_cbranch_vccnz .LBB464_520
; %bb.514:
	v_cmp_lt_i16_e32 vcc_lo, 25, v10
	s_cbranch_vccz .LBB464_521
; %bb.515:
	v_cmp_lt_i16_e32 vcc_lo, 28, v10
	s_cbranch_vccz .LBB464_522
	;; [unrolled: 3-line block ×4, first 2 shown]
; %bb.518:
	v_cmp_eq_u16_e32 vcc_lo, 46, v10
	s_cbranch_vccz .LBB464_529
; %bb.519:
	global_load_b32 v2, v[0:1], off
	s_mov_b32 s0, -1
	s_mov_b32 s21, 0
	s_waitcnt vmcnt(0)
	v_lshlrev_b32_e32 v2, 16, v2
	s_delay_alu instid0(VALU_DEP_1)
	v_cvt_f64_f32_e32 v[2:3], v2
	s_branch .LBB464_531
.LBB464_520:
	s_mov_b32 s1, -1
	s_mov_b32 s0, 0
	s_mov_b32 s21, s17
                                        ; implicit-def: $vgpr2_vgpr3
	s_branch .LBB464_596
.LBB464_521:
	s_mov_b32 s1, -1
	s_mov_b32 s0, 0
	s_mov_b32 s21, s17
                                        ; implicit-def: $vgpr2_vgpr3
	s_branch .LBB464_562
.LBB464_522:
	s_mov_b32 s1, -1
	s_mov_b32 s0, 0
	s_mov_b32 s21, s17
                                        ; implicit-def: $vgpr2_vgpr3
	s_branch .LBB464_541
.LBB464_523:
	s_mov_b32 s1, -1
	s_mov_b32 s0, 0
	s_mov_b32 s21, s17
                                        ; implicit-def: $vgpr2_vgpr3
	s_branch .LBB464_536
.LBB464_524:
	s_or_saveexec_b32 s20, s20
                                        ; implicit-def: $sgpr21
	s_delay_alu instid0(SALU_CYCLE_1)
	s_xor_b32 exec_lo, exec_lo, s20
	s_cbranch_execz .LBB464_308
.LBB464_525:
	v_add_f32_e64 v3, 0x46000000, |v2|
	s_and_not1_b32 s18, s18, exec_lo
	s_mov_b32 s21, 0
	s_delay_alu instid0(VALU_DEP_1) | instskip(NEXT) | instid1(VALU_DEP_1)
	v_and_b32_e32 v3, 0xff, v3
	v_cmp_ne_u32_e32 vcc_lo, 0, v3
	s_and_b32 s22, vcc_lo, exec_lo
	s_delay_alu instid0(SALU_CYCLE_1)
	s_or_b32 s18, s18, s22
	s_or_b32 exec_lo, exec_lo, s20
	v_mov_b32_e32 v7, s21
	s_and_saveexec_b32 s20, s18
	s_cbranch_execnz .LBB464_309
	s_branch .LBB464_310
.LBB464_526:
	s_mov_b32 s1, -1
	s_mov_b32 s0, 0
	s_mov_b32 s21, s17
	s_branch .LBB464_530
.LBB464_527:
	s_or_saveexec_b32 s20, s20
                                        ; implicit-def: $sgpr21
	s_delay_alu instid0(SALU_CYCLE_1)
	s_xor_b32 exec_lo, exec_lo, s20
	s_cbranch_execz .LBB464_321
.LBB464_528:
	v_add_f32_e64 v3, 0x42800000, |v2|
	s_and_not1_b32 s18, s18, exec_lo
	s_mov_b32 s21, 0
	s_delay_alu instid0(VALU_DEP_1) | instskip(NEXT) | instid1(VALU_DEP_1)
	v_and_b32_e32 v3, 0xff, v3
	v_cmp_ne_u32_e32 vcc_lo, 0, v3
	s_and_b32 s22, vcc_lo, exec_lo
	s_delay_alu instid0(SALU_CYCLE_1)
	s_or_b32 s18, s18, s22
	s_or_b32 exec_lo, exec_lo, s20
	v_mov_b32_e32 v7, s21
	s_and_saveexec_b32 s20, s18
	s_cbranch_execnz .LBB464_322
	s_branch .LBB464_323
.LBB464_529:
	s_mov_b32 s21, -1
	s_mov_b32 s0, 0
.LBB464_530:
                                        ; implicit-def: $vgpr2_vgpr3
.LBB464_531:
	s_and_b32 vcc_lo, exec_lo, s1
	s_cbranch_vccz .LBB464_535
; %bb.532:
	v_cmp_eq_u16_e32 vcc_lo, 44, v10
	s_cbranch_vccz .LBB464_534
; %bb.533:
	global_load_u8 v4, v[0:1], off
	s_mov_b32 s21, 0
	s_mov_b32 s0, -1
	s_waitcnt vmcnt(0)
	v_cmp_ne_u32_e32 vcc_lo, 0xff, v4
	v_lshlrev_b32_e32 v2, 23, v4
	s_delay_alu instid0(VALU_DEP_1) | instskip(NEXT) | instid1(VALU_DEP_1)
	v_cvt_f64_f32_e32 v[2:3], v2
	v_cndmask_b32_e32 v3, 0x7ff80000, v3, vcc_lo
	s_delay_alu instid0(VALU_DEP_2) | instskip(SKIP_1) | instid1(VALU_DEP_3)
	v_cndmask_b32_e32 v2, 0x20000000, v2, vcc_lo
	v_cmp_ne_u32_e32 vcc_lo, 0, v4
	v_cndmask_b32_e32 v3, 0x38000000, v3, vcc_lo
	s_delay_alu instid0(VALU_DEP_3)
	v_cndmask_b32_e32 v2, 0, v2, vcc_lo
	s_branch .LBB464_535
.LBB464_534:
	s_mov_b32 s21, -1
                                        ; implicit-def: $vgpr2_vgpr3
.LBB464_535:
	s_mov_b32 s1, 0
.LBB464_536:
	s_delay_alu instid0(SALU_CYCLE_1)
	s_and_b32 vcc_lo, exec_lo, s1
	s_cbranch_vccz .LBB464_540
; %bb.537:
	v_cmp_eq_u16_e32 vcc_lo, 29, v10
	s_cbranch_vccz .LBB464_539
; %bb.538:
	global_load_b64 v[2:3], v[0:1], off
	s_mov_b32 s0, -1
	s_mov_b32 s21, 0
	s_mov_b32 s1, 0
	s_waitcnt vmcnt(0)
	v_cvt_f64_u32_e32 v[3:4], v3
	v_cvt_f64_u32_e32 v[5:6], v2
	s_delay_alu instid0(VALU_DEP_2) | instskip(NEXT) | instid1(VALU_DEP_1)
	v_ldexp_f64 v[3:4], v[3:4], 32
	v_add_f64 v[2:3], v[3:4], v[5:6]
	s_branch .LBB464_541
.LBB464_539:
	s_mov_b32 s21, -1
                                        ; implicit-def: $vgpr2_vgpr3
.LBB464_540:
	s_mov_b32 s1, 0
.LBB464_541:
	s_delay_alu instid0(SALU_CYCLE_1)
	s_and_b32 vcc_lo, exec_lo, s1
	s_cbranch_vccz .LBB464_561
; %bb.542:
	v_cmp_gt_i16_e32 vcc_lo, 27, v10
	s_cbranch_vccnz .LBB464_545
; %bb.543:
	v_cmp_lt_i16_e32 vcc_lo, 27, v10
	s_cbranch_vccz .LBB464_546
; %bb.544:
	global_load_b32 v2, v[0:1], off
	s_mov_b32 s0, 0
	s_waitcnt vmcnt(0)
	v_cvt_f64_u32_e32 v[2:3], v2
	s_branch .LBB464_547
.LBB464_545:
	s_mov_b32 s0, -1
                                        ; implicit-def: $vgpr2_vgpr3
	s_branch .LBB464_550
.LBB464_546:
	s_mov_b32 s0, -1
                                        ; implicit-def: $vgpr2_vgpr3
.LBB464_547:
	s_delay_alu instid0(SALU_CYCLE_1)
	s_and_not1_b32 vcc_lo, exec_lo, s0
	s_cbranch_vccnz .LBB464_549
; %bb.548:
	global_load_u16 v2, v[0:1], off
	s_waitcnt vmcnt(0)
	v_cvt_f64_u32_e32 v[2:3], v2
.LBB464_549:
	s_mov_b32 s0, 0
.LBB464_550:
	s_delay_alu instid0(SALU_CYCLE_1)
	s_and_not1_b32 vcc_lo, exec_lo, s0
	s_cbranch_vccnz .LBB464_560
; %bb.551:
	global_load_u8 v4, v[0:1], off
	s_mov_b32 s22, 0
	s_mov_b32 s23, exec_lo
                                        ; implicit-def: $sgpr0_sgpr1
	s_waitcnt vmcnt(0)
	v_cmpx_lt_i16_e32 0x7f, v4
	s_xor_b32 s23, exec_lo, s23
	s_cbranch_execz .LBB464_555
; %bb.552:
	s_mov_b32 s24, -1
	s_mov_b32 s22, exec_lo
                                        ; implicit-def: $sgpr0_sgpr1
	v_cmpx_eq_u16_e32 0x80, v4
; %bb.553:
	s_mov_b32 s1, 0x7ff80000
	s_brev_b32 s0, 4
	s_xor_b32 s24, exec_lo, -1
; %bb.554:
	s_or_b32 exec_lo, exec_lo, s22
	s_delay_alu instid0(SALU_CYCLE_1)
	s_and_b32 s22, s24, exec_lo
.LBB464_555:
	s_or_saveexec_b32 s23, s23
	v_dual_mov_b32 v3, s1 :: v_dual_mov_b32 v2, s0
	s_xor_b32 exec_lo, exec_lo, s23
; %bb.556:
	v_cmp_ne_u16_e32 vcc_lo, 0, v4
	v_mov_b32_e32 v2, 0
	v_mov_b32_e32 v3, 0
	s_and_not1_b32 s0, s22, exec_lo
	s_and_b32 s1, vcc_lo, exec_lo
	s_delay_alu instid0(SALU_CYCLE_1)
	s_or_b32 s22, s0, s1
; %bb.557:
	s_or_b32 exec_lo, exec_lo, s23
	s_and_saveexec_b32 s0, s22
	s_cbranch_execz .LBB464_559
; %bb.558:
	v_and_b32_e32 v2, 0xffff, v4
	v_lshlrev_b32_e32 v4, 24, v4
	s_delay_alu instid0(VALU_DEP_2) | instskip(NEXT) | instid1(VALU_DEP_2)
	v_and_b32_e32 v3, 7, v2
	v_and_b32_e32 v4, 0x80000000, v4
	s_delay_alu instid0(VALU_DEP_2) | instskip(NEXT) | instid1(VALU_DEP_1)
	v_clz_i32_u32_e32 v5, v3
	v_min_u32_e32 v5, 32, v5
	s_delay_alu instid0(VALU_DEP_1) | instskip(SKIP_1) | instid1(VALU_DEP_2)
	v_subrev_nc_u32_e32 v6, 28, v5
	v_sub_nc_u32_e32 v5, 29, v5
	v_lshlrev_b32_e32 v6, v6, v2
	v_bfe_u32 v2, v2, 3, 4
	s_delay_alu instid0(VALU_DEP_2) | instskip(NEXT) | instid1(VALU_DEP_2)
	v_and_b32_e32 v6, 7, v6
	v_cmp_eq_u32_e32 vcc_lo, 0, v2
	s_delay_alu instid0(VALU_DEP_2) | instskip(NEXT) | instid1(VALU_DEP_1)
	v_dual_cndmask_b32 v2, v2, v5 :: v_dual_cndmask_b32 v3, v3, v6
	v_lshl_add_u32 v2, v2, 23, 0x3b800000
	s_delay_alu instid0(VALU_DEP_2) | instskip(NEXT) | instid1(VALU_DEP_1)
	v_lshlrev_b32_e32 v3, 20, v3
	v_or3_b32 v2, v4, v2, v3
	s_delay_alu instid0(VALU_DEP_1)
	v_cvt_f64_f32_e32 v[2:3], v2
.LBB464_559:
	s_or_b32 exec_lo, exec_lo, s0
.LBB464_560:
	s_mov_b32 s0, -1
.LBB464_561:
	s_mov_b32 s1, 0
.LBB464_562:
	s_delay_alu instid0(SALU_CYCLE_1)
	s_and_b32 vcc_lo, exec_lo, s1
	s_cbranch_vccz .LBB464_595
; %bb.563:
	v_cmp_lt_i16_e32 vcc_lo, 22, v10
	s_cbranch_vccz .LBB464_575
; %bb.564:
	v_cmp_gt_i16_e32 vcc_lo, 24, v10
	s_cbranch_vccnz .LBB464_576
; %bb.565:
	v_cmp_lt_i16_e32 vcc_lo, 24, v10
	s_cbranch_vccz .LBB464_577
; %bb.566:
	global_load_u8 v4, v[0:1], off
	s_mov_b32 s22, 0
	s_mov_b32 s23, exec_lo
                                        ; implicit-def: $sgpr0_sgpr1
	s_waitcnt vmcnt(0)
	v_cmpx_lt_i16_e32 0x7f, v4
	s_xor_b32 s23, exec_lo, s23
	s_cbranch_execz .LBB464_570
; %bb.567:
	s_mov_b32 s24, -1
	s_mov_b32 s22, exec_lo
                                        ; implicit-def: $sgpr0_sgpr1
	v_cmpx_eq_u16_e32 0x80, v4
; %bb.568:
	s_mov_b32 s1, 0x7ff80000
	s_brev_b32 s0, 4
	s_xor_b32 s24, exec_lo, -1
; %bb.569:
	s_or_b32 exec_lo, exec_lo, s22
	s_delay_alu instid0(SALU_CYCLE_1)
	s_and_b32 s22, s24, exec_lo
.LBB464_570:
	s_or_saveexec_b32 s23, s23
	v_dual_mov_b32 v3, s1 :: v_dual_mov_b32 v2, s0
	s_xor_b32 exec_lo, exec_lo, s23
; %bb.571:
	v_cmp_ne_u16_e32 vcc_lo, 0, v4
	v_mov_b32_e32 v2, 0
	v_mov_b32_e32 v3, 0
	s_and_not1_b32 s0, s22, exec_lo
	s_and_b32 s1, vcc_lo, exec_lo
	s_delay_alu instid0(SALU_CYCLE_1)
	s_or_b32 s22, s0, s1
; %bb.572:
	s_or_b32 exec_lo, exec_lo, s23
	s_and_saveexec_b32 s0, s22
	s_cbranch_execz .LBB464_574
; %bb.573:
	v_and_b32_e32 v2, 0xffff, v4
	v_lshlrev_b32_e32 v4, 24, v4
	s_delay_alu instid0(VALU_DEP_2) | instskip(NEXT) | instid1(VALU_DEP_2)
	v_and_b32_e32 v3, 3, v2
	v_and_b32_e32 v4, 0x80000000, v4
	s_delay_alu instid0(VALU_DEP_2) | instskip(NEXT) | instid1(VALU_DEP_1)
	v_clz_i32_u32_e32 v5, v3
	v_min_u32_e32 v5, 32, v5
	s_delay_alu instid0(VALU_DEP_1) | instskip(SKIP_1) | instid1(VALU_DEP_2)
	v_subrev_nc_u32_e32 v6, 29, v5
	v_sub_nc_u32_e32 v5, 30, v5
	v_lshlrev_b32_e32 v6, v6, v2
	v_bfe_u32 v2, v2, 2, 5
	s_delay_alu instid0(VALU_DEP_2) | instskip(NEXT) | instid1(VALU_DEP_2)
	v_and_b32_e32 v6, 3, v6
	v_cmp_eq_u32_e32 vcc_lo, 0, v2
	s_delay_alu instid0(VALU_DEP_2) | instskip(NEXT) | instid1(VALU_DEP_1)
	v_dual_cndmask_b32 v2, v2, v5 :: v_dual_cndmask_b32 v3, v3, v6
	v_lshl_add_u32 v2, v2, 23, 0x37800000
	s_delay_alu instid0(VALU_DEP_2) | instskip(NEXT) | instid1(VALU_DEP_1)
	v_lshlrev_b32_e32 v3, 21, v3
	v_or3_b32 v2, v4, v2, v3
	s_delay_alu instid0(VALU_DEP_1)
	v_cvt_f64_f32_e32 v[2:3], v2
.LBB464_574:
	s_or_b32 exec_lo, exec_lo, s0
	s_mov_b32 s0, 0
	s_branch .LBB464_578
.LBB464_575:
	s_mov_b32 s1, -1
                                        ; implicit-def: $vgpr2_vgpr3
	s_branch .LBB464_584
.LBB464_576:
	s_mov_b32 s0, -1
                                        ; implicit-def: $vgpr2_vgpr3
	s_branch .LBB464_581
.LBB464_577:
	s_mov_b32 s0, -1
                                        ; implicit-def: $vgpr2_vgpr3
.LBB464_578:
	s_delay_alu instid0(SALU_CYCLE_1)
	s_and_b32 vcc_lo, exec_lo, s0
	s_cbranch_vccz .LBB464_580
; %bb.579:
	global_load_u8 v2, v[0:1], off
	s_waitcnt vmcnt(0)
	v_lshlrev_b32_e32 v2, 24, v2
	s_delay_alu instid0(VALU_DEP_1) | instskip(NEXT) | instid1(VALU_DEP_1)
	v_and_b32_e32 v3, 0x7f000000, v2
	v_clz_i32_u32_e32 v4, v3
	v_add_nc_u32_e32 v6, 0x1000000, v3
	v_cmp_ne_u32_e32 vcc_lo, 0, v3
	s_delay_alu instid0(VALU_DEP_3) | instskip(NEXT) | instid1(VALU_DEP_1)
	v_min_u32_e32 v4, 32, v4
	v_sub_nc_u32_e64 v4, v4, 4 clamp
	s_delay_alu instid0(VALU_DEP_1) | instskip(SKIP_1) | instid1(VALU_DEP_2)
	v_lshlrev_b32_e32 v5, v4, v3
	v_lshlrev_b32_e32 v4, 23, v4
	v_lshrrev_b32_e32 v5, 4, v5
	s_delay_alu instid0(VALU_DEP_1) | instskip(SKIP_1) | instid1(VALU_DEP_2)
	v_sub_nc_u32_e32 v4, v5, v4
	v_ashrrev_i32_e32 v5, 8, v6
	v_add_nc_u32_e32 v4, 0x3c000000, v4
	s_delay_alu instid0(VALU_DEP_1) | instskip(NEXT) | instid1(VALU_DEP_1)
	v_and_or_b32 v4, 0x7f800000, v5, v4
	v_cndmask_b32_e32 v3, 0, v4, vcc_lo
	s_delay_alu instid0(VALU_DEP_1) | instskip(NEXT) | instid1(VALU_DEP_1)
	v_and_or_b32 v2, 0x80000000, v2, v3
	v_cvt_f64_f32_e32 v[2:3], v2
.LBB464_580:
	s_mov_b32 s0, 0
.LBB464_581:
	s_delay_alu instid0(SALU_CYCLE_1)
	s_and_not1_b32 vcc_lo, exec_lo, s0
	s_cbranch_vccnz .LBB464_583
; %bb.582:
	global_load_u8 v2, v[0:1], off
	s_waitcnt vmcnt(0)
	v_lshlrev_b32_e32 v3, 25, v2
	v_lshlrev_b16 v2, 8, v2
	s_delay_alu instid0(VALU_DEP_2) | instskip(NEXT) | instid1(VALU_DEP_2)
	v_lshrrev_b32_e32 v4, 4, v3
	v_and_or_b32 v5, 0x7f00, v2, 0.5
	v_bfe_i32 v2, v2, 0, 16
	s_delay_alu instid0(VALU_DEP_3) | instskip(NEXT) | instid1(VALU_DEP_1)
	v_or_b32_e32 v4, 0x70000000, v4
	v_dual_add_f32 v5, -0.5, v5 :: v_dual_mul_f32 v4, 0x7800000, v4
	v_cmp_gt_u32_e32 vcc_lo, 0x8000000, v3
	s_delay_alu instid0(VALU_DEP_2) | instskip(NEXT) | instid1(VALU_DEP_1)
	v_cndmask_b32_e32 v3, v4, v5, vcc_lo
	v_and_or_b32 v2, 0x80000000, v2, v3
	s_delay_alu instid0(VALU_DEP_1)
	v_cvt_f64_f32_e32 v[2:3], v2
.LBB464_583:
	s_mov_b32 s1, 0
	s_mov_b32 s0, -1
.LBB464_584:
	s_and_not1_b32 vcc_lo, exec_lo, s1
	s_cbranch_vccnz .LBB464_595
; %bb.585:
	v_cmp_lt_i16_e32 vcc_lo, 14, v10
	s_cbranch_vccz .LBB464_588
; %bb.586:
	v_cmp_eq_u16_e32 vcc_lo, 15, v10
	s_cbranch_vccz .LBB464_589
; %bb.587:
	global_load_u16 v2, v[0:1], off
	s_mov_b32 s0, -1
	s_mov_b32 s21, 0
	s_waitcnt vmcnt(0)
	v_lshlrev_b32_e32 v2, 16, v2
	s_delay_alu instid0(VALU_DEP_1)
	v_cvt_f64_f32_e32 v[2:3], v2
	s_branch .LBB464_590
.LBB464_588:
	s_mov_b32 s1, -1
                                        ; implicit-def: $vgpr2_vgpr3
	s_branch .LBB464_591
.LBB464_589:
	s_mov_b32 s21, -1
                                        ; implicit-def: $vgpr2_vgpr3
.LBB464_590:
	s_mov_b32 s1, 0
.LBB464_591:
	s_delay_alu instid0(SALU_CYCLE_1)
	s_and_b32 vcc_lo, exec_lo, s1
	s_cbranch_vccz .LBB464_595
; %bb.592:
	v_cmp_eq_u16_e32 vcc_lo, 11, v10
	s_cbranch_vccz .LBB464_594
; %bb.593:
	global_load_u8 v2, v[0:1], off
	s_mov_b32 s21, 0
	s_mov_b32 s0, -1
	s_waitcnt vmcnt(0)
	v_cmp_ne_u16_e32 vcc_lo, 0, v2
	v_mov_b32_e32 v2, 0
	v_cndmask_b32_e64 v3, 0, 0x3ff00000, vcc_lo
	s_branch .LBB464_595
.LBB464_594:
	s_mov_b32 s21, -1
                                        ; implicit-def: $vgpr2_vgpr3
.LBB464_595:
	s_mov_b32 s1, 0
.LBB464_596:
	s_delay_alu instid0(SALU_CYCLE_1)
	s_and_b32 vcc_lo, exec_lo, s1
	s_cbranch_vccz .LBB464_645
; %bb.597:
	v_cmp_gt_i16_e32 vcc_lo, 5, v10
	s_cbranch_vccnz .LBB464_602
; %bb.598:
	v_cmp_gt_i16_e32 vcc_lo, 8, v10
	s_cbranch_vccnz .LBB464_603
; %bb.599:
	v_cmp_gt_i16_e32 vcc_lo, 9, v10
	s_cbranch_vccnz .LBB464_604
; %bb.600:
	v_cmp_lt_i16_e32 vcc_lo, 9, v10
	s_cbranch_vccz .LBB464_605
; %bb.601:
	global_load_b64 v[2:3], v[0:1], off
	s_mov_b32 s0, 0
	s_branch .LBB464_606
.LBB464_602:
	s_mov_b32 s0, -1
                                        ; implicit-def: $vgpr2_vgpr3
	s_branch .LBB464_624
.LBB464_603:
	s_mov_b32 s0, -1
                                        ; implicit-def: $vgpr2_vgpr3
	s_branch .LBB464_612
.LBB464_604:
	s_mov_b32 s0, -1
                                        ; implicit-def: $vgpr2_vgpr3
	s_branch .LBB464_609
.LBB464_605:
	s_mov_b32 s0, -1
                                        ; implicit-def: $vgpr2_vgpr3
.LBB464_606:
	s_delay_alu instid0(SALU_CYCLE_1)
	s_and_not1_b32 vcc_lo, exec_lo, s0
	s_cbranch_vccnz .LBB464_608
; %bb.607:
	global_load_b32 v2, v[0:1], off
	s_waitcnt vmcnt(0)
	v_cvt_f64_f32_e32 v[2:3], v2
.LBB464_608:
	s_mov_b32 s0, 0
.LBB464_609:
	s_delay_alu instid0(SALU_CYCLE_1)
	s_and_not1_b32 vcc_lo, exec_lo, s0
	s_cbranch_vccnz .LBB464_611
; %bb.610:
	global_load_b32 v2, v[0:1], off
	s_waitcnt vmcnt(0)
	v_cvt_f32_f16_e32 v2, v2
	s_delay_alu instid0(VALU_DEP_1)
	v_cvt_f64_f32_e32 v[2:3], v2
.LBB464_611:
	s_mov_b32 s0, 0
.LBB464_612:
	s_delay_alu instid0(SALU_CYCLE_1)
	s_and_not1_b32 vcc_lo, exec_lo, s0
	s_cbranch_vccnz .LBB464_623
; %bb.613:
	v_cmp_gt_i16_e32 vcc_lo, 6, v10
	s_cbranch_vccnz .LBB464_616
; %bb.614:
	v_cmp_lt_i16_e32 vcc_lo, 6, v10
	s_cbranch_vccz .LBB464_617
; %bb.615:
	global_load_b64 v[2:3], v[0:1], off
	s_mov_b32 s0, 0
	s_branch .LBB464_618
.LBB464_616:
	s_mov_b32 s0, -1
                                        ; implicit-def: $vgpr2_vgpr3
	s_branch .LBB464_621
.LBB464_617:
	s_mov_b32 s0, -1
                                        ; implicit-def: $vgpr2_vgpr3
.LBB464_618:
	s_delay_alu instid0(SALU_CYCLE_1)
	s_and_not1_b32 vcc_lo, exec_lo, s0
	s_cbranch_vccnz .LBB464_620
; %bb.619:
	global_load_b32 v2, v[0:1], off
	s_waitcnt vmcnt(0)
	v_cvt_f64_f32_e32 v[2:3], v2
.LBB464_620:
	s_mov_b32 s0, 0
.LBB464_621:
	s_delay_alu instid0(SALU_CYCLE_1)
	s_and_not1_b32 vcc_lo, exec_lo, s0
	s_cbranch_vccnz .LBB464_623
; %bb.622:
	global_load_u16 v2, v[0:1], off
	s_waitcnt vmcnt(0)
	v_cvt_f32_f16_e32 v2, v2
	s_delay_alu instid0(VALU_DEP_1)
	v_cvt_f64_f32_e32 v[2:3], v2
.LBB464_623:
	s_mov_b32 s0, 0
.LBB464_624:
	s_delay_alu instid0(SALU_CYCLE_1)
	s_and_not1_b32 vcc_lo, exec_lo, s0
	s_cbranch_vccnz .LBB464_644
; %bb.625:
	v_cmp_gt_i16_e32 vcc_lo, 2, v10
	s_cbranch_vccnz .LBB464_629
; %bb.626:
	v_cmp_gt_i16_e32 vcc_lo, 3, v10
	s_cbranch_vccnz .LBB464_630
; %bb.627:
	v_cmp_lt_i16_e32 vcc_lo, 3, v10
	s_cbranch_vccz .LBB464_631
; %bb.628:
	global_load_b64 v[2:3], v[0:1], off
	s_mov_b32 s0, 0
	s_waitcnt vmcnt(0)
	v_cvt_f64_i32_e32 v[3:4], v3
	v_cvt_f64_u32_e32 v[5:6], v2
	s_delay_alu instid0(VALU_DEP_2) | instskip(NEXT) | instid1(VALU_DEP_1)
	v_ldexp_f64 v[3:4], v[3:4], 32
	v_add_f64 v[2:3], v[3:4], v[5:6]
	s_branch .LBB464_632
.LBB464_629:
	s_mov_b32 s0, -1
                                        ; implicit-def: $vgpr2_vgpr3
	s_branch .LBB464_638
.LBB464_630:
	s_mov_b32 s0, -1
                                        ; implicit-def: $vgpr2_vgpr3
	s_branch .LBB464_635
.LBB464_631:
	s_mov_b32 s0, -1
                                        ; implicit-def: $vgpr2_vgpr3
.LBB464_632:
	s_delay_alu instid0(SALU_CYCLE_1)
	s_and_not1_b32 vcc_lo, exec_lo, s0
	s_cbranch_vccnz .LBB464_634
; %bb.633:
	global_load_b32 v2, v[0:1], off
	s_waitcnt vmcnt(0)
	v_cvt_f64_i32_e32 v[2:3], v2
.LBB464_634:
	s_mov_b32 s0, 0
.LBB464_635:
	s_delay_alu instid0(SALU_CYCLE_1)
	s_and_not1_b32 vcc_lo, exec_lo, s0
	s_cbranch_vccnz .LBB464_637
; %bb.636:
	global_load_i16 v2, v[0:1], off
	s_waitcnt vmcnt(0)
	v_cvt_f64_i32_e32 v[2:3], v2
.LBB464_637:
	s_mov_b32 s0, 0
.LBB464_638:
	s_delay_alu instid0(SALU_CYCLE_1)
	s_and_not1_b32 vcc_lo, exec_lo, s0
	s_cbranch_vccnz .LBB464_644
; %bb.639:
	v_cmp_lt_i16_e32 vcc_lo, 0, v10
	s_mov_b32 s0, 0
	s_cbranch_vccz .LBB464_641
; %bb.640:
	global_load_i8 v2, v[0:1], off
	s_waitcnt vmcnt(0)
	v_cvt_f64_i32_e32 v[2:3], v2
	s_branch .LBB464_642
.LBB464_641:
	s_mov_b32 s0, -1
                                        ; implicit-def: $vgpr2_vgpr3
.LBB464_642:
	s_delay_alu instid0(SALU_CYCLE_1)
	s_and_not1_b32 vcc_lo, exec_lo, s0
	s_cbranch_vccnz .LBB464_644
; %bb.643:
	global_load_u8 v0, v[0:1], off
	s_waitcnt vmcnt(0)
	v_cvt_f64_u32_e32 v[2:3], v0
.LBB464_644:
	s_mov_b32 s0, -1
.LBB464_645:
	s_delay_alu instid0(SALU_CYCLE_1)
	s_and_not1_b32 vcc_lo, exec_lo, s0
	s_cbranch_vccnz .LBB464_653
; %bb.646:
	v_max_f64 v[0:1], s[10:11], s[10:11]
	s_waitcnt vmcnt(0)
	s_delay_alu instid0(VALU_DEP_2) | instskip(SKIP_2) | instid1(VALU_DEP_1)
	v_max_f64 v[4:5], v[2:3], v[2:3]
	v_cmp_u_f64_e32 vcc_lo, v[2:3], v[2:3]
	v_and_b32_e64 v6, 0xff, s2
	v_cmp_gt_i16_e64 s0, 11, v6
	s_delay_alu instid0(VALU_DEP_4) | instskip(SKIP_1) | instid1(VALU_DEP_1)
	v_min_f64 v[0:1], v[4:5], v[0:1]
	v_mul_lo_u32 v4, v12, s8
	v_ashrrev_i32_e32 v5, 31, v4
	v_add_co_u32 v4, s1, s4, v4
	s_delay_alu instid0(VALU_DEP_1)
	v_add_co_ci_u32_e64 v5, s1, s5, v5, s1
	v_dual_cndmask_b32 v1, v1, v3 :: v_dual_cndmask_b32 v0, v0, v2
	s_and_b32 vcc_lo, exec_lo, s0
	s_cbranch_vccnz .LBB464_654
; %bb.647:
	v_cmp_lt_i16_e32 vcc_lo, 25, v6
	s_cbranch_vccz .LBB464_655
; %bb.648:
	v_cmp_lt_i16_e32 vcc_lo, 28, v6
	s_cbranch_vccz .LBB464_656
	;; [unrolled: 3-line block ×4, first 2 shown]
; %bb.651:
	v_cmp_eq_u16_e32 vcc_lo, 46, v6
	s_mov_b32 s22, 0
	s_mov_b32 s0, -1
	s_mov_b32 s1, 0
	s_cbranch_vccz .LBB464_659
; %bb.652:
	v_cvt_f32_f64_e32 v2, v[0:1]
	s_mov_b32 s1, -1
	s_mov_b32 s0, 0
	s_delay_alu instid0(VALU_DEP_1) | instskip(SKIP_1) | instid1(VALU_DEP_2)
	v_bfe_u32 v3, v2, 16, 1
	v_cmp_o_f32_e32 vcc_lo, v2, v2
	v_add3_u32 v3, v2, v3, 0x7fff
	s_delay_alu instid0(VALU_DEP_1) | instskip(NEXT) | instid1(VALU_DEP_1)
	v_lshrrev_b32_e32 v3, 16, v3
	v_cndmask_b32_e32 v2, 0x7fc0, v3, vcc_lo
	global_store_b32 v[4:5], v2, off
	s_branch .LBB464_659
.LBB464_653:
	s_mov_b32 s1, 0
	s_mov_b32 s0, s18
	s_branch .LBB464_770
.LBB464_654:
	s_mov_b32 s22, -1
	s_mov_b32 s1, 0
	s_mov_b32 s0, s18
	s_branch .LBB464_728
.LBB464_655:
	s_mov_b32 s22, -1
	s_mov_b32 s1, 0
	s_mov_b32 s0, s18
	s_branch .LBB464_686
.LBB464_656:
	s_mov_b32 s22, -1
	s_mov_b32 s1, 0
	s_mov_b32 s0, s18
	s_branch .LBB464_669
.LBB464_657:
	s_mov_b32 s22, -1
	s_mov_b32 s1, 0
	s_mov_b32 s0, s18
	s_branch .LBB464_665
.LBB464_658:
	s_mov_b32 s22, -1
	s_mov_b32 s1, 0
	s_mov_b32 s0, s18
.LBB464_659:
	s_and_b32 vcc_lo, exec_lo, s22
	s_cbranch_vccz .LBB464_664
; %bb.660:
	v_cmp_eq_u16_e32 vcc_lo, 44, v6
	s_mov_b32 s0, -1
	s_cbranch_vccz .LBB464_664
; %bb.661:
	v_cvt_f32_f64_e32 v2, v[0:1]
	v_mov_b32_e32 v3, 0xff
	s_mov_b32 s1, exec_lo
	s_delay_alu instid0(VALU_DEP_2) | instskip(NEXT) | instid1(VALU_DEP_1)
	v_bfe_u32 v7, v2, 23, 8
	v_cmpx_ne_u32_e32 0xff, v7
; %bb.662:
	v_and_b32_e32 v3, 0x400000, v2
	v_and_or_b32 v7, 0x3fffff, v2, v7
	v_lshrrev_b32_e32 v2, 23, v2
	s_delay_alu instid0(VALU_DEP_3) | instskip(NEXT) | instid1(VALU_DEP_3)
	v_cmp_ne_u32_e32 vcc_lo, 0, v3
	v_cmp_ne_u32_e64 s0, 0, v7
	s_delay_alu instid0(VALU_DEP_1) | instskip(NEXT) | instid1(SALU_CYCLE_1)
	s_and_b32 s0, vcc_lo, s0
	v_cndmask_b32_e64 v3, 0, 1, s0
	s_delay_alu instid0(VALU_DEP_1)
	v_add_nc_u32_e32 v3, v2, v3
; %bb.663:
	s_or_b32 exec_lo, exec_lo, s1
	s_mov_b32 s1, -1
	s_mov_b32 s0, 0
	global_store_b8 v[4:5], v3, off
.LBB464_664:
	s_mov_b32 s22, 0
.LBB464_665:
	s_delay_alu instid0(SALU_CYCLE_1)
	s_and_b32 vcc_lo, exec_lo, s22
	s_cbranch_vccz .LBB464_668
; %bb.666:
	v_cmp_eq_u16_e32 vcc_lo, 29, v6
	s_mov_b32 s0, -1
	s_cbranch_vccz .LBB464_668
; %bb.667:
	v_trunc_f64_e32 v[2:3], v[0:1]
	s_mov_b32 s1, -1
	s_mov_b32 s0, 0
	s_mov_b32 s22, 0
	s_delay_alu instid0(VALU_DEP_1) | instskip(NEXT) | instid1(VALU_DEP_1)
	v_ldexp_f64 v[7:8], v[2:3], 0xffffffe0
	v_floor_f64_e32 v[7:8], v[7:8]
	s_delay_alu instid0(VALU_DEP_1) | instskip(SKIP_1) | instid1(VALU_DEP_2)
	v_fma_f64 v[2:3], 0xc1f00000, v[7:8], v[2:3]
	v_cvt_u32_f64_e32 v8, v[7:8]
	v_cvt_u32_f64_e32 v7, v[2:3]
	global_store_b64 v[4:5], v[7:8], off
	s_branch .LBB464_669
.LBB464_668:
	s_mov_b32 s22, 0
.LBB464_669:
	s_delay_alu instid0(SALU_CYCLE_1)
	s_and_b32 vcc_lo, exec_lo, s22
	s_cbranch_vccz .LBB464_685
; %bb.670:
	v_cmp_gt_i16_e32 vcc_lo, 27, v6
	s_mov_b32 s1, -1
	s_cbranch_vccnz .LBB464_676
; %bb.671:
	v_cmp_lt_i16_e32 vcc_lo, 27, v6
	s_cbranch_vccz .LBB464_673
; %bb.672:
	v_cvt_u32_f64_e32 v2, v[0:1]
	s_mov_b32 s1, 0
	global_store_b32 v[4:5], v2, off
.LBB464_673:
	s_and_not1_b32 vcc_lo, exec_lo, s1
	s_cbranch_vccnz .LBB464_675
; %bb.674:
	v_cvt_u32_f64_e32 v2, v[0:1]
	global_store_b16 v[4:5], v2, off
.LBB464_675:
	s_mov_b32 s1, 0
.LBB464_676:
	s_delay_alu instid0(SALU_CYCLE_1)
	s_and_not1_b32 vcc_lo, exec_lo, s1
	s_cbranch_vccnz .LBB464_684
; %bb.677:
	v_cvt_f32_f64_e32 v2, v[0:1]
	v_mov_b32_e32 v7, 0x80
	s_mov_b32 s1, exec_lo
	s_delay_alu instid0(VALU_DEP_2) | instskip(NEXT) | instid1(VALU_DEP_1)
	v_and_b32_e32 v3, 0x7fffffff, v2
	v_cmpx_gt_u32_e32 0x43800000, v3
	s_cbranch_execz .LBB464_683
; %bb.678:
	v_cmp_lt_u32_e32 vcc_lo, 0x3bffffff, v3
	s_mov_b32 s22, 0
                                        ; implicit-def: $vgpr3
	s_and_saveexec_b32 s23, vcc_lo
	s_delay_alu instid0(SALU_CYCLE_1)
	s_xor_b32 s23, exec_lo, s23
	s_cbranch_execz .LBB464_785
; %bb.679:
	v_bfe_u32 v3, v2, 20, 1
	s_mov_b32 s22, exec_lo
	s_delay_alu instid0(VALU_DEP_1) | instskip(NEXT) | instid1(VALU_DEP_1)
	v_add3_u32 v3, v2, v3, 0x487ffff
	v_lshrrev_b32_e32 v3, 20, v3
	s_or_saveexec_b32 s23, s23
                                        ; implicit-def: $sgpr24
	s_delay_alu instid0(SALU_CYCLE_1)
	s_xor_b32 exec_lo, exec_lo, s23
	s_cbranch_execnz .LBB464_786
.LBB464_680:
	s_or_b32 exec_lo, exec_lo, s23
	v_mov_b32_e32 v7, s24
	s_and_saveexec_b32 s23, s22
.LBB464_681:
	v_lshrrev_b32_e32 v2, 24, v2
	s_delay_alu instid0(VALU_DEP_1)
	v_and_or_b32 v7, 0x80, v2, v3
.LBB464_682:
	s_or_b32 exec_lo, exec_lo, s23
.LBB464_683:
	s_delay_alu instid0(SALU_CYCLE_1)
	s_or_b32 exec_lo, exec_lo, s1
	global_store_b8 v[4:5], v7, off
.LBB464_684:
	s_mov_b32 s1, -1
.LBB464_685:
	s_mov_b32 s22, 0
.LBB464_686:
	s_delay_alu instid0(SALU_CYCLE_1)
	s_and_b32 vcc_lo, exec_lo, s22
	s_cbranch_vccz .LBB464_727
; %bb.687:
	v_cmp_lt_i16_e32 vcc_lo, 22, v6
	s_mov_b32 s22, -1
	s_cbranch_vccz .LBB464_719
; %bb.688:
	v_cmp_gt_i16_e32 vcc_lo, 24, v6
	s_mov_b32 s1, -1
	s_cbranch_vccnz .LBB464_708
; %bb.689:
	v_cmp_lt_i16_e32 vcc_lo, 24, v6
	s_cbranch_vccz .LBB464_697
; %bb.690:
	v_cvt_f32_f64_e32 v2, v[0:1]
	v_mov_b32_e32 v7, 0x80
	s_mov_b32 s1, exec_lo
	s_delay_alu instid0(VALU_DEP_2) | instskip(NEXT) | instid1(VALU_DEP_1)
	v_and_b32_e32 v3, 0x7fffffff, v2
	v_cmpx_gt_u32_e32 0x47800000, v3
	s_cbranch_execz .LBB464_696
; %bb.691:
	v_cmp_lt_u32_e32 vcc_lo, 0x37ffffff, v3
	s_mov_b32 s22, 0
                                        ; implicit-def: $vgpr3
	s_and_saveexec_b32 s23, vcc_lo
	s_delay_alu instid0(SALU_CYCLE_1)
	s_xor_b32 s23, exec_lo, s23
	s_cbranch_execz .LBB464_788
; %bb.692:
	v_bfe_u32 v3, v2, 21, 1
	s_mov_b32 s22, exec_lo
	s_delay_alu instid0(VALU_DEP_1) | instskip(NEXT) | instid1(VALU_DEP_1)
	v_add3_u32 v3, v2, v3, 0x88fffff
	v_lshrrev_b32_e32 v3, 21, v3
	s_or_saveexec_b32 s23, s23
                                        ; implicit-def: $sgpr24
	s_delay_alu instid0(SALU_CYCLE_1)
	s_xor_b32 exec_lo, exec_lo, s23
	s_cbranch_execnz .LBB464_789
.LBB464_693:
	s_or_b32 exec_lo, exec_lo, s23
	v_mov_b32_e32 v7, s24
	s_and_saveexec_b32 s23, s22
.LBB464_694:
	v_lshrrev_b32_e32 v2, 24, v2
	s_delay_alu instid0(VALU_DEP_1)
	v_and_or_b32 v7, 0x80, v2, v3
.LBB464_695:
	s_or_b32 exec_lo, exec_lo, s23
.LBB464_696:
	s_delay_alu instid0(SALU_CYCLE_1)
	s_or_b32 exec_lo, exec_lo, s1
	s_mov_b32 s1, 0
	global_store_b8 v[4:5], v7, off
.LBB464_697:
	s_and_b32 vcc_lo, exec_lo, s1
	s_cbranch_vccz .LBB464_707
; %bb.698:
	v_cvt_f32_f64_e32 v2, v[0:1]
	s_mov_b32 s1, exec_lo
                                        ; implicit-def: $vgpr3
	s_delay_alu instid0(VALU_DEP_1) | instskip(NEXT) | instid1(VALU_DEP_1)
	v_and_b32_e32 v7, 0x7fffffff, v2
	v_cmpx_gt_u32_e32 0x43f00000, v7
	s_xor_b32 s1, exec_lo, s1
	s_cbranch_execz .LBB464_704
; %bb.699:
	s_mov_b32 s22, exec_lo
                                        ; implicit-def: $vgpr3
	v_cmpx_lt_u32_e32 0x3c7fffff, v7
	s_xor_b32 s22, exec_lo, s22
; %bb.700:
	v_bfe_u32 v3, v2, 20, 1
	s_delay_alu instid0(VALU_DEP_1) | instskip(NEXT) | instid1(VALU_DEP_1)
	v_add3_u32 v3, v2, v3, 0x407ffff
	v_and_b32_e32 v7, 0xff00000, v3
	v_lshrrev_b32_e32 v3, 20, v3
	s_delay_alu instid0(VALU_DEP_2) | instskip(NEXT) | instid1(VALU_DEP_2)
	v_cmp_ne_u32_e32 vcc_lo, 0x7f00000, v7
	v_cndmask_b32_e32 v3, 0x7e, v3, vcc_lo
; %bb.701:
	s_and_not1_saveexec_b32 s22, s22
; %bb.702:
	v_add_f32_e64 v3, 0x46800000, |v2|
; %bb.703:
	s_or_b32 exec_lo, exec_lo, s22
                                        ; implicit-def: $vgpr7
.LBB464_704:
	s_and_not1_saveexec_b32 s1, s1
; %bb.705:
	v_mov_b32_e32 v3, 0x7f
	v_cmp_lt_u32_e32 vcc_lo, 0x7f800000, v7
	s_delay_alu instid0(VALU_DEP_2)
	v_cndmask_b32_e32 v3, 0x7e, v3, vcc_lo
; %bb.706:
	s_or_b32 exec_lo, exec_lo, s1
	v_lshrrev_b32_e32 v2, 24, v2
	s_delay_alu instid0(VALU_DEP_1)
	v_and_or_b32 v2, 0x80, v2, v3
	global_store_b8 v[4:5], v2, off
.LBB464_707:
	s_mov_b32 s1, 0
.LBB464_708:
	s_delay_alu instid0(SALU_CYCLE_1)
	s_and_not1_b32 vcc_lo, exec_lo, s1
	s_cbranch_vccnz .LBB464_718
; %bb.709:
	v_cvt_f32_f64_e32 v2, v[0:1]
	s_mov_b32 s1, exec_lo
                                        ; implicit-def: $vgpr3
	s_delay_alu instid0(VALU_DEP_1) | instskip(NEXT) | instid1(VALU_DEP_1)
	v_and_b32_e32 v7, 0x7fffffff, v2
	v_cmpx_gt_u32_e32 0x47800000, v7
	s_xor_b32 s1, exec_lo, s1
	s_cbranch_execz .LBB464_715
; %bb.710:
	s_mov_b32 s22, exec_lo
                                        ; implicit-def: $vgpr3
	v_cmpx_lt_u32_e32 0x387fffff, v7
	s_xor_b32 s22, exec_lo, s22
; %bb.711:
	v_bfe_u32 v3, v2, 21, 1
	s_delay_alu instid0(VALU_DEP_1) | instskip(NEXT) | instid1(VALU_DEP_1)
	v_add3_u32 v3, v2, v3, 0x80fffff
	v_lshrrev_b32_e32 v3, 21, v3
; %bb.712:
	s_and_not1_saveexec_b32 s22, s22
; %bb.713:
	v_add_f32_e64 v3, 0x43000000, |v2|
; %bb.714:
	s_or_b32 exec_lo, exec_lo, s22
                                        ; implicit-def: $vgpr7
.LBB464_715:
	s_and_not1_saveexec_b32 s1, s1
; %bb.716:
	v_mov_b32_e32 v3, 0x7f
	v_cmp_lt_u32_e32 vcc_lo, 0x7f800000, v7
	s_delay_alu instid0(VALU_DEP_2)
	v_cndmask_b32_e32 v3, 0x7c, v3, vcc_lo
; %bb.717:
	s_or_b32 exec_lo, exec_lo, s1
	v_lshrrev_b32_e32 v2, 24, v2
	s_delay_alu instid0(VALU_DEP_1)
	v_and_or_b32 v2, 0x80, v2, v3
	global_store_b8 v[4:5], v2, off
.LBB464_718:
	s_mov_b32 s22, 0
	s_mov_b32 s1, -1
.LBB464_719:
	s_and_not1_b32 vcc_lo, exec_lo, s22
	s_cbranch_vccnz .LBB464_727
; %bb.720:
	v_cmp_lt_i16_e32 vcc_lo, 14, v6
	s_mov_b32 s22, -1
	s_cbranch_vccz .LBB464_724
; %bb.721:
	v_cmp_eq_u16_e32 vcc_lo, 15, v6
	s_mov_b32 s0, -1
	s_cbranch_vccz .LBB464_723
; %bb.722:
	v_cvt_f32_f64_e32 v2, v[0:1]
	s_mov_b32 s1, -1
	s_mov_b32 s0, 0
	s_delay_alu instid0(VALU_DEP_1) | instskip(SKIP_1) | instid1(VALU_DEP_2)
	v_bfe_u32 v3, v2, 16, 1
	v_cmp_o_f32_e32 vcc_lo, v2, v2
	v_add3_u32 v3, v2, v3, 0x7fff
	s_delay_alu instid0(VALU_DEP_1) | instskip(NEXT) | instid1(VALU_DEP_1)
	v_lshrrev_b32_e32 v3, 16, v3
	v_cndmask_b32_e32 v2, 0x7fc0, v3, vcc_lo
	global_store_b16 v[4:5], v2, off
.LBB464_723:
	s_mov_b32 s22, 0
.LBB464_724:
	s_delay_alu instid0(SALU_CYCLE_1)
	s_and_b32 vcc_lo, exec_lo, s22
	s_cbranch_vccz .LBB464_727
; %bb.725:
	v_cmp_eq_u16_e32 vcc_lo, 11, v6
	s_mov_b32 s0, -1
	s_cbranch_vccz .LBB464_727
; %bb.726:
	v_cmp_neq_f64_e32 vcc_lo, 0, v[0:1]
	s_mov_b32 s1, -1
	s_mov_b32 s0, 0
	v_cndmask_b32_e64 v2, 0, 1, vcc_lo
	global_store_b8 v[4:5], v2, off
.LBB464_727:
	s_mov_b32 s22, 0
.LBB464_728:
	s_delay_alu instid0(SALU_CYCLE_1)
	s_and_b32 vcc_lo, exec_lo, s22
	s_cbranch_vccz .LBB464_767
; %bb.729:
	v_cmp_gt_i16_e32 vcc_lo, 5, v6
	s_mov_b32 s1, -1
	s_cbranch_vccnz .LBB464_750
; %bb.730:
	v_cmp_gt_i16_e32 vcc_lo, 8, v6
	s_cbranch_vccnz .LBB464_740
; %bb.731:
	v_cmp_gt_i16_e32 vcc_lo, 9, v6
	s_cbranch_vccnz .LBB464_737
; %bb.732:
	v_cmp_lt_i16_e32 vcc_lo, 9, v6
	s_cbranch_vccz .LBB464_734
; %bb.733:
	v_mov_b32_e32 v2, 0
	s_mov_b32 s1, 0
	s_delay_alu instid0(VALU_DEP_1)
	v_mov_b32_e32 v3, v2
	global_store_b128 v[4:5], v[0:3], off
.LBB464_734:
	s_and_not1_b32 vcc_lo, exec_lo, s1
	s_cbranch_vccnz .LBB464_736
; %bb.735:
	v_cvt_f32_f64_e32 v2, v[0:1]
	v_mov_b32_e32 v3, 0
	global_store_b64 v[4:5], v[2:3], off
.LBB464_736:
	s_mov_b32 s1, 0
.LBB464_737:
	s_delay_alu instid0(SALU_CYCLE_1)
	s_and_not1_b32 vcc_lo, exec_lo, s1
	s_cbranch_vccnz .LBB464_739
; %bb.738:
	v_cvt_f32_f64_e32 v2, v[0:1]
	s_delay_alu instid0(VALU_DEP_1) | instskip(NEXT) | instid1(VALU_DEP_1)
	v_cvt_f16_f32_e32 v2, v2
	v_and_b32_e32 v2, 0xffff, v2
	global_store_b32 v[4:5], v2, off
.LBB464_739:
	s_mov_b32 s1, 0
.LBB464_740:
	s_delay_alu instid0(SALU_CYCLE_1)
	s_and_not1_b32 vcc_lo, exec_lo, s1
	s_cbranch_vccnz .LBB464_749
; %bb.741:
	v_cmp_gt_i16_e32 vcc_lo, 6, v6
	s_mov_b32 s1, -1
	s_cbranch_vccnz .LBB464_747
; %bb.742:
	v_cmp_lt_i16_e32 vcc_lo, 6, v6
	s_cbranch_vccz .LBB464_744
; %bb.743:
	s_mov_b32 s1, 0
	global_store_b64 v[4:5], v[0:1], off
.LBB464_744:
	s_and_not1_b32 vcc_lo, exec_lo, s1
	s_cbranch_vccnz .LBB464_746
; %bb.745:
	v_cvt_f32_f64_e32 v2, v[0:1]
	global_store_b32 v[4:5], v2, off
.LBB464_746:
	s_mov_b32 s1, 0
.LBB464_747:
	s_delay_alu instid0(SALU_CYCLE_1)
	s_and_not1_b32 vcc_lo, exec_lo, s1
	s_cbranch_vccnz .LBB464_749
; %bb.748:
	v_cvt_f32_f64_e32 v2, v[0:1]
	s_delay_alu instid0(VALU_DEP_1)
	v_cvt_f16_f32_e32 v2, v2
	global_store_b16 v[4:5], v2, off
.LBB464_749:
	s_mov_b32 s1, 0
.LBB464_750:
	s_delay_alu instid0(SALU_CYCLE_1)
	s_and_not1_b32 vcc_lo, exec_lo, s1
	s_cbranch_vccnz .LBB464_766
; %bb.751:
	v_cmp_gt_i16_e32 vcc_lo, 2, v6
	s_mov_b32 s1, -1
	s_cbranch_vccnz .LBB464_761
; %bb.752:
	v_cmp_gt_i16_e32 vcc_lo, 3, v6
	s_cbranch_vccnz .LBB464_758
; %bb.753:
	v_cmp_lt_i16_e32 vcc_lo, 3, v6
	s_cbranch_vccz .LBB464_755
; %bb.754:
	v_trunc_f64_e32 v[2:3], v[0:1]
	s_mov_b32 s1, 0
	s_delay_alu instid0(VALU_DEP_1) | instskip(NEXT) | instid1(VALU_DEP_1)
	v_ldexp_f64 v[7:8], v[2:3], 0xffffffe0
	v_floor_f64_e32 v[7:8], v[7:8]
	s_delay_alu instid0(VALU_DEP_1) | instskip(SKIP_1) | instid1(VALU_DEP_2)
	v_fma_f64 v[2:3], 0xc1f00000, v[7:8], v[2:3]
	v_cvt_i32_f64_e32 v8, v[7:8]
	v_cvt_u32_f64_e32 v7, v[2:3]
	global_store_b64 v[4:5], v[7:8], off
.LBB464_755:
	s_and_not1_b32 vcc_lo, exec_lo, s1
	s_cbranch_vccnz .LBB464_757
; %bb.756:
	v_cvt_i32_f64_e32 v2, v[0:1]
	global_store_b32 v[4:5], v2, off
.LBB464_757:
	s_mov_b32 s1, 0
.LBB464_758:
	s_delay_alu instid0(SALU_CYCLE_1)
	s_and_not1_b32 vcc_lo, exec_lo, s1
	s_cbranch_vccnz .LBB464_760
; %bb.759:
	v_cvt_i32_f64_e32 v2, v[0:1]
	global_store_b16 v[4:5], v2, off
.LBB464_760:
	s_mov_b32 s1, 0
.LBB464_761:
	s_delay_alu instid0(SALU_CYCLE_1)
	s_and_not1_b32 vcc_lo, exec_lo, s1
	s_cbranch_vccnz .LBB464_766
; %bb.762:
	v_cmp_lt_i16_e32 vcc_lo, 0, v6
	s_mov_b32 s1, -1
	s_cbranch_vccz .LBB464_764
; %bb.763:
	v_cvt_i32_f64_e32 v2, v[0:1]
	s_mov_b32 s1, 0
	global_store_b8 v[4:5], v2, off
.LBB464_764:
	s_and_not1_b32 vcc_lo, exec_lo, s1
	s_cbranch_vccnz .LBB464_766
; %bb.765:
	v_trunc_f64_e32 v[0:1], v[0:1]
	s_delay_alu instid0(VALU_DEP_1) | instskip(NEXT) | instid1(VALU_DEP_1)
	v_ldexp_f64 v[2:3], v[0:1], 0xffffffe0
	v_floor_f64_e32 v[2:3], v[2:3]
	s_delay_alu instid0(VALU_DEP_1) | instskip(NEXT) | instid1(VALU_DEP_1)
	v_fma_f64 v[0:1], 0xc1f00000, v[2:3], v[0:1]
	v_cvt_u32_f64_e32 v0, v[0:1]
	global_store_b8 v[4:5], v0, off
.LBB464_766:
	s_mov_b32 s1, -1
.LBB464_767:
	s_delay_alu instid0(SALU_CYCLE_1)
	s_and_not1_b32 vcc_lo, exec_lo, s1
	s_cbranch_vccnz .LBB464_769
; %bb.768:
	v_add_nc_u32_e32 v12, 0x80, v12
	s_mov_b32 s1, -1
	s_branch .LBB464_771
.LBB464_769:
	s_mov_b32 s1, 0
.LBB464_770:
                                        ; implicit-def: $vgpr12
.LBB464_771:
	s_and_not1_b32 s22, s18, exec_lo
	s_and_b32 s0, s0, exec_lo
	s_and_not1_b32 s23, s17, exec_lo
	s_and_b32 s21, s21, exec_lo
	s_or_b32 s22, s22, s0
	s_or_b32 s21, s23, s21
	s_or_not1_b32 s0, s1, exec_lo
.LBB464_772:
	s_or_b32 exec_lo, exec_lo, s20
	s_mov_b32 s1, 0
	s_mov_b32 s23, 0
	;; [unrolled: 1-line block ×3, first 2 shown]
                                        ; implicit-def: $vgpr0_vgpr1
                                        ; implicit-def: $vgpr2_vgpr3
	s_and_saveexec_b32 s20, s0
	s_cbranch_execz .LBB464_857
; %bb.773:
	v_cmp_gt_i32_e32 vcc_lo, s14, v12
	s_mov_b32 s0, 0
	s_mov_b32 s25, s21
	;; [unrolled: 1-line block ×3, first 2 shown]
                                        ; implicit-def: $vgpr0_vgpr1
                                        ; implicit-def: $vgpr2_vgpr3
	s_and_saveexec_b32 s14, vcc_lo
	s_cbranch_execz .LBB464_856
; %bb.774:
	v_mul_lo_u32 v0, v12, s9
	v_cmp_gt_i16_e32 vcc_lo, 11, v10
	s_delay_alu instid0(VALU_DEP_2) | instskip(SKIP_1) | instid1(VALU_DEP_1)
	v_ashrrev_i32_e32 v1, 31, v0
	v_add_co_u32 v0, s0, s6, v0
	v_add_co_ci_u32_e64 v1, s0, s7, v1, s0
	s_cbranch_vccnz .LBB464_781
; %bb.775:
	v_cmp_lt_i16_e32 vcc_lo, 25, v10
	s_cbranch_vccz .LBB464_782
; %bb.776:
	v_cmp_lt_i16_e32 vcc_lo, 28, v10
	s_cbranch_vccz .LBB464_783
	;; [unrolled: 3-line block ×4, first 2 shown]
; %bb.779:
	v_cmp_eq_u16_e32 vcc_lo, 46, v10
	s_cbranch_vccz .LBB464_790
; %bb.780:
	global_load_b32 v2, v[0:1], off
	s_mov_b32 s0, -1
	s_waitcnt vmcnt(0)
	v_lshlrev_b32_e32 v2, 16, v2
	s_delay_alu instid0(VALU_DEP_1)
	v_cvt_f64_f32_e32 v[2:3], v2
	s_branch .LBB464_792
.LBB464_781:
	s_mov_b32 s1, -1
	s_mov_b32 s0, 0
	s_mov_b32 s23, s21
                                        ; implicit-def: $vgpr2_vgpr3
	s_branch .LBB464_855
.LBB464_782:
	s_mov_b32 s1, -1
	s_mov_b32 s0, 0
	s_mov_b32 s23, s21
                                        ; implicit-def: $vgpr2_vgpr3
	s_branch .LBB464_823
.LBB464_783:
	s_mov_b32 s1, -1
	s_mov_b32 s0, 0
	s_mov_b32 s23, s21
                                        ; implicit-def: $vgpr2_vgpr3
	s_branch .LBB464_802
.LBB464_784:
	s_mov_b32 s1, -1
	s_mov_b32 s0, 0
	s_mov_b32 s23, s21
                                        ; implicit-def: $vgpr2_vgpr3
	s_branch .LBB464_797
.LBB464_785:
	s_or_saveexec_b32 s23, s23
                                        ; implicit-def: $sgpr24
	s_delay_alu instid0(SALU_CYCLE_1)
	s_xor_b32 exec_lo, exec_lo, s23
	s_cbranch_execz .LBB464_680
.LBB464_786:
	v_add_f32_e64 v3, 0x46000000, |v2|
	s_and_not1_b32 s22, s22, exec_lo
	s_mov_b32 s24, 0
	s_delay_alu instid0(VALU_DEP_1) | instskip(NEXT) | instid1(VALU_DEP_1)
	v_and_b32_e32 v3, 0xff, v3
	v_cmp_ne_u32_e32 vcc_lo, 0, v3
	s_and_b32 s25, vcc_lo, exec_lo
	s_delay_alu instid0(SALU_CYCLE_1)
	s_or_b32 s22, s22, s25
	s_or_b32 exec_lo, exec_lo, s23
	v_mov_b32_e32 v7, s24
	s_and_saveexec_b32 s23, s22
	s_cbranch_execnz .LBB464_681
	s_branch .LBB464_682
.LBB464_787:
	s_mov_b32 s1, -1
	s_mov_b32 s0, 0
	s_mov_b32 s23, s21
	s_branch .LBB464_791
.LBB464_788:
	s_or_saveexec_b32 s23, s23
                                        ; implicit-def: $sgpr24
	s_delay_alu instid0(SALU_CYCLE_1)
	s_xor_b32 exec_lo, exec_lo, s23
	s_cbranch_execz .LBB464_693
.LBB464_789:
	v_add_f32_e64 v3, 0x42800000, |v2|
	s_and_not1_b32 s22, s22, exec_lo
	s_mov_b32 s24, 0
	s_delay_alu instid0(VALU_DEP_1) | instskip(NEXT) | instid1(VALU_DEP_1)
	v_and_b32_e32 v3, 0xff, v3
	v_cmp_ne_u32_e32 vcc_lo, 0, v3
	s_and_b32 s25, vcc_lo, exec_lo
	s_delay_alu instid0(SALU_CYCLE_1)
	s_or_b32 s22, s22, s25
	s_or_b32 exec_lo, exec_lo, s23
	v_mov_b32_e32 v7, s24
	s_and_saveexec_b32 s23, s22
	s_cbranch_execnz .LBB464_694
	s_branch .LBB464_695
.LBB464_790:
	s_mov_b32 s23, -1
	s_mov_b32 s0, 0
.LBB464_791:
                                        ; implicit-def: $vgpr2_vgpr3
.LBB464_792:
	s_and_b32 vcc_lo, exec_lo, s1
	s_cbranch_vccz .LBB464_796
; %bb.793:
	v_cmp_eq_u16_e32 vcc_lo, 44, v10
	s_cbranch_vccz .LBB464_795
; %bb.794:
	global_load_u8 v4, v[0:1], off
	s_mov_b32 s23, 0
	s_mov_b32 s0, -1
	s_waitcnt vmcnt(0)
	v_cmp_ne_u32_e32 vcc_lo, 0xff, v4
	v_lshlrev_b32_e32 v2, 23, v4
	s_delay_alu instid0(VALU_DEP_1) | instskip(NEXT) | instid1(VALU_DEP_1)
	v_cvt_f64_f32_e32 v[2:3], v2
	v_cndmask_b32_e32 v3, 0x7ff80000, v3, vcc_lo
	s_delay_alu instid0(VALU_DEP_2) | instskip(SKIP_1) | instid1(VALU_DEP_3)
	v_cndmask_b32_e32 v2, 0x20000000, v2, vcc_lo
	v_cmp_ne_u32_e32 vcc_lo, 0, v4
	v_cndmask_b32_e32 v3, 0x38000000, v3, vcc_lo
	s_delay_alu instid0(VALU_DEP_3)
	v_cndmask_b32_e32 v2, 0, v2, vcc_lo
	s_branch .LBB464_796
.LBB464_795:
	s_mov_b32 s23, -1
                                        ; implicit-def: $vgpr2_vgpr3
.LBB464_796:
	s_mov_b32 s1, 0
.LBB464_797:
	s_delay_alu instid0(SALU_CYCLE_1)
	s_and_b32 vcc_lo, exec_lo, s1
	s_cbranch_vccz .LBB464_801
; %bb.798:
	v_cmp_eq_u16_e32 vcc_lo, 29, v10
	s_cbranch_vccz .LBB464_800
; %bb.799:
	global_load_b64 v[2:3], v[0:1], off
	s_mov_b32 s23, 0
	s_mov_b32 s0, -1
	s_mov_b32 s1, 0
	s_waitcnt vmcnt(0)
	v_cvt_f64_u32_e32 v[3:4], v3
	v_cvt_f64_u32_e32 v[5:6], v2
	s_delay_alu instid0(VALU_DEP_2) | instskip(NEXT) | instid1(VALU_DEP_1)
	v_ldexp_f64 v[3:4], v[3:4], 32
	v_add_f64 v[2:3], v[3:4], v[5:6]
	s_branch .LBB464_802
.LBB464_800:
	s_mov_b32 s23, -1
                                        ; implicit-def: $vgpr2_vgpr3
.LBB464_801:
	s_mov_b32 s1, 0
.LBB464_802:
	s_delay_alu instid0(SALU_CYCLE_1)
	s_and_b32 vcc_lo, exec_lo, s1
	s_cbranch_vccz .LBB464_822
; %bb.803:
	v_cmp_gt_i16_e32 vcc_lo, 27, v10
	s_cbranch_vccnz .LBB464_806
; %bb.804:
	v_cmp_lt_i16_e32 vcc_lo, 27, v10
	s_cbranch_vccz .LBB464_807
; %bb.805:
	global_load_b32 v2, v[0:1], off
	s_mov_b32 s0, 0
	s_waitcnt vmcnt(0)
	v_cvt_f64_u32_e32 v[2:3], v2
	s_branch .LBB464_808
.LBB464_806:
	s_mov_b32 s0, -1
                                        ; implicit-def: $vgpr2_vgpr3
	s_branch .LBB464_811
.LBB464_807:
	s_mov_b32 s0, -1
                                        ; implicit-def: $vgpr2_vgpr3
.LBB464_808:
	s_delay_alu instid0(SALU_CYCLE_1)
	s_and_not1_b32 vcc_lo, exec_lo, s0
	s_cbranch_vccnz .LBB464_810
; %bb.809:
	global_load_u16 v2, v[0:1], off
	s_waitcnt vmcnt(0)
	v_cvt_f64_u32_e32 v[2:3], v2
.LBB464_810:
	s_mov_b32 s0, 0
.LBB464_811:
	s_delay_alu instid0(SALU_CYCLE_1)
	s_and_not1_b32 vcc_lo, exec_lo, s0
	s_cbranch_vccnz .LBB464_821
; %bb.812:
	global_load_u8 v4, v[0:1], off
	s_mov_b32 s25, 0
	s_mov_b32 s26, exec_lo
                                        ; implicit-def: $sgpr0_sgpr1
	s_waitcnt vmcnt(0)
	v_cmpx_lt_i16_e32 0x7f, v4
	s_xor_b32 s26, exec_lo, s26
	s_cbranch_execz .LBB464_816
; %bb.813:
	s_mov_b32 s27, -1
	s_mov_b32 s25, exec_lo
                                        ; implicit-def: $sgpr0_sgpr1
	v_cmpx_eq_u16_e32 0x80, v4
; %bb.814:
	s_mov_b32 s1, 0x7ff80000
	s_brev_b32 s0, 4
	s_xor_b32 s27, exec_lo, -1
; %bb.815:
	s_or_b32 exec_lo, exec_lo, s25
	s_delay_alu instid0(SALU_CYCLE_1)
	s_and_b32 s25, s27, exec_lo
.LBB464_816:
	s_or_saveexec_b32 s26, s26
	v_dual_mov_b32 v3, s1 :: v_dual_mov_b32 v2, s0
	s_xor_b32 exec_lo, exec_lo, s26
; %bb.817:
	v_cmp_ne_u16_e32 vcc_lo, 0, v4
	v_mov_b32_e32 v2, 0
	v_mov_b32_e32 v3, 0
	s_and_not1_b32 s0, s25, exec_lo
	s_and_b32 s1, vcc_lo, exec_lo
	s_delay_alu instid0(SALU_CYCLE_1)
	s_or_b32 s25, s0, s1
; %bb.818:
	s_or_b32 exec_lo, exec_lo, s26
	s_and_saveexec_b32 s0, s25
	s_cbranch_execz .LBB464_820
; %bb.819:
	v_and_b32_e32 v2, 0xffff, v4
	v_lshlrev_b32_e32 v4, 24, v4
	s_delay_alu instid0(VALU_DEP_2) | instskip(NEXT) | instid1(VALU_DEP_2)
	v_and_b32_e32 v3, 7, v2
	v_and_b32_e32 v4, 0x80000000, v4
	s_delay_alu instid0(VALU_DEP_2) | instskip(NEXT) | instid1(VALU_DEP_1)
	v_clz_i32_u32_e32 v5, v3
	v_min_u32_e32 v5, 32, v5
	s_delay_alu instid0(VALU_DEP_1) | instskip(SKIP_1) | instid1(VALU_DEP_2)
	v_subrev_nc_u32_e32 v6, 28, v5
	v_sub_nc_u32_e32 v5, 29, v5
	v_lshlrev_b32_e32 v6, v6, v2
	v_bfe_u32 v2, v2, 3, 4
	s_delay_alu instid0(VALU_DEP_2) | instskip(NEXT) | instid1(VALU_DEP_2)
	v_and_b32_e32 v6, 7, v6
	v_cmp_eq_u32_e32 vcc_lo, 0, v2
	s_delay_alu instid0(VALU_DEP_2) | instskip(NEXT) | instid1(VALU_DEP_1)
	v_dual_cndmask_b32 v2, v2, v5 :: v_dual_cndmask_b32 v3, v3, v6
	v_lshl_add_u32 v2, v2, 23, 0x3b800000
	s_delay_alu instid0(VALU_DEP_2) | instskip(NEXT) | instid1(VALU_DEP_1)
	v_lshlrev_b32_e32 v3, 20, v3
	v_or3_b32 v2, v4, v2, v3
	s_delay_alu instid0(VALU_DEP_1)
	v_cvt_f64_f32_e32 v[2:3], v2
.LBB464_820:
	s_or_b32 exec_lo, exec_lo, s0
.LBB464_821:
	s_mov_b32 s0, -1
.LBB464_822:
	s_mov_b32 s1, 0
.LBB464_823:
	s_delay_alu instid0(SALU_CYCLE_1)
	s_and_b32 vcc_lo, exec_lo, s1
	s_cbranch_vccz .LBB464_854
; %bb.824:
	v_cmp_lt_i16_e32 vcc_lo, 22, v10
	s_cbranch_vccz .LBB464_836
; %bb.825:
	v_cmp_gt_i16_e32 vcc_lo, 24, v10
	s_cbranch_vccnz .LBB464_837
; %bb.826:
	v_cmp_lt_i16_e32 vcc_lo, 24, v10
	s_cbranch_vccz .LBB464_838
; %bb.827:
	global_load_u8 v4, v[0:1], off
	s_mov_b32 s25, exec_lo
                                        ; implicit-def: $sgpr0_sgpr1
	s_waitcnt vmcnt(0)
	v_cmpx_lt_i16_e32 0x7f, v4
	s_xor_b32 s25, exec_lo, s25
	s_cbranch_execz .LBB464_831
; %bb.828:
	s_mov_b32 s26, -1
	s_mov_b32 s24, exec_lo
                                        ; implicit-def: $sgpr0_sgpr1
	v_cmpx_eq_u16_e32 0x80, v4
; %bb.829:
	s_mov_b32 s1, 0x7ff80000
	s_brev_b32 s0, 4
	s_xor_b32 s26, exec_lo, -1
; %bb.830:
	s_or_b32 exec_lo, exec_lo, s24
	s_delay_alu instid0(SALU_CYCLE_1)
	s_and_b32 s24, s26, exec_lo
.LBB464_831:
	s_or_saveexec_b32 s25, s25
	v_dual_mov_b32 v3, s1 :: v_dual_mov_b32 v2, s0
	s_xor_b32 exec_lo, exec_lo, s25
; %bb.832:
	v_cmp_ne_u16_e32 vcc_lo, 0, v4
	v_mov_b32_e32 v2, 0
	v_mov_b32_e32 v3, 0
	s_and_not1_b32 s0, s24, exec_lo
	s_and_b32 s1, vcc_lo, exec_lo
	s_delay_alu instid0(SALU_CYCLE_1)
	s_or_b32 s24, s0, s1
; %bb.833:
	s_or_b32 exec_lo, exec_lo, s25
	s_and_saveexec_b32 s0, s24
	s_cbranch_execz .LBB464_835
; %bb.834:
	v_and_b32_e32 v2, 0xffff, v4
	v_lshlrev_b32_e32 v4, 24, v4
	s_delay_alu instid0(VALU_DEP_2) | instskip(NEXT) | instid1(VALU_DEP_2)
	v_and_b32_e32 v3, 3, v2
	v_and_b32_e32 v4, 0x80000000, v4
	s_delay_alu instid0(VALU_DEP_2) | instskip(NEXT) | instid1(VALU_DEP_1)
	v_clz_i32_u32_e32 v5, v3
	v_min_u32_e32 v5, 32, v5
	s_delay_alu instid0(VALU_DEP_1) | instskip(SKIP_1) | instid1(VALU_DEP_2)
	v_subrev_nc_u32_e32 v6, 29, v5
	v_sub_nc_u32_e32 v5, 30, v5
	v_lshlrev_b32_e32 v6, v6, v2
	v_bfe_u32 v2, v2, 2, 5
	s_delay_alu instid0(VALU_DEP_2) | instskip(NEXT) | instid1(VALU_DEP_2)
	v_and_b32_e32 v6, 3, v6
	v_cmp_eq_u32_e32 vcc_lo, 0, v2
	s_delay_alu instid0(VALU_DEP_2) | instskip(NEXT) | instid1(VALU_DEP_1)
	v_dual_cndmask_b32 v2, v2, v5 :: v_dual_cndmask_b32 v3, v3, v6
	v_lshl_add_u32 v2, v2, 23, 0x37800000
	s_delay_alu instid0(VALU_DEP_2) | instskip(NEXT) | instid1(VALU_DEP_1)
	v_lshlrev_b32_e32 v3, 21, v3
	v_or3_b32 v2, v4, v2, v3
	s_delay_alu instid0(VALU_DEP_1)
	v_cvt_f64_f32_e32 v[2:3], v2
.LBB464_835:
	s_or_b32 exec_lo, exec_lo, s0
	s_mov_b32 s0, 0
	s_branch .LBB464_839
.LBB464_836:
	s_mov_b32 s1, -1
                                        ; implicit-def: $vgpr2_vgpr3
	s_branch .LBB464_845
.LBB464_837:
	s_mov_b32 s0, -1
                                        ; implicit-def: $vgpr2_vgpr3
	s_branch .LBB464_842
.LBB464_838:
	s_mov_b32 s0, -1
                                        ; implicit-def: $vgpr2_vgpr3
.LBB464_839:
	s_delay_alu instid0(SALU_CYCLE_1)
	s_and_b32 vcc_lo, exec_lo, s0
	s_cbranch_vccz .LBB464_841
; %bb.840:
	global_load_u8 v2, v[0:1], off
	s_waitcnt vmcnt(0)
	v_lshlrev_b32_e32 v2, 24, v2
	s_delay_alu instid0(VALU_DEP_1) | instskip(NEXT) | instid1(VALU_DEP_1)
	v_and_b32_e32 v3, 0x7f000000, v2
	v_clz_i32_u32_e32 v4, v3
	v_add_nc_u32_e32 v6, 0x1000000, v3
	v_cmp_ne_u32_e32 vcc_lo, 0, v3
	s_delay_alu instid0(VALU_DEP_3) | instskip(NEXT) | instid1(VALU_DEP_1)
	v_min_u32_e32 v4, 32, v4
	v_sub_nc_u32_e64 v4, v4, 4 clamp
	s_delay_alu instid0(VALU_DEP_1) | instskip(SKIP_1) | instid1(VALU_DEP_2)
	v_lshlrev_b32_e32 v5, v4, v3
	v_lshlrev_b32_e32 v4, 23, v4
	v_lshrrev_b32_e32 v5, 4, v5
	s_delay_alu instid0(VALU_DEP_1) | instskip(SKIP_1) | instid1(VALU_DEP_2)
	v_sub_nc_u32_e32 v4, v5, v4
	v_ashrrev_i32_e32 v5, 8, v6
	v_add_nc_u32_e32 v4, 0x3c000000, v4
	s_delay_alu instid0(VALU_DEP_1) | instskip(NEXT) | instid1(VALU_DEP_1)
	v_and_or_b32 v4, 0x7f800000, v5, v4
	v_cndmask_b32_e32 v3, 0, v4, vcc_lo
	s_delay_alu instid0(VALU_DEP_1) | instskip(NEXT) | instid1(VALU_DEP_1)
	v_and_or_b32 v2, 0x80000000, v2, v3
	v_cvt_f64_f32_e32 v[2:3], v2
.LBB464_841:
	s_mov_b32 s0, 0
.LBB464_842:
	s_delay_alu instid0(SALU_CYCLE_1)
	s_and_not1_b32 vcc_lo, exec_lo, s0
	s_cbranch_vccnz .LBB464_844
; %bb.843:
	global_load_u8 v2, v[0:1], off
	s_waitcnt vmcnt(0)
	v_lshlrev_b32_e32 v3, 25, v2
	v_lshlrev_b16 v2, 8, v2
	s_delay_alu instid0(VALU_DEP_2) | instskip(NEXT) | instid1(VALU_DEP_2)
	v_lshrrev_b32_e32 v4, 4, v3
	v_and_or_b32 v5, 0x7f00, v2, 0.5
	v_bfe_i32 v2, v2, 0, 16
	s_delay_alu instid0(VALU_DEP_3) | instskip(NEXT) | instid1(VALU_DEP_1)
	v_or_b32_e32 v4, 0x70000000, v4
	v_dual_add_f32 v5, -0.5, v5 :: v_dual_mul_f32 v4, 0x7800000, v4
	v_cmp_gt_u32_e32 vcc_lo, 0x8000000, v3
	s_delay_alu instid0(VALU_DEP_2) | instskip(NEXT) | instid1(VALU_DEP_1)
	v_cndmask_b32_e32 v3, v4, v5, vcc_lo
	v_and_or_b32 v2, 0x80000000, v2, v3
	s_delay_alu instid0(VALU_DEP_1)
	v_cvt_f64_f32_e32 v[2:3], v2
.LBB464_844:
	s_mov_b32 s1, 0
	s_mov_b32 s0, -1
.LBB464_845:
	s_and_not1_b32 vcc_lo, exec_lo, s1
	s_mov_b32 s24, 0
	s_cbranch_vccnz .LBB464_854
; %bb.846:
	v_cmp_lt_i16_e32 vcc_lo, 14, v10
	s_cbranch_vccz .LBB464_849
; %bb.847:
	v_cmp_eq_u16_e32 vcc_lo, 15, v10
	s_cbranch_vccz .LBB464_850
; %bb.848:
	global_load_u16 v2, v[0:1], off
	s_mov_b32 s23, 0
	s_mov_b32 s0, -1
	s_waitcnt vmcnt(0)
	v_lshlrev_b32_e32 v2, 16, v2
	s_delay_alu instid0(VALU_DEP_1)
	v_cvt_f64_f32_e32 v[2:3], v2
	s_branch .LBB464_851
.LBB464_849:
	s_mov_b32 s1, -1
                                        ; implicit-def: $vgpr2_vgpr3
	s_branch .LBB464_852
.LBB464_850:
	s_mov_b32 s23, -1
                                        ; implicit-def: $vgpr2_vgpr3
.LBB464_851:
	s_mov_b32 s1, 0
.LBB464_852:
	s_delay_alu instid0(SALU_CYCLE_1)
	s_and_b32 vcc_lo, exec_lo, s1
	s_cbranch_vccz .LBB464_854
; %bb.853:
	v_cmp_ne_u16_e32 vcc_lo, 11, v10
	s_and_not1_b32 s1, s23, exec_lo
	s_mov_b32 s24, -1
                                        ; implicit-def: $vgpr2_vgpr3
	s_and_b32 s23, vcc_lo, exec_lo
	s_delay_alu instid0(SALU_CYCLE_1)
	s_or_b32 s23, s1, s23
.LBB464_854:
	s_mov_b32 s1, 0
.LBB464_855:
	s_and_not1_b32 s25, s21, exec_lo
	s_and_b32 s23, s23, exec_lo
	s_and_b32 s26, s0, exec_lo
	;; [unrolled: 1-line block ×4, first 2 shown]
	s_or_b32 s25, s25, s23
.LBB464_856:
	s_or_b32 exec_lo, exec_lo, s14
	s_delay_alu instid0(SALU_CYCLE_1)
	s_and_not1_b32 s14, s21, exec_lo
	s_and_b32 s21, s25, exec_lo
	s_and_b32 s24, s26, exec_lo
	;; [unrolled: 1-line block ×4, first 2 shown]
	s_or_b32 s21, s14, s21
.LBB464_857:
	s_or_b32 exec_lo, exec_lo, s20
	s_delay_alu instid0(SALU_CYCLE_1)
	s_and_not1_b32 s0, s18, exec_lo
	s_and_b32 s14, s22, exec_lo
	s_and_b32 s20, s23, exec_lo
	s_or_b32 s18, s0, s14
	s_and_not1_b32 s14, s17, exec_lo
	s_and_b32 s17, s21, exec_lo
	s_and_b32 s0, s24, exec_lo
	;; [unrolled: 1-line block ×3, first 2 shown]
	s_or_b32 s17, s14, s17
.LBB464_858:
	s_or_b32 exec_lo, exec_lo, s19
	s_delay_alu instid0(SALU_CYCLE_1)
	s_and_not1_b32 s13, s13, exec_lo
	s_and_b32 s14, s18, exec_lo
	s_and_b32 s0, s0, exec_lo
	s_or_b32 s13, s13, s14
	s_and_not1_b32 s14, s15, exec_lo
	s_and_b32 s15, s17, exec_lo
	s_and_b32 s18, s20, exec_lo
	s_and_b32 s17, s1, exec_lo
	s_or_b32 s15, s14, s15
.LBB464_859:
	s_or_b32 exec_lo, exec_lo, s16
	s_mov_b32 s14, 0
	s_and_saveexec_b32 s1, s15
	s_cbranch_execnz .LBB464_871
; %bb.860:
	s_or_b32 exec_lo, exec_lo, s1
	s_and_saveexec_b32 s1, s17
	s_delay_alu instid0(SALU_CYCLE_1)
	s_xor_b32 s1, exec_lo, s1
	s_cbranch_execz .LBB464_862
.LBB464_861:
	global_load_u8 v2, v[0:1], off
	s_or_b32 s0, s0, exec_lo
	s_waitcnt vmcnt(0)
	v_cmp_ne_u16_e32 vcc_lo, 0, v2
	v_mov_b32_e32 v2, 0
	v_cndmask_b32_e64 v3, 0, 0x3ff00000, vcc_lo
.LBB464_862:
	s_or_b32 exec_lo, exec_lo, s1
	s_and_saveexec_b32 s1, s18
	s_cbranch_execz .LBB464_910
; %bb.863:
	v_cmp_gt_i16_e32 vcc_lo, 5, v10
	s_cbranch_vccnz .LBB464_868
; %bb.864:
	v_cmp_gt_i16_e32 vcc_lo, 8, v10
	s_cbranch_vccnz .LBB464_869
; %bb.865:
	v_cmp_gt_i16_e32 vcc_lo, 9, v10
	s_cbranch_vccnz .LBB464_870
; %bb.866:
	v_cmp_lt_i16_e32 vcc_lo, 9, v10
	s_cbranch_vccz .LBB464_873
; %bb.867:
	global_load_b64 v[2:3], v[0:1], off
	s_mov_b32 s15, 0
	s_branch .LBB464_874
.LBB464_868:
                                        ; implicit-def: $vgpr2_vgpr3
	s_branch .LBB464_891
.LBB464_869:
                                        ; implicit-def: $vgpr2_vgpr3
	s_branch .LBB464_880
.LBB464_870:
	s_mov_b32 s15, -1
                                        ; implicit-def: $vgpr2_vgpr3
	s_branch .LBB464_877
.LBB464_871:
	s_cbranch_execnz .LBB464_919
; %bb.872:
	s_mov_b32 s14, exec_lo
	s_and_not1_b32 s17, s17, exec_lo
                                        ; implicit-def: $vgpr2_vgpr3
	s_or_b32 exec_lo, exec_lo, s1
	s_and_saveexec_b32 s1, s17
	s_delay_alu instid0(SALU_CYCLE_1)
	s_xor_b32 s1, exec_lo, s1
	s_cbranch_execnz .LBB464_861
	s_branch .LBB464_862
.LBB464_873:
	s_mov_b32 s15, -1
                                        ; implicit-def: $vgpr2_vgpr3
.LBB464_874:
	s_delay_alu instid0(SALU_CYCLE_1)
	s_and_not1_b32 vcc_lo, exec_lo, s15
	s_cbranch_vccnz .LBB464_876
; %bb.875:
	global_load_b32 v2, v[0:1], off
	s_waitcnt vmcnt(0)
	v_cvt_f64_f32_e32 v[2:3], v2
.LBB464_876:
	s_mov_b32 s15, 0
.LBB464_877:
	s_delay_alu instid0(SALU_CYCLE_1)
	s_and_not1_b32 vcc_lo, exec_lo, s15
	s_cbranch_vccnz .LBB464_879
; %bb.878:
	global_load_b32 v2, v[0:1], off
	s_waitcnt vmcnt(0)
	v_cvt_f32_f16_e32 v2, v2
	s_delay_alu instid0(VALU_DEP_1)
	v_cvt_f64_f32_e32 v[2:3], v2
.LBB464_879:
	s_cbranch_execnz .LBB464_890
.LBB464_880:
	v_cmp_gt_i16_e32 vcc_lo, 6, v10
	s_cbranch_vccnz .LBB464_883
; %bb.881:
	v_cmp_lt_i16_e32 vcc_lo, 6, v10
	s_cbranch_vccz .LBB464_884
; %bb.882:
	global_load_b64 v[2:3], v[0:1], off
	s_mov_b32 s15, 0
	s_branch .LBB464_885
.LBB464_883:
	s_mov_b32 s15, -1
                                        ; implicit-def: $vgpr2_vgpr3
	s_branch .LBB464_888
.LBB464_884:
	s_mov_b32 s15, -1
                                        ; implicit-def: $vgpr2_vgpr3
.LBB464_885:
	s_delay_alu instid0(SALU_CYCLE_1)
	s_and_not1_b32 vcc_lo, exec_lo, s15
	s_cbranch_vccnz .LBB464_887
; %bb.886:
	global_load_b32 v2, v[0:1], off
	s_waitcnt vmcnt(0)
	v_cvt_f64_f32_e32 v[2:3], v2
.LBB464_887:
	s_mov_b32 s15, 0
.LBB464_888:
	s_delay_alu instid0(SALU_CYCLE_1)
	s_and_not1_b32 vcc_lo, exec_lo, s15
	s_cbranch_vccnz .LBB464_890
; %bb.889:
	global_load_u16 v2, v[0:1], off
	s_waitcnt vmcnt(0)
	v_cvt_f32_f16_e32 v2, v2
	s_delay_alu instid0(VALU_DEP_1)
	v_cvt_f64_f32_e32 v[2:3], v2
.LBB464_890:
	s_cbranch_execnz .LBB464_909
.LBB464_891:
	v_cmp_gt_i16_e32 vcc_lo, 2, v10
	s_cbranch_vccnz .LBB464_895
; %bb.892:
	v_cmp_gt_i16_e32 vcc_lo, 3, v10
	s_cbranch_vccnz .LBB464_896
; %bb.893:
	v_cmp_lt_i16_e32 vcc_lo, 3, v10
	s_cbranch_vccz .LBB464_897
; %bb.894:
	global_load_b64 v[2:3], v[0:1], off
	s_mov_b32 s15, 0
	s_waitcnt vmcnt(0)
	v_cvt_f64_i32_e32 v[3:4], v3
	v_cvt_f64_u32_e32 v[5:6], v2
	s_delay_alu instid0(VALU_DEP_2) | instskip(NEXT) | instid1(VALU_DEP_1)
	v_ldexp_f64 v[3:4], v[3:4], 32
	v_add_f64 v[2:3], v[3:4], v[5:6]
	s_branch .LBB464_898
.LBB464_895:
                                        ; implicit-def: $vgpr2_vgpr3
	s_branch .LBB464_904
.LBB464_896:
	s_mov_b32 s15, -1
                                        ; implicit-def: $vgpr2_vgpr3
	s_branch .LBB464_901
.LBB464_897:
	s_mov_b32 s15, -1
                                        ; implicit-def: $vgpr2_vgpr3
.LBB464_898:
	s_delay_alu instid0(SALU_CYCLE_1)
	s_and_not1_b32 vcc_lo, exec_lo, s15
	s_cbranch_vccnz .LBB464_900
; %bb.899:
	global_load_b32 v2, v[0:1], off
	s_waitcnt vmcnt(0)
	v_cvt_f64_i32_e32 v[2:3], v2
.LBB464_900:
	s_mov_b32 s15, 0
.LBB464_901:
	s_delay_alu instid0(SALU_CYCLE_1)
	s_and_not1_b32 vcc_lo, exec_lo, s15
	s_cbranch_vccnz .LBB464_903
; %bb.902:
	global_load_i16 v2, v[0:1], off
	s_waitcnt vmcnt(0)
	v_cvt_f64_i32_e32 v[2:3], v2
.LBB464_903:
	s_cbranch_execnz .LBB464_909
.LBB464_904:
	v_cmp_lt_i16_e32 vcc_lo, 0, v10
	s_mov_b32 s15, 0
	s_cbranch_vccz .LBB464_906
; %bb.905:
	global_load_i8 v2, v[0:1], off
	s_waitcnt vmcnt(0)
	v_cvt_f64_i32_e32 v[2:3], v2
	s_branch .LBB464_907
.LBB464_906:
	s_mov_b32 s15, -1
                                        ; implicit-def: $vgpr2_vgpr3
.LBB464_907:
	s_delay_alu instid0(SALU_CYCLE_1)
	s_and_not1_b32 vcc_lo, exec_lo, s15
	s_cbranch_vccnz .LBB464_909
; %bb.908:
	global_load_u8 v0, v[0:1], off
	s_waitcnt vmcnt(0)
	v_cvt_f64_u32_e32 v[2:3], v0
.LBB464_909:
	s_or_b32 s0, s0, exec_lo
.LBB464_910:
	s_or_b32 exec_lo, exec_lo, s1
	s_mov_b32 s16, 0
	s_mov_b32 s1, 0
                                        ; implicit-def: $vgpr6
                                        ; implicit-def: $vgpr4_vgpr5
                                        ; implicit-def: $vgpr0_vgpr1
	s_and_saveexec_b32 s15, s0
	s_cbranch_execz .LBB464_990
; %bb.911:
	v_max_f64 v[0:1], s[10:11], s[10:11]
	s_waitcnt vmcnt(0)
	s_delay_alu instid0(VALU_DEP_2) | instskip(SKIP_2) | instid1(VALU_DEP_1)
	v_max_f64 v[4:5], v[2:3], v[2:3]
	v_cmp_u_f64_e32 vcc_lo, v[2:3], v[2:3]
	v_and_b32_e64 v6, 0xff, s2
	v_cmp_gt_i16_e64 s0, 11, v6
	s_delay_alu instid0(VALU_DEP_4) | instskip(SKIP_1) | instid1(VALU_DEP_1)
	v_min_f64 v[0:1], v[4:5], v[0:1]
	v_mul_lo_u32 v4, v12, s8
	v_ashrrev_i32_e32 v5, 31, v4
	v_add_co_u32 v4, s1, s4, v4
	s_delay_alu instid0(VALU_DEP_1)
	v_add_co_ci_u32_e64 v5, s1, s5, v5, s1
	v_dual_cndmask_b32 v1, v1, v3 :: v_dual_cndmask_b32 v0, v0, v2
	s_and_b32 vcc_lo, exec_lo, s0
	s_cbranch_vccnz .LBB464_918
; %bb.912:
	v_cmp_lt_i16_e32 vcc_lo, 25, v6
	s_mov_b32 s1, -1
	s_mov_b32 s0, s13
	s_cbranch_vccz .LBB464_948
; %bb.913:
	v_cmp_lt_i16_e32 vcc_lo, 28, v6
	s_mov_b32 s0, s13
	s_cbranch_vccz .LBB464_932
; %bb.914:
	v_cmp_lt_i16_e32 vcc_lo, 43, v6
	;; [unrolled: 4-line block ×3, first 2 shown]
	s_mov_b32 s0, s13
	s_cbranch_vccz .LBB464_922
; %bb.916:
	v_cmp_eq_u16_e32 vcc_lo, 46, v6
	s_mov_b32 s0, -1
	s_cbranch_vccz .LBB464_921
; %bb.917:
	v_cvt_f32_f64_e32 v2, v[0:1]
	s_mov_b32 s0, 0
	s_mov_b32 s1, 0
	s_delay_alu instid0(VALU_DEP_1) | instskip(SKIP_1) | instid1(VALU_DEP_2)
	v_bfe_u32 v3, v2, 16, 1
	v_cmp_o_f32_e32 vcc_lo, v2, v2
	v_add3_u32 v3, v2, v3, 0x7fff
	s_delay_alu instid0(VALU_DEP_1) | instskip(NEXT) | instid1(VALU_DEP_1)
	v_lshrrev_b32_e32 v3, 16, v3
	v_cndmask_b32_e32 v2, 0x7fc0, v3, vcc_lo
	global_store_b32 v[4:5], v2, off
	s_branch .LBB464_922
.LBB464_918:
	s_mov_b32 s1, -1
	s_mov_b32 s0, s13
	s_branch .LBB464_989
.LBB464_919:
	s_trap 2
	s_sendmsg_rtn_b32 s0, sendmsg(MSG_RTN_GET_DOORBELL)
	s_mov_b32 ttmp2, m0
	s_waitcnt lgkmcnt(0)
	s_and_b32 s0, s0, 0x3ff
	s_delay_alu instid0(SALU_CYCLE_1) | instskip(NEXT) | instid1(SALU_CYCLE_1)
	s_bitset1_b32 s0, 10
	s_mov_b32 m0, s0
	s_sendmsg sendmsg(MSG_INTERRUPT)
	s_mov_b32 m0, ttmp2
.LBB464_920:                            ; =>This Inner Loop Header: Depth=1
	s_sethalt 5
	s_branch .LBB464_920
.LBB464_921:
	s_mov_b32 s1, 0
.LBB464_922:
	s_delay_alu instid0(SALU_CYCLE_1)
	s_and_b32 vcc_lo, exec_lo, s1
	s_cbranch_vccz .LBB464_927
; %bb.923:
	v_cmp_eq_u16_e32 vcc_lo, 44, v6
	s_mov_b32 s0, -1
	s_cbranch_vccz .LBB464_927
; %bb.924:
	v_cvt_f32_f64_e32 v2, v[0:1]
	v_mov_b32_e32 v3, 0xff
	s_mov_b32 s1, exec_lo
	s_delay_alu instid0(VALU_DEP_2) | instskip(NEXT) | instid1(VALU_DEP_1)
	v_bfe_u32 v7, v2, 23, 8
	v_cmpx_ne_u32_e32 0xff, v7
; %bb.925:
	v_and_b32_e32 v3, 0x400000, v2
	v_and_or_b32 v7, 0x3fffff, v2, v7
	v_lshrrev_b32_e32 v2, 23, v2
	s_delay_alu instid0(VALU_DEP_3) | instskip(NEXT) | instid1(VALU_DEP_3)
	v_cmp_ne_u32_e32 vcc_lo, 0, v3
	v_cmp_ne_u32_e64 s0, 0, v7
	s_delay_alu instid0(VALU_DEP_1) | instskip(NEXT) | instid1(SALU_CYCLE_1)
	s_and_b32 s0, vcc_lo, s0
	v_cndmask_b32_e64 v3, 0, 1, s0
	s_delay_alu instid0(VALU_DEP_1)
	v_add_nc_u32_e32 v3, v2, v3
; %bb.926:
	s_or_b32 exec_lo, exec_lo, s1
	s_mov_b32 s0, 0
	global_store_b8 v[4:5], v3, off
.LBB464_927:
	s_mov_b32 s1, 0
.LBB464_928:
	s_delay_alu instid0(SALU_CYCLE_1)
	s_and_b32 vcc_lo, exec_lo, s1
	s_cbranch_vccz .LBB464_931
; %bb.929:
	v_cmp_eq_u16_e32 vcc_lo, 29, v6
	s_mov_b32 s0, -1
	s_cbranch_vccz .LBB464_931
; %bb.930:
	v_trunc_f64_e32 v[2:3], v[0:1]
	s_mov_b32 s0, 0
	s_mov_b32 s1, 0
	s_delay_alu instid0(VALU_DEP_1) | instskip(NEXT) | instid1(VALU_DEP_1)
	v_ldexp_f64 v[7:8], v[2:3], 0xffffffe0
	v_floor_f64_e32 v[7:8], v[7:8]
	s_delay_alu instid0(VALU_DEP_1) | instskip(SKIP_1) | instid1(VALU_DEP_2)
	v_fma_f64 v[2:3], 0xc1f00000, v[7:8], v[2:3]
	v_cvt_u32_f64_e32 v8, v[7:8]
	v_cvt_u32_f64_e32 v7, v[2:3]
	global_store_b64 v[4:5], v[7:8], off
	s_branch .LBB464_932
.LBB464_931:
	s_mov_b32 s1, 0
.LBB464_932:
	s_delay_alu instid0(SALU_CYCLE_1)
	s_and_b32 vcc_lo, exec_lo, s1
	s_cbranch_vccz .LBB464_947
; %bb.933:
	v_cmp_gt_i16_e32 vcc_lo, 27, v6
	s_mov_b32 s1, -1
	s_cbranch_vccnz .LBB464_939
; %bb.934:
	v_cvt_u32_f64_e32 v2, v[0:1]
	v_cmp_lt_i16_e32 vcc_lo, 27, v6
	s_cbranch_vccz .LBB464_936
; %bb.935:
	s_mov_b32 s1, 0
	global_store_b32 v[4:5], v2, off
.LBB464_936:
	s_and_not1_b32 vcc_lo, exec_lo, s1
	s_cbranch_vccnz .LBB464_938
; %bb.937:
	global_store_b16 v[4:5], v2, off
.LBB464_938:
	s_mov_b32 s1, 0
.LBB464_939:
	s_delay_alu instid0(SALU_CYCLE_1)
	s_and_not1_b32 vcc_lo, exec_lo, s1
	s_cbranch_vccnz .LBB464_947
; %bb.940:
	v_cvt_f32_f64_e32 v2, v[0:1]
	v_mov_b32_e32 v7, 0x80
	s_mov_b32 s1, exec_lo
	s_delay_alu instid0(VALU_DEP_2) | instskip(NEXT) | instid1(VALU_DEP_1)
	v_and_b32_e32 v3, 0x7fffffff, v2
	v_cmpx_gt_u32_e32 0x43800000, v3
	s_cbranch_execz .LBB464_946
; %bb.941:
	v_cmp_lt_u32_e32 vcc_lo, 0x3bffffff, v3
                                        ; implicit-def: $vgpr3
	s_and_saveexec_b32 s17, vcc_lo
	s_delay_alu instid0(SALU_CYCLE_1)
	s_xor_b32 s17, exec_lo, s17
	s_cbranch_execz .LBB464_1181
; %bb.942:
	v_bfe_u32 v3, v2, 20, 1
	s_mov_b32 s16, exec_lo
	s_delay_alu instid0(VALU_DEP_1) | instskip(NEXT) | instid1(VALU_DEP_1)
	v_add3_u32 v3, v2, v3, 0x487ffff
	v_lshrrev_b32_e32 v3, 20, v3
	s_or_saveexec_b32 s17, s17
                                        ; implicit-def: $sgpr18
	s_delay_alu instid0(SALU_CYCLE_1)
	s_xor_b32 exec_lo, exec_lo, s17
	s_cbranch_execnz .LBB464_1182
.LBB464_943:
	s_or_b32 exec_lo, exec_lo, s17
	v_mov_b32_e32 v7, s18
	s_and_saveexec_b32 s17, s16
.LBB464_944:
	v_lshrrev_b32_e32 v2, 24, v2
	s_delay_alu instid0(VALU_DEP_1)
	v_and_or_b32 v7, 0x80, v2, v3
.LBB464_945:
	s_or_b32 exec_lo, exec_lo, s17
.LBB464_946:
	s_delay_alu instid0(SALU_CYCLE_1)
	s_or_b32 exec_lo, exec_lo, s1
	global_store_b8 v[4:5], v7, off
.LBB464_947:
	s_mov_b32 s1, 0
.LBB464_948:
	s_delay_alu instid0(SALU_CYCLE_1)
	s_and_b32 vcc_lo, exec_lo, s1
	s_mov_b32 s1, 0
	s_cbranch_vccz .LBB464_988
; %bb.949:
	v_cmp_lt_i16_e32 vcc_lo, 22, v6
	s_mov_b32 s16, -1
	s_cbranch_vccz .LBB464_981
; %bb.950:
	v_cmp_gt_i16_e32 vcc_lo, 24, v6
	s_cbranch_vccnz .LBB464_970
; %bb.951:
	v_cmp_lt_i16_e32 vcc_lo, 24, v6
	s_cbranch_vccz .LBB464_959
; %bb.952:
	v_cvt_f32_f64_e32 v2, v[0:1]
	v_mov_b32_e32 v7, 0x80
	s_mov_b32 s16, exec_lo
	s_delay_alu instid0(VALU_DEP_2) | instskip(NEXT) | instid1(VALU_DEP_1)
	v_and_b32_e32 v3, 0x7fffffff, v2
	v_cmpx_gt_u32_e32 0x47800000, v3
	s_cbranch_execz .LBB464_958
; %bb.953:
	v_cmp_lt_u32_e32 vcc_lo, 0x37ffffff, v3
	s_mov_b32 s17, 0
                                        ; implicit-def: $vgpr3
	s_and_saveexec_b32 s18, vcc_lo
	s_delay_alu instid0(SALU_CYCLE_1)
	s_xor_b32 s18, exec_lo, s18
	s_cbranch_execz .LBB464_1225
; %bb.954:
	v_bfe_u32 v3, v2, 21, 1
	s_mov_b32 s17, exec_lo
	s_delay_alu instid0(VALU_DEP_1) | instskip(NEXT) | instid1(VALU_DEP_1)
	v_add3_u32 v3, v2, v3, 0x88fffff
	v_lshrrev_b32_e32 v3, 21, v3
	s_or_saveexec_b32 s18, s18
                                        ; implicit-def: $sgpr19
	s_delay_alu instid0(SALU_CYCLE_1)
	s_xor_b32 exec_lo, exec_lo, s18
	s_cbranch_execnz .LBB464_1226
.LBB464_955:
	s_or_b32 exec_lo, exec_lo, s18
	v_mov_b32_e32 v7, s19
	s_and_saveexec_b32 s18, s17
.LBB464_956:
	v_lshrrev_b32_e32 v2, 24, v2
	s_delay_alu instid0(VALU_DEP_1)
	v_and_or_b32 v7, 0x80, v2, v3
.LBB464_957:
	s_or_b32 exec_lo, exec_lo, s18
.LBB464_958:
	s_delay_alu instid0(SALU_CYCLE_1)
	s_or_b32 exec_lo, exec_lo, s16
	s_mov_b32 s16, 0
	global_store_b8 v[4:5], v7, off
.LBB464_959:
	s_and_b32 vcc_lo, exec_lo, s16
	s_cbranch_vccz .LBB464_969
; %bb.960:
	v_cvt_f32_f64_e32 v2, v[0:1]
	s_mov_b32 s16, exec_lo
                                        ; implicit-def: $vgpr3
	s_delay_alu instid0(VALU_DEP_1) | instskip(NEXT) | instid1(VALU_DEP_1)
	v_and_b32_e32 v7, 0x7fffffff, v2
	v_cmpx_gt_u32_e32 0x43f00000, v7
	s_xor_b32 s16, exec_lo, s16
	s_cbranch_execz .LBB464_966
; %bb.961:
	s_mov_b32 s17, exec_lo
                                        ; implicit-def: $vgpr3
	v_cmpx_lt_u32_e32 0x3c7fffff, v7
	s_xor_b32 s17, exec_lo, s17
; %bb.962:
	v_bfe_u32 v3, v2, 20, 1
	s_delay_alu instid0(VALU_DEP_1) | instskip(NEXT) | instid1(VALU_DEP_1)
	v_add3_u32 v3, v2, v3, 0x407ffff
	v_and_b32_e32 v7, 0xff00000, v3
	v_lshrrev_b32_e32 v3, 20, v3
	s_delay_alu instid0(VALU_DEP_2) | instskip(NEXT) | instid1(VALU_DEP_2)
	v_cmp_ne_u32_e32 vcc_lo, 0x7f00000, v7
	v_cndmask_b32_e32 v3, 0x7e, v3, vcc_lo
; %bb.963:
	s_and_not1_saveexec_b32 s17, s17
; %bb.964:
	v_add_f32_e64 v3, 0x46800000, |v2|
; %bb.965:
	s_or_b32 exec_lo, exec_lo, s17
                                        ; implicit-def: $vgpr7
.LBB464_966:
	s_and_not1_saveexec_b32 s16, s16
; %bb.967:
	v_mov_b32_e32 v3, 0x7f
	v_cmp_lt_u32_e32 vcc_lo, 0x7f800000, v7
	s_delay_alu instid0(VALU_DEP_2)
	v_cndmask_b32_e32 v3, 0x7e, v3, vcc_lo
; %bb.968:
	s_or_b32 exec_lo, exec_lo, s16
	v_lshrrev_b32_e32 v2, 24, v2
	s_delay_alu instid0(VALU_DEP_1)
	v_and_or_b32 v2, 0x80, v2, v3
	global_store_b8 v[4:5], v2, off
.LBB464_969:
	s_mov_b32 s16, 0
.LBB464_970:
	s_delay_alu instid0(SALU_CYCLE_1)
	s_and_not1_b32 vcc_lo, exec_lo, s16
	s_cbranch_vccnz .LBB464_980
; %bb.971:
	v_cvt_f32_f64_e32 v2, v[0:1]
	s_mov_b32 s16, exec_lo
                                        ; implicit-def: $vgpr3
	s_delay_alu instid0(VALU_DEP_1) | instskip(NEXT) | instid1(VALU_DEP_1)
	v_and_b32_e32 v7, 0x7fffffff, v2
	v_cmpx_gt_u32_e32 0x47800000, v7
	s_xor_b32 s16, exec_lo, s16
	s_cbranch_execz .LBB464_977
; %bb.972:
	s_mov_b32 s17, exec_lo
                                        ; implicit-def: $vgpr3
	v_cmpx_lt_u32_e32 0x387fffff, v7
	s_xor_b32 s17, exec_lo, s17
; %bb.973:
	v_bfe_u32 v3, v2, 21, 1
	s_delay_alu instid0(VALU_DEP_1) | instskip(NEXT) | instid1(VALU_DEP_1)
	v_add3_u32 v3, v2, v3, 0x80fffff
	v_lshrrev_b32_e32 v3, 21, v3
; %bb.974:
	s_and_not1_saveexec_b32 s17, s17
; %bb.975:
	v_add_f32_e64 v3, 0x43000000, |v2|
; %bb.976:
	s_or_b32 exec_lo, exec_lo, s17
                                        ; implicit-def: $vgpr7
.LBB464_977:
	s_and_not1_saveexec_b32 s16, s16
; %bb.978:
	v_mov_b32_e32 v3, 0x7f
	v_cmp_lt_u32_e32 vcc_lo, 0x7f800000, v7
	s_delay_alu instid0(VALU_DEP_2)
	v_cndmask_b32_e32 v3, 0x7c, v3, vcc_lo
; %bb.979:
	s_or_b32 exec_lo, exec_lo, s16
	v_lshrrev_b32_e32 v2, 24, v2
	s_delay_alu instid0(VALU_DEP_1)
	v_and_or_b32 v2, 0x80, v2, v3
	global_store_b8 v[4:5], v2, off
.LBB464_980:
	s_mov_b32 s16, 0
.LBB464_981:
	s_delay_alu instid0(SALU_CYCLE_1)
	s_and_not1_b32 vcc_lo, exec_lo, s16
	s_mov_b32 s16, 0
	s_cbranch_vccnz .LBB464_989
; %bb.982:
	v_cmp_lt_i16_e32 vcc_lo, 14, v6
	s_mov_b32 s16, -1
	s_cbranch_vccz .LBB464_986
; %bb.983:
	v_cmp_eq_u16_e32 vcc_lo, 15, v6
	s_mov_b32 s0, -1
	s_cbranch_vccz .LBB464_985
; %bb.984:
	v_cvt_f32_f64_e32 v2, v[0:1]
	s_mov_b32 s0, 0
	s_delay_alu instid0(VALU_DEP_1) | instskip(SKIP_1) | instid1(VALU_DEP_2)
	v_bfe_u32 v3, v2, 16, 1
	v_cmp_o_f32_e32 vcc_lo, v2, v2
	v_add3_u32 v3, v2, v3, 0x7fff
	s_delay_alu instid0(VALU_DEP_1) | instskip(NEXT) | instid1(VALU_DEP_1)
	v_lshrrev_b32_e32 v3, 16, v3
	v_cndmask_b32_e32 v2, 0x7fc0, v3, vcc_lo
	global_store_b16 v[4:5], v2, off
.LBB464_985:
	s_mov_b32 s16, 0
.LBB464_986:
	s_delay_alu instid0(SALU_CYCLE_1)
	s_and_b32 vcc_lo, exec_lo, s16
	s_mov_b32 s16, 0
	s_cbranch_vccz .LBB464_989
; %bb.987:
	v_cmp_ne_u16_e32 vcc_lo, 11, v6
	s_and_not1_b32 s0, s0, exec_lo
	s_mov_b32 s16, -1
	s_and_b32 s17, vcc_lo, exec_lo
	s_delay_alu instid0(SALU_CYCLE_1)
	s_or_b32 s0, s0, s17
	s_branch .LBB464_989
.LBB464_988:
	s_mov_b32 s16, 0
.LBB464_989:
	s_and_not1_b32 s13, s13, exec_lo
	s_and_b32 s0, s0, exec_lo
	s_and_b32 s1, s1, exec_lo
	;; [unrolled: 1-line block ×3, first 2 shown]
	s_or_b32 s13, s13, s0
.LBB464_990:
	s_or_b32 exec_lo, exec_lo, s15
	s_and_saveexec_b32 s0, s13
	s_cbranch_execnz .LBB464_1052
; %bb.991:
	s_or_b32 exec_lo, exec_lo, s0
	s_and_saveexec_b32 s0, s16
	s_delay_alu instid0(SALU_CYCLE_1)
	s_xor_b32 s0, exec_lo, s0
	s_cbranch_execz .LBB464_993
.LBB464_992:
	v_cmp_neq_f64_e32 vcc_lo, 0, v[0:1]
	s_waitcnt vmcnt(0)
	v_cndmask_b32_e64 v2, 0, 1, vcc_lo
	global_store_b8 v[4:5], v2, off
.LBB464_993:
	s_or_b32 exec_lo, exec_lo, s0
	s_and_saveexec_b32 s0, s1
	s_delay_alu instid0(SALU_CYCLE_1)
	s_xor_b32 s0, exec_lo, s0
	s_cbranch_execz .LBB464_1031
; %bb.994:
	v_cmp_gt_i16_e32 vcc_lo, 5, v6
	s_mov_b32 s1, -1
	s_cbranch_vccnz .LBB464_1015
; %bb.995:
	v_cmp_gt_i16_e32 vcc_lo, 8, v6
	s_cbranch_vccnz .LBB464_1005
; %bb.996:
	v_cmp_gt_i16_e32 vcc_lo, 9, v6
	s_cbranch_vccnz .LBB464_1002
; %bb.997:
	v_cmp_lt_i16_e32 vcc_lo, 9, v6
	s_cbranch_vccz .LBB464_999
; %bb.998:
	s_waitcnt vmcnt(0)
	v_mov_b32_e32 v2, 0
	s_mov_b32 s1, 0
	s_delay_alu instid0(VALU_DEP_1)
	v_mov_b32_e32 v3, v2
	global_store_b128 v[4:5], v[0:3], off
.LBB464_999:
	s_and_not1_b32 vcc_lo, exec_lo, s1
	s_cbranch_vccnz .LBB464_1001
; %bb.1000:
	s_waitcnt vmcnt(0)
	v_cvt_f32_f64_e32 v2, v[0:1]
	v_mov_b32_e32 v3, 0
	global_store_b64 v[4:5], v[2:3], off
.LBB464_1001:
	s_mov_b32 s1, 0
.LBB464_1002:
	s_delay_alu instid0(SALU_CYCLE_1)
	s_and_not1_b32 vcc_lo, exec_lo, s1
	s_cbranch_vccnz .LBB464_1004
; %bb.1003:
	s_waitcnt vmcnt(0)
	v_cvt_f32_f64_e32 v2, v[0:1]
	s_delay_alu instid0(VALU_DEP_1) | instskip(NEXT) | instid1(VALU_DEP_1)
	v_cvt_f16_f32_e32 v2, v2
	v_and_b32_e32 v2, 0xffff, v2
	global_store_b32 v[4:5], v2, off
.LBB464_1004:
	s_mov_b32 s1, 0
.LBB464_1005:
	s_delay_alu instid0(SALU_CYCLE_1)
	s_and_not1_b32 vcc_lo, exec_lo, s1
	s_cbranch_vccnz .LBB464_1014
; %bb.1006:
	v_cmp_gt_i16_e32 vcc_lo, 6, v6
	s_mov_b32 s1, -1
	s_cbranch_vccnz .LBB464_1012
; %bb.1007:
	v_cmp_lt_i16_e32 vcc_lo, 6, v6
	s_cbranch_vccz .LBB464_1009
; %bb.1008:
	s_mov_b32 s1, 0
	global_store_b64 v[4:5], v[0:1], off
.LBB464_1009:
	s_and_not1_b32 vcc_lo, exec_lo, s1
	s_cbranch_vccnz .LBB464_1011
; %bb.1010:
	s_waitcnt vmcnt(0)
	v_cvt_f32_f64_e32 v2, v[0:1]
	global_store_b32 v[4:5], v2, off
.LBB464_1011:
	s_mov_b32 s1, 0
.LBB464_1012:
	s_delay_alu instid0(SALU_CYCLE_1)
	s_and_not1_b32 vcc_lo, exec_lo, s1
	s_cbranch_vccnz .LBB464_1014
; %bb.1013:
	s_waitcnt vmcnt(0)
	v_cvt_f32_f64_e32 v2, v[0:1]
	s_delay_alu instid0(VALU_DEP_1)
	v_cvt_f16_f32_e32 v2, v2
	global_store_b16 v[4:5], v2, off
.LBB464_1014:
	s_mov_b32 s1, 0
.LBB464_1015:
	s_delay_alu instid0(SALU_CYCLE_1)
	s_and_not1_b32 vcc_lo, exec_lo, s1
	s_cbranch_vccnz .LBB464_1031
; %bb.1016:
	v_cmp_gt_i16_e32 vcc_lo, 2, v6
	s_mov_b32 s1, -1
	s_cbranch_vccnz .LBB464_1026
; %bb.1017:
	v_cmp_gt_i16_e32 vcc_lo, 3, v6
	s_cbranch_vccnz .LBB464_1023
; %bb.1018:
	v_cmp_lt_i16_e32 vcc_lo, 3, v6
	s_cbranch_vccz .LBB464_1020
; %bb.1019:
	s_waitcnt vmcnt(0)
	v_trunc_f64_e32 v[2:3], v[0:1]
	s_mov_b32 s1, 0
	s_delay_alu instid0(VALU_DEP_1) | instskip(NEXT) | instid1(VALU_DEP_1)
	v_ldexp_f64 v[7:8], v[2:3], 0xffffffe0
	v_floor_f64_e32 v[7:8], v[7:8]
	s_delay_alu instid0(VALU_DEP_1) | instskip(SKIP_1) | instid1(VALU_DEP_2)
	v_fma_f64 v[2:3], 0xc1f00000, v[7:8], v[2:3]
	v_cvt_i32_f64_e32 v8, v[7:8]
	v_cvt_u32_f64_e32 v7, v[2:3]
	global_store_b64 v[4:5], v[7:8], off
.LBB464_1020:
	s_and_not1_b32 vcc_lo, exec_lo, s1
	s_cbranch_vccnz .LBB464_1022
; %bb.1021:
	s_waitcnt vmcnt(0)
	v_cvt_i32_f64_e32 v2, v[0:1]
	global_store_b32 v[4:5], v2, off
.LBB464_1022:
	s_mov_b32 s1, 0
.LBB464_1023:
	s_delay_alu instid0(SALU_CYCLE_1)
	s_and_not1_b32 vcc_lo, exec_lo, s1
	s_cbranch_vccnz .LBB464_1025
; %bb.1024:
	s_waitcnt vmcnt(0)
	v_cvt_i32_f64_e32 v2, v[0:1]
	global_store_b16 v[4:5], v2, off
.LBB464_1025:
	s_mov_b32 s1, 0
.LBB464_1026:
	s_delay_alu instid0(SALU_CYCLE_1)
	s_and_not1_b32 vcc_lo, exec_lo, s1
	s_cbranch_vccnz .LBB464_1031
; %bb.1027:
	v_cmp_lt_i16_e32 vcc_lo, 0, v6
	s_mov_b32 s1, -1
	s_cbranch_vccz .LBB464_1029
; %bb.1028:
	s_waitcnt vmcnt(0)
	v_cvt_i32_f64_e32 v2, v[0:1]
	s_mov_b32 s1, 0
	global_store_b8 v[4:5], v2, off
.LBB464_1029:
	s_and_not1_b32 vcc_lo, exec_lo, s1
	s_cbranch_vccnz .LBB464_1031
; %bb.1030:
	v_trunc_f64_e32 v[0:1], v[0:1]
	s_waitcnt vmcnt(0)
	s_delay_alu instid0(VALU_DEP_1) | instskip(NEXT) | instid1(VALU_DEP_1)
	v_ldexp_f64 v[2:3], v[0:1], 0xffffffe0
	v_floor_f64_e32 v[2:3], v[2:3]
	s_delay_alu instid0(VALU_DEP_1) | instskip(NEXT) | instid1(VALU_DEP_1)
	v_fma_f64 v[0:1], 0xc1f00000, v[2:3], v[0:1]
	v_cvt_u32_f64_e32 v0, v[0:1]
	global_store_b8 v[4:5], v0, off
.LBB464_1031:
	s_or_b32 exec_lo, exec_lo, s0
	s_delay_alu instid0(SALU_CYCLE_1)
	s_and_b32 s13, s14, exec_lo
                                        ; implicit-def: $vgpr12
                                        ; implicit-def: $vgpr10
.LBB464_1032:
	s_or_saveexec_b32 s12, s12
	s_mov_b32 s0, 0
                                        ; implicit-def: $vgpr14
                                        ; implicit-def: $vgpr4_vgpr5
                                        ; implicit-def: $vgpr0_vgpr1
	s_xor_b32 exec_lo, exec_lo, s12
	s_cbranch_execz .LBB464_1997
; %bb.1033:
	v_mul_lo_u32 v4, s9, v12
	v_cmp_gt_i16_e32 vcc_lo, 11, v10
	s_and_b32 vcc_lo, exec_lo, vcc_lo
	s_delay_alu instid0(VALU_DEP_2) | instskip(SKIP_2) | instid1(VALU_DEP_1)
	v_ashrrev_i32_e32 v0, 31, v4
	s_waitcnt vmcnt(0)
	v_add_co_u32 v2, s0, s6, v4
	v_add_co_ci_u32_e64 v3, s0, s7, v0, s0
	s_cbranch_vccnz .LBB464_1040
; %bb.1034:
	v_cmp_lt_i16_e32 vcc_lo, 25, v10
	s_mov_b32 s14, 0
	s_cbranch_vccz .LBB464_1046
; %bb.1035:
	v_cmp_lt_i16_e32 vcc_lo, 28, v10
	s_cbranch_vccz .LBB464_1048
; %bb.1036:
	v_cmp_lt_i16_e32 vcc_lo, 43, v10
	s_cbranch_vccz .LBB464_1050
; %bb.1037:
	v_cmp_lt_i16_e32 vcc_lo, 45, v10
	s_cbranch_vccz .LBB464_1054
; %bb.1038:
	v_cmp_eq_u16_e32 vcc_lo, 46, v10
	s_mov_b32 s1, 0
	s_cbranch_vccz .LBB464_1094
; %bb.1039:
	global_load_b32 v0, v[2:3], off
	s_mov_b32 s0, -1
	s_waitcnt vmcnt(0)
	v_lshlrev_b32_e32 v0, 16, v0
	s_delay_alu instid0(VALU_DEP_1)
	v_cvt_f64_f32_e32 v[0:1], v0
	s_branch .LBB464_1096
.LBB464_1040:
	s_mov_b32 s0, 0
	s_mov_b32 s3, s13
                                        ; implicit-def: $vgpr0_vgpr1
	s_cbranch_execz .LBB464_1159
; %bb.1041:
	v_cmp_gt_i16_e32 vcc_lo, 5, v10
	s_cbranch_vccnz .LBB464_1047
; %bb.1042:
	v_cmp_gt_i16_e32 vcc_lo, 8, v10
	s_cbranch_vccnz .LBB464_1049
	;; [unrolled: 3-line block ×3, first 2 shown]
; %bb.1044:
	v_cmp_lt_i16_e32 vcc_lo, 9, v10
	s_cbranch_vccz .LBB464_1055
; %bb.1045:
	global_load_b64 v[0:1], v[2:3], off
	s_mov_b32 s0, 0
	s_branch .LBB464_1056
.LBB464_1046:
	s_mov_b32 s0, 0
                                        ; implicit-def: $vgpr0_vgpr1
	s_cbranch_execnz .LBB464_1126
	s_branch .LBB464_1155
.LBB464_1047:
                                        ; implicit-def: $vgpr0_vgpr1
	s_branch .LBB464_1073
.LBB464_1048:
	s_mov_b32 s1, -1
	s_mov_b32 s0, 0
                                        ; implicit-def: $vgpr0_vgpr1
	s_branch .LBB464_1105
.LBB464_1049:
                                        ; implicit-def: $vgpr0_vgpr1
	s_branch .LBB464_1062
.LBB464_1050:
	s_mov_b32 s0, 0
                                        ; implicit-def: $vgpr0_vgpr1
	s_cbranch_execnz .LBB464_1101
	s_branch .LBB464_1104
.LBB464_1051:
	s_mov_b32 s0, -1
                                        ; implicit-def: $vgpr0_vgpr1
	s_branch .LBB464_1059
.LBB464_1052:
	s_cbranch_execnz .LBB464_1092
; %bb.1053:
	s_or_b32 s14, s14, exec_lo
	s_and_not1_b32 s16, s16, exec_lo
	s_or_b32 exec_lo, exec_lo, s0
	s_and_saveexec_b32 s0, s16
	s_delay_alu instid0(SALU_CYCLE_1)
	s_xor_b32 s0, exec_lo, s0
	s_cbranch_execnz .LBB464_992
	s_branch .LBB464_993
.LBB464_1054:
	s_mov_b32 s1, -1
	s_branch .LBB464_1095
.LBB464_1055:
	s_mov_b32 s0, -1
                                        ; implicit-def: $vgpr0_vgpr1
.LBB464_1056:
	s_delay_alu instid0(SALU_CYCLE_1)
	s_and_not1_b32 vcc_lo, exec_lo, s0
	s_cbranch_vccnz .LBB464_1058
; %bb.1057:
	global_load_b32 v0, v[2:3], off
	s_waitcnt vmcnt(0)
	v_cvt_f64_f32_e32 v[0:1], v0
.LBB464_1058:
	s_mov_b32 s0, 0
.LBB464_1059:
	s_delay_alu instid0(SALU_CYCLE_1)
	s_and_not1_b32 vcc_lo, exec_lo, s0
	s_cbranch_vccnz .LBB464_1061
; %bb.1060:
	global_load_b32 v0, v[2:3], off
	s_waitcnt vmcnt(0)
	v_cvt_f32_f16_e32 v0, v0
	s_delay_alu instid0(VALU_DEP_1)
	v_cvt_f64_f32_e32 v[0:1], v0
.LBB464_1061:
	s_cbranch_execnz .LBB464_1072
.LBB464_1062:
	v_cmp_gt_i16_e32 vcc_lo, 6, v10
	s_cbranch_vccnz .LBB464_1065
; %bb.1063:
	v_cmp_lt_i16_e32 vcc_lo, 6, v10
	s_cbranch_vccz .LBB464_1066
; %bb.1064:
	global_load_b64 v[0:1], v[2:3], off
	s_mov_b32 s0, 0
	s_branch .LBB464_1067
.LBB464_1065:
	s_mov_b32 s0, -1
                                        ; implicit-def: $vgpr0_vgpr1
	s_branch .LBB464_1070
.LBB464_1066:
	s_mov_b32 s0, -1
                                        ; implicit-def: $vgpr0_vgpr1
.LBB464_1067:
	s_delay_alu instid0(SALU_CYCLE_1)
	s_and_not1_b32 vcc_lo, exec_lo, s0
	s_cbranch_vccnz .LBB464_1069
; %bb.1068:
	global_load_b32 v0, v[2:3], off
	s_waitcnt vmcnt(0)
	v_cvt_f64_f32_e32 v[0:1], v0
.LBB464_1069:
	s_mov_b32 s0, 0
.LBB464_1070:
	s_delay_alu instid0(SALU_CYCLE_1)
	s_and_not1_b32 vcc_lo, exec_lo, s0
	s_cbranch_vccnz .LBB464_1072
; %bb.1071:
	global_load_u16 v0, v[2:3], off
	s_waitcnt vmcnt(0)
	v_cvt_f32_f16_e32 v0, v0
	s_delay_alu instid0(VALU_DEP_1)
	v_cvt_f64_f32_e32 v[0:1], v0
.LBB464_1072:
	s_cbranch_execnz .LBB464_1091
.LBB464_1073:
	v_cmp_gt_i16_e32 vcc_lo, 2, v10
	s_cbranch_vccnz .LBB464_1077
; %bb.1074:
	v_cmp_gt_i16_e32 vcc_lo, 3, v10
	s_cbranch_vccnz .LBB464_1078
; %bb.1075:
	v_cmp_lt_i16_e32 vcc_lo, 3, v10
	s_cbranch_vccz .LBB464_1079
; %bb.1076:
	global_load_b64 v[0:1], v[2:3], off
	s_mov_b32 s0, 0
	s_waitcnt vmcnt(0)
	v_cvt_f64_i32_e32 v[5:6], v1
	v_cvt_f64_u32_e32 v[0:1], v0
	s_delay_alu instid0(VALU_DEP_2) | instskip(NEXT) | instid1(VALU_DEP_1)
	v_ldexp_f64 v[5:6], v[5:6], 32
	v_add_f64 v[0:1], v[5:6], v[0:1]
	s_branch .LBB464_1080
.LBB464_1077:
                                        ; implicit-def: $vgpr0_vgpr1
	s_branch .LBB464_1086
.LBB464_1078:
	s_mov_b32 s0, -1
                                        ; implicit-def: $vgpr0_vgpr1
	s_branch .LBB464_1083
.LBB464_1079:
	s_mov_b32 s0, -1
                                        ; implicit-def: $vgpr0_vgpr1
.LBB464_1080:
	s_delay_alu instid0(SALU_CYCLE_1)
	s_and_not1_b32 vcc_lo, exec_lo, s0
	s_cbranch_vccnz .LBB464_1082
; %bb.1081:
	global_load_b32 v0, v[2:3], off
	s_waitcnt vmcnt(0)
	v_cvt_f64_i32_e32 v[0:1], v0
.LBB464_1082:
	s_mov_b32 s0, 0
.LBB464_1083:
	s_delay_alu instid0(SALU_CYCLE_1)
	s_and_not1_b32 vcc_lo, exec_lo, s0
	s_cbranch_vccnz .LBB464_1085
; %bb.1084:
	global_load_i16 v0, v[2:3], off
	s_waitcnt vmcnt(0)
	v_cvt_f64_i32_e32 v[0:1], v0
.LBB464_1085:
	s_cbranch_execnz .LBB464_1091
.LBB464_1086:
	v_cmp_lt_i16_e32 vcc_lo, 0, v10
	s_mov_b32 s0, 0
	s_cbranch_vccz .LBB464_1088
; %bb.1087:
	global_load_i8 v0, v[2:3], off
	s_waitcnt vmcnt(0)
	v_cvt_f64_i32_e32 v[0:1], v0
	s_branch .LBB464_1089
.LBB464_1088:
	s_mov_b32 s0, -1
                                        ; implicit-def: $vgpr0_vgpr1
.LBB464_1089:
	s_delay_alu instid0(SALU_CYCLE_1)
	s_and_not1_b32 vcc_lo, exec_lo, s0
	s_cbranch_vccnz .LBB464_1091
; %bb.1090:
	global_load_u8 v0, v[2:3], off
	s_waitcnt vmcnt(0)
	v_cvt_f64_u32_e32 v[0:1], v0
.LBB464_1091:
                                        ; implicit-def: $vgpr2_vgpr3
	s_branch .LBB464_1160
.LBB464_1092:
	s_trap 2
	s_sendmsg_rtn_b32 s0, sendmsg(MSG_RTN_GET_DOORBELL)
	s_mov_b32 ttmp2, m0
	s_waitcnt lgkmcnt(0)
	s_and_b32 s0, s0, 0x3ff
	s_delay_alu instid0(SALU_CYCLE_1) | instskip(NEXT) | instid1(SALU_CYCLE_1)
	s_bitset1_b32 s0, 10
	s_mov_b32 m0, s0
	s_sendmsg sendmsg(MSG_INTERRUPT)
	s_mov_b32 m0, ttmp2
.LBB464_1093:                           ; =>This Inner Loop Header: Depth=1
	s_sethalt 5
	s_branch .LBB464_1093
.LBB464_1094:
	s_mov_b32 s3, -1
.LBB464_1095:
	s_mov_b32 s0, 0
                                        ; implicit-def: $vgpr0_vgpr1
.LBB464_1096:
	s_and_b32 vcc_lo, exec_lo, s1
	s_cbranch_vccz .LBB464_1099
; %bb.1097:
	v_cmp_eq_u16_e32 vcc_lo, 44, v10
	s_cbranch_vccz .LBB464_1100
; %bb.1098:
	global_load_u8 v5, v[2:3], off
	s_mov_b32 s3, 0
	s_mov_b32 s0, -1
	s_waitcnt vmcnt(0)
	v_lshlrev_b32_e32 v0, 23, v5
	v_cmp_ne_u32_e32 vcc_lo, 0xff, v5
	s_delay_alu instid0(VALU_DEP_2) | instskip(NEXT) | instid1(VALU_DEP_1)
	v_cvt_f64_f32_e32 v[0:1], v0
	v_cndmask_b32_e32 v0, 0x20000000, v0, vcc_lo
	s_delay_alu instid0(VALU_DEP_2) | instskip(SKIP_1) | instid1(VALU_DEP_2)
	v_cndmask_b32_e32 v1, 0x7ff80000, v1, vcc_lo
	v_cmp_ne_u32_e32 vcc_lo, 0, v5
	v_cndmask_b32_e32 v1, 0x38000000, v1, vcc_lo
	s_delay_alu instid0(VALU_DEP_4)
	v_cndmask_b32_e32 v0, 0, v0, vcc_lo
.LBB464_1099:
	s_branch .LBB464_1104
.LBB464_1100:
	s_mov_b32 s3, -1
                                        ; implicit-def: $vgpr0_vgpr1
	s_branch .LBB464_1104
.LBB464_1101:
	v_cmp_eq_u16_e32 vcc_lo, 29, v10
	s_cbranch_vccz .LBB464_1103
; %bb.1102:
	global_load_b64 v[0:1], v[2:3], off
	s_mov_b32 s3, 0
	s_mov_b32 s0, -1
	s_mov_b32 s1, 0
	s_waitcnt vmcnt(0)
	v_cvt_f64_u32_e32 v[5:6], v1
	v_cvt_f64_u32_e32 v[0:1], v0
	s_delay_alu instid0(VALU_DEP_2) | instskip(NEXT) | instid1(VALU_DEP_1)
	v_ldexp_f64 v[5:6], v[5:6], 32
	v_add_f64 v[0:1], v[5:6], v[0:1]
	s_branch .LBB464_1105
.LBB464_1103:
	s_mov_b32 s3, -1
                                        ; implicit-def: $vgpr0_vgpr1
.LBB464_1104:
	s_mov_b32 s1, 0
.LBB464_1105:
	s_delay_alu instid0(SALU_CYCLE_1)
	s_and_b32 vcc_lo, exec_lo, s1
	s_cbranch_vccz .LBB464_1125
; %bb.1106:
	v_cmp_gt_i16_e32 vcc_lo, 27, v10
	s_cbranch_vccnz .LBB464_1109
; %bb.1107:
	v_cmp_lt_i16_e32 vcc_lo, 27, v10
	s_cbranch_vccz .LBB464_1110
; %bb.1108:
	global_load_b32 v0, v[2:3], off
	s_mov_b32 s0, 0
	s_waitcnt vmcnt(0)
	v_cvt_f64_u32_e32 v[0:1], v0
	s_branch .LBB464_1111
.LBB464_1109:
	s_mov_b32 s0, -1
                                        ; implicit-def: $vgpr0_vgpr1
	s_branch .LBB464_1114
.LBB464_1110:
	s_mov_b32 s0, -1
                                        ; implicit-def: $vgpr0_vgpr1
.LBB464_1111:
	s_delay_alu instid0(SALU_CYCLE_1)
	s_and_not1_b32 vcc_lo, exec_lo, s0
	s_cbranch_vccnz .LBB464_1113
; %bb.1112:
	global_load_u16 v0, v[2:3], off
	s_waitcnt vmcnt(0)
	v_cvt_f64_u32_e32 v[0:1], v0
.LBB464_1113:
	s_mov_b32 s0, 0
.LBB464_1114:
	s_delay_alu instid0(SALU_CYCLE_1)
	s_and_not1_b32 vcc_lo, exec_lo, s0
	s_cbranch_vccnz .LBB464_1124
; %bb.1115:
	global_load_u8 v5, v[2:3], off
	s_mov_b32 s15, 0
	s_mov_b32 s16, exec_lo
                                        ; implicit-def: $sgpr0_sgpr1
	s_waitcnt vmcnt(0)
	v_cmpx_lt_i16_e32 0x7f, v5
	s_xor_b32 s16, exec_lo, s16
	s_cbranch_execz .LBB464_1119
; %bb.1116:
	s_mov_b32 s17, -1
	s_mov_b32 s15, exec_lo
                                        ; implicit-def: $sgpr0_sgpr1
	v_cmpx_eq_u16_e32 0x80, v5
; %bb.1117:
	s_mov_b32 s1, 0x7ff80000
	s_brev_b32 s0, 4
	s_xor_b32 s17, exec_lo, -1
; %bb.1118:
	s_or_b32 exec_lo, exec_lo, s15
	s_delay_alu instid0(SALU_CYCLE_1)
	s_and_b32 s15, s17, exec_lo
.LBB464_1119:
	s_or_saveexec_b32 s16, s16
	v_dual_mov_b32 v0, s0 :: v_dual_mov_b32 v1, s1
	s_xor_b32 exec_lo, exec_lo, s16
; %bb.1120:
	v_cmp_ne_u16_e32 vcc_lo, 0, v5
	v_mov_b32_e32 v0, 0
	v_mov_b32_e32 v1, 0
	s_and_not1_b32 s0, s15, exec_lo
	s_and_b32 s1, vcc_lo, exec_lo
	s_delay_alu instid0(SALU_CYCLE_1)
	s_or_b32 s15, s0, s1
; %bb.1121:
	s_or_b32 exec_lo, exec_lo, s16
	s_and_saveexec_b32 s0, s15
	s_cbranch_execz .LBB464_1123
; %bb.1122:
	v_and_b32_e32 v0, 0xffff, v5
	v_lshlrev_b32_e32 v5, 24, v5
	s_delay_alu instid0(VALU_DEP_2) | instskip(NEXT) | instid1(VALU_DEP_2)
	v_and_b32_e32 v1, 7, v0
	v_and_b32_e32 v5, 0x80000000, v5
	s_delay_alu instid0(VALU_DEP_2) | instskip(NEXT) | instid1(VALU_DEP_1)
	v_clz_i32_u32_e32 v6, v1
	v_min_u32_e32 v6, 32, v6
	s_delay_alu instid0(VALU_DEP_1) | instskip(SKIP_1) | instid1(VALU_DEP_2)
	v_subrev_nc_u32_e32 v7, 28, v6
	v_sub_nc_u32_e32 v6, 29, v6
	v_lshlrev_b32_e32 v7, v7, v0
	v_bfe_u32 v0, v0, 3, 4
	s_delay_alu instid0(VALU_DEP_2) | instskip(NEXT) | instid1(VALU_DEP_2)
	v_and_b32_e32 v7, 7, v7
	v_cmp_eq_u32_e32 vcc_lo, 0, v0
	s_delay_alu instid0(VALU_DEP_2) | instskip(NEXT) | instid1(VALU_DEP_1)
	v_dual_cndmask_b32 v0, v0, v6 :: v_dual_cndmask_b32 v1, v1, v7
	v_lshl_add_u32 v0, v0, 23, 0x3b800000
	s_delay_alu instid0(VALU_DEP_2) | instskip(NEXT) | instid1(VALU_DEP_1)
	v_lshlrev_b32_e32 v1, 20, v1
	v_or3_b32 v0, v5, v0, v1
	s_delay_alu instid0(VALU_DEP_1)
	v_cvt_f64_f32_e32 v[0:1], v0
.LBB464_1123:
	s_or_b32 exec_lo, exec_lo, s0
.LBB464_1124:
	s_mov_b32 s0, -1
.LBB464_1125:
	s_branch .LBB464_1155
.LBB464_1126:
	v_cmp_lt_i16_e32 vcc_lo, 22, v10
	s_cbranch_vccz .LBB464_1138
; %bb.1127:
	v_cmp_gt_i16_e32 vcc_lo, 24, v10
	s_cbranch_vccnz .LBB464_1139
; %bb.1128:
	v_cmp_lt_i16_e32 vcc_lo, 24, v10
	s_cbranch_vccz .LBB464_1140
; %bb.1129:
	global_load_u8 v5, v[2:3], off
	s_mov_b32 s15, exec_lo
                                        ; implicit-def: $sgpr0_sgpr1
	s_waitcnt vmcnt(0)
	v_cmpx_lt_i16_e32 0x7f, v5
	s_xor_b32 s15, exec_lo, s15
	s_cbranch_execz .LBB464_1133
; %bb.1130:
	s_mov_b32 s16, -1
	s_mov_b32 s14, exec_lo
                                        ; implicit-def: $sgpr0_sgpr1
	v_cmpx_eq_u16_e32 0x80, v5
; %bb.1131:
	s_mov_b32 s1, 0x7ff80000
	s_brev_b32 s0, 4
	s_xor_b32 s16, exec_lo, -1
; %bb.1132:
	s_or_b32 exec_lo, exec_lo, s14
	s_delay_alu instid0(SALU_CYCLE_1)
	s_and_b32 s14, s16, exec_lo
.LBB464_1133:
	s_or_saveexec_b32 s15, s15
	v_dual_mov_b32 v0, s0 :: v_dual_mov_b32 v1, s1
	s_xor_b32 exec_lo, exec_lo, s15
; %bb.1134:
	v_cmp_ne_u16_e32 vcc_lo, 0, v5
	v_mov_b32_e32 v0, 0
	v_mov_b32_e32 v1, 0
	s_and_not1_b32 s0, s14, exec_lo
	s_and_b32 s1, vcc_lo, exec_lo
	s_delay_alu instid0(SALU_CYCLE_1)
	s_or_b32 s14, s0, s1
; %bb.1135:
	s_or_b32 exec_lo, exec_lo, s15
	s_and_saveexec_b32 s0, s14
	s_cbranch_execz .LBB464_1137
; %bb.1136:
	v_and_b32_e32 v0, 0xffff, v5
	v_lshlrev_b32_e32 v5, 24, v5
	s_delay_alu instid0(VALU_DEP_2) | instskip(NEXT) | instid1(VALU_DEP_2)
	v_and_b32_e32 v1, 3, v0
	v_and_b32_e32 v5, 0x80000000, v5
	s_delay_alu instid0(VALU_DEP_2) | instskip(NEXT) | instid1(VALU_DEP_1)
	v_clz_i32_u32_e32 v6, v1
	v_min_u32_e32 v6, 32, v6
	s_delay_alu instid0(VALU_DEP_1) | instskip(SKIP_1) | instid1(VALU_DEP_2)
	v_subrev_nc_u32_e32 v7, 29, v6
	v_sub_nc_u32_e32 v6, 30, v6
	v_lshlrev_b32_e32 v7, v7, v0
	v_bfe_u32 v0, v0, 2, 5
	s_delay_alu instid0(VALU_DEP_2) | instskip(NEXT) | instid1(VALU_DEP_2)
	v_and_b32_e32 v7, 3, v7
	v_cmp_eq_u32_e32 vcc_lo, 0, v0
	s_delay_alu instid0(VALU_DEP_2) | instskip(NEXT) | instid1(VALU_DEP_1)
	v_dual_cndmask_b32 v0, v0, v6 :: v_dual_cndmask_b32 v1, v1, v7
	v_lshl_add_u32 v0, v0, 23, 0x37800000
	s_delay_alu instid0(VALU_DEP_2) | instskip(NEXT) | instid1(VALU_DEP_1)
	v_lshlrev_b32_e32 v1, 21, v1
	v_or3_b32 v0, v5, v0, v1
	s_delay_alu instid0(VALU_DEP_1)
	v_cvt_f64_f32_e32 v[0:1], v0
.LBB464_1137:
	s_or_b32 exec_lo, exec_lo, s0
	s_mov_b32 s0, 0
	s_branch .LBB464_1141
.LBB464_1138:
                                        ; implicit-def: $vgpr0_vgpr1
	s_mov_b32 s14, 0
	s_branch .LBB464_1147
.LBB464_1139:
	s_mov_b32 s0, -1
                                        ; implicit-def: $vgpr0_vgpr1
	s_branch .LBB464_1144
.LBB464_1140:
	s_mov_b32 s0, -1
                                        ; implicit-def: $vgpr0_vgpr1
.LBB464_1141:
	s_delay_alu instid0(SALU_CYCLE_1)
	s_and_b32 vcc_lo, exec_lo, s0
	s_cbranch_vccz .LBB464_1143
; %bb.1142:
	global_load_u8 v0, v[2:3], off
	s_waitcnt vmcnt(0)
	v_lshlrev_b32_e32 v0, 24, v0
	s_delay_alu instid0(VALU_DEP_1) | instskip(NEXT) | instid1(VALU_DEP_1)
	v_and_b32_e32 v1, 0x7f000000, v0
	v_clz_i32_u32_e32 v5, v1
	v_add_nc_u32_e32 v7, 0x1000000, v1
	v_cmp_ne_u32_e32 vcc_lo, 0, v1
	s_delay_alu instid0(VALU_DEP_3) | instskip(NEXT) | instid1(VALU_DEP_1)
	v_min_u32_e32 v5, 32, v5
	v_sub_nc_u32_e64 v5, v5, 4 clamp
	s_delay_alu instid0(VALU_DEP_1) | instskip(SKIP_1) | instid1(VALU_DEP_2)
	v_lshlrev_b32_e32 v6, v5, v1
	v_lshlrev_b32_e32 v5, 23, v5
	v_lshrrev_b32_e32 v6, 4, v6
	s_delay_alu instid0(VALU_DEP_1) | instskip(SKIP_1) | instid1(VALU_DEP_2)
	v_sub_nc_u32_e32 v5, v6, v5
	v_ashrrev_i32_e32 v6, 8, v7
	v_add_nc_u32_e32 v5, 0x3c000000, v5
	s_delay_alu instid0(VALU_DEP_1) | instskip(NEXT) | instid1(VALU_DEP_1)
	v_and_or_b32 v5, 0x7f800000, v6, v5
	v_cndmask_b32_e32 v1, 0, v5, vcc_lo
	s_delay_alu instid0(VALU_DEP_1) | instskip(NEXT) | instid1(VALU_DEP_1)
	v_and_or_b32 v0, 0x80000000, v0, v1
	v_cvt_f64_f32_e32 v[0:1], v0
.LBB464_1143:
	s_mov_b32 s0, 0
.LBB464_1144:
	s_delay_alu instid0(SALU_CYCLE_1)
	s_and_not1_b32 vcc_lo, exec_lo, s0
	s_cbranch_vccnz .LBB464_1146
; %bb.1145:
	global_load_u8 v0, v[2:3], off
	s_waitcnt vmcnt(0)
	v_lshlrev_b32_e32 v1, 25, v0
	v_lshlrev_b16 v0, 8, v0
	s_delay_alu instid0(VALU_DEP_1) | instskip(SKIP_1) | instid1(VALU_DEP_2)
	v_and_or_b32 v6, 0x7f00, v0, 0.5
	v_bfe_i32 v0, v0, 0, 16
	v_add_f32_e32 v6, -0.5, v6
	v_lshrrev_b32_e32 v5, 4, v1
	v_cmp_gt_u32_e32 vcc_lo, 0x8000000, v1
	s_delay_alu instid0(VALU_DEP_2) | instskip(NEXT) | instid1(VALU_DEP_1)
	v_or_b32_e32 v5, 0x70000000, v5
	v_mul_f32_e32 v5, 0x7800000, v5
	s_delay_alu instid0(VALU_DEP_1) | instskip(NEXT) | instid1(VALU_DEP_1)
	v_cndmask_b32_e32 v1, v5, v6, vcc_lo
	v_and_or_b32 v0, 0x80000000, v0, v1
	s_delay_alu instid0(VALU_DEP_1)
	v_cvt_f64_f32_e32 v[0:1], v0
.LBB464_1146:
	s_mov_b32 s0, -1
	s_mov_b32 s14, 0
	s_cbranch_execnz .LBB464_1155
.LBB464_1147:
	v_cmp_lt_i16_e32 vcc_lo, 14, v10
	s_cbranch_vccz .LBB464_1150
; %bb.1148:
	v_cmp_eq_u16_e32 vcc_lo, 15, v10
	s_cbranch_vccz .LBB464_1151
; %bb.1149:
	global_load_u16 v0, v[2:3], off
	s_mov_b32 s3, 0
	s_mov_b32 s0, -1
	s_waitcnt vmcnt(0)
	v_lshlrev_b32_e32 v0, 16, v0
	s_delay_alu instid0(VALU_DEP_1)
	v_cvt_f64_f32_e32 v[0:1], v0
	s_branch .LBB464_1152
.LBB464_1150:
	s_mov_b32 s1, -1
                                        ; implicit-def: $vgpr0_vgpr1
	s_branch .LBB464_1153
.LBB464_1151:
	s_mov_b32 s3, -1
                                        ; implicit-def: $vgpr0_vgpr1
.LBB464_1152:
	s_mov_b32 s1, 0
.LBB464_1153:
	s_delay_alu instid0(SALU_CYCLE_1)
	s_and_b32 vcc_lo, exec_lo, s1
	s_cbranch_vccz .LBB464_1155
; %bb.1154:
	v_cmp_ne_u16_e64 s3, 11, v10
	s_mov_b32 s14, -1
                                        ; implicit-def: $vgpr0_vgpr1
.LBB464_1155:
	s_delay_alu instid0(VALU_DEP_1)
	s_and_b32 vcc_lo, exec_lo, s3
	s_mov_b32 s3, s13
	s_cbranch_vccnz .LBB464_1179
; %bb.1156:
	s_and_not1_b32 vcc_lo, exec_lo, s14
	s_cbranch_vccnz .LBB464_1158
.LBB464_1157:
	global_load_u8 v0, v[2:3], off
	s_mov_b32 s0, -1
	s_waitcnt vmcnt(0)
	v_cmp_ne_u16_e32 vcc_lo, 0, v0
	v_mov_b32_e32 v0, 0
	v_cndmask_b32_e64 v1, 0, 0x3ff00000, vcc_lo
.LBB464_1158:
.LBB464_1159:
	s_and_not1_b32 vcc_lo, exec_lo, s0
                                        ; implicit-def: $vgpr2_vgpr3
	s_cbranch_vccnz .LBB464_1995
.LBB464_1160:
	s_lshl_b32 s9, s9, 7
	v_cmp_gt_i16_e32 vcc_lo, 11, v10
	v_add_nc_u32_e32 v6, s9, v4
	s_delay_alu instid0(VALU_DEP_1) | instskip(SKIP_1) | instid1(VALU_DEP_1)
	v_ashrrev_i32_e32 v3, 31, v6
	v_add_co_u32 v2, s0, s6, v6
	v_add_co_ci_u32_e64 v3, s0, s7, v3, s0
	s_cbranch_vccnz .LBB464_1167
; %bb.1161:
	v_cmp_lt_i16_e32 vcc_lo, 25, v10
	s_mov_b32 s15, 0
	s_cbranch_vccz .LBB464_1173
; %bb.1162:
	v_cmp_lt_i16_e32 vcc_lo, 28, v10
	s_cbranch_vccz .LBB464_1175
; %bb.1163:
	v_cmp_lt_i16_e32 vcc_lo, 43, v10
	;; [unrolled: 3-line block ×3, first 2 shown]
	s_cbranch_vccz .LBB464_1183
; %bb.1165:
	v_cmp_eq_u16_e32 vcc_lo, 46, v10
	s_mov_b32 s1, 0
	s_cbranch_vccz .LBB464_1227
; %bb.1166:
	global_load_b32 v4, v[2:3], off
	s_mov_b32 s14, 0
	s_mov_b32 s0, -1
	s_waitcnt vmcnt(0)
	v_lshlrev_b32_e32 v4, 16, v4
	s_delay_alu instid0(VALU_DEP_1)
	v_cvt_f64_f32_e32 v[4:5], v4
	s_branch .LBB464_1229
.LBB464_1167:
	s_mov_b32 s0, 0
                                        ; implicit-def: $vgpr4_vgpr5
	s_cbranch_execz .LBB464_1294
; %bb.1168:
	v_cmp_gt_i16_e32 vcc_lo, 5, v10
	s_cbranch_vccnz .LBB464_1174
; %bb.1169:
	v_cmp_gt_i16_e32 vcc_lo, 8, v10
	s_cbranch_vccnz .LBB464_1176
	;; [unrolled: 3-line block ×3, first 2 shown]
; %bb.1171:
	v_cmp_lt_i16_e32 vcc_lo, 9, v10
	s_cbranch_vccz .LBB464_1184
; %bb.1172:
	global_load_b64 v[4:5], v[2:3], off
	s_mov_b32 s0, 0
	s_branch .LBB464_1185
.LBB464_1173:
	s_mov_b32 s0, 0
	s_mov_b32 s14, 0
                                        ; implicit-def: $vgpr4_vgpr5
	s_cbranch_execnz .LBB464_1260
	s_branch .LBB464_1290
.LBB464_1174:
                                        ; implicit-def: $vgpr4_vgpr5
	s_branch .LBB464_1203
.LBB464_1175:
	s_mov_b32 s1, -1
	s_mov_b32 s0, 0
	s_mov_b32 s14, 0
                                        ; implicit-def: $vgpr4_vgpr5
	s_branch .LBB464_1239
.LBB464_1176:
	s_mov_b32 s0, -1
                                        ; implicit-def: $vgpr4_vgpr5
	s_branch .LBB464_1191
.LBB464_1177:
	s_mov_b32 s1, -1
	s_mov_b32 s0, 0
	s_mov_b32 s14, 0
                                        ; implicit-def: $vgpr4_vgpr5
	s_branch .LBB464_1234
.LBB464_1178:
	s_mov_b32 s0, -1
                                        ; implicit-def: $vgpr4_vgpr5
	s_branch .LBB464_1188
.LBB464_1179:
	s_cbranch_execnz .LBB464_1223
; %bb.1180:
	s_or_b32 s3, s13, exec_lo
                                        ; implicit-def: $vgpr0_vgpr1
	s_cbranch_execz .LBB464_1157
	s_branch .LBB464_1158
.LBB464_1181:
	s_or_saveexec_b32 s17, s17
                                        ; implicit-def: $sgpr18
	s_delay_alu instid0(SALU_CYCLE_1)
	s_xor_b32 exec_lo, exec_lo, s17
	s_cbranch_execz .LBB464_943
.LBB464_1182:
	v_add_f32_e64 v3, 0x46000000, |v2|
	s_and_not1_b32 s16, s16, exec_lo
	s_mov_b32 s18, 0
	s_delay_alu instid0(VALU_DEP_1) | instskip(NEXT) | instid1(VALU_DEP_1)
	v_and_b32_e32 v3, 0xff, v3
	v_cmp_ne_u32_e32 vcc_lo, 0, v3
	s_and_b32 s19, vcc_lo, exec_lo
	s_delay_alu instid0(SALU_CYCLE_1)
	s_or_b32 s16, s16, s19
	s_or_b32 exec_lo, exec_lo, s17
	v_mov_b32_e32 v7, s18
	s_and_saveexec_b32 s17, s16
	s_cbranch_execnz .LBB464_944
	s_branch .LBB464_945
.LBB464_1183:
	s_mov_b32 s1, -1
	s_mov_b32 s0, 0
	s_mov_b32 s14, 0
	s_branch .LBB464_1228
.LBB464_1184:
	s_mov_b32 s0, -1
                                        ; implicit-def: $vgpr4_vgpr5
.LBB464_1185:
	s_delay_alu instid0(SALU_CYCLE_1)
	s_and_not1_b32 vcc_lo, exec_lo, s0
	s_cbranch_vccnz .LBB464_1187
; %bb.1186:
	global_load_b32 v4, v[2:3], off
	s_waitcnt vmcnt(0)
	v_cvt_f64_f32_e32 v[4:5], v4
.LBB464_1187:
	s_mov_b32 s0, 0
.LBB464_1188:
	s_delay_alu instid0(SALU_CYCLE_1)
	s_and_not1_b32 vcc_lo, exec_lo, s0
	s_cbranch_vccnz .LBB464_1190
; %bb.1189:
	global_load_b32 v4, v[2:3], off
	s_waitcnt vmcnt(0)
	v_cvt_f32_f16_e32 v4, v4
	s_delay_alu instid0(VALU_DEP_1)
	v_cvt_f64_f32_e32 v[4:5], v4
.LBB464_1190:
	s_mov_b32 s0, 0
.LBB464_1191:
	s_delay_alu instid0(SALU_CYCLE_1)
	s_and_not1_b32 vcc_lo, exec_lo, s0
	s_cbranch_vccnz .LBB464_1202
; %bb.1192:
	v_cmp_gt_i16_e32 vcc_lo, 6, v10
	s_cbranch_vccnz .LBB464_1195
; %bb.1193:
	v_cmp_lt_i16_e32 vcc_lo, 6, v10
	s_cbranch_vccz .LBB464_1196
; %bb.1194:
	global_load_b64 v[4:5], v[2:3], off
	s_mov_b32 s0, 0
	s_branch .LBB464_1197
.LBB464_1195:
	s_mov_b32 s0, -1
                                        ; implicit-def: $vgpr4_vgpr5
	s_branch .LBB464_1200
.LBB464_1196:
	s_mov_b32 s0, -1
                                        ; implicit-def: $vgpr4_vgpr5
.LBB464_1197:
	s_delay_alu instid0(SALU_CYCLE_1)
	s_and_not1_b32 vcc_lo, exec_lo, s0
	s_cbranch_vccnz .LBB464_1199
; %bb.1198:
	global_load_b32 v4, v[2:3], off
	s_waitcnt vmcnt(0)
	v_cvt_f64_f32_e32 v[4:5], v4
.LBB464_1199:
	s_mov_b32 s0, 0
.LBB464_1200:
	s_delay_alu instid0(SALU_CYCLE_1)
	s_and_not1_b32 vcc_lo, exec_lo, s0
	s_cbranch_vccnz .LBB464_1202
; %bb.1201:
	global_load_u16 v4, v[2:3], off
	s_waitcnt vmcnt(0)
	v_cvt_f32_f16_e32 v4, v4
	s_delay_alu instid0(VALU_DEP_1)
	v_cvt_f64_f32_e32 v[4:5], v4
.LBB464_1202:
	s_cbranch_execnz .LBB464_1222
.LBB464_1203:
	v_cmp_gt_i16_e32 vcc_lo, 2, v10
	s_cbranch_vccnz .LBB464_1207
; %bb.1204:
	v_cmp_gt_i16_e32 vcc_lo, 3, v10
	s_cbranch_vccnz .LBB464_1208
; %bb.1205:
	v_cmp_lt_i16_e32 vcc_lo, 3, v10
	s_cbranch_vccz .LBB464_1209
; %bb.1206:
	global_load_b64 v[4:5], v[2:3], off
	s_mov_b32 s0, 0
	s_waitcnt vmcnt(0)
	v_cvt_f64_i32_e32 v[7:8], v5
	v_cvt_f64_u32_e32 v[4:5], v4
	s_delay_alu instid0(VALU_DEP_2) | instskip(NEXT) | instid1(VALU_DEP_1)
	v_ldexp_f64 v[7:8], v[7:8], 32
	v_add_f64 v[4:5], v[7:8], v[4:5]
	s_branch .LBB464_1210
.LBB464_1207:
	s_mov_b32 s0, -1
                                        ; implicit-def: $vgpr4_vgpr5
	s_branch .LBB464_1216
.LBB464_1208:
	s_mov_b32 s0, -1
                                        ; implicit-def: $vgpr4_vgpr5
	s_branch .LBB464_1213
.LBB464_1209:
	s_mov_b32 s0, -1
                                        ; implicit-def: $vgpr4_vgpr5
.LBB464_1210:
	s_delay_alu instid0(SALU_CYCLE_1)
	s_and_not1_b32 vcc_lo, exec_lo, s0
	s_cbranch_vccnz .LBB464_1212
; %bb.1211:
	global_load_b32 v4, v[2:3], off
	s_waitcnt vmcnt(0)
	v_cvt_f64_i32_e32 v[4:5], v4
.LBB464_1212:
	s_mov_b32 s0, 0
.LBB464_1213:
	s_delay_alu instid0(SALU_CYCLE_1)
	s_and_not1_b32 vcc_lo, exec_lo, s0
	s_cbranch_vccnz .LBB464_1215
; %bb.1214:
	global_load_i16 v4, v[2:3], off
	s_waitcnt vmcnt(0)
	v_cvt_f64_i32_e32 v[4:5], v4
.LBB464_1215:
	s_mov_b32 s0, 0
.LBB464_1216:
	s_delay_alu instid0(SALU_CYCLE_1)
	s_and_not1_b32 vcc_lo, exec_lo, s0
	s_cbranch_vccnz .LBB464_1222
; %bb.1217:
	v_cmp_lt_i16_e32 vcc_lo, 0, v10
	s_mov_b32 s0, 0
	s_cbranch_vccz .LBB464_1219
; %bb.1218:
	global_load_i8 v4, v[2:3], off
	s_waitcnt vmcnt(0)
	v_cvt_f64_i32_e32 v[4:5], v4
	s_branch .LBB464_1220
.LBB464_1219:
	s_mov_b32 s0, -1
                                        ; implicit-def: $vgpr4_vgpr5
.LBB464_1220:
	s_delay_alu instid0(SALU_CYCLE_1)
	s_and_not1_b32 vcc_lo, exec_lo, s0
	s_cbranch_vccnz .LBB464_1222
; %bb.1221:
	global_load_u8 v2, v[2:3], off
	s_waitcnt vmcnt(0)
	v_cvt_f64_u32_e32 v[4:5], v2
.LBB464_1222:
	s_branch .LBB464_1295
.LBB464_1223:
	s_trap 2
	s_sendmsg_rtn_b32 s0, sendmsg(MSG_RTN_GET_DOORBELL)
	s_mov_b32 ttmp2, m0
	s_waitcnt lgkmcnt(0)
	s_and_b32 s0, s0, 0x3ff
	s_delay_alu instid0(SALU_CYCLE_1) | instskip(NEXT) | instid1(SALU_CYCLE_1)
	s_bitset1_b32 s0, 10
	s_mov_b32 m0, s0
	s_sendmsg sendmsg(MSG_INTERRUPT)
	s_mov_b32 m0, ttmp2
.LBB464_1224:                           ; =>This Inner Loop Header: Depth=1
	s_sethalt 5
	s_branch .LBB464_1224
.LBB464_1225:
	s_or_saveexec_b32 s18, s18
                                        ; implicit-def: $sgpr19
	s_delay_alu instid0(SALU_CYCLE_1)
	s_xor_b32 exec_lo, exec_lo, s18
	s_cbranch_execz .LBB464_955
.LBB464_1226:
	v_add_f32_e64 v3, 0x42800000, |v2|
	s_and_not1_b32 s17, s17, exec_lo
	s_mov_b32 s19, 0
	s_delay_alu instid0(VALU_DEP_1) | instskip(NEXT) | instid1(VALU_DEP_1)
	v_and_b32_e32 v3, 0xff, v3
	v_cmp_ne_u32_e32 vcc_lo, 0, v3
	s_and_b32 s20, vcc_lo, exec_lo
	s_delay_alu instid0(SALU_CYCLE_1)
	s_or_b32 s17, s17, s20
	s_or_b32 exec_lo, exec_lo, s18
	v_mov_b32_e32 v7, s19
	s_and_saveexec_b32 s18, s17
	s_cbranch_execnz .LBB464_956
	s_branch .LBB464_957
.LBB464_1227:
	s_mov_b32 s14, -1
	s_mov_b32 s0, 0
.LBB464_1228:
                                        ; implicit-def: $vgpr4_vgpr5
.LBB464_1229:
	s_and_b32 vcc_lo, exec_lo, s1
	s_cbranch_vccz .LBB464_1233
; %bb.1230:
	v_cmp_eq_u16_e32 vcc_lo, 44, v10
	s_cbranch_vccz .LBB464_1232
; %bb.1231:
	global_load_u8 v7, v[2:3], off
	s_mov_b32 s14, 0
	s_mov_b32 s0, -1
	s_waitcnt vmcnt(0)
	v_cmp_ne_u32_e32 vcc_lo, 0xff, v7
	v_lshlrev_b32_e32 v4, 23, v7
	s_delay_alu instid0(VALU_DEP_1) | instskip(NEXT) | instid1(VALU_DEP_1)
	v_cvt_f64_f32_e32 v[4:5], v4
	v_cndmask_b32_e32 v5, 0x7ff80000, v5, vcc_lo
	s_delay_alu instid0(VALU_DEP_2) | instskip(SKIP_1) | instid1(VALU_DEP_3)
	v_cndmask_b32_e32 v4, 0x20000000, v4, vcc_lo
	v_cmp_ne_u32_e32 vcc_lo, 0, v7
	v_cndmask_b32_e32 v5, 0x38000000, v5, vcc_lo
	s_delay_alu instid0(VALU_DEP_3)
	v_cndmask_b32_e32 v4, 0, v4, vcc_lo
	s_branch .LBB464_1233
.LBB464_1232:
	s_mov_b32 s14, -1
                                        ; implicit-def: $vgpr4_vgpr5
.LBB464_1233:
	s_mov_b32 s1, 0
.LBB464_1234:
	s_delay_alu instid0(SALU_CYCLE_1)
	s_and_b32 vcc_lo, exec_lo, s1
	s_cbranch_vccz .LBB464_1238
; %bb.1235:
	v_cmp_eq_u16_e32 vcc_lo, 29, v10
	s_cbranch_vccz .LBB464_1237
; %bb.1236:
	global_load_b64 v[4:5], v[2:3], off
	s_mov_b32 s14, 0
	s_mov_b32 s0, -1
	s_mov_b32 s1, 0
	s_waitcnt vmcnt(0)
	v_cvt_f64_u32_e32 v[7:8], v5
	v_cvt_f64_u32_e32 v[4:5], v4
	s_delay_alu instid0(VALU_DEP_2) | instskip(NEXT) | instid1(VALU_DEP_1)
	v_ldexp_f64 v[7:8], v[7:8], 32
	v_add_f64 v[4:5], v[7:8], v[4:5]
	s_branch .LBB464_1239
.LBB464_1237:
	s_mov_b32 s14, -1
                                        ; implicit-def: $vgpr4_vgpr5
.LBB464_1238:
	s_mov_b32 s1, 0
.LBB464_1239:
	s_delay_alu instid0(SALU_CYCLE_1)
	s_and_b32 vcc_lo, exec_lo, s1
	s_cbranch_vccz .LBB464_1259
; %bb.1240:
	v_cmp_gt_i16_e32 vcc_lo, 27, v10
	s_cbranch_vccnz .LBB464_1243
; %bb.1241:
	v_cmp_lt_i16_e32 vcc_lo, 27, v10
	s_cbranch_vccz .LBB464_1244
; %bb.1242:
	global_load_b32 v4, v[2:3], off
	s_mov_b32 s0, 0
	s_waitcnt vmcnt(0)
	v_cvt_f64_u32_e32 v[4:5], v4
	s_branch .LBB464_1245
.LBB464_1243:
	s_mov_b32 s0, -1
                                        ; implicit-def: $vgpr4_vgpr5
	s_branch .LBB464_1248
.LBB464_1244:
	s_mov_b32 s0, -1
                                        ; implicit-def: $vgpr4_vgpr5
.LBB464_1245:
	s_delay_alu instid0(SALU_CYCLE_1)
	s_and_not1_b32 vcc_lo, exec_lo, s0
	s_cbranch_vccnz .LBB464_1247
; %bb.1246:
	global_load_u16 v4, v[2:3], off
	s_waitcnt vmcnt(0)
	v_cvt_f64_u32_e32 v[4:5], v4
.LBB464_1247:
	s_mov_b32 s0, 0
.LBB464_1248:
	s_delay_alu instid0(SALU_CYCLE_1)
	s_and_not1_b32 vcc_lo, exec_lo, s0
	s_cbranch_vccnz .LBB464_1258
; %bb.1249:
	global_load_u8 v7, v[2:3], off
	s_mov_b32 s16, 0
	s_mov_b32 s17, exec_lo
                                        ; implicit-def: $sgpr0_sgpr1
	s_waitcnt vmcnt(0)
	v_cmpx_lt_i16_e32 0x7f, v7
	s_xor_b32 s17, exec_lo, s17
	s_cbranch_execz .LBB464_1253
; %bb.1250:
	s_mov_b32 s18, -1
	s_mov_b32 s16, exec_lo
                                        ; implicit-def: $sgpr0_sgpr1
	v_cmpx_eq_u16_e32 0x80, v7
; %bb.1251:
	s_mov_b32 s1, 0x7ff80000
	s_brev_b32 s0, 4
	s_xor_b32 s18, exec_lo, -1
; %bb.1252:
	s_or_b32 exec_lo, exec_lo, s16
	s_delay_alu instid0(SALU_CYCLE_1)
	s_and_b32 s16, s18, exec_lo
.LBB464_1253:
	s_or_saveexec_b32 s17, s17
	v_dual_mov_b32 v5, s1 :: v_dual_mov_b32 v4, s0
	s_xor_b32 exec_lo, exec_lo, s17
; %bb.1254:
	v_cmp_ne_u16_e32 vcc_lo, 0, v7
	v_mov_b32_e32 v4, 0
	v_mov_b32_e32 v5, 0
	s_and_not1_b32 s0, s16, exec_lo
	s_and_b32 s1, vcc_lo, exec_lo
	s_delay_alu instid0(SALU_CYCLE_1)
	s_or_b32 s16, s0, s1
; %bb.1255:
	s_or_b32 exec_lo, exec_lo, s17
	s_and_saveexec_b32 s0, s16
	s_cbranch_execz .LBB464_1257
; %bb.1256:
	v_and_b32_e32 v4, 0xffff, v7
	v_lshlrev_b32_e32 v7, 24, v7
	s_delay_alu instid0(VALU_DEP_2) | instskip(NEXT) | instid1(VALU_DEP_2)
	v_and_b32_e32 v5, 7, v4
	v_and_b32_e32 v7, 0x80000000, v7
	s_delay_alu instid0(VALU_DEP_2) | instskip(NEXT) | instid1(VALU_DEP_1)
	v_clz_i32_u32_e32 v8, v5
	v_min_u32_e32 v8, 32, v8
	s_delay_alu instid0(VALU_DEP_1) | instskip(SKIP_1) | instid1(VALU_DEP_2)
	v_subrev_nc_u32_e32 v9, 28, v8
	v_sub_nc_u32_e32 v8, 29, v8
	v_lshlrev_b32_e32 v9, v9, v4
	v_bfe_u32 v4, v4, 3, 4
	s_delay_alu instid0(VALU_DEP_1) | instskip(NEXT) | instid1(VALU_DEP_3)
	v_cmp_eq_u32_e32 vcc_lo, 0, v4
	v_dual_cndmask_b32 v4, v4, v8 :: v_dual_and_b32 v9, 7, v9
	s_delay_alu instid0(VALU_DEP_1) | instskip(NEXT) | instid1(VALU_DEP_2)
	v_cndmask_b32_e32 v5, v5, v9, vcc_lo
	v_lshl_add_u32 v4, v4, 23, 0x3b800000
	s_delay_alu instid0(VALU_DEP_2) | instskip(NEXT) | instid1(VALU_DEP_1)
	v_lshlrev_b32_e32 v5, 20, v5
	v_or3_b32 v4, v7, v4, v5
	s_delay_alu instid0(VALU_DEP_1)
	v_cvt_f64_f32_e32 v[4:5], v4
.LBB464_1257:
	s_or_b32 exec_lo, exec_lo, s0
.LBB464_1258:
	s_mov_b32 s0, -1
.LBB464_1259:
	s_branch .LBB464_1290
.LBB464_1260:
	v_cmp_lt_i16_e32 vcc_lo, 22, v10
	s_cbranch_vccz .LBB464_1272
; %bb.1261:
	v_cmp_gt_i16_e32 vcc_lo, 24, v10
	s_cbranch_vccnz .LBB464_1273
; %bb.1262:
	v_cmp_lt_i16_e32 vcc_lo, 24, v10
	s_cbranch_vccz .LBB464_1274
; %bb.1263:
	global_load_u8 v7, v[2:3], off
	s_mov_b32 s16, exec_lo
                                        ; implicit-def: $sgpr0_sgpr1
	s_waitcnt vmcnt(0)
	v_cmpx_lt_i16_e32 0x7f, v7
	s_xor_b32 s16, exec_lo, s16
	s_cbranch_execz .LBB464_1267
; %bb.1264:
	s_mov_b32 s17, -1
	s_mov_b32 s15, exec_lo
                                        ; implicit-def: $sgpr0_sgpr1
	v_cmpx_eq_u16_e32 0x80, v7
; %bb.1265:
	s_mov_b32 s1, 0x7ff80000
	s_brev_b32 s0, 4
	s_xor_b32 s17, exec_lo, -1
; %bb.1266:
	s_or_b32 exec_lo, exec_lo, s15
	s_delay_alu instid0(SALU_CYCLE_1)
	s_and_b32 s15, s17, exec_lo
.LBB464_1267:
	s_or_saveexec_b32 s16, s16
	v_dual_mov_b32 v5, s1 :: v_dual_mov_b32 v4, s0
	s_xor_b32 exec_lo, exec_lo, s16
; %bb.1268:
	v_cmp_ne_u16_e32 vcc_lo, 0, v7
	v_mov_b32_e32 v4, 0
	v_mov_b32_e32 v5, 0
	s_and_not1_b32 s0, s15, exec_lo
	s_and_b32 s1, vcc_lo, exec_lo
	s_delay_alu instid0(SALU_CYCLE_1)
	s_or_b32 s15, s0, s1
; %bb.1269:
	s_or_b32 exec_lo, exec_lo, s16
	s_and_saveexec_b32 s0, s15
	s_cbranch_execz .LBB464_1271
; %bb.1270:
	v_and_b32_e32 v4, 0xffff, v7
	v_lshlrev_b32_e32 v7, 24, v7
	s_delay_alu instid0(VALU_DEP_2) | instskip(NEXT) | instid1(VALU_DEP_2)
	v_and_b32_e32 v5, 3, v4
	v_and_b32_e32 v7, 0x80000000, v7
	s_delay_alu instid0(VALU_DEP_2) | instskip(NEXT) | instid1(VALU_DEP_1)
	v_clz_i32_u32_e32 v8, v5
	v_min_u32_e32 v8, 32, v8
	s_delay_alu instid0(VALU_DEP_1) | instskip(SKIP_1) | instid1(VALU_DEP_2)
	v_subrev_nc_u32_e32 v9, 29, v8
	v_sub_nc_u32_e32 v8, 30, v8
	v_lshlrev_b32_e32 v9, v9, v4
	v_bfe_u32 v4, v4, 2, 5
	s_delay_alu instid0(VALU_DEP_1) | instskip(NEXT) | instid1(VALU_DEP_3)
	v_cmp_eq_u32_e32 vcc_lo, 0, v4
	v_dual_cndmask_b32 v4, v4, v8 :: v_dual_and_b32 v9, 3, v9
	s_delay_alu instid0(VALU_DEP_1) | instskip(NEXT) | instid1(VALU_DEP_2)
	v_cndmask_b32_e32 v5, v5, v9, vcc_lo
	v_lshl_add_u32 v4, v4, 23, 0x37800000
	s_delay_alu instid0(VALU_DEP_2) | instskip(NEXT) | instid1(VALU_DEP_1)
	v_lshlrev_b32_e32 v5, 21, v5
	v_or3_b32 v4, v7, v4, v5
	s_delay_alu instid0(VALU_DEP_1)
	v_cvt_f64_f32_e32 v[4:5], v4
.LBB464_1271:
	s_or_b32 exec_lo, exec_lo, s0
	s_mov_b32 s0, 0
	s_branch .LBB464_1275
.LBB464_1272:
	s_mov_b32 s1, -1
                                        ; implicit-def: $vgpr4_vgpr5
	s_branch .LBB464_1281
.LBB464_1273:
	s_mov_b32 s0, -1
                                        ; implicit-def: $vgpr4_vgpr5
	s_branch .LBB464_1278
.LBB464_1274:
	s_mov_b32 s0, -1
                                        ; implicit-def: $vgpr4_vgpr5
.LBB464_1275:
	s_delay_alu instid0(SALU_CYCLE_1)
	s_and_b32 vcc_lo, exec_lo, s0
	s_cbranch_vccz .LBB464_1277
; %bb.1276:
	global_load_u8 v4, v[2:3], off
	s_waitcnt vmcnt(0)
	v_lshlrev_b32_e32 v4, 24, v4
	s_delay_alu instid0(VALU_DEP_1) | instskip(NEXT) | instid1(VALU_DEP_1)
	v_and_b32_e32 v5, 0x7f000000, v4
	v_clz_i32_u32_e32 v7, v5
	v_add_nc_u32_e32 v9, 0x1000000, v5
	v_cmp_ne_u32_e32 vcc_lo, 0, v5
	s_delay_alu instid0(VALU_DEP_3) | instskip(NEXT) | instid1(VALU_DEP_1)
	v_min_u32_e32 v7, 32, v7
	v_sub_nc_u32_e64 v7, v7, 4 clamp
	s_delay_alu instid0(VALU_DEP_1) | instskip(SKIP_1) | instid1(VALU_DEP_2)
	v_lshlrev_b32_e32 v8, v7, v5
	v_lshlrev_b32_e32 v7, 23, v7
	v_lshrrev_b32_e32 v8, 4, v8
	s_delay_alu instid0(VALU_DEP_1) | instskip(SKIP_1) | instid1(VALU_DEP_2)
	v_sub_nc_u32_e32 v7, v8, v7
	v_ashrrev_i32_e32 v8, 8, v9
	v_add_nc_u32_e32 v7, 0x3c000000, v7
	s_delay_alu instid0(VALU_DEP_1) | instskip(NEXT) | instid1(VALU_DEP_1)
	v_and_or_b32 v7, 0x7f800000, v8, v7
	v_cndmask_b32_e32 v5, 0, v7, vcc_lo
	s_delay_alu instid0(VALU_DEP_1) | instskip(NEXT) | instid1(VALU_DEP_1)
	v_and_or_b32 v4, 0x80000000, v4, v5
	v_cvt_f64_f32_e32 v[4:5], v4
.LBB464_1277:
	s_mov_b32 s0, 0
.LBB464_1278:
	s_delay_alu instid0(SALU_CYCLE_1)
	s_and_not1_b32 vcc_lo, exec_lo, s0
	s_cbranch_vccnz .LBB464_1280
; %bb.1279:
	global_load_u8 v4, v[2:3], off
	s_waitcnt vmcnt(0)
	v_lshlrev_b32_e32 v5, 25, v4
	v_lshlrev_b16 v4, 8, v4
	s_delay_alu instid0(VALU_DEP_2) | instskip(NEXT) | instid1(VALU_DEP_2)
	v_lshrrev_b32_e32 v7, 4, v5
	v_and_or_b32 v8, 0x7f00, v4, 0.5
	v_cmp_gt_u32_e32 vcc_lo, 0x8000000, v5
	v_bfe_i32 v4, v4, 0, 16
	s_delay_alu instid0(VALU_DEP_4) | instskip(NEXT) | instid1(VALU_DEP_1)
	v_or_b32_e32 v7, 0x70000000, v7
	v_dual_add_f32 v8, -0.5, v8 :: v_dual_mul_f32 v7, 0x7800000, v7
	s_delay_alu instid0(VALU_DEP_1) | instskip(NEXT) | instid1(VALU_DEP_1)
	v_cndmask_b32_e32 v5, v7, v8, vcc_lo
	v_and_or_b32 v4, 0x80000000, v4, v5
	s_delay_alu instid0(VALU_DEP_1)
	v_cvt_f64_f32_e32 v[4:5], v4
.LBB464_1280:
	s_mov_b32 s1, 0
	s_mov_b32 s0, -1
.LBB464_1281:
	s_and_not1_b32 vcc_lo, exec_lo, s1
	s_mov_b32 s15, 0
	s_cbranch_vccnz .LBB464_1290
; %bb.1282:
	v_cmp_lt_i16_e32 vcc_lo, 14, v10
	s_cbranch_vccz .LBB464_1285
; %bb.1283:
	v_cmp_eq_u16_e32 vcc_lo, 15, v10
	s_cbranch_vccz .LBB464_1286
; %bb.1284:
	global_load_u16 v4, v[2:3], off
	s_mov_b32 s14, 0
	s_mov_b32 s0, -1
	s_waitcnt vmcnt(0)
	v_lshlrev_b32_e32 v4, 16, v4
	s_delay_alu instid0(VALU_DEP_1)
	v_cvt_f64_f32_e32 v[4:5], v4
	s_branch .LBB464_1287
.LBB464_1285:
	s_mov_b32 s1, -1
                                        ; implicit-def: $vgpr4_vgpr5
	s_branch .LBB464_1288
.LBB464_1286:
	s_mov_b32 s14, -1
                                        ; implicit-def: $vgpr4_vgpr5
.LBB464_1287:
	s_mov_b32 s1, 0
.LBB464_1288:
	s_delay_alu instid0(SALU_CYCLE_1)
	s_and_b32 vcc_lo, exec_lo, s1
	s_cbranch_vccz .LBB464_1290
; %bb.1289:
	v_cmp_ne_u16_e64 s14, 11, v10
	s_mov_b32 s15, -1
                                        ; implicit-def: $vgpr4_vgpr5
.LBB464_1290:
	s_delay_alu instid0(VALU_DEP_1)
	s_and_b32 vcc_lo, exec_lo, s14
	s_cbranch_vccnz .LBB464_1314
; %bb.1291:
	s_and_not1_b32 vcc_lo, exec_lo, s15
	s_cbranch_vccnz .LBB464_1293
.LBB464_1292:
	global_load_u8 v4, v[2:3], off
	s_mov_b32 s0, -1
	s_waitcnt vmcnt(0)
	v_cmp_ne_u16_e32 vcc_lo, 0, v4
	v_mov_b32_e32 v4, 0
	v_cndmask_b32_e64 v5, 0, 0x3ff00000, vcc_lo
.LBB464_1293:
.LBB464_1294:
	s_and_not1_b32 vcc_lo, exec_lo, s0
	s_cbranch_vccnz .LBB464_1995
.LBB464_1295:
	v_add_nc_u32_e32 v8, s9, v6
	v_cmp_gt_i16_e32 vcc_lo, 11, v10
	s_delay_alu instid0(VALU_DEP_2) | instskip(SKIP_1) | instid1(VALU_DEP_1)
	v_ashrrev_i32_e32 v3, 31, v8
	v_add_co_u32 v2, s0, s6, v8
	v_add_co_ci_u32_e64 v3, s0, s7, v3, s0
	s_cbranch_vccnz .LBB464_1302
; %bb.1296:
	v_cmp_lt_i16_e32 vcc_lo, 25, v10
	s_mov_b32 s15, 0
	s_cbranch_vccz .LBB464_1308
; %bb.1297:
	v_cmp_lt_i16_e32 vcc_lo, 28, v10
	s_cbranch_vccz .LBB464_1310
; %bb.1298:
	v_cmp_lt_i16_e32 vcc_lo, 43, v10
	;; [unrolled: 3-line block ×3, first 2 shown]
	s_cbranch_vccz .LBB464_1316
; %bb.1300:
	v_cmp_eq_u16_e32 vcc_lo, 46, v10
	s_mov_b32 s1, 0
	s_cbranch_vccz .LBB464_1359
; %bb.1301:
	global_load_b32 v6, v[2:3], off
	s_mov_b32 s14, 0
	s_mov_b32 s0, -1
	s_waitcnt vmcnt(0)
	v_lshlrev_b32_e32 v6, 16, v6
	s_delay_alu instid0(VALU_DEP_1)
	v_cvt_f64_f32_e32 v[6:7], v6
	s_branch .LBB464_1361
.LBB464_1302:
	s_mov_b32 s0, 0
                                        ; implicit-def: $vgpr6_vgpr7
	s_cbranch_execz .LBB464_1427
; %bb.1303:
	v_cmp_gt_i16_e32 vcc_lo, 5, v10
	s_cbranch_vccnz .LBB464_1309
; %bb.1304:
	v_cmp_gt_i16_e32 vcc_lo, 8, v10
	s_cbranch_vccnz .LBB464_1311
	;; [unrolled: 3-line block ×3, first 2 shown]
; %bb.1306:
	v_cmp_lt_i16_e32 vcc_lo, 9, v10
	s_cbranch_vccz .LBB464_1317
; %bb.1307:
	global_load_b64 v[6:7], v[2:3], off
	s_mov_b32 s0, 0
	s_branch .LBB464_1318
.LBB464_1308:
	s_mov_b32 s1, -1
	s_mov_b32 s0, 0
	s_mov_b32 s14, 0
                                        ; implicit-def: $vgpr6_vgpr7
	s_branch .LBB464_1392
.LBB464_1309:
	s_mov_b32 s0, -1
                                        ; implicit-def: $vgpr6_vgpr7
	s_branch .LBB464_1336
.LBB464_1310:
	s_mov_b32 s1, -1
	s_mov_b32 s0, 0
	s_mov_b32 s14, 0
                                        ; implicit-def: $vgpr6_vgpr7
	s_branch .LBB464_1371
.LBB464_1311:
	s_mov_b32 s0, -1
                                        ; implicit-def: $vgpr6_vgpr7
	s_branch .LBB464_1324
.LBB464_1312:
	s_mov_b32 s1, -1
	s_mov_b32 s0, 0
	s_mov_b32 s14, 0
                                        ; implicit-def: $vgpr6_vgpr7
	s_branch .LBB464_1366
.LBB464_1313:
	s_mov_b32 s0, -1
                                        ; implicit-def: $vgpr6_vgpr7
	s_branch .LBB464_1321
.LBB464_1314:
	s_cbranch_execnz .LBB464_1357
; %bb.1315:
	s_or_b32 s3, s3, exec_lo
                                        ; implicit-def: $vgpr4_vgpr5
	s_cbranch_execz .LBB464_1292
	s_branch .LBB464_1293
.LBB464_1316:
	s_mov_b32 s1, -1
	s_mov_b32 s0, 0
	s_mov_b32 s14, 0
	s_branch .LBB464_1360
.LBB464_1317:
	s_mov_b32 s0, -1
                                        ; implicit-def: $vgpr6_vgpr7
.LBB464_1318:
	s_delay_alu instid0(SALU_CYCLE_1)
	s_and_not1_b32 vcc_lo, exec_lo, s0
	s_cbranch_vccnz .LBB464_1320
; %bb.1319:
	global_load_b32 v6, v[2:3], off
	s_waitcnt vmcnt(0)
	v_cvt_f64_f32_e32 v[6:7], v6
.LBB464_1320:
	s_mov_b32 s0, 0
.LBB464_1321:
	s_delay_alu instid0(SALU_CYCLE_1)
	s_and_not1_b32 vcc_lo, exec_lo, s0
	s_cbranch_vccnz .LBB464_1323
; %bb.1322:
	global_load_b32 v6, v[2:3], off
	s_waitcnt vmcnt(0)
	v_cvt_f32_f16_e32 v6, v6
	s_delay_alu instid0(VALU_DEP_1)
	v_cvt_f64_f32_e32 v[6:7], v6
.LBB464_1323:
	s_mov_b32 s0, 0
.LBB464_1324:
	s_delay_alu instid0(SALU_CYCLE_1)
	s_and_not1_b32 vcc_lo, exec_lo, s0
	s_cbranch_vccnz .LBB464_1335
; %bb.1325:
	v_cmp_gt_i16_e32 vcc_lo, 6, v10
	s_cbranch_vccnz .LBB464_1328
; %bb.1326:
	v_cmp_lt_i16_e32 vcc_lo, 6, v10
	s_cbranch_vccz .LBB464_1329
; %bb.1327:
	global_load_b64 v[6:7], v[2:3], off
	s_mov_b32 s0, 0
	s_branch .LBB464_1330
.LBB464_1328:
	s_mov_b32 s0, -1
                                        ; implicit-def: $vgpr6_vgpr7
	s_branch .LBB464_1333
.LBB464_1329:
	s_mov_b32 s0, -1
                                        ; implicit-def: $vgpr6_vgpr7
.LBB464_1330:
	s_delay_alu instid0(SALU_CYCLE_1)
	s_and_not1_b32 vcc_lo, exec_lo, s0
	s_cbranch_vccnz .LBB464_1332
; %bb.1331:
	global_load_b32 v6, v[2:3], off
	s_waitcnt vmcnt(0)
	v_cvt_f64_f32_e32 v[6:7], v6
.LBB464_1332:
	s_mov_b32 s0, 0
.LBB464_1333:
	s_delay_alu instid0(SALU_CYCLE_1)
	s_and_not1_b32 vcc_lo, exec_lo, s0
	s_cbranch_vccnz .LBB464_1335
; %bb.1334:
	global_load_u16 v6, v[2:3], off
	s_waitcnt vmcnt(0)
	v_cvt_f32_f16_e32 v6, v6
	s_delay_alu instid0(VALU_DEP_1)
	v_cvt_f64_f32_e32 v[6:7], v6
.LBB464_1335:
	s_mov_b32 s0, 0
.LBB464_1336:
	s_delay_alu instid0(SALU_CYCLE_1)
	s_and_not1_b32 vcc_lo, exec_lo, s0
	s_cbranch_vccnz .LBB464_1356
; %bb.1337:
	v_cmp_gt_i16_e32 vcc_lo, 2, v10
	s_cbranch_vccnz .LBB464_1341
; %bb.1338:
	v_cmp_gt_i16_e32 vcc_lo, 3, v10
	s_cbranch_vccnz .LBB464_1342
; %bb.1339:
	v_cmp_lt_i16_e32 vcc_lo, 3, v10
	s_cbranch_vccz .LBB464_1343
; %bb.1340:
	global_load_b64 v[6:7], v[2:3], off
	s_mov_b32 s0, 0
	s_waitcnt vmcnt(0)
	v_cvt_f64_i32_e32 v[13:14], v7
	v_cvt_f64_u32_e32 v[6:7], v6
	s_delay_alu instid0(VALU_DEP_2) | instskip(NEXT) | instid1(VALU_DEP_1)
	v_ldexp_f64 v[13:14], v[13:14], 32
	v_add_f64 v[6:7], v[13:14], v[6:7]
	s_branch .LBB464_1344
.LBB464_1341:
	s_mov_b32 s0, -1
                                        ; implicit-def: $vgpr6_vgpr7
	s_branch .LBB464_1350
.LBB464_1342:
	s_mov_b32 s0, -1
                                        ; implicit-def: $vgpr6_vgpr7
	s_branch .LBB464_1347
.LBB464_1343:
	s_mov_b32 s0, -1
                                        ; implicit-def: $vgpr6_vgpr7
.LBB464_1344:
	s_delay_alu instid0(SALU_CYCLE_1)
	s_and_not1_b32 vcc_lo, exec_lo, s0
	s_cbranch_vccnz .LBB464_1346
; %bb.1345:
	global_load_b32 v6, v[2:3], off
	s_waitcnt vmcnt(0)
	v_cvt_f64_i32_e32 v[6:7], v6
.LBB464_1346:
	s_mov_b32 s0, 0
.LBB464_1347:
	s_delay_alu instid0(SALU_CYCLE_1)
	s_and_not1_b32 vcc_lo, exec_lo, s0
	s_cbranch_vccnz .LBB464_1349
; %bb.1348:
	global_load_i16 v6, v[2:3], off
	s_waitcnt vmcnt(0)
	v_cvt_f64_i32_e32 v[6:7], v6
.LBB464_1349:
	s_mov_b32 s0, 0
.LBB464_1350:
	s_delay_alu instid0(SALU_CYCLE_1)
	s_and_not1_b32 vcc_lo, exec_lo, s0
	s_cbranch_vccnz .LBB464_1356
; %bb.1351:
	v_cmp_lt_i16_e32 vcc_lo, 0, v10
	s_mov_b32 s0, 0
	s_cbranch_vccz .LBB464_1353
; %bb.1352:
	global_load_i8 v6, v[2:3], off
	s_waitcnt vmcnt(0)
	v_cvt_f64_i32_e32 v[6:7], v6
	s_branch .LBB464_1354
.LBB464_1353:
	s_mov_b32 s0, -1
                                        ; implicit-def: $vgpr6_vgpr7
.LBB464_1354:
	s_delay_alu instid0(SALU_CYCLE_1)
	s_and_not1_b32 vcc_lo, exec_lo, s0
	s_cbranch_vccnz .LBB464_1356
; %bb.1355:
	global_load_u8 v2, v[2:3], off
	s_waitcnt vmcnt(0)
	v_cvt_f64_u32_e32 v[6:7], v2
.LBB464_1356:
	s_branch .LBB464_1428
.LBB464_1357:
	s_trap 2
	s_sendmsg_rtn_b32 s0, sendmsg(MSG_RTN_GET_DOORBELL)
	s_mov_b32 ttmp2, m0
	s_waitcnt lgkmcnt(0)
	s_and_b32 s0, s0, 0x3ff
	s_delay_alu instid0(SALU_CYCLE_1) | instskip(NEXT) | instid1(SALU_CYCLE_1)
	s_bitset1_b32 s0, 10
	s_mov_b32 m0, s0
	s_sendmsg sendmsg(MSG_INTERRUPT)
	s_mov_b32 m0, ttmp2
.LBB464_1358:                           ; =>This Inner Loop Header: Depth=1
	s_sethalt 5
	s_branch .LBB464_1358
.LBB464_1359:
	s_mov_b32 s14, -1
	s_mov_b32 s0, 0
.LBB464_1360:
                                        ; implicit-def: $vgpr6_vgpr7
.LBB464_1361:
	s_and_b32 vcc_lo, exec_lo, s1
	s_cbranch_vccz .LBB464_1365
; %bb.1362:
	v_cmp_eq_u16_e32 vcc_lo, 44, v10
	s_cbranch_vccz .LBB464_1364
; %bb.1363:
	global_load_u8 v9, v[2:3], off
	s_mov_b32 s14, 0
	s_mov_b32 s0, -1
	s_waitcnt vmcnt(0)
	v_cmp_ne_u32_e32 vcc_lo, 0xff, v9
	v_lshlrev_b32_e32 v6, 23, v9
	s_delay_alu instid0(VALU_DEP_1) | instskip(NEXT) | instid1(VALU_DEP_1)
	v_cvt_f64_f32_e32 v[6:7], v6
	v_cndmask_b32_e32 v7, 0x7ff80000, v7, vcc_lo
	s_delay_alu instid0(VALU_DEP_2) | instskip(SKIP_1) | instid1(VALU_DEP_3)
	v_cndmask_b32_e32 v6, 0x20000000, v6, vcc_lo
	v_cmp_ne_u32_e32 vcc_lo, 0, v9
	v_cndmask_b32_e32 v7, 0x38000000, v7, vcc_lo
	s_delay_alu instid0(VALU_DEP_3)
	v_cndmask_b32_e32 v6, 0, v6, vcc_lo
	s_branch .LBB464_1365
.LBB464_1364:
	s_mov_b32 s14, -1
                                        ; implicit-def: $vgpr6_vgpr7
.LBB464_1365:
	s_mov_b32 s1, 0
.LBB464_1366:
	s_delay_alu instid0(SALU_CYCLE_1)
	s_and_b32 vcc_lo, exec_lo, s1
	s_cbranch_vccz .LBB464_1370
; %bb.1367:
	v_cmp_eq_u16_e32 vcc_lo, 29, v10
	s_cbranch_vccz .LBB464_1369
; %bb.1368:
	global_load_b64 v[6:7], v[2:3], off
	s_mov_b32 s14, 0
	s_mov_b32 s0, -1
	s_mov_b32 s1, 0
	s_waitcnt vmcnt(0)
	v_cvt_f64_u32_e32 v[13:14], v7
	v_cvt_f64_u32_e32 v[6:7], v6
	s_delay_alu instid0(VALU_DEP_2) | instskip(NEXT) | instid1(VALU_DEP_1)
	v_ldexp_f64 v[13:14], v[13:14], 32
	v_add_f64 v[6:7], v[13:14], v[6:7]
	s_branch .LBB464_1371
.LBB464_1369:
	s_mov_b32 s14, -1
                                        ; implicit-def: $vgpr6_vgpr7
.LBB464_1370:
	s_mov_b32 s1, 0
.LBB464_1371:
	s_delay_alu instid0(SALU_CYCLE_1)
	s_and_b32 vcc_lo, exec_lo, s1
	s_cbranch_vccz .LBB464_1391
; %bb.1372:
	v_cmp_gt_i16_e32 vcc_lo, 27, v10
	s_cbranch_vccnz .LBB464_1375
; %bb.1373:
	v_cmp_lt_i16_e32 vcc_lo, 27, v10
	s_cbranch_vccz .LBB464_1376
; %bb.1374:
	global_load_b32 v6, v[2:3], off
	s_mov_b32 s0, 0
	s_waitcnt vmcnt(0)
	v_cvt_f64_u32_e32 v[6:7], v6
	s_branch .LBB464_1377
.LBB464_1375:
	s_mov_b32 s0, -1
                                        ; implicit-def: $vgpr6_vgpr7
	s_branch .LBB464_1380
.LBB464_1376:
	s_mov_b32 s0, -1
                                        ; implicit-def: $vgpr6_vgpr7
.LBB464_1377:
	s_delay_alu instid0(SALU_CYCLE_1)
	s_and_not1_b32 vcc_lo, exec_lo, s0
	s_cbranch_vccnz .LBB464_1379
; %bb.1378:
	global_load_u16 v6, v[2:3], off
	s_waitcnt vmcnt(0)
	v_cvt_f64_u32_e32 v[6:7], v6
.LBB464_1379:
	s_mov_b32 s0, 0
.LBB464_1380:
	s_delay_alu instid0(SALU_CYCLE_1)
	s_and_not1_b32 vcc_lo, exec_lo, s0
	s_cbranch_vccnz .LBB464_1390
; %bb.1381:
	global_load_u8 v9, v[2:3], off
	s_mov_b32 s16, 0
	s_mov_b32 s17, exec_lo
                                        ; implicit-def: $sgpr0_sgpr1
	s_waitcnt vmcnt(0)
	v_cmpx_lt_i16_e32 0x7f, v9
	s_xor_b32 s17, exec_lo, s17
	s_cbranch_execz .LBB464_1385
; %bb.1382:
	s_mov_b32 s18, -1
	s_mov_b32 s16, exec_lo
                                        ; implicit-def: $sgpr0_sgpr1
	v_cmpx_eq_u16_e32 0x80, v9
; %bb.1383:
	s_mov_b32 s1, 0x7ff80000
	s_brev_b32 s0, 4
	s_xor_b32 s18, exec_lo, -1
; %bb.1384:
	s_or_b32 exec_lo, exec_lo, s16
	s_delay_alu instid0(SALU_CYCLE_1)
	s_and_b32 s16, s18, exec_lo
.LBB464_1385:
	s_or_saveexec_b32 s17, s17
	v_dual_mov_b32 v7, s1 :: v_dual_mov_b32 v6, s0
	s_xor_b32 exec_lo, exec_lo, s17
; %bb.1386:
	v_cmp_ne_u16_e32 vcc_lo, 0, v9
	v_mov_b32_e32 v6, 0
	v_mov_b32_e32 v7, 0
	s_and_not1_b32 s0, s16, exec_lo
	s_and_b32 s1, vcc_lo, exec_lo
	s_delay_alu instid0(SALU_CYCLE_1)
	s_or_b32 s16, s0, s1
; %bb.1387:
	s_or_b32 exec_lo, exec_lo, s17
	s_and_saveexec_b32 s0, s16
	s_cbranch_execz .LBB464_1389
; %bb.1388:
	v_and_b32_e32 v6, 0xffff, v9
	v_lshlrev_b32_e32 v9, 24, v9
	s_delay_alu instid0(VALU_DEP_2) | instskip(NEXT) | instid1(VALU_DEP_2)
	v_and_b32_e32 v7, 7, v6
	v_and_b32_e32 v9, 0x80000000, v9
	s_delay_alu instid0(VALU_DEP_2) | instskip(NEXT) | instid1(VALU_DEP_1)
	v_clz_i32_u32_e32 v11, v7
	v_min_u32_e32 v11, 32, v11
	s_delay_alu instid0(VALU_DEP_1) | instskip(SKIP_1) | instid1(VALU_DEP_2)
	v_subrev_nc_u32_e32 v13, 28, v11
	v_sub_nc_u32_e32 v11, 29, v11
	v_lshlrev_b32_e32 v13, v13, v6
	v_bfe_u32 v6, v6, 3, 4
	s_delay_alu instid0(VALU_DEP_2) | instskip(NEXT) | instid1(VALU_DEP_2)
	v_and_b32_e32 v13, 7, v13
	v_cmp_eq_u32_e32 vcc_lo, 0, v6
	s_delay_alu instid0(VALU_DEP_2) | instskip(NEXT) | instid1(VALU_DEP_1)
	v_dual_cndmask_b32 v6, v6, v11 :: v_dual_cndmask_b32 v7, v7, v13
	v_lshl_add_u32 v6, v6, 23, 0x3b800000
	s_delay_alu instid0(VALU_DEP_2) | instskip(NEXT) | instid1(VALU_DEP_1)
	v_lshlrev_b32_e32 v7, 20, v7
	v_or3_b32 v6, v9, v6, v7
	s_delay_alu instid0(VALU_DEP_1)
	v_cvt_f64_f32_e32 v[6:7], v6
.LBB464_1389:
	s_or_b32 exec_lo, exec_lo, s0
.LBB464_1390:
	s_mov_b32 s0, -1
.LBB464_1391:
	s_mov_b32 s1, 0
.LBB464_1392:
	s_delay_alu instid0(SALU_CYCLE_1)
	s_and_b32 vcc_lo, exec_lo, s1
	s_cbranch_vccz .LBB464_1423
; %bb.1393:
	v_cmp_lt_i16_e32 vcc_lo, 22, v10
	s_cbranch_vccz .LBB464_1405
; %bb.1394:
	v_cmp_gt_i16_e32 vcc_lo, 24, v10
	s_cbranch_vccnz .LBB464_1406
; %bb.1395:
	v_cmp_lt_i16_e32 vcc_lo, 24, v10
	s_cbranch_vccz .LBB464_1407
; %bb.1396:
	global_load_u8 v9, v[2:3], off
	s_mov_b32 s16, exec_lo
                                        ; implicit-def: $sgpr0_sgpr1
	s_waitcnt vmcnt(0)
	v_cmpx_lt_i16_e32 0x7f, v9
	s_xor_b32 s16, exec_lo, s16
	s_cbranch_execz .LBB464_1400
; %bb.1397:
	s_mov_b32 s17, -1
	s_mov_b32 s15, exec_lo
                                        ; implicit-def: $sgpr0_sgpr1
	v_cmpx_eq_u16_e32 0x80, v9
; %bb.1398:
	s_mov_b32 s1, 0x7ff80000
	s_brev_b32 s0, 4
	s_xor_b32 s17, exec_lo, -1
; %bb.1399:
	s_or_b32 exec_lo, exec_lo, s15
	s_delay_alu instid0(SALU_CYCLE_1)
	s_and_b32 s15, s17, exec_lo
.LBB464_1400:
	s_or_saveexec_b32 s16, s16
	v_dual_mov_b32 v7, s1 :: v_dual_mov_b32 v6, s0
	s_xor_b32 exec_lo, exec_lo, s16
; %bb.1401:
	v_cmp_ne_u16_e32 vcc_lo, 0, v9
	v_mov_b32_e32 v6, 0
	v_mov_b32_e32 v7, 0
	s_and_not1_b32 s0, s15, exec_lo
	s_and_b32 s1, vcc_lo, exec_lo
	s_delay_alu instid0(SALU_CYCLE_1)
	s_or_b32 s15, s0, s1
; %bb.1402:
	s_or_b32 exec_lo, exec_lo, s16
	s_and_saveexec_b32 s0, s15
	s_cbranch_execz .LBB464_1404
; %bb.1403:
	v_and_b32_e32 v6, 0xffff, v9
	v_lshlrev_b32_e32 v9, 24, v9
	s_delay_alu instid0(VALU_DEP_2) | instskip(NEXT) | instid1(VALU_DEP_2)
	v_and_b32_e32 v7, 3, v6
	v_and_b32_e32 v9, 0x80000000, v9
	s_delay_alu instid0(VALU_DEP_2) | instskip(NEXT) | instid1(VALU_DEP_1)
	v_clz_i32_u32_e32 v11, v7
	v_min_u32_e32 v11, 32, v11
	s_delay_alu instid0(VALU_DEP_1) | instskip(SKIP_1) | instid1(VALU_DEP_2)
	v_subrev_nc_u32_e32 v13, 29, v11
	v_sub_nc_u32_e32 v11, 30, v11
	v_lshlrev_b32_e32 v13, v13, v6
	v_bfe_u32 v6, v6, 2, 5
	s_delay_alu instid0(VALU_DEP_2) | instskip(NEXT) | instid1(VALU_DEP_2)
	v_and_b32_e32 v13, 3, v13
	v_cmp_eq_u32_e32 vcc_lo, 0, v6
	s_delay_alu instid0(VALU_DEP_2) | instskip(NEXT) | instid1(VALU_DEP_1)
	v_dual_cndmask_b32 v6, v6, v11 :: v_dual_cndmask_b32 v7, v7, v13
	v_lshl_add_u32 v6, v6, 23, 0x37800000
	s_delay_alu instid0(VALU_DEP_2) | instskip(NEXT) | instid1(VALU_DEP_1)
	v_lshlrev_b32_e32 v7, 21, v7
	v_or3_b32 v6, v9, v6, v7
	s_delay_alu instid0(VALU_DEP_1)
	v_cvt_f64_f32_e32 v[6:7], v6
.LBB464_1404:
	s_or_b32 exec_lo, exec_lo, s0
	s_mov_b32 s0, 0
	s_branch .LBB464_1408
.LBB464_1405:
	s_mov_b32 s1, -1
                                        ; implicit-def: $vgpr6_vgpr7
	s_branch .LBB464_1414
.LBB464_1406:
	s_mov_b32 s0, -1
                                        ; implicit-def: $vgpr6_vgpr7
	s_branch .LBB464_1411
.LBB464_1407:
	s_mov_b32 s0, -1
                                        ; implicit-def: $vgpr6_vgpr7
.LBB464_1408:
	s_delay_alu instid0(SALU_CYCLE_1)
	s_and_b32 vcc_lo, exec_lo, s0
	s_cbranch_vccz .LBB464_1410
; %bb.1409:
	global_load_u8 v6, v[2:3], off
	s_waitcnt vmcnt(0)
	v_lshlrev_b32_e32 v6, 24, v6
	s_delay_alu instid0(VALU_DEP_1) | instskip(NEXT) | instid1(VALU_DEP_1)
	v_and_b32_e32 v7, 0x7f000000, v6
	v_clz_i32_u32_e32 v9, v7
	v_add_nc_u32_e32 v13, 0x1000000, v7
	v_cmp_ne_u32_e32 vcc_lo, 0, v7
	s_delay_alu instid0(VALU_DEP_3) | instskip(NEXT) | instid1(VALU_DEP_1)
	v_min_u32_e32 v9, 32, v9
	v_sub_nc_u32_e64 v9, v9, 4 clamp
	s_delay_alu instid0(VALU_DEP_1) | instskip(SKIP_1) | instid1(VALU_DEP_2)
	v_lshlrev_b32_e32 v11, v9, v7
	v_lshlrev_b32_e32 v9, 23, v9
	v_lshrrev_b32_e32 v11, 4, v11
	s_delay_alu instid0(VALU_DEP_1) | instskip(SKIP_1) | instid1(VALU_DEP_2)
	v_sub_nc_u32_e32 v9, v11, v9
	v_ashrrev_i32_e32 v11, 8, v13
	v_add_nc_u32_e32 v9, 0x3c000000, v9
	s_delay_alu instid0(VALU_DEP_1) | instskip(NEXT) | instid1(VALU_DEP_1)
	v_and_or_b32 v9, 0x7f800000, v11, v9
	v_cndmask_b32_e32 v7, 0, v9, vcc_lo
	s_delay_alu instid0(VALU_DEP_1) | instskip(NEXT) | instid1(VALU_DEP_1)
	v_and_or_b32 v6, 0x80000000, v6, v7
	v_cvt_f64_f32_e32 v[6:7], v6
.LBB464_1410:
	s_mov_b32 s0, 0
.LBB464_1411:
	s_delay_alu instid0(SALU_CYCLE_1)
	s_and_not1_b32 vcc_lo, exec_lo, s0
	s_cbranch_vccnz .LBB464_1413
; %bb.1412:
	global_load_u8 v6, v[2:3], off
	s_waitcnt vmcnt(0)
	v_lshlrev_b32_e32 v7, 25, v6
	v_lshlrev_b16 v6, 8, v6
	s_delay_alu instid0(VALU_DEP_2) | instskip(NEXT) | instid1(VALU_DEP_2)
	v_lshrrev_b32_e32 v9, 4, v7
	v_and_or_b32 v11, 0x7f00, v6, 0.5
	v_cmp_gt_u32_e32 vcc_lo, 0x8000000, v7
	v_bfe_i32 v6, v6, 0, 16
	s_delay_alu instid0(VALU_DEP_4) | instskip(NEXT) | instid1(VALU_DEP_4)
	v_or_b32_e32 v9, 0x70000000, v9
	v_add_f32_e32 v11, -0.5, v11
	s_delay_alu instid0(VALU_DEP_2) | instskip(NEXT) | instid1(VALU_DEP_1)
	v_mul_f32_e32 v9, 0x7800000, v9
	v_cndmask_b32_e32 v7, v9, v11, vcc_lo
	s_delay_alu instid0(VALU_DEP_1) | instskip(NEXT) | instid1(VALU_DEP_1)
	v_and_or_b32 v6, 0x80000000, v6, v7
	v_cvt_f64_f32_e32 v[6:7], v6
.LBB464_1413:
	s_mov_b32 s1, 0
	s_mov_b32 s0, -1
.LBB464_1414:
	s_and_not1_b32 vcc_lo, exec_lo, s1
	s_mov_b32 s15, 0
	s_cbranch_vccnz .LBB464_1423
; %bb.1415:
	v_cmp_lt_i16_e32 vcc_lo, 14, v10
	s_cbranch_vccz .LBB464_1418
; %bb.1416:
	v_cmp_eq_u16_e32 vcc_lo, 15, v10
	s_cbranch_vccz .LBB464_1419
; %bb.1417:
	global_load_u16 v6, v[2:3], off
	s_mov_b32 s14, 0
	s_mov_b32 s0, -1
	s_waitcnt vmcnt(0)
	v_lshlrev_b32_e32 v6, 16, v6
	s_delay_alu instid0(VALU_DEP_1)
	v_cvt_f64_f32_e32 v[6:7], v6
	s_branch .LBB464_1420
.LBB464_1418:
	s_mov_b32 s1, -1
                                        ; implicit-def: $vgpr6_vgpr7
	s_branch .LBB464_1421
.LBB464_1419:
	s_mov_b32 s14, -1
                                        ; implicit-def: $vgpr6_vgpr7
.LBB464_1420:
	s_mov_b32 s1, 0
.LBB464_1421:
	s_delay_alu instid0(SALU_CYCLE_1)
	s_and_b32 vcc_lo, exec_lo, s1
	s_cbranch_vccz .LBB464_1423
; %bb.1422:
	v_cmp_ne_u16_e64 s14, 11, v10
	s_mov_b32 s15, -1
                                        ; implicit-def: $vgpr6_vgpr7
.LBB464_1423:
	s_delay_alu instid0(VALU_DEP_1)
	s_and_b32 vcc_lo, exec_lo, s14
	s_cbranch_vccnz .LBB464_1439
; %bb.1424:
	s_and_not1_b32 vcc_lo, exec_lo, s15
	s_cbranch_vccnz .LBB464_1426
.LBB464_1425:
	global_load_u8 v6, v[2:3], off
	s_mov_b32 s0, -1
	s_waitcnt vmcnt(0)
	v_cmp_ne_u16_e32 vcc_lo, 0, v6
	v_mov_b32_e32 v6, 0
	v_cndmask_b32_e64 v7, 0, 0x3ff00000, vcc_lo
.LBB464_1426:
.LBB464_1427:
	s_and_not1_b32 vcc_lo, exec_lo, s0
	s_cbranch_vccnz .LBB464_1995
.LBB464_1428:
	v_add_nc_u32_e32 v2, s9, v8
	v_cmp_gt_i16_e32 vcc_lo, 11, v10
	s_delay_alu instid0(VALU_DEP_2) | instskip(SKIP_1) | instid1(VALU_DEP_1)
	v_ashrrev_i32_e32 v3, 31, v2
	v_add_co_u32 v2, s0, s6, v2
	v_add_co_ci_u32_e64 v3, s0, s7, v3, s0
	s_cbranch_vccnz .LBB464_1435
; %bb.1429:
	v_cmp_lt_i16_e32 vcc_lo, 25, v10
	s_mov_b32 s7, 0
	s_cbranch_vccz .LBB464_1436
; %bb.1430:
	v_cmp_lt_i16_e32 vcc_lo, 28, v10
	s_cbranch_vccz .LBB464_1437
; %bb.1431:
	v_cmp_lt_i16_e32 vcc_lo, 43, v10
	;; [unrolled: 3-line block ×3, first 2 shown]
	s_cbranch_vccz .LBB464_1441
; %bb.1433:
	v_cmp_eq_u16_e32 vcc_lo, 46, v10
	s_mov_b32 s1, 0
	s_cbranch_vccz .LBB464_1444
; %bb.1434:
	global_load_b32 v8, v[2:3], off
	s_mov_b32 s6, 0
	s_mov_b32 s0, -1
	s_waitcnt vmcnt(0)
	v_lshlrev_b32_e32 v8, 16, v8
	s_delay_alu instid0(VALU_DEP_1)
	v_cvt_f64_f32_e32 v[8:9], v8
	s_branch .LBB464_1446
.LBB464_1435:
	s_mov_b32 s1, -1
	s_mov_b32 s0, 0
                                        ; implicit-def: $vgpr8_vgpr9
	s_branch .LBB464_1512
.LBB464_1436:
	s_mov_b32 s1, -1
	s_mov_b32 s0, 0
	s_mov_b32 s6, 0
                                        ; implicit-def: $vgpr8_vgpr9
	s_branch .LBB464_1477
.LBB464_1437:
	s_mov_b32 s1, -1
	s_mov_b32 s0, 0
	s_mov_b32 s6, 0
                                        ; implicit-def: $vgpr8_vgpr9
	s_branch .LBB464_1456
.LBB464_1438:
	s_mov_b32 s1, -1
	s_mov_b32 s0, 0
	s_mov_b32 s6, 0
                                        ; implicit-def: $vgpr8_vgpr9
	s_branch .LBB464_1451
.LBB464_1439:
	s_cbranch_execnz .LBB464_1442
; %bb.1440:
	s_or_b32 s3, s3, exec_lo
                                        ; implicit-def: $vgpr6_vgpr7
	s_cbranch_execz .LBB464_1425
	s_branch .LBB464_1426
.LBB464_1441:
	s_mov_b32 s1, -1
	s_mov_b32 s0, 0
	s_mov_b32 s6, 0
	s_branch .LBB464_1445
.LBB464_1442:
	s_trap 2
	s_sendmsg_rtn_b32 s0, sendmsg(MSG_RTN_GET_DOORBELL)
	s_mov_b32 ttmp2, m0
	s_waitcnt lgkmcnt(0)
	s_and_b32 s0, s0, 0x3ff
	s_delay_alu instid0(SALU_CYCLE_1) | instskip(NEXT) | instid1(SALU_CYCLE_1)
	s_bitset1_b32 s0, 10
	s_mov_b32 m0, s0
	s_sendmsg sendmsg(MSG_INTERRUPT)
	s_mov_b32 m0, ttmp2
.LBB464_1443:                           ; =>This Inner Loop Header: Depth=1
	s_sethalt 5
	s_branch .LBB464_1443
.LBB464_1444:
	s_mov_b32 s6, -1
	s_mov_b32 s0, 0
.LBB464_1445:
                                        ; implicit-def: $vgpr8_vgpr9
.LBB464_1446:
	s_and_b32 vcc_lo, exec_lo, s1
	s_cbranch_vccz .LBB464_1450
; %bb.1447:
	v_cmp_eq_u16_e32 vcc_lo, 44, v10
	s_cbranch_vccz .LBB464_1449
; %bb.1448:
	global_load_u8 v11, v[2:3], off
	s_mov_b32 s6, 0
	s_mov_b32 s0, -1
	s_waitcnt vmcnt(0)
	v_cmp_ne_u32_e32 vcc_lo, 0xff, v11
	v_lshlrev_b32_e32 v8, 23, v11
	s_delay_alu instid0(VALU_DEP_1) | instskip(NEXT) | instid1(VALU_DEP_1)
	v_cvt_f64_f32_e32 v[8:9], v8
	v_cndmask_b32_e32 v9, 0x7ff80000, v9, vcc_lo
	s_delay_alu instid0(VALU_DEP_2) | instskip(SKIP_1) | instid1(VALU_DEP_3)
	v_cndmask_b32_e32 v8, 0x20000000, v8, vcc_lo
	v_cmp_ne_u32_e32 vcc_lo, 0, v11
	v_cndmask_b32_e32 v9, 0x38000000, v9, vcc_lo
	s_delay_alu instid0(VALU_DEP_3)
	v_cndmask_b32_e32 v8, 0, v8, vcc_lo
	s_branch .LBB464_1450
.LBB464_1449:
	s_mov_b32 s6, -1
                                        ; implicit-def: $vgpr8_vgpr9
.LBB464_1450:
	s_mov_b32 s1, 0
.LBB464_1451:
	s_delay_alu instid0(SALU_CYCLE_1)
	s_and_b32 vcc_lo, exec_lo, s1
	s_cbranch_vccz .LBB464_1455
; %bb.1452:
	v_cmp_eq_u16_e32 vcc_lo, 29, v10
	s_cbranch_vccz .LBB464_1454
; %bb.1453:
	global_load_b64 v[8:9], v[2:3], off
	s_mov_b32 s6, 0
	s_mov_b32 s0, -1
	s_mov_b32 s1, 0
	s_waitcnt vmcnt(0)
	v_cvt_f64_u32_e32 v[13:14], v9
	v_cvt_f64_u32_e32 v[8:9], v8
	s_delay_alu instid0(VALU_DEP_2) | instskip(NEXT) | instid1(VALU_DEP_1)
	v_ldexp_f64 v[13:14], v[13:14], 32
	v_add_f64 v[8:9], v[13:14], v[8:9]
	s_branch .LBB464_1456
.LBB464_1454:
	s_mov_b32 s6, -1
                                        ; implicit-def: $vgpr8_vgpr9
.LBB464_1455:
	s_mov_b32 s1, 0
.LBB464_1456:
	s_delay_alu instid0(SALU_CYCLE_1)
	s_and_b32 vcc_lo, exec_lo, s1
	s_cbranch_vccz .LBB464_1476
; %bb.1457:
	v_cmp_gt_i16_e32 vcc_lo, 27, v10
	s_cbranch_vccnz .LBB464_1460
; %bb.1458:
	v_cmp_lt_i16_e32 vcc_lo, 27, v10
	s_cbranch_vccz .LBB464_1461
; %bb.1459:
	global_load_b32 v8, v[2:3], off
	s_mov_b32 s0, 0
	s_waitcnt vmcnt(0)
	v_cvt_f64_u32_e32 v[8:9], v8
	s_branch .LBB464_1462
.LBB464_1460:
	s_mov_b32 s0, -1
                                        ; implicit-def: $vgpr8_vgpr9
	s_branch .LBB464_1465
.LBB464_1461:
	s_mov_b32 s0, -1
                                        ; implicit-def: $vgpr8_vgpr9
.LBB464_1462:
	s_delay_alu instid0(SALU_CYCLE_1)
	s_and_not1_b32 vcc_lo, exec_lo, s0
	s_cbranch_vccnz .LBB464_1464
; %bb.1463:
	global_load_u16 v8, v[2:3], off
	s_waitcnt vmcnt(0)
	v_cvt_f64_u32_e32 v[8:9], v8
.LBB464_1464:
	s_mov_b32 s0, 0
.LBB464_1465:
	s_delay_alu instid0(SALU_CYCLE_1)
	s_and_not1_b32 vcc_lo, exec_lo, s0
	s_cbranch_vccnz .LBB464_1475
; %bb.1466:
	global_load_u8 v11, v[2:3], off
	s_mov_b32 s9, 0
	s_mov_b32 s14, exec_lo
                                        ; implicit-def: $sgpr0_sgpr1
	s_waitcnt vmcnt(0)
	v_cmpx_lt_i16_e32 0x7f, v11
	s_xor_b32 s14, exec_lo, s14
	s_cbranch_execz .LBB464_1470
; %bb.1467:
	s_mov_b32 s15, -1
	s_mov_b32 s9, exec_lo
                                        ; implicit-def: $sgpr0_sgpr1
	v_cmpx_eq_u16_e32 0x80, v11
; %bb.1468:
	s_mov_b32 s1, 0x7ff80000
	s_brev_b32 s0, 4
	s_xor_b32 s15, exec_lo, -1
; %bb.1469:
	s_or_b32 exec_lo, exec_lo, s9
	s_delay_alu instid0(SALU_CYCLE_1)
	s_and_b32 s9, s15, exec_lo
.LBB464_1470:
	s_or_saveexec_b32 s14, s14
	v_dual_mov_b32 v9, s1 :: v_dual_mov_b32 v8, s0
	s_xor_b32 exec_lo, exec_lo, s14
; %bb.1471:
	v_cmp_ne_u16_e32 vcc_lo, 0, v11
	v_mov_b32_e32 v8, 0
	v_mov_b32_e32 v9, 0
	s_and_not1_b32 s0, s9, exec_lo
	s_and_b32 s1, vcc_lo, exec_lo
	s_delay_alu instid0(SALU_CYCLE_1)
	s_or_b32 s9, s0, s1
; %bb.1472:
	s_or_b32 exec_lo, exec_lo, s14
	s_and_saveexec_b32 s0, s9
	s_cbranch_execz .LBB464_1474
; %bb.1473:
	v_and_b32_e32 v8, 0xffff, v11
	v_lshlrev_b32_e32 v11, 24, v11
	s_delay_alu instid0(VALU_DEP_2) | instskip(NEXT) | instid1(VALU_DEP_2)
	v_and_b32_e32 v9, 7, v8
	v_and_b32_e32 v11, 0x80000000, v11
	s_delay_alu instid0(VALU_DEP_2) | instskip(NEXT) | instid1(VALU_DEP_1)
	v_clz_i32_u32_e32 v13, v9
	v_min_u32_e32 v13, 32, v13
	s_delay_alu instid0(VALU_DEP_1) | instskip(SKIP_1) | instid1(VALU_DEP_2)
	v_subrev_nc_u32_e32 v14, 28, v13
	v_sub_nc_u32_e32 v13, 29, v13
	v_lshlrev_b32_e32 v14, v14, v8
	v_bfe_u32 v8, v8, 3, 4
	s_delay_alu instid0(VALU_DEP_2) | instskip(NEXT) | instid1(VALU_DEP_2)
	v_and_b32_e32 v14, 7, v14
	v_cmp_eq_u32_e32 vcc_lo, 0, v8
	s_delay_alu instid0(VALU_DEP_2) | instskip(NEXT) | instid1(VALU_DEP_1)
	v_dual_cndmask_b32 v8, v8, v13 :: v_dual_cndmask_b32 v9, v9, v14
	v_lshl_add_u32 v8, v8, 23, 0x3b800000
	s_delay_alu instid0(VALU_DEP_2) | instskip(NEXT) | instid1(VALU_DEP_1)
	v_lshlrev_b32_e32 v9, 20, v9
	v_or3_b32 v8, v11, v8, v9
	s_delay_alu instid0(VALU_DEP_1)
	v_cvt_f64_f32_e32 v[8:9], v8
.LBB464_1474:
	s_or_b32 exec_lo, exec_lo, s0
.LBB464_1475:
	s_mov_b32 s0, -1
.LBB464_1476:
	s_mov_b32 s1, 0
.LBB464_1477:
	s_delay_alu instid0(SALU_CYCLE_1)
	s_and_b32 vcc_lo, exec_lo, s1
	s_cbranch_vccz .LBB464_1508
; %bb.1478:
	v_cmp_lt_i16_e32 vcc_lo, 22, v10
	s_cbranch_vccz .LBB464_1490
; %bb.1479:
	v_cmp_gt_i16_e32 vcc_lo, 24, v10
	s_cbranch_vccnz .LBB464_1491
; %bb.1480:
	v_cmp_lt_i16_e32 vcc_lo, 24, v10
	s_cbranch_vccz .LBB464_1492
; %bb.1481:
	global_load_u8 v11, v[2:3], off
	s_mov_b32 s9, exec_lo
                                        ; implicit-def: $sgpr0_sgpr1
	s_waitcnt vmcnt(0)
	v_cmpx_lt_i16_e32 0x7f, v11
	s_xor_b32 s9, exec_lo, s9
	s_cbranch_execz .LBB464_1485
; %bb.1482:
	s_mov_b32 s14, -1
	s_mov_b32 s7, exec_lo
                                        ; implicit-def: $sgpr0_sgpr1
	v_cmpx_eq_u16_e32 0x80, v11
; %bb.1483:
	s_mov_b32 s1, 0x7ff80000
	s_brev_b32 s0, 4
	s_xor_b32 s14, exec_lo, -1
; %bb.1484:
	s_or_b32 exec_lo, exec_lo, s7
	s_delay_alu instid0(SALU_CYCLE_1)
	s_and_b32 s7, s14, exec_lo
.LBB464_1485:
	s_or_saveexec_b32 s9, s9
	v_dual_mov_b32 v9, s1 :: v_dual_mov_b32 v8, s0
	s_xor_b32 exec_lo, exec_lo, s9
; %bb.1486:
	v_cmp_ne_u16_e32 vcc_lo, 0, v11
	v_mov_b32_e32 v8, 0
	v_mov_b32_e32 v9, 0
	s_and_not1_b32 s0, s7, exec_lo
	s_and_b32 s1, vcc_lo, exec_lo
	s_delay_alu instid0(SALU_CYCLE_1)
	s_or_b32 s7, s0, s1
; %bb.1487:
	s_or_b32 exec_lo, exec_lo, s9
	s_and_saveexec_b32 s0, s7
	s_cbranch_execz .LBB464_1489
; %bb.1488:
	v_and_b32_e32 v8, 0xffff, v11
	v_lshlrev_b32_e32 v11, 24, v11
	s_delay_alu instid0(VALU_DEP_2) | instskip(NEXT) | instid1(VALU_DEP_2)
	v_and_b32_e32 v9, 3, v8
	v_and_b32_e32 v11, 0x80000000, v11
	s_delay_alu instid0(VALU_DEP_2) | instskip(NEXT) | instid1(VALU_DEP_1)
	v_clz_i32_u32_e32 v13, v9
	v_min_u32_e32 v13, 32, v13
	s_delay_alu instid0(VALU_DEP_1) | instskip(SKIP_1) | instid1(VALU_DEP_2)
	v_subrev_nc_u32_e32 v14, 29, v13
	v_sub_nc_u32_e32 v13, 30, v13
	v_lshlrev_b32_e32 v14, v14, v8
	v_bfe_u32 v8, v8, 2, 5
	s_delay_alu instid0(VALU_DEP_2) | instskip(NEXT) | instid1(VALU_DEP_2)
	v_and_b32_e32 v14, 3, v14
	v_cmp_eq_u32_e32 vcc_lo, 0, v8
	s_delay_alu instid0(VALU_DEP_2) | instskip(NEXT) | instid1(VALU_DEP_1)
	v_dual_cndmask_b32 v8, v8, v13 :: v_dual_cndmask_b32 v9, v9, v14
	v_lshl_add_u32 v8, v8, 23, 0x37800000
	s_delay_alu instid0(VALU_DEP_2) | instskip(NEXT) | instid1(VALU_DEP_1)
	v_lshlrev_b32_e32 v9, 21, v9
	v_or3_b32 v8, v11, v8, v9
	s_delay_alu instid0(VALU_DEP_1)
	v_cvt_f64_f32_e32 v[8:9], v8
.LBB464_1489:
	s_or_b32 exec_lo, exec_lo, s0
	s_mov_b32 s0, 0
	s_branch .LBB464_1493
.LBB464_1490:
	s_mov_b32 s1, -1
                                        ; implicit-def: $vgpr8_vgpr9
	s_branch .LBB464_1499
.LBB464_1491:
	s_mov_b32 s0, -1
                                        ; implicit-def: $vgpr8_vgpr9
	s_branch .LBB464_1496
.LBB464_1492:
	s_mov_b32 s0, -1
                                        ; implicit-def: $vgpr8_vgpr9
.LBB464_1493:
	s_delay_alu instid0(SALU_CYCLE_1)
	s_and_b32 vcc_lo, exec_lo, s0
	s_cbranch_vccz .LBB464_1495
; %bb.1494:
	global_load_u8 v8, v[2:3], off
	s_waitcnt vmcnt(0)
	v_lshlrev_b32_e32 v8, 24, v8
	s_delay_alu instid0(VALU_DEP_1) | instskip(NEXT) | instid1(VALU_DEP_1)
	v_and_b32_e32 v9, 0x7f000000, v8
	v_clz_i32_u32_e32 v11, v9
	v_add_nc_u32_e32 v14, 0x1000000, v9
	v_cmp_ne_u32_e32 vcc_lo, 0, v9
	s_delay_alu instid0(VALU_DEP_3) | instskip(NEXT) | instid1(VALU_DEP_1)
	v_min_u32_e32 v11, 32, v11
	v_sub_nc_u32_e64 v11, v11, 4 clamp
	s_delay_alu instid0(VALU_DEP_1) | instskip(SKIP_1) | instid1(VALU_DEP_2)
	v_lshlrev_b32_e32 v13, v11, v9
	v_lshlrev_b32_e32 v11, 23, v11
	v_lshrrev_b32_e32 v13, 4, v13
	s_delay_alu instid0(VALU_DEP_1) | instskip(SKIP_1) | instid1(VALU_DEP_2)
	v_sub_nc_u32_e32 v11, v13, v11
	v_ashrrev_i32_e32 v13, 8, v14
	v_add_nc_u32_e32 v11, 0x3c000000, v11
	s_delay_alu instid0(VALU_DEP_1) | instskip(NEXT) | instid1(VALU_DEP_1)
	v_and_or_b32 v11, 0x7f800000, v13, v11
	v_cndmask_b32_e32 v9, 0, v11, vcc_lo
	s_delay_alu instid0(VALU_DEP_1) | instskip(NEXT) | instid1(VALU_DEP_1)
	v_and_or_b32 v8, 0x80000000, v8, v9
	v_cvt_f64_f32_e32 v[8:9], v8
.LBB464_1495:
	s_mov_b32 s0, 0
.LBB464_1496:
	s_delay_alu instid0(SALU_CYCLE_1)
	s_and_not1_b32 vcc_lo, exec_lo, s0
	s_cbranch_vccnz .LBB464_1498
; %bb.1497:
	global_load_u8 v8, v[2:3], off
	s_waitcnt vmcnt(0)
	v_lshlrev_b32_e32 v9, 25, v8
	v_lshlrev_b16 v8, 8, v8
	s_delay_alu instid0(VALU_DEP_2) | instskip(NEXT) | instid1(VALU_DEP_2)
	v_lshrrev_b32_e32 v11, 4, v9
	v_and_or_b32 v13, 0x7f00, v8, 0.5
	v_cmp_gt_u32_e32 vcc_lo, 0x8000000, v9
	v_bfe_i32 v8, v8, 0, 16
	s_delay_alu instid0(VALU_DEP_4) | instskip(NEXT) | instid1(VALU_DEP_4)
	v_or_b32_e32 v11, 0x70000000, v11
	v_add_f32_e32 v13, -0.5, v13
	s_delay_alu instid0(VALU_DEP_2) | instskip(NEXT) | instid1(VALU_DEP_1)
	v_mul_f32_e32 v11, 0x7800000, v11
	v_cndmask_b32_e32 v9, v11, v13, vcc_lo
	s_delay_alu instid0(VALU_DEP_1) | instskip(NEXT) | instid1(VALU_DEP_1)
	v_and_or_b32 v8, 0x80000000, v8, v9
	v_cvt_f64_f32_e32 v[8:9], v8
.LBB464_1498:
	s_mov_b32 s1, 0
	s_mov_b32 s0, -1
.LBB464_1499:
	s_and_not1_b32 vcc_lo, exec_lo, s1
	s_mov_b32 s7, 0
	s_cbranch_vccnz .LBB464_1508
; %bb.1500:
	v_cmp_lt_i16_e32 vcc_lo, 14, v10
	s_cbranch_vccz .LBB464_1503
; %bb.1501:
	v_cmp_eq_u16_e32 vcc_lo, 15, v10
	s_cbranch_vccz .LBB464_1504
; %bb.1502:
	global_load_u16 v8, v[2:3], off
	s_mov_b32 s6, 0
	s_mov_b32 s0, -1
	s_waitcnt vmcnt(0)
	v_lshlrev_b32_e32 v8, 16, v8
	s_delay_alu instid0(VALU_DEP_1)
	v_cvt_f64_f32_e32 v[8:9], v8
	s_branch .LBB464_1505
.LBB464_1503:
	s_mov_b32 s1, -1
                                        ; implicit-def: $vgpr8_vgpr9
	s_branch .LBB464_1506
.LBB464_1504:
	s_mov_b32 s6, -1
                                        ; implicit-def: $vgpr8_vgpr9
.LBB464_1505:
	s_mov_b32 s1, 0
.LBB464_1506:
	s_delay_alu instid0(SALU_CYCLE_1)
	s_and_b32 vcc_lo, exec_lo, s1
	s_cbranch_vccz .LBB464_1508
; %bb.1507:
	v_cmp_ne_u16_e64 s6, 11, v10
	s_mov_b32 s7, -1
                                        ; implicit-def: $vgpr8_vgpr9
.LBB464_1508:
	s_delay_alu instid0(VALU_DEP_1)
	s_and_b32 vcc_lo, exec_lo, s6
	s_cbranch_vccnz .LBB464_2041
; %bb.1509:
	s_and_not1_b32 vcc_lo, exec_lo, s7
	s_cbranch_vccnz .LBB464_1511
.LBB464_1510:
	global_load_u8 v8, v[2:3], off
	s_mov_b32 s0, -1
	s_waitcnt vmcnt(0)
	v_cmp_ne_u16_e32 vcc_lo, 0, v8
	v_mov_b32_e32 v8, 0
	v_cndmask_b32_e64 v9, 0, 0x3ff00000, vcc_lo
.LBB464_1511:
	s_mov_b32 s1, 0
.LBB464_1512:
	s_delay_alu instid0(SALU_CYCLE_1)
	s_and_b32 vcc_lo, exec_lo, s1
	s_cbranch_vccz .LBB464_1561
; %bb.1513:
	v_cmp_gt_i16_e32 vcc_lo, 5, v10
	s_cbranch_vccnz .LBB464_1518
; %bb.1514:
	v_cmp_gt_i16_e32 vcc_lo, 8, v10
	s_cbranch_vccnz .LBB464_1519
	;; [unrolled: 3-line block ×3, first 2 shown]
; %bb.1516:
	v_cmp_lt_i16_e32 vcc_lo, 9, v10
	s_cbranch_vccz .LBB464_1521
; %bb.1517:
	global_load_b64 v[8:9], v[2:3], off
	s_mov_b32 s0, 0
	s_branch .LBB464_1522
.LBB464_1518:
	s_mov_b32 s0, -1
                                        ; implicit-def: $vgpr8_vgpr9
	s_branch .LBB464_1540
.LBB464_1519:
	s_mov_b32 s0, -1
                                        ; implicit-def: $vgpr8_vgpr9
	s_branch .LBB464_1528
.LBB464_1520:
	s_mov_b32 s0, -1
                                        ; implicit-def: $vgpr8_vgpr9
	s_branch .LBB464_1525
.LBB464_1521:
	s_mov_b32 s0, -1
                                        ; implicit-def: $vgpr8_vgpr9
.LBB464_1522:
	s_delay_alu instid0(SALU_CYCLE_1)
	s_and_not1_b32 vcc_lo, exec_lo, s0
	s_cbranch_vccnz .LBB464_1524
; %bb.1523:
	global_load_b32 v8, v[2:3], off
	s_waitcnt vmcnt(0)
	v_cvt_f64_f32_e32 v[8:9], v8
.LBB464_1524:
	s_mov_b32 s0, 0
.LBB464_1525:
	s_delay_alu instid0(SALU_CYCLE_1)
	s_and_not1_b32 vcc_lo, exec_lo, s0
	s_cbranch_vccnz .LBB464_1527
; %bb.1526:
	global_load_b32 v8, v[2:3], off
	s_waitcnt vmcnt(0)
	v_cvt_f32_f16_e32 v8, v8
	s_delay_alu instid0(VALU_DEP_1)
	v_cvt_f64_f32_e32 v[8:9], v8
.LBB464_1527:
	s_mov_b32 s0, 0
.LBB464_1528:
	s_delay_alu instid0(SALU_CYCLE_1)
	s_and_not1_b32 vcc_lo, exec_lo, s0
	s_cbranch_vccnz .LBB464_1539
; %bb.1529:
	v_cmp_gt_i16_e32 vcc_lo, 6, v10
	s_cbranch_vccnz .LBB464_1532
; %bb.1530:
	v_cmp_lt_i16_e32 vcc_lo, 6, v10
	s_cbranch_vccz .LBB464_1533
; %bb.1531:
	global_load_b64 v[8:9], v[2:3], off
	s_mov_b32 s0, 0
	s_branch .LBB464_1534
.LBB464_1532:
	s_mov_b32 s0, -1
                                        ; implicit-def: $vgpr8_vgpr9
	s_branch .LBB464_1537
.LBB464_1533:
	s_mov_b32 s0, -1
                                        ; implicit-def: $vgpr8_vgpr9
.LBB464_1534:
	s_delay_alu instid0(SALU_CYCLE_1)
	s_and_not1_b32 vcc_lo, exec_lo, s0
	s_cbranch_vccnz .LBB464_1536
; %bb.1535:
	global_load_b32 v8, v[2:3], off
	s_waitcnt vmcnt(0)
	v_cvt_f64_f32_e32 v[8:9], v8
.LBB464_1536:
	s_mov_b32 s0, 0
.LBB464_1537:
	s_delay_alu instid0(SALU_CYCLE_1)
	s_and_not1_b32 vcc_lo, exec_lo, s0
	s_cbranch_vccnz .LBB464_1539
; %bb.1538:
	global_load_u16 v8, v[2:3], off
	s_waitcnt vmcnt(0)
	v_cvt_f32_f16_e32 v8, v8
	s_delay_alu instid0(VALU_DEP_1)
	v_cvt_f64_f32_e32 v[8:9], v8
.LBB464_1539:
	s_mov_b32 s0, 0
.LBB464_1540:
	s_delay_alu instid0(SALU_CYCLE_1)
	s_and_not1_b32 vcc_lo, exec_lo, s0
	s_cbranch_vccnz .LBB464_1560
; %bb.1541:
	v_cmp_gt_i16_e32 vcc_lo, 2, v10
	s_cbranch_vccnz .LBB464_1545
; %bb.1542:
	v_cmp_gt_i16_e32 vcc_lo, 3, v10
	s_cbranch_vccnz .LBB464_1546
; %bb.1543:
	v_cmp_lt_i16_e32 vcc_lo, 3, v10
	s_cbranch_vccz .LBB464_1547
; %bb.1544:
	global_load_b64 v[8:9], v[2:3], off
	s_mov_b32 s0, 0
	s_waitcnt vmcnt(0)
	v_cvt_f64_i32_e32 v[13:14], v9
	v_cvt_f64_u32_e32 v[8:9], v8
	s_delay_alu instid0(VALU_DEP_2) | instskip(NEXT) | instid1(VALU_DEP_1)
	v_ldexp_f64 v[13:14], v[13:14], 32
	v_add_f64 v[8:9], v[13:14], v[8:9]
	s_branch .LBB464_1548
.LBB464_1545:
	s_mov_b32 s0, -1
                                        ; implicit-def: $vgpr8_vgpr9
	s_branch .LBB464_1554
.LBB464_1546:
	s_mov_b32 s0, -1
                                        ; implicit-def: $vgpr8_vgpr9
	s_branch .LBB464_1551
.LBB464_1547:
	s_mov_b32 s0, -1
                                        ; implicit-def: $vgpr8_vgpr9
.LBB464_1548:
	s_delay_alu instid0(SALU_CYCLE_1)
	s_and_not1_b32 vcc_lo, exec_lo, s0
	s_cbranch_vccnz .LBB464_1550
; %bb.1549:
	global_load_b32 v8, v[2:3], off
	s_waitcnt vmcnt(0)
	v_cvt_f64_i32_e32 v[8:9], v8
.LBB464_1550:
	s_mov_b32 s0, 0
.LBB464_1551:
	s_delay_alu instid0(SALU_CYCLE_1)
	s_and_not1_b32 vcc_lo, exec_lo, s0
	s_cbranch_vccnz .LBB464_1553
; %bb.1552:
	global_load_i16 v8, v[2:3], off
	s_waitcnt vmcnt(0)
	v_cvt_f64_i32_e32 v[8:9], v8
.LBB464_1553:
	s_mov_b32 s0, 0
.LBB464_1554:
	s_delay_alu instid0(SALU_CYCLE_1)
	s_and_not1_b32 vcc_lo, exec_lo, s0
	s_cbranch_vccnz .LBB464_1560
; %bb.1555:
	v_cmp_lt_i16_e32 vcc_lo, 0, v10
	s_mov_b32 s0, 0
	s_cbranch_vccz .LBB464_1557
; %bb.1556:
	global_load_i8 v8, v[2:3], off
	s_waitcnt vmcnt(0)
	v_cvt_f64_i32_e32 v[8:9], v8
	s_branch .LBB464_1558
.LBB464_1557:
	s_mov_b32 s0, -1
                                        ; implicit-def: $vgpr8_vgpr9
.LBB464_1558:
	s_delay_alu instid0(SALU_CYCLE_1)
	s_and_not1_b32 vcc_lo, exec_lo, s0
	s_cbranch_vccnz .LBB464_1560
; %bb.1559:
	global_load_u8 v2, v[2:3], off
	s_waitcnt vmcnt(0)
	v_cvt_f64_u32_e32 v[8:9], v2
.LBB464_1560:
	s_mov_b32 s0, -1
.LBB464_1561:
	s_delay_alu instid0(SALU_CYCLE_1)
	s_and_not1_b32 vcc_lo, exec_lo, s0
	s_cbranch_vccnz .LBB464_1995
; %bb.1562:
	v_max_f64 v[10:11], s[10:11], s[10:11]
	s_waitcnt vmcnt(0)
	v_max_f64 v[2:3], v[0:1], v[0:1]
	v_cmp_u_f64_e32 vcc_lo, v[0:1], v[0:1]
	v_mul_lo_u32 v15, s8, v12
	v_and_b32_e64 v14, 0xff, s2
	s_delay_alu instid0(VALU_DEP_1) | instskip(NEXT) | instid1(VALU_DEP_3)
	v_cmp_gt_i16_e64 s0, 11, v14
	v_ashrrev_i32_e32 v13, 31, v15
	v_add_co_u32 v12, s1, s4, v15
	s_delay_alu instid0(VALU_DEP_1) | instskip(SKIP_1) | instid1(VALU_DEP_1)
	v_add_co_ci_u32_e64 v13, s1, s5, v13, s1
	v_min_f64 v[2:3], v[2:3], v[10:11]
	v_dual_cndmask_b32 v1, v3, v1 :: v_dual_cndmask_b32 v0, v2, v0
	s_and_b32 vcc_lo, exec_lo, s0
	s_cbranch_vccnz .LBB464_1640
; %bb.1563:
	v_cmp_lt_i16_e32 vcc_lo, 25, v14
	s_mov_b32 s6, -1
	s_mov_b32 s1, 0
	s_mov_b32 s2, 0
	;; [unrolled: 1-line block ×3, first 2 shown]
	s_cbranch_vccz .LBB464_1596
; %bb.1564:
	v_cmp_lt_i16_e32 vcc_lo, 28, v14
	s_cbranch_vccz .LBB464_1579
; %bb.1565:
	v_cmp_lt_i16_e32 vcc_lo, 43, v14
	;; [unrolled: 3-line block ×3, first 2 shown]
	s_cbranch_vccz .LBB464_1569
; %bb.1567:
	v_cmp_eq_u16_e32 vcc_lo, 46, v14
	s_mov_b32 s0, -1
	s_mov_b32 s6, 0
	s_cbranch_vccz .LBB464_1569
; %bb.1568:
	v_cvt_f32_f64_e32 v2, v[0:1]
	s_mov_b32 s0, 0
	s_mov_b32 s2, -1
	s_delay_alu instid0(VALU_DEP_1) | instskip(SKIP_1) | instid1(VALU_DEP_2)
	v_bfe_u32 v3, v2, 16, 1
	v_cmp_o_f32_e32 vcc_lo, v2, v2
	v_add3_u32 v3, v2, v3, 0x7fff
	s_delay_alu instid0(VALU_DEP_1) | instskip(NEXT) | instid1(VALU_DEP_1)
	v_lshrrev_b32_e32 v3, 16, v3
	v_cndmask_b32_e32 v2, 0x7fc0, v3, vcc_lo
	global_store_b32 v[12:13], v2, off
.LBB464_1569:
	s_and_b32 vcc_lo, exec_lo, s6
	s_cbranch_vccz .LBB464_1574
; %bb.1570:
	v_cmp_eq_u16_e32 vcc_lo, 44, v14
	s_mov_b32 s0, -1
	s_cbranch_vccz .LBB464_1574
; %bb.1571:
	v_cvt_f32_f64_e32 v2, v[0:1]
	v_mov_b32_e32 v3, 0xff
	s_mov_b32 s2, exec_lo
	s_delay_alu instid0(VALU_DEP_2) | instskip(NEXT) | instid1(VALU_DEP_1)
	v_bfe_u32 v16, v2, 23, 8
	v_cmpx_ne_u32_e32 0xff, v16
; %bb.1572:
	v_and_b32_e32 v3, 0x400000, v2
	v_and_or_b32 v16, 0x3fffff, v2, v16
	v_lshrrev_b32_e32 v2, 23, v2
	s_delay_alu instid0(VALU_DEP_3) | instskip(NEXT) | instid1(VALU_DEP_3)
	v_cmp_ne_u32_e32 vcc_lo, 0, v3
	v_cmp_ne_u32_e64 s0, 0, v16
	s_delay_alu instid0(VALU_DEP_1) | instskip(NEXT) | instid1(SALU_CYCLE_1)
	s_and_b32 s0, vcc_lo, s0
	v_cndmask_b32_e64 v3, 0, 1, s0
	s_delay_alu instid0(VALU_DEP_1)
	v_add_nc_u32_e32 v3, v2, v3
; %bb.1573:
	s_or_b32 exec_lo, exec_lo, s2
	s_mov_b32 s0, 0
	s_mov_b32 s2, -1
	global_store_b8 v[12:13], v3, off
.LBB464_1574:
	s_mov_b32 s6, 0
.LBB464_1575:
	s_delay_alu instid0(SALU_CYCLE_1)
	s_and_b32 vcc_lo, exec_lo, s6
	s_cbranch_vccz .LBB464_1578
; %bb.1576:
	v_cmp_eq_u16_e32 vcc_lo, 29, v14
	s_mov_b32 s0, -1
	s_cbranch_vccz .LBB464_1578
; %bb.1577:
	v_trunc_f64_e32 v[2:3], v[0:1]
	s_mov_b32 s0, 0
	s_mov_b32 s2, -1
	s_delay_alu instid0(VALU_DEP_1) | instskip(NEXT) | instid1(VALU_DEP_1)
	v_ldexp_f64 v[16:17], v[2:3], 0xffffffe0
	v_floor_f64_e32 v[16:17], v[16:17]
	s_delay_alu instid0(VALU_DEP_1) | instskip(SKIP_1) | instid1(VALU_DEP_2)
	v_fma_f64 v[2:3], 0xc1f00000, v[16:17], v[2:3]
	v_cvt_u32_f64_e32 v17, v[16:17]
	v_cvt_u32_f64_e32 v16, v[2:3]
	global_store_b64 v[12:13], v[16:17], off
.LBB464_1578:
	s_mov_b32 s6, 0
.LBB464_1579:
	s_delay_alu instid0(SALU_CYCLE_1)
	s_and_b32 vcc_lo, exec_lo, s6
	s_cbranch_vccz .LBB464_1595
; %bb.1580:
	v_cmp_gt_i16_e32 vcc_lo, 27, v14
	s_mov_b32 s2, -1
	s_cbranch_vccnz .LBB464_1586
; %bb.1581:
	v_cvt_u32_f64_e32 v2, v[0:1]
	v_cmp_lt_i16_e32 vcc_lo, 27, v14
	s_cbranch_vccz .LBB464_1583
; %bb.1582:
	s_mov_b32 s2, 0
	global_store_b32 v[12:13], v2, off
.LBB464_1583:
	s_and_not1_b32 vcc_lo, exec_lo, s2
	s_cbranch_vccnz .LBB464_1585
; %bb.1584:
	global_store_b16 v[12:13], v2, off
.LBB464_1585:
	s_mov_b32 s2, 0
.LBB464_1586:
	s_delay_alu instid0(SALU_CYCLE_1)
	s_and_not1_b32 vcc_lo, exec_lo, s2
	s_cbranch_vccnz .LBB464_1594
; %bb.1587:
	v_cvt_f32_f64_e32 v2, v[0:1]
	v_mov_b32_e32 v16, 0x80
	s_mov_b32 s2, exec_lo
	s_delay_alu instid0(VALU_DEP_2) | instskip(NEXT) | instid1(VALU_DEP_1)
	v_and_b32_e32 v3, 0x7fffffff, v2
	v_cmpx_gt_u32_e32 0x43800000, v3
	s_cbranch_execz .LBB464_1593
; %bb.1588:
	v_cmp_lt_u32_e32 vcc_lo, 0x3bffffff, v3
	s_mov_b32 s6, 0
                                        ; implicit-def: $vgpr3
	s_and_saveexec_b32 s7, vcc_lo
	s_delay_alu instid0(SALU_CYCLE_1)
	s_xor_b32 s7, exec_lo, s7
	s_cbranch_execz .LBB464_2043
; %bb.1589:
	v_bfe_u32 v3, v2, 20, 1
	s_mov_b32 s6, exec_lo
	s_delay_alu instid0(VALU_DEP_1) | instskip(NEXT) | instid1(VALU_DEP_1)
	v_add3_u32 v3, v2, v3, 0x487ffff
	v_lshrrev_b32_e32 v3, 20, v3
	s_or_saveexec_b32 s7, s7
                                        ; implicit-def: $sgpr9
	s_delay_alu instid0(SALU_CYCLE_1)
	s_xor_b32 exec_lo, exec_lo, s7
	s_cbranch_execnz .LBB464_2044
.LBB464_1590:
	s_or_b32 exec_lo, exec_lo, s7
	v_mov_b32_e32 v16, s9
	s_and_saveexec_b32 s7, s6
.LBB464_1591:
	v_lshrrev_b32_e32 v2, 24, v2
	s_delay_alu instid0(VALU_DEP_1)
	v_and_or_b32 v16, 0x80, v2, v3
.LBB464_1592:
	s_or_b32 exec_lo, exec_lo, s7
.LBB464_1593:
	s_delay_alu instid0(SALU_CYCLE_1)
	s_or_b32 exec_lo, exec_lo, s2
	global_store_b8 v[12:13], v16, off
.LBB464_1594:
	s_mov_b32 s2, -1
.LBB464_1595:
	s_mov_b32 s6, 0
.LBB464_1596:
	s_delay_alu instid0(SALU_CYCLE_1)
	s_and_b32 vcc_lo, exec_lo, s6
	s_cbranch_vccz .LBB464_1636
; %bb.1597:
	v_cmp_lt_i16_e32 vcc_lo, 22, v14
	s_mov_b32 s1, -1
	s_cbranch_vccz .LBB464_1629
; %bb.1598:
	v_cmp_gt_i16_e32 vcc_lo, 24, v14
	s_cbranch_vccnz .LBB464_1618
; %bb.1599:
	v_cmp_lt_i16_e32 vcc_lo, 24, v14
	s_cbranch_vccz .LBB464_1607
; %bb.1600:
	v_cvt_f32_f64_e32 v2, v[0:1]
	v_mov_b32_e32 v16, 0x80
	s_mov_b32 s1, exec_lo
	s_delay_alu instid0(VALU_DEP_2) | instskip(NEXT) | instid1(VALU_DEP_1)
	v_and_b32_e32 v3, 0x7fffffff, v2
	v_cmpx_gt_u32_e32 0x47800000, v3
	s_cbranch_execz .LBB464_1606
; %bb.1601:
	v_cmp_lt_u32_e32 vcc_lo, 0x37ffffff, v3
	s_mov_b32 s2, 0
                                        ; implicit-def: $vgpr3
	s_and_saveexec_b32 s6, vcc_lo
	s_delay_alu instid0(SALU_CYCLE_1)
	s_xor_b32 s6, exec_lo, s6
	s_cbranch_execz .LBB464_2049
; %bb.1602:
	v_bfe_u32 v3, v2, 21, 1
	s_mov_b32 s2, exec_lo
	s_delay_alu instid0(VALU_DEP_1) | instskip(NEXT) | instid1(VALU_DEP_1)
	v_add3_u32 v3, v2, v3, 0x88fffff
	v_lshrrev_b32_e32 v3, 21, v3
	s_or_saveexec_b32 s6, s6
                                        ; implicit-def: $sgpr7
	s_delay_alu instid0(SALU_CYCLE_1)
	s_xor_b32 exec_lo, exec_lo, s6
	s_cbranch_execnz .LBB464_2050
.LBB464_1603:
	s_or_b32 exec_lo, exec_lo, s6
	v_mov_b32_e32 v16, s7
	s_and_saveexec_b32 s6, s2
.LBB464_1604:
	v_lshrrev_b32_e32 v2, 24, v2
	s_delay_alu instid0(VALU_DEP_1)
	v_and_or_b32 v16, 0x80, v2, v3
.LBB464_1605:
	s_or_b32 exec_lo, exec_lo, s6
.LBB464_1606:
	s_delay_alu instid0(SALU_CYCLE_1)
	s_or_b32 exec_lo, exec_lo, s1
	s_mov_b32 s1, 0
	global_store_b8 v[12:13], v16, off
.LBB464_1607:
	s_and_b32 vcc_lo, exec_lo, s1
	s_cbranch_vccz .LBB464_1617
; %bb.1608:
	v_cvt_f32_f64_e32 v2, v[0:1]
	s_mov_b32 s1, exec_lo
                                        ; implicit-def: $vgpr3
	s_delay_alu instid0(VALU_DEP_1) | instskip(NEXT) | instid1(VALU_DEP_1)
	v_and_b32_e32 v16, 0x7fffffff, v2
	v_cmpx_gt_u32_e32 0x43f00000, v16
	s_xor_b32 s1, exec_lo, s1
	s_cbranch_execz .LBB464_1614
; %bb.1609:
	s_mov_b32 s2, exec_lo
                                        ; implicit-def: $vgpr3
	v_cmpx_lt_u32_e32 0x3c7fffff, v16
	s_xor_b32 s2, exec_lo, s2
; %bb.1610:
	v_bfe_u32 v3, v2, 20, 1
	s_delay_alu instid0(VALU_DEP_1) | instskip(NEXT) | instid1(VALU_DEP_1)
	v_add3_u32 v3, v2, v3, 0x407ffff
	v_and_b32_e32 v16, 0xff00000, v3
	v_lshrrev_b32_e32 v3, 20, v3
	s_delay_alu instid0(VALU_DEP_2) | instskip(NEXT) | instid1(VALU_DEP_2)
	v_cmp_ne_u32_e32 vcc_lo, 0x7f00000, v16
	v_cndmask_b32_e32 v3, 0x7e, v3, vcc_lo
; %bb.1611:
	s_and_not1_saveexec_b32 s2, s2
; %bb.1612:
	v_add_f32_e64 v3, 0x46800000, |v2|
; %bb.1613:
	s_or_b32 exec_lo, exec_lo, s2
                                        ; implicit-def: $vgpr16
.LBB464_1614:
	s_and_not1_saveexec_b32 s1, s1
; %bb.1615:
	v_mov_b32_e32 v3, 0x7f
	v_cmp_lt_u32_e32 vcc_lo, 0x7f800000, v16
	s_delay_alu instid0(VALU_DEP_2)
	v_cndmask_b32_e32 v3, 0x7e, v3, vcc_lo
; %bb.1616:
	s_or_b32 exec_lo, exec_lo, s1
	v_lshrrev_b32_e32 v2, 24, v2
	s_delay_alu instid0(VALU_DEP_1)
	v_and_or_b32 v2, 0x80, v2, v3
	global_store_b8 v[12:13], v2, off
.LBB464_1617:
	s_mov_b32 s1, 0
.LBB464_1618:
	s_delay_alu instid0(SALU_CYCLE_1)
	s_and_not1_b32 vcc_lo, exec_lo, s1
	s_cbranch_vccnz .LBB464_1628
; %bb.1619:
	v_cvt_f32_f64_e32 v2, v[0:1]
	s_mov_b32 s1, exec_lo
                                        ; implicit-def: $vgpr3
	s_delay_alu instid0(VALU_DEP_1) | instskip(NEXT) | instid1(VALU_DEP_1)
	v_and_b32_e32 v16, 0x7fffffff, v2
	v_cmpx_gt_u32_e32 0x47800000, v16
	s_xor_b32 s1, exec_lo, s1
	s_cbranch_execz .LBB464_1625
; %bb.1620:
	s_mov_b32 s2, exec_lo
                                        ; implicit-def: $vgpr3
	v_cmpx_lt_u32_e32 0x387fffff, v16
	s_xor_b32 s2, exec_lo, s2
; %bb.1621:
	v_bfe_u32 v3, v2, 21, 1
	s_delay_alu instid0(VALU_DEP_1) | instskip(NEXT) | instid1(VALU_DEP_1)
	v_add3_u32 v3, v2, v3, 0x80fffff
	v_lshrrev_b32_e32 v3, 21, v3
; %bb.1622:
	s_and_not1_saveexec_b32 s2, s2
; %bb.1623:
	v_add_f32_e64 v3, 0x43000000, |v2|
; %bb.1624:
	s_or_b32 exec_lo, exec_lo, s2
                                        ; implicit-def: $vgpr16
.LBB464_1625:
	s_and_not1_saveexec_b32 s1, s1
; %bb.1626:
	v_mov_b32_e32 v3, 0x7f
	v_cmp_lt_u32_e32 vcc_lo, 0x7f800000, v16
	s_delay_alu instid0(VALU_DEP_2)
	v_cndmask_b32_e32 v3, 0x7c, v3, vcc_lo
; %bb.1627:
	s_or_b32 exec_lo, exec_lo, s1
	v_lshrrev_b32_e32 v2, 24, v2
	s_delay_alu instid0(VALU_DEP_1)
	v_and_or_b32 v2, 0x80, v2, v3
	global_store_b8 v[12:13], v2, off
.LBB464_1628:
	s_mov_b32 s1, 0
	s_mov_b32 s2, -1
.LBB464_1629:
	s_and_not1_b32 vcc_lo, exec_lo, s1
	s_mov_b32 s1, 0
	s_cbranch_vccnz .LBB464_1636
; %bb.1630:
	v_cmp_lt_i16_e32 vcc_lo, 14, v14
	s_mov_b32 s1, -1
	s_cbranch_vccz .LBB464_1634
; %bb.1631:
	v_cmp_eq_u16_e32 vcc_lo, 15, v14
	s_mov_b32 s0, -1
	s_cbranch_vccz .LBB464_1633
; %bb.1632:
	v_cvt_f32_f64_e32 v2, v[0:1]
	s_mov_b32 s0, 0
	s_mov_b32 s2, -1
	s_delay_alu instid0(VALU_DEP_1) | instskip(SKIP_1) | instid1(VALU_DEP_2)
	v_bfe_u32 v3, v2, 16, 1
	v_cmp_o_f32_e32 vcc_lo, v2, v2
	v_add3_u32 v3, v2, v3, 0x7fff
	s_delay_alu instid0(VALU_DEP_1) | instskip(NEXT) | instid1(VALU_DEP_1)
	v_lshrrev_b32_e32 v3, 16, v3
	v_cndmask_b32_e32 v2, 0x7fc0, v3, vcc_lo
	global_store_b16 v[12:13], v2, off
.LBB464_1633:
	s_mov_b32 s1, 0
.LBB464_1634:
	s_delay_alu instid0(SALU_CYCLE_1)
	s_and_b32 vcc_lo, exec_lo, s1
	s_mov_b32 s1, 0
	s_cbranch_vccz .LBB464_1636
; %bb.1635:
	v_cmp_ne_u16_e64 s0, 11, v14
	s_mov_b32 s1, -1
.LBB464_1636:
	s_delay_alu instid0(VALU_DEP_1)
	s_and_b32 vcc_lo, exec_lo, s0
	s_cbranch_vccnz .LBB464_2047
; %bb.1637:
	s_and_not1_b32 vcc_lo, exec_lo, s1
	s_cbranch_vccnz .LBB464_1639
.LBB464_1638:
	v_cmp_neq_f64_e32 vcc_lo, 0, v[0:1]
	s_mov_b32 s2, -1
	v_cndmask_b32_e64 v2, 0, 1, vcc_lo
	global_store_b8 v[12:13], v2, off
.LBB464_1639:
	s_mov_b32 s0, 0
	s_branch .LBB464_1641
.LBB464_1640:
	s_mov_b32 s0, -1
	s_mov_b32 s2, 0
.LBB464_1641:
	s_and_b32 vcc_lo, exec_lo, s0
	s_cbranch_vccz .LBB464_1680
; %bb.1642:
	v_cmp_gt_i16_e32 vcc_lo, 5, v14
	s_mov_b32 s0, -1
	s_cbranch_vccnz .LBB464_1663
; %bb.1643:
	v_cmp_gt_i16_e32 vcc_lo, 8, v14
	s_cbranch_vccnz .LBB464_1653
; %bb.1644:
	v_cmp_gt_i16_e32 vcc_lo, 9, v14
	s_cbranch_vccnz .LBB464_1650
; %bb.1645:
	v_cmp_lt_i16_e32 vcc_lo, 9, v14
	s_cbranch_vccz .LBB464_1647
; %bb.1646:
	v_mov_b32_e32 v2, 0
	s_mov_b32 s0, 0
	s_delay_alu instid0(VALU_DEP_1)
	v_mov_b32_e32 v3, v2
	global_store_b128 v[12:13], v[0:3], off
.LBB464_1647:
	s_and_not1_b32 vcc_lo, exec_lo, s0
	s_cbranch_vccnz .LBB464_1649
; %bb.1648:
	v_cvt_f32_f64_e32 v2, v[0:1]
	v_mov_b32_e32 v3, 0
	global_store_b64 v[12:13], v[2:3], off
.LBB464_1649:
	s_mov_b32 s0, 0
.LBB464_1650:
	s_delay_alu instid0(SALU_CYCLE_1)
	s_and_not1_b32 vcc_lo, exec_lo, s0
	s_cbranch_vccnz .LBB464_1652
; %bb.1651:
	v_cvt_f32_f64_e32 v2, v[0:1]
	s_delay_alu instid0(VALU_DEP_1) | instskip(NEXT) | instid1(VALU_DEP_1)
	v_cvt_f16_f32_e32 v2, v2
	v_and_b32_e32 v2, 0xffff, v2
	global_store_b32 v[12:13], v2, off
.LBB464_1652:
	s_mov_b32 s0, 0
.LBB464_1653:
	s_delay_alu instid0(SALU_CYCLE_1)
	s_and_not1_b32 vcc_lo, exec_lo, s0
	s_cbranch_vccnz .LBB464_1662
; %bb.1654:
	v_cmp_gt_i16_e32 vcc_lo, 6, v14
	s_mov_b32 s0, -1
	s_cbranch_vccnz .LBB464_1660
; %bb.1655:
	v_cmp_lt_i16_e32 vcc_lo, 6, v14
	s_cbranch_vccz .LBB464_1657
; %bb.1656:
	s_mov_b32 s0, 0
	global_store_b64 v[12:13], v[0:1], off
.LBB464_1657:
	s_and_not1_b32 vcc_lo, exec_lo, s0
	s_cbranch_vccnz .LBB464_1659
; %bb.1658:
	v_cvt_f32_f64_e32 v2, v[0:1]
	global_store_b32 v[12:13], v2, off
.LBB464_1659:
	s_mov_b32 s0, 0
.LBB464_1660:
	s_delay_alu instid0(SALU_CYCLE_1)
	s_and_not1_b32 vcc_lo, exec_lo, s0
	s_cbranch_vccnz .LBB464_1662
; %bb.1661:
	v_cvt_f32_f64_e32 v2, v[0:1]
	s_delay_alu instid0(VALU_DEP_1)
	v_cvt_f16_f32_e32 v2, v2
	global_store_b16 v[12:13], v2, off
.LBB464_1662:
	s_mov_b32 s0, 0
.LBB464_1663:
	s_delay_alu instid0(SALU_CYCLE_1)
	s_and_not1_b32 vcc_lo, exec_lo, s0
	s_cbranch_vccnz .LBB464_1679
; %bb.1664:
	v_cmp_gt_i16_e32 vcc_lo, 2, v14
	s_mov_b32 s0, -1
	s_cbranch_vccnz .LBB464_1674
; %bb.1665:
	v_cmp_gt_i16_e32 vcc_lo, 3, v14
	s_cbranch_vccnz .LBB464_1671
; %bb.1666:
	v_cmp_lt_i16_e32 vcc_lo, 3, v14
	s_cbranch_vccz .LBB464_1668
; %bb.1667:
	v_trunc_f64_e32 v[2:3], v[0:1]
	s_mov_b32 s0, 0
	s_delay_alu instid0(VALU_DEP_1) | instskip(NEXT) | instid1(VALU_DEP_1)
	v_ldexp_f64 v[16:17], v[2:3], 0xffffffe0
	v_floor_f64_e32 v[16:17], v[16:17]
	s_delay_alu instid0(VALU_DEP_1) | instskip(SKIP_1) | instid1(VALU_DEP_2)
	v_fma_f64 v[2:3], 0xc1f00000, v[16:17], v[2:3]
	v_cvt_i32_f64_e32 v17, v[16:17]
	v_cvt_u32_f64_e32 v16, v[2:3]
	global_store_b64 v[12:13], v[16:17], off
.LBB464_1668:
	s_and_not1_b32 vcc_lo, exec_lo, s0
	s_cbranch_vccnz .LBB464_1670
; %bb.1669:
	v_cvt_i32_f64_e32 v2, v[0:1]
	global_store_b32 v[12:13], v2, off
.LBB464_1670:
	s_mov_b32 s0, 0
.LBB464_1671:
	s_delay_alu instid0(SALU_CYCLE_1)
	s_and_not1_b32 vcc_lo, exec_lo, s0
	s_cbranch_vccnz .LBB464_1673
; %bb.1672:
	v_cvt_i32_f64_e32 v2, v[0:1]
	global_store_b16 v[12:13], v2, off
.LBB464_1673:
	s_mov_b32 s0, 0
.LBB464_1674:
	s_delay_alu instid0(SALU_CYCLE_1)
	s_and_not1_b32 vcc_lo, exec_lo, s0
	s_cbranch_vccnz .LBB464_1679
; %bb.1675:
	v_cmp_lt_i16_e32 vcc_lo, 0, v14
	s_mov_b32 s0, -1
	s_cbranch_vccz .LBB464_1677
; %bb.1676:
	v_cvt_i32_f64_e32 v2, v[0:1]
	s_mov_b32 s0, 0
	global_store_b8 v[12:13], v2, off
.LBB464_1677:
	s_and_not1_b32 vcc_lo, exec_lo, s0
	s_cbranch_vccnz .LBB464_1679
; %bb.1678:
	v_trunc_f64_e32 v[0:1], v[0:1]
	s_delay_alu instid0(VALU_DEP_1) | instskip(NEXT) | instid1(VALU_DEP_1)
	v_ldexp_f64 v[2:3], v[0:1], 0xffffffe0
	v_floor_f64_e32 v[2:3], v[2:3]
	s_delay_alu instid0(VALU_DEP_1) | instskip(NEXT) | instid1(VALU_DEP_1)
	v_fma_f64 v[0:1], 0xc1f00000, v[2:3], v[0:1]
	v_cvt_u32_f64_e32 v0, v[0:1]
	global_store_b8 v[12:13], v0, off
.LBB464_1679:
	s_mov_b32 s2, -1
.LBB464_1680:
	s_delay_alu instid0(SALU_CYCLE_1)
	s_and_not1_b32 vcc_lo, exec_lo, s2
	s_cbranch_vccnz .LBB464_1995
; %bb.1681:
	v_max_f64 v[0:1], v[4:5], v[4:5]
	v_cmp_u_f64_e32 vcc_lo, v[4:5], v[4:5]
	s_lshl_b32 s2, s8, 7
	v_cmp_gt_i16_e64 s0, 11, v14
	s_delay_alu instid0(VALU_DEP_3) | instskip(NEXT) | instid1(VALU_DEP_1)
	v_min_f64 v[0:1], v[0:1], v[10:11]
	v_dual_cndmask_b32 v0, v0, v4 :: v_dual_add_nc_u32 v15, s2, v15
	s_delay_alu instid0(VALU_DEP_1) | instskip(SKIP_1) | instid1(VALU_DEP_4)
	v_ashrrev_i32_e32 v2, 31, v15
	v_add_co_u32 v12, s1, s4, v15
	v_cndmask_b32_e32 v1, v1, v5, vcc_lo
	s_and_b32 vcc_lo, exec_lo, s0
	s_delay_alu instid0(VALU_DEP_3)
	v_add_co_ci_u32_e64 v13, s1, s5, v2, s1
	s_cbranch_vccnz .LBB464_1759
; %bb.1682:
	v_cmp_lt_i16_e32 vcc_lo, 25, v14
	s_mov_b32 s7, -1
	s_mov_b32 s1, 0
	s_mov_b32 s6, 0
	;; [unrolled: 1-line block ×3, first 2 shown]
	s_cbranch_vccz .LBB464_1715
; %bb.1683:
	v_cmp_lt_i16_e32 vcc_lo, 28, v14
	s_cbranch_vccz .LBB464_1698
; %bb.1684:
	v_cmp_lt_i16_e32 vcc_lo, 43, v14
	;; [unrolled: 3-line block ×3, first 2 shown]
	s_cbranch_vccz .LBB464_1688
; %bb.1686:
	v_cmp_eq_u16_e32 vcc_lo, 46, v14
	s_mov_b32 s0, -1
	s_mov_b32 s7, 0
	s_cbranch_vccz .LBB464_1688
; %bb.1687:
	v_cvt_f32_f64_e32 v2, v[0:1]
	s_mov_b32 s0, 0
	s_mov_b32 s6, -1
	s_delay_alu instid0(VALU_DEP_1) | instskip(SKIP_1) | instid1(VALU_DEP_2)
	v_bfe_u32 v3, v2, 16, 1
	v_cmp_o_f32_e32 vcc_lo, v2, v2
	v_add3_u32 v3, v2, v3, 0x7fff
	s_delay_alu instid0(VALU_DEP_1) | instskip(NEXT) | instid1(VALU_DEP_1)
	v_lshrrev_b32_e32 v3, 16, v3
	v_cndmask_b32_e32 v2, 0x7fc0, v3, vcc_lo
	global_store_b32 v[12:13], v2, off
.LBB464_1688:
	s_and_b32 vcc_lo, exec_lo, s7
	s_cbranch_vccz .LBB464_1693
; %bb.1689:
	v_cmp_eq_u16_e32 vcc_lo, 44, v14
	s_mov_b32 s0, -1
	s_cbranch_vccz .LBB464_1693
; %bb.1690:
	v_cvt_f32_f64_e32 v2, v[0:1]
	v_mov_b32_e32 v3, 0xff
	s_mov_b32 s6, exec_lo
	s_delay_alu instid0(VALU_DEP_2) | instskip(NEXT) | instid1(VALU_DEP_1)
	v_bfe_u32 v4, v2, 23, 8
	v_cmpx_ne_u32_e32 0xff, v4
; %bb.1691:
	v_and_b32_e32 v3, 0x400000, v2
	v_and_or_b32 v4, 0x3fffff, v2, v4
	v_lshrrev_b32_e32 v2, 23, v2
	s_delay_alu instid0(VALU_DEP_3) | instskip(NEXT) | instid1(VALU_DEP_3)
	v_cmp_ne_u32_e32 vcc_lo, 0, v3
	v_cmp_ne_u32_e64 s0, 0, v4
	s_delay_alu instid0(VALU_DEP_1) | instskip(NEXT) | instid1(SALU_CYCLE_1)
	s_and_b32 s0, vcc_lo, s0
	v_cndmask_b32_e64 v3, 0, 1, s0
	s_delay_alu instid0(VALU_DEP_1)
	v_add_nc_u32_e32 v3, v2, v3
; %bb.1692:
	s_or_b32 exec_lo, exec_lo, s6
	s_mov_b32 s0, 0
	s_mov_b32 s6, -1
	global_store_b8 v[12:13], v3, off
.LBB464_1693:
	s_mov_b32 s7, 0
.LBB464_1694:
	s_delay_alu instid0(SALU_CYCLE_1)
	s_and_b32 vcc_lo, exec_lo, s7
	s_cbranch_vccz .LBB464_1697
; %bb.1695:
	v_cmp_eq_u16_e32 vcc_lo, 29, v14
	s_mov_b32 s0, -1
	s_cbranch_vccz .LBB464_1697
; %bb.1696:
	v_trunc_f64_e32 v[2:3], v[0:1]
	s_mov_b32 s0, 0
	s_mov_b32 s6, -1
	s_delay_alu instid0(VALU_DEP_1) | instskip(NEXT) | instid1(VALU_DEP_1)
	v_ldexp_f64 v[4:5], v[2:3], 0xffffffe0
	v_floor_f64_e32 v[4:5], v[4:5]
	s_delay_alu instid0(VALU_DEP_1) | instskip(SKIP_1) | instid1(VALU_DEP_2)
	v_fma_f64 v[2:3], 0xc1f00000, v[4:5], v[2:3]
	v_cvt_u32_f64_e32 v4, v[4:5]
	v_cvt_u32_f64_e32 v3, v[2:3]
	global_store_b64 v[12:13], v[3:4], off
.LBB464_1697:
	s_mov_b32 s7, 0
.LBB464_1698:
	s_delay_alu instid0(SALU_CYCLE_1)
	s_and_b32 vcc_lo, exec_lo, s7
	s_cbranch_vccz .LBB464_1714
; %bb.1699:
	v_cmp_gt_i16_e32 vcc_lo, 27, v14
	s_mov_b32 s6, -1
	s_cbranch_vccnz .LBB464_1705
; %bb.1700:
	v_cvt_u32_f64_e32 v2, v[0:1]
	v_cmp_lt_i16_e32 vcc_lo, 27, v14
	s_cbranch_vccz .LBB464_1702
; %bb.1701:
	s_mov_b32 s6, 0
	global_store_b32 v[12:13], v2, off
.LBB464_1702:
	s_and_not1_b32 vcc_lo, exec_lo, s6
	s_cbranch_vccnz .LBB464_1704
; %bb.1703:
	global_store_b16 v[12:13], v2, off
.LBB464_1704:
	s_mov_b32 s6, 0
.LBB464_1705:
	s_delay_alu instid0(SALU_CYCLE_1)
	s_and_not1_b32 vcc_lo, exec_lo, s6
	s_cbranch_vccnz .LBB464_1713
; %bb.1706:
	v_cvt_f32_f64_e32 v2, v[0:1]
	v_mov_b32_e32 v4, 0x80
	s_mov_b32 s6, exec_lo
	s_delay_alu instid0(VALU_DEP_2) | instskip(NEXT) | instid1(VALU_DEP_1)
	v_and_b32_e32 v3, 0x7fffffff, v2
	v_cmpx_gt_u32_e32 0x43800000, v3
	s_cbranch_execz .LBB464_1712
; %bb.1707:
	v_cmp_lt_u32_e32 vcc_lo, 0x3bffffff, v3
	s_mov_b32 s7, 0
                                        ; implicit-def: $vgpr3
	s_and_saveexec_b32 s8, vcc_lo
	s_delay_alu instid0(SALU_CYCLE_1)
	s_xor_b32 s8, exec_lo, s8
	s_cbranch_execz .LBB464_2051
; %bb.1708:
	v_bfe_u32 v3, v2, 20, 1
	s_mov_b32 s7, exec_lo
	s_delay_alu instid0(VALU_DEP_1) | instskip(NEXT) | instid1(VALU_DEP_1)
	v_add3_u32 v3, v2, v3, 0x487ffff
	v_lshrrev_b32_e32 v3, 20, v3
	s_or_saveexec_b32 s8, s8
                                        ; implicit-def: $sgpr9
	s_delay_alu instid0(SALU_CYCLE_1)
	s_xor_b32 exec_lo, exec_lo, s8
	s_cbranch_execnz .LBB464_2052
.LBB464_1709:
	s_or_b32 exec_lo, exec_lo, s8
	v_mov_b32_e32 v4, s9
	s_and_saveexec_b32 s8, s7
.LBB464_1710:
	v_lshrrev_b32_e32 v2, 24, v2
	s_delay_alu instid0(VALU_DEP_1)
	v_and_or_b32 v4, 0x80, v2, v3
.LBB464_1711:
	s_or_b32 exec_lo, exec_lo, s8
.LBB464_1712:
	s_delay_alu instid0(SALU_CYCLE_1)
	s_or_b32 exec_lo, exec_lo, s6
	global_store_b8 v[12:13], v4, off
.LBB464_1713:
	s_mov_b32 s6, -1
.LBB464_1714:
	s_mov_b32 s7, 0
.LBB464_1715:
	s_delay_alu instid0(SALU_CYCLE_1)
	s_and_b32 vcc_lo, exec_lo, s7
	s_cbranch_vccz .LBB464_1755
; %bb.1716:
	v_cmp_lt_i16_e32 vcc_lo, 22, v14
	s_mov_b32 s1, -1
	s_cbranch_vccz .LBB464_1748
; %bb.1717:
	v_cmp_gt_i16_e32 vcc_lo, 24, v14
	s_cbranch_vccnz .LBB464_1737
; %bb.1718:
	v_cmp_lt_i16_e32 vcc_lo, 24, v14
	s_cbranch_vccz .LBB464_1726
; %bb.1719:
	v_cvt_f32_f64_e32 v2, v[0:1]
	v_mov_b32_e32 v4, 0x80
	s_mov_b32 s1, exec_lo
	s_delay_alu instid0(VALU_DEP_2) | instskip(NEXT) | instid1(VALU_DEP_1)
	v_and_b32_e32 v3, 0x7fffffff, v2
	v_cmpx_gt_u32_e32 0x47800000, v3
	s_cbranch_execz .LBB464_1725
; %bb.1720:
	v_cmp_lt_u32_e32 vcc_lo, 0x37ffffff, v3
	s_mov_b32 s6, 0
                                        ; implicit-def: $vgpr3
	s_and_saveexec_b32 s7, vcc_lo
	s_delay_alu instid0(SALU_CYCLE_1)
	s_xor_b32 s7, exec_lo, s7
	s_cbranch_execz .LBB464_2057
; %bb.1721:
	v_bfe_u32 v3, v2, 21, 1
	s_mov_b32 s6, exec_lo
	s_delay_alu instid0(VALU_DEP_1) | instskip(NEXT) | instid1(VALU_DEP_1)
	v_add3_u32 v3, v2, v3, 0x88fffff
	v_lshrrev_b32_e32 v3, 21, v3
	s_or_saveexec_b32 s7, s7
                                        ; implicit-def: $sgpr8
	s_delay_alu instid0(SALU_CYCLE_1)
	s_xor_b32 exec_lo, exec_lo, s7
	s_cbranch_execnz .LBB464_2058
.LBB464_1722:
	s_or_b32 exec_lo, exec_lo, s7
	v_mov_b32_e32 v4, s8
	s_and_saveexec_b32 s7, s6
.LBB464_1723:
	v_lshrrev_b32_e32 v2, 24, v2
	s_delay_alu instid0(VALU_DEP_1)
	v_and_or_b32 v4, 0x80, v2, v3
.LBB464_1724:
	s_or_b32 exec_lo, exec_lo, s7
.LBB464_1725:
	s_delay_alu instid0(SALU_CYCLE_1)
	s_or_b32 exec_lo, exec_lo, s1
	s_mov_b32 s1, 0
	global_store_b8 v[12:13], v4, off
.LBB464_1726:
	s_and_b32 vcc_lo, exec_lo, s1
	s_cbranch_vccz .LBB464_1736
; %bb.1727:
	v_cvt_f32_f64_e32 v2, v[0:1]
	s_mov_b32 s1, exec_lo
                                        ; implicit-def: $vgpr3
	s_delay_alu instid0(VALU_DEP_1) | instskip(NEXT) | instid1(VALU_DEP_1)
	v_and_b32_e32 v4, 0x7fffffff, v2
	v_cmpx_gt_u32_e32 0x43f00000, v4
	s_xor_b32 s1, exec_lo, s1
	s_cbranch_execz .LBB464_1733
; %bb.1728:
	s_mov_b32 s6, exec_lo
                                        ; implicit-def: $vgpr3
	v_cmpx_lt_u32_e32 0x3c7fffff, v4
	s_xor_b32 s6, exec_lo, s6
; %bb.1729:
	v_bfe_u32 v3, v2, 20, 1
	s_delay_alu instid0(VALU_DEP_1) | instskip(NEXT) | instid1(VALU_DEP_1)
	v_add3_u32 v3, v2, v3, 0x407ffff
	v_and_b32_e32 v4, 0xff00000, v3
	v_lshrrev_b32_e32 v3, 20, v3
	s_delay_alu instid0(VALU_DEP_2) | instskip(NEXT) | instid1(VALU_DEP_2)
	v_cmp_ne_u32_e32 vcc_lo, 0x7f00000, v4
	v_cndmask_b32_e32 v3, 0x7e, v3, vcc_lo
; %bb.1730:
	s_and_not1_saveexec_b32 s6, s6
; %bb.1731:
	v_add_f32_e64 v3, 0x46800000, |v2|
; %bb.1732:
	s_or_b32 exec_lo, exec_lo, s6
                                        ; implicit-def: $vgpr4
.LBB464_1733:
	s_and_not1_saveexec_b32 s1, s1
; %bb.1734:
	v_mov_b32_e32 v3, 0x7f
	v_cmp_lt_u32_e32 vcc_lo, 0x7f800000, v4
	s_delay_alu instid0(VALU_DEP_2)
	v_cndmask_b32_e32 v3, 0x7e, v3, vcc_lo
; %bb.1735:
	s_or_b32 exec_lo, exec_lo, s1
	v_lshrrev_b32_e32 v2, 24, v2
	s_delay_alu instid0(VALU_DEP_1)
	v_and_or_b32 v2, 0x80, v2, v3
	global_store_b8 v[12:13], v2, off
.LBB464_1736:
	s_mov_b32 s1, 0
.LBB464_1737:
	s_delay_alu instid0(SALU_CYCLE_1)
	s_and_not1_b32 vcc_lo, exec_lo, s1
	s_cbranch_vccnz .LBB464_1747
; %bb.1738:
	v_cvt_f32_f64_e32 v2, v[0:1]
	s_mov_b32 s1, exec_lo
                                        ; implicit-def: $vgpr3
	s_delay_alu instid0(VALU_DEP_1) | instskip(NEXT) | instid1(VALU_DEP_1)
	v_and_b32_e32 v4, 0x7fffffff, v2
	v_cmpx_gt_u32_e32 0x47800000, v4
	s_xor_b32 s1, exec_lo, s1
	s_cbranch_execz .LBB464_1744
; %bb.1739:
	s_mov_b32 s6, exec_lo
                                        ; implicit-def: $vgpr3
	v_cmpx_lt_u32_e32 0x387fffff, v4
	s_xor_b32 s6, exec_lo, s6
; %bb.1740:
	v_bfe_u32 v3, v2, 21, 1
	s_delay_alu instid0(VALU_DEP_1) | instskip(NEXT) | instid1(VALU_DEP_1)
	v_add3_u32 v3, v2, v3, 0x80fffff
	v_lshrrev_b32_e32 v3, 21, v3
; %bb.1741:
	s_and_not1_saveexec_b32 s6, s6
; %bb.1742:
	v_add_f32_e64 v3, 0x43000000, |v2|
; %bb.1743:
	s_or_b32 exec_lo, exec_lo, s6
                                        ; implicit-def: $vgpr4
.LBB464_1744:
	s_and_not1_saveexec_b32 s1, s1
; %bb.1745:
	v_mov_b32_e32 v3, 0x7f
	v_cmp_lt_u32_e32 vcc_lo, 0x7f800000, v4
	s_delay_alu instid0(VALU_DEP_2)
	v_cndmask_b32_e32 v3, 0x7c, v3, vcc_lo
; %bb.1746:
	s_or_b32 exec_lo, exec_lo, s1
	v_lshrrev_b32_e32 v2, 24, v2
	s_delay_alu instid0(VALU_DEP_1)
	v_and_or_b32 v2, 0x80, v2, v3
	global_store_b8 v[12:13], v2, off
.LBB464_1747:
	s_mov_b32 s1, 0
	s_mov_b32 s6, -1
.LBB464_1748:
	s_and_not1_b32 vcc_lo, exec_lo, s1
	s_mov_b32 s1, 0
	s_cbranch_vccnz .LBB464_1755
; %bb.1749:
	v_cmp_lt_i16_e32 vcc_lo, 14, v14
	s_mov_b32 s1, -1
	s_cbranch_vccz .LBB464_1753
; %bb.1750:
	v_cmp_eq_u16_e32 vcc_lo, 15, v14
	s_mov_b32 s0, -1
	s_cbranch_vccz .LBB464_1752
; %bb.1751:
	v_cvt_f32_f64_e32 v2, v[0:1]
	s_mov_b32 s0, 0
	s_mov_b32 s6, -1
	s_delay_alu instid0(VALU_DEP_1) | instskip(SKIP_1) | instid1(VALU_DEP_2)
	v_bfe_u32 v3, v2, 16, 1
	v_cmp_o_f32_e32 vcc_lo, v2, v2
	v_add3_u32 v3, v2, v3, 0x7fff
	s_delay_alu instid0(VALU_DEP_1) | instskip(NEXT) | instid1(VALU_DEP_1)
	v_lshrrev_b32_e32 v3, 16, v3
	v_cndmask_b32_e32 v2, 0x7fc0, v3, vcc_lo
	global_store_b16 v[12:13], v2, off
.LBB464_1752:
	s_mov_b32 s1, 0
.LBB464_1753:
	s_delay_alu instid0(SALU_CYCLE_1)
	s_and_b32 vcc_lo, exec_lo, s1
	s_mov_b32 s1, 0
	s_cbranch_vccz .LBB464_1755
; %bb.1754:
	v_cmp_ne_u16_e64 s0, 11, v14
	s_mov_b32 s1, -1
.LBB464_1755:
	s_delay_alu instid0(VALU_DEP_1)
	s_and_b32 vcc_lo, exec_lo, s0
	s_cbranch_vccnz .LBB464_2055
; %bb.1756:
	s_and_not1_b32 vcc_lo, exec_lo, s1
	s_cbranch_vccnz .LBB464_1758
.LBB464_1757:
	v_cmp_neq_f64_e32 vcc_lo, 0, v[0:1]
	s_mov_b32 s6, -1
	v_cndmask_b32_e64 v2, 0, 1, vcc_lo
	global_store_b8 v[12:13], v2, off
.LBB464_1758:
	s_mov_b32 s0, 0
	s_branch .LBB464_1760
.LBB464_1759:
	s_mov_b32 s0, -1
	s_mov_b32 s6, 0
.LBB464_1760:
	s_and_b32 vcc_lo, exec_lo, s0
	s_cbranch_vccz .LBB464_1799
; %bb.1761:
	v_cmp_gt_i16_e32 vcc_lo, 5, v14
	s_mov_b32 s0, -1
	s_cbranch_vccnz .LBB464_1782
; %bb.1762:
	v_cmp_gt_i16_e32 vcc_lo, 8, v14
	s_cbranch_vccnz .LBB464_1772
; %bb.1763:
	v_cmp_gt_i16_e32 vcc_lo, 9, v14
	s_cbranch_vccnz .LBB464_1769
; %bb.1764:
	v_cmp_lt_i16_e32 vcc_lo, 9, v14
	s_cbranch_vccz .LBB464_1766
; %bb.1765:
	v_mov_b32_e32 v2, 0
	s_mov_b32 s0, 0
	s_delay_alu instid0(VALU_DEP_1)
	v_mov_b32_e32 v3, v2
	global_store_b128 v[12:13], v[0:3], off
.LBB464_1766:
	s_and_not1_b32 vcc_lo, exec_lo, s0
	s_cbranch_vccnz .LBB464_1768
; %bb.1767:
	v_cvt_f32_f64_e32 v2, v[0:1]
	v_mov_b32_e32 v3, 0
	global_store_b64 v[12:13], v[2:3], off
.LBB464_1768:
	s_mov_b32 s0, 0
.LBB464_1769:
	s_delay_alu instid0(SALU_CYCLE_1)
	s_and_not1_b32 vcc_lo, exec_lo, s0
	s_cbranch_vccnz .LBB464_1771
; %bb.1770:
	v_cvt_f32_f64_e32 v2, v[0:1]
	s_delay_alu instid0(VALU_DEP_1) | instskip(NEXT) | instid1(VALU_DEP_1)
	v_cvt_f16_f32_e32 v2, v2
	v_and_b32_e32 v2, 0xffff, v2
	global_store_b32 v[12:13], v2, off
.LBB464_1771:
	s_mov_b32 s0, 0
.LBB464_1772:
	s_delay_alu instid0(SALU_CYCLE_1)
	s_and_not1_b32 vcc_lo, exec_lo, s0
	s_cbranch_vccnz .LBB464_1781
; %bb.1773:
	v_cmp_gt_i16_e32 vcc_lo, 6, v14
	s_mov_b32 s0, -1
	s_cbranch_vccnz .LBB464_1779
; %bb.1774:
	v_cmp_lt_i16_e32 vcc_lo, 6, v14
	s_cbranch_vccz .LBB464_1776
; %bb.1775:
	s_mov_b32 s0, 0
	global_store_b64 v[12:13], v[0:1], off
.LBB464_1776:
	s_and_not1_b32 vcc_lo, exec_lo, s0
	s_cbranch_vccnz .LBB464_1778
; %bb.1777:
	v_cvt_f32_f64_e32 v2, v[0:1]
	global_store_b32 v[12:13], v2, off
.LBB464_1778:
	s_mov_b32 s0, 0
.LBB464_1779:
	s_delay_alu instid0(SALU_CYCLE_1)
	s_and_not1_b32 vcc_lo, exec_lo, s0
	s_cbranch_vccnz .LBB464_1781
; %bb.1780:
	v_cvt_f32_f64_e32 v2, v[0:1]
	s_delay_alu instid0(VALU_DEP_1)
	v_cvt_f16_f32_e32 v2, v2
	global_store_b16 v[12:13], v2, off
.LBB464_1781:
	s_mov_b32 s0, 0
.LBB464_1782:
	s_delay_alu instid0(SALU_CYCLE_1)
	s_and_not1_b32 vcc_lo, exec_lo, s0
	s_cbranch_vccnz .LBB464_1798
; %bb.1783:
	v_cmp_gt_i16_e32 vcc_lo, 2, v14
	s_mov_b32 s0, -1
	s_cbranch_vccnz .LBB464_1793
; %bb.1784:
	v_cmp_gt_i16_e32 vcc_lo, 3, v14
	s_cbranch_vccnz .LBB464_1790
; %bb.1785:
	v_cmp_lt_i16_e32 vcc_lo, 3, v14
	s_cbranch_vccz .LBB464_1787
; %bb.1786:
	v_trunc_f64_e32 v[2:3], v[0:1]
	s_mov_b32 s0, 0
	s_delay_alu instid0(VALU_DEP_1) | instskip(NEXT) | instid1(VALU_DEP_1)
	v_ldexp_f64 v[4:5], v[2:3], 0xffffffe0
	v_floor_f64_e32 v[4:5], v[4:5]
	s_delay_alu instid0(VALU_DEP_1) | instskip(SKIP_1) | instid1(VALU_DEP_2)
	v_fma_f64 v[2:3], 0xc1f00000, v[4:5], v[2:3]
	v_cvt_i32_f64_e32 v4, v[4:5]
	v_cvt_u32_f64_e32 v3, v[2:3]
	global_store_b64 v[12:13], v[3:4], off
.LBB464_1787:
	s_and_not1_b32 vcc_lo, exec_lo, s0
	s_cbranch_vccnz .LBB464_1789
; %bb.1788:
	v_cvt_i32_f64_e32 v2, v[0:1]
	global_store_b32 v[12:13], v2, off
.LBB464_1789:
	s_mov_b32 s0, 0
.LBB464_1790:
	s_delay_alu instid0(SALU_CYCLE_1)
	s_and_not1_b32 vcc_lo, exec_lo, s0
	s_cbranch_vccnz .LBB464_1792
; %bb.1791:
	v_cvt_i32_f64_e32 v2, v[0:1]
	global_store_b16 v[12:13], v2, off
.LBB464_1792:
	s_mov_b32 s0, 0
.LBB464_1793:
	s_delay_alu instid0(SALU_CYCLE_1)
	s_and_not1_b32 vcc_lo, exec_lo, s0
	s_cbranch_vccnz .LBB464_1798
; %bb.1794:
	v_cmp_lt_i16_e32 vcc_lo, 0, v14
	s_mov_b32 s0, -1
	s_cbranch_vccz .LBB464_1796
; %bb.1795:
	v_cvt_i32_f64_e32 v2, v[0:1]
	s_mov_b32 s0, 0
	global_store_b8 v[12:13], v2, off
.LBB464_1796:
	s_and_not1_b32 vcc_lo, exec_lo, s0
	s_cbranch_vccnz .LBB464_1798
; %bb.1797:
	v_trunc_f64_e32 v[0:1], v[0:1]
	s_delay_alu instid0(VALU_DEP_1) | instskip(NEXT) | instid1(VALU_DEP_1)
	v_ldexp_f64 v[2:3], v[0:1], 0xffffffe0
	v_floor_f64_e32 v[2:3], v[2:3]
	s_delay_alu instid0(VALU_DEP_1) | instskip(NEXT) | instid1(VALU_DEP_1)
	v_fma_f64 v[0:1], 0xc1f00000, v[2:3], v[0:1]
	v_cvt_u32_f64_e32 v0, v[0:1]
	global_store_b8 v[12:13], v0, off
.LBB464_1798:
	s_mov_b32 s6, -1
.LBB464_1799:
	s_delay_alu instid0(SALU_CYCLE_1)
	s_and_not1_b32 vcc_lo, exec_lo, s6
	s_cbranch_vccnz .LBB464_1995
; %bb.1800:
	v_max_f64 v[0:1], v[6:7], v[6:7]
	v_cmp_u_f64_e32 vcc_lo, v[6:7], v[6:7]
	v_add_nc_u32_e32 v12, s2, v15
	v_cmp_gt_i16_e64 s0, 11, v14
	s_delay_alu instid0(VALU_DEP_2) | instskip(SKIP_1) | instid1(VALU_DEP_1)
	v_ashrrev_i32_e32 v2, 31, v12
	v_add_co_u32 v4, s1, s4, v12
	v_add_co_ci_u32_e64 v5, s1, s5, v2, s1
	v_min_f64 v[0:1], v[0:1], v[10:11]
	s_delay_alu instid0(VALU_DEP_1)
	v_dual_cndmask_b32 v1, v1, v7 :: v_dual_cndmask_b32 v0, v0, v6
	s_and_b32 vcc_lo, exec_lo, s0
	s_cbranch_vccnz .LBB464_1878
; %bb.1801:
	v_cmp_lt_i16_e32 vcc_lo, 25, v14
	s_mov_b32 s7, -1
	s_mov_b32 s1, 0
	s_mov_b32 s6, 0
	;; [unrolled: 1-line block ×3, first 2 shown]
	s_cbranch_vccz .LBB464_1834
; %bb.1802:
	v_cmp_lt_i16_e32 vcc_lo, 28, v14
	s_cbranch_vccz .LBB464_1817
; %bb.1803:
	v_cmp_lt_i16_e32 vcc_lo, 43, v14
	;; [unrolled: 3-line block ×3, first 2 shown]
	s_cbranch_vccz .LBB464_1807
; %bb.1805:
	v_cmp_eq_u16_e32 vcc_lo, 46, v14
	s_mov_b32 s0, -1
	s_mov_b32 s7, 0
	s_cbranch_vccz .LBB464_1807
; %bb.1806:
	v_cvt_f32_f64_e32 v2, v[0:1]
	s_mov_b32 s0, 0
	s_mov_b32 s6, -1
	s_delay_alu instid0(VALU_DEP_1) | instskip(SKIP_1) | instid1(VALU_DEP_2)
	v_bfe_u32 v3, v2, 16, 1
	v_cmp_o_f32_e32 vcc_lo, v2, v2
	v_add3_u32 v3, v2, v3, 0x7fff
	s_delay_alu instid0(VALU_DEP_1) | instskip(NEXT) | instid1(VALU_DEP_1)
	v_lshrrev_b32_e32 v3, 16, v3
	v_cndmask_b32_e32 v2, 0x7fc0, v3, vcc_lo
	global_store_b32 v[4:5], v2, off
.LBB464_1807:
	s_and_b32 vcc_lo, exec_lo, s7
	s_cbranch_vccz .LBB464_1812
; %bb.1808:
	v_cmp_eq_u16_e32 vcc_lo, 44, v14
	s_mov_b32 s0, -1
	s_cbranch_vccz .LBB464_1812
; %bb.1809:
	v_cvt_f32_f64_e32 v2, v[0:1]
	v_mov_b32_e32 v3, 0xff
	s_mov_b32 s6, exec_lo
	s_delay_alu instid0(VALU_DEP_2) | instskip(NEXT) | instid1(VALU_DEP_1)
	v_bfe_u32 v6, v2, 23, 8
	v_cmpx_ne_u32_e32 0xff, v6
; %bb.1810:
	v_and_b32_e32 v3, 0x400000, v2
	v_and_or_b32 v6, 0x3fffff, v2, v6
	v_lshrrev_b32_e32 v2, 23, v2
	s_delay_alu instid0(VALU_DEP_3) | instskip(NEXT) | instid1(VALU_DEP_3)
	v_cmp_ne_u32_e32 vcc_lo, 0, v3
	v_cmp_ne_u32_e64 s0, 0, v6
	s_delay_alu instid0(VALU_DEP_1) | instskip(NEXT) | instid1(SALU_CYCLE_1)
	s_and_b32 s0, vcc_lo, s0
	v_cndmask_b32_e64 v3, 0, 1, s0
	s_delay_alu instid0(VALU_DEP_1)
	v_add_nc_u32_e32 v3, v2, v3
; %bb.1811:
	s_or_b32 exec_lo, exec_lo, s6
	s_mov_b32 s0, 0
	s_mov_b32 s6, -1
	global_store_b8 v[4:5], v3, off
.LBB464_1812:
	s_mov_b32 s7, 0
.LBB464_1813:
	s_delay_alu instid0(SALU_CYCLE_1)
	s_and_b32 vcc_lo, exec_lo, s7
	s_cbranch_vccz .LBB464_1816
; %bb.1814:
	v_cmp_eq_u16_e32 vcc_lo, 29, v14
	s_mov_b32 s0, -1
	s_cbranch_vccz .LBB464_1816
; %bb.1815:
	v_trunc_f64_e32 v[2:3], v[0:1]
	s_mov_b32 s0, 0
	s_mov_b32 s6, -1
	s_delay_alu instid0(VALU_DEP_1) | instskip(NEXT) | instid1(VALU_DEP_1)
	v_ldexp_f64 v[6:7], v[2:3], 0xffffffe0
	v_floor_f64_e32 v[6:7], v[6:7]
	s_delay_alu instid0(VALU_DEP_1) | instskip(SKIP_1) | instid1(VALU_DEP_2)
	v_fma_f64 v[2:3], 0xc1f00000, v[6:7], v[2:3]
	v_cvt_u32_f64_e32 v7, v[6:7]
	v_cvt_u32_f64_e32 v6, v[2:3]
	global_store_b64 v[4:5], v[6:7], off
.LBB464_1816:
	s_mov_b32 s7, 0
.LBB464_1817:
	s_delay_alu instid0(SALU_CYCLE_1)
	s_and_b32 vcc_lo, exec_lo, s7
	s_cbranch_vccz .LBB464_1833
; %bb.1818:
	v_cmp_gt_i16_e32 vcc_lo, 27, v14
	s_mov_b32 s6, -1
	s_cbranch_vccnz .LBB464_1824
; %bb.1819:
	v_cvt_u32_f64_e32 v2, v[0:1]
	v_cmp_lt_i16_e32 vcc_lo, 27, v14
	s_cbranch_vccz .LBB464_1821
; %bb.1820:
	s_mov_b32 s6, 0
	global_store_b32 v[4:5], v2, off
.LBB464_1821:
	s_and_not1_b32 vcc_lo, exec_lo, s6
	s_cbranch_vccnz .LBB464_1823
; %bb.1822:
	global_store_b16 v[4:5], v2, off
.LBB464_1823:
	s_mov_b32 s6, 0
.LBB464_1824:
	s_delay_alu instid0(SALU_CYCLE_1)
	s_and_not1_b32 vcc_lo, exec_lo, s6
	s_cbranch_vccnz .LBB464_1832
; %bb.1825:
	v_cvt_f32_f64_e32 v2, v[0:1]
	v_mov_b32_e32 v6, 0x80
	s_mov_b32 s6, exec_lo
	s_delay_alu instid0(VALU_DEP_2) | instskip(NEXT) | instid1(VALU_DEP_1)
	v_and_b32_e32 v3, 0x7fffffff, v2
	v_cmpx_gt_u32_e32 0x43800000, v3
	s_cbranch_execz .LBB464_1831
; %bb.1826:
	v_cmp_lt_u32_e32 vcc_lo, 0x3bffffff, v3
	s_mov_b32 s7, 0
                                        ; implicit-def: $vgpr3
	s_and_saveexec_b32 s8, vcc_lo
	s_delay_alu instid0(SALU_CYCLE_1)
	s_xor_b32 s8, exec_lo, s8
	s_cbranch_execz .LBB464_2059
; %bb.1827:
	v_bfe_u32 v3, v2, 20, 1
	s_mov_b32 s7, exec_lo
	s_delay_alu instid0(VALU_DEP_1) | instskip(NEXT) | instid1(VALU_DEP_1)
	v_add3_u32 v3, v2, v3, 0x487ffff
	v_lshrrev_b32_e32 v3, 20, v3
	s_or_saveexec_b32 s8, s8
                                        ; implicit-def: $sgpr9
	s_delay_alu instid0(SALU_CYCLE_1)
	s_xor_b32 exec_lo, exec_lo, s8
	s_cbranch_execnz .LBB464_2060
.LBB464_1828:
	s_or_b32 exec_lo, exec_lo, s8
	v_mov_b32_e32 v6, s9
	s_and_saveexec_b32 s8, s7
.LBB464_1829:
	v_lshrrev_b32_e32 v2, 24, v2
	s_delay_alu instid0(VALU_DEP_1)
	v_and_or_b32 v6, 0x80, v2, v3
.LBB464_1830:
	s_or_b32 exec_lo, exec_lo, s8
.LBB464_1831:
	s_delay_alu instid0(SALU_CYCLE_1)
	s_or_b32 exec_lo, exec_lo, s6
	global_store_b8 v[4:5], v6, off
.LBB464_1832:
	s_mov_b32 s6, -1
.LBB464_1833:
	s_mov_b32 s7, 0
.LBB464_1834:
	s_delay_alu instid0(SALU_CYCLE_1)
	s_and_b32 vcc_lo, exec_lo, s7
	s_cbranch_vccz .LBB464_1874
; %bb.1835:
	v_cmp_lt_i16_e32 vcc_lo, 22, v14
	s_mov_b32 s1, -1
	s_cbranch_vccz .LBB464_1867
; %bb.1836:
	v_cmp_gt_i16_e32 vcc_lo, 24, v14
	s_cbranch_vccnz .LBB464_1856
; %bb.1837:
	v_cmp_lt_i16_e32 vcc_lo, 24, v14
	s_cbranch_vccz .LBB464_1845
; %bb.1838:
	v_cvt_f32_f64_e32 v2, v[0:1]
	v_mov_b32_e32 v6, 0x80
	s_mov_b32 s1, exec_lo
	s_delay_alu instid0(VALU_DEP_2) | instskip(NEXT) | instid1(VALU_DEP_1)
	v_and_b32_e32 v3, 0x7fffffff, v2
	v_cmpx_gt_u32_e32 0x47800000, v3
	s_cbranch_execz .LBB464_1844
; %bb.1839:
	v_cmp_lt_u32_e32 vcc_lo, 0x37ffffff, v3
	s_mov_b32 s6, 0
                                        ; implicit-def: $vgpr3
	s_and_saveexec_b32 s7, vcc_lo
	s_delay_alu instid0(SALU_CYCLE_1)
	s_xor_b32 s7, exec_lo, s7
	s_cbranch_execz .LBB464_2065
; %bb.1840:
	v_bfe_u32 v3, v2, 21, 1
	s_mov_b32 s6, exec_lo
	s_delay_alu instid0(VALU_DEP_1) | instskip(NEXT) | instid1(VALU_DEP_1)
	v_add3_u32 v3, v2, v3, 0x88fffff
	v_lshrrev_b32_e32 v3, 21, v3
	s_or_saveexec_b32 s7, s7
                                        ; implicit-def: $sgpr8
	s_delay_alu instid0(SALU_CYCLE_1)
	s_xor_b32 exec_lo, exec_lo, s7
	s_cbranch_execnz .LBB464_2066
.LBB464_1841:
	s_or_b32 exec_lo, exec_lo, s7
	v_mov_b32_e32 v6, s8
	s_and_saveexec_b32 s7, s6
.LBB464_1842:
	v_lshrrev_b32_e32 v2, 24, v2
	s_delay_alu instid0(VALU_DEP_1)
	v_and_or_b32 v6, 0x80, v2, v3
.LBB464_1843:
	s_or_b32 exec_lo, exec_lo, s7
.LBB464_1844:
	s_delay_alu instid0(SALU_CYCLE_1)
	s_or_b32 exec_lo, exec_lo, s1
	s_mov_b32 s1, 0
	global_store_b8 v[4:5], v6, off
.LBB464_1845:
	s_and_b32 vcc_lo, exec_lo, s1
	s_cbranch_vccz .LBB464_1855
; %bb.1846:
	v_cvt_f32_f64_e32 v2, v[0:1]
	s_mov_b32 s1, exec_lo
                                        ; implicit-def: $vgpr3
	s_delay_alu instid0(VALU_DEP_1) | instskip(NEXT) | instid1(VALU_DEP_1)
	v_and_b32_e32 v6, 0x7fffffff, v2
	v_cmpx_gt_u32_e32 0x43f00000, v6
	s_xor_b32 s1, exec_lo, s1
	s_cbranch_execz .LBB464_1852
; %bb.1847:
	s_mov_b32 s6, exec_lo
                                        ; implicit-def: $vgpr3
	v_cmpx_lt_u32_e32 0x3c7fffff, v6
	s_xor_b32 s6, exec_lo, s6
; %bb.1848:
	v_bfe_u32 v3, v2, 20, 1
	s_delay_alu instid0(VALU_DEP_1) | instskip(NEXT) | instid1(VALU_DEP_1)
	v_add3_u32 v3, v2, v3, 0x407ffff
	v_and_b32_e32 v6, 0xff00000, v3
	v_lshrrev_b32_e32 v3, 20, v3
	s_delay_alu instid0(VALU_DEP_2) | instskip(NEXT) | instid1(VALU_DEP_2)
	v_cmp_ne_u32_e32 vcc_lo, 0x7f00000, v6
	v_cndmask_b32_e32 v3, 0x7e, v3, vcc_lo
; %bb.1849:
	s_and_not1_saveexec_b32 s6, s6
; %bb.1850:
	v_add_f32_e64 v3, 0x46800000, |v2|
; %bb.1851:
	s_or_b32 exec_lo, exec_lo, s6
                                        ; implicit-def: $vgpr6
.LBB464_1852:
	s_and_not1_saveexec_b32 s1, s1
; %bb.1853:
	v_mov_b32_e32 v3, 0x7f
	v_cmp_lt_u32_e32 vcc_lo, 0x7f800000, v6
	s_delay_alu instid0(VALU_DEP_2)
	v_cndmask_b32_e32 v3, 0x7e, v3, vcc_lo
; %bb.1854:
	s_or_b32 exec_lo, exec_lo, s1
	v_lshrrev_b32_e32 v2, 24, v2
	s_delay_alu instid0(VALU_DEP_1)
	v_and_or_b32 v2, 0x80, v2, v3
	global_store_b8 v[4:5], v2, off
.LBB464_1855:
	s_mov_b32 s1, 0
.LBB464_1856:
	s_delay_alu instid0(SALU_CYCLE_1)
	s_and_not1_b32 vcc_lo, exec_lo, s1
	s_cbranch_vccnz .LBB464_1866
; %bb.1857:
	v_cvt_f32_f64_e32 v2, v[0:1]
	s_mov_b32 s1, exec_lo
                                        ; implicit-def: $vgpr3
	s_delay_alu instid0(VALU_DEP_1) | instskip(NEXT) | instid1(VALU_DEP_1)
	v_and_b32_e32 v6, 0x7fffffff, v2
	v_cmpx_gt_u32_e32 0x47800000, v6
	s_xor_b32 s1, exec_lo, s1
	s_cbranch_execz .LBB464_1863
; %bb.1858:
	s_mov_b32 s6, exec_lo
                                        ; implicit-def: $vgpr3
	v_cmpx_lt_u32_e32 0x387fffff, v6
	s_xor_b32 s6, exec_lo, s6
; %bb.1859:
	v_bfe_u32 v3, v2, 21, 1
	s_delay_alu instid0(VALU_DEP_1) | instskip(NEXT) | instid1(VALU_DEP_1)
	v_add3_u32 v3, v2, v3, 0x80fffff
	v_lshrrev_b32_e32 v3, 21, v3
; %bb.1860:
	s_and_not1_saveexec_b32 s6, s6
; %bb.1861:
	v_add_f32_e64 v3, 0x43000000, |v2|
; %bb.1862:
	s_or_b32 exec_lo, exec_lo, s6
                                        ; implicit-def: $vgpr6
.LBB464_1863:
	s_and_not1_saveexec_b32 s1, s1
; %bb.1864:
	v_mov_b32_e32 v3, 0x7f
	v_cmp_lt_u32_e32 vcc_lo, 0x7f800000, v6
	s_delay_alu instid0(VALU_DEP_2)
	v_cndmask_b32_e32 v3, 0x7c, v3, vcc_lo
; %bb.1865:
	s_or_b32 exec_lo, exec_lo, s1
	v_lshrrev_b32_e32 v2, 24, v2
	s_delay_alu instid0(VALU_DEP_1)
	v_and_or_b32 v2, 0x80, v2, v3
	global_store_b8 v[4:5], v2, off
.LBB464_1866:
	s_mov_b32 s1, 0
	s_mov_b32 s6, -1
.LBB464_1867:
	s_and_not1_b32 vcc_lo, exec_lo, s1
	s_mov_b32 s1, 0
	s_cbranch_vccnz .LBB464_1874
; %bb.1868:
	v_cmp_lt_i16_e32 vcc_lo, 14, v14
	s_mov_b32 s1, -1
	s_cbranch_vccz .LBB464_1872
; %bb.1869:
	v_cmp_eq_u16_e32 vcc_lo, 15, v14
	s_mov_b32 s0, -1
	s_cbranch_vccz .LBB464_1871
; %bb.1870:
	v_cvt_f32_f64_e32 v2, v[0:1]
	s_mov_b32 s0, 0
	s_mov_b32 s6, -1
	s_delay_alu instid0(VALU_DEP_1) | instskip(SKIP_1) | instid1(VALU_DEP_2)
	v_bfe_u32 v3, v2, 16, 1
	v_cmp_o_f32_e32 vcc_lo, v2, v2
	v_add3_u32 v3, v2, v3, 0x7fff
	s_delay_alu instid0(VALU_DEP_1) | instskip(NEXT) | instid1(VALU_DEP_1)
	v_lshrrev_b32_e32 v3, 16, v3
	v_cndmask_b32_e32 v2, 0x7fc0, v3, vcc_lo
	global_store_b16 v[4:5], v2, off
.LBB464_1871:
	s_mov_b32 s1, 0
.LBB464_1872:
	s_delay_alu instid0(SALU_CYCLE_1)
	s_and_b32 vcc_lo, exec_lo, s1
	s_mov_b32 s1, 0
	s_cbranch_vccz .LBB464_1874
; %bb.1873:
	v_cmp_ne_u16_e64 s0, 11, v14
	s_mov_b32 s1, -1
.LBB464_1874:
	s_delay_alu instid0(VALU_DEP_1)
	s_and_b32 vcc_lo, exec_lo, s0
	s_cbranch_vccnz .LBB464_2063
; %bb.1875:
	s_and_not1_b32 vcc_lo, exec_lo, s1
	s_cbranch_vccnz .LBB464_1877
.LBB464_1876:
	v_cmp_neq_f64_e32 vcc_lo, 0, v[0:1]
	s_mov_b32 s6, -1
	v_cndmask_b32_e64 v2, 0, 1, vcc_lo
	global_store_b8 v[4:5], v2, off
.LBB464_1877:
	s_mov_b32 s0, 0
	s_branch .LBB464_1879
.LBB464_1878:
	s_mov_b32 s0, -1
	s_mov_b32 s6, 0
.LBB464_1879:
	s_and_b32 vcc_lo, exec_lo, s0
	s_cbranch_vccz .LBB464_1918
; %bb.1880:
	v_cmp_gt_i16_e32 vcc_lo, 5, v14
	s_mov_b32 s0, -1
	s_cbranch_vccnz .LBB464_1901
; %bb.1881:
	v_cmp_gt_i16_e32 vcc_lo, 8, v14
	s_cbranch_vccnz .LBB464_1891
; %bb.1882:
	v_cmp_gt_i16_e32 vcc_lo, 9, v14
	s_cbranch_vccnz .LBB464_1888
; %bb.1883:
	v_cmp_lt_i16_e32 vcc_lo, 9, v14
	s_cbranch_vccz .LBB464_1885
; %bb.1884:
	v_mov_b32_e32 v2, 0
	s_mov_b32 s0, 0
	s_delay_alu instid0(VALU_DEP_1)
	v_mov_b32_e32 v3, v2
	global_store_b128 v[4:5], v[0:3], off
.LBB464_1885:
	s_and_not1_b32 vcc_lo, exec_lo, s0
	s_cbranch_vccnz .LBB464_1887
; %bb.1886:
	v_cvt_f32_f64_e32 v2, v[0:1]
	v_mov_b32_e32 v3, 0
	global_store_b64 v[4:5], v[2:3], off
.LBB464_1887:
	s_mov_b32 s0, 0
.LBB464_1888:
	s_delay_alu instid0(SALU_CYCLE_1)
	s_and_not1_b32 vcc_lo, exec_lo, s0
	s_cbranch_vccnz .LBB464_1890
; %bb.1889:
	v_cvt_f32_f64_e32 v2, v[0:1]
	s_delay_alu instid0(VALU_DEP_1) | instskip(NEXT) | instid1(VALU_DEP_1)
	v_cvt_f16_f32_e32 v2, v2
	v_and_b32_e32 v2, 0xffff, v2
	global_store_b32 v[4:5], v2, off
.LBB464_1890:
	s_mov_b32 s0, 0
.LBB464_1891:
	s_delay_alu instid0(SALU_CYCLE_1)
	s_and_not1_b32 vcc_lo, exec_lo, s0
	s_cbranch_vccnz .LBB464_1900
; %bb.1892:
	v_cmp_gt_i16_e32 vcc_lo, 6, v14
	s_mov_b32 s0, -1
	s_cbranch_vccnz .LBB464_1898
; %bb.1893:
	v_cmp_lt_i16_e32 vcc_lo, 6, v14
	s_cbranch_vccz .LBB464_1895
; %bb.1894:
	s_mov_b32 s0, 0
	global_store_b64 v[4:5], v[0:1], off
.LBB464_1895:
	s_and_not1_b32 vcc_lo, exec_lo, s0
	s_cbranch_vccnz .LBB464_1897
; %bb.1896:
	v_cvt_f32_f64_e32 v2, v[0:1]
	global_store_b32 v[4:5], v2, off
.LBB464_1897:
	s_mov_b32 s0, 0
.LBB464_1898:
	s_delay_alu instid0(SALU_CYCLE_1)
	s_and_not1_b32 vcc_lo, exec_lo, s0
	s_cbranch_vccnz .LBB464_1900
; %bb.1899:
	v_cvt_f32_f64_e32 v2, v[0:1]
	s_delay_alu instid0(VALU_DEP_1)
	v_cvt_f16_f32_e32 v2, v2
	global_store_b16 v[4:5], v2, off
.LBB464_1900:
	s_mov_b32 s0, 0
.LBB464_1901:
	s_delay_alu instid0(SALU_CYCLE_1)
	s_and_not1_b32 vcc_lo, exec_lo, s0
	s_cbranch_vccnz .LBB464_1917
; %bb.1902:
	v_cmp_gt_i16_e32 vcc_lo, 2, v14
	s_mov_b32 s0, -1
	s_cbranch_vccnz .LBB464_1912
; %bb.1903:
	v_cmp_gt_i16_e32 vcc_lo, 3, v14
	s_cbranch_vccnz .LBB464_1909
; %bb.1904:
	v_cmp_lt_i16_e32 vcc_lo, 3, v14
	s_cbranch_vccz .LBB464_1906
; %bb.1905:
	v_trunc_f64_e32 v[2:3], v[0:1]
	s_mov_b32 s0, 0
	s_delay_alu instid0(VALU_DEP_1) | instskip(NEXT) | instid1(VALU_DEP_1)
	v_ldexp_f64 v[6:7], v[2:3], 0xffffffe0
	v_floor_f64_e32 v[6:7], v[6:7]
	s_delay_alu instid0(VALU_DEP_1) | instskip(SKIP_1) | instid1(VALU_DEP_2)
	v_fma_f64 v[2:3], 0xc1f00000, v[6:7], v[2:3]
	v_cvt_i32_f64_e32 v7, v[6:7]
	v_cvt_u32_f64_e32 v6, v[2:3]
	global_store_b64 v[4:5], v[6:7], off
.LBB464_1906:
	s_and_not1_b32 vcc_lo, exec_lo, s0
	s_cbranch_vccnz .LBB464_1908
; %bb.1907:
	v_cvt_i32_f64_e32 v2, v[0:1]
	global_store_b32 v[4:5], v2, off
.LBB464_1908:
	s_mov_b32 s0, 0
.LBB464_1909:
	s_delay_alu instid0(SALU_CYCLE_1)
	s_and_not1_b32 vcc_lo, exec_lo, s0
	s_cbranch_vccnz .LBB464_1911
; %bb.1910:
	v_cvt_i32_f64_e32 v2, v[0:1]
	global_store_b16 v[4:5], v2, off
.LBB464_1911:
	s_mov_b32 s0, 0
.LBB464_1912:
	s_delay_alu instid0(SALU_CYCLE_1)
	s_and_not1_b32 vcc_lo, exec_lo, s0
	s_cbranch_vccnz .LBB464_1917
; %bb.1913:
	v_cmp_lt_i16_e32 vcc_lo, 0, v14
	s_mov_b32 s0, -1
	s_cbranch_vccz .LBB464_1915
; %bb.1914:
	v_cvt_i32_f64_e32 v2, v[0:1]
	s_mov_b32 s0, 0
	global_store_b8 v[4:5], v2, off
.LBB464_1915:
	s_and_not1_b32 vcc_lo, exec_lo, s0
	s_cbranch_vccnz .LBB464_1917
; %bb.1916:
	v_trunc_f64_e32 v[0:1], v[0:1]
	s_delay_alu instid0(VALU_DEP_1) | instskip(NEXT) | instid1(VALU_DEP_1)
	v_ldexp_f64 v[2:3], v[0:1], 0xffffffe0
	v_floor_f64_e32 v[2:3], v[2:3]
	s_delay_alu instid0(VALU_DEP_1) | instskip(NEXT) | instid1(VALU_DEP_1)
	v_fma_f64 v[0:1], 0xc1f00000, v[2:3], v[0:1]
	v_cvt_u32_f64_e32 v0, v[0:1]
	global_store_b8 v[4:5], v0, off
.LBB464_1917:
	s_mov_b32 s6, -1
.LBB464_1918:
	s_delay_alu instid0(SALU_CYCLE_1)
	s_and_not1_b32 vcc_lo, exec_lo, s6
	s_cbranch_vccnz .LBB464_1995
; %bb.1919:
	v_max_f64 v[0:1], v[8:9], v[8:9]
	v_cmp_u_f64_e32 vcc_lo, v[8:9], v[8:9]
	v_cmp_gt_i16_e64 s0, 11, v14
	s_delay_alu instid0(VALU_DEP_3) | instskip(NEXT) | instid1(VALU_DEP_1)
	v_min_f64 v[0:1], v[0:1], v[10:11]
	v_dual_cndmask_b32 v1, v1, v9 :: v_dual_add_nc_u32 v2, s2, v12
	s_delay_alu instid0(VALU_DEP_1) | instskip(SKIP_1) | instid1(VALU_DEP_4)
	v_ashrrev_i32_e32 v3, 31, v2
	v_add_co_u32 v4, s1, s4, v2
	v_cndmask_b32_e32 v0, v0, v8, vcc_lo
	s_and_b32 vcc_lo, exec_lo, s0
	s_delay_alu instid0(VALU_DEP_3)
	v_add_co_ci_u32_e64 v5, s1, s5, v3, s1
	s_cbranch_vccnz .LBB464_2040
; %bb.1920:
	v_cmp_lt_i16_e32 vcc_lo, 25, v14
	s_mov_b32 s2, -1
	s_mov_b32 s1, 0
	s_mov_b32 s0, 0
	s_cbranch_vccz .LBB464_1953
; %bb.1921:
	v_cmp_lt_i16_e32 vcc_lo, 28, v14
	s_cbranch_vccz .LBB464_1937
; %bb.1922:
	v_cmp_lt_i16_e32 vcc_lo, 43, v14
	;; [unrolled: 3-line block ×3, first 2 shown]
	s_cbranch_vccz .LBB464_1927
; %bb.1924:
	v_cmp_eq_u16_e32 vcc_lo, 46, v14
	s_mov_b32 s0, -1
	s_cbranch_vccz .LBB464_1926
; %bb.1925:
	v_cvt_f32_f64_e32 v2, v[0:1]
	s_mov_b32 s0, 0
	s_delay_alu instid0(VALU_DEP_1) | instskip(SKIP_1) | instid1(VALU_DEP_2)
	v_bfe_u32 v3, v2, 16, 1
	v_cmp_o_f32_e32 vcc_lo, v2, v2
	v_add3_u32 v3, v2, v3, 0x7fff
	s_delay_alu instid0(VALU_DEP_1) | instskip(NEXT) | instid1(VALU_DEP_1)
	v_lshrrev_b32_e32 v3, 16, v3
	v_cndmask_b32_e32 v2, 0x7fc0, v3, vcc_lo
	global_store_b32 v[4:5], v2, off
.LBB464_1926:
	s_mov_b32 s2, 0
.LBB464_1927:
	s_delay_alu instid0(SALU_CYCLE_1)
	s_and_b32 vcc_lo, exec_lo, s2
	s_cbranch_vccz .LBB464_1932
; %bb.1928:
	v_cmp_eq_u16_e32 vcc_lo, 44, v14
	s_mov_b32 s0, -1
	s_cbranch_vccz .LBB464_1932
; %bb.1929:
	v_cvt_f32_f64_e32 v2, v[0:1]
	v_mov_b32_e32 v3, 0xff
	s_mov_b32 s2, exec_lo
	s_delay_alu instid0(VALU_DEP_2) | instskip(NEXT) | instid1(VALU_DEP_1)
	v_bfe_u32 v6, v2, 23, 8
	v_cmpx_ne_u32_e32 0xff, v6
; %bb.1930:
	v_and_b32_e32 v3, 0x400000, v2
	v_and_or_b32 v6, 0x3fffff, v2, v6
	v_lshrrev_b32_e32 v2, 23, v2
	s_delay_alu instid0(VALU_DEP_3) | instskip(NEXT) | instid1(VALU_DEP_3)
	v_cmp_ne_u32_e32 vcc_lo, 0, v3
	v_cmp_ne_u32_e64 s0, 0, v6
	s_delay_alu instid0(VALU_DEP_1) | instskip(NEXT) | instid1(SALU_CYCLE_1)
	s_and_b32 s0, vcc_lo, s0
	v_cndmask_b32_e64 v3, 0, 1, s0
	s_delay_alu instid0(VALU_DEP_1)
	v_add_nc_u32_e32 v3, v2, v3
; %bb.1931:
	s_or_b32 exec_lo, exec_lo, s2
	s_mov_b32 s0, 0
	global_store_b8 v[4:5], v3, off
.LBB464_1932:
	s_mov_b32 s2, 0
.LBB464_1933:
	s_delay_alu instid0(SALU_CYCLE_1)
	s_and_b32 vcc_lo, exec_lo, s2
	s_cbranch_vccz .LBB464_1936
; %bb.1934:
	v_cmp_eq_u16_e32 vcc_lo, 29, v14
	s_mov_b32 s0, -1
	s_cbranch_vccz .LBB464_1936
; %bb.1935:
	v_trunc_f64_e32 v[2:3], v[0:1]
	s_mov_b32 s0, 0
	s_delay_alu instid0(VALU_DEP_1) | instskip(NEXT) | instid1(VALU_DEP_1)
	v_ldexp_f64 v[6:7], v[2:3], 0xffffffe0
	v_floor_f64_e32 v[6:7], v[6:7]
	s_delay_alu instid0(VALU_DEP_1) | instskip(SKIP_1) | instid1(VALU_DEP_2)
	v_fma_f64 v[2:3], 0xc1f00000, v[6:7], v[2:3]
	v_cvt_u32_f64_e32 v7, v[6:7]
	v_cvt_u32_f64_e32 v6, v[2:3]
	global_store_b64 v[4:5], v[6:7], off
.LBB464_1936:
	s_mov_b32 s2, 0
.LBB464_1937:
	s_delay_alu instid0(SALU_CYCLE_1)
	s_and_b32 vcc_lo, exec_lo, s2
	s_cbranch_vccz .LBB464_1952
; %bb.1938:
	v_cmp_gt_i16_e32 vcc_lo, 27, v14
	s_mov_b32 s2, -1
	s_cbranch_vccnz .LBB464_1944
; %bb.1939:
	v_cvt_u32_f64_e32 v2, v[0:1]
	v_cmp_lt_i16_e32 vcc_lo, 27, v14
	s_cbranch_vccz .LBB464_1941
; %bb.1940:
	s_mov_b32 s2, 0
	global_store_b32 v[4:5], v2, off
.LBB464_1941:
	s_and_not1_b32 vcc_lo, exec_lo, s2
	s_cbranch_vccnz .LBB464_1943
; %bb.1942:
	global_store_b16 v[4:5], v2, off
.LBB464_1943:
	s_mov_b32 s2, 0
.LBB464_1944:
	s_delay_alu instid0(SALU_CYCLE_1)
	s_and_not1_b32 vcc_lo, exec_lo, s2
	s_cbranch_vccnz .LBB464_1952
; %bb.1945:
	v_cvt_f32_f64_e32 v2, v[0:1]
	v_mov_b32_e32 v6, 0x80
	s_mov_b32 s2, exec_lo
	s_delay_alu instid0(VALU_DEP_2) | instskip(NEXT) | instid1(VALU_DEP_1)
	v_and_b32_e32 v3, 0x7fffffff, v2
	v_cmpx_gt_u32_e32 0x43800000, v3
	s_cbranch_execz .LBB464_1951
; %bb.1946:
	v_cmp_lt_u32_e32 vcc_lo, 0x3bffffff, v3
	s_mov_b32 s4, 0
                                        ; implicit-def: $vgpr3
	s_and_saveexec_b32 s5, vcc_lo
	s_delay_alu instid0(SALU_CYCLE_1)
	s_xor_b32 s5, exec_lo, s5
	s_cbranch_execz .LBB464_2067
; %bb.1947:
	v_bfe_u32 v3, v2, 20, 1
	s_mov_b32 s4, exec_lo
	s_delay_alu instid0(VALU_DEP_1) | instskip(NEXT) | instid1(VALU_DEP_1)
	v_add3_u32 v3, v2, v3, 0x487ffff
	v_lshrrev_b32_e32 v3, 20, v3
	s_or_saveexec_b32 s5, s5
                                        ; implicit-def: $sgpr6
	s_delay_alu instid0(SALU_CYCLE_1)
	s_xor_b32 exec_lo, exec_lo, s5
	s_cbranch_execnz .LBB464_2068
.LBB464_1948:
	s_or_b32 exec_lo, exec_lo, s5
	v_mov_b32_e32 v6, s6
	s_and_saveexec_b32 s5, s4
.LBB464_1949:
	v_lshrrev_b32_e32 v2, 24, v2
	s_delay_alu instid0(VALU_DEP_1)
	v_and_or_b32 v6, 0x80, v2, v3
.LBB464_1950:
	s_or_b32 exec_lo, exec_lo, s5
.LBB464_1951:
	s_delay_alu instid0(SALU_CYCLE_1)
	s_or_b32 exec_lo, exec_lo, s2
	global_store_b8 v[4:5], v6, off
.LBB464_1952:
	s_mov_b32 s2, 0
.LBB464_1953:
	s_delay_alu instid0(SALU_CYCLE_1)
	s_and_b32 vcc_lo, exec_lo, s2
	s_cbranch_vccz .LBB464_1993
; %bb.1954:
	v_cmp_lt_i16_e32 vcc_lo, 22, v14
	s_mov_b32 s1, -1
	s_cbranch_vccz .LBB464_1986
; %bb.1955:
	v_cmp_gt_i16_e32 vcc_lo, 24, v14
	s_cbranch_vccnz .LBB464_1975
; %bb.1956:
	v_cmp_lt_i16_e32 vcc_lo, 24, v14
	s_cbranch_vccz .LBB464_1964
; %bb.1957:
	v_cvt_f32_f64_e32 v2, v[0:1]
	v_mov_b32_e32 v6, 0x80
	s_mov_b32 s1, exec_lo
	s_delay_alu instid0(VALU_DEP_2) | instskip(NEXT) | instid1(VALU_DEP_1)
	v_and_b32_e32 v3, 0x7fffffff, v2
	v_cmpx_gt_u32_e32 0x47800000, v3
	s_cbranch_execz .LBB464_1963
; %bb.1958:
	v_cmp_lt_u32_e32 vcc_lo, 0x37ffffff, v3
	s_mov_b32 s2, 0
                                        ; implicit-def: $vgpr3
	s_and_saveexec_b32 s4, vcc_lo
	s_delay_alu instid0(SALU_CYCLE_1)
	s_xor_b32 s4, exec_lo, s4
	s_cbranch_execz .LBB464_2073
; %bb.1959:
	v_bfe_u32 v3, v2, 21, 1
	s_mov_b32 s2, exec_lo
	s_delay_alu instid0(VALU_DEP_1) | instskip(NEXT) | instid1(VALU_DEP_1)
	v_add3_u32 v3, v2, v3, 0x88fffff
	v_lshrrev_b32_e32 v3, 21, v3
	s_or_saveexec_b32 s4, s4
                                        ; implicit-def: $sgpr5
	s_delay_alu instid0(SALU_CYCLE_1)
	s_xor_b32 exec_lo, exec_lo, s4
	s_cbranch_execnz .LBB464_2074
.LBB464_1960:
	s_or_b32 exec_lo, exec_lo, s4
	v_mov_b32_e32 v6, s5
	s_and_saveexec_b32 s4, s2
.LBB464_1961:
	v_lshrrev_b32_e32 v2, 24, v2
	s_delay_alu instid0(VALU_DEP_1)
	v_and_or_b32 v6, 0x80, v2, v3
.LBB464_1962:
	s_or_b32 exec_lo, exec_lo, s4
.LBB464_1963:
	s_delay_alu instid0(SALU_CYCLE_1)
	s_or_b32 exec_lo, exec_lo, s1
	s_mov_b32 s1, 0
	global_store_b8 v[4:5], v6, off
.LBB464_1964:
	s_and_b32 vcc_lo, exec_lo, s1
	s_cbranch_vccz .LBB464_1974
; %bb.1965:
	v_cvt_f32_f64_e32 v2, v[0:1]
	s_mov_b32 s1, exec_lo
                                        ; implicit-def: $vgpr3
	s_delay_alu instid0(VALU_DEP_1) | instskip(NEXT) | instid1(VALU_DEP_1)
	v_and_b32_e32 v6, 0x7fffffff, v2
	v_cmpx_gt_u32_e32 0x43f00000, v6
	s_xor_b32 s1, exec_lo, s1
	s_cbranch_execz .LBB464_1971
; %bb.1966:
	s_mov_b32 s2, exec_lo
                                        ; implicit-def: $vgpr3
	v_cmpx_lt_u32_e32 0x3c7fffff, v6
	s_xor_b32 s2, exec_lo, s2
; %bb.1967:
	v_bfe_u32 v3, v2, 20, 1
	s_delay_alu instid0(VALU_DEP_1) | instskip(NEXT) | instid1(VALU_DEP_1)
	v_add3_u32 v3, v2, v3, 0x407ffff
	v_and_b32_e32 v6, 0xff00000, v3
	v_lshrrev_b32_e32 v3, 20, v3
	s_delay_alu instid0(VALU_DEP_2) | instskip(NEXT) | instid1(VALU_DEP_2)
	v_cmp_ne_u32_e32 vcc_lo, 0x7f00000, v6
	v_cndmask_b32_e32 v3, 0x7e, v3, vcc_lo
; %bb.1968:
	s_and_not1_saveexec_b32 s2, s2
; %bb.1969:
	v_add_f32_e64 v3, 0x46800000, |v2|
; %bb.1970:
	s_or_b32 exec_lo, exec_lo, s2
                                        ; implicit-def: $vgpr6
.LBB464_1971:
	s_and_not1_saveexec_b32 s1, s1
; %bb.1972:
	v_mov_b32_e32 v3, 0x7f
	v_cmp_lt_u32_e32 vcc_lo, 0x7f800000, v6
	s_delay_alu instid0(VALU_DEP_2)
	v_cndmask_b32_e32 v3, 0x7e, v3, vcc_lo
; %bb.1973:
	s_or_b32 exec_lo, exec_lo, s1
	v_lshrrev_b32_e32 v2, 24, v2
	s_delay_alu instid0(VALU_DEP_1)
	v_and_or_b32 v2, 0x80, v2, v3
	global_store_b8 v[4:5], v2, off
.LBB464_1974:
	s_mov_b32 s1, 0
.LBB464_1975:
	s_delay_alu instid0(SALU_CYCLE_1)
	s_and_not1_b32 vcc_lo, exec_lo, s1
	s_cbranch_vccnz .LBB464_1985
; %bb.1976:
	v_cvt_f32_f64_e32 v2, v[0:1]
	s_mov_b32 s1, exec_lo
                                        ; implicit-def: $vgpr3
	s_delay_alu instid0(VALU_DEP_1) | instskip(NEXT) | instid1(VALU_DEP_1)
	v_and_b32_e32 v6, 0x7fffffff, v2
	v_cmpx_gt_u32_e32 0x47800000, v6
	s_xor_b32 s1, exec_lo, s1
	s_cbranch_execz .LBB464_1982
; %bb.1977:
	s_mov_b32 s2, exec_lo
                                        ; implicit-def: $vgpr3
	v_cmpx_lt_u32_e32 0x387fffff, v6
	s_xor_b32 s2, exec_lo, s2
; %bb.1978:
	v_bfe_u32 v3, v2, 21, 1
	s_delay_alu instid0(VALU_DEP_1) | instskip(NEXT) | instid1(VALU_DEP_1)
	v_add3_u32 v3, v2, v3, 0x80fffff
	v_lshrrev_b32_e32 v3, 21, v3
; %bb.1979:
	s_and_not1_saveexec_b32 s2, s2
; %bb.1980:
	v_add_f32_e64 v3, 0x43000000, |v2|
; %bb.1981:
	s_or_b32 exec_lo, exec_lo, s2
                                        ; implicit-def: $vgpr6
.LBB464_1982:
	s_and_not1_saveexec_b32 s1, s1
; %bb.1983:
	v_mov_b32_e32 v3, 0x7f
	v_cmp_lt_u32_e32 vcc_lo, 0x7f800000, v6
	s_delay_alu instid0(VALU_DEP_2)
	v_cndmask_b32_e32 v3, 0x7c, v3, vcc_lo
; %bb.1984:
	s_or_b32 exec_lo, exec_lo, s1
	v_lshrrev_b32_e32 v2, 24, v2
	s_delay_alu instid0(VALU_DEP_1)
	v_and_or_b32 v2, 0x80, v2, v3
	global_store_b8 v[4:5], v2, off
.LBB464_1985:
	s_mov_b32 s1, 0
.LBB464_1986:
	s_delay_alu instid0(SALU_CYCLE_1)
	s_and_not1_b32 vcc_lo, exec_lo, s1
	s_mov_b32 s1, 0
	s_cbranch_vccnz .LBB464_1993
; %bb.1987:
	v_cmp_lt_i16_e32 vcc_lo, 14, v14
	s_mov_b32 s1, -1
	s_cbranch_vccz .LBB464_1991
; %bb.1988:
	v_cmp_eq_u16_e32 vcc_lo, 15, v14
	s_mov_b32 s0, -1
	s_cbranch_vccz .LBB464_1990
; %bb.1989:
	v_cvt_f32_f64_e32 v2, v[0:1]
	s_mov_b32 s0, 0
	s_delay_alu instid0(VALU_DEP_1) | instskip(SKIP_1) | instid1(VALU_DEP_2)
	v_bfe_u32 v3, v2, 16, 1
	v_cmp_o_f32_e32 vcc_lo, v2, v2
	v_add3_u32 v3, v2, v3, 0x7fff
	s_delay_alu instid0(VALU_DEP_1) | instskip(NEXT) | instid1(VALU_DEP_1)
	v_lshrrev_b32_e32 v3, 16, v3
	v_cndmask_b32_e32 v2, 0x7fc0, v3, vcc_lo
	global_store_b16 v[4:5], v2, off
.LBB464_1990:
	s_mov_b32 s1, 0
.LBB464_1991:
	s_delay_alu instid0(SALU_CYCLE_1)
	s_and_b32 vcc_lo, exec_lo, s1
	s_mov_b32 s1, 0
	s_cbranch_vccz .LBB464_1993
; %bb.1992:
	v_cmp_ne_u16_e64 s0, 11, v14
	s_mov_b32 s1, -1
.LBB464_1993:
	s_delay_alu instid0(VALU_DEP_1)
	s_and_b32 vcc_lo, exec_lo, s0
	s_cbranch_vccnz .LBB464_2071
.LBB464_1994:
	s_mov_b32 s0, 0
	s_branch .LBB464_1996
.LBB464_1995:
	s_mov_b32 s0, 0
	s_mov_b32 s1, 0
                                        ; implicit-def: $vgpr14
                                        ; implicit-def: $vgpr4_vgpr5
                                        ; implicit-def: $vgpr0_vgpr1
.LBB464_1996:
	s_and_not1_b32 s2, s13, exec_lo
	s_and_b32 s4, s3, exec_lo
	s_and_b32 s0, s0, exec_lo
	;; [unrolled: 1-line block ×3, first 2 shown]
	s_or_b32 s13, s2, s4
.LBB464_1997:
	s_or_b32 exec_lo, exec_lo, s12
	s_and_saveexec_b32 s1, s13
	s_cbranch_execz .LBB464_2000
; %bb.1998:
	; divergent unreachable
	s_or_b32 exec_lo, exec_lo, s1
	s_and_saveexec_b32 s1, s3
	s_delay_alu instid0(SALU_CYCLE_1)
	s_xor_b32 s1, exec_lo, s1
	s_cbranch_execnz .LBB464_2001
.LBB464_1999:
	s_or_b32 exec_lo, exec_lo, s1
	s_and_saveexec_b32 s1, s0
	s_cbranch_execnz .LBB464_2002
	s_branch .LBB464_2039
.LBB464_2000:
	s_or_b32 exec_lo, exec_lo, s1
	s_and_saveexec_b32 s1, s3
	s_delay_alu instid0(SALU_CYCLE_1)
	s_xor_b32 s1, exec_lo, s1
	s_cbranch_execz .LBB464_1999
.LBB464_2001:
	s_waitcnt vmcnt(0)
	s_delay_alu instid0(VALU_DEP_1)
	v_cmp_neq_f64_e32 vcc_lo, 0, v[0:1]
	v_cndmask_b32_e64 v2, 0, 1, vcc_lo
	global_store_b8 v[4:5], v2, off
	s_or_b32 exec_lo, exec_lo, s1
	s_and_saveexec_b32 s1, s0
	s_cbranch_execz .LBB464_2039
.LBB464_2002:
	v_cmp_gt_i16_e32 vcc_lo, 5, v14
	s_mov_b32 s0, -1
	s_cbranch_vccnz .LBB464_2023
; %bb.2003:
	v_cmp_gt_i16_e32 vcc_lo, 8, v14
	s_cbranch_vccnz .LBB464_2013
; %bb.2004:
	v_cmp_gt_i16_e32 vcc_lo, 9, v14
	s_cbranch_vccnz .LBB464_2010
; %bb.2005:
	v_cmp_lt_i16_e32 vcc_lo, 9, v14
	s_cbranch_vccz .LBB464_2007
; %bb.2006:
	s_waitcnt vmcnt(0)
	v_mov_b32_e32 v2, 0
	s_mov_b32 s0, 0
	s_delay_alu instid0(VALU_DEP_1)
	v_mov_b32_e32 v3, v2
	global_store_b128 v[4:5], v[0:3], off
.LBB464_2007:
	s_and_not1_b32 vcc_lo, exec_lo, s0
	s_cbranch_vccnz .LBB464_2009
; %bb.2008:
	s_waitcnt vmcnt(0)
	v_cvt_f32_f64_e32 v2, v[0:1]
	v_mov_b32_e32 v3, 0
	global_store_b64 v[4:5], v[2:3], off
.LBB464_2009:
	s_mov_b32 s0, 0
.LBB464_2010:
	s_delay_alu instid0(SALU_CYCLE_1)
	s_and_not1_b32 vcc_lo, exec_lo, s0
	s_cbranch_vccnz .LBB464_2012
; %bb.2011:
	s_waitcnt vmcnt(0)
	v_cvt_f32_f64_e32 v2, v[0:1]
	s_delay_alu instid0(VALU_DEP_1) | instskip(NEXT) | instid1(VALU_DEP_1)
	v_cvt_f16_f32_e32 v2, v2
	v_and_b32_e32 v2, 0xffff, v2
	global_store_b32 v[4:5], v2, off
.LBB464_2012:
	s_mov_b32 s0, 0
.LBB464_2013:
	s_delay_alu instid0(SALU_CYCLE_1)
	s_and_not1_b32 vcc_lo, exec_lo, s0
	s_cbranch_vccnz .LBB464_2022
; %bb.2014:
	v_cmp_gt_i16_e32 vcc_lo, 6, v14
	s_mov_b32 s0, -1
	s_cbranch_vccnz .LBB464_2020
; %bb.2015:
	v_cmp_lt_i16_e32 vcc_lo, 6, v14
	s_cbranch_vccz .LBB464_2017
; %bb.2016:
	s_mov_b32 s0, 0
	s_waitcnt vmcnt(0)
	global_store_b64 v[4:5], v[0:1], off
.LBB464_2017:
	s_and_not1_b32 vcc_lo, exec_lo, s0
	s_cbranch_vccnz .LBB464_2019
; %bb.2018:
	s_waitcnt vmcnt(0)
	v_cvt_f32_f64_e32 v2, v[0:1]
	global_store_b32 v[4:5], v2, off
.LBB464_2019:
	s_mov_b32 s0, 0
.LBB464_2020:
	s_delay_alu instid0(SALU_CYCLE_1)
	s_and_not1_b32 vcc_lo, exec_lo, s0
	s_cbranch_vccnz .LBB464_2022
; %bb.2021:
	s_waitcnt vmcnt(0)
	v_cvt_f32_f64_e32 v2, v[0:1]
	s_delay_alu instid0(VALU_DEP_1)
	v_cvt_f16_f32_e32 v2, v2
	global_store_b16 v[4:5], v2, off
.LBB464_2022:
	s_mov_b32 s0, 0
.LBB464_2023:
	s_delay_alu instid0(SALU_CYCLE_1)
	s_and_not1_b32 vcc_lo, exec_lo, s0
	s_cbranch_vccnz .LBB464_2039
; %bb.2024:
	v_cmp_gt_i16_e32 vcc_lo, 2, v14
	s_mov_b32 s0, -1
	s_cbranch_vccnz .LBB464_2034
; %bb.2025:
	v_cmp_gt_i16_e32 vcc_lo, 3, v14
	s_cbranch_vccnz .LBB464_2031
; %bb.2026:
	v_cmp_lt_i16_e32 vcc_lo, 3, v14
	s_cbranch_vccz .LBB464_2028
; %bb.2027:
	s_waitcnt vmcnt(0)
	v_trunc_f64_e32 v[2:3], v[0:1]
	s_mov_b32 s0, 0
	s_delay_alu instid0(VALU_DEP_1) | instskip(NEXT) | instid1(VALU_DEP_1)
	v_ldexp_f64 v[6:7], v[2:3], 0xffffffe0
	v_floor_f64_e32 v[6:7], v[6:7]
	s_delay_alu instid0(VALU_DEP_1) | instskip(SKIP_1) | instid1(VALU_DEP_2)
	v_fma_f64 v[2:3], 0xc1f00000, v[6:7], v[2:3]
	v_cvt_i32_f64_e32 v7, v[6:7]
	v_cvt_u32_f64_e32 v6, v[2:3]
	global_store_b64 v[4:5], v[6:7], off
.LBB464_2028:
	s_and_not1_b32 vcc_lo, exec_lo, s0
	s_cbranch_vccnz .LBB464_2030
; %bb.2029:
	s_waitcnt vmcnt(0)
	v_cvt_i32_f64_e32 v2, v[0:1]
	global_store_b32 v[4:5], v2, off
.LBB464_2030:
	s_mov_b32 s0, 0
.LBB464_2031:
	s_delay_alu instid0(SALU_CYCLE_1)
	s_and_not1_b32 vcc_lo, exec_lo, s0
	s_cbranch_vccnz .LBB464_2033
; %bb.2032:
	s_waitcnt vmcnt(0)
	v_cvt_i32_f64_e32 v2, v[0:1]
	global_store_b16 v[4:5], v2, off
.LBB464_2033:
	s_mov_b32 s0, 0
.LBB464_2034:
	s_delay_alu instid0(SALU_CYCLE_1)
	s_and_not1_b32 vcc_lo, exec_lo, s0
	s_cbranch_vccnz .LBB464_2039
; %bb.2035:
	v_cmp_lt_i16_e32 vcc_lo, 0, v14
	s_mov_b32 s0, -1
	s_cbranch_vccz .LBB464_2037
; %bb.2036:
	s_waitcnt vmcnt(0)
	v_cvt_i32_f64_e32 v2, v[0:1]
	s_mov_b32 s0, 0
	global_store_b8 v[4:5], v2, off
.LBB464_2037:
	s_and_not1_b32 vcc_lo, exec_lo, s0
	s_cbranch_vccnz .LBB464_2039
; %bb.2038:
	s_waitcnt vmcnt(0)
	v_trunc_f64_e32 v[0:1], v[0:1]
	s_delay_alu instid0(VALU_DEP_1) | instskip(NEXT) | instid1(VALU_DEP_1)
	v_ldexp_f64 v[2:3], v[0:1], 0xffffffe0
	v_floor_f64_e32 v[2:3], v[2:3]
	s_delay_alu instid0(VALU_DEP_1) | instskip(NEXT) | instid1(VALU_DEP_1)
	v_fma_f64 v[0:1], 0xc1f00000, v[2:3], v[0:1]
	v_cvt_u32_f64_e32 v0, v[0:1]
	global_store_b8 v[4:5], v0, off
	s_nop 0
	s_sendmsg sendmsg(MSG_DEALLOC_VGPRS)
	s_endpgm
.LBB464_2039:
	s_nop 0
	s_sendmsg sendmsg(MSG_DEALLOC_VGPRS)
	s_endpgm
.LBB464_2040:
	s_mov_b32 s1, 0
	s_mov_b32 s0, -1
	s_branch .LBB464_1996
.LBB464_2041:
	s_cbranch_execnz .LBB464_2045
; %bb.2042:
	s_or_b32 s3, s3, exec_lo
                                        ; implicit-def: $vgpr8_vgpr9
	s_cbranch_execz .LBB464_1510
	s_branch .LBB464_1511
.LBB464_2043:
	s_or_saveexec_b32 s7, s7
                                        ; implicit-def: $sgpr9
	s_delay_alu instid0(SALU_CYCLE_1)
	s_xor_b32 exec_lo, exec_lo, s7
	s_cbranch_execz .LBB464_1590
.LBB464_2044:
	v_add_f32_e64 v3, 0x46000000, |v2|
	s_and_not1_b32 s6, s6, exec_lo
	s_mov_b32 s9, 0
	s_delay_alu instid0(VALU_DEP_1) | instskip(NEXT) | instid1(VALU_DEP_1)
	v_and_b32_e32 v3, 0xff, v3
	v_cmp_ne_u32_e32 vcc_lo, 0, v3
	s_and_b32 s10, vcc_lo, exec_lo
	s_delay_alu instid0(SALU_CYCLE_1)
	s_or_b32 s6, s6, s10
	s_or_b32 exec_lo, exec_lo, s7
	v_mov_b32_e32 v16, s9
	s_and_saveexec_b32 s7, s6
	s_cbranch_execnz .LBB464_1591
	s_branch .LBB464_1592
.LBB464_2045:
	s_trap 2
	s_sendmsg_rtn_b32 s0, sendmsg(MSG_RTN_GET_DOORBELL)
	s_mov_b32 ttmp2, m0
	s_waitcnt lgkmcnt(0)
	s_and_b32 s0, s0, 0x3ff
	s_delay_alu instid0(SALU_CYCLE_1) | instskip(NEXT) | instid1(SALU_CYCLE_1)
	s_bitset1_b32 s0, 10
	s_mov_b32 m0, s0
	s_sendmsg sendmsg(MSG_INTERRUPT)
	s_mov_b32 m0, ttmp2
.LBB464_2046:                           ; =>This Inner Loop Header: Depth=1
	s_sethalt 5
	s_branch .LBB464_2046
.LBB464_2047:
	s_cbranch_execnz .LBB464_2053
; %bb.2048:
	s_or_b32 s3, s3, exec_lo
	s_cbranch_execz .LBB464_1638
	s_branch .LBB464_1639
.LBB464_2049:
	s_or_saveexec_b32 s6, s6
                                        ; implicit-def: $sgpr7
	s_delay_alu instid0(SALU_CYCLE_1)
	s_xor_b32 exec_lo, exec_lo, s6
	s_cbranch_execz .LBB464_1603
.LBB464_2050:
	v_add_f32_e64 v3, 0x42800000, |v2|
	s_and_not1_b32 s2, s2, exec_lo
	s_mov_b32 s7, 0
	s_delay_alu instid0(VALU_DEP_1) | instskip(NEXT) | instid1(VALU_DEP_1)
	v_and_b32_e32 v3, 0xff, v3
	v_cmp_ne_u32_e32 vcc_lo, 0, v3
	s_and_b32 s9, vcc_lo, exec_lo
	s_delay_alu instid0(SALU_CYCLE_1)
	s_or_b32 s2, s2, s9
	s_or_b32 exec_lo, exec_lo, s6
	v_mov_b32_e32 v16, s7
	s_and_saveexec_b32 s6, s2
	s_cbranch_execnz .LBB464_1604
	s_branch .LBB464_1605
.LBB464_2051:
	s_or_saveexec_b32 s8, s8
                                        ; implicit-def: $sgpr9
	s_delay_alu instid0(SALU_CYCLE_1)
	s_xor_b32 exec_lo, exec_lo, s8
	s_cbranch_execz .LBB464_1709
.LBB464_2052:
	v_add_f32_e64 v3, 0x46000000, |v2|
	s_and_not1_b32 s7, s7, exec_lo
	s_mov_b32 s9, 0
	s_delay_alu instid0(VALU_DEP_1) | instskip(NEXT) | instid1(VALU_DEP_1)
	v_and_b32_e32 v3, 0xff, v3
	v_cmp_ne_u32_e32 vcc_lo, 0, v3
	s_and_b32 s10, vcc_lo, exec_lo
	s_delay_alu instid0(SALU_CYCLE_1)
	s_or_b32 s7, s7, s10
	s_or_b32 exec_lo, exec_lo, s8
	v_mov_b32_e32 v4, s9
	s_and_saveexec_b32 s8, s7
	s_cbranch_execnz .LBB464_1710
	s_branch .LBB464_1711
.LBB464_2053:
	s_trap 2
	s_sendmsg_rtn_b32 s0, sendmsg(MSG_RTN_GET_DOORBELL)
	s_mov_b32 ttmp2, m0
	s_waitcnt lgkmcnt(0)
	s_and_b32 s0, s0, 0x3ff
	s_delay_alu instid0(SALU_CYCLE_1) | instskip(NEXT) | instid1(SALU_CYCLE_1)
	s_bitset1_b32 s0, 10
	s_mov_b32 m0, s0
	s_sendmsg sendmsg(MSG_INTERRUPT)
	s_mov_b32 m0, ttmp2
.LBB464_2054:                           ; =>This Inner Loop Header: Depth=1
	s_sethalt 5
	s_branch .LBB464_2054
.LBB464_2055:
	s_cbranch_execnz .LBB464_2061
; %bb.2056:
	s_or_b32 s3, s3, exec_lo
	s_cbranch_execz .LBB464_1757
	s_branch .LBB464_1758
.LBB464_2057:
	s_or_saveexec_b32 s7, s7
                                        ; implicit-def: $sgpr8
	s_delay_alu instid0(SALU_CYCLE_1)
	s_xor_b32 exec_lo, exec_lo, s7
	s_cbranch_execz .LBB464_1722
.LBB464_2058:
	v_add_f32_e64 v3, 0x42800000, |v2|
	s_and_not1_b32 s6, s6, exec_lo
	s_mov_b32 s8, 0
	s_delay_alu instid0(VALU_DEP_1) | instskip(NEXT) | instid1(VALU_DEP_1)
	v_and_b32_e32 v3, 0xff, v3
	v_cmp_ne_u32_e32 vcc_lo, 0, v3
	s_and_b32 s9, vcc_lo, exec_lo
	s_delay_alu instid0(SALU_CYCLE_1)
	s_or_b32 s6, s6, s9
	s_or_b32 exec_lo, exec_lo, s7
	v_mov_b32_e32 v4, s8
	s_and_saveexec_b32 s7, s6
	s_cbranch_execnz .LBB464_1723
	s_branch .LBB464_1724
.LBB464_2059:
	s_or_saveexec_b32 s8, s8
                                        ; implicit-def: $sgpr9
	s_delay_alu instid0(SALU_CYCLE_1)
	s_xor_b32 exec_lo, exec_lo, s8
	s_cbranch_execz .LBB464_1828
.LBB464_2060:
	v_add_f32_e64 v3, 0x46000000, |v2|
	s_and_not1_b32 s7, s7, exec_lo
	s_mov_b32 s9, 0
	s_delay_alu instid0(VALU_DEP_1) | instskip(NEXT) | instid1(VALU_DEP_1)
	v_and_b32_e32 v3, 0xff, v3
	v_cmp_ne_u32_e32 vcc_lo, 0, v3
	s_and_b32 s10, vcc_lo, exec_lo
	s_delay_alu instid0(SALU_CYCLE_1)
	s_or_b32 s7, s7, s10
	s_or_b32 exec_lo, exec_lo, s8
	v_mov_b32_e32 v6, s9
	s_and_saveexec_b32 s8, s7
	s_cbranch_execnz .LBB464_1829
	s_branch .LBB464_1830
.LBB464_2061:
	s_trap 2
	s_sendmsg_rtn_b32 s0, sendmsg(MSG_RTN_GET_DOORBELL)
	s_mov_b32 ttmp2, m0
	s_waitcnt lgkmcnt(0)
	s_and_b32 s0, s0, 0x3ff
	s_delay_alu instid0(SALU_CYCLE_1) | instskip(NEXT) | instid1(SALU_CYCLE_1)
	s_bitset1_b32 s0, 10
	s_mov_b32 m0, s0
	s_sendmsg sendmsg(MSG_INTERRUPT)
	s_mov_b32 m0, ttmp2
.LBB464_2062:                           ; =>This Inner Loop Header: Depth=1
	s_sethalt 5
	s_branch .LBB464_2062
.LBB464_2063:
	s_cbranch_execnz .LBB464_2069
; %bb.2064:
	s_or_b32 s3, s3, exec_lo
	s_cbranch_execz .LBB464_1876
	s_branch .LBB464_1877
.LBB464_2065:
	s_or_saveexec_b32 s7, s7
                                        ; implicit-def: $sgpr8
	s_delay_alu instid0(SALU_CYCLE_1)
	s_xor_b32 exec_lo, exec_lo, s7
	s_cbranch_execz .LBB464_1841
.LBB464_2066:
	v_add_f32_e64 v3, 0x42800000, |v2|
	s_and_not1_b32 s6, s6, exec_lo
	s_mov_b32 s8, 0
	s_delay_alu instid0(VALU_DEP_1) | instskip(NEXT) | instid1(VALU_DEP_1)
	v_and_b32_e32 v3, 0xff, v3
	v_cmp_ne_u32_e32 vcc_lo, 0, v3
	s_and_b32 s9, vcc_lo, exec_lo
	s_delay_alu instid0(SALU_CYCLE_1)
	s_or_b32 s6, s6, s9
	s_or_b32 exec_lo, exec_lo, s7
	v_mov_b32_e32 v6, s8
	s_and_saveexec_b32 s7, s6
	s_cbranch_execnz .LBB464_1842
	s_branch .LBB464_1843
.LBB464_2067:
	s_or_saveexec_b32 s5, s5
                                        ; implicit-def: $sgpr6
	s_delay_alu instid0(SALU_CYCLE_1)
	s_xor_b32 exec_lo, exec_lo, s5
	s_cbranch_execz .LBB464_1948
.LBB464_2068:
	v_add_f32_e64 v3, 0x46000000, |v2|
	s_and_not1_b32 s4, s4, exec_lo
	s_mov_b32 s6, 0
	s_delay_alu instid0(VALU_DEP_1) | instskip(NEXT) | instid1(VALU_DEP_1)
	v_and_b32_e32 v3, 0xff, v3
	v_cmp_ne_u32_e32 vcc_lo, 0, v3
	s_and_b32 s7, vcc_lo, exec_lo
	s_delay_alu instid0(SALU_CYCLE_1)
	s_or_b32 s4, s4, s7
	s_or_b32 exec_lo, exec_lo, s5
	v_mov_b32_e32 v6, s6
	s_and_saveexec_b32 s5, s4
	s_cbranch_execnz .LBB464_1949
	s_branch .LBB464_1950
.LBB464_2069:
	s_trap 2
	s_sendmsg_rtn_b32 s0, sendmsg(MSG_RTN_GET_DOORBELL)
	s_mov_b32 ttmp2, m0
	s_waitcnt lgkmcnt(0)
	s_and_b32 s0, s0, 0x3ff
	s_delay_alu instid0(SALU_CYCLE_1) | instskip(NEXT) | instid1(SALU_CYCLE_1)
	s_bitset1_b32 s0, 10
	s_mov_b32 m0, s0
	s_sendmsg sendmsg(MSG_INTERRUPT)
	s_mov_b32 m0, ttmp2
.LBB464_2070:                           ; =>This Inner Loop Header: Depth=1
	s_sethalt 5
	s_branch .LBB464_2070
.LBB464_2071:
	s_cbranch_execnz .LBB464_2075
; %bb.2072:
	s_mov_b32 s1, 0
	s_or_b32 s3, s3, exec_lo
	s_branch .LBB464_1994
.LBB464_2073:
	s_or_saveexec_b32 s4, s4
                                        ; implicit-def: $sgpr5
	s_delay_alu instid0(SALU_CYCLE_1)
	s_xor_b32 exec_lo, exec_lo, s4
	s_cbranch_execz .LBB464_1960
.LBB464_2074:
	v_add_f32_e64 v3, 0x42800000, |v2|
	s_and_not1_b32 s2, s2, exec_lo
	s_mov_b32 s5, 0
	s_delay_alu instid0(VALU_DEP_1) | instskip(NEXT) | instid1(VALU_DEP_1)
	v_and_b32_e32 v3, 0xff, v3
	v_cmp_ne_u32_e32 vcc_lo, 0, v3
	s_and_b32 s6, vcc_lo, exec_lo
	s_delay_alu instid0(SALU_CYCLE_1)
	s_or_b32 s2, s2, s6
	s_or_b32 exec_lo, exec_lo, s4
	v_mov_b32_e32 v6, s5
	s_and_saveexec_b32 s4, s2
	s_cbranch_execnz .LBB464_1961
	s_branch .LBB464_1962
.LBB464_2075:
	s_trap 2
	s_sendmsg_rtn_b32 s0, sendmsg(MSG_RTN_GET_DOORBELL)
	s_mov_b32 ttmp2, m0
	s_waitcnt lgkmcnt(0)
	s_and_b32 s0, s0, 0x3ff
	s_delay_alu instid0(SALU_CYCLE_1) | instskip(NEXT) | instid1(SALU_CYCLE_1)
	s_bitset1_b32 s0, 10
	s_mov_b32 m0, s0
	s_sendmsg sendmsg(MSG_INTERRUPT)
	s_mov_b32 m0, ttmp2
.LBB464_2076:                           ; =>This Inner Loop Header: Depth=1
	s_sethalt 5
	s_branch .LBB464_2076
	.section	.rodata,"a",@progbits
	.p2align	6, 0x0
	.amdhsa_kernel _ZN2at6native32elementwise_kernel_manual_unrollILi128ELi4EZNS0_15gpu_kernel_implIZZZNS0_21clamp_max_kernel_cudaERNS_18TensorIteratorBaseERKN3c106ScalarEENKUlvE_clEvENKUlvE4_clEvEUldE_EEvS4_RKT_EUlibE_EEviT1_
		.amdhsa_group_segment_fixed_size 0
		.amdhsa_private_segment_fixed_size 0
		.amdhsa_kernarg_size 48
		.amdhsa_user_sgpr_count 15
		.amdhsa_user_sgpr_dispatch_ptr 0
		.amdhsa_user_sgpr_queue_ptr 0
		.amdhsa_user_sgpr_kernarg_segment_ptr 1
		.amdhsa_user_sgpr_dispatch_id 0
		.amdhsa_user_sgpr_private_segment_size 0
		.amdhsa_wavefront_size32 1
		.amdhsa_uses_dynamic_stack 0
		.amdhsa_enable_private_segment 0
		.amdhsa_system_sgpr_workgroup_id_x 1
		.amdhsa_system_sgpr_workgroup_id_y 0
		.amdhsa_system_sgpr_workgroup_id_z 0
		.amdhsa_system_sgpr_workgroup_info 0
		.amdhsa_system_vgpr_workitem_id 0
		.amdhsa_next_free_vgpr 18
		.amdhsa_next_free_sgpr 28
		.amdhsa_reserve_vcc 1
		.amdhsa_float_round_mode_32 0
		.amdhsa_float_round_mode_16_64 0
		.amdhsa_float_denorm_mode_32 3
		.amdhsa_float_denorm_mode_16_64 3
		.amdhsa_dx10_clamp 1
		.amdhsa_ieee_mode 1
		.amdhsa_fp16_overflow 0
		.amdhsa_workgroup_processor_mode 1
		.amdhsa_memory_ordered 1
		.amdhsa_forward_progress 0
		.amdhsa_shared_vgpr_count 0
		.amdhsa_exception_fp_ieee_invalid_op 0
		.amdhsa_exception_fp_denorm_src 0
		.amdhsa_exception_fp_ieee_div_zero 0
		.amdhsa_exception_fp_ieee_overflow 0
		.amdhsa_exception_fp_ieee_underflow 0
		.amdhsa_exception_fp_ieee_inexact 0
		.amdhsa_exception_int_div_zero 0
	.end_amdhsa_kernel
	.section	.text._ZN2at6native32elementwise_kernel_manual_unrollILi128ELi4EZNS0_15gpu_kernel_implIZZZNS0_21clamp_max_kernel_cudaERNS_18TensorIteratorBaseERKN3c106ScalarEENKUlvE_clEvENKUlvE4_clEvEUldE_EEvS4_RKT_EUlibE_EEviT1_,"axG",@progbits,_ZN2at6native32elementwise_kernel_manual_unrollILi128ELi4EZNS0_15gpu_kernel_implIZZZNS0_21clamp_max_kernel_cudaERNS_18TensorIteratorBaseERKN3c106ScalarEENKUlvE_clEvENKUlvE4_clEvEUldE_EEvS4_RKT_EUlibE_EEviT1_,comdat
.Lfunc_end464:
	.size	_ZN2at6native32elementwise_kernel_manual_unrollILi128ELi4EZNS0_15gpu_kernel_implIZZZNS0_21clamp_max_kernel_cudaERNS_18TensorIteratorBaseERKN3c106ScalarEENKUlvE_clEvENKUlvE4_clEvEUldE_EEvS4_RKT_EUlibE_EEviT1_, .Lfunc_end464-_ZN2at6native32elementwise_kernel_manual_unrollILi128ELi4EZNS0_15gpu_kernel_implIZZZNS0_21clamp_max_kernel_cudaERNS_18TensorIteratorBaseERKN3c106ScalarEENKUlvE_clEvENKUlvE4_clEvEUldE_EEvS4_RKT_EUlibE_EEviT1_
                                        ; -- End function
	.section	.AMDGPU.csdata,"",@progbits
; Kernel info:
; codeLenInByte = 35612
; NumSgprs: 30
; NumVgprs: 18
; ScratchSize: 0
; MemoryBound: 1
; FloatMode: 240
; IeeeMode: 1
; LDSByteSize: 0 bytes/workgroup (compile time only)
; SGPRBlocks: 3
; VGPRBlocks: 2
; NumSGPRsForWavesPerEU: 30
; NumVGPRsForWavesPerEU: 18
; Occupancy: 16
; WaveLimiterHint : 0
; COMPUTE_PGM_RSRC2:SCRATCH_EN: 0
; COMPUTE_PGM_RSRC2:USER_SGPR: 15
; COMPUTE_PGM_RSRC2:TRAP_HANDLER: 0
; COMPUTE_PGM_RSRC2:TGID_X_EN: 1
; COMPUTE_PGM_RSRC2:TGID_Y_EN: 0
; COMPUTE_PGM_RSRC2:TGID_Z_EN: 0
; COMPUTE_PGM_RSRC2:TIDIG_COMP_CNT: 0
	.section	.text._ZN2at6native32elementwise_kernel_manual_unrollILi128ELi4EZNS0_15gpu_kernel_implIZZZNS0_21clamp_max_kernel_cudaERNS_18TensorIteratorBaseERKN3c106ScalarEENKUlvE_clEvENKUlvE4_clEvEUldE_EEvS4_RKT_EUlibE0_EEviT1_,"axG",@progbits,_ZN2at6native32elementwise_kernel_manual_unrollILi128ELi4EZNS0_15gpu_kernel_implIZZZNS0_21clamp_max_kernel_cudaERNS_18TensorIteratorBaseERKN3c106ScalarEENKUlvE_clEvENKUlvE4_clEvEUldE_EEvS4_RKT_EUlibE0_EEviT1_,comdat
	.globl	_ZN2at6native32elementwise_kernel_manual_unrollILi128ELi4EZNS0_15gpu_kernel_implIZZZNS0_21clamp_max_kernel_cudaERNS_18TensorIteratorBaseERKN3c106ScalarEENKUlvE_clEvENKUlvE4_clEvEUldE_EEvS4_RKT_EUlibE0_EEviT1_ ; -- Begin function _ZN2at6native32elementwise_kernel_manual_unrollILi128ELi4EZNS0_15gpu_kernel_implIZZZNS0_21clamp_max_kernel_cudaERNS_18TensorIteratorBaseERKN3c106ScalarEENKUlvE_clEvENKUlvE4_clEvEUldE_EEvS4_RKT_EUlibE0_EEviT1_
	.p2align	8
	.type	_ZN2at6native32elementwise_kernel_manual_unrollILi128ELi4EZNS0_15gpu_kernel_implIZZZNS0_21clamp_max_kernel_cudaERNS_18TensorIteratorBaseERKN3c106ScalarEENKUlvE_clEvENKUlvE4_clEvEUldE_EEvS4_RKT_EUlibE0_EEviT1_,@function
_ZN2at6native32elementwise_kernel_manual_unrollILi128ELi4EZNS0_15gpu_kernel_implIZZZNS0_21clamp_max_kernel_cudaERNS_18TensorIteratorBaseERKN3c106ScalarEENKUlvE_clEvENKUlvE4_clEvEUldE_EEvS4_RKT_EUlibE0_EEviT1_: ; @_ZN2at6native32elementwise_kernel_manual_unrollILi128ELi4EZNS0_15gpu_kernel_implIZZZNS0_21clamp_max_kernel_cudaERNS_18TensorIteratorBaseERKN3c106ScalarEENKUlvE_clEvENKUlvE4_clEvEUldE_EEvS4_RKT_EUlibE0_EEviT1_
; %bb.0:
	s_clause 0x1
	s_load_b32 s26, s[0:1], 0x8
	s_load_b32 s34, s[0:1], 0x0
	v_lshl_or_b32 v9, s15, 9, v0
	s_or_b32 s16, s0, 8
	s_mov_b32 s3, -1
	s_mov_b32 s28, 0
	s_mov_b32 s17, s1
	v_or_b32_e32 v3, 0x180, v9
	s_mov_b32 s8, 0
	s_mov_b32 s2, exec_lo
	s_waitcnt lgkmcnt(0)
	s_add_i32 s27, s26, -1
	s_delay_alu instid0(SALU_CYCLE_1)
	s_cmp_gt_u32 s27, 1
	s_cselect_b32 s29, -1, 0
	v_cmpx_le_i32_e64 s34, v3
	s_xor_b32 s30, exec_lo, s2
	s_cbranch_execz .LBB465_1076
; %bb.1:
	s_clause 0x5
	s_load_b32 s31, s[16:17], 0x160
	s_load_b64 s[18:19], s[16:17], 0x158
	s_load_b128 s[12:15], s[16:17], 0x4
	s_load_b64 s[20:21], s[16:17], 0x14
	s_load_b128 s[8:11], s[16:17], 0xc4
	s_load_b128 s[4:7], s[16:17], 0x148
	s_cmp_lg_u32 s26, 0
	s_mov_b32 s40, 0
	s_cselect_b32 s36, -1, 0
	s_add_u32 s22, s16, 0xc4
	s_addc_u32 s23, s17, 0
	s_min_u32 s35, s27, 15
	s_cmp_gt_u32 s26, 1
	s_mov_b32 s38, 0
	s_cselect_b32 s33, -1, 0
	s_mov_b32 s37, 0
	s_mov_b32 s39, exec_lo
	s_waitcnt lgkmcnt(0)
	v_lshrrev_b16 v8, 8, s31
	v_cmpx_gt_i32_e64 s34, v9
	s_cbranch_execz .LBB465_263
; %bb.2:
	s_and_not1_b32 vcc_lo, exec_lo, s29
	s_cbranch_vccnz .LBB465_7
; %bb.3:
	v_dual_mov_b32 v0, 0 :: v_dual_mov_b32 v1, 0
	s_and_not1_b32 vcc_lo, exec_lo, s36
	s_cbranch_vccnz .LBB465_12
; %bb.4:
	v_mov_b32_e32 v0, 0
	s_add_i32 s41, s35, 1
	s_cmp_eq_u32 s27, 2
	s_cbranch_scc1 .LBB465_8
; %bb.5:
	v_dual_mov_b32 v1, 0 :: v_dual_mov_b32 v0, 0
	v_mov_b32_e32 v2, v9
	s_and_b32 s38, s41, 28
	s_mov_b32 s42, 0
	s_mov_b64 s[2:3], s[22:23]
	s_mov_b64 s[24:25], s[16:17]
.LBB465_6:                              ; =>This Inner Loop Header: Depth=1
	s_clause 0x1
	s_load_b256 s[44:51], s[24:25], 0x4
	s_load_b128 s[60:63], s[24:25], 0x24
	s_load_b256 s[52:59], s[2:3], 0x0
	s_add_u32 s24, s24, 48
	s_addc_u32 s25, s25, 0
	s_add_i32 s42, s42, 4
	s_add_u32 s2, s2, 32
	s_addc_u32 s3, s3, 0
	s_cmp_lg_u32 s38, s42
	s_waitcnt lgkmcnt(0)
	v_mul_hi_u32 v3, s45, v2
	s_delay_alu instid0(VALU_DEP_1) | instskip(NEXT) | instid1(VALU_DEP_1)
	v_add_nc_u32_e32 v3, v2, v3
	v_lshrrev_b32_e32 v3, s46, v3
	s_delay_alu instid0(VALU_DEP_1) | instskip(SKIP_1) | instid1(VALU_DEP_2)
	v_mul_hi_u32 v4, s48, v3
	v_mul_lo_u32 v6, v3, s44
	v_add_nc_u32_e32 v4, v3, v4
	s_delay_alu instid0(VALU_DEP_2) | instskip(NEXT) | instid1(VALU_DEP_2)
	v_sub_nc_u32_e32 v2, v2, v6
	v_lshrrev_b32_e32 v4, s49, v4
	s_delay_alu instid0(VALU_DEP_2) | instskip(SKIP_1) | instid1(VALU_DEP_3)
	v_mul_lo_u32 v6, v2, s52
	v_mul_lo_u32 v10, v2, s53
	v_mul_hi_u32 v5, s51, v4
	s_delay_alu instid0(VALU_DEP_1) | instskip(NEXT) | instid1(VALU_DEP_1)
	v_add_nc_u32_e32 v5, v4, v5
	v_lshrrev_b32_e32 v5, s60, v5
	s_delay_alu instid0(VALU_DEP_1) | instskip(SKIP_1) | instid1(VALU_DEP_2)
	v_mul_hi_u32 v7, s62, v5
	v_mul_lo_u32 v11, v5, s50
	v_add_nc_u32_e32 v2, v5, v7
	v_mul_lo_u32 v7, v4, s47
	s_delay_alu instid0(VALU_DEP_3) | instskip(NEXT) | instid1(VALU_DEP_3)
	v_sub_nc_u32_e32 v4, v4, v11
	v_lshrrev_b32_e32 v2, s63, v2
	s_delay_alu instid0(VALU_DEP_2) | instskip(SKIP_2) | instid1(VALU_DEP_4)
	v_mul_lo_u32 v11, v4, s56
	v_mul_lo_u32 v4, v4, s57
	v_sub_nc_u32_e32 v3, v3, v7
	v_mul_lo_u32 v12, v2, s61
	s_delay_alu instid0(VALU_DEP_2) | instskip(SKIP_1) | instid1(VALU_DEP_3)
	v_mul_lo_u32 v7, v3, s54
	v_mul_lo_u32 v3, v3, s55
	v_sub_nc_u32_e32 v5, v5, v12
	s_delay_alu instid0(VALU_DEP_3) | instskip(NEXT) | instid1(VALU_DEP_2)
	v_add3_u32 v0, v6, v0, v7
	v_mul_lo_u32 v12, v5, s58
	v_mul_lo_u32 v5, v5, s59
	v_add3_u32 v1, v10, v1, v3
	s_delay_alu instid0(VALU_DEP_3) | instskip(NEXT) | instid1(VALU_DEP_2)
	v_add3_u32 v0, v11, v0, v12
	v_add3_u32 v1, v4, v1, v5
	s_cbranch_scc1 .LBB465_6
	s_branch .LBB465_9
.LBB465_7:
	s_mov_b32 s37, -1
                                        ; implicit-def: $vgpr0
                                        ; implicit-def: $vgpr1
	s_branch .LBB465_12
.LBB465_8:
	v_dual_mov_b32 v2, v9 :: v_dual_mov_b32 v1, 0
.LBB465_9:
	s_and_b32 s41, s41, 3
	s_delay_alu instid0(SALU_CYCLE_1)
	s_cmp_eq_u32 s41, 0
	s_cbranch_scc1 .LBB465_12
; %bb.10:
	s_lshl_b32 s2, s38, 3
	s_mul_i32 s24, s38, 12
	s_add_u32 s2, s2, s16
	s_addc_u32 s3, s17, 0
	s_add_u32 s2, s2, 0xc4
	s_addc_u32 s3, s3, 0
	;; [unrolled: 2-line block ×3, first 2 shown]
	.p2align	6
.LBB465_11:                             ; =>This Inner Loop Header: Depth=1
	s_clause 0x1
	s_load_b64 s[42:43], s[24:25], 0x4
	s_load_b32 s38, s[24:25], 0xc
	s_load_b64 s[44:45], s[2:3], 0x0
	s_add_u32 s24, s24, 12
	s_addc_u32 s25, s25, 0
	s_add_u32 s2, s2, 8
	s_addc_u32 s3, s3, 0
	s_add_i32 s41, s41, -1
	s_delay_alu instid0(SALU_CYCLE_1) | instskip(SKIP_2) | instid1(VALU_DEP_1)
	s_cmp_lg_u32 s41, 0
	s_waitcnt lgkmcnt(0)
	v_mul_hi_u32 v3, s43, v2
	v_add_nc_u32_e32 v3, v2, v3
	s_delay_alu instid0(VALU_DEP_1) | instskip(NEXT) | instid1(VALU_DEP_1)
	v_lshrrev_b32_e32 v6, s38, v3
	v_mul_lo_u32 v3, v6, s42
	s_delay_alu instid0(VALU_DEP_1) | instskip(NEXT) | instid1(VALU_DEP_1)
	v_sub_nc_u32_e32 v2, v2, v3
	v_mad_u64_u32 v[3:4], null, v2, s44, v[0:1]
	v_mad_u64_u32 v[4:5], null, v2, s45, v[1:2]
	v_mov_b32_e32 v2, v6
	s_delay_alu instid0(VALU_DEP_2)
	v_dual_mov_b32 v0, v3 :: v_dual_mov_b32 v1, v4
	s_cbranch_scc1 .LBB465_11
.LBB465_12:
	s_and_not1_b32 vcc_lo, exec_lo, s37
	s_cbranch_vccnz .LBB465_15
; %bb.13:
	v_mul_hi_u32 v0, s13, v9
	s_and_not1_b32 vcc_lo, exec_lo, s33
	s_delay_alu instid0(VALU_DEP_1) | instskip(NEXT) | instid1(VALU_DEP_1)
	v_add_nc_u32_e32 v0, v9, v0
	v_lshrrev_b32_e32 v2, s14, v0
	s_delay_alu instid0(VALU_DEP_1) | instskip(NEXT) | instid1(VALU_DEP_1)
	v_mul_lo_u32 v0, v2, s12
	v_sub_nc_u32_e32 v1, v9, v0
	s_delay_alu instid0(VALU_DEP_1)
	v_mul_lo_u32 v0, v1, s8
	v_mul_lo_u32 v1, v1, s9
	s_cbranch_vccnz .LBB465_15
; %bb.14:
	v_mul_hi_u32 v3, s20, v2
	s_delay_alu instid0(VALU_DEP_1) | instskip(NEXT) | instid1(VALU_DEP_1)
	v_add_nc_u32_e32 v3, v2, v3
	v_lshrrev_b32_e32 v3, s21, v3
	s_delay_alu instid0(VALU_DEP_1) | instskip(NEXT) | instid1(VALU_DEP_1)
	v_mul_lo_u32 v3, v3, s15
	v_sub_nc_u32_e32 v5, v2, v3
	s_delay_alu instid0(VALU_DEP_1) | instskip(NEXT) | instid1(VALU_DEP_1)
	v_mad_u64_u32 v[2:3], null, v5, s10, v[0:1]
	v_mad_u64_u32 v[3:4], null, v5, s11, v[1:2]
	s_delay_alu instid0(VALU_DEP_1)
	v_dual_mov_b32 v0, v2 :: v_dual_mov_b32 v1, v3
.LBB465_15:
	v_cmp_gt_i16_e32 vcc_lo, 11, v8
	s_delay_alu instid0(VALU_DEP_2) | instskip(NEXT) | instid1(VALU_DEP_1)
	v_add_co_u32 v1, s2, s6, v1
	v_add_co_ci_u32_e64 v2, null, s7, 0, s2
	s_mov_b32 s24, 0
	s_cbranch_vccnz .LBB465_22
; %bb.16:
	v_cmp_lt_i16_e32 vcc_lo, 25, v8
	s_cbranch_vccz .LBB465_141
; %bb.17:
	v_cmp_lt_i16_e32 vcc_lo, 28, v8
	s_cbranch_vccz .LBB465_142
	;; [unrolled: 3-line block ×4, first 2 shown]
; %bb.20:
	v_cmp_eq_u16_e32 vcc_lo, 46, v8
	s_mov_b32 s3, 0
	s_cbranch_vccz .LBB465_145
; %bb.21:
	global_load_b32 v3, v[1:2], off
	s_mov_b32 s2, -1
	s_waitcnt vmcnt(0)
	v_lshlrev_b32_e32 v3, 16, v3
	s_delay_alu instid0(VALU_DEP_1)
	v_cvt_f64_f32_e32 v[6:7], v3
	s_branch .LBB465_147
.LBB465_22:
	s_mov_b32 s2, 0
                                        ; implicit-def: $vgpr6_vgpr7
	s_cbranch_execnz .LBB465_213
.LBB465_23:
	s_and_not1_b32 vcc_lo, exec_lo, s2
	s_cbranch_vccnz .LBB465_260
.LBB465_24:
	v_max_f64 v[1:2], s[18:19], s[18:19]
	s_waitcnt vmcnt(0)
	s_delay_alu instid0(VALU_DEP_2) | instskip(SKIP_3) | instid1(VALU_DEP_1)
	v_max_f64 v[3:4], v[6:7], v[6:7]
	v_cmp_u_f64_e32 vcc_lo, v[6:7], v[6:7]
	v_and_b32_e64 v10, 0xff, s31
	s_mov_b32 s3, 0
	v_cmp_gt_i16_e64 s2, 11, v10
	s_delay_alu instid0(VALU_DEP_4) | instskip(SKIP_1) | instid1(VALU_DEP_1)
	v_min_f64 v[2:3], v[3:4], v[1:2]
	v_add_co_u32 v4, s25, s4, v0
	v_add_co_ci_u32_e64 v5, null, s5, 0, s25
	s_mov_b32 s25, -1
	s_delay_alu instid0(VALU_DEP_3)
	v_dual_cndmask_b32 v1, v3, v7 :: v_dual_cndmask_b32 v0, v2, v6
	s_and_b32 vcc_lo, exec_lo, s2
	s_mov_b32 s2, 0
	s_cbranch_vccnz .LBB465_101
; %bb.25:
	v_cmp_lt_i16_e32 vcc_lo, 25, v10
	s_cbranch_vccz .LBB465_58
; %bb.26:
	v_cmp_lt_i16_e32 vcc_lo, 28, v10
	s_cbranch_vccz .LBB465_41
	;; [unrolled: 3-line block ×4, first 2 shown]
; %bb.29:
	v_cmp_eq_u16_e32 vcc_lo, 46, v10
	s_mov_b32 s25, 0
	s_mov_b32 s3, -1
	s_cbranch_vccz .LBB465_31
; %bb.30:
	v_cvt_f32_f64_e32 v2, v[0:1]
	s_mov_b32 s2, -1
	s_mov_b32 s3, 0
	s_delay_alu instid0(VALU_DEP_1) | instskip(SKIP_1) | instid1(VALU_DEP_2)
	v_bfe_u32 v3, v2, 16, 1
	v_cmp_o_f32_e32 vcc_lo, v2, v2
	v_add3_u32 v3, v2, v3, 0x7fff
	s_delay_alu instid0(VALU_DEP_1) | instskip(NEXT) | instid1(VALU_DEP_1)
	v_lshrrev_b32_e32 v3, 16, v3
	v_cndmask_b32_e32 v2, 0x7fc0, v3, vcc_lo
	global_store_b32 v[4:5], v2, off
.LBB465_31:
	s_and_b32 vcc_lo, exec_lo, s25
	s_cbranch_vccz .LBB465_36
; %bb.32:
	v_cmp_eq_u16_e32 vcc_lo, 44, v10
	s_mov_b32 s3, -1
	s_cbranch_vccz .LBB465_36
; %bb.33:
	v_cvt_f32_f64_e32 v2, v[0:1]
	v_mov_b32_e32 v3, 0xff
	s_mov_b32 s3, exec_lo
	s_delay_alu instid0(VALU_DEP_2) | instskip(NEXT) | instid1(VALU_DEP_1)
	v_bfe_u32 v6, v2, 23, 8
	v_cmpx_ne_u32_e32 0xff, v6
; %bb.34:
	v_and_b32_e32 v3, 0x400000, v2
	v_and_or_b32 v6, 0x3fffff, v2, v6
	v_lshrrev_b32_e32 v2, 23, v2
	s_delay_alu instid0(VALU_DEP_3) | instskip(NEXT) | instid1(VALU_DEP_3)
	v_cmp_ne_u32_e32 vcc_lo, 0, v3
	v_cmp_ne_u32_e64 s2, 0, v6
	s_delay_alu instid0(VALU_DEP_1) | instskip(NEXT) | instid1(SALU_CYCLE_1)
	s_and_b32 s2, vcc_lo, s2
	v_cndmask_b32_e64 v3, 0, 1, s2
	s_delay_alu instid0(VALU_DEP_1)
	v_add_nc_u32_e32 v3, v2, v3
; %bb.35:
	s_or_b32 exec_lo, exec_lo, s3
	s_mov_b32 s2, -1
	s_mov_b32 s3, 0
	global_store_b8 v[4:5], v3, off
.LBB465_36:
	s_mov_b32 s25, 0
.LBB465_37:
	s_delay_alu instid0(SALU_CYCLE_1)
	s_and_b32 vcc_lo, exec_lo, s25
	s_cbranch_vccz .LBB465_40
; %bb.38:
	v_cmp_eq_u16_e32 vcc_lo, 29, v10
	s_mov_b32 s3, -1
	s_cbranch_vccz .LBB465_40
; %bb.39:
	v_trunc_f64_e32 v[2:3], v[0:1]
	s_mov_b32 s2, -1
	s_mov_b32 s3, 0
	s_delay_alu instid0(VALU_DEP_1) | instskip(NEXT) | instid1(VALU_DEP_1)
	v_ldexp_f64 v[6:7], v[2:3], 0xffffffe0
	v_floor_f64_e32 v[6:7], v[6:7]
	s_delay_alu instid0(VALU_DEP_1) | instskip(SKIP_1) | instid1(VALU_DEP_2)
	v_fma_f64 v[2:3], 0xc1f00000, v[6:7], v[2:3]
	v_cvt_u32_f64_e32 v7, v[6:7]
	v_cvt_u32_f64_e32 v6, v[2:3]
	global_store_b64 v[4:5], v[6:7], off
.LBB465_40:
	s_mov_b32 s25, 0
.LBB465_41:
	s_delay_alu instid0(SALU_CYCLE_1)
	s_and_b32 vcc_lo, exec_lo, s25
	s_cbranch_vccz .LBB465_57
; %bb.42:
	v_cmp_gt_i16_e32 vcc_lo, 27, v10
	s_mov_b32 s2, -1
	s_cbranch_vccnz .LBB465_48
; %bb.43:
	v_cmp_lt_i16_e32 vcc_lo, 27, v10
	s_cbranch_vccz .LBB465_45
; %bb.44:
	v_cvt_u32_f64_e32 v2, v[0:1]
	s_mov_b32 s2, 0
	global_store_b32 v[4:5], v2, off
.LBB465_45:
	s_and_not1_b32 vcc_lo, exec_lo, s2
	s_cbranch_vccnz .LBB465_47
; %bb.46:
	v_cvt_u32_f64_e32 v2, v[0:1]
	global_store_b16 v[4:5], v2, off
.LBB465_47:
	s_mov_b32 s2, 0
.LBB465_48:
	s_delay_alu instid0(SALU_CYCLE_1)
	s_and_not1_b32 vcc_lo, exec_lo, s2
	s_cbranch_vccnz .LBB465_56
; %bb.49:
	v_cvt_f32_f64_e32 v2, v[0:1]
	v_mov_b32_e32 v6, 0x80
	s_mov_b32 s2, exec_lo
	s_delay_alu instid0(VALU_DEP_2) | instskip(NEXT) | instid1(VALU_DEP_1)
	v_and_b32_e32 v3, 0x7fffffff, v2
	v_cmpx_gt_u32_e32 0x43800000, v3
	s_cbranch_execz .LBB465_55
; %bb.50:
	v_cmp_lt_u32_e32 vcc_lo, 0x3bffffff, v3
	s_mov_b32 s25, 0
                                        ; implicit-def: $vgpr3
	s_and_saveexec_b32 s37, vcc_lo
	s_delay_alu instid0(SALU_CYCLE_1)
	s_xor_b32 s37, exec_lo, s37
	s_cbranch_execz .LBB465_150
; %bb.51:
	v_bfe_u32 v3, v2, 20, 1
	s_mov_b32 s25, exec_lo
	s_delay_alu instid0(VALU_DEP_1) | instskip(NEXT) | instid1(VALU_DEP_1)
	v_add3_u32 v3, v2, v3, 0x487ffff
	v_lshrrev_b32_e32 v3, 20, v3
	s_or_saveexec_b32 s37, s37
                                        ; implicit-def: $sgpr38
	s_delay_alu instid0(SALU_CYCLE_1)
	s_xor_b32 exec_lo, exec_lo, s37
	s_cbranch_execnz .LBB465_151
.LBB465_52:
	s_or_b32 exec_lo, exec_lo, s37
	v_mov_b32_e32 v6, s38
	s_and_saveexec_b32 s37, s25
.LBB465_53:
	v_lshrrev_b32_e32 v2, 24, v2
	s_delay_alu instid0(VALU_DEP_1)
	v_and_or_b32 v6, 0x80, v2, v3
.LBB465_54:
	s_or_b32 exec_lo, exec_lo, s37
.LBB465_55:
	s_delay_alu instid0(SALU_CYCLE_1)
	s_or_b32 exec_lo, exec_lo, s2
	global_store_b8 v[4:5], v6, off
.LBB465_56:
	s_mov_b32 s2, -1
.LBB465_57:
	s_mov_b32 s25, 0
.LBB465_58:
	s_delay_alu instid0(SALU_CYCLE_1)
	s_and_b32 vcc_lo, exec_lo, s25
	s_cbranch_vccz .LBB465_99
; %bb.59:
	v_cmp_lt_i16_e32 vcc_lo, 22, v10
	s_mov_b32 s25, -1
	s_cbranch_vccz .LBB465_91
; %bb.60:
	v_cmp_gt_i16_e32 vcc_lo, 24, v10
	s_mov_b32 s2, -1
	s_cbranch_vccnz .LBB465_80
; %bb.61:
	v_cmp_lt_i16_e32 vcc_lo, 24, v10
	s_cbranch_vccz .LBB465_69
; %bb.62:
	v_cvt_f32_f64_e32 v2, v[0:1]
	v_mov_b32_e32 v6, 0x80
	s_mov_b32 s2, exec_lo
	s_delay_alu instid0(VALU_DEP_2) | instskip(NEXT) | instid1(VALU_DEP_1)
	v_and_b32_e32 v3, 0x7fffffff, v2
	v_cmpx_gt_u32_e32 0x47800000, v3
	s_cbranch_execz .LBB465_68
; %bb.63:
	v_cmp_lt_u32_e32 vcc_lo, 0x37ffffff, v3
	s_mov_b32 s25, 0
                                        ; implicit-def: $vgpr3
	s_and_saveexec_b32 s37, vcc_lo
	s_delay_alu instid0(SALU_CYCLE_1)
	s_xor_b32 s37, exec_lo, s37
	s_cbranch_execz .LBB465_341
; %bb.64:
	v_bfe_u32 v3, v2, 21, 1
	s_mov_b32 s25, exec_lo
	s_delay_alu instid0(VALU_DEP_1) | instskip(NEXT) | instid1(VALU_DEP_1)
	v_add3_u32 v3, v2, v3, 0x88fffff
	v_lshrrev_b32_e32 v3, 21, v3
	s_or_saveexec_b32 s37, s37
                                        ; implicit-def: $sgpr38
	s_delay_alu instid0(SALU_CYCLE_1)
	s_xor_b32 exec_lo, exec_lo, s37
	s_cbranch_execnz .LBB465_342
.LBB465_65:
	s_or_b32 exec_lo, exec_lo, s37
	v_mov_b32_e32 v6, s38
	s_and_saveexec_b32 s37, s25
.LBB465_66:
	v_lshrrev_b32_e32 v2, 24, v2
	s_delay_alu instid0(VALU_DEP_1)
	v_and_or_b32 v6, 0x80, v2, v3
.LBB465_67:
	s_or_b32 exec_lo, exec_lo, s37
.LBB465_68:
	s_delay_alu instid0(SALU_CYCLE_1)
	s_or_b32 exec_lo, exec_lo, s2
	s_mov_b32 s2, 0
	global_store_b8 v[4:5], v6, off
.LBB465_69:
	s_and_b32 vcc_lo, exec_lo, s2
	s_cbranch_vccz .LBB465_79
; %bb.70:
	v_cvt_f32_f64_e32 v2, v[0:1]
	s_mov_b32 s2, exec_lo
                                        ; implicit-def: $vgpr3
	s_delay_alu instid0(VALU_DEP_1) | instskip(NEXT) | instid1(VALU_DEP_1)
	v_and_b32_e32 v6, 0x7fffffff, v2
	v_cmpx_gt_u32_e32 0x43f00000, v6
	s_xor_b32 s2, exec_lo, s2
	s_cbranch_execz .LBB465_76
; %bb.71:
	s_mov_b32 s25, exec_lo
                                        ; implicit-def: $vgpr3
	v_cmpx_lt_u32_e32 0x3c7fffff, v6
	s_xor_b32 s25, exec_lo, s25
; %bb.72:
	v_bfe_u32 v3, v2, 20, 1
	s_delay_alu instid0(VALU_DEP_1) | instskip(NEXT) | instid1(VALU_DEP_1)
	v_add3_u32 v3, v2, v3, 0x407ffff
	v_and_b32_e32 v6, 0xff00000, v3
	v_lshrrev_b32_e32 v3, 20, v3
	s_delay_alu instid0(VALU_DEP_2) | instskip(NEXT) | instid1(VALU_DEP_2)
	v_cmp_ne_u32_e32 vcc_lo, 0x7f00000, v6
	v_cndmask_b32_e32 v3, 0x7e, v3, vcc_lo
; %bb.73:
	s_and_not1_saveexec_b32 s25, s25
; %bb.74:
	v_add_f32_e64 v3, 0x46800000, |v2|
; %bb.75:
	s_or_b32 exec_lo, exec_lo, s25
                                        ; implicit-def: $vgpr6
.LBB465_76:
	s_and_not1_saveexec_b32 s2, s2
; %bb.77:
	v_mov_b32_e32 v3, 0x7f
	v_cmp_lt_u32_e32 vcc_lo, 0x7f800000, v6
	s_delay_alu instid0(VALU_DEP_2)
	v_cndmask_b32_e32 v3, 0x7e, v3, vcc_lo
; %bb.78:
	s_or_b32 exec_lo, exec_lo, s2
	v_lshrrev_b32_e32 v2, 24, v2
	s_delay_alu instid0(VALU_DEP_1)
	v_and_or_b32 v2, 0x80, v2, v3
	global_store_b8 v[4:5], v2, off
.LBB465_79:
	s_mov_b32 s2, 0
.LBB465_80:
	s_delay_alu instid0(SALU_CYCLE_1)
	s_and_not1_b32 vcc_lo, exec_lo, s2
	s_cbranch_vccnz .LBB465_90
; %bb.81:
	v_cvt_f32_f64_e32 v2, v[0:1]
	s_mov_b32 s2, exec_lo
                                        ; implicit-def: $vgpr3
	s_delay_alu instid0(VALU_DEP_1) | instskip(NEXT) | instid1(VALU_DEP_1)
	v_and_b32_e32 v6, 0x7fffffff, v2
	v_cmpx_gt_u32_e32 0x47800000, v6
	s_xor_b32 s2, exec_lo, s2
	s_cbranch_execz .LBB465_87
; %bb.82:
	s_mov_b32 s25, exec_lo
                                        ; implicit-def: $vgpr3
	v_cmpx_lt_u32_e32 0x387fffff, v6
	s_xor_b32 s25, exec_lo, s25
; %bb.83:
	v_bfe_u32 v3, v2, 21, 1
	s_delay_alu instid0(VALU_DEP_1) | instskip(NEXT) | instid1(VALU_DEP_1)
	v_add3_u32 v3, v2, v3, 0x80fffff
	v_lshrrev_b32_e32 v3, 21, v3
; %bb.84:
	s_and_not1_saveexec_b32 s25, s25
; %bb.85:
	v_add_f32_e64 v3, 0x43000000, |v2|
; %bb.86:
	s_or_b32 exec_lo, exec_lo, s25
                                        ; implicit-def: $vgpr6
.LBB465_87:
	s_and_not1_saveexec_b32 s2, s2
; %bb.88:
	v_mov_b32_e32 v3, 0x7f
	v_cmp_lt_u32_e32 vcc_lo, 0x7f800000, v6
	s_delay_alu instid0(VALU_DEP_2)
	v_cndmask_b32_e32 v3, 0x7c, v3, vcc_lo
; %bb.89:
	s_or_b32 exec_lo, exec_lo, s2
	v_lshrrev_b32_e32 v2, 24, v2
	s_delay_alu instid0(VALU_DEP_1)
	v_and_or_b32 v2, 0x80, v2, v3
	global_store_b8 v[4:5], v2, off
.LBB465_90:
	s_mov_b32 s25, 0
	s_mov_b32 s2, -1
.LBB465_91:
	s_and_not1_b32 vcc_lo, exec_lo, s25
	s_cbranch_vccnz .LBB465_99
; %bb.92:
	v_cmp_lt_i16_e32 vcc_lo, 14, v10
	s_mov_b32 s25, -1
	s_cbranch_vccz .LBB465_96
; %bb.93:
	v_cmp_eq_u16_e32 vcc_lo, 15, v10
	s_mov_b32 s3, -1
	s_cbranch_vccz .LBB465_95
; %bb.94:
	v_cvt_f32_f64_e32 v2, v[0:1]
	s_mov_b32 s2, -1
	s_mov_b32 s3, 0
	s_delay_alu instid0(VALU_DEP_1) | instskip(SKIP_1) | instid1(VALU_DEP_2)
	v_bfe_u32 v3, v2, 16, 1
	v_cmp_o_f32_e32 vcc_lo, v2, v2
	v_add3_u32 v3, v2, v3, 0x7fff
	s_delay_alu instid0(VALU_DEP_1) | instskip(NEXT) | instid1(VALU_DEP_1)
	v_lshrrev_b32_e32 v3, 16, v3
	v_cndmask_b32_e32 v2, 0x7fc0, v3, vcc_lo
	global_store_b16 v[4:5], v2, off
.LBB465_95:
	s_mov_b32 s25, 0
.LBB465_96:
	s_delay_alu instid0(SALU_CYCLE_1)
	s_and_b32 vcc_lo, exec_lo, s25
	s_cbranch_vccz .LBB465_99
; %bb.97:
	v_cmp_eq_u16_e32 vcc_lo, 11, v10
	s_mov_b32 s3, -1
	s_cbranch_vccz .LBB465_99
; %bb.98:
	v_cmp_neq_f64_e32 vcc_lo, 0, v[0:1]
	s_mov_b32 s2, -1
	s_mov_b32 s3, 0
	v_cndmask_b32_e64 v2, 0, 1, vcc_lo
	global_store_b8 v[4:5], v2, off
.LBB465_99:
.LBB465_100:
	s_and_not1_b32 vcc_lo, exec_lo, s2
	s_cbranch_vccz .LBB465_140
	s_branch .LBB465_261
.LBB465_101:
	s_and_b32 vcc_lo, exec_lo, s25
	s_cbranch_vccz .LBB465_100
; %bb.102:
	v_cmp_gt_i16_e32 vcc_lo, 5, v10
	s_mov_b32 s2, -1
	s_cbranch_vccnz .LBB465_123
; %bb.103:
	v_cmp_gt_i16_e32 vcc_lo, 8, v10
	s_cbranch_vccnz .LBB465_113
; %bb.104:
	v_cmp_gt_i16_e32 vcc_lo, 9, v10
	s_cbranch_vccnz .LBB465_110
; %bb.105:
	v_cmp_lt_i16_e32 vcc_lo, 9, v10
	s_cbranch_vccz .LBB465_107
; %bb.106:
	v_mov_b32_e32 v2, 0
	s_mov_b32 s2, 0
	s_delay_alu instid0(VALU_DEP_1)
	v_mov_b32_e32 v3, v2
	global_store_b128 v[4:5], v[0:3], off
.LBB465_107:
	s_and_not1_b32 vcc_lo, exec_lo, s2
	s_cbranch_vccnz .LBB465_109
; %bb.108:
	v_cvt_f32_f64_e32 v2, v[0:1]
	v_mov_b32_e32 v3, 0
	global_store_b64 v[4:5], v[2:3], off
.LBB465_109:
	s_mov_b32 s2, 0
.LBB465_110:
	s_delay_alu instid0(SALU_CYCLE_1)
	s_and_not1_b32 vcc_lo, exec_lo, s2
	s_cbranch_vccnz .LBB465_112
; %bb.111:
	v_cvt_f32_f64_e32 v2, v[0:1]
	s_delay_alu instid0(VALU_DEP_1) | instskip(NEXT) | instid1(VALU_DEP_1)
	v_cvt_f16_f32_e32 v2, v2
	v_and_b32_e32 v2, 0xffff, v2
	global_store_b32 v[4:5], v2, off
.LBB465_112:
	s_mov_b32 s2, 0
.LBB465_113:
	s_delay_alu instid0(SALU_CYCLE_1)
	s_and_not1_b32 vcc_lo, exec_lo, s2
	s_cbranch_vccnz .LBB465_122
; %bb.114:
	v_cmp_gt_i16_e32 vcc_lo, 6, v10
	s_mov_b32 s2, -1
	s_cbranch_vccnz .LBB465_120
; %bb.115:
	v_cmp_lt_i16_e32 vcc_lo, 6, v10
	s_cbranch_vccz .LBB465_117
; %bb.116:
	s_mov_b32 s2, 0
	global_store_b64 v[4:5], v[0:1], off
.LBB465_117:
	s_and_not1_b32 vcc_lo, exec_lo, s2
	s_cbranch_vccnz .LBB465_119
; %bb.118:
	v_cvt_f32_f64_e32 v2, v[0:1]
	global_store_b32 v[4:5], v2, off
.LBB465_119:
	s_mov_b32 s2, 0
.LBB465_120:
	s_delay_alu instid0(SALU_CYCLE_1)
	s_and_not1_b32 vcc_lo, exec_lo, s2
	s_cbranch_vccnz .LBB465_122
; %bb.121:
	v_cvt_f32_f64_e32 v2, v[0:1]
	s_delay_alu instid0(VALU_DEP_1)
	v_cvt_f16_f32_e32 v2, v2
	global_store_b16 v[4:5], v2, off
.LBB465_122:
	s_mov_b32 s2, 0
.LBB465_123:
	s_delay_alu instid0(SALU_CYCLE_1)
	s_and_not1_b32 vcc_lo, exec_lo, s2
	s_cbranch_vccnz .LBB465_139
; %bb.124:
	v_cmp_gt_i16_e32 vcc_lo, 2, v10
	s_mov_b32 s2, -1
	s_cbranch_vccnz .LBB465_134
; %bb.125:
	v_cmp_gt_i16_e32 vcc_lo, 3, v10
	s_cbranch_vccnz .LBB465_131
; %bb.126:
	v_cmp_lt_i16_e32 vcc_lo, 3, v10
	s_cbranch_vccz .LBB465_128
; %bb.127:
	v_trunc_f64_e32 v[2:3], v[0:1]
	s_mov_b32 s2, 0
	s_delay_alu instid0(VALU_DEP_1) | instskip(NEXT) | instid1(VALU_DEP_1)
	v_ldexp_f64 v[6:7], v[2:3], 0xffffffe0
	v_floor_f64_e32 v[6:7], v[6:7]
	s_delay_alu instid0(VALU_DEP_1) | instskip(SKIP_1) | instid1(VALU_DEP_2)
	v_fma_f64 v[2:3], 0xc1f00000, v[6:7], v[2:3]
	v_cvt_i32_f64_e32 v7, v[6:7]
	v_cvt_u32_f64_e32 v6, v[2:3]
	global_store_b64 v[4:5], v[6:7], off
.LBB465_128:
	s_and_not1_b32 vcc_lo, exec_lo, s2
	s_cbranch_vccnz .LBB465_130
; %bb.129:
	v_cvt_i32_f64_e32 v2, v[0:1]
	global_store_b32 v[4:5], v2, off
.LBB465_130:
	s_mov_b32 s2, 0
.LBB465_131:
	s_delay_alu instid0(SALU_CYCLE_1)
	s_and_not1_b32 vcc_lo, exec_lo, s2
	s_cbranch_vccnz .LBB465_133
; %bb.132:
	v_cvt_i32_f64_e32 v2, v[0:1]
	global_store_b16 v[4:5], v2, off
.LBB465_133:
	s_mov_b32 s2, 0
.LBB465_134:
	s_delay_alu instid0(SALU_CYCLE_1)
	s_and_not1_b32 vcc_lo, exec_lo, s2
	s_cbranch_vccnz .LBB465_139
; %bb.135:
	v_cmp_lt_i16_e32 vcc_lo, 0, v10
	s_mov_b32 s2, -1
	s_cbranch_vccz .LBB465_137
; %bb.136:
	v_cvt_i32_f64_e32 v2, v[0:1]
	s_mov_b32 s2, 0
	global_store_b8 v[4:5], v2, off
.LBB465_137:
	s_and_not1_b32 vcc_lo, exec_lo, s2
	s_cbranch_vccnz .LBB465_139
; %bb.138:
	v_trunc_f64_e32 v[0:1], v[0:1]
	s_delay_alu instid0(VALU_DEP_1) | instskip(NEXT) | instid1(VALU_DEP_1)
	v_ldexp_f64 v[2:3], v[0:1], 0xffffffe0
	v_floor_f64_e32 v[2:3], v[2:3]
	s_delay_alu instid0(VALU_DEP_1) | instskip(NEXT) | instid1(VALU_DEP_1)
	v_fma_f64 v[0:1], 0xc1f00000, v[2:3], v[0:1]
	v_cvt_u32_f64_e32 v0, v[0:1]
	global_store_b8 v[4:5], v0, off
.LBB465_139:
.LBB465_140:
	v_add_nc_u32_e32 v9, 0x80, v9
	s_mov_b32 s2, -1
	s_branch .LBB465_262
.LBB465_141:
	s_mov_b32 s2, 0
                                        ; implicit-def: $vgpr6_vgpr7
	s_cbranch_execnz .LBB465_180
	s_branch .LBB465_212
.LBB465_142:
	s_mov_b32 s3, -1
	s_mov_b32 s2, 0
                                        ; implicit-def: $vgpr6_vgpr7
	s_branch .LBB465_159
.LBB465_143:
	s_mov_b32 s3, -1
	s_mov_b32 s2, 0
                                        ; implicit-def: $vgpr6_vgpr7
	s_branch .LBB465_154
.LBB465_144:
	s_mov_b32 s3, -1
	s_branch .LBB465_146
.LBB465_145:
	s_mov_b32 s24, -1
.LBB465_146:
	s_mov_b32 s2, 0
                                        ; implicit-def: $vgpr6_vgpr7
.LBB465_147:
	s_and_b32 vcc_lo, exec_lo, s3
	s_cbranch_vccz .LBB465_153
; %bb.148:
	v_cmp_eq_u16_e32 vcc_lo, 44, v8
	s_cbranch_vccz .LBB465_152
; %bb.149:
	global_load_u8 v5, v[1:2], off
	s_mov_b32 s24, 0
	s_mov_b32 s2, -1
	s_waitcnt vmcnt(0)
	v_cmp_ne_u32_e32 vcc_lo, 0xff, v5
	v_lshlrev_b32_e32 v3, 23, v5
	s_delay_alu instid0(VALU_DEP_1) | instskip(NEXT) | instid1(VALU_DEP_1)
	v_cvt_f64_f32_e32 v[3:4], v3
	v_cndmask_b32_e32 v4, 0x7ff80000, v4, vcc_lo
	s_delay_alu instid0(VALU_DEP_2) | instskip(SKIP_1) | instid1(VALU_DEP_3)
	v_cndmask_b32_e32 v3, 0x20000000, v3, vcc_lo
	v_cmp_ne_u32_e32 vcc_lo, 0, v5
	v_cndmask_b32_e32 v7, 0x38000000, v4, vcc_lo
	s_delay_alu instid0(VALU_DEP_3)
	v_cndmask_b32_e32 v6, 0, v3, vcc_lo
	s_branch .LBB465_153
.LBB465_150:
	s_or_saveexec_b32 s37, s37
                                        ; implicit-def: $sgpr38
	s_delay_alu instid0(SALU_CYCLE_1)
	s_xor_b32 exec_lo, exec_lo, s37
	s_cbranch_execz .LBB465_52
.LBB465_151:
	v_add_f32_e64 v3, 0x46000000, |v2|
	s_and_not1_b32 s25, s25, exec_lo
	s_mov_b32 s38, 0
	s_delay_alu instid0(VALU_DEP_1) | instskip(NEXT) | instid1(VALU_DEP_1)
	v_and_b32_e32 v3, 0xff, v3
	v_cmp_ne_u32_e32 vcc_lo, 0, v3
	s_and_b32 s41, vcc_lo, exec_lo
	s_delay_alu instid0(SALU_CYCLE_1)
	s_or_b32 s25, s25, s41
	s_or_b32 exec_lo, exec_lo, s37
	v_mov_b32_e32 v6, s38
	s_and_saveexec_b32 s37, s25
	s_cbranch_execnz .LBB465_53
	s_branch .LBB465_54
.LBB465_152:
	s_mov_b32 s24, -1
                                        ; implicit-def: $vgpr6_vgpr7
.LBB465_153:
	s_mov_b32 s3, 0
.LBB465_154:
	s_delay_alu instid0(SALU_CYCLE_1)
	s_and_b32 vcc_lo, exec_lo, s3
	s_cbranch_vccz .LBB465_158
; %bb.155:
	v_cmp_eq_u16_e32 vcc_lo, 29, v8
	s_cbranch_vccz .LBB465_157
; %bb.156:
	global_load_b64 v[3:4], v[1:2], off
	s_mov_b32 s2, -1
	s_mov_b32 s24, 0
	s_mov_b32 s3, 0
	s_waitcnt vmcnt(0)
	v_cvt_f64_u32_e32 v[4:5], v4
	v_cvt_f64_u32_e32 v[6:7], v3
	s_delay_alu instid0(VALU_DEP_2) | instskip(NEXT) | instid1(VALU_DEP_1)
	v_ldexp_f64 v[4:5], v[4:5], 32
	v_add_f64 v[6:7], v[4:5], v[6:7]
	s_branch .LBB465_159
.LBB465_157:
	s_mov_b32 s24, -1
                                        ; implicit-def: $vgpr6_vgpr7
.LBB465_158:
	s_mov_b32 s3, 0
.LBB465_159:
	s_delay_alu instid0(SALU_CYCLE_1)
	s_and_b32 vcc_lo, exec_lo, s3
	s_cbranch_vccz .LBB465_179
; %bb.160:
	v_cmp_gt_i16_e32 vcc_lo, 27, v8
	s_cbranch_vccnz .LBB465_163
; %bb.161:
	v_cmp_lt_i16_e32 vcc_lo, 27, v8
	s_cbranch_vccz .LBB465_164
; %bb.162:
	global_load_b32 v3, v[1:2], off
	s_mov_b32 s2, 0
	s_waitcnt vmcnt(0)
	v_cvt_f64_u32_e32 v[6:7], v3
	s_branch .LBB465_165
.LBB465_163:
	s_mov_b32 s2, -1
                                        ; implicit-def: $vgpr6_vgpr7
	s_branch .LBB465_168
.LBB465_164:
	s_mov_b32 s2, -1
                                        ; implicit-def: $vgpr6_vgpr7
.LBB465_165:
	s_delay_alu instid0(SALU_CYCLE_1)
	s_and_not1_b32 vcc_lo, exec_lo, s2
	s_cbranch_vccnz .LBB465_167
; %bb.166:
	global_load_u16 v3, v[1:2], off
	s_waitcnt vmcnt(0)
	v_cvt_f64_u32_e32 v[6:7], v3
.LBB465_167:
	s_mov_b32 s2, 0
.LBB465_168:
	s_delay_alu instid0(SALU_CYCLE_1)
	s_and_not1_b32 vcc_lo, exec_lo, s2
	s_cbranch_vccnz .LBB465_178
; %bb.169:
	global_load_u8 v3, v[1:2], off
	s_mov_b32 s25, 0
	s_mov_b32 s37, exec_lo
                                        ; implicit-def: $sgpr2_sgpr3
	s_waitcnt vmcnt(0)
	v_cmpx_lt_i16_e32 0x7f, v3
	s_xor_b32 s37, exec_lo, s37
	s_cbranch_execz .LBB465_173
; %bb.170:
	s_mov_b32 s38, -1
	s_mov_b32 s25, exec_lo
                                        ; implicit-def: $sgpr2_sgpr3
	v_cmpx_eq_u16_e32 0x80, v3
; %bb.171:
	s_mov_b32 s3, 0x7ff80000
	s_brev_b32 s2, 4
	s_xor_b32 s38, exec_lo, -1
; %bb.172:
	s_or_b32 exec_lo, exec_lo, s25
	s_delay_alu instid0(SALU_CYCLE_1)
	s_and_b32 s25, s38, exec_lo
.LBB465_173:
	s_or_saveexec_b32 s37, s37
	v_dual_mov_b32 v7, s3 :: v_dual_mov_b32 v6, s2
	s_xor_b32 exec_lo, exec_lo, s37
; %bb.174:
	v_cmp_ne_u16_e32 vcc_lo, 0, v3
	v_mov_b32_e32 v6, 0
	v_mov_b32_e32 v7, 0
	s_and_not1_b32 s2, s25, exec_lo
	s_and_b32 s3, vcc_lo, exec_lo
	s_delay_alu instid0(SALU_CYCLE_1)
	s_or_b32 s25, s2, s3
; %bb.175:
	s_or_b32 exec_lo, exec_lo, s37
	s_and_saveexec_b32 s2, s25
	s_cbranch_execz .LBB465_177
; %bb.176:
	v_and_b32_e32 v4, 0xffff, v3
	v_lshlrev_b32_e32 v3, 24, v3
	s_delay_alu instid0(VALU_DEP_2) | instskip(NEXT) | instid1(VALU_DEP_2)
	v_and_b32_e32 v5, 7, v4
	v_and_b32_e32 v3, 0x80000000, v3
	s_delay_alu instid0(VALU_DEP_2) | instskip(NEXT) | instid1(VALU_DEP_1)
	v_clz_i32_u32_e32 v6, v5
	v_min_u32_e32 v6, 32, v6
	s_delay_alu instid0(VALU_DEP_1) | instskip(SKIP_1) | instid1(VALU_DEP_2)
	v_subrev_nc_u32_e32 v7, 28, v6
	v_sub_nc_u32_e32 v6, 29, v6
	v_lshlrev_b32_e32 v7, v7, v4
	v_bfe_u32 v4, v4, 3, 4
	s_delay_alu instid0(VALU_DEP_2) | instskip(NEXT) | instid1(VALU_DEP_2)
	v_and_b32_e32 v7, 7, v7
	v_cmp_eq_u32_e32 vcc_lo, 0, v4
	s_delay_alu instid0(VALU_DEP_2) | instskip(NEXT) | instid1(VALU_DEP_1)
	v_dual_cndmask_b32 v4, v4, v6 :: v_dual_cndmask_b32 v5, v5, v7
	v_lshl_add_u32 v4, v4, 23, 0x3b800000
	s_delay_alu instid0(VALU_DEP_2) | instskip(NEXT) | instid1(VALU_DEP_1)
	v_lshlrev_b32_e32 v5, 20, v5
	v_or3_b32 v3, v3, v4, v5
	s_delay_alu instid0(VALU_DEP_1)
	v_cvt_f64_f32_e32 v[6:7], v3
.LBB465_177:
	s_or_b32 exec_lo, exec_lo, s2
.LBB465_178:
	s_mov_b32 s2, -1
.LBB465_179:
	s_branch .LBB465_212
.LBB465_180:
	v_cmp_lt_i16_e32 vcc_lo, 22, v8
	s_cbranch_vccz .LBB465_192
; %bb.181:
	v_cmp_gt_i16_e32 vcc_lo, 24, v8
	s_cbranch_vccnz .LBB465_193
; %bb.182:
	v_cmp_lt_i16_e32 vcc_lo, 24, v8
	s_cbranch_vccz .LBB465_194
; %bb.183:
	global_load_u8 v3, v[1:2], off
	s_mov_b32 s25, 0
	s_mov_b32 s37, exec_lo
                                        ; implicit-def: $sgpr2_sgpr3
	s_waitcnt vmcnt(0)
	v_cmpx_lt_i16_e32 0x7f, v3
	s_xor_b32 s37, exec_lo, s37
	s_cbranch_execz .LBB465_187
; %bb.184:
	s_mov_b32 s38, -1
	s_mov_b32 s25, exec_lo
                                        ; implicit-def: $sgpr2_sgpr3
	v_cmpx_eq_u16_e32 0x80, v3
; %bb.185:
	s_mov_b32 s3, 0x7ff80000
	s_brev_b32 s2, 4
	s_xor_b32 s38, exec_lo, -1
; %bb.186:
	s_or_b32 exec_lo, exec_lo, s25
	s_delay_alu instid0(SALU_CYCLE_1)
	s_and_b32 s25, s38, exec_lo
.LBB465_187:
	s_or_saveexec_b32 s37, s37
	v_dual_mov_b32 v7, s3 :: v_dual_mov_b32 v6, s2
	s_xor_b32 exec_lo, exec_lo, s37
; %bb.188:
	v_cmp_ne_u16_e32 vcc_lo, 0, v3
	v_mov_b32_e32 v6, 0
	v_mov_b32_e32 v7, 0
	s_and_not1_b32 s2, s25, exec_lo
	s_and_b32 s3, vcc_lo, exec_lo
	s_delay_alu instid0(SALU_CYCLE_1)
	s_or_b32 s25, s2, s3
; %bb.189:
	s_or_b32 exec_lo, exec_lo, s37
	s_and_saveexec_b32 s2, s25
	s_cbranch_execz .LBB465_191
; %bb.190:
	v_and_b32_e32 v4, 0xffff, v3
	v_lshlrev_b32_e32 v3, 24, v3
	s_delay_alu instid0(VALU_DEP_2) | instskip(NEXT) | instid1(VALU_DEP_2)
	v_and_b32_e32 v5, 3, v4
	v_and_b32_e32 v3, 0x80000000, v3
	s_delay_alu instid0(VALU_DEP_2) | instskip(NEXT) | instid1(VALU_DEP_1)
	v_clz_i32_u32_e32 v6, v5
	v_min_u32_e32 v6, 32, v6
	s_delay_alu instid0(VALU_DEP_1) | instskip(SKIP_1) | instid1(VALU_DEP_2)
	v_subrev_nc_u32_e32 v7, 29, v6
	v_sub_nc_u32_e32 v6, 30, v6
	v_lshlrev_b32_e32 v7, v7, v4
	v_bfe_u32 v4, v4, 2, 5
	s_delay_alu instid0(VALU_DEP_2) | instskip(NEXT) | instid1(VALU_DEP_2)
	v_and_b32_e32 v7, 3, v7
	v_cmp_eq_u32_e32 vcc_lo, 0, v4
	s_delay_alu instid0(VALU_DEP_2) | instskip(NEXT) | instid1(VALU_DEP_1)
	v_dual_cndmask_b32 v4, v4, v6 :: v_dual_cndmask_b32 v5, v5, v7
	v_lshl_add_u32 v4, v4, 23, 0x37800000
	s_delay_alu instid0(VALU_DEP_2) | instskip(NEXT) | instid1(VALU_DEP_1)
	v_lshlrev_b32_e32 v5, 21, v5
	v_or3_b32 v3, v3, v4, v5
	s_delay_alu instid0(VALU_DEP_1)
	v_cvt_f64_f32_e32 v[6:7], v3
.LBB465_191:
	s_or_b32 exec_lo, exec_lo, s2
	s_mov_b32 s2, 0
	s_branch .LBB465_195
.LBB465_192:
	s_mov_b32 s3, -1
                                        ; implicit-def: $vgpr6_vgpr7
	s_branch .LBB465_201
.LBB465_193:
	s_mov_b32 s2, -1
                                        ; implicit-def: $vgpr6_vgpr7
	s_branch .LBB465_198
.LBB465_194:
	s_mov_b32 s2, -1
                                        ; implicit-def: $vgpr6_vgpr7
.LBB465_195:
	s_delay_alu instid0(SALU_CYCLE_1)
	s_and_b32 vcc_lo, exec_lo, s2
	s_cbranch_vccz .LBB465_197
; %bb.196:
	global_load_u8 v3, v[1:2], off
	s_waitcnt vmcnt(0)
	v_lshlrev_b32_e32 v3, 24, v3
	s_delay_alu instid0(VALU_DEP_1) | instskip(NEXT) | instid1(VALU_DEP_1)
	v_and_b32_e32 v4, 0x7f000000, v3
	v_clz_i32_u32_e32 v5, v4
	v_add_nc_u32_e32 v7, 0x1000000, v4
	v_cmp_ne_u32_e32 vcc_lo, 0, v4
	s_delay_alu instid0(VALU_DEP_3) | instskip(NEXT) | instid1(VALU_DEP_1)
	v_min_u32_e32 v5, 32, v5
	v_sub_nc_u32_e64 v5, v5, 4 clamp
	s_delay_alu instid0(VALU_DEP_1) | instskip(SKIP_1) | instid1(VALU_DEP_2)
	v_lshlrev_b32_e32 v6, v5, v4
	v_lshlrev_b32_e32 v5, 23, v5
	v_lshrrev_b32_e32 v6, 4, v6
	s_delay_alu instid0(VALU_DEP_1) | instskip(SKIP_1) | instid1(VALU_DEP_2)
	v_sub_nc_u32_e32 v5, v6, v5
	v_ashrrev_i32_e32 v6, 8, v7
	v_add_nc_u32_e32 v5, 0x3c000000, v5
	s_delay_alu instid0(VALU_DEP_1) | instskip(NEXT) | instid1(VALU_DEP_1)
	v_and_or_b32 v5, 0x7f800000, v6, v5
	v_cndmask_b32_e32 v4, 0, v5, vcc_lo
	s_delay_alu instid0(VALU_DEP_1) | instskip(NEXT) | instid1(VALU_DEP_1)
	v_and_or_b32 v3, 0x80000000, v3, v4
	v_cvt_f64_f32_e32 v[6:7], v3
.LBB465_197:
	s_mov_b32 s2, 0
.LBB465_198:
	s_delay_alu instid0(SALU_CYCLE_1)
	s_and_not1_b32 vcc_lo, exec_lo, s2
	s_cbranch_vccnz .LBB465_200
; %bb.199:
	global_load_u8 v3, v[1:2], off
	s_waitcnt vmcnt(0)
	v_lshlrev_b32_e32 v4, 25, v3
	v_lshlrev_b16 v3, 8, v3
	s_delay_alu instid0(VALU_DEP_2) | instskip(NEXT) | instid1(VALU_DEP_2)
	v_lshrrev_b32_e32 v5, 4, v4
	v_and_or_b32 v6, 0x7f00, v3, 0.5
	v_bfe_i32 v3, v3, 0, 16
	s_delay_alu instid0(VALU_DEP_3) | instskip(NEXT) | instid1(VALU_DEP_1)
	v_or_b32_e32 v5, 0x70000000, v5
	v_dual_add_f32 v6, -0.5, v6 :: v_dual_mul_f32 v5, 0x7800000, v5
	v_cmp_gt_u32_e32 vcc_lo, 0x8000000, v4
	s_delay_alu instid0(VALU_DEP_2) | instskip(NEXT) | instid1(VALU_DEP_1)
	v_cndmask_b32_e32 v4, v5, v6, vcc_lo
	v_and_or_b32 v3, 0x80000000, v3, v4
	s_delay_alu instid0(VALU_DEP_1)
	v_cvt_f64_f32_e32 v[6:7], v3
.LBB465_200:
	s_mov_b32 s3, 0
	s_mov_b32 s2, -1
.LBB465_201:
	s_and_not1_b32 vcc_lo, exec_lo, s3
	s_cbranch_vccnz .LBB465_212
; %bb.202:
	v_cmp_lt_i16_e32 vcc_lo, 14, v8
	s_cbranch_vccz .LBB465_205
; %bb.203:
	v_cmp_eq_u16_e32 vcc_lo, 15, v8
	s_cbranch_vccz .LBB465_206
; %bb.204:
	global_load_u16 v3, v[1:2], off
	s_mov_b32 s2, -1
	s_mov_b32 s24, 0
	s_waitcnt vmcnt(0)
	v_lshlrev_b32_e32 v3, 16, v3
	s_delay_alu instid0(VALU_DEP_1)
	v_cvt_f64_f32_e32 v[6:7], v3
	s_branch .LBB465_207
.LBB465_205:
	s_mov_b32 s3, -1
                                        ; implicit-def: $vgpr6_vgpr7
	s_branch .LBB465_208
.LBB465_206:
	s_mov_b32 s24, -1
                                        ; implicit-def: $vgpr6_vgpr7
.LBB465_207:
	s_mov_b32 s3, 0
.LBB465_208:
	s_delay_alu instid0(SALU_CYCLE_1)
	s_and_b32 vcc_lo, exec_lo, s3
	s_cbranch_vccz .LBB465_212
; %bb.209:
	v_cmp_eq_u16_e32 vcc_lo, 11, v8
	s_cbranch_vccz .LBB465_211
; %bb.210:
	global_load_u8 v3, v[1:2], off
	v_mov_b32_e32 v6, 0
	s_mov_b32 s24, 0
	s_mov_b32 s2, -1
	s_waitcnt vmcnt(0)
	v_cmp_ne_u16_e32 vcc_lo, 0, v3
	v_cndmask_b32_e64 v7, 0, 0x3ff00000, vcc_lo
	s_branch .LBB465_212
.LBB465_211:
	s_mov_b32 s24, -1
                                        ; implicit-def: $vgpr6_vgpr7
.LBB465_212:
	s_branch .LBB465_23
.LBB465_213:
	v_cmp_gt_i16_e32 vcc_lo, 5, v8
	s_cbranch_vccnz .LBB465_218
; %bb.214:
	v_cmp_gt_i16_e32 vcc_lo, 8, v8
	s_cbranch_vccnz .LBB465_219
; %bb.215:
	;; [unrolled: 3-line block ×3, first 2 shown]
	v_cmp_lt_i16_e32 vcc_lo, 9, v8
	s_cbranch_vccz .LBB465_221
; %bb.217:
	global_load_b64 v[6:7], v[1:2], off
	s_mov_b32 s2, 0
	s_branch .LBB465_222
.LBB465_218:
                                        ; implicit-def: $vgpr6_vgpr7
	s_branch .LBB465_240
.LBB465_219:
	s_mov_b32 s2, -1
                                        ; implicit-def: $vgpr6_vgpr7
	s_branch .LBB465_228
.LBB465_220:
	s_mov_b32 s2, -1
                                        ; implicit-def: $vgpr6_vgpr7
	s_branch .LBB465_225
.LBB465_221:
	s_mov_b32 s2, -1
                                        ; implicit-def: $vgpr6_vgpr7
.LBB465_222:
	s_delay_alu instid0(SALU_CYCLE_1)
	s_and_not1_b32 vcc_lo, exec_lo, s2
	s_cbranch_vccnz .LBB465_224
; %bb.223:
	global_load_b32 v3, v[1:2], off
	s_waitcnt vmcnt(0)
	v_cvt_f64_f32_e32 v[6:7], v3
.LBB465_224:
	s_mov_b32 s2, 0
.LBB465_225:
	s_delay_alu instid0(SALU_CYCLE_1)
	s_and_not1_b32 vcc_lo, exec_lo, s2
	s_cbranch_vccnz .LBB465_227
; %bb.226:
	global_load_b32 v3, v[1:2], off
	s_waitcnt vmcnt(0)
	v_cvt_f32_f16_e32 v3, v3
	s_delay_alu instid0(VALU_DEP_1)
	v_cvt_f64_f32_e32 v[6:7], v3
.LBB465_227:
	s_mov_b32 s2, 0
.LBB465_228:
	s_delay_alu instid0(SALU_CYCLE_1)
	s_and_not1_b32 vcc_lo, exec_lo, s2
	s_cbranch_vccnz .LBB465_239
; %bb.229:
	v_cmp_gt_i16_e32 vcc_lo, 6, v8
	s_cbranch_vccnz .LBB465_232
; %bb.230:
	v_cmp_lt_i16_e32 vcc_lo, 6, v8
	s_cbranch_vccz .LBB465_233
; %bb.231:
	global_load_b64 v[6:7], v[1:2], off
	s_mov_b32 s2, 0
	s_branch .LBB465_234
.LBB465_232:
	s_mov_b32 s2, -1
                                        ; implicit-def: $vgpr6_vgpr7
	s_branch .LBB465_237
.LBB465_233:
	s_mov_b32 s2, -1
                                        ; implicit-def: $vgpr6_vgpr7
.LBB465_234:
	s_delay_alu instid0(SALU_CYCLE_1)
	s_and_not1_b32 vcc_lo, exec_lo, s2
	s_cbranch_vccnz .LBB465_236
; %bb.235:
	global_load_b32 v3, v[1:2], off
	s_waitcnt vmcnt(0)
	v_cvt_f64_f32_e32 v[6:7], v3
.LBB465_236:
	s_mov_b32 s2, 0
.LBB465_237:
	s_delay_alu instid0(SALU_CYCLE_1)
	s_and_not1_b32 vcc_lo, exec_lo, s2
	s_cbranch_vccnz .LBB465_239
; %bb.238:
	global_load_u16 v3, v[1:2], off
	s_waitcnt vmcnt(0)
	v_cvt_f32_f16_e32 v3, v3
	s_delay_alu instid0(VALU_DEP_1)
	v_cvt_f64_f32_e32 v[6:7], v3
.LBB465_239:
	s_cbranch_execnz .LBB465_259
.LBB465_240:
	v_cmp_gt_i16_e32 vcc_lo, 2, v8
	s_cbranch_vccnz .LBB465_244
; %bb.241:
	v_cmp_gt_i16_e32 vcc_lo, 3, v8
	s_cbranch_vccnz .LBB465_245
; %bb.242:
	v_cmp_lt_i16_e32 vcc_lo, 3, v8
	s_cbranch_vccz .LBB465_246
; %bb.243:
	global_load_b64 v[3:4], v[1:2], off
	s_mov_b32 s2, 0
	s_waitcnt vmcnt(0)
	v_cvt_f64_i32_e32 v[4:5], v4
	v_cvt_f64_u32_e32 v[6:7], v3
	s_delay_alu instid0(VALU_DEP_2) | instskip(NEXT) | instid1(VALU_DEP_1)
	v_ldexp_f64 v[4:5], v[4:5], 32
	v_add_f64 v[6:7], v[4:5], v[6:7]
	s_branch .LBB465_247
.LBB465_244:
	s_mov_b32 s2, -1
                                        ; implicit-def: $vgpr6_vgpr7
	s_branch .LBB465_253
.LBB465_245:
	s_mov_b32 s2, -1
                                        ; implicit-def: $vgpr6_vgpr7
	s_branch .LBB465_250
.LBB465_246:
	s_mov_b32 s2, -1
                                        ; implicit-def: $vgpr6_vgpr7
.LBB465_247:
	s_delay_alu instid0(SALU_CYCLE_1)
	s_and_not1_b32 vcc_lo, exec_lo, s2
	s_cbranch_vccnz .LBB465_249
; %bb.248:
	global_load_b32 v3, v[1:2], off
	s_waitcnt vmcnt(0)
	v_cvt_f64_i32_e32 v[6:7], v3
.LBB465_249:
	s_mov_b32 s2, 0
.LBB465_250:
	s_delay_alu instid0(SALU_CYCLE_1)
	s_and_not1_b32 vcc_lo, exec_lo, s2
	s_cbranch_vccnz .LBB465_252
; %bb.251:
	global_load_i16 v3, v[1:2], off
	s_waitcnt vmcnt(0)
	v_cvt_f64_i32_e32 v[6:7], v3
.LBB465_252:
	s_mov_b32 s2, 0
.LBB465_253:
	s_delay_alu instid0(SALU_CYCLE_1)
	s_and_not1_b32 vcc_lo, exec_lo, s2
	s_cbranch_vccnz .LBB465_259
; %bb.254:
	v_cmp_lt_i16_e32 vcc_lo, 0, v8
	s_mov_b32 s2, 0
	s_cbranch_vccz .LBB465_256
; %bb.255:
	global_load_i8 v3, v[1:2], off
	s_waitcnt vmcnt(0)
	v_cvt_f64_i32_e32 v[6:7], v3
	s_branch .LBB465_257
.LBB465_256:
	s_mov_b32 s2, -1
                                        ; implicit-def: $vgpr6_vgpr7
.LBB465_257:
	s_delay_alu instid0(SALU_CYCLE_1)
	s_and_not1_b32 vcc_lo, exec_lo, s2
	s_cbranch_vccnz .LBB465_259
; %bb.258:
	global_load_u8 v1, v[1:2], off
	s_waitcnt vmcnt(0)
	v_cvt_f64_u32_e32 v[6:7], v1
.LBB465_259:
	s_branch .LBB465_24
.LBB465_260:
	s_mov_b32 s3, 0
.LBB465_261:
	s_mov_b32 s2, 0
                                        ; implicit-def: $vgpr9
.LBB465_262:
	s_and_b32 s37, s3, exec_lo
	s_and_b32 s38, s24, exec_lo
	s_or_not1_b32 s3, s2, exec_lo
.LBB465_263:
	s_or_b32 exec_lo, exec_lo, s39
	s_mov_b32 s24, 0
	s_mov_b32 s2, 0
                                        ; implicit-def: $vgpr0_vgpr1
                                        ; implicit-def: $vgpr2
                                        ; implicit-def: $vgpr6_vgpr7
	s_and_saveexec_b32 s39, s3
	s_cbranch_execz .LBB465_906
; %bb.264:
	s_mov_b32 s2, -1
	s_mov_b32 s40, s38
	s_mov_b32 s41, s37
	s_mov_b32 s42, exec_lo
	v_cmpx_gt_i32_e64 s34, v9
	s_cbranch_execz .LBB465_533
; %bb.265:
	s_and_not1_b32 vcc_lo, exec_lo, s29
	s_cbranch_vccnz .LBB465_270
; %bb.266:
	v_dual_mov_b32 v0, 0 :: v_dual_mov_b32 v1, 0
	s_and_not1_b32 vcc_lo, exec_lo, s36
	s_mov_b32 s40, 0
	s_cbranch_vccnz .LBB465_275
; %bb.267:
	v_mov_b32_e32 v0, 0
	s_add_i32 s43, s35, 1
	s_cmp_eq_u32 s27, 2
	s_mov_b32 s41, 0
	s_cbranch_scc1 .LBB465_271
; %bb.268:
	v_dual_mov_b32 v1, 0 :: v_dual_mov_b32 v0, 0
	v_mov_b32_e32 v2, v9
	s_and_b32 s41, s43, 28
	s_mov_b32 s44, 0
	s_mov_b64 s[2:3], s[22:23]
	s_mov_b64 s[24:25], s[16:17]
.LBB465_269:                            ; =>This Inner Loop Header: Depth=1
	s_clause 0x1
	s_load_b256 s[48:55], s[24:25], 0x4
	s_load_b128 s[64:67], s[24:25], 0x24
	s_load_b256 s[56:63], s[2:3], 0x0
	s_add_u32 s24, s24, 48
	s_addc_u32 s25, s25, 0
	s_add_i32 s44, s44, 4
	s_add_u32 s2, s2, 32
	s_addc_u32 s3, s3, 0
	s_cmp_eq_u32 s41, s44
	s_waitcnt lgkmcnt(0)
	v_mul_hi_u32 v3, s49, v2
	s_delay_alu instid0(VALU_DEP_1) | instskip(NEXT) | instid1(VALU_DEP_1)
	v_add_nc_u32_e32 v3, v2, v3
	v_lshrrev_b32_e32 v3, s50, v3
	s_delay_alu instid0(VALU_DEP_1) | instskip(SKIP_2) | instid1(VALU_DEP_2)
	v_mul_hi_u32 v4, s52, v3
	s_waitcnt vmcnt(0)
	v_mul_lo_u32 v6, v3, s48
	v_add_nc_u32_e32 v4, v3, v4
	s_delay_alu instid0(VALU_DEP_2) | instskip(NEXT) | instid1(VALU_DEP_2)
	v_sub_nc_u32_e32 v2, v2, v6
	v_lshrrev_b32_e32 v4, s53, v4
	s_delay_alu instid0(VALU_DEP_2) | instskip(SKIP_1) | instid1(VALU_DEP_3)
	v_mul_lo_u32 v6, v2, s56
	v_mul_lo_u32 v10, v2, s57
	v_mul_hi_u32 v5, s55, v4
	s_delay_alu instid0(VALU_DEP_1) | instskip(NEXT) | instid1(VALU_DEP_1)
	v_add_nc_u32_e32 v5, v4, v5
	v_lshrrev_b32_e32 v5, s64, v5
	s_delay_alu instid0(VALU_DEP_1) | instskip(SKIP_1) | instid1(VALU_DEP_2)
	v_mul_hi_u32 v7, s66, v5
	v_mul_lo_u32 v11, v5, s54
	v_add_nc_u32_e32 v2, v5, v7
	v_mul_lo_u32 v7, v4, s51
	s_delay_alu instid0(VALU_DEP_3) | instskip(NEXT) | instid1(VALU_DEP_3)
	v_sub_nc_u32_e32 v4, v4, v11
	v_lshrrev_b32_e32 v2, s67, v2
	s_delay_alu instid0(VALU_DEP_2) | instskip(SKIP_2) | instid1(VALU_DEP_4)
	v_mul_lo_u32 v11, v4, s60
	v_mul_lo_u32 v4, v4, s61
	v_sub_nc_u32_e32 v3, v3, v7
	v_mul_lo_u32 v12, v2, s65
	s_delay_alu instid0(VALU_DEP_2) | instskip(SKIP_1) | instid1(VALU_DEP_3)
	v_mul_lo_u32 v7, v3, s58
	v_mul_lo_u32 v3, v3, s59
	v_sub_nc_u32_e32 v5, v5, v12
	s_delay_alu instid0(VALU_DEP_3) | instskip(NEXT) | instid1(VALU_DEP_2)
	v_add3_u32 v0, v6, v0, v7
	v_mul_lo_u32 v12, v5, s62
	v_mul_lo_u32 v5, v5, s63
	v_add3_u32 v1, v10, v1, v3
	s_delay_alu instid0(VALU_DEP_3) | instskip(NEXT) | instid1(VALU_DEP_2)
	v_add3_u32 v0, v11, v0, v12
	v_add3_u32 v1, v4, v1, v5
	s_cbranch_scc0 .LBB465_269
	s_branch .LBB465_272
.LBB465_270:
	s_mov_b32 s40, -1
                                        ; implicit-def: $vgpr0
                                        ; implicit-def: $vgpr1
	s_branch .LBB465_275
.LBB465_271:
	v_dual_mov_b32 v2, v9 :: v_dual_mov_b32 v1, 0
.LBB465_272:
	s_and_b32 s43, s43, 3
	s_delay_alu instid0(SALU_CYCLE_1)
	s_cmp_eq_u32 s43, 0
	s_cbranch_scc1 .LBB465_275
; %bb.273:
	s_lshl_b32 s2, s41, 3
	s_mul_i32 s24, s41, 12
	s_add_u32 s2, s2, s16
	s_addc_u32 s3, s17, 0
	s_add_u32 s2, s2, 0xc4
	s_addc_u32 s3, s3, 0
	;; [unrolled: 2-line block ×3, first 2 shown]
	.p2align	6
.LBB465_274:                            ; =>This Inner Loop Header: Depth=1
	s_clause 0x1
	s_load_b64 s[44:45], s[24:25], 0x4
	s_load_b32 s41, s[24:25], 0xc
	s_load_b64 s[46:47], s[2:3], 0x0
	s_add_u32 s24, s24, 12
	s_addc_u32 s25, s25, 0
	s_add_u32 s2, s2, 8
	s_addc_u32 s3, s3, 0
	s_add_i32 s43, s43, -1
	s_delay_alu instid0(SALU_CYCLE_1) | instskip(SKIP_2) | instid1(VALU_DEP_1)
	s_cmp_lg_u32 s43, 0
	s_waitcnt lgkmcnt(0)
	v_mul_hi_u32 v3, s45, v2
	v_add_nc_u32_e32 v3, v2, v3
	s_waitcnt vmcnt(0)
	s_delay_alu instid0(VALU_DEP_1) | instskip(NEXT) | instid1(VALU_DEP_1)
	v_lshrrev_b32_e32 v6, s41, v3
	v_mul_lo_u32 v3, v6, s44
	s_delay_alu instid0(VALU_DEP_1) | instskip(NEXT) | instid1(VALU_DEP_1)
	v_sub_nc_u32_e32 v2, v2, v3
	v_mad_u64_u32 v[3:4], null, v2, s46, v[0:1]
	v_mad_u64_u32 v[4:5], null, v2, s47, v[1:2]
	v_mov_b32_e32 v2, v6
	s_delay_alu instid0(VALU_DEP_2)
	v_dual_mov_b32 v0, v3 :: v_dual_mov_b32 v1, v4
	s_cbranch_scc1 .LBB465_274
.LBB465_275:
	s_and_not1_b32 vcc_lo, exec_lo, s40
	s_cbranch_vccnz .LBB465_278
; %bb.276:
	v_mul_hi_u32 v0, s13, v9
	s_and_not1_b32 vcc_lo, exec_lo, s33
	s_delay_alu instid0(VALU_DEP_1) | instskip(NEXT) | instid1(VALU_DEP_1)
	v_add_nc_u32_e32 v0, v9, v0
	v_lshrrev_b32_e32 v2, s14, v0
	s_delay_alu instid0(VALU_DEP_1) | instskip(NEXT) | instid1(VALU_DEP_1)
	v_mul_lo_u32 v0, v2, s12
	v_sub_nc_u32_e32 v1, v9, v0
	s_delay_alu instid0(VALU_DEP_1)
	v_mul_lo_u32 v0, v1, s8
	v_mul_lo_u32 v1, v1, s9
	s_cbranch_vccnz .LBB465_278
; %bb.277:
	v_mul_hi_u32 v3, s20, v2
	s_delay_alu instid0(VALU_DEP_1) | instskip(NEXT) | instid1(VALU_DEP_1)
	v_add_nc_u32_e32 v3, v2, v3
	v_lshrrev_b32_e32 v3, s21, v3
	s_delay_alu instid0(VALU_DEP_1) | instskip(NEXT) | instid1(VALU_DEP_1)
	v_mul_lo_u32 v3, v3, s15
	v_sub_nc_u32_e32 v5, v2, v3
	s_delay_alu instid0(VALU_DEP_1) | instskip(NEXT) | instid1(VALU_DEP_1)
	v_mad_u64_u32 v[2:3], null, v5, s10, v[0:1]
	v_mad_u64_u32 v[3:4], null, v5, s11, v[1:2]
	s_delay_alu instid0(VALU_DEP_1)
	v_dual_mov_b32 v0, v2 :: v_dual_mov_b32 v1, v3
.LBB465_278:
	v_cmp_gt_i16_e32 vcc_lo, 11, v8
	s_delay_alu instid0(VALU_DEP_2) | instskip(NEXT) | instid1(VALU_DEP_1)
	v_add_co_u32 v1, s2, s6, v1
	v_add_co_ci_u32_e64 v2, null, s7, 0, s2
	s_mov_b32 s2, 0
	s_cbranch_vccnz .LBB465_285
; %bb.279:
	v_cmp_lt_i16_e32 vcc_lo, 25, v8
	s_cbranch_vccz .LBB465_334
; %bb.280:
	v_cmp_lt_i16_e32 vcc_lo, 28, v8
	s_cbranch_vccz .LBB465_335
	;; [unrolled: 3-line block ×4, first 2 shown]
; %bb.283:
	v_cmp_eq_u16_e32 vcc_lo, 46, v8
	s_mov_b32 s3, 0
	s_cbranch_vccz .LBB465_343
; %bb.284:
	global_load_b32 v3, v[1:2], off
	s_mov_b32 s2, -1
	s_mov_b32 s24, 0
	s_waitcnt vmcnt(0)
	v_lshlrev_b32_e32 v3, 16, v3
	s_delay_alu instid0(VALU_DEP_1)
	v_cvt_f64_f32_e32 v[6:7], v3
	s_branch .LBB465_345
.LBB465_285:
	s_mov_b32 s24, s38
                                        ; implicit-def: $vgpr6_vgpr7
	s_cbranch_execnz .LBB465_482
.LBB465_286:
	s_and_not1_b32 vcc_lo, exec_lo, s2
	s_cbranch_vccnz .LBB465_530
.LBB465_287:
	v_max_f64 v[1:2], s[18:19], s[18:19]
	s_waitcnt vmcnt(0)
	s_delay_alu instid0(VALU_DEP_2) | instskip(SKIP_3) | instid1(VALU_DEP_1)
	v_max_f64 v[3:4], v[6:7], v[6:7]
	v_cmp_u_f64_e32 vcc_lo, v[6:7], v[6:7]
	v_and_b32_e64 v10, 0xff, s31
	s_mov_b32 s3, 0
	v_cmp_gt_i16_e64 s2, 11, v10
	s_delay_alu instid0(VALU_DEP_4) | instskip(SKIP_1) | instid1(VALU_DEP_1)
	v_min_f64 v[2:3], v[3:4], v[1:2]
	v_add_co_u32 v4, s25, s4, v0
	v_add_co_ci_u32_e64 v5, null, s5, 0, s25
	s_mov_b32 s25, -1
	s_delay_alu instid0(VALU_DEP_3)
	v_dual_cndmask_b32 v1, v3, v7 :: v_dual_cndmask_b32 v0, v2, v6
	s_and_b32 vcc_lo, exec_lo, s2
	s_mov_b32 s2, s37
	s_cbranch_vccnz .LBB465_294
; %bb.288:
	v_cmp_lt_i16_e32 vcc_lo, 25, v10
	s_cbranch_vccz .LBB465_336
; %bb.289:
	v_cmp_lt_i16_e32 vcc_lo, 28, v10
	s_cbranch_vccz .LBB465_338
	;; [unrolled: 3-line block ×4, first 2 shown]
; %bb.292:
	v_cmp_eq_u16_e32 vcc_lo, 46, v10
	s_mov_b32 s25, 0
	s_mov_b32 s2, -1
	s_cbranch_vccz .LBB465_349
; %bb.293:
	v_cvt_f32_f64_e32 v2, v[0:1]
	s_mov_b32 s3, -1
	s_mov_b32 s2, 0
	s_delay_alu instid0(VALU_DEP_1) | instskip(SKIP_1) | instid1(VALU_DEP_2)
	v_bfe_u32 v3, v2, 16, 1
	v_cmp_o_f32_e32 vcc_lo, v2, v2
	v_add3_u32 v3, v2, v3, 0x7fff
	s_delay_alu instid0(VALU_DEP_1) | instskip(NEXT) | instid1(VALU_DEP_1)
	v_lshrrev_b32_e32 v3, 16, v3
	v_cndmask_b32_e32 v2, 0x7fc0, v3, vcc_lo
	global_store_b32 v[4:5], v2, off
	s_branch .LBB465_349
.LBB465_294:
	s_and_b32 vcc_lo, exec_lo, s25
	s_cbranch_vccz .LBB465_418
; %bb.295:
	v_cmp_gt_i16_e32 vcc_lo, 5, v10
	s_mov_b32 s3, -1
	s_cbranch_vccnz .LBB465_316
; %bb.296:
	v_cmp_gt_i16_e32 vcc_lo, 8, v10
	s_cbranch_vccnz .LBB465_306
; %bb.297:
	v_cmp_gt_i16_e32 vcc_lo, 9, v10
	s_cbranch_vccnz .LBB465_303
; %bb.298:
	v_cmp_lt_i16_e32 vcc_lo, 9, v10
	s_cbranch_vccz .LBB465_300
; %bb.299:
	v_mov_b32_e32 v2, 0
	s_mov_b32 s3, 0
	s_delay_alu instid0(VALU_DEP_1)
	v_mov_b32_e32 v3, v2
	global_store_b128 v[4:5], v[0:3], off
.LBB465_300:
	s_and_not1_b32 vcc_lo, exec_lo, s3
	s_cbranch_vccnz .LBB465_302
; %bb.301:
	v_cvt_f32_f64_e32 v2, v[0:1]
	v_mov_b32_e32 v3, 0
	global_store_b64 v[4:5], v[2:3], off
.LBB465_302:
	s_mov_b32 s3, 0
.LBB465_303:
	s_delay_alu instid0(SALU_CYCLE_1)
	s_and_not1_b32 vcc_lo, exec_lo, s3
	s_cbranch_vccnz .LBB465_305
; %bb.304:
	v_cvt_f32_f64_e32 v2, v[0:1]
	s_delay_alu instid0(VALU_DEP_1) | instskip(NEXT) | instid1(VALU_DEP_1)
	v_cvt_f16_f32_e32 v2, v2
	v_and_b32_e32 v2, 0xffff, v2
	global_store_b32 v[4:5], v2, off
.LBB465_305:
	s_mov_b32 s3, 0
.LBB465_306:
	s_delay_alu instid0(SALU_CYCLE_1)
	s_and_not1_b32 vcc_lo, exec_lo, s3
	s_cbranch_vccnz .LBB465_315
; %bb.307:
	v_cmp_gt_i16_e32 vcc_lo, 6, v10
	s_mov_b32 s3, -1
	s_cbranch_vccnz .LBB465_313
; %bb.308:
	v_cmp_lt_i16_e32 vcc_lo, 6, v10
	s_cbranch_vccz .LBB465_310
; %bb.309:
	s_mov_b32 s3, 0
	global_store_b64 v[4:5], v[0:1], off
.LBB465_310:
	s_and_not1_b32 vcc_lo, exec_lo, s3
	s_cbranch_vccnz .LBB465_312
; %bb.311:
	v_cvt_f32_f64_e32 v2, v[0:1]
	global_store_b32 v[4:5], v2, off
.LBB465_312:
	s_mov_b32 s3, 0
.LBB465_313:
	s_delay_alu instid0(SALU_CYCLE_1)
	s_and_not1_b32 vcc_lo, exec_lo, s3
	s_cbranch_vccnz .LBB465_315
; %bb.314:
	v_cvt_f32_f64_e32 v2, v[0:1]
	s_delay_alu instid0(VALU_DEP_1)
	v_cvt_f16_f32_e32 v2, v2
	global_store_b16 v[4:5], v2, off
.LBB465_315:
	s_mov_b32 s3, 0
.LBB465_316:
	s_delay_alu instid0(SALU_CYCLE_1)
	s_and_not1_b32 vcc_lo, exec_lo, s3
	s_cbranch_vccnz .LBB465_332
; %bb.317:
	v_cmp_gt_i16_e32 vcc_lo, 2, v10
	s_mov_b32 s3, -1
	s_cbranch_vccnz .LBB465_327
; %bb.318:
	v_cmp_gt_i16_e32 vcc_lo, 3, v10
	s_cbranch_vccnz .LBB465_324
; %bb.319:
	v_cmp_lt_i16_e32 vcc_lo, 3, v10
	s_cbranch_vccz .LBB465_321
; %bb.320:
	v_trunc_f64_e32 v[2:3], v[0:1]
	s_mov_b32 s3, 0
	s_delay_alu instid0(VALU_DEP_1) | instskip(NEXT) | instid1(VALU_DEP_1)
	v_ldexp_f64 v[6:7], v[2:3], 0xffffffe0
	v_floor_f64_e32 v[6:7], v[6:7]
	s_delay_alu instid0(VALU_DEP_1) | instskip(SKIP_1) | instid1(VALU_DEP_2)
	v_fma_f64 v[2:3], 0xc1f00000, v[6:7], v[2:3]
	v_cvt_i32_f64_e32 v7, v[6:7]
	v_cvt_u32_f64_e32 v6, v[2:3]
	global_store_b64 v[4:5], v[6:7], off
.LBB465_321:
	s_and_not1_b32 vcc_lo, exec_lo, s3
	s_cbranch_vccnz .LBB465_323
; %bb.322:
	v_cvt_i32_f64_e32 v2, v[0:1]
	global_store_b32 v[4:5], v2, off
.LBB465_323:
	s_mov_b32 s3, 0
.LBB465_324:
	s_delay_alu instid0(SALU_CYCLE_1)
	s_and_not1_b32 vcc_lo, exec_lo, s3
	s_cbranch_vccnz .LBB465_326
; %bb.325:
	v_cvt_i32_f64_e32 v2, v[0:1]
	global_store_b16 v[4:5], v2, off
.LBB465_326:
	s_mov_b32 s3, 0
.LBB465_327:
	s_delay_alu instid0(SALU_CYCLE_1)
	s_and_not1_b32 vcc_lo, exec_lo, s3
	s_cbranch_vccnz .LBB465_332
; %bb.328:
	v_cmp_lt_i16_e32 vcc_lo, 0, v10
	s_mov_b32 s3, -1
	s_cbranch_vccz .LBB465_330
; %bb.329:
	v_cvt_i32_f64_e32 v2, v[0:1]
	s_mov_b32 s3, 0
	global_store_b8 v[4:5], v2, off
.LBB465_330:
	s_and_not1_b32 vcc_lo, exec_lo, s3
	s_cbranch_vccnz .LBB465_332
; %bb.331:
	v_trunc_f64_e32 v[0:1], v[0:1]
	s_delay_alu instid0(VALU_DEP_1) | instskip(NEXT) | instid1(VALU_DEP_1)
	v_ldexp_f64 v[2:3], v[0:1], 0xffffffe0
	v_floor_f64_e32 v[2:3], v[2:3]
	s_delay_alu instid0(VALU_DEP_1) | instskip(NEXT) | instid1(VALU_DEP_1)
	v_fma_f64 v[0:1], 0xc1f00000, v[2:3], v[0:1]
	v_cvt_u32_f64_e32 v0, v[0:1]
	global_store_b8 v[4:5], v0, off
.LBB465_332:
	s_branch .LBB465_419
.LBB465_333:
	s_mov_b32 s3, 0
	s_branch .LBB465_531
.LBB465_334:
	s_mov_b32 s3, -1
	s_mov_b32 s24, s38
                                        ; implicit-def: $vgpr6_vgpr7
	s_branch .LBB465_448
.LBB465_335:
	s_mov_b32 s3, -1
	s_mov_b32 s24, s38
                                        ; implicit-def: $vgpr6_vgpr7
	s_branch .LBB465_427
.LBB465_336:
	s_mov_b32 s2, s37
	s_branch .LBB465_376
.LBB465_337:
	s_mov_b32 s3, -1
	s_mov_b32 s24, s38
                                        ; implicit-def: $vgpr6_vgpr7
	s_branch .LBB465_422
.LBB465_338:
	s_mov_b32 s2, s37
	s_branch .LBB465_359
.LBB465_339:
	s_mov_b32 s3, -1
	s_mov_b32 s24, s38
	s_branch .LBB465_344
.LBB465_340:
	s_mov_b32 s2, s37
	s_branch .LBB465_355
.LBB465_341:
	s_or_saveexec_b32 s37, s37
                                        ; implicit-def: $sgpr38
	s_delay_alu instid0(SALU_CYCLE_1)
	s_xor_b32 exec_lo, exec_lo, s37
	s_cbranch_execz .LBB465_65
.LBB465_342:
	v_add_f32_e64 v3, 0x42800000, |v2|
	s_and_not1_b32 s25, s25, exec_lo
	s_mov_b32 s38, 0
	s_delay_alu instid0(VALU_DEP_1) | instskip(NEXT) | instid1(VALU_DEP_1)
	v_and_b32_e32 v3, 0xff, v3
	v_cmp_ne_u32_e32 vcc_lo, 0, v3
	s_and_b32 s41, vcc_lo, exec_lo
	s_delay_alu instid0(SALU_CYCLE_1)
	s_or_b32 s25, s25, s41
	s_or_b32 exec_lo, exec_lo, s37
	v_mov_b32_e32 v6, s38
	s_and_saveexec_b32 s37, s25
	s_cbranch_execnz .LBB465_66
	s_branch .LBB465_67
.LBB465_343:
	s_mov_b32 s24, -1
.LBB465_344:
                                        ; implicit-def: $vgpr6_vgpr7
.LBB465_345:
	s_and_b32 vcc_lo, exec_lo, s3
	s_cbranch_vccz .LBB465_421
; %bb.346:
	v_cmp_eq_u16_e32 vcc_lo, 44, v8
	s_cbranch_vccz .LBB465_420
; %bb.347:
	global_load_u8 v5, v[1:2], off
	s_mov_b32 s24, 0
	s_mov_b32 s2, -1
	s_waitcnt vmcnt(0)
	v_cmp_ne_u32_e32 vcc_lo, 0xff, v5
	v_lshlrev_b32_e32 v3, 23, v5
	s_delay_alu instid0(VALU_DEP_1) | instskip(NEXT) | instid1(VALU_DEP_1)
	v_cvt_f64_f32_e32 v[3:4], v3
	v_cndmask_b32_e32 v4, 0x7ff80000, v4, vcc_lo
	s_delay_alu instid0(VALU_DEP_2) | instskip(SKIP_1) | instid1(VALU_DEP_3)
	v_cndmask_b32_e32 v3, 0x20000000, v3, vcc_lo
	v_cmp_ne_u32_e32 vcc_lo, 0, v5
	v_cndmask_b32_e32 v7, 0x38000000, v4, vcc_lo
	s_delay_alu instid0(VALU_DEP_3)
	v_cndmask_b32_e32 v6, 0, v3, vcc_lo
	s_branch .LBB465_421
.LBB465_348:
	s_mov_b32 s2, s37
.LBB465_349:
	s_and_b32 vcc_lo, exec_lo, s25
	s_cbranch_vccz .LBB465_354
; %bb.350:
	v_cmp_eq_u16_e32 vcc_lo, 44, v10
	s_mov_b32 s2, -1
	s_cbranch_vccz .LBB465_354
; %bb.351:
	v_cvt_f32_f64_e32 v2, v[0:1]
	v_mov_b32_e32 v3, 0xff
	s_mov_b32 s3, exec_lo
	s_delay_alu instid0(VALU_DEP_2) | instskip(NEXT) | instid1(VALU_DEP_1)
	v_bfe_u32 v6, v2, 23, 8
	v_cmpx_ne_u32_e32 0xff, v6
; %bb.352:
	v_and_b32_e32 v3, 0x400000, v2
	v_and_or_b32 v6, 0x3fffff, v2, v6
	v_lshrrev_b32_e32 v2, 23, v2
	s_delay_alu instid0(VALU_DEP_3) | instskip(NEXT) | instid1(VALU_DEP_3)
	v_cmp_ne_u32_e32 vcc_lo, 0, v3
	v_cmp_ne_u32_e64 s2, 0, v6
	s_delay_alu instid0(VALU_DEP_1) | instskip(NEXT) | instid1(SALU_CYCLE_1)
	s_and_b32 s2, vcc_lo, s2
	v_cndmask_b32_e64 v3, 0, 1, s2
	s_delay_alu instid0(VALU_DEP_1)
	v_add_nc_u32_e32 v3, v2, v3
; %bb.353:
	s_or_b32 exec_lo, exec_lo, s3
	s_mov_b32 s3, -1
	s_mov_b32 s2, 0
	global_store_b8 v[4:5], v3, off
.LBB465_354:
	s_mov_b32 s25, 0
.LBB465_355:
	s_delay_alu instid0(SALU_CYCLE_1)
	s_and_b32 vcc_lo, exec_lo, s25
	s_cbranch_vccz .LBB465_358
; %bb.356:
	v_cmp_eq_u16_e32 vcc_lo, 29, v10
	s_mov_b32 s2, -1
	s_cbranch_vccz .LBB465_358
; %bb.357:
	v_trunc_f64_e32 v[2:3], v[0:1]
	s_mov_b32 s3, -1
	s_mov_b32 s2, 0
	s_mov_b32 s25, 0
	s_delay_alu instid0(VALU_DEP_1) | instskip(NEXT) | instid1(VALU_DEP_1)
	v_ldexp_f64 v[6:7], v[2:3], 0xffffffe0
	v_floor_f64_e32 v[6:7], v[6:7]
	s_delay_alu instid0(VALU_DEP_1) | instskip(SKIP_1) | instid1(VALU_DEP_2)
	v_fma_f64 v[2:3], 0xc1f00000, v[6:7], v[2:3]
	v_cvt_u32_f64_e32 v7, v[6:7]
	v_cvt_u32_f64_e32 v6, v[2:3]
	global_store_b64 v[4:5], v[6:7], off
	s_branch .LBB465_359
.LBB465_358:
	s_mov_b32 s25, 0
.LBB465_359:
	s_delay_alu instid0(SALU_CYCLE_1)
	s_and_b32 vcc_lo, exec_lo, s25
	s_cbranch_vccz .LBB465_375
; %bb.360:
	v_cmp_gt_i16_e32 vcc_lo, 27, v10
	s_mov_b32 s3, -1
	s_cbranch_vccnz .LBB465_366
; %bb.361:
	v_cmp_lt_i16_e32 vcc_lo, 27, v10
	s_cbranch_vccz .LBB465_363
; %bb.362:
	v_cvt_u32_f64_e32 v2, v[0:1]
	s_mov_b32 s3, 0
	global_store_b32 v[4:5], v2, off
.LBB465_363:
	s_and_not1_b32 vcc_lo, exec_lo, s3
	s_cbranch_vccnz .LBB465_365
; %bb.364:
	v_cvt_u32_f64_e32 v2, v[0:1]
	global_store_b16 v[4:5], v2, off
.LBB465_365:
	s_mov_b32 s3, 0
.LBB465_366:
	s_delay_alu instid0(SALU_CYCLE_1)
	s_and_not1_b32 vcc_lo, exec_lo, s3
	s_cbranch_vccnz .LBB465_374
; %bb.367:
	v_cvt_f32_f64_e32 v2, v[0:1]
	v_mov_b32_e32 v6, 0x80
	s_mov_b32 s3, exec_lo
	s_delay_alu instid0(VALU_DEP_2) | instskip(NEXT) | instid1(VALU_DEP_1)
	v_and_b32_e32 v3, 0x7fffffff, v2
	v_cmpx_gt_u32_e32 0x43800000, v3
	s_cbranch_execz .LBB465_373
; %bb.368:
	v_cmp_lt_u32_e32 vcc_lo, 0x3bffffff, v3
	s_mov_b32 s25, 0
                                        ; implicit-def: $vgpr3
	s_and_saveexec_b32 s40, vcc_lo
	s_delay_alu instid0(SALU_CYCLE_1)
	s_xor_b32 s40, exec_lo, s40
	s_cbranch_execz .LBB465_559
; %bb.369:
	v_bfe_u32 v3, v2, 20, 1
	s_mov_b32 s25, exec_lo
	s_delay_alu instid0(VALU_DEP_1) | instskip(NEXT) | instid1(VALU_DEP_1)
	v_add3_u32 v3, v2, v3, 0x487ffff
	v_lshrrev_b32_e32 v3, 20, v3
	s_or_saveexec_b32 s40, s40
                                        ; implicit-def: $sgpr41
	s_delay_alu instid0(SALU_CYCLE_1)
	s_xor_b32 exec_lo, exec_lo, s40
	s_cbranch_execnz .LBB465_560
.LBB465_370:
	s_or_b32 exec_lo, exec_lo, s40
	v_mov_b32_e32 v6, s41
	s_and_saveexec_b32 s40, s25
.LBB465_371:
	v_lshrrev_b32_e32 v2, 24, v2
	s_delay_alu instid0(VALU_DEP_1)
	v_and_or_b32 v6, 0x80, v2, v3
.LBB465_372:
	s_or_b32 exec_lo, exec_lo, s40
.LBB465_373:
	s_delay_alu instid0(SALU_CYCLE_1)
	s_or_b32 exec_lo, exec_lo, s3
	global_store_b8 v[4:5], v6, off
.LBB465_374:
	s_mov_b32 s3, -1
.LBB465_375:
	s_mov_b32 s25, 0
.LBB465_376:
	s_delay_alu instid0(SALU_CYCLE_1)
	s_and_b32 vcc_lo, exec_lo, s25
	s_cbranch_vccz .LBB465_417
; %bb.377:
	v_cmp_lt_i16_e32 vcc_lo, 22, v10
	s_mov_b32 s25, -1
	s_cbranch_vccz .LBB465_409
; %bb.378:
	v_cmp_gt_i16_e32 vcc_lo, 24, v10
	s_mov_b32 s3, -1
	s_cbranch_vccnz .LBB465_398
; %bb.379:
	v_cmp_lt_i16_e32 vcc_lo, 24, v10
	s_cbranch_vccz .LBB465_387
; %bb.380:
	v_cvt_f32_f64_e32 v2, v[0:1]
	v_mov_b32_e32 v6, 0x80
	s_mov_b32 s3, exec_lo
	s_delay_alu instid0(VALU_DEP_2) | instskip(NEXT) | instid1(VALU_DEP_1)
	v_and_b32_e32 v3, 0x7fffffff, v2
	v_cmpx_gt_u32_e32 0x47800000, v3
	s_cbranch_execz .LBB465_386
; %bb.381:
	v_cmp_lt_u32_e32 vcc_lo, 0x37ffffff, v3
	s_mov_b32 s25, 0
                                        ; implicit-def: $vgpr3
	s_and_saveexec_b32 s40, vcc_lo
	s_delay_alu instid0(SALU_CYCLE_1)
	s_xor_b32 s40, exec_lo, s40
	s_cbranch_execz .LBB465_562
; %bb.382:
	v_bfe_u32 v3, v2, 21, 1
	s_mov_b32 s25, exec_lo
	s_delay_alu instid0(VALU_DEP_1) | instskip(NEXT) | instid1(VALU_DEP_1)
	v_add3_u32 v3, v2, v3, 0x88fffff
	v_lshrrev_b32_e32 v3, 21, v3
	s_or_saveexec_b32 s40, s40
                                        ; implicit-def: $sgpr41
	s_delay_alu instid0(SALU_CYCLE_1)
	s_xor_b32 exec_lo, exec_lo, s40
	s_cbranch_execnz .LBB465_563
.LBB465_383:
	s_or_b32 exec_lo, exec_lo, s40
	v_mov_b32_e32 v6, s41
	s_and_saveexec_b32 s40, s25
.LBB465_384:
	v_lshrrev_b32_e32 v2, 24, v2
	s_delay_alu instid0(VALU_DEP_1)
	v_and_or_b32 v6, 0x80, v2, v3
.LBB465_385:
	s_or_b32 exec_lo, exec_lo, s40
.LBB465_386:
	s_delay_alu instid0(SALU_CYCLE_1)
	s_or_b32 exec_lo, exec_lo, s3
	s_mov_b32 s3, 0
	global_store_b8 v[4:5], v6, off
.LBB465_387:
	s_and_b32 vcc_lo, exec_lo, s3
	s_cbranch_vccz .LBB465_397
; %bb.388:
	v_cvt_f32_f64_e32 v2, v[0:1]
	s_mov_b32 s3, exec_lo
                                        ; implicit-def: $vgpr3
	s_delay_alu instid0(VALU_DEP_1) | instskip(NEXT) | instid1(VALU_DEP_1)
	v_and_b32_e32 v6, 0x7fffffff, v2
	v_cmpx_gt_u32_e32 0x43f00000, v6
	s_xor_b32 s3, exec_lo, s3
	s_cbranch_execz .LBB465_394
; %bb.389:
	s_mov_b32 s25, exec_lo
                                        ; implicit-def: $vgpr3
	v_cmpx_lt_u32_e32 0x3c7fffff, v6
	s_xor_b32 s25, exec_lo, s25
; %bb.390:
	v_bfe_u32 v3, v2, 20, 1
	s_delay_alu instid0(VALU_DEP_1) | instskip(NEXT) | instid1(VALU_DEP_1)
	v_add3_u32 v3, v2, v3, 0x407ffff
	v_and_b32_e32 v6, 0xff00000, v3
	v_lshrrev_b32_e32 v3, 20, v3
	s_delay_alu instid0(VALU_DEP_2) | instskip(NEXT) | instid1(VALU_DEP_2)
	v_cmp_ne_u32_e32 vcc_lo, 0x7f00000, v6
	v_cndmask_b32_e32 v3, 0x7e, v3, vcc_lo
; %bb.391:
	s_and_not1_saveexec_b32 s25, s25
; %bb.392:
	v_add_f32_e64 v3, 0x46800000, |v2|
; %bb.393:
	s_or_b32 exec_lo, exec_lo, s25
                                        ; implicit-def: $vgpr6
.LBB465_394:
	s_and_not1_saveexec_b32 s3, s3
; %bb.395:
	v_mov_b32_e32 v3, 0x7f
	v_cmp_lt_u32_e32 vcc_lo, 0x7f800000, v6
	s_delay_alu instid0(VALU_DEP_2)
	v_cndmask_b32_e32 v3, 0x7e, v3, vcc_lo
; %bb.396:
	s_or_b32 exec_lo, exec_lo, s3
	v_lshrrev_b32_e32 v2, 24, v2
	s_delay_alu instid0(VALU_DEP_1)
	v_and_or_b32 v2, 0x80, v2, v3
	global_store_b8 v[4:5], v2, off
.LBB465_397:
	s_mov_b32 s3, 0
.LBB465_398:
	s_delay_alu instid0(SALU_CYCLE_1)
	s_and_not1_b32 vcc_lo, exec_lo, s3
	s_cbranch_vccnz .LBB465_408
; %bb.399:
	v_cvt_f32_f64_e32 v2, v[0:1]
	s_mov_b32 s3, exec_lo
                                        ; implicit-def: $vgpr3
	s_delay_alu instid0(VALU_DEP_1) | instskip(NEXT) | instid1(VALU_DEP_1)
	v_and_b32_e32 v6, 0x7fffffff, v2
	v_cmpx_gt_u32_e32 0x47800000, v6
	s_xor_b32 s3, exec_lo, s3
	s_cbranch_execz .LBB465_405
; %bb.400:
	s_mov_b32 s25, exec_lo
                                        ; implicit-def: $vgpr3
	v_cmpx_lt_u32_e32 0x387fffff, v6
	s_xor_b32 s25, exec_lo, s25
; %bb.401:
	v_bfe_u32 v3, v2, 21, 1
	s_delay_alu instid0(VALU_DEP_1) | instskip(NEXT) | instid1(VALU_DEP_1)
	v_add3_u32 v3, v2, v3, 0x80fffff
	v_lshrrev_b32_e32 v3, 21, v3
; %bb.402:
	s_and_not1_saveexec_b32 s25, s25
; %bb.403:
	v_add_f32_e64 v3, 0x43000000, |v2|
; %bb.404:
	s_or_b32 exec_lo, exec_lo, s25
                                        ; implicit-def: $vgpr6
.LBB465_405:
	s_and_not1_saveexec_b32 s3, s3
; %bb.406:
	v_mov_b32_e32 v3, 0x7f
	v_cmp_lt_u32_e32 vcc_lo, 0x7f800000, v6
	s_delay_alu instid0(VALU_DEP_2)
	v_cndmask_b32_e32 v3, 0x7c, v3, vcc_lo
; %bb.407:
	s_or_b32 exec_lo, exec_lo, s3
	v_lshrrev_b32_e32 v2, 24, v2
	s_delay_alu instid0(VALU_DEP_1)
	v_and_or_b32 v2, 0x80, v2, v3
	global_store_b8 v[4:5], v2, off
.LBB465_408:
	s_mov_b32 s25, 0
	s_mov_b32 s3, -1
.LBB465_409:
	s_and_not1_b32 vcc_lo, exec_lo, s25
	s_cbranch_vccnz .LBB465_417
; %bb.410:
	v_cmp_lt_i16_e32 vcc_lo, 14, v10
	s_mov_b32 s25, -1
	s_cbranch_vccz .LBB465_414
; %bb.411:
	v_cmp_eq_u16_e32 vcc_lo, 15, v10
	s_mov_b32 s2, -1
	s_cbranch_vccz .LBB465_413
; %bb.412:
	v_cvt_f32_f64_e32 v2, v[0:1]
	s_mov_b32 s3, -1
	s_mov_b32 s2, 0
	s_delay_alu instid0(VALU_DEP_1) | instskip(SKIP_1) | instid1(VALU_DEP_2)
	v_bfe_u32 v3, v2, 16, 1
	v_cmp_o_f32_e32 vcc_lo, v2, v2
	v_add3_u32 v3, v2, v3, 0x7fff
	s_delay_alu instid0(VALU_DEP_1) | instskip(NEXT) | instid1(VALU_DEP_1)
	v_lshrrev_b32_e32 v3, 16, v3
	v_cndmask_b32_e32 v2, 0x7fc0, v3, vcc_lo
	global_store_b16 v[4:5], v2, off
.LBB465_413:
	s_mov_b32 s25, 0
.LBB465_414:
	s_delay_alu instid0(SALU_CYCLE_1)
	s_and_b32 vcc_lo, exec_lo, s25
	s_cbranch_vccz .LBB465_417
; %bb.415:
	v_cmp_eq_u16_e32 vcc_lo, 11, v10
	s_mov_b32 s2, -1
	s_cbranch_vccz .LBB465_417
; %bb.416:
	v_cmp_neq_f64_e32 vcc_lo, 0, v[0:1]
	s_mov_b32 s3, -1
	s_mov_b32 s2, 0
	v_cndmask_b32_e64 v2, 0, 1, vcc_lo
	global_store_b8 v[4:5], v2, off
.LBB465_417:
.LBB465_418:
	s_and_not1_b32 vcc_lo, exec_lo, s3
	s_cbranch_vccnz .LBB465_333
.LBB465_419:
	v_add_nc_u32_e32 v9, 0x80, v9
	s_mov_b32 s3, -1
	s_branch .LBB465_532
.LBB465_420:
	s_mov_b32 s24, -1
                                        ; implicit-def: $vgpr6_vgpr7
.LBB465_421:
	s_mov_b32 s3, 0
.LBB465_422:
	s_delay_alu instid0(SALU_CYCLE_1)
	s_and_b32 vcc_lo, exec_lo, s3
	s_cbranch_vccz .LBB465_426
; %bb.423:
	v_cmp_eq_u16_e32 vcc_lo, 29, v8
	s_cbranch_vccz .LBB465_425
; %bb.424:
	global_load_b64 v[3:4], v[1:2], off
	s_mov_b32 s2, -1
	s_mov_b32 s24, 0
	s_mov_b32 s3, 0
	s_waitcnt vmcnt(0)
	v_cvt_f64_u32_e32 v[4:5], v4
	v_cvt_f64_u32_e32 v[6:7], v3
	s_delay_alu instid0(VALU_DEP_2) | instskip(NEXT) | instid1(VALU_DEP_1)
	v_ldexp_f64 v[4:5], v[4:5], 32
	v_add_f64 v[6:7], v[4:5], v[6:7]
	s_branch .LBB465_427
.LBB465_425:
	s_mov_b32 s24, -1
                                        ; implicit-def: $vgpr6_vgpr7
.LBB465_426:
	s_mov_b32 s3, 0
.LBB465_427:
	s_delay_alu instid0(SALU_CYCLE_1)
	s_and_b32 vcc_lo, exec_lo, s3
	s_cbranch_vccz .LBB465_447
; %bb.428:
	v_cmp_gt_i16_e32 vcc_lo, 27, v8
	s_cbranch_vccnz .LBB465_431
; %bb.429:
	v_cmp_lt_i16_e32 vcc_lo, 27, v8
	s_cbranch_vccz .LBB465_432
; %bb.430:
	global_load_b32 v3, v[1:2], off
	s_mov_b32 s2, 0
	s_waitcnt vmcnt(0)
	v_cvt_f64_u32_e32 v[6:7], v3
	s_branch .LBB465_433
.LBB465_431:
	s_mov_b32 s2, -1
                                        ; implicit-def: $vgpr6_vgpr7
	s_branch .LBB465_436
.LBB465_432:
	s_mov_b32 s2, -1
                                        ; implicit-def: $vgpr6_vgpr7
.LBB465_433:
	s_delay_alu instid0(SALU_CYCLE_1)
	s_and_not1_b32 vcc_lo, exec_lo, s2
	s_cbranch_vccnz .LBB465_435
; %bb.434:
	global_load_u16 v3, v[1:2], off
	s_waitcnt vmcnt(0)
	v_cvt_f64_u32_e32 v[6:7], v3
.LBB465_435:
	s_mov_b32 s2, 0
.LBB465_436:
	s_delay_alu instid0(SALU_CYCLE_1)
	s_and_not1_b32 vcc_lo, exec_lo, s2
	s_cbranch_vccnz .LBB465_446
; %bb.437:
	global_load_u8 v3, v[1:2], off
	s_mov_b32 s25, 0
	s_mov_b32 s40, exec_lo
                                        ; implicit-def: $sgpr2_sgpr3
	s_waitcnt vmcnt(0)
	v_cmpx_lt_i16_e32 0x7f, v3
	s_xor_b32 s40, exec_lo, s40
	s_cbranch_execz .LBB465_441
; %bb.438:
	s_mov_b32 s41, -1
	s_mov_b32 s25, exec_lo
                                        ; implicit-def: $sgpr2_sgpr3
	v_cmpx_eq_u16_e32 0x80, v3
; %bb.439:
	s_mov_b32 s3, 0x7ff80000
	s_brev_b32 s2, 4
	s_xor_b32 s41, exec_lo, -1
; %bb.440:
	s_or_b32 exec_lo, exec_lo, s25
	s_delay_alu instid0(SALU_CYCLE_1)
	s_and_b32 s25, s41, exec_lo
.LBB465_441:
	s_or_saveexec_b32 s40, s40
	v_dual_mov_b32 v7, s3 :: v_dual_mov_b32 v6, s2
	s_xor_b32 exec_lo, exec_lo, s40
; %bb.442:
	v_cmp_ne_u16_e32 vcc_lo, 0, v3
	v_mov_b32_e32 v6, 0
	v_mov_b32_e32 v7, 0
	s_and_not1_b32 s2, s25, exec_lo
	s_and_b32 s3, vcc_lo, exec_lo
	s_delay_alu instid0(SALU_CYCLE_1)
	s_or_b32 s25, s2, s3
; %bb.443:
	s_or_b32 exec_lo, exec_lo, s40
	s_and_saveexec_b32 s2, s25
	s_cbranch_execz .LBB465_445
; %bb.444:
	v_and_b32_e32 v4, 0xffff, v3
	v_lshlrev_b32_e32 v3, 24, v3
	s_delay_alu instid0(VALU_DEP_2) | instskip(NEXT) | instid1(VALU_DEP_2)
	v_and_b32_e32 v5, 7, v4
	v_and_b32_e32 v3, 0x80000000, v3
	s_delay_alu instid0(VALU_DEP_2) | instskip(NEXT) | instid1(VALU_DEP_1)
	v_clz_i32_u32_e32 v6, v5
	v_min_u32_e32 v6, 32, v6
	s_delay_alu instid0(VALU_DEP_1) | instskip(SKIP_1) | instid1(VALU_DEP_2)
	v_subrev_nc_u32_e32 v7, 28, v6
	v_sub_nc_u32_e32 v6, 29, v6
	v_lshlrev_b32_e32 v7, v7, v4
	v_bfe_u32 v4, v4, 3, 4
	s_delay_alu instid0(VALU_DEP_2) | instskip(NEXT) | instid1(VALU_DEP_2)
	v_and_b32_e32 v7, 7, v7
	v_cmp_eq_u32_e32 vcc_lo, 0, v4
	s_delay_alu instid0(VALU_DEP_2) | instskip(NEXT) | instid1(VALU_DEP_1)
	v_dual_cndmask_b32 v4, v4, v6 :: v_dual_cndmask_b32 v5, v5, v7
	v_lshl_add_u32 v4, v4, 23, 0x3b800000
	s_delay_alu instid0(VALU_DEP_2) | instskip(NEXT) | instid1(VALU_DEP_1)
	v_lshlrev_b32_e32 v5, 20, v5
	v_or3_b32 v3, v3, v4, v5
	s_delay_alu instid0(VALU_DEP_1)
	v_cvt_f64_f32_e32 v[6:7], v3
.LBB465_445:
	s_or_b32 exec_lo, exec_lo, s2
.LBB465_446:
	s_mov_b32 s2, -1
.LBB465_447:
	s_mov_b32 s3, 0
.LBB465_448:
	s_delay_alu instid0(SALU_CYCLE_1)
	s_and_b32 vcc_lo, exec_lo, s3
	s_cbranch_vccz .LBB465_481
; %bb.449:
	v_cmp_lt_i16_e32 vcc_lo, 22, v8
	s_cbranch_vccz .LBB465_461
; %bb.450:
	v_cmp_gt_i16_e32 vcc_lo, 24, v8
	s_cbranch_vccnz .LBB465_462
; %bb.451:
	v_cmp_lt_i16_e32 vcc_lo, 24, v8
	s_cbranch_vccz .LBB465_463
; %bb.452:
	global_load_u8 v3, v[1:2], off
	s_mov_b32 s25, 0
	s_mov_b32 s40, exec_lo
                                        ; implicit-def: $sgpr2_sgpr3
	s_waitcnt vmcnt(0)
	v_cmpx_lt_i16_e32 0x7f, v3
	s_xor_b32 s40, exec_lo, s40
	s_cbranch_execz .LBB465_456
; %bb.453:
	s_mov_b32 s41, -1
	s_mov_b32 s25, exec_lo
                                        ; implicit-def: $sgpr2_sgpr3
	v_cmpx_eq_u16_e32 0x80, v3
; %bb.454:
	s_mov_b32 s3, 0x7ff80000
	s_brev_b32 s2, 4
	s_xor_b32 s41, exec_lo, -1
; %bb.455:
	s_or_b32 exec_lo, exec_lo, s25
	s_delay_alu instid0(SALU_CYCLE_1)
	s_and_b32 s25, s41, exec_lo
.LBB465_456:
	s_or_saveexec_b32 s40, s40
	v_dual_mov_b32 v7, s3 :: v_dual_mov_b32 v6, s2
	s_xor_b32 exec_lo, exec_lo, s40
; %bb.457:
	v_cmp_ne_u16_e32 vcc_lo, 0, v3
	v_mov_b32_e32 v6, 0
	v_mov_b32_e32 v7, 0
	s_and_not1_b32 s2, s25, exec_lo
	s_and_b32 s3, vcc_lo, exec_lo
	s_delay_alu instid0(SALU_CYCLE_1)
	s_or_b32 s25, s2, s3
; %bb.458:
	s_or_b32 exec_lo, exec_lo, s40
	s_and_saveexec_b32 s2, s25
	s_cbranch_execz .LBB465_460
; %bb.459:
	v_and_b32_e32 v4, 0xffff, v3
	v_lshlrev_b32_e32 v3, 24, v3
	s_delay_alu instid0(VALU_DEP_2) | instskip(NEXT) | instid1(VALU_DEP_2)
	v_and_b32_e32 v5, 3, v4
	v_and_b32_e32 v3, 0x80000000, v3
	s_delay_alu instid0(VALU_DEP_2) | instskip(NEXT) | instid1(VALU_DEP_1)
	v_clz_i32_u32_e32 v6, v5
	v_min_u32_e32 v6, 32, v6
	s_delay_alu instid0(VALU_DEP_1) | instskip(SKIP_1) | instid1(VALU_DEP_2)
	v_subrev_nc_u32_e32 v7, 29, v6
	v_sub_nc_u32_e32 v6, 30, v6
	v_lshlrev_b32_e32 v7, v7, v4
	v_bfe_u32 v4, v4, 2, 5
	s_delay_alu instid0(VALU_DEP_2) | instskip(NEXT) | instid1(VALU_DEP_2)
	v_and_b32_e32 v7, 3, v7
	v_cmp_eq_u32_e32 vcc_lo, 0, v4
	s_delay_alu instid0(VALU_DEP_2) | instskip(NEXT) | instid1(VALU_DEP_1)
	v_dual_cndmask_b32 v4, v4, v6 :: v_dual_cndmask_b32 v5, v5, v7
	v_lshl_add_u32 v4, v4, 23, 0x37800000
	s_delay_alu instid0(VALU_DEP_2) | instskip(NEXT) | instid1(VALU_DEP_1)
	v_lshlrev_b32_e32 v5, 21, v5
	v_or3_b32 v3, v3, v4, v5
	s_delay_alu instid0(VALU_DEP_1)
	v_cvt_f64_f32_e32 v[6:7], v3
.LBB465_460:
	s_or_b32 exec_lo, exec_lo, s2
	s_mov_b32 s2, 0
	s_branch .LBB465_464
.LBB465_461:
	s_mov_b32 s3, -1
                                        ; implicit-def: $vgpr6_vgpr7
	s_branch .LBB465_470
.LBB465_462:
	s_mov_b32 s2, -1
                                        ; implicit-def: $vgpr6_vgpr7
	s_branch .LBB465_467
.LBB465_463:
	s_mov_b32 s2, -1
                                        ; implicit-def: $vgpr6_vgpr7
.LBB465_464:
	s_delay_alu instid0(SALU_CYCLE_1)
	s_and_b32 vcc_lo, exec_lo, s2
	s_cbranch_vccz .LBB465_466
; %bb.465:
	global_load_u8 v3, v[1:2], off
	s_waitcnt vmcnt(0)
	v_lshlrev_b32_e32 v3, 24, v3
	s_delay_alu instid0(VALU_DEP_1) | instskip(NEXT) | instid1(VALU_DEP_1)
	v_and_b32_e32 v4, 0x7f000000, v3
	v_clz_i32_u32_e32 v5, v4
	v_add_nc_u32_e32 v7, 0x1000000, v4
	v_cmp_ne_u32_e32 vcc_lo, 0, v4
	s_delay_alu instid0(VALU_DEP_3) | instskip(NEXT) | instid1(VALU_DEP_1)
	v_min_u32_e32 v5, 32, v5
	v_sub_nc_u32_e64 v5, v5, 4 clamp
	s_delay_alu instid0(VALU_DEP_1) | instskip(SKIP_1) | instid1(VALU_DEP_2)
	v_lshlrev_b32_e32 v6, v5, v4
	v_lshlrev_b32_e32 v5, 23, v5
	v_lshrrev_b32_e32 v6, 4, v6
	s_delay_alu instid0(VALU_DEP_1) | instskip(SKIP_1) | instid1(VALU_DEP_2)
	v_sub_nc_u32_e32 v5, v6, v5
	v_ashrrev_i32_e32 v6, 8, v7
	v_add_nc_u32_e32 v5, 0x3c000000, v5
	s_delay_alu instid0(VALU_DEP_1) | instskip(NEXT) | instid1(VALU_DEP_1)
	v_and_or_b32 v5, 0x7f800000, v6, v5
	v_cndmask_b32_e32 v4, 0, v5, vcc_lo
	s_delay_alu instid0(VALU_DEP_1) | instskip(NEXT) | instid1(VALU_DEP_1)
	v_and_or_b32 v3, 0x80000000, v3, v4
	v_cvt_f64_f32_e32 v[6:7], v3
.LBB465_466:
	s_mov_b32 s2, 0
.LBB465_467:
	s_delay_alu instid0(SALU_CYCLE_1)
	s_and_not1_b32 vcc_lo, exec_lo, s2
	s_cbranch_vccnz .LBB465_469
; %bb.468:
	global_load_u8 v3, v[1:2], off
	s_waitcnt vmcnt(0)
	v_lshlrev_b32_e32 v4, 25, v3
	v_lshlrev_b16 v3, 8, v3
	s_delay_alu instid0(VALU_DEP_2) | instskip(NEXT) | instid1(VALU_DEP_2)
	v_lshrrev_b32_e32 v5, 4, v4
	v_and_or_b32 v6, 0x7f00, v3, 0.5
	v_bfe_i32 v3, v3, 0, 16
	s_delay_alu instid0(VALU_DEP_3) | instskip(NEXT) | instid1(VALU_DEP_1)
	v_or_b32_e32 v5, 0x70000000, v5
	v_dual_add_f32 v6, -0.5, v6 :: v_dual_mul_f32 v5, 0x7800000, v5
	v_cmp_gt_u32_e32 vcc_lo, 0x8000000, v4
	s_delay_alu instid0(VALU_DEP_2) | instskip(NEXT) | instid1(VALU_DEP_1)
	v_cndmask_b32_e32 v4, v5, v6, vcc_lo
	v_and_or_b32 v3, 0x80000000, v3, v4
	s_delay_alu instid0(VALU_DEP_1)
	v_cvt_f64_f32_e32 v[6:7], v3
.LBB465_469:
	s_mov_b32 s3, 0
	s_mov_b32 s2, -1
.LBB465_470:
	s_and_not1_b32 vcc_lo, exec_lo, s3
	s_cbranch_vccnz .LBB465_481
; %bb.471:
	v_cmp_lt_i16_e32 vcc_lo, 14, v8
	s_cbranch_vccz .LBB465_474
; %bb.472:
	v_cmp_eq_u16_e32 vcc_lo, 15, v8
	s_cbranch_vccz .LBB465_475
; %bb.473:
	global_load_u16 v3, v[1:2], off
	s_mov_b32 s2, -1
	s_mov_b32 s24, 0
	s_waitcnt vmcnt(0)
	v_lshlrev_b32_e32 v3, 16, v3
	s_delay_alu instid0(VALU_DEP_1)
	v_cvt_f64_f32_e32 v[6:7], v3
	s_branch .LBB465_476
.LBB465_474:
	s_mov_b32 s3, -1
                                        ; implicit-def: $vgpr6_vgpr7
	s_branch .LBB465_477
.LBB465_475:
	s_mov_b32 s24, -1
                                        ; implicit-def: $vgpr6_vgpr7
.LBB465_476:
	s_mov_b32 s3, 0
.LBB465_477:
	s_delay_alu instid0(SALU_CYCLE_1)
	s_and_b32 vcc_lo, exec_lo, s3
	s_cbranch_vccz .LBB465_481
; %bb.478:
	v_cmp_eq_u16_e32 vcc_lo, 11, v8
	s_cbranch_vccz .LBB465_480
; %bb.479:
	global_load_u8 v3, v[1:2], off
	s_waitcnt vmcnt(1)
	v_mov_b32_e32 v6, 0
	s_mov_b32 s24, 0
	s_mov_b32 s2, -1
	s_waitcnt vmcnt(0)
	v_cmp_ne_u16_e32 vcc_lo, 0, v3
	v_cndmask_b32_e64 v7, 0, 0x3ff00000, vcc_lo
	s_branch .LBB465_481
.LBB465_480:
	s_mov_b32 s24, -1
                                        ; implicit-def: $vgpr6_vgpr7
.LBB465_481:
	s_branch .LBB465_286
.LBB465_482:
	v_cmp_gt_i16_e32 vcc_lo, 5, v8
	s_cbranch_vccnz .LBB465_487
; %bb.483:
	v_cmp_gt_i16_e32 vcc_lo, 8, v8
	s_cbranch_vccnz .LBB465_488
; %bb.484:
	;; [unrolled: 3-line block ×3, first 2 shown]
	v_cmp_lt_i16_e32 vcc_lo, 9, v8
	s_cbranch_vccz .LBB465_490
; %bb.486:
	global_load_b64 v[6:7], v[1:2], off
	s_mov_b32 s2, 0
	s_branch .LBB465_491
.LBB465_487:
	s_mov_b32 s2, -1
                                        ; implicit-def: $vgpr6_vgpr7
	s_branch .LBB465_509
.LBB465_488:
	s_mov_b32 s2, -1
                                        ; implicit-def: $vgpr6_vgpr7
	s_branch .LBB465_497
.LBB465_489:
	s_mov_b32 s2, -1
                                        ; implicit-def: $vgpr6_vgpr7
	s_branch .LBB465_494
.LBB465_490:
	s_mov_b32 s2, -1
                                        ; implicit-def: $vgpr6_vgpr7
.LBB465_491:
	s_delay_alu instid0(SALU_CYCLE_1)
	s_and_not1_b32 vcc_lo, exec_lo, s2
	s_cbranch_vccnz .LBB465_493
; %bb.492:
	global_load_b32 v3, v[1:2], off
	s_waitcnt vmcnt(0)
	v_cvt_f64_f32_e32 v[6:7], v3
.LBB465_493:
	s_mov_b32 s2, 0
.LBB465_494:
	s_delay_alu instid0(SALU_CYCLE_1)
	s_and_not1_b32 vcc_lo, exec_lo, s2
	s_cbranch_vccnz .LBB465_496
; %bb.495:
	global_load_b32 v3, v[1:2], off
	s_waitcnt vmcnt(0)
	v_cvt_f32_f16_e32 v3, v3
	s_delay_alu instid0(VALU_DEP_1)
	v_cvt_f64_f32_e32 v[6:7], v3
.LBB465_496:
	s_mov_b32 s2, 0
.LBB465_497:
	s_delay_alu instid0(SALU_CYCLE_1)
	s_and_not1_b32 vcc_lo, exec_lo, s2
	s_cbranch_vccnz .LBB465_508
; %bb.498:
	v_cmp_gt_i16_e32 vcc_lo, 6, v8
	s_cbranch_vccnz .LBB465_501
; %bb.499:
	v_cmp_lt_i16_e32 vcc_lo, 6, v8
	s_cbranch_vccz .LBB465_502
; %bb.500:
	global_load_b64 v[6:7], v[1:2], off
	s_mov_b32 s2, 0
	s_branch .LBB465_503
.LBB465_501:
	s_mov_b32 s2, -1
                                        ; implicit-def: $vgpr6_vgpr7
	s_branch .LBB465_506
.LBB465_502:
	s_mov_b32 s2, -1
                                        ; implicit-def: $vgpr6_vgpr7
.LBB465_503:
	s_delay_alu instid0(SALU_CYCLE_1)
	s_and_not1_b32 vcc_lo, exec_lo, s2
	s_cbranch_vccnz .LBB465_505
; %bb.504:
	global_load_b32 v3, v[1:2], off
	s_waitcnt vmcnt(0)
	v_cvt_f64_f32_e32 v[6:7], v3
.LBB465_505:
	s_mov_b32 s2, 0
.LBB465_506:
	s_delay_alu instid0(SALU_CYCLE_1)
	s_and_not1_b32 vcc_lo, exec_lo, s2
	s_cbranch_vccnz .LBB465_508
; %bb.507:
	global_load_u16 v3, v[1:2], off
	s_waitcnt vmcnt(0)
	v_cvt_f32_f16_e32 v3, v3
	s_delay_alu instid0(VALU_DEP_1)
	v_cvt_f64_f32_e32 v[6:7], v3
.LBB465_508:
	s_mov_b32 s2, 0
.LBB465_509:
	s_delay_alu instid0(SALU_CYCLE_1)
	s_and_not1_b32 vcc_lo, exec_lo, s2
	s_cbranch_vccnz .LBB465_529
; %bb.510:
	v_cmp_gt_i16_e32 vcc_lo, 2, v8
	s_cbranch_vccnz .LBB465_514
; %bb.511:
	v_cmp_gt_i16_e32 vcc_lo, 3, v8
	s_cbranch_vccnz .LBB465_515
; %bb.512:
	v_cmp_lt_i16_e32 vcc_lo, 3, v8
	s_cbranch_vccz .LBB465_516
; %bb.513:
	global_load_b64 v[3:4], v[1:2], off
	s_mov_b32 s2, 0
	s_waitcnt vmcnt(0)
	v_cvt_f64_i32_e32 v[4:5], v4
	v_cvt_f64_u32_e32 v[6:7], v3
	s_delay_alu instid0(VALU_DEP_2) | instskip(NEXT) | instid1(VALU_DEP_1)
	v_ldexp_f64 v[4:5], v[4:5], 32
	v_add_f64 v[6:7], v[4:5], v[6:7]
	s_branch .LBB465_517
.LBB465_514:
	s_mov_b32 s2, -1
                                        ; implicit-def: $vgpr6_vgpr7
	s_branch .LBB465_523
.LBB465_515:
	s_mov_b32 s2, -1
                                        ; implicit-def: $vgpr6_vgpr7
	s_branch .LBB465_520
.LBB465_516:
	s_mov_b32 s2, -1
                                        ; implicit-def: $vgpr6_vgpr7
.LBB465_517:
	s_delay_alu instid0(SALU_CYCLE_1)
	s_and_not1_b32 vcc_lo, exec_lo, s2
	s_cbranch_vccnz .LBB465_519
; %bb.518:
	global_load_b32 v3, v[1:2], off
	s_waitcnt vmcnt(0)
	v_cvt_f64_i32_e32 v[6:7], v3
.LBB465_519:
	s_mov_b32 s2, 0
.LBB465_520:
	s_delay_alu instid0(SALU_CYCLE_1)
	s_and_not1_b32 vcc_lo, exec_lo, s2
	s_cbranch_vccnz .LBB465_522
; %bb.521:
	global_load_i16 v3, v[1:2], off
	s_waitcnt vmcnt(0)
	v_cvt_f64_i32_e32 v[6:7], v3
.LBB465_522:
	s_mov_b32 s2, 0
.LBB465_523:
	s_delay_alu instid0(SALU_CYCLE_1)
	s_and_not1_b32 vcc_lo, exec_lo, s2
	s_cbranch_vccnz .LBB465_529
; %bb.524:
	v_cmp_lt_i16_e32 vcc_lo, 0, v8
	s_mov_b32 s2, 0
	s_cbranch_vccz .LBB465_526
; %bb.525:
	global_load_i8 v3, v[1:2], off
	s_waitcnt vmcnt(0)
	v_cvt_f64_i32_e32 v[6:7], v3
	s_branch .LBB465_527
.LBB465_526:
	s_mov_b32 s2, -1
                                        ; implicit-def: $vgpr6_vgpr7
.LBB465_527:
	s_delay_alu instid0(SALU_CYCLE_1)
	s_and_not1_b32 vcc_lo, exec_lo, s2
	s_cbranch_vccnz .LBB465_529
; %bb.528:
	global_load_u8 v1, v[1:2], off
	s_waitcnt vmcnt(0)
	v_cvt_f64_u32_e32 v[6:7], v1
.LBB465_529:
	s_branch .LBB465_287
.LBB465_530:
	s_mov_b32 s3, 0
	s_mov_b32 s2, s37
.LBB465_531:
                                        ; implicit-def: $vgpr9
.LBB465_532:
	s_and_not1_b32 s25, s37, exec_lo
	s_and_b32 s2, s2, exec_lo
	s_and_not1_b32 s40, s38, exec_lo
	s_and_b32 s24, s24, exec_lo
	s_or_b32 s41, s25, s2
	s_or_b32 s40, s40, s24
	s_or_not1_b32 s2, s3, exec_lo
.LBB465_533:
	s_or_b32 exec_lo, exec_lo, s42
	s_mov_b32 s3, 0
	s_mov_b32 s25, 0
	;; [unrolled: 1-line block ×3, first 2 shown]
                                        ; implicit-def: $vgpr0_vgpr1
                                        ; implicit-def: $vgpr2
                                        ; implicit-def: $vgpr6_vgpr7
	s_and_saveexec_b32 s42, s2
	s_cbranch_execz .LBB465_905
; %bb.534:
	s_mov_b32 s45, -1
	s_mov_b32 s24, s40
	s_mov_b32 s25, s41
	s_mov_b32 s43, exec_lo
	v_cmpx_gt_i32_e64 s34, v9
	s_cbranch_execz .LBB465_806
; %bb.535:
	s_and_not1_b32 vcc_lo, exec_lo, s29
	s_cbranch_vccnz .LBB465_540
; %bb.536:
	v_dual_mov_b32 v0, 0 :: v_dual_mov_b32 v1, 0
	s_and_not1_b32 vcc_lo, exec_lo, s36
	s_mov_b32 s44, 0
	s_cbranch_vccnz .LBB465_545
; %bb.537:
	v_mov_b32_e32 v0, 0
	s_add_i32 s46, s35, 1
	s_cmp_eq_u32 s27, 2
	s_mov_b32 s45, 0
	s_cbranch_scc1 .LBB465_541
; %bb.538:
	v_dual_mov_b32 v1, 0 :: v_dual_mov_b32 v0, 0
	v_mov_b32_e32 v2, v9
	s_and_b32 s45, s46, 28
	s_mov_b32 s47, 0
	s_mov_b64 s[2:3], s[22:23]
	s_mov_b64 s[24:25], s[16:17]
.LBB465_539:                            ; =>This Inner Loop Header: Depth=1
	s_clause 0x1
	s_load_b256 s[48:55], s[24:25], 0x4
	s_load_b128 s[64:67], s[24:25], 0x24
	s_load_b256 s[56:63], s[2:3], 0x0
	s_add_u32 s24, s24, 48
	s_addc_u32 s25, s25, 0
	s_add_i32 s47, s47, 4
	s_add_u32 s2, s2, 32
	s_addc_u32 s3, s3, 0
	s_cmp_eq_u32 s45, s47
	s_waitcnt lgkmcnt(0)
	v_mul_hi_u32 v3, s49, v2
	s_delay_alu instid0(VALU_DEP_1) | instskip(NEXT) | instid1(VALU_DEP_1)
	v_add_nc_u32_e32 v3, v2, v3
	v_lshrrev_b32_e32 v3, s50, v3
	s_delay_alu instid0(VALU_DEP_1) | instskip(SKIP_2) | instid1(VALU_DEP_2)
	v_mul_hi_u32 v4, s52, v3
	s_waitcnt vmcnt(0)
	v_mul_lo_u32 v6, v3, s48
	v_add_nc_u32_e32 v4, v3, v4
	s_delay_alu instid0(VALU_DEP_2) | instskip(NEXT) | instid1(VALU_DEP_2)
	v_sub_nc_u32_e32 v2, v2, v6
	v_lshrrev_b32_e32 v4, s53, v4
	s_delay_alu instid0(VALU_DEP_2) | instskip(SKIP_1) | instid1(VALU_DEP_3)
	v_mul_lo_u32 v6, v2, s56
	v_mul_lo_u32 v10, v2, s57
	v_mul_hi_u32 v5, s55, v4
	s_delay_alu instid0(VALU_DEP_1) | instskip(NEXT) | instid1(VALU_DEP_1)
	v_add_nc_u32_e32 v5, v4, v5
	v_lshrrev_b32_e32 v5, s64, v5
	s_delay_alu instid0(VALU_DEP_1) | instskip(SKIP_1) | instid1(VALU_DEP_2)
	v_mul_hi_u32 v7, s66, v5
	v_mul_lo_u32 v11, v5, s54
	v_add_nc_u32_e32 v2, v5, v7
	v_mul_lo_u32 v7, v4, s51
	s_delay_alu instid0(VALU_DEP_3) | instskip(NEXT) | instid1(VALU_DEP_3)
	v_sub_nc_u32_e32 v4, v4, v11
	v_lshrrev_b32_e32 v2, s67, v2
	s_delay_alu instid0(VALU_DEP_2) | instskip(SKIP_2) | instid1(VALU_DEP_4)
	v_mul_lo_u32 v11, v4, s60
	v_mul_lo_u32 v4, v4, s61
	v_sub_nc_u32_e32 v3, v3, v7
	v_mul_lo_u32 v12, v2, s65
	s_delay_alu instid0(VALU_DEP_2) | instskip(SKIP_1) | instid1(VALU_DEP_3)
	v_mul_lo_u32 v7, v3, s58
	v_mul_lo_u32 v3, v3, s59
	v_sub_nc_u32_e32 v5, v5, v12
	s_delay_alu instid0(VALU_DEP_3) | instskip(NEXT) | instid1(VALU_DEP_2)
	v_add3_u32 v0, v6, v0, v7
	v_mul_lo_u32 v12, v5, s62
	v_mul_lo_u32 v5, v5, s63
	v_add3_u32 v1, v10, v1, v3
	s_delay_alu instid0(VALU_DEP_3) | instskip(NEXT) | instid1(VALU_DEP_2)
	v_add3_u32 v0, v11, v0, v12
	v_add3_u32 v1, v4, v1, v5
	s_cbranch_scc0 .LBB465_539
	s_branch .LBB465_542
.LBB465_540:
	s_mov_b32 s44, -1
                                        ; implicit-def: $vgpr0
                                        ; implicit-def: $vgpr1
	s_branch .LBB465_545
.LBB465_541:
	v_dual_mov_b32 v2, v9 :: v_dual_mov_b32 v1, 0
.LBB465_542:
	s_and_b32 s46, s46, 3
	s_delay_alu instid0(SALU_CYCLE_1)
	s_cmp_eq_u32 s46, 0
	s_cbranch_scc1 .LBB465_545
; %bb.543:
	s_lshl_b32 s2, s45, 3
	s_mul_i32 s24, s45, 12
	s_add_u32 s2, s2, s16
	s_addc_u32 s3, s17, 0
	s_add_u32 s2, s2, 0xc4
	s_addc_u32 s3, s3, 0
	;; [unrolled: 2-line block ×3, first 2 shown]
	.p2align	6
.LBB465_544:                            ; =>This Inner Loop Header: Depth=1
	s_clause 0x1
	s_load_b64 s[48:49], s[24:25], 0x4
	s_load_b32 s45, s[24:25], 0xc
	s_load_b64 s[50:51], s[2:3], 0x0
	s_add_u32 s24, s24, 12
	s_addc_u32 s25, s25, 0
	s_add_u32 s2, s2, 8
	s_addc_u32 s3, s3, 0
	s_add_i32 s46, s46, -1
	s_delay_alu instid0(SALU_CYCLE_1) | instskip(SKIP_2) | instid1(VALU_DEP_1)
	s_cmp_lg_u32 s46, 0
	s_waitcnt lgkmcnt(0)
	v_mul_hi_u32 v3, s49, v2
	v_add_nc_u32_e32 v3, v2, v3
	s_waitcnt vmcnt(0)
	s_delay_alu instid0(VALU_DEP_1) | instskip(NEXT) | instid1(VALU_DEP_1)
	v_lshrrev_b32_e32 v6, s45, v3
	v_mul_lo_u32 v3, v6, s48
	s_delay_alu instid0(VALU_DEP_1) | instskip(NEXT) | instid1(VALU_DEP_1)
	v_sub_nc_u32_e32 v2, v2, v3
	v_mad_u64_u32 v[3:4], null, v2, s50, v[0:1]
	v_mad_u64_u32 v[4:5], null, v2, s51, v[1:2]
	v_mov_b32_e32 v2, v6
	s_delay_alu instid0(VALU_DEP_2)
	v_dual_mov_b32 v0, v3 :: v_dual_mov_b32 v1, v4
	s_cbranch_scc1 .LBB465_544
.LBB465_545:
	s_and_not1_b32 vcc_lo, exec_lo, s44
	s_cbranch_vccnz .LBB465_548
; %bb.546:
	v_mul_hi_u32 v0, s13, v9
	s_and_not1_b32 vcc_lo, exec_lo, s33
	s_delay_alu instid0(VALU_DEP_1) | instskip(NEXT) | instid1(VALU_DEP_1)
	v_add_nc_u32_e32 v0, v9, v0
	v_lshrrev_b32_e32 v2, s14, v0
	s_delay_alu instid0(VALU_DEP_1) | instskip(NEXT) | instid1(VALU_DEP_1)
	v_mul_lo_u32 v0, v2, s12
	v_sub_nc_u32_e32 v1, v9, v0
	s_delay_alu instid0(VALU_DEP_1)
	v_mul_lo_u32 v0, v1, s8
	v_mul_lo_u32 v1, v1, s9
	s_cbranch_vccnz .LBB465_548
; %bb.547:
	v_mul_hi_u32 v3, s20, v2
	s_delay_alu instid0(VALU_DEP_1) | instskip(NEXT) | instid1(VALU_DEP_1)
	v_add_nc_u32_e32 v3, v2, v3
	v_lshrrev_b32_e32 v3, s21, v3
	s_delay_alu instid0(VALU_DEP_1) | instskip(NEXT) | instid1(VALU_DEP_1)
	v_mul_lo_u32 v3, v3, s15
	v_sub_nc_u32_e32 v5, v2, v3
	s_delay_alu instid0(VALU_DEP_1) | instskip(NEXT) | instid1(VALU_DEP_1)
	v_mad_u64_u32 v[2:3], null, v5, s10, v[0:1]
	v_mad_u64_u32 v[3:4], null, v5, s11, v[1:2]
	s_delay_alu instid0(VALU_DEP_1)
	v_dual_mov_b32 v0, v2 :: v_dual_mov_b32 v1, v3
.LBB465_548:
	v_cmp_gt_i16_e32 vcc_lo, 11, v8
	s_delay_alu instid0(VALU_DEP_2) | instskip(NEXT) | instid1(VALU_DEP_1)
	v_add_co_u32 v1, s2, s6, v1
	v_add_co_ci_u32_e64 v2, null, s7, 0, s2
	s_mov_b32 s2, 0
	s_cbranch_vccnz .LBB465_555
; %bb.549:
	v_cmp_lt_i16_e32 vcc_lo, 25, v8
	s_cbranch_vccz .LBB465_556
; %bb.550:
	v_cmp_lt_i16_e32 vcc_lo, 28, v8
	s_cbranch_vccz .LBB465_557
	;; [unrolled: 3-line block ×4, first 2 shown]
; %bb.553:
	v_cmp_eq_u16_e32 vcc_lo, 46, v8
	s_mov_b32 s3, 0
	s_cbranch_vccz .LBB465_564
; %bb.554:
	global_load_b32 v3, v[1:2], off
	s_mov_b32 s2, -1
	s_mov_b32 s24, 0
	s_waitcnt vmcnt(0)
	v_lshlrev_b32_e32 v3, 16, v3
	s_delay_alu instid0(VALU_DEP_1)
	v_cvt_f64_f32_e32 v[6:7], v3
	s_branch .LBB465_566
.LBB465_555:
	s_mov_b32 s3, -1
	s_mov_b32 s24, s40
                                        ; implicit-def: $vgpr6_vgpr7
	s_branch .LBB465_631
.LBB465_556:
	s_mov_b32 s3, -1
	s_mov_b32 s24, s40
                                        ; implicit-def: $vgpr6_vgpr7
	s_branch .LBB465_597
.LBB465_557:
	s_mov_b32 s3, -1
	s_mov_b32 s24, s40
                                        ; implicit-def: $vgpr6_vgpr7
	s_branch .LBB465_576
.LBB465_558:
	s_mov_b32 s3, -1
	s_mov_b32 s24, s40
                                        ; implicit-def: $vgpr6_vgpr7
	s_branch .LBB465_571
.LBB465_559:
	s_or_saveexec_b32 s40, s40
                                        ; implicit-def: $sgpr41
	s_delay_alu instid0(SALU_CYCLE_1)
	s_xor_b32 exec_lo, exec_lo, s40
	s_cbranch_execz .LBB465_370
.LBB465_560:
	v_add_f32_e64 v3, 0x46000000, |v2|
	s_and_not1_b32 s25, s25, exec_lo
	s_mov_b32 s41, 0
	s_delay_alu instid0(VALU_DEP_1) | instskip(NEXT) | instid1(VALU_DEP_1)
	v_and_b32_e32 v3, 0xff, v3
	v_cmp_ne_u32_e32 vcc_lo, 0, v3
	s_and_b32 s43, vcc_lo, exec_lo
	s_delay_alu instid0(SALU_CYCLE_1)
	s_or_b32 s25, s25, s43
	s_or_b32 exec_lo, exec_lo, s40
	v_mov_b32_e32 v6, s41
	s_and_saveexec_b32 s40, s25
	s_cbranch_execnz .LBB465_371
	s_branch .LBB465_372
.LBB465_561:
	s_mov_b32 s3, -1
	s_mov_b32 s24, s40
	s_branch .LBB465_565
.LBB465_562:
	s_or_saveexec_b32 s40, s40
                                        ; implicit-def: $sgpr41
	s_delay_alu instid0(SALU_CYCLE_1)
	s_xor_b32 exec_lo, exec_lo, s40
	s_cbranch_execz .LBB465_383
.LBB465_563:
	v_add_f32_e64 v3, 0x42800000, |v2|
	s_and_not1_b32 s25, s25, exec_lo
	s_mov_b32 s41, 0
	s_delay_alu instid0(VALU_DEP_1) | instskip(NEXT) | instid1(VALU_DEP_1)
	v_and_b32_e32 v3, 0xff, v3
	v_cmp_ne_u32_e32 vcc_lo, 0, v3
	s_and_b32 s43, vcc_lo, exec_lo
	s_delay_alu instid0(SALU_CYCLE_1)
	s_or_b32 s25, s25, s43
	s_or_b32 exec_lo, exec_lo, s40
	v_mov_b32_e32 v6, s41
	s_and_saveexec_b32 s40, s25
	s_cbranch_execnz .LBB465_384
	s_branch .LBB465_385
.LBB465_564:
	s_mov_b32 s24, -1
.LBB465_565:
                                        ; implicit-def: $vgpr6_vgpr7
.LBB465_566:
	s_and_b32 vcc_lo, exec_lo, s3
	s_cbranch_vccz .LBB465_570
; %bb.567:
	v_cmp_eq_u16_e32 vcc_lo, 44, v8
	s_cbranch_vccz .LBB465_569
; %bb.568:
	global_load_u8 v5, v[1:2], off
	s_mov_b32 s24, 0
	s_mov_b32 s2, -1
	s_waitcnt vmcnt(0)
	v_cmp_ne_u32_e32 vcc_lo, 0xff, v5
	v_lshlrev_b32_e32 v3, 23, v5
	s_delay_alu instid0(VALU_DEP_1) | instskip(NEXT) | instid1(VALU_DEP_1)
	v_cvt_f64_f32_e32 v[3:4], v3
	v_cndmask_b32_e32 v4, 0x7ff80000, v4, vcc_lo
	s_delay_alu instid0(VALU_DEP_2) | instskip(SKIP_1) | instid1(VALU_DEP_3)
	v_cndmask_b32_e32 v3, 0x20000000, v3, vcc_lo
	v_cmp_ne_u32_e32 vcc_lo, 0, v5
	v_cndmask_b32_e32 v7, 0x38000000, v4, vcc_lo
	s_delay_alu instid0(VALU_DEP_3)
	v_cndmask_b32_e32 v6, 0, v3, vcc_lo
	s_branch .LBB465_570
.LBB465_569:
	s_mov_b32 s24, -1
                                        ; implicit-def: $vgpr6_vgpr7
.LBB465_570:
	s_mov_b32 s3, 0
.LBB465_571:
	s_delay_alu instid0(SALU_CYCLE_1)
	s_and_b32 vcc_lo, exec_lo, s3
	s_cbranch_vccz .LBB465_575
; %bb.572:
	v_cmp_eq_u16_e32 vcc_lo, 29, v8
	s_cbranch_vccz .LBB465_574
; %bb.573:
	global_load_b64 v[3:4], v[1:2], off
	s_mov_b32 s2, -1
	s_mov_b32 s24, 0
	s_mov_b32 s3, 0
	s_waitcnt vmcnt(0)
	v_cvt_f64_u32_e32 v[4:5], v4
	v_cvt_f64_u32_e32 v[6:7], v3
	s_delay_alu instid0(VALU_DEP_2) | instskip(NEXT) | instid1(VALU_DEP_1)
	v_ldexp_f64 v[4:5], v[4:5], 32
	v_add_f64 v[6:7], v[4:5], v[6:7]
	s_branch .LBB465_576
.LBB465_574:
	s_mov_b32 s24, -1
                                        ; implicit-def: $vgpr6_vgpr7
.LBB465_575:
	s_mov_b32 s3, 0
.LBB465_576:
	s_delay_alu instid0(SALU_CYCLE_1)
	s_and_b32 vcc_lo, exec_lo, s3
	s_cbranch_vccz .LBB465_596
; %bb.577:
	v_cmp_gt_i16_e32 vcc_lo, 27, v8
	s_cbranch_vccnz .LBB465_580
; %bb.578:
	v_cmp_lt_i16_e32 vcc_lo, 27, v8
	s_cbranch_vccz .LBB465_581
; %bb.579:
	global_load_b32 v3, v[1:2], off
	s_mov_b32 s2, 0
	s_waitcnt vmcnt(0)
	v_cvt_f64_u32_e32 v[6:7], v3
	s_branch .LBB465_582
.LBB465_580:
	s_mov_b32 s2, -1
                                        ; implicit-def: $vgpr6_vgpr7
	s_branch .LBB465_585
.LBB465_581:
	s_mov_b32 s2, -1
                                        ; implicit-def: $vgpr6_vgpr7
.LBB465_582:
	s_delay_alu instid0(SALU_CYCLE_1)
	s_and_not1_b32 vcc_lo, exec_lo, s2
	s_cbranch_vccnz .LBB465_584
; %bb.583:
	global_load_u16 v3, v[1:2], off
	s_waitcnt vmcnt(0)
	v_cvt_f64_u32_e32 v[6:7], v3
.LBB465_584:
	s_mov_b32 s2, 0
.LBB465_585:
	s_delay_alu instid0(SALU_CYCLE_1)
	s_and_not1_b32 vcc_lo, exec_lo, s2
	s_cbranch_vccnz .LBB465_595
; %bb.586:
	global_load_u8 v3, v[1:2], off
	s_mov_b32 s25, 0
	s_mov_b32 s44, exec_lo
                                        ; implicit-def: $sgpr2_sgpr3
	s_waitcnt vmcnt(0)
	v_cmpx_lt_i16_e32 0x7f, v3
	s_xor_b32 s44, exec_lo, s44
	s_cbranch_execz .LBB465_590
; %bb.587:
	s_mov_b32 s45, -1
	s_mov_b32 s25, exec_lo
                                        ; implicit-def: $sgpr2_sgpr3
	v_cmpx_eq_u16_e32 0x80, v3
; %bb.588:
	s_mov_b32 s3, 0x7ff80000
	s_brev_b32 s2, 4
	s_xor_b32 s45, exec_lo, -1
; %bb.589:
	s_or_b32 exec_lo, exec_lo, s25
	s_delay_alu instid0(SALU_CYCLE_1)
	s_and_b32 s25, s45, exec_lo
.LBB465_590:
	s_or_saveexec_b32 s44, s44
	v_dual_mov_b32 v7, s3 :: v_dual_mov_b32 v6, s2
	s_xor_b32 exec_lo, exec_lo, s44
; %bb.591:
	v_cmp_ne_u16_e32 vcc_lo, 0, v3
	v_mov_b32_e32 v6, 0
	v_mov_b32_e32 v7, 0
	s_and_not1_b32 s2, s25, exec_lo
	s_and_b32 s3, vcc_lo, exec_lo
	s_delay_alu instid0(SALU_CYCLE_1)
	s_or_b32 s25, s2, s3
; %bb.592:
	s_or_b32 exec_lo, exec_lo, s44
	s_and_saveexec_b32 s2, s25
	s_cbranch_execz .LBB465_594
; %bb.593:
	v_and_b32_e32 v4, 0xffff, v3
	v_lshlrev_b32_e32 v3, 24, v3
	s_delay_alu instid0(VALU_DEP_2) | instskip(NEXT) | instid1(VALU_DEP_2)
	v_and_b32_e32 v5, 7, v4
	v_and_b32_e32 v3, 0x80000000, v3
	s_delay_alu instid0(VALU_DEP_2) | instskip(NEXT) | instid1(VALU_DEP_1)
	v_clz_i32_u32_e32 v6, v5
	v_min_u32_e32 v6, 32, v6
	s_delay_alu instid0(VALU_DEP_1) | instskip(SKIP_1) | instid1(VALU_DEP_2)
	v_subrev_nc_u32_e32 v7, 28, v6
	v_sub_nc_u32_e32 v6, 29, v6
	v_lshlrev_b32_e32 v7, v7, v4
	v_bfe_u32 v4, v4, 3, 4
	s_delay_alu instid0(VALU_DEP_2) | instskip(NEXT) | instid1(VALU_DEP_2)
	v_and_b32_e32 v7, 7, v7
	v_cmp_eq_u32_e32 vcc_lo, 0, v4
	s_delay_alu instid0(VALU_DEP_2) | instskip(NEXT) | instid1(VALU_DEP_1)
	v_dual_cndmask_b32 v4, v4, v6 :: v_dual_cndmask_b32 v5, v5, v7
	v_lshl_add_u32 v4, v4, 23, 0x3b800000
	s_delay_alu instid0(VALU_DEP_2) | instskip(NEXT) | instid1(VALU_DEP_1)
	v_lshlrev_b32_e32 v5, 20, v5
	v_or3_b32 v3, v3, v4, v5
	s_delay_alu instid0(VALU_DEP_1)
	v_cvt_f64_f32_e32 v[6:7], v3
.LBB465_594:
	s_or_b32 exec_lo, exec_lo, s2
.LBB465_595:
	s_mov_b32 s2, -1
.LBB465_596:
	s_mov_b32 s3, 0
.LBB465_597:
	s_delay_alu instid0(SALU_CYCLE_1)
	s_and_b32 vcc_lo, exec_lo, s3
	s_cbranch_vccz .LBB465_630
; %bb.598:
	v_cmp_lt_i16_e32 vcc_lo, 22, v8
	s_cbranch_vccz .LBB465_610
; %bb.599:
	v_cmp_gt_i16_e32 vcc_lo, 24, v8
	s_cbranch_vccnz .LBB465_611
; %bb.600:
	v_cmp_lt_i16_e32 vcc_lo, 24, v8
	s_cbranch_vccz .LBB465_612
; %bb.601:
	global_load_u8 v3, v[1:2], off
	s_mov_b32 s25, 0
	s_mov_b32 s44, exec_lo
                                        ; implicit-def: $sgpr2_sgpr3
	s_waitcnt vmcnt(0)
	v_cmpx_lt_i16_e32 0x7f, v3
	s_xor_b32 s44, exec_lo, s44
	s_cbranch_execz .LBB465_605
; %bb.602:
	s_mov_b32 s45, -1
	s_mov_b32 s25, exec_lo
                                        ; implicit-def: $sgpr2_sgpr3
	v_cmpx_eq_u16_e32 0x80, v3
; %bb.603:
	s_mov_b32 s3, 0x7ff80000
	s_brev_b32 s2, 4
	s_xor_b32 s45, exec_lo, -1
; %bb.604:
	s_or_b32 exec_lo, exec_lo, s25
	s_delay_alu instid0(SALU_CYCLE_1)
	s_and_b32 s25, s45, exec_lo
.LBB465_605:
	s_or_saveexec_b32 s44, s44
	v_dual_mov_b32 v7, s3 :: v_dual_mov_b32 v6, s2
	s_xor_b32 exec_lo, exec_lo, s44
; %bb.606:
	v_cmp_ne_u16_e32 vcc_lo, 0, v3
	v_mov_b32_e32 v6, 0
	v_mov_b32_e32 v7, 0
	s_and_not1_b32 s2, s25, exec_lo
	s_and_b32 s3, vcc_lo, exec_lo
	s_delay_alu instid0(SALU_CYCLE_1)
	s_or_b32 s25, s2, s3
; %bb.607:
	s_or_b32 exec_lo, exec_lo, s44
	s_and_saveexec_b32 s2, s25
	s_cbranch_execz .LBB465_609
; %bb.608:
	v_and_b32_e32 v4, 0xffff, v3
	v_lshlrev_b32_e32 v3, 24, v3
	s_delay_alu instid0(VALU_DEP_2) | instskip(NEXT) | instid1(VALU_DEP_2)
	v_and_b32_e32 v5, 3, v4
	v_and_b32_e32 v3, 0x80000000, v3
	s_delay_alu instid0(VALU_DEP_2) | instskip(NEXT) | instid1(VALU_DEP_1)
	v_clz_i32_u32_e32 v6, v5
	v_min_u32_e32 v6, 32, v6
	s_delay_alu instid0(VALU_DEP_1) | instskip(SKIP_1) | instid1(VALU_DEP_2)
	v_subrev_nc_u32_e32 v7, 29, v6
	v_sub_nc_u32_e32 v6, 30, v6
	v_lshlrev_b32_e32 v7, v7, v4
	v_bfe_u32 v4, v4, 2, 5
	s_delay_alu instid0(VALU_DEP_2) | instskip(NEXT) | instid1(VALU_DEP_2)
	v_and_b32_e32 v7, 3, v7
	v_cmp_eq_u32_e32 vcc_lo, 0, v4
	s_delay_alu instid0(VALU_DEP_2) | instskip(NEXT) | instid1(VALU_DEP_1)
	v_dual_cndmask_b32 v4, v4, v6 :: v_dual_cndmask_b32 v5, v5, v7
	v_lshl_add_u32 v4, v4, 23, 0x37800000
	s_delay_alu instid0(VALU_DEP_2) | instskip(NEXT) | instid1(VALU_DEP_1)
	v_lshlrev_b32_e32 v5, 21, v5
	v_or3_b32 v3, v3, v4, v5
	s_delay_alu instid0(VALU_DEP_1)
	v_cvt_f64_f32_e32 v[6:7], v3
.LBB465_609:
	s_or_b32 exec_lo, exec_lo, s2
	s_mov_b32 s2, 0
	s_branch .LBB465_613
.LBB465_610:
	s_mov_b32 s3, -1
                                        ; implicit-def: $vgpr6_vgpr7
	s_branch .LBB465_619
.LBB465_611:
	s_mov_b32 s2, -1
                                        ; implicit-def: $vgpr6_vgpr7
	s_branch .LBB465_616
.LBB465_612:
	s_mov_b32 s2, -1
                                        ; implicit-def: $vgpr6_vgpr7
.LBB465_613:
	s_delay_alu instid0(SALU_CYCLE_1)
	s_and_b32 vcc_lo, exec_lo, s2
	s_cbranch_vccz .LBB465_615
; %bb.614:
	global_load_u8 v3, v[1:2], off
	s_waitcnt vmcnt(0)
	v_lshlrev_b32_e32 v3, 24, v3
	s_delay_alu instid0(VALU_DEP_1) | instskip(NEXT) | instid1(VALU_DEP_1)
	v_and_b32_e32 v4, 0x7f000000, v3
	v_clz_i32_u32_e32 v5, v4
	v_add_nc_u32_e32 v7, 0x1000000, v4
	v_cmp_ne_u32_e32 vcc_lo, 0, v4
	s_delay_alu instid0(VALU_DEP_3) | instskip(NEXT) | instid1(VALU_DEP_1)
	v_min_u32_e32 v5, 32, v5
	v_sub_nc_u32_e64 v5, v5, 4 clamp
	s_delay_alu instid0(VALU_DEP_1) | instskip(SKIP_1) | instid1(VALU_DEP_2)
	v_lshlrev_b32_e32 v6, v5, v4
	v_lshlrev_b32_e32 v5, 23, v5
	v_lshrrev_b32_e32 v6, 4, v6
	s_delay_alu instid0(VALU_DEP_1) | instskip(SKIP_1) | instid1(VALU_DEP_2)
	v_sub_nc_u32_e32 v5, v6, v5
	v_ashrrev_i32_e32 v6, 8, v7
	v_add_nc_u32_e32 v5, 0x3c000000, v5
	s_delay_alu instid0(VALU_DEP_1) | instskip(NEXT) | instid1(VALU_DEP_1)
	v_and_or_b32 v5, 0x7f800000, v6, v5
	v_cndmask_b32_e32 v4, 0, v5, vcc_lo
	s_delay_alu instid0(VALU_DEP_1) | instskip(NEXT) | instid1(VALU_DEP_1)
	v_and_or_b32 v3, 0x80000000, v3, v4
	v_cvt_f64_f32_e32 v[6:7], v3
.LBB465_615:
	s_mov_b32 s2, 0
.LBB465_616:
	s_delay_alu instid0(SALU_CYCLE_1)
	s_and_not1_b32 vcc_lo, exec_lo, s2
	s_cbranch_vccnz .LBB465_618
; %bb.617:
	global_load_u8 v3, v[1:2], off
	s_waitcnt vmcnt(0)
	v_lshlrev_b32_e32 v4, 25, v3
	v_lshlrev_b16 v3, 8, v3
	s_delay_alu instid0(VALU_DEP_2) | instskip(NEXT) | instid1(VALU_DEP_2)
	v_lshrrev_b32_e32 v5, 4, v4
	v_and_or_b32 v6, 0x7f00, v3, 0.5
	v_bfe_i32 v3, v3, 0, 16
	s_delay_alu instid0(VALU_DEP_3) | instskip(NEXT) | instid1(VALU_DEP_1)
	v_or_b32_e32 v5, 0x70000000, v5
	v_dual_add_f32 v6, -0.5, v6 :: v_dual_mul_f32 v5, 0x7800000, v5
	v_cmp_gt_u32_e32 vcc_lo, 0x8000000, v4
	s_delay_alu instid0(VALU_DEP_2) | instskip(NEXT) | instid1(VALU_DEP_1)
	v_cndmask_b32_e32 v4, v5, v6, vcc_lo
	v_and_or_b32 v3, 0x80000000, v3, v4
	s_delay_alu instid0(VALU_DEP_1)
	v_cvt_f64_f32_e32 v[6:7], v3
.LBB465_618:
	s_mov_b32 s3, 0
	s_mov_b32 s2, -1
.LBB465_619:
	s_and_not1_b32 vcc_lo, exec_lo, s3
	s_cbranch_vccnz .LBB465_630
; %bb.620:
	v_cmp_lt_i16_e32 vcc_lo, 14, v8
	s_cbranch_vccz .LBB465_623
; %bb.621:
	v_cmp_eq_u16_e32 vcc_lo, 15, v8
	s_cbranch_vccz .LBB465_624
; %bb.622:
	global_load_u16 v3, v[1:2], off
	s_mov_b32 s2, -1
	s_mov_b32 s24, 0
	s_waitcnt vmcnt(0)
	v_lshlrev_b32_e32 v3, 16, v3
	s_delay_alu instid0(VALU_DEP_1)
	v_cvt_f64_f32_e32 v[6:7], v3
	s_branch .LBB465_625
.LBB465_623:
	s_mov_b32 s3, -1
                                        ; implicit-def: $vgpr6_vgpr7
	s_branch .LBB465_626
.LBB465_624:
	s_mov_b32 s24, -1
                                        ; implicit-def: $vgpr6_vgpr7
.LBB465_625:
	s_mov_b32 s3, 0
.LBB465_626:
	s_delay_alu instid0(SALU_CYCLE_1)
	s_and_b32 vcc_lo, exec_lo, s3
	s_cbranch_vccz .LBB465_630
; %bb.627:
	v_cmp_eq_u16_e32 vcc_lo, 11, v8
	s_cbranch_vccz .LBB465_629
; %bb.628:
	global_load_u8 v3, v[1:2], off
	s_waitcnt vmcnt(1)
	v_mov_b32_e32 v6, 0
	s_mov_b32 s24, 0
	s_mov_b32 s2, -1
	s_waitcnt vmcnt(0)
	v_cmp_ne_u16_e32 vcc_lo, 0, v3
	v_cndmask_b32_e64 v7, 0, 0x3ff00000, vcc_lo
	s_branch .LBB465_630
.LBB465_629:
	s_mov_b32 s24, -1
                                        ; implicit-def: $vgpr6_vgpr7
.LBB465_630:
	s_mov_b32 s3, 0
.LBB465_631:
	s_delay_alu instid0(SALU_CYCLE_1)
	s_and_b32 vcc_lo, exec_lo, s3
	s_cbranch_vccz .LBB465_680
; %bb.632:
	v_cmp_gt_i16_e32 vcc_lo, 5, v8
	s_cbranch_vccnz .LBB465_637
; %bb.633:
	v_cmp_gt_i16_e32 vcc_lo, 8, v8
	s_cbranch_vccnz .LBB465_638
	;; [unrolled: 3-line block ×3, first 2 shown]
; %bb.635:
	v_cmp_lt_i16_e32 vcc_lo, 9, v8
	s_cbranch_vccz .LBB465_640
; %bb.636:
	global_load_b64 v[6:7], v[1:2], off
	s_mov_b32 s2, 0
	s_branch .LBB465_641
.LBB465_637:
	s_mov_b32 s2, -1
                                        ; implicit-def: $vgpr6_vgpr7
	s_branch .LBB465_659
.LBB465_638:
	s_mov_b32 s2, -1
                                        ; implicit-def: $vgpr6_vgpr7
	s_branch .LBB465_647
.LBB465_639:
	s_mov_b32 s2, -1
                                        ; implicit-def: $vgpr6_vgpr7
	s_branch .LBB465_644
.LBB465_640:
	s_mov_b32 s2, -1
                                        ; implicit-def: $vgpr6_vgpr7
.LBB465_641:
	s_delay_alu instid0(SALU_CYCLE_1)
	s_and_not1_b32 vcc_lo, exec_lo, s2
	s_cbranch_vccnz .LBB465_643
; %bb.642:
	global_load_b32 v3, v[1:2], off
	s_waitcnt vmcnt(0)
	v_cvt_f64_f32_e32 v[6:7], v3
.LBB465_643:
	s_mov_b32 s2, 0
.LBB465_644:
	s_delay_alu instid0(SALU_CYCLE_1)
	s_and_not1_b32 vcc_lo, exec_lo, s2
	s_cbranch_vccnz .LBB465_646
; %bb.645:
	global_load_b32 v3, v[1:2], off
	s_waitcnt vmcnt(0)
	v_cvt_f32_f16_e32 v3, v3
	s_delay_alu instid0(VALU_DEP_1)
	v_cvt_f64_f32_e32 v[6:7], v3
.LBB465_646:
	s_mov_b32 s2, 0
.LBB465_647:
	s_delay_alu instid0(SALU_CYCLE_1)
	s_and_not1_b32 vcc_lo, exec_lo, s2
	s_cbranch_vccnz .LBB465_658
; %bb.648:
	v_cmp_gt_i16_e32 vcc_lo, 6, v8
	s_cbranch_vccnz .LBB465_651
; %bb.649:
	v_cmp_lt_i16_e32 vcc_lo, 6, v8
	s_cbranch_vccz .LBB465_652
; %bb.650:
	global_load_b64 v[6:7], v[1:2], off
	s_mov_b32 s2, 0
	s_branch .LBB465_653
.LBB465_651:
	s_mov_b32 s2, -1
                                        ; implicit-def: $vgpr6_vgpr7
	s_branch .LBB465_656
.LBB465_652:
	s_mov_b32 s2, -1
                                        ; implicit-def: $vgpr6_vgpr7
.LBB465_653:
	s_delay_alu instid0(SALU_CYCLE_1)
	s_and_not1_b32 vcc_lo, exec_lo, s2
	s_cbranch_vccnz .LBB465_655
; %bb.654:
	global_load_b32 v3, v[1:2], off
	s_waitcnt vmcnt(0)
	v_cvt_f64_f32_e32 v[6:7], v3
.LBB465_655:
	s_mov_b32 s2, 0
.LBB465_656:
	s_delay_alu instid0(SALU_CYCLE_1)
	s_and_not1_b32 vcc_lo, exec_lo, s2
	s_cbranch_vccnz .LBB465_658
; %bb.657:
	global_load_u16 v3, v[1:2], off
	s_waitcnt vmcnt(0)
	v_cvt_f32_f16_e32 v3, v3
	s_delay_alu instid0(VALU_DEP_1)
	v_cvt_f64_f32_e32 v[6:7], v3
.LBB465_658:
	s_mov_b32 s2, 0
.LBB465_659:
	s_delay_alu instid0(SALU_CYCLE_1)
	s_and_not1_b32 vcc_lo, exec_lo, s2
	s_cbranch_vccnz .LBB465_679
; %bb.660:
	v_cmp_gt_i16_e32 vcc_lo, 2, v8
	s_cbranch_vccnz .LBB465_664
; %bb.661:
	v_cmp_gt_i16_e32 vcc_lo, 3, v8
	s_cbranch_vccnz .LBB465_665
; %bb.662:
	v_cmp_lt_i16_e32 vcc_lo, 3, v8
	s_cbranch_vccz .LBB465_666
; %bb.663:
	global_load_b64 v[3:4], v[1:2], off
	s_mov_b32 s2, 0
	s_waitcnt vmcnt(0)
	v_cvt_f64_i32_e32 v[4:5], v4
	v_cvt_f64_u32_e32 v[6:7], v3
	s_delay_alu instid0(VALU_DEP_2) | instskip(NEXT) | instid1(VALU_DEP_1)
	v_ldexp_f64 v[4:5], v[4:5], 32
	v_add_f64 v[6:7], v[4:5], v[6:7]
	s_branch .LBB465_667
.LBB465_664:
	s_mov_b32 s2, -1
                                        ; implicit-def: $vgpr6_vgpr7
	s_branch .LBB465_673
.LBB465_665:
	s_mov_b32 s2, -1
                                        ; implicit-def: $vgpr6_vgpr7
	s_branch .LBB465_670
.LBB465_666:
	s_mov_b32 s2, -1
                                        ; implicit-def: $vgpr6_vgpr7
.LBB465_667:
	s_delay_alu instid0(SALU_CYCLE_1)
	s_and_not1_b32 vcc_lo, exec_lo, s2
	s_cbranch_vccnz .LBB465_669
; %bb.668:
	global_load_b32 v3, v[1:2], off
	s_waitcnt vmcnt(0)
	v_cvt_f64_i32_e32 v[6:7], v3
.LBB465_669:
	s_mov_b32 s2, 0
.LBB465_670:
	s_delay_alu instid0(SALU_CYCLE_1)
	s_and_not1_b32 vcc_lo, exec_lo, s2
	s_cbranch_vccnz .LBB465_672
; %bb.671:
	global_load_i16 v3, v[1:2], off
	s_waitcnt vmcnt(0)
	v_cvt_f64_i32_e32 v[6:7], v3
.LBB465_672:
	s_mov_b32 s2, 0
.LBB465_673:
	s_delay_alu instid0(SALU_CYCLE_1)
	s_and_not1_b32 vcc_lo, exec_lo, s2
	s_cbranch_vccnz .LBB465_679
; %bb.674:
	v_cmp_lt_i16_e32 vcc_lo, 0, v8
	s_mov_b32 s2, 0
	s_cbranch_vccz .LBB465_676
; %bb.675:
	global_load_i8 v3, v[1:2], off
	s_waitcnt vmcnt(0)
	v_cvt_f64_i32_e32 v[6:7], v3
	s_branch .LBB465_677
.LBB465_676:
	s_mov_b32 s2, -1
                                        ; implicit-def: $vgpr6_vgpr7
.LBB465_677:
	s_delay_alu instid0(SALU_CYCLE_1)
	s_and_not1_b32 vcc_lo, exec_lo, s2
	s_cbranch_vccnz .LBB465_679
; %bb.678:
	global_load_u8 v1, v[1:2], off
	s_waitcnt vmcnt(0)
	v_cvt_f64_u32_e32 v[6:7], v1
.LBB465_679:
	s_mov_b32 s2, -1
.LBB465_680:
	s_delay_alu instid0(SALU_CYCLE_1)
	s_and_not1_b32 vcc_lo, exec_lo, s2
	s_cbranch_vccnz .LBB465_688
; %bb.681:
	v_max_f64 v[1:2], s[18:19], s[18:19]
	s_waitcnt vmcnt(0)
	s_delay_alu instid0(VALU_DEP_2) | instskip(SKIP_3) | instid1(VALU_DEP_1)
	v_max_f64 v[3:4], v[6:7], v[6:7]
	v_cmp_u_f64_e32 vcc_lo, v[6:7], v[6:7]
	v_and_b32_e64 v10, 0xff, s31
	s_mov_b32 s3, 0
	v_cmp_gt_i16_e64 s2, 11, v10
	s_delay_alu instid0(VALU_DEP_4) | instskip(SKIP_1) | instid1(VALU_DEP_1)
	v_min_f64 v[2:3], v[3:4], v[1:2]
	v_add_co_u32 v4, s25, s4, v0
	v_add_co_ci_u32_e64 v5, null, s5, 0, s25
	s_mov_b32 s25, -1
	s_delay_alu instid0(VALU_DEP_3)
	v_dual_cndmask_b32 v1, v3, v7 :: v_dual_cndmask_b32 v0, v2, v6
	s_and_b32 vcc_lo, exec_lo, s2
	s_mov_b32 s2, s41
	s_cbranch_vccnz .LBB465_689
; %bb.682:
	v_cmp_lt_i16_e32 vcc_lo, 25, v10
	s_cbranch_vccz .LBB465_730
; %bb.683:
	v_cmp_lt_i16_e32 vcc_lo, 28, v10
	s_cbranch_vccz .LBB465_731
	;; [unrolled: 3-line block ×4, first 2 shown]
; %bb.686:
	v_cmp_eq_u16_e32 vcc_lo, 46, v10
	s_mov_b32 s25, 0
	s_mov_b32 s2, -1
	s_cbranch_vccz .LBB465_734
; %bb.687:
	v_cvt_f32_f64_e32 v2, v[0:1]
	s_mov_b32 s3, -1
	s_mov_b32 s2, 0
	s_delay_alu instid0(VALU_DEP_1) | instskip(SKIP_1) | instid1(VALU_DEP_2)
	v_bfe_u32 v3, v2, 16, 1
	v_cmp_o_f32_e32 vcc_lo, v2, v2
	v_add3_u32 v3, v2, v3, 0x7fff
	s_delay_alu instid0(VALU_DEP_1) | instskip(NEXT) | instid1(VALU_DEP_1)
	v_lshrrev_b32_e32 v3, 16, v3
	v_cndmask_b32_e32 v2, 0x7fc0, v3, vcc_lo
	global_store_b32 v[4:5], v2, off
	s_branch .LBB465_734
.LBB465_688:
	s_mov_b32 s3, 0
	s_mov_b32 s2, s41
	s_branch .LBB465_729
.LBB465_689:
	s_and_b32 vcc_lo, exec_lo, s25
	s_cbranch_vccz .LBB465_803
; %bb.690:
	v_cmp_gt_i16_e32 vcc_lo, 5, v10
	s_mov_b32 s3, -1
	s_cbranch_vccnz .LBB465_711
; %bb.691:
	v_cmp_gt_i16_e32 vcc_lo, 8, v10
	s_cbranch_vccnz .LBB465_701
; %bb.692:
	v_cmp_gt_i16_e32 vcc_lo, 9, v10
	s_cbranch_vccnz .LBB465_698
; %bb.693:
	v_cmp_lt_i16_e32 vcc_lo, 9, v10
	s_cbranch_vccz .LBB465_695
; %bb.694:
	v_mov_b32_e32 v2, 0
	s_mov_b32 s3, 0
	s_delay_alu instid0(VALU_DEP_1)
	v_mov_b32_e32 v3, v2
	global_store_b128 v[4:5], v[0:3], off
.LBB465_695:
	s_and_not1_b32 vcc_lo, exec_lo, s3
	s_cbranch_vccnz .LBB465_697
; %bb.696:
	v_cvt_f32_f64_e32 v2, v[0:1]
	v_mov_b32_e32 v3, 0
	global_store_b64 v[4:5], v[2:3], off
.LBB465_697:
	s_mov_b32 s3, 0
.LBB465_698:
	s_delay_alu instid0(SALU_CYCLE_1)
	s_and_not1_b32 vcc_lo, exec_lo, s3
	s_cbranch_vccnz .LBB465_700
; %bb.699:
	v_cvt_f32_f64_e32 v2, v[0:1]
	s_delay_alu instid0(VALU_DEP_1) | instskip(NEXT) | instid1(VALU_DEP_1)
	v_cvt_f16_f32_e32 v2, v2
	v_and_b32_e32 v2, 0xffff, v2
	global_store_b32 v[4:5], v2, off
.LBB465_700:
	s_mov_b32 s3, 0
.LBB465_701:
	s_delay_alu instid0(SALU_CYCLE_1)
	s_and_not1_b32 vcc_lo, exec_lo, s3
	s_cbranch_vccnz .LBB465_710
; %bb.702:
	v_cmp_gt_i16_e32 vcc_lo, 6, v10
	s_mov_b32 s3, -1
	s_cbranch_vccnz .LBB465_708
; %bb.703:
	v_cmp_lt_i16_e32 vcc_lo, 6, v10
	s_cbranch_vccz .LBB465_705
; %bb.704:
	s_mov_b32 s3, 0
	global_store_b64 v[4:5], v[0:1], off
.LBB465_705:
	s_and_not1_b32 vcc_lo, exec_lo, s3
	s_cbranch_vccnz .LBB465_707
; %bb.706:
	v_cvt_f32_f64_e32 v2, v[0:1]
	global_store_b32 v[4:5], v2, off
.LBB465_707:
	s_mov_b32 s3, 0
.LBB465_708:
	s_delay_alu instid0(SALU_CYCLE_1)
	s_and_not1_b32 vcc_lo, exec_lo, s3
	s_cbranch_vccnz .LBB465_710
; %bb.709:
	v_cvt_f32_f64_e32 v2, v[0:1]
	s_delay_alu instid0(VALU_DEP_1)
	v_cvt_f16_f32_e32 v2, v2
	global_store_b16 v[4:5], v2, off
.LBB465_710:
	s_mov_b32 s3, 0
.LBB465_711:
	s_delay_alu instid0(SALU_CYCLE_1)
	s_and_not1_b32 vcc_lo, exec_lo, s3
	s_cbranch_vccnz .LBB465_727
; %bb.712:
	v_cmp_gt_i16_e32 vcc_lo, 2, v10
	s_mov_b32 s3, -1
	s_cbranch_vccnz .LBB465_722
; %bb.713:
	v_cmp_gt_i16_e32 vcc_lo, 3, v10
	s_cbranch_vccnz .LBB465_719
; %bb.714:
	v_cmp_lt_i16_e32 vcc_lo, 3, v10
	s_cbranch_vccz .LBB465_716
; %bb.715:
	v_trunc_f64_e32 v[2:3], v[0:1]
	s_mov_b32 s3, 0
	s_delay_alu instid0(VALU_DEP_1) | instskip(NEXT) | instid1(VALU_DEP_1)
	v_ldexp_f64 v[6:7], v[2:3], 0xffffffe0
	v_floor_f64_e32 v[6:7], v[6:7]
	s_delay_alu instid0(VALU_DEP_1) | instskip(SKIP_1) | instid1(VALU_DEP_2)
	v_fma_f64 v[2:3], 0xc1f00000, v[6:7], v[2:3]
	v_cvt_i32_f64_e32 v7, v[6:7]
	v_cvt_u32_f64_e32 v6, v[2:3]
	global_store_b64 v[4:5], v[6:7], off
.LBB465_716:
	s_and_not1_b32 vcc_lo, exec_lo, s3
	s_cbranch_vccnz .LBB465_718
; %bb.717:
	v_cvt_i32_f64_e32 v2, v[0:1]
	global_store_b32 v[4:5], v2, off
.LBB465_718:
	s_mov_b32 s3, 0
.LBB465_719:
	s_delay_alu instid0(SALU_CYCLE_1)
	s_and_not1_b32 vcc_lo, exec_lo, s3
	s_cbranch_vccnz .LBB465_721
; %bb.720:
	v_cvt_i32_f64_e32 v2, v[0:1]
	global_store_b16 v[4:5], v2, off
.LBB465_721:
	s_mov_b32 s3, 0
.LBB465_722:
	s_delay_alu instid0(SALU_CYCLE_1)
	s_and_not1_b32 vcc_lo, exec_lo, s3
	s_cbranch_vccnz .LBB465_727
; %bb.723:
	v_cmp_lt_i16_e32 vcc_lo, 0, v10
	s_mov_b32 s3, -1
	s_cbranch_vccz .LBB465_725
; %bb.724:
	v_cvt_i32_f64_e32 v2, v[0:1]
	s_mov_b32 s3, 0
	global_store_b8 v[4:5], v2, off
.LBB465_725:
	s_and_not1_b32 vcc_lo, exec_lo, s3
	s_cbranch_vccnz .LBB465_727
; %bb.726:
	v_trunc_f64_e32 v[0:1], v[0:1]
	s_delay_alu instid0(VALU_DEP_1) | instskip(NEXT) | instid1(VALU_DEP_1)
	v_ldexp_f64 v[2:3], v[0:1], 0xffffffe0
	v_floor_f64_e32 v[2:3], v[2:3]
	s_delay_alu instid0(VALU_DEP_1) | instskip(NEXT) | instid1(VALU_DEP_1)
	v_fma_f64 v[0:1], 0xc1f00000, v[2:3], v[0:1]
	v_cvt_u32_f64_e32 v0, v[0:1]
	global_store_b8 v[4:5], v0, off
.LBB465_727:
	s_branch .LBB465_804
.LBB465_728:
	s_mov_b32 s3, 0
.LBB465_729:
                                        ; implicit-def: $vgpr9
	s_branch .LBB465_805
.LBB465_730:
	s_mov_b32 s2, s41
	s_branch .LBB465_761
.LBB465_731:
	s_mov_b32 s2, s41
	s_branch .LBB465_744
.LBB465_732:
	s_mov_b32 s2, s41
	s_branch .LBB465_740
.LBB465_733:
	s_mov_b32 s2, s41
.LBB465_734:
	s_and_b32 vcc_lo, exec_lo, s25
	s_cbranch_vccz .LBB465_739
; %bb.735:
	v_cmp_eq_u16_e32 vcc_lo, 44, v10
	s_mov_b32 s2, -1
	s_cbranch_vccz .LBB465_739
; %bb.736:
	v_cvt_f32_f64_e32 v2, v[0:1]
	v_mov_b32_e32 v3, 0xff
	s_mov_b32 s3, exec_lo
	s_delay_alu instid0(VALU_DEP_2) | instskip(NEXT) | instid1(VALU_DEP_1)
	v_bfe_u32 v6, v2, 23, 8
	v_cmpx_ne_u32_e32 0xff, v6
; %bb.737:
	v_and_b32_e32 v3, 0x400000, v2
	v_and_or_b32 v6, 0x3fffff, v2, v6
	v_lshrrev_b32_e32 v2, 23, v2
	s_delay_alu instid0(VALU_DEP_3) | instskip(NEXT) | instid1(VALU_DEP_3)
	v_cmp_ne_u32_e32 vcc_lo, 0, v3
	v_cmp_ne_u32_e64 s2, 0, v6
	s_delay_alu instid0(VALU_DEP_1) | instskip(NEXT) | instid1(SALU_CYCLE_1)
	s_and_b32 s2, vcc_lo, s2
	v_cndmask_b32_e64 v3, 0, 1, s2
	s_delay_alu instid0(VALU_DEP_1)
	v_add_nc_u32_e32 v3, v2, v3
; %bb.738:
	s_or_b32 exec_lo, exec_lo, s3
	s_mov_b32 s3, -1
	s_mov_b32 s2, 0
	global_store_b8 v[4:5], v3, off
.LBB465_739:
	s_mov_b32 s25, 0
.LBB465_740:
	s_delay_alu instid0(SALU_CYCLE_1)
	s_and_b32 vcc_lo, exec_lo, s25
	s_cbranch_vccz .LBB465_743
; %bb.741:
	v_cmp_eq_u16_e32 vcc_lo, 29, v10
	s_mov_b32 s2, -1
	s_cbranch_vccz .LBB465_743
; %bb.742:
	v_trunc_f64_e32 v[2:3], v[0:1]
	s_mov_b32 s3, -1
	s_mov_b32 s2, 0
	s_mov_b32 s25, 0
	s_delay_alu instid0(VALU_DEP_1) | instskip(NEXT) | instid1(VALU_DEP_1)
	v_ldexp_f64 v[6:7], v[2:3], 0xffffffe0
	v_floor_f64_e32 v[6:7], v[6:7]
	s_delay_alu instid0(VALU_DEP_1) | instskip(SKIP_1) | instid1(VALU_DEP_2)
	v_fma_f64 v[2:3], 0xc1f00000, v[6:7], v[2:3]
	v_cvt_u32_f64_e32 v7, v[6:7]
	v_cvt_u32_f64_e32 v6, v[2:3]
	global_store_b64 v[4:5], v[6:7], off
	s_branch .LBB465_744
.LBB465_743:
	s_mov_b32 s25, 0
.LBB465_744:
	s_delay_alu instid0(SALU_CYCLE_1)
	s_and_b32 vcc_lo, exec_lo, s25
	s_cbranch_vccz .LBB465_760
; %bb.745:
	v_cmp_gt_i16_e32 vcc_lo, 27, v10
	s_mov_b32 s3, -1
	s_cbranch_vccnz .LBB465_751
; %bb.746:
	v_cmp_lt_i16_e32 vcc_lo, 27, v10
	s_cbranch_vccz .LBB465_748
; %bb.747:
	v_cvt_u32_f64_e32 v2, v[0:1]
	s_mov_b32 s3, 0
	global_store_b32 v[4:5], v2, off
.LBB465_748:
	s_and_not1_b32 vcc_lo, exec_lo, s3
	s_cbranch_vccnz .LBB465_750
; %bb.749:
	v_cvt_u32_f64_e32 v2, v[0:1]
	global_store_b16 v[4:5], v2, off
.LBB465_750:
	s_mov_b32 s3, 0
.LBB465_751:
	s_delay_alu instid0(SALU_CYCLE_1)
	s_and_not1_b32 vcc_lo, exec_lo, s3
	s_cbranch_vccnz .LBB465_759
; %bb.752:
	v_cvt_f32_f64_e32 v2, v[0:1]
	v_mov_b32_e32 v6, 0x80
	s_mov_b32 s3, exec_lo
	s_delay_alu instid0(VALU_DEP_2) | instskip(NEXT) | instid1(VALU_DEP_1)
	v_and_b32_e32 v3, 0x7fffffff, v2
	v_cmpx_gt_u32_e32 0x43800000, v3
	s_cbranch_execz .LBB465_758
; %bb.753:
	v_cmp_lt_u32_e32 vcc_lo, 0x3bffffff, v3
	s_mov_b32 s25, 0
                                        ; implicit-def: $vgpr3
	s_and_saveexec_b32 s44, vcc_lo
	s_delay_alu instid0(SALU_CYCLE_1)
	s_xor_b32 s44, exec_lo, s44
	s_cbranch_execz .LBB465_832
; %bb.754:
	v_bfe_u32 v3, v2, 20, 1
	s_mov_b32 s25, exec_lo
	s_delay_alu instid0(VALU_DEP_1) | instskip(NEXT) | instid1(VALU_DEP_1)
	v_add3_u32 v3, v2, v3, 0x487ffff
	v_lshrrev_b32_e32 v3, 20, v3
	s_or_saveexec_b32 s44, s44
                                        ; implicit-def: $sgpr45
	s_delay_alu instid0(SALU_CYCLE_1)
	s_xor_b32 exec_lo, exec_lo, s44
	s_cbranch_execnz .LBB465_833
.LBB465_755:
	s_or_b32 exec_lo, exec_lo, s44
	v_mov_b32_e32 v6, s45
	s_and_saveexec_b32 s44, s25
.LBB465_756:
	v_lshrrev_b32_e32 v2, 24, v2
	s_delay_alu instid0(VALU_DEP_1)
	v_and_or_b32 v6, 0x80, v2, v3
.LBB465_757:
	s_or_b32 exec_lo, exec_lo, s44
.LBB465_758:
	s_delay_alu instid0(SALU_CYCLE_1)
	s_or_b32 exec_lo, exec_lo, s3
	global_store_b8 v[4:5], v6, off
.LBB465_759:
	s_mov_b32 s3, -1
.LBB465_760:
	s_mov_b32 s25, 0
.LBB465_761:
	s_delay_alu instid0(SALU_CYCLE_1)
	s_and_b32 vcc_lo, exec_lo, s25
	s_cbranch_vccz .LBB465_802
; %bb.762:
	v_cmp_lt_i16_e32 vcc_lo, 22, v10
	s_mov_b32 s25, -1
	s_cbranch_vccz .LBB465_794
; %bb.763:
	v_cmp_gt_i16_e32 vcc_lo, 24, v10
	s_mov_b32 s3, -1
	s_cbranch_vccnz .LBB465_783
; %bb.764:
	v_cmp_lt_i16_e32 vcc_lo, 24, v10
	s_cbranch_vccz .LBB465_772
; %bb.765:
	v_cvt_f32_f64_e32 v2, v[0:1]
	v_mov_b32_e32 v6, 0x80
	s_mov_b32 s3, exec_lo
	s_delay_alu instid0(VALU_DEP_2) | instskip(NEXT) | instid1(VALU_DEP_1)
	v_and_b32_e32 v3, 0x7fffffff, v2
	v_cmpx_gt_u32_e32 0x47800000, v3
	s_cbranch_execz .LBB465_771
; %bb.766:
	v_cmp_lt_u32_e32 vcc_lo, 0x37ffffff, v3
	s_mov_b32 s25, 0
                                        ; implicit-def: $vgpr3
	s_and_saveexec_b32 s44, vcc_lo
	s_delay_alu instid0(SALU_CYCLE_1)
	s_xor_b32 s44, exec_lo, s44
	s_cbranch_execz .LBB465_835
; %bb.767:
	v_bfe_u32 v3, v2, 21, 1
	s_mov_b32 s25, exec_lo
	s_delay_alu instid0(VALU_DEP_1) | instskip(NEXT) | instid1(VALU_DEP_1)
	v_add3_u32 v3, v2, v3, 0x88fffff
	v_lshrrev_b32_e32 v3, 21, v3
	s_or_saveexec_b32 s44, s44
                                        ; implicit-def: $sgpr45
	s_delay_alu instid0(SALU_CYCLE_1)
	s_xor_b32 exec_lo, exec_lo, s44
	s_cbranch_execnz .LBB465_836
.LBB465_768:
	s_or_b32 exec_lo, exec_lo, s44
	v_mov_b32_e32 v6, s45
	s_and_saveexec_b32 s44, s25
.LBB465_769:
	v_lshrrev_b32_e32 v2, 24, v2
	s_delay_alu instid0(VALU_DEP_1)
	v_and_or_b32 v6, 0x80, v2, v3
.LBB465_770:
	s_or_b32 exec_lo, exec_lo, s44
.LBB465_771:
	s_delay_alu instid0(SALU_CYCLE_1)
	s_or_b32 exec_lo, exec_lo, s3
	s_mov_b32 s3, 0
	global_store_b8 v[4:5], v6, off
.LBB465_772:
	s_and_b32 vcc_lo, exec_lo, s3
	s_cbranch_vccz .LBB465_782
; %bb.773:
	v_cvt_f32_f64_e32 v2, v[0:1]
	s_mov_b32 s3, exec_lo
                                        ; implicit-def: $vgpr3
	s_delay_alu instid0(VALU_DEP_1) | instskip(NEXT) | instid1(VALU_DEP_1)
	v_and_b32_e32 v6, 0x7fffffff, v2
	v_cmpx_gt_u32_e32 0x43f00000, v6
	s_xor_b32 s3, exec_lo, s3
	s_cbranch_execz .LBB465_779
; %bb.774:
	s_mov_b32 s25, exec_lo
                                        ; implicit-def: $vgpr3
	v_cmpx_lt_u32_e32 0x3c7fffff, v6
	s_xor_b32 s25, exec_lo, s25
; %bb.775:
	v_bfe_u32 v3, v2, 20, 1
	s_delay_alu instid0(VALU_DEP_1) | instskip(NEXT) | instid1(VALU_DEP_1)
	v_add3_u32 v3, v2, v3, 0x407ffff
	v_and_b32_e32 v6, 0xff00000, v3
	v_lshrrev_b32_e32 v3, 20, v3
	s_delay_alu instid0(VALU_DEP_2) | instskip(NEXT) | instid1(VALU_DEP_2)
	v_cmp_ne_u32_e32 vcc_lo, 0x7f00000, v6
	v_cndmask_b32_e32 v3, 0x7e, v3, vcc_lo
; %bb.776:
	s_and_not1_saveexec_b32 s25, s25
; %bb.777:
	v_add_f32_e64 v3, 0x46800000, |v2|
; %bb.778:
	s_or_b32 exec_lo, exec_lo, s25
                                        ; implicit-def: $vgpr6
.LBB465_779:
	s_and_not1_saveexec_b32 s3, s3
; %bb.780:
	v_mov_b32_e32 v3, 0x7f
	v_cmp_lt_u32_e32 vcc_lo, 0x7f800000, v6
	s_delay_alu instid0(VALU_DEP_2)
	v_cndmask_b32_e32 v3, 0x7e, v3, vcc_lo
; %bb.781:
	s_or_b32 exec_lo, exec_lo, s3
	v_lshrrev_b32_e32 v2, 24, v2
	s_delay_alu instid0(VALU_DEP_1)
	v_and_or_b32 v2, 0x80, v2, v3
	global_store_b8 v[4:5], v2, off
.LBB465_782:
	s_mov_b32 s3, 0
.LBB465_783:
	s_delay_alu instid0(SALU_CYCLE_1)
	s_and_not1_b32 vcc_lo, exec_lo, s3
	s_cbranch_vccnz .LBB465_793
; %bb.784:
	v_cvt_f32_f64_e32 v2, v[0:1]
	s_mov_b32 s3, exec_lo
                                        ; implicit-def: $vgpr3
	s_delay_alu instid0(VALU_DEP_1) | instskip(NEXT) | instid1(VALU_DEP_1)
	v_and_b32_e32 v6, 0x7fffffff, v2
	v_cmpx_gt_u32_e32 0x47800000, v6
	s_xor_b32 s3, exec_lo, s3
	s_cbranch_execz .LBB465_790
; %bb.785:
	s_mov_b32 s25, exec_lo
                                        ; implicit-def: $vgpr3
	v_cmpx_lt_u32_e32 0x387fffff, v6
	s_xor_b32 s25, exec_lo, s25
; %bb.786:
	v_bfe_u32 v3, v2, 21, 1
	s_delay_alu instid0(VALU_DEP_1) | instskip(NEXT) | instid1(VALU_DEP_1)
	v_add3_u32 v3, v2, v3, 0x80fffff
	v_lshrrev_b32_e32 v3, 21, v3
; %bb.787:
	s_and_not1_saveexec_b32 s25, s25
; %bb.788:
	v_add_f32_e64 v3, 0x43000000, |v2|
; %bb.789:
	s_or_b32 exec_lo, exec_lo, s25
                                        ; implicit-def: $vgpr6
.LBB465_790:
	s_and_not1_saveexec_b32 s3, s3
; %bb.791:
	v_mov_b32_e32 v3, 0x7f
	v_cmp_lt_u32_e32 vcc_lo, 0x7f800000, v6
	s_delay_alu instid0(VALU_DEP_2)
	v_cndmask_b32_e32 v3, 0x7c, v3, vcc_lo
; %bb.792:
	s_or_b32 exec_lo, exec_lo, s3
	v_lshrrev_b32_e32 v2, 24, v2
	s_delay_alu instid0(VALU_DEP_1)
	v_and_or_b32 v2, 0x80, v2, v3
	global_store_b8 v[4:5], v2, off
.LBB465_793:
	s_mov_b32 s25, 0
	s_mov_b32 s3, -1
.LBB465_794:
	s_and_not1_b32 vcc_lo, exec_lo, s25
	s_cbranch_vccnz .LBB465_802
; %bb.795:
	v_cmp_lt_i16_e32 vcc_lo, 14, v10
	s_mov_b32 s25, -1
	s_cbranch_vccz .LBB465_799
; %bb.796:
	v_cmp_eq_u16_e32 vcc_lo, 15, v10
	s_mov_b32 s2, -1
	s_cbranch_vccz .LBB465_798
; %bb.797:
	v_cvt_f32_f64_e32 v2, v[0:1]
	s_mov_b32 s3, -1
	s_mov_b32 s2, 0
	s_delay_alu instid0(VALU_DEP_1) | instskip(SKIP_1) | instid1(VALU_DEP_2)
	v_bfe_u32 v3, v2, 16, 1
	v_cmp_o_f32_e32 vcc_lo, v2, v2
	v_add3_u32 v3, v2, v3, 0x7fff
	s_delay_alu instid0(VALU_DEP_1) | instskip(NEXT) | instid1(VALU_DEP_1)
	v_lshrrev_b32_e32 v3, 16, v3
	v_cndmask_b32_e32 v2, 0x7fc0, v3, vcc_lo
	global_store_b16 v[4:5], v2, off
.LBB465_798:
	s_mov_b32 s25, 0
.LBB465_799:
	s_delay_alu instid0(SALU_CYCLE_1)
	s_and_b32 vcc_lo, exec_lo, s25
	s_cbranch_vccz .LBB465_802
; %bb.800:
	v_cmp_eq_u16_e32 vcc_lo, 11, v10
	s_mov_b32 s2, -1
	s_cbranch_vccz .LBB465_802
; %bb.801:
	v_cmp_neq_f64_e32 vcc_lo, 0, v[0:1]
	s_mov_b32 s3, -1
	s_mov_b32 s2, 0
	v_cndmask_b32_e64 v2, 0, 1, vcc_lo
	global_store_b8 v[4:5], v2, off
.LBB465_802:
.LBB465_803:
	s_and_not1_b32 vcc_lo, exec_lo, s3
	s_cbranch_vccnz .LBB465_728
.LBB465_804:
	v_add_nc_u32_e32 v9, 0x80, v9
	s_mov_b32 s3, -1
.LBB465_805:
	s_and_not1_b32 s25, s41, exec_lo
	s_and_b32 s2, s2, exec_lo
	s_and_not1_b32 s44, s40, exec_lo
	s_and_b32 s24, s24, exec_lo
	s_or_b32 s25, s25, s2
	s_or_b32 s24, s44, s24
	s_or_not1_b32 s45, s3, exec_lo
.LBB465_806:
	s_or_b32 exec_lo, exec_lo, s43
	s_mov_b32 s2, 0
	s_mov_b32 s3, 0
	;; [unrolled: 1-line block ×3, first 2 shown]
                                        ; implicit-def: $vgpr0_vgpr1
                                        ; implicit-def: $vgpr2
                                        ; implicit-def: $vgpr6_vgpr7
	s_and_saveexec_b32 s43, s45
	s_cbranch_execz .LBB465_904
; %bb.807:
	v_cmp_gt_i32_e32 vcc_lo, s34, v9
	s_mov_b32 s45, s24
                                        ; implicit-def: $vgpr0_vgpr1
                                        ; implicit-def: $vgpr2
                                        ; implicit-def: $vgpr6_vgpr7
	s_and_saveexec_b32 s34, vcc_lo
	s_cbranch_execz .LBB465_903
; %bb.808:
	s_and_not1_b32 vcc_lo, exec_lo, s29
	s_cbranch_vccnz .LBB465_813
; %bb.809:
	v_mov_b32_e32 v2, 0
	v_mov_b32_e32 v0, 0
	s_and_not1_b32 vcc_lo, exec_lo, s36
	s_mov_b32 s36, 0
	s_cbranch_vccnz .LBB465_818
; %bb.810:
	v_mov_b32_e32 v2, 0
	s_add_i32 s44, s35, 1
	s_cmp_eq_u32 s27, 2
	s_mov_b32 s35, 0
	s_cbranch_scc1 .LBB465_814
; %bb.811:
	v_dual_mov_b32 v0, 0 :: v_dual_mov_b32 v1, v9
	v_mov_b32_e32 v2, 0
	s_and_b32 s35, s44, 28
	s_mov_b32 s45, 0
	s_mov_b64 s[2:3], s[16:17]
.LBB465_812:                            ; =>This Inner Loop Header: Depth=1
	s_clause 0x1
	s_load_b256 s[48:55], s[2:3], 0x4
	s_load_b128 s[64:67], s[2:3], 0x24
	s_load_b256 s[56:63], s[22:23], 0x0
	s_add_u32 s2, s2, 48
	s_addc_u32 s3, s3, 0
	s_add_i32 s45, s45, 4
	s_add_u32 s22, s22, 32
	s_addc_u32 s23, s23, 0
	s_cmp_eq_u32 s35, s45
	s_waitcnt lgkmcnt(0)
	v_mul_hi_u32 v3, s49, v1
	s_delay_alu instid0(VALU_DEP_1) | instskip(NEXT) | instid1(VALU_DEP_1)
	v_add_nc_u32_e32 v3, v1, v3
	v_lshrrev_b32_e32 v3, s50, v3
	s_delay_alu instid0(VALU_DEP_1) | instskip(SKIP_2) | instid1(VALU_DEP_2)
	v_mul_hi_u32 v4, s52, v3
	s_waitcnt vmcnt(0)
	v_mul_lo_u32 v6, v3, s48
	v_add_nc_u32_e32 v4, v3, v4
	s_delay_alu instid0(VALU_DEP_2) | instskip(NEXT) | instid1(VALU_DEP_2)
	v_sub_nc_u32_e32 v1, v1, v6
	v_lshrrev_b32_e32 v4, s53, v4
	s_delay_alu instid0(VALU_DEP_2) | instskip(SKIP_1) | instid1(VALU_DEP_3)
	v_mul_lo_u32 v6, v1, s56
	v_mul_lo_u32 v10, v1, s57
	v_mul_hi_u32 v5, s55, v4
	s_delay_alu instid0(VALU_DEP_1) | instskip(NEXT) | instid1(VALU_DEP_1)
	v_add_nc_u32_e32 v5, v4, v5
	v_lshrrev_b32_e32 v5, s64, v5
	s_delay_alu instid0(VALU_DEP_1) | instskip(SKIP_1) | instid1(VALU_DEP_2)
	v_mul_hi_u32 v7, s66, v5
	v_mul_lo_u32 v11, v5, s54
	v_add_nc_u32_e32 v1, v5, v7
	v_mul_lo_u32 v7, v4, s51
	s_delay_alu instid0(VALU_DEP_3) | instskip(NEXT) | instid1(VALU_DEP_3)
	v_sub_nc_u32_e32 v4, v4, v11
	v_lshrrev_b32_e32 v1, s67, v1
	s_delay_alu instid0(VALU_DEP_2) | instskip(SKIP_2) | instid1(VALU_DEP_4)
	v_mul_lo_u32 v11, v4, s60
	v_mul_lo_u32 v4, v4, s61
	v_sub_nc_u32_e32 v3, v3, v7
	v_mul_lo_u32 v12, v1, s65
	s_delay_alu instid0(VALU_DEP_2) | instskip(SKIP_1) | instid1(VALU_DEP_3)
	v_mul_lo_u32 v7, v3, s58
	v_mul_lo_u32 v3, v3, s59
	v_sub_nc_u32_e32 v5, v5, v12
	s_delay_alu instid0(VALU_DEP_3) | instskip(NEXT) | instid1(VALU_DEP_2)
	v_add3_u32 v2, v6, v2, v7
	v_mul_lo_u32 v12, v5, s62
	v_mul_lo_u32 v5, v5, s63
	v_add3_u32 v0, v10, v0, v3
	s_delay_alu instid0(VALU_DEP_3) | instskip(NEXT) | instid1(VALU_DEP_2)
	v_add3_u32 v2, v11, v2, v12
	v_add3_u32 v0, v4, v0, v5
	s_cbranch_scc0 .LBB465_812
	s_branch .LBB465_815
.LBB465_813:
	s_mov_b32 s36, -1
                                        ; implicit-def: $vgpr2
                                        ; implicit-def: $vgpr0
	s_branch .LBB465_818
.LBB465_814:
	v_dual_mov_b32 v1, v9 :: v_dual_mov_b32 v0, 0
.LBB465_815:
	s_and_b32 s44, s44, 3
	s_delay_alu instid0(SALU_CYCLE_1)
	s_cmp_eq_u32 s44, 0
	s_cbranch_scc1 .LBB465_818
; %bb.816:
	s_lshl_b32 s2, s35, 3
	s_mul_i32 s22, s35, 12
	s_add_u32 s2, s2, s16
	s_addc_u32 s3, s17, 0
	s_add_u32 s2, s2, 0xc4
	s_addc_u32 s3, s3, 0
	s_add_u32 s22, s16, s22
	s_addc_u32 s23, s17, 0
.LBB465_817:                            ; =>This Inner Loop Header: Depth=1
	s_clause 0x1
	s_load_b64 s[46:47], s[22:23], 0x4
	s_load_b32 s35, s[22:23], 0xc
	s_load_b64 s[48:49], s[2:3], 0x0
	s_add_u32 s22, s22, 12
	s_addc_u32 s23, s23, 0
	s_add_u32 s2, s2, 8
	s_addc_u32 s3, s3, 0
	s_add_i32 s44, s44, -1
	s_delay_alu instid0(SALU_CYCLE_1) | instskip(SKIP_2) | instid1(VALU_DEP_1)
	s_cmp_lg_u32 s44, 0
	s_waitcnt lgkmcnt(0)
	v_mul_hi_u32 v3, s47, v1
	v_add_nc_u32_e32 v3, v1, v3
	s_waitcnt vmcnt(0)
	s_delay_alu instid0(VALU_DEP_1) | instskip(NEXT) | instid1(VALU_DEP_1)
	v_lshrrev_b32_e32 v6, s35, v3
	v_mul_lo_u32 v3, v6, s46
	s_delay_alu instid0(VALU_DEP_1) | instskip(NEXT) | instid1(VALU_DEP_1)
	v_sub_nc_u32_e32 v1, v1, v3
	v_mad_u64_u32 v[3:4], null, v1, s48, v[2:3]
	v_mad_u64_u32 v[4:5], null, v1, s49, v[0:1]
	s_delay_alu instid0(VALU_DEP_2) | instskip(NEXT) | instid1(VALU_DEP_2)
	v_dual_mov_b32 v1, v6 :: v_dual_mov_b32 v2, v3
	v_mov_b32_e32 v0, v4
	s_cbranch_scc1 .LBB465_817
.LBB465_818:
	s_and_not1_b32 vcc_lo, exec_lo, s36
	s_cbranch_vccnz .LBB465_821
; %bb.819:
	v_mul_hi_u32 v0, s13, v9
	s_and_not1_b32 vcc_lo, exec_lo, s33
	s_delay_alu instid0(VALU_DEP_1) | instskip(NEXT) | instid1(VALU_DEP_1)
	v_add_nc_u32_e32 v0, v9, v0
	v_lshrrev_b32_e32 v1, s14, v0
	s_delay_alu instid0(VALU_DEP_1) | instskip(NEXT) | instid1(VALU_DEP_1)
	v_mul_lo_u32 v0, v1, s12
	v_sub_nc_u32_e32 v0, v9, v0
	s_delay_alu instid0(VALU_DEP_1)
	v_mul_lo_u32 v2, v0, s8
	v_mul_lo_u32 v0, v0, s9
	s_cbranch_vccnz .LBB465_821
; %bb.820:
	v_mul_hi_u32 v3, s20, v1
	s_delay_alu instid0(VALU_DEP_1) | instskip(NEXT) | instid1(VALU_DEP_1)
	v_add_nc_u32_e32 v3, v1, v3
	v_lshrrev_b32_e32 v3, s21, v3
	s_delay_alu instid0(VALU_DEP_1) | instskip(NEXT) | instid1(VALU_DEP_1)
	v_mul_lo_u32 v3, v3, s15
	v_sub_nc_u32_e32 v5, v1, v3
	s_delay_alu instid0(VALU_DEP_1) | instskip(SKIP_1) | instid1(VALU_DEP_2)
	v_mad_u64_u32 v[3:4], null, v5, s10, v[2:3]
	v_mad_u64_u32 v[1:2], null, v5, s11, v[0:1]
	v_mov_b32_e32 v2, v3
	s_delay_alu instid0(VALU_DEP_2)
	v_mov_b32_e32 v0, v1
.LBB465_821:
	v_cmp_gt_i16_e32 vcc_lo, 11, v8
	s_delay_alu instid0(VALU_DEP_2) | instskip(NEXT) | instid1(VALU_DEP_1)
	v_add_co_u32 v0, s2, s6, v0
	v_add_co_ci_u32_e64 v1, null, s7, 0, s2
	s_mov_b32 s2, 0
	s_cbranch_vccnz .LBB465_828
; %bb.822:
	v_cmp_lt_i16_e32 vcc_lo, 25, v8
	s_mov_b32 s7, 0
	s_cbranch_vccz .LBB465_829
; %bb.823:
	v_cmp_lt_i16_e32 vcc_lo, 28, v8
	s_cbranch_vccz .LBB465_830
; %bb.824:
	v_cmp_lt_i16_e32 vcc_lo, 43, v8
	s_cbranch_vccz .LBB465_831
; %bb.825:
	v_cmp_lt_i16_e32 vcc_lo, 45, v8
	s_cbranch_vccz .LBB465_834
; %bb.826:
	v_cmp_eq_u16_e32 vcc_lo, 46, v8
	s_mov_b32 s3, 0
	s_cbranch_vccz .LBB465_837
; %bb.827:
	global_load_b32 v3, v[0:1], off
	s_mov_b32 s6, 0
	s_mov_b32 s2, -1
	s_waitcnt vmcnt(0)
	v_lshlrev_b32_e32 v3, 16, v3
	s_delay_alu instid0(VALU_DEP_1)
	v_cvt_f64_f32_e32 v[6:7], v3
	s_branch .LBB465_839
.LBB465_828:
	s_mov_b32 s3, -1
	s_mov_b32 s7, 0
	s_mov_b32 s6, s24
                                        ; implicit-def: $vgpr6_vgpr7
	s_branch .LBB465_902
.LBB465_829:
	s_mov_b32 s3, -1
	s_mov_b32 s6, s24
                                        ; implicit-def: $vgpr6_vgpr7
	s_branch .LBB465_870
.LBB465_830:
	s_mov_b32 s3, -1
	s_mov_b32 s6, s24
                                        ; implicit-def: $vgpr6_vgpr7
	s_branch .LBB465_849
.LBB465_831:
	s_mov_b32 s3, -1
	s_mov_b32 s6, s24
                                        ; implicit-def: $vgpr6_vgpr7
	s_branch .LBB465_844
.LBB465_832:
	s_or_saveexec_b32 s44, s44
                                        ; implicit-def: $sgpr45
	s_delay_alu instid0(SALU_CYCLE_1)
	s_xor_b32 exec_lo, exec_lo, s44
	s_cbranch_execz .LBB465_755
.LBB465_833:
	v_add_f32_e64 v3, 0x46000000, |v2|
	s_and_not1_b32 s25, s25, exec_lo
	s_mov_b32 s45, 0
	s_delay_alu instid0(VALU_DEP_1) | instskip(NEXT) | instid1(VALU_DEP_1)
	v_and_b32_e32 v3, 0xff, v3
	v_cmp_ne_u32_e32 vcc_lo, 0, v3
	s_and_b32 s46, vcc_lo, exec_lo
	s_delay_alu instid0(SALU_CYCLE_1)
	s_or_b32 s25, s25, s46
	s_or_b32 exec_lo, exec_lo, s44
	v_mov_b32_e32 v6, s45
	s_and_saveexec_b32 s44, s25
	s_cbranch_execnz .LBB465_756
	s_branch .LBB465_757
.LBB465_834:
	s_mov_b32 s3, -1
	s_mov_b32 s6, s24
	s_branch .LBB465_838
.LBB465_835:
	s_or_saveexec_b32 s44, s44
                                        ; implicit-def: $sgpr45
	s_delay_alu instid0(SALU_CYCLE_1)
	s_xor_b32 exec_lo, exec_lo, s44
	s_cbranch_execz .LBB465_768
.LBB465_836:
	v_add_f32_e64 v3, 0x42800000, |v2|
	s_and_not1_b32 s25, s25, exec_lo
	s_mov_b32 s45, 0
	s_delay_alu instid0(VALU_DEP_1) | instskip(NEXT) | instid1(VALU_DEP_1)
	v_and_b32_e32 v3, 0xff, v3
	v_cmp_ne_u32_e32 vcc_lo, 0, v3
	s_and_b32 s46, vcc_lo, exec_lo
	s_delay_alu instid0(SALU_CYCLE_1)
	s_or_b32 s25, s25, s46
	s_or_b32 exec_lo, exec_lo, s44
	v_mov_b32_e32 v6, s45
	s_and_saveexec_b32 s44, s25
	s_cbranch_execnz .LBB465_769
	s_branch .LBB465_770
.LBB465_837:
	s_mov_b32 s6, -1
.LBB465_838:
                                        ; implicit-def: $vgpr6_vgpr7
.LBB465_839:
	s_and_b32 vcc_lo, exec_lo, s3
	s_cbranch_vccz .LBB465_843
; %bb.840:
	v_cmp_eq_u16_e32 vcc_lo, 44, v8
	s_cbranch_vccz .LBB465_842
; %bb.841:
	global_load_u8 v5, v[0:1], off
	s_mov_b32 s6, 0
	s_mov_b32 s2, -1
	s_waitcnt vmcnt(0)
	v_cmp_ne_u32_e32 vcc_lo, 0xff, v5
	v_lshlrev_b32_e32 v3, 23, v5
	s_delay_alu instid0(VALU_DEP_1) | instskip(NEXT) | instid1(VALU_DEP_1)
	v_cvt_f64_f32_e32 v[3:4], v3
	v_cndmask_b32_e32 v4, 0x7ff80000, v4, vcc_lo
	s_delay_alu instid0(VALU_DEP_2) | instskip(SKIP_1) | instid1(VALU_DEP_3)
	v_cndmask_b32_e32 v3, 0x20000000, v3, vcc_lo
	v_cmp_ne_u32_e32 vcc_lo, 0, v5
	v_cndmask_b32_e32 v7, 0x38000000, v4, vcc_lo
	s_delay_alu instid0(VALU_DEP_3)
	v_cndmask_b32_e32 v6, 0, v3, vcc_lo
	s_branch .LBB465_843
.LBB465_842:
	s_mov_b32 s6, -1
                                        ; implicit-def: $vgpr6_vgpr7
.LBB465_843:
	s_mov_b32 s3, 0
.LBB465_844:
	s_delay_alu instid0(SALU_CYCLE_1)
	s_and_b32 vcc_lo, exec_lo, s3
	s_cbranch_vccz .LBB465_848
; %bb.845:
	v_cmp_eq_u16_e32 vcc_lo, 29, v8
	s_cbranch_vccz .LBB465_847
; %bb.846:
	global_load_b64 v[3:4], v[0:1], off
	s_mov_b32 s6, 0
	s_mov_b32 s2, -1
	s_mov_b32 s3, 0
	s_waitcnt vmcnt(0)
	v_cvt_f64_u32_e32 v[4:5], v4
	v_cvt_f64_u32_e32 v[6:7], v3
	s_delay_alu instid0(VALU_DEP_2) | instskip(NEXT) | instid1(VALU_DEP_1)
	v_ldexp_f64 v[4:5], v[4:5], 32
	v_add_f64 v[6:7], v[4:5], v[6:7]
	s_branch .LBB465_849
.LBB465_847:
	s_mov_b32 s6, -1
                                        ; implicit-def: $vgpr6_vgpr7
.LBB465_848:
	s_mov_b32 s3, 0
.LBB465_849:
	s_delay_alu instid0(SALU_CYCLE_1)
	s_and_b32 vcc_lo, exec_lo, s3
	s_cbranch_vccz .LBB465_869
; %bb.850:
	v_cmp_gt_i16_e32 vcc_lo, 27, v8
	s_cbranch_vccnz .LBB465_853
; %bb.851:
	v_cmp_lt_i16_e32 vcc_lo, 27, v8
	s_cbranch_vccz .LBB465_854
; %bb.852:
	global_load_b32 v3, v[0:1], off
	s_mov_b32 s2, 0
	s_waitcnt vmcnt(0)
	v_cvt_f64_u32_e32 v[6:7], v3
	s_branch .LBB465_855
.LBB465_853:
	s_mov_b32 s2, -1
                                        ; implicit-def: $vgpr6_vgpr7
	s_branch .LBB465_858
.LBB465_854:
	s_mov_b32 s2, -1
                                        ; implicit-def: $vgpr6_vgpr7
.LBB465_855:
	s_delay_alu instid0(SALU_CYCLE_1)
	s_and_not1_b32 vcc_lo, exec_lo, s2
	s_cbranch_vccnz .LBB465_857
; %bb.856:
	global_load_u16 v3, v[0:1], off
	s_waitcnt vmcnt(0)
	v_cvt_f64_u32_e32 v[6:7], v3
.LBB465_857:
	s_mov_b32 s2, 0
.LBB465_858:
	s_delay_alu instid0(SALU_CYCLE_1)
	s_and_not1_b32 vcc_lo, exec_lo, s2
	s_cbranch_vccnz .LBB465_868
; %bb.859:
	global_load_u8 v3, v[0:1], off
	s_mov_b32 s8, 0
	s_mov_b32 s9, exec_lo
                                        ; implicit-def: $sgpr2_sgpr3
	s_waitcnt vmcnt(0)
	v_cmpx_lt_i16_e32 0x7f, v3
	s_xor_b32 s9, exec_lo, s9
	s_cbranch_execz .LBB465_863
; %bb.860:
	s_mov_b32 s10, -1
	s_mov_b32 s8, exec_lo
                                        ; implicit-def: $sgpr2_sgpr3
	v_cmpx_eq_u16_e32 0x80, v3
; %bb.861:
	s_mov_b32 s3, 0x7ff80000
	s_brev_b32 s2, 4
	s_xor_b32 s10, exec_lo, -1
; %bb.862:
	s_or_b32 exec_lo, exec_lo, s8
	s_delay_alu instid0(SALU_CYCLE_1)
	s_and_b32 s8, s10, exec_lo
.LBB465_863:
	s_or_saveexec_b32 s9, s9
	v_dual_mov_b32 v7, s3 :: v_dual_mov_b32 v6, s2
	s_xor_b32 exec_lo, exec_lo, s9
; %bb.864:
	v_cmp_ne_u16_e32 vcc_lo, 0, v3
	v_mov_b32_e32 v6, 0
	v_mov_b32_e32 v7, 0
	s_and_not1_b32 s2, s8, exec_lo
	s_and_b32 s3, vcc_lo, exec_lo
	s_delay_alu instid0(SALU_CYCLE_1)
	s_or_b32 s8, s2, s3
; %bb.865:
	s_or_b32 exec_lo, exec_lo, s9
	s_and_saveexec_b32 s2, s8
	s_cbranch_execz .LBB465_867
; %bb.866:
	v_and_b32_e32 v4, 0xffff, v3
	v_lshlrev_b32_e32 v3, 24, v3
	s_delay_alu instid0(VALU_DEP_2) | instskip(NEXT) | instid1(VALU_DEP_2)
	v_and_b32_e32 v5, 7, v4
	v_and_b32_e32 v3, 0x80000000, v3
	s_delay_alu instid0(VALU_DEP_2) | instskip(NEXT) | instid1(VALU_DEP_1)
	v_clz_i32_u32_e32 v6, v5
	v_min_u32_e32 v6, 32, v6
	s_delay_alu instid0(VALU_DEP_1) | instskip(SKIP_1) | instid1(VALU_DEP_2)
	v_subrev_nc_u32_e32 v7, 28, v6
	v_sub_nc_u32_e32 v6, 29, v6
	v_lshlrev_b32_e32 v7, v7, v4
	v_bfe_u32 v4, v4, 3, 4
	s_delay_alu instid0(VALU_DEP_2) | instskip(NEXT) | instid1(VALU_DEP_2)
	v_and_b32_e32 v7, 7, v7
	v_cmp_eq_u32_e32 vcc_lo, 0, v4
	s_delay_alu instid0(VALU_DEP_2) | instskip(NEXT) | instid1(VALU_DEP_1)
	v_dual_cndmask_b32 v4, v4, v6 :: v_dual_cndmask_b32 v5, v5, v7
	v_lshl_add_u32 v4, v4, 23, 0x3b800000
	s_delay_alu instid0(VALU_DEP_2) | instskip(NEXT) | instid1(VALU_DEP_1)
	v_lshlrev_b32_e32 v5, 20, v5
	v_or3_b32 v3, v3, v4, v5
	s_delay_alu instid0(VALU_DEP_1)
	v_cvt_f64_f32_e32 v[6:7], v3
.LBB465_867:
	s_or_b32 exec_lo, exec_lo, s2
.LBB465_868:
	s_mov_b32 s2, -1
.LBB465_869:
	s_mov_b32 s3, 0
.LBB465_870:
	s_delay_alu instid0(SALU_CYCLE_1)
	s_and_b32 vcc_lo, exec_lo, s3
	s_cbranch_vccz .LBB465_901
; %bb.871:
	v_cmp_lt_i16_e32 vcc_lo, 22, v8
	s_cbranch_vccz .LBB465_883
; %bb.872:
	v_cmp_gt_i16_e32 vcc_lo, 24, v8
	s_cbranch_vccnz .LBB465_884
; %bb.873:
	v_cmp_lt_i16_e32 vcc_lo, 24, v8
	s_cbranch_vccz .LBB465_885
; %bb.874:
	global_load_u8 v3, v[0:1], off
	s_mov_b32 s8, exec_lo
                                        ; implicit-def: $sgpr2_sgpr3
	s_waitcnt vmcnt(0)
	v_cmpx_lt_i16_e32 0x7f, v3
	s_xor_b32 s8, exec_lo, s8
	s_cbranch_execz .LBB465_878
; %bb.875:
	s_mov_b32 s9, -1
	s_mov_b32 s7, exec_lo
                                        ; implicit-def: $sgpr2_sgpr3
	v_cmpx_eq_u16_e32 0x80, v3
; %bb.876:
	s_mov_b32 s3, 0x7ff80000
	s_brev_b32 s2, 4
	s_xor_b32 s9, exec_lo, -1
; %bb.877:
	s_or_b32 exec_lo, exec_lo, s7
	s_delay_alu instid0(SALU_CYCLE_1)
	s_and_b32 s7, s9, exec_lo
.LBB465_878:
	s_or_saveexec_b32 s8, s8
	v_dual_mov_b32 v7, s3 :: v_dual_mov_b32 v6, s2
	s_xor_b32 exec_lo, exec_lo, s8
; %bb.879:
	v_cmp_ne_u16_e32 vcc_lo, 0, v3
	v_mov_b32_e32 v6, 0
	v_mov_b32_e32 v7, 0
	s_and_not1_b32 s2, s7, exec_lo
	s_and_b32 s3, vcc_lo, exec_lo
	s_delay_alu instid0(SALU_CYCLE_1)
	s_or_b32 s7, s2, s3
; %bb.880:
	s_or_b32 exec_lo, exec_lo, s8
	s_and_saveexec_b32 s2, s7
	s_cbranch_execz .LBB465_882
; %bb.881:
	v_and_b32_e32 v4, 0xffff, v3
	v_lshlrev_b32_e32 v3, 24, v3
	s_delay_alu instid0(VALU_DEP_2) | instskip(NEXT) | instid1(VALU_DEP_2)
	v_and_b32_e32 v5, 3, v4
	v_and_b32_e32 v3, 0x80000000, v3
	s_delay_alu instid0(VALU_DEP_2) | instskip(NEXT) | instid1(VALU_DEP_1)
	v_clz_i32_u32_e32 v6, v5
	v_min_u32_e32 v6, 32, v6
	s_delay_alu instid0(VALU_DEP_1) | instskip(SKIP_1) | instid1(VALU_DEP_2)
	v_subrev_nc_u32_e32 v7, 29, v6
	v_sub_nc_u32_e32 v6, 30, v6
	v_lshlrev_b32_e32 v7, v7, v4
	v_bfe_u32 v4, v4, 2, 5
	s_delay_alu instid0(VALU_DEP_2) | instskip(NEXT) | instid1(VALU_DEP_2)
	v_and_b32_e32 v7, 3, v7
	v_cmp_eq_u32_e32 vcc_lo, 0, v4
	s_delay_alu instid0(VALU_DEP_2) | instskip(NEXT) | instid1(VALU_DEP_1)
	v_dual_cndmask_b32 v4, v4, v6 :: v_dual_cndmask_b32 v5, v5, v7
	v_lshl_add_u32 v4, v4, 23, 0x37800000
	s_delay_alu instid0(VALU_DEP_2) | instskip(NEXT) | instid1(VALU_DEP_1)
	v_lshlrev_b32_e32 v5, 21, v5
	v_or3_b32 v3, v3, v4, v5
	s_delay_alu instid0(VALU_DEP_1)
	v_cvt_f64_f32_e32 v[6:7], v3
.LBB465_882:
	s_or_b32 exec_lo, exec_lo, s2
	s_mov_b32 s2, 0
	s_branch .LBB465_886
.LBB465_883:
	s_mov_b32 s3, -1
                                        ; implicit-def: $vgpr6_vgpr7
	s_branch .LBB465_892
.LBB465_884:
	s_mov_b32 s2, -1
                                        ; implicit-def: $vgpr6_vgpr7
	s_branch .LBB465_889
.LBB465_885:
	s_mov_b32 s2, -1
                                        ; implicit-def: $vgpr6_vgpr7
.LBB465_886:
	s_delay_alu instid0(SALU_CYCLE_1)
	s_and_b32 vcc_lo, exec_lo, s2
	s_cbranch_vccz .LBB465_888
; %bb.887:
	global_load_u8 v3, v[0:1], off
	s_waitcnt vmcnt(0)
	v_lshlrev_b32_e32 v3, 24, v3
	s_delay_alu instid0(VALU_DEP_1) | instskip(NEXT) | instid1(VALU_DEP_1)
	v_and_b32_e32 v4, 0x7f000000, v3
	v_clz_i32_u32_e32 v5, v4
	v_add_nc_u32_e32 v7, 0x1000000, v4
	v_cmp_ne_u32_e32 vcc_lo, 0, v4
	s_delay_alu instid0(VALU_DEP_3) | instskip(NEXT) | instid1(VALU_DEP_1)
	v_min_u32_e32 v5, 32, v5
	v_sub_nc_u32_e64 v5, v5, 4 clamp
	s_delay_alu instid0(VALU_DEP_1) | instskip(SKIP_1) | instid1(VALU_DEP_2)
	v_lshlrev_b32_e32 v6, v5, v4
	v_lshlrev_b32_e32 v5, 23, v5
	v_lshrrev_b32_e32 v6, 4, v6
	s_delay_alu instid0(VALU_DEP_1) | instskip(SKIP_1) | instid1(VALU_DEP_2)
	v_sub_nc_u32_e32 v5, v6, v5
	v_ashrrev_i32_e32 v6, 8, v7
	v_add_nc_u32_e32 v5, 0x3c000000, v5
	s_delay_alu instid0(VALU_DEP_1) | instskip(NEXT) | instid1(VALU_DEP_1)
	v_and_or_b32 v5, 0x7f800000, v6, v5
	v_cndmask_b32_e32 v4, 0, v5, vcc_lo
	s_delay_alu instid0(VALU_DEP_1) | instskip(NEXT) | instid1(VALU_DEP_1)
	v_and_or_b32 v3, 0x80000000, v3, v4
	v_cvt_f64_f32_e32 v[6:7], v3
.LBB465_888:
	s_mov_b32 s2, 0
.LBB465_889:
	s_delay_alu instid0(SALU_CYCLE_1)
	s_and_not1_b32 vcc_lo, exec_lo, s2
	s_cbranch_vccnz .LBB465_891
; %bb.890:
	global_load_u8 v3, v[0:1], off
	s_waitcnt vmcnt(0)
	v_lshlrev_b32_e32 v4, 25, v3
	v_lshlrev_b16 v3, 8, v3
	s_delay_alu instid0(VALU_DEP_2) | instskip(NEXT) | instid1(VALU_DEP_2)
	v_lshrrev_b32_e32 v5, 4, v4
	v_and_or_b32 v6, 0x7f00, v3, 0.5
	v_bfe_i32 v3, v3, 0, 16
	s_delay_alu instid0(VALU_DEP_3) | instskip(NEXT) | instid1(VALU_DEP_1)
	v_or_b32_e32 v5, 0x70000000, v5
	v_dual_add_f32 v6, -0.5, v6 :: v_dual_mul_f32 v5, 0x7800000, v5
	v_cmp_gt_u32_e32 vcc_lo, 0x8000000, v4
	s_delay_alu instid0(VALU_DEP_2) | instskip(NEXT) | instid1(VALU_DEP_1)
	v_cndmask_b32_e32 v4, v5, v6, vcc_lo
	v_and_or_b32 v3, 0x80000000, v3, v4
	s_delay_alu instid0(VALU_DEP_1)
	v_cvt_f64_f32_e32 v[6:7], v3
.LBB465_891:
	s_mov_b32 s3, 0
	s_mov_b32 s2, -1
.LBB465_892:
	s_and_not1_b32 vcc_lo, exec_lo, s3
	s_mov_b32 s7, 0
	s_cbranch_vccnz .LBB465_901
; %bb.893:
	v_cmp_lt_i16_e32 vcc_lo, 14, v8
	s_cbranch_vccz .LBB465_896
; %bb.894:
	v_cmp_eq_u16_e32 vcc_lo, 15, v8
	s_cbranch_vccz .LBB465_897
; %bb.895:
	global_load_u16 v3, v[0:1], off
	s_mov_b32 s6, 0
	s_mov_b32 s2, -1
	s_waitcnt vmcnt(0)
	v_lshlrev_b32_e32 v3, 16, v3
	s_delay_alu instid0(VALU_DEP_1)
	v_cvt_f64_f32_e32 v[6:7], v3
	s_branch .LBB465_898
.LBB465_896:
	s_mov_b32 s3, -1
                                        ; implicit-def: $vgpr6_vgpr7
	s_branch .LBB465_899
.LBB465_897:
	s_mov_b32 s6, -1
                                        ; implicit-def: $vgpr6_vgpr7
.LBB465_898:
	s_mov_b32 s3, 0
.LBB465_899:
	s_delay_alu instid0(SALU_CYCLE_1)
	s_and_b32 vcc_lo, exec_lo, s3
	s_cbranch_vccz .LBB465_901
; %bb.900:
	v_cmp_ne_u16_e32 vcc_lo, 11, v8
	s_and_not1_b32 s3, s6, exec_lo
	s_mov_b32 s7, -1
                                        ; implicit-def: $vgpr6_vgpr7
	s_and_b32 s6, vcc_lo, exec_lo
	s_delay_alu instid0(SALU_CYCLE_1)
	s_or_b32 s6, s3, s6
.LBB465_901:
	s_mov_b32 s3, 0
.LBB465_902:
	s_and_not1_b32 s8, s24, exec_lo
	s_and_b32 s6, s6, exec_lo
	s_and_b32 s44, s2, exec_lo
	;; [unrolled: 1-line block ×4, first 2 shown]
	s_or_b32 s45, s8, s6
.LBB465_903:
	s_or_b32 exec_lo, exec_lo, s34
	s_delay_alu instid0(SALU_CYCLE_1)
	s_and_not1_b32 s6, s24, exec_lo
	s_and_b32 s7, s45, exec_lo
	s_and_b32 s44, s44, exec_lo
	;; [unrolled: 1-line block ×4, first 2 shown]
	s_or_b32 s24, s6, s7
.LBB465_904:
	s_or_b32 exec_lo, exec_lo, s43
	s_delay_alu instid0(SALU_CYCLE_1)
	s_and_not1_b32 s6, s41, exec_lo
	s_and_b32 s7, s25, exec_lo
	s_and_b32 s43, s44, exec_lo
	s_or_b32 s41, s6, s7
	s_and_not1_b32 s6, s40, exec_lo
	s_and_b32 s7, s24, exec_lo
	s_and_b32 s25, s3, exec_lo
	s_and_b32 s3, s2, exec_lo
	s_or_b32 s40, s6, s7
.LBB465_905:
	s_or_b32 exec_lo, exec_lo, s42
	s_delay_alu instid0(SALU_CYCLE_1)
	s_and_not1_b32 s2, s37, exec_lo
	s_and_b32 s6, s41, exec_lo
	s_and_b32 s7, s40, exec_lo
	s_or_b32 s37, s2, s6
	s_and_not1_b32 s6, s38, exec_lo
	s_and_b32 s2, s43, exec_lo
	s_and_b32 s24, s25, exec_lo
	;; [unrolled: 1-line block ×3, first 2 shown]
	s_or_b32 s38, s6, s7
.LBB465_906:
	s_or_b32 exec_lo, exec_lo, s39
	s_mov_b32 s3, 0
	s_and_saveexec_b32 s6, s38
	s_cbranch_execnz .LBB465_918
; %bb.907:
	s_or_b32 exec_lo, exec_lo, s6
	s_and_saveexec_b32 s6, s40
	s_delay_alu instid0(SALU_CYCLE_1)
	s_xor_b32 s6, exec_lo, s6
	s_cbranch_execz .LBB465_909
.LBB465_908:
	global_load_u8 v3, v[0:1], off
	s_waitcnt vmcnt(1)
	v_mov_b32_e32 v6, 0
	s_or_b32 s2, s2, exec_lo
	s_waitcnt vmcnt(0)
	v_cmp_ne_u16_e32 vcc_lo, 0, v3
	v_cndmask_b32_e64 v7, 0, 0x3ff00000, vcc_lo
.LBB465_909:
	s_or_b32 exec_lo, exec_lo, s6
	s_and_saveexec_b32 s6, s24
	s_cbranch_execz .LBB465_957
; %bb.910:
	v_cmp_gt_i16_e32 vcc_lo, 5, v8
	s_cbranch_vccnz .LBB465_915
; %bb.911:
	v_cmp_gt_i16_e32 vcc_lo, 8, v8
	s_cbranch_vccnz .LBB465_916
	;; [unrolled: 3-line block ×3, first 2 shown]
; %bb.913:
	v_cmp_lt_i16_e32 vcc_lo, 9, v8
	s_cbranch_vccz .LBB465_920
; %bb.914:
	global_load_b64 v[6:7], v[0:1], off
	s_mov_b32 s7, 0
	s_branch .LBB465_921
.LBB465_915:
                                        ; implicit-def: $vgpr6_vgpr7
	s_branch .LBB465_938
.LBB465_916:
                                        ; implicit-def: $vgpr6_vgpr7
	s_branch .LBB465_927
.LBB465_917:
	s_mov_b32 s7, -1
                                        ; implicit-def: $vgpr6_vgpr7
	s_branch .LBB465_924
.LBB465_918:
	s_cbranch_execnz .LBB465_1188
; %bb.919:
	s_mov_b32 s3, exec_lo
	s_and_not1_b32 s40, s40, exec_lo
                                        ; implicit-def: $vgpr6_vgpr7
	s_or_b32 exec_lo, exec_lo, s6
	s_and_saveexec_b32 s6, s40
	s_delay_alu instid0(SALU_CYCLE_1)
	s_xor_b32 s6, exec_lo, s6
	s_cbranch_execnz .LBB465_908
	s_branch .LBB465_909
.LBB465_920:
	s_mov_b32 s7, -1
                                        ; implicit-def: $vgpr6_vgpr7
.LBB465_921:
	s_delay_alu instid0(SALU_CYCLE_1)
	s_and_not1_b32 vcc_lo, exec_lo, s7
	s_cbranch_vccnz .LBB465_923
; %bb.922:
	global_load_b32 v3, v[0:1], off
	s_waitcnt vmcnt(0)
	v_cvt_f64_f32_e32 v[6:7], v3
.LBB465_923:
	s_mov_b32 s7, 0
.LBB465_924:
	s_delay_alu instid0(SALU_CYCLE_1)
	s_and_not1_b32 vcc_lo, exec_lo, s7
	s_cbranch_vccnz .LBB465_926
; %bb.925:
	global_load_b32 v3, v[0:1], off
	s_waitcnt vmcnt(0)
	v_cvt_f32_f16_e32 v3, v3
	s_delay_alu instid0(VALU_DEP_1)
	v_cvt_f64_f32_e32 v[6:7], v3
.LBB465_926:
	s_cbranch_execnz .LBB465_937
.LBB465_927:
	v_cmp_gt_i16_e32 vcc_lo, 6, v8
	s_cbranch_vccnz .LBB465_930
; %bb.928:
	v_cmp_lt_i16_e32 vcc_lo, 6, v8
	s_cbranch_vccz .LBB465_931
; %bb.929:
	global_load_b64 v[6:7], v[0:1], off
	s_mov_b32 s7, 0
	s_branch .LBB465_932
.LBB465_930:
	s_mov_b32 s7, -1
                                        ; implicit-def: $vgpr6_vgpr7
	s_branch .LBB465_935
.LBB465_931:
	s_mov_b32 s7, -1
                                        ; implicit-def: $vgpr6_vgpr7
.LBB465_932:
	s_delay_alu instid0(SALU_CYCLE_1)
	s_and_not1_b32 vcc_lo, exec_lo, s7
	s_cbranch_vccnz .LBB465_934
; %bb.933:
	global_load_b32 v3, v[0:1], off
	s_waitcnt vmcnt(0)
	v_cvt_f64_f32_e32 v[6:7], v3
.LBB465_934:
	s_mov_b32 s7, 0
.LBB465_935:
	s_delay_alu instid0(SALU_CYCLE_1)
	s_and_not1_b32 vcc_lo, exec_lo, s7
	s_cbranch_vccnz .LBB465_937
; %bb.936:
	global_load_u16 v3, v[0:1], off
	s_waitcnt vmcnt(0)
	v_cvt_f32_f16_e32 v3, v3
	s_delay_alu instid0(VALU_DEP_1)
	v_cvt_f64_f32_e32 v[6:7], v3
.LBB465_937:
	s_cbranch_execnz .LBB465_956
.LBB465_938:
	v_cmp_gt_i16_e32 vcc_lo, 2, v8
	s_cbranch_vccnz .LBB465_942
; %bb.939:
	v_cmp_gt_i16_e32 vcc_lo, 3, v8
	s_cbranch_vccnz .LBB465_943
; %bb.940:
	v_cmp_lt_i16_e32 vcc_lo, 3, v8
	s_cbranch_vccz .LBB465_944
; %bb.941:
	global_load_b64 v[3:4], v[0:1], off
	s_mov_b32 s7, 0
	s_waitcnt vmcnt(0)
	v_cvt_f64_i32_e32 v[4:5], v4
	v_cvt_f64_u32_e32 v[6:7], v3
	s_delay_alu instid0(VALU_DEP_2) | instskip(NEXT) | instid1(VALU_DEP_1)
	v_ldexp_f64 v[4:5], v[4:5], 32
	v_add_f64 v[6:7], v[4:5], v[6:7]
	s_branch .LBB465_945
.LBB465_942:
                                        ; implicit-def: $vgpr6_vgpr7
	s_branch .LBB465_951
.LBB465_943:
	s_mov_b32 s7, -1
                                        ; implicit-def: $vgpr6_vgpr7
	s_branch .LBB465_948
.LBB465_944:
	s_mov_b32 s7, -1
                                        ; implicit-def: $vgpr6_vgpr7
.LBB465_945:
	s_delay_alu instid0(SALU_CYCLE_1)
	s_and_not1_b32 vcc_lo, exec_lo, s7
	s_cbranch_vccnz .LBB465_947
; %bb.946:
	global_load_b32 v3, v[0:1], off
	s_waitcnt vmcnt(0)
	v_cvt_f64_i32_e32 v[6:7], v3
.LBB465_947:
	s_mov_b32 s7, 0
.LBB465_948:
	s_delay_alu instid0(SALU_CYCLE_1)
	s_and_not1_b32 vcc_lo, exec_lo, s7
	s_cbranch_vccnz .LBB465_950
; %bb.949:
	global_load_i16 v3, v[0:1], off
	s_waitcnt vmcnt(0)
	v_cvt_f64_i32_e32 v[6:7], v3
.LBB465_950:
	s_cbranch_execnz .LBB465_956
.LBB465_951:
	v_cmp_lt_i16_e32 vcc_lo, 0, v8
	s_mov_b32 s7, 0
	s_cbranch_vccz .LBB465_953
; %bb.952:
	global_load_i8 v3, v[0:1], off
	s_waitcnt vmcnt(0)
	v_cvt_f64_i32_e32 v[6:7], v3
	s_branch .LBB465_954
.LBB465_953:
	s_mov_b32 s7, -1
                                        ; implicit-def: $vgpr6_vgpr7
.LBB465_954:
	s_delay_alu instid0(SALU_CYCLE_1)
	s_and_not1_b32 vcc_lo, exec_lo, s7
	s_cbranch_vccnz .LBB465_956
; %bb.955:
	global_load_u8 v0, v[0:1], off
	s_waitcnt vmcnt(0)
	v_cvt_f64_u32_e32 v[6:7], v0
.LBB465_956:
	s_or_b32 s2, s2, exec_lo
.LBB465_957:
	s_or_b32 exec_lo, exec_lo, s6
	s_mov_b32 s8, 0
	s_mov_b32 s7, 0
                                        ; implicit-def: $vgpr8
                                        ; implicit-def: $vgpr4_vgpr5
                                        ; implicit-def: $vgpr0_vgpr1
	s_and_saveexec_b32 s6, s2
	s_cbranch_execz .LBB465_1034
; %bb.958:
	v_max_f64 v[0:1], s[18:19], s[18:19]
	s_waitcnt vmcnt(0)
	s_delay_alu instid0(VALU_DEP_2) | instskip(SKIP_2) | instid1(VALU_DEP_1)
	v_max_f64 v[3:4], v[6:7], v[6:7]
	v_cmp_u_f64_e32 vcc_lo, v[6:7], v[6:7]
	v_and_b32_e64 v8, 0xff, s31
	v_cmp_gt_i16_e64 s2, 11, v8
	s_delay_alu instid0(VALU_DEP_4) | instskip(SKIP_1) | instid1(VALU_DEP_1)
	v_min_f64 v[0:1], v[3:4], v[0:1]
	v_add_co_u32 v4, s4, s4, v2
	v_add_co_ci_u32_e64 v5, null, s5, 0, s4
	s_mov_b32 s4, -1
	s_delay_alu instid0(VALU_DEP_3)
	v_dual_cndmask_b32 v1, v1, v7 :: v_dual_cndmask_b32 v0, v0, v6
	s_and_b32 vcc_lo, exec_lo, s2
	s_mov_b32 s2, s37
	s_cbranch_vccnz .LBB465_1033
; %bb.959:
	v_cmp_lt_i16_e32 vcc_lo, 25, v8
	s_mov_b32 s2, s37
	s_cbranch_vccz .LBB465_992
; %bb.960:
	v_cmp_lt_i16_e32 vcc_lo, 28, v8
	s_mov_b32 s2, s37
	s_cbranch_vccz .LBB465_976
	;; [unrolled: 4-line block ×4, first 2 shown]
; %bb.963:
	v_cmp_eq_u16_e32 vcc_lo, 46, v8
	s_mov_b32 s2, -1
	s_cbranch_vccz .LBB465_965
; %bb.964:
	v_cvt_f32_f64_e32 v2, v[0:1]
	s_mov_b32 s2, 0
	s_delay_alu instid0(VALU_DEP_1) | instskip(SKIP_1) | instid1(VALU_DEP_2)
	v_bfe_u32 v3, v2, 16, 1
	v_cmp_o_f32_e32 vcc_lo, v2, v2
	v_add3_u32 v3, v2, v3, 0x7fff
	s_delay_alu instid0(VALU_DEP_1) | instskip(NEXT) | instid1(VALU_DEP_1)
	v_lshrrev_b32_e32 v3, 16, v3
	v_cndmask_b32_e32 v2, 0x7fc0, v3, vcc_lo
	global_store_b32 v[4:5], v2, off
.LBB465_965:
	s_mov_b32 s4, 0
.LBB465_966:
	s_delay_alu instid0(SALU_CYCLE_1)
	s_and_b32 vcc_lo, exec_lo, s4
	s_cbranch_vccz .LBB465_971
; %bb.967:
	v_cmp_eq_u16_e32 vcc_lo, 44, v8
	s_mov_b32 s2, -1
	s_cbranch_vccz .LBB465_971
; %bb.968:
	v_cvt_f32_f64_e32 v2, v[0:1]
	v_mov_b32_e32 v3, 0xff
	s_mov_b32 s4, exec_lo
	s_delay_alu instid0(VALU_DEP_2) | instskip(NEXT) | instid1(VALU_DEP_1)
	v_bfe_u32 v6, v2, 23, 8
	v_cmpx_ne_u32_e32 0xff, v6
; %bb.969:
	v_and_b32_e32 v3, 0x400000, v2
	v_and_or_b32 v6, 0x3fffff, v2, v6
	v_lshrrev_b32_e32 v2, 23, v2
	s_delay_alu instid0(VALU_DEP_3) | instskip(NEXT) | instid1(VALU_DEP_3)
	v_cmp_ne_u32_e32 vcc_lo, 0, v3
	v_cmp_ne_u32_e64 s2, 0, v6
	s_delay_alu instid0(VALU_DEP_1) | instskip(NEXT) | instid1(SALU_CYCLE_1)
	s_and_b32 s2, vcc_lo, s2
	v_cndmask_b32_e64 v3, 0, 1, s2
	s_delay_alu instid0(VALU_DEP_1)
	v_add_nc_u32_e32 v3, v2, v3
; %bb.970:
	s_or_b32 exec_lo, exec_lo, s4
	s_mov_b32 s2, 0
	global_store_b8 v[4:5], v3, off
.LBB465_971:
	s_mov_b32 s4, 0
.LBB465_972:
	s_delay_alu instid0(SALU_CYCLE_1)
	s_and_b32 vcc_lo, exec_lo, s4
	s_cbranch_vccz .LBB465_975
; %bb.973:
	v_cmp_eq_u16_e32 vcc_lo, 29, v8
	s_mov_b32 s2, -1
	s_cbranch_vccz .LBB465_975
; %bb.974:
	v_trunc_f64_e32 v[2:3], v[0:1]
	s_mov_b32 s2, 0
	s_delay_alu instid0(VALU_DEP_1) | instskip(NEXT) | instid1(VALU_DEP_1)
	v_ldexp_f64 v[6:7], v[2:3], 0xffffffe0
	v_floor_f64_e32 v[6:7], v[6:7]
	s_delay_alu instid0(VALU_DEP_1) | instskip(SKIP_1) | instid1(VALU_DEP_2)
	v_fma_f64 v[2:3], 0xc1f00000, v[6:7], v[2:3]
	v_cvt_u32_f64_e32 v7, v[6:7]
	v_cvt_u32_f64_e32 v6, v[2:3]
	global_store_b64 v[4:5], v[6:7], off
.LBB465_975:
	s_mov_b32 s4, 0
.LBB465_976:
	s_delay_alu instid0(SALU_CYCLE_1)
	s_and_b32 vcc_lo, exec_lo, s4
	s_cbranch_vccz .LBB465_991
; %bb.977:
	v_cmp_gt_i16_e32 vcc_lo, 27, v8
	s_mov_b32 s4, -1
	s_cbranch_vccnz .LBB465_983
; %bb.978:
	v_cvt_u32_f64_e32 v2, v[0:1]
	v_cmp_lt_i16_e32 vcc_lo, 27, v8
	s_cbranch_vccz .LBB465_980
; %bb.979:
	s_mov_b32 s4, 0
	global_store_b32 v[4:5], v2, off
.LBB465_980:
	s_and_not1_b32 vcc_lo, exec_lo, s4
	s_cbranch_vccnz .LBB465_982
; %bb.981:
	global_store_b16 v[4:5], v2, off
.LBB465_982:
	s_mov_b32 s4, 0
.LBB465_983:
	s_delay_alu instid0(SALU_CYCLE_1)
	s_and_not1_b32 vcc_lo, exec_lo, s4
	s_cbranch_vccnz .LBB465_991
; %bb.984:
	v_cvt_f32_f64_e32 v2, v[0:1]
	v_mov_b32_e32 v6, 0x80
	s_mov_b32 s4, exec_lo
	s_delay_alu instid0(VALU_DEP_2) | instskip(NEXT) | instid1(VALU_DEP_1)
	v_and_b32_e32 v3, 0x7fffffff, v2
	v_cmpx_gt_u32_e32 0x43800000, v3
	s_cbranch_execz .LBB465_990
; %bb.985:
	v_cmp_lt_u32_e32 vcc_lo, 0x3bffffff, v3
	s_mov_b32 s5, 0
                                        ; implicit-def: $vgpr3
	s_and_saveexec_b32 s7, vcc_lo
	s_delay_alu instid0(SALU_CYCLE_1)
	s_xor_b32 s7, exec_lo, s7
	s_cbranch_execz .LBB465_1279
; %bb.986:
	v_bfe_u32 v3, v2, 20, 1
	s_mov_b32 s5, exec_lo
	s_delay_alu instid0(VALU_DEP_1) | instskip(NEXT) | instid1(VALU_DEP_1)
	v_add3_u32 v3, v2, v3, 0x487ffff
	v_lshrrev_b32_e32 v3, 20, v3
	s_or_saveexec_b32 s7, s7
                                        ; implicit-def: $sgpr8
	s_delay_alu instid0(SALU_CYCLE_1)
	s_xor_b32 exec_lo, exec_lo, s7
	s_cbranch_execnz .LBB465_1280
.LBB465_987:
	s_or_b32 exec_lo, exec_lo, s7
	v_mov_b32_e32 v6, s8
	s_and_saveexec_b32 s7, s5
.LBB465_988:
	v_lshrrev_b32_e32 v2, 24, v2
	s_delay_alu instid0(VALU_DEP_1)
	v_and_or_b32 v6, 0x80, v2, v3
.LBB465_989:
	s_or_b32 exec_lo, exec_lo, s7
.LBB465_990:
	s_delay_alu instid0(SALU_CYCLE_1)
	s_or_b32 exec_lo, exec_lo, s4
	global_store_b8 v[4:5], v6, off
.LBB465_991:
	s_mov_b32 s4, 0
.LBB465_992:
	s_delay_alu instid0(SALU_CYCLE_1)
	s_and_b32 vcc_lo, exec_lo, s4
	s_mov_b32 s4, 0
	s_cbranch_vccz .LBB465_1032
; %bb.993:
	v_cmp_lt_i16_e32 vcc_lo, 22, v8
	s_mov_b32 s5, -1
	s_cbranch_vccz .LBB465_1025
; %bb.994:
	v_cmp_gt_i16_e32 vcc_lo, 24, v8
	s_cbranch_vccnz .LBB465_1014
; %bb.995:
	v_cmp_lt_i16_e32 vcc_lo, 24, v8
	s_cbranch_vccz .LBB465_1003
; %bb.996:
	v_cvt_f32_f64_e32 v2, v[0:1]
	v_mov_b32_e32 v6, 0x80
	s_mov_b32 s5, exec_lo
	s_delay_alu instid0(VALU_DEP_2) | instskip(NEXT) | instid1(VALU_DEP_1)
	v_and_b32_e32 v3, 0x7fffffff, v2
	v_cmpx_gt_u32_e32 0x47800000, v3
	s_cbranch_execz .LBB465_1002
; %bb.997:
	v_cmp_lt_u32_e32 vcc_lo, 0x37ffffff, v3
	s_mov_b32 s7, 0
                                        ; implicit-def: $vgpr3
	s_and_saveexec_b32 s8, vcc_lo
	s_delay_alu instid0(SALU_CYCLE_1)
	s_xor_b32 s8, exec_lo, s8
	s_cbranch_execz .LBB465_1323
; %bb.998:
	v_bfe_u32 v3, v2, 21, 1
	s_mov_b32 s7, exec_lo
	s_delay_alu instid0(VALU_DEP_1) | instskip(NEXT) | instid1(VALU_DEP_1)
	v_add3_u32 v3, v2, v3, 0x88fffff
	v_lshrrev_b32_e32 v3, 21, v3
	s_or_saveexec_b32 s8, s8
                                        ; implicit-def: $sgpr9
	s_delay_alu instid0(SALU_CYCLE_1)
	s_xor_b32 exec_lo, exec_lo, s8
	s_cbranch_execnz .LBB465_1324
.LBB465_999:
	s_or_b32 exec_lo, exec_lo, s8
	v_mov_b32_e32 v6, s9
	s_and_saveexec_b32 s8, s7
.LBB465_1000:
	v_lshrrev_b32_e32 v2, 24, v2
	s_delay_alu instid0(VALU_DEP_1)
	v_and_or_b32 v6, 0x80, v2, v3
.LBB465_1001:
	s_or_b32 exec_lo, exec_lo, s8
.LBB465_1002:
	s_delay_alu instid0(SALU_CYCLE_1)
	s_or_b32 exec_lo, exec_lo, s5
	s_mov_b32 s5, 0
	global_store_b8 v[4:5], v6, off
.LBB465_1003:
	s_and_b32 vcc_lo, exec_lo, s5
	s_cbranch_vccz .LBB465_1013
; %bb.1004:
	v_cvt_f32_f64_e32 v2, v[0:1]
	s_mov_b32 s5, exec_lo
                                        ; implicit-def: $vgpr3
	s_delay_alu instid0(VALU_DEP_1) | instskip(NEXT) | instid1(VALU_DEP_1)
	v_and_b32_e32 v6, 0x7fffffff, v2
	v_cmpx_gt_u32_e32 0x43f00000, v6
	s_xor_b32 s5, exec_lo, s5
	s_cbranch_execz .LBB465_1010
; %bb.1005:
	s_mov_b32 s7, exec_lo
                                        ; implicit-def: $vgpr3
	v_cmpx_lt_u32_e32 0x3c7fffff, v6
	s_xor_b32 s7, exec_lo, s7
; %bb.1006:
	v_bfe_u32 v3, v2, 20, 1
	s_delay_alu instid0(VALU_DEP_1) | instskip(NEXT) | instid1(VALU_DEP_1)
	v_add3_u32 v3, v2, v3, 0x407ffff
	v_and_b32_e32 v6, 0xff00000, v3
	v_lshrrev_b32_e32 v3, 20, v3
	s_delay_alu instid0(VALU_DEP_2) | instskip(NEXT) | instid1(VALU_DEP_2)
	v_cmp_ne_u32_e32 vcc_lo, 0x7f00000, v6
	v_cndmask_b32_e32 v3, 0x7e, v3, vcc_lo
; %bb.1007:
	s_and_not1_saveexec_b32 s7, s7
; %bb.1008:
	v_add_f32_e64 v3, 0x46800000, |v2|
; %bb.1009:
	s_or_b32 exec_lo, exec_lo, s7
                                        ; implicit-def: $vgpr6
.LBB465_1010:
	s_and_not1_saveexec_b32 s5, s5
; %bb.1011:
	v_mov_b32_e32 v3, 0x7f
	v_cmp_lt_u32_e32 vcc_lo, 0x7f800000, v6
	s_delay_alu instid0(VALU_DEP_2)
	v_cndmask_b32_e32 v3, 0x7e, v3, vcc_lo
; %bb.1012:
	s_or_b32 exec_lo, exec_lo, s5
	v_lshrrev_b32_e32 v2, 24, v2
	s_delay_alu instid0(VALU_DEP_1)
	v_and_or_b32 v2, 0x80, v2, v3
	global_store_b8 v[4:5], v2, off
.LBB465_1013:
	s_mov_b32 s5, 0
.LBB465_1014:
	s_delay_alu instid0(SALU_CYCLE_1)
	s_and_not1_b32 vcc_lo, exec_lo, s5
	s_cbranch_vccnz .LBB465_1024
; %bb.1015:
	v_cvt_f32_f64_e32 v2, v[0:1]
	s_mov_b32 s5, exec_lo
                                        ; implicit-def: $vgpr3
	s_delay_alu instid0(VALU_DEP_1) | instskip(NEXT) | instid1(VALU_DEP_1)
	v_and_b32_e32 v6, 0x7fffffff, v2
	v_cmpx_gt_u32_e32 0x47800000, v6
	s_xor_b32 s5, exec_lo, s5
	s_cbranch_execz .LBB465_1021
; %bb.1016:
	s_mov_b32 s7, exec_lo
                                        ; implicit-def: $vgpr3
	v_cmpx_lt_u32_e32 0x387fffff, v6
	s_xor_b32 s7, exec_lo, s7
; %bb.1017:
	v_bfe_u32 v3, v2, 21, 1
	s_delay_alu instid0(VALU_DEP_1) | instskip(NEXT) | instid1(VALU_DEP_1)
	v_add3_u32 v3, v2, v3, 0x80fffff
	v_lshrrev_b32_e32 v3, 21, v3
; %bb.1018:
	s_and_not1_saveexec_b32 s7, s7
; %bb.1019:
	v_add_f32_e64 v3, 0x43000000, |v2|
; %bb.1020:
	s_or_b32 exec_lo, exec_lo, s7
                                        ; implicit-def: $vgpr6
.LBB465_1021:
	s_and_not1_saveexec_b32 s5, s5
; %bb.1022:
	v_mov_b32_e32 v3, 0x7f
	v_cmp_lt_u32_e32 vcc_lo, 0x7f800000, v6
	s_delay_alu instid0(VALU_DEP_2)
	v_cndmask_b32_e32 v3, 0x7c, v3, vcc_lo
; %bb.1023:
	s_or_b32 exec_lo, exec_lo, s5
	v_lshrrev_b32_e32 v2, 24, v2
	s_delay_alu instid0(VALU_DEP_1)
	v_and_or_b32 v2, 0x80, v2, v3
	global_store_b8 v[4:5], v2, off
.LBB465_1024:
	s_mov_b32 s5, 0
.LBB465_1025:
	s_delay_alu instid0(SALU_CYCLE_1)
	s_and_not1_b32 vcc_lo, exec_lo, s5
	s_mov_b32 s8, 0
	s_cbranch_vccnz .LBB465_1033
; %bb.1026:
	v_cmp_lt_i16_e32 vcc_lo, 14, v8
	s_mov_b32 s5, -1
	s_cbranch_vccz .LBB465_1030
; %bb.1027:
	v_cmp_eq_u16_e32 vcc_lo, 15, v8
	s_mov_b32 s2, -1
	s_cbranch_vccz .LBB465_1029
; %bb.1028:
	v_cvt_f32_f64_e32 v2, v[0:1]
	s_mov_b32 s2, 0
	s_delay_alu instid0(VALU_DEP_1) | instskip(SKIP_1) | instid1(VALU_DEP_2)
	v_bfe_u32 v3, v2, 16, 1
	v_cmp_o_f32_e32 vcc_lo, v2, v2
	v_add3_u32 v3, v2, v3, 0x7fff
	s_delay_alu instid0(VALU_DEP_1) | instskip(NEXT) | instid1(VALU_DEP_1)
	v_lshrrev_b32_e32 v3, 16, v3
	v_cndmask_b32_e32 v2, 0x7fc0, v3, vcc_lo
	global_store_b16 v[4:5], v2, off
.LBB465_1029:
	s_mov_b32 s5, 0
.LBB465_1030:
	s_delay_alu instid0(SALU_CYCLE_1)
	s_and_b32 vcc_lo, exec_lo, s5
	s_cbranch_vccz .LBB465_1033
; %bb.1031:
	v_cmp_ne_u16_e32 vcc_lo, 11, v8
	s_and_not1_b32 s2, s2, exec_lo
	s_mov_b32 s8, -1
	s_and_b32 s5, vcc_lo, exec_lo
	s_delay_alu instid0(SALU_CYCLE_1)
	s_or_b32 s2, s2, s5
	s_branch .LBB465_1033
.LBB465_1032:
	s_mov_b32 s8, 0
.LBB465_1033:
	s_and_b32 s7, s4, exec_lo
	s_and_not1_b32 s4, s37, exec_lo
	s_and_b32 s2, s2, exec_lo
	s_and_b32 s8, s8, exec_lo
	s_or_b32 s37, s4, s2
.LBB465_1034:
	s_or_b32 exec_lo, exec_lo, s6
	s_and_saveexec_b32 s2, s37
	s_cbranch_execnz .LBB465_1148
; %bb.1035:
	s_or_b32 exec_lo, exec_lo, s2
	s_and_saveexec_b32 s2, s8
	s_delay_alu instid0(SALU_CYCLE_1)
	s_xor_b32 s2, exec_lo, s2
	s_cbranch_execz .LBB465_1037
.LBB465_1036:
	v_cmp_neq_f64_e32 vcc_lo, 0, v[0:1]
	v_cndmask_b32_e64 v2, 0, 1, vcc_lo
	global_store_b8 v[4:5], v2, off
.LBB465_1037:
	s_or_b32 exec_lo, exec_lo, s2
	s_and_saveexec_b32 s2, s7
	s_delay_alu instid0(SALU_CYCLE_1)
	s_xor_b32 s2, exec_lo, s2
	s_cbranch_execz .LBB465_1075
; %bb.1038:
	v_cmp_gt_i16_e32 vcc_lo, 5, v8
	s_mov_b32 s4, -1
	s_cbranch_vccnz .LBB465_1059
; %bb.1039:
	v_cmp_gt_i16_e32 vcc_lo, 8, v8
	s_cbranch_vccnz .LBB465_1049
; %bb.1040:
	v_cmp_gt_i16_e32 vcc_lo, 9, v8
	s_cbranch_vccnz .LBB465_1046
; %bb.1041:
	v_cmp_lt_i16_e32 vcc_lo, 9, v8
	s_cbranch_vccz .LBB465_1043
; %bb.1042:
	v_mov_b32_e32 v2, 0
	s_mov_b32 s4, 0
	s_delay_alu instid0(VALU_DEP_1)
	v_mov_b32_e32 v3, v2
	global_store_b128 v[4:5], v[0:3], off
.LBB465_1043:
	s_and_not1_b32 vcc_lo, exec_lo, s4
	s_cbranch_vccnz .LBB465_1045
; %bb.1044:
	v_cvt_f32_f64_e32 v2, v[0:1]
	v_mov_b32_e32 v3, 0
	global_store_b64 v[4:5], v[2:3], off
.LBB465_1045:
	s_mov_b32 s4, 0
.LBB465_1046:
	s_delay_alu instid0(SALU_CYCLE_1)
	s_and_not1_b32 vcc_lo, exec_lo, s4
	s_cbranch_vccnz .LBB465_1048
; %bb.1047:
	v_cvt_f32_f64_e32 v2, v[0:1]
	s_delay_alu instid0(VALU_DEP_1) | instskip(NEXT) | instid1(VALU_DEP_1)
	v_cvt_f16_f32_e32 v2, v2
	v_and_b32_e32 v2, 0xffff, v2
	global_store_b32 v[4:5], v2, off
.LBB465_1048:
	s_mov_b32 s4, 0
.LBB465_1049:
	s_delay_alu instid0(SALU_CYCLE_1)
	s_and_not1_b32 vcc_lo, exec_lo, s4
	s_cbranch_vccnz .LBB465_1058
; %bb.1050:
	v_cmp_gt_i16_e32 vcc_lo, 6, v8
	s_mov_b32 s4, -1
	s_cbranch_vccnz .LBB465_1056
; %bb.1051:
	v_cmp_lt_i16_e32 vcc_lo, 6, v8
	s_cbranch_vccz .LBB465_1053
; %bb.1052:
	s_mov_b32 s4, 0
	global_store_b64 v[4:5], v[0:1], off
.LBB465_1053:
	s_and_not1_b32 vcc_lo, exec_lo, s4
	s_cbranch_vccnz .LBB465_1055
; %bb.1054:
	v_cvt_f32_f64_e32 v2, v[0:1]
	global_store_b32 v[4:5], v2, off
.LBB465_1055:
	s_mov_b32 s4, 0
.LBB465_1056:
	s_delay_alu instid0(SALU_CYCLE_1)
	s_and_not1_b32 vcc_lo, exec_lo, s4
	s_cbranch_vccnz .LBB465_1058
; %bb.1057:
	v_cvt_f32_f64_e32 v2, v[0:1]
	s_delay_alu instid0(VALU_DEP_1)
	v_cvt_f16_f32_e32 v2, v2
	global_store_b16 v[4:5], v2, off
.LBB465_1058:
	s_mov_b32 s4, 0
.LBB465_1059:
	s_delay_alu instid0(SALU_CYCLE_1)
	s_and_not1_b32 vcc_lo, exec_lo, s4
	s_cbranch_vccnz .LBB465_1075
; %bb.1060:
	v_cmp_gt_i16_e32 vcc_lo, 2, v8
	s_mov_b32 s4, -1
	s_cbranch_vccnz .LBB465_1070
; %bb.1061:
	v_cmp_gt_i16_e32 vcc_lo, 3, v8
	s_cbranch_vccnz .LBB465_1067
; %bb.1062:
	v_cmp_lt_i16_e32 vcc_lo, 3, v8
	s_cbranch_vccz .LBB465_1064
; %bb.1063:
	v_trunc_f64_e32 v[2:3], v[0:1]
	s_mov_b32 s4, 0
	s_waitcnt vmcnt(0)
	s_delay_alu instid0(VALU_DEP_1) | instskip(NEXT) | instid1(VALU_DEP_1)
	v_ldexp_f64 v[6:7], v[2:3], 0xffffffe0
	v_floor_f64_e32 v[6:7], v[6:7]
	s_delay_alu instid0(VALU_DEP_1) | instskip(SKIP_1) | instid1(VALU_DEP_2)
	v_fma_f64 v[2:3], 0xc1f00000, v[6:7], v[2:3]
	v_cvt_i32_f64_e32 v7, v[6:7]
	v_cvt_u32_f64_e32 v6, v[2:3]
	global_store_b64 v[4:5], v[6:7], off
.LBB465_1064:
	s_and_not1_b32 vcc_lo, exec_lo, s4
	s_cbranch_vccnz .LBB465_1066
; %bb.1065:
	v_cvt_i32_f64_e32 v2, v[0:1]
	global_store_b32 v[4:5], v2, off
.LBB465_1066:
	s_mov_b32 s4, 0
.LBB465_1067:
	s_delay_alu instid0(SALU_CYCLE_1)
	s_and_not1_b32 vcc_lo, exec_lo, s4
	s_cbranch_vccnz .LBB465_1069
; %bb.1068:
	v_cvt_i32_f64_e32 v2, v[0:1]
	global_store_b16 v[4:5], v2, off
.LBB465_1069:
	s_mov_b32 s4, 0
.LBB465_1070:
	s_delay_alu instid0(SALU_CYCLE_1)
	s_and_not1_b32 vcc_lo, exec_lo, s4
	s_cbranch_vccnz .LBB465_1075
; %bb.1071:
	v_cmp_lt_i16_e32 vcc_lo, 0, v8
	s_mov_b32 s4, -1
	s_cbranch_vccz .LBB465_1073
; %bb.1072:
	v_cvt_i32_f64_e32 v2, v[0:1]
	s_mov_b32 s4, 0
	global_store_b8 v[4:5], v2, off
.LBB465_1073:
	s_and_not1_b32 vcc_lo, exec_lo, s4
	s_cbranch_vccnz .LBB465_1075
; %bb.1074:
	v_trunc_f64_e32 v[0:1], v[0:1]
	s_delay_alu instid0(VALU_DEP_1) | instskip(NEXT) | instid1(VALU_DEP_1)
	v_ldexp_f64 v[2:3], v[0:1], 0xffffffe0
	v_floor_f64_e32 v[2:3], v[2:3]
	s_delay_alu instid0(VALU_DEP_1) | instskip(NEXT) | instid1(VALU_DEP_1)
	v_fma_f64 v[0:1], 0xc1f00000, v[2:3], v[0:1]
	v_cvt_u32_f64_e32 v0, v[0:1]
	global_store_b8 v[4:5], v0, off
.LBB465_1075:
	s_or_b32 exec_lo, exec_lo, s2
	s_delay_alu instid0(SALU_CYCLE_1)
	s_and_b32 s8, s3, exec_lo
                                        ; implicit-def: $vgpr3
                                        ; implicit-def: $vgpr9
.LBB465_1076:
	s_or_saveexec_b32 s9, s30
	s_mov_b32 s4, 0
                                        ; implicit-def: $vgpr4_vgpr5
                                        ; implicit-def: $sgpr3
                                        ; implicit-def: $vgpr0_vgpr1
	s_xor_b32 exec_lo, exec_lo, s9
	s_cbranch_execz .LBB465_2051
; %bb.1077:
	v_cndmask_b32_e64 v1, 0, 1, s29
	s_and_not1_b32 vcc_lo, exec_lo, s29
	s_cbranch_vccnz .LBB465_1083
; %bb.1078:
	v_mov_b32_e32 v0, 0
	v_mov_b32_e32 v2, 0
	s_cmp_lg_u32 s26, 0
	s_mov_b32 s6, 0
	s_cbranch_scc0 .LBB465_1087
; %bb.1079:
	s_min_u32 s7, s27, 15
	v_mov_b32_e32 v0, 0
	s_add_i32 s7, s7, 1
	s_cmp_eq_u32 s27, 2
	s_mov_b32 s10, 0
	s_cbranch_scc1 .LBB465_1084
; %bb.1080:
	v_mov_b32_e32 v2, 0
	v_mov_b32_e32 v0, 0
	;; [unrolled: 1-line block ×3, first 2 shown]
	s_add_u32 s2, s16, 0xc4
	s_addc_u32 s3, s17, 0
	s_and_b32 s10, s7, 28
	s_mov_b32 s11, 0
	s_mov_b64 s[4:5], s[16:17]
.LBB465_1081:                           ; =>This Inner Loop Header: Depth=1
	s_clause 0x1
	s_load_b256 s[36:43], s[4:5], 0x4
	s_load_b128 s[12:15], s[4:5], 0x24
	s_load_b256 s[44:51], s[2:3], 0x0
	s_add_u32 s4, s4, 48
	s_addc_u32 s5, s5, 0
	s_add_i32 s11, s11, 4
	s_add_u32 s2, s2, 32
	s_addc_u32 s3, s3, 0
	s_cmp_lg_u32 s10, s11
	s_waitcnt lgkmcnt(0)
	v_mul_hi_u32 v5, s37, v4
	s_delay_alu instid0(VALU_DEP_1) | instskip(NEXT) | instid1(VALU_DEP_1)
	v_add_nc_u32_e32 v5, v4, v5
	v_lshrrev_b32_e32 v5, s38, v5
	s_waitcnt vmcnt(0)
	s_delay_alu instid0(VALU_DEP_1) | instskip(SKIP_1) | instid1(VALU_DEP_2)
	v_mul_hi_u32 v6, s40, v5
	v_mul_lo_u32 v8, v5, s36
	v_add_nc_u32_e32 v6, v5, v6
	s_delay_alu instid0(VALU_DEP_2) | instskip(NEXT) | instid1(VALU_DEP_2)
	v_sub_nc_u32_e32 v4, v4, v8
	v_lshrrev_b32_e32 v6, s41, v6
	s_delay_alu instid0(VALU_DEP_2) | instskip(SKIP_1) | instid1(VALU_DEP_3)
	v_mul_lo_u32 v8, v4, s44
	v_mul_lo_u32 v11, v4, s45
	v_mul_hi_u32 v7, s43, v6
	s_delay_alu instid0(VALU_DEP_1) | instskip(NEXT) | instid1(VALU_DEP_1)
	v_add_nc_u32_e32 v7, v6, v7
	v_lshrrev_b32_e32 v7, s12, v7
	s_delay_alu instid0(VALU_DEP_1) | instskip(SKIP_1) | instid1(VALU_DEP_2)
	v_mul_hi_u32 v10, s14, v7
	v_mul_lo_u32 v12, v7, s42
	v_add_nc_u32_e32 v4, v7, v10
	v_mul_lo_u32 v10, v6, s39
	s_delay_alu instid0(VALU_DEP_3) | instskip(NEXT) | instid1(VALU_DEP_3)
	v_sub_nc_u32_e32 v6, v6, v12
	v_lshrrev_b32_e32 v4, s15, v4
	s_delay_alu instid0(VALU_DEP_2) | instskip(SKIP_2) | instid1(VALU_DEP_4)
	v_mul_lo_u32 v12, v6, s48
	v_mul_lo_u32 v6, v6, s49
	v_sub_nc_u32_e32 v5, v5, v10
	v_mul_lo_u32 v13, v4, s13
	s_delay_alu instid0(VALU_DEP_2) | instskip(SKIP_1) | instid1(VALU_DEP_3)
	v_mul_lo_u32 v10, v5, s46
	v_mul_lo_u32 v5, v5, s47
	v_sub_nc_u32_e32 v7, v7, v13
	s_delay_alu instid0(VALU_DEP_3) | instskip(NEXT) | instid1(VALU_DEP_2)
	v_add3_u32 v0, v8, v0, v10
	v_mul_lo_u32 v13, v7, s50
	v_mul_lo_u32 v7, v7, s51
	v_add3_u32 v2, v11, v2, v5
	s_delay_alu instid0(VALU_DEP_3) | instskip(NEXT) | instid1(VALU_DEP_2)
	v_add3_u32 v0, v12, v0, v13
	v_add3_u32 v2, v6, v2, v7
	s_cbranch_scc1 .LBB465_1081
; %bb.1082:
	s_and_b32 s7, s7, 3
	s_delay_alu instid0(SALU_CYCLE_1)
	s_cmp_eq_u32 s7, 0
	s_cbranch_scc0 .LBB465_1085
	s_branch .LBB465_1087
.LBB465_1083:
	s_mov_b32 s6, -1
                                        ; implicit-def: $vgpr0
                                        ; implicit-def: $vgpr2
	s_branch .LBB465_1087
.LBB465_1084:
	v_mov_b32_e32 v4, v9
	v_mov_b32_e32 v2, 0
	s_and_b32 s7, s7, 3
	s_delay_alu instid0(SALU_CYCLE_1)
	s_cmp_eq_u32 s7, 0
	s_cbranch_scc1 .LBB465_1087
.LBB465_1085:
	s_lshl_b32 s2, s10, 3
	s_mul_i32 s4, s10, 12
	s_add_u32 s2, s2, s16
	s_addc_u32 s3, 0, s17
	s_add_u32 s2, s2, 0xc4
	s_addc_u32 s3, s3, 0
	;; [unrolled: 2-line block ×3, first 2 shown]
	.p2align	6
.LBB465_1086:                           ; =>This Inner Loop Header: Depth=1
	s_clause 0x1
	s_load_b64 s[10:11], s[4:5], 0x4
	s_load_b32 s14, s[4:5], 0xc
	s_load_b64 s[12:13], s[2:3], 0x0
	s_add_u32 s4, s4, 12
	s_addc_u32 s5, s5, 0
	s_add_u32 s2, s2, 8
	s_addc_u32 s3, s3, 0
	s_add_i32 s7, s7, -1
	s_delay_alu instid0(SALU_CYCLE_1) | instskip(SKIP_2) | instid1(VALU_DEP_1)
	s_cmp_lg_u32 s7, 0
	s_waitcnt lgkmcnt(0)
	v_mul_hi_u32 v5, s11, v4
	v_add_nc_u32_e32 v5, v4, v5
	s_delay_alu instid0(VALU_DEP_1) | instskip(NEXT) | instid1(VALU_DEP_1)
	v_lshrrev_b32_e32 v8, s14, v5
	v_mul_lo_u32 v5, v8, s10
	s_delay_alu instid0(VALU_DEP_1) | instskip(SKIP_1) | instid1(VALU_DEP_1)
	v_sub_nc_u32_e32 v4, v4, v5
	s_waitcnt vmcnt(0)
	v_mad_u64_u32 v[5:6], null, v4, s12, v[0:1]
	v_mad_u64_u32 v[6:7], null, v4, s13, v[2:3]
	v_mov_b32_e32 v4, v8
	s_delay_alu instid0(VALU_DEP_3) | instskip(NEXT) | instid1(VALU_DEP_3)
	v_mov_b32_e32 v0, v5
	v_mov_b32_e32 v2, v6
	s_cbranch_scc1 .LBB465_1086
.LBB465_1087:
	s_and_not1_b32 vcc_lo, exec_lo, s6
	s_cbranch_vccnz .LBB465_1090
; %bb.1088:
	s_clause 0x1
	s_load_b128 s[4:7], s[16:17], 0x4
	s_load_b64 s[2:3], s[16:17], 0xc4
	s_cmp_lt_u32 s26, 2
	s_waitcnt lgkmcnt(0)
	v_mul_hi_u32 v0, s5, v9
	s_delay_alu instid0(VALU_DEP_1) | instskip(NEXT) | instid1(VALU_DEP_1)
	v_add_nc_u32_e32 v0, v9, v0
	v_lshrrev_b32_e32 v4, s6, v0
	s_delay_alu instid0(VALU_DEP_1) | instskip(NEXT) | instid1(VALU_DEP_1)
	v_mul_lo_u32 v0, v4, s4
	v_sub_nc_u32_e32 v2, v9, v0
	s_delay_alu instid0(VALU_DEP_1)
	v_mul_lo_u32 v0, v2, s2
	v_mul_lo_u32 v2, v2, s3
	s_cbranch_scc1 .LBB465_1090
; %bb.1089:
	s_clause 0x1
	s_load_b128 s[4:7], s[16:17], 0x10
	s_load_b64 s[2:3], s[16:17], 0xcc
	s_waitcnt lgkmcnt(0)
	v_mul_hi_u32 v5, s5, v4
	s_delay_alu instid0(VALU_DEP_1) | instskip(NEXT) | instid1(VALU_DEP_1)
	v_add_nc_u32_e32 v5, v4, v5
	v_lshrrev_b32_e32 v5, s6, v5
	s_delay_alu instid0(VALU_DEP_1) | instskip(SKIP_1) | instid1(VALU_DEP_1)
	v_mul_lo_u32 v5, v5, s4
	s_waitcnt vmcnt(0)
	v_sub_nc_u32_e32 v7, v4, v5
	s_delay_alu instid0(VALU_DEP_1) | instskip(SKIP_1) | instid1(VALU_DEP_2)
	v_mad_u64_u32 v[4:5], null, v7, s2, v[0:1]
	v_mad_u64_u32 v[5:6], null, v7, s3, v[2:3]
	v_mov_b32_e32 v0, v4
	s_delay_alu instid0(VALU_DEP_2)
	v_mov_b32_e32 v2, v5
.LBB465_1090:
	v_cmp_ne_u32_e32 vcc_lo, 1, v1
	v_add_nc_u32_e32 v4, 0x80, v9
	s_cbranch_vccnz .LBB465_1096
; %bb.1091:
	s_waitcnt vmcnt(0)
	v_dual_mov_b32 v6, 0 :: v_dual_mov_b32 v7, 0
	s_cmp_lg_u32 s26, 0
	s_mov_b32 s6, 0
	s_cbranch_scc0 .LBB465_1100
; %bb.1092:
	s_min_u32 s7, s27, 15
	v_mov_b32_e32 v6, 0
	s_add_i32 s7, s7, 1
	s_cmp_eq_u32 s27, 2
	s_mov_b32 s10, 0
	s_cbranch_scc1 .LBB465_1097
; %bb.1093:
	v_dual_mov_b32 v7, 0 :: v_dual_mov_b32 v6, 0
	v_mov_b32_e32 v5, v4
	s_add_u32 s2, s16, 0xc4
	s_addc_u32 s3, s17, 0
	s_and_b32 s10, s7, 28
	s_mov_b32 s11, 0
	s_mov_b64 s[4:5], s[16:17]
.LBB465_1094:                           ; =>This Inner Loop Header: Depth=1
	s_clause 0x1
	s_load_b256 s[36:43], s[4:5], 0x4
	s_load_b128 s[12:15], s[4:5], 0x24
	s_load_b256 s[44:51], s[2:3], 0x0
	s_add_u32 s4, s4, 48
	s_addc_u32 s5, s5, 0
	s_add_i32 s11, s11, 4
	s_add_u32 s2, s2, 32
	s_addc_u32 s3, s3, 0
	s_cmp_lg_u32 s10, s11
	s_waitcnt lgkmcnt(0)
	v_mul_hi_u32 v8, s37, v5
	s_delay_alu instid0(VALU_DEP_1) | instskip(NEXT) | instid1(VALU_DEP_1)
	v_add_nc_u32_e32 v8, v5, v8
	v_lshrrev_b32_e32 v8, s38, v8
	s_delay_alu instid0(VALU_DEP_1) | instskip(SKIP_1) | instid1(VALU_DEP_2)
	v_mul_hi_u32 v10, s40, v8
	v_mul_lo_u32 v12, v8, s36
	v_add_nc_u32_e32 v10, v8, v10
	s_delay_alu instid0(VALU_DEP_2) | instskip(NEXT) | instid1(VALU_DEP_2)
	v_sub_nc_u32_e32 v5, v5, v12
	v_lshrrev_b32_e32 v10, s41, v10
	s_delay_alu instid0(VALU_DEP_2) | instskip(SKIP_1) | instid1(VALU_DEP_3)
	v_mul_lo_u32 v12, v5, s44
	v_mul_lo_u32 v14, v5, s45
	v_mul_hi_u32 v11, s43, v10
	s_delay_alu instid0(VALU_DEP_1) | instskip(NEXT) | instid1(VALU_DEP_1)
	v_add_nc_u32_e32 v11, v10, v11
	v_lshrrev_b32_e32 v11, s12, v11
	s_delay_alu instid0(VALU_DEP_1) | instskip(SKIP_1) | instid1(VALU_DEP_2)
	v_mul_hi_u32 v13, s14, v11
	v_mul_lo_u32 v15, v11, s42
	v_add_nc_u32_e32 v5, v11, v13
	v_mul_lo_u32 v13, v10, s39
	s_delay_alu instid0(VALU_DEP_3) | instskip(NEXT) | instid1(VALU_DEP_3)
	v_sub_nc_u32_e32 v10, v10, v15
	v_lshrrev_b32_e32 v5, s15, v5
	s_delay_alu instid0(VALU_DEP_2) | instskip(SKIP_2) | instid1(VALU_DEP_4)
	v_mul_lo_u32 v15, v10, s48
	v_mul_lo_u32 v10, v10, s49
	v_sub_nc_u32_e32 v8, v8, v13
	v_mul_lo_u32 v16, v5, s13
	s_delay_alu instid0(VALU_DEP_2) | instskip(SKIP_1) | instid1(VALU_DEP_3)
	v_mul_lo_u32 v13, v8, s46
	v_mul_lo_u32 v8, v8, s47
	v_sub_nc_u32_e32 v11, v11, v16
	s_delay_alu instid0(VALU_DEP_3) | instskip(NEXT) | instid1(VALU_DEP_2)
	v_add3_u32 v6, v12, v6, v13
	v_mul_lo_u32 v16, v11, s50
	v_mul_lo_u32 v11, v11, s51
	v_add3_u32 v7, v14, v7, v8
	s_delay_alu instid0(VALU_DEP_3) | instskip(NEXT) | instid1(VALU_DEP_2)
	v_add3_u32 v6, v15, v6, v16
	v_add3_u32 v7, v10, v7, v11
	s_cbranch_scc1 .LBB465_1094
; %bb.1095:
	s_and_b32 s7, s7, 3
	s_delay_alu instid0(SALU_CYCLE_1)
	s_cmp_eq_u32 s7, 0
	s_cbranch_scc0 .LBB465_1098
	s_branch .LBB465_1100
.LBB465_1096:
	s_mov_b32 s6, -1
                                        ; implicit-def: $vgpr6
                                        ; implicit-def: $vgpr7
	s_branch .LBB465_1100
.LBB465_1097:
	v_mov_b32_e32 v5, v4
	v_mov_b32_e32 v7, 0
	s_and_b32 s7, s7, 3
	s_delay_alu instid0(SALU_CYCLE_1)
	s_cmp_eq_u32 s7, 0
	s_cbranch_scc1 .LBB465_1100
.LBB465_1098:
	s_lshl_b32 s2, s10, 3
	s_mul_i32 s4, s10, 12
	s_add_u32 s2, s2, s16
	s_addc_u32 s3, 0, s17
	s_add_u32 s2, s2, 0xc4
	s_addc_u32 s3, s3, 0
	;; [unrolled: 2-line block ×3, first 2 shown]
	.p2align	6
.LBB465_1099:                           ; =>This Inner Loop Header: Depth=1
	s_clause 0x1
	s_load_b64 s[10:11], s[4:5], 0x4
	s_load_b32 s14, s[4:5], 0xc
	s_load_b64 s[12:13], s[2:3], 0x0
	s_add_u32 s4, s4, 12
	s_addc_u32 s5, s5, 0
	s_add_u32 s2, s2, 8
	s_addc_u32 s3, s3, 0
	s_add_i32 s7, s7, -1
	s_delay_alu instid0(SALU_CYCLE_1) | instskip(SKIP_2) | instid1(VALU_DEP_1)
	s_cmp_lg_u32 s7, 0
	s_waitcnt lgkmcnt(0)
	v_mul_hi_u32 v8, s11, v5
	v_add_nc_u32_e32 v8, v5, v8
	s_delay_alu instid0(VALU_DEP_1) | instskip(NEXT) | instid1(VALU_DEP_1)
	v_lshrrev_b32_e32 v8, s14, v8
	v_mul_lo_u32 v10, v8, s10
	s_delay_alu instid0(VALU_DEP_1) | instskip(NEXT) | instid1(VALU_DEP_1)
	v_sub_nc_u32_e32 v5, v5, v10
	v_mad_u64_u32 v[10:11], null, v5, s12, v[6:7]
	v_mad_u64_u32 v[11:12], null, v5, s13, v[7:8]
	s_delay_alu instid0(VALU_DEP_2) | instskip(NEXT) | instid1(VALU_DEP_2)
	v_dual_mov_b32 v5, v8 :: v_dual_mov_b32 v6, v10
	v_mov_b32_e32 v7, v11
	s_cbranch_scc1 .LBB465_1099
.LBB465_1100:
	s_and_not1_b32 vcc_lo, exec_lo, s6
	s_cbranch_vccnz .LBB465_1103
; %bb.1101:
	s_clause 0x1
	s_load_b128 s[4:7], s[16:17], 0x4
	s_load_b64 s[2:3], s[16:17], 0xc4
	s_cmp_lt_u32 s26, 2
	s_waitcnt lgkmcnt(0)
	v_mul_hi_u32 v5, s5, v4
	s_delay_alu instid0(VALU_DEP_1) | instskip(NEXT) | instid1(VALU_DEP_1)
	v_add_nc_u32_e32 v5, v4, v5
	v_lshrrev_b32_e32 v5, s6, v5
	s_waitcnt vmcnt(0)
	s_delay_alu instid0(VALU_DEP_1) | instskip(NEXT) | instid1(VALU_DEP_1)
	v_mul_lo_u32 v6, v5, s4
	v_sub_nc_u32_e32 v4, v4, v6
	s_delay_alu instid0(VALU_DEP_1)
	v_mul_lo_u32 v6, v4, s2
	v_mul_lo_u32 v7, v4, s3
	s_cbranch_scc1 .LBB465_1103
; %bb.1102:
	s_clause 0x1
	s_load_b128 s[4:7], s[16:17], 0x10
	s_load_b64 s[2:3], s[16:17], 0xcc
	s_waitcnt lgkmcnt(0)
	v_mul_hi_u32 v4, s5, v5
	s_delay_alu instid0(VALU_DEP_1) | instskip(NEXT) | instid1(VALU_DEP_1)
	v_add_nc_u32_e32 v4, v5, v4
	v_lshrrev_b32_e32 v4, s6, v4
	s_delay_alu instid0(VALU_DEP_1) | instskip(NEXT) | instid1(VALU_DEP_1)
	v_mul_lo_u32 v4, v4, s4
	v_sub_nc_u32_e32 v8, v5, v4
	s_delay_alu instid0(VALU_DEP_1) | instskip(SKIP_1) | instid1(VALU_DEP_1)
	v_mad_u64_u32 v[4:5], null, v8, s2, v[6:7]
	v_mad_u64_u32 v[5:6], null, v8, s3, v[7:8]
	v_dual_mov_b32 v6, v4 :: v_dual_mov_b32 v7, v5
.LBB465_1103:
	v_cmp_ne_u32_e32 vcc_lo, 1, v1
	v_add_nc_u32_e32 v4, 0x100, v9
	s_cbranch_vccnz .LBB465_1109
; %bb.1104:
	v_mov_b32_e32 v5, 0
	v_mov_b32_e32 v9, 0
	s_cmp_lg_u32 s26, 0
	s_mov_b32 s6, 0
	s_cbranch_scc0 .LBB465_1113
; %bb.1105:
	s_min_u32 s7, s27, 15
	v_mov_b32_e32 v5, 0
	s_add_i32 s7, s7, 1
	s_cmp_eq_u32 s27, 2
	s_mov_b32 s10, 0
	s_cbranch_scc1 .LBB465_1110
; %bb.1106:
	v_dual_mov_b32 v9, 0 :: v_dual_mov_b32 v8, v4
	v_mov_b32_e32 v5, 0
	s_add_u32 s2, s16, 0xc4
	s_addc_u32 s3, s17, 0
	s_and_b32 s10, s7, 28
	s_mov_b32 s11, 0
	s_mov_b64 s[4:5], s[16:17]
.LBB465_1107:                           ; =>This Inner Loop Header: Depth=1
	s_clause 0x1
	s_load_b256 s[36:43], s[4:5], 0x4
	s_load_b128 s[12:15], s[4:5], 0x24
	s_load_b256 s[44:51], s[2:3], 0x0
	s_add_u32 s4, s4, 48
	s_addc_u32 s5, s5, 0
	s_add_i32 s11, s11, 4
	s_add_u32 s2, s2, 32
	s_addc_u32 s3, s3, 0
	s_cmp_lg_u32 s10, s11
	s_waitcnt lgkmcnt(0)
	v_mul_hi_u32 v10, s37, v8
	s_delay_alu instid0(VALU_DEP_1) | instskip(NEXT) | instid1(VALU_DEP_1)
	v_add_nc_u32_e32 v10, v8, v10
	v_lshrrev_b32_e32 v10, s38, v10
	s_delay_alu instid0(VALU_DEP_1) | instskip(SKIP_1) | instid1(VALU_DEP_2)
	v_mul_hi_u32 v11, s40, v10
	v_mul_lo_u32 v13, v10, s36
	v_add_nc_u32_e32 v11, v10, v11
	s_delay_alu instid0(VALU_DEP_2) | instskip(NEXT) | instid1(VALU_DEP_2)
	v_sub_nc_u32_e32 v8, v8, v13
	v_lshrrev_b32_e32 v11, s41, v11
	s_delay_alu instid0(VALU_DEP_2) | instskip(SKIP_1) | instid1(VALU_DEP_3)
	v_mul_lo_u32 v13, v8, s44
	v_mul_lo_u32 v15, v8, s45
	v_mul_hi_u32 v12, s43, v11
	s_delay_alu instid0(VALU_DEP_1) | instskip(NEXT) | instid1(VALU_DEP_1)
	v_add_nc_u32_e32 v12, v11, v12
	v_lshrrev_b32_e32 v12, s12, v12
	s_delay_alu instid0(VALU_DEP_1) | instskip(SKIP_1) | instid1(VALU_DEP_2)
	v_mul_hi_u32 v14, s14, v12
	v_mul_lo_u32 v16, v12, s42
	v_add_nc_u32_e32 v8, v12, v14
	v_mul_lo_u32 v14, v11, s39
	s_delay_alu instid0(VALU_DEP_3) | instskip(NEXT) | instid1(VALU_DEP_3)
	v_sub_nc_u32_e32 v11, v11, v16
	v_lshrrev_b32_e32 v8, s15, v8
	s_delay_alu instid0(VALU_DEP_2) | instskip(SKIP_2) | instid1(VALU_DEP_4)
	v_mul_lo_u32 v16, v11, s48
	v_mul_lo_u32 v11, v11, s49
	v_sub_nc_u32_e32 v10, v10, v14
	v_mul_lo_u32 v17, v8, s13
	s_delay_alu instid0(VALU_DEP_2) | instskip(SKIP_1) | instid1(VALU_DEP_3)
	v_mul_lo_u32 v14, v10, s46
	v_mul_lo_u32 v10, v10, s47
	v_sub_nc_u32_e32 v12, v12, v17
	s_delay_alu instid0(VALU_DEP_3) | instskip(NEXT) | instid1(VALU_DEP_2)
	v_add3_u32 v5, v13, v5, v14
	v_mul_lo_u32 v17, v12, s50
	v_mul_lo_u32 v12, v12, s51
	v_add3_u32 v9, v15, v9, v10
	s_delay_alu instid0(VALU_DEP_3) | instskip(NEXT) | instid1(VALU_DEP_2)
	v_add3_u32 v5, v16, v5, v17
	v_add3_u32 v9, v11, v9, v12
	s_cbranch_scc1 .LBB465_1107
; %bb.1108:
	s_and_b32 s7, s7, 3
	s_delay_alu instid0(SALU_CYCLE_1)
	s_cmp_eq_u32 s7, 0
	s_cbranch_scc0 .LBB465_1111
	s_branch .LBB465_1113
.LBB465_1109:
	s_mov_b32 s6, -1
                                        ; implicit-def: $vgpr5
                                        ; implicit-def: $vgpr9
	s_branch .LBB465_1113
.LBB465_1110:
	v_dual_mov_b32 v8, v4 :: v_dual_mov_b32 v9, 0
	s_and_b32 s7, s7, 3
	s_delay_alu instid0(SALU_CYCLE_1)
	s_cmp_eq_u32 s7, 0
	s_cbranch_scc1 .LBB465_1113
.LBB465_1111:
	s_lshl_b32 s2, s10, 3
	s_mul_i32 s4, s10, 12
	s_add_u32 s2, s2, s16
	s_addc_u32 s3, 0, s17
	s_add_u32 s2, s2, 0xc4
	s_addc_u32 s3, s3, 0
	;; [unrolled: 2-line block ×3, first 2 shown]
	.p2align	6
.LBB465_1112:                           ; =>This Inner Loop Header: Depth=1
	s_clause 0x1
	s_load_b64 s[10:11], s[4:5], 0x4
	s_load_b32 s14, s[4:5], 0xc
	s_load_b64 s[12:13], s[2:3], 0x0
	s_add_u32 s4, s4, 12
	s_addc_u32 s5, s5, 0
	s_add_u32 s2, s2, 8
	s_addc_u32 s3, s3, 0
	s_add_i32 s7, s7, -1
	s_delay_alu instid0(SALU_CYCLE_1) | instskip(SKIP_2) | instid1(VALU_DEP_1)
	s_cmp_lg_u32 s7, 0
	s_waitcnt lgkmcnt(0)
	v_mul_hi_u32 v10, s11, v8
	v_add_nc_u32_e32 v10, v8, v10
	s_delay_alu instid0(VALU_DEP_1) | instskip(NEXT) | instid1(VALU_DEP_1)
	v_lshrrev_b32_e32 v13, s14, v10
	v_mul_lo_u32 v10, v13, s10
	s_delay_alu instid0(VALU_DEP_1) | instskip(SKIP_1) | instid1(VALU_DEP_1)
	v_sub_nc_u32_e32 v8, v8, v10
	s_waitcnt vmcnt(0)
	v_mad_u64_u32 v[10:11], null, v8, s12, v[5:6]
	s_delay_alu instid0(VALU_DEP_1) | instskip(SKIP_1) | instid1(VALU_DEP_2)
	v_mad_u64_u32 v[11:12], null, v8, s13, v[9:10]
	v_dual_mov_b32 v8, v13 :: v_dual_mov_b32 v5, v10
	v_mov_b32_e32 v9, v11
	s_cbranch_scc1 .LBB465_1112
.LBB465_1113:
	s_and_not1_b32 vcc_lo, exec_lo, s6
	s_cbranch_vccnz .LBB465_1116
; %bb.1114:
	s_clause 0x1
	s_load_b128 s[4:7], s[16:17], 0x4
	s_load_b64 s[2:3], s[16:17], 0xc4
	s_cmp_lt_u32 s26, 2
	s_waitcnt lgkmcnt(0)
	v_mul_hi_u32 v5, s5, v4
	s_delay_alu instid0(VALU_DEP_1) | instskip(NEXT) | instid1(VALU_DEP_1)
	v_add_nc_u32_e32 v5, v4, v5
	v_lshrrev_b32_e32 v8, s6, v5
	s_delay_alu instid0(VALU_DEP_1) | instskip(NEXT) | instid1(VALU_DEP_1)
	v_mul_lo_u32 v5, v8, s4
	v_sub_nc_u32_e32 v4, v4, v5
	s_delay_alu instid0(VALU_DEP_1)
	v_mul_lo_u32 v5, v4, s2
	v_mul_lo_u32 v9, v4, s3
	s_cbranch_scc1 .LBB465_1116
; %bb.1115:
	s_clause 0x1
	s_load_b128 s[4:7], s[16:17], 0x10
	s_load_b64 s[2:3], s[16:17], 0xcc
	s_waitcnt lgkmcnt(0)
	v_mul_hi_u32 v4, s5, v8
	s_delay_alu instid0(VALU_DEP_1) | instskip(NEXT) | instid1(VALU_DEP_1)
	v_add_nc_u32_e32 v4, v8, v4
	v_lshrrev_b32_e32 v4, s6, v4
	s_delay_alu instid0(VALU_DEP_1) | instskip(NEXT) | instid1(VALU_DEP_1)
	v_mul_lo_u32 v4, v4, s4
	v_sub_nc_u32_e32 v8, v8, v4
	s_waitcnt vmcnt(0)
	s_delay_alu instid0(VALU_DEP_1) | instskip(NEXT) | instid1(VALU_DEP_1)
	v_mad_u64_u32 v[10:11], null, v8, s2, v[5:6]
	v_mad_u64_u32 v[4:5], null, v8, s3, v[9:10]
	v_mov_b32_e32 v5, v10
	s_delay_alu instid0(VALU_DEP_2)
	v_mov_b32_e32 v9, v4
.LBB465_1116:
	v_cmp_ne_u32_e32 vcc_lo, 1, v1
	s_cbranch_vccnz .LBB465_1122
; %bb.1117:
	v_dual_mov_b32 v4, 0 :: v_dual_mov_b32 v1, 0
	s_cmp_lg_u32 s26, 0
	s_mov_b32 s6, 0
	s_cbranch_scc0 .LBB465_1126
; %bb.1118:
	s_min_u32 s7, s27, 15
	v_mov_b32_e32 v4, 0
	s_add_i32 s7, s7, 1
	s_cmp_eq_u32 s27, 2
	s_mov_b32 s10, 0
	s_cbranch_scc1 .LBB465_1123
; %bb.1119:
	v_dual_mov_b32 v1, 0 :: v_dual_mov_b32 v4, 0
	v_mov_b32_e32 v8, v3
	s_add_u32 s2, s16, 0xc4
	s_addc_u32 s3, s17, 0
	s_and_b32 s10, s7, 28
	s_mov_b32 s11, 0
	s_mov_b64 s[4:5], s[16:17]
.LBB465_1120:                           ; =>This Inner Loop Header: Depth=1
	s_clause 0x1
	s_load_b256 s[36:43], s[4:5], 0x4
	s_load_b128 s[12:15], s[4:5], 0x24
	s_load_b256 s[44:51], s[2:3], 0x0
	s_add_u32 s4, s4, 48
	s_addc_u32 s5, s5, 0
	s_add_i32 s11, s11, 4
	s_add_u32 s2, s2, 32
	s_addc_u32 s3, s3, 0
	s_cmp_lg_u32 s10, s11
	s_waitcnt lgkmcnt(0)
	v_mul_hi_u32 v10, s37, v8
	s_delay_alu instid0(VALU_DEP_1) | instskip(NEXT) | instid1(VALU_DEP_1)
	v_add_nc_u32_e32 v10, v8, v10
	v_lshrrev_b32_e32 v10, s38, v10
	s_delay_alu instid0(VALU_DEP_1) | instskip(SKIP_1) | instid1(VALU_DEP_2)
	v_mul_hi_u32 v11, s40, v10
	v_mul_lo_u32 v13, v10, s36
	v_add_nc_u32_e32 v11, v10, v11
	s_delay_alu instid0(VALU_DEP_2) | instskip(NEXT) | instid1(VALU_DEP_2)
	v_sub_nc_u32_e32 v8, v8, v13
	v_lshrrev_b32_e32 v11, s41, v11
	s_delay_alu instid0(VALU_DEP_2) | instskip(SKIP_1) | instid1(VALU_DEP_3)
	v_mul_lo_u32 v13, v8, s44
	v_mul_lo_u32 v15, v8, s45
	v_mul_hi_u32 v12, s43, v11
	s_delay_alu instid0(VALU_DEP_1) | instskip(NEXT) | instid1(VALU_DEP_1)
	v_add_nc_u32_e32 v12, v11, v12
	v_lshrrev_b32_e32 v12, s12, v12
	s_delay_alu instid0(VALU_DEP_1) | instskip(SKIP_1) | instid1(VALU_DEP_2)
	v_mul_hi_u32 v14, s14, v12
	v_mul_lo_u32 v16, v12, s42
	v_add_nc_u32_e32 v8, v12, v14
	v_mul_lo_u32 v14, v11, s39
	s_delay_alu instid0(VALU_DEP_3) | instskip(NEXT) | instid1(VALU_DEP_3)
	v_sub_nc_u32_e32 v11, v11, v16
	v_lshrrev_b32_e32 v8, s15, v8
	s_delay_alu instid0(VALU_DEP_2) | instskip(SKIP_2) | instid1(VALU_DEP_4)
	v_mul_lo_u32 v16, v11, s48
	v_mul_lo_u32 v11, v11, s49
	v_sub_nc_u32_e32 v10, v10, v14
	v_mul_lo_u32 v17, v8, s13
	s_delay_alu instid0(VALU_DEP_2) | instskip(SKIP_1) | instid1(VALU_DEP_3)
	v_mul_lo_u32 v14, v10, s46
	v_mul_lo_u32 v10, v10, s47
	v_sub_nc_u32_e32 v12, v12, v17
	s_delay_alu instid0(VALU_DEP_3) | instskip(NEXT) | instid1(VALU_DEP_2)
	v_add3_u32 v4, v13, v4, v14
	v_mul_lo_u32 v17, v12, s50
	v_mul_lo_u32 v12, v12, s51
	v_add3_u32 v1, v15, v1, v10
	s_delay_alu instid0(VALU_DEP_3) | instskip(NEXT) | instid1(VALU_DEP_2)
	v_add3_u32 v4, v16, v4, v17
	v_add3_u32 v1, v11, v1, v12
	s_cbranch_scc1 .LBB465_1120
; %bb.1121:
	s_and_b32 s7, s7, 3
	s_delay_alu instid0(SALU_CYCLE_1)
	s_cmp_eq_u32 s7, 0
	s_cbranch_scc0 .LBB465_1124
	s_branch .LBB465_1126
.LBB465_1122:
	s_mov_b32 s6, -1
                                        ; implicit-def: $vgpr4
                                        ; implicit-def: $vgpr1
	s_branch .LBB465_1126
.LBB465_1123:
	v_dual_mov_b32 v8, v3 :: v_dual_mov_b32 v1, 0
	s_and_b32 s7, s7, 3
	s_delay_alu instid0(SALU_CYCLE_1)
	s_cmp_eq_u32 s7, 0
	s_cbranch_scc1 .LBB465_1126
.LBB465_1124:
	s_lshl_b32 s2, s10, 3
	s_mul_i32 s4, s10, 12
	s_add_u32 s2, s2, s16
	s_addc_u32 s3, 0, s17
	s_add_u32 s2, s2, 0xc4
	s_addc_u32 s3, s3, 0
	;; [unrolled: 2-line block ×3, first 2 shown]
	.p2align	6
.LBB465_1125:                           ; =>This Inner Loop Header: Depth=1
	s_clause 0x1
	s_load_b64 s[10:11], s[4:5], 0x4
	s_load_b32 s14, s[4:5], 0xc
	s_load_b64 s[12:13], s[2:3], 0x0
	s_add_u32 s4, s4, 12
	s_addc_u32 s5, s5, 0
	s_add_u32 s2, s2, 8
	s_addc_u32 s3, s3, 0
	s_add_i32 s7, s7, -1
	s_delay_alu instid0(SALU_CYCLE_1) | instskip(SKIP_2) | instid1(VALU_DEP_1)
	s_cmp_lg_u32 s7, 0
	s_waitcnt lgkmcnt(0)
	v_mul_hi_u32 v10, s11, v8
	v_add_nc_u32_e32 v10, v8, v10
	s_delay_alu instid0(VALU_DEP_1) | instskip(NEXT) | instid1(VALU_DEP_1)
	v_lshrrev_b32_e32 v13, s14, v10
	v_mul_lo_u32 v10, v13, s10
	s_delay_alu instid0(VALU_DEP_1) | instskip(NEXT) | instid1(VALU_DEP_1)
	v_sub_nc_u32_e32 v8, v8, v10
	v_mad_u64_u32 v[10:11], null, v8, s12, v[4:5]
	v_mad_u64_u32 v[11:12], null, v8, s13, v[1:2]
	v_mov_b32_e32 v8, v13
	s_delay_alu instid0(VALU_DEP_2)
	v_dual_mov_b32 v4, v10 :: v_dual_mov_b32 v1, v11
	s_cbranch_scc1 .LBB465_1125
.LBB465_1126:
	s_and_not1_b32 vcc_lo, exec_lo, s6
	s_cbranch_vccnz .LBB465_1129
; %bb.1127:
	s_clause 0x1
	s_load_b128 s[4:7], s[16:17], 0x4
	s_load_b64 s[2:3], s[16:17], 0xc4
	s_cmp_lt_u32 s26, 2
	s_waitcnt lgkmcnt(0)
	v_mul_hi_u32 v1, s5, v3
	s_delay_alu instid0(VALU_DEP_1) | instskip(NEXT) | instid1(VALU_DEP_1)
	v_add_nc_u32_e32 v1, v3, v1
	v_lshrrev_b32_e32 v8, s6, v1
	s_delay_alu instid0(VALU_DEP_1) | instskip(NEXT) | instid1(VALU_DEP_1)
	v_mul_lo_u32 v1, v8, s4
	v_sub_nc_u32_e32 v1, v3, v1
	s_delay_alu instid0(VALU_DEP_1)
	v_mul_lo_u32 v4, v1, s2
	v_mul_lo_u32 v1, v1, s3
	s_cbranch_scc1 .LBB465_1129
; %bb.1128:
	s_clause 0x1
	s_load_b128 s[4:7], s[16:17], 0x10
	s_load_b64 s[2:3], s[16:17], 0xcc
	s_waitcnt lgkmcnt(0)
	v_mul_hi_u32 v3, s5, v8
	s_delay_alu instid0(VALU_DEP_1) | instskip(NEXT) | instid1(VALU_DEP_1)
	v_add_nc_u32_e32 v3, v8, v3
	v_lshrrev_b32_e32 v3, s6, v3
	s_delay_alu instid0(VALU_DEP_1) | instskip(NEXT) | instid1(VALU_DEP_1)
	v_mul_lo_u32 v3, v3, s4
	v_sub_nc_u32_e32 v8, v8, v3
	s_delay_alu instid0(VALU_DEP_1) | instskip(SKIP_1) | instid1(VALU_DEP_1)
	v_mad_u64_u32 v[10:11], null, v8, s2, v[4:5]
	v_mad_u64_u32 v[3:4], null, v8, s3, v[1:2]
	v_dual_mov_b32 v4, v10 :: v_dual_mov_b32 v1, v3
.LBB465_1129:
	s_clause 0x1
	s_load_b32 s0, s[0:1], 0x168
	s_load_b128 s[4:7], s[16:17], 0x148
	s_waitcnt lgkmcnt(0)
	s_lshr_b32 s0, s0, 8
	s_delay_alu instid0(SALU_CYCLE_1) | instskip(SKIP_1) | instid1(VALU_DEP_1)
	v_and_b32_e64 v15, 0xff, s0
	v_add_co_u32 v10, s0, s6, v2
	v_add_co_ci_u32_e64 v11, null, s7, 0, s0
	s_delay_alu instid0(VALU_DEP_3)
	v_cmp_gt_i16_e32 vcc_lo, 11, v15
	s_mov_b32 s0, 0
	s_cbranch_vccnz .LBB465_1136
; %bb.1130:
	v_cmp_lt_i16_e32 vcc_lo, 25, v15
	s_mov_b32 s3, 0
	s_cbranch_vccz .LBB465_1142
; %bb.1131:
	v_cmp_lt_i16_e32 vcc_lo, 28, v15
	s_cbranch_vccz .LBB465_1144
; %bb.1132:
	v_cmp_lt_i16_e32 vcc_lo, 43, v15
	;; [unrolled: 3-line block ×3, first 2 shown]
	s_cbranch_vccz .LBB465_1150
; %bb.1134:
	v_cmp_eq_u16_e32 vcc_lo, 46, v15
	s_mov_b32 s1, 0
	s_cbranch_vccz .LBB465_1192
; %bb.1135:
	global_load_b32 v2, v[10:11], off
	s_mov_b32 s2, 0
	s_mov_b32 s0, -1
	s_waitcnt vmcnt(0)
	v_lshlrev_b32_e32 v2, 16, v2
	s_delay_alu instid0(VALU_DEP_1)
	v_cvt_f64_f32_e32 v[2:3], v2
	s_branch .LBB465_1194
.LBB465_1136:
	s_mov_b32 s2, s8
                                        ; implicit-def: $vgpr2_vgpr3
	s_cbranch_execz .LBB465_1257
; %bb.1137:
	v_cmp_gt_i16_e32 vcc_lo, 5, v15
	s_cbranch_vccnz .LBB465_1143
; %bb.1138:
	v_cmp_gt_i16_e32 vcc_lo, 8, v15
	s_cbranch_vccnz .LBB465_1145
; %bb.1139:
	v_cmp_gt_i16_e32 vcc_lo, 9, v15
	s_cbranch_vccnz .LBB465_1147
; %bb.1140:
	v_cmp_lt_i16_e32 vcc_lo, 9, v15
	s_cbranch_vccz .LBB465_1151
; %bb.1141:
	global_load_b64 v[2:3], v[10:11], off
	s_mov_b32 s0, 0
	s_branch .LBB465_1152
.LBB465_1142:
	s_mov_b32 s2, 0
                                        ; implicit-def: $vgpr2_vgpr3
	s_cbranch_execnz .LBB465_1224
	s_branch .LBB465_1253
.LBB465_1143:
                                        ; implicit-def: $vgpr2_vgpr3
	s_branch .LBB465_1169
.LBB465_1144:
	s_mov_b32 s1, -1
	s_mov_b32 s2, 0
                                        ; implicit-def: $vgpr2_vgpr3
	s_branch .LBB465_1203
.LBB465_1145:
                                        ; implicit-def: $vgpr2_vgpr3
	s_branch .LBB465_1158
.LBB465_1146:
	s_mov_b32 s2, 0
                                        ; implicit-def: $vgpr2_vgpr3
	s_cbranch_execnz .LBB465_1199
	s_branch .LBB465_1202
.LBB465_1147:
	s_mov_b32 s0, -1
                                        ; implicit-def: $vgpr2_vgpr3
	s_branch .LBB465_1155
.LBB465_1148:
	s_cbranch_execnz .LBB465_1190
; %bb.1149:
	s_or_b32 s3, s3, exec_lo
	s_and_not1_b32 s8, s8, exec_lo
	s_or_b32 exec_lo, exec_lo, s2
	s_and_saveexec_b32 s2, s8
	s_delay_alu instid0(SALU_CYCLE_1)
	s_xor_b32 s2, exec_lo, s2
	s_cbranch_execnz .LBB465_1036
	s_branch .LBB465_1037
.LBB465_1150:
	s_mov_b32 s1, -1
	s_mov_b32 s2, 0
	s_branch .LBB465_1193
.LBB465_1151:
	s_mov_b32 s0, -1
                                        ; implicit-def: $vgpr2_vgpr3
.LBB465_1152:
	s_delay_alu instid0(SALU_CYCLE_1)
	s_and_not1_b32 vcc_lo, exec_lo, s0
	s_cbranch_vccnz .LBB465_1154
; %bb.1153:
	global_load_b32 v2, v[10:11], off
	s_waitcnt vmcnt(0)
	v_cvt_f64_f32_e32 v[2:3], v2
.LBB465_1154:
	s_mov_b32 s0, 0
.LBB465_1155:
	s_delay_alu instid0(SALU_CYCLE_1)
	s_and_not1_b32 vcc_lo, exec_lo, s0
	s_cbranch_vccnz .LBB465_1157
; %bb.1156:
	global_load_b32 v2, v[10:11], off
	s_waitcnt vmcnt(0)
	v_cvt_f32_f16_e32 v2, v2
	s_delay_alu instid0(VALU_DEP_1)
	v_cvt_f64_f32_e32 v[2:3], v2
.LBB465_1157:
	s_cbranch_execnz .LBB465_1168
.LBB465_1158:
	v_cmp_gt_i16_e32 vcc_lo, 6, v15
	s_cbranch_vccnz .LBB465_1161
; %bb.1159:
	v_cmp_lt_i16_e32 vcc_lo, 6, v15
	s_cbranch_vccz .LBB465_1162
; %bb.1160:
	global_load_b64 v[2:3], v[10:11], off
	s_mov_b32 s0, 0
	s_branch .LBB465_1163
.LBB465_1161:
	s_mov_b32 s0, -1
                                        ; implicit-def: $vgpr2_vgpr3
	s_branch .LBB465_1166
.LBB465_1162:
	s_mov_b32 s0, -1
                                        ; implicit-def: $vgpr2_vgpr3
.LBB465_1163:
	s_delay_alu instid0(SALU_CYCLE_1)
	s_and_not1_b32 vcc_lo, exec_lo, s0
	s_cbranch_vccnz .LBB465_1165
; %bb.1164:
	global_load_b32 v2, v[10:11], off
	s_waitcnt vmcnt(0)
	v_cvt_f64_f32_e32 v[2:3], v2
.LBB465_1165:
	s_mov_b32 s0, 0
.LBB465_1166:
	s_delay_alu instid0(SALU_CYCLE_1)
	s_and_not1_b32 vcc_lo, exec_lo, s0
	s_cbranch_vccnz .LBB465_1168
; %bb.1167:
	global_load_u16 v2, v[10:11], off
	s_waitcnt vmcnt(0)
	v_cvt_f32_f16_e32 v2, v2
	s_delay_alu instid0(VALU_DEP_1)
	v_cvt_f64_f32_e32 v[2:3], v2
.LBB465_1168:
	s_cbranch_execnz .LBB465_1187
.LBB465_1169:
	v_cmp_gt_i16_e32 vcc_lo, 2, v15
	s_cbranch_vccnz .LBB465_1173
; %bb.1170:
	v_cmp_gt_i16_e32 vcc_lo, 3, v15
	s_cbranch_vccnz .LBB465_1174
; %bb.1171:
	v_cmp_lt_i16_e32 vcc_lo, 3, v15
	s_cbranch_vccz .LBB465_1175
; %bb.1172:
	global_load_b64 v[2:3], v[10:11], off
	s_mov_b32 s0, 0
	s_waitcnt vmcnt(0)
	v_cvt_f64_i32_e32 v[12:13], v3
	v_cvt_f64_u32_e32 v[2:3], v2
	s_delay_alu instid0(VALU_DEP_2) | instskip(NEXT) | instid1(VALU_DEP_1)
	v_ldexp_f64 v[12:13], v[12:13], 32
	v_add_f64 v[2:3], v[12:13], v[2:3]
	s_branch .LBB465_1176
.LBB465_1173:
                                        ; implicit-def: $vgpr2_vgpr3
	s_branch .LBB465_1182
.LBB465_1174:
	s_mov_b32 s0, -1
                                        ; implicit-def: $vgpr2_vgpr3
	s_branch .LBB465_1179
.LBB465_1175:
	s_mov_b32 s0, -1
                                        ; implicit-def: $vgpr2_vgpr3
.LBB465_1176:
	s_delay_alu instid0(SALU_CYCLE_1)
	s_and_not1_b32 vcc_lo, exec_lo, s0
	s_cbranch_vccnz .LBB465_1178
; %bb.1177:
	global_load_b32 v2, v[10:11], off
	s_waitcnt vmcnt(0)
	v_cvt_f64_i32_e32 v[2:3], v2
.LBB465_1178:
	s_mov_b32 s0, 0
.LBB465_1179:
	s_delay_alu instid0(SALU_CYCLE_1)
	s_and_not1_b32 vcc_lo, exec_lo, s0
	s_cbranch_vccnz .LBB465_1181
; %bb.1180:
	global_load_i16 v2, v[10:11], off
	s_waitcnt vmcnt(0)
	v_cvt_f64_i32_e32 v[2:3], v2
.LBB465_1181:
	s_cbranch_execnz .LBB465_1187
.LBB465_1182:
	v_cmp_lt_i16_e32 vcc_lo, 0, v15
	s_mov_b32 s0, 0
	s_cbranch_vccz .LBB465_1184
; %bb.1183:
	global_load_i8 v2, v[10:11], off
	s_waitcnt vmcnt(0)
	v_cvt_f64_i32_e32 v[2:3], v2
	s_branch .LBB465_1185
.LBB465_1184:
	s_mov_b32 s0, -1
                                        ; implicit-def: $vgpr2_vgpr3
.LBB465_1185:
	s_delay_alu instid0(SALU_CYCLE_1)
	s_and_not1_b32 vcc_lo, exec_lo, s0
	s_cbranch_vccnz .LBB465_1187
; %bb.1186:
	global_load_u8 v2, v[10:11], off
	s_waitcnt vmcnt(0)
	v_cvt_f64_u32_e32 v[2:3], v2
.LBB465_1187:
	s_branch .LBB465_1258
.LBB465_1188:
	s_trap 2
	s_sendmsg_rtn_b32 s0, sendmsg(MSG_RTN_GET_DOORBELL)
	s_mov_b32 ttmp2, m0
	s_waitcnt lgkmcnt(0)
	s_and_b32 s0, s0, 0x3ff
	s_delay_alu instid0(SALU_CYCLE_1) | instskip(NEXT) | instid1(SALU_CYCLE_1)
	s_bitset1_b32 s0, 10
	s_mov_b32 m0, s0
	s_sendmsg sendmsg(MSG_INTERRUPT)
	s_mov_b32 m0, ttmp2
.LBB465_1189:                           ; =>This Inner Loop Header: Depth=1
	s_sethalt 5
	s_branch .LBB465_1189
.LBB465_1190:
	s_trap 2
	s_sendmsg_rtn_b32 s0, sendmsg(MSG_RTN_GET_DOORBELL)
	s_mov_b32 ttmp2, m0
	s_waitcnt lgkmcnt(0)
	s_and_b32 s0, s0, 0x3ff
	s_delay_alu instid0(SALU_CYCLE_1) | instskip(NEXT) | instid1(SALU_CYCLE_1)
	s_bitset1_b32 s0, 10
	s_mov_b32 m0, s0
	s_sendmsg sendmsg(MSG_INTERRUPT)
	s_mov_b32 m0, ttmp2
.LBB465_1191:                           ; =>This Inner Loop Header: Depth=1
	s_sethalt 5
	s_branch .LBB465_1191
.LBB465_1192:
	s_mov_b32 s2, -1
.LBB465_1193:
                                        ; implicit-def: $vgpr2_vgpr3
.LBB465_1194:
	s_and_b32 vcc_lo, exec_lo, s1
	s_cbranch_vccz .LBB465_1197
; %bb.1195:
	v_cmp_eq_u16_e32 vcc_lo, 44, v15
	s_cbranch_vccz .LBB465_1198
; %bb.1196:
	global_load_u8 v8, v[10:11], off
	s_mov_b32 s2, 0
	s_mov_b32 s0, -1
	s_waitcnt vmcnt(0)
	v_cmp_ne_u32_e32 vcc_lo, 0xff, v8
	v_lshlrev_b32_e32 v2, 23, v8
	s_delay_alu instid0(VALU_DEP_1) | instskip(NEXT) | instid1(VALU_DEP_1)
	v_cvt_f64_f32_e32 v[2:3], v2
	v_cndmask_b32_e32 v3, 0x7ff80000, v3, vcc_lo
	s_delay_alu instid0(VALU_DEP_2) | instskip(SKIP_1) | instid1(VALU_DEP_3)
	v_cndmask_b32_e32 v2, 0x20000000, v2, vcc_lo
	v_cmp_ne_u32_e32 vcc_lo, 0, v8
	v_cndmask_b32_e32 v3, 0x38000000, v3, vcc_lo
	s_delay_alu instid0(VALU_DEP_3)
	v_cndmask_b32_e32 v2, 0, v2, vcc_lo
.LBB465_1197:
	s_branch .LBB465_1202
.LBB465_1198:
	s_mov_b32 s2, -1
                                        ; implicit-def: $vgpr2_vgpr3
	s_branch .LBB465_1202
.LBB465_1199:
	v_cmp_eq_u16_e32 vcc_lo, 29, v15
	s_cbranch_vccz .LBB465_1201
; %bb.1200:
	global_load_b64 v[2:3], v[10:11], off
	s_mov_b32 s2, 0
	s_mov_b32 s0, -1
	s_mov_b32 s1, 0
	s_waitcnt vmcnt(0)
	v_cvt_f64_u32_e32 v[12:13], v3
	v_cvt_f64_u32_e32 v[2:3], v2
	s_delay_alu instid0(VALU_DEP_2) | instskip(NEXT) | instid1(VALU_DEP_1)
	v_ldexp_f64 v[12:13], v[12:13], 32
	v_add_f64 v[2:3], v[12:13], v[2:3]
	s_branch .LBB465_1203
.LBB465_1201:
	s_mov_b32 s2, -1
                                        ; implicit-def: $vgpr2_vgpr3
.LBB465_1202:
	s_mov_b32 s1, 0
.LBB465_1203:
	s_delay_alu instid0(SALU_CYCLE_1)
	s_and_b32 vcc_lo, exec_lo, s1
	s_cbranch_vccz .LBB465_1223
; %bb.1204:
	v_cmp_gt_i16_e32 vcc_lo, 27, v15
	s_cbranch_vccnz .LBB465_1207
; %bb.1205:
	v_cmp_lt_i16_e32 vcc_lo, 27, v15
	s_cbranch_vccz .LBB465_1208
; %bb.1206:
	global_load_b32 v2, v[10:11], off
	s_mov_b32 s0, 0
	s_waitcnt vmcnt(0)
	v_cvt_f64_u32_e32 v[2:3], v2
	s_branch .LBB465_1209
.LBB465_1207:
	s_mov_b32 s0, -1
                                        ; implicit-def: $vgpr2_vgpr3
	s_branch .LBB465_1212
.LBB465_1208:
	s_mov_b32 s0, -1
                                        ; implicit-def: $vgpr2_vgpr3
.LBB465_1209:
	s_delay_alu instid0(SALU_CYCLE_1)
	s_and_not1_b32 vcc_lo, exec_lo, s0
	s_cbranch_vccnz .LBB465_1211
; %bb.1210:
	global_load_u16 v2, v[10:11], off
	s_waitcnt vmcnt(0)
	v_cvt_f64_u32_e32 v[2:3], v2
.LBB465_1211:
	s_mov_b32 s0, 0
.LBB465_1212:
	s_delay_alu instid0(SALU_CYCLE_1)
	s_and_not1_b32 vcc_lo, exec_lo, s0
	s_cbranch_vccnz .LBB465_1222
; %bb.1213:
	global_load_u8 v8, v[10:11], off
	s_mov_b32 s10, 0
	s_mov_b32 s11, exec_lo
                                        ; implicit-def: $sgpr0_sgpr1
	s_waitcnt vmcnt(0)
	v_cmpx_lt_i16_e32 0x7f, v8
	s_xor_b32 s11, exec_lo, s11
	s_cbranch_execz .LBB465_1217
; %bb.1214:
	s_mov_b32 s12, -1
	s_mov_b32 s10, exec_lo
                                        ; implicit-def: $sgpr0_sgpr1
	v_cmpx_eq_u16_e32 0x80, v8
; %bb.1215:
	s_mov_b32 s1, 0x7ff80000
	s_brev_b32 s0, 4
	s_xor_b32 s12, exec_lo, -1
; %bb.1216:
	s_or_b32 exec_lo, exec_lo, s10
	s_delay_alu instid0(SALU_CYCLE_1)
	s_and_b32 s10, s12, exec_lo
.LBB465_1217:
	s_or_saveexec_b32 s11, s11
	v_dual_mov_b32 v3, s1 :: v_dual_mov_b32 v2, s0
	s_xor_b32 exec_lo, exec_lo, s11
; %bb.1218:
	v_cmp_ne_u16_e32 vcc_lo, 0, v8
	v_mov_b32_e32 v2, 0
	v_mov_b32_e32 v3, 0
	s_and_not1_b32 s0, s10, exec_lo
	s_and_b32 s1, vcc_lo, exec_lo
	s_delay_alu instid0(SALU_CYCLE_1)
	s_or_b32 s10, s0, s1
; %bb.1219:
	s_or_b32 exec_lo, exec_lo, s11
	s_and_saveexec_b32 s0, s10
	s_cbranch_execz .LBB465_1221
; %bb.1220:
	v_and_b32_e32 v2, 0xffff, v8
	v_lshlrev_b32_e32 v8, 24, v8
	s_delay_alu instid0(VALU_DEP_2) | instskip(NEXT) | instid1(VALU_DEP_2)
	v_and_b32_e32 v3, 7, v2
	v_and_b32_e32 v8, 0x80000000, v8
	s_delay_alu instid0(VALU_DEP_2) | instskip(NEXT) | instid1(VALU_DEP_1)
	v_clz_i32_u32_e32 v12, v3
	v_min_u32_e32 v12, 32, v12
	s_delay_alu instid0(VALU_DEP_1) | instskip(SKIP_1) | instid1(VALU_DEP_2)
	v_subrev_nc_u32_e32 v13, 28, v12
	v_sub_nc_u32_e32 v12, 29, v12
	v_lshlrev_b32_e32 v13, v13, v2
	v_bfe_u32 v2, v2, 3, 4
	s_delay_alu instid0(VALU_DEP_2) | instskip(NEXT) | instid1(VALU_DEP_2)
	v_and_b32_e32 v13, 7, v13
	v_cmp_eq_u32_e32 vcc_lo, 0, v2
	s_delay_alu instid0(VALU_DEP_2) | instskip(NEXT) | instid1(VALU_DEP_1)
	v_dual_cndmask_b32 v2, v2, v12 :: v_dual_cndmask_b32 v3, v3, v13
	v_lshl_add_u32 v2, v2, 23, 0x3b800000
	s_delay_alu instid0(VALU_DEP_2) | instskip(NEXT) | instid1(VALU_DEP_1)
	v_lshlrev_b32_e32 v3, 20, v3
	v_or3_b32 v2, v8, v2, v3
	s_delay_alu instid0(VALU_DEP_1)
	v_cvt_f64_f32_e32 v[2:3], v2
.LBB465_1221:
	s_or_b32 exec_lo, exec_lo, s0
.LBB465_1222:
	s_mov_b32 s0, -1
.LBB465_1223:
	s_branch .LBB465_1253
.LBB465_1224:
	v_cmp_lt_i16_e32 vcc_lo, 22, v15
	s_cbranch_vccz .LBB465_1236
; %bb.1225:
	v_cmp_gt_i16_e32 vcc_lo, 24, v15
	s_cbranch_vccnz .LBB465_1237
; %bb.1226:
	v_cmp_lt_i16_e32 vcc_lo, 24, v15
	s_cbranch_vccz .LBB465_1238
; %bb.1227:
	global_load_u8 v8, v[10:11], off
	s_mov_b32 s10, exec_lo
                                        ; implicit-def: $sgpr0_sgpr1
	s_waitcnt vmcnt(0)
	v_cmpx_lt_i16_e32 0x7f, v8
	s_xor_b32 s10, exec_lo, s10
	s_cbranch_execz .LBB465_1231
; %bb.1228:
	s_mov_b32 s11, -1
	s_mov_b32 s3, exec_lo
                                        ; implicit-def: $sgpr0_sgpr1
	v_cmpx_eq_u16_e32 0x80, v8
; %bb.1229:
	s_mov_b32 s1, 0x7ff80000
	s_brev_b32 s0, 4
	s_xor_b32 s11, exec_lo, -1
; %bb.1230:
	s_or_b32 exec_lo, exec_lo, s3
	s_delay_alu instid0(SALU_CYCLE_1)
	s_and_b32 s3, s11, exec_lo
.LBB465_1231:
	s_or_saveexec_b32 s10, s10
	v_dual_mov_b32 v3, s1 :: v_dual_mov_b32 v2, s0
	s_xor_b32 exec_lo, exec_lo, s10
; %bb.1232:
	v_cmp_ne_u16_e32 vcc_lo, 0, v8
	v_mov_b32_e32 v2, 0
	v_mov_b32_e32 v3, 0
	s_and_not1_b32 s0, s3, exec_lo
	s_and_b32 s1, vcc_lo, exec_lo
	s_delay_alu instid0(SALU_CYCLE_1)
	s_or_b32 s3, s0, s1
; %bb.1233:
	s_or_b32 exec_lo, exec_lo, s10
	s_and_saveexec_b32 s0, s3
	s_cbranch_execz .LBB465_1235
; %bb.1234:
	v_and_b32_e32 v2, 0xffff, v8
	v_lshlrev_b32_e32 v8, 24, v8
	s_delay_alu instid0(VALU_DEP_2) | instskip(NEXT) | instid1(VALU_DEP_2)
	v_and_b32_e32 v3, 3, v2
	v_and_b32_e32 v8, 0x80000000, v8
	s_delay_alu instid0(VALU_DEP_2) | instskip(NEXT) | instid1(VALU_DEP_1)
	v_clz_i32_u32_e32 v12, v3
	v_min_u32_e32 v12, 32, v12
	s_delay_alu instid0(VALU_DEP_1) | instskip(SKIP_1) | instid1(VALU_DEP_2)
	v_subrev_nc_u32_e32 v13, 29, v12
	v_sub_nc_u32_e32 v12, 30, v12
	v_lshlrev_b32_e32 v13, v13, v2
	v_bfe_u32 v2, v2, 2, 5
	s_delay_alu instid0(VALU_DEP_2) | instskip(NEXT) | instid1(VALU_DEP_2)
	v_and_b32_e32 v13, 3, v13
	v_cmp_eq_u32_e32 vcc_lo, 0, v2
	s_delay_alu instid0(VALU_DEP_2) | instskip(NEXT) | instid1(VALU_DEP_1)
	v_dual_cndmask_b32 v2, v2, v12 :: v_dual_cndmask_b32 v3, v3, v13
	v_lshl_add_u32 v2, v2, 23, 0x37800000
	s_delay_alu instid0(VALU_DEP_2) | instskip(NEXT) | instid1(VALU_DEP_1)
	v_lshlrev_b32_e32 v3, 21, v3
	v_or3_b32 v2, v8, v2, v3
	s_delay_alu instid0(VALU_DEP_1)
	v_cvt_f64_f32_e32 v[2:3], v2
.LBB465_1235:
	s_or_b32 exec_lo, exec_lo, s0
	s_mov_b32 s0, 0
	s_branch .LBB465_1239
.LBB465_1236:
                                        ; implicit-def: $vgpr2_vgpr3
	s_mov_b32 s3, 0
	s_branch .LBB465_1245
.LBB465_1237:
	s_mov_b32 s0, -1
                                        ; implicit-def: $vgpr2_vgpr3
	s_branch .LBB465_1242
.LBB465_1238:
	s_mov_b32 s0, -1
                                        ; implicit-def: $vgpr2_vgpr3
.LBB465_1239:
	s_delay_alu instid0(SALU_CYCLE_1)
	s_and_b32 vcc_lo, exec_lo, s0
	s_cbranch_vccz .LBB465_1241
; %bb.1240:
	global_load_u8 v2, v[10:11], off
	s_waitcnt vmcnt(0)
	v_lshlrev_b32_e32 v2, 24, v2
	s_delay_alu instid0(VALU_DEP_1) | instskip(NEXT) | instid1(VALU_DEP_1)
	v_and_b32_e32 v3, 0x7f000000, v2
	v_clz_i32_u32_e32 v8, v3
	v_add_nc_u32_e32 v13, 0x1000000, v3
	v_cmp_ne_u32_e32 vcc_lo, 0, v3
	s_delay_alu instid0(VALU_DEP_3) | instskip(NEXT) | instid1(VALU_DEP_1)
	v_min_u32_e32 v8, 32, v8
	v_sub_nc_u32_e64 v8, v8, 4 clamp
	s_delay_alu instid0(VALU_DEP_1) | instskip(SKIP_1) | instid1(VALU_DEP_2)
	v_lshlrev_b32_e32 v12, v8, v3
	v_lshlrev_b32_e32 v8, 23, v8
	v_lshrrev_b32_e32 v12, 4, v12
	s_delay_alu instid0(VALU_DEP_1) | instskip(SKIP_1) | instid1(VALU_DEP_2)
	v_sub_nc_u32_e32 v8, v12, v8
	v_ashrrev_i32_e32 v12, 8, v13
	v_add_nc_u32_e32 v8, 0x3c000000, v8
	s_delay_alu instid0(VALU_DEP_1) | instskip(NEXT) | instid1(VALU_DEP_1)
	v_and_or_b32 v8, 0x7f800000, v12, v8
	v_cndmask_b32_e32 v3, 0, v8, vcc_lo
	s_delay_alu instid0(VALU_DEP_1) | instskip(NEXT) | instid1(VALU_DEP_1)
	v_and_or_b32 v2, 0x80000000, v2, v3
	v_cvt_f64_f32_e32 v[2:3], v2
.LBB465_1241:
	s_mov_b32 s0, 0
.LBB465_1242:
	s_delay_alu instid0(SALU_CYCLE_1)
	s_and_not1_b32 vcc_lo, exec_lo, s0
	s_cbranch_vccnz .LBB465_1244
; %bb.1243:
	global_load_u8 v2, v[10:11], off
	s_waitcnt vmcnt(0)
	v_lshlrev_b32_e32 v3, 25, v2
	v_lshlrev_b16 v2, 8, v2
	s_delay_alu instid0(VALU_DEP_1) | instskip(SKIP_1) | instid1(VALU_DEP_2)
	v_and_or_b32 v12, 0x7f00, v2, 0.5
	v_bfe_i32 v2, v2, 0, 16
	v_add_f32_e32 v12, -0.5, v12
	v_lshrrev_b32_e32 v8, 4, v3
	v_cmp_gt_u32_e32 vcc_lo, 0x8000000, v3
	s_delay_alu instid0(VALU_DEP_2) | instskip(NEXT) | instid1(VALU_DEP_1)
	v_or_b32_e32 v8, 0x70000000, v8
	v_mul_f32_e32 v8, 0x7800000, v8
	s_delay_alu instid0(VALU_DEP_1) | instskip(NEXT) | instid1(VALU_DEP_1)
	v_cndmask_b32_e32 v3, v8, v12, vcc_lo
	v_and_or_b32 v2, 0x80000000, v2, v3
	s_delay_alu instid0(VALU_DEP_1)
	v_cvt_f64_f32_e32 v[2:3], v2
.LBB465_1244:
	s_mov_b32 s0, -1
	s_mov_b32 s3, 0
	s_cbranch_execnz .LBB465_1253
.LBB465_1245:
	v_cmp_lt_i16_e32 vcc_lo, 14, v15
	s_cbranch_vccz .LBB465_1248
; %bb.1246:
	v_cmp_eq_u16_e32 vcc_lo, 15, v15
	s_cbranch_vccz .LBB465_1249
; %bb.1247:
	global_load_u16 v2, v[10:11], off
	s_mov_b32 s2, 0
	s_mov_b32 s0, -1
	s_waitcnt vmcnt(0)
	v_lshlrev_b32_e32 v2, 16, v2
	s_delay_alu instid0(VALU_DEP_1)
	v_cvt_f64_f32_e32 v[2:3], v2
	s_branch .LBB465_1250
.LBB465_1248:
	s_mov_b32 s1, -1
                                        ; implicit-def: $vgpr2_vgpr3
	s_branch .LBB465_1251
.LBB465_1249:
	s_mov_b32 s2, -1
                                        ; implicit-def: $vgpr2_vgpr3
.LBB465_1250:
	s_mov_b32 s1, 0
.LBB465_1251:
	s_delay_alu instid0(SALU_CYCLE_1)
	s_and_b32 vcc_lo, exec_lo, s1
	s_cbranch_vccz .LBB465_1253
; %bb.1252:
	v_cmp_ne_u16_e64 s2, 11, v15
	s_mov_b32 s3, -1
                                        ; implicit-def: $vgpr2_vgpr3
.LBB465_1253:
	s_delay_alu instid0(VALU_DEP_1)
	s_and_b32 vcc_lo, exec_lo, s2
	s_mov_b32 s2, s8
	s_cbranch_vccnz .LBB465_1277
; %bb.1254:
	s_and_not1_b32 vcc_lo, exec_lo, s3
	s_cbranch_vccnz .LBB465_1256
.LBB465_1255:
	global_load_u8 v2, v[10:11], off
	s_mov_b32 s0, -1
	s_waitcnt vmcnt(0)
	v_cmp_ne_u16_e32 vcc_lo, 0, v2
	v_mov_b32_e32 v2, 0
	v_cndmask_b32_e64 v3, 0, 0x3ff00000, vcc_lo
.LBB465_1256:
.LBB465_1257:
	s_and_not1_b32 vcc_lo, exec_lo, s0
	s_cbranch_vccnz .LBB465_2049
.LBB465_1258:
	v_cmp_gt_i16_e32 vcc_lo, 11, v15
	s_waitcnt vmcnt(0)
	v_add_co_u32 v10, s0, s6, v7
	s_delay_alu instid0(VALU_DEP_1)
	v_add_co_ci_u32_e64 v11, null, s7, 0, s0
	s_mov_b32 s0, 0
	s_cbranch_vccnz .LBB465_1265
; %bb.1259:
	v_cmp_lt_i16_e32 vcc_lo, 25, v15
	s_mov_b32 s10, 0
	s_cbranch_vccz .LBB465_1271
; %bb.1260:
	v_cmp_lt_i16_e32 vcc_lo, 28, v15
	s_cbranch_vccz .LBB465_1273
; %bb.1261:
	v_cmp_lt_i16_e32 vcc_lo, 43, v15
	;; [unrolled: 3-line block ×3, first 2 shown]
	s_cbranch_vccz .LBB465_1281
; %bb.1263:
	v_cmp_eq_u16_e32 vcc_lo, 46, v15
	s_mov_b32 s1, 0
	s_cbranch_vccz .LBB465_1325
; %bb.1264:
	global_load_b32 v7, v[10:11], off
	s_mov_b32 s3, 0
	s_mov_b32 s0, -1
	s_waitcnt vmcnt(0)
	v_lshlrev_b32_e32 v7, 16, v7
	s_delay_alu instid0(VALU_DEP_1)
	v_cvt_f64_f32_e32 v[7:8], v7
	s_branch .LBB465_1327
.LBB465_1265:
                                        ; implicit-def: $vgpr7_vgpr8
	s_cbranch_execz .LBB465_1392
; %bb.1266:
	v_cmp_gt_i16_e32 vcc_lo, 5, v15
	s_cbranch_vccnz .LBB465_1272
; %bb.1267:
	v_cmp_gt_i16_e32 vcc_lo, 8, v15
	s_cbranch_vccnz .LBB465_1274
	;; [unrolled: 3-line block ×3, first 2 shown]
; %bb.1269:
	v_cmp_lt_i16_e32 vcc_lo, 9, v15
	s_cbranch_vccz .LBB465_1282
; %bb.1270:
	global_load_b64 v[7:8], v[10:11], off
	s_mov_b32 s0, 0
	s_branch .LBB465_1283
.LBB465_1271:
	s_mov_b32 s3, 0
                                        ; implicit-def: $vgpr7_vgpr8
	s_cbranch_execnz .LBB465_1358
	s_branch .LBB465_1388
.LBB465_1272:
                                        ; implicit-def: $vgpr7_vgpr8
	s_branch .LBB465_1301
.LBB465_1273:
	s_mov_b32 s1, -1
	s_mov_b32 s3, 0
                                        ; implicit-def: $vgpr7_vgpr8
	s_branch .LBB465_1337
.LBB465_1274:
	s_mov_b32 s0, -1
                                        ; implicit-def: $vgpr7_vgpr8
	s_branch .LBB465_1289
.LBB465_1275:
	s_mov_b32 s1, -1
	s_mov_b32 s3, 0
                                        ; implicit-def: $vgpr7_vgpr8
	s_branch .LBB465_1332
.LBB465_1276:
	s_mov_b32 s0, -1
                                        ; implicit-def: $vgpr7_vgpr8
	s_branch .LBB465_1286
.LBB465_1277:
	s_cbranch_execnz .LBB465_1321
; %bb.1278:
	s_or_b32 s2, s8, exec_lo
                                        ; implicit-def: $vgpr2_vgpr3
	s_cbranch_execz .LBB465_1255
	s_branch .LBB465_1256
.LBB465_1279:
	s_or_saveexec_b32 s7, s7
                                        ; implicit-def: $sgpr8
	s_delay_alu instid0(SALU_CYCLE_1)
	s_xor_b32 exec_lo, exec_lo, s7
	s_cbranch_execz .LBB465_987
.LBB465_1280:
	v_add_f32_e64 v3, 0x46000000, |v2|
	s_and_not1_b32 s5, s5, exec_lo
	s_mov_b32 s8, 0
	s_delay_alu instid0(VALU_DEP_1) | instskip(NEXT) | instid1(VALU_DEP_1)
	v_and_b32_e32 v3, 0xff, v3
	v_cmp_ne_u32_e32 vcc_lo, 0, v3
	s_and_b32 s9, vcc_lo, exec_lo
	s_delay_alu instid0(SALU_CYCLE_1)
	s_or_b32 s5, s5, s9
	s_or_b32 exec_lo, exec_lo, s7
	v_mov_b32_e32 v6, s8
	s_and_saveexec_b32 s7, s5
	s_cbranch_execnz .LBB465_988
	s_branch .LBB465_989
.LBB465_1281:
	s_mov_b32 s1, -1
	s_mov_b32 s3, 0
	s_branch .LBB465_1326
.LBB465_1282:
	s_mov_b32 s0, -1
                                        ; implicit-def: $vgpr7_vgpr8
.LBB465_1283:
	s_delay_alu instid0(SALU_CYCLE_1)
	s_and_not1_b32 vcc_lo, exec_lo, s0
	s_cbranch_vccnz .LBB465_1285
; %bb.1284:
	global_load_b32 v7, v[10:11], off
	s_waitcnt vmcnt(0)
	v_cvt_f64_f32_e32 v[7:8], v7
.LBB465_1285:
	s_mov_b32 s0, 0
.LBB465_1286:
	s_delay_alu instid0(SALU_CYCLE_1)
	s_and_not1_b32 vcc_lo, exec_lo, s0
	s_cbranch_vccnz .LBB465_1288
; %bb.1287:
	global_load_b32 v7, v[10:11], off
	s_waitcnt vmcnt(0)
	v_cvt_f32_f16_e32 v7, v7
	s_delay_alu instid0(VALU_DEP_1)
	v_cvt_f64_f32_e32 v[7:8], v7
.LBB465_1288:
	s_mov_b32 s0, 0
.LBB465_1289:
	s_delay_alu instid0(SALU_CYCLE_1)
	s_and_not1_b32 vcc_lo, exec_lo, s0
	s_cbranch_vccnz .LBB465_1300
; %bb.1290:
	v_cmp_gt_i16_e32 vcc_lo, 6, v15
	s_cbranch_vccnz .LBB465_1293
; %bb.1291:
	v_cmp_lt_i16_e32 vcc_lo, 6, v15
	s_cbranch_vccz .LBB465_1294
; %bb.1292:
	global_load_b64 v[7:8], v[10:11], off
	s_mov_b32 s0, 0
	s_branch .LBB465_1295
.LBB465_1293:
	s_mov_b32 s0, -1
                                        ; implicit-def: $vgpr7_vgpr8
	s_branch .LBB465_1298
.LBB465_1294:
	s_mov_b32 s0, -1
                                        ; implicit-def: $vgpr7_vgpr8
.LBB465_1295:
	s_delay_alu instid0(SALU_CYCLE_1)
	s_and_not1_b32 vcc_lo, exec_lo, s0
	s_cbranch_vccnz .LBB465_1297
; %bb.1296:
	global_load_b32 v7, v[10:11], off
	s_waitcnt vmcnt(0)
	v_cvt_f64_f32_e32 v[7:8], v7
.LBB465_1297:
	s_mov_b32 s0, 0
.LBB465_1298:
	s_delay_alu instid0(SALU_CYCLE_1)
	s_and_not1_b32 vcc_lo, exec_lo, s0
	s_cbranch_vccnz .LBB465_1300
; %bb.1299:
	global_load_u16 v7, v[10:11], off
	s_waitcnt vmcnt(0)
	v_cvt_f32_f16_e32 v7, v7
	s_delay_alu instid0(VALU_DEP_1)
	v_cvt_f64_f32_e32 v[7:8], v7
.LBB465_1300:
	s_cbranch_execnz .LBB465_1320
.LBB465_1301:
	v_cmp_gt_i16_e32 vcc_lo, 2, v15
	s_cbranch_vccnz .LBB465_1305
; %bb.1302:
	v_cmp_gt_i16_e32 vcc_lo, 3, v15
	s_cbranch_vccnz .LBB465_1306
; %bb.1303:
	v_cmp_lt_i16_e32 vcc_lo, 3, v15
	s_cbranch_vccz .LBB465_1307
; %bb.1304:
	global_load_b64 v[7:8], v[10:11], off
	s_mov_b32 s0, 0
	s_waitcnt vmcnt(0)
	v_cvt_f64_i32_e32 v[12:13], v8
	v_cvt_f64_u32_e32 v[7:8], v7
	s_delay_alu instid0(VALU_DEP_2) | instskip(NEXT) | instid1(VALU_DEP_1)
	v_ldexp_f64 v[12:13], v[12:13], 32
	v_add_f64 v[7:8], v[12:13], v[7:8]
	s_branch .LBB465_1308
.LBB465_1305:
	s_mov_b32 s0, -1
                                        ; implicit-def: $vgpr7_vgpr8
	s_branch .LBB465_1314
.LBB465_1306:
	s_mov_b32 s0, -1
                                        ; implicit-def: $vgpr7_vgpr8
	s_branch .LBB465_1311
.LBB465_1307:
	s_mov_b32 s0, -1
                                        ; implicit-def: $vgpr7_vgpr8
.LBB465_1308:
	s_delay_alu instid0(SALU_CYCLE_1)
	s_and_not1_b32 vcc_lo, exec_lo, s0
	s_cbranch_vccnz .LBB465_1310
; %bb.1309:
	global_load_b32 v7, v[10:11], off
	s_waitcnt vmcnt(0)
	v_cvt_f64_i32_e32 v[7:8], v7
.LBB465_1310:
	s_mov_b32 s0, 0
.LBB465_1311:
	s_delay_alu instid0(SALU_CYCLE_1)
	s_and_not1_b32 vcc_lo, exec_lo, s0
	s_cbranch_vccnz .LBB465_1313
; %bb.1312:
	global_load_i16 v7, v[10:11], off
	s_waitcnt vmcnt(0)
	v_cvt_f64_i32_e32 v[7:8], v7
.LBB465_1313:
	s_mov_b32 s0, 0
.LBB465_1314:
	s_delay_alu instid0(SALU_CYCLE_1)
	s_and_not1_b32 vcc_lo, exec_lo, s0
	s_cbranch_vccnz .LBB465_1320
; %bb.1315:
	v_cmp_lt_i16_e32 vcc_lo, 0, v15
	s_mov_b32 s0, 0
	s_cbranch_vccz .LBB465_1317
; %bb.1316:
	global_load_i8 v7, v[10:11], off
	s_waitcnt vmcnt(0)
	v_cvt_f64_i32_e32 v[7:8], v7
	s_branch .LBB465_1318
.LBB465_1317:
	s_mov_b32 s0, -1
                                        ; implicit-def: $vgpr7_vgpr8
.LBB465_1318:
	s_delay_alu instid0(SALU_CYCLE_1)
	s_and_not1_b32 vcc_lo, exec_lo, s0
	s_cbranch_vccnz .LBB465_1320
; %bb.1319:
	global_load_u8 v7, v[10:11], off
	s_waitcnt vmcnt(0)
	v_cvt_f64_u32_e32 v[7:8], v7
.LBB465_1320:
	s_branch .LBB465_1393
.LBB465_1321:
	s_trap 2
	s_sendmsg_rtn_b32 s0, sendmsg(MSG_RTN_GET_DOORBELL)
	s_mov_b32 ttmp2, m0
	s_waitcnt lgkmcnt(0)
	s_and_b32 s0, s0, 0x3ff
	s_delay_alu instid0(SALU_CYCLE_1) | instskip(NEXT) | instid1(SALU_CYCLE_1)
	s_bitset1_b32 s0, 10
	s_mov_b32 m0, s0
	s_sendmsg sendmsg(MSG_INTERRUPT)
	s_mov_b32 m0, ttmp2
.LBB465_1322:                           ; =>This Inner Loop Header: Depth=1
	s_sethalt 5
	s_branch .LBB465_1322
.LBB465_1323:
	s_or_saveexec_b32 s8, s8
                                        ; implicit-def: $sgpr9
	s_delay_alu instid0(SALU_CYCLE_1)
	s_xor_b32 exec_lo, exec_lo, s8
	s_cbranch_execz .LBB465_999
.LBB465_1324:
	v_add_f32_e64 v3, 0x42800000, |v2|
	s_and_not1_b32 s7, s7, exec_lo
	s_mov_b32 s9, 0
	s_delay_alu instid0(VALU_DEP_1) | instskip(NEXT) | instid1(VALU_DEP_1)
	v_and_b32_e32 v3, 0xff, v3
	v_cmp_ne_u32_e32 vcc_lo, 0, v3
	s_and_b32 s10, vcc_lo, exec_lo
	s_delay_alu instid0(SALU_CYCLE_1)
	s_or_b32 s7, s7, s10
	s_or_b32 exec_lo, exec_lo, s8
	v_mov_b32_e32 v6, s9
	s_and_saveexec_b32 s8, s7
	s_cbranch_execnz .LBB465_1000
	s_branch .LBB465_1001
.LBB465_1325:
	s_mov_b32 s3, -1
.LBB465_1326:
                                        ; implicit-def: $vgpr7_vgpr8
.LBB465_1327:
	s_and_b32 vcc_lo, exec_lo, s1
	s_cbranch_vccz .LBB465_1331
; %bb.1328:
	v_cmp_eq_u16_e32 vcc_lo, 44, v15
	s_cbranch_vccz .LBB465_1330
; %bb.1329:
	global_load_u8 v12, v[10:11], off
	s_mov_b32 s3, 0
	s_mov_b32 s0, -1
	s_waitcnt vmcnt(0)
	v_lshlrev_b32_e32 v7, 23, v12
	v_cmp_ne_u32_e32 vcc_lo, 0xff, v12
	s_delay_alu instid0(VALU_DEP_2) | instskip(NEXT) | instid1(VALU_DEP_1)
	v_cvt_f64_f32_e32 v[7:8], v7
	v_cndmask_b32_e32 v7, 0x20000000, v7, vcc_lo
	s_delay_alu instid0(VALU_DEP_2) | instskip(SKIP_1) | instid1(VALU_DEP_2)
	v_cndmask_b32_e32 v8, 0x7ff80000, v8, vcc_lo
	v_cmp_ne_u32_e32 vcc_lo, 0, v12
	v_cndmask_b32_e32 v8, 0x38000000, v8, vcc_lo
	s_delay_alu instid0(VALU_DEP_4)
	v_cndmask_b32_e32 v7, 0, v7, vcc_lo
	s_branch .LBB465_1331
.LBB465_1330:
	s_mov_b32 s3, -1
                                        ; implicit-def: $vgpr7_vgpr8
.LBB465_1331:
	s_mov_b32 s1, 0
.LBB465_1332:
	s_delay_alu instid0(SALU_CYCLE_1)
	s_and_b32 vcc_lo, exec_lo, s1
	s_cbranch_vccz .LBB465_1336
; %bb.1333:
	v_cmp_eq_u16_e32 vcc_lo, 29, v15
	s_cbranch_vccz .LBB465_1335
; %bb.1334:
	global_load_b64 v[7:8], v[10:11], off
	s_mov_b32 s3, 0
	s_mov_b32 s0, -1
	s_mov_b32 s1, 0
	s_waitcnt vmcnt(0)
	v_cvt_f64_u32_e32 v[12:13], v8
	v_cvt_f64_u32_e32 v[7:8], v7
	s_delay_alu instid0(VALU_DEP_2) | instskip(NEXT) | instid1(VALU_DEP_1)
	v_ldexp_f64 v[12:13], v[12:13], 32
	v_add_f64 v[7:8], v[12:13], v[7:8]
	s_branch .LBB465_1337
.LBB465_1335:
	s_mov_b32 s3, -1
                                        ; implicit-def: $vgpr7_vgpr8
.LBB465_1336:
	s_mov_b32 s1, 0
.LBB465_1337:
	s_delay_alu instid0(SALU_CYCLE_1)
	s_and_b32 vcc_lo, exec_lo, s1
	s_cbranch_vccz .LBB465_1357
; %bb.1338:
	v_cmp_gt_i16_e32 vcc_lo, 27, v15
	s_cbranch_vccnz .LBB465_1341
; %bb.1339:
	v_cmp_lt_i16_e32 vcc_lo, 27, v15
	s_cbranch_vccz .LBB465_1342
; %bb.1340:
	global_load_b32 v7, v[10:11], off
	s_mov_b32 s0, 0
	s_waitcnt vmcnt(0)
	v_cvt_f64_u32_e32 v[7:8], v7
	s_branch .LBB465_1343
.LBB465_1341:
	s_mov_b32 s0, -1
                                        ; implicit-def: $vgpr7_vgpr8
	s_branch .LBB465_1346
.LBB465_1342:
	s_mov_b32 s0, -1
                                        ; implicit-def: $vgpr7_vgpr8
.LBB465_1343:
	s_delay_alu instid0(SALU_CYCLE_1)
	s_and_not1_b32 vcc_lo, exec_lo, s0
	s_cbranch_vccnz .LBB465_1345
; %bb.1344:
	global_load_u16 v7, v[10:11], off
	s_waitcnt vmcnt(0)
	v_cvt_f64_u32_e32 v[7:8], v7
.LBB465_1345:
	s_mov_b32 s0, 0
.LBB465_1346:
	s_delay_alu instid0(SALU_CYCLE_1)
	s_and_not1_b32 vcc_lo, exec_lo, s0
	s_cbranch_vccnz .LBB465_1356
; %bb.1347:
	global_load_u8 v12, v[10:11], off
	s_mov_b32 s11, 0
	s_mov_b32 s12, exec_lo
                                        ; implicit-def: $sgpr0_sgpr1
	s_waitcnt vmcnt(0)
	v_cmpx_lt_i16_e32 0x7f, v12
	s_xor_b32 s12, exec_lo, s12
	s_cbranch_execz .LBB465_1351
; %bb.1348:
	s_mov_b32 s13, -1
	s_mov_b32 s11, exec_lo
                                        ; implicit-def: $sgpr0_sgpr1
	v_cmpx_eq_u16_e32 0x80, v12
; %bb.1349:
	s_mov_b32 s1, 0x7ff80000
	s_brev_b32 s0, 4
	s_xor_b32 s13, exec_lo, -1
; %bb.1350:
	s_or_b32 exec_lo, exec_lo, s11
	s_delay_alu instid0(SALU_CYCLE_1)
	s_and_b32 s11, s13, exec_lo
.LBB465_1351:
	s_or_saveexec_b32 s12, s12
	v_dual_mov_b32 v8, s1 :: v_dual_mov_b32 v7, s0
	s_xor_b32 exec_lo, exec_lo, s12
; %bb.1352:
	v_cmp_ne_u16_e32 vcc_lo, 0, v12
	v_mov_b32_e32 v7, 0
	v_mov_b32_e32 v8, 0
	s_and_not1_b32 s0, s11, exec_lo
	s_and_b32 s1, vcc_lo, exec_lo
	s_delay_alu instid0(SALU_CYCLE_1)
	s_or_b32 s11, s0, s1
; %bb.1353:
	s_or_b32 exec_lo, exec_lo, s12
	s_and_saveexec_b32 s0, s11
	s_cbranch_execz .LBB465_1355
; %bb.1354:
	v_and_b32_e32 v7, 0xffff, v12
	v_lshlrev_b32_e32 v12, 24, v12
	s_delay_alu instid0(VALU_DEP_2) | instskip(NEXT) | instid1(VALU_DEP_2)
	v_and_b32_e32 v8, 7, v7
	v_and_b32_e32 v12, 0x80000000, v12
	s_delay_alu instid0(VALU_DEP_2) | instskip(NEXT) | instid1(VALU_DEP_1)
	v_clz_i32_u32_e32 v13, v8
	v_min_u32_e32 v13, 32, v13
	s_delay_alu instid0(VALU_DEP_1) | instskip(SKIP_1) | instid1(VALU_DEP_2)
	v_subrev_nc_u32_e32 v14, 28, v13
	v_sub_nc_u32_e32 v13, 29, v13
	v_lshlrev_b32_e32 v14, v14, v7
	v_bfe_u32 v7, v7, 3, 4
	s_delay_alu instid0(VALU_DEP_2) | instskip(NEXT) | instid1(VALU_DEP_2)
	v_and_b32_e32 v14, 7, v14
	v_cmp_eq_u32_e32 vcc_lo, 0, v7
	s_delay_alu instid0(VALU_DEP_2) | instskip(NEXT) | instid1(VALU_DEP_1)
	v_dual_cndmask_b32 v7, v7, v13 :: v_dual_cndmask_b32 v8, v8, v14
	v_lshl_add_u32 v7, v7, 23, 0x3b800000
	s_delay_alu instid0(VALU_DEP_2) | instskip(NEXT) | instid1(VALU_DEP_1)
	v_lshlrev_b32_e32 v8, 20, v8
	v_or3_b32 v7, v12, v7, v8
	s_delay_alu instid0(VALU_DEP_1)
	v_cvt_f64_f32_e32 v[7:8], v7
.LBB465_1355:
	s_or_b32 exec_lo, exec_lo, s0
.LBB465_1356:
	s_mov_b32 s0, -1
.LBB465_1357:
	s_branch .LBB465_1388
.LBB465_1358:
	v_cmp_lt_i16_e32 vcc_lo, 22, v15
	s_cbranch_vccz .LBB465_1370
; %bb.1359:
	v_cmp_gt_i16_e32 vcc_lo, 24, v15
	s_cbranch_vccnz .LBB465_1371
; %bb.1360:
	v_cmp_lt_i16_e32 vcc_lo, 24, v15
	s_cbranch_vccz .LBB465_1372
; %bb.1361:
	global_load_u8 v12, v[10:11], off
	s_mov_b32 s11, exec_lo
                                        ; implicit-def: $sgpr0_sgpr1
	s_waitcnt vmcnt(0)
	v_cmpx_lt_i16_e32 0x7f, v12
	s_xor_b32 s11, exec_lo, s11
	s_cbranch_execz .LBB465_1365
; %bb.1362:
	s_mov_b32 s12, -1
	s_mov_b32 s10, exec_lo
                                        ; implicit-def: $sgpr0_sgpr1
	v_cmpx_eq_u16_e32 0x80, v12
; %bb.1363:
	s_mov_b32 s1, 0x7ff80000
	s_brev_b32 s0, 4
	s_xor_b32 s12, exec_lo, -1
; %bb.1364:
	s_or_b32 exec_lo, exec_lo, s10
	s_delay_alu instid0(SALU_CYCLE_1)
	s_and_b32 s10, s12, exec_lo
.LBB465_1365:
	s_or_saveexec_b32 s11, s11
	v_dual_mov_b32 v8, s1 :: v_dual_mov_b32 v7, s0
	s_xor_b32 exec_lo, exec_lo, s11
; %bb.1366:
	v_cmp_ne_u16_e32 vcc_lo, 0, v12
	v_mov_b32_e32 v7, 0
	v_mov_b32_e32 v8, 0
	s_and_not1_b32 s0, s10, exec_lo
	s_and_b32 s1, vcc_lo, exec_lo
	s_delay_alu instid0(SALU_CYCLE_1)
	s_or_b32 s10, s0, s1
; %bb.1367:
	s_or_b32 exec_lo, exec_lo, s11
	s_and_saveexec_b32 s0, s10
	s_cbranch_execz .LBB465_1369
; %bb.1368:
	v_and_b32_e32 v7, 0xffff, v12
	v_lshlrev_b32_e32 v12, 24, v12
	s_delay_alu instid0(VALU_DEP_2) | instskip(NEXT) | instid1(VALU_DEP_2)
	v_and_b32_e32 v8, 3, v7
	v_and_b32_e32 v12, 0x80000000, v12
	s_delay_alu instid0(VALU_DEP_2) | instskip(NEXT) | instid1(VALU_DEP_1)
	v_clz_i32_u32_e32 v13, v8
	v_min_u32_e32 v13, 32, v13
	s_delay_alu instid0(VALU_DEP_1) | instskip(SKIP_1) | instid1(VALU_DEP_2)
	v_subrev_nc_u32_e32 v14, 29, v13
	v_sub_nc_u32_e32 v13, 30, v13
	v_lshlrev_b32_e32 v14, v14, v7
	v_bfe_u32 v7, v7, 2, 5
	s_delay_alu instid0(VALU_DEP_2) | instskip(NEXT) | instid1(VALU_DEP_2)
	v_and_b32_e32 v14, 3, v14
	v_cmp_eq_u32_e32 vcc_lo, 0, v7
	s_delay_alu instid0(VALU_DEP_2) | instskip(NEXT) | instid1(VALU_DEP_1)
	v_dual_cndmask_b32 v7, v7, v13 :: v_dual_cndmask_b32 v8, v8, v14
	v_lshl_add_u32 v7, v7, 23, 0x37800000
	s_delay_alu instid0(VALU_DEP_2) | instskip(NEXT) | instid1(VALU_DEP_1)
	v_lshlrev_b32_e32 v8, 21, v8
	v_or3_b32 v7, v12, v7, v8
	s_delay_alu instid0(VALU_DEP_1)
	v_cvt_f64_f32_e32 v[7:8], v7
.LBB465_1369:
	s_or_b32 exec_lo, exec_lo, s0
	s_mov_b32 s0, 0
	s_branch .LBB465_1373
.LBB465_1370:
	s_mov_b32 s1, -1
                                        ; implicit-def: $vgpr7_vgpr8
	s_branch .LBB465_1379
.LBB465_1371:
	s_mov_b32 s0, -1
                                        ; implicit-def: $vgpr7_vgpr8
	s_branch .LBB465_1376
.LBB465_1372:
	s_mov_b32 s0, -1
                                        ; implicit-def: $vgpr7_vgpr8
.LBB465_1373:
	s_delay_alu instid0(SALU_CYCLE_1)
	s_and_b32 vcc_lo, exec_lo, s0
	s_cbranch_vccz .LBB465_1375
; %bb.1374:
	global_load_u8 v7, v[10:11], off
	s_waitcnt vmcnt(0)
	v_lshlrev_b32_e32 v7, 24, v7
	s_delay_alu instid0(VALU_DEP_1) | instskip(NEXT) | instid1(VALU_DEP_1)
	v_and_b32_e32 v8, 0x7f000000, v7
	v_clz_i32_u32_e32 v12, v8
	v_add_nc_u32_e32 v14, 0x1000000, v8
	v_cmp_ne_u32_e32 vcc_lo, 0, v8
	s_delay_alu instid0(VALU_DEP_3) | instskip(NEXT) | instid1(VALU_DEP_1)
	v_min_u32_e32 v12, 32, v12
	v_sub_nc_u32_e64 v12, v12, 4 clamp
	s_delay_alu instid0(VALU_DEP_1) | instskip(SKIP_1) | instid1(VALU_DEP_2)
	v_lshlrev_b32_e32 v13, v12, v8
	v_lshlrev_b32_e32 v12, 23, v12
	v_lshrrev_b32_e32 v13, 4, v13
	s_delay_alu instid0(VALU_DEP_1) | instskip(SKIP_1) | instid1(VALU_DEP_2)
	v_sub_nc_u32_e32 v12, v13, v12
	v_ashrrev_i32_e32 v13, 8, v14
	v_add_nc_u32_e32 v12, 0x3c000000, v12
	s_delay_alu instid0(VALU_DEP_1) | instskip(NEXT) | instid1(VALU_DEP_1)
	v_and_or_b32 v12, 0x7f800000, v13, v12
	v_cndmask_b32_e32 v8, 0, v12, vcc_lo
	s_delay_alu instid0(VALU_DEP_1) | instskip(NEXT) | instid1(VALU_DEP_1)
	v_and_or_b32 v7, 0x80000000, v7, v8
	v_cvt_f64_f32_e32 v[7:8], v7
.LBB465_1375:
	s_mov_b32 s0, 0
.LBB465_1376:
	s_delay_alu instid0(SALU_CYCLE_1)
	s_and_not1_b32 vcc_lo, exec_lo, s0
	s_cbranch_vccnz .LBB465_1378
; %bb.1377:
	global_load_u8 v7, v[10:11], off
	s_waitcnt vmcnt(0)
	v_lshlrev_b32_e32 v8, 25, v7
	v_lshlrev_b16 v7, 8, v7
	s_delay_alu instid0(VALU_DEP_1) | instskip(SKIP_1) | instid1(VALU_DEP_2)
	v_and_or_b32 v13, 0x7f00, v7, 0.5
	v_bfe_i32 v7, v7, 0, 16
	v_add_f32_e32 v13, -0.5, v13
	v_lshrrev_b32_e32 v12, 4, v8
	v_cmp_gt_u32_e32 vcc_lo, 0x8000000, v8
	s_delay_alu instid0(VALU_DEP_2) | instskip(NEXT) | instid1(VALU_DEP_1)
	v_or_b32_e32 v12, 0x70000000, v12
	v_mul_f32_e32 v12, 0x7800000, v12
	s_delay_alu instid0(VALU_DEP_1) | instskip(NEXT) | instid1(VALU_DEP_1)
	v_cndmask_b32_e32 v8, v12, v13, vcc_lo
	v_and_or_b32 v7, 0x80000000, v7, v8
	s_delay_alu instid0(VALU_DEP_1)
	v_cvt_f64_f32_e32 v[7:8], v7
.LBB465_1378:
	s_mov_b32 s1, 0
	s_mov_b32 s0, -1
.LBB465_1379:
	s_and_not1_b32 vcc_lo, exec_lo, s1
	s_mov_b32 s10, 0
	s_cbranch_vccnz .LBB465_1388
; %bb.1380:
	v_cmp_lt_i16_e32 vcc_lo, 14, v15
	s_cbranch_vccz .LBB465_1383
; %bb.1381:
	v_cmp_eq_u16_e32 vcc_lo, 15, v15
	s_cbranch_vccz .LBB465_1384
; %bb.1382:
	global_load_u16 v7, v[10:11], off
	s_mov_b32 s3, 0
	s_mov_b32 s0, -1
	s_waitcnt vmcnt(0)
	v_lshlrev_b32_e32 v7, 16, v7
	s_delay_alu instid0(VALU_DEP_1)
	v_cvt_f64_f32_e32 v[7:8], v7
	s_branch .LBB465_1385
.LBB465_1383:
	s_mov_b32 s1, -1
                                        ; implicit-def: $vgpr7_vgpr8
	s_branch .LBB465_1386
.LBB465_1384:
	s_mov_b32 s3, -1
                                        ; implicit-def: $vgpr7_vgpr8
.LBB465_1385:
	s_mov_b32 s1, 0
.LBB465_1386:
	s_delay_alu instid0(SALU_CYCLE_1)
	s_and_b32 vcc_lo, exec_lo, s1
	s_cbranch_vccz .LBB465_1388
; %bb.1387:
	v_cmp_ne_u16_e64 s3, 11, v15
	s_mov_b32 s10, -1
                                        ; implicit-def: $vgpr7_vgpr8
.LBB465_1388:
	s_delay_alu instid0(VALU_DEP_1)
	s_and_b32 vcc_lo, exec_lo, s3
	s_cbranch_vccnz .LBB465_1412
; %bb.1389:
	s_and_not1_b32 vcc_lo, exec_lo, s10
	s_cbranch_vccnz .LBB465_1391
.LBB465_1390:
	global_load_u8 v7, v[10:11], off
	s_mov_b32 s0, -1
	s_waitcnt vmcnt(0)
	v_cmp_ne_u16_e32 vcc_lo, 0, v7
	v_mov_b32_e32 v7, 0
	v_cndmask_b32_e64 v8, 0, 0x3ff00000, vcc_lo
.LBB465_1391:
.LBB465_1392:
	s_and_not1_b32 vcc_lo, exec_lo, s0
	s_cbranch_vccnz .LBB465_2049
.LBB465_1393:
	v_cmp_gt_i16_e32 vcc_lo, 11, v15
	v_add_co_u32 v11, s0, s6, v9
	s_delay_alu instid0(VALU_DEP_1)
	v_add_co_ci_u32_e64 v12, null, s7, 0, s0
	s_mov_b32 s0, 0
	s_cbranch_vccnz .LBB465_1400
; %bb.1394:
	v_cmp_lt_i16_e32 vcc_lo, 25, v15
	s_mov_b32 s10, 0
	s_cbranch_vccz .LBB465_1406
; %bb.1395:
	v_cmp_lt_i16_e32 vcc_lo, 28, v15
	s_cbranch_vccz .LBB465_1408
; %bb.1396:
	v_cmp_lt_i16_e32 vcc_lo, 43, v15
	;; [unrolled: 3-line block ×3, first 2 shown]
	s_cbranch_vccz .LBB465_1414
; %bb.1398:
	v_cmp_eq_u16_e32 vcc_lo, 46, v15
	s_mov_b32 s1, 0
	s_cbranch_vccz .LBB465_1457
; %bb.1399:
	global_load_b32 v9, v[11:12], off
	s_mov_b32 s3, 0
	s_mov_b32 s0, -1
	s_waitcnt vmcnt(0)
	v_lshlrev_b32_e32 v9, 16, v9
	s_delay_alu instid0(VALU_DEP_1)
	v_cvt_f64_f32_e32 v[9:10], v9
	s_branch .LBB465_1459
.LBB465_1400:
                                        ; implicit-def: $vgpr9_vgpr10
	s_cbranch_execz .LBB465_1525
; %bb.1401:
	v_cmp_gt_i16_e32 vcc_lo, 5, v15
	s_cbranch_vccnz .LBB465_1407
; %bb.1402:
	v_cmp_gt_i16_e32 vcc_lo, 8, v15
	s_cbranch_vccnz .LBB465_1409
	;; [unrolled: 3-line block ×3, first 2 shown]
; %bb.1404:
	v_cmp_lt_i16_e32 vcc_lo, 9, v15
	s_cbranch_vccz .LBB465_1415
; %bb.1405:
	global_load_b64 v[9:10], v[11:12], off
	s_mov_b32 s0, 0
	s_branch .LBB465_1416
.LBB465_1406:
	s_mov_b32 s1, -1
	s_mov_b32 s3, 0
                                        ; implicit-def: $vgpr9_vgpr10
	s_branch .LBB465_1490
.LBB465_1407:
	s_mov_b32 s0, -1
                                        ; implicit-def: $vgpr9_vgpr10
	s_branch .LBB465_1434
.LBB465_1408:
	s_mov_b32 s1, -1
	s_mov_b32 s3, 0
                                        ; implicit-def: $vgpr9_vgpr10
	s_branch .LBB465_1469
.LBB465_1409:
	s_mov_b32 s0, -1
                                        ; implicit-def: $vgpr9_vgpr10
	s_branch .LBB465_1422
.LBB465_1410:
	s_mov_b32 s1, -1
	s_mov_b32 s3, 0
                                        ; implicit-def: $vgpr9_vgpr10
	s_branch .LBB465_1464
.LBB465_1411:
	s_mov_b32 s0, -1
                                        ; implicit-def: $vgpr9_vgpr10
	s_branch .LBB465_1419
.LBB465_1412:
	s_cbranch_execnz .LBB465_1455
; %bb.1413:
	s_or_b32 s2, s2, exec_lo
                                        ; implicit-def: $vgpr7_vgpr8
	s_cbranch_execz .LBB465_1390
	s_branch .LBB465_1391
.LBB465_1414:
	s_mov_b32 s1, -1
	s_mov_b32 s3, 0
	s_branch .LBB465_1458
.LBB465_1415:
	s_mov_b32 s0, -1
                                        ; implicit-def: $vgpr9_vgpr10
.LBB465_1416:
	s_delay_alu instid0(SALU_CYCLE_1)
	s_and_not1_b32 vcc_lo, exec_lo, s0
	s_cbranch_vccnz .LBB465_1418
; %bb.1417:
	global_load_b32 v9, v[11:12], off
	s_waitcnt vmcnt(0)
	v_cvt_f64_f32_e32 v[9:10], v9
.LBB465_1418:
	s_mov_b32 s0, 0
.LBB465_1419:
	s_delay_alu instid0(SALU_CYCLE_1)
	s_and_not1_b32 vcc_lo, exec_lo, s0
	s_cbranch_vccnz .LBB465_1421
; %bb.1420:
	global_load_b32 v9, v[11:12], off
	s_waitcnt vmcnt(0)
	v_cvt_f32_f16_e32 v9, v9
	s_delay_alu instid0(VALU_DEP_1)
	v_cvt_f64_f32_e32 v[9:10], v9
.LBB465_1421:
	s_mov_b32 s0, 0
.LBB465_1422:
	s_delay_alu instid0(SALU_CYCLE_1)
	s_and_not1_b32 vcc_lo, exec_lo, s0
	s_cbranch_vccnz .LBB465_1433
; %bb.1423:
	v_cmp_gt_i16_e32 vcc_lo, 6, v15
	s_cbranch_vccnz .LBB465_1426
; %bb.1424:
	v_cmp_lt_i16_e32 vcc_lo, 6, v15
	s_cbranch_vccz .LBB465_1427
; %bb.1425:
	global_load_b64 v[9:10], v[11:12], off
	s_mov_b32 s0, 0
	s_branch .LBB465_1428
.LBB465_1426:
	s_mov_b32 s0, -1
                                        ; implicit-def: $vgpr9_vgpr10
	s_branch .LBB465_1431
.LBB465_1427:
	s_mov_b32 s0, -1
                                        ; implicit-def: $vgpr9_vgpr10
.LBB465_1428:
	s_delay_alu instid0(SALU_CYCLE_1)
	s_and_not1_b32 vcc_lo, exec_lo, s0
	s_cbranch_vccnz .LBB465_1430
; %bb.1429:
	global_load_b32 v9, v[11:12], off
	s_waitcnt vmcnt(0)
	v_cvt_f64_f32_e32 v[9:10], v9
.LBB465_1430:
	s_mov_b32 s0, 0
.LBB465_1431:
	s_delay_alu instid0(SALU_CYCLE_1)
	s_and_not1_b32 vcc_lo, exec_lo, s0
	s_cbranch_vccnz .LBB465_1433
; %bb.1432:
	global_load_u16 v9, v[11:12], off
	s_waitcnt vmcnt(0)
	v_cvt_f32_f16_e32 v9, v9
	s_delay_alu instid0(VALU_DEP_1)
	v_cvt_f64_f32_e32 v[9:10], v9
.LBB465_1433:
	s_mov_b32 s0, 0
.LBB465_1434:
	s_delay_alu instid0(SALU_CYCLE_1)
	s_and_not1_b32 vcc_lo, exec_lo, s0
	s_cbranch_vccnz .LBB465_1454
; %bb.1435:
	v_cmp_gt_i16_e32 vcc_lo, 2, v15
	s_cbranch_vccnz .LBB465_1439
; %bb.1436:
	v_cmp_gt_i16_e32 vcc_lo, 3, v15
	s_cbranch_vccnz .LBB465_1440
; %bb.1437:
	v_cmp_lt_i16_e32 vcc_lo, 3, v15
	s_cbranch_vccz .LBB465_1441
; %bb.1438:
	global_load_b64 v[9:10], v[11:12], off
	s_mov_b32 s0, 0
	s_waitcnt vmcnt(0)
	v_cvt_f64_i32_e32 v[13:14], v10
	v_cvt_f64_u32_e32 v[9:10], v9
	s_delay_alu instid0(VALU_DEP_2) | instskip(NEXT) | instid1(VALU_DEP_1)
	v_ldexp_f64 v[13:14], v[13:14], 32
	v_add_f64 v[9:10], v[13:14], v[9:10]
	s_branch .LBB465_1442
.LBB465_1439:
	s_mov_b32 s0, -1
                                        ; implicit-def: $vgpr9_vgpr10
	s_branch .LBB465_1448
.LBB465_1440:
	s_mov_b32 s0, -1
                                        ; implicit-def: $vgpr9_vgpr10
	s_branch .LBB465_1445
.LBB465_1441:
	s_mov_b32 s0, -1
                                        ; implicit-def: $vgpr9_vgpr10
.LBB465_1442:
	s_delay_alu instid0(SALU_CYCLE_1)
	s_and_not1_b32 vcc_lo, exec_lo, s0
	s_cbranch_vccnz .LBB465_1444
; %bb.1443:
	global_load_b32 v9, v[11:12], off
	s_waitcnt vmcnt(0)
	v_cvt_f64_i32_e32 v[9:10], v9
.LBB465_1444:
	s_mov_b32 s0, 0
.LBB465_1445:
	s_delay_alu instid0(SALU_CYCLE_1)
	s_and_not1_b32 vcc_lo, exec_lo, s0
	s_cbranch_vccnz .LBB465_1447
; %bb.1446:
	global_load_i16 v9, v[11:12], off
	s_waitcnt vmcnt(0)
	v_cvt_f64_i32_e32 v[9:10], v9
.LBB465_1447:
	s_mov_b32 s0, 0
.LBB465_1448:
	s_delay_alu instid0(SALU_CYCLE_1)
	s_and_not1_b32 vcc_lo, exec_lo, s0
	s_cbranch_vccnz .LBB465_1454
; %bb.1449:
	v_cmp_lt_i16_e32 vcc_lo, 0, v15
	s_mov_b32 s0, 0
	s_cbranch_vccz .LBB465_1451
; %bb.1450:
	global_load_i8 v9, v[11:12], off
	s_waitcnt vmcnt(0)
	v_cvt_f64_i32_e32 v[9:10], v9
	s_branch .LBB465_1452
.LBB465_1451:
	s_mov_b32 s0, -1
                                        ; implicit-def: $vgpr9_vgpr10
.LBB465_1452:
	s_delay_alu instid0(SALU_CYCLE_1)
	s_and_not1_b32 vcc_lo, exec_lo, s0
	s_cbranch_vccnz .LBB465_1454
; %bb.1453:
	global_load_u8 v9, v[11:12], off
	s_waitcnt vmcnt(0)
	v_cvt_f64_u32_e32 v[9:10], v9
.LBB465_1454:
	s_branch .LBB465_1526
.LBB465_1455:
	s_trap 2
	s_sendmsg_rtn_b32 s0, sendmsg(MSG_RTN_GET_DOORBELL)
	s_mov_b32 ttmp2, m0
	s_waitcnt lgkmcnt(0)
	s_and_b32 s0, s0, 0x3ff
	s_delay_alu instid0(SALU_CYCLE_1) | instskip(NEXT) | instid1(SALU_CYCLE_1)
	s_bitset1_b32 s0, 10
	s_mov_b32 m0, s0
	s_sendmsg sendmsg(MSG_INTERRUPT)
	s_mov_b32 m0, ttmp2
.LBB465_1456:                           ; =>This Inner Loop Header: Depth=1
	s_sethalt 5
	s_branch .LBB465_1456
.LBB465_1457:
	s_mov_b32 s3, -1
.LBB465_1458:
                                        ; implicit-def: $vgpr9_vgpr10
.LBB465_1459:
	s_and_b32 vcc_lo, exec_lo, s1
	s_cbranch_vccz .LBB465_1463
; %bb.1460:
	v_cmp_eq_u16_e32 vcc_lo, 44, v15
	s_cbranch_vccz .LBB465_1462
; %bb.1461:
	global_load_u8 v13, v[11:12], off
	s_mov_b32 s3, 0
	s_mov_b32 s0, -1
	s_waitcnt vmcnt(0)
	v_cmp_ne_u32_e32 vcc_lo, 0xff, v13
	v_lshlrev_b32_e32 v9, 23, v13
	s_delay_alu instid0(VALU_DEP_1) | instskip(NEXT) | instid1(VALU_DEP_1)
	v_cvt_f64_f32_e32 v[9:10], v9
	v_cndmask_b32_e32 v10, 0x7ff80000, v10, vcc_lo
	s_delay_alu instid0(VALU_DEP_2) | instskip(SKIP_1) | instid1(VALU_DEP_3)
	v_cndmask_b32_e32 v9, 0x20000000, v9, vcc_lo
	v_cmp_ne_u32_e32 vcc_lo, 0, v13
	v_cndmask_b32_e32 v10, 0x38000000, v10, vcc_lo
	s_delay_alu instid0(VALU_DEP_3)
	v_cndmask_b32_e32 v9, 0, v9, vcc_lo
	s_branch .LBB465_1463
.LBB465_1462:
	s_mov_b32 s3, -1
                                        ; implicit-def: $vgpr9_vgpr10
.LBB465_1463:
	s_mov_b32 s1, 0
.LBB465_1464:
	s_delay_alu instid0(SALU_CYCLE_1)
	s_and_b32 vcc_lo, exec_lo, s1
	s_cbranch_vccz .LBB465_1468
; %bb.1465:
	v_cmp_eq_u16_e32 vcc_lo, 29, v15
	s_cbranch_vccz .LBB465_1467
; %bb.1466:
	global_load_b64 v[9:10], v[11:12], off
	s_mov_b32 s3, 0
	s_mov_b32 s0, -1
	s_mov_b32 s1, 0
	s_waitcnt vmcnt(0)
	v_cvt_f64_u32_e32 v[13:14], v10
	v_cvt_f64_u32_e32 v[9:10], v9
	s_delay_alu instid0(VALU_DEP_2) | instskip(NEXT) | instid1(VALU_DEP_1)
	v_ldexp_f64 v[13:14], v[13:14], 32
	v_add_f64 v[9:10], v[13:14], v[9:10]
	s_branch .LBB465_1469
.LBB465_1467:
	s_mov_b32 s3, -1
                                        ; implicit-def: $vgpr9_vgpr10
.LBB465_1468:
	s_mov_b32 s1, 0
.LBB465_1469:
	s_delay_alu instid0(SALU_CYCLE_1)
	s_and_b32 vcc_lo, exec_lo, s1
	s_cbranch_vccz .LBB465_1489
; %bb.1470:
	v_cmp_gt_i16_e32 vcc_lo, 27, v15
	s_cbranch_vccnz .LBB465_1473
; %bb.1471:
	v_cmp_lt_i16_e32 vcc_lo, 27, v15
	s_cbranch_vccz .LBB465_1474
; %bb.1472:
	global_load_b32 v9, v[11:12], off
	s_mov_b32 s0, 0
	s_waitcnt vmcnt(0)
	v_cvt_f64_u32_e32 v[9:10], v9
	s_branch .LBB465_1475
.LBB465_1473:
	s_mov_b32 s0, -1
                                        ; implicit-def: $vgpr9_vgpr10
	s_branch .LBB465_1478
.LBB465_1474:
	s_mov_b32 s0, -1
                                        ; implicit-def: $vgpr9_vgpr10
.LBB465_1475:
	s_delay_alu instid0(SALU_CYCLE_1)
	s_and_not1_b32 vcc_lo, exec_lo, s0
	s_cbranch_vccnz .LBB465_1477
; %bb.1476:
	global_load_u16 v9, v[11:12], off
	s_waitcnt vmcnt(0)
	v_cvt_f64_u32_e32 v[9:10], v9
.LBB465_1477:
	s_mov_b32 s0, 0
.LBB465_1478:
	s_delay_alu instid0(SALU_CYCLE_1)
	s_and_not1_b32 vcc_lo, exec_lo, s0
	s_cbranch_vccnz .LBB465_1488
; %bb.1479:
	global_load_u8 v13, v[11:12], off
	s_mov_b32 s11, 0
	s_mov_b32 s12, exec_lo
                                        ; implicit-def: $sgpr0_sgpr1
	s_waitcnt vmcnt(0)
	v_cmpx_lt_i16_e32 0x7f, v13
	s_xor_b32 s12, exec_lo, s12
	s_cbranch_execz .LBB465_1483
; %bb.1480:
	s_mov_b32 s13, -1
	s_mov_b32 s11, exec_lo
                                        ; implicit-def: $sgpr0_sgpr1
	v_cmpx_eq_u16_e32 0x80, v13
; %bb.1481:
	s_mov_b32 s1, 0x7ff80000
	s_brev_b32 s0, 4
	s_xor_b32 s13, exec_lo, -1
; %bb.1482:
	s_or_b32 exec_lo, exec_lo, s11
	s_delay_alu instid0(SALU_CYCLE_1)
	s_and_b32 s11, s13, exec_lo
.LBB465_1483:
	s_or_saveexec_b32 s12, s12
	v_dual_mov_b32 v10, s1 :: v_dual_mov_b32 v9, s0
	s_xor_b32 exec_lo, exec_lo, s12
; %bb.1484:
	v_cmp_ne_u16_e32 vcc_lo, 0, v13
	v_mov_b32_e32 v9, 0
	v_mov_b32_e32 v10, 0
	s_and_not1_b32 s0, s11, exec_lo
	s_and_b32 s1, vcc_lo, exec_lo
	s_delay_alu instid0(SALU_CYCLE_1)
	s_or_b32 s11, s0, s1
; %bb.1485:
	s_or_b32 exec_lo, exec_lo, s12
	s_and_saveexec_b32 s0, s11
	s_cbranch_execz .LBB465_1487
; %bb.1486:
	v_and_b32_e32 v9, 0xffff, v13
	v_lshlrev_b32_e32 v13, 24, v13
	s_delay_alu instid0(VALU_DEP_2) | instskip(NEXT) | instid1(VALU_DEP_2)
	v_and_b32_e32 v10, 7, v9
	v_and_b32_e32 v13, 0x80000000, v13
	s_delay_alu instid0(VALU_DEP_2) | instskip(NEXT) | instid1(VALU_DEP_1)
	v_clz_i32_u32_e32 v14, v10
	v_min_u32_e32 v14, 32, v14
	s_delay_alu instid0(VALU_DEP_1) | instskip(SKIP_1) | instid1(VALU_DEP_2)
	v_subrev_nc_u32_e32 v16, 28, v14
	v_sub_nc_u32_e32 v14, 29, v14
	v_lshlrev_b32_e32 v16, v16, v9
	v_bfe_u32 v9, v9, 3, 4
	s_delay_alu instid0(VALU_DEP_2) | instskip(NEXT) | instid1(VALU_DEP_2)
	v_and_b32_e32 v16, 7, v16
	v_cmp_eq_u32_e32 vcc_lo, 0, v9
	s_delay_alu instid0(VALU_DEP_2) | instskip(NEXT) | instid1(VALU_DEP_1)
	v_dual_cndmask_b32 v9, v9, v14 :: v_dual_cndmask_b32 v10, v10, v16
	v_lshl_add_u32 v9, v9, 23, 0x3b800000
	s_delay_alu instid0(VALU_DEP_2) | instskip(NEXT) | instid1(VALU_DEP_1)
	v_lshlrev_b32_e32 v10, 20, v10
	v_or3_b32 v9, v13, v9, v10
	s_delay_alu instid0(VALU_DEP_1)
	v_cvt_f64_f32_e32 v[9:10], v9
.LBB465_1487:
	s_or_b32 exec_lo, exec_lo, s0
.LBB465_1488:
	s_mov_b32 s0, -1
.LBB465_1489:
	s_mov_b32 s1, 0
.LBB465_1490:
	s_delay_alu instid0(SALU_CYCLE_1)
	s_and_b32 vcc_lo, exec_lo, s1
	s_cbranch_vccz .LBB465_1521
; %bb.1491:
	v_cmp_lt_i16_e32 vcc_lo, 22, v15
	s_cbranch_vccz .LBB465_1503
; %bb.1492:
	v_cmp_gt_i16_e32 vcc_lo, 24, v15
	s_cbranch_vccnz .LBB465_1504
; %bb.1493:
	v_cmp_lt_i16_e32 vcc_lo, 24, v15
	s_cbranch_vccz .LBB465_1505
; %bb.1494:
	global_load_u8 v13, v[11:12], off
	s_mov_b32 s11, exec_lo
                                        ; implicit-def: $sgpr0_sgpr1
	s_waitcnt vmcnt(0)
	v_cmpx_lt_i16_e32 0x7f, v13
	s_xor_b32 s11, exec_lo, s11
	s_cbranch_execz .LBB465_1498
; %bb.1495:
	s_mov_b32 s12, -1
	s_mov_b32 s10, exec_lo
                                        ; implicit-def: $sgpr0_sgpr1
	v_cmpx_eq_u16_e32 0x80, v13
; %bb.1496:
	s_mov_b32 s1, 0x7ff80000
	s_brev_b32 s0, 4
	s_xor_b32 s12, exec_lo, -1
; %bb.1497:
	s_or_b32 exec_lo, exec_lo, s10
	s_delay_alu instid0(SALU_CYCLE_1)
	s_and_b32 s10, s12, exec_lo
.LBB465_1498:
	s_or_saveexec_b32 s11, s11
	v_dual_mov_b32 v10, s1 :: v_dual_mov_b32 v9, s0
	s_xor_b32 exec_lo, exec_lo, s11
; %bb.1499:
	v_cmp_ne_u16_e32 vcc_lo, 0, v13
	v_mov_b32_e32 v9, 0
	v_mov_b32_e32 v10, 0
	s_and_not1_b32 s0, s10, exec_lo
	s_and_b32 s1, vcc_lo, exec_lo
	s_delay_alu instid0(SALU_CYCLE_1)
	s_or_b32 s10, s0, s1
; %bb.1500:
	s_or_b32 exec_lo, exec_lo, s11
	s_and_saveexec_b32 s0, s10
	s_cbranch_execz .LBB465_1502
; %bb.1501:
	v_and_b32_e32 v9, 0xffff, v13
	v_lshlrev_b32_e32 v13, 24, v13
	s_delay_alu instid0(VALU_DEP_2) | instskip(NEXT) | instid1(VALU_DEP_2)
	v_and_b32_e32 v10, 3, v9
	v_and_b32_e32 v13, 0x80000000, v13
	s_delay_alu instid0(VALU_DEP_2) | instskip(NEXT) | instid1(VALU_DEP_1)
	v_clz_i32_u32_e32 v14, v10
	v_min_u32_e32 v14, 32, v14
	s_delay_alu instid0(VALU_DEP_1) | instskip(SKIP_1) | instid1(VALU_DEP_2)
	v_subrev_nc_u32_e32 v16, 29, v14
	v_sub_nc_u32_e32 v14, 30, v14
	v_lshlrev_b32_e32 v16, v16, v9
	v_bfe_u32 v9, v9, 2, 5
	s_delay_alu instid0(VALU_DEP_2) | instskip(NEXT) | instid1(VALU_DEP_2)
	v_and_b32_e32 v16, 3, v16
	v_cmp_eq_u32_e32 vcc_lo, 0, v9
	s_delay_alu instid0(VALU_DEP_2) | instskip(NEXT) | instid1(VALU_DEP_1)
	v_dual_cndmask_b32 v9, v9, v14 :: v_dual_cndmask_b32 v10, v10, v16
	v_lshl_add_u32 v9, v9, 23, 0x37800000
	s_delay_alu instid0(VALU_DEP_2) | instskip(NEXT) | instid1(VALU_DEP_1)
	v_lshlrev_b32_e32 v10, 21, v10
	v_or3_b32 v9, v13, v9, v10
	s_delay_alu instid0(VALU_DEP_1)
	v_cvt_f64_f32_e32 v[9:10], v9
.LBB465_1502:
	s_or_b32 exec_lo, exec_lo, s0
	s_mov_b32 s0, 0
	s_branch .LBB465_1506
.LBB465_1503:
	s_mov_b32 s1, -1
                                        ; implicit-def: $vgpr9_vgpr10
	s_branch .LBB465_1512
.LBB465_1504:
	s_mov_b32 s0, -1
                                        ; implicit-def: $vgpr9_vgpr10
	s_branch .LBB465_1509
.LBB465_1505:
	s_mov_b32 s0, -1
                                        ; implicit-def: $vgpr9_vgpr10
.LBB465_1506:
	s_delay_alu instid0(SALU_CYCLE_1)
	s_and_b32 vcc_lo, exec_lo, s0
	s_cbranch_vccz .LBB465_1508
; %bb.1507:
	global_load_u8 v9, v[11:12], off
	s_waitcnt vmcnt(0)
	v_lshlrev_b32_e32 v9, 24, v9
	s_delay_alu instid0(VALU_DEP_1) | instskip(NEXT) | instid1(VALU_DEP_1)
	v_and_b32_e32 v10, 0x7f000000, v9
	v_clz_i32_u32_e32 v13, v10
	v_add_nc_u32_e32 v16, 0x1000000, v10
	v_cmp_ne_u32_e32 vcc_lo, 0, v10
	s_delay_alu instid0(VALU_DEP_3) | instskip(NEXT) | instid1(VALU_DEP_1)
	v_min_u32_e32 v13, 32, v13
	v_sub_nc_u32_e64 v13, v13, 4 clamp
	s_delay_alu instid0(VALU_DEP_1) | instskip(SKIP_1) | instid1(VALU_DEP_2)
	v_lshlrev_b32_e32 v14, v13, v10
	v_lshlrev_b32_e32 v13, 23, v13
	v_lshrrev_b32_e32 v14, 4, v14
	s_delay_alu instid0(VALU_DEP_1) | instskip(SKIP_1) | instid1(VALU_DEP_2)
	v_sub_nc_u32_e32 v13, v14, v13
	v_ashrrev_i32_e32 v14, 8, v16
	v_add_nc_u32_e32 v13, 0x3c000000, v13
	s_delay_alu instid0(VALU_DEP_1) | instskip(NEXT) | instid1(VALU_DEP_1)
	v_and_or_b32 v13, 0x7f800000, v14, v13
	v_cndmask_b32_e32 v10, 0, v13, vcc_lo
	s_delay_alu instid0(VALU_DEP_1) | instskip(NEXT) | instid1(VALU_DEP_1)
	v_and_or_b32 v9, 0x80000000, v9, v10
	v_cvt_f64_f32_e32 v[9:10], v9
.LBB465_1508:
	s_mov_b32 s0, 0
.LBB465_1509:
	s_delay_alu instid0(SALU_CYCLE_1)
	s_and_not1_b32 vcc_lo, exec_lo, s0
	s_cbranch_vccnz .LBB465_1511
; %bb.1510:
	global_load_u8 v9, v[11:12], off
	s_waitcnt vmcnt(0)
	v_lshlrev_b32_e32 v10, 25, v9
	v_lshlrev_b16 v9, 8, v9
	s_delay_alu instid0(VALU_DEP_2) | instskip(NEXT) | instid1(VALU_DEP_2)
	v_lshrrev_b32_e32 v13, 4, v10
	v_and_or_b32 v14, 0x7f00, v9, 0.5
	v_cmp_gt_u32_e32 vcc_lo, 0x8000000, v10
	v_bfe_i32 v9, v9, 0, 16
	s_delay_alu instid0(VALU_DEP_4) | instskip(NEXT) | instid1(VALU_DEP_1)
	v_or_b32_e32 v13, 0x70000000, v13
	v_dual_add_f32 v14, -0.5, v14 :: v_dual_mul_f32 v13, 0x7800000, v13
	s_delay_alu instid0(VALU_DEP_1) | instskip(NEXT) | instid1(VALU_DEP_1)
	v_cndmask_b32_e32 v10, v13, v14, vcc_lo
	v_and_or_b32 v9, 0x80000000, v9, v10
	s_delay_alu instid0(VALU_DEP_1)
	v_cvt_f64_f32_e32 v[9:10], v9
.LBB465_1511:
	s_mov_b32 s1, 0
	s_mov_b32 s0, -1
.LBB465_1512:
	s_and_not1_b32 vcc_lo, exec_lo, s1
	s_mov_b32 s10, 0
	s_cbranch_vccnz .LBB465_1521
; %bb.1513:
	v_cmp_lt_i16_e32 vcc_lo, 14, v15
	s_cbranch_vccz .LBB465_1516
; %bb.1514:
	v_cmp_eq_u16_e32 vcc_lo, 15, v15
	s_cbranch_vccz .LBB465_1517
; %bb.1515:
	global_load_u16 v9, v[11:12], off
	s_mov_b32 s3, 0
	s_mov_b32 s0, -1
	s_waitcnt vmcnt(0)
	v_lshlrev_b32_e32 v9, 16, v9
	s_delay_alu instid0(VALU_DEP_1)
	v_cvt_f64_f32_e32 v[9:10], v9
	s_branch .LBB465_1518
.LBB465_1516:
	s_mov_b32 s1, -1
                                        ; implicit-def: $vgpr9_vgpr10
	s_branch .LBB465_1519
.LBB465_1517:
	s_mov_b32 s3, -1
                                        ; implicit-def: $vgpr9_vgpr10
.LBB465_1518:
	s_mov_b32 s1, 0
.LBB465_1519:
	s_delay_alu instid0(SALU_CYCLE_1)
	s_and_b32 vcc_lo, exec_lo, s1
	s_cbranch_vccz .LBB465_1521
; %bb.1520:
	v_cmp_ne_u16_e64 s3, 11, v15
	s_mov_b32 s10, -1
                                        ; implicit-def: $vgpr9_vgpr10
.LBB465_1521:
	s_delay_alu instid0(VALU_DEP_1)
	s_and_b32 vcc_lo, exec_lo, s3
	s_cbranch_vccnz .LBB465_1537
; %bb.1522:
	s_and_not1_b32 vcc_lo, exec_lo, s10
	s_cbranch_vccnz .LBB465_1524
.LBB465_1523:
	global_load_u8 v9, v[11:12], off
	s_mov_b32 s0, -1
	s_waitcnt vmcnt(0)
	v_cmp_ne_u16_e32 vcc_lo, 0, v9
	v_mov_b32_e32 v9, 0
	v_cndmask_b32_e64 v10, 0, 0x3ff00000, vcc_lo
.LBB465_1524:
.LBB465_1525:
	s_and_not1_b32 vcc_lo, exec_lo, s0
	s_cbranch_vccnz .LBB465_2049
.LBB465_1526:
	v_cmp_gt_i16_e32 vcc_lo, 11, v15
	v_add_co_u32 v13, s0, s6, v1
	s_delay_alu instid0(VALU_DEP_1)
	v_add_co_ci_u32_e64 v14, null, s7, 0, s0
	s_mov_b32 s0, 0
	s_cbranch_vccnz .LBB465_1533
; %bb.1527:
	v_cmp_lt_i16_e32 vcc_lo, 25, v15
	s_mov_b32 s6, 0
	s_cbranch_vccz .LBB465_1534
; %bb.1528:
	v_cmp_lt_i16_e32 vcc_lo, 28, v15
	s_cbranch_vccz .LBB465_1535
; %bb.1529:
	v_cmp_lt_i16_e32 vcc_lo, 43, v15
	;; [unrolled: 3-line block ×3, first 2 shown]
	s_cbranch_vccz .LBB465_1539
; %bb.1531:
	v_cmp_eq_u16_e32 vcc_lo, 46, v15
	s_mov_b32 s1, 0
	s_cbranch_vccz .LBB465_1542
; %bb.1532:
	global_load_b32 v1, v[13:14], off
	s_mov_b32 s3, 0
	s_mov_b32 s0, -1
	s_waitcnt vmcnt(0)
	v_lshlrev_b32_e32 v1, 16, v1
	s_delay_alu instid0(VALU_DEP_1)
	v_cvt_f64_f32_e32 v[11:12], v1
	s_branch .LBB465_1544
.LBB465_1533:
	s_mov_b32 s1, -1
                                        ; implicit-def: $vgpr11_vgpr12
	s_branch .LBB465_1610
.LBB465_1534:
	s_mov_b32 s1, -1
	s_mov_b32 s3, 0
                                        ; implicit-def: $vgpr11_vgpr12
	s_branch .LBB465_1575
.LBB465_1535:
	s_mov_b32 s1, -1
	s_mov_b32 s3, 0
                                        ; implicit-def: $vgpr11_vgpr12
	s_branch .LBB465_1554
.LBB465_1536:
	s_mov_b32 s1, -1
	s_mov_b32 s3, 0
                                        ; implicit-def: $vgpr11_vgpr12
	s_branch .LBB465_1549
.LBB465_1537:
	s_cbranch_execnz .LBB465_1540
; %bb.1538:
	s_or_b32 s2, s2, exec_lo
                                        ; implicit-def: $vgpr9_vgpr10
	s_cbranch_execz .LBB465_1523
	s_branch .LBB465_1524
.LBB465_1539:
	s_mov_b32 s1, -1
	s_mov_b32 s3, 0
	s_branch .LBB465_1543
.LBB465_1540:
	s_trap 2
	s_sendmsg_rtn_b32 s0, sendmsg(MSG_RTN_GET_DOORBELL)
	s_mov_b32 ttmp2, m0
	s_waitcnt lgkmcnt(0)
	s_and_b32 s0, s0, 0x3ff
	s_delay_alu instid0(SALU_CYCLE_1) | instskip(NEXT) | instid1(SALU_CYCLE_1)
	s_bitset1_b32 s0, 10
	s_mov_b32 m0, s0
	s_sendmsg sendmsg(MSG_INTERRUPT)
	s_mov_b32 m0, ttmp2
.LBB465_1541:                           ; =>This Inner Loop Header: Depth=1
	s_sethalt 5
	s_branch .LBB465_1541
.LBB465_1542:
	s_mov_b32 s3, -1
.LBB465_1543:
                                        ; implicit-def: $vgpr11_vgpr12
.LBB465_1544:
	s_and_b32 vcc_lo, exec_lo, s1
	s_cbranch_vccz .LBB465_1548
; %bb.1545:
	v_cmp_eq_u16_e32 vcc_lo, 44, v15
	s_cbranch_vccz .LBB465_1547
; %bb.1546:
	global_load_u8 v1, v[13:14], off
	s_mov_b32 s3, 0
	s_mov_b32 s0, -1
	s_waitcnt vmcnt(0)
	v_cmp_ne_u32_e32 vcc_lo, 0xff, v1
	v_lshlrev_b32_e32 v11, 23, v1
	s_delay_alu instid0(VALU_DEP_1) | instskip(NEXT) | instid1(VALU_DEP_1)
	v_cvt_f64_f32_e32 v[11:12], v11
	v_cndmask_b32_e32 v12, 0x7ff80000, v12, vcc_lo
	s_delay_alu instid0(VALU_DEP_2) | instskip(SKIP_1) | instid1(VALU_DEP_3)
	v_cndmask_b32_e32 v11, 0x20000000, v11, vcc_lo
	v_cmp_ne_u32_e32 vcc_lo, 0, v1
	v_cndmask_b32_e32 v12, 0x38000000, v12, vcc_lo
	s_delay_alu instid0(VALU_DEP_3)
	v_cndmask_b32_e32 v11, 0, v11, vcc_lo
	s_branch .LBB465_1548
.LBB465_1547:
	s_mov_b32 s3, -1
                                        ; implicit-def: $vgpr11_vgpr12
.LBB465_1548:
	s_mov_b32 s1, 0
.LBB465_1549:
	s_delay_alu instid0(SALU_CYCLE_1)
	s_and_b32 vcc_lo, exec_lo, s1
	s_cbranch_vccz .LBB465_1553
; %bb.1550:
	v_cmp_eq_u16_e32 vcc_lo, 29, v15
	s_cbranch_vccz .LBB465_1552
; %bb.1551:
	global_load_b64 v[11:12], v[13:14], off
	s_mov_b32 s3, 0
	s_mov_b32 s0, -1
	s_mov_b32 s1, 0
	s_waitcnt vmcnt(0)
	v_cvt_f64_u32_e32 v[16:17], v12
	v_cvt_f64_u32_e32 v[11:12], v11
	s_delay_alu instid0(VALU_DEP_2) | instskip(NEXT) | instid1(VALU_DEP_1)
	v_ldexp_f64 v[16:17], v[16:17], 32
	v_add_f64 v[11:12], v[16:17], v[11:12]
	s_branch .LBB465_1554
.LBB465_1552:
	s_mov_b32 s3, -1
                                        ; implicit-def: $vgpr11_vgpr12
.LBB465_1553:
	s_mov_b32 s1, 0
.LBB465_1554:
	s_delay_alu instid0(SALU_CYCLE_1)
	s_and_b32 vcc_lo, exec_lo, s1
	s_cbranch_vccz .LBB465_1574
; %bb.1555:
	v_cmp_gt_i16_e32 vcc_lo, 27, v15
	s_cbranch_vccnz .LBB465_1558
; %bb.1556:
	v_cmp_lt_i16_e32 vcc_lo, 27, v15
	s_cbranch_vccz .LBB465_1559
; %bb.1557:
	global_load_b32 v1, v[13:14], off
	s_mov_b32 s0, 0
	s_waitcnt vmcnt(0)
	v_cvt_f64_u32_e32 v[11:12], v1
	s_branch .LBB465_1560
.LBB465_1558:
	s_mov_b32 s0, -1
                                        ; implicit-def: $vgpr11_vgpr12
	s_branch .LBB465_1563
.LBB465_1559:
	s_mov_b32 s0, -1
                                        ; implicit-def: $vgpr11_vgpr12
.LBB465_1560:
	s_delay_alu instid0(SALU_CYCLE_1)
	s_and_not1_b32 vcc_lo, exec_lo, s0
	s_cbranch_vccnz .LBB465_1562
; %bb.1561:
	global_load_u16 v1, v[13:14], off
	s_waitcnt vmcnt(0)
	v_cvt_f64_u32_e32 v[11:12], v1
.LBB465_1562:
	s_mov_b32 s0, 0
.LBB465_1563:
	s_delay_alu instid0(SALU_CYCLE_1)
	s_and_not1_b32 vcc_lo, exec_lo, s0
	s_cbranch_vccnz .LBB465_1573
; %bb.1564:
	global_load_u8 v1, v[13:14], off
	s_mov_b32 s7, 0
	s_mov_b32 s10, exec_lo
                                        ; implicit-def: $sgpr0_sgpr1
	s_waitcnt vmcnt(0)
	v_cmpx_lt_i16_e32 0x7f, v1
	s_xor_b32 s10, exec_lo, s10
	s_cbranch_execz .LBB465_1568
; %bb.1565:
	s_mov_b32 s11, -1
	s_mov_b32 s7, exec_lo
                                        ; implicit-def: $sgpr0_sgpr1
	v_cmpx_eq_u16_e32 0x80, v1
; %bb.1566:
	s_mov_b32 s1, 0x7ff80000
	s_brev_b32 s0, 4
	s_xor_b32 s11, exec_lo, -1
; %bb.1567:
	s_or_b32 exec_lo, exec_lo, s7
	s_delay_alu instid0(SALU_CYCLE_1)
	s_and_b32 s7, s11, exec_lo
.LBB465_1568:
	s_or_saveexec_b32 s10, s10
	v_dual_mov_b32 v12, s1 :: v_dual_mov_b32 v11, s0
	s_xor_b32 exec_lo, exec_lo, s10
; %bb.1569:
	v_cmp_ne_u16_e32 vcc_lo, 0, v1
	v_mov_b32_e32 v11, 0
	v_mov_b32_e32 v12, 0
	s_and_not1_b32 s0, s7, exec_lo
	s_and_b32 s1, vcc_lo, exec_lo
	s_delay_alu instid0(SALU_CYCLE_1)
	s_or_b32 s7, s0, s1
; %bb.1570:
	s_or_b32 exec_lo, exec_lo, s10
	s_and_saveexec_b32 s0, s7
	s_cbranch_execz .LBB465_1572
; %bb.1571:
	v_and_b32_e32 v11, 0xffff, v1
	v_lshlrev_b32_e32 v1, 24, v1
	s_delay_alu instid0(VALU_DEP_2) | instskip(NEXT) | instid1(VALU_DEP_2)
	v_and_b32_e32 v12, 7, v11
	v_and_b32_e32 v1, 0x80000000, v1
	s_delay_alu instid0(VALU_DEP_2) | instskip(NEXT) | instid1(VALU_DEP_1)
	v_clz_i32_u32_e32 v16, v12
	v_min_u32_e32 v16, 32, v16
	s_delay_alu instid0(VALU_DEP_1) | instskip(SKIP_1) | instid1(VALU_DEP_2)
	v_subrev_nc_u32_e32 v17, 28, v16
	v_sub_nc_u32_e32 v16, 29, v16
	v_lshlrev_b32_e32 v17, v17, v11
	v_bfe_u32 v11, v11, 3, 4
	s_delay_alu instid0(VALU_DEP_2) | instskip(NEXT) | instid1(VALU_DEP_2)
	v_and_b32_e32 v17, 7, v17
	v_cmp_eq_u32_e32 vcc_lo, 0, v11
	s_delay_alu instid0(VALU_DEP_2) | instskip(NEXT) | instid1(VALU_DEP_1)
	v_dual_cndmask_b32 v11, v11, v16 :: v_dual_cndmask_b32 v12, v12, v17
	v_lshl_add_u32 v11, v11, 23, 0x3b800000
	s_delay_alu instid0(VALU_DEP_2) | instskip(NEXT) | instid1(VALU_DEP_1)
	v_lshlrev_b32_e32 v12, 20, v12
	v_or3_b32 v1, v1, v11, v12
	s_delay_alu instid0(VALU_DEP_1)
	v_cvt_f64_f32_e32 v[11:12], v1
.LBB465_1572:
	s_or_b32 exec_lo, exec_lo, s0
.LBB465_1573:
	s_mov_b32 s0, -1
.LBB465_1574:
	s_mov_b32 s1, 0
.LBB465_1575:
	s_delay_alu instid0(SALU_CYCLE_1)
	s_and_b32 vcc_lo, exec_lo, s1
	s_cbranch_vccz .LBB465_1606
; %bb.1576:
	v_cmp_lt_i16_e32 vcc_lo, 22, v15
	s_cbranch_vccz .LBB465_1588
; %bb.1577:
	v_cmp_gt_i16_e32 vcc_lo, 24, v15
	s_cbranch_vccnz .LBB465_1589
; %bb.1578:
	v_cmp_lt_i16_e32 vcc_lo, 24, v15
	s_cbranch_vccz .LBB465_1590
; %bb.1579:
	global_load_u8 v1, v[13:14], off
	s_mov_b32 s7, exec_lo
                                        ; implicit-def: $sgpr0_sgpr1
	s_waitcnt vmcnt(0)
	v_cmpx_lt_i16_e32 0x7f, v1
	s_xor_b32 s7, exec_lo, s7
	s_cbranch_execz .LBB465_1583
; %bb.1580:
	s_mov_b32 s10, -1
	s_mov_b32 s6, exec_lo
                                        ; implicit-def: $sgpr0_sgpr1
	v_cmpx_eq_u16_e32 0x80, v1
; %bb.1581:
	s_mov_b32 s1, 0x7ff80000
	s_brev_b32 s0, 4
	s_xor_b32 s10, exec_lo, -1
; %bb.1582:
	s_or_b32 exec_lo, exec_lo, s6
	s_delay_alu instid0(SALU_CYCLE_1)
	s_and_b32 s6, s10, exec_lo
.LBB465_1583:
	s_or_saveexec_b32 s7, s7
	v_dual_mov_b32 v12, s1 :: v_dual_mov_b32 v11, s0
	s_xor_b32 exec_lo, exec_lo, s7
; %bb.1584:
	v_cmp_ne_u16_e32 vcc_lo, 0, v1
	v_mov_b32_e32 v11, 0
	v_mov_b32_e32 v12, 0
	s_and_not1_b32 s0, s6, exec_lo
	s_and_b32 s1, vcc_lo, exec_lo
	s_delay_alu instid0(SALU_CYCLE_1)
	s_or_b32 s6, s0, s1
; %bb.1585:
	s_or_b32 exec_lo, exec_lo, s7
	s_and_saveexec_b32 s0, s6
	s_cbranch_execz .LBB465_1587
; %bb.1586:
	v_and_b32_e32 v11, 0xffff, v1
	v_lshlrev_b32_e32 v1, 24, v1
	s_delay_alu instid0(VALU_DEP_2) | instskip(NEXT) | instid1(VALU_DEP_2)
	v_and_b32_e32 v12, 3, v11
	v_and_b32_e32 v1, 0x80000000, v1
	s_delay_alu instid0(VALU_DEP_2) | instskip(NEXT) | instid1(VALU_DEP_1)
	v_clz_i32_u32_e32 v16, v12
	v_min_u32_e32 v16, 32, v16
	s_delay_alu instid0(VALU_DEP_1) | instskip(SKIP_1) | instid1(VALU_DEP_2)
	v_subrev_nc_u32_e32 v17, 29, v16
	v_sub_nc_u32_e32 v16, 30, v16
	v_lshlrev_b32_e32 v17, v17, v11
	v_bfe_u32 v11, v11, 2, 5
	s_delay_alu instid0(VALU_DEP_2) | instskip(NEXT) | instid1(VALU_DEP_2)
	v_and_b32_e32 v17, 3, v17
	v_cmp_eq_u32_e32 vcc_lo, 0, v11
	s_delay_alu instid0(VALU_DEP_2) | instskip(NEXT) | instid1(VALU_DEP_1)
	v_dual_cndmask_b32 v11, v11, v16 :: v_dual_cndmask_b32 v12, v12, v17
	v_lshl_add_u32 v11, v11, 23, 0x37800000
	s_delay_alu instid0(VALU_DEP_2) | instskip(NEXT) | instid1(VALU_DEP_1)
	v_lshlrev_b32_e32 v12, 21, v12
	v_or3_b32 v1, v1, v11, v12
	s_delay_alu instid0(VALU_DEP_1)
	v_cvt_f64_f32_e32 v[11:12], v1
.LBB465_1587:
	s_or_b32 exec_lo, exec_lo, s0
	s_mov_b32 s0, 0
	s_branch .LBB465_1591
.LBB465_1588:
	s_mov_b32 s1, -1
                                        ; implicit-def: $vgpr11_vgpr12
	s_branch .LBB465_1597
.LBB465_1589:
	s_mov_b32 s0, -1
                                        ; implicit-def: $vgpr11_vgpr12
	s_branch .LBB465_1594
.LBB465_1590:
	s_mov_b32 s0, -1
                                        ; implicit-def: $vgpr11_vgpr12
.LBB465_1591:
	s_delay_alu instid0(SALU_CYCLE_1)
	s_and_b32 vcc_lo, exec_lo, s0
	s_cbranch_vccz .LBB465_1593
; %bb.1592:
	global_load_u8 v1, v[13:14], off
	s_waitcnt vmcnt(0)
	v_lshlrev_b32_e32 v1, 24, v1
	s_delay_alu instid0(VALU_DEP_1) | instskip(NEXT) | instid1(VALU_DEP_1)
	v_and_b32_e32 v11, 0x7f000000, v1
	v_clz_i32_u32_e32 v12, v11
	v_cmp_ne_u32_e32 vcc_lo, 0, v11
	v_add_nc_u32_e32 v17, 0x1000000, v11
	s_delay_alu instid0(VALU_DEP_3) | instskip(NEXT) | instid1(VALU_DEP_1)
	v_min_u32_e32 v12, 32, v12
	v_sub_nc_u32_e64 v12, v12, 4 clamp
	s_delay_alu instid0(VALU_DEP_1) | instskip(SKIP_1) | instid1(VALU_DEP_2)
	v_lshlrev_b32_e32 v16, v12, v11
	v_lshlrev_b32_e32 v12, 23, v12
	v_lshrrev_b32_e32 v16, 4, v16
	s_delay_alu instid0(VALU_DEP_1) | instskip(SKIP_1) | instid1(VALU_DEP_2)
	v_sub_nc_u32_e32 v12, v16, v12
	v_ashrrev_i32_e32 v16, 8, v17
	v_add_nc_u32_e32 v12, 0x3c000000, v12
	s_delay_alu instid0(VALU_DEP_1) | instskip(NEXT) | instid1(VALU_DEP_1)
	v_and_or_b32 v12, 0x7f800000, v16, v12
	v_cndmask_b32_e32 v11, 0, v12, vcc_lo
	s_delay_alu instid0(VALU_DEP_1) | instskip(NEXT) | instid1(VALU_DEP_1)
	v_and_or_b32 v1, 0x80000000, v1, v11
	v_cvt_f64_f32_e32 v[11:12], v1
.LBB465_1593:
	s_mov_b32 s0, 0
.LBB465_1594:
	s_delay_alu instid0(SALU_CYCLE_1)
	s_and_not1_b32 vcc_lo, exec_lo, s0
	s_cbranch_vccnz .LBB465_1596
; %bb.1595:
	global_load_u8 v1, v[13:14], off
	s_waitcnt vmcnt(0)
	v_lshlrev_b32_e32 v11, 25, v1
	v_lshlrev_b16 v1, 8, v1
	s_delay_alu instid0(VALU_DEP_1) | instskip(SKIP_1) | instid1(VALU_DEP_2)
	v_and_or_b32 v16, 0x7f00, v1, 0.5
	v_bfe_i32 v1, v1, 0, 16
	v_add_f32_e32 v16, -0.5, v16
	v_lshrrev_b32_e32 v12, 4, v11
	v_cmp_gt_u32_e32 vcc_lo, 0x8000000, v11
	s_delay_alu instid0(VALU_DEP_2) | instskip(NEXT) | instid1(VALU_DEP_1)
	v_or_b32_e32 v12, 0x70000000, v12
	v_mul_f32_e32 v12, 0x7800000, v12
	s_delay_alu instid0(VALU_DEP_1) | instskip(NEXT) | instid1(VALU_DEP_1)
	v_cndmask_b32_e32 v11, v12, v16, vcc_lo
	v_and_or_b32 v1, 0x80000000, v1, v11
	s_delay_alu instid0(VALU_DEP_1)
	v_cvt_f64_f32_e32 v[11:12], v1
.LBB465_1596:
	s_mov_b32 s1, 0
	s_mov_b32 s0, -1
.LBB465_1597:
	s_and_not1_b32 vcc_lo, exec_lo, s1
	s_mov_b32 s6, 0
	s_cbranch_vccnz .LBB465_1606
; %bb.1598:
	v_cmp_lt_i16_e32 vcc_lo, 14, v15
	s_cbranch_vccz .LBB465_1601
; %bb.1599:
	v_cmp_eq_u16_e32 vcc_lo, 15, v15
	s_cbranch_vccz .LBB465_1602
; %bb.1600:
	global_load_u16 v1, v[13:14], off
	s_mov_b32 s3, 0
	s_mov_b32 s0, -1
	s_waitcnt vmcnt(0)
	v_lshlrev_b32_e32 v1, 16, v1
	s_delay_alu instid0(VALU_DEP_1)
	v_cvt_f64_f32_e32 v[11:12], v1
	s_branch .LBB465_1603
.LBB465_1601:
	s_mov_b32 s1, -1
                                        ; implicit-def: $vgpr11_vgpr12
	s_branch .LBB465_1604
.LBB465_1602:
	s_mov_b32 s3, -1
                                        ; implicit-def: $vgpr11_vgpr12
.LBB465_1603:
	s_mov_b32 s1, 0
.LBB465_1604:
	s_delay_alu instid0(SALU_CYCLE_1)
	s_and_b32 vcc_lo, exec_lo, s1
	s_cbranch_vccz .LBB465_1606
; %bb.1605:
	v_cmp_ne_u16_e64 s3, 11, v15
	s_mov_b32 s6, -1
                                        ; implicit-def: $vgpr11_vgpr12
.LBB465_1606:
	s_delay_alu instid0(VALU_DEP_1)
	s_and_b32 vcc_lo, exec_lo, s3
	s_cbranch_vccnz .LBB465_1669
; %bb.1607:
	s_and_not1_b32 vcc_lo, exec_lo, s6
	s_cbranch_vccnz .LBB465_1609
.LBB465_1608:
	global_load_u8 v1, v[13:14], off
	v_mov_b32_e32 v11, 0
	s_mov_b32 s0, -1
	s_waitcnt vmcnt(0)
	v_cmp_ne_u16_e32 vcc_lo, 0, v1
	v_cndmask_b32_e64 v12, 0, 0x3ff00000, vcc_lo
.LBB465_1609:
	s_mov_b32 s1, 0
.LBB465_1610:
	s_delay_alu instid0(SALU_CYCLE_1)
	s_and_b32 vcc_lo, exec_lo, s1
	s_cbranch_vccz .LBB465_1659
; %bb.1611:
	v_cmp_gt_i16_e32 vcc_lo, 5, v15
	s_cbranch_vccnz .LBB465_1616
; %bb.1612:
	v_cmp_gt_i16_e32 vcc_lo, 8, v15
	s_cbranch_vccnz .LBB465_1617
	;; [unrolled: 3-line block ×3, first 2 shown]
; %bb.1614:
	v_cmp_lt_i16_e32 vcc_lo, 9, v15
	s_cbranch_vccz .LBB465_1619
; %bb.1615:
	global_load_b64 v[11:12], v[13:14], off
	s_mov_b32 s0, 0
	s_branch .LBB465_1620
.LBB465_1616:
	s_mov_b32 s0, -1
                                        ; implicit-def: $vgpr11_vgpr12
	s_branch .LBB465_1638
.LBB465_1617:
	s_mov_b32 s0, -1
                                        ; implicit-def: $vgpr11_vgpr12
	s_branch .LBB465_1626
.LBB465_1618:
	s_mov_b32 s0, -1
                                        ; implicit-def: $vgpr11_vgpr12
	s_branch .LBB465_1623
.LBB465_1619:
	s_mov_b32 s0, -1
                                        ; implicit-def: $vgpr11_vgpr12
.LBB465_1620:
	s_delay_alu instid0(SALU_CYCLE_1)
	s_and_not1_b32 vcc_lo, exec_lo, s0
	s_cbranch_vccnz .LBB465_1622
; %bb.1621:
	global_load_b32 v1, v[13:14], off
	s_waitcnt vmcnt(0)
	v_cvt_f64_f32_e32 v[11:12], v1
.LBB465_1622:
	s_mov_b32 s0, 0
.LBB465_1623:
	s_delay_alu instid0(SALU_CYCLE_1)
	s_and_not1_b32 vcc_lo, exec_lo, s0
	s_cbranch_vccnz .LBB465_1625
; %bb.1624:
	global_load_b32 v1, v[13:14], off
	s_waitcnt vmcnt(0)
	v_cvt_f32_f16_e32 v1, v1
	s_delay_alu instid0(VALU_DEP_1)
	v_cvt_f64_f32_e32 v[11:12], v1
.LBB465_1625:
	s_mov_b32 s0, 0
.LBB465_1626:
	s_delay_alu instid0(SALU_CYCLE_1)
	s_and_not1_b32 vcc_lo, exec_lo, s0
	s_cbranch_vccnz .LBB465_1637
; %bb.1627:
	v_cmp_gt_i16_e32 vcc_lo, 6, v15
	s_cbranch_vccnz .LBB465_1630
; %bb.1628:
	v_cmp_lt_i16_e32 vcc_lo, 6, v15
	s_cbranch_vccz .LBB465_1631
; %bb.1629:
	global_load_b64 v[11:12], v[13:14], off
	s_mov_b32 s0, 0
	s_branch .LBB465_1632
.LBB465_1630:
	s_mov_b32 s0, -1
                                        ; implicit-def: $vgpr11_vgpr12
	s_branch .LBB465_1635
.LBB465_1631:
	s_mov_b32 s0, -1
                                        ; implicit-def: $vgpr11_vgpr12
.LBB465_1632:
	s_delay_alu instid0(SALU_CYCLE_1)
	s_and_not1_b32 vcc_lo, exec_lo, s0
	s_cbranch_vccnz .LBB465_1634
; %bb.1633:
	global_load_b32 v1, v[13:14], off
	s_waitcnt vmcnt(0)
	v_cvt_f64_f32_e32 v[11:12], v1
.LBB465_1634:
	s_mov_b32 s0, 0
.LBB465_1635:
	s_delay_alu instid0(SALU_CYCLE_1)
	s_and_not1_b32 vcc_lo, exec_lo, s0
	s_cbranch_vccnz .LBB465_1637
; %bb.1636:
	global_load_u16 v1, v[13:14], off
	s_waitcnt vmcnt(0)
	v_cvt_f32_f16_e32 v1, v1
	s_delay_alu instid0(VALU_DEP_1)
	v_cvt_f64_f32_e32 v[11:12], v1
.LBB465_1637:
	s_mov_b32 s0, 0
.LBB465_1638:
	s_delay_alu instid0(SALU_CYCLE_1)
	s_and_not1_b32 vcc_lo, exec_lo, s0
	s_cbranch_vccnz .LBB465_1658
; %bb.1639:
	v_cmp_gt_i16_e32 vcc_lo, 2, v15
	s_cbranch_vccnz .LBB465_1643
; %bb.1640:
	v_cmp_gt_i16_e32 vcc_lo, 3, v15
	s_cbranch_vccnz .LBB465_1644
; %bb.1641:
	v_cmp_lt_i16_e32 vcc_lo, 3, v15
	s_cbranch_vccz .LBB465_1645
; %bb.1642:
	global_load_b64 v[11:12], v[13:14], off
	s_mov_b32 s0, 0
	s_waitcnt vmcnt(0)
	v_cvt_f64_i32_e32 v[16:17], v12
	v_cvt_f64_u32_e32 v[11:12], v11
	s_delay_alu instid0(VALU_DEP_2) | instskip(NEXT) | instid1(VALU_DEP_1)
	v_ldexp_f64 v[16:17], v[16:17], 32
	v_add_f64 v[11:12], v[16:17], v[11:12]
	s_branch .LBB465_1646
.LBB465_1643:
	s_mov_b32 s0, -1
                                        ; implicit-def: $vgpr11_vgpr12
	s_branch .LBB465_1652
.LBB465_1644:
	s_mov_b32 s0, -1
                                        ; implicit-def: $vgpr11_vgpr12
	s_branch .LBB465_1649
.LBB465_1645:
	s_mov_b32 s0, -1
                                        ; implicit-def: $vgpr11_vgpr12
.LBB465_1646:
	s_delay_alu instid0(SALU_CYCLE_1)
	s_and_not1_b32 vcc_lo, exec_lo, s0
	s_cbranch_vccnz .LBB465_1648
; %bb.1647:
	global_load_b32 v1, v[13:14], off
	s_waitcnt vmcnt(0)
	v_cvt_f64_i32_e32 v[11:12], v1
.LBB465_1648:
	s_mov_b32 s0, 0
.LBB465_1649:
	s_delay_alu instid0(SALU_CYCLE_1)
	s_and_not1_b32 vcc_lo, exec_lo, s0
	s_cbranch_vccnz .LBB465_1651
; %bb.1650:
	global_load_i16 v1, v[13:14], off
	s_waitcnt vmcnt(0)
	v_cvt_f64_i32_e32 v[11:12], v1
.LBB465_1651:
	s_mov_b32 s0, 0
.LBB465_1652:
	s_delay_alu instid0(SALU_CYCLE_1)
	s_and_not1_b32 vcc_lo, exec_lo, s0
	s_cbranch_vccnz .LBB465_1658
; %bb.1653:
	v_cmp_lt_i16_e32 vcc_lo, 0, v15
	s_mov_b32 s0, 0
	s_cbranch_vccz .LBB465_1655
; %bb.1654:
	global_load_i8 v1, v[13:14], off
	s_waitcnt vmcnt(0)
	v_cvt_f64_i32_e32 v[11:12], v1
	s_branch .LBB465_1656
.LBB465_1655:
	s_mov_b32 s0, -1
                                        ; implicit-def: $vgpr11_vgpr12
.LBB465_1656:
	s_delay_alu instid0(SALU_CYCLE_1)
	s_and_not1_b32 vcc_lo, exec_lo, s0
	s_cbranch_vccnz .LBB465_1658
; %bb.1657:
	global_load_u8 v1, v[13:14], off
	s_waitcnt vmcnt(0)
	v_cvt_f64_u32_e32 v[11:12], v1
.LBB465_1658:
	s_mov_b32 s0, -1
.LBB465_1659:
	s_delay_alu instid0(SALU_CYCLE_1)
	s_and_not1_b32 vcc_lo, exec_lo, s0
	s_cbranch_vccnz .LBB465_2049
; %bb.1660:
	s_clause 0x1
	s_load_b64 s[0:1], s[16:17], 0x158
	s_load_b32 s3, s[16:17], 0x160
	v_max_f64 v[15:16], v[2:3], v[2:3]
	v_cmp_u_f64_e32 vcc_lo, v[2:3], v[2:3]
	s_mov_b32 s6, 0
	s_waitcnt lgkmcnt(0)
	v_max_f64 v[13:14], s[0:1], s[0:1]
	s_and_b32 s3, s3, 0xff
	s_delay_alu instid0(SALU_CYCLE_1) | instskip(NEXT) | instid1(VALU_DEP_2)
	v_cmp_lt_i16_e64 s0, s3, 11
	v_min_f64 v[17:18], v[15:16], v[13:14]
	v_add_co_u32 v15, s1, s4, v0
	s_delay_alu instid0(VALU_DEP_1) | instskip(NEXT) | instid1(VALU_DEP_3)
	v_add_co_ci_u32_e64 v16, null, s5, 0, s1
	v_dual_cndmask_b32 v1, v18, v3 :: v_dual_cndmask_b32 v0, v17, v2
	s_and_b32 vcc_lo, exec_lo, s0
	s_mov_b32 s0, -1
	s_cbranch_vccnz .LBB465_1743
; %bb.1661:
	v_cmp_gt_i16_e64 s0, s3, 25
	s_mov_b32 s7, -1
	s_mov_b32 s1, 0
	s_delay_alu instid0(VALU_DEP_1)
	s_and_b32 vcc_lo, exec_lo, s0
	s_mov_b32 s0, 0
	s_cbranch_vccz .LBB465_1699
; %bb.1662:
	v_cmp_gt_i16_e64 s0, s3, 28
	s_delay_alu instid0(VALU_DEP_1)
	s_and_b32 vcc_lo, exec_lo, s0
	s_cbranch_vccz .LBB465_1667
; %bb.1663:
	v_cmp_gt_i16_e64 s0, s3, 43
	s_delay_alu instid0(VALU_DEP_1)
	s_and_b32 vcc_lo, exec_lo, s0
	;; [unrolled: 5-line block ×3, first 2 shown]
	s_cbranch_vccz .LBB465_1671
; %bb.1665:
	v_cmp_eq_u16_e64 s6, s3, 46
	s_mov_b32 s0, -1
	s_mov_b32 s7, 0
	s_delay_alu instid0(VALU_DEP_1)
	s_and_b32 vcc_lo, exec_lo, s6
	s_mov_b32 s6, 0
	s_cbranch_vccz .LBB465_1672
; %bb.1666:
	v_cvt_f32_f64_e32 v2, v[0:1]
	s_mov_b32 s0, 0
	s_mov_b32 s6, -1
	s_delay_alu instid0(VALU_DEP_1) | instskip(SKIP_1) | instid1(VALU_DEP_2)
	v_bfe_u32 v3, v2, 16, 1
	v_cmp_o_f32_e32 vcc_lo, v2, v2
	v_add3_u32 v3, v2, v3, 0x7fff
	s_delay_alu instid0(VALU_DEP_1) | instskip(NEXT) | instid1(VALU_DEP_1)
	v_lshrrev_b32_e32 v3, 16, v3
	v_cndmask_b32_e32 v2, 0x7fc0, v3, vcc_lo
	global_store_b32 v[15:16], v2, off
	s_branch .LBB465_1672
.LBB465_1667:
	s_mov_b32 s0, 0
	s_branch .LBB465_1682
.LBB465_1668:
	s_mov_b32 s0, 0
	s_branch .LBB465_1678
.LBB465_1669:
	s_cbranch_execnz .LBB465_1794
; %bb.1670:
	s_or_b32 s2, s2, exec_lo
                                        ; implicit-def: $vgpr11_vgpr12
	s_cbranch_execz .LBB465_1608
	s_branch .LBB465_1609
.LBB465_1671:
	s_mov_b32 s0, 0
.LBB465_1672:
	s_and_b32 vcc_lo, exec_lo, s7
	s_cbranch_vccz .LBB465_1677
; %bb.1673:
	v_cmp_eq_u16_e64 s0, s3, 44
	s_delay_alu instid0(VALU_DEP_1)
	s_and_b32 vcc_lo, exec_lo, s0
	s_mov_b32 s0, -1
	s_cbranch_vccz .LBB465_1677
; %bb.1674:
	v_cvt_f32_f64_e32 v2, v[0:1]
	v_mov_b32_e32 v3, 0xff
	s_mov_b32 s6, exec_lo
	s_delay_alu instid0(VALU_DEP_2) | instskip(NEXT) | instid1(VALU_DEP_1)
	v_bfe_u32 v17, v2, 23, 8
	v_cmpx_ne_u32_e32 0xff, v17
; %bb.1675:
	v_and_b32_e32 v3, 0x400000, v2
	v_and_or_b32 v17, 0x3fffff, v2, v17
	v_lshrrev_b32_e32 v2, 23, v2
	s_delay_alu instid0(VALU_DEP_3) | instskip(NEXT) | instid1(VALU_DEP_3)
	v_cmp_ne_u32_e32 vcc_lo, 0, v3
	v_cmp_ne_u32_e64 s0, 0, v17
	s_delay_alu instid0(VALU_DEP_1) | instskip(NEXT) | instid1(SALU_CYCLE_1)
	s_and_b32 s0, vcc_lo, s0
	v_cndmask_b32_e64 v3, 0, 1, s0
	s_delay_alu instid0(VALU_DEP_1)
	v_add_nc_u32_e32 v3, v2, v3
; %bb.1676:
	s_or_b32 exec_lo, exec_lo, s6
	s_mov_b32 s0, 0
	s_mov_b32 s6, -1
	global_store_b8 v[15:16], v3, off
.LBB465_1677:
	s_mov_b32 s7, 0
.LBB465_1678:
	s_delay_alu instid0(SALU_CYCLE_1)
	s_and_b32 vcc_lo, exec_lo, s7
	s_cbranch_vccz .LBB465_1681
; %bb.1679:
	v_cmp_eq_u16_e64 s0, s3, 29
	s_delay_alu instid0(VALU_DEP_1)
	s_and_b32 vcc_lo, exec_lo, s0
	s_mov_b32 s0, -1
	s_cbranch_vccz .LBB465_1681
; %bb.1680:
	v_trunc_f64_e32 v[2:3], v[0:1]
	s_mov_b32 s0, 0
	s_mov_b32 s6, -1
	s_mov_b32 s7, 0
	s_delay_alu instid0(VALU_DEP_1) | instskip(NEXT) | instid1(VALU_DEP_1)
	v_ldexp_f64 v[17:18], v[2:3], 0xffffffe0
	v_floor_f64_e32 v[17:18], v[17:18]
	s_delay_alu instid0(VALU_DEP_1) | instskip(SKIP_1) | instid1(VALU_DEP_2)
	v_fma_f64 v[2:3], 0xc1f00000, v[17:18], v[2:3]
	v_cvt_u32_f64_e32 v18, v[17:18]
	v_cvt_u32_f64_e32 v17, v[2:3]
	global_store_b64 v[15:16], v[17:18], off
	s_branch .LBB465_1682
.LBB465_1681:
	s_mov_b32 s7, 0
.LBB465_1682:
	s_delay_alu instid0(SALU_CYCLE_1)
	s_and_b32 vcc_lo, exec_lo, s7
	s_cbranch_vccz .LBB465_1698
; %bb.1683:
	v_cmp_lt_i16_e64 s6, s3, 27
	s_delay_alu instid0(VALU_DEP_1)
	s_and_b32 vcc_lo, exec_lo, s6
	s_mov_b32 s6, -1
	s_cbranch_vccnz .LBB465_1689
; %bb.1684:
	v_cvt_u32_f64_e32 v2, v[0:1]
	v_cmp_gt_i16_e64 s6, s3, 27
	s_delay_alu instid0(VALU_DEP_1)
	s_and_b32 vcc_lo, exec_lo, s6
	s_mov_b32 s6, -1
	s_cbranch_vccz .LBB465_1686
; %bb.1685:
	s_mov_b32 s6, 0
	global_store_b32 v[15:16], v2, off
.LBB465_1686:
	s_and_not1_b32 vcc_lo, exec_lo, s6
	s_cbranch_vccnz .LBB465_1688
; %bb.1687:
	global_store_b16 v[15:16], v2, off
.LBB465_1688:
	s_mov_b32 s6, 0
.LBB465_1689:
	s_delay_alu instid0(SALU_CYCLE_1)
	s_and_not1_b32 vcc_lo, exec_lo, s6
	s_cbranch_vccnz .LBB465_1697
; %bb.1690:
	v_cvt_f32_f64_e32 v2, v[0:1]
	v_mov_b32_e32 v17, 0x80
	s_mov_b32 s6, exec_lo
	s_delay_alu instid0(VALU_DEP_2) | instskip(NEXT) | instid1(VALU_DEP_1)
	v_and_b32_e32 v3, 0x7fffffff, v2
	v_cmpx_gt_u32_e32 0x43800000, v3
	s_cbranch_execz .LBB465_1696
; %bb.1691:
	v_cmp_lt_u32_e32 vcc_lo, 0x3bffffff, v3
	s_mov_b32 s7, 0
                                        ; implicit-def: $vgpr3
	s_and_saveexec_b32 s10, vcc_lo
	s_delay_alu instid0(SALU_CYCLE_1)
	s_xor_b32 s10, exec_lo, s10
	s_cbranch_execz .LBB465_1791
; %bb.1692:
	v_bfe_u32 v3, v2, 20, 1
	s_mov_b32 s7, exec_lo
	s_delay_alu instid0(VALU_DEP_1) | instskip(NEXT) | instid1(VALU_DEP_1)
	v_add3_u32 v3, v2, v3, 0x487ffff
	v_lshrrev_b32_e32 v3, 20, v3
	s_or_saveexec_b32 s10, s10
                                        ; implicit-def: $sgpr11
	s_delay_alu instid0(SALU_CYCLE_1)
	s_xor_b32 exec_lo, exec_lo, s10
	s_cbranch_execnz .LBB465_1792
.LBB465_1693:
	s_or_b32 exec_lo, exec_lo, s10
	v_mov_b32_e32 v17, s11
	s_and_saveexec_b32 s10, s7
.LBB465_1694:
	v_lshrrev_b32_e32 v2, 24, v2
	s_delay_alu instid0(VALU_DEP_1)
	v_and_or_b32 v17, 0x80, v2, v3
.LBB465_1695:
	s_or_b32 exec_lo, exec_lo, s10
.LBB465_1696:
	s_delay_alu instid0(SALU_CYCLE_1)
	s_or_b32 exec_lo, exec_lo, s6
	global_store_b8 v[15:16], v17, off
.LBB465_1697:
	s_mov_b32 s6, -1
.LBB465_1698:
	s_mov_b32 s7, 0
.LBB465_1699:
	s_delay_alu instid0(SALU_CYCLE_1)
	s_and_b32 vcc_lo, exec_lo, s7
	s_cbranch_vccz .LBB465_1739
; %bb.1700:
	v_cmp_gt_i16_e64 s1, s3, 22
	s_delay_alu instid0(VALU_DEP_1)
	s_and_b32 vcc_lo, exec_lo, s1
	s_mov_b32 s1, -1
	s_cbranch_vccz .LBB465_1732
; %bb.1701:
	v_cmp_lt_i16_e64 s1, s3, 24
	s_delay_alu instid0(VALU_DEP_1)
	s_and_b32 vcc_lo, exec_lo, s1
	s_mov_b32 s1, -1
	s_cbranch_vccnz .LBB465_1721
; %bb.1702:
	v_cmp_gt_i16_e64 s1, s3, 24
	s_delay_alu instid0(VALU_DEP_1)
	s_and_b32 vcc_lo, exec_lo, s1
	s_mov_b32 s1, -1
	s_cbranch_vccz .LBB465_1710
; %bb.1703:
	v_cvt_f32_f64_e32 v2, v[0:1]
	v_mov_b32_e32 v17, 0x80
	s_mov_b32 s1, exec_lo
	s_delay_alu instid0(VALU_DEP_2) | instskip(NEXT) | instid1(VALU_DEP_1)
	v_and_b32_e32 v3, 0x7fffffff, v2
	v_cmpx_gt_u32_e32 0x47800000, v3
	s_cbranch_execz .LBB465_1709
; %bb.1704:
	v_cmp_lt_u32_e32 vcc_lo, 0x37ffffff, v3
	s_mov_b32 s6, 0
                                        ; implicit-def: $vgpr3
	s_and_saveexec_b32 s7, vcc_lo
	s_delay_alu instid0(SALU_CYCLE_1)
	s_xor_b32 s7, exec_lo, s7
	s_cbranch_execz .LBB465_1798
; %bb.1705:
	v_bfe_u32 v3, v2, 21, 1
	s_mov_b32 s6, exec_lo
	s_delay_alu instid0(VALU_DEP_1) | instskip(NEXT) | instid1(VALU_DEP_1)
	v_add3_u32 v3, v2, v3, 0x88fffff
	v_lshrrev_b32_e32 v3, 21, v3
	s_or_saveexec_b32 s7, s7
                                        ; implicit-def: $sgpr10
	s_delay_alu instid0(SALU_CYCLE_1)
	s_xor_b32 exec_lo, exec_lo, s7
	s_cbranch_execnz .LBB465_1799
.LBB465_1706:
	s_or_b32 exec_lo, exec_lo, s7
	v_mov_b32_e32 v17, s10
	s_and_saveexec_b32 s7, s6
.LBB465_1707:
	v_lshrrev_b32_e32 v2, 24, v2
	s_delay_alu instid0(VALU_DEP_1)
	v_and_or_b32 v17, 0x80, v2, v3
.LBB465_1708:
	s_or_b32 exec_lo, exec_lo, s7
.LBB465_1709:
	s_delay_alu instid0(SALU_CYCLE_1)
	s_or_b32 exec_lo, exec_lo, s1
	s_mov_b32 s1, 0
	global_store_b8 v[15:16], v17, off
.LBB465_1710:
	s_and_b32 vcc_lo, exec_lo, s1
	s_cbranch_vccz .LBB465_1720
; %bb.1711:
	v_cvt_f32_f64_e32 v2, v[0:1]
	s_mov_b32 s1, exec_lo
                                        ; implicit-def: $vgpr3
	s_delay_alu instid0(VALU_DEP_1) | instskip(NEXT) | instid1(VALU_DEP_1)
	v_and_b32_e32 v17, 0x7fffffff, v2
	v_cmpx_gt_u32_e32 0x43f00000, v17
	s_xor_b32 s1, exec_lo, s1
	s_cbranch_execz .LBB465_1717
; %bb.1712:
	s_mov_b32 s6, exec_lo
                                        ; implicit-def: $vgpr3
	v_cmpx_lt_u32_e32 0x3c7fffff, v17
	s_xor_b32 s6, exec_lo, s6
; %bb.1713:
	v_bfe_u32 v3, v2, 20, 1
	s_delay_alu instid0(VALU_DEP_1) | instskip(NEXT) | instid1(VALU_DEP_1)
	v_add3_u32 v3, v2, v3, 0x407ffff
	v_and_b32_e32 v17, 0xff00000, v3
	v_lshrrev_b32_e32 v3, 20, v3
	s_delay_alu instid0(VALU_DEP_2) | instskip(NEXT) | instid1(VALU_DEP_2)
	v_cmp_ne_u32_e32 vcc_lo, 0x7f00000, v17
	v_cndmask_b32_e32 v3, 0x7e, v3, vcc_lo
; %bb.1714:
	s_and_not1_saveexec_b32 s6, s6
; %bb.1715:
	v_add_f32_e64 v3, 0x46800000, |v2|
; %bb.1716:
	s_or_b32 exec_lo, exec_lo, s6
                                        ; implicit-def: $vgpr17
.LBB465_1717:
	s_and_not1_saveexec_b32 s1, s1
; %bb.1718:
	v_mov_b32_e32 v3, 0x7f
	v_cmp_lt_u32_e32 vcc_lo, 0x7f800000, v17
	s_delay_alu instid0(VALU_DEP_2)
	v_cndmask_b32_e32 v3, 0x7e, v3, vcc_lo
; %bb.1719:
	s_or_b32 exec_lo, exec_lo, s1
	v_lshrrev_b32_e32 v2, 24, v2
	s_delay_alu instid0(VALU_DEP_1)
	v_and_or_b32 v2, 0x80, v2, v3
	global_store_b8 v[15:16], v2, off
.LBB465_1720:
	s_mov_b32 s1, 0
.LBB465_1721:
	s_delay_alu instid0(SALU_CYCLE_1)
	s_and_not1_b32 vcc_lo, exec_lo, s1
	s_cbranch_vccnz .LBB465_1731
; %bb.1722:
	v_cvt_f32_f64_e32 v2, v[0:1]
	s_mov_b32 s1, exec_lo
                                        ; implicit-def: $vgpr3
	s_delay_alu instid0(VALU_DEP_1) | instskip(NEXT) | instid1(VALU_DEP_1)
	v_and_b32_e32 v17, 0x7fffffff, v2
	v_cmpx_gt_u32_e32 0x47800000, v17
	s_xor_b32 s1, exec_lo, s1
	s_cbranch_execz .LBB465_1728
; %bb.1723:
	s_mov_b32 s6, exec_lo
                                        ; implicit-def: $vgpr3
	v_cmpx_lt_u32_e32 0x387fffff, v17
	s_xor_b32 s6, exec_lo, s6
; %bb.1724:
	v_bfe_u32 v3, v2, 21, 1
	s_delay_alu instid0(VALU_DEP_1) | instskip(NEXT) | instid1(VALU_DEP_1)
	v_add3_u32 v3, v2, v3, 0x80fffff
	v_lshrrev_b32_e32 v3, 21, v3
; %bb.1725:
	s_and_not1_saveexec_b32 s6, s6
; %bb.1726:
	v_add_f32_e64 v3, 0x43000000, |v2|
; %bb.1727:
	s_or_b32 exec_lo, exec_lo, s6
                                        ; implicit-def: $vgpr17
.LBB465_1728:
	s_and_not1_saveexec_b32 s1, s1
; %bb.1729:
	v_mov_b32_e32 v3, 0x7f
	v_cmp_lt_u32_e32 vcc_lo, 0x7f800000, v17
	s_delay_alu instid0(VALU_DEP_2)
	v_cndmask_b32_e32 v3, 0x7c, v3, vcc_lo
; %bb.1730:
	s_or_b32 exec_lo, exec_lo, s1
	v_lshrrev_b32_e32 v2, 24, v2
	s_delay_alu instid0(VALU_DEP_1)
	v_and_or_b32 v2, 0x80, v2, v3
	global_store_b8 v[15:16], v2, off
.LBB465_1731:
	s_mov_b32 s1, 0
	s_mov_b32 s6, -1
.LBB465_1732:
	s_and_not1_b32 vcc_lo, exec_lo, s1
	s_mov_b32 s1, 0
	s_cbranch_vccnz .LBB465_1739
; %bb.1733:
	v_cmp_gt_i16_e64 s1, s3, 14
	s_delay_alu instid0(VALU_DEP_1)
	s_and_b32 vcc_lo, exec_lo, s1
	s_mov_b32 s1, -1
	s_cbranch_vccz .LBB465_1737
; %bb.1734:
	v_cmp_eq_u16_e64 s0, s3, 15
	s_delay_alu instid0(VALU_DEP_1)
	s_and_b32 vcc_lo, exec_lo, s0
	s_mov_b32 s0, -1
	s_cbranch_vccz .LBB465_1736
; %bb.1735:
	v_cvt_f32_f64_e32 v2, v[0:1]
	s_mov_b32 s0, 0
	s_mov_b32 s6, -1
	s_delay_alu instid0(VALU_DEP_1) | instskip(SKIP_1) | instid1(VALU_DEP_2)
	v_bfe_u32 v3, v2, 16, 1
	v_cmp_o_f32_e32 vcc_lo, v2, v2
	v_add3_u32 v3, v2, v3, 0x7fff
	s_delay_alu instid0(VALU_DEP_1) | instskip(NEXT) | instid1(VALU_DEP_1)
	v_lshrrev_b32_e32 v3, 16, v3
	v_cndmask_b32_e32 v2, 0x7fc0, v3, vcc_lo
	global_store_b16 v[15:16], v2, off
.LBB465_1736:
	s_mov_b32 s1, 0
.LBB465_1737:
	s_delay_alu instid0(SALU_CYCLE_1)
	s_and_b32 vcc_lo, exec_lo, s1
	s_mov_b32 s1, 0
	s_cbranch_vccz .LBB465_1739
; %bb.1738:
	v_cmp_ne_u16_e64 s0, s3, 11
	s_mov_b32 s1, -1
.LBB465_1739:
	s_delay_alu instid0(VALU_DEP_1)
	s_and_b32 vcc_lo, exec_lo, s0
	s_cbranch_vccnz .LBB465_1796
; %bb.1740:
	s_and_not1_b32 vcc_lo, exec_lo, s1
	s_cbranch_vccnz .LBB465_1742
.LBB465_1741:
	v_cmp_neq_f64_e32 vcc_lo, 0, v[0:1]
	s_mov_b32 s6, -1
	v_cndmask_b32_e64 v2, 0, 1, vcc_lo
	global_store_b8 v[15:16], v2, off
.LBB465_1742:
	s_mov_b32 s0, 0
.LBB465_1743:
	s_delay_alu instid0(SALU_CYCLE_1)
	s_and_b32 vcc_lo, exec_lo, s0
	s_cbranch_vccz .LBB465_1782
; %bb.1744:
	v_cmp_lt_i16_e64 s0, s3, 5
	s_delay_alu instid0(VALU_DEP_1)
	s_and_b32 vcc_lo, exec_lo, s0
	s_mov_b32 s0, -1
	s_cbranch_vccnz .LBB465_1765
; %bb.1745:
	v_cmp_lt_i16_e64 s0, s3, 8
	s_delay_alu instid0(VALU_DEP_1)
	s_and_b32 vcc_lo, exec_lo, s0
	s_mov_b32 s0, -1
	s_cbranch_vccnz .LBB465_1755
	;; [unrolled: 6-line block ×3, first 2 shown]
; %bb.1747:
	v_cmp_gt_i16_e64 s0, s3, 9
	s_delay_alu instid0(VALU_DEP_1)
	s_and_b32 vcc_lo, exec_lo, s0
	s_mov_b32 s0, -1
	s_cbranch_vccz .LBB465_1749
; %bb.1748:
	v_mov_b32_e32 v2, 0
	s_mov_b32 s0, 0
	s_delay_alu instid0(VALU_DEP_1)
	v_mov_b32_e32 v3, v2
	global_store_b128 v[15:16], v[0:3], off
.LBB465_1749:
	s_and_not1_b32 vcc_lo, exec_lo, s0
	s_cbranch_vccnz .LBB465_1751
; %bb.1750:
	v_cvt_f32_f64_e32 v2, v[0:1]
	v_mov_b32_e32 v3, 0
	global_store_b64 v[15:16], v[2:3], off
.LBB465_1751:
	s_mov_b32 s0, 0
.LBB465_1752:
	s_delay_alu instid0(SALU_CYCLE_1)
	s_and_not1_b32 vcc_lo, exec_lo, s0
	s_cbranch_vccnz .LBB465_1754
; %bb.1753:
	v_cvt_f32_f64_e32 v2, v[0:1]
	s_delay_alu instid0(VALU_DEP_1) | instskip(NEXT) | instid1(VALU_DEP_1)
	v_cvt_f16_f32_e32 v2, v2
	v_and_b32_e32 v2, 0xffff, v2
	global_store_b32 v[15:16], v2, off
.LBB465_1754:
	s_mov_b32 s0, 0
.LBB465_1755:
	s_delay_alu instid0(SALU_CYCLE_1)
	s_and_not1_b32 vcc_lo, exec_lo, s0
	s_cbranch_vccnz .LBB465_1764
; %bb.1756:
	v_cmp_lt_i16_e64 s0, s3, 6
	s_delay_alu instid0(VALU_DEP_1)
	s_and_b32 vcc_lo, exec_lo, s0
	s_mov_b32 s0, -1
	s_cbranch_vccnz .LBB465_1762
; %bb.1757:
	v_cmp_gt_i16_e64 s0, s3, 6
	s_delay_alu instid0(VALU_DEP_1)
	s_and_b32 vcc_lo, exec_lo, s0
	s_mov_b32 s0, -1
	s_cbranch_vccz .LBB465_1759
; %bb.1758:
	s_mov_b32 s0, 0
	global_store_b64 v[15:16], v[0:1], off
.LBB465_1759:
	s_and_not1_b32 vcc_lo, exec_lo, s0
	s_cbranch_vccnz .LBB465_1761
; %bb.1760:
	v_cvt_f32_f64_e32 v2, v[0:1]
	global_store_b32 v[15:16], v2, off
.LBB465_1761:
	s_mov_b32 s0, 0
.LBB465_1762:
	s_delay_alu instid0(SALU_CYCLE_1)
	s_and_not1_b32 vcc_lo, exec_lo, s0
	s_cbranch_vccnz .LBB465_1764
; %bb.1763:
	v_cvt_f32_f64_e32 v2, v[0:1]
	s_delay_alu instid0(VALU_DEP_1)
	v_cvt_f16_f32_e32 v2, v2
	global_store_b16 v[15:16], v2, off
.LBB465_1764:
	s_mov_b32 s0, 0
.LBB465_1765:
	s_delay_alu instid0(SALU_CYCLE_1)
	s_and_not1_b32 vcc_lo, exec_lo, s0
	s_cbranch_vccnz .LBB465_1781
; %bb.1766:
	v_cmp_lt_i16_e64 s0, s3, 2
	s_delay_alu instid0(VALU_DEP_1)
	s_and_b32 vcc_lo, exec_lo, s0
	s_mov_b32 s0, -1
	s_cbranch_vccnz .LBB465_1776
; %bb.1767:
	v_cmp_lt_i16_e64 s0, s3, 3
	s_delay_alu instid0(VALU_DEP_1)
	s_and_b32 vcc_lo, exec_lo, s0
	s_mov_b32 s0, -1
	s_cbranch_vccnz .LBB465_1773
; %bb.1768:
	v_cmp_gt_i16_e64 s0, s3, 3
	s_delay_alu instid0(VALU_DEP_1)
	s_and_b32 vcc_lo, exec_lo, s0
	s_mov_b32 s0, -1
	s_cbranch_vccz .LBB465_1770
; %bb.1769:
	v_trunc_f64_e32 v[2:3], v[0:1]
	s_mov_b32 s0, 0
	s_delay_alu instid0(VALU_DEP_1) | instskip(NEXT) | instid1(VALU_DEP_1)
	v_ldexp_f64 v[17:18], v[2:3], 0xffffffe0
	v_floor_f64_e32 v[17:18], v[17:18]
	s_delay_alu instid0(VALU_DEP_1) | instskip(SKIP_1) | instid1(VALU_DEP_2)
	v_fma_f64 v[2:3], 0xc1f00000, v[17:18], v[2:3]
	v_cvt_i32_f64_e32 v18, v[17:18]
	v_cvt_u32_f64_e32 v17, v[2:3]
	global_store_b64 v[15:16], v[17:18], off
.LBB465_1770:
	s_and_not1_b32 vcc_lo, exec_lo, s0
	s_cbranch_vccnz .LBB465_1772
; %bb.1771:
	v_cvt_i32_f64_e32 v2, v[0:1]
	global_store_b32 v[15:16], v2, off
.LBB465_1772:
	s_mov_b32 s0, 0
.LBB465_1773:
	s_delay_alu instid0(SALU_CYCLE_1)
	s_and_not1_b32 vcc_lo, exec_lo, s0
	s_cbranch_vccnz .LBB465_1775
; %bb.1774:
	v_cvt_i32_f64_e32 v2, v[0:1]
	global_store_b16 v[15:16], v2, off
.LBB465_1775:
	s_mov_b32 s0, 0
.LBB465_1776:
	s_delay_alu instid0(SALU_CYCLE_1)
	s_and_not1_b32 vcc_lo, exec_lo, s0
	s_cbranch_vccnz .LBB465_1781
; %bb.1777:
	v_cmp_gt_i16_e64 s0, s3, 0
	s_delay_alu instid0(VALU_DEP_1)
	s_and_b32 vcc_lo, exec_lo, s0
	s_mov_b32 s0, -1
	s_cbranch_vccz .LBB465_1779
; %bb.1778:
	v_cvt_i32_f64_e32 v2, v[0:1]
	s_mov_b32 s0, 0
	global_store_b8 v[15:16], v2, off
.LBB465_1779:
	s_and_not1_b32 vcc_lo, exec_lo, s0
	s_cbranch_vccnz .LBB465_1781
; %bb.1780:
	v_trunc_f64_e32 v[0:1], v[0:1]
	s_delay_alu instid0(VALU_DEP_1) | instskip(NEXT) | instid1(VALU_DEP_1)
	v_ldexp_f64 v[2:3], v[0:1], 0xffffffe0
	v_floor_f64_e32 v[2:3], v[2:3]
	s_delay_alu instid0(VALU_DEP_1) | instskip(NEXT) | instid1(VALU_DEP_1)
	v_fma_f64 v[0:1], 0xc1f00000, v[2:3], v[0:1]
	v_cvt_u32_f64_e32 v0, v[0:1]
	global_store_b8 v[15:16], v0, off
.LBB465_1781:
	s_mov_b32 s6, -1
.LBB465_1782:
	s_delay_alu instid0(SALU_CYCLE_1)
	s_and_not1_b32 vcc_lo, exec_lo, s6
	s_cbranch_vccnz .LBB465_2049
; %bb.1783:
	s_waitcnt vmcnt(0)
	v_max_f64 v[0:1], v[7:8], v[7:8]
	v_cmp_u_f64_e32 vcc_lo, v[7:8], v[7:8]
	v_cmp_lt_i16_e64 s0, s3, 11
	v_add_co_u32 v15, s1, s4, v6
	s_delay_alu instid0(VALU_DEP_1) | instskip(SKIP_2) | instid1(VALU_DEP_1)
	v_add_co_ci_u32_e64 v16, null, s5, 0, s1
	s_mov_b32 s6, 0
	v_min_f64 v[0:1], v[0:1], v[13:14]
	v_dual_cndmask_b32 v1, v1, v8 :: v_dual_cndmask_b32 v0, v0, v7
	s_and_b32 vcc_lo, exec_lo, s0
	s_mov_b32 s0, -1
	s_cbranch_vccnz .LBB465_1872
; %bb.1784:
	v_cmp_gt_i16_e64 s0, s3, 25
	s_mov_b32 s7, -1
	s_mov_b32 s1, 0
	s_delay_alu instid0(VALU_DEP_1)
	s_and_b32 vcc_lo, exec_lo, s0
	s_mov_b32 s0, 0
	s_cbranch_vccz .LBB465_1828
; %bb.1785:
	v_cmp_gt_i16_e64 s0, s3, 28
	s_delay_alu instid0(VALU_DEP_1)
	s_and_b32 vcc_lo, exec_lo, s0
	s_cbranch_vccz .LBB465_1790
; %bb.1786:
	v_cmp_gt_i16_e64 s0, s3, 43
	s_delay_alu instid0(VALU_DEP_1)
	s_and_b32 vcc_lo, exec_lo, s0
	;; [unrolled: 5-line block ×3, first 2 shown]
	s_cbranch_vccz .LBB465_1800
; %bb.1788:
	v_cmp_eq_u16_e64 s6, s3, 46
	s_mov_b32 s0, -1
	s_mov_b32 s7, 0
	s_delay_alu instid0(VALU_DEP_1)
	s_and_b32 vcc_lo, exec_lo, s6
	s_mov_b32 s6, 0
	s_cbranch_vccz .LBB465_1801
; %bb.1789:
	v_cvt_f32_f64_e32 v2, v[0:1]
	s_mov_b32 s0, 0
	s_mov_b32 s6, -1
	s_delay_alu instid0(VALU_DEP_1) | instskip(SKIP_1) | instid1(VALU_DEP_2)
	v_bfe_u32 v3, v2, 16, 1
	v_cmp_o_f32_e32 vcc_lo, v2, v2
	v_add3_u32 v3, v2, v3, 0x7fff
	s_delay_alu instid0(VALU_DEP_1) | instskip(NEXT) | instid1(VALU_DEP_1)
	v_lshrrev_b32_e32 v3, 16, v3
	v_cndmask_b32_e32 v2, 0x7fc0, v3, vcc_lo
	global_store_b32 v[15:16], v2, off
	s_branch .LBB465_1801
.LBB465_1790:
	s_mov_b32 s0, 0
	s_branch .LBB465_1811
.LBB465_1791:
	s_or_saveexec_b32 s10, s10
                                        ; implicit-def: $sgpr11
	s_delay_alu instid0(SALU_CYCLE_1)
	s_xor_b32 exec_lo, exec_lo, s10
	s_cbranch_execz .LBB465_1693
.LBB465_1792:
	v_add_f32_e64 v3, 0x46000000, |v2|
	s_and_not1_b32 s7, s7, exec_lo
	s_mov_b32 s11, 0
	s_delay_alu instid0(VALU_DEP_1) | instskip(NEXT) | instid1(VALU_DEP_1)
	v_and_b32_e32 v3, 0xff, v3
	v_cmp_ne_u32_e32 vcc_lo, 0, v3
	s_and_b32 s12, vcc_lo, exec_lo
	s_delay_alu instid0(SALU_CYCLE_1)
	s_or_b32 s7, s7, s12
	s_or_b32 exec_lo, exec_lo, s10
	v_mov_b32_e32 v17, s11
	s_and_saveexec_b32 s10, s7
	s_cbranch_execnz .LBB465_1694
	s_branch .LBB465_1695
.LBB465_1793:
	s_mov_b32 s0, 0
	s_branch .LBB465_1807
.LBB465_1794:
	s_trap 2
	s_sendmsg_rtn_b32 s0, sendmsg(MSG_RTN_GET_DOORBELL)
	s_mov_b32 ttmp2, m0
	s_waitcnt lgkmcnt(0)
	s_and_b32 s0, s0, 0x3ff
	s_delay_alu instid0(SALU_CYCLE_1) | instskip(NEXT) | instid1(SALU_CYCLE_1)
	s_bitset1_b32 s0, 10
	s_mov_b32 m0, s0
	s_sendmsg sendmsg(MSG_INTERRUPT)
	s_mov_b32 m0, ttmp2
.LBB465_1795:                           ; =>This Inner Loop Header: Depth=1
	s_sethalt 5
	s_branch .LBB465_1795
.LBB465_1796:
	s_cbranch_execnz .LBB465_1923
; %bb.1797:
	s_or_b32 s2, s2, exec_lo
	s_cbranch_execz .LBB465_1741
	s_branch .LBB465_1742
.LBB465_1798:
	s_or_saveexec_b32 s7, s7
                                        ; implicit-def: $sgpr10
	s_delay_alu instid0(SALU_CYCLE_1)
	s_xor_b32 exec_lo, exec_lo, s7
	s_cbranch_execz .LBB465_1706
.LBB465_1799:
	v_add_f32_e64 v3, 0x42800000, |v2|
	s_and_not1_b32 s6, s6, exec_lo
	s_mov_b32 s10, 0
	s_delay_alu instid0(VALU_DEP_1) | instskip(NEXT) | instid1(VALU_DEP_1)
	v_and_b32_e32 v3, 0xff, v3
	v_cmp_ne_u32_e32 vcc_lo, 0, v3
	s_and_b32 s11, vcc_lo, exec_lo
	s_delay_alu instid0(SALU_CYCLE_1)
	s_or_b32 s6, s6, s11
	s_or_b32 exec_lo, exec_lo, s7
	v_mov_b32_e32 v17, s10
	s_and_saveexec_b32 s7, s6
	s_cbranch_execnz .LBB465_1707
	s_branch .LBB465_1708
.LBB465_1800:
	s_mov_b32 s0, 0
.LBB465_1801:
	s_and_b32 vcc_lo, exec_lo, s7
	s_cbranch_vccz .LBB465_1806
; %bb.1802:
	v_cmp_eq_u16_e64 s0, s3, 44
	s_delay_alu instid0(VALU_DEP_1)
	s_and_b32 vcc_lo, exec_lo, s0
	s_mov_b32 s0, -1
	s_cbranch_vccz .LBB465_1806
; %bb.1803:
	v_cvt_f32_f64_e32 v2, v[0:1]
	v_mov_b32_e32 v3, 0xff
	s_mov_b32 s6, exec_lo
	s_delay_alu instid0(VALU_DEP_2) | instskip(NEXT) | instid1(VALU_DEP_1)
	v_bfe_u32 v6, v2, 23, 8
	v_cmpx_ne_u32_e32 0xff, v6
; %bb.1804:
	v_and_b32_e32 v3, 0x400000, v2
	v_and_or_b32 v6, 0x3fffff, v2, v6
	v_lshrrev_b32_e32 v2, 23, v2
	s_delay_alu instid0(VALU_DEP_3) | instskip(NEXT) | instid1(VALU_DEP_3)
	v_cmp_ne_u32_e32 vcc_lo, 0, v3
	v_cmp_ne_u32_e64 s0, 0, v6
	s_delay_alu instid0(VALU_DEP_1) | instskip(NEXT) | instid1(SALU_CYCLE_1)
	s_and_b32 s0, vcc_lo, s0
	v_cndmask_b32_e64 v3, 0, 1, s0
	s_delay_alu instid0(VALU_DEP_1)
	v_add_nc_u32_e32 v3, v2, v3
; %bb.1805:
	s_or_b32 exec_lo, exec_lo, s6
	s_mov_b32 s0, 0
	s_mov_b32 s6, -1
	global_store_b8 v[15:16], v3, off
.LBB465_1806:
	s_mov_b32 s7, 0
.LBB465_1807:
	s_delay_alu instid0(SALU_CYCLE_1)
	s_and_b32 vcc_lo, exec_lo, s7
	s_cbranch_vccz .LBB465_1810
; %bb.1808:
	v_cmp_eq_u16_e64 s0, s3, 29
	s_delay_alu instid0(VALU_DEP_1)
	s_and_b32 vcc_lo, exec_lo, s0
	s_mov_b32 s0, -1
	s_cbranch_vccz .LBB465_1810
; %bb.1809:
	v_trunc_f64_e32 v[2:3], v[0:1]
	s_mov_b32 s0, 0
	s_mov_b32 s6, -1
	s_mov_b32 s7, 0
	s_delay_alu instid0(VALU_DEP_1) | instskip(NEXT) | instid1(VALU_DEP_1)
	v_ldexp_f64 v[6:7], v[2:3], 0xffffffe0
	v_floor_f64_e32 v[6:7], v[6:7]
	s_delay_alu instid0(VALU_DEP_1) | instskip(SKIP_1) | instid1(VALU_DEP_2)
	v_fma_f64 v[2:3], 0xc1f00000, v[6:7], v[2:3]
	v_cvt_u32_f64_e32 v7, v[6:7]
	v_cvt_u32_f64_e32 v6, v[2:3]
	global_store_b64 v[15:16], v[6:7], off
	s_branch .LBB465_1811
.LBB465_1810:
	s_mov_b32 s7, 0
.LBB465_1811:
	s_delay_alu instid0(SALU_CYCLE_1)
	s_and_b32 vcc_lo, exec_lo, s7
	s_cbranch_vccz .LBB465_1827
; %bb.1812:
	v_cmp_lt_i16_e64 s6, s3, 27
	s_delay_alu instid0(VALU_DEP_1)
	s_and_b32 vcc_lo, exec_lo, s6
	s_mov_b32 s6, -1
	s_cbranch_vccnz .LBB465_1818
; %bb.1813:
	v_cvt_u32_f64_e32 v2, v[0:1]
	v_cmp_gt_i16_e64 s6, s3, 27
	s_delay_alu instid0(VALU_DEP_1)
	s_and_b32 vcc_lo, exec_lo, s6
	s_mov_b32 s6, -1
	s_cbranch_vccz .LBB465_1815
; %bb.1814:
	s_mov_b32 s6, 0
	global_store_b32 v[15:16], v2, off
.LBB465_1815:
	s_and_not1_b32 vcc_lo, exec_lo, s6
	s_cbranch_vccnz .LBB465_1817
; %bb.1816:
	global_store_b16 v[15:16], v2, off
.LBB465_1817:
	s_mov_b32 s6, 0
.LBB465_1818:
	s_delay_alu instid0(SALU_CYCLE_1)
	s_and_not1_b32 vcc_lo, exec_lo, s6
	s_cbranch_vccnz .LBB465_1826
; %bb.1819:
	v_cvt_f32_f64_e32 v2, v[0:1]
	v_mov_b32_e32 v6, 0x80
	s_mov_b32 s6, exec_lo
	s_delay_alu instid0(VALU_DEP_2) | instskip(NEXT) | instid1(VALU_DEP_1)
	v_and_b32_e32 v3, 0x7fffffff, v2
	v_cmpx_gt_u32_e32 0x43800000, v3
	s_cbranch_execz .LBB465_1825
; %bb.1820:
	v_cmp_lt_u32_e32 vcc_lo, 0x3bffffff, v3
	s_mov_b32 s7, 0
                                        ; implicit-def: $vgpr3
	s_and_saveexec_b32 s10, vcc_lo
	s_delay_alu instid0(SALU_CYCLE_1)
	s_xor_b32 s10, exec_lo, s10
	s_cbranch_execz .LBB465_1920
; %bb.1821:
	v_bfe_u32 v3, v2, 20, 1
	s_mov_b32 s7, exec_lo
	s_delay_alu instid0(VALU_DEP_1) | instskip(NEXT) | instid1(VALU_DEP_1)
	v_add3_u32 v3, v2, v3, 0x487ffff
	v_lshrrev_b32_e32 v3, 20, v3
	s_or_saveexec_b32 s10, s10
                                        ; implicit-def: $sgpr11
	s_delay_alu instid0(SALU_CYCLE_1)
	s_xor_b32 exec_lo, exec_lo, s10
	s_cbranch_execnz .LBB465_1921
.LBB465_1822:
	s_or_b32 exec_lo, exec_lo, s10
	v_mov_b32_e32 v6, s11
	s_and_saveexec_b32 s10, s7
.LBB465_1823:
	v_lshrrev_b32_e32 v2, 24, v2
	s_delay_alu instid0(VALU_DEP_1)
	v_and_or_b32 v6, 0x80, v2, v3
.LBB465_1824:
	s_or_b32 exec_lo, exec_lo, s10
.LBB465_1825:
	s_delay_alu instid0(SALU_CYCLE_1)
	s_or_b32 exec_lo, exec_lo, s6
	global_store_b8 v[15:16], v6, off
.LBB465_1826:
	s_mov_b32 s6, -1
.LBB465_1827:
	s_mov_b32 s7, 0
.LBB465_1828:
	s_delay_alu instid0(SALU_CYCLE_1)
	s_and_b32 vcc_lo, exec_lo, s7
	s_cbranch_vccz .LBB465_1868
; %bb.1829:
	v_cmp_gt_i16_e64 s1, s3, 22
	s_delay_alu instid0(VALU_DEP_1)
	s_and_b32 vcc_lo, exec_lo, s1
	s_mov_b32 s1, -1
	s_cbranch_vccz .LBB465_1861
; %bb.1830:
	v_cmp_lt_i16_e64 s1, s3, 24
	s_delay_alu instid0(VALU_DEP_1)
	s_and_b32 vcc_lo, exec_lo, s1
	s_mov_b32 s1, -1
	s_cbranch_vccnz .LBB465_1850
; %bb.1831:
	v_cmp_gt_i16_e64 s1, s3, 24
	s_delay_alu instid0(VALU_DEP_1)
	s_and_b32 vcc_lo, exec_lo, s1
	s_mov_b32 s1, -1
	s_cbranch_vccz .LBB465_1839
; %bb.1832:
	v_cvt_f32_f64_e32 v2, v[0:1]
	v_mov_b32_e32 v6, 0x80
	s_mov_b32 s1, exec_lo
	s_delay_alu instid0(VALU_DEP_2) | instskip(NEXT) | instid1(VALU_DEP_1)
	v_and_b32_e32 v3, 0x7fffffff, v2
	v_cmpx_gt_u32_e32 0x47800000, v3
	s_cbranch_execz .LBB465_1838
; %bb.1833:
	v_cmp_lt_u32_e32 vcc_lo, 0x37ffffff, v3
	s_mov_b32 s6, 0
                                        ; implicit-def: $vgpr3
	s_and_saveexec_b32 s7, vcc_lo
	s_delay_alu instid0(SALU_CYCLE_1)
	s_xor_b32 s7, exec_lo, s7
	s_cbranch_execz .LBB465_1927
; %bb.1834:
	v_bfe_u32 v3, v2, 21, 1
	s_mov_b32 s6, exec_lo
	s_delay_alu instid0(VALU_DEP_1) | instskip(NEXT) | instid1(VALU_DEP_1)
	v_add3_u32 v3, v2, v3, 0x88fffff
	v_lshrrev_b32_e32 v3, 21, v3
	s_or_saveexec_b32 s7, s7
                                        ; implicit-def: $sgpr10
	s_delay_alu instid0(SALU_CYCLE_1)
	s_xor_b32 exec_lo, exec_lo, s7
	s_cbranch_execnz .LBB465_1928
.LBB465_1835:
	s_or_b32 exec_lo, exec_lo, s7
	v_mov_b32_e32 v6, s10
	s_and_saveexec_b32 s7, s6
.LBB465_1836:
	v_lshrrev_b32_e32 v2, 24, v2
	s_delay_alu instid0(VALU_DEP_1)
	v_and_or_b32 v6, 0x80, v2, v3
.LBB465_1837:
	s_or_b32 exec_lo, exec_lo, s7
.LBB465_1838:
	s_delay_alu instid0(SALU_CYCLE_1)
	s_or_b32 exec_lo, exec_lo, s1
	s_mov_b32 s1, 0
	global_store_b8 v[15:16], v6, off
.LBB465_1839:
	s_and_b32 vcc_lo, exec_lo, s1
	s_cbranch_vccz .LBB465_1849
; %bb.1840:
	v_cvt_f32_f64_e32 v2, v[0:1]
	s_mov_b32 s1, exec_lo
                                        ; implicit-def: $vgpr3
	s_delay_alu instid0(VALU_DEP_1) | instskip(NEXT) | instid1(VALU_DEP_1)
	v_and_b32_e32 v6, 0x7fffffff, v2
	v_cmpx_gt_u32_e32 0x43f00000, v6
	s_xor_b32 s1, exec_lo, s1
	s_cbranch_execz .LBB465_1846
; %bb.1841:
	s_mov_b32 s6, exec_lo
                                        ; implicit-def: $vgpr3
	v_cmpx_lt_u32_e32 0x3c7fffff, v6
	s_xor_b32 s6, exec_lo, s6
; %bb.1842:
	v_bfe_u32 v3, v2, 20, 1
	s_delay_alu instid0(VALU_DEP_1) | instskip(NEXT) | instid1(VALU_DEP_1)
	v_add3_u32 v3, v2, v3, 0x407ffff
	v_and_b32_e32 v6, 0xff00000, v3
	v_lshrrev_b32_e32 v3, 20, v3
	s_delay_alu instid0(VALU_DEP_2) | instskip(NEXT) | instid1(VALU_DEP_2)
	v_cmp_ne_u32_e32 vcc_lo, 0x7f00000, v6
	v_cndmask_b32_e32 v3, 0x7e, v3, vcc_lo
; %bb.1843:
	s_and_not1_saveexec_b32 s6, s6
; %bb.1844:
	v_add_f32_e64 v3, 0x46800000, |v2|
; %bb.1845:
	s_or_b32 exec_lo, exec_lo, s6
                                        ; implicit-def: $vgpr6
.LBB465_1846:
	s_and_not1_saveexec_b32 s1, s1
; %bb.1847:
	v_mov_b32_e32 v3, 0x7f
	v_cmp_lt_u32_e32 vcc_lo, 0x7f800000, v6
	s_delay_alu instid0(VALU_DEP_2)
	v_cndmask_b32_e32 v3, 0x7e, v3, vcc_lo
; %bb.1848:
	s_or_b32 exec_lo, exec_lo, s1
	v_lshrrev_b32_e32 v2, 24, v2
	s_delay_alu instid0(VALU_DEP_1)
	v_and_or_b32 v2, 0x80, v2, v3
	global_store_b8 v[15:16], v2, off
.LBB465_1849:
	s_mov_b32 s1, 0
.LBB465_1850:
	s_delay_alu instid0(SALU_CYCLE_1)
	s_and_not1_b32 vcc_lo, exec_lo, s1
	s_cbranch_vccnz .LBB465_1860
; %bb.1851:
	v_cvt_f32_f64_e32 v2, v[0:1]
	s_mov_b32 s1, exec_lo
                                        ; implicit-def: $vgpr3
	s_delay_alu instid0(VALU_DEP_1) | instskip(NEXT) | instid1(VALU_DEP_1)
	v_and_b32_e32 v6, 0x7fffffff, v2
	v_cmpx_gt_u32_e32 0x47800000, v6
	s_xor_b32 s1, exec_lo, s1
	s_cbranch_execz .LBB465_1857
; %bb.1852:
	s_mov_b32 s6, exec_lo
                                        ; implicit-def: $vgpr3
	v_cmpx_lt_u32_e32 0x387fffff, v6
	s_xor_b32 s6, exec_lo, s6
; %bb.1853:
	v_bfe_u32 v3, v2, 21, 1
	s_delay_alu instid0(VALU_DEP_1) | instskip(NEXT) | instid1(VALU_DEP_1)
	v_add3_u32 v3, v2, v3, 0x80fffff
	v_lshrrev_b32_e32 v3, 21, v3
; %bb.1854:
	s_and_not1_saveexec_b32 s6, s6
; %bb.1855:
	v_add_f32_e64 v3, 0x43000000, |v2|
; %bb.1856:
	s_or_b32 exec_lo, exec_lo, s6
                                        ; implicit-def: $vgpr6
.LBB465_1857:
	s_and_not1_saveexec_b32 s1, s1
; %bb.1858:
	v_mov_b32_e32 v3, 0x7f
	v_cmp_lt_u32_e32 vcc_lo, 0x7f800000, v6
	s_delay_alu instid0(VALU_DEP_2)
	v_cndmask_b32_e32 v3, 0x7c, v3, vcc_lo
; %bb.1859:
	s_or_b32 exec_lo, exec_lo, s1
	v_lshrrev_b32_e32 v2, 24, v2
	s_delay_alu instid0(VALU_DEP_1)
	v_and_or_b32 v2, 0x80, v2, v3
	global_store_b8 v[15:16], v2, off
.LBB465_1860:
	s_mov_b32 s1, 0
	s_mov_b32 s6, -1
.LBB465_1861:
	s_and_not1_b32 vcc_lo, exec_lo, s1
	s_mov_b32 s1, 0
	s_cbranch_vccnz .LBB465_1868
; %bb.1862:
	v_cmp_gt_i16_e64 s1, s3, 14
	s_delay_alu instid0(VALU_DEP_1)
	s_and_b32 vcc_lo, exec_lo, s1
	s_mov_b32 s1, -1
	s_cbranch_vccz .LBB465_1866
; %bb.1863:
	v_cmp_eq_u16_e64 s0, s3, 15
	s_delay_alu instid0(VALU_DEP_1)
	s_and_b32 vcc_lo, exec_lo, s0
	s_mov_b32 s0, -1
	s_cbranch_vccz .LBB465_1865
; %bb.1864:
	v_cvt_f32_f64_e32 v2, v[0:1]
	s_mov_b32 s0, 0
	s_mov_b32 s6, -1
	s_delay_alu instid0(VALU_DEP_1) | instskip(SKIP_1) | instid1(VALU_DEP_2)
	v_bfe_u32 v3, v2, 16, 1
	v_cmp_o_f32_e32 vcc_lo, v2, v2
	v_add3_u32 v3, v2, v3, 0x7fff
	s_delay_alu instid0(VALU_DEP_1) | instskip(NEXT) | instid1(VALU_DEP_1)
	v_lshrrev_b32_e32 v3, 16, v3
	v_cndmask_b32_e32 v2, 0x7fc0, v3, vcc_lo
	global_store_b16 v[15:16], v2, off
.LBB465_1865:
	s_mov_b32 s1, 0
.LBB465_1866:
	s_delay_alu instid0(SALU_CYCLE_1)
	s_and_b32 vcc_lo, exec_lo, s1
	s_mov_b32 s1, 0
	s_cbranch_vccz .LBB465_1868
; %bb.1867:
	v_cmp_ne_u16_e64 s0, s3, 11
	s_mov_b32 s1, -1
.LBB465_1868:
	s_delay_alu instid0(VALU_DEP_1)
	s_and_b32 vcc_lo, exec_lo, s0
	s_cbranch_vccnz .LBB465_1925
; %bb.1869:
	s_and_not1_b32 vcc_lo, exec_lo, s1
	s_cbranch_vccnz .LBB465_1871
.LBB465_1870:
	v_cmp_neq_f64_e32 vcc_lo, 0, v[0:1]
	s_mov_b32 s6, -1
	v_cndmask_b32_e64 v2, 0, 1, vcc_lo
	global_store_b8 v[15:16], v2, off
.LBB465_1871:
	s_mov_b32 s0, 0
.LBB465_1872:
	s_delay_alu instid0(SALU_CYCLE_1)
	s_and_b32 vcc_lo, exec_lo, s0
	s_cbranch_vccz .LBB465_1911
; %bb.1873:
	v_cmp_lt_i16_e64 s0, s3, 5
	s_delay_alu instid0(VALU_DEP_1)
	s_and_b32 vcc_lo, exec_lo, s0
	s_mov_b32 s0, -1
	s_cbranch_vccnz .LBB465_1894
; %bb.1874:
	v_cmp_lt_i16_e64 s0, s3, 8
	s_delay_alu instid0(VALU_DEP_1)
	s_and_b32 vcc_lo, exec_lo, s0
	s_mov_b32 s0, -1
	s_cbranch_vccnz .LBB465_1884
	;; [unrolled: 6-line block ×3, first 2 shown]
; %bb.1876:
	v_cmp_gt_i16_e64 s0, s3, 9
	s_delay_alu instid0(VALU_DEP_1)
	s_and_b32 vcc_lo, exec_lo, s0
	s_mov_b32 s0, -1
	s_cbranch_vccz .LBB465_1878
; %bb.1877:
	v_mov_b32_e32 v2, 0
	s_mov_b32 s0, 0
	s_delay_alu instid0(VALU_DEP_1)
	v_mov_b32_e32 v3, v2
	global_store_b128 v[15:16], v[0:3], off
.LBB465_1878:
	s_and_not1_b32 vcc_lo, exec_lo, s0
	s_cbranch_vccnz .LBB465_1880
; %bb.1879:
	v_cvt_f32_f64_e32 v2, v[0:1]
	v_mov_b32_e32 v3, 0
	global_store_b64 v[15:16], v[2:3], off
.LBB465_1880:
	s_mov_b32 s0, 0
.LBB465_1881:
	s_delay_alu instid0(SALU_CYCLE_1)
	s_and_not1_b32 vcc_lo, exec_lo, s0
	s_cbranch_vccnz .LBB465_1883
; %bb.1882:
	v_cvt_f32_f64_e32 v2, v[0:1]
	s_delay_alu instid0(VALU_DEP_1) | instskip(NEXT) | instid1(VALU_DEP_1)
	v_cvt_f16_f32_e32 v2, v2
	v_and_b32_e32 v2, 0xffff, v2
	global_store_b32 v[15:16], v2, off
.LBB465_1883:
	s_mov_b32 s0, 0
.LBB465_1884:
	s_delay_alu instid0(SALU_CYCLE_1)
	s_and_not1_b32 vcc_lo, exec_lo, s0
	s_cbranch_vccnz .LBB465_1893
; %bb.1885:
	v_cmp_lt_i16_e64 s0, s3, 6
	s_delay_alu instid0(VALU_DEP_1)
	s_and_b32 vcc_lo, exec_lo, s0
	s_mov_b32 s0, -1
	s_cbranch_vccnz .LBB465_1891
; %bb.1886:
	v_cmp_gt_i16_e64 s0, s3, 6
	s_delay_alu instid0(VALU_DEP_1)
	s_and_b32 vcc_lo, exec_lo, s0
	s_mov_b32 s0, -1
	s_cbranch_vccz .LBB465_1888
; %bb.1887:
	s_mov_b32 s0, 0
	global_store_b64 v[15:16], v[0:1], off
.LBB465_1888:
	s_and_not1_b32 vcc_lo, exec_lo, s0
	s_cbranch_vccnz .LBB465_1890
; %bb.1889:
	v_cvt_f32_f64_e32 v2, v[0:1]
	global_store_b32 v[15:16], v2, off
.LBB465_1890:
	s_mov_b32 s0, 0
.LBB465_1891:
	s_delay_alu instid0(SALU_CYCLE_1)
	s_and_not1_b32 vcc_lo, exec_lo, s0
	s_cbranch_vccnz .LBB465_1893
; %bb.1892:
	v_cvt_f32_f64_e32 v2, v[0:1]
	s_delay_alu instid0(VALU_DEP_1)
	v_cvt_f16_f32_e32 v2, v2
	global_store_b16 v[15:16], v2, off
.LBB465_1893:
	s_mov_b32 s0, 0
.LBB465_1894:
	s_delay_alu instid0(SALU_CYCLE_1)
	s_and_not1_b32 vcc_lo, exec_lo, s0
	s_cbranch_vccnz .LBB465_1910
; %bb.1895:
	v_cmp_lt_i16_e64 s0, s3, 2
	s_delay_alu instid0(VALU_DEP_1)
	s_and_b32 vcc_lo, exec_lo, s0
	s_mov_b32 s0, -1
	s_cbranch_vccnz .LBB465_1905
; %bb.1896:
	v_cmp_lt_i16_e64 s0, s3, 3
	s_delay_alu instid0(VALU_DEP_1)
	s_and_b32 vcc_lo, exec_lo, s0
	s_mov_b32 s0, -1
	s_cbranch_vccnz .LBB465_1902
; %bb.1897:
	v_cmp_gt_i16_e64 s0, s3, 3
	s_delay_alu instid0(VALU_DEP_1)
	s_and_b32 vcc_lo, exec_lo, s0
	s_mov_b32 s0, -1
	s_cbranch_vccz .LBB465_1899
; %bb.1898:
	v_trunc_f64_e32 v[2:3], v[0:1]
	s_mov_b32 s0, 0
	s_delay_alu instid0(VALU_DEP_1) | instskip(NEXT) | instid1(VALU_DEP_1)
	v_ldexp_f64 v[6:7], v[2:3], 0xffffffe0
	v_floor_f64_e32 v[6:7], v[6:7]
	s_delay_alu instid0(VALU_DEP_1) | instskip(SKIP_1) | instid1(VALU_DEP_2)
	v_fma_f64 v[2:3], 0xc1f00000, v[6:7], v[2:3]
	v_cvt_i32_f64_e32 v7, v[6:7]
	v_cvt_u32_f64_e32 v6, v[2:3]
	global_store_b64 v[15:16], v[6:7], off
.LBB465_1899:
	s_and_not1_b32 vcc_lo, exec_lo, s0
	s_cbranch_vccnz .LBB465_1901
; %bb.1900:
	v_cvt_i32_f64_e32 v2, v[0:1]
	global_store_b32 v[15:16], v2, off
.LBB465_1901:
	s_mov_b32 s0, 0
.LBB465_1902:
	s_delay_alu instid0(SALU_CYCLE_1)
	s_and_not1_b32 vcc_lo, exec_lo, s0
	s_cbranch_vccnz .LBB465_1904
; %bb.1903:
	v_cvt_i32_f64_e32 v2, v[0:1]
	global_store_b16 v[15:16], v2, off
.LBB465_1904:
	s_mov_b32 s0, 0
.LBB465_1905:
	s_delay_alu instid0(SALU_CYCLE_1)
	s_and_not1_b32 vcc_lo, exec_lo, s0
	s_cbranch_vccnz .LBB465_1910
; %bb.1906:
	v_cmp_gt_i16_e64 s0, s3, 0
	s_delay_alu instid0(VALU_DEP_1)
	s_and_b32 vcc_lo, exec_lo, s0
	s_mov_b32 s0, -1
	s_cbranch_vccz .LBB465_1908
; %bb.1907:
	v_cvt_i32_f64_e32 v2, v[0:1]
	s_mov_b32 s0, 0
	global_store_b8 v[15:16], v2, off
.LBB465_1908:
	s_and_not1_b32 vcc_lo, exec_lo, s0
	s_cbranch_vccnz .LBB465_1910
; %bb.1909:
	v_trunc_f64_e32 v[0:1], v[0:1]
	s_delay_alu instid0(VALU_DEP_1) | instskip(NEXT) | instid1(VALU_DEP_1)
	v_ldexp_f64 v[2:3], v[0:1], 0xffffffe0
	v_floor_f64_e32 v[2:3], v[2:3]
	s_delay_alu instid0(VALU_DEP_1) | instskip(NEXT) | instid1(VALU_DEP_1)
	v_fma_f64 v[0:1], 0xc1f00000, v[2:3], v[0:1]
	v_cvt_u32_f64_e32 v0, v[0:1]
	global_store_b8 v[15:16], v0, off
.LBB465_1910:
	s_mov_b32 s6, -1
.LBB465_1911:
	s_delay_alu instid0(SALU_CYCLE_1)
	s_and_not1_b32 vcc_lo, exec_lo, s6
	s_cbranch_vccnz .LBB465_2049
; %bb.1912:
	v_max_f64 v[0:1], v[9:10], v[9:10]
	v_cmp_u_f64_e32 vcc_lo, v[9:10], v[9:10]
	v_cmp_lt_i16_e64 s0, s3, 11
	v_add_co_u32 v5, s1, s4, v5
	s_delay_alu instid0(VALU_DEP_1) | instskip(SKIP_2) | instid1(VALU_DEP_1)
	v_add_co_ci_u32_e64 v6, null, s5, 0, s1
	s_mov_b32 s6, 0
	v_min_f64 v[0:1], v[0:1], v[13:14]
	v_dual_cndmask_b32 v1, v1, v10 :: v_dual_cndmask_b32 v0, v0, v9
	s_and_b32 vcc_lo, exec_lo, s0
	s_mov_b32 s0, -1
	s_cbranch_vccnz .LBB465_2001
; %bb.1913:
	v_cmp_gt_i16_e64 s0, s3, 25
	s_mov_b32 s7, -1
	s_mov_b32 s1, 0
	s_delay_alu instid0(VALU_DEP_1)
	s_and_b32 vcc_lo, exec_lo, s0
	s_mov_b32 s0, 0
	s_cbranch_vccz .LBB465_1957
; %bb.1914:
	v_cmp_gt_i16_e64 s0, s3, 28
	s_delay_alu instid0(VALU_DEP_1)
	s_and_b32 vcc_lo, exec_lo, s0
	s_cbranch_vccz .LBB465_1919
; %bb.1915:
	v_cmp_gt_i16_e64 s0, s3, 43
	s_delay_alu instid0(VALU_DEP_1)
	s_and_b32 vcc_lo, exec_lo, s0
	;; [unrolled: 5-line block ×3, first 2 shown]
	s_cbranch_vccz .LBB465_1929
; %bb.1917:
	v_cmp_eq_u16_e64 s6, s3, 46
	s_mov_b32 s0, -1
	s_mov_b32 s7, 0
	s_delay_alu instid0(VALU_DEP_1)
	s_and_b32 vcc_lo, exec_lo, s6
	s_mov_b32 s6, 0
	s_cbranch_vccz .LBB465_1930
; %bb.1918:
	v_cvt_f32_f64_e32 v2, v[0:1]
	s_mov_b32 s0, 0
	s_mov_b32 s6, -1
	s_delay_alu instid0(VALU_DEP_1) | instskip(SKIP_1) | instid1(VALU_DEP_2)
	v_bfe_u32 v3, v2, 16, 1
	v_cmp_o_f32_e32 vcc_lo, v2, v2
	v_add3_u32 v3, v2, v3, 0x7fff
	s_delay_alu instid0(VALU_DEP_1) | instskip(NEXT) | instid1(VALU_DEP_1)
	v_lshrrev_b32_e32 v3, 16, v3
	v_cndmask_b32_e32 v2, 0x7fc0, v3, vcc_lo
	global_store_b32 v[5:6], v2, off
	s_branch .LBB465_1930
.LBB465_1919:
	s_mov_b32 s0, 0
	s_branch .LBB465_1940
.LBB465_1920:
	s_or_saveexec_b32 s10, s10
                                        ; implicit-def: $sgpr11
	s_delay_alu instid0(SALU_CYCLE_1)
	s_xor_b32 exec_lo, exec_lo, s10
	s_cbranch_execz .LBB465_1822
.LBB465_1921:
	v_add_f32_e64 v3, 0x46000000, |v2|
	s_and_not1_b32 s7, s7, exec_lo
	s_mov_b32 s11, 0
	s_delay_alu instid0(VALU_DEP_1) | instskip(NEXT) | instid1(VALU_DEP_1)
	v_and_b32_e32 v3, 0xff, v3
	v_cmp_ne_u32_e32 vcc_lo, 0, v3
	s_and_b32 s12, vcc_lo, exec_lo
	s_delay_alu instid0(SALU_CYCLE_1)
	s_or_b32 s7, s7, s12
	s_or_b32 exec_lo, exec_lo, s10
	v_mov_b32_e32 v6, s11
	s_and_saveexec_b32 s10, s7
	s_cbranch_execnz .LBB465_1823
	s_branch .LBB465_1824
.LBB465_1922:
	s_mov_b32 s0, 0
	s_branch .LBB465_1936
.LBB465_1923:
	s_trap 2
	s_sendmsg_rtn_b32 s0, sendmsg(MSG_RTN_GET_DOORBELL)
	s_mov_b32 ttmp2, m0
	s_waitcnt lgkmcnt(0)
	s_and_b32 s0, s0, 0x3ff
	s_delay_alu instid0(SALU_CYCLE_1) | instskip(NEXT) | instid1(SALU_CYCLE_1)
	s_bitset1_b32 s0, 10
	s_mov_b32 m0, s0
	s_sendmsg sendmsg(MSG_INTERRUPT)
	s_mov_b32 m0, ttmp2
.LBB465_1924:                           ; =>This Inner Loop Header: Depth=1
	s_sethalt 5
	s_branch .LBB465_1924
.LBB465_1925:
	s_cbranch_execnz .LBB465_2098
; %bb.1926:
	s_or_b32 s2, s2, exec_lo
	s_cbranch_execz .LBB465_1870
	s_branch .LBB465_1871
.LBB465_1927:
	s_or_saveexec_b32 s7, s7
                                        ; implicit-def: $sgpr10
	s_delay_alu instid0(SALU_CYCLE_1)
	s_xor_b32 exec_lo, exec_lo, s7
	s_cbranch_execz .LBB465_1835
.LBB465_1928:
	v_add_f32_e64 v3, 0x42800000, |v2|
	s_and_not1_b32 s6, s6, exec_lo
	s_mov_b32 s10, 0
	s_delay_alu instid0(VALU_DEP_1) | instskip(NEXT) | instid1(VALU_DEP_1)
	v_and_b32_e32 v3, 0xff, v3
	v_cmp_ne_u32_e32 vcc_lo, 0, v3
	s_and_b32 s11, vcc_lo, exec_lo
	s_delay_alu instid0(SALU_CYCLE_1)
	s_or_b32 s6, s6, s11
	s_or_b32 exec_lo, exec_lo, s7
	v_mov_b32_e32 v6, s10
	s_and_saveexec_b32 s7, s6
	s_cbranch_execnz .LBB465_1836
	s_branch .LBB465_1837
.LBB465_1929:
	s_mov_b32 s0, 0
.LBB465_1930:
	s_and_b32 vcc_lo, exec_lo, s7
	s_cbranch_vccz .LBB465_1935
; %bb.1931:
	v_cmp_eq_u16_e64 s0, s3, 44
	s_delay_alu instid0(VALU_DEP_1)
	s_and_b32 vcc_lo, exec_lo, s0
	s_mov_b32 s0, -1
	s_cbranch_vccz .LBB465_1935
; %bb.1932:
	v_cvt_f32_f64_e32 v2, v[0:1]
	v_mov_b32_e32 v3, 0xff
	s_mov_b32 s6, exec_lo
	s_delay_alu instid0(VALU_DEP_2) | instskip(NEXT) | instid1(VALU_DEP_1)
	v_bfe_u32 v7, v2, 23, 8
	v_cmpx_ne_u32_e32 0xff, v7
; %bb.1933:
	v_and_b32_e32 v3, 0x400000, v2
	v_and_or_b32 v7, 0x3fffff, v2, v7
	v_lshrrev_b32_e32 v2, 23, v2
	s_delay_alu instid0(VALU_DEP_3) | instskip(NEXT) | instid1(VALU_DEP_3)
	v_cmp_ne_u32_e32 vcc_lo, 0, v3
	v_cmp_ne_u32_e64 s0, 0, v7
	s_delay_alu instid0(VALU_DEP_1) | instskip(NEXT) | instid1(SALU_CYCLE_1)
	s_and_b32 s0, vcc_lo, s0
	v_cndmask_b32_e64 v3, 0, 1, s0
	s_delay_alu instid0(VALU_DEP_1)
	v_add_nc_u32_e32 v3, v2, v3
; %bb.1934:
	s_or_b32 exec_lo, exec_lo, s6
	s_mov_b32 s0, 0
	s_mov_b32 s6, -1
	global_store_b8 v[5:6], v3, off
.LBB465_1935:
	s_mov_b32 s7, 0
.LBB465_1936:
	s_delay_alu instid0(SALU_CYCLE_1)
	s_and_b32 vcc_lo, exec_lo, s7
	s_cbranch_vccz .LBB465_1939
; %bb.1937:
	v_cmp_eq_u16_e64 s0, s3, 29
	s_delay_alu instid0(VALU_DEP_1)
	s_and_b32 vcc_lo, exec_lo, s0
	s_mov_b32 s0, -1
	s_cbranch_vccz .LBB465_1939
; %bb.1938:
	v_trunc_f64_e32 v[2:3], v[0:1]
	s_mov_b32 s0, 0
	s_mov_b32 s6, -1
	s_mov_b32 s7, 0
	s_delay_alu instid0(VALU_DEP_1) | instskip(NEXT) | instid1(VALU_DEP_1)
	v_ldexp_f64 v[7:8], v[2:3], 0xffffffe0
	v_floor_f64_e32 v[7:8], v[7:8]
	s_delay_alu instid0(VALU_DEP_1) | instskip(SKIP_1) | instid1(VALU_DEP_2)
	v_fma_f64 v[2:3], 0xc1f00000, v[7:8], v[2:3]
	v_cvt_u32_f64_e32 v8, v[7:8]
	v_cvt_u32_f64_e32 v7, v[2:3]
	global_store_b64 v[5:6], v[7:8], off
	s_branch .LBB465_1940
.LBB465_1939:
	s_mov_b32 s7, 0
.LBB465_1940:
	s_delay_alu instid0(SALU_CYCLE_1)
	s_and_b32 vcc_lo, exec_lo, s7
	s_cbranch_vccz .LBB465_1956
; %bb.1941:
	v_cmp_lt_i16_e64 s6, s3, 27
	s_delay_alu instid0(VALU_DEP_1)
	s_and_b32 vcc_lo, exec_lo, s6
	s_mov_b32 s6, -1
	s_cbranch_vccnz .LBB465_1947
; %bb.1942:
	v_cvt_u32_f64_e32 v2, v[0:1]
	v_cmp_gt_i16_e64 s6, s3, 27
	s_delay_alu instid0(VALU_DEP_1)
	s_and_b32 vcc_lo, exec_lo, s6
	s_mov_b32 s6, -1
	s_cbranch_vccz .LBB465_1944
; %bb.1943:
	s_mov_b32 s6, 0
	global_store_b32 v[5:6], v2, off
.LBB465_1944:
	s_and_not1_b32 vcc_lo, exec_lo, s6
	s_cbranch_vccnz .LBB465_1946
; %bb.1945:
	global_store_b16 v[5:6], v2, off
.LBB465_1946:
	s_mov_b32 s6, 0
.LBB465_1947:
	s_delay_alu instid0(SALU_CYCLE_1)
	s_and_not1_b32 vcc_lo, exec_lo, s6
	s_cbranch_vccnz .LBB465_1955
; %bb.1948:
	v_cvt_f32_f64_e32 v2, v[0:1]
	v_mov_b32_e32 v7, 0x80
	s_mov_b32 s6, exec_lo
	s_delay_alu instid0(VALU_DEP_2) | instskip(NEXT) | instid1(VALU_DEP_1)
	v_and_b32_e32 v3, 0x7fffffff, v2
	v_cmpx_gt_u32_e32 0x43800000, v3
	s_cbranch_execz .LBB465_1954
; %bb.1949:
	v_cmp_lt_u32_e32 vcc_lo, 0x3bffffff, v3
	s_mov_b32 s7, 0
                                        ; implicit-def: $vgpr3
	s_and_saveexec_b32 s10, vcc_lo
	s_delay_alu instid0(SALU_CYCLE_1)
	s_xor_b32 s10, exec_lo, s10
	s_cbranch_execz .LBB465_2095
; %bb.1950:
	v_bfe_u32 v3, v2, 20, 1
	s_mov_b32 s7, exec_lo
	s_delay_alu instid0(VALU_DEP_1) | instskip(NEXT) | instid1(VALU_DEP_1)
	v_add3_u32 v3, v2, v3, 0x487ffff
	v_lshrrev_b32_e32 v3, 20, v3
	s_or_saveexec_b32 s10, s10
                                        ; implicit-def: $sgpr11
	s_delay_alu instid0(SALU_CYCLE_1)
	s_xor_b32 exec_lo, exec_lo, s10
	s_cbranch_execnz .LBB465_2096
.LBB465_1951:
	s_or_b32 exec_lo, exec_lo, s10
	v_mov_b32_e32 v7, s11
	s_and_saveexec_b32 s10, s7
.LBB465_1952:
	v_lshrrev_b32_e32 v2, 24, v2
	s_delay_alu instid0(VALU_DEP_1)
	v_and_or_b32 v7, 0x80, v2, v3
.LBB465_1953:
	s_or_b32 exec_lo, exec_lo, s10
.LBB465_1954:
	s_delay_alu instid0(SALU_CYCLE_1)
	s_or_b32 exec_lo, exec_lo, s6
	global_store_b8 v[5:6], v7, off
.LBB465_1955:
	s_mov_b32 s6, -1
.LBB465_1956:
	s_mov_b32 s7, 0
.LBB465_1957:
	s_delay_alu instid0(SALU_CYCLE_1)
	s_and_b32 vcc_lo, exec_lo, s7
	s_cbranch_vccz .LBB465_1997
; %bb.1958:
	v_cmp_gt_i16_e64 s1, s3, 22
	s_delay_alu instid0(VALU_DEP_1)
	s_and_b32 vcc_lo, exec_lo, s1
	s_mov_b32 s1, -1
	s_cbranch_vccz .LBB465_1990
; %bb.1959:
	v_cmp_lt_i16_e64 s1, s3, 24
	s_delay_alu instid0(VALU_DEP_1)
	s_and_b32 vcc_lo, exec_lo, s1
	s_mov_b32 s1, -1
	s_cbranch_vccnz .LBB465_1979
; %bb.1960:
	v_cmp_gt_i16_e64 s1, s3, 24
	s_delay_alu instid0(VALU_DEP_1)
	s_and_b32 vcc_lo, exec_lo, s1
	s_mov_b32 s1, -1
	s_cbranch_vccz .LBB465_1968
; %bb.1961:
	v_cvt_f32_f64_e32 v2, v[0:1]
	v_mov_b32_e32 v7, 0x80
	s_mov_b32 s1, exec_lo
	s_delay_alu instid0(VALU_DEP_2) | instskip(NEXT) | instid1(VALU_DEP_1)
	v_and_b32_e32 v3, 0x7fffffff, v2
	v_cmpx_gt_u32_e32 0x47800000, v3
	s_cbranch_execz .LBB465_1967
; %bb.1962:
	v_cmp_lt_u32_e32 vcc_lo, 0x37ffffff, v3
	s_mov_b32 s6, 0
                                        ; implicit-def: $vgpr3
	s_and_saveexec_b32 s7, vcc_lo
	s_delay_alu instid0(SALU_CYCLE_1)
	s_xor_b32 s7, exec_lo, s7
	s_cbranch_execz .LBB465_2102
; %bb.1963:
	v_bfe_u32 v3, v2, 21, 1
	s_mov_b32 s6, exec_lo
	s_delay_alu instid0(VALU_DEP_1) | instskip(NEXT) | instid1(VALU_DEP_1)
	v_add3_u32 v3, v2, v3, 0x88fffff
	v_lshrrev_b32_e32 v3, 21, v3
	s_or_saveexec_b32 s7, s7
                                        ; implicit-def: $sgpr10
	s_delay_alu instid0(SALU_CYCLE_1)
	s_xor_b32 exec_lo, exec_lo, s7
	s_cbranch_execnz .LBB465_2103
.LBB465_1964:
	s_or_b32 exec_lo, exec_lo, s7
	v_mov_b32_e32 v7, s10
	s_and_saveexec_b32 s7, s6
.LBB465_1965:
	v_lshrrev_b32_e32 v2, 24, v2
	s_delay_alu instid0(VALU_DEP_1)
	v_and_or_b32 v7, 0x80, v2, v3
.LBB465_1966:
	s_or_b32 exec_lo, exec_lo, s7
.LBB465_1967:
	s_delay_alu instid0(SALU_CYCLE_1)
	s_or_b32 exec_lo, exec_lo, s1
	s_mov_b32 s1, 0
	global_store_b8 v[5:6], v7, off
.LBB465_1968:
	s_and_b32 vcc_lo, exec_lo, s1
	s_cbranch_vccz .LBB465_1978
; %bb.1969:
	v_cvt_f32_f64_e32 v2, v[0:1]
	s_mov_b32 s1, exec_lo
                                        ; implicit-def: $vgpr3
	s_delay_alu instid0(VALU_DEP_1) | instskip(NEXT) | instid1(VALU_DEP_1)
	v_and_b32_e32 v7, 0x7fffffff, v2
	v_cmpx_gt_u32_e32 0x43f00000, v7
	s_xor_b32 s1, exec_lo, s1
	s_cbranch_execz .LBB465_1975
; %bb.1970:
	s_mov_b32 s6, exec_lo
                                        ; implicit-def: $vgpr3
	v_cmpx_lt_u32_e32 0x3c7fffff, v7
	s_xor_b32 s6, exec_lo, s6
; %bb.1971:
	v_bfe_u32 v3, v2, 20, 1
	s_delay_alu instid0(VALU_DEP_1) | instskip(NEXT) | instid1(VALU_DEP_1)
	v_add3_u32 v3, v2, v3, 0x407ffff
	v_and_b32_e32 v7, 0xff00000, v3
	v_lshrrev_b32_e32 v3, 20, v3
	s_delay_alu instid0(VALU_DEP_2) | instskip(NEXT) | instid1(VALU_DEP_2)
	v_cmp_ne_u32_e32 vcc_lo, 0x7f00000, v7
	v_cndmask_b32_e32 v3, 0x7e, v3, vcc_lo
; %bb.1972:
	s_and_not1_saveexec_b32 s6, s6
; %bb.1973:
	v_add_f32_e64 v3, 0x46800000, |v2|
; %bb.1974:
	s_or_b32 exec_lo, exec_lo, s6
                                        ; implicit-def: $vgpr7
.LBB465_1975:
	s_and_not1_saveexec_b32 s1, s1
; %bb.1976:
	v_mov_b32_e32 v3, 0x7f
	v_cmp_lt_u32_e32 vcc_lo, 0x7f800000, v7
	s_delay_alu instid0(VALU_DEP_2)
	v_cndmask_b32_e32 v3, 0x7e, v3, vcc_lo
; %bb.1977:
	s_or_b32 exec_lo, exec_lo, s1
	v_lshrrev_b32_e32 v2, 24, v2
	s_delay_alu instid0(VALU_DEP_1)
	v_and_or_b32 v2, 0x80, v2, v3
	global_store_b8 v[5:6], v2, off
.LBB465_1978:
	s_mov_b32 s1, 0
.LBB465_1979:
	s_delay_alu instid0(SALU_CYCLE_1)
	s_and_not1_b32 vcc_lo, exec_lo, s1
	s_cbranch_vccnz .LBB465_1989
; %bb.1980:
	v_cvt_f32_f64_e32 v2, v[0:1]
	s_mov_b32 s1, exec_lo
                                        ; implicit-def: $vgpr3
	s_delay_alu instid0(VALU_DEP_1) | instskip(NEXT) | instid1(VALU_DEP_1)
	v_and_b32_e32 v7, 0x7fffffff, v2
	v_cmpx_gt_u32_e32 0x47800000, v7
	s_xor_b32 s1, exec_lo, s1
	s_cbranch_execz .LBB465_1986
; %bb.1981:
	s_mov_b32 s6, exec_lo
                                        ; implicit-def: $vgpr3
	v_cmpx_lt_u32_e32 0x387fffff, v7
	s_xor_b32 s6, exec_lo, s6
; %bb.1982:
	v_bfe_u32 v3, v2, 21, 1
	s_delay_alu instid0(VALU_DEP_1) | instskip(NEXT) | instid1(VALU_DEP_1)
	v_add3_u32 v3, v2, v3, 0x80fffff
	v_lshrrev_b32_e32 v3, 21, v3
; %bb.1983:
	s_and_not1_saveexec_b32 s6, s6
; %bb.1984:
	v_add_f32_e64 v3, 0x43000000, |v2|
; %bb.1985:
	s_or_b32 exec_lo, exec_lo, s6
                                        ; implicit-def: $vgpr7
.LBB465_1986:
	s_and_not1_saveexec_b32 s1, s1
; %bb.1987:
	v_mov_b32_e32 v3, 0x7f
	v_cmp_lt_u32_e32 vcc_lo, 0x7f800000, v7
	s_delay_alu instid0(VALU_DEP_2)
	v_cndmask_b32_e32 v3, 0x7c, v3, vcc_lo
; %bb.1988:
	s_or_b32 exec_lo, exec_lo, s1
	v_lshrrev_b32_e32 v2, 24, v2
	s_delay_alu instid0(VALU_DEP_1)
	v_and_or_b32 v2, 0x80, v2, v3
	global_store_b8 v[5:6], v2, off
.LBB465_1989:
	s_mov_b32 s1, 0
	s_mov_b32 s6, -1
.LBB465_1990:
	s_and_not1_b32 vcc_lo, exec_lo, s1
	s_mov_b32 s1, 0
	s_cbranch_vccnz .LBB465_1997
; %bb.1991:
	v_cmp_gt_i16_e64 s1, s3, 14
	s_delay_alu instid0(VALU_DEP_1)
	s_and_b32 vcc_lo, exec_lo, s1
	s_mov_b32 s1, -1
	s_cbranch_vccz .LBB465_1995
; %bb.1992:
	v_cmp_eq_u16_e64 s0, s3, 15
	s_delay_alu instid0(VALU_DEP_1)
	s_and_b32 vcc_lo, exec_lo, s0
	s_mov_b32 s0, -1
	s_cbranch_vccz .LBB465_1994
; %bb.1993:
	v_cvt_f32_f64_e32 v2, v[0:1]
	s_mov_b32 s0, 0
	s_mov_b32 s6, -1
	s_delay_alu instid0(VALU_DEP_1) | instskip(SKIP_1) | instid1(VALU_DEP_2)
	v_bfe_u32 v3, v2, 16, 1
	v_cmp_o_f32_e32 vcc_lo, v2, v2
	v_add3_u32 v3, v2, v3, 0x7fff
	s_delay_alu instid0(VALU_DEP_1) | instskip(NEXT) | instid1(VALU_DEP_1)
	v_lshrrev_b32_e32 v3, 16, v3
	v_cndmask_b32_e32 v2, 0x7fc0, v3, vcc_lo
	global_store_b16 v[5:6], v2, off
.LBB465_1994:
	s_mov_b32 s1, 0
.LBB465_1995:
	s_delay_alu instid0(SALU_CYCLE_1)
	s_and_b32 vcc_lo, exec_lo, s1
	s_mov_b32 s1, 0
	s_cbranch_vccz .LBB465_1997
; %bb.1996:
	v_cmp_ne_u16_e64 s0, s3, 11
	s_mov_b32 s1, -1
.LBB465_1997:
	s_delay_alu instid0(VALU_DEP_1)
	s_and_b32 vcc_lo, exec_lo, s0
	s_cbranch_vccnz .LBB465_2100
; %bb.1998:
	s_and_not1_b32 vcc_lo, exec_lo, s1
	s_cbranch_vccnz .LBB465_2000
.LBB465_1999:
	v_cmp_neq_f64_e32 vcc_lo, 0, v[0:1]
	s_mov_b32 s6, -1
	v_cndmask_b32_e64 v2, 0, 1, vcc_lo
	global_store_b8 v[5:6], v2, off
.LBB465_2000:
	s_mov_b32 s0, 0
.LBB465_2001:
	s_delay_alu instid0(SALU_CYCLE_1)
	s_and_b32 vcc_lo, exec_lo, s0
	s_cbranch_vccz .LBB465_2040
; %bb.2002:
	v_cmp_lt_i16_e64 s0, s3, 5
	s_delay_alu instid0(VALU_DEP_1)
	s_and_b32 vcc_lo, exec_lo, s0
	s_mov_b32 s0, -1
	s_cbranch_vccnz .LBB465_2023
; %bb.2003:
	v_cmp_lt_i16_e64 s0, s3, 8
	s_delay_alu instid0(VALU_DEP_1)
	s_and_b32 vcc_lo, exec_lo, s0
	s_mov_b32 s0, -1
	s_cbranch_vccnz .LBB465_2013
	;; [unrolled: 6-line block ×3, first 2 shown]
; %bb.2005:
	v_cmp_gt_i16_e64 s0, s3, 9
	s_delay_alu instid0(VALU_DEP_1)
	s_and_b32 vcc_lo, exec_lo, s0
	s_mov_b32 s0, -1
	s_cbranch_vccz .LBB465_2007
; %bb.2006:
	v_mov_b32_e32 v2, 0
	s_mov_b32 s0, 0
	s_delay_alu instid0(VALU_DEP_1)
	v_mov_b32_e32 v3, v2
	global_store_b128 v[5:6], v[0:3], off
.LBB465_2007:
	s_and_not1_b32 vcc_lo, exec_lo, s0
	s_cbranch_vccnz .LBB465_2009
; %bb.2008:
	v_cvt_f32_f64_e32 v2, v[0:1]
	v_mov_b32_e32 v3, 0
	global_store_b64 v[5:6], v[2:3], off
.LBB465_2009:
	s_mov_b32 s0, 0
.LBB465_2010:
	s_delay_alu instid0(SALU_CYCLE_1)
	s_and_not1_b32 vcc_lo, exec_lo, s0
	s_cbranch_vccnz .LBB465_2012
; %bb.2011:
	v_cvt_f32_f64_e32 v2, v[0:1]
	s_delay_alu instid0(VALU_DEP_1) | instskip(NEXT) | instid1(VALU_DEP_1)
	v_cvt_f16_f32_e32 v2, v2
	v_and_b32_e32 v2, 0xffff, v2
	global_store_b32 v[5:6], v2, off
.LBB465_2012:
	s_mov_b32 s0, 0
.LBB465_2013:
	s_delay_alu instid0(SALU_CYCLE_1)
	s_and_not1_b32 vcc_lo, exec_lo, s0
	s_cbranch_vccnz .LBB465_2022
; %bb.2014:
	v_cmp_lt_i16_e64 s0, s3, 6
	s_delay_alu instid0(VALU_DEP_1)
	s_and_b32 vcc_lo, exec_lo, s0
	s_mov_b32 s0, -1
	s_cbranch_vccnz .LBB465_2020
; %bb.2015:
	v_cmp_gt_i16_e64 s0, s3, 6
	s_delay_alu instid0(VALU_DEP_1)
	s_and_b32 vcc_lo, exec_lo, s0
	s_mov_b32 s0, -1
	s_cbranch_vccz .LBB465_2017
; %bb.2016:
	s_mov_b32 s0, 0
	global_store_b64 v[5:6], v[0:1], off
.LBB465_2017:
	s_and_not1_b32 vcc_lo, exec_lo, s0
	s_cbranch_vccnz .LBB465_2019
; %bb.2018:
	v_cvt_f32_f64_e32 v2, v[0:1]
	global_store_b32 v[5:6], v2, off
.LBB465_2019:
	s_mov_b32 s0, 0
.LBB465_2020:
	s_delay_alu instid0(SALU_CYCLE_1)
	s_and_not1_b32 vcc_lo, exec_lo, s0
	s_cbranch_vccnz .LBB465_2022
; %bb.2021:
	v_cvt_f32_f64_e32 v2, v[0:1]
	s_delay_alu instid0(VALU_DEP_1)
	v_cvt_f16_f32_e32 v2, v2
	global_store_b16 v[5:6], v2, off
.LBB465_2022:
	s_mov_b32 s0, 0
.LBB465_2023:
	s_delay_alu instid0(SALU_CYCLE_1)
	s_and_not1_b32 vcc_lo, exec_lo, s0
	s_cbranch_vccnz .LBB465_2039
; %bb.2024:
	v_cmp_lt_i16_e64 s0, s3, 2
	s_delay_alu instid0(VALU_DEP_1)
	s_and_b32 vcc_lo, exec_lo, s0
	s_mov_b32 s0, -1
	s_cbranch_vccnz .LBB465_2034
; %bb.2025:
	v_cmp_lt_i16_e64 s0, s3, 3
	s_delay_alu instid0(VALU_DEP_1)
	s_and_b32 vcc_lo, exec_lo, s0
	s_mov_b32 s0, -1
	s_cbranch_vccnz .LBB465_2031
; %bb.2026:
	v_cmp_gt_i16_e64 s0, s3, 3
	s_delay_alu instid0(VALU_DEP_1)
	s_and_b32 vcc_lo, exec_lo, s0
	s_mov_b32 s0, -1
	s_cbranch_vccz .LBB465_2028
; %bb.2027:
	v_trunc_f64_e32 v[2:3], v[0:1]
	s_mov_b32 s0, 0
	s_delay_alu instid0(VALU_DEP_1) | instskip(NEXT) | instid1(VALU_DEP_1)
	v_ldexp_f64 v[7:8], v[2:3], 0xffffffe0
	v_floor_f64_e32 v[7:8], v[7:8]
	s_delay_alu instid0(VALU_DEP_1) | instskip(SKIP_1) | instid1(VALU_DEP_2)
	v_fma_f64 v[2:3], 0xc1f00000, v[7:8], v[2:3]
	v_cvt_i32_f64_e32 v8, v[7:8]
	v_cvt_u32_f64_e32 v7, v[2:3]
	global_store_b64 v[5:6], v[7:8], off
.LBB465_2028:
	s_and_not1_b32 vcc_lo, exec_lo, s0
	s_cbranch_vccnz .LBB465_2030
; %bb.2029:
	v_cvt_i32_f64_e32 v2, v[0:1]
	global_store_b32 v[5:6], v2, off
.LBB465_2030:
	s_mov_b32 s0, 0
.LBB465_2031:
	s_delay_alu instid0(SALU_CYCLE_1)
	s_and_not1_b32 vcc_lo, exec_lo, s0
	s_cbranch_vccnz .LBB465_2033
; %bb.2032:
	v_cvt_i32_f64_e32 v2, v[0:1]
	global_store_b16 v[5:6], v2, off
.LBB465_2033:
	s_mov_b32 s0, 0
.LBB465_2034:
	s_delay_alu instid0(SALU_CYCLE_1)
	s_and_not1_b32 vcc_lo, exec_lo, s0
	s_cbranch_vccnz .LBB465_2039
; %bb.2035:
	v_cmp_gt_i16_e64 s0, s3, 0
	s_delay_alu instid0(VALU_DEP_1)
	s_and_b32 vcc_lo, exec_lo, s0
	s_mov_b32 s0, -1
	s_cbranch_vccz .LBB465_2037
; %bb.2036:
	v_cvt_i32_f64_e32 v2, v[0:1]
	s_mov_b32 s0, 0
	global_store_b8 v[5:6], v2, off
.LBB465_2037:
	s_and_not1_b32 vcc_lo, exec_lo, s0
	s_cbranch_vccnz .LBB465_2039
; %bb.2038:
	v_trunc_f64_e32 v[0:1], v[0:1]
	s_delay_alu instid0(VALU_DEP_1) | instskip(NEXT) | instid1(VALU_DEP_1)
	v_ldexp_f64 v[2:3], v[0:1], 0xffffffe0
	v_floor_f64_e32 v[2:3], v[2:3]
	s_delay_alu instid0(VALU_DEP_1) | instskip(NEXT) | instid1(VALU_DEP_1)
	v_fma_f64 v[0:1], 0xc1f00000, v[2:3], v[0:1]
	v_cvt_u32_f64_e32 v0, v[0:1]
	global_store_b8 v[5:6], v0, off
.LBB465_2039:
	s_mov_b32 s6, -1
.LBB465_2040:
	s_delay_alu instid0(SALU_CYCLE_1)
	s_and_not1_b32 vcc_lo, exec_lo, s6
	s_cbranch_vccnz .LBB465_2049
; %bb.2041:
	v_max_f64 v[0:1], v[11:12], v[11:12]
	v_cmp_u_f64_e32 vcc_lo, v[11:12], v[11:12]
	v_cmp_lt_i16_e64 s0, s3, 11
	v_add_co_u32 v4, s4, s4, v4
	s_delay_alu instid0(VALU_DEP_1) | instskip(SKIP_2) | instid1(VALU_DEP_1)
	v_add_co_ci_u32_e64 v5, null, s5, 0, s4
	s_mov_b32 s1, 0
	v_min_f64 v[0:1], v[0:1], v[13:14]
	v_dual_cndmask_b32 v1, v1, v12 :: v_dual_cndmask_b32 v0, v0, v11
	s_and_b32 vcc_lo, exec_lo, s0
	s_mov_b32 s0, -1
	s_cbranch_vccnz .LBB465_2050
; %bb.2042:
	v_cmp_gt_i16_e64 s0, s3, 25
	s_mov_b32 s4, -1
	s_delay_alu instid0(VALU_DEP_1)
	s_and_b32 vcc_lo, exec_lo, s0
	s_mov_b32 s0, 0
	s_cbranch_vccz .LBB465_2131
; %bb.2043:
	v_cmp_gt_i16_e64 s0, s3, 28
	s_delay_alu instid0(VALU_DEP_1)
	s_and_b32 vcc_lo, exec_lo, s0
	s_cbranch_vccz .LBB465_2094
; %bb.2044:
	v_cmp_gt_i16_e64 s0, s3, 43
	s_delay_alu instid0(VALU_DEP_1)
	s_and_b32 vcc_lo, exec_lo, s0
	s_cbranch_vccz .LBB465_2097
; %bb.2045:
	v_cmp_gt_i16_e64 s0, s3, 45
	s_delay_alu instid0(VALU_DEP_1)
	s_and_b32 vcc_lo, exec_lo, s0
	s_cbranch_vccz .LBB465_2104
; %bb.2046:
	v_cmp_eq_u16_e64 s0, s3, 46
	s_delay_alu instid0(VALU_DEP_1)
	s_and_b32 vcc_lo, exec_lo, s0
	s_mov_b32 s0, -1
	s_cbranch_vccz .LBB465_2048
; %bb.2047:
	v_cvt_f32_f64_e32 v2, v[0:1]
	s_mov_b32 s0, 0
	s_delay_alu instid0(VALU_DEP_1) | instskip(SKIP_1) | instid1(VALU_DEP_2)
	v_bfe_u32 v3, v2, 16, 1
	v_cmp_o_f32_e32 vcc_lo, v2, v2
	v_add3_u32 v3, v2, v3, 0x7fff
	s_delay_alu instid0(VALU_DEP_1) | instskip(NEXT) | instid1(VALU_DEP_1)
	v_lshrrev_b32_e32 v3, 16, v3
	v_cndmask_b32_e32 v2, 0x7fc0, v3, vcc_lo
	global_store_b32 v[4:5], v2, off
.LBB465_2048:
	s_mov_b32 s4, 0
	s_branch .LBB465_2105
.LBB465_2049:
	s_mov_b32 s0, 0
	s_mov_b32 s1, 0
                                        ; implicit-def: $vgpr4_vgpr5
                                        ; implicit-def: $sgpr3
                                        ; implicit-def: $vgpr0_vgpr1
.LBB465_2050:
	s_and_b32 s4, s0, exec_lo
	s_and_not1_b32 s0, s8, exec_lo
	s_and_b32 s2, s2, exec_lo
	s_and_b32 s28, s1, exec_lo
	s_or_b32 s8, s0, s2
.LBB465_2051:
	s_or_b32 exec_lo, exec_lo, s9
	s_and_saveexec_b32 s0, s8
	s_cbranch_execz .LBB465_2054
; %bb.2052:
	; divergent unreachable
	s_or_b32 exec_lo, exec_lo, s0
	s_and_saveexec_b32 s0, s28
	s_delay_alu instid0(SALU_CYCLE_1)
	s_xor_b32 s0, exec_lo, s0
	s_cbranch_execnz .LBB465_2055
.LBB465_2053:
	s_or_b32 exec_lo, exec_lo, s0
	s_and_saveexec_b32 s0, s4
	s_cbranch_execnz .LBB465_2056
	s_branch .LBB465_2093
.LBB465_2054:
	s_or_b32 exec_lo, exec_lo, s0
	s_and_saveexec_b32 s0, s28
	s_delay_alu instid0(SALU_CYCLE_1)
	s_xor_b32 s0, exec_lo, s0
	s_cbranch_execz .LBB465_2053
.LBB465_2055:
	v_cmp_neq_f64_e32 vcc_lo, 0, v[0:1]
	s_waitcnt vmcnt(0)
	v_cndmask_b32_e64 v2, 0, 1, vcc_lo
	global_store_b8 v[4:5], v2, off
	s_or_b32 exec_lo, exec_lo, s0
	s_and_saveexec_b32 s0, s4
	s_cbranch_execz .LBB465_2093
.LBB465_2056:
	v_cmp_lt_i16_e64 s0, s3, 5
	s_delay_alu instid0(VALU_DEP_1)
	s_and_b32 vcc_lo, exec_lo, s0
	s_mov_b32 s0, -1
	s_cbranch_vccnz .LBB465_2077
; %bb.2057:
	v_cmp_lt_i16_e64 s0, s3, 8
	s_delay_alu instid0(VALU_DEP_1)
	s_and_b32 vcc_lo, exec_lo, s0
	s_mov_b32 s0, -1
	s_cbranch_vccnz .LBB465_2067
; %bb.2058:
	v_cmp_lt_i16_e64 s0, s3, 9
	s_delay_alu instid0(VALU_DEP_1)
	s_and_b32 vcc_lo, exec_lo, s0
	s_mov_b32 s0, -1
	s_cbranch_vccnz .LBB465_2064
; %bb.2059:
	v_cmp_gt_i16_e64 s0, s3, 9
	s_delay_alu instid0(VALU_DEP_1)
	s_and_b32 vcc_lo, exec_lo, s0
	s_mov_b32 s0, -1
	s_cbranch_vccz .LBB465_2061
; %bb.2060:
	s_waitcnt vmcnt(0)
	v_mov_b32_e32 v2, 0
	s_mov_b32 s0, 0
	s_delay_alu instid0(VALU_DEP_1)
	v_mov_b32_e32 v3, v2
	global_store_b128 v[4:5], v[0:3], off
.LBB465_2061:
	s_and_not1_b32 vcc_lo, exec_lo, s0
	s_cbranch_vccnz .LBB465_2063
; %bb.2062:
	s_waitcnt vmcnt(0)
	v_cvt_f32_f64_e32 v2, v[0:1]
	v_mov_b32_e32 v3, 0
	global_store_b64 v[4:5], v[2:3], off
.LBB465_2063:
	s_mov_b32 s0, 0
.LBB465_2064:
	s_delay_alu instid0(SALU_CYCLE_1)
	s_and_not1_b32 vcc_lo, exec_lo, s0
	s_cbranch_vccnz .LBB465_2066
; %bb.2065:
	s_waitcnt vmcnt(0)
	v_cvt_f32_f64_e32 v2, v[0:1]
	s_delay_alu instid0(VALU_DEP_1) | instskip(NEXT) | instid1(VALU_DEP_1)
	v_cvt_f16_f32_e32 v2, v2
	v_and_b32_e32 v2, 0xffff, v2
	global_store_b32 v[4:5], v2, off
.LBB465_2066:
	s_mov_b32 s0, 0
.LBB465_2067:
	s_delay_alu instid0(SALU_CYCLE_1)
	s_and_not1_b32 vcc_lo, exec_lo, s0
	s_cbranch_vccnz .LBB465_2076
; %bb.2068:
	v_cmp_lt_i16_e64 s0, s3, 6
	s_delay_alu instid0(VALU_DEP_1)
	s_and_b32 vcc_lo, exec_lo, s0
	s_mov_b32 s0, -1
	s_cbranch_vccnz .LBB465_2074
; %bb.2069:
	v_cmp_gt_i16_e64 s0, s3, 6
	s_delay_alu instid0(VALU_DEP_1)
	s_and_b32 vcc_lo, exec_lo, s0
	s_mov_b32 s0, -1
	s_cbranch_vccz .LBB465_2071
; %bb.2070:
	s_mov_b32 s0, 0
	global_store_b64 v[4:5], v[0:1], off
.LBB465_2071:
	s_and_not1_b32 vcc_lo, exec_lo, s0
	s_cbranch_vccnz .LBB465_2073
; %bb.2072:
	s_waitcnt vmcnt(0)
	v_cvt_f32_f64_e32 v2, v[0:1]
	global_store_b32 v[4:5], v2, off
.LBB465_2073:
	s_mov_b32 s0, 0
.LBB465_2074:
	s_delay_alu instid0(SALU_CYCLE_1)
	s_and_not1_b32 vcc_lo, exec_lo, s0
	s_cbranch_vccnz .LBB465_2076
; %bb.2075:
	s_waitcnt vmcnt(0)
	v_cvt_f32_f64_e32 v2, v[0:1]
	s_delay_alu instid0(VALU_DEP_1)
	v_cvt_f16_f32_e32 v2, v2
	global_store_b16 v[4:5], v2, off
.LBB465_2076:
	s_mov_b32 s0, 0
.LBB465_2077:
	s_delay_alu instid0(SALU_CYCLE_1)
	s_and_not1_b32 vcc_lo, exec_lo, s0
	s_cbranch_vccnz .LBB465_2093
; %bb.2078:
	v_cmp_lt_i16_e64 s0, s3, 2
	s_delay_alu instid0(VALU_DEP_1)
	s_and_b32 vcc_lo, exec_lo, s0
	s_mov_b32 s0, -1
	s_cbranch_vccnz .LBB465_2088
; %bb.2079:
	v_cmp_lt_i16_e64 s0, s3, 3
	s_delay_alu instid0(VALU_DEP_1)
	s_and_b32 vcc_lo, exec_lo, s0
	s_mov_b32 s0, -1
	s_cbranch_vccnz .LBB465_2085
; %bb.2080:
	v_cmp_gt_i16_e64 s0, s3, 3
	s_delay_alu instid0(VALU_DEP_1)
	s_and_b32 vcc_lo, exec_lo, s0
	s_mov_b32 s0, -1
	s_cbranch_vccz .LBB465_2082
; %bb.2081:
	s_waitcnt vmcnt(0)
	v_trunc_f64_e32 v[2:3], v[0:1]
	s_mov_b32 s0, 0
	s_delay_alu instid0(VALU_DEP_1) | instskip(NEXT) | instid1(VALU_DEP_1)
	v_ldexp_f64 v[6:7], v[2:3], 0xffffffe0
	v_floor_f64_e32 v[6:7], v[6:7]
	s_delay_alu instid0(VALU_DEP_1) | instskip(SKIP_1) | instid1(VALU_DEP_2)
	v_fma_f64 v[2:3], 0xc1f00000, v[6:7], v[2:3]
	v_cvt_i32_f64_e32 v7, v[6:7]
	v_cvt_u32_f64_e32 v6, v[2:3]
	global_store_b64 v[4:5], v[6:7], off
.LBB465_2082:
	s_and_not1_b32 vcc_lo, exec_lo, s0
	s_cbranch_vccnz .LBB465_2084
; %bb.2083:
	s_waitcnt vmcnt(0)
	v_cvt_i32_f64_e32 v2, v[0:1]
	global_store_b32 v[4:5], v2, off
.LBB465_2084:
	s_mov_b32 s0, 0
.LBB465_2085:
	s_delay_alu instid0(SALU_CYCLE_1)
	s_and_not1_b32 vcc_lo, exec_lo, s0
	s_cbranch_vccnz .LBB465_2087
; %bb.2086:
	s_waitcnt vmcnt(0)
	v_cvt_i32_f64_e32 v2, v[0:1]
	global_store_b16 v[4:5], v2, off
.LBB465_2087:
	s_mov_b32 s0, 0
.LBB465_2088:
	s_delay_alu instid0(SALU_CYCLE_1)
	s_and_not1_b32 vcc_lo, exec_lo, s0
	s_cbranch_vccnz .LBB465_2093
; %bb.2089:
	v_cmp_gt_i16_e64 s0, s3, 0
	s_delay_alu instid0(VALU_DEP_1)
	s_and_b32 vcc_lo, exec_lo, s0
	s_mov_b32 s0, -1
	s_cbranch_vccz .LBB465_2091
; %bb.2090:
	s_waitcnt vmcnt(0)
	v_cvt_i32_f64_e32 v2, v[0:1]
	s_mov_b32 s0, 0
	global_store_b8 v[4:5], v2, off
.LBB465_2091:
	s_and_not1_b32 vcc_lo, exec_lo, s0
	s_cbranch_vccnz .LBB465_2093
; %bb.2092:
	v_trunc_f64_e32 v[0:1], v[0:1]
	s_waitcnt vmcnt(0)
	s_delay_alu instid0(VALU_DEP_1) | instskip(NEXT) | instid1(VALU_DEP_1)
	v_ldexp_f64 v[2:3], v[0:1], 0xffffffe0
	v_floor_f64_e32 v[2:3], v[2:3]
	s_delay_alu instid0(VALU_DEP_1) | instskip(NEXT) | instid1(VALU_DEP_1)
	v_fma_f64 v[0:1], 0xc1f00000, v[2:3], v[0:1]
	v_cvt_u32_f64_e32 v0, v[0:1]
	global_store_b8 v[4:5], v0, off
	s_nop 0
	s_sendmsg sendmsg(MSG_DEALLOC_VGPRS)
	s_endpgm
.LBB465_2093:
	s_nop 0
	s_sendmsg sendmsg(MSG_DEALLOC_VGPRS)
	s_endpgm
.LBB465_2094:
	s_mov_b32 s0, 0
	s_branch .LBB465_2115
.LBB465_2095:
	s_or_saveexec_b32 s10, s10
                                        ; implicit-def: $sgpr11
	s_delay_alu instid0(SALU_CYCLE_1)
	s_xor_b32 exec_lo, exec_lo, s10
	s_cbranch_execz .LBB465_1951
.LBB465_2096:
	v_add_f32_e64 v3, 0x46000000, |v2|
	s_and_not1_b32 s7, s7, exec_lo
	s_mov_b32 s11, 0
	s_delay_alu instid0(VALU_DEP_1) | instskip(NEXT) | instid1(VALU_DEP_1)
	v_and_b32_e32 v3, 0xff, v3
	v_cmp_ne_u32_e32 vcc_lo, 0, v3
	s_and_b32 s12, vcc_lo, exec_lo
	s_delay_alu instid0(SALU_CYCLE_1)
	s_or_b32 s7, s7, s12
	s_or_b32 exec_lo, exec_lo, s10
	v_mov_b32_e32 v7, s11
	s_and_saveexec_b32 s10, s7
	s_cbranch_execnz .LBB465_1952
	s_branch .LBB465_1953
.LBB465_2097:
	s_mov_b32 s0, 0
	s_branch .LBB465_2111
.LBB465_2098:
	s_trap 2
	s_sendmsg_rtn_b32 s0, sendmsg(MSG_RTN_GET_DOORBELL)
	s_mov_b32 ttmp2, m0
	s_waitcnt lgkmcnt(0)
	s_and_b32 s0, s0, 0x3ff
	s_delay_alu instid0(SALU_CYCLE_1) | instskip(NEXT) | instid1(SALU_CYCLE_1)
	s_bitset1_b32 s0, 10
	s_mov_b32 m0, s0
	s_sendmsg sendmsg(MSG_INTERRUPT)
	s_mov_b32 m0, ttmp2
.LBB465_2099:                           ; =>This Inner Loop Header: Depth=1
	s_sethalt 5
	s_branch .LBB465_2099
.LBB465_2100:
	s_cbranch_execnz .LBB465_2175
; %bb.2101:
	s_or_b32 s2, s2, exec_lo
	s_cbranch_execz .LBB465_1999
	s_branch .LBB465_2000
.LBB465_2102:
	s_or_saveexec_b32 s7, s7
                                        ; implicit-def: $sgpr10
	s_delay_alu instid0(SALU_CYCLE_1)
	s_xor_b32 exec_lo, exec_lo, s7
	s_cbranch_execz .LBB465_1964
.LBB465_2103:
	v_add_f32_e64 v3, 0x42800000, |v2|
	s_and_not1_b32 s6, s6, exec_lo
	s_mov_b32 s10, 0
	s_delay_alu instid0(VALU_DEP_1) | instskip(NEXT) | instid1(VALU_DEP_1)
	v_and_b32_e32 v3, 0xff, v3
	v_cmp_ne_u32_e32 vcc_lo, 0, v3
	s_and_b32 s11, vcc_lo, exec_lo
	s_delay_alu instid0(SALU_CYCLE_1)
	s_or_b32 s6, s6, s11
	s_or_b32 exec_lo, exec_lo, s7
	v_mov_b32_e32 v7, s10
	s_and_saveexec_b32 s7, s6
	s_cbranch_execnz .LBB465_1965
	s_branch .LBB465_1966
.LBB465_2104:
	s_mov_b32 s0, 0
.LBB465_2105:
	s_and_b32 vcc_lo, exec_lo, s4
	s_cbranch_vccz .LBB465_2110
; %bb.2106:
	v_cmp_eq_u16_e64 s0, s3, 44
	s_delay_alu instid0(VALU_DEP_1)
	s_and_b32 vcc_lo, exec_lo, s0
	s_mov_b32 s0, -1
	s_cbranch_vccz .LBB465_2110
; %bb.2107:
	v_cvt_f32_f64_e32 v2, v[0:1]
	v_mov_b32_e32 v3, 0xff
	s_mov_b32 s4, exec_lo
	s_delay_alu instid0(VALU_DEP_2) | instskip(NEXT) | instid1(VALU_DEP_1)
	v_bfe_u32 v6, v2, 23, 8
	v_cmpx_ne_u32_e32 0xff, v6
; %bb.2108:
	v_and_b32_e32 v3, 0x400000, v2
	v_and_or_b32 v6, 0x3fffff, v2, v6
	v_lshrrev_b32_e32 v2, 23, v2
	s_delay_alu instid0(VALU_DEP_3) | instskip(NEXT) | instid1(VALU_DEP_3)
	v_cmp_ne_u32_e32 vcc_lo, 0, v3
	v_cmp_ne_u32_e64 s0, 0, v6
	s_delay_alu instid0(VALU_DEP_1) | instskip(NEXT) | instid1(SALU_CYCLE_1)
	s_and_b32 s0, vcc_lo, s0
	v_cndmask_b32_e64 v3, 0, 1, s0
	s_delay_alu instid0(VALU_DEP_1)
	v_add_nc_u32_e32 v3, v2, v3
; %bb.2109:
	s_or_b32 exec_lo, exec_lo, s4
	s_mov_b32 s0, 0
	global_store_b8 v[4:5], v3, off
.LBB465_2110:
	s_mov_b32 s4, 0
.LBB465_2111:
	s_delay_alu instid0(SALU_CYCLE_1)
	s_and_b32 vcc_lo, exec_lo, s4
	s_cbranch_vccz .LBB465_2114
; %bb.2112:
	v_cmp_eq_u16_e64 s0, s3, 29
	s_delay_alu instid0(VALU_DEP_1)
	s_and_b32 vcc_lo, exec_lo, s0
	s_mov_b32 s0, -1
	s_cbranch_vccz .LBB465_2114
; %bb.2113:
	v_trunc_f64_e32 v[2:3], v[0:1]
	s_mov_b32 s0, 0
	s_delay_alu instid0(VALU_DEP_1) | instskip(NEXT) | instid1(VALU_DEP_1)
	v_ldexp_f64 v[6:7], v[2:3], 0xffffffe0
	v_floor_f64_e32 v[6:7], v[6:7]
	s_delay_alu instid0(VALU_DEP_1) | instskip(SKIP_1) | instid1(VALU_DEP_2)
	v_fma_f64 v[2:3], 0xc1f00000, v[6:7], v[2:3]
	v_cvt_u32_f64_e32 v7, v[6:7]
	v_cvt_u32_f64_e32 v6, v[2:3]
	global_store_b64 v[4:5], v[6:7], off
.LBB465_2114:
	s_mov_b32 s4, 0
.LBB465_2115:
	s_delay_alu instid0(SALU_CYCLE_1)
	s_and_b32 vcc_lo, exec_lo, s4
	s_cbranch_vccz .LBB465_2130
; %bb.2116:
	v_cmp_lt_i16_e64 s4, s3, 27
	s_delay_alu instid0(VALU_DEP_1)
	s_and_b32 vcc_lo, exec_lo, s4
	s_mov_b32 s4, -1
	s_cbranch_vccnz .LBB465_2122
; %bb.2117:
	v_cvt_u32_f64_e32 v2, v[0:1]
	v_cmp_gt_i16_e64 s4, s3, 27
	s_delay_alu instid0(VALU_DEP_1)
	s_and_b32 vcc_lo, exec_lo, s4
	s_mov_b32 s4, -1
	s_cbranch_vccz .LBB465_2119
; %bb.2118:
	s_mov_b32 s4, 0
	global_store_b32 v[4:5], v2, off
.LBB465_2119:
	s_and_not1_b32 vcc_lo, exec_lo, s4
	s_cbranch_vccnz .LBB465_2121
; %bb.2120:
	global_store_b16 v[4:5], v2, off
.LBB465_2121:
	s_mov_b32 s4, 0
.LBB465_2122:
	s_delay_alu instid0(SALU_CYCLE_1)
	s_and_not1_b32 vcc_lo, exec_lo, s4
	s_cbranch_vccnz .LBB465_2130
; %bb.2123:
	v_cvt_f32_f64_e32 v2, v[0:1]
	v_mov_b32_e32 v6, 0x80
	s_mov_b32 s4, exec_lo
	s_delay_alu instid0(VALU_DEP_2) | instskip(NEXT) | instid1(VALU_DEP_1)
	v_and_b32_e32 v3, 0x7fffffff, v2
	v_cmpx_gt_u32_e32 0x43800000, v3
	s_cbranch_execz .LBB465_2129
; %bb.2124:
	v_cmp_lt_u32_e32 vcc_lo, 0x3bffffff, v3
	s_mov_b32 s5, 0
                                        ; implicit-def: $vgpr3
	s_and_saveexec_b32 s6, vcc_lo
	s_delay_alu instid0(SALU_CYCLE_1)
	s_xor_b32 s6, exec_lo, s6
	s_cbranch_execz .LBB465_2173
; %bb.2125:
	v_bfe_u32 v3, v2, 20, 1
	s_mov_b32 s5, exec_lo
	s_delay_alu instid0(VALU_DEP_1) | instskip(NEXT) | instid1(VALU_DEP_1)
	v_add3_u32 v3, v2, v3, 0x487ffff
	v_lshrrev_b32_e32 v3, 20, v3
	s_or_saveexec_b32 s6, s6
                                        ; implicit-def: $sgpr7
	s_delay_alu instid0(SALU_CYCLE_1)
	s_xor_b32 exec_lo, exec_lo, s6
	s_cbranch_execnz .LBB465_2174
.LBB465_2126:
	s_or_b32 exec_lo, exec_lo, s6
	v_mov_b32_e32 v6, s7
	s_and_saveexec_b32 s6, s5
.LBB465_2127:
	v_lshrrev_b32_e32 v2, 24, v2
	s_delay_alu instid0(VALU_DEP_1)
	v_and_or_b32 v6, 0x80, v2, v3
.LBB465_2128:
	s_or_b32 exec_lo, exec_lo, s6
.LBB465_2129:
	s_delay_alu instid0(SALU_CYCLE_1)
	s_or_b32 exec_lo, exec_lo, s4
	global_store_b8 v[4:5], v6, off
.LBB465_2130:
	s_mov_b32 s4, 0
.LBB465_2131:
	s_delay_alu instid0(SALU_CYCLE_1)
	s_and_b32 vcc_lo, exec_lo, s4
	s_cbranch_vccz .LBB465_2171
; %bb.2132:
	v_cmp_gt_i16_e64 s1, s3, 22
	s_delay_alu instid0(VALU_DEP_1)
	s_and_b32 vcc_lo, exec_lo, s1
	s_mov_b32 s1, -1
	s_cbranch_vccz .LBB465_2164
; %bb.2133:
	v_cmp_lt_i16_e64 s1, s3, 24
	s_delay_alu instid0(VALU_DEP_1)
	s_and_b32 vcc_lo, exec_lo, s1
	s_mov_b32 s1, -1
	s_cbranch_vccnz .LBB465_2153
; %bb.2134:
	v_cmp_gt_i16_e64 s1, s3, 24
	s_delay_alu instid0(VALU_DEP_1)
	s_and_b32 vcc_lo, exec_lo, s1
	s_mov_b32 s1, -1
	s_cbranch_vccz .LBB465_2142
; %bb.2135:
	v_cvt_f32_f64_e32 v2, v[0:1]
	v_mov_b32_e32 v6, 0x80
	s_mov_b32 s1, exec_lo
	s_delay_alu instid0(VALU_DEP_2) | instskip(NEXT) | instid1(VALU_DEP_1)
	v_and_b32_e32 v3, 0x7fffffff, v2
	v_cmpx_gt_u32_e32 0x47800000, v3
	s_cbranch_execz .LBB465_2141
; %bb.2136:
	v_cmp_lt_u32_e32 vcc_lo, 0x37ffffff, v3
	s_mov_b32 s4, 0
                                        ; implicit-def: $vgpr3
	s_and_saveexec_b32 s5, vcc_lo
	s_delay_alu instid0(SALU_CYCLE_1)
	s_xor_b32 s5, exec_lo, s5
	s_cbranch_execz .LBB465_2179
; %bb.2137:
	v_bfe_u32 v3, v2, 21, 1
	s_mov_b32 s4, exec_lo
	s_delay_alu instid0(VALU_DEP_1) | instskip(NEXT) | instid1(VALU_DEP_1)
	v_add3_u32 v3, v2, v3, 0x88fffff
	v_lshrrev_b32_e32 v3, 21, v3
	s_or_saveexec_b32 s5, s5
                                        ; implicit-def: $sgpr6
	s_delay_alu instid0(SALU_CYCLE_1)
	s_xor_b32 exec_lo, exec_lo, s5
	s_cbranch_execnz .LBB465_2180
.LBB465_2138:
	s_or_b32 exec_lo, exec_lo, s5
	v_mov_b32_e32 v6, s6
	s_and_saveexec_b32 s5, s4
.LBB465_2139:
	v_lshrrev_b32_e32 v2, 24, v2
	s_delay_alu instid0(VALU_DEP_1)
	v_and_or_b32 v6, 0x80, v2, v3
.LBB465_2140:
	s_or_b32 exec_lo, exec_lo, s5
.LBB465_2141:
	s_delay_alu instid0(SALU_CYCLE_1)
	s_or_b32 exec_lo, exec_lo, s1
	s_mov_b32 s1, 0
	global_store_b8 v[4:5], v6, off
.LBB465_2142:
	s_and_b32 vcc_lo, exec_lo, s1
	s_cbranch_vccz .LBB465_2152
; %bb.2143:
	v_cvt_f32_f64_e32 v2, v[0:1]
	s_mov_b32 s1, exec_lo
                                        ; implicit-def: $vgpr3
	s_delay_alu instid0(VALU_DEP_1) | instskip(NEXT) | instid1(VALU_DEP_1)
	v_and_b32_e32 v6, 0x7fffffff, v2
	v_cmpx_gt_u32_e32 0x43f00000, v6
	s_xor_b32 s1, exec_lo, s1
	s_cbranch_execz .LBB465_2149
; %bb.2144:
	s_mov_b32 s4, exec_lo
                                        ; implicit-def: $vgpr3
	v_cmpx_lt_u32_e32 0x3c7fffff, v6
	s_xor_b32 s4, exec_lo, s4
; %bb.2145:
	v_bfe_u32 v3, v2, 20, 1
	s_delay_alu instid0(VALU_DEP_1) | instskip(NEXT) | instid1(VALU_DEP_1)
	v_add3_u32 v3, v2, v3, 0x407ffff
	v_and_b32_e32 v6, 0xff00000, v3
	v_lshrrev_b32_e32 v3, 20, v3
	s_delay_alu instid0(VALU_DEP_2) | instskip(NEXT) | instid1(VALU_DEP_2)
	v_cmp_ne_u32_e32 vcc_lo, 0x7f00000, v6
	v_cndmask_b32_e32 v3, 0x7e, v3, vcc_lo
; %bb.2146:
	s_and_not1_saveexec_b32 s4, s4
; %bb.2147:
	v_add_f32_e64 v3, 0x46800000, |v2|
; %bb.2148:
	s_or_b32 exec_lo, exec_lo, s4
                                        ; implicit-def: $vgpr6
.LBB465_2149:
	s_and_not1_saveexec_b32 s1, s1
; %bb.2150:
	v_mov_b32_e32 v3, 0x7f
	v_cmp_lt_u32_e32 vcc_lo, 0x7f800000, v6
	s_delay_alu instid0(VALU_DEP_2)
	v_cndmask_b32_e32 v3, 0x7e, v3, vcc_lo
; %bb.2151:
	s_or_b32 exec_lo, exec_lo, s1
	v_lshrrev_b32_e32 v2, 24, v2
	s_delay_alu instid0(VALU_DEP_1)
	v_and_or_b32 v2, 0x80, v2, v3
	global_store_b8 v[4:5], v2, off
.LBB465_2152:
	s_mov_b32 s1, 0
.LBB465_2153:
	s_delay_alu instid0(SALU_CYCLE_1)
	s_and_not1_b32 vcc_lo, exec_lo, s1
	s_cbranch_vccnz .LBB465_2163
; %bb.2154:
	v_cvt_f32_f64_e32 v2, v[0:1]
	s_mov_b32 s1, exec_lo
                                        ; implicit-def: $vgpr3
	s_delay_alu instid0(VALU_DEP_1) | instskip(NEXT) | instid1(VALU_DEP_1)
	v_and_b32_e32 v6, 0x7fffffff, v2
	v_cmpx_gt_u32_e32 0x47800000, v6
	s_xor_b32 s1, exec_lo, s1
	s_cbranch_execz .LBB465_2160
; %bb.2155:
	s_mov_b32 s4, exec_lo
                                        ; implicit-def: $vgpr3
	v_cmpx_lt_u32_e32 0x387fffff, v6
	s_xor_b32 s4, exec_lo, s4
; %bb.2156:
	v_bfe_u32 v3, v2, 21, 1
	s_delay_alu instid0(VALU_DEP_1) | instskip(NEXT) | instid1(VALU_DEP_1)
	v_add3_u32 v3, v2, v3, 0x80fffff
	v_lshrrev_b32_e32 v3, 21, v3
; %bb.2157:
	s_and_not1_saveexec_b32 s4, s4
; %bb.2158:
	v_add_f32_e64 v3, 0x43000000, |v2|
; %bb.2159:
	s_or_b32 exec_lo, exec_lo, s4
                                        ; implicit-def: $vgpr6
.LBB465_2160:
	s_and_not1_saveexec_b32 s1, s1
; %bb.2161:
	v_mov_b32_e32 v3, 0x7f
	v_cmp_lt_u32_e32 vcc_lo, 0x7f800000, v6
	s_delay_alu instid0(VALU_DEP_2)
	v_cndmask_b32_e32 v3, 0x7c, v3, vcc_lo
; %bb.2162:
	s_or_b32 exec_lo, exec_lo, s1
	v_lshrrev_b32_e32 v2, 24, v2
	s_delay_alu instid0(VALU_DEP_1)
	v_and_or_b32 v2, 0x80, v2, v3
	global_store_b8 v[4:5], v2, off
.LBB465_2163:
	s_mov_b32 s1, 0
.LBB465_2164:
	s_delay_alu instid0(SALU_CYCLE_1)
	s_and_not1_b32 vcc_lo, exec_lo, s1
	s_mov_b32 s1, 0
	s_cbranch_vccnz .LBB465_2171
; %bb.2165:
	v_cmp_gt_i16_e64 s1, s3, 14
	s_delay_alu instid0(VALU_DEP_1)
	s_and_b32 vcc_lo, exec_lo, s1
	s_mov_b32 s1, -1
	s_cbranch_vccz .LBB465_2169
; %bb.2166:
	v_cmp_eq_u16_e64 s0, s3, 15
	s_delay_alu instid0(VALU_DEP_1)
	s_and_b32 vcc_lo, exec_lo, s0
	s_mov_b32 s0, -1
	s_cbranch_vccz .LBB465_2168
; %bb.2167:
	v_cvt_f32_f64_e32 v2, v[0:1]
	s_mov_b32 s0, 0
	s_delay_alu instid0(VALU_DEP_1) | instskip(SKIP_1) | instid1(VALU_DEP_2)
	v_bfe_u32 v3, v2, 16, 1
	v_cmp_o_f32_e32 vcc_lo, v2, v2
	v_add3_u32 v3, v2, v3, 0x7fff
	s_delay_alu instid0(VALU_DEP_1) | instskip(NEXT) | instid1(VALU_DEP_1)
	v_lshrrev_b32_e32 v3, 16, v3
	v_cndmask_b32_e32 v2, 0x7fc0, v3, vcc_lo
	global_store_b16 v[4:5], v2, off
.LBB465_2168:
	s_mov_b32 s1, 0
.LBB465_2169:
	s_delay_alu instid0(SALU_CYCLE_1)
	s_and_b32 vcc_lo, exec_lo, s1
	s_mov_b32 s1, 0
	s_cbranch_vccz .LBB465_2171
; %bb.2170:
	v_cmp_ne_u16_e64 s0, s3, 11
	s_mov_b32 s1, -1
.LBB465_2171:
	s_delay_alu instid0(VALU_DEP_1)
	s_and_b32 vcc_lo, exec_lo, s0
	s_cbranch_vccnz .LBB465_2177
.LBB465_2172:
	s_mov_b32 s0, 0
	s_branch .LBB465_2050
.LBB465_2173:
	s_or_saveexec_b32 s6, s6
                                        ; implicit-def: $sgpr7
	s_delay_alu instid0(SALU_CYCLE_1)
	s_xor_b32 exec_lo, exec_lo, s6
	s_cbranch_execz .LBB465_2126
.LBB465_2174:
	v_add_f32_e64 v3, 0x46000000, |v2|
	s_and_not1_b32 s5, s5, exec_lo
	s_mov_b32 s7, 0
	s_delay_alu instid0(VALU_DEP_1) | instskip(NEXT) | instid1(VALU_DEP_1)
	v_and_b32_e32 v3, 0xff, v3
	v_cmp_ne_u32_e32 vcc_lo, 0, v3
	s_and_b32 s10, vcc_lo, exec_lo
	s_delay_alu instid0(SALU_CYCLE_1)
	s_or_b32 s5, s5, s10
	s_or_b32 exec_lo, exec_lo, s6
	v_mov_b32_e32 v6, s7
	s_and_saveexec_b32 s6, s5
	s_cbranch_execnz .LBB465_2127
	s_branch .LBB465_2128
.LBB465_2175:
	s_trap 2
	s_sendmsg_rtn_b32 s0, sendmsg(MSG_RTN_GET_DOORBELL)
	s_mov_b32 ttmp2, m0
	s_waitcnt lgkmcnt(0)
	s_and_b32 s0, s0, 0x3ff
	s_delay_alu instid0(SALU_CYCLE_1) | instskip(NEXT) | instid1(SALU_CYCLE_1)
	s_bitset1_b32 s0, 10
	s_mov_b32 m0, s0
	s_sendmsg sendmsg(MSG_INTERRUPT)
	s_mov_b32 m0, ttmp2
.LBB465_2176:                           ; =>This Inner Loop Header: Depth=1
	s_sethalt 5
	s_branch .LBB465_2176
.LBB465_2177:
	s_cbranch_execnz .LBB465_2181
; %bb.2178:
	s_mov_b32 s1, 0
	s_or_b32 s2, s2, exec_lo
	s_branch .LBB465_2172
.LBB465_2179:
	s_or_saveexec_b32 s5, s5
                                        ; implicit-def: $sgpr6
	s_delay_alu instid0(SALU_CYCLE_1)
	s_xor_b32 exec_lo, exec_lo, s5
	s_cbranch_execz .LBB465_2138
.LBB465_2180:
	v_add_f32_e64 v3, 0x42800000, |v2|
	s_and_not1_b32 s4, s4, exec_lo
	s_mov_b32 s6, 0
	s_delay_alu instid0(VALU_DEP_1) | instskip(NEXT) | instid1(VALU_DEP_1)
	v_and_b32_e32 v3, 0xff, v3
	v_cmp_ne_u32_e32 vcc_lo, 0, v3
	s_and_b32 s7, vcc_lo, exec_lo
	s_delay_alu instid0(SALU_CYCLE_1)
	s_or_b32 s4, s4, s7
	s_or_b32 exec_lo, exec_lo, s5
	v_mov_b32_e32 v6, s6
	s_and_saveexec_b32 s5, s4
	s_cbranch_execnz .LBB465_2139
	s_branch .LBB465_2140
.LBB465_2181:
	s_trap 2
	s_sendmsg_rtn_b32 s0, sendmsg(MSG_RTN_GET_DOORBELL)
	s_mov_b32 ttmp2, m0
	s_waitcnt lgkmcnt(0)
	s_and_b32 s0, s0, 0x3ff
	s_delay_alu instid0(SALU_CYCLE_1) | instskip(NEXT) | instid1(SALU_CYCLE_1)
	s_bitset1_b32 s0, 10
	s_mov_b32 m0, s0
	s_sendmsg sendmsg(MSG_INTERRUPT)
	s_mov_b32 m0, ttmp2
.LBB465_2182:                           ; =>This Inner Loop Header: Depth=1
	s_sethalt 5
	s_branch .LBB465_2182
	.section	.rodata,"a",@progbits
	.p2align	6, 0x0
	.amdhsa_kernel _ZN2at6native32elementwise_kernel_manual_unrollILi128ELi4EZNS0_15gpu_kernel_implIZZZNS0_21clamp_max_kernel_cudaERNS_18TensorIteratorBaseERKN3c106ScalarEENKUlvE_clEvENKUlvE4_clEvEUldE_EEvS4_RKT_EUlibE0_EEviT1_
		.amdhsa_group_segment_fixed_size 0
		.amdhsa_private_segment_fixed_size 0
		.amdhsa_kernarg_size 368
		.amdhsa_user_sgpr_count 15
		.amdhsa_user_sgpr_dispatch_ptr 0
		.amdhsa_user_sgpr_queue_ptr 0
		.amdhsa_user_sgpr_kernarg_segment_ptr 1
		.amdhsa_user_sgpr_dispatch_id 0
		.amdhsa_user_sgpr_private_segment_size 0
		.amdhsa_wavefront_size32 1
		.amdhsa_uses_dynamic_stack 0
		.amdhsa_enable_private_segment 0
		.amdhsa_system_sgpr_workgroup_id_x 1
		.amdhsa_system_sgpr_workgroup_id_y 0
		.amdhsa_system_sgpr_workgroup_id_z 0
		.amdhsa_system_sgpr_workgroup_info 0
		.amdhsa_system_vgpr_workitem_id 0
		.amdhsa_next_free_vgpr 19
		.amdhsa_next_free_sgpr 68
		.amdhsa_reserve_vcc 1
		.amdhsa_float_round_mode_32 0
		.amdhsa_float_round_mode_16_64 0
		.amdhsa_float_denorm_mode_32 3
		.amdhsa_float_denorm_mode_16_64 3
		.amdhsa_dx10_clamp 1
		.amdhsa_ieee_mode 1
		.amdhsa_fp16_overflow 0
		.amdhsa_workgroup_processor_mode 1
		.amdhsa_memory_ordered 1
		.amdhsa_forward_progress 0
		.amdhsa_shared_vgpr_count 0
		.amdhsa_exception_fp_ieee_invalid_op 0
		.amdhsa_exception_fp_denorm_src 0
		.amdhsa_exception_fp_ieee_div_zero 0
		.amdhsa_exception_fp_ieee_overflow 0
		.amdhsa_exception_fp_ieee_underflow 0
		.amdhsa_exception_fp_ieee_inexact 0
		.amdhsa_exception_int_div_zero 0
	.end_amdhsa_kernel
	.section	.text._ZN2at6native32elementwise_kernel_manual_unrollILi128ELi4EZNS0_15gpu_kernel_implIZZZNS0_21clamp_max_kernel_cudaERNS_18TensorIteratorBaseERKN3c106ScalarEENKUlvE_clEvENKUlvE4_clEvEUldE_EEvS4_RKT_EUlibE0_EEviT1_,"axG",@progbits,_ZN2at6native32elementwise_kernel_manual_unrollILi128ELi4EZNS0_15gpu_kernel_implIZZZNS0_21clamp_max_kernel_cudaERNS_18TensorIteratorBaseERKN3c106ScalarEENKUlvE_clEvENKUlvE4_clEvEUldE_EEvS4_RKT_EUlibE0_EEviT1_,comdat
.Lfunc_end465:
	.size	_ZN2at6native32elementwise_kernel_manual_unrollILi128ELi4EZNS0_15gpu_kernel_implIZZZNS0_21clamp_max_kernel_cudaERNS_18TensorIteratorBaseERKN3c106ScalarEENKUlvE_clEvENKUlvE4_clEvEUldE_EEvS4_RKT_EUlibE0_EEviT1_, .Lfunc_end465-_ZN2at6native32elementwise_kernel_manual_unrollILi128ELi4EZNS0_15gpu_kernel_implIZZZNS0_21clamp_max_kernel_cudaERNS_18TensorIteratorBaseERKN3c106ScalarEENKUlvE_clEvENKUlvE4_clEvEUldE_EEvS4_RKT_EUlibE0_EEviT1_
                                        ; -- End function
	.section	.AMDGPU.csdata,"",@progbits
; Kernel info:
; codeLenInByte = 42880
; NumSgprs: 70
; NumVgprs: 19
; ScratchSize: 0
; MemoryBound: 1
; FloatMode: 240
; IeeeMode: 1
; LDSByteSize: 0 bytes/workgroup (compile time only)
; SGPRBlocks: 8
; VGPRBlocks: 2
; NumSGPRsForWavesPerEU: 70
; NumVGPRsForWavesPerEU: 19
; Occupancy: 16
; WaveLimiterHint : 1
; COMPUTE_PGM_RSRC2:SCRATCH_EN: 0
; COMPUTE_PGM_RSRC2:USER_SGPR: 15
; COMPUTE_PGM_RSRC2:TRAP_HANDLER: 0
; COMPUTE_PGM_RSRC2:TGID_X_EN: 1
; COMPUTE_PGM_RSRC2:TGID_Y_EN: 0
; COMPUTE_PGM_RSRC2:TGID_Z_EN: 0
; COMPUTE_PGM_RSRC2:TIDIG_COMP_CNT: 0
	.section	.text._ZN2at6native29vectorized_elementwise_kernelILi16EZZZNS0_21clamp_max_kernel_cudaERNS_18TensorIteratorBaseERKN3c106ScalarEENKUlvE_clEvENKUlvE5_clEvEUlfE_St5arrayIPcLm2EEEEviT0_T1_,"axG",@progbits,_ZN2at6native29vectorized_elementwise_kernelILi16EZZZNS0_21clamp_max_kernel_cudaERNS_18TensorIteratorBaseERKN3c106ScalarEENKUlvE_clEvENKUlvE5_clEvEUlfE_St5arrayIPcLm2EEEEviT0_T1_,comdat
	.globl	_ZN2at6native29vectorized_elementwise_kernelILi16EZZZNS0_21clamp_max_kernel_cudaERNS_18TensorIteratorBaseERKN3c106ScalarEENKUlvE_clEvENKUlvE5_clEvEUlfE_St5arrayIPcLm2EEEEviT0_T1_ ; -- Begin function _ZN2at6native29vectorized_elementwise_kernelILi16EZZZNS0_21clamp_max_kernel_cudaERNS_18TensorIteratorBaseERKN3c106ScalarEENKUlvE_clEvENKUlvE5_clEvEUlfE_St5arrayIPcLm2EEEEviT0_T1_
	.p2align	8
	.type	_ZN2at6native29vectorized_elementwise_kernelILi16EZZZNS0_21clamp_max_kernel_cudaERNS_18TensorIteratorBaseERKN3c106ScalarEENKUlvE_clEvENKUlvE5_clEvEUlfE_St5arrayIPcLm2EEEEviT0_T1_,@function
_ZN2at6native29vectorized_elementwise_kernelILi16EZZZNS0_21clamp_max_kernel_cudaERNS_18TensorIteratorBaseERKN3c106ScalarEENKUlvE_clEvENKUlvE5_clEvEUlfE_St5arrayIPcLm2EEEEviT0_T1_: ; @_ZN2at6native29vectorized_elementwise_kernelILi16EZZZNS0_21clamp_max_kernel_cudaERNS_18TensorIteratorBaseERKN3c106ScalarEENKUlvE_clEvENKUlvE5_clEvEUlfE_St5arrayIPcLm2EEEEviT0_T1_
; %bb.0:
	s_clause 0x1
	s_load_b64 s[8:9], s[0:1], 0x0
	s_load_b128 s[4:7], s[0:1], 0x8
	s_lshl_b32 s2, s15, 10
	s_mov_b32 s0, -1
	s_waitcnt lgkmcnt(0)
	v_max_f32_e64 v3, s9, s9
	s_sub_i32 s1, s8, s2
	s_delay_alu instid0(SALU_CYCLE_1)
	s_cmpk_gt_i32 s1, 0x3ff
	s_cbranch_scc0 .LBB466_2
; %bb.1:
	s_ashr_i32 s3, s2, 31
	v_lshlrev_b32_e32 v1, 4, v0
	s_lshl_b64 s[8:9], s[2:3], 2
	s_mov_b32 s0, 0
	s_add_u32 s10, s6, s8
	s_addc_u32 s11, s7, s9
	s_add_u32 s8, s4, s8
	global_load_b128 v[4:7], v1, s[10:11]
	s_addc_u32 s9, s5, s9
	s_waitcnt vmcnt(0)
	v_max_f32_e32 v8, v5, v5
	v_dual_max_f32 v2, v4, v4 :: v_dual_max_f32 v9, v6, v6
	v_cmp_u_f32_e32 vcc_lo, v4, v4
	s_delay_alu instid0(VALU_DEP_3) | instskip(NEXT) | instid1(VALU_DEP_3)
	v_min_f32_e32 v8, v8, v3
	v_min_f32_e32 v2, v2, v3
	s_delay_alu instid0(VALU_DEP_1) | instskip(SKIP_1) | instid1(VALU_DEP_4)
	v_dual_min_f32 v9, v9, v3 :: v_dual_cndmask_b32 v4, v2, v4
	v_cmp_u_f32_e32 vcc_lo, v5, v5
	v_dual_max_f32 v10, v7, v7 :: v_dual_cndmask_b32 v5, v8, v5
	v_cmp_u_f32_e32 vcc_lo, v6, v6
	s_delay_alu instid0(VALU_DEP_2) | instskip(SKIP_2) | instid1(VALU_DEP_3)
	v_min_f32_e32 v10, v10, v3
	v_cndmask_b32_e32 v6, v9, v6, vcc_lo
	v_cmp_u_f32_e32 vcc_lo, v7, v7
	v_cndmask_b32_e32 v7, v10, v7, vcc_lo
	global_store_b128 v1, v[4:7], s[8:9]
.LBB466_2:
	s_and_not1_b32 vcc_lo, exec_lo, s0
	s_cbranch_vccnz .LBB466_16
; %bb.3:
	v_cmp_gt_i32_e32 vcc_lo, s1, v0
	v_dual_mov_b32 v5, 0 :: v_dual_mov_b32 v2, 0
	v_or_b32_e32 v1, s2, v0
	v_or_b32_e32 v4, 0x100, v0
	v_mov_b32_e32 v6, v0
	s_and_saveexec_b32 s3, vcc_lo
	s_cbranch_execz .LBB466_5
; %bb.4:
	v_mov_b32_e32 v2, 0
	s_delay_alu instid0(VALU_DEP_1) | instskip(NEXT) | instid1(VALU_DEP_1)
	v_lshlrev_b64 v[6:7], 2, v[1:2]
	v_add_co_u32 v6, s0, s6, v6
	s_delay_alu instid0(VALU_DEP_1)
	v_add_co_ci_u32_e64 v7, s0, s7, v7, s0
	global_load_b32 v2, v[6:7], off
	v_or_b32_e32 v6, 0x100, v0
.LBB466_5:
	s_or_b32 exec_lo, exec_lo, s3
	s_delay_alu instid0(SALU_CYCLE_1) | instskip(NEXT) | instid1(VALU_DEP_1)
	s_mov_b32 s3, exec_lo
	v_cmpx_gt_i32_e64 s1, v6
	s_cbranch_execz .LBB466_7
; %bb.6:
	v_dual_mov_b32 v8, 0 :: v_dual_add_nc_u32 v7, s2, v6
	v_add_nc_u32_e32 v6, 0x100, v6
	s_delay_alu instid0(VALU_DEP_2) | instskip(NEXT) | instid1(VALU_DEP_1)
	v_lshlrev_b64 v[7:8], 2, v[7:8]
	v_add_co_u32 v7, s0, s6, v7
	s_delay_alu instid0(VALU_DEP_1)
	v_add_co_ci_u32_e64 v8, s0, s7, v8, s0
	global_load_b32 v5, v[7:8], off
.LBB466_7:
	s_or_b32 exec_lo, exec_lo, s3
	v_dual_mov_b32 v7, 0 :: v_dual_mov_b32 v8, 0
	s_mov_b32 s3, exec_lo
	v_cmpx_gt_i32_e64 s1, v6
	s_cbranch_execz .LBB466_9
; %bb.8:
	v_dual_mov_b32 v9, 0 :: v_dual_add_nc_u32 v8, s2, v6
	v_add_nc_u32_e32 v6, 0x100, v6
	s_delay_alu instid0(VALU_DEP_2) | instskip(NEXT) | instid1(VALU_DEP_1)
	v_lshlrev_b64 v[8:9], 2, v[8:9]
	v_add_co_u32 v8, s0, s6, v8
	s_delay_alu instid0(VALU_DEP_1)
	v_add_co_ci_u32_e64 v9, s0, s7, v9, s0
	global_load_b32 v8, v[8:9], off
.LBB466_9:
	s_or_b32 exec_lo, exec_lo, s3
	s_delay_alu instid0(SALU_CYCLE_1)
	s_mov_b32 s3, exec_lo
	v_cmpx_gt_i32_e64 s1, v6
	s_cbranch_execz .LBB466_11
; %bb.10:
	v_dual_mov_b32 v7, 0 :: v_dual_add_nc_u32 v6, s2, v6
	s_delay_alu instid0(VALU_DEP_1) | instskip(NEXT) | instid1(VALU_DEP_1)
	v_lshlrev_b64 v[6:7], 2, v[6:7]
	v_add_co_u32 v6, s0, s6, v6
	s_delay_alu instid0(VALU_DEP_1)
	v_add_co_ci_u32_e64 v7, s0, s7, v7, s0
	global_load_b32 v7, v[6:7], off
.LBB466_11:
	s_or_b32 exec_lo, exec_lo, s3
	s_waitcnt vmcnt(0)
	v_dual_max_f32 v6, v2, v2 :: v_dual_max_f32 v9, v5, v5
	v_cmp_u_f32_e64 s0, v2, v2
	v_dual_max_f32 v10, v8, v8 :: v_dual_max_f32 v11, v7, v7
	s_delay_alu instid0(VALU_DEP_3) | instskip(NEXT) | instid1(VALU_DEP_4)
	v_min_f32_e32 v6, v6, v3
	v_min_f32_e32 v12, v9, v3
	s_delay_alu instid0(VALU_DEP_3) | instskip(NEXT) | instid1(VALU_DEP_4)
	v_min_f32_e32 v10, v10, v3
	v_min_f32_e32 v3, v11, v3
	s_delay_alu instid0(VALU_DEP_4) | instskip(SKIP_1) | instid1(VALU_DEP_1)
	v_cndmask_b32_e64 v9, v6, v2, s0
	v_cmp_u_f32_e64 s0, v5, v5
	v_cndmask_b32_e64 v6, v12, v5, s0
	v_cmp_u_f32_e64 s0, v8, v8
	s_delay_alu instid0(VALU_DEP_1) | instskip(SKIP_1) | instid1(VALU_DEP_1)
	v_cndmask_b32_e64 v5, v10, v8, s0
	v_cmp_u_f32_e64 s0, v7, v7
	v_cndmask_b32_e64 v3, v3, v7, s0
	s_and_saveexec_b32 s0, vcc_lo
	s_cbranch_execnz .LBB466_17
; %bb.12:
	s_or_b32 exec_lo, exec_lo, s0
	s_delay_alu instid0(SALU_CYCLE_1)
	s_mov_b32 s0, exec_lo
	v_cmpx_gt_i32_e64 s1, v0
	s_cbranch_execnz .LBB466_18
.LBB466_13:
	s_or_b32 exec_lo, exec_lo, s0
	s_delay_alu instid0(SALU_CYCLE_1)
	s_mov_b32 s0, exec_lo
	v_cmpx_gt_i32_e64 s1, v0
	s_cbranch_execnz .LBB466_19
.LBB466_14:
	s_or_b32 exec_lo, exec_lo, s0
	s_delay_alu instid0(SALU_CYCLE_1)
	s_mov_b32 s0, exec_lo
	v_cmpx_gt_i32_e64 s1, v0
	s_cbranch_execz .LBB466_16
.LBB466_15:
	v_dual_mov_b32 v1, 0 :: v_dual_add_nc_u32 v0, s2, v0
	s_delay_alu instid0(VALU_DEP_1) | instskip(NEXT) | instid1(VALU_DEP_1)
	v_lshlrev_b64 v[0:1], 2, v[0:1]
	v_add_co_u32 v0, vcc_lo, s4, v0
	s_delay_alu instid0(VALU_DEP_2)
	v_add_co_ci_u32_e32 v1, vcc_lo, s5, v1, vcc_lo
	global_store_b32 v[0:1], v3, off
.LBB466_16:
	s_nop 0
	s_sendmsg sendmsg(MSG_DEALLOC_VGPRS)
	s_endpgm
.LBB466_17:
	v_mov_b32_e32 v2, 0
	s_delay_alu instid0(VALU_DEP_1) | instskip(NEXT) | instid1(VALU_DEP_1)
	v_lshlrev_b64 v[0:1], 2, v[1:2]
	v_add_co_u32 v7, vcc_lo, s4, v0
	s_delay_alu instid0(VALU_DEP_2) | instskip(SKIP_3) | instid1(SALU_CYCLE_1)
	v_add_co_ci_u32_e32 v8, vcc_lo, s5, v1, vcc_lo
	v_mov_b32_e32 v0, v4
	global_store_b32 v[7:8], v9, off
	s_or_b32 exec_lo, exec_lo, s0
	s_mov_b32 s0, exec_lo
	v_cmpx_gt_i32_e64 s1, v0
	s_cbranch_execz .LBB466_13
.LBB466_18:
	v_dual_mov_b32 v2, 0 :: v_dual_add_nc_u32 v1, s2, v0
	v_add_nc_u32_e32 v0, 0x100, v0
	s_delay_alu instid0(VALU_DEP_2) | instskip(NEXT) | instid1(VALU_DEP_1)
	v_lshlrev_b64 v[1:2], 2, v[1:2]
	v_add_co_u32 v1, vcc_lo, s4, v1
	s_delay_alu instid0(VALU_DEP_2) | instskip(SKIP_2) | instid1(SALU_CYCLE_1)
	v_add_co_ci_u32_e32 v2, vcc_lo, s5, v2, vcc_lo
	global_store_b32 v[1:2], v6, off
	s_or_b32 exec_lo, exec_lo, s0
	s_mov_b32 s0, exec_lo
	v_cmpx_gt_i32_e64 s1, v0
	s_cbranch_execz .LBB466_14
.LBB466_19:
	v_dual_mov_b32 v2, 0 :: v_dual_add_nc_u32 v1, s2, v0
	v_add_nc_u32_e32 v0, 0x100, v0
	s_delay_alu instid0(VALU_DEP_2) | instskip(NEXT) | instid1(VALU_DEP_1)
	v_lshlrev_b64 v[1:2], 2, v[1:2]
	v_add_co_u32 v1, vcc_lo, s4, v1
	s_delay_alu instid0(VALU_DEP_2) | instskip(SKIP_2) | instid1(SALU_CYCLE_1)
	v_add_co_ci_u32_e32 v2, vcc_lo, s5, v2, vcc_lo
	global_store_b32 v[1:2], v5, off
	s_or_b32 exec_lo, exec_lo, s0
	s_mov_b32 s0, exec_lo
	v_cmpx_gt_i32_e64 s1, v0
	s_cbranch_execnz .LBB466_15
	s_branch .LBB466_16
	.section	.rodata,"a",@progbits
	.p2align	6, 0x0
	.amdhsa_kernel _ZN2at6native29vectorized_elementwise_kernelILi16EZZZNS0_21clamp_max_kernel_cudaERNS_18TensorIteratorBaseERKN3c106ScalarEENKUlvE_clEvENKUlvE5_clEvEUlfE_St5arrayIPcLm2EEEEviT0_T1_
		.amdhsa_group_segment_fixed_size 0
		.amdhsa_private_segment_fixed_size 0
		.amdhsa_kernarg_size 24
		.amdhsa_user_sgpr_count 15
		.amdhsa_user_sgpr_dispatch_ptr 0
		.amdhsa_user_sgpr_queue_ptr 0
		.amdhsa_user_sgpr_kernarg_segment_ptr 1
		.amdhsa_user_sgpr_dispatch_id 0
		.amdhsa_user_sgpr_private_segment_size 0
		.amdhsa_wavefront_size32 1
		.amdhsa_uses_dynamic_stack 0
		.amdhsa_enable_private_segment 0
		.amdhsa_system_sgpr_workgroup_id_x 1
		.amdhsa_system_sgpr_workgroup_id_y 0
		.amdhsa_system_sgpr_workgroup_id_z 0
		.amdhsa_system_sgpr_workgroup_info 0
		.amdhsa_system_vgpr_workitem_id 0
		.amdhsa_next_free_vgpr 13
		.amdhsa_next_free_sgpr 16
		.amdhsa_reserve_vcc 1
		.amdhsa_float_round_mode_32 0
		.amdhsa_float_round_mode_16_64 0
		.amdhsa_float_denorm_mode_32 3
		.amdhsa_float_denorm_mode_16_64 3
		.amdhsa_dx10_clamp 1
		.amdhsa_ieee_mode 1
		.amdhsa_fp16_overflow 0
		.amdhsa_workgroup_processor_mode 1
		.amdhsa_memory_ordered 1
		.amdhsa_forward_progress 0
		.amdhsa_shared_vgpr_count 0
		.amdhsa_exception_fp_ieee_invalid_op 0
		.amdhsa_exception_fp_denorm_src 0
		.amdhsa_exception_fp_ieee_div_zero 0
		.amdhsa_exception_fp_ieee_overflow 0
		.amdhsa_exception_fp_ieee_underflow 0
		.amdhsa_exception_fp_ieee_inexact 0
		.amdhsa_exception_int_div_zero 0
	.end_amdhsa_kernel
	.section	.text._ZN2at6native29vectorized_elementwise_kernelILi16EZZZNS0_21clamp_max_kernel_cudaERNS_18TensorIteratorBaseERKN3c106ScalarEENKUlvE_clEvENKUlvE5_clEvEUlfE_St5arrayIPcLm2EEEEviT0_T1_,"axG",@progbits,_ZN2at6native29vectorized_elementwise_kernelILi16EZZZNS0_21clamp_max_kernel_cudaERNS_18TensorIteratorBaseERKN3c106ScalarEENKUlvE_clEvENKUlvE5_clEvEUlfE_St5arrayIPcLm2EEEEviT0_T1_,comdat
.Lfunc_end466:
	.size	_ZN2at6native29vectorized_elementwise_kernelILi16EZZZNS0_21clamp_max_kernel_cudaERNS_18TensorIteratorBaseERKN3c106ScalarEENKUlvE_clEvENKUlvE5_clEvEUlfE_St5arrayIPcLm2EEEEviT0_T1_, .Lfunc_end466-_ZN2at6native29vectorized_elementwise_kernelILi16EZZZNS0_21clamp_max_kernel_cudaERNS_18TensorIteratorBaseERKN3c106ScalarEENKUlvE_clEvENKUlvE5_clEvEUlfE_St5arrayIPcLm2EEEEviT0_T1_
                                        ; -- End function
	.section	.AMDGPU.csdata,"",@progbits
; Kernel info:
; codeLenInByte = 984
; NumSgprs: 18
; NumVgprs: 13
; ScratchSize: 0
; MemoryBound: 0
; FloatMode: 240
; IeeeMode: 1
; LDSByteSize: 0 bytes/workgroup (compile time only)
; SGPRBlocks: 2
; VGPRBlocks: 1
; NumSGPRsForWavesPerEU: 18
; NumVGPRsForWavesPerEU: 13
; Occupancy: 16
; WaveLimiterHint : 0
; COMPUTE_PGM_RSRC2:SCRATCH_EN: 0
; COMPUTE_PGM_RSRC2:USER_SGPR: 15
; COMPUTE_PGM_RSRC2:TRAP_HANDLER: 0
; COMPUTE_PGM_RSRC2:TGID_X_EN: 1
; COMPUTE_PGM_RSRC2:TGID_Y_EN: 0
; COMPUTE_PGM_RSRC2:TGID_Z_EN: 0
; COMPUTE_PGM_RSRC2:TIDIG_COMP_CNT: 0
	.section	.text._ZN2at6native29vectorized_elementwise_kernelILi8EZZZNS0_21clamp_max_kernel_cudaERNS_18TensorIteratorBaseERKN3c106ScalarEENKUlvE_clEvENKUlvE5_clEvEUlfE_St5arrayIPcLm2EEEEviT0_T1_,"axG",@progbits,_ZN2at6native29vectorized_elementwise_kernelILi8EZZZNS0_21clamp_max_kernel_cudaERNS_18TensorIteratorBaseERKN3c106ScalarEENKUlvE_clEvENKUlvE5_clEvEUlfE_St5arrayIPcLm2EEEEviT0_T1_,comdat
	.globl	_ZN2at6native29vectorized_elementwise_kernelILi8EZZZNS0_21clamp_max_kernel_cudaERNS_18TensorIteratorBaseERKN3c106ScalarEENKUlvE_clEvENKUlvE5_clEvEUlfE_St5arrayIPcLm2EEEEviT0_T1_ ; -- Begin function _ZN2at6native29vectorized_elementwise_kernelILi8EZZZNS0_21clamp_max_kernel_cudaERNS_18TensorIteratorBaseERKN3c106ScalarEENKUlvE_clEvENKUlvE5_clEvEUlfE_St5arrayIPcLm2EEEEviT0_T1_
	.p2align	8
	.type	_ZN2at6native29vectorized_elementwise_kernelILi8EZZZNS0_21clamp_max_kernel_cudaERNS_18TensorIteratorBaseERKN3c106ScalarEENKUlvE_clEvENKUlvE5_clEvEUlfE_St5arrayIPcLm2EEEEviT0_T1_,@function
_ZN2at6native29vectorized_elementwise_kernelILi8EZZZNS0_21clamp_max_kernel_cudaERNS_18TensorIteratorBaseERKN3c106ScalarEENKUlvE_clEvENKUlvE5_clEvEUlfE_St5arrayIPcLm2EEEEviT0_T1_: ; @_ZN2at6native29vectorized_elementwise_kernelILi8EZZZNS0_21clamp_max_kernel_cudaERNS_18TensorIteratorBaseERKN3c106ScalarEENKUlvE_clEvENKUlvE5_clEvEUlfE_St5arrayIPcLm2EEEEviT0_T1_
; %bb.0:
	s_clause 0x1
	s_load_b64 s[8:9], s[0:1], 0x0
	s_load_b128 s[4:7], s[0:1], 0x8
	s_lshl_b32 s2, s15, 10
	s_mov_b32 s0, -1
	s_waitcnt lgkmcnt(0)
	v_max_f32_e64 v3, s9, s9
	s_sub_i32 s1, s8, s2
	s_delay_alu instid0(SALU_CYCLE_1)
	s_cmpk_gt_i32 s1, 0x3ff
	s_cbranch_scc0 .LBB467_2
; %bb.1:
	s_ashr_i32 s3, s2, 31
	v_lshlrev_b32_e32 v1, 4, v0
	s_lshl_b64 s[8:9], s[2:3], 2
	s_mov_b32 s0, 0
	s_add_u32 s10, s6, s8
	s_addc_u32 s11, s7, s9
	s_add_u32 s8, s4, s8
	global_load_b128 v[4:7], v1, s[10:11]
	s_addc_u32 s9, s5, s9
	s_waitcnt vmcnt(0)
	v_max_f32_e32 v8, v5, v5
	v_dual_max_f32 v2, v4, v4 :: v_dual_max_f32 v9, v6, v6
	v_cmp_u_f32_e32 vcc_lo, v4, v4
	s_delay_alu instid0(VALU_DEP_3) | instskip(NEXT) | instid1(VALU_DEP_3)
	v_min_f32_e32 v8, v8, v3
	v_min_f32_e32 v2, v2, v3
	s_delay_alu instid0(VALU_DEP_1) | instskip(SKIP_1) | instid1(VALU_DEP_4)
	v_dual_min_f32 v9, v9, v3 :: v_dual_cndmask_b32 v4, v2, v4
	v_cmp_u_f32_e32 vcc_lo, v5, v5
	v_dual_max_f32 v10, v7, v7 :: v_dual_cndmask_b32 v5, v8, v5
	v_cmp_u_f32_e32 vcc_lo, v6, v6
	s_delay_alu instid0(VALU_DEP_2) | instskip(SKIP_2) | instid1(VALU_DEP_3)
	v_min_f32_e32 v10, v10, v3
	v_cndmask_b32_e32 v6, v9, v6, vcc_lo
	v_cmp_u_f32_e32 vcc_lo, v7, v7
	v_cndmask_b32_e32 v7, v10, v7, vcc_lo
	global_store_b128 v1, v[4:7], s[8:9]
.LBB467_2:
	s_and_not1_b32 vcc_lo, exec_lo, s0
	s_cbranch_vccnz .LBB467_16
; %bb.3:
	v_cmp_gt_i32_e32 vcc_lo, s1, v0
	v_dual_mov_b32 v5, 0 :: v_dual_mov_b32 v2, 0
	v_or_b32_e32 v1, s2, v0
	v_or_b32_e32 v4, 0x100, v0
	v_mov_b32_e32 v6, v0
	s_and_saveexec_b32 s3, vcc_lo
	s_cbranch_execz .LBB467_5
; %bb.4:
	v_mov_b32_e32 v2, 0
	s_delay_alu instid0(VALU_DEP_1) | instskip(NEXT) | instid1(VALU_DEP_1)
	v_lshlrev_b64 v[6:7], 2, v[1:2]
	v_add_co_u32 v6, s0, s6, v6
	s_delay_alu instid0(VALU_DEP_1)
	v_add_co_ci_u32_e64 v7, s0, s7, v7, s0
	global_load_b32 v2, v[6:7], off
	v_or_b32_e32 v6, 0x100, v0
.LBB467_5:
	s_or_b32 exec_lo, exec_lo, s3
	s_delay_alu instid0(SALU_CYCLE_1) | instskip(NEXT) | instid1(VALU_DEP_1)
	s_mov_b32 s3, exec_lo
	v_cmpx_gt_i32_e64 s1, v6
	s_cbranch_execz .LBB467_7
; %bb.6:
	v_dual_mov_b32 v8, 0 :: v_dual_add_nc_u32 v7, s2, v6
	v_add_nc_u32_e32 v6, 0x100, v6
	s_delay_alu instid0(VALU_DEP_2) | instskip(NEXT) | instid1(VALU_DEP_1)
	v_lshlrev_b64 v[7:8], 2, v[7:8]
	v_add_co_u32 v7, s0, s6, v7
	s_delay_alu instid0(VALU_DEP_1)
	v_add_co_ci_u32_e64 v8, s0, s7, v8, s0
	global_load_b32 v5, v[7:8], off
.LBB467_7:
	s_or_b32 exec_lo, exec_lo, s3
	v_dual_mov_b32 v7, 0 :: v_dual_mov_b32 v8, 0
	s_mov_b32 s3, exec_lo
	v_cmpx_gt_i32_e64 s1, v6
	s_cbranch_execz .LBB467_9
; %bb.8:
	v_dual_mov_b32 v9, 0 :: v_dual_add_nc_u32 v8, s2, v6
	v_add_nc_u32_e32 v6, 0x100, v6
	s_delay_alu instid0(VALU_DEP_2) | instskip(NEXT) | instid1(VALU_DEP_1)
	v_lshlrev_b64 v[8:9], 2, v[8:9]
	v_add_co_u32 v8, s0, s6, v8
	s_delay_alu instid0(VALU_DEP_1)
	v_add_co_ci_u32_e64 v9, s0, s7, v9, s0
	global_load_b32 v8, v[8:9], off
.LBB467_9:
	s_or_b32 exec_lo, exec_lo, s3
	s_delay_alu instid0(SALU_CYCLE_1)
	s_mov_b32 s3, exec_lo
	v_cmpx_gt_i32_e64 s1, v6
	s_cbranch_execz .LBB467_11
; %bb.10:
	v_dual_mov_b32 v7, 0 :: v_dual_add_nc_u32 v6, s2, v6
	s_delay_alu instid0(VALU_DEP_1) | instskip(NEXT) | instid1(VALU_DEP_1)
	v_lshlrev_b64 v[6:7], 2, v[6:7]
	v_add_co_u32 v6, s0, s6, v6
	s_delay_alu instid0(VALU_DEP_1)
	v_add_co_ci_u32_e64 v7, s0, s7, v7, s0
	global_load_b32 v7, v[6:7], off
.LBB467_11:
	s_or_b32 exec_lo, exec_lo, s3
	s_waitcnt vmcnt(0)
	v_dual_max_f32 v6, v2, v2 :: v_dual_max_f32 v9, v5, v5
	v_cmp_u_f32_e64 s0, v2, v2
	v_dual_max_f32 v10, v8, v8 :: v_dual_max_f32 v11, v7, v7
	s_delay_alu instid0(VALU_DEP_3) | instskip(NEXT) | instid1(VALU_DEP_4)
	v_min_f32_e32 v6, v6, v3
	v_min_f32_e32 v12, v9, v3
	s_delay_alu instid0(VALU_DEP_3) | instskip(NEXT) | instid1(VALU_DEP_4)
	v_min_f32_e32 v10, v10, v3
	v_min_f32_e32 v3, v11, v3
	s_delay_alu instid0(VALU_DEP_4) | instskip(SKIP_1) | instid1(VALU_DEP_1)
	v_cndmask_b32_e64 v9, v6, v2, s0
	v_cmp_u_f32_e64 s0, v5, v5
	v_cndmask_b32_e64 v6, v12, v5, s0
	v_cmp_u_f32_e64 s0, v8, v8
	s_delay_alu instid0(VALU_DEP_1) | instskip(SKIP_1) | instid1(VALU_DEP_1)
	v_cndmask_b32_e64 v5, v10, v8, s0
	v_cmp_u_f32_e64 s0, v7, v7
	v_cndmask_b32_e64 v3, v3, v7, s0
	s_and_saveexec_b32 s0, vcc_lo
	s_cbranch_execnz .LBB467_17
; %bb.12:
	s_or_b32 exec_lo, exec_lo, s0
	s_delay_alu instid0(SALU_CYCLE_1)
	s_mov_b32 s0, exec_lo
	v_cmpx_gt_i32_e64 s1, v0
	s_cbranch_execnz .LBB467_18
.LBB467_13:
	s_or_b32 exec_lo, exec_lo, s0
	s_delay_alu instid0(SALU_CYCLE_1)
	s_mov_b32 s0, exec_lo
	v_cmpx_gt_i32_e64 s1, v0
	s_cbranch_execnz .LBB467_19
.LBB467_14:
	s_or_b32 exec_lo, exec_lo, s0
	s_delay_alu instid0(SALU_CYCLE_1)
	s_mov_b32 s0, exec_lo
	v_cmpx_gt_i32_e64 s1, v0
	s_cbranch_execz .LBB467_16
.LBB467_15:
	v_dual_mov_b32 v1, 0 :: v_dual_add_nc_u32 v0, s2, v0
	s_delay_alu instid0(VALU_DEP_1) | instskip(NEXT) | instid1(VALU_DEP_1)
	v_lshlrev_b64 v[0:1], 2, v[0:1]
	v_add_co_u32 v0, vcc_lo, s4, v0
	s_delay_alu instid0(VALU_DEP_2)
	v_add_co_ci_u32_e32 v1, vcc_lo, s5, v1, vcc_lo
	global_store_b32 v[0:1], v3, off
.LBB467_16:
	s_nop 0
	s_sendmsg sendmsg(MSG_DEALLOC_VGPRS)
	s_endpgm
.LBB467_17:
	v_mov_b32_e32 v2, 0
	s_delay_alu instid0(VALU_DEP_1) | instskip(NEXT) | instid1(VALU_DEP_1)
	v_lshlrev_b64 v[0:1], 2, v[1:2]
	v_add_co_u32 v7, vcc_lo, s4, v0
	s_delay_alu instid0(VALU_DEP_2) | instskip(SKIP_3) | instid1(SALU_CYCLE_1)
	v_add_co_ci_u32_e32 v8, vcc_lo, s5, v1, vcc_lo
	v_mov_b32_e32 v0, v4
	global_store_b32 v[7:8], v9, off
	s_or_b32 exec_lo, exec_lo, s0
	s_mov_b32 s0, exec_lo
	v_cmpx_gt_i32_e64 s1, v0
	s_cbranch_execz .LBB467_13
.LBB467_18:
	v_dual_mov_b32 v2, 0 :: v_dual_add_nc_u32 v1, s2, v0
	v_add_nc_u32_e32 v0, 0x100, v0
	s_delay_alu instid0(VALU_DEP_2) | instskip(NEXT) | instid1(VALU_DEP_1)
	v_lshlrev_b64 v[1:2], 2, v[1:2]
	v_add_co_u32 v1, vcc_lo, s4, v1
	s_delay_alu instid0(VALU_DEP_2) | instskip(SKIP_2) | instid1(SALU_CYCLE_1)
	v_add_co_ci_u32_e32 v2, vcc_lo, s5, v2, vcc_lo
	global_store_b32 v[1:2], v6, off
	s_or_b32 exec_lo, exec_lo, s0
	s_mov_b32 s0, exec_lo
	v_cmpx_gt_i32_e64 s1, v0
	s_cbranch_execz .LBB467_14
.LBB467_19:
	v_dual_mov_b32 v2, 0 :: v_dual_add_nc_u32 v1, s2, v0
	v_add_nc_u32_e32 v0, 0x100, v0
	s_delay_alu instid0(VALU_DEP_2) | instskip(NEXT) | instid1(VALU_DEP_1)
	v_lshlrev_b64 v[1:2], 2, v[1:2]
	v_add_co_u32 v1, vcc_lo, s4, v1
	s_delay_alu instid0(VALU_DEP_2) | instskip(SKIP_2) | instid1(SALU_CYCLE_1)
	v_add_co_ci_u32_e32 v2, vcc_lo, s5, v2, vcc_lo
	global_store_b32 v[1:2], v5, off
	s_or_b32 exec_lo, exec_lo, s0
	s_mov_b32 s0, exec_lo
	v_cmpx_gt_i32_e64 s1, v0
	s_cbranch_execnz .LBB467_15
	s_branch .LBB467_16
	.section	.rodata,"a",@progbits
	.p2align	6, 0x0
	.amdhsa_kernel _ZN2at6native29vectorized_elementwise_kernelILi8EZZZNS0_21clamp_max_kernel_cudaERNS_18TensorIteratorBaseERKN3c106ScalarEENKUlvE_clEvENKUlvE5_clEvEUlfE_St5arrayIPcLm2EEEEviT0_T1_
		.amdhsa_group_segment_fixed_size 0
		.amdhsa_private_segment_fixed_size 0
		.amdhsa_kernarg_size 24
		.amdhsa_user_sgpr_count 15
		.amdhsa_user_sgpr_dispatch_ptr 0
		.amdhsa_user_sgpr_queue_ptr 0
		.amdhsa_user_sgpr_kernarg_segment_ptr 1
		.amdhsa_user_sgpr_dispatch_id 0
		.amdhsa_user_sgpr_private_segment_size 0
		.amdhsa_wavefront_size32 1
		.amdhsa_uses_dynamic_stack 0
		.amdhsa_enable_private_segment 0
		.amdhsa_system_sgpr_workgroup_id_x 1
		.amdhsa_system_sgpr_workgroup_id_y 0
		.amdhsa_system_sgpr_workgroup_id_z 0
		.amdhsa_system_sgpr_workgroup_info 0
		.amdhsa_system_vgpr_workitem_id 0
		.amdhsa_next_free_vgpr 13
		.amdhsa_next_free_sgpr 16
		.amdhsa_reserve_vcc 1
		.amdhsa_float_round_mode_32 0
		.amdhsa_float_round_mode_16_64 0
		.amdhsa_float_denorm_mode_32 3
		.amdhsa_float_denorm_mode_16_64 3
		.amdhsa_dx10_clamp 1
		.amdhsa_ieee_mode 1
		.amdhsa_fp16_overflow 0
		.amdhsa_workgroup_processor_mode 1
		.amdhsa_memory_ordered 1
		.amdhsa_forward_progress 0
		.amdhsa_shared_vgpr_count 0
		.amdhsa_exception_fp_ieee_invalid_op 0
		.amdhsa_exception_fp_denorm_src 0
		.amdhsa_exception_fp_ieee_div_zero 0
		.amdhsa_exception_fp_ieee_overflow 0
		.amdhsa_exception_fp_ieee_underflow 0
		.amdhsa_exception_fp_ieee_inexact 0
		.amdhsa_exception_int_div_zero 0
	.end_amdhsa_kernel
	.section	.text._ZN2at6native29vectorized_elementwise_kernelILi8EZZZNS0_21clamp_max_kernel_cudaERNS_18TensorIteratorBaseERKN3c106ScalarEENKUlvE_clEvENKUlvE5_clEvEUlfE_St5arrayIPcLm2EEEEviT0_T1_,"axG",@progbits,_ZN2at6native29vectorized_elementwise_kernelILi8EZZZNS0_21clamp_max_kernel_cudaERNS_18TensorIteratorBaseERKN3c106ScalarEENKUlvE_clEvENKUlvE5_clEvEUlfE_St5arrayIPcLm2EEEEviT0_T1_,comdat
.Lfunc_end467:
	.size	_ZN2at6native29vectorized_elementwise_kernelILi8EZZZNS0_21clamp_max_kernel_cudaERNS_18TensorIteratorBaseERKN3c106ScalarEENKUlvE_clEvENKUlvE5_clEvEUlfE_St5arrayIPcLm2EEEEviT0_T1_, .Lfunc_end467-_ZN2at6native29vectorized_elementwise_kernelILi8EZZZNS0_21clamp_max_kernel_cudaERNS_18TensorIteratorBaseERKN3c106ScalarEENKUlvE_clEvENKUlvE5_clEvEUlfE_St5arrayIPcLm2EEEEviT0_T1_
                                        ; -- End function
	.section	.AMDGPU.csdata,"",@progbits
; Kernel info:
; codeLenInByte = 984
; NumSgprs: 18
; NumVgprs: 13
; ScratchSize: 0
; MemoryBound: 0
; FloatMode: 240
; IeeeMode: 1
; LDSByteSize: 0 bytes/workgroup (compile time only)
; SGPRBlocks: 2
; VGPRBlocks: 1
; NumSGPRsForWavesPerEU: 18
; NumVGPRsForWavesPerEU: 13
; Occupancy: 16
; WaveLimiterHint : 0
; COMPUTE_PGM_RSRC2:SCRATCH_EN: 0
; COMPUTE_PGM_RSRC2:USER_SGPR: 15
; COMPUTE_PGM_RSRC2:TRAP_HANDLER: 0
; COMPUTE_PGM_RSRC2:TGID_X_EN: 1
; COMPUTE_PGM_RSRC2:TGID_Y_EN: 0
; COMPUTE_PGM_RSRC2:TGID_Z_EN: 0
; COMPUTE_PGM_RSRC2:TIDIG_COMP_CNT: 0
	.section	.text._ZN2at6native29vectorized_elementwise_kernelILi4EZZZNS0_21clamp_max_kernel_cudaERNS_18TensorIteratorBaseERKN3c106ScalarEENKUlvE_clEvENKUlvE5_clEvEUlfE_St5arrayIPcLm2EEEEviT0_T1_,"axG",@progbits,_ZN2at6native29vectorized_elementwise_kernelILi4EZZZNS0_21clamp_max_kernel_cudaERNS_18TensorIteratorBaseERKN3c106ScalarEENKUlvE_clEvENKUlvE5_clEvEUlfE_St5arrayIPcLm2EEEEviT0_T1_,comdat
	.globl	_ZN2at6native29vectorized_elementwise_kernelILi4EZZZNS0_21clamp_max_kernel_cudaERNS_18TensorIteratorBaseERKN3c106ScalarEENKUlvE_clEvENKUlvE5_clEvEUlfE_St5arrayIPcLm2EEEEviT0_T1_ ; -- Begin function _ZN2at6native29vectorized_elementwise_kernelILi4EZZZNS0_21clamp_max_kernel_cudaERNS_18TensorIteratorBaseERKN3c106ScalarEENKUlvE_clEvENKUlvE5_clEvEUlfE_St5arrayIPcLm2EEEEviT0_T1_
	.p2align	8
	.type	_ZN2at6native29vectorized_elementwise_kernelILi4EZZZNS0_21clamp_max_kernel_cudaERNS_18TensorIteratorBaseERKN3c106ScalarEENKUlvE_clEvENKUlvE5_clEvEUlfE_St5arrayIPcLm2EEEEviT0_T1_,@function
_ZN2at6native29vectorized_elementwise_kernelILi4EZZZNS0_21clamp_max_kernel_cudaERNS_18TensorIteratorBaseERKN3c106ScalarEENKUlvE_clEvENKUlvE5_clEvEUlfE_St5arrayIPcLm2EEEEviT0_T1_: ; @_ZN2at6native29vectorized_elementwise_kernelILi4EZZZNS0_21clamp_max_kernel_cudaERNS_18TensorIteratorBaseERKN3c106ScalarEENKUlvE_clEvENKUlvE5_clEvEUlfE_St5arrayIPcLm2EEEEviT0_T1_
; %bb.0:
	s_clause 0x1
	s_load_b64 s[8:9], s[0:1], 0x0
	s_load_b128 s[4:7], s[0:1], 0x8
	s_lshl_b32 s2, s15, 10
	s_mov_b32 s0, -1
	s_waitcnt lgkmcnt(0)
	v_max_f32_e64 v3, s9, s9
	s_sub_i32 s1, s8, s2
	s_delay_alu instid0(SALU_CYCLE_1)
	s_cmpk_gt_i32 s1, 0x3ff
	s_cbranch_scc0 .LBB468_2
; %bb.1:
	s_ashr_i32 s3, s2, 31
	v_lshlrev_b32_e32 v1, 4, v0
	s_lshl_b64 s[8:9], s[2:3], 2
	s_mov_b32 s0, 0
	s_add_u32 s10, s6, s8
	s_addc_u32 s11, s7, s9
	s_add_u32 s8, s4, s8
	global_load_b128 v[4:7], v1, s[10:11]
	s_addc_u32 s9, s5, s9
	s_waitcnt vmcnt(0)
	v_max_f32_e32 v8, v5, v5
	v_dual_max_f32 v2, v4, v4 :: v_dual_max_f32 v9, v6, v6
	v_cmp_u_f32_e32 vcc_lo, v4, v4
	s_delay_alu instid0(VALU_DEP_3) | instskip(NEXT) | instid1(VALU_DEP_3)
	v_min_f32_e32 v8, v8, v3
	v_min_f32_e32 v2, v2, v3
	s_delay_alu instid0(VALU_DEP_1) | instskip(SKIP_1) | instid1(VALU_DEP_4)
	v_dual_min_f32 v9, v9, v3 :: v_dual_cndmask_b32 v4, v2, v4
	v_cmp_u_f32_e32 vcc_lo, v5, v5
	v_dual_max_f32 v10, v7, v7 :: v_dual_cndmask_b32 v5, v8, v5
	v_cmp_u_f32_e32 vcc_lo, v6, v6
	s_delay_alu instid0(VALU_DEP_2) | instskip(SKIP_2) | instid1(VALU_DEP_3)
	v_min_f32_e32 v10, v10, v3
	v_cndmask_b32_e32 v6, v9, v6, vcc_lo
	v_cmp_u_f32_e32 vcc_lo, v7, v7
	v_cndmask_b32_e32 v7, v10, v7, vcc_lo
	global_store_b128 v1, v[4:7], s[8:9]
.LBB468_2:
	s_and_not1_b32 vcc_lo, exec_lo, s0
	s_cbranch_vccnz .LBB468_16
; %bb.3:
	v_cmp_gt_i32_e32 vcc_lo, s1, v0
	v_dual_mov_b32 v5, 0 :: v_dual_mov_b32 v2, 0
	v_or_b32_e32 v1, s2, v0
	v_or_b32_e32 v4, 0x100, v0
	v_mov_b32_e32 v6, v0
	s_and_saveexec_b32 s3, vcc_lo
	s_cbranch_execz .LBB468_5
; %bb.4:
	v_mov_b32_e32 v2, 0
	s_delay_alu instid0(VALU_DEP_1) | instskip(NEXT) | instid1(VALU_DEP_1)
	v_lshlrev_b64 v[6:7], 2, v[1:2]
	v_add_co_u32 v6, s0, s6, v6
	s_delay_alu instid0(VALU_DEP_1)
	v_add_co_ci_u32_e64 v7, s0, s7, v7, s0
	global_load_b32 v2, v[6:7], off
	v_or_b32_e32 v6, 0x100, v0
.LBB468_5:
	s_or_b32 exec_lo, exec_lo, s3
	s_delay_alu instid0(SALU_CYCLE_1) | instskip(NEXT) | instid1(VALU_DEP_1)
	s_mov_b32 s3, exec_lo
	v_cmpx_gt_i32_e64 s1, v6
	s_cbranch_execz .LBB468_7
; %bb.6:
	v_dual_mov_b32 v8, 0 :: v_dual_add_nc_u32 v7, s2, v6
	v_add_nc_u32_e32 v6, 0x100, v6
	s_delay_alu instid0(VALU_DEP_2) | instskip(NEXT) | instid1(VALU_DEP_1)
	v_lshlrev_b64 v[7:8], 2, v[7:8]
	v_add_co_u32 v7, s0, s6, v7
	s_delay_alu instid0(VALU_DEP_1)
	v_add_co_ci_u32_e64 v8, s0, s7, v8, s0
	global_load_b32 v5, v[7:8], off
.LBB468_7:
	s_or_b32 exec_lo, exec_lo, s3
	v_dual_mov_b32 v7, 0 :: v_dual_mov_b32 v8, 0
	s_mov_b32 s3, exec_lo
	v_cmpx_gt_i32_e64 s1, v6
	s_cbranch_execz .LBB468_9
; %bb.8:
	v_dual_mov_b32 v9, 0 :: v_dual_add_nc_u32 v8, s2, v6
	v_add_nc_u32_e32 v6, 0x100, v6
	s_delay_alu instid0(VALU_DEP_2) | instskip(NEXT) | instid1(VALU_DEP_1)
	v_lshlrev_b64 v[8:9], 2, v[8:9]
	v_add_co_u32 v8, s0, s6, v8
	s_delay_alu instid0(VALU_DEP_1)
	v_add_co_ci_u32_e64 v9, s0, s7, v9, s0
	global_load_b32 v8, v[8:9], off
.LBB468_9:
	s_or_b32 exec_lo, exec_lo, s3
	s_delay_alu instid0(SALU_CYCLE_1)
	s_mov_b32 s3, exec_lo
	v_cmpx_gt_i32_e64 s1, v6
	s_cbranch_execz .LBB468_11
; %bb.10:
	v_dual_mov_b32 v7, 0 :: v_dual_add_nc_u32 v6, s2, v6
	s_delay_alu instid0(VALU_DEP_1) | instskip(NEXT) | instid1(VALU_DEP_1)
	v_lshlrev_b64 v[6:7], 2, v[6:7]
	v_add_co_u32 v6, s0, s6, v6
	s_delay_alu instid0(VALU_DEP_1)
	v_add_co_ci_u32_e64 v7, s0, s7, v7, s0
	global_load_b32 v7, v[6:7], off
.LBB468_11:
	s_or_b32 exec_lo, exec_lo, s3
	s_waitcnt vmcnt(0)
	v_dual_max_f32 v6, v2, v2 :: v_dual_max_f32 v9, v5, v5
	v_cmp_u_f32_e64 s0, v2, v2
	v_dual_max_f32 v10, v8, v8 :: v_dual_max_f32 v11, v7, v7
	s_delay_alu instid0(VALU_DEP_3) | instskip(NEXT) | instid1(VALU_DEP_4)
	v_min_f32_e32 v6, v6, v3
	v_min_f32_e32 v12, v9, v3
	s_delay_alu instid0(VALU_DEP_3) | instskip(NEXT) | instid1(VALU_DEP_4)
	v_min_f32_e32 v10, v10, v3
	v_min_f32_e32 v3, v11, v3
	s_delay_alu instid0(VALU_DEP_4) | instskip(SKIP_1) | instid1(VALU_DEP_1)
	v_cndmask_b32_e64 v9, v6, v2, s0
	v_cmp_u_f32_e64 s0, v5, v5
	v_cndmask_b32_e64 v6, v12, v5, s0
	v_cmp_u_f32_e64 s0, v8, v8
	s_delay_alu instid0(VALU_DEP_1) | instskip(SKIP_1) | instid1(VALU_DEP_1)
	v_cndmask_b32_e64 v5, v10, v8, s0
	v_cmp_u_f32_e64 s0, v7, v7
	v_cndmask_b32_e64 v3, v3, v7, s0
	s_and_saveexec_b32 s0, vcc_lo
	s_cbranch_execnz .LBB468_17
; %bb.12:
	s_or_b32 exec_lo, exec_lo, s0
	s_delay_alu instid0(SALU_CYCLE_1)
	s_mov_b32 s0, exec_lo
	v_cmpx_gt_i32_e64 s1, v0
	s_cbranch_execnz .LBB468_18
.LBB468_13:
	s_or_b32 exec_lo, exec_lo, s0
	s_delay_alu instid0(SALU_CYCLE_1)
	s_mov_b32 s0, exec_lo
	v_cmpx_gt_i32_e64 s1, v0
	s_cbranch_execnz .LBB468_19
.LBB468_14:
	s_or_b32 exec_lo, exec_lo, s0
	s_delay_alu instid0(SALU_CYCLE_1)
	s_mov_b32 s0, exec_lo
	v_cmpx_gt_i32_e64 s1, v0
	s_cbranch_execz .LBB468_16
.LBB468_15:
	v_dual_mov_b32 v1, 0 :: v_dual_add_nc_u32 v0, s2, v0
	s_delay_alu instid0(VALU_DEP_1) | instskip(NEXT) | instid1(VALU_DEP_1)
	v_lshlrev_b64 v[0:1], 2, v[0:1]
	v_add_co_u32 v0, vcc_lo, s4, v0
	s_delay_alu instid0(VALU_DEP_2)
	v_add_co_ci_u32_e32 v1, vcc_lo, s5, v1, vcc_lo
	global_store_b32 v[0:1], v3, off
.LBB468_16:
	s_nop 0
	s_sendmsg sendmsg(MSG_DEALLOC_VGPRS)
	s_endpgm
.LBB468_17:
	v_mov_b32_e32 v2, 0
	s_delay_alu instid0(VALU_DEP_1) | instskip(NEXT) | instid1(VALU_DEP_1)
	v_lshlrev_b64 v[0:1], 2, v[1:2]
	v_add_co_u32 v7, vcc_lo, s4, v0
	s_delay_alu instid0(VALU_DEP_2) | instskip(SKIP_3) | instid1(SALU_CYCLE_1)
	v_add_co_ci_u32_e32 v8, vcc_lo, s5, v1, vcc_lo
	v_mov_b32_e32 v0, v4
	global_store_b32 v[7:8], v9, off
	s_or_b32 exec_lo, exec_lo, s0
	s_mov_b32 s0, exec_lo
	v_cmpx_gt_i32_e64 s1, v0
	s_cbranch_execz .LBB468_13
.LBB468_18:
	v_dual_mov_b32 v2, 0 :: v_dual_add_nc_u32 v1, s2, v0
	v_add_nc_u32_e32 v0, 0x100, v0
	s_delay_alu instid0(VALU_DEP_2) | instskip(NEXT) | instid1(VALU_DEP_1)
	v_lshlrev_b64 v[1:2], 2, v[1:2]
	v_add_co_u32 v1, vcc_lo, s4, v1
	s_delay_alu instid0(VALU_DEP_2) | instskip(SKIP_2) | instid1(SALU_CYCLE_1)
	v_add_co_ci_u32_e32 v2, vcc_lo, s5, v2, vcc_lo
	global_store_b32 v[1:2], v6, off
	s_or_b32 exec_lo, exec_lo, s0
	s_mov_b32 s0, exec_lo
	v_cmpx_gt_i32_e64 s1, v0
	s_cbranch_execz .LBB468_14
.LBB468_19:
	v_dual_mov_b32 v2, 0 :: v_dual_add_nc_u32 v1, s2, v0
	v_add_nc_u32_e32 v0, 0x100, v0
	s_delay_alu instid0(VALU_DEP_2) | instskip(NEXT) | instid1(VALU_DEP_1)
	v_lshlrev_b64 v[1:2], 2, v[1:2]
	v_add_co_u32 v1, vcc_lo, s4, v1
	s_delay_alu instid0(VALU_DEP_2) | instskip(SKIP_2) | instid1(SALU_CYCLE_1)
	v_add_co_ci_u32_e32 v2, vcc_lo, s5, v2, vcc_lo
	global_store_b32 v[1:2], v5, off
	s_or_b32 exec_lo, exec_lo, s0
	s_mov_b32 s0, exec_lo
	v_cmpx_gt_i32_e64 s1, v0
	s_cbranch_execnz .LBB468_15
	s_branch .LBB468_16
	.section	.rodata,"a",@progbits
	.p2align	6, 0x0
	.amdhsa_kernel _ZN2at6native29vectorized_elementwise_kernelILi4EZZZNS0_21clamp_max_kernel_cudaERNS_18TensorIteratorBaseERKN3c106ScalarEENKUlvE_clEvENKUlvE5_clEvEUlfE_St5arrayIPcLm2EEEEviT0_T1_
		.amdhsa_group_segment_fixed_size 0
		.amdhsa_private_segment_fixed_size 0
		.amdhsa_kernarg_size 24
		.amdhsa_user_sgpr_count 15
		.amdhsa_user_sgpr_dispatch_ptr 0
		.amdhsa_user_sgpr_queue_ptr 0
		.amdhsa_user_sgpr_kernarg_segment_ptr 1
		.amdhsa_user_sgpr_dispatch_id 0
		.amdhsa_user_sgpr_private_segment_size 0
		.amdhsa_wavefront_size32 1
		.amdhsa_uses_dynamic_stack 0
		.amdhsa_enable_private_segment 0
		.amdhsa_system_sgpr_workgroup_id_x 1
		.amdhsa_system_sgpr_workgroup_id_y 0
		.amdhsa_system_sgpr_workgroup_id_z 0
		.amdhsa_system_sgpr_workgroup_info 0
		.amdhsa_system_vgpr_workitem_id 0
		.amdhsa_next_free_vgpr 13
		.amdhsa_next_free_sgpr 16
		.amdhsa_reserve_vcc 1
		.amdhsa_float_round_mode_32 0
		.amdhsa_float_round_mode_16_64 0
		.amdhsa_float_denorm_mode_32 3
		.amdhsa_float_denorm_mode_16_64 3
		.amdhsa_dx10_clamp 1
		.amdhsa_ieee_mode 1
		.amdhsa_fp16_overflow 0
		.amdhsa_workgroup_processor_mode 1
		.amdhsa_memory_ordered 1
		.amdhsa_forward_progress 0
		.amdhsa_shared_vgpr_count 0
		.amdhsa_exception_fp_ieee_invalid_op 0
		.amdhsa_exception_fp_denorm_src 0
		.amdhsa_exception_fp_ieee_div_zero 0
		.amdhsa_exception_fp_ieee_overflow 0
		.amdhsa_exception_fp_ieee_underflow 0
		.amdhsa_exception_fp_ieee_inexact 0
		.amdhsa_exception_int_div_zero 0
	.end_amdhsa_kernel
	.section	.text._ZN2at6native29vectorized_elementwise_kernelILi4EZZZNS0_21clamp_max_kernel_cudaERNS_18TensorIteratorBaseERKN3c106ScalarEENKUlvE_clEvENKUlvE5_clEvEUlfE_St5arrayIPcLm2EEEEviT0_T1_,"axG",@progbits,_ZN2at6native29vectorized_elementwise_kernelILi4EZZZNS0_21clamp_max_kernel_cudaERNS_18TensorIteratorBaseERKN3c106ScalarEENKUlvE_clEvENKUlvE5_clEvEUlfE_St5arrayIPcLm2EEEEviT0_T1_,comdat
.Lfunc_end468:
	.size	_ZN2at6native29vectorized_elementwise_kernelILi4EZZZNS0_21clamp_max_kernel_cudaERNS_18TensorIteratorBaseERKN3c106ScalarEENKUlvE_clEvENKUlvE5_clEvEUlfE_St5arrayIPcLm2EEEEviT0_T1_, .Lfunc_end468-_ZN2at6native29vectorized_elementwise_kernelILi4EZZZNS0_21clamp_max_kernel_cudaERNS_18TensorIteratorBaseERKN3c106ScalarEENKUlvE_clEvENKUlvE5_clEvEUlfE_St5arrayIPcLm2EEEEviT0_T1_
                                        ; -- End function
	.section	.AMDGPU.csdata,"",@progbits
; Kernel info:
; codeLenInByte = 984
; NumSgprs: 18
; NumVgprs: 13
; ScratchSize: 0
; MemoryBound: 0
; FloatMode: 240
; IeeeMode: 1
; LDSByteSize: 0 bytes/workgroup (compile time only)
; SGPRBlocks: 2
; VGPRBlocks: 1
; NumSGPRsForWavesPerEU: 18
; NumVGPRsForWavesPerEU: 13
; Occupancy: 16
; WaveLimiterHint : 0
; COMPUTE_PGM_RSRC2:SCRATCH_EN: 0
; COMPUTE_PGM_RSRC2:USER_SGPR: 15
; COMPUTE_PGM_RSRC2:TRAP_HANDLER: 0
; COMPUTE_PGM_RSRC2:TGID_X_EN: 1
; COMPUTE_PGM_RSRC2:TGID_Y_EN: 0
; COMPUTE_PGM_RSRC2:TGID_Z_EN: 0
; COMPUTE_PGM_RSRC2:TIDIG_COMP_CNT: 0
	.section	.text._ZN2at6native29vectorized_elementwise_kernelILi2EZZZNS0_21clamp_max_kernel_cudaERNS_18TensorIteratorBaseERKN3c106ScalarEENKUlvE_clEvENKUlvE5_clEvEUlfE_St5arrayIPcLm2EEEEviT0_T1_,"axG",@progbits,_ZN2at6native29vectorized_elementwise_kernelILi2EZZZNS0_21clamp_max_kernel_cudaERNS_18TensorIteratorBaseERKN3c106ScalarEENKUlvE_clEvENKUlvE5_clEvEUlfE_St5arrayIPcLm2EEEEviT0_T1_,comdat
	.globl	_ZN2at6native29vectorized_elementwise_kernelILi2EZZZNS0_21clamp_max_kernel_cudaERNS_18TensorIteratorBaseERKN3c106ScalarEENKUlvE_clEvENKUlvE5_clEvEUlfE_St5arrayIPcLm2EEEEviT0_T1_ ; -- Begin function _ZN2at6native29vectorized_elementwise_kernelILi2EZZZNS0_21clamp_max_kernel_cudaERNS_18TensorIteratorBaseERKN3c106ScalarEENKUlvE_clEvENKUlvE5_clEvEUlfE_St5arrayIPcLm2EEEEviT0_T1_
	.p2align	8
	.type	_ZN2at6native29vectorized_elementwise_kernelILi2EZZZNS0_21clamp_max_kernel_cudaERNS_18TensorIteratorBaseERKN3c106ScalarEENKUlvE_clEvENKUlvE5_clEvEUlfE_St5arrayIPcLm2EEEEviT0_T1_,@function
_ZN2at6native29vectorized_elementwise_kernelILi2EZZZNS0_21clamp_max_kernel_cudaERNS_18TensorIteratorBaseERKN3c106ScalarEENKUlvE_clEvENKUlvE5_clEvEUlfE_St5arrayIPcLm2EEEEviT0_T1_: ; @_ZN2at6native29vectorized_elementwise_kernelILi2EZZZNS0_21clamp_max_kernel_cudaERNS_18TensorIteratorBaseERKN3c106ScalarEENKUlvE_clEvENKUlvE5_clEvEUlfE_St5arrayIPcLm2EEEEviT0_T1_
; %bb.0:
	s_clause 0x1
	s_load_b64 s[8:9], s[0:1], 0x0
	s_load_b128 s[4:7], s[0:1], 0x8
	s_lshl_b32 s2, s15, 10
	s_mov_b32 s0, -1
	s_waitcnt lgkmcnt(0)
	v_max_f32_e64 v3, s9, s9
	s_sub_i32 s1, s8, s2
	s_delay_alu instid0(SALU_CYCLE_1)
	s_cmpk_gt_i32 s1, 0x3ff
	s_cbranch_scc0 .LBB469_2
; %bb.1:
	s_ashr_i32 s3, s2, 31
	v_lshlrev_b32_e32 v6, 3, v0
	s_lshl_b64 s[8:9], s[2:3], 2
	s_mov_b32 s0, 0
	s_add_u32 s10, s6, s8
	s_addc_u32 s11, s7, s9
	s_add_u32 s8, s4, s8
	s_clause 0x1
	global_load_b64 v[1:2], v6, s[10:11]
	global_load_b64 v[4:5], v6, s[10:11] offset:2048
	s_addc_u32 s9, s5, s9
	s_waitcnt vmcnt(1)
	v_dual_max_f32 v7, v1, v1 :: v_dual_max_f32 v8, v2, v2
	s_waitcnt vmcnt(0)
	v_dual_max_f32 v9, v4, v4 :: v_dual_max_f32 v10, v5, v5
	v_cmp_u_f32_e32 vcc_lo, v1, v1
	s_delay_alu instid0(VALU_DEP_3) | instskip(SKIP_1) | instid1(VALU_DEP_2)
	v_min_f32_e32 v7, v7, v3
	v_min_f32_e32 v8, v8, v3
	v_dual_min_f32 v10, v10, v3 :: v_dual_cndmask_b32 v1, v7, v1
	v_cmp_u_f32_e32 vcc_lo, v2, v2
	s_delay_alu instid0(VALU_DEP_3) | instskip(SKIP_1) | instid1(VALU_DEP_2)
	v_dual_min_f32 v9, v9, v3 :: v_dual_cndmask_b32 v2, v8, v2
	v_cmp_u_f32_e32 vcc_lo, v4, v4
	v_cndmask_b32_e32 v4, v9, v4, vcc_lo
	v_cmp_u_f32_e32 vcc_lo, v5, v5
	v_cndmask_b32_e32 v5, v10, v5, vcc_lo
	s_clause 0x1
	global_store_b64 v6, v[1:2], s[8:9]
	global_store_b64 v6, v[4:5], s[8:9] offset:2048
.LBB469_2:
	s_and_not1_b32 vcc_lo, exec_lo, s0
	s_cbranch_vccnz .LBB469_16
; %bb.3:
	v_cmp_gt_i32_e32 vcc_lo, s1, v0
	v_dual_mov_b32 v5, 0 :: v_dual_mov_b32 v2, 0
	v_or_b32_e32 v1, s2, v0
	v_or_b32_e32 v4, 0x100, v0
	v_mov_b32_e32 v6, v0
	s_and_saveexec_b32 s3, vcc_lo
	s_cbranch_execz .LBB469_5
; %bb.4:
	v_mov_b32_e32 v2, 0
	s_delay_alu instid0(VALU_DEP_1) | instskip(NEXT) | instid1(VALU_DEP_1)
	v_lshlrev_b64 v[6:7], 2, v[1:2]
	v_add_co_u32 v6, s0, s6, v6
	s_delay_alu instid0(VALU_DEP_1)
	v_add_co_ci_u32_e64 v7, s0, s7, v7, s0
	global_load_b32 v2, v[6:7], off
	v_or_b32_e32 v6, 0x100, v0
.LBB469_5:
	s_or_b32 exec_lo, exec_lo, s3
	s_delay_alu instid0(SALU_CYCLE_1) | instskip(NEXT) | instid1(VALU_DEP_1)
	s_mov_b32 s3, exec_lo
	v_cmpx_gt_i32_e64 s1, v6
	s_cbranch_execz .LBB469_7
; %bb.6:
	v_dual_mov_b32 v8, 0 :: v_dual_add_nc_u32 v7, s2, v6
	v_add_nc_u32_e32 v6, 0x100, v6
	s_delay_alu instid0(VALU_DEP_2) | instskip(NEXT) | instid1(VALU_DEP_1)
	v_lshlrev_b64 v[7:8], 2, v[7:8]
	v_add_co_u32 v7, s0, s6, v7
	s_delay_alu instid0(VALU_DEP_1)
	v_add_co_ci_u32_e64 v8, s0, s7, v8, s0
	global_load_b32 v5, v[7:8], off
.LBB469_7:
	s_or_b32 exec_lo, exec_lo, s3
	v_dual_mov_b32 v7, 0 :: v_dual_mov_b32 v8, 0
	s_mov_b32 s3, exec_lo
	v_cmpx_gt_i32_e64 s1, v6
	s_cbranch_execz .LBB469_9
; %bb.8:
	v_dual_mov_b32 v9, 0 :: v_dual_add_nc_u32 v8, s2, v6
	v_add_nc_u32_e32 v6, 0x100, v6
	s_delay_alu instid0(VALU_DEP_2) | instskip(NEXT) | instid1(VALU_DEP_1)
	v_lshlrev_b64 v[8:9], 2, v[8:9]
	v_add_co_u32 v8, s0, s6, v8
	s_delay_alu instid0(VALU_DEP_1)
	v_add_co_ci_u32_e64 v9, s0, s7, v9, s0
	global_load_b32 v8, v[8:9], off
.LBB469_9:
	s_or_b32 exec_lo, exec_lo, s3
	s_delay_alu instid0(SALU_CYCLE_1)
	s_mov_b32 s3, exec_lo
	v_cmpx_gt_i32_e64 s1, v6
	s_cbranch_execz .LBB469_11
; %bb.10:
	v_dual_mov_b32 v7, 0 :: v_dual_add_nc_u32 v6, s2, v6
	s_delay_alu instid0(VALU_DEP_1) | instskip(NEXT) | instid1(VALU_DEP_1)
	v_lshlrev_b64 v[6:7], 2, v[6:7]
	v_add_co_u32 v6, s0, s6, v6
	s_delay_alu instid0(VALU_DEP_1)
	v_add_co_ci_u32_e64 v7, s0, s7, v7, s0
	global_load_b32 v7, v[6:7], off
.LBB469_11:
	s_or_b32 exec_lo, exec_lo, s3
	s_waitcnt vmcnt(0)
	v_dual_max_f32 v6, v2, v2 :: v_dual_max_f32 v9, v5, v5
	v_cmp_u_f32_e64 s0, v2, v2
	v_dual_max_f32 v10, v8, v8 :: v_dual_max_f32 v11, v7, v7
	s_delay_alu instid0(VALU_DEP_3) | instskip(NEXT) | instid1(VALU_DEP_4)
	v_min_f32_e32 v6, v6, v3
	v_min_f32_e32 v12, v9, v3
	s_delay_alu instid0(VALU_DEP_3) | instskip(NEXT) | instid1(VALU_DEP_4)
	v_min_f32_e32 v10, v10, v3
	v_min_f32_e32 v3, v11, v3
	s_delay_alu instid0(VALU_DEP_4) | instskip(SKIP_1) | instid1(VALU_DEP_1)
	v_cndmask_b32_e64 v9, v6, v2, s0
	v_cmp_u_f32_e64 s0, v5, v5
	v_cndmask_b32_e64 v6, v12, v5, s0
	v_cmp_u_f32_e64 s0, v8, v8
	s_delay_alu instid0(VALU_DEP_1) | instskip(SKIP_1) | instid1(VALU_DEP_1)
	v_cndmask_b32_e64 v5, v10, v8, s0
	v_cmp_u_f32_e64 s0, v7, v7
	v_cndmask_b32_e64 v3, v3, v7, s0
	s_and_saveexec_b32 s0, vcc_lo
	s_cbranch_execnz .LBB469_17
; %bb.12:
	s_or_b32 exec_lo, exec_lo, s0
	s_delay_alu instid0(SALU_CYCLE_1)
	s_mov_b32 s0, exec_lo
	v_cmpx_gt_i32_e64 s1, v0
	s_cbranch_execnz .LBB469_18
.LBB469_13:
	s_or_b32 exec_lo, exec_lo, s0
	s_delay_alu instid0(SALU_CYCLE_1)
	s_mov_b32 s0, exec_lo
	v_cmpx_gt_i32_e64 s1, v0
	s_cbranch_execnz .LBB469_19
.LBB469_14:
	s_or_b32 exec_lo, exec_lo, s0
	s_delay_alu instid0(SALU_CYCLE_1)
	s_mov_b32 s0, exec_lo
	v_cmpx_gt_i32_e64 s1, v0
	s_cbranch_execz .LBB469_16
.LBB469_15:
	v_dual_mov_b32 v1, 0 :: v_dual_add_nc_u32 v0, s2, v0
	s_delay_alu instid0(VALU_DEP_1) | instskip(NEXT) | instid1(VALU_DEP_1)
	v_lshlrev_b64 v[0:1], 2, v[0:1]
	v_add_co_u32 v0, vcc_lo, s4, v0
	s_delay_alu instid0(VALU_DEP_2)
	v_add_co_ci_u32_e32 v1, vcc_lo, s5, v1, vcc_lo
	global_store_b32 v[0:1], v3, off
.LBB469_16:
	s_nop 0
	s_sendmsg sendmsg(MSG_DEALLOC_VGPRS)
	s_endpgm
.LBB469_17:
	v_mov_b32_e32 v2, 0
	s_delay_alu instid0(VALU_DEP_1) | instskip(NEXT) | instid1(VALU_DEP_1)
	v_lshlrev_b64 v[0:1], 2, v[1:2]
	v_add_co_u32 v7, vcc_lo, s4, v0
	s_delay_alu instid0(VALU_DEP_2) | instskip(SKIP_3) | instid1(SALU_CYCLE_1)
	v_add_co_ci_u32_e32 v8, vcc_lo, s5, v1, vcc_lo
	v_mov_b32_e32 v0, v4
	global_store_b32 v[7:8], v9, off
	s_or_b32 exec_lo, exec_lo, s0
	s_mov_b32 s0, exec_lo
	v_cmpx_gt_i32_e64 s1, v0
	s_cbranch_execz .LBB469_13
.LBB469_18:
	v_dual_mov_b32 v2, 0 :: v_dual_add_nc_u32 v1, s2, v0
	v_add_nc_u32_e32 v0, 0x100, v0
	s_delay_alu instid0(VALU_DEP_2) | instskip(NEXT) | instid1(VALU_DEP_1)
	v_lshlrev_b64 v[1:2], 2, v[1:2]
	v_add_co_u32 v1, vcc_lo, s4, v1
	s_delay_alu instid0(VALU_DEP_2) | instskip(SKIP_2) | instid1(SALU_CYCLE_1)
	v_add_co_ci_u32_e32 v2, vcc_lo, s5, v2, vcc_lo
	global_store_b32 v[1:2], v6, off
	s_or_b32 exec_lo, exec_lo, s0
	s_mov_b32 s0, exec_lo
	v_cmpx_gt_i32_e64 s1, v0
	s_cbranch_execz .LBB469_14
.LBB469_19:
	v_dual_mov_b32 v2, 0 :: v_dual_add_nc_u32 v1, s2, v0
	v_add_nc_u32_e32 v0, 0x100, v0
	s_delay_alu instid0(VALU_DEP_2) | instskip(NEXT) | instid1(VALU_DEP_1)
	v_lshlrev_b64 v[1:2], 2, v[1:2]
	v_add_co_u32 v1, vcc_lo, s4, v1
	s_delay_alu instid0(VALU_DEP_2) | instskip(SKIP_2) | instid1(SALU_CYCLE_1)
	v_add_co_ci_u32_e32 v2, vcc_lo, s5, v2, vcc_lo
	global_store_b32 v[1:2], v5, off
	s_or_b32 exec_lo, exec_lo, s0
	s_mov_b32 s0, exec_lo
	v_cmpx_gt_i32_e64 s1, v0
	s_cbranch_execnz .LBB469_15
	s_branch .LBB469_16
	.section	.rodata,"a",@progbits
	.p2align	6, 0x0
	.amdhsa_kernel _ZN2at6native29vectorized_elementwise_kernelILi2EZZZNS0_21clamp_max_kernel_cudaERNS_18TensorIteratorBaseERKN3c106ScalarEENKUlvE_clEvENKUlvE5_clEvEUlfE_St5arrayIPcLm2EEEEviT0_T1_
		.amdhsa_group_segment_fixed_size 0
		.amdhsa_private_segment_fixed_size 0
		.amdhsa_kernarg_size 24
		.amdhsa_user_sgpr_count 15
		.amdhsa_user_sgpr_dispatch_ptr 0
		.amdhsa_user_sgpr_queue_ptr 0
		.amdhsa_user_sgpr_kernarg_segment_ptr 1
		.amdhsa_user_sgpr_dispatch_id 0
		.amdhsa_user_sgpr_private_segment_size 0
		.amdhsa_wavefront_size32 1
		.amdhsa_uses_dynamic_stack 0
		.amdhsa_enable_private_segment 0
		.amdhsa_system_sgpr_workgroup_id_x 1
		.amdhsa_system_sgpr_workgroup_id_y 0
		.amdhsa_system_sgpr_workgroup_id_z 0
		.amdhsa_system_sgpr_workgroup_info 0
		.amdhsa_system_vgpr_workitem_id 0
		.amdhsa_next_free_vgpr 13
		.amdhsa_next_free_sgpr 16
		.amdhsa_reserve_vcc 1
		.amdhsa_float_round_mode_32 0
		.amdhsa_float_round_mode_16_64 0
		.amdhsa_float_denorm_mode_32 3
		.amdhsa_float_denorm_mode_16_64 3
		.amdhsa_dx10_clamp 1
		.amdhsa_ieee_mode 1
		.amdhsa_fp16_overflow 0
		.amdhsa_workgroup_processor_mode 1
		.amdhsa_memory_ordered 1
		.amdhsa_forward_progress 0
		.amdhsa_shared_vgpr_count 0
		.amdhsa_exception_fp_ieee_invalid_op 0
		.amdhsa_exception_fp_denorm_src 0
		.amdhsa_exception_fp_ieee_div_zero 0
		.amdhsa_exception_fp_ieee_overflow 0
		.amdhsa_exception_fp_ieee_underflow 0
		.amdhsa_exception_fp_ieee_inexact 0
		.amdhsa_exception_int_div_zero 0
	.end_amdhsa_kernel
	.section	.text._ZN2at6native29vectorized_elementwise_kernelILi2EZZZNS0_21clamp_max_kernel_cudaERNS_18TensorIteratorBaseERKN3c106ScalarEENKUlvE_clEvENKUlvE5_clEvEUlfE_St5arrayIPcLm2EEEEviT0_T1_,"axG",@progbits,_ZN2at6native29vectorized_elementwise_kernelILi2EZZZNS0_21clamp_max_kernel_cudaERNS_18TensorIteratorBaseERKN3c106ScalarEENKUlvE_clEvENKUlvE5_clEvEUlfE_St5arrayIPcLm2EEEEviT0_T1_,comdat
.Lfunc_end469:
	.size	_ZN2at6native29vectorized_elementwise_kernelILi2EZZZNS0_21clamp_max_kernel_cudaERNS_18TensorIteratorBaseERKN3c106ScalarEENKUlvE_clEvENKUlvE5_clEvEUlfE_St5arrayIPcLm2EEEEviT0_T1_, .Lfunc_end469-_ZN2at6native29vectorized_elementwise_kernelILi2EZZZNS0_21clamp_max_kernel_cudaERNS_18TensorIteratorBaseERKN3c106ScalarEENKUlvE_clEvENKUlvE5_clEvEUlfE_St5arrayIPcLm2EEEEviT0_T1_
                                        ; -- End function
	.section	.AMDGPU.csdata,"",@progbits
; Kernel info:
; codeLenInByte = 1008
; NumSgprs: 18
; NumVgprs: 13
; ScratchSize: 0
; MemoryBound: 0
; FloatMode: 240
; IeeeMode: 1
; LDSByteSize: 0 bytes/workgroup (compile time only)
; SGPRBlocks: 2
; VGPRBlocks: 1
; NumSGPRsForWavesPerEU: 18
; NumVGPRsForWavesPerEU: 13
; Occupancy: 16
; WaveLimiterHint : 1
; COMPUTE_PGM_RSRC2:SCRATCH_EN: 0
; COMPUTE_PGM_RSRC2:USER_SGPR: 15
; COMPUTE_PGM_RSRC2:TRAP_HANDLER: 0
; COMPUTE_PGM_RSRC2:TGID_X_EN: 1
; COMPUTE_PGM_RSRC2:TGID_Y_EN: 0
; COMPUTE_PGM_RSRC2:TGID_Z_EN: 0
; COMPUTE_PGM_RSRC2:TIDIG_COMP_CNT: 0
	.section	.text._ZN2at6native27unrolled_elementwise_kernelIZZZNS0_21clamp_max_kernel_cudaERNS_18TensorIteratorBaseERKN3c106ScalarEENKUlvE_clEvENKUlvE5_clEvEUlfE_St5arrayIPcLm2EELi4E23TrivialOffsetCalculatorILi1EjESF_NS0_6memory15LoadWithoutCastENSG_16StoreWithoutCastEEEviT_T0_T2_T3_T4_T5_,"axG",@progbits,_ZN2at6native27unrolled_elementwise_kernelIZZZNS0_21clamp_max_kernel_cudaERNS_18TensorIteratorBaseERKN3c106ScalarEENKUlvE_clEvENKUlvE5_clEvEUlfE_St5arrayIPcLm2EELi4E23TrivialOffsetCalculatorILi1EjESF_NS0_6memory15LoadWithoutCastENSG_16StoreWithoutCastEEEviT_T0_T2_T3_T4_T5_,comdat
	.globl	_ZN2at6native27unrolled_elementwise_kernelIZZZNS0_21clamp_max_kernel_cudaERNS_18TensorIteratorBaseERKN3c106ScalarEENKUlvE_clEvENKUlvE5_clEvEUlfE_St5arrayIPcLm2EELi4E23TrivialOffsetCalculatorILi1EjESF_NS0_6memory15LoadWithoutCastENSG_16StoreWithoutCastEEEviT_T0_T2_T3_T4_T5_ ; -- Begin function _ZN2at6native27unrolled_elementwise_kernelIZZZNS0_21clamp_max_kernel_cudaERNS_18TensorIteratorBaseERKN3c106ScalarEENKUlvE_clEvENKUlvE5_clEvEUlfE_St5arrayIPcLm2EELi4E23TrivialOffsetCalculatorILi1EjESF_NS0_6memory15LoadWithoutCastENSG_16StoreWithoutCastEEEviT_T0_T2_T3_T4_T5_
	.p2align	8
	.type	_ZN2at6native27unrolled_elementwise_kernelIZZZNS0_21clamp_max_kernel_cudaERNS_18TensorIteratorBaseERKN3c106ScalarEENKUlvE_clEvENKUlvE5_clEvEUlfE_St5arrayIPcLm2EELi4E23TrivialOffsetCalculatorILi1EjESF_NS0_6memory15LoadWithoutCastENSG_16StoreWithoutCastEEEviT_T0_T2_T3_T4_T5_,@function
_ZN2at6native27unrolled_elementwise_kernelIZZZNS0_21clamp_max_kernel_cudaERNS_18TensorIteratorBaseERKN3c106ScalarEENKUlvE_clEvENKUlvE5_clEvEUlfE_St5arrayIPcLm2EELi4E23TrivialOffsetCalculatorILi1EjESF_NS0_6memory15LoadWithoutCastENSG_16StoreWithoutCastEEEviT_T0_T2_T3_T4_T5_: ; @_ZN2at6native27unrolled_elementwise_kernelIZZZNS0_21clamp_max_kernel_cudaERNS_18TensorIteratorBaseERKN3c106ScalarEENKUlvE_clEvENKUlvE5_clEvEUlfE_St5arrayIPcLm2EELi4E23TrivialOffsetCalculatorILi1EjESF_NS0_6memory15LoadWithoutCastENSG_16StoreWithoutCastEEEviT_T0_T2_T3_T4_T5_
; %bb.0:
	s_clause 0x1
	s_load_b64 s[2:3], s[0:1], 0x0
	s_load_b128 s[4:7], s[0:1], 0x8
	s_lshl_b32 s1, s15, 10
	v_dual_mov_b32 v4, 0 :: v_dual_mov_b32 v5, v0
	v_mov_b32_e32 v2, 0
	v_or_b32_e32 v1, s1, v0
	v_or_b32_e32 v3, 0x100, v0
	s_waitcnt lgkmcnt(0)
	s_sub_i32 s2, s2, s1
	s_delay_alu instid0(SALU_CYCLE_1)
	v_cmp_gt_i32_e32 vcc_lo, s2, v0
	s_and_saveexec_b32 s8, vcc_lo
	s_cbranch_execz .LBB470_2
; %bb.1:
	v_mov_b32_e32 v2, 0
	s_delay_alu instid0(VALU_DEP_1) | instskip(NEXT) | instid1(VALU_DEP_1)
	v_lshlrev_b64 v[5:6], 2, v[1:2]
	v_add_co_u32 v5, s0, s6, v5
	s_delay_alu instid0(VALU_DEP_1)
	v_add_co_ci_u32_e64 v6, s0, s7, v6, s0
	global_load_b32 v2, v[5:6], off
	v_or_b32_e32 v5, 0x100, v0
.LBB470_2:
	s_or_b32 exec_lo, exec_lo, s8
	s_delay_alu instid0(SALU_CYCLE_1) | instskip(NEXT) | instid1(VALU_DEP_1)
	s_mov_b32 s8, exec_lo
	v_cmpx_gt_i32_e64 s2, v5
	s_cbranch_execz .LBB470_4
; %bb.3:
	v_dual_mov_b32 v7, 0 :: v_dual_add_nc_u32 v6, s1, v5
	v_add_nc_u32_e32 v5, 0x100, v5
	s_delay_alu instid0(VALU_DEP_2) | instskip(NEXT) | instid1(VALU_DEP_1)
	v_lshlrev_b64 v[6:7], 2, v[6:7]
	v_add_co_u32 v6, s0, s6, v6
	s_delay_alu instid0(VALU_DEP_1)
	v_add_co_ci_u32_e64 v7, s0, s7, v7, s0
	global_load_b32 v4, v[6:7], off
.LBB470_4:
	s_or_b32 exec_lo, exec_lo, s8
	v_dual_mov_b32 v6, 0 :: v_dual_mov_b32 v7, 0
	s_mov_b32 s8, exec_lo
	v_cmpx_gt_i32_e64 s2, v5
	s_cbranch_execz .LBB470_6
; %bb.5:
	v_dual_mov_b32 v8, 0 :: v_dual_add_nc_u32 v7, s1, v5
	v_add_nc_u32_e32 v5, 0x100, v5
	s_delay_alu instid0(VALU_DEP_2) | instskip(NEXT) | instid1(VALU_DEP_1)
	v_lshlrev_b64 v[7:8], 2, v[7:8]
	v_add_co_u32 v7, s0, s6, v7
	s_delay_alu instid0(VALU_DEP_1)
	v_add_co_ci_u32_e64 v8, s0, s7, v8, s0
	global_load_b32 v7, v[7:8], off
.LBB470_6:
	s_or_b32 exec_lo, exec_lo, s8
	s_delay_alu instid0(SALU_CYCLE_1)
	s_mov_b32 s8, exec_lo
	v_cmpx_gt_i32_e64 s2, v5
	s_cbranch_execz .LBB470_8
; %bb.7:
	v_dual_mov_b32 v6, 0 :: v_dual_add_nc_u32 v5, s1, v5
	s_delay_alu instid0(VALU_DEP_1) | instskip(NEXT) | instid1(VALU_DEP_1)
	v_lshlrev_b64 v[5:6], 2, v[5:6]
	v_add_co_u32 v5, s0, s6, v5
	s_delay_alu instid0(VALU_DEP_1)
	v_add_co_ci_u32_e64 v6, s0, s7, v6, s0
	global_load_b32 v6, v[5:6], off
.LBB470_8:
	s_or_b32 exec_lo, exec_lo, s8
	s_waitcnt vmcnt(0)
	v_dual_max_f32 v5, v2, v2 :: v_dual_max_f32 v10, v7, v7
	v_max_f32_e64 v8, s3, s3
	v_max_f32_e32 v9, v4, v4
	v_cmp_u_f32_e64 s0, v2, v2
	v_max_f32_e32 v11, v6, v6
	s_delay_alu instid0(VALU_DEP_4) | instskip(NEXT) | instid1(VALU_DEP_4)
	v_min_f32_e32 v5, v5, v8
	v_min_f32_e32 v12, v9, v8
	;; [unrolled: 1-line block ×3, first 2 shown]
	s_delay_alu instid0(VALU_DEP_4) | instskip(NEXT) | instid1(VALU_DEP_4)
	v_min_f32_e32 v11, v11, v8
	v_cndmask_b32_e64 v9, v5, v2, s0
	v_cmp_u_f32_e64 s0, v4, v4
	s_delay_alu instid0(VALU_DEP_1) | instskip(SKIP_1) | instid1(VALU_DEP_1)
	v_cndmask_b32_e64 v8, v12, v4, s0
	v_cmp_u_f32_e64 s0, v7, v7
	v_cndmask_b32_e64 v5, v10, v7, s0
	v_cmp_u_f32_e64 s0, v6, v6
	s_delay_alu instid0(VALU_DEP_1)
	v_cndmask_b32_e64 v4, v11, v6, s0
	s_and_saveexec_b32 s0, vcc_lo
	s_cbranch_execnz .LBB470_13
; %bb.9:
	s_or_b32 exec_lo, exec_lo, s0
	s_delay_alu instid0(SALU_CYCLE_1)
	s_mov_b32 s0, exec_lo
	v_cmpx_gt_i32_e64 s2, v0
	s_cbranch_execnz .LBB470_14
.LBB470_10:
	s_or_b32 exec_lo, exec_lo, s0
	s_delay_alu instid0(SALU_CYCLE_1)
	s_mov_b32 s0, exec_lo
	v_cmpx_gt_i32_e64 s2, v0
	s_cbranch_execnz .LBB470_15
.LBB470_11:
	s_or_b32 exec_lo, exec_lo, s0
	s_delay_alu instid0(SALU_CYCLE_1)
	s_mov_b32 s0, exec_lo
	v_cmpx_gt_i32_e64 s2, v0
	s_cbranch_execnz .LBB470_16
.LBB470_12:
	s_nop 0
	s_sendmsg sendmsg(MSG_DEALLOC_VGPRS)
	s_endpgm
.LBB470_13:
	v_mov_b32_e32 v2, 0
	s_delay_alu instid0(VALU_DEP_1) | instskip(NEXT) | instid1(VALU_DEP_1)
	v_lshlrev_b64 v[0:1], 2, v[1:2]
	v_add_co_u32 v6, vcc_lo, s4, v0
	s_delay_alu instid0(VALU_DEP_2) | instskip(SKIP_3) | instid1(SALU_CYCLE_1)
	v_add_co_ci_u32_e32 v7, vcc_lo, s5, v1, vcc_lo
	v_mov_b32_e32 v0, v3
	global_store_b32 v[6:7], v9, off
	s_or_b32 exec_lo, exec_lo, s0
	s_mov_b32 s0, exec_lo
	v_cmpx_gt_i32_e64 s2, v0
	s_cbranch_execz .LBB470_10
.LBB470_14:
	v_dual_mov_b32 v2, 0 :: v_dual_add_nc_u32 v1, s1, v0
	v_add_nc_u32_e32 v0, 0x100, v0
	s_delay_alu instid0(VALU_DEP_2) | instskip(NEXT) | instid1(VALU_DEP_1)
	v_lshlrev_b64 v[1:2], 2, v[1:2]
	v_add_co_u32 v1, vcc_lo, s4, v1
	s_delay_alu instid0(VALU_DEP_2) | instskip(SKIP_2) | instid1(SALU_CYCLE_1)
	v_add_co_ci_u32_e32 v2, vcc_lo, s5, v2, vcc_lo
	global_store_b32 v[1:2], v8, off
	s_or_b32 exec_lo, exec_lo, s0
	s_mov_b32 s0, exec_lo
	v_cmpx_gt_i32_e64 s2, v0
	s_cbranch_execz .LBB470_11
.LBB470_15:
	v_dual_mov_b32 v2, 0 :: v_dual_add_nc_u32 v1, s1, v0
	v_add_nc_u32_e32 v0, 0x100, v0
	s_delay_alu instid0(VALU_DEP_2) | instskip(NEXT) | instid1(VALU_DEP_1)
	v_lshlrev_b64 v[1:2], 2, v[1:2]
	v_add_co_u32 v1, vcc_lo, s4, v1
	s_delay_alu instid0(VALU_DEP_2) | instskip(SKIP_2) | instid1(SALU_CYCLE_1)
	v_add_co_ci_u32_e32 v2, vcc_lo, s5, v2, vcc_lo
	global_store_b32 v[1:2], v5, off
	s_or_b32 exec_lo, exec_lo, s0
	s_mov_b32 s0, exec_lo
	v_cmpx_gt_i32_e64 s2, v0
	s_cbranch_execz .LBB470_12
.LBB470_16:
	v_dual_mov_b32 v1, 0 :: v_dual_add_nc_u32 v0, s1, v0
	s_delay_alu instid0(VALU_DEP_1) | instskip(NEXT) | instid1(VALU_DEP_1)
	v_lshlrev_b64 v[0:1], 2, v[0:1]
	v_add_co_u32 v0, vcc_lo, s4, v0
	s_delay_alu instid0(VALU_DEP_2)
	v_add_co_ci_u32_e32 v1, vcc_lo, s5, v1, vcc_lo
	global_store_b32 v[0:1], v4, off
	s_nop 0
	s_sendmsg sendmsg(MSG_DEALLOC_VGPRS)
	s_endpgm
	.section	.rodata,"a",@progbits
	.p2align	6, 0x0
	.amdhsa_kernel _ZN2at6native27unrolled_elementwise_kernelIZZZNS0_21clamp_max_kernel_cudaERNS_18TensorIteratorBaseERKN3c106ScalarEENKUlvE_clEvENKUlvE5_clEvEUlfE_St5arrayIPcLm2EELi4E23TrivialOffsetCalculatorILi1EjESF_NS0_6memory15LoadWithoutCastENSG_16StoreWithoutCastEEEviT_T0_T2_T3_T4_T5_
		.amdhsa_group_segment_fixed_size 0
		.amdhsa_private_segment_fixed_size 0
		.amdhsa_kernarg_size 28
		.amdhsa_user_sgpr_count 15
		.amdhsa_user_sgpr_dispatch_ptr 0
		.amdhsa_user_sgpr_queue_ptr 0
		.amdhsa_user_sgpr_kernarg_segment_ptr 1
		.amdhsa_user_sgpr_dispatch_id 0
		.amdhsa_user_sgpr_private_segment_size 0
		.amdhsa_wavefront_size32 1
		.amdhsa_uses_dynamic_stack 0
		.amdhsa_enable_private_segment 0
		.amdhsa_system_sgpr_workgroup_id_x 1
		.amdhsa_system_sgpr_workgroup_id_y 0
		.amdhsa_system_sgpr_workgroup_id_z 0
		.amdhsa_system_sgpr_workgroup_info 0
		.amdhsa_system_vgpr_workitem_id 0
		.amdhsa_next_free_vgpr 13
		.amdhsa_next_free_sgpr 16
		.amdhsa_reserve_vcc 1
		.amdhsa_float_round_mode_32 0
		.amdhsa_float_round_mode_16_64 0
		.amdhsa_float_denorm_mode_32 3
		.amdhsa_float_denorm_mode_16_64 3
		.amdhsa_dx10_clamp 1
		.amdhsa_ieee_mode 1
		.amdhsa_fp16_overflow 0
		.amdhsa_workgroup_processor_mode 1
		.amdhsa_memory_ordered 1
		.amdhsa_forward_progress 0
		.amdhsa_shared_vgpr_count 0
		.amdhsa_exception_fp_ieee_invalid_op 0
		.amdhsa_exception_fp_denorm_src 0
		.amdhsa_exception_fp_ieee_div_zero 0
		.amdhsa_exception_fp_ieee_overflow 0
		.amdhsa_exception_fp_ieee_underflow 0
		.amdhsa_exception_fp_ieee_inexact 0
		.amdhsa_exception_int_div_zero 0
	.end_amdhsa_kernel
	.section	.text._ZN2at6native27unrolled_elementwise_kernelIZZZNS0_21clamp_max_kernel_cudaERNS_18TensorIteratorBaseERKN3c106ScalarEENKUlvE_clEvENKUlvE5_clEvEUlfE_St5arrayIPcLm2EELi4E23TrivialOffsetCalculatorILi1EjESF_NS0_6memory15LoadWithoutCastENSG_16StoreWithoutCastEEEviT_T0_T2_T3_T4_T5_,"axG",@progbits,_ZN2at6native27unrolled_elementwise_kernelIZZZNS0_21clamp_max_kernel_cudaERNS_18TensorIteratorBaseERKN3c106ScalarEENKUlvE_clEvENKUlvE5_clEvEUlfE_St5arrayIPcLm2EELi4E23TrivialOffsetCalculatorILi1EjESF_NS0_6memory15LoadWithoutCastENSG_16StoreWithoutCastEEEviT_T0_T2_T3_T4_T5_,comdat
.Lfunc_end470:
	.size	_ZN2at6native27unrolled_elementwise_kernelIZZZNS0_21clamp_max_kernel_cudaERNS_18TensorIteratorBaseERKN3c106ScalarEENKUlvE_clEvENKUlvE5_clEvEUlfE_St5arrayIPcLm2EELi4E23TrivialOffsetCalculatorILi1EjESF_NS0_6memory15LoadWithoutCastENSG_16StoreWithoutCastEEEviT_T0_T2_T3_T4_T5_, .Lfunc_end470-_ZN2at6native27unrolled_elementwise_kernelIZZZNS0_21clamp_max_kernel_cudaERNS_18TensorIteratorBaseERKN3c106ScalarEENKUlvE_clEvENKUlvE5_clEvEUlfE_St5arrayIPcLm2EELi4E23TrivialOffsetCalculatorILi1EjESF_NS0_6memory15LoadWithoutCastENSG_16StoreWithoutCastEEEviT_T0_T2_T3_T4_T5_
                                        ; -- End function
	.section	.AMDGPU.csdata,"",@progbits
; Kernel info:
; codeLenInByte = 844
; NumSgprs: 18
; NumVgprs: 13
; ScratchSize: 0
; MemoryBound: 0
; FloatMode: 240
; IeeeMode: 1
; LDSByteSize: 0 bytes/workgroup (compile time only)
; SGPRBlocks: 2
; VGPRBlocks: 1
; NumSGPRsForWavesPerEU: 18
; NumVGPRsForWavesPerEU: 13
; Occupancy: 16
; WaveLimiterHint : 0
; COMPUTE_PGM_RSRC2:SCRATCH_EN: 0
; COMPUTE_PGM_RSRC2:USER_SGPR: 15
; COMPUTE_PGM_RSRC2:TRAP_HANDLER: 0
; COMPUTE_PGM_RSRC2:TGID_X_EN: 1
; COMPUTE_PGM_RSRC2:TGID_Y_EN: 0
; COMPUTE_PGM_RSRC2:TGID_Z_EN: 0
; COMPUTE_PGM_RSRC2:TIDIG_COMP_CNT: 0
	.section	.text._ZN2at6native32elementwise_kernel_manual_unrollILi128ELi4EZNS0_22gpu_kernel_impl_nocastIZZZNS0_21clamp_max_kernel_cudaERNS_18TensorIteratorBaseERKN3c106ScalarEENKUlvE_clEvENKUlvE5_clEvEUlfE_EEvS4_RKT_EUlibE_EEviT1_,"axG",@progbits,_ZN2at6native32elementwise_kernel_manual_unrollILi128ELi4EZNS0_22gpu_kernel_impl_nocastIZZZNS0_21clamp_max_kernel_cudaERNS_18TensorIteratorBaseERKN3c106ScalarEENKUlvE_clEvENKUlvE5_clEvEUlfE_EEvS4_RKT_EUlibE_EEviT1_,comdat
	.globl	_ZN2at6native32elementwise_kernel_manual_unrollILi128ELi4EZNS0_22gpu_kernel_impl_nocastIZZZNS0_21clamp_max_kernel_cudaERNS_18TensorIteratorBaseERKN3c106ScalarEENKUlvE_clEvENKUlvE5_clEvEUlfE_EEvS4_RKT_EUlibE_EEviT1_ ; -- Begin function _ZN2at6native32elementwise_kernel_manual_unrollILi128ELi4EZNS0_22gpu_kernel_impl_nocastIZZZNS0_21clamp_max_kernel_cudaERNS_18TensorIteratorBaseERKN3c106ScalarEENKUlvE_clEvENKUlvE5_clEvEUlfE_EEvS4_RKT_EUlibE_EEviT1_
	.p2align	8
	.type	_ZN2at6native32elementwise_kernel_manual_unrollILi128ELi4EZNS0_22gpu_kernel_impl_nocastIZZZNS0_21clamp_max_kernel_cudaERNS_18TensorIteratorBaseERKN3c106ScalarEENKUlvE_clEvENKUlvE5_clEvEUlfE_EEvS4_RKT_EUlibE_EEviT1_,@function
_ZN2at6native32elementwise_kernel_manual_unrollILi128ELi4EZNS0_22gpu_kernel_impl_nocastIZZZNS0_21clamp_max_kernel_cudaERNS_18TensorIteratorBaseERKN3c106ScalarEENKUlvE_clEvENKUlvE5_clEvEUlfE_EEvS4_RKT_EUlibE_EEviT1_: ; @_ZN2at6native32elementwise_kernel_manual_unrollILi128ELi4EZNS0_22gpu_kernel_impl_nocastIZZZNS0_21clamp_max_kernel_cudaERNS_18TensorIteratorBaseERKN3c106ScalarEENKUlvE_clEvENKUlvE5_clEvEUlfE_EEvS4_RKT_EUlibE_EEviT1_
; %bb.0:
	s_clause 0x1
	s_load_b32 s22, s[0:1], 0x8
	s_load_b32 s28, s[0:1], 0x0
	v_lshl_or_b32 v4, s15, 9, v0
	s_or_b32 s0, s0, 8
	s_mov_b32 s2, exec_lo
	s_delay_alu instid0(VALU_DEP_1) | instskip(SKIP_2) | instid1(SALU_CYCLE_1)
	v_or_b32_e32 v8, 0x180, v4
	s_waitcnt lgkmcnt(0)
	s_add_i32 s23, s22, -1
	s_cmp_gt_u32 s23, 1
	s_cselect_b32 s24, -1, 0
	v_cmpx_le_i32_e64 s28, v8
	s_xor_b32 s25, exec_lo, s2
	s_cbranch_execz .LBB471_7
; %bb.1:
	s_clause 0x4
	s_load_b128 s[12:15], s[0:1], 0x4
	s_load_b64 s[2:3], s[0:1], 0x14
	s_load_b128 s[8:11], s[0:1], 0xc4
	s_load_b128 s[4:7], s[0:1], 0x148
	s_load_b32 s26, s[0:1], 0x158
	s_cmp_lg_u32 s22, 0
	s_mov_b32 s31, exec_lo
	s_cselect_b32 s30, -1, 0
	s_add_u32 s16, s0, 0xc4
	s_addc_u32 s17, s1, 0
	s_min_u32 s29, s23, 15
	s_cmp_gt_u32 s22, 1
	s_cselect_b32 s27, -1, 0
	v_cmpx_gt_i32_e64 s28, v4
	s_cbranch_execz .LBB471_14
; %bb.2:
	s_and_not1_b32 vcc_lo, exec_lo, s24
	s_cbranch_vccnz .LBB471_21
; %bb.3:
	v_dual_mov_b32 v0, 0 :: v_dual_mov_b32 v1, 0
	s_and_not1_b32 vcc_lo, exec_lo, s30
	s_mov_b32 s33, 0
	s_cbranch_vccnz .LBB471_73
; %bb.4:
	v_mov_b32_e32 v0, 0
	s_add_i32 s35, s29, 1
	s_cmp_eq_u32 s23, 2
	s_mov_b32 s34, 0
	s_cbranch_scc1 .LBB471_69
; %bb.5:
	v_dual_mov_b32 v1, 0 :: v_dual_mov_b32 v0, 0
	v_mov_b32_e32 v2, v4
	s_and_b32 s34, s35, 28
	s_mov_b32 s36, 0
	s_mov_b64 s[18:19], s[16:17]
	s_mov_b64 s[20:21], s[0:1]
.LBB471_6:                              ; =>This Inner Loop Header: Depth=1
	s_clause 0x1
	s_load_b256 s[40:47], s[20:21], 0x4
	s_load_b128 s[56:59], s[20:21], 0x24
	s_load_b256 s[48:55], s[18:19], 0x0
	s_add_u32 s20, s20, 48
	s_addc_u32 s21, s21, 0
	s_add_i32 s36, s36, 4
	s_add_u32 s18, s18, 32
	s_addc_u32 s19, s19, 0
	s_cmp_lg_u32 s34, s36
	s_waitcnt lgkmcnt(0)
	v_mul_hi_u32 v3, s41, v2
	s_delay_alu instid0(VALU_DEP_1) | instskip(NEXT) | instid1(VALU_DEP_1)
	v_add_nc_u32_e32 v3, v2, v3
	v_lshrrev_b32_e32 v3, s42, v3
	s_delay_alu instid0(VALU_DEP_1) | instskip(SKIP_1) | instid1(VALU_DEP_2)
	v_mul_hi_u32 v5, s44, v3
	v_mul_lo_u32 v7, v3, s40
	v_add_nc_u32_e32 v5, v3, v5
	s_delay_alu instid0(VALU_DEP_2) | instskip(NEXT) | instid1(VALU_DEP_2)
	v_sub_nc_u32_e32 v2, v2, v7
	v_lshrrev_b32_e32 v5, s45, v5
	s_delay_alu instid0(VALU_DEP_2) | instskip(SKIP_1) | instid1(VALU_DEP_3)
	v_mul_lo_u32 v7, v2, s48
	v_mul_lo_u32 v9, v2, s49
	v_mul_hi_u32 v6, s47, v5
	s_delay_alu instid0(VALU_DEP_1) | instskip(NEXT) | instid1(VALU_DEP_1)
	v_add_nc_u32_e32 v6, v5, v6
	v_lshrrev_b32_e32 v6, s56, v6
	s_delay_alu instid0(VALU_DEP_1) | instskip(SKIP_1) | instid1(VALU_DEP_2)
	v_mul_hi_u32 v8, s58, v6
	v_mul_lo_u32 v10, v6, s46
	v_add_nc_u32_e32 v2, v6, v8
	v_mul_lo_u32 v8, v5, s43
	s_delay_alu instid0(VALU_DEP_3) | instskip(NEXT) | instid1(VALU_DEP_3)
	v_sub_nc_u32_e32 v5, v5, v10
	v_lshrrev_b32_e32 v2, s59, v2
	s_delay_alu instid0(VALU_DEP_2) | instskip(SKIP_2) | instid1(VALU_DEP_4)
	v_mul_lo_u32 v10, v5, s52
	v_mul_lo_u32 v5, v5, s53
	v_sub_nc_u32_e32 v3, v3, v8
	v_mul_lo_u32 v11, v2, s57
	s_delay_alu instid0(VALU_DEP_2) | instskip(SKIP_1) | instid1(VALU_DEP_3)
	v_mul_lo_u32 v8, v3, s50
	v_mul_lo_u32 v3, v3, s51
	v_sub_nc_u32_e32 v6, v6, v11
	s_delay_alu instid0(VALU_DEP_3) | instskip(NEXT) | instid1(VALU_DEP_2)
	v_add3_u32 v0, v7, v0, v8
	v_mul_lo_u32 v11, v6, s54
	v_mul_lo_u32 v6, v6, s55
	v_add3_u32 v1, v9, v1, v3
	s_delay_alu instid0(VALU_DEP_3) | instskip(NEXT) | instid1(VALU_DEP_2)
	v_add3_u32 v0, v10, v0, v11
	v_add3_u32 v1, v5, v1, v6
	s_cbranch_scc1 .LBB471_6
	s_branch .LBB471_70
.LBB471_7:
	s_and_not1_saveexec_b32 s2, s25
	s_cbranch_execz .LBB471_94
.LBB471_8:
	v_cndmask_b32_e64 v6, 0, 1, s24
	s_and_not1_b32 vcc_lo, exec_lo, s24
	s_cbranch_vccnz .LBB471_20
; %bb.9:
	v_dual_mov_b32 v0, 0 :: v_dual_mov_b32 v1, 0
	s_cmp_lg_u32 s22, 0
	s_mov_b32 s6, 0
	s_cbranch_scc0 .LBB471_26
; %bb.10:
	s_min_u32 s7, s23, 15
	v_mov_b32_e32 v0, 0
	s_add_i32 s7, s7, 1
	s_cmp_eq_u32 s23, 2
	s_mov_b32 s8, 0
	s_cbranch_scc1 .LBB471_23
; %bb.11:
	v_dual_mov_b32 v1, 0 :: v_dual_mov_b32 v0, 0
	v_mov_b32_e32 v2, v4
	s_add_u32 s2, s0, 0xc4
	s_addc_u32 s3, s1, 0
	s_and_b32 s8, s7, 28
	s_mov_b32 s9, 0
	s_mov_b64 s[4:5], s[0:1]
.LBB471_12:                             ; =>This Inner Loop Header: Depth=1
	s_clause 0x1
	s_load_b256 s[12:19], s[4:5], 0x4
	s_load_b128 s[36:39], s[4:5], 0x24
	s_load_b256 s[24:31], s[2:3], 0x0
	s_add_u32 s4, s4, 48
	s_addc_u32 s5, s5, 0
	s_add_i32 s9, s9, 4
	s_add_u32 s2, s2, 32
	s_addc_u32 s3, s3, 0
	s_cmp_lg_u32 s8, s9
	s_waitcnt lgkmcnt(0)
	v_mul_hi_u32 v3, s13, v2
	s_delay_alu instid0(VALU_DEP_1) | instskip(NEXT) | instid1(VALU_DEP_1)
	v_add_nc_u32_e32 v3, v2, v3
	v_lshrrev_b32_e32 v3, s14, v3
	s_delay_alu instid0(VALU_DEP_1) | instskip(SKIP_1) | instid1(VALU_DEP_2)
	v_mul_hi_u32 v5, s16, v3
	v_mul_lo_u32 v9, v3, s12
	v_add_nc_u32_e32 v5, v3, v5
	s_delay_alu instid0(VALU_DEP_2) | instskip(NEXT) | instid1(VALU_DEP_2)
	v_sub_nc_u32_e32 v2, v2, v9
	v_lshrrev_b32_e32 v5, s17, v5
	s_delay_alu instid0(VALU_DEP_2) | instskip(SKIP_1) | instid1(VALU_DEP_3)
	v_mul_lo_u32 v9, v2, s24
	v_mul_lo_u32 v11, v2, s25
	v_mul_hi_u32 v7, s19, v5
	s_delay_alu instid0(VALU_DEP_1) | instskip(NEXT) | instid1(VALU_DEP_1)
	v_add_nc_u32_e32 v7, v5, v7
	v_lshrrev_b32_e32 v7, s36, v7
	s_delay_alu instid0(VALU_DEP_1) | instskip(SKIP_1) | instid1(VALU_DEP_2)
	v_mul_hi_u32 v10, s38, v7
	v_mul_lo_u32 v12, v7, s18
	v_add_nc_u32_e32 v2, v7, v10
	v_mul_lo_u32 v10, v5, s15
	s_delay_alu instid0(VALU_DEP_3) | instskip(NEXT) | instid1(VALU_DEP_3)
	v_sub_nc_u32_e32 v5, v5, v12
	v_lshrrev_b32_e32 v2, s39, v2
	s_delay_alu instid0(VALU_DEP_2) | instskip(SKIP_2) | instid1(VALU_DEP_4)
	v_mul_lo_u32 v12, v5, s28
	v_mul_lo_u32 v5, v5, s29
	v_sub_nc_u32_e32 v3, v3, v10
	v_mul_lo_u32 v13, v2, s37
	s_delay_alu instid0(VALU_DEP_2) | instskip(SKIP_1) | instid1(VALU_DEP_3)
	v_mul_lo_u32 v10, v3, s26
	v_mul_lo_u32 v3, v3, s27
	v_sub_nc_u32_e32 v7, v7, v13
	s_delay_alu instid0(VALU_DEP_3) | instskip(NEXT) | instid1(VALU_DEP_2)
	v_add3_u32 v0, v9, v0, v10
	v_mul_lo_u32 v13, v7, s30
	v_mul_lo_u32 v7, v7, s31
	v_add3_u32 v1, v11, v1, v3
	s_delay_alu instid0(VALU_DEP_3) | instskip(NEXT) | instid1(VALU_DEP_2)
	v_add3_u32 v0, v12, v0, v13
	v_add3_u32 v1, v5, v1, v7
	s_cbranch_scc1 .LBB471_12
; %bb.13:
	s_and_b32 s7, s7, 3
	s_delay_alu instid0(SALU_CYCLE_1)
	s_cmp_eq_u32 s7, 0
	s_cbranch_scc0 .LBB471_24
	s_branch .LBB471_26
.LBB471_14:
	s_or_b32 exec_lo, exec_lo, s31
	s_delay_alu instid0(SALU_CYCLE_1)
	s_mov_b32 s31, exec_lo
	v_cmpx_gt_i32_e64 s28, v4
	s_cbranch_execz .LBB471_77
.LBB471_15:
	s_and_not1_b32 vcc_lo, exec_lo, s24
	s_cbranch_vccnz .LBB471_22
; %bb.16:
	v_dual_mov_b32 v0, 0 :: v_dual_mov_b32 v1, 0
	s_and_not1_b32 vcc_lo, exec_lo, s30
	s_mov_b32 s33, 0
	s_cbranch_vccnz .LBB471_88
; %bb.17:
	v_mov_b32_e32 v0, 0
	s_add_i32 s35, s29, 1
	s_cmp_eq_u32 s23, 2
	s_mov_b32 s34, 0
	s_cbranch_scc1 .LBB471_84
; %bb.18:
	v_dual_mov_b32 v1, 0 :: v_dual_mov_b32 v0, 0
	v_mov_b32_e32 v2, v4
	s_and_b32 s34, s35, 28
	s_mov_b32 s36, 0
	s_mov_b64 s[18:19], s[16:17]
	s_mov_b64 s[20:21], s[0:1]
.LBB471_19:                             ; =>This Inner Loop Header: Depth=1
	s_clause 0x1
	s_load_b256 s[40:47], s[20:21], 0x4
	s_load_b128 s[56:59], s[20:21], 0x24
	s_load_b256 s[48:55], s[18:19], 0x0
	s_add_u32 s20, s20, 48
	s_addc_u32 s21, s21, 0
	s_add_i32 s36, s36, 4
	s_add_u32 s18, s18, 32
	s_addc_u32 s19, s19, 0
	s_cmp_eq_u32 s34, s36
	s_waitcnt lgkmcnt(0)
	v_mul_hi_u32 v3, s41, v2
	s_delay_alu instid0(VALU_DEP_1) | instskip(NEXT) | instid1(VALU_DEP_1)
	v_add_nc_u32_e32 v3, v2, v3
	v_lshrrev_b32_e32 v3, s42, v3
	s_delay_alu instid0(VALU_DEP_1) | instskip(SKIP_1) | instid1(VALU_DEP_2)
	v_mul_hi_u32 v5, s44, v3
	v_mul_lo_u32 v7, v3, s40
	v_add_nc_u32_e32 v5, v3, v5
	s_delay_alu instid0(VALU_DEP_2) | instskip(NEXT) | instid1(VALU_DEP_2)
	v_sub_nc_u32_e32 v2, v2, v7
	v_lshrrev_b32_e32 v5, s45, v5
	s_delay_alu instid0(VALU_DEP_2) | instskip(SKIP_1) | instid1(VALU_DEP_3)
	v_mul_lo_u32 v7, v2, s48
	v_mul_lo_u32 v9, v2, s49
	v_mul_hi_u32 v6, s47, v5
	s_delay_alu instid0(VALU_DEP_1) | instskip(NEXT) | instid1(VALU_DEP_1)
	v_add_nc_u32_e32 v6, v5, v6
	v_lshrrev_b32_e32 v6, s56, v6
	s_delay_alu instid0(VALU_DEP_1) | instskip(SKIP_1) | instid1(VALU_DEP_2)
	v_mul_hi_u32 v8, s58, v6
	v_mul_lo_u32 v10, v6, s46
	v_add_nc_u32_e32 v2, v6, v8
	v_mul_lo_u32 v8, v5, s43
	s_delay_alu instid0(VALU_DEP_3) | instskip(NEXT) | instid1(VALU_DEP_3)
	v_sub_nc_u32_e32 v5, v5, v10
	v_lshrrev_b32_e32 v2, s59, v2
	s_delay_alu instid0(VALU_DEP_2) | instskip(SKIP_2) | instid1(VALU_DEP_4)
	v_mul_lo_u32 v10, v5, s52
	v_mul_lo_u32 v5, v5, s53
	v_sub_nc_u32_e32 v3, v3, v8
	v_mul_lo_u32 v11, v2, s57
	s_delay_alu instid0(VALU_DEP_2) | instskip(SKIP_1) | instid1(VALU_DEP_3)
	v_mul_lo_u32 v8, v3, s50
	v_mul_lo_u32 v3, v3, s51
	v_sub_nc_u32_e32 v6, v6, v11
	s_delay_alu instid0(VALU_DEP_3) | instskip(NEXT) | instid1(VALU_DEP_2)
	v_add3_u32 v0, v7, v0, v8
	v_mul_lo_u32 v11, v6, s54
	v_mul_lo_u32 v6, v6, s55
	v_add3_u32 v1, v9, v1, v3
	s_delay_alu instid0(VALU_DEP_3) | instskip(NEXT) | instid1(VALU_DEP_2)
	v_add3_u32 v0, v10, v0, v11
	v_add3_u32 v1, v5, v1, v6
	s_cbranch_scc0 .LBB471_19
	s_branch .LBB471_85
.LBB471_20:
	s_mov_b32 s6, -1
                                        ; implicit-def: $vgpr0
                                        ; implicit-def: $vgpr1
	s_branch .LBB471_26
.LBB471_21:
	s_mov_b32 s33, -1
                                        ; implicit-def: $vgpr0
                                        ; implicit-def: $vgpr1
	s_branch .LBB471_73
.LBB471_22:
	s_mov_b32 s33, -1
                                        ; implicit-def: $vgpr0
                                        ; implicit-def: $vgpr1
	s_branch .LBB471_88
.LBB471_23:
	v_dual_mov_b32 v2, v4 :: v_dual_mov_b32 v1, 0
	s_and_b32 s7, s7, 3
	s_delay_alu instid0(SALU_CYCLE_1)
	s_cmp_eq_u32 s7, 0
	s_cbranch_scc1 .LBB471_26
.LBB471_24:
	s_lshl_b32 s2, s8, 3
	s_mul_i32 s4, s8, 12
	s_add_u32 s2, s2, s0
	s_addc_u32 s3, 0, s1
	s_add_u32 s2, s2, 0xc4
	s_addc_u32 s3, s3, 0
	;; [unrolled: 2-line block ×3, first 2 shown]
	.p2align	6
.LBB471_25:                             ; =>This Inner Loop Header: Depth=1
	s_clause 0x1
	s_load_b64 s[8:9], s[4:5], 0x4
	s_load_b32 s12, s[4:5], 0xc
	s_load_b64 s[10:11], s[2:3], 0x0
	s_add_u32 s4, s4, 12
	s_addc_u32 s5, s5, 0
	s_add_u32 s2, s2, 8
	s_addc_u32 s3, s3, 0
	s_add_i32 s7, s7, -1
	s_delay_alu instid0(SALU_CYCLE_1) | instskip(SKIP_2) | instid1(VALU_DEP_1)
	s_cmp_lg_u32 s7, 0
	s_waitcnt lgkmcnt(0)
	v_mul_hi_u32 v3, s9, v2
	v_add_nc_u32_e32 v3, v2, v3
	s_delay_alu instid0(VALU_DEP_1) | instskip(NEXT) | instid1(VALU_DEP_1)
	v_lshrrev_b32_e32 v3, s12, v3
	v_mul_lo_u32 v5, v3, s8
	s_delay_alu instid0(VALU_DEP_1) | instskip(NEXT) | instid1(VALU_DEP_1)
	v_sub_nc_u32_e32 v2, v2, v5
	v_mad_u64_u32 v[9:10], null, v2, s10, v[0:1]
	v_mad_u64_u32 v[10:11], null, v2, s11, v[1:2]
	v_mov_b32_e32 v2, v3
	s_delay_alu instid0(VALU_DEP_2)
	v_dual_mov_b32 v0, v9 :: v_dual_mov_b32 v1, v10
	s_cbranch_scc1 .LBB471_25
.LBB471_26:
	s_and_not1_b32 vcc_lo, exec_lo, s6
	s_cbranch_vccnz .LBB471_29
; %bb.27:
	s_clause 0x1
	s_load_b128 s[4:7], s[0:1], 0x4
	s_load_b64 s[2:3], s[0:1], 0xc4
	s_cmp_lt_u32 s22, 2
	s_waitcnt lgkmcnt(0)
	v_mul_hi_u32 v0, s5, v4
	s_delay_alu instid0(VALU_DEP_1) | instskip(NEXT) | instid1(VALU_DEP_1)
	v_add_nc_u32_e32 v0, v4, v0
	v_lshrrev_b32_e32 v2, s6, v0
	s_delay_alu instid0(VALU_DEP_1) | instskip(NEXT) | instid1(VALU_DEP_1)
	v_mul_lo_u32 v0, v2, s4
	v_sub_nc_u32_e32 v1, v4, v0
	s_delay_alu instid0(VALU_DEP_1)
	v_mul_lo_u32 v0, v1, s2
	v_mul_lo_u32 v1, v1, s3
	s_cbranch_scc1 .LBB471_29
; %bb.28:
	s_clause 0x1
	s_load_b128 s[4:7], s[0:1], 0x10
	s_load_b64 s[2:3], s[0:1], 0xcc
	s_waitcnt lgkmcnt(0)
	v_mul_hi_u32 v3, s5, v2
	s_delay_alu instid0(VALU_DEP_1) | instskip(NEXT) | instid1(VALU_DEP_1)
	v_add_nc_u32_e32 v3, v2, v3
	v_lshrrev_b32_e32 v3, s6, v3
	s_delay_alu instid0(VALU_DEP_1) | instskip(NEXT) | instid1(VALU_DEP_1)
	v_mul_lo_u32 v3, v3, s4
	v_sub_nc_u32_e32 v5, v2, v3
	s_delay_alu instid0(VALU_DEP_1) | instskip(NEXT) | instid1(VALU_DEP_1)
	v_mad_u64_u32 v[2:3], null, v5, s2, v[0:1]
	v_mad_u64_u32 v[9:10], null, v5, s3, v[1:2]
	s_delay_alu instid0(VALU_DEP_1)
	v_dual_mov_b32 v0, v2 :: v_dual_mov_b32 v1, v9
.LBB471_29:
	v_cmp_ne_u32_e32 vcc_lo, 1, v6
	v_add_nc_u32_e32 v5, 0x80, v4
	s_cbranch_vccnz .LBB471_35
; %bb.30:
	v_dual_mov_b32 v2, 0 :: v_dual_mov_b32 v3, 0
	s_cmp_lg_u32 s22, 0
	s_mov_b32 s6, 0
	s_cbranch_scc0 .LBB471_39
; %bb.31:
	s_min_u32 s7, s23, 15
	v_mov_b32_e32 v2, 0
	s_add_i32 s7, s7, 1
	s_cmp_eq_u32 s23, 2
	s_mov_b32 s8, 0
	s_cbranch_scc1 .LBB471_36
; %bb.32:
	v_dual_mov_b32 v3, 0 :: v_dual_mov_b32 v2, 0
	v_mov_b32_e32 v7, v5
	s_add_u32 s2, s0, 0xc4
	s_addc_u32 s3, s1, 0
	s_and_b32 s8, s7, 28
	s_mov_b32 s9, 0
	s_mov_b64 s[4:5], s[0:1]
.LBB471_33:                             ; =>This Inner Loop Header: Depth=1
	s_clause 0x1
	s_load_b256 s[12:19], s[4:5], 0x4
	s_load_b128 s[36:39], s[4:5], 0x24
	s_load_b256 s[24:31], s[2:3], 0x0
	s_add_u32 s4, s4, 48
	s_addc_u32 s5, s5, 0
	s_add_i32 s9, s9, 4
	s_add_u32 s2, s2, 32
	s_addc_u32 s3, s3, 0
	s_cmp_lg_u32 s8, s9
	s_waitcnt lgkmcnt(0)
	v_mul_hi_u32 v9, s13, v7
	s_delay_alu instid0(VALU_DEP_1) | instskip(NEXT) | instid1(VALU_DEP_1)
	v_add_nc_u32_e32 v9, v7, v9
	v_lshrrev_b32_e32 v9, s14, v9
	s_delay_alu instid0(VALU_DEP_1) | instskip(SKIP_1) | instid1(VALU_DEP_2)
	v_mul_hi_u32 v10, s16, v9
	v_mul_lo_u32 v12, v9, s12
	v_add_nc_u32_e32 v10, v9, v10
	s_delay_alu instid0(VALU_DEP_2) | instskip(NEXT) | instid1(VALU_DEP_2)
	v_sub_nc_u32_e32 v7, v7, v12
	v_lshrrev_b32_e32 v10, s17, v10
	s_delay_alu instid0(VALU_DEP_2) | instskip(SKIP_1) | instid1(VALU_DEP_3)
	v_mul_lo_u32 v12, v7, s24
	v_mul_lo_u32 v14, v7, s25
	v_mul_hi_u32 v11, s19, v10
	s_delay_alu instid0(VALU_DEP_1) | instskip(NEXT) | instid1(VALU_DEP_1)
	v_add_nc_u32_e32 v11, v10, v11
	v_lshrrev_b32_e32 v11, s36, v11
	s_delay_alu instid0(VALU_DEP_1) | instskip(SKIP_1) | instid1(VALU_DEP_2)
	v_mul_hi_u32 v13, s38, v11
	v_mul_lo_u32 v15, v11, s18
	v_add_nc_u32_e32 v7, v11, v13
	v_mul_lo_u32 v13, v10, s15
	s_delay_alu instid0(VALU_DEP_3) | instskip(NEXT) | instid1(VALU_DEP_3)
	v_sub_nc_u32_e32 v10, v10, v15
	v_lshrrev_b32_e32 v7, s39, v7
	s_delay_alu instid0(VALU_DEP_2) | instskip(SKIP_2) | instid1(VALU_DEP_4)
	v_mul_lo_u32 v15, v10, s28
	v_mul_lo_u32 v10, v10, s29
	v_sub_nc_u32_e32 v9, v9, v13
	v_mul_lo_u32 v16, v7, s37
	s_delay_alu instid0(VALU_DEP_2) | instskip(SKIP_1) | instid1(VALU_DEP_3)
	v_mul_lo_u32 v13, v9, s26
	v_mul_lo_u32 v9, v9, s27
	v_sub_nc_u32_e32 v11, v11, v16
	s_delay_alu instid0(VALU_DEP_3) | instskip(NEXT) | instid1(VALU_DEP_2)
	v_add3_u32 v2, v12, v2, v13
	v_mul_lo_u32 v16, v11, s30
	v_mul_lo_u32 v11, v11, s31
	v_add3_u32 v3, v14, v3, v9
	s_delay_alu instid0(VALU_DEP_3) | instskip(NEXT) | instid1(VALU_DEP_2)
	v_add3_u32 v2, v15, v2, v16
	v_add3_u32 v3, v10, v3, v11
	s_cbranch_scc1 .LBB471_33
; %bb.34:
	s_and_b32 s7, s7, 3
	s_delay_alu instid0(SALU_CYCLE_1)
	s_cmp_eq_u32 s7, 0
	s_cbranch_scc0 .LBB471_37
	s_branch .LBB471_39
.LBB471_35:
	s_mov_b32 s6, -1
                                        ; implicit-def: $vgpr2
                                        ; implicit-def: $vgpr3
	s_branch .LBB471_39
.LBB471_36:
	v_mov_b32_e32 v7, v5
	v_mov_b32_e32 v3, 0
	s_and_b32 s7, s7, 3
	s_delay_alu instid0(SALU_CYCLE_1)
	s_cmp_eq_u32 s7, 0
	s_cbranch_scc1 .LBB471_39
.LBB471_37:
	s_lshl_b32 s2, s8, 3
	s_mul_i32 s4, s8, 12
	s_add_u32 s2, s2, s0
	s_addc_u32 s3, 0, s1
	s_add_u32 s2, s2, 0xc4
	s_addc_u32 s3, s3, 0
	;; [unrolled: 2-line block ×3, first 2 shown]
	.p2align	6
.LBB471_38:                             ; =>This Inner Loop Header: Depth=1
	s_clause 0x1
	s_load_b64 s[8:9], s[4:5], 0x4
	s_load_b32 s12, s[4:5], 0xc
	s_load_b64 s[10:11], s[2:3], 0x0
	s_add_u32 s4, s4, 12
	s_addc_u32 s5, s5, 0
	s_add_u32 s2, s2, 8
	s_addc_u32 s3, s3, 0
	s_add_i32 s7, s7, -1
	s_delay_alu instid0(SALU_CYCLE_1) | instskip(SKIP_2) | instid1(VALU_DEP_1)
	s_cmp_lg_u32 s7, 0
	s_waitcnt lgkmcnt(0)
	v_mul_hi_u32 v9, s9, v7
	v_add_nc_u32_e32 v9, v7, v9
	s_delay_alu instid0(VALU_DEP_1) | instskip(NEXT) | instid1(VALU_DEP_1)
	v_lshrrev_b32_e32 v12, s12, v9
	v_mul_lo_u32 v9, v12, s8
	s_delay_alu instid0(VALU_DEP_1) | instskip(NEXT) | instid1(VALU_DEP_1)
	v_sub_nc_u32_e32 v7, v7, v9
	v_mad_u64_u32 v[9:10], null, v7, s10, v[2:3]
	v_mad_u64_u32 v[10:11], null, v7, s11, v[3:4]
	s_delay_alu instid0(VALU_DEP_2) | instskip(NEXT) | instid1(VALU_DEP_2)
	v_dual_mov_b32 v7, v12 :: v_dual_mov_b32 v2, v9
	v_mov_b32_e32 v3, v10
	s_cbranch_scc1 .LBB471_38
.LBB471_39:
	s_and_not1_b32 vcc_lo, exec_lo, s6
	s_cbranch_vccnz .LBB471_42
; %bb.40:
	s_clause 0x1
	s_load_b128 s[4:7], s[0:1], 0x4
	s_load_b64 s[2:3], s[0:1], 0xc4
	s_cmp_lt_u32 s22, 2
	s_waitcnt lgkmcnt(0)
	v_mul_hi_u32 v2, s5, v5
	s_delay_alu instid0(VALU_DEP_1) | instskip(NEXT) | instid1(VALU_DEP_1)
	v_add_nc_u32_e32 v2, v5, v2
	v_lshrrev_b32_e32 v7, s6, v2
	s_delay_alu instid0(VALU_DEP_1) | instskip(NEXT) | instid1(VALU_DEP_1)
	v_mul_lo_u32 v2, v7, s4
	v_sub_nc_u32_e32 v3, v5, v2
	s_delay_alu instid0(VALU_DEP_1)
	v_mul_lo_u32 v2, v3, s2
	v_mul_lo_u32 v3, v3, s3
	s_cbranch_scc1 .LBB471_42
; %bb.41:
	s_clause 0x1
	s_load_b128 s[4:7], s[0:1], 0x10
	s_load_b64 s[2:3], s[0:1], 0xcc
	s_waitcnt lgkmcnt(0)
	v_mul_hi_u32 v5, s5, v7
	s_delay_alu instid0(VALU_DEP_1) | instskip(NEXT) | instid1(VALU_DEP_1)
	v_add_nc_u32_e32 v5, v7, v5
	v_lshrrev_b32_e32 v5, s6, v5
	s_delay_alu instid0(VALU_DEP_1) | instskip(NEXT) | instid1(VALU_DEP_1)
	v_mul_lo_u32 v5, v5, s4
	v_sub_nc_u32_e32 v5, v7, v5
	s_delay_alu instid0(VALU_DEP_1) | instskip(SKIP_1) | instid1(VALU_DEP_1)
	v_mad_u64_u32 v[9:10], null, v5, s2, v[2:3]
	v_mad_u64_u32 v[10:11], null, v5, s3, v[3:4]
	v_dual_mov_b32 v2, v9 :: v_dual_mov_b32 v3, v10
.LBB471_42:
	v_cmp_ne_u32_e32 vcc_lo, 1, v6
	v_add_nc_u32_e32 v7, 0x100, v4
	s_cbranch_vccnz .LBB471_48
; %bb.43:
	v_dual_mov_b32 v4, 0 :: v_dual_mov_b32 v5, 0
	s_cmp_lg_u32 s22, 0
	s_mov_b32 s6, 0
	s_cbranch_scc0 .LBB471_52
; %bb.44:
	s_min_u32 s7, s23, 15
	v_mov_b32_e32 v4, 0
	s_add_i32 s7, s7, 1
	s_cmp_eq_u32 s23, 2
	s_mov_b32 s8, 0
	s_cbranch_scc1 .LBB471_49
; %bb.45:
	v_dual_mov_b32 v5, 0 :: v_dual_mov_b32 v4, 0
	v_mov_b32_e32 v9, v7
	s_add_u32 s2, s0, 0xc4
	s_addc_u32 s3, s1, 0
	s_and_b32 s8, s7, 28
	s_mov_b32 s9, 0
	s_mov_b64 s[4:5], s[0:1]
.LBB471_46:                             ; =>This Inner Loop Header: Depth=1
	s_clause 0x1
	s_load_b256 s[12:19], s[4:5], 0x4
	s_load_b128 s[36:39], s[4:5], 0x24
	s_load_b256 s[24:31], s[2:3], 0x0
	s_add_u32 s4, s4, 48
	s_addc_u32 s5, s5, 0
	s_add_i32 s9, s9, 4
	s_add_u32 s2, s2, 32
	s_addc_u32 s3, s3, 0
	s_cmp_lg_u32 s8, s9
	s_waitcnt lgkmcnt(0)
	v_mul_hi_u32 v10, s13, v9
	s_delay_alu instid0(VALU_DEP_1) | instskip(NEXT) | instid1(VALU_DEP_1)
	v_add_nc_u32_e32 v10, v9, v10
	v_lshrrev_b32_e32 v10, s14, v10
	s_delay_alu instid0(VALU_DEP_1) | instskip(SKIP_1) | instid1(VALU_DEP_2)
	v_mul_hi_u32 v11, s16, v10
	v_mul_lo_u32 v13, v10, s12
	v_add_nc_u32_e32 v11, v10, v11
	s_delay_alu instid0(VALU_DEP_2) | instskip(NEXT) | instid1(VALU_DEP_2)
	v_sub_nc_u32_e32 v9, v9, v13
	v_lshrrev_b32_e32 v11, s17, v11
	s_delay_alu instid0(VALU_DEP_2) | instskip(SKIP_1) | instid1(VALU_DEP_3)
	v_mul_lo_u32 v13, v9, s24
	v_mul_lo_u32 v15, v9, s25
	v_mul_hi_u32 v12, s19, v11
	s_delay_alu instid0(VALU_DEP_1) | instskip(NEXT) | instid1(VALU_DEP_1)
	v_add_nc_u32_e32 v12, v11, v12
	v_lshrrev_b32_e32 v12, s36, v12
	s_delay_alu instid0(VALU_DEP_1) | instskip(SKIP_1) | instid1(VALU_DEP_2)
	v_mul_hi_u32 v14, s38, v12
	v_mul_lo_u32 v16, v12, s18
	v_add_nc_u32_e32 v9, v12, v14
	v_mul_lo_u32 v14, v11, s15
	s_delay_alu instid0(VALU_DEP_3) | instskip(NEXT) | instid1(VALU_DEP_3)
	v_sub_nc_u32_e32 v11, v11, v16
	v_lshrrev_b32_e32 v9, s39, v9
	s_delay_alu instid0(VALU_DEP_2) | instskip(SKIP_2) | instid1(VALU_DEP_4)
	v_mul_lo_u32 v16, v11, s28
	v_mul_lo_u32 v11, v11, s29
	v_sub_nc_u32_e32 v10, v10, v14
	v_mul_lo_u32 v17, v9, s37
	s_delay_alu instid0(VALU_DEP_2) | instskip(SKIP_1) | instid1(VALU_DEP_3)
	v_mul_lo_u32 v14, v10, s26
	v_mul_lo_u32 v10, v10, s27
	v_sub_nc_u32_e32 v12, v12, v17
	s_delay_alu instid0(VALU_DEP_3) | instskip(NEXT) | instid1(VALU_DEP_2)
	v_add3_u32 v4, v13, v4, v14
	v_mul_lo_u32 v17, v12, s30
	v_mul_lo_u32 v12, v12, s31
	v_add3_u32 v5, v15, v5, v10
	s_delay_alu instid0(VALU_DEP_3) | instskip(NEXT) | instid1(VALU_DEP_2)
	v_add3_u32 v4, v16, v4, v17
	v_add3_u32 v5, v11, v5, v12
	s_cbranch_scc1 .LBB471_46
; %bb.47:
	s_and_b32 s7, s7, 3
	s_delay_alu instid0(SALU_CYCLE_1)
	s_cmp_eq_u32 s7, 0
	s_cbranch_scc0 .LBB471_50
	s_branch .LBB471_52
.LBB471_48:
	s_mov_b32 s6, -1
                                        ; implicit-def: $vgpr4
                                        ; implicit-def: $vgpr5
	s_branch .LBB471_52
.LBB471_49:
	v_mov_b32_e32 v9, v7
	v_mov_b32_e32 v5, 0
	s_and_b32 s7, s7, 3
	s_delay_alu instid0(SALU_CYCLE_1)
	s_cmp_eq_u32 s7, 0
	s_cbranch_scc1 .LBB471_52
.LBB471_50:
	s_lshl_b32 s2, s8, 3
	s_mul_i32 s4, s8, 12
	s_add_u32 s2, s2, s0
	s_addc_u32 s3, 0, s1
	s_add_u32 s2, s2, 0xc4
	s_addc_u32 s3, s3, 0
	;; [unrolled: 2-line block ×3, first 2 shown]
	.p2align	6
.LBB471_51:                             ; =>This Inner Loop Header: Depth=1
	s_clause 0x1
	s_load_b64 s[8:9], s[4:5], 0x4
	s_load_b32 s12, s[4:5], 0xc
	s_load_b64 s[10:11], s[2:3], 0x0
	s_add_u32 s4, s4, 12
	s_addc_u32 s5, s5, 0
	s_add_u32 s2, s2, 8
	s_addc_u32 s3, s3, 0
	s_add_i32 s7, s7, -1
	s_delay_alu instid0(SALU_CYCLE_1) | instskip(SKIP_2) | instid1(VALU_DEP_1)
	s_cmp_lg_u32 s7, 0
	s_waitcnt lgkmcnt(0)
	v_mul_hi_u32 v10, s9, v9
	v_add_nc_u32_e32 v10, v9, v10
	s_delay_alu instid0(VALU_DEP_1) | instskip(NEXT) | instid1(VALU_DEP_1)
	v_lshrrev_b32_e32 v13, s12, v10
	v_mul_lo_u32 v10, v13, s8
	s_delay_alu instid0(VALU_DEP_1) | instskip(NEXT) | instid1(VALU_DEP_1)
	v_sub_nc_u32_e32 v9, v9, v10
	v_mad_u64_u32 v[10:11], null, v9, s10, v[4:5]
	v_mad_u64_u32 v[11:12], null, v9, s11, v[5:6]
	s_delay_alu instid0(VALU_DEP_2) | instskip(NEXT) | instid1(VALU_DEP_2)
	v_dual_mov_b32 v9, v13 :: v_dual_mov_b32 v4, v10
	v_mov_b32_e32 v5, v11
	s_cbranch_scc1 .LBB471_51
.LBB471_52:
	s_and_not1_b32 vcc_lo, exec_lo, s6
	s_cbranch_vccnz .LBB471_55
; %bb.53:
	s_clause 0x1
	s_load_b128 s[4:7], s[0:1], 0x4
	s_load_b64 s[2:3], s[0:1], 0xc4
	s_cmp_lt_u32 s22, 2
	s_waitcnt lgkmcnt(0)
	v_mul_hi_u32 v4, s5, v7
	s_delay_alu instid0(VALU_DEP_1) | instskip(NEXT) | instid1(VALU_DEP_1)
	v_add_nc_u32_e32 v4, v7, v4
	v_lshrrev_b32_e32 v9, s6, v4
	s_delay_alu instid0(VALU_DEP_1) | instskip(NEXT) | instid1(VALU_DEP_1)
	v_mul_lo_u32 v4, v9, s4
	v_sub_nc_u32_e32 v5, v7, v4
	s_delay_alu instid0(VALU_DEP_1)
	v_mul_lo_u32 v4, v5, s2
	v_mul_lo_u32 v5, v5, s3
	s_cbranch_scc1 .LBB471_55
; %bb.54:
	s_clause 0x1
	s_load_b128 s[4:7], s[0:1], 0x10
	s_load_b64 s[2:3], s[0:1], 0xcc
	s_waitcnt lgkmcnt(0)
	v_mul_hi_u32 v7, s5, v9
	s_delay_alu instid0(VALU_DEP_1) | instskip(NEXT) | instid1(VALU_DEP_1)
	v_add_nc_u32_e32 v7, v9, v7
	v_lshrrev_b32_e32 v7, s6, v7
	s_delay_alu instid0(VALU_DEP_1) | instskip(NEXT) | instid1(VALU_DEP_1)
	v_mul_lo_u32 v7, v7, s4
	v_sub_nc_u32_e32 v7, v9, v7
	s_delay_alu instid0(VALU_DEP_1) | instskip(SKIP_1) | instid1(VALU_DEP_1)
	v_mad_u64_u32 v[9:10], null, v7, s2, v[4:5]
	v_mad_u64_u32 v[10:11], null, v7, s3, v[5:6]
	v_dual_mov_b32 v4, v9 :: v_dual_mov_b32 v5, v10
.LBB471_55:
	v_cmp_ne_u32_e32 vcc_lo, 1, v6
	s_cbranch_vccnz .LBB471_61
; %bb.56:
	v_dual_mov_b32 v6, 0 :: v_dual_mov_b32 v7, 0
	s_cmp_lg_u32 s22, 0
	s_mov_b32 s6, 0
	s_cbranch_scc0 .LBB471_65
; %bb.57:
	s_min_u32 s7, s23, 15
	v_mov_b32_e32 v6, 0
	s_add_i32 s7, s7, 1
	s_cmp_eq_u32 s23, 2
	s_mov_b32 s8, 0
	s_cbranch_scc1 .LBB471_62
; %bb.58:
	v_dual_mov_b32 v7, 0 :: v_dual_mov_b32 v6, 0
	v_mov_b32_e32 v9, v8
	s_add_u32 s2, s0, 0xc4
	s_addc_u32 s3, s1, 0
	s_and_b32 s8, s7, 28
	s_mov_b32 s9, 0
	s_mov_b64 s[4:5], s[0:1]
.LBB471_59:                             ; =>This Inner Loop Header: Depth=1
	s_clause 0x1
	s_load_b256 s[12:19], s[4:5], 0x4
	s_load_b128 s[36:39], s[4:5], 0x24
	s_load_b256 s[24:31], s[2:3], 0x0
	s_add_u32 s4, s4, 48
	s_addc_u32 s5, s5, 0
	s_add_i32 s9, s9, 4
	s_add_u32 s2, s2, 32
	s_addc_u32 s3, s3, 0
	s_cmp_lg_u32 s8, s9
	s_waitcnt lgkmcnt(0)
	v_mul_hi_u32 v10, s13, v9
	s_delay_alu instid0(VALU_DEP_1) | instskip(NEXT) | instid1(VALU_DEP_1)
	v_add_nc_u32_e32 v10, v9, v10
	v_lshrrev_b32_e32 v10, s14, v10
	s_delay_alu instid0(VALU_DEP_1) | instskip(SKIP_1) | instid1(VALU_DEP_2)
	v_mul_hi_u32 v11, s16, v10
	v_mul_lo_u32 v13, v10, s12
	v_add_nc_u32_e32 v11, v10, v11
	s_delay_alu instid0(VALU_DEP_2) | instskip(NEXT) | instid1(VALU_DEP_2)
	v_sub_nc_u32_e32 v9, v9, v13
	v_lshrrev_b32_e32 v11, s17, v11
	s_delay_alu instid0(VALU_DEP_2) | instskip(SKIP_1) | instid1(VALU_DEP_3)
	v_mul_lo_u32 v13, v9, s24
	v_mul_lo_u32 v15, v9, s25
	v_mul_hi_u32 v12, s19, v11
	s_delay_alu instid0(VALU_DEP_1) | instskip(NEXT) | instid1(VALU_DEP_1)
	v_add_nc_u32_e32 v12, v11, v12
	v_lshrrev_b32_e32 v12, s36, v12
	s_delay_alu instid0(VALU_DEP_1) | instskip(SKIP_1) | instid1(VALU_DEP_2)
	v_mul_hi_u32 v14, s38, v12
	v_mul_lo_u32 v16, v12, s18
	v_add_nc_u32_e32 v9, v12, v14
	v_mul_lo_u32 v14, v11, s15
	s_delay_alu instid0(VALU_DEP_3) | instskip(NEXT) | instid1(VALU_DEP_3)
	v_sub_nc_u32_e32 v11, v11, v16
	v_lshrrev_b32_e32 v9, s39, v9
	s_delay_alu instid0(VALU_DEP_2) | instskip(SKIP_2) | instid1(VALU_DEP_4)
	v_mul_lo_u32 v16, v11, s28
	v_mul_lo_u32 v11, v11, s29
	v_sub_nc_u32_e32 v10, v10, v14
	v_mul_lo_u32 v17, v9, s37
	s_delay_alu instid0(VALU_DEP_2) | instskip(SKIP_1) | instid1(VALU_DEP_3)
	v_mul_lo_u32 v14, v10, s26
	v_mul_lo_u32 v10, v10, s27
	v_sub_nc_u32_e32 v12, v12, v17
	s_delay_alu instid0(VALU_DEP_3) | instskip(NEXT) | instid1(VALU_DEP_2)
	v_add3_u32 v6, v13, v6, v14
	v_mul_lo_u32 v17, v12, s30
	v_mul_lo_u32 v12, v12, s31
	v_add3_u32 v7, v15, v7, v10
	s_delay_alu instid0(VALU_DEP_3) | instskip(NEXT) | instid1(VALU_DEP_2)
	v_add3_u32 v6, v16, v6, v17
	v_add3_u32 v7, v11, v7, v12
	s_cbranch_scc1 .LBB471_59
; %bb.60:
	s_and_b32 s7, s7, 3
	s_delay_alu instid0(SALU_CYCLE_1)
	s_cmp_eq_u32 s7, 0
	s_cbranch_scc0 .LBB471_63
	s_branch .LBB471_65
.LBB471_61:
	s_mov_b32 s6, -1
                                        ; implicit-def: $vgpr6
                                        ; implicit-def: $vgpr7
	s_branch .LBB471_65
.LBB471_62:
	v_mov_b32_e32 v9, v8
	v_mov_b32_e32 v7, 0
	s_and_b32 s7, s7, 3
	s_delay_alu instid0(SALU_CYCLE_1)
	s_cmp_eq_u32 s7, 0
	s_cbranch_scc1 .LBB471_65
.LBB471_63:
	s_lshl_b32 s2, s8, 3
	s_mul_i32 s4, s8, 12
	s_add_u32 s2, s2, s0
	s_addc_u32 s3, 0, s1
	s_add_u32 s2, s2, 0xc4
	s_addc_u32 s3, s3, 0
	;; [unrolled: 2-line block ×3, first 2 shown]
	.p2align	6
.LBB471_64:                             ; =>This Inner Loop Header: Depth=1
	s_clause 0x1
	s_load_b64 s[8:9], s[4:5], 0x4
	s_load_b32 s12, s[4:5], 0xc
	s_load_b64 s[10:11], s[2:3], 0x0
	s_add_u32 s4, s4, 12
	s_addc_u32 s5, s5, 0
	s_add_u32 s2, s2, 8
	s_addc_u32 s3, s3, 0
	s_add_i32 s7, s7, -1
	s_delay_alu instid0(SALU_CYCLE_1) | instskip(SKIP_2) | instid1(VALU_DEP_1)
	s_cmp_lg_u32 s7, 0
	s_waitcnt lgkmcnt(0)
	v_mul_hi_u32 v10, s9, v9
	v_add_nc_u32_e32 v10, v9, v10
	s_delay_alu instid0(VALU_DEP_1) | instskip(NEXT) | instid1(VALU_DEP_1)
	v_lshrrev_b32_e32 v13, s12, v10
	v_mul_lo_u32 v10, v13, s8
	s_delay_alu instid0(VALU_DEP_1) | instskip(NEXT) | instid1(VALU_DEP_1)
	v_sub_nc_u32_e32 v9, v9, v10
	v_mad_u64_u32 v[10:11], null, v9, s10, v[6:7]
	v_mad_u64_u32 v[11:12], null, v9, s11, v[7:8]
	s_delay_alu instid0(VALU_DEP_2) | instskip(NEXT) | instid1(VALU_DEP_2)
	v_dual_mov_b32 v9, v13 :: v_dual_mov_b32 v6, v10
	v_mov_b32_e32 v7, v11
	s_cbranch_scc1 .LBB471_64
.LBB471_65:
	s_and_not1_b32 vcc_lo, exec_lo, s6
	s_cbranch_vccnz .LBB471_68
; %bb.66:
	s_clause 0x1
	s_load_b128 s[4:7], s[0:1], 0x4
	s_load_b64 s[2:3], s[0:1], 0xc4
	s_cmp_lt_u32 s22, 2
	s_waitcnt lgkmcnt(0)
	v_mul_hi_u32 v6, s5, v8
	s_delay_alu instid0(VALU_DEP_1) | instskip(NEXT) | instid1(VALU_DEP_1)
	v_add_nc_u32_e32 v6, v8, v6
	v_lshrrev_b32_e32 v9, s6, v6
	s_delay_alu instid0(VALU_DEP_1) | instskip(NEXT) | instid1(VALU_DEP_1)
	v_mul_lo_u32 v6, v9, s4
	v_sub_nc_u32_e32 v7, v8, v6
	s_delay_alu instid0(VALU_DEP_1)
	v_mul_lo_u32 v6, v7, s2
	v_mul_lo_u32 v7, v7, s3
	s_cbranch_scc1 .LBB471_68
; %bb.67:
	s_clause 0x1
	s_load_b128 s[4:7], s[0:1], 0x10
	s_load_b64 s[2:3], s[0:1], 0xcc
	s_waitcnt lgkmcnt(0)
	v_mul_hi_u32 v8, s5, v9
	s_delay_alu instid0(VALU_DEP_1) | instskip(NEXT) | instid1(VALU_DEP_1)
	v_add_nc_u32_e32 v8, v9, v8
	v_lshrrev_b32_e32 v8, s6, v8
	s_delay_alu instid0(VALU_DEP_1) | instskip(NEXT) | instid1(VALU_DEP_1)
	v_mul_lo_u32 v8, v8, s4
	v_sub_nc_u32_e32 v11, v9, v8
	s_delay_alu instid0(VALU_DEP_1) | instskip(NEXT) | instid1(VALU_DEP_1)
	v_mad_u64_u32 v[8:9], null, v11, s2, v[6:7]
	v_mad_u64_u32 v[9:10], null, v11, s3, v[7:8]
	s_delay_alu instid0(VALU_DEP_1)
	v_dual_mov_b32 v6, v8 :: v_dual_mov_b32 v7, v9
.LBB471_68:
	s_clause 0x1
	s_load_b128 s[4:7], s[0:1], 0x148
	s_load_b32 s0, s[0:1], 0x158
	s_waitcnt lgkmcnt(0)
	s_clause 0x3
	global_load_b32 v1, v1, s[6:7]
	global_load_b32 v3, v3, s[6:7]
	;; [unrolled: 1-line block ×4, first 2 shown]
	v_max_f32_e64 v8, s0, s0
	s_waitcnt vmcnt(2)
	v_dual_max_f32 v9, v1, v1 :: v_dual_max_f32 v10, v3, v3
	v_cmp_u_f32_e32 vcc_lo, v1, v1
	s_waitcnt vmcnt(0)
	v_dual_max_f32 v11, v5, v5 :: v_dual_max_f32 v12, v7, v7
	s_delay_alu instid0(VALU_DEP_3) | instskip(SKIP_1) | instid1(VALU_DEP_3)
	v_min_f32_e32 v9, v9, v8
	v_min_f32_e32 v10, v10, v8
	;; [unrolled: 1-line block ×3, first 2 shown]
	s_delay_alu instid0(VALU_DEP_3) | instskip(SKIP_1) | instid1(VALU_DEP_4)
	v_cndmask_b32_e32 v1, v9, v1, vcc_lo
	v_cmp_u_f32_e32 vcc_lo, v3, v3
	v_dual_min_f32 v8, v12, v8 :: v_dual_cndmask_b32 v3, v10, v3
	v_cmp_u_f32_e32 vcc_lo, v5, v5
	v_cndmask_b32_e32 v5, v11, v5, vcc_lo
	v_cmp_u_f32_e32 vcc_lo, v7, v7
	s_delay_alu instid0(VALU_DEP_4)
	v_cndmask_b32_e32 v7, v8, v7, vcc_lo
	s_clause 0x3
	global_store_b32 v0, v1, s[4:5]
	global_store_b32 v2, v3, s[4:5]
	;; [unrolled: 1-line block ×4, first 2 shown]
	s_nop 0
	s_sendmsg sendmsg(MSG_DEALLOC_VGPRS)
	s_endpgm
.LBB471_69:
	v_dual_mov_b32 v2, v4 :: v_dual_mov_b32 v1, 0
.LBB471_70:
	s_and_b32 s35, s35, 3
	s_delay_alu instid0(SALU_CYCLE_1)
	s_cmp_eq_u32 s35, 0
	s_cbranch_scc1 .LBB471_73
; %bb.71:
	s_lshl_b32 s18, s34, 3
	s_mul_i32 s20, s34, 12
	s_add_u32 s18, s18, s0
	s_addc_u32 s19, s1, 0
	s_add_u32 s18, s18, 0xc4
	s_addc_u32 s19, s19, 0
	;; [unrolled: 2-line block ×3, first 2 shown]
	.p2align	6
.LBB471_72:                             ; =>This Inner Loop Header: Depth=1
	s_clause 0x1
	s_load_b64 s[36:37], s[20:21], 0x4
	s_load_b32 s34, s[20:21], 0xc
	s_load_b64 s[38:39], s[18:19], 0x0
	s_add_u32 s20, s20, 12
	s_addc_u32 s21, s21, 0
	s_add_u32 s18, s18, 8
	s_addc_u32 s19, s19, 0
	s_add_i32 s35, s35, -1
	s_delay_alu instid0(SALU_CYCLE_1) | instskip(SKIP_2) | instid1(VALU_DEP_1)
	s_cmp_lg_u32 s35, 0
	s_waitcnt lgkmcnt(0)
	v_mul_hi_u32 v3, s37, v2
	v_add_nc_u32_e32 v3, v2, v3
	s_delay_alu instid0(VALU_DEP_1) | instskip(NEXT) | instid1(VALU_DEP_1)
	v_lshrrev_b32_e32 v3, s34, v3
	v_mul_lo_u32 v5, v3, s36
	s_delay_alu instid0(VALU_DEP_1) | instskip(NEXT) | instid1(VALU_DEP_1)
	v_sub_nc_u32_e32 v2, v2, v5
	v_mad_u64_u32 v[5:6], null, v2, s38, v[0:1]
	v_mad_u64_u32 v[6:7], null, v2, s39, v[1:2]
	v_mov_b32_e32 v2, v3
	s_delay_alu instid0(VALU_DEP_2)
	v_dual_mov_b32 v0, v5 :: v_dual_mov_b32 v1, v6
	s_cbranch_scc1 .LBB471_72
.LBB471_73:
	s_and_not1_b32 vcc_lo, exec_lo, s33
	s_cbranch_vccnz .LBB471_76
; %bb.74:
	s_waitcnt lgkmcnt(0)
	v_mul_hi_u32 v0, s13, v4
	s_and_not1_b32 vcc_lo, exec_lo, s27
	s_delay_alu instid0(VALU_DEP_1) | instskip(NEXT) | instid1(VALU_DEP_1)
	v_add_nc_u32_e32 v0, v4, v0
	v_lshrrev_b32_e32 v2, s14, v0
	s_delay_alu instid0(VALU_DEP_1) | instskip(NEXT) | instid1(VALU_DEP_1)
	v_mul_lo_u32 v0, v2, s12
	v_sub_nc_u32_e32 v1, v4, v0
	s_delay_alu instid0(VALU_DEP_1)
	v_mul_lo_u32 v0, v1, s8
	v_mul_lo_u32 v1, v1, s9
	s_cbranch_vccnz .LBB471_76
; %bb.75:
	v_mul_hi_u32 v3, s2, v2
	s_delay_alu instid0(VALU_DEP_1) | instskip(NEXT) | instid1(VALU_DEP_1)
	v_add_nc_u32_e32 v3, v2, v3
	v_lshrrev_b32_e32 v3, s3, v3
	s_delay_alu instid0(VALU_DEP_1) | instskip(NEXT) | instid1(VALU_DEP_1)
	v_mul_lo_u32 v3, v3, s15
	v_sub_nc_u32_e32 v7, v2, v3
	s_delay_alu instid0(VALU_DEP_1) | instskip(NEXT) | instid1(VALU_DEP_1)
	v_mad_u64_u32 v[2:3], null, v7, s10, v[0:1]
	v_mad_u64_u32 v[5:6], null, v7, s11, v[1:2]
	s_delay_alu instid0(VALU_DEP_1)
	v_dual_mov_b32 v0, v2 :: v_dual_mov_b32 v1, v5
.LBB471_76:
	s_waitcnt lgkmcnt(0)
	global_load_b32 v1, v1, s[6:7]
	v_max_f32_e64 v3, s26, s26
	v_add_nc_u32_e32 v4, 0x80, v4
	s_waitcnt vmcnt(0)
	v_max_f32_e32 v2, v1, v1
	v_cmp_u_f32_e32 vcc_lo, v1, v1
	s_delay_alu instid0(VALU_DEP_2) | instskip(NEXT) | instid1(VALU_DEP_1)
	v_min_f32_e32 v2, v2, v3
	v_cndmask_b32_e32 v1, v2, v1, vcc_lo
	global_store_b32 v0, v1, s[4:5]
	s_or_b32 exec_lo, exec_lo, s31
	s_delay_alu instid0(SALU_CYCLE_1)
	s_mov_b32 s31, exec_lo
	v_cmpx_gt_i32_e64 s28, v4
	s_cbranch_execnz .LBB471_15
.LBB471_77:
	s_or_b32 exec_lo, exec_lo, s31
	s_delay_alu instid0(SALU_CYCLE_1)
	s_mov_b32 s31, exec_lo
	v_cmpx_gt_i32_e64 s28, v4
	s_cbranch_execz .LBB471_92
.LBB471_78:
	s_and_not1_b32 vcc_lo, exec_lo, s24
	s_cbranch_vccnz .LBB471_83
; %bb.79:
	v_dual_mov_b32 v0, 0 :: v_dual_mov_b32 v1, 0
	s_and_not1_b32 vcc_lo, exec_lo, s30
	s_mov_b32 s33, 0
	s_cbranch_vccnz .LBB471_99
; %bb.80:
	v_mov_b32_e32 v0, 0
	s_add_i32 s35, s29, 1
	s_cmp_eq_u32 s23, 2
	s_mov_b32 s34, 0
	s_cbranch_scc1 .LBB471_95
; %bb.81:
	v_dual_mov_b32 v1, 0 :: v_dual_mov_b32 v0, 0
	v_mov_b32_e32 v2, v4
	s_and_b32 s34, s35, 28
	s_mov_b32 s36, 0
	s_mov_b64 s[18:19], s[16:17]
	s_mov_b64 s[20:21], s[0:1]
.LBB471_82:                             ; =>This Inner Loop Header: Depth=1
	s_clause 0x1
	s_load_b256 s[40:47], s[20:21], 0x4
	s_load_b128 s[56:59], s[20:21], 0x24
	s_load_b256 s[48:55], s[18:19], 0x0
	s_add_u32 s20, s20, 48
	s_addc_u32 s21, s21, 0
	s_add_i32 s36, s36, 4
	s_add_u32 s18, s18, 32
	s_addc_u32 s19, s19, 0
	s_cmp_eq_u32 s34, s36
	s_waitcnt lgkmcnt(0)
	v_mul_hi_u32 v3, s41, v2
	s_delay_alu instid0(VALU_DEP_1) | instskip(NEXT) | instid1(VALU_DEP_1)
	v_add_nc_u32_e32 v3, v2, v3
	v_lshrrev_b32_e32 v3, s42, v3
	s_delay_alu instid0(VALU_DEP_1) | instskip(SKIP_1) | instid1(VALU_DEP_2)
	v_mul_hi_u32 v5, s44, v3
	v_mul_lo_u32 v7, v3, s40
	v_add_nc_u32_e32 v5, v3, v5
	s_delay_alu instid0(VALU_DEP_2) | instskip(NEXT) | instid1(VALU_DEP_2)
	v_sub_nc_u32_e32 v2, v2, v7
	v_lshrrev_b32_e32 v5, s45, v5
	s_delay_alu instid0(VALU_DEP_2) | instskip(SKIP_1) | instid1(VALU_DEP_3)
	v_mul_lo_u32 v7, v2, s48
	v_mul_lo_u32 v9, v2, s49
	v_mul_hi_u32 v6, s47, v5
	s_delay_alu instid0(VALU_DEP_1) | instskip(NEXT) | instid1(VALU_DEP_1)
	v_add_nc_u32_e32 v6, v5, v6
	v_lshrrev_b32_e32 v6, s56, v6
	s_delay_alu instid0(VALU_DEP_1) | instskip(SKIP_1) | instid1(VALU_DEP_2)
	v_mul_hi_u32 v8, s58, v6
	v_mul_lo_u32 v10, v6, s46
	v_add_nc_u32_e32 v2, v6, v8
	v_mul_lo_u32 v8, v5, s43
	s_delay_alu instid0(VALU_DEP_3) | instskip(NEXT) | instid1(VALU_DEP_3)
	v_sub_nc_u32_e32 v5, v5, v10
	v_lshrrev_b32_e32 v2, s59, v2
	s_delay_alu instid0(VALU_DEP_2) | instskip(SKIP_2) | instid1(VALU_DEP_4)
	v_mul_lo_u32 v10, v5, s52
	v_mul_lo_u32 v5, v5, s53
	v_sub_nc_u32_e32 v3, v3, v8
	v_mul_lo_u32 v11, v2, s57
	s_delay_alu instid0(VALU_DEP_2) | instskip(SKIP_1) | instid1(VALU_DEP_3)
	v_mul_lo_u32 v8, v3, s50
	v_mul_lo_u32 v3, v3, s51
	v_sub_nc_u32_e32 v6, v6, v11
	s_delay_alu instid0(VALU_DEP_3) | instskip(NEXT) | instid1(VALU_DEP_2)
	v_add3_u32 v0, v7, v0, v8
	v_mul_lo_u32 v11, v6, s54
	v_mul_lo_u32 v6, v6, s55
	v_add3_u32 v1, v9, v1, v3
	s_delay_alu instid0(VALU_DEP_3) | instskip(NEXT) | instid1(VALU_DEP_2)
	v_add3_u32 v0, v10, v0, v11
	v_add3_u32 v1, v5, v1, v6
	s_cbranch_scc0 .LBB471_82
	s_branch .LBB471_96
.LBB471_83:
	s_mov_b32 s33, -1
                                        ; implicit-def: $vgpr0
                                        ; implicit-def: $vgpr1
	s_branch .LBB471_99
.LBB471_84:
	v_dual_mov_b32 v2, v4 :: v_dual_mov_b32 v1, 0
.LBB471_85:
	s_and_b32 s35, s35, 3
	s_delay_alu instid0(SALU_CYCLE_1)
	s_cmp_eq_u32 s35, 0
	s_cbranch_scc1 .LBB471_88
; %bb.86:
	s_lshl_b32 s18, s34, 3
	s_mul_i32 s20, s34, 12
	s_add_u32 s18, s18, s0
	s_addc_u32 s19, s1, 0
	s_add_u32 s18, s18, 0xc4
	s_addc_u32 s19, s19, 0
	;; [unrolled: 2-line block ×3, first 2 shown]
	.p2align	6
.LBB471_87:                             ; =>This Inner Loop Header: Depth=1
	s_clause 0x1
	s_load_b64 s[36:37], s[20:21], 0x4
	s_load_b32 s34, s[20:21], 0xc
	s_load_b64 s[38:39], s[18:19], 0x0
	s_add_u32 s20, s20, 12
	s_addc_u32 s21, s21, 0
	s_add_u32 s18, s18, 8
	s_addc_u32 s19, s19, 0
	s_add_i32 s35, s35, -1
	s_delay_alu instid0(SALU_CYCLE_1) | instskip(SKIP_2) | instid1(VALU_DEP_1)
	s_cmp_lg_u32 s35, 0
	s_waitcnt lgkmcnt(0)
	v_mul_hi_u32 v3, s37, v2
	v_add_nc_u32_e32 v3, v2, v3
	s_delay_alu instid0(VALU_DEP_1) | instskip(NEXT) | instid1(VALU_DEP_1)
	v_lshrrev_b32_e32 v3, s34, v3
	v_mul_lo_u32 v5, v3, s36
	s_delay_alu instid0(VALU_DEP_1) | instskip(NEXT) | instid1(VALU_DEP_1)
	v_sub_nc_u32_e32 v2, v2, v5
	v_mad_u64_u32 v[5:6], null, v2, s38, v[0:1]
	v_mad_u64_u32 v[6:7], null, v2, s39, v[1:2]
	v_mov_b32_e32 v2, v3
	s_delay_alu instid0(VALU_DEP_2)
	v_dual_mov_b32 v0, v5 :: v_dual_mov_b32 v1, v6
	s_cbranch_scc1 .LBB471_87
.LBB471_88:
	s_and_not1_b32 vcc_lo, exec_lo, s33
	s_cbranch_vccnz .LBB471_91
; %bb.89:
	s_waitcnt lgkmcnt(0)
	v_mul_hi_u32 v0, s13, v4
	s_and_not1_b32 vcc_lo, exec_lo, s27
	s_delay_alu instid0(VALU_DEP_1) | instskip(NEXT) | instid1(VALU_DEP_1)
	v_add_nc_u32_e32 v0, v4, v0
	v_lshrrev_b32_e32 v2, s14, v0
	s_delay_alu instid0(VALU_DEP_1) | instskip(NEXT) | instid1(VALU_DEP_1)
	v_mul_lo_u32 v0, v2, s12
	v_sub_nc_u32_e32 v1, v4, v0
	s_delay_alu instid0(VALU_DEP_1)
	v_mul_lo_u32 v0, v1, s8
	v_mul_lo_u32 v1, v1, s9
	s_cbranch_vccnz .LBB471_91
; %bb.90:
	v_mul_hi_u32 v3, s2, v2
	s_delay_alu instid0(VALU_DEP_1) | instskip(NEXT) | instid1(VALU_DEP_1)
	v_add_nc_u32_e32 v3, v2, v3
	v_lshrrev_b32_e32 v3, s3, v3
	s_delay_alu instid0(VALU_DEP_1) | instskip(NEXT) | instid1(VALU_DEP_1)
	v_mul_lo_u32 v3, v3, s15
	v_sub_nc_u32_e32 v7, v2, v3
	s_delay_alu instid0(VALU_DEP_1) | instskip(NEXT) | instid1(VALU_DEP_1)
	v_mad_u64_u32 v[2:3], null, v7, s10, v[0:1]
	v_mad_u64_u32 v[5:6], null, v7, s11, v[1:2]
	s_delay_alu instid0(VALU_DEP_1)
	v_dual_mov_b32 v0, v2 :: v_dual_mov_b32 v1, v5
.LBB471_91:
	s_waitcnt lgkmcnt(0)
	global_load_b32 v1, v1, s[6:7]
	v_max_f32_e64 v3, s26, s26
	v_add_nc_u32_e32 v4, 0x80, v4
	s_waitcnt vmcnt(0)
	v_max_f32_e32 v2, v1, v1
	v_cmp_u_f32_e32 vcc_lo, v1, v1
	s_delay_alu instid0(VALU_DEP_2) | instskip(NEXT) | instid1(VALU_DEP_1)
	v_min_f32_e32 v2, v2, v3
	v_cndmask_b32_e32 v1, v2, v1, vcc_lo
	global_store_b32 v0, v1, s[4:5]
	s_or_b32 exec_lo, exec_lo, s31
	s_delay_alu instid0(SALU_CYCLE_1)
	s_mov_b32 s31, exec_lo
	v_cmpx_gt_i32_e64 s28, v4
	s_cbranch_execnz .LBB471_78
.LBB471_92:
	s_or_b32 exec_lo, exec_lo, s31
	s_delay_alu instid0(SALU_CYCLE_1)
	s_mov_b32 s20, exec_lo
	v_cmpx_gt_i32_e64 s28, v4
	s_cbranch_execnz .LBB471_103
.LBB471_93:
	s_or_b32 exec_lo, exec_lo, s20
                                        ; implicit-def: $vgpr8
                                        ; implicit-def: $vgpr4
	s_waitcnt lgkmcnt(0)
	s_and_not1_saveexec_b32 s2, s25
	s_cbranch_execnz .LBB471_8
.LBB471_94:
	s_nop 0
	s_sendmsg sendmsg(MSG_DEALLOC_VGPRS)
	s_endpgm
.LBB471_95:
	v_dual_mov_b32 v2, v4 :: v_dual_mov_b32 v1, 0
.LBB471_96:
	s_and_b32 s35, s35, 3
	s_delay_alu instid0(SALU_CYCLE_1)
	s_cmp_eq_u32 s35, 0
	s_cbranch_scc1 .LBB471_99
; %bb.97:
	s_lshl_b32 s18, s34, 3
	s_mul_i32 s20, s34, 12
	s_add_u32 s18, s18, s0
	s_addc_u32 s19, s1, 0
	s_add_u32 s18, s18, 0xc4
	s_addc_u32 s19, s19, 0
	;; [unrolled: 2-line block ×3, first 2 shown]
	.p2align	6
.LBB471_98:                             ; =>This Inner Loop Header: Depth=1
	s_clause 0x1
	s_load_b64 s[36:37], s[20:21], 0x4
	s_load_b32 s34, s[20:21], 0xc
	s_load_b64 s[38:39], s[18:19], 0x0
	s_add_u32 s20, s20, 12
	s_addc_u32 s21, s21, 0
	s_add_u32 s18, s18, 8
	s_addc_u32 s19, s19, 0
	s_add_i32 s35, s35, -1
	s_delay_alu instid0(SALU_CYCLE_1) | instskip(SKIP_2) | instid1(VALU_DEP_1)
	s_cmp_lg_u32 s35, 0
	s_waitcnt lgkmcnt(0)
	v_mul_hi_u32 v3, s37, v2
	v_add_nc_u32_e32 v3, v2, v3
	s_delay_alu instid0(VALU_DEP_1) | instskip(NEXT) | instid1(VALU_DEP_1)
	v_lshrrev_b32_e32 v3, s34, v3
	v_mul_lo_u32 v5, v3, s36
	s_delay_alu instid0(VALU_DEP_1) | instskip(NEXT) | instid1(VALU_DEP_1)
	v_sub_nc_u32_e32 v2, v2, v5
	v_mad_u64_u32 v[5:6], null, v2, s38, v[0:1]
	v_mad_u64_u32 v[6:7], null, v2, s39, v[1:2]
	v_mov_b32_e32 v2, v3
	s_delay_alu instid0(VALU_DEP_2)
	v_dual_mov_b32 v0, v5 :: v_dual_mov_b32 v1, v6
	s_cbranch_scc1 .LBB471_98
.LBB471_99:
	s_and_not1_b32 vcc_lo, exec_lo, s33
	s_cbranch_vccnz .LBB471_102
; %bb.100:
	s_waitcnt lgkmcnt(0)
	v_mul_hi_u32 v0, s13, v4
	s_and_not1_b32 vcc_lo, exec_lo, s27
	s_delay_alu instid0(VALU_DEP_1) | instskip(NEXT) | instid1(VALU_DEP_1)
	v_add_nc_u32_e32 v0, v4, v0
	v_lshrrev_b32_e32 v2, s14, v0
	s_delay_alu instid0(VALU_DEP_1) | instskip(NEXT) | instid1(VALU_DEP_1)
	v_mul_lo_u32 v0, v2, s12
	v_sub_nc_u32_e32 v1, v4, v0
	s_delay_alu instid0(VALU_DEP_1)
	v_mul_lo_u32 v0, v1, s8
	v_mul_lo_u32 v1, v1, s9
	s_cbranch_vccnz .LBB471_102
; %bb.101:
	v_mul_hi_u32 v3, s2, v2
	s_delay_alu instid0(VALU_DEP_1) | instskip(NEXT) | instid1(VALU_DEP_1)
	v_add_nc_u32_e32 v3, v2, v3
	v_lshrrev_b32_e32 v3, s3, v3
	s_delay_alu instid0(VALU_DEP_1) | instskip(NEXT) | instid1(VALU_DEP_1)
	v_mul_lo_u32 v3, v3, s15
	v_sub_nc_u32_e32 v7, v2, v3
	s_delay_alu instid0(VALU_DEP_1) | instskip(NEXT) | instid1(VALU_DEP_1)
	v_mad_u64_u32 v[2:3], null, v7, s10, v[0:1]
	v_mad_u64_u32 v[5:6], null, v7, s11, v[1:2]
	s_delay_alu instid0(VALU_DEP_1)
	v_dual_mov_b32 v0, v2 :: v_dual_mov_b32 v1, v5
.LBB471_102:
	s_waitcnt lgkmcnt(0)
	global_load_b32 v1, v1, s[6:7]
	v_max_f32_e64 v3, s26, s26
	v_add_nc_u32_e32 v4, 0x80, v4
	s_waitcnt vmcnt(0)
	v_max_f32_e32 v2, v1, v1
	v_cmp_u_f32_e32 vcc_lo, v1, v1
	s_delay_alu instid0(VALU_DEP_2) | instskip(NEXT) | instid1(VALU_DEP_1)
	v_min_f32_e32 v2, v2, v3
	v_cndmask_b32_e32 v1, v2, v1, vcc_lo
	global_store_b32 v0, v1, s[4:5]
	s_or_b32 exec_lo, exec_lo, s31
	s_delay_alu instid0(SALU_CYCLE_1)
	s_mov_b32 s20, exec_lo
	v_cmpx_gt_i32_e64 s28, v4
	s_cbranch_execz .LBB471_93
.LBB471_103:
	s_and_not1_b32 vcc_lo, exec_lo, s24
	s_cbranch_vccnz .LBB471_108
; %bb.104:
	v_dual_mov_b32 v0, 0 :: v_dual_mov_b32 v1, 0
	s_and_not1_b32 vcc_lo, exec_lo, s30
	s_mov_b32 s21, 0
	s_cbranch_vccnz .LBB471_113
; %bb.105:
	v_mov_b32_e32 v0, 0
	s_add_i32 s29, s29, 1
	s_cmp_eq_u32 s23, 2
	s_mov_b32 s28, 0
	s_cbranch_scc1 .LBB471_109
; %bb.106:
	v_dual_mov_b32 v1, 0 :: v_dual_mov_b32 v0, 0
	v_mov_b32_e32 v2, v4
	s_and_b32 s28, s29, 28
	s_mov_b32 s30, 0
	s_mov_b64 s[18:19], s[0:1]
.LBB471_107:                            ; =>This Inner Loop Header: Depth=1
	s_clause 0x1
	s_load_b256 s[36:43], s[18:19], 0x4
	s_load_b128 s[52:55], s[18:19], 0x24
	s_load_b256 s[44:51], s[16:17], 0x0
	s_add_u32 s18, s18, 48
	s_addc_u32 s19, s19, 0
	s_add_i32 s30, s30, 4
	s_add_u32 s16, s16, 32
	s_addc_u32 s17, s17, 0
	s_cmp_eq_u32 s28, s30
	s_waitcnt lgkmcnt(0)
	v_mul_hi_u32 v3, s37, v2
	s_delay_alu instid0(VALU_DEP_1) | instskip(NEXT) | instid1(VALU_DEP_1)
	v_add_nc_u32_e32 v3, v2, v3
	v_lshrrev_b32_e32 v3, s38, v3
	s_delay_alu instid0(VALU_DEP_1) | instskip(SKIP_1) | instid1(VALU_DEP_2)
	v_mul_hi_u32 v5, s40, v3
	v_mul_lo_u32 v7, v3, s36
	v_add_nc_u32_e32 v5, v3, v5
	s_delay_alu instid0(VALU_DEP_2) | instskip(NEXT) | instid1(VALU_DEP_2)
	v_sub_nc_u32_e32 v2, v2, v7
	v_lshrrev_b32_e32 v5, s41, v5
	s_delay_alu instid0(VALU_DEP_2) | instskip(SKIP_1) | instid1(VALU_DEP_3)
	v_mul_lo_u32 v7, v2, s44
	v_mul_lo_u32 v9, v2, s45
	v_mul_hi_u32 v6, s43, v5
	s_delay_alu instid0(VALU_DEP_1) | instskip(NEXT) | instid1(VALU_DEP_1)
	v_add_nc_u32_e32 v6, v5, v6
	v_lshrrev_b32_e32 v6, s52, v6
	s_delay_alu instid0(VALU_DEP_1) | instskip(SKIP_1) | instid1(VALU_DEP_2)
	v_mul_hi_u32 v8, s54, v6
	v_mul_lo_u32 v10, v6, s42
	v_add_nc_u32_e32 v2, v6, v8
	v_mul_lo_u32 v8, v5, s39
	s_delay_alu instid0(VALU_DEP_3) | instskip(NEXT) | instid1(VALU_DEP_3)
	v_sub_nc_u32_e32 v5, v5, v10
	v_lshrrev_b32_e32 v2, s55, v2
	s_delay_alu instid0(VALU_DEP_2) | instskip(SKIP_2) | instid1(VALU_DEP_4)
	v_mul_lo_u32 v10, v5, s48
	v_mul_lo_u32 v5, v5, s49
	v_sub_nc_u32_e32 v3, v3, v8
	v_mul_lo_u32 v11, v2, s53
	s_delay_alu instid0(VALU_DEP_2) | instskip(SKIP_1) | instid1(VALU_DEP_3)
	v_mul_lo_u32 v8, v3, s46
	v_mul_lo_u32 v3, v3, s47
	v_sub_nc_u32_e32 v6, v6, v11
	s_delay_alu instid0(VALU_DEP_3) | instskip(NEXT) | instid1(VALU_DEP_2)
	v_add3_u32 v0, v7, v0, v8
	v_mul_lo_u32 v11, v6, s50
	v_mul_lo_u32 v6, v6, s51
	v_add3_u32 v1, v9, v1, v3
	s_delay_alu instid0(VALU_DEP_3) | instskip(NEXT) | instid1(VALU_DEP_2)
	v_add3_u32 v0, v10, v0, v11
	v_add3_u32 v1, v5, v1, v6
	s_cbranch_scc0 .LBB471_107
	s_branch .LBB471_110
.LBB471_108:
	s_mov_b32 s21, -1
                                        ; implicit-def: $vgpr0
                                        ; implicit-def: $vgpr1
	s_branch .LBB471_113
.LBB471_109:
	v_dual_mov_b32 v2, v4 :: v_dual_mov_b32 v1, 0
.LBB471_110:
	s_and_b32 s29, s29, 3
	s_delay_alu instid0(SALU_CYCLE_1)
	s_cmp_eq_u32 s29, 0
	s_cbranch_scc1 .LBB471_113
; %bb.111:
	s_lshl_b32 s16, s28, 3
	s_mul_i32 s18, s28, 12
	s_add_u32 s16, s16, s0
	s_addc_u32 s17, s1, 0
	s_add_u32 s16, s16, 0xc4
	s_addc_u32 s17, s17, 0
	;; [unrolled: 2-line block ×3, first 2 shown]
	.p2align	6
.LBB471_112:                            ; =>This Inner Loop Header: Depth=1
	s_clause 0x1
	s_load_b64 s[30:31], s[18:19], 0x4
	s_load_b32 s28, s[18:19], 0xc
	s_load_b64 s[34:35], s[16:17], 0x0
	s_add_u32 s18, s18, 12
	s_addc_u32 s19, s19, 0
	s_add_u32 s16, s16, 8
	s_addc_u32 s17, s17, 0
	s_add_i32 s29, s29, -1
	s_delay_alu instid0(SALU_CYCLE_1) | instskip(SKIP_2) | instid1(VALU_DEP_1)
	s_cmp_lg_u32 s29, 0
	s_waitcnt lgkmcnt(0)
	v_mul_hi_u32 v3, s31, v2
	v_add_nc_u32_e32 v3, v2, v3
	s_delay_alu instid0(VALU_DEP_1) | instskip(NEXT) | instid1(VALU_DEP_1)
	v_lshrrev_b32_e32 v3, s28, v3
	v_mul_lo_u32 v5, v3, s30
	s_delay_alu instid0(VALU_DEP_1) | instskip(NEXT) | instid1(VALU_DEP_1)
	v_sub_nc_u32_e32 v2, v2, v5
	v_mad_u64_u32 v[5:6], null, v2, s34, v[0:1]
	v_mad_u64_u32 v[6:7], null, v2, s35, v[1:2]
	v_mov_b32_e32 v2, v3
	s_delay_alu instid0(VALU_DEP_2)
	v_dual_mov_b32 v0, v5 :: v_dual_mov_b32 v1, v6
	s_cbranch_scc1 .LBB471_112
.LBB471_113:
	s_and_not1_b32 vcc_lo, exec_lo, s21
	s_cbranch_vccnz .LBB471_116
; %bb.114:
	s_waitcnt lgkmcnt(0)
	v_mul_hi_u32 v0, s13, v4
	s_and_not1_b32 vcc_lo, exec_lo, s27
	s_delay_alu instid0(VALU_DEP_1) | instskip(NEXT) | instid1(VALU_DEP_1)
	v_add_nc_u32_e32 v0, v4, v0
	v_lshrrev_b32_e32 v2, s14, v0
	s_delay_alu instid0(VALU_DEP_1) | instskip(NEXT) | instid1(VALU_DEP_1)
	v_mul_lo_u32 v0, v2, s12
	v_sub_nc_u32_e32 v1, v4, v0
	s_delay_alu instid0(VALU_DEP_1)
	v_mul_lo_u32 v0, v1, s8
	v_mul_lo_u32 v1, v1, s9
	s_cbranch_vccnz .LBB471_116
; %bb.115:
	v_mul_hi_u32 v3, s2, v2
	s_delay_alu instid0(VALU_DEP_1) | instskip(NEXT) | instid1(VALU_DEP_1)
	v_add_nc_u32_e32 v3, v2, v3
	v_lshrrev_b32_e32 v3, s3, v3
	s_delay_alu instid0(VALU_DEP_1) | instskip(NEXT) | instid1(VALU_DEP_1)
	v_mul_lo_u32 v3, v3, s15
	v_sub_nc_u32_e32 v5, v2, v3
	s_delay_alu instid0(VALU_DEP_1) | instskip(NEXT) | instid1(VALU_DEP_1)
	v_mad_u64_u32 v[2:3], null, v5, s10, v[0:1]
	v_mad_u64_u32 v[3:4], null, v5, s11, v[1:2]
	s_delay_alu instid0(VALU_DEP_1)
	v_dual_mov_b32 v0, v2 :: v_dual_mov_b32 v1, v3
.LBB471_116:
	s_waitcnt lgkmcnt(0)
	global_load_b32 v1, v1, s[6:7]
	v_max_f32_e64 v3, s26, s26
	s_waitcnt vmcnt(0)
	v_max_f32_e32 v2, v1, v1
	v_cmp_u_f32_e32 vcc_lo, v1, v1
	s_delay_alu instid0(VALU_DEP_2) | instskip(NEXT) | instid1(VALU_DEP_1)
	v_min_f32_e32 v2, v2, v3
	v_cndmask_b32_e32 v1, v2, v1, vcc_lo
	global_store_b32 v0, v1, s[4:5]
	s_or_b32 exec_lo, exec_lo, s20
                                        ; implicit-def: $vgpr8
                                        ; implicit-def: $vgpr4
	s_and_not1_saveexec_b32 s2, s25
	s_cbranch_execz .LBB471_94
	s_branch .LBB471_8
	.section	.rodata,"a",@progbits
	.p2align	6, 0x0
	.amdhsa_kernel _ZN2at6native32elementwise_kernel_manual_unrollILi128ELi4EZNS0_22gpu_kernel_impl_nocastIZZZNS0_21clamp_max_kernel_cudaERNS_18TensorIteratorBaseERKN3c106ScalarEENKUlvE_clEvENKUlvE5_clEvEUlfE_EEvS4_RKT_EUlibE_EEviT1_
		.amdhsa_group_segment_fixed_size 0
		.amdhsa_private_segment_fixed_size 0
		.amdhsa_kernarg_size 360
		.amdhsa_user_sgpr_count 15
		.amdhsa_user_sgpr_dispatch_ptr 0
		.amdhsa_user_sgpr_queue_ptr 0
		.amdhsa_user_sgpr_kernarg_segment_ptr 1
		.amdhsa_user_sgpr_dispatch_id 0
		.amdhsa_user_sgpr_private_segment_size 0
		.amdhsa_wavefront_size32 1
		.amdhsa_uses_dynamic_stack 0
		.amdhsa_enable_private_segment 0
		.amdhsa_system_sgpr_workgroup_id_x 1
		.amdhsa_system_sgpr_workgroup_id_y 0
		.amdhsa_system_sgpr_workgroup_id_z 0
		.amdhsa_system_sgpr_workgroup_info 0
		.amdhsa_system_vgpr_workitem_id 0
		.amdhsa_next_free_vgpr 18
		.amdhsa_next_free_sgpr 60
		.amdhsa_reserve_vcc 1
		.amdhsa_float_round_mode_32 0
		.amdhsa_float_round_mode_16_64 0
		.amdhsa_float_denorm_mode_32 3
		.amdhsa_float_denorm_mode_16_64 3
		.amdhsa_dx10_clamp 1
		.amdhsa_ieee_mode 1
		.amdhsa_fp16_overflow 0
		.amdhsa_workgroup_processor_mode 1
		.amdhsa_memory_ordered 1
		.amdhsa_forward_progress 0
		.amdhsa_shared_vgpr_count 0
		.amdhsa_exception_fp_ieee_invalid_op 0
		.amdhsa_exception_fp_denorm_src 0
		.amdhsa_exception_fp_ieee_div_zero 0
		.amdhsa_exception_fp_ieee_overflow 0
		.amdhsa_exception_fp_ieee_underflow 0
		.amdhsa_exception_fp_ieee_inexact 0
		.amdhsa_exception_int_div_zero 0
	.end_amdhsa_kernel
	.section	.text._ZN2at6native32elementwise_kernel_manual_unrollILi128ELi4EZNS0_22gpu_kernel_impl_nocastIZZZNS0_21clamp_max_kernel_cudaERNS_18TensorIteratorBaseERKN3c106ScalarEENKUlvE_clEvENKUlvE5_clEvEUlfE_EEvS4_RKT_EUlibE_EEviT1_,"axG",@progbits,_ZN2at6native32elementwise_kernel_manual_unrollILi128ELi4EZNS0_22gpu_kernel_impl_nocastIZZZNS0_21clamp_max_kernel_cudaERNS_18TensorIteratorBaseERKN3c106ScalarEENKUlvE_clEvENKUlvE5_clEvEUlfE_EEvS4_RKT_EUlibE_EEviT1_,comdat
.Lfunc_end471:
	.size	_ZN2at6native32elementwise_kernel_manual_unrollILi128ELi4EZNS0_22gpu_kernel_impl_nocastIZZZNS0_21clamp_max_kernel_cudaERNS_18TensorIteratorBaseERKN3c106ScalarEENKUlvE_clEvENKUlvE5_clEvEUlfE_EEvS4_RKT_EUlibE_EEviT1_, .Lfunc_end471-_ZN2at6native32elementwise_kernel_manual_unrollILi128ELi4EZNS0_22gpu_kernel_impl_nocastIZZZNS0_21clamp_max_kernel_cudaERNS_18TensorIteratorBaseERKN3c106ScalarEENKUlvE_clEvENKUlvE5_clEvEUlfE_EEvS4_RKT_EUlibE_EEviT1_
                                        ; -- End function
	.section	.AMDGPU.csdata,"",@progbits
; Kernel info:
; codeLenInByte = 6988
; NumSgprs: 62
; NumVgprs: 18
; ScratchSize: 0
; MemoryBound: 0
; FloatMode: 240
; IeeeMode: 1
; LDSByteSize: 0 bytes/workgroup (compile time only)
; SGPRBlocks: 7
; VGPRBlocks: 2
; NumSGPRsForWavesPerEU: 62
; NumVGPRsForWavesPerEU: 18
; Occupancy: 16
; WaveLimiterHint : 1
; COMPUTE_PGM_RSRC2:SCRATCH_EN: 0
; COMPUTE_PGM_RSRC2:USER_SGPR: 15
; COMPUTE_PGM_RSRC2:TRAP_HANDLER: 0
; COMPUTE_PGM_RSRC2:TGID_X_EN: 1
; COMPUTE_PGM_RSRC2:TGID_Y_EN: 0
; COMPUTE_PGM_RSRC2:TGID_Z_EN: 0
; COMPUTE_PGM_RSRC2:TIDIG_COMP_CNT: 0
	.section	.text._ZN2at6native32elementwise_kernel_manual_unrollILi128ELi4EZNS0_15gpu_kernel_implIZZZNS0_21clamp_max_kernel_cudaERNS_18TensorIteratorBaseERKN3c106ScalarEENKUlvE_clEvENKUlvE5_clEvEUlfE_EEvS4_RKT_EUlibE_EEviT1_,"axG",@progbits,_ZN2at6native32elementwise_kernel_manual_unrollILi128ELi4EZNS0_15gpu_kernel_implIZZZNS0_21clamp_max_kernel_cudaERNS_18TensorIteratorBaseERKN3c106ScalarEENKUlvE_clEvENKUlvE5_clEvEUlfE_EEvS4_RKT_EUlibE_EEviT1_,comdat
	.globl	_ZN2at6native32elementwise_kernel_manual_unrollILi128ELi4EZNS0_15gpu_kernel_implIZZZNS0_21clamp_max_kernel_cudaERNS_18TensorIteratorBaseERKN3c106ScalarEENKUlvE_clEvENKUlvE5_clEvEUlfE_EEvS4_RKT_EUlibE_EEviT1_ ; -- Begin function _ZN2at6native32elementwise_kernel_manual_unrollILi128ELi4EZNS0_15gpu_kernel_implIZZZNS0_21clamp_max_kernel_cudaERNS_18TensorIteratorBaseERKN3c106ScalarEENKUlvE_clEvENKUlvE5_clEvEUlfE_EEvS4_RKT_EUlibE_EEviT1_
	.p2align	8
	.type	_ZN2at6native32elementwise_kernel_manual_unrollILi128ELi4EZNS0_15gpu_kernel_implIZZZNS0_21clamp_max_kernel_cudaERNS_18TensorIteratorBaseERKN3c106ScalarEENKUlvE_clEvENKUlvE5_clEvEUlfE_EEvS4_RKT_EUlibE_EEviT1_,@function
_ZN2at6native32elementwise_kernel_manual_unrollILi128ELi4EZNS0_15gpu_kernel_implIZZZNS0_21clamp_max_kernel_cudaERNS_18TensorIteratorBaseERKN3c106ScalarEENKUlvE_clEvENKUlvE5_clEvEUlfE_EEvS4_RKT_EUlibE_EEviT1_: ; @_ZN2at6native32elementwise_kernel_manual_unrollILi128ELi4EZNS0_15gpu_kernel_implIZZZNS0_21clamp_max_kernel_cudaERNS_18TensorIteratorBaseERKN3c106ScalarEENKUlvE_clEvENKUlvE5_clEvEUlfE_EEvS4_RKT_EUlibE_EEviT1_
; %bb.0:
	s_clause 0x2
	s_load_b32 s2, s[0:1], 0x24
	s_load_b32 s12, s[0:1], 0x0
	s_load_b256 s[4:11], s[0:1], 0x8
	v_lshl_or_b32 v4, s15, 9, v0
	s_mov_b32 s1, 0
	s_waitcnt lgkmcnt(0)
	s_mov_b32 s11, 0
	s_mov_b32 s0, exec_lo
	v_or_b32_e32 v0, 0x180, v4
	v_lshrrev_b16 v5, 8, s2
	s_delay_alu instid0(VALU_DEP_2)
	v_cmpx_le_i32_e64 s12, v0
	s_xor_b32 s3, exec_lo, s0
	s_cbranch_execz .LBB472_1033
; %bb.1:
	s_mov_b32 s17, -1
	s_mov_b32 s15, 0
	s_mov_b32 s13, 0
	s_mov_b32 s14, exec_lo
	v_cmpx_gt_i32_e64 s12, v4
	s_cbranch_execz .LBB472_252
; %bb.2:
	v_mul_lo_u32 v0, v4, s9
	v_cmp_gt_i16_e32 vcc_lo, 11, v5
	s_delay_alu instid0(VALU_DEP_2) | instskip(SKIP_1) | instid1(VALU_DEP_1)
	v_ashrrev_i32_e32 v1, 31, v0
	v_add_co_u32 v0, s0, s6, v0
	v_add_co_ci_u32_e64 v1, s0, s7, v1, s0
	s_cbranch_vccnz .LBB472_9
; %bb.3:
	v_cmp_lt_i16_e32 vcc_lo, 25, v5
	s_cbranch_vccz .LBB472_18
; %bb.4:
	v_cmp_lt_i16_e32 vcc_lo, 28, v5
	s_cbranch_vccz .LBB472_21
	;; [unrolled: 3-line block ×4, first 2 shown]
; %bb.7:
	v_cmp_eq_u16_e32 vcc_lo, 46, v5
	s_cbranch_vccz .LBB472_27
; %bb.8:
	global_load_b32 v2, v[0:1], off
	s_mov_b32 s0, -1
	s_waitcnt vmcnt(0)
	v_lshlrev_b32_e32 v2, 16, v2
	s_branch .LBB472_29
.LBB472_9:
	s_mov_b32 s0, 0
                                        ; implicit-def: $vgpr2
	s_cbranch_execnz .LBB472_202
.LBB472_10:
	s_and_not1_b32 vcc_lo, exec_lo, s0
	s_cbranch_vccnz .LBB472_249
.LBB472_11:
	v_mul_lo_u32 v3, v4, s8
	v_max_f32_e64 v0, s10, s10
	s_waitcnt vmcnt(0)
	s_delay_alu instid0(VALU_DEP_3) | instskip(SKIP_2) | instid1(VALU_DEP_3)
	v_max_f32_e32 v1, v2, v2
	v_and_b32_e64 v6, 0xff, s2
	v_cmp_u_f32_e64 s0, v2, v2
	v_min_f32_e32 v0, v1, v0
	v_ashrrev_i32_e32 v1, 31, v3
	s_delay_alu instid0(VALU_DEP_4) | instskip(NEXT) | instid1(VALU_DEP_3)
	v_cmp_gt_i16_e32 vcc_lo, 11, v6
	v_cndmask_b32_e64 v2, v0, v2, s0
	v_add_co_u32 v0, s0, s4, v3
	s_delay_alu instid0(VALU_DEP_1)
	v_add_co_ci_u32_e64 v1, s0, s5, v1, s0
	s_cbranch_vccnz .LBB472_19
; %bb.12:
	v_cmp_lt_i16_e32 vcc_lo, 25, v6
	s_cbranch_vccz .LBB472_22
; %bb.13:
	v_cmp_lt_i16_e32 vcc_lo, 28, v6
	s_cbranch_vccz .LBB472_24
	;; [unrolled: 3-line block ×4, first 2 shown]
; %bb.16:
	v_cmp_eq_u16_e32 vcc_lo, 46, v6
	s_mov_b32 s16, 0
	s_mov_b32 s0, -1
	s_mov_b32 s11, 0
	s_cbranch_vccz .LBB472_33
; %bb.17:
	v_bfe_u32 v3, v2, 16, 1
	v_cmp_o_f32_e32 vcc_lo, v2, v2
	s_mov_b32 s11, -1
	s_mov_b32 s0, 0
	s_delay_alu instid0(VALU_DEP_2) | instskip(NEXT) | instid1(VALU_DEP_1)
	v_add3_u32 v3, v2, v3, 0x7fff
	v_lshrrev_b32_e32 v3, 16, v3
	s_delay_alu instid0(VALU_DEP_1)
	v_cndmask_b32_e32 v3, 0x7fc0, v3, vcc_lo
	global_store_b32 v[0:1], v3, off
	s_branch .LBB472_33
.LBB472_18:
	s_mov_b32 s0, 0
                                        ; implicit-def: $vgpr2
	s_cbranch_execnz .LBB472_167
	s_branch .LBB472_201
.LBB472_19:
	s_mov_b32 s0, 0
	s_mov_b32 s11, 0
	s_cbranch_execnz .LBB472_102
.LBB472_20:
	s_and_not1_b32 vcc_lo, exec_lo, s11
	s_cbranch_vccnz .LBB472_250
	s_branch .LBB472_140
.LBB472_21:
	s_mov_b32 s11, -1
	s_mov_b32 s0, 0
                                        ; implicit-def: $vgpr2
	s_branch .LBB472_148
.LBB472_22:
	s_mov_b32 s16, -1
	s_mov_b32 s0, 0
	s_mov_b32 s11, 0
	s_branch .LBB472_60
.LBB472_23:
	s_mov_b32 s11, -1
	s_mov_b32 s0, 0
                                        ; implicit-def: $vgpr2
	s_branch .LBB472_143
.LBB472_24:
	s_mov_b32 s16, -1
	s_mov_b32 s0, 0
	s_mov_b32 s11, 0
	s_branch .LBB472_43
.LBB472_25:
	s_mov_b32 s11, -1
	s_branch .LBB472_28
.LBB472_26:
	s_mov_b32 s16, -1
	s_mov_b32 s0, 0
	s_mov_b32 s11, 0
	s_branch .LBB472_39
.LBB472_27:
	s_mov_b32 s13, -1
.LBB472_28:
	s_mov_b32 s0, 0
                                        ; implicit-def: $vgpr2
.LBB472_29:
	s_and_b32 vcc_lo, exec_lo, s11
	s_cbranch_vccz .LBB472_142
; %bb.30:
	v_cmp_eq_u16_e32 vcc_lo, 44, v5
	s_cbranch_vccz .LBB472_141
; %bb.31:
	global_load_u8 v2, v[0:1], off
	s_mov_b32 s13, 0
	s_mov_b32 s0, -1
	s_waitcnt vmcnt(0)
	v_lshlrev_b32_e32 v3, 23, v2
	v_cmp_ne_u32_e32 vcc_lo, 0xff, v2
	s_delay_alu instid0(VALU_DEP_2) | instskip(SKIP_1) | instid1(VALU_DEP_2)
	v_cndmask_b32_e32 v3, 0x7f800001, v3, vcc_lo
	v_cmp_ne_u32_e32 vcc_lo, 0, v2
	v_cndmask_b32_e32 v2, 0x400000, v3, vcc_lo
	s_branch .LBB472_142
.LBB472_32:
	s_mov_b32 s16, -1
	s_mov_b32 s0, 0
	s_mov_b32 s11, 0
.LBB472_33:
	s_and_b32 vcc_lo, exec_lo, s16
	s_cbranch_vccz .LBB472_38
; %bb.34:
	v_cmp_eq_u16_e32 vcc_lo, 44, v6
	s_mov_b32 s0, -1
	s_cbranch_vccz .LBB472_38
; %bb.35:
	v_bfe_u32 v7, v2, 23, 8
	v_mov_b32_e32 v3, 0xff
	s_mov_b32 s11, exec_lo
	s_delay_alu instid0(VALU_DEP_2)
	v_cmpx_ne_u32_e32 0xff, v7
; %bb.36:
	v_and_b32_e32 v3, 0x400000, v2
	v_and_or_b32 v7, 0x3fffff, v2, v7
	s_delay_alu instid0(VALU_DEP_2) | instskip(NEXT) | instid1(VALU_DEP_2)
	v_cmp_ne_u32_e32 vcc_lo, 0, v3
	v_cmp_ne_u32_e64 s0, 0, v7
	v_lshrrev_b32_e32 v3, 23, v2
	s_delay_alu instid0(VALU_DEP_2) | instskip(NEXT) | instid1(SALU_CYCLE_1)
	s_and_b32 s0, vcc_lo, s0
	v_cndmask_b32_e64 v7, 0, 1, s0
	s_delay_alu instid0(VALU_DEP_1)
	v_add_nc_u32_e32 v3, v3, v7
; %bb.37:
	s_or_b32 exec_lo, exec_lo, s11
	s_mov_b32 s11, -1
	s_mov_b32 s0, 0
	global_store_b8 v[0:1], v3, off
.LBB472_38:
	s_mov_b32 s16, 0
.LBB472_39:
	s_delay_alu instid0(SALU_CYCLE_1)
	s_and_b32 vcc_lo, exec_lo, s16
	s_cbranch_vccz .LBB472_42
; %bb.40:
	v_cmp_eq_u16_e32 vcc_lo, 29, v6
	s_mov_b32 s0, -1
	s_cbranch_vccz .LBB472_42
; %bb.41:
	v_trunc_f32_e32 v3, v2
	s_mov_b32 s11, -1
	s_mov_b32 s0, 0
	s_mov_b32 s16, 0
	s_delay_alu instid0(VALU_DEP_1) | instskip(NEXT) | instid1(VALU_DEP_1)
	v_mul_f32_e32 v7, 0x2f800000, v3
	v_floor_f32_e32 v7, v7
	s_delay_alu instid0(VALU_DEP_1) | instskip(SKIP_1) | instid1(VALU_DEP_2)
	v_fmamk_f32 v3, v7, 0xcf800000, v3
	v_cvt_u32_f32_e32 v8, v7
	v_cvt_u32_f32_e32 v7, v3
	global_store_b64 v[0:1], v[7:8], off
	s_branch .LBB472_43
.LBB472_42:
	s_mov_b32 s16, 0
.LBB472_43:
	s_delay_alu instid0(SALU_CYCLE_1)
	s_and_b32 vcc_lo, exec_lo, s16
	s_cbranch_vccz .LBB472_59
; %bb.44:
	v_cmp_gt_i16_e32 vcc_lo, 27, v6
	s_mov_b32 s11, -1
	s_cbranch_vccnz .LBB472_50
; %bb.45:
	v_cmp_lt_i16_e32 vcc_lo, 27, v6
	s_cbranch_vccz .LBB472_47
; %bb.46:
	v_cvt_u32_f32_e32 v3, v2
	s_mov_b32 s11, 0
	global_store_b32 v[0:1], v3, off
.LBB472_47:
	s_and_not1_b32 vcc_lo, exec_lo, s11
	s_cbranch_vccnz .LBB472_49
; %bb.48:
	v_cvt_u32_f32_e32 v3, v2
	global_store_b16 v[0:1], v3, off
.LBB472_49:
	s_mov_b32 s11, 0
.LBB472_50:
	s_delay_alu instid0(SALU_CYCLE_1)
	s_and_not1_b32 vcc_lo, exec_lo, s11
	s_cbranch_vccnz .LBB472_58
; %bb.51:
	v_and_b32_e32 v3, 0x7fffffff, v2
	v_mov_b32_e32 v7, 0x80
	s_mov_b32 s11, exec_lo
	s_delay_alu instid0(VALU_DEP_2)
	v_cmpx_gt_u32_e32 0x43800000, v3
	s_cbranch_execz .LBB472_57
; %bb.52:
	v_cmp_lt_u32_e32 vcc_lo, 0x3bffffff, v3
	s_mov_b32 s16, 0
                                        ; implicit-def: $vgpr3
	s_and_saveexec_b32 s17, vcc_lo
	s_delay_alu instid0(SALU_CYCLE_1)
	s_xor_b32 s17, exec_lo, s17
	s_cbranch_execz .LBB472_276
; %bb.53:
	v_bfe_u32 v3, v2, 20, 1
	s_mov_b32 s16, exec_lo
	s_delay_alu instid0(VALU_DEP_1) | instskip(NEXT) | instid1(VALU_DEP_1)
	v_add3_u32 v3, v2, v3, 0x487ffff
	v_lshrrev_b32_e32 v3, 20, v3
	s_or_saveexec_b32 s17, s17
                                        ; implicit-def: $sgpr18
	s_delay_alu instid0(SALU_CYCLE_1)
	s_xor_b32 exec_lo, exec_lo, s17
	s_cbranch_execnz .LBB472_277
.LBB472_54:
	s_or_b32 exec_lo, exec_lo, s17
	v_mov_b32_e32 v7, s18
	s_and_saveexec_b32 s17, s16
.LBB472_55:
	v_lshrrev_b32_e32 v7, 24, v2
	s_delay_alu instid0(VALU_DEP_1)
	v_and_or_b32 v7, 0x80, v7, v3
.LBB472_56:
	s_or_b32 exec_lo, exec_lo, s17
.LBB472_57:
	s_delay_alu instid0(SALU_CYCLE_1)
	s_or_b32 exec_lo, exec_lo, s11
	global_store_b8 v[0:1], v7, off
.LBB472_58:
	s_mov_b32 s11, -1
.LBB472_59:
	s_mov_b32 s16, 0
.LBB472_60:
	s_delay_alu instid0(SALU_CYCLE_1)
	s_and_b32 vcc_lo, exec_lo, s16
	s_cbranch_vccz .LBB472_101
; %bb.61:
	v_cmp_lt_i16_e32 vcc_lo, 22, v6
	s_mov_b32 s16, -1
	s_cbranch_vccz .LBB472_93
; %bb.62:
	v_cmp_gt_i16_e32 vcc_lo, 24, v6
	s_mov_b32 s11, -1
	s_cbranch_vccnz .LBB472_82
; %bb.63:
	v_cmp_lt_i16_e32 vcc_lo, 24, v6
	s_cbranch_vccz .LBB472_71
; %bb.64:
	v_and_b32_e32 v3, 0x7fffffff, v2
	v_mov_b32_e32 v7, 0x80
	s_mov_b32 s11, exec_lo
	s_delay_alu instid0(VALU_DEP_2)
	v_cmpx_gt_u32_e32 0x47800000, v3
	s_cbranch_execz .LBB472_70
; %bb.65:
	v_cmp_lt_u32_e32 vcc_lo, 0x37ffffff, v3
	s_mov_b32 s16, 0
                                        ; implicit-def: $vgpr3
	s_and_saveexec_b32 s17, vcc_lo
	s_delay_alu instid0(SALU_CYCLE_1)
	s_xor_b32 s17, exec_lo, s17
	s_cbranch_execz .LBB472_280
; %bb.66:
	v_bfe_u32 v3, v2, 21, 1
	s_mov_b32 s16, exec_lo
	s_delay_alu instid0(VALU_DEP_1) | instskip(NEXT) | instid1(VALU_DEP_1)
	v_add3_u32 v3, v2, v3, 0x88fffff
	v_lshrrev_b32_e32 v3, 21, v3
	s_or_saveexec_b32 s17, s17
                                        ; implicit-def: $sgpr18
	s_delay_alu instid0(SALU_CYCLE_1)
	s_xor_b32 exec_lo, exec_lo, s17
	s_cbranch_execnz .LBB472_281
.LBB472_67:
	s_or_b32 exec_lo, exec_lo, s17
	v_mov_b32_e32 v7, s18
	s_and_saveexec_b32 s17, s16
.LBB472_68:
	v_lshrrev_b32_e32 v7, 24, v2
	s_delay_alu instid0(VALU_DEP_1)
	v_and_or_b32 v7, 0x80, v7, v3
.LBB472_69:
	s_or_b32 exec_lo, exec_lo, s17
.LBB472_70:
	s_delay_alu instid0(SALU_CYCLE_1)
	s_or_b32 exec_lo, exec_lo, s11
	s_mov_b32 s11, 0
	global_store_b8 v[0:1], v7, off
.LBB472_71:
	s_and_b32 vcc_lo, exec_lo, s11
	s_cbranch_vccz .LBB472_81
; %bb.72:
	v_and_b32_e32 v7, 0x7fffffff, v2
	s_mov_b32 s11, exec_lo
                                        ; implicit-def: $vgpr3
	s_delay_alu instid0(VALU_DEP_1)
	v_cmpx_gt_u32_e32 0x43f00000, v7
	s_xor_b32 s11, exec_lo, s11
	s_cbranch_execz .LBB472_78
; %bb.73:
	s_mov_b32 s16, exec_lo
                                        ; implicit-def: $vgpr3
	v_cmpx_lt_u32_e32 0x3c7fffff, v7
	s_xor_b32 s16, exec_lo, s16
; %bb.74:
	v_bfe_u32 v3, v2, 20, 1
	s_delay_alu instid0(VALU_DEP_1) | instskip(NEXT) | instid1(VALU_DEP_1)
	v_add3_u32 v3, v2, v3, 0x407ffff
	v_and_b32_e32 v7, 0xff00000, v3
	v_lshrrev_b32_e32 v3, 20, v3
	s_delay_alu instid0(VALU_DEP_2) | instskip(NEXT) | instid1(VALU_DEP_2)
	v_cmp_ne_u32_e32 vcc_lo, 0x7f00000, v7
	v_cndmask_b32_e32 v3, 0x7e, v3, vcc_lo
; %bb.75:
	s_and_not1_saveexec_b32 s16, s16
; %bb.76:
	v_add_f32_e64 v3, 0x46800000, |v2|
; %bb.77:
	s_or_b32 exec_lo, exec_lo, s16
                                        ; implicit-def: $vgpr7
.LBB472_78:
	s_and_not1_saveexec_b32 s11, s11
; %bb.79:
	v_mov_b32_e32 v3, 0x7f
	v_cmp_lt_u32_e32 vcc_lo, 0x7f800000, v7
	s_delay_alu instid0(VALU_DEP_2)
	v_cndmask_b32_e32 v3, 0x7e, v3, vcc_lo
; %bb.80:
	s_or_b32 exec_lo, exec_lo, s11
	v_lshrrev_b32_e32 v7, 24, v2
	s_delay_alu instid0(VALU_DEP_1)
	v_and_or_b32 v3, 0x80, v7, v3
	global_store_b8 v[0:1], v3, off
.LBB472_81:
	s_mov_b32 s11, 0
.LBB472_82:
	s_delay_alu instid0(SALU_CYCLE_1)
	s_and_not1_b32 vcc_lo, exec_lo, s11
	s_cbranch_vccnz .LBB472_92
; %bb.83:
	v_and_b32_e32 v7, 0x7fffffff, v2
	s_mov_b32 s11, exec_lo
                                        ; implicit-def: $vgpr3
	s_delay_alu instid0(VALU_DEP_1)
	v_cmpx_gt_u32_e32 0x47800000, v7
	s_xor_b32 s11, exec_lo, s11
	s_cbranch_execz .LBB472_89
; %bb.84:
	s_mov_b32 s16, exec_lo
                                        ; implicit-def: $vgpr3
	v_cmpx_lt_u32_e32 0x387fffff, v7
	s_xor_b32 s16, exec_lo, s16
; %bb.85:
	v_bfe_u32 v3, v2, 21, 1
	s_delay_alu instid0(VALU_DEP_1) | instskip(NEXT) | instid1(VALU_DEP_1)
	v_add3_u32 v3, v2, v3, 0x80fffff
	v_lshrrev_b32_e32 v3, 21, v3
; %bb.86:
	s_and_not1_saveexec_b32 s16, s16
; %bb.87:
	v_add_f32_e64 v3, 0x43000000, |v2|
; %bb.88:
	s_or_b32 exec_lo, exec_lo, s16
                                        ; implicit-def: $vgpr7
.LBB472_89:
	s_and_not1_saveexec_b32 s11, s11
; %bb.90:
	v_mov_b32_e32 v3, 0x7f
	v_cmp_lt_u32_e32 vcc_lo, 0x7f800000, v7
	s_delay_alu instid0(VALU_DEP_2)
	v_cndmask_b32_e32 v3, 0x7c, v3, vcc_lo
; %bb.91:
	s_or_b32 exec_lo, exec_lo, s11
	v_lshrrev_b32_e32 v7, 24, v2
	s_delay_alu instid0(VALU_DEP_1)
	v_and_or_b32 v3, 0x80, v7, v3
	global_store_b8 v[0:1], v3, off
.LBB472_92:
	s_mov_b32 s16, 0
	s_mov_b32 s11, -1
.LBB472_93:
	s_and_not1_b32 vcc_lo, exec_lo, s16
	s_cbranch_vccnz .LBB472_101
; %bb.94:
	v_cmp_lt_i16_e32 vcc_lo, 14, v6
	s_mov_b32 s16, -1
	s_cbranch_vccz .LBB472_98
; %bb.95:
	v_cmp_eq_u16_e32 vcc_lo, 15, v6
	s_mov_b32 s0, -1
	s_cbranch_vccz .LBB472_97
; %bb.96:
	v_bfe_u32 v3, v2, 16, 1
	v_cmp_o_f32_e32 vcc_lo, v2, v2
	s_mov_b32 s11, -1
	s_mov_b32 s0, 0
	s_delay_alu instid0(VALU_DEP_2) | instskip(NEXT) | instid1(VALU_DEP_1)
	v_add3_u32 v3, v2, v3, 0x7fff
	v_lshrrev_b32_e32 v3, 16, v3
	s_delay_alu instid0(VALU_DEP_1)
	v_cndmask_b32_e32 v3, 0x7fc0, v3, vcc_lo
	global_store_b16 v[0:1], v3, off
.LBB472_97:
	s_mov_b32 s16, 0
.LBB472_98:
	s_delay_alu instid0(SALU_CYCLE_1)
	s_and_b32 vcc_lo, exec_lo, s16
	s_cbranch_vccz .LBB472_101
; %bb.99:
	v_cmp_eq_u16_e32 vcc_lo, 11, v6
	s_mov_b32 s0, -1
	s_cbranch_vccz .LBB472_101
; %bb.100:
	v_cmp_neq_f32_e32 vcc_lo, 0, v2
	s_mov_b32 s0, 0
	s_mov_b32 s11, -1
	v_cndmask_b32_e64 v3, 0, 1, vcc_lo
	global_store_b8 v[0:1], v3, off
.LBB472_101:
	s_branch .LBB472_20
.LBB472_102:
	v_cmp_gt_i16_e32 vcc_lo, 5, v6
	s_mov_b32 s11, -1
	s_cbranch_vccnz .LBB472_123
; %bb.103:
	v_cmp_gt_i16_e32 vcc_lo, 8, v6
	s_cbranch_vccnz .LBB472_113
; %bb.104:
	v_cmp_gt_i16_e32 vcc_lo, 9, v6
	s_cbranch_vccnz .LBB472_110
; %bb.105:
	v_cmp_lt_i16_e32 vcc_lo, 9, v6
	s_cbranch_vccz .LBB472_107
; %bb.106:
	v_cvt_f64_f32_e32 v[7:8], v2
	v_mov_b32_e32 v9, 0
	s_mov_b32 s11, 0
	s_delay_alu instid0(VALU_DEP_1)
	v_mov_b32_e32 v10, v9
	global_store_b128 v[0:1], v[7:10], off
.LBB472_107:
	s_and_not1_b32 vcc_lo, exec_lo, s11
	s_cbranch_vccnz .LBB472_109
; %bb.108:
	v_mov_b32_e32 v3, 0
	global_store_b64 v[0:1], v[2:3], off
.LBB472_109:
	s_mov_b32 s11, 0
.LBB472_110:
	s_delay_alu instid0(SALU_CYCLE_1)
	s_and_not1_b32 vcc_lo, exec_lo, s11
	s_cbranch_vccnz .LBB472_112
; %bb.111:
	v_cvt_f16_f32_e32 v3, v2
	s_delay_alu instid0(VALU_DEP_1)
	v_and_b32_e32 v3, 0xffff, v3
	global_store_b32 v[0:1], v3, off
.LBB472_112:
	s_mov_b32 s11, 0
.LBB472_113:
	s_delay_alu instid0(SALU_CYCLE_1)
	s_and_not1_b32 vcc_lo, exec_lo, s11
	s_cbranch_vccnz .LBB472_122
; %bb.114:
	v_cmp_gt_i16_e32 vcc_lo, 6, v6
	s_mov_b32 s11, -1
	s_cbranch_vccnz .LBB472_120
; %bb.115:
	v_cmp_lt_i16_e32 vcc_lo, 6, v6
	s_cbranch_vccz .LBB472_117
; %bb.116:
	v_cvt_f64_f32_e32 v[7:8], v2
	s_mov_b32 s11, 0
	global_store_b64 v[0:1], v[7:8], off
.LBB472_117:
	s_and_not1_b32 vcc_lo, exec_lo, s11
	s_cbranch_vccnz .LBB472_119
; %bb.118:
	global_store_b32 v[0:1], v2, off
.LBB472_119:
	s_mov_b32 s11, 0
.LBB472_120:
	s_delay_alu instid0(SALU_CYCLE_1)
	s_and_not1_b32 vcc_lo, exec_lo, s11
	s_cbranch_vccnz .LBB472_122
; %bb.121:
	v_cvt_f16_f32_e32 v3, v2
	global_store_b16 v[0:1], v3, off
.LBB472_122:
	s_mov_b32 s11, 0
.LBB472_123:
	s_delay_alu instid0(SALU_CYCLE_1)
	s_and_not1_b32 vcc_lo, exec_lo, s11
	s_cbranch_vccnz .LBB472_139
; %bb.124:
	v_cmp_gt_i16_e32 vcc_lo, 2, v6
	s_mov_b32 s11, -1
	s_cbranch_vccnz .LBB472_134
; %bb.125:
	v_cmp_gt_i16_e32 vcc_lo, 3, v6
	s_cbranch_vccnz .LBB472_131
; %bb.126:
	v_cmp_lt_i16_e32 vcc_lo, 3, v6
	s_cbranch_vccz .LBB472_128
; %bb.127:
	v_trunc_f32_e32 v3, v2
	s_mov_b32 s11, 0
	s_delay_alu instid0(VALU_DEP_1) | instskip(NEXT) | instid1(VALU_DEP_1)
	v_mul_f32_e64 v7, 0x2f800000, |v3|
	v_floor_f32_e32 v7, v7
	s_delay_alu instid0(VALU_DEP_1) | instskip(SKIP_2) | instid1(VALU_DEP_3)
	v_fma_f32 v8, 0xcf800000, v7, |v3|
	v_ashrrev_i32_e32 v3, 31, v3
	v_cvt_u32_f32_e32 v7, v7
	v_cvt_u32_f32_e32 v8, v8
	s_delay_alu instid0(VALU_DEP_2) | instskip(NEXT) | instid1(VALU_DEP_2)
	v_xor_b32_e32 v9, v7, v3
	v_xor_b32_e32 v8, v8, v3
	s_delay_alu instid0(VALU_DEP_1) | instskip(NEXT) | instid1(VALU_DEP_3)
	v_sub_co_u32 v7, vcc_lo, v8, v3
	v_sub_co_ci_u32_e32 v8, vcc_lo, v9, v3, vcc_lo
	global_store_b64 v[0:1], v[7:8], off
.LBB472_128:
	s_and_not1_b32 vcc_lo, exec_lo, s11
	s_cbranch_vccnz .LBB472_130
; %bb.129:
	v_cvt_i32_f32_e32 v3, v2
	global_store_b32 v[0:1], v3, off
.LBB472_130:
	s_mov_b32 s11, 0
.LBB472_131:
	s_delay_alu instid0(SALU_CYCLE_1)
	s_and_not1_b32 vcc_lo, exec_lo, s11
	s_cbranch_vccnz .LBB472_133
; %bb.132:
	v_cvt_i32_f32_e32 v3, v2
	global_store_b16 v[0:1], v3, off
.LBB472_133:
	s_mov_b32 s11, 0
.LBB472_134:
	s_delay_alu instid0(SALU_CYCLE_1)
	s_and_not1_b32 vcc_lo, exec_lo, s11
	s_cbranch_vccnz .LBB472_139
; %bb.135:
	v_cmp_lt_i16_e32 vcc_lo, 0, v6
	s_mov_b32 s11, -1
	s_cbranch_vccz .LBB472_137
; %bb.136:
	v_cvt_i32_f32_e32 v3, v2
	s_mov_b32 s11, 0
	global_store_b8 v[0:1], v3, off
.LBB472_137:
	s_and_not1_b32 vcc_lo, exec_lo, s11
	s_cbranch_vccnz .LBB472_139
; %bb.138:
	v_trunc_f32_e32 v2, v2
	s_delay_alu instid0(VALU_DEP_1) | instskip(NEXT) | instid1(VALU_DEP_1)
	v_mul_f32_e64 v3, 0x2f800000, |v2|
	v_floor_f32_e32 v3, v3
	s_delay_alu instid0(VALU_DEP_1) | instskip(SKIP_1) | instid1(VALU_DEP_2)
	v_fma_f32 v3, 0xcf800000, v3, |v2|
	v_ashrrev_i32_e32 v2, 31, v2
	v_cvt_u32_f32_e32 v3, v3
	s_delay_alu instid0(VALU_DEP_1) | instskip(NEXT) | instid1(VALU_DEP_1)
	v_xor_b32_e32 v3, v3, v2
	v_sub_nc_u32_e32 v2, v3, v2
	global_store_b8 v[0:1], v2, off
.LBB472_139:
	s_mov_b32 s11, -1
.LBB472_140:
	v_add_nc_u32_e32 v4, 0x80, v4
	s_mov_b32 s16, -1
	s_branch .LBB472_251
.LBB472_141:
	s_mov_b32 s13, -1
                                        ; implicit-def: $vgpr2
.LBB472_142:
	s_mov_b32 s11, 0
.LBB472_143:
	s_delay_alu instid0(SALU_CYCLE_1)
	s_and_b32 vcc_lo, exec_lo, s11
	s_cbranch_vccz .LBB472_147
; %bb.144:
	v_cmp_eq_u16_e32 vcc_lo, 29, v5
	s_cbranch_vccz .LBB472_146
; %bb.145:
	global_load_b64 v[2:3], v[0:1], off
	s_mov_b32 s0, -1
	s_mov_b32 s13, 0
	s_mov_b32 s11, 0
	s_waitcnt vmcnt(0)
	v_clz_i32_u32_e32 v6, v3
	s_delay_alu instid0(VALU_DEP_1) | instskip(NEXT) | instid1(VALU_DEP_1)
	v_min_u32_e32 v6, 32, v6
	v_lshlrev_b64 v[2:3], v6, v[2:3]
	s_delay_alu instid0(VALU_DEP_1) | instskip(NEXT) | instid1(VALU_DEP_1)
	v_min_u32_e32 v2, 1, v2
	v_or_b32_e32 v2, v3, v2
	v_sub_nc_u32_e32 v3, 32, v6
	s_delay_alu instid0(VALU_DEP_2) | instskip(NEXT) | instid1(VALU_DEP_1)
	v_cvt_f32_u32_e32 v2, v2
	v_ldexp_f32 v2, v2, v3
	s_branch .LBB472_148
.LBB472_146:
	s_mov_b32 s13, -1
                                        ; implicit-def: $vgpr2
.LBB472_147:
	s_mov_b32 s11, 0
.LBB472_148:
	s_delay_alu instid0(SALU_CYCLE_1)
	s_and_b32 vcc_lo, exec_lo, s11
	s_cbranch_vccz .LBB472_166
; %bb.149:
	v_cmp_gt_i16_e32 vcc_lo, 27, v5
	s_cbranch_vccnz .LBB472_152
; %bb.150:
	v_cmp_lt_i16_e32 vcc_lo, 27, v5
	s_cbranch_vccz .LBB472_153
; %bb.151:
	global_load_b32 v2, v[0:1], off
	s_mov_b32 s0, 0
	s_waitcnt vmcnt(0)
	v_cvt_f32_u32_e32 v2, v2
	s_branch .LBB472_154
.LBB472_152:
	s_mov_b32 s0, -1
                                        ; implicit-def: $vgpr2
	s_branch .LBB472_157
.LBB472_153:
	s_mov_b32 s0, -1
                                        ; implicit-def: $vgpr2
.LBB472_154:
	s_delay_alu instid0(SALU_CYCLE_1)
	s_and_not1_b32 vcc_lo, exec_lo, s0
	s_cbranch_vccnz .LBB472_156
; %bb.155:
	global_load_u16 v2, v[0:1], off
	s_waitcnt vmcnt(0)
	v_cvt_f32_u32_e32 v2, v2
.LBB472_156:
	s_mov_b32 s0, 0
.LBB472_157:
	s_delay_alu instid0(SALU_CYCLE_1)
	s_and_not1_b32 vcc_lo, exec_lo, s0
	s_cbranch_vccnz .LBB472_165
; %bb.158:
	global_load_u8 v3, v[0:1], off
	s_mov_b32 s0, 0
	s_mov_b32 s16, exec_lo
                                        ; implicit-def: $sgpr11
	s_waitcnt vmcnt(0)
	v_cmpx_lt_i16_e32 0x7f, v3
	s_xor_b32 s16, exec_lo, s16
	s_cbranch_execz .LBB472_178
; %bb.159:
	s_mov_b32 s0, -1
	s_mov_b32 s17, exec_lo
                                        ; implicit-def: $sgpr11
	v_cmpx_eq_u16_e32 0x80, v3
; %bb.160:
	s_mov_b32 s11, 0x7f800001
	s_xor_b32 s0, exec_lo, -1
; %bb.161:
	s_or_b32 exec_lo, exec_lo, s17
	s_delay_alu instid0(SALU_CYCLE_1)
	s_and_b32 s0, s0, exec_lo
	s_or_saveexec_b32 s16, s16
	v_mov_b32_e32 v2, s11
	s_xor_b32 exec_lo, exec_lo, s16
	s_cbranch_execnz .LBB472_179
.LBB472_162:
	s_or_b32 exec_lo, exec_lo, s16
	s_and_saveexec_b32 s11, s0
	s_cbranch_execz .LBB472_164
.LBB472_163:
	v_and_b32_e32 v2, 0xffff, v3
	s_delay_alu instid0(VALU_DEP_1) | instskip(NEXT) | instid1(VALU_DEP_1)
	v_and_b32_e32 v6, 7, v2
	v_clz_i32_u32_e32 v7, v6
	s_delay_alu instid0(VALU_DEP_1) | instskip(NEXT) | instid1(VALU_DEP_1)
	v_min_u32_e32 v7, 32, v7
	v_subrev_nc_u32_e32 v8, 28, v7
	v_sub_nc_u32_e32 v7, 29, v7
	s_delay_alu instid0(VALU_DEP_2) | instskip(SKIP_1) | instid1(VALU_DEP_2)
	v_lshlrev_b32_e32 v8, v8, v2
	v_bfe_u32 v2, v2, 3, 4
	v_and_b32_e32 v8, 7, v8
	s_delay_alu instid0(VALU_DEP_2) | instskip(NEXT) | instid1(VALU_DEP_2)
	v_cmp_eq_u32_e32 vcc_lo, 0, v2
	v_dual_cndmask_b32 v6, v6, v8 :: v_dual_lshlrev_b32 v3, 24, v3
	v_cndmask_b32_e32 v2, v2, v7, vcc_lo
	s_delay_alu instid0(VALU_DEP_2) | instskip(NEXT) | instid1(VALU_DEP_3)
	v_and_b32_e32 v3, 0x80000000, v3
	v_lshlrev_b32_e32 v6, 20, v6
	s_delay_alu instid0(VALU_DEP_3) | instskip(NEXT) | instid1(VALU_DEP_1)
	v_lshl_add_u32 v2, v2, 23, 0x3b800000
	v_or3_b32 v2, v3, v2, v6
.LBB472_164:
	s_or_b32 exec_lo, exec_lo, s11
.LBB472_165:
	s_mov_b32 s0, -1
.LBB472_166:
	s_branch .LBB472_201
.LBB472_167:
	v_cmp_lt_i16_e32 vcc_lo, 22, v5
	s_cbranch_vccz .LBB472_177
; %bb.168:
	v_cmp_gt_i16_e32 vcc_lo, 24, v5
	s_cbranch_vccnz .LBB472_180
; %bb.169:
	v_cmp_lt_i16_e32 vcc_lo, 24, v5
	s_cbranch_vccz .LBB472_181
; %bb.170:
	global_load_u8 v3, v[0:1], off
	s_mov_b32 s0, 0
	s_mov_b32 s16, exec_lo
                                        ; implicit-def: $sgpr11
	s_waitcnt vmcnt(0)
	v_cmpx_lt_i16_e32 0x7f, v3
	s_xor_b32 s16, exec_lo, s16
	s_cbranch_execz .LBB472_193
; %bb.171:
	s_mov_b32 s0, -1
	s_mov_b32 s17, exec_lo
                                        ; implicit-def: $sgpr11
	v_cmpx_eq_u16_e32 0x80, v3
; %bb.172:
	s_mov_b32 s11, 0x7f800001
	s_xor_b32 s0, exec_lo, -1
; %bb.173:
	s_or_b32 exec_lo, exec_lo, s17
	s_delay_alu instid0(SALU_CYCLE_1)
	s_and_b32 s0, s0, exec_lo
	s_or_saveexec_b32 s16, s16
	v_mov_b32_e32 v2, s11
	s_xor_b32 exec_lo, exec_lo, s16
	s_cbranch_execnz .LBB472_194
.LBB472_174:
	s_or_b32 exec_lo, exec_lo, s16
	s_and_saveexec_b32 s11, s0
	s_cbranch_execz .LBB472_176
.LBB472_175:
	v_and_b32_e32 v2, 0xffff, v3
	s_delay_alu instid0(VALU_DEP_1) | instskip(NEXT) | instid1(VALU_DEP_1)
	v_and_b32_e32 v6, 3, v2
	v_clz_i32_u32_e32 v7, v6
	s_delay_alu instid0(VALU_DEP_1) | instskip(NEXT) | instid1(VALU_DEP_1)
	v_min_u32_e32 v7, 32, v7
	v_subrev_nc_u32_e32 v8, 29, v7
	v_sub_nc_u32_e32 v7, 30, v7
	s_delay_alu instid0(VALU_DEP_2) | instskip(SKIP_1) | instid1(VALU_DEP_2)
	v_lshlrev_b32_e32 v8, v8, v2
	v_bfe_u32 v2, v2, 2, 5
	v_and_b32_e32 v8, 3, v8
	s_delay_alu instid0(VALU_DEP_2) | instskip(NEXT) | instid1(VALU_DEP_2)
	v_cmp_eq_u32_e32 vcc_lo, 0, v2
	v_dual_cndmask_b32 v6, v6, v8 :: v_dual_lshlrev_b32 v3, 24, v3
	v_cndmask_b32_e32 v2, v2, v7, vcc_lo
	s_delay_alu instid0(VALU_DEP_2) | instskip(NEXT) | instid1(VALU_DEP_3)
	v_and_b32_e32 v3, 0x80000000, v3
	v_lshlrev_b32_e32 v6, 21, v6
	s_delay_alu instid0(VALU_DEP_3) | instskip(NEXT) | instid1(VALU_DEP_1)
	v_lshl_add_u32 v2, v2, 23, 0x37800000
	v_or3_b32 v2, v3, v2, v6
.LBB472_176:
	s_or_b32 exec_lo, exec_lo, s11
	s_mov_b32 s0, 0
	s_branch .LBB472_182
.LBB472_177:
	s_mov_b32 s11, -1
                                        ; implicit-def: $vgpr2
	s_branch .LBB472_188
.LBB472_178:
	s_or_saveexec_b32 s16, s16
	v_mov_b32_e32 v2, s11
	s_xor_b32 exec_lo, exec_lo, s16
	s_cbranch_execz .LBB472_162
.LBB472_179:
	v_cmp_ne_u16_e32 vcc_lo, 0, v3
	v_mov_b32_e32 v2, 0
	s_and_not1_b32 s0, s0, exec_lo
	s_and_b32 s11, vcc_lo, exec_lo
	s_delay_alu instid0(SALU_CYCLE_1)
	s_or_b32 s0, s0, s11
	s_or_b32 exec_lo, exec_lo, s16
	s_and_saveexec_b32 s11, s0
	s_cbranch_execnz .LBB472_163
	s_branch .LBB472_164
.LBB472_180:
	s_mov_b32 s0, -1
                                        ; implicit-def: $vgpr2
	s_branch .LBB472_185
.LBB472_181:
	s_mov_b32 s0, -1
                                        ; implicit-def: $vgpr2
.LBB472_182:
	s_delay_alu instid0(SALU_CYCLE_1)
	s_and_b32 vcc_lo, exec_lo, s0
	s_cbranch_vccz .LBB472_184
; %bb.183:
	global_load_u8 v2, v[0:1], off
	s_waitcnt vmcnt(0)
	v_lshlrev_b32_e32 v2, 24, v2
	s_delay_alu instid0(VALU_DEP_1) | instskip(NEXT) | instid1(VALU_DEP_1)
	v_and_b32_e32 v3, 0x7f000000, v2
	v_clz_i32_u32_e32 v6, v3
	v_cmp_ne_u32_e32 vcc_lo, 0, v3
	v_add_nc_u32_e32 v8, 0x1000000, v3
	s_delay_alu instid0(VALU_DEP_3) | instskip(NEXT) | instid1(VALU_DEP_1)
	v_min_u32_e32 v6, 32, v6
	v_sub_nc_u32_e64 v6, v6, 4 clamp
	s_delay_alu instid0(VALU_DEP_1) | instskip(SKIP_1) | instid1(VALU_DEP_2)
	v_lshlrev_b32_e32 v7, v6, v3
	v_lshlrev_b32_e32 v6, 23, v6
	v_lshrrev_b32_e32 v7, 4, v7
	s_delay_alu instid0(VALU_DEP_1) | instskip(SKIP_1) | instid1(VALU_DEP_2)
	v_sub_nc_u32_e32 v6, v7, v6
	v_ashrrev_i32_e32 v7, 8, v8
	v_add_nc_u32_e32 v6, 0x3c000000, v6
	s_delay_alu instid0(VALU_DEP_1) | instskip(NEXT) | instid1(VALU_DEP_1)
	v_and_or_b32 v6, 0x7f800000, v7, v6
	v_cndmask_b32_e32 v3, 0, v6, vcc_lo
	s_delay_alu instid0(VALU_DEP_1)
	v_and_or_b32 v2, 0x80000000, v2, v3
.LBB472_184:
	s_mov_b32 s0, 0
.LBB472_185:
	s_delay_alu instid0(SALU_CYCLE_1)
	s_and_not1_b32 vcc_lo, exec_lo, s0
	s_cbranch_vccnz .LBB472_187
; %bb.186:
	global_load_u8 v2, v[0:1], off
	s_waitcnt vmcnt(0)
	v_lshlrev_b32_e32 v3, 25, v2
	v_lshlrev_b16 v2, 8, v2
	s_delay_alu instid0(VALU_DEP_2) | instskip(NEXT) | instid1(VALU_DEP_2)
	v_lshrrev_b32_e32 v6, 4, v3
	v_and_or_b32 v7, 0x7f00, v2, 0.5
	v_cmp_gt_u32_e32 vcc_lo, 0x8000000, v3
	v_bfe_i32 v2, v2, 0, 16
	s_delay_alu instid0(VALU_DEP_4) | instskip(NEXT) | instid1(VALU_DEP_1)
	v_or_b32_e32 v6, 0x70000000, v6
	v_dual_add_f32 v7, -0.5, v7 :: v_dual_mul_f32 v6, 0x7800000, v6
	s_delay_alu instid0(VALU_DEP_1) | instskip(NEXT) | instid1(VALU_DEP_1)
	v_cndmask_b32_e32 v3, v6, v7, vcc_lo
	v_and_or_b32 v2, 0x80000000, v2, v3
.LBB472_187:
	s_mov_b32 s11, 0
	s_mov_b32 s0, -1
.LBB472_188:
	s_and_not1_b32 vcc_lo, exec_lo, s11
	s_cbranch_vccnz .LBB472_201
; %bb.189:
	v_cmp_lt_i16_e32 vcc_lo, 14, v5
	s_cbranch_vccz .LBB472_192
; %bb.190:
	v_cmp_eq_u16_e32 vcc_lo, 15, v5
	s_cbranch_vccz .LBB472_195
; %bb.191:
	global_load_u16 v2, v[0:1], off
	s_mov_b32 s0, -1
	s_mov_b32 s13, 0
	s_waitcnt vmcnt(0)
	v_lshlrev_b32_e32 v2, 16, v2
	s_branch .LBB472_196
.LBB472_192:
	s_mov_b32 s11, -1
                                        ; implicit-def: $vgpr2
	s_branch .LBB472_197
.LBB472_193:
	s_or_saveexec_b32 s16, s16
	v_mov_b32_e32 v2, s11
	s_xor_b32 exec_lo, exec_lo, s16
	s_cbranch_execz .LBB472_174
.LBB472_194:
	v_cmp_ne_u16_e32 vcc_lo, 0, v3
	v_mov_b32_e32 v2, 0
	s_and_not1_b32 s0, s0, exec_lo
	s_and_b32 s11, vcc_lo, exec_lo
	s_delay_alu instid0(SALU_CYCLE_1)
	s_or_b32 s0, s0, s11
	s_or_b32 exec_lo, exec_lo, s16
	s_and_saveexec_b32 s11, s0
	s_cbranch_execnz .LBB472_175
	s_branch .LBB472_176
.LBB472_195:
	s_mov_b32 s13, -1
                                        ; implicit-def: $vgpr2
.LBB472_196:
	s_mov_b32 s11, 0
.LBB472_197:
	s_delay_alu instid0(SALU_CYCLE_1)
	s_and_b32 vcc_lo, exec_lo, s11
	s_cbranch_vccz .LBB472_201
; %bb.198:
	v_cmp_eq_u16_e32 vcc_lo, 11, v5
	s_cbranch_vccz .LBB472_200
; %bb.199:
	global_load_u8 v2, v[0:1], off
	s_mov_b32 s13, 0
	s_mov_b32 s0, -1
	s_waitcnt vmcnt(0)
	v_cmp_ne_u16_e32 vcc_lo, 0, v2
	v_cndmask_b32_e64 v2, 0, 1.0, vcc_lo
	s_branch .LBB472_201
.LBB472_200:
	s_mov_b32 s13, -1
                                        ; implicit-def: $vgpr2
.LBB472_201:
	s_branch .LBB472_10
.LBB472_202:
	v_cmp_gt_i16_e32 vcc_lo, 5, v5
	s_cbranch_vccnz .LBB472_207
; %bb.203:
	v_cmp_gt_i16_e32 vcc_lo, 8, v5
	s_cbranch_vccnz .LBB472_208
; %bb.204:
	;; [unrolled: 3-line block ×3, first 2 shown]
	v_cmp_lt_i16_e32 vcc_lo, 9, v5
	s_cbranch_vccz .LBB472_210
; %bb.206:
	global_load_b64 v[2:3], v[0:1], off
	s_mov_b32 s0, 0
	s_waitcnt vmcnt(0)
	v_cvt_f32_f64_e32 v2, v[2:3]
	s_branch .LBB472_211
.LBB472_207:
                                        ; implicit-def: $vgpr2
	s_branch .LBB472_229
.LBB472_208:
	s_mov_b32 s0, -1
                                        ; implicit-def: $vgpr2
	s_branch .LBB472_217
.LBB472_209:
	s_mov_b32 s0, -1
                                        ; implicit-def: $vgpr2
	s_branch .LBB472_214
.LBB472_210:
	s_mov_b32 s0, -1
                                        ; implicit-def: $vgpr2
.LBB472_211:
	s_delay_alu instid0(SALU_CYCLE_1)
	s_and_not1_b32 vcc_lo, exec_lo, s0
	s_cbranch_vccnz .LBB472_213
; %bb.212:
	global_load_b32 v2, v[0:1], off
.LBB472_213:
	s_mov_b32 s0, 0
.LBB472_214:
	s_delay_alu instid0(SALU_CYCLE_1)
	s_and_not1_b32 vcc_lo, exec_lo, s0
	s_cbranch_vccnz .LBB472_216
; %bb.215:
	global_load_b32 v2, v[0:1], off
	s_waitcnt vmcnt(0)
	v_cvt_f32_f16_e32 v2, v2
.LBB472_216:
	s_mov_b32 s0, 0
.LBB472_217:
	s_delay_alu instid0(SALU_CYCLE_1)
	s_and_not1_b32 vcc_lo, exec_lo, s0
	s_cbranch_vccnz .LBB472_228
; %bb.218:
	v_cmp_gt_i16_e32 vcc_lo, 6, v5
	s_cbranch_vccnz .LBB472_221
; %bb.219:
	v_cmp_lt_i16_e32 vcc_lo, 6, v5
	s_cbranch_vccz .LBB472_222
; %bb.220:
	global_load_b64 v[2:3], v[0:1], off
	s_mov_b32 s0, 0
	s_waitcnt vmcnt(0)
	v_cvt_f32_f64_e32 v2, v[2:3]
	s_branch .LBB472_223
.LBB472_221:
	s_mov_b32 s0, -1
                                        ; implicit-def: $vgpr2
	s_branch .LBB472_226
.LBB472_222:
	s_mov_b32 s0, -1
                                        ; implicit-def: $vgpr2
.LBB472_223:
	s_delay_alu instid0(SALU_CYCLE_1)
	s_and_not1_b32 vcc_lo, exec_lo, s0
	s_cbranch_vccnz .LBB472_225
; %bb.224:
	global_load_b32 v2, v[0:1], off
.LBB472_225:
	s_mov_b32 s0, 0
.LBB472_226:
	s_delay_alu instid0(SALU_CYCLE_1)
	s_and_not1_b32 vcc_lo, exec_lo, s0
	s_cbranch_vccnz .LBB472_228
; %bb.227:
	global_load_u16 v2, v[0:1], off
	s_waitcnt vmcnt(0)
	v_cvt_f32_f16_e32 v2, v2
.LBB472_228:
	s_cbranch_execnz .LBB472_248
.LBB472_229:
	v_cmp_gt_i16_e32 vcc_lo, 2, v5
	s_cbranch_vccnz .LBB472_233
; %bb.230:
	v_cmp_gt_i16_e32 vcc_lo, 3, v5
	s_cbranch_vccnz .LBB472_234
; %bb.231:
	v_cmp_lt_i16_e32 vcc_lo, 3, v5
	s_cbranch_vccz .LBB472_235
; %bb.232:
	global_load_b64 v[2:3], v[0:1], off
	s_mov_b32 s0, 0
	s_waitcnt vmcnt(0)
	v_xor_b32_e32 v6, v2, v3
	v_cls_i32_e32 v7, v3
	s_delay_alu instid0(VALU_DEP_2) | instskip(NEXT) | instid1(VALU_DEP_2)
	v_ashrrev_i32_e32 v6, 31, v6
	v_add_nc_u32_e32 v7, -1, v7
	s_delay_alu instid0(VALU_DEP_2) | instskip(NEXT) | instid1(VALU_DEP_1)
	v_add_nc_u32_e32 v6, 32, v6
	v_min_u32_e32 v6, v7, v6
	s_delay_alu instid0(VALU_DEP_1) | instskip(NEXT) | instid1(VALU_DEP_1)
	v_lshlrev_b64 v[2:3], v6, v[2:3]
	v_min_u32_e32 v2, 1, v2
	s_delay_alu instid0(VALU_DEP_1) | instskip(SKIP_1) | instid1(VALU_DEP_2)
	v_or_b32_e32 v2, v3, v2
	v_sub_nc_u32_e32 v3, 32, v6
	v_cvt_f32_i32_e32 v2, v2
	s_delay_alu instid0(VALU_DEP_1)
	v_ldexp_f32 v2, v2, v3
	s_branch .LBB472_236
.LBB472_233:
	s_mov_b32 s0, -1
                                        ; implicit-def: $vgpr2
	s_branch .LBB472_242
.LBB472_234:
	s_mov_b32 s0, -1
                                        ; implicit-def: $vgpr2
	s_branch .LBB472_239
.LBB472_235:
	s_mov_b32 s0, -1
                                        ; implicit-def: $vgpr2
.LBB472_236:
	s_delay_alu instid0(SALU_CYCLE_1)
	s_and_not1_b32 vcc_lo, exec_lo, s0
	s_cbranch_vccnz .LBB472_238
; %bb.237:
	global_load_b32 v2, v[0:1], off
	s_waitcnt vmcnt(0)
	v_cvt_f32_i32_e32 v2, v2
.LBB472_238:
	s_mov_b32 s0, 0
.LBB472_239:
	s_delay_alu instid0(SALU_CYCLE_1)
	s_and_not1_b32 vcc_lo, exec_lo, s0
	s_cbranch_vccnz .LBB472_241
; %bb.240:
	global_load_i16 v2, v[0:1], off
	s_waitcnt vmcnt(0)
	v_cvt_f32_i32_e32 v2, v2
.LBB472_241:
	s_mov_b32 s0, 0
.LBB472_242:
	s_delay_alu instid0(SALU_CYCLE_1)
	s_and_not1_b32 vcc_lo, exec_lo, s0
	s_cbranch_vccnz .LBB472_248
; %bb.243:
	v_cmp_lt_i16_e32 vcc_lo, 0, v5
	s_mov_b32 s0, 0
	s_cbranch_vccz .LBB472_245
; %bb.244:
	global_load_i8 v2, v[0:1], off
	s_waitcnt vmcnt(0)
	v_cvt_f32_i32_e32 v2, v2
	s_branch .LBB472_246
.LBB472_245:
	s_mov_b32 s0, -1
                                        ; implicit-def: $vgpr2
.LBB472_246:
	s_delay_alu instid0(SALU_CYCLE_1)
	s_and_not1_b32 vcc_lo, exec_lo, s0
	s_cbranch_vccnz .LBB472_248
; %bb.247:
	global_load_u8 v0, v[0:1], off
	s_waitcnt vmcnt(0)
	v_cvt_f32_ubyte0_e32 v2, v0
.LBB472_248:
	s_branch .LBB472_11
.LBB472_249:
	s_mov_b32 s0, 0
.LBB472_250:
	s_mov_b32 s16, 0
                                        ; implicit-def: $vgpr4
.LBB472_251:
	s_and_b32 s11, s0, exec_lo
	s_and_b32 s13, s13, exec_lo
	s_or_not1_b32 s17, s16, exec_lo
.LBB472_252:
	s_or_b32 exec_lo, exec_lo, s14
	s_mov_b32 s16, 0
	s_mov_b32 s0, 0
                                        ; implicit-def: $vgpr0_vgpr1
                                        ; implicit-def: $vgpr3
	s_and_saveexec_b32 s14, s17
	s_cbranch_execz .LBB472_860
; %bb.253:
	s_mov_b32 s19, -1
	s_mov_b32 s15, s13
	s_mov_b32 s16, s11
	s_mov_b32 s17, exec_lo
	v_cmpx_gt_i32_e64 s12, v4
	s_cbranch_execz .LBB472_512
; %bb.254:
	v_mul_lo_u32 v0, v4, s9
	v_cmp_gt_i16_e32 vcc_lo, 11, v5
	s_delay_alu instid0(VALU_DEP_2) | instskip(SKIP_1) | instid1(VALU_DEP_1)
	v_ashrrev_i32_e32 v1, 31, v0
	v_add_co_u32 v0, s0, s6, v0
	v_add_co_ci_u32_e64 v1, s0, s7, v1, s0
	s_cbranch_vccnz .LBB472_261
; %bb.255:
	v_cmp_lt_i16_e32 vcc_lo, 25, v5
	s_cbranch_vccz .LBB472_270
; %bb.256:
	v_cmp_lt_i16_e32 vcc_lo, 28, v5
	s_cbranch_vccz .LBB472_272
	;; [unrolled: 3-line block ×4, first 2 shown]
; %bb.259:
	v_cmp_eq_u16_e32 vcc_lo, 46, v5
	s_mov_b32 s16, 0
	s_cbranch_vccz .LBB472_282
; %bb.260:
	global_load_b32 v2, v[0:1], off
	s_mov_b32 s0, -1
	s_mov_b32 s15, 0
	s_waitcnt vmcnt(0)
	v_lshlrev_b32_e32 v2, 16, v2
	s_branch .LBB472_284
.LBB472_261:
	s_mov_b32 s0, 0
	s_mov_b32 s15, s13
                                        ; implicit-def: $vgpr2
	s_cbranch_execnz .LBB472_461
.LBB472_262:
	s_and_not1_b32 vcc_lo, exec_lo, s0
	s_cbranch_vccnz .LBB472_509
.LBB472_263:
	v_mul_lo_u32 v3, v4, s8
	v_max_f32_e64 v0, s10, s10
	s_waitcnt vmcnt(0)
	s_delay_alu instid0(VALU_DEP_3) | instskip(SKIP_2) | instid1(VALU_DEP_3)
	v_max_f32_e32 v1, v2, v2
	v_and_b32_e64 v6, 0xff, s2
	v_cmp_u_f32_e64 s0, v2, v2
	v_min_f32_e32 v0, v1, v0
	v_ashrrev_i32_e32 v1, 31, v3
	s_delay_alu instid0(VALU_DEP_4) | instskip(NEXT) | instid1(VALU_DEP_3)
	v_cmp_gt_i16_e32 vcc_lo, 11, v6
	v_cndmask_b32_e64 v2, v0, v2, s0
	v_add_co_u32 v0, s0, s4, v3
	s_delay_alu instid0(VALU_DEP_1)
	v_add_co_ci_u32_e64 v1, s0, s5, v1, s0
	s_cbranch_vccnz .LBB472_271
; %bb.264:
	v_cmp_lt_i16_e32 vcc_lo, 25, v6
	s_cbranch_vccz .LBB472_273
; %bb.265:
	v_cmp_lt_i16_e32 vcc_lo, 28, v6
	s_cbranch_vccz .LBB472_275
	;; [unrolled: 3-line block ×4, first 2 shown]
; %bb.268:
	v_cmp_eq_u16_e32 vcc_lo, 46, v6
	s_mov_b32 s18, 0
	s_mov_b32 s0, -1
	s_mov_b32 s16, 0
	s_cbranch_vccz .LBB472_288
; %bb.269:
	v_bfe_u32 v3, v2, 16, 1
	v_cmp_o_f32_e32 vcc_lo, v2, v2
	s_mov_b32 s16, -1
	s_mov_b32 s0, 0
	s_delay_alu instid0(VALU_DEP_2) | instskip(NEXT) | instid1(VALU_DEP_1)
	v_add3_u32 v3, v2, v3, 0x7fff
	v_lshrrev_b32_e32 v3, 16, v3
	s_delay_alu instid0(VALU_DEP_1)
	v_cndmask_b32_e32 v3, 0x7fc0, v3, vcc_lo
	global_store_b32 v[0:1], v3, off
	s_branch .LBB472_288
.LBB472_270:
	s_mov_b32 s16, -1
	s_mov_b32 s0, 0
	s_mov_b32 s15, s13
                                        ; implicit-def: $vgpr2
	s_branch .LBB472_425
.LBB472_271:
	s_mov_b32 s18, -1
	s_mov_b32 s16, 0
	s_mov_b32 s0, s11
	s_branch .LBB472_357
.LBB472_272:
	s_mov_b32 s16, -1
	s_mov_b32 s0, 0
	s_mov_b32 s15, s13
                                        ; implicit-def: $vgpr2
	s_branch .LBB472_406
.LBB472_273:
	s_mov_b32 s18, -1
	s_mov_b32 s16, 0
	s_mov_b32 s0, s11
	s_branch .LBB472_315
.LBB472_274:
	s_mov_b32 s16, -1
	s_mov_b32 s0, 0
	s_mov_b32 s15, s13
                                        ; implicit-def: $vgpr2
	s_branch .LBB472_401
.LBB472_275:
	s_mov_b32 s18, -1
	s_mov_b32 s16, 0
	s_mov_b32 s0, s11
	s_branch .LBB472_298
.LBB472_276:
	s_or_saveexec_b32 s17, s17
                                        ; implicit-def: $sgpr18
	s_delay_alu instid0(SALU_CYCLE_1)
	s_xor_b32 exec_lo, exec_lo, s17
	s_cbranch_execz .LBB472_54
.LBB472_277:
	v_add_f32_e64 v3, 0x46000000, |v2|
	s_and_not1_b32 s16, s16, exec_lo
	s_mov_b32 s18, 0
	s_delay_alu instid0(VALU_DEP_1) | instskip(NEXT) | instid1(VALU_DEP_1)
	v_and_b32_e32 v3, 0xff, v3
	v_cmp_ne_u32_e32 vcc_lo, 0, v3
	s_and_b32 s19, vcc_lo, exec_lo
	s_delay_alu instid0(SALU_CYCLE_1)
	s_or_b32 s16, s16, s19
	s_or_b32 exec_lo, exec_lo, s17
	v_mov_b32_e32 v7, s18
	s_and_saveexec_b32 s17, s16
	s_cbranch_execnz .LBB472_55
	s_branch .LBB472_56
.LBB472_278:
	s_mov_b32 s16, -1
	s_mov_b32 s0, 0
	s_mov_b32 s15, s13
	s_branch .LBB472_283
.LBB472_279:
	s_mov_b32 s18, -1
	s_mov_b32 s16, 0
	s_mov_b32 s0, s11
	s_branch .LBB472_294
.LBB472_280:
	s_or_saveexec_b32 s17, s17
                                        ; implicit-def: $sgpr18
	s_delay_alu instid0(SALU_CYCLE_1)
	s_xor_b32 exec_lo, exec_lo, s17
	s_cbranch_execz .LBB472_67
.LBB472_281:
	v_add_f32_e64 v3, 0x42800000, |v2|
	s_and_not1_b32 s16, s16, exec_lo
	s_mov_b32 s18, 0
	s_delay_alu instid0(VALU_DEP_1) | instskip(NEXT) | instid1(VALU_DEP_1)
	v_and_b32_e32 v3, 0xff, v3
	v_cmp_ne_u32_e32 vcc_lo, 0, v3
	s_and_b32 s19, vcc_lo, exec_lo
	s_delay_alu instid0(SALU_CYCLE_1)
	s_or_b32 s16, s16, s19
	s_or_b32 exec_lo, exec_lo, s17
	v_mov_b32_e32 v7, s18
	s_and_saveexec_b32 s17, s16
	s_cbranch_execnz .LBB472_68
	s_branch .LBB472_69
.LBB472_282:
	s_mov_b32 s15, -1
	s_mov_b32 s0, 0
.LBB472_283:
                                        ; implicit-def: $vgpr2
.LBB472_284:
	s_and_b32 vcc_lo, exec_lo, s16
	s_cbranch_vccz .LBB472_400
; %bb.285:
	v_cmp_eq_u16_e32 vcc_lo, 44, v5
	s_cbranch_vccz .LBB472_399
; %bb.286:
	global_load_u8 v2, v[0:1], off
	s_mov_b32 s15, 0
	s_mov_b32 s0, -1
	s_waitcnt vmcnt(0)
	v_lshlrev_b32_e32 v3, 23, v2
	v_cmp_ne_u32_e32 vcc_lo, 0xff, v2
	s_delay_alu instid0(VALU_DEP_2) | instskip(SKIP_1) | instid1(VALU_DEP_2)
	v_cndmask_b32_e32 v3, 0x7f800001, v3, vcc_lo
	v_cmp_ne_u32_e32 vcc_lo, 0, v2
	v_cndmask_b32_e32 v2, 0x400000, v3, vcc_lo
	s_branch .LBB472_400
.LBB472_287:
	s_mov_b32 s18, -1
	s_mov_b32 s16, 0
	s_mov_b32 s0, s11
.LBB472_288:
	s_and_b32 vcc_lo, exec_lo, s18
	s_cbranch_vccz .LBB472_293
; %bb.289:
	v_cmp_eq_u16_e32 vcc_lo, 44, v6
	s_mov_b32 s0, -1
	s_cbranch_vccz .LBB472_293
; %bb.290:
	v_bfe_u32 v7, v2, 23, 8
	v_mov_b32_e32 v3, 0xff
	s_mov_b32 s16, exec_lo
	s_delay_alu instid0(VALU_DEP_2)
	v_cmpx_ne_u32_e32 0xff, v7
; %bb.291:
	v_and_b32_e32 v3, 0x400000, v2
	v_and_or_b32 v7, 0x3fffff, v2, v7
	s_delay_alu instid0(VALU_DEP_2) | instskip(NEXT) | instid1(VALU_DEP_2)
	v_cmp_ne_u32_e32 vcc_lo, 0, v3
	v_cmp_ne_u32_e64 s0, 0, v7
	v_lshrrev_b32_e32 v3, 23, v2
	s_delay_alu instid0(VALU_DEP_2) | instskip(NEXT) | instid1(SALU_CYCLE_1)
	s_and_b32 s0, vcc_lo, s0
	v_cndmask_b32_e64 v7, 0, 1, s0
	s_delay_alu instid0(VALU_DEP_1)
	v_add_nc_u32_e32 v3, v3, v7
; %bb.292:
	s_or_b32 exec_lo, exec_lo, s16
	s_mov_b32 s16, -1
	s_mov_b32 s0, 0
	global_store_b8 v[0:1], v3, off
.LBB472_293:
	s_mov_b32 s18, 0
.LBB472_294:
	s_delay_alu instid0(SALU_CYCLE_1)
	s_and_b32 vcc_lo, exec_lo, s18
	s_cbranch_vccz .LBB472_297
; %bb.295:
	v_cmp_eq_u16_e32 vcc_lo, 29, v6
	s_mov_b32 s0, -1
	s_cbranch_vccz .LBB472_297
; %bb.296:
	v_trunc_f32_e32 v3, v2
	s_mov_b32 s16, -1
	s_mov_b32 s0, 0
	s_mov_b32 s18, 0
	s_delay_alu instid0(VALU_DEP_1) | instskip(NEXT) | instid1(VALU_DEP_1)
	v_mul_f32_e32 v7, 0x2f800000, v3
	v_floor_f32_e32 v7, v7
	s_delay_alu instid0(VALU_DEP_1) | instskip(SKIP_1) | instid1(VALU_DEP_2)
	v_fmamk_f32 v3, v7, 0xcf800000, v3
	v_cvt_u32_f32_e32 v8, v7
	v_cvt_u32_f32_e32 v7, v3
	global_store_b64 v[0:1], v[7:8], off
	s_branch .LBB472_298
.LBB472_297:
	s_mov_b32 s18, 0
.LBB472_298:
	s_delay_alu instid0(SALU_CYCLE_1)
	s_and_b32 vcc_lo, exec_lo, s18
	s_cbranch_vccz .LBB472_314
; %bb.299:
	v_cmp_gt_i16_e32 vcc_lo, 27, v6
	s_mov_b32 s16, -1
	s_cbranch_vccnz .LBB472_305
; %bb.300:
	v_cmp_lt_i16_e32 vcc_lo, 27, v6
	s_cbranch_vccz .LBB472_302
; %bb.301:
	v_cvt_u32_f32_e32 v3, v2
	s_mov_b32 s16, 0
	global_store_b32 v[0:1], v3, off
.LBB472_302:
	s_and_not1_b32 vcc_lo, exec_lo, s16
	s_cbranch_vccnz .LBB472_304
; %bb.303:
	v_cvt_u32_f32_e32 v3, v2
	global_store_b16 v[0:1], v3, off
.LBB472_304:
	s_mov_b32 s16, 0
.LBB472_305:
	s_delay_alu instid0(SALU_CYCLE_1)
	s_and_not1_b32 vcc_lo, exec_lo, s16
	s_cbranch_vccnz .LBB472_313
; %bb.306:
	v_and_b32_e32 v3, 0x7fffffff, v2
	v_mov_b32_e32 v7, 0x80
	s_mov_b32 s16, exec_lo
	s_delay_alu instid0(VALU_DEP_2)
	v_cmpx_gt_u32_e32 0x43800000, v3
	s_cbranch_execz .LBB472_312
; %bb.307:
	v_cmp_lt_u32_e32 vcc_lo, 0x3bffffff, v3
	s_mov_b32 s18, 0
                                        ; implicit-def: $vgpr3
	s_and_saveexec_b32 s19, vcc_lo
	s_delay_alu instid0(SALU_CYCLE_1)
	s_xor_b32 s19, exec_lo, s19
	s_cbranch_execz .LBB472_525
; %bb.308:
	v_bfe_u32 v3, v2, 20, 1
	s_mov_b32 s18, exec_lo
	s_delay_alu instid0(VALU_DEP_1) | instskip(NEXT) | instid1(VALU_DEP_1)
	v_add3_u32 v3, v2, v3, 0x487ffff
	v_lshrrev_b32_e32 v3, 20, v3
	s_or_saveexec_b32 s19, s19
                                        ; implicit-def: $sgpr20
	s_delay_alu instid0(SALU_CYCLE_1)
	s_xor_b32 exec_lo, exec_lo, s19
	s_cbranch_execnz .LBB472_526
.LBB472_309:
	s_or_b32 exec_lo, exec_lo, s19
	v_mov_b32_e32 v7, s20
	s_and_saveexec_b32 s19, s18
.LBB472_310:
	v_lshrrev_b32_e32 v7, 24, v2
	s_delay_alu instid0(VALU_DEP_1)
	v_and_or_b32 v7, 0x80, v7, v3
.LBB472_311:
	s_or_b32 exec_lo, exec_lo, s19
.LBB472_312:
	s_delay_alu instid0(SALU_CYCLE_1)
	s_or_b32 exec_lo, exec_lo, s16
	global_store_b8 v[0:1], v7, off
.LBB472_313:
	s_mov_b32 s16, -1
.LBB472_314:
	s_mov_b32 s18, 0
.LBB472_315:
	s_delay_alu instid0(SALU_CYCLE_1)
	s_and_b32 vcc_lo, exec_lo, s18
	s_cbranch_vccz .LBB472_356
; %bb.316:
	v_cmp_lt_i16_e32 vcc_lo, 22, v6
	s_mov_b32 s18, -1
	s_cbranch_vccz .LBB472_348
; %bb.317:
	v_cmp_gt_i16_e32 vcc_lo, 24, v6
	s_mov_b32 s16, -1
	s_cbranch_vccnz .LBB472_337
; %bb.318:
	v_cmp_lt_i16_e32 vcc_lo, 24, v6
	s_cbranch_vccz .LBB472_326
; %bb.319:
	v_and_b32_e32 v3, 0x7fffffff, v2
	v_mov_b32_e32 v7, 0x80
	s_mov_b32 s16, exec_lo
	s_delay_alu instid0(VALU_DEP_2)
	v_cmpx_gt_u32_e32 0x47800000, v3
	s_cbranch_execz .LBB472_325
; %bb.320:
	v_cmp_lt_u32_e32 vcc_lo, 0x37ffffff, v3
	s_mov_b32 s18, 0
                                        ; implicit-def: $vgpr3
	s_and_saveexec_b32 s19, vcc_lo
	s_delay_alu instid0(SALU_CYCLE_1)
	s_xor_b32 s19, exec_lo, s19
	s_cbranch_execz .LBB472_528
; %bb.321:
	v_bfe_u32 v3, v2, 21, 1
	s_mov_b32 s18, exec_lo
	s_delay_alu instid0(VALU_DEP_1) | instskip(NEXT) | instid1(VALU_DEP_1)
	v_add3_u32 v3, v2, v3, 0x88fffff
	v_lshrrev_b32_e32 v3, 21, v3
	s_or_saveexec_b32 s19, s19
                                        ; implicit-def: $sgpr20
	s_delay_alu instid0(SALU_CYCLE_1)
	s_xor_b32 exec_lo, exec_lo, s19
	s_cbranch_execnz .LBB472_529
.LBB472_322:
	s_or_b32 exec_lo, exec_lo, s19
	v_mov_b32_e32 v7, s20
	s_and_saveexec_b32 s19, s18
.LBB472_323:
	v_lshrrev_b32_e32 v7, 24, v2
	s_delay_alu instid0(VALU_DEP_1)
	v_and_or_b32 v7, 0x80, v7, v3
.LBB472_324:
	s_or_b32 exec_lo, exec_lo, s19
.LBB472_325:
	s_delay_alu instid0(SALU_CYCLE_1)
	s_or_b32 exec_lo, exec_lo, s16
	s_mov_b32 s16, 0
	global_store_b8 v[0:1], v7, off
.LBB472_326:
	s_and_b32 vcc_lo, exec_lo, s16
	s_cbranch_vccz .LBB472_336
; %bb.327:
	v_and_b32_e32 v7, 0x7fffffff, v2
	s_mov_b32 s16, exec_lo
                                        ; implicit-def: $vgpr3
	s_delay_alu instid0(VALU_DEP_1)
	v_cmpx_gt_u32_e32 0x43f00000, v7
	s_xor_b32 s16, exec_lo, s16
	s_cbranch_execz .LBB472_333
; %bb.328:
	s_mov_b32 s18, exec_lo
                                        ; implicit-def: $vgpr3
	v_cmpx_lt_u32_e32 0x3c7fffff, v7
	s_xor_b32 s18, exec_lo, s18
; %bb.329:
	v_bfe_u32 v3, v2, 20, 1
	s_delay_alu instid0(VALU_DEP_1) | instskip(NEXT) | instid1(VALU_DEP_1)
	v_add3_u32 v3, v2, v3, 0x407ffff
	v_and_b32_e32 v7, 0xff00000, v3
	v_lshrrev_b32_e32 v3, 20, v3
	s_delay_alu instid0(VALU_DEP_2) | instskip(NEXT) | instid1(VALU_DEP_2)
	v_cmp_ne_u32_e32 vcc_lo, 0x7f00000, v7
	v_cndmask_b32_e32 v3, 0x7e, v3, vcc_lo
; %bb.330:
	s_and_not1_saveexec_b32 s18, s18
; %bb.331:
	v_add_f32_e64 v3, 0x46800000, |v2|
; %bb.332:
	s_or_b32 exec_lo, exec_lo, s18
                                        ; implicit-def: $vgpr7
.LBB472_333:
	s_and_not1_saveexec_b32 s16, s16
; %bb.334:
	v_mov_b32_e32 v3, 0x7f
	v_cmp_lt_u32_e32 vcc_lo, 0x7f800000, v7
	s_delay_alu instid0(VALU_DEP_2)
	v_cndmask_b32_e32 v3, 0x7e, v3, vcc_lo
; %bb.335:
	s_or_b32 exec_lo, exec_lo, s16
	v_lshrrev_b32_e32 v7, 24, v2
	s_delay_alu instid0(VALU_DEP_1)
	v_and_or_b32 v3, 0x80, v7, v3
	global_store_b8 v[0:1], v3, off
.LBB472_336:
	s_mov_b32 s16, 0
.LBB472_337:
	s_delay_alu instid0(SALU_CYCLE_1)
	s_and_not1_b32 vcc_lo, exec_lo, s16
	s_cbranch_vccnz .LBB472_347
; %bb.338:
	v_and_b32_e32 v7, 0x7fffffff, v2
	s_mov_b32 s16, exec_lo
                                        ; implicit-def: $vgpr3
	s_delay_alu instid0(VALU_DEP_1)
	v_cmpx_gt_u32_e32 0x47800000, v7
	s_xor_b32 s16, exec_lo, s16
	s_cbranch_execz .LBB472_344
; %bb.339:
	s_mov_b32 s18, exec_lo
                                        ; implicit-def: $vgpr3
	v_cmpx_lt_u32_e32 0x387fffff, v7
	s_xor_b32 s18, exec_lo, s18
; %bb.340:
	v_bfe_u32 v3, v2, 21, 1
	s_delay_alu instid0(VALU_DEP_1) | instskip(NEXT) | instid1(VALU_DEP_1)
	v_add3_u32 v3, v2, v3, 0x80fffff
	v_lshrrev_b32_e32 v3, 21, v3
; %bb.341:
	s_and_not1_saveexec_b32 s18, s18
; %bb.342:
	v_add_f32_e64 v3, 0x43000000, |v2|
; %bb.343:
	s_or_b32 exec_lo, exec_lo, s18
                                        ; implicit-def: $vgpr7
.LBB472_344:
	s_and_not1_saveexec_b32 s16, s16
; %bb.345:
	v_mov_b32_e32 v3, 0x7f
	v_cmp_lt_u32_e32 vcc_lo, 0x7f800000, v7
	s_delay_alu instid0(VALU_DEP_2)
	v_cndmask_b32_e32 v3, 0x7c, v3, vcc_lo
; %bb.346:
	s_or_b32 exec_lo, exec_lo, s16
	v_lshrrev_b32_e32 v7, 24, v2
	s_delay_alu instid0(VALU_DEP_1)
	v_and_or_b32 v3, 0x80, v7, v3
	global_store_b8 v[0:1], v3, off
.LBB472_347:
	s_mov_b32 s18, 0
	s_mov_b32 s16, -1
.LBB472_348:
	s_and_not1_b32 vcc_lo, exec_lo, s18
	s_cbranch_vccnz .LBB472_356
; %bb.349:
	v_cmp_lt_i16_e32 vcc_lo, 14, v6
	s_mov_b32 s18, -1
	s_cbranch_vccz .LBB472_353
; %bb.350:
	v_cmp_eq_u16_e32 vcc_lo, 15, v6
	s_mov_b32 s0, -1
	s_cbranch_vccz .LBB472_352
; %bb.351:
	v_bfe_u32 v3, v2, 16, 1
	v_cmp_o_f32_e32 vcc_lo, v2, v2
	s_mov_b32 s16, -1
	s_mov_b32 s0, 0
	s_delay_alu instid0(VALU_DEP_2) | instskip(NEXT) | instid1(VALU_DEP_1)
	v_add3_u32 v3, v2, v3, 0x7fff
	v_lshrrev_b32_e32 v3, 16, v3
	s_delay_alu instid0(VALU_DEP_1)
	v_cndmask_b32_e32 v3, 0x7fc0, v3, vcc_lo
	global_store_b16 v[0:1], v3, off
.LBB472_352:
	s_mov_b32 s18, 0
.LBB472_353:
	s_delay_alu instid0(SALU_CYCLE_1)
	s_and_b32 vcc_lo, exec_lo, s18
	s_cbranch_vccz .LBB472_356
; %bb.354:
	v_cmp_eq_u16_e32 vcc_lo, 11, v6
	s_mov_b32 s0, -1
	s_cbranch_vccz .LBB472_356
; %bb.355:
	v_cmp_neq_f32_e32 vcc_lo, 0, v2
	s_mov_b32 s0, 0
	s_mov_b32 s16, -1
	v_cndmask_b32_e64 v3, 0, 1, vcc_lo
	global_store_b8 v[0:1], v3, off
.LBB472_356:
	s_mov_b32 s18, 0
.LBB472_357:
	s_delay_alu instid0(SALU_CYCLE_1)
	s_and_b32 vcc_lo, exec_lo, s18
	s_cbranch_vccz .LBB472_396
; %bb.358:
	v_cmp_gt_i16_e32 vcc_lo, 5, v6
	s_mov_b32 s16, -1
	s_cbranch_vccnz .LBB472_379
; %bb.359:
	v_cmp_gt_i16_e32 vcc_lo, 8, v6
	s_cbranch_vccnz .LBB472_369
; %bb.360:
	v_cmp_gt_i16_e32 vcc_lo, 9, v6
	s_cbranch_vccnz .LBB472_366
; %bb.361:
	v_cmp_lt_i16_e32 vcc_lo, 9, v6
	s_cbranch_vccz .LBB472_363
; %bb.362:
	v_cvt_f64_f32_e32 v[7:8], v2
	v_mov_b32_e32 v9, 0
	s_mov_b32 s16, 0
	s_delay_alu instid0(VALU_DEP_1)
	v_mov_b32_e32 v10, v9
	global_store_b128 v[0:1], v[7:10], off
.LBB472_363:
	s_and_not1_b32 vcc_lo, exec_lo, s16
	s_cbranch_vccnz .LBB472_365
; %bb.364:
	v_mov_b32_e32 v3, 0
	global_store_b64 v[0:1], v[2:3], off
.LBB472_365:
	s_mov_b32 s16, 0
.LBB472_366:
	s_delay_alu instid0(SALU_CYCLE_1)
	s_and_not1_b32 vcc_lo, exec_lo, s16
	s_cbranch_vccnz .LBB472_368
; %bb.367:
	v_cvt_f16_f32_e32 v3, v2
	s_delay_alu instid0(VALU_DEP_1)
	v_and_b32_e32 v3, 0xffff, v3
	global_store_b32 v[0:1], v3, off
.LBB472_368:
	s_mov_b32 s16, 0
.LBB472_369:
	s_delay_alu instid0(SALU_CYCLE_1)
	s_and_not1_b32 vcc_lo, exec_lo, s16
	s_cbranch_vccnz .LBB472_378
; %bb.370:
	v_cmp_gt_i16_e32 vcc_lo, 6, v6
	s_mov_b32 s16, -1
	s_cbranch_vccnz .LBB472_376
; %bb.371:
	v_cmp_lt_i16_e32 vcc_lo, 6, v6
	s_cbranch_vccz .LBB472_373
; %bb.372:
	v_cvt_f64_f32_e32 v[7:8], v2
	s_mov_b32 s16, 0
	global_store_b64 v[0:1], v[7:8], off
.LBB472_373:
	s_and_not1_b32 vcc_lo, exec_lo, s16
	s_cbranch_vccnz .LBB472_375
; %bb.374:
	global_store_b32 v[0:1], v2, off
.LBB472_375:
	s_mov_b32 s16, 0
.LBB472_376:
	s_delay_alu instid0(SALU_CYCLE_1)
	s_and_not1_b32 vcc_lo, exec_lo, s16
	s_cbranch_vccnz .LBB472_378
; %bb.377:
	v_cvt_f16_f32_e32 v3, v2
	global_store_b16 v[0:1], v3, off
.LBB472_378:
	s_mov_b32 s16, 0
.LBB472_379:
	s_delay_alu instid0(SALU_CYCLE_1)
	s_and_not1_b32 vcc_lo, exec_lo, s16
	s_cbranch_vccnz .LBB472_395
; %bb.380:
	v_cmp_gt_i16_e32 vcc_lo, 2, v6
	s_mov_b32 s16, -1
	s_cbranch_vccnz .LBB472_390
; %bb.381:
	v_cmp_gt_i16_e32 vcc_lo, 3, v6
	s_cbranch_vccnz .LBB472_387
; %bb.382:
	v_cmp_lt_i16_e32 vcc_lo, 3, v6
	s_cbranch_vccz .LBB472_384
; %bb.383:
	v_trunc_f32_e32 v3, v2
	s_mov_b32 s16, 0
	s_delay_alu instid0(VALU_DEP_1) | instskip(NEXT) | instid1(VALU_DEP_1)
	v_mul_f32_e64 v7, 0x2f800000, |v3|
	v_floor_f32_e32 v7, v7
	s_delay_alu instid0(VALU_DEP_1) | instskip(SKIP_2) | instid1(VALU_DEP_3)
	v_fma_f32 v8, 0xcf800000, v7, |v3|
	v_ashrrev_i32_e32 v3, 31, v3
	v_cvt_u32_f32_e32 v7, v7
	v_cvt_u32_f32_e32 v8, v8
	s_delay_alu instid0(VALU_DEP_2) | instskip(NEXT) | instid1(VALU_DEP_2)
	v_xor_b32_e32 v9, v7, v3
	v_xor_b32_e32 v8, v8, v3
	s_delay_alu instid0(VALU_DEP_1) | instskip(NEXT) | instid1(VALU_DEP_3)
	v_sub_co_u32 v7, vcc_lo, v8, v3
	v_sub_co_ci_u32_e32 v8, vcc_lo, v9, v3, vcc_lo
	global_store_b64 v[0:1], v[7:8], off
.LBB472_384:
	s_and_not1_b32 vcc_lo, exec_lo, s16
	s_cbranch_vccnz .LBB472_386
; %bb.385:
	v_cvt_i32_f32_e32 v3, v2
	global_store_b32 v[0:1], v3, off
.LBB472_386:
	s_mov_b32 s16, 0
.LBB472_387:
	s_delay_alu instid0(SALU_CYCLE_1)
	s_and_not1_b32 vcc_lo, exec_lo, s16
	s_cbranch_vccnz .LBB472_389
; %bb.388:
	v_cvt_i32_f32_e32 v3, v2
	global_store_b16 v[0:1], v3, off
.LBB472_389:
	s_mov_b32 s16, 0
.LBB472_390:
	s_delay_alu instid0(SALU_CYCLE_1)
	s_and_not1_b32 vcc_lo, exec_lo, s16
	s_cbranch_vccnz .LBB472_395
; %bb.391:
	v_cmp_lt_i16_e32 vcc_lo, 0, v6
	s_mov_b32 s16, -1
	s_cbranch_vccz .LBB472_393
; %bb.392:
	v_cvt_i32_f32_e32 v3, v2
	s_mov_b32 s16, 0
	global_store_b8 v[0:1], v3, off
.LBB472_393:
	s_and_not1_b32 vcc_lo, exec_lo, s16
	s_cbranch_vccnz .LBB472_395
; %bb.394:
	v_trunc_f32_e32 v2, v2
	s_delay_alu instid0(VALU_DEP_1) | instskip(NEXT) | instid1(VALU_DEP_1)
	v_mul_f32_e64 v3, 0x2f800000, |v2|
	v_floor_f32_e32 v3, v3
	s_delay_alu instid0(VALU_DEP_1) | instskip(SKIP_1) | instid1(VALU_DEP_2)
	v_fma_f32 v3, 0xcf800000, v3, |v2|
	v_ashrrev_i32_e32 v2, 31, v2
	v_cvt_u32_f32_e32 v3, v3
	s_delay_alu instid0(VALU_DEP_1) | instskip(NEXT) | instid1(VALU_DEP_1)
	v_xor_b32_e32 v3, v3, v2
	v_sub_nc_u32_e32 v2, v3, v2
	global_store_b8 v[0:1], v2, off
.LBB472_395:
	s_mov_b32 s16, -1
.LBB472_396:
	s_delay_alu instid0(SALU_CYCLE_1)
	s_and_not1_b32 vcc_lo, exec_lo, s16
	s_cbranch_vccnz .LBB472_398
; %bb.397:
	v_add_nc_u32_e32 v4, 0x80, v4
	s_mov_b32 s18, -1
	s_branch .LBB472_511
.LBB472_398:
	s_mov_b32 s18, 0
	s_branch .LBB472_510
.LBB472_399:
	s_mov_b32 s15, -1
                                        ; implicit-def: $vgpr2
.LBB472_400:
	s_mov_b32 s16, 0
.LBB472_401:
	s_delay_alu instid0(SALU_CYCLE_1)
	s_and_b32 vcc_lo, exec_lo, s16
	s_cbranch_vccz .LBB472_405
; %bb.402:
	v_cmp_eq_u16_e32 vcc_lo, 29, v5
	s_cbranch_vccz .LBB472_404
; %bb.403:
	global_load_b64 v[2:3], v[0:1], off
	s_mov_b32 s0, -1
	s_mov_b32 s15, 0
	s_mov_b32 s16, 0
	s_waitcnt vmcnt(0)
	v_clz_i32_u32_e32 v6, v3
	s_delay_alu instid0(VALU_DEP_1) | instskip(NEXT) | instid1(VALU_DEP_1)
	v_min_u32_e32 v6, 32, v6
	v_lshlrev_b64 v[2:3], v6, v[2:3]
	s_delay_alu instid0(VALU_DEP_1) | instskip(NEXT) | instid1(VALU_DEP_1)
	v_min_u32_e32 v2, 1, v2
	v_or_b32_e32 v2, v3, v2
	v_sub_nc_u32_e32 v3, 32, v6
	s_delay_alu instid0(VALU_DEP_2) | instskip(NEXT) | instid1(VALU_DEP_1)
	v_cvt_f32_u32_e32 v2, v2
	v_ldexp_f32 v2, v2, v3
	s_branch .LBB472_406
.LBB472_404:
	s_mov_b32 s15, -1
                                        ; implicit-def: $vgpr2
.LBB472_405:
	s_mov_b32 s16, 0
.LBB472_406:
	s_delay_alu instid0(SALU_CYCLE_1)
	s_and_b32 vcc_lo, exec_lo, s16
	s_cbranch_vccz .LBB472_424
; %bb.407:
	v_cmp_gt_i16_e32 vcc_lo, 27, v5
	s_cbranch_vccnz .LBB472_410
; %bb.408:
	v_cmp_lt_i16_e32 vcc_lo, 27, v5
	s_cbranch_vccz .LBB472_411
; %bb.409:
	global_load_b32 v2, v[0:1], off
	s_mov_b32 s0, 0
	s_waitcnt vmcnt(0)
	v_cvt_f32_u32_e32 v2, v2
	s_branch .LBB472_412
.LBB472_410:
	s_mov_b32 s0, -1
                                        ; implicit-def: $vgpr2
	s_branch .LBB472_415
.LBB472_411:
	s_mov_b32 s0, -1
                                        ; implicit-def: $vgpr2
.LBB472_412:
	s_delay_alu instid0(SALU_CYCLE_1)
	s_and_not1_b32 vcc_lo, exec_lo, s0
	s_cbranch_vccnz .LBB472_414
; %bb.413:
	global_load_u16 v2, v[0:1], off
	s_waitcnt vmcnt(0)
	v_cvt_f32_u32_e32 v2, v2
.LBB472_414:
	s_mov_b32 s0, 0
.LBB472_415:
	s_delay_alu instid0(SALU_CYCLE_1)
	s_and_not1_b32 vcc_lo, exec_lo, s0
	s_cbranch_vccnz .LBB472_423
; %bb.416:
	global_load_u8 v3, v[0:1], off
	s_mov_b32 s0, 0
	s_mov_b32 s18, exec_lo
                                        ; implicit-def: $sgpr16
	s_waitcnt vmcnt(0)
	v_cmpx_lt_i16_e32 0x7f, v3
	s_xor_b32 s18, exec_lo, s18
	s_cbranch_execz .LBB472_437
; %bb.417:
	s_mov_b32 s0, -1
	s_mov_b32 s19, exec_lo
                                        ; implicit-def: $sgpr16
	v_cmpx_eq_u16_e32 0x80, v3
; %bb.418:
	s_mov_b32 s16, 0x7f800001
	s_xor_b32 s0, exec_lo, -1
; %bb.419:
	s_or_b32 exec_lo, exec_lo, s19
	s_delay_alu instid0(SALU_CYCLE_1)
	s_and_b32 s0, s0, exec_lo
	s_or_saveexec_b32 s18, s18
	v_mov_b32_e32 v2, s16
	s_xor_b32 exec_lo, exec_lo, s18
	s_cbranch_execnz .LBB472_438
.LBB472_420:
	s_or_b32 exec_lo, exec_lo, s18
	s_and_saveexec_b32 s16, s0
	s_cbranch_execz .LBB472_422
.LBB472_421:
	v_and_b32_e32 v2, 0xffff, v3
	s_delay_alu instid0(VALU_DEP_1) | instskip(NEXT) | instid1(VALU_DEP_1)
	v_and_b32_e32 v6, 7, v2
	v_clz_i32_u32_e32 v7, v6
	s_delay_alu instid0(VALU_DEP_1) | instskip(NEXT) | instid1(VALU_DEP_1)
	v_min_u32_e32 v7, 32, v7
	v_subrev_nc_u32_e32 v8, 28, v7
	v_sub_nc_u32_e32 v7, 29, v7
	s_delay_alu instid0(VALU_DEP_2) | instskip(SKIP_1) | instid1(VALU_DEP_2)
	v_lshlrev_b32_e32 v8, v8, v2
	v_bfe_u32 v2, v2, 3, 4
	v_and_b32_e32 v8, 7, v8
	s_delay_alu instid0(VALU_DEP_2) | instskip(NEXT) | instid1(VALU_DEP_2)
	v_cmp_eq_u32_e32 vcc_lo, 0, v2
	v_dual_cndmask_b32 v6, v6, v8 :: v_dual_lshlrev_b32 v3, 24, v3
	v_cndmask_b32_e32 v2, v2, v7, vcc_lo
	s_delay_alu instid0(VALU_DEP_2) | instskip(NEXT) | instid1(VALU_DEP_3)
	v_and_b32_e32 v3, 0x80000000, v3
	v_lshlrev_b32_e32 v6, 20, v6
	s_delay_alu instid0(VALU_DEP_3) | instskip(NEXT) | instid1(VALU_DEP_1)
	v_lshl_add_u32 v2, v2, 23, 0x3b800000
	v_or3_b32 v2, v3, v2, v6
.LBB472_422:
	s_or_b32 exec_lo, exec_lo, s16
.LBB472_423:
	s_mov_b32 s0, -1
.LBB472_424:
	s_mov_b32 s16, 0
.LBB472_425:
	s_delay_alu instid0(SALU_CYCLE_1)
	s_and_b32 vcc_lo, exec_lo, s16
	s_cbranch_vccz .LBB472_460
; %bb.426:
	v_cmp_lt_i16_e32 vcc_lo, 22, v5
	s_cbranch_vccz .LBB472_436
; %bb.427:
	v_cmp_gt_i16_e32 vcc_lo, 24, v5
	s_cbranch_vccnz .LBB472_439
; %bb.428:
	v_cmp_lt_i16_e32 vcc_lo, 24, v5
	s_cbranch_vccz .LBB472_440
; %bb.429:
	global_load_u8 v3, v[0:1], off
	s_mov_b32 s0, 0
	s_mov_b32 s18, exec_lo
                                        ; implicit-def: $sgpr16
	s_waitcnt vmcnt(0)
	v_cmpx_lt_i16_e32 0x7f, v3
	s_xor_b32 s18, exec_lo, s18
	s_cbranch_execz .LBB472_452
; %bb.430:
	s_mov_b32 s0, -1
	s_mov_b32 s19, exec_lo
                                        ; implicit-def: $sgpr16
	v_cmpx_eq_u16_e32 0x80, v3
; %bb.431:
	s_mov_b32 s16, 0x7f800001
	s_xor_b32 s0, exec_lo, -1
; %bb.432:
	s_or_b32 exec_lo, exec_lo, s19
	s_delay_alu instid0(SALU_CYCLE_1)
	s_and_b32 s0, s0, exec_lo
	s_or_saveexec_b32 s18, s18
	v_mov_b32_e32 v2, s16
	s_xor_b32 exec_lo, exec_lo, s18
	s_cbranch_execnz .LBB472_453
.LBB472_433:
	s_or_b32 exec_lo, exec_lo, s18
	s_and_saveexec_b32 s16, s0
	s_cbranch_execz .LBB472_435
.LBB472_434:
	v_and_b32_e32 v2, 0xffff, v3
	s_delay_alu instid0(VALU_DEP_1) | instskip(NEXT) | instid1(VALU_DEP_1)
	v_and_b32_e32 v6, 3, v2
	v_clz_i32_u32_e32 v7, v6
	s_delay_alu instid0(VALU_DEP_1) | instskip(NEXT) | instid1(VALU_DEP_1)
	v_min_u32_e32 v7, 32, v7
	v_subrev_nc_u32_e32 v8, 29, v7
	v_sub_nc_u32_e32 v7, 30, v7
	s_delay_alu instid0(VALU_DEP_2) | instskip(SKIP_1) | instid1(VALU_DEP_2)
	v_lshlrev_b32_e32 v8, v8, v2
	v_bfe_u32 v2, v2, 2, 5
	v_and_b32_e32 v8, 3, v8
	s_delay_alu instid0(VALU_DEP_2) | instskip(NEXT) | instid1(VALU_DEP_2)
	v_cmp_eq_u32_e32 vcc_lo, 0, v2
	v_dual_cndmask_b32 v6, v6, v8 :: v_dual_lshlrev_b32 v3, 24, v3
	v_cndmask_b32_e32 v2, v2, v7, vcc_lo
	s_delay_alu instid0(VALU_DEP_2) | instskip(NEXT) | instid1(VALU_DEP_3)
	v_and_b32_e32 v3, 0x80000000, v3
	v_lshlrev_b32_e32 v6, 21, v6
	s_delay_alu instid0(VALU_DEP_3) | instskip(NEXT) | instid1(VALU_DEP_1)
	v_lshl_add_u32 v2, v2, 23, 0x37800000
	v_or3_b32 v2, v3, v2, v6
.LBB472_435:
	s_or_b32 exec_lo, exec_lo, s16
	s_mov_b32 s0, 0
	s_branch .LBB472_441
.LBB472_436:
	s_mov_b32 s16, -1
                                        ; implicit-def: $vgpr2
	s_branch .LBB472_447
.LBB472_437:
	s_or_saveexec_b32 s18, s18
	v_mov_b32_e32 v2, s16
	s_xor_b32 exec_lo, exec_lo, s18
	s_cbranch_execz .LBB472_420
.LBB472_438:
	v_cmp_ne_u16_e32 vcc_lo, 0, v3
	v_mov_b32_e32 v2, 0
	s_and_not1_b32 s0, s0, exec_lo
	s_and_b32 s16, vcc_lo, exec_lo
	s_delay_alu instid0(SALU_CYCLE_1)
	s_or_b32 s0, s0, s16
	s_or_b32 exec_lo, exec_lo, s18
	s_and_saveexec_b32 s16, s0
	s_cbranch_execnz .LBB472_421
	s_branch .LBB472_422
.LBB472_439:
	s_mov_b32 s0, -1
                                        ; implicit-def: $vgpr2
	s_branch .LBB472_444
.LBB472_440:
	s_mov_b32 s0, -1
                                        ; implicit-def: $vgpr2
.LBB472_441:
	s_delay_alu instid0(SALU_CYCLE_1)
	s_and_b32 vcc_lo, exec_lo, s0
	s_cbranch_vccz .LBB472_443
; %bb.442:
	global_load_u8 v2, v[0:1], off
	s_waitcnt vmcnt(0)
	v_lshlrev_b32_e32 v2, 24, v2
	s_delay_alu instid0(VALU_DEP_1) | instskip(NEXT) | instid1(VALU_DEP_1)
	v_and_b32_e32 v3, 0x7f000000, v2
	v_clz_i32_u32_e32 v6, v3
	v_cmp_ne_u32_e32 vcc_lo, 0, v3
	v_add_nc_u32_e32 v8, 0x1000000, v3
	s_delay_alu instid0(VALU_DEP_3) | instskip(NEXT) | instid1(VALU_DEP_1)
	v_min_u32_e32 v6, 32, v6
	v_sub_nc_u32_e64 v6, v6, 4 clamp
	s_delay_alu instid0(VALU_DEP_1) | instskip(SKIP_1) | instid1(VALU_DEP_2)
	v_lshlrev_b32_e32 v7, v6, v3
	v_lshlrev_b32_e32 v6, 23, v6
	v_lshrrev_b32_e32 v7, 4, v7
	s_delay_alu instid0(VALU_DEP_1) | instskip(SKIP_1) | instid1(VALU_DEP_2)
	v_sub_nc_u32_e32 v6, v7, v6
	v_ashrrev_i32_e32 v7, 8, v8
	v_add_nc_u32_e32 v6, 0x3c000000, v6
	s_delay_alu instid0(VALU_DEP_1) | instskip(NEXT) | instid1(VALU_DEP_1)
	v_and_or_b32 v6, 0x7f800000, v7, v6
	v_cndmask_b32_e32 v3, 0, v6, vcc_lo
	s_delay_alu instid0(VALU_DEP_1)
	v_and_or_b32 v2, 0x80000000, v2, v3
.LBB472_443:
	s_mov_b32 s0, 0
.LBB472_444:
	s_delay_alu instid0(SALU_CYCLE_1)
	s_and_not1_b32 vcc_lo, exec_lo, s0
	s_cbranch_vccnz .LBB472_446
; %bb.445:
	global_load_u8 v2, v[0:1], off
	s_waitcnt vmcnt(0)
	v_lshlrev_b32_e32 v3, 25, v2
	v_lshlrev_b16 v2, 8, v2
	s_delay_alu instid0(VALU_DEP_2) | instskip(NEXT) | instid1(VALU_DEP_2)
	v_lshrrev_b32_e32 v6, 4, v3
	v_and_or_b32 v7, 0x7f00, v2, 0.5
	v_cmp_gt_u32_e32 vcc_lo, 0x8000000, v3
	v_bfe_i32 v2, v2, 0, 16
	s_delay_alu instid0(VALU_DEP_4) | instskip(NEXT) | instid1(VALU_DEP_1)
	v_or_b32_e32 v6, 0x70000000, v6
	v_dual_add_f32 v7, -0.5, v7 :: v_dual_mul_f32 v6, 0x7800000, v6
	s_delay_alu instid0(VALU_DEP_1) | instskip(NEXT) | instid1(VALU_DEP_1)
	v_cndmask_b32_e32 v3, v6, v7, vcc_lo
	v_and_or_b32 v2, 0x80000000, v2, v3
.LBB472_446:
	s_mov_b32 s16, 0
	s_mov_b32 s0, -1
.LBB472_447:
	s_and_not1_b32 vcc_lo, exec_lo, s16
	s_cbranch_vccnz .LBB472_460
; %bb.448:
	v_cmp_lt_i16_e32 vcc_lo, 14, v5
	s_cbranch_vccz .LBB472_451
; %bb.449:
	v_cmp_eq_u16_e32 vcc_lo, 15, v5
	s_cbranch_vccz .LBB472_454
; %bb.450:
	global_load_u16 v2, v[0:1], off
	s_mov_b32 s0, -1
	s_mov_b32 s15, 0
	s_waitcnt vmcnt(0)
	v_lshlrev_b32_e32 v2, 16, v2
	s_branch .LBB472_455
.LBB472_451:
	s_mov_b32 s16, -1
                                        ; implicit-def: $vgpr2
	s_branch .LBB472_456
.LBB472_452:
	s_or_saveexec_b32 s18, s18
	v_mov_b32_e32 v2, s16
	s_xor_b32 exec_lo, exec_lo, s18
	s_cbranch_execz .LBB472_433
.LBB472_453:
	v_cmp_ne_u16_e32 vcc_lo, 0, v3
	v_mov_b32_e32 v2, 0
	s_and_not1_b32 s0, s0, exec_lo
	s_and_b32 s16, vcc_lo, exec_lo
	s_delay_alu instid0(SALU_CYCLE_1)
	s_or_b32 s0, s0, s16
	s_or_b32 exec_lo, exec_lo, s18
	s_and_saveexec_b32 s16, s0
	s_cbranch_execnz .LBB472_434
	s_branch .LBB472_435
.LBB472_454:
	s_mov_b32 s15, -1
                                        ; implicit-def: $vgpr2
.LBB472_455:
	s_mov_b32 s16, 0
.LBB472_456:
	s_delay_alu instid0(SALU_CYCLE_1)
	s_and_b32 vcc_lo, exec_lo, s16
	s_cbranch_vccz .LBB472_460
; %bb.457:
	v_cmp_eq_u16_e32 vcc_lo, 11, v5
	s_cbranch_vccz .LBB472_459
; %bb.458:
	global_load_u8 v2, v[0:1], off
	s_mov_b32 s15, 0
	s_mov_b32 s0, -1
	s_waitcnt vmcnt(0)
	v_cmp_ne_u16_e32 vcc_lo, 0, v2
	v_cndmask_b32_e64 v2, 0, 1.0, vcc_lo
	s_branch .LBB472_460
.LBB472_459:
	s_mov_b32 s15, -1
                                        ; implicit-def: $vgpr2
.LBB472_460:
	s_branch .LBB472_262
.LBB472_461:
	v_cmp_gt_i16_e32 vcc_lo, 5, v5
	s_cbranch_vccnz .LBB472_466
; %bb.462:
	v_cmp_gt_i16_e32 vcc_lo, 8, v5
	s_cbranch_vccnz .LBB472_467
; %bb.463:
	;; [unrolled: 3-line block ×3, first 2 shown]
	v_cmp_lt_i16_e32 vcc_lo, 9, v5
	s_cbranch_vccz .LBB472_469
; %bb.465:
	global_load_b64 v[2:3], v[0:1], off
	s_mov_b32 s0, 0
	s_waitcnt vmcnt(0)
	v_cvt_f32_f64_e32 v2, v[2:3]
	s_branch .LBB472_470
.LBB472_466:
	s_mov_b32 s0, -1
                                        ; implicit-def: $vgpr2
	s_branch .LBB472_488
.LBB472_467:
	s_mov_b32 s0, -1
                                        ; implicit-def: $vgpr2
	s_branch .LBB472_476
.LBB472_468:
	s_mov_b32 s0, -1
                                        ; implicit-def: $vgpr2
	s_branch .LBB472_473
.LBB472_469:
	s_mov_b32 s0, -1
                                        ; implicit-def: $vgpr2
.LBB472_470:
	s_delay_alu instid0(SALU_CYCLE_1)
	s_and_not1_b32 vcc_lo, exec_lo, s0
	s_cbranch_vccnz .LBB472_472
; %bb.471:
	global_load_b32 v2, v[0:1], off
.LBB472_472:
	s_mov_b32 s0, 0
.LBB472_473:
	s_delay_alu instid0(SALU_CYCLE_1)
	s_and_not1_b32 vcc_lo, exec_lo, s0
	s_cbranch_vccnz .LBB472_475
; %bb.474:
	global_load_b32 v2, v[0:1], off
	s_waitcnt vmcnt(0)
	v_cvt_f32_f16_e32 v2, v2
.LBB472_475:
	s_mov_b32 s0, 0
.LBB472_476:
	s_delay_alu instid0(SALU_CYCLE_1)
	s_and_not1_b32 vcc_lo, exec_lo, s0
	s_cbranch_vccnz .LBB472_487
; %bb.477:
	v_cmp_gt_i16_e32 vcc_lo, 6, v5
	s_cbranch_vccnz .LBB472_480
; %bb.478:
	v_cmp_lt_i16_e32 vcc_lo, 6, v5
	s_cbranch_vccz .LBB472_481
; %bb.479:
	global_load_b64 v[2:3], v[0:1], off
	s_mov_b32 s0, 0
	s_waitcnt vmcnt(0)
	v_cvt_f32_f64_e32 v2, v[2:3]
	s_branch .LBB472_482
.LBB472_480:
	s_mov_b32 s0, -1
                                        ; implicit-def: $vgpr2
	s_branch .LBB472_485
.LBB472_481:
	s_mov_b32 s0, -1
                                        ; implicit-def: $vgpr2
.LBB472_482:
	s_delay_alu instid0(SALU_CYCLE_1)
	s_and_not1_b32 vcc_lo, exec_lo, s0
	s_cbranch_vccnz .LBB472_484
; %bb.483:
	global_load_b32 v2, v[0:1], off
.LBB472_484:
	s_mov_b32 s0, 0
.LBB472_485:
	s_delay_alu instid0(SALU_CYCLE_1)
	s_and_not1_b32 vcc_lo, exec_lo, s0
	s_cbranch_vccnz .LBB472_487
; %bb.486:
	global_load_u16 v2, v[0:1], off
	s_waitcnt vmcnt(0)
	v_cvt_f32_f16_e32 v2, v2
.LBB472_487:
	s_mov_b32 s0, 0
.LBB472_488:
	s_delay_alu instid0(SALU_CYCLE_1)
	s_and_not1_b32 vcc_lo, exec_lo, s0
	s_cbranch_vccnz .LBB472_508
; %bb.489:
	v_cmp_gt_i16_e32 vcc_lo, 2, v5
	s_cbranch_vccnz .LBB472_493
; %bb.490:
	v_cmp_gt_i16_e32 vcc_lo, 3, v5
	s_cbranch_vccnz .LBB472_494
; %bb.491:
	v_cmp_lt_i16_e32 vcc_lo, 3, v5
	s_cbranch_vccz .LBB472_495
; %bb.492:
	global_load_b64 v[2:3], v[0:1], off
	s_mov_b32 s0, 0
	s_waitcnt vmcnt(0)
	v_xor_b32_e32 v6, v2, v3
	v_cls_i32_e32 v7, v3
	s_delay_alu instid0(VALU_DEP_2) | instskip(NEXT) | instid1(VALU_DEP_2)
	v_ashrrev_i32_e32 v6, 31, v6
	v_add_nc_u32_e32 v7, -1, v7
	s_delay_alu instid0(VALU_DEP_2) | instskip(NEXT) | instid1(VALU_DEP_1)
	v_add_nc_u32_e32 v6, 32, v6
	v_min_u32_e32 v6, v7, v6
	s_delay_alu instid0(VALU_DEP_1) | instskip(NEXT) | instid1(VALU_DEP_1)
	v_lshlrev_b64 v[2:3], v6, v[2:3]
	v_min_u32_e32 v2, 1, v2
	s_delay_alu instid0(VALU_DEP_1) | instskip(SKIP_1) | instid1(VALU_DEP_2)
	v_or_b32_e32 v2, v3, v2
	v_sub_nc_u32_e32 v3, 32, v6
	v_cvt_f32_i32_e32 v2, v2
	s_delay_alu instid0(VALU_DEP_1)
	v_ldexp_f32 v2, v2, v3
	s_branch .LBB472_496
.LBB472_493:
	s_mov_b32 s0, -1
                                        ; implicit-def: $vgpr2
	s_branch .LBB472_502
.LBB472_494:
	s_mov_b32 s0, -1
                                        ; implicit-def: $vgpr2
	s_branch .LBB472_499
.LBB472_495:
	s_mov_b32 s0, -1
                                        ; implicit-def: $vgpr2
.LBB472_496:
	s_delay_alu instid0(SALU_CYCLE_1)
	s_and_not1_b32 vcc_lo, exec_lo, s0
	s_cbranch_vccnz .LBB472_498
; %bb.497:
	global_load_b32 v2, v[0:1], off
	s_waitcnt vmcnt(0)
	v_cvt_f32_i32_e32 v2, v2
.LBB472_498:
	s_mov_b32 s0, 0
.LBB472_499:
	s_delay_alu instid0(SALU_CYCLE_1)
	s_and_not1_b32 vcc_lo, exec_lo, s0
	s_cbranch_vccnz .LBB472_501
; %bb.500:
	global_load_i16 v2, v[0:1], off
	s_waitcnt vmcnt(0)
	v_cvt_f32_i32_e32 v2, v2
.LBB472_501:
	s_mov_b32 s0, 0
.LBB472_502:
	s_delay_alu instid0(SALU_CYCLE_1)
	s_and_not1_b32 vcc_lo, exec_lo, s0
	s_cbranch_vccnz .LBB472_508
; %bb.503:
	v_cmp_lt_i16_e32 vcc_lo, 0, v5
	s_mov_b32 s0, 0
	s_cbranch_vccz .LBB472_505
; %bb.504:
	global_load_i8 v2, v[0:1], off
	s_waitcnt vmcnt(0)
	v_cvt_f32_i32_e32 v2, v2
	s_branch .LBB472_506
.LBB472_505:
	s_mov_b32 s0, -1
                                        ; implicit-def: $vgpr2
.LBB472_506:
	s_delay_alu instid0(SALU_CYCLE_1)
	s_and_not1_b32 vcc_lo, exec_lo, s0
	s_cbranch_vccnz .LBB472_508
; %bb.507:
	global_load_u8 v0, v[0:1], off
	s_waitcnt vmcnt(0)
	v_cvt_f32_ubyte0_e32 v2, v0
.LBB472_508:
	s_branch .LBB472_263
.LBB472_509:
	s_mov_b32 s18, 0
	s_mov_b32 s0, s11
.LBB472_510:
                                        ; implicit-def: $vgpr4
.LBB472_511:
	s_and_not1_b32 s16, s11, exec_lo
	s_and_b32 s0, s0, exec_lo
	s_and_not1_b32 s19, s13, exec_lo
	s_and_b32 s15, s15, exec_lo
	s_or_b32 s16, s16, s0
	s_or_b32 s15, s19, s15
	s_or_not1_b32 s19, s18, exec_lo
.LBB472_512:
	s_or_b32 exec_lo, exec_lo, s17
	s_mov_b32 s18, 0
	s_mov_b32 s20, 0
	;; [unrolled: 1-line block ×3, first 2 shown]
                                        ; implicit-def: $vgpr0_vgpr1
                                        ; implicit-def: $vgpr3
	s_and_saveexec_b32 s17, s19
	s_cbranch_execz .LBB472_859
; %bb.513:
	s_mov_b32 s0, -1
	s_mov_b32 s19, s15
	s_mov_b32 s20, s16
	s_mov_b32 s18, exec_lo
	v_cmpx_gt_i32_e64 s12, v4
	s_cbranch_execz .LBB472_773
; %bb.514:
	v_mul_lo_u32 v0, v4, s9
	v_cmp_gt_i16_e32 vcc_lo, 11, v5
	s_delay_alu instid0(VALU_DEP_2) | instskip(SKIP_1) | instid1(VALU_DEP_1)
	v_ashrrev_i32_e32 v1, 31, v0
	v_add_co_u32 v0, s0, s6, v0
	v_add_co_ci_u32_e64 v1, s0, s7, v1, s0
	s_cbranch_vccnz .LBB472_521
; %bb.515:
	v_cmp_lt_i16_e32 vcc_lo, 25, v5
	s_cbranch_vccz .LBB472_522
; %bb.516:
	v_cmp_lt_i16_e32 vcc_lo, 28, v5
	s_cbranch_vccz .LBB472_523
	;; [unrolled: 3-line block ×4, first 2 shown]
; %bb.519:
	v_cmp_eq_u16_e32 vcc_lo, 46, v5
	s_mov_b32 s20, 0
	s_cbranch_vccz .LBB472_530
; %bb.520:
	global_load_b32 v2, v[0:1], off
	s_mov_b32 s0, -1
	s_mov_b32 s19, 0
	s_waitcnt vmcnt(0)
	v_lshlrev_b32_e32 v2, 16, v2
	s_branch .LBB472_532
.LBB472_521:
	s_mov_b32 s20, -1
	s_mov_b32 s0, 0
	s_mov_b32 s19, s15
                                        ; implicit-def: $vgpr2
	s_branch .LBB472_597
.LBB472_522:
	s_mov_b32 s20, -1
	s_mov_b32 s0, 0
	s_mov_b32 s19, s15
                                        ; implicit-def: $vgpr2
	s_branch .LBB472_561
.LBB472_523:
	s_mov_b32 s20, -1
	s_mov_b32 s0, 0
	s_mov_b32 s19, s15
                                        ; implicit-def: $vgpr2
	s_branch .LBB472_542
.LBB472_524:
	s_mov_b32 s20, -1
	s_mov_b32 s0, 0
	s_mov_b32 s19, s15
                                        ; implicit-def: $vgpr2
	s_branch .LBB472_537
.LBB472_525:
	s_or_saveexec_b32 s19, s19
                                        ; implicit-def: $sgpr20
	s_delay_alu instid0(SALU_CYCLE_1)
	s_xor_b32 exec_lo, exec_lo, s19
	s_cbranch_execz .LBB472_309
.LBB472_526:
	v_add_f32_e64 v3, 0x46000000, |v2|
	s_and_not1_b32 s18, s18, exec_lo
	s_mov_b32 s20, 0
	s_delay_alu instid0(VALU_DEP_1) | instskip(NEXT) | instid1(VALU_DEP_1)
	v_and_b32_e32 v3, 0xff, v3
	v_cmp_ne_u32_e32 vcc_lo, 0, v3
	s_and_b32 s21, vcc_lo, exec_lo
	s_delay_alu instid0(SALU_CYCLE_1)
	s_or_b32 s18, s18, s21
	s_or_b32 exec_lo, exec_lo, s19
	v_mov_b32_e32 v7, s20
	s_and_saveexec_b32 s19, s18
	s_cbranch_execnz .LBB472_310
	s_branch .LBB472_311
.LBB472_527:
	s_mov_b32 s20, -1
	s_mov_b32 s0, 0
	s_mov_b32 s19, s15
	s_branch .LBB472_531
.LBB472_528:
	s_or_saveexec_b32 s19, s19
                                        ; implicit-def: $sgpr20
	s_delay_alu instid0(SALU_CYCLE_1)
	s_xor_b32 exec_lo, exec_lo, s19
	s_cbranch_execz .LBB472_322
.LBB472_529:
	v_add_f32_e64 v3, 0x42800000, |v2|
	s_and_not1_b32 s18, s18, exec_lo
	s_mov_b32 s20, 0
	s_delay_alu instid0(VALU_DEP_1) | instskip(NEXT) | instid1(VALU_DEP_1)
	v_and_b32_e32 v3, 0xff, v3
	v_cmp_ne_u32_e32 vcc_lo, 0, v3
	s_and_b32 s21, vcc_lo, exec_lo
	s_delay_alu instid0(SALU_CYCLE_1)
	s_or_b32 s18, s18, s21
	s_or_b32 exec_lo, exec_lo, s19
	v_mov_b32_e32 v7, s20
	s_and_saveexec_b32 s19, s18
	s_cbranch_execnz .LBB472_323
	s_branch .LBB472_324
.LBB472_530:
	s_mov_b32 s19, -1
	s_mov_b32 s0, 0
.LBB472_531:
                                        ; implicit-def: $vgpr2
.LBB472_532:
	s_and_b32 vcc_lo, exec_lo, s20
	s_cbranch_vccz .LBB472_536
; %bb.533:
	v_cmp_eq_u16_e32 vcc_lo, 44, v5
	s_cbranch_vccz .LBB472_535
; %bb.534:
	global_load_u8 v2, v[0:1], off
	s_mov_b32 s19, 0
	s_mov_b32 s0, -1
	s_waitcnt vmcnt(0)
	v_lshlrev_b32_e32 v3, 23, v2
	v_cmp_ne_u32_e32 vcc_lo, 0xff, v2
	s_delay_alu instid0(VALU_DEP_2) | instskip(SKIP_1) | instid1(VALU_DEP_2)
	v_cndmask_b32_e32 v3, 0x7f800001, v3, vcc_lo
	v_cmp_ne_u32_e32 vcc_lo, 0, v2
	v_cndmask_b32_e32 v2, 0x400000, v3, vcc_lo
	s_branch .LBB472_536
.LBB472_535:
	s_mov_b32 s19, -1
                                        ; implicit-def: $vgpr2
.LBB472_536:
	s_mov_b32 s20, 0
.LBB472_537:
	s_delay_alu instid0(SALU_CYCLE_1)
	s_and_b32 vcc_lo, exec_lo, s20
	s_cbranch_vccz .LBB472_541
; %bb.538:
	v_cmp_eq_u16_e32 vcc_lo, 29, v5
	s_cbranch_vccz .LBB472_540
; %bb.539:
	global_load_b64 v[2:3], v[0:1], off
	s_mov_b32 s0, -1
	s_mov_b32 s19, 0
	s_mov_b32 s20, 0
	s_waitcnt vmcnt(0)
	v_clz_i32_u32_e32 v6, v3
	s_delay_alu instid0(VALU_DEP_1) | instskip(NEXT) | instid1(VALU_DEP_1)
	v_min_u32_e32 v6, 32, v6
	v_lshlrev_b64 v[2:3], v6, v[2:3]
	s_delay_alu instid0(VALU_DEP_1) | instskip(NEXT) | instid1(VALU_DEP_1)
	v_min_u32_e32 v2, 1, v2
	v_or_b32_e32 v2, v3, v2
	v_sub_nc_u32_e32 v3, 32, v6
	s_delay_alu instid0(VALU_DEP_2) | instskip(NEXT) | instid1(VALU_DEP_1)
	v_cvt_f32_u32_e32 v2, v2
	v_ldexp_f32 v2, v2, v3
	s_branch .LBB472_542
.LBB472_540:
	s_mov_b32 s19, -1
                                        ; implicit-def: $vgpr2
.LBB472_541:
	s_mov_b32 s20, 0
.LBB472_542:
	s_delay_alu instid0(SALU_CYCLE_1)
	s_and_b32 vcc_lo, exec_lo, s20
	s_cbranch_vccz .LBB472_560
; %bb.543:
	v_cmp_gt_i16_e32 vcc_lo, 27, v5
	s_cbranch_vccnz .LBB472_546
; %bb.544:
	v_cmp_lt_i16_e32 vcc_lo, 27, v5
	s_cbranch_vccz .LBB472_547
; %bb.545:
	global_load_b32 v2, v[0:1], off
	s_mov_b32 s0, 0
	s_waitcnt vmcnt(0)
	v_cvt_f32_u32_e32 v2, v2
	s_branch .LBB472_548
.LBB472_546:
	s_mov_b32 s0, -1
                                        ; implicit-def: $vgpr2
	s_branch .LBB472_551
.LBB472_547:
	s_mov_b32 s0, -1
                                        ; implicit-def: $vgpr2
.LBB472_548:
	s_delay_alu instid0(SALU_CYCLE_1)
	s_and_not1_b32 vcc_lo, exec_lo, s0
	s_cbranch_vccnz .LBB472_550
; %bb.549:
	global_load_u16 v2, v[0:1], off
	s_waitcnt vmcnt(0)
	v_cvt_f32_u32_e32 v2, v2
.LBB472_550:
	s_mov_b32 s0, 0
.LBB472_551:
	s_delay_alu instid0(SALU_CYCLE_1)
	s_and_not1_b32 vcc_lo, exec_lo, s0
	s_cbranch_vccnz .LBB472_559
; %bb.552:
	global_load_u8 v3, v[0:1], off
	s_mov_b32 s0, 0
	s_mov_b32 s21, exec_lo
                                        ; implicit-def: $sgpr20
	s_waitcnt vmcnt(0)
	v_cmpx_lt_i16_e32 0x7f, v3
	s_xor_b32 s21, exec_lo, s21
	s_cbranch_execz .LBB472_573
; %bb.553:
	s_mov_b32 s0, -1
	s_mov_b32 s22, exec_lo
                                        ; implicit-def: $sgpr20
	v_cmpx_eq_u16_e32 0x80, v3
; %bb.554:
	s_mov_b32 s20, 0x7f800001
	s_xor_b32 s0, exec_lo, -1
; %bb.555:
	s_or_b32 exec_lo, exec_lo, s22
	s_delay_alu instid0(SALU_CYCLE_1)
	s_and_b32 s0, s0, exec_lo
	s_or_saveexec_b32 s21, s21
	v_mov_b32_e32 v2, s20
	s_xor_b32 exec_lo, exec_lo, s21
	s_cbranch_execnz .LBB472_574
.LBB472_556:
	s_or_b32 exec_lo, exec_lo, s21
	s_and_saveexec_b32 s20, s0
	s_cbranch_execz .LBB472_558
.LBB472_557:
	v_and_b32_e32 v2, 0xffff, v3
	s_delay_alu instid0(VALU_DEP_1) | instskip(NEXT) | instid1(VALU_DEP_1)
	v_and_b32_e32 v6, 7, v2
	v_clz_i32_u32_e32 v7, v6
	s_delay_alu instid0(VALU_DEP_1) | instskip(NEXT) | instid1(VALU_DEP_1)
	v_min_u32_e32 v7, 32, v7
	v_subrev_nc_u32_e32 v8, 28, v7
	v_sub_nc_u32_e32 v7, 29, v7
	s_delay_alu instid0(VALU_DEP_2) | instskip(SKIP_1) | instid1(VALU_DEP_2)
	v_lshlrev_b32_e32 v8, v8, v2
	v_bfe_u32 v2, v2, 3, 4
	v_and_b32_e32 v8, 7, v8
	s_delay_alu instid0(VALU_DEP_2) | instskip(NEXT) | instid1(VALU_DEP_2)
	v_cmp_eq_u32_e32 vcc_lo, 0, v2
	v_dual_cndmask_b32 v6, v6, v8 :: v_dual_lshlrev_b32 v3, 24, v3
	v_cndmask_b32_e32 v2, v2, v7, vcc_lo
	s_delay_alu instid0(VALU_DEP_2) | instskip(NEXT) | instid1(VALU_DEP_3)
	v_and_b32_e32 v3, 0x80000000, v3
	v_lshlrev_b32_e32 v6, 20, v6
	s_delay_alu instid0(VALU_DEP_3) | instskip(NEXT) | instid1(VALU_DEP_1)
	v_lshl_add_u32 v2, v2, 23, 0x3b800000
	v_or3_b32 v2, v3, v2, v6
.LBB472_558:
	s_or_b32 exec_lo, exec_lo, s20
.LBB472_559:
	s_mov_b32 s0, -1
.LBB472_560:
	s_mov_b32 s20, 0
.LBB472_561:
	s_delay_alu instid0(SALU_CYCLE_1)
	s_and_b32 vcc_lo, exec_lo, s20
	s_cbranch_vccz .LBB472_596
; %bb.562:
	v_cmp_lt_i16_e32 vcc_lo, 22, v5
	s_cbranch_vccz .LBB472_572
; %bb.563:
	v_cmp_gt_i16_e32 vcc_lo, 24, v5
	s_cbranch_vccnz .LBB472_575
; %bb.564:
	v_cmp_lt_i16_e32 vcc_lo, 24, v5
	s_cbranch_vccz .LBB472_576
; %bb.565:
	global_load_u8 v3, v[0:1], off
	s_mov_b32 s0, 0
	s_mov_b32 s21, exec_lo
                                        ; implicit-def: $sgpr20
	s_waitcnt vmcnt(0)
	v_cmpx_lt_i16_e32 0x7f, v3
	s_xor_b32 s21, exec_lo, s21
	s_cbranch_execz .LBB472_588
; %bb.566:
	s_mov_b32 s0, -1
	s_mov_b32 s22, exec_lo
                                        ; implicit-def: $sgpr20
	v_cmpx_eq_u16_e32 0x80, v3
; %bb.567:
	s_mov_b32 s20, 0x7f800001
	s_xor_b32 s0, exec_lo, -1
; %bb.568:
	s_or_b32 exec_lo, exec_lo, s22
	s_delay_alu instid0(SALU_CYCLE_1)
	s_and_b32 s0, s0, exec_lo
	s_or_saveexec_b32 s21, s21
	v_mov_b32_e32 v2, s20
	s_xor_b32 exec_lo, exec_lo, s21
	s_cbranch_execnz .LBB472_589
.LBB472_569:
	s_or_b32 exec_lo, exec_lo, s21
	s_and_saveexec_b32 s20, s0
	s_cbranch_execz .LBB472_571
.LBB472_570:
	v_and_b32_e32 v2, 0xffff, v3
	s_delay_alu instid0(VALU_DEP_1) | instskip(NEXT) | instid1(VALU_DEP_1)
	v_and_b32_e32 v6, 3, v2
	v_clz_i32_u32_e32 v7, v6
	s_delay_alu instid0(VALU_DEP_1) | instskip(NEXT) | instid1(VALU_DEP_1)
	v_min_u32_e32 v7, 32, v7
	v_subrev_nc_u32_e32 v8, 29, v7
	v_sub_nc_u32_e32 v7, 30, v7
	s_delay_alu instid0(VALU_DEP_2) | instskip(SKIP_1) | instid1(VALU_DEP_2)
	v_lshlrev_b32_e32 v8, v8, v2
	v_bfe_u32 v2, v2, 2, 5
	v_and_b32_e32 v8, 3, v8
	s_delay_alu instid0(VALU_DEP_2) | instskip(NEXT) | instid1(VALU_DEP_2)
	v_cmp_eq_u32_e32 vcc_lo, 0, v2
	v_dual_cndmask_b32 v6, v6, v8 :: v_dual_lshlrev_b32 v3, 24, v3
	v_cndmask_b32_e32 v2, v2, v7, vcc_lo
	s_delay_alu instid0(VALU_DEP_2) | instskip(NEXT) | instid1(VALU_DEP_3)
	v_and_b32_e32 v3, 0x80000000, v3
	v_lshlrev_b32_e32 v6, 21, v6
	s_delay_alu instid0(VALU_DEP_3) | instskip(NEXT) | instid1(VALU_DEP_1)
	v_lshl_add_u32 v2, v2, 23, 0x37800000
	v_or3_b32 v2, v3, v2, v6
.LBB472_571:
	s_or_b32 exec_lo, exec_lo, s20
	s_mov_b32 s0, 0
	s_branch .LBB472_577
.LBB472_572:
	s_mov_b32 s20, -1
                                        ; implicit-def: $vgpr2
	s_branch .LBB472_583
.LBB472_573:
	s_or_saveexec_b32 s21, s21
	v_mov_b32_e32 v2, s20
	s_xor_b32 exec_lo, exec_lo, s21
	s_cbranch_execz .LBB472_556
.LBB472_574:
	v_cmp_ne_u16_e32 vcc_lo, 0, v3
	v_mov_b32_e32 v2, 0
	s_and_not1_b32 s0, s0, exec_lo
	s_and_b32 s20, vcc_lo, exec_lo
	s_delay_alu instid0(SALU_CYCLE_1)
	s_or_b32 s0, s0, s20
	s_or_b32 exec_lo, exec_lo, s21
	s_and_saveexec_b32 s20, s0
	s_cbranch_execnz .LBB472_557
	s_branch .LBB472_558
.LBB472_575:
	s_mov_b32 s0, -1
                                        ; implicit-def: $vgpr2
	s_branch .LBB472_580
.LBB472_576:
	s_mov_b32 s0, -1
                                        ; implicit-def: $vgpr2
.LBB472_577:
	s_delay_alu instid0(SALU_CYCLE_1)
	s_and_b32 vcc_lo, exec_lo, s0
	s_cbranch_vccz .LBB472_579
; %bb.578:
	global_load_u8 v2, v[0:1], off
	s_waitcnt vmcnt(0)
	v_lshlrev_b32_e32 v2, 24, v2
	s_delay_alu instid0(VALU_DEP_1) | instskip(NEXT) | instid1(VALU_DEP_1)
	v_and_b32_e32 v3, 0x7f000000, v2
	v_clz_i32_u32_e32 v6, v3
	v_cmp_ne_u32_e32 vcc_lo, 0, v3
	v_add_nc_u32_e32 v8, 0x1000000, v3
	s_delay_alu instid0(VALU_DEP_3) | instskip(NEXT) | instid1(VALU_DEP_1)
	v_min_u32_e32 v6, 32, v6
	v_sub_nc_u32_e64 v6, v6, 4 clamp
	s_delay_alu instid0(VALU_DEP_1) | instskip(SKIP_1) | instid1(VALU_DEP_2)
	v_lshlrev_b32_e32 v7, v6, v3
	v_lshlrev_b32_e32 v6, 23, v6
	v_lshrrev_b32_e32 v7, 4, v7
	s_delay_alu instid0(VALU_DEP_1) | instskip(SKIP_1) | instid1(VALU_DEP_2)
	v_sub_nc_u32_e32 v6, v7, v6
	v_ashrrev_i32_e32 v7, 8, v8
	v_add_nc_u32_e32 v6, 0x3c000000, v6
	s_delay_alu instid0(VALU_DEP_1) | instskip(NEXT) | instid1(VALU_DEP_1)
	v_and_or_b32 v6, 0x7f800000, v7, v6
	v_cndmask_b32_e32 v3, 0, v6, vcc_lo
	s_delay_alu instid0(VALU_DEP_1)
	v_and_or_b32 v2, 0x80000000, v2, v3
.LBB472_579:
	s_mov_b32 s0, 0
.LBB472_580:
	s_delay_alu instid0(SALU_CYCLE_1)
	s_and_not1_b32 vcc_lo, exec_lo, s0
	s_cbranch_vccnz .LBB472_582
; %bb.581:
	global_load_u8 v2, v[0:1], off
	s_waitcnt vmcnt(0)
	v_lshlrev_b32_e32 v3, 25, v2
	v_lshlrev_b16 v2, 8, v2
	s_delay_alu instid0(VALU_DEP_2) | instskip(NEXT) | instid1(VALU_DEP_2)
	v_lshrrev_b32_e32 v6, 4, v3
	v_and_or_b32 v7, 0x7f00, v2, 0.5
	v_cmp_gt_u32_e32 vcc_lo, 0x8000000, v3
	v_bfe_i32 v2, v2, 0, 16
	s_delay_alu instid0(VALU_DEP_4) | instskip(NEXT) | instid1(VALU_DEP_1)
	v_or_b32_e32 v6, 0x70000000, v6
	v_dual_add_f32 v7, -0.5, v7 :: v_dual_mul_f32 v6, 0x7800000, v6
	s_delay_alu instid0(VALU_DEP_1) | instskip(NEXT) | instid1(VALU_DEP_1)
	v_cndmask_b32_e32 v3, v6, v7, vcc_lo
	v_and_or_b32 v2, 0x80000000, v2, v3
.LBB472_582:
	s_mov_b32 s20, 0
	s_mov_b32 s0, -1
.LBB472_583:
	s_and_not1_b32 vcc_lo, exec_lo, s20
	s_cbranch_vccnz .LBB472_596
; %bb.584:
	v_cmp_lt_i16_e32 vcc_lo, 14, v5
	s_cbranch_vccz .LBB472_587
; %bb.585:
	v_cmp_eq_u16_e32 vcc_lo, 15, v5
	s_cbranch_vccz .LBB472_590
; %bb.586:
	global_load_u16 v2, v[0:1], off
	s_mov_b32 s0, -1
	s_mov_b32 s19, 0
	s_waitcnt vmcnt(0)
	v_lshlrev_b32_e32 v2, 16, v2
	s_branch .LBB472_591
.LBB472_587:
	s_mov_b32 s20, -1
                                        ; implicit-def: $vgpr2
	s_branch .LBB472_592
.LBB472_588:
	s_or_saveexec_b32 s21, s21
	v_mov_b32_e32 v2, s20
	s_xor_b32 exec_lo, exec_lo, s21
	s_cbranch_execz .LBB472_569
.LBB472_589:
	v_cmp_ne_u16_e32 vcc_lo, 0, v3
	v_mov_b32_e32 v2, 0
	s_and_not1_b32 s0, s0, exec_lo
	s_and_b32 s20, vcc_lo, exec_lo
	s_delay_alu instid0(SALU_CYCLE_1)
	s_or_b32 s0, s0, s20
	s_or_b32 exec_lo, exec_lo, s21
	s_and_saveexec_b32 s20, s0
	s_cbranch_execnz .LBB472_570
	s_branch .LBB472_571
.LBB472_590:
	s_mov_b32 s19, -1
                                        ; implicit-def: $vgpr2
.LBB472_591:
	s_mov_b32 s20, 0
.LBB472_592:
	s_delay_alu instid0(SALU_CYCLE_1)
	s_and_b32 vcc_lo, exec_lo, s20
	s_cbranch_vccz .LBB472_596
; %bb.593:
	v_cmp_eq_u16_e32 vcc_lo, 11, v5
	s_cbranch_vccz .LBB472_595
; %bb.594:
	global_load_u8 v2, v[0:1], off
	s_mov_b32 s19, 0
	s_mov_b32 s0, -1
	s_waitcnt vmcnt(0)
	v_cmp_ne_u16_e32 vcc_lo, 0, v2
	v_cndmask_b32_e64 v2, 0, 1.0, vcc_lo
	s_branch .LBB472_596
.LBB472_595:
	s_mov_b32 s19, -1
                                        ; implicit-def: $vgpr2
.LBB472_596:
	s_mov_b32 s20, 0
.LBB472_597:
	s_delay_alu instid0(SALU_CYCLE_1)
	s_and_b32 vcc_lo, exec_lo, s20
	s_cbranch_vccz .LBB472_646
; %bb.598:
	v_cmp_gt_i16_e32 vcc_lo, 5, v5
	s_cbranch_vccnz .LBB472_603
; %bb.599:
	v_cmp_gt_i16_e32 vcc_lo, 8, v5
	s_cbranch_vccnz .LBB472_604
	;; [unrolled: 3-line block ×3, first 2 shown]
; %bb.601:
	v_cmp_lt_i16_e32 vcc_lo, 9, v5
	s_cbranch_vccz .LBB472_606
; %bb.602:
	global_load_b64 v[2:3], v[0:1], off
	s_mov_b32 s0, 0
	s_waitcnt vmcnt(0)
	v_cvt_f32_f64_e32 v2, v[2:3]
	s_branch .LBB472_607
.LBB472_603:
	s_mov_b32 s0, -1
                                        ; implicit-def: $vgpr2
	s_branch .LBB472_625
.LBB472_604:
	s_mov_b32 s0, -1
                                        ; implicit-def: $vgpr2
	s_branch .LBB472_613
.LBB472_605:
	s_mov_b32 s0, -1
                                        ; implicit-def: $vgpr2
	s_branch .LBB472_610
.LBB472_606:
	s_mov_b32 s0, -1
                                        ; implicit-def: $vgpr2
.LBB472_607:
	s_delay_alu instid0(SALU_CYCLE_1)
	s_and_not1_b32 vcc_lo, exec_lo, s0
	s_cbranch_vccnz .LBB472_609
; %bb.608:
	global_load_b32 v2, v[0:1], off
.LBB472_609:
	s_mov_b32 s0, 0
.LBB472_610:
	s_delay_alu instid0(SALU_CYCLE_1)
	s_and_not1_b32 vcc_lo, exec_lo, s0
	s_cbranch_vccnz .LBB472_612
; %bb.611:
	global_load_b32 v2, v[0:1], off
	s_waitcnt vmcnt(0)
	v_cvt_f32_f16_e32 v2, v2
.LBB472_612:
	s_mov_b32 s0, 0
.LBB472_613:
	s_delay_alu instid0(SALU_CYCLE_1)
	s_and_not1_b32 vcc_lo, exec_lo, s0
	s_cbranch_vccnz .LBB472_624
; %bb.614:
	v_cmp_gt_i16_e32 vcc_lo, 6, v5
	s_cbranch_vccnz .LBB472_617
; %bb.615:
	v_cmp_lt_i16_e32 vcc_lo, 6, v5
	s_cbranch_vccz .LBB472_618
; %bb.616:
	global_load_b64 v[2:3], v[0:1], off
	s_mov_b32 s0, 0
	s_waitcnt vmcnt(0)
	v_cvt_f32_f64_e32 v2, v[2:3]
	s_branch .LBB472_619
.LBB472_617:
	s_mov_b32 s0, -1
                                        ; implicit-def: $vgpr2
	s_branch .LBB472_622
.LBB472_618:
	s_mov_b32 s0, -1
                                        ; implicit-def: $vgpr2
.LBB472_619:
	s_delay_alu instid0(SALU_CYCLE_1)
	s_and_not1_b32 vcc_lo, exec_lo, s0
	s_cbranch_vccnz .LBB472_621
; %bb.620:
	global_load_b32 v2, v[0:1], off
.LBB472_621:
	s_mov_b32 s0, 0
.LBB472_622:
	s_delay_alu instid0(SALU_CYCLE_1)
	s_and_not1_b32 vcc_lo, exec_lo, s0
	s_cbranch_vccnz .LBB472_624
; %bb.623:
	global_load_u16 v2, v[0:1], off
	s_waitcnt vmcnt(0)
	v_cvt_f32_f16_e32 v2, v2
.LBB472_624:
	s_mov_b32 s0, 0
.LBB472_625:
	s_delay_alu instid0(SALU_CYCLE_1)
	s_and_not1_b32 vcc_lo, exec_lo, s0
	s_cbranch_vccnz .LBB472_645
; %bb.626:
	v_cmp_gt_i16_e32 vcc_lo, 2, v5
	s_cbranch_vccnz .LBB472_630
; %bb.627:
	v_cmp_gt_i16_e32 vcc_lo, 3, v5
	s_cbranch_vccnz .LBB472_631
; %bb.628:
	v_cmp_lt_i16_e32 vcc_lo, 3, v5
	s_cbranch_vccz .LBB472_632
; %bb.629:
	global_load_b64 v[2:3], v[0:1], off
	s_mov_b32 s0, 0
	s_waitcnt vmcnt(0)
	v_xor_b32_e32 v6, v2, v3
	v_cls_i32_e32 v7, v3
	s_delay_alu instid0(VALU_DEP_2) | instskip(NEXT) | instid1(VALU_DEP_2)
	v_ashrrev_i32_e32 v6, 31, v6
	v_add_nc_u32_e32 v7, -1, v7
	s_delay_alu instid0(VALU_DEP_2) | instskip(NEXT) | instid1(VALU_DEP_1)
	v_add_nc_u32_e32 v6, 32, v6
	v_min_u32_e32 v6, v7, v6
	s_delay_alu instid0(VALU_DEP_1) | instskip(NEXT) | instid1(VALU_DEP_1)
	v_lshlrev_b64 v[2:3], v6, v[2:3]
	v_min_u32_e32 v2, 1, v2
	s_delay_alu instid0(VALU_DEP_1) | instskip(SKIP_1) | instid1(VALU_DEP_2)
	v_or_b32_e32 v2, v3, v2
	v_sub_nc_u32_e32 v3, 32, v6
	v_cvt_f32_i32_e32 v2, v2
	s_delay_alu instid0(VALU_DEP_1)
	v_ldexp_f32 v2, v2, v3
	s_branch .LBB472_633
.LBB472_630:
	s_mov_b32 s0, -1
                                        ; implicit-def: $vgpr2
	s_branch .LBB472_639
.LBB472_631:
	s_mov_b32 s0, -1
                                        ; implicit-def: $vgpr2
	s_branch .LBB472_636
.LBB472_632:
	s_mov_b32 s0, -1
                                        ; implicit-def: $vgpr2
.LBB472_633:
	s_delay_alu instid0(SALU_CYCLE_1)
	s_and_not1_b32 vcc_lo, exec_lo, s0
	s_cbranch_vccnz .LBB472_635
; %bb.634:
	global_load_b32 v2, v[0:1], off
	s_waitcnt vmcnt(0)
	v_cvt_f32_i32_e32 v2, v2
.LBB472_635:
	s_mov_b32 s0, 0
.LBB472_636:
	s_delay_alu instid0(SALU_CYCLE_1)
	s_and_not1_b32 vcc_lo, exec_lo, s0
	s_cbranch_vccnz .LBB472_638
; %bb.637:
	global_load_i16 v2, v[0:1], off
	s_waitcnt vmcnt(0)
	v_cvt_f32_i32_e32 v2, v2
.LBB472_638:
	s_mov_b32 s0, 0
.LBB472_639:
	s_delay_alu instid0(SALU_CYCLE_1)
	s_and_not1_b32 vcc_lo, exec_lo, s0
	s_cbranch_vccnz .LBB472_645
; %bb.640:
	v_cmp_lt_i16_e32 vcc_lo, 0, v5
	s_mov_b32 s0, 0
	s_cbranch_vccz .LBB472_642
; %bb.641:
	global_load_i8 v2, v[0:1], off
	s_waitcnt vmcnt(0)
	v_cvt_f32_i32_e32 v2, v2
	s_branch .LBB472_643
.LBB472_642:
	s_mov_b32 s0, -1
                                        ; implicit-def: $vgpr2
.LBB472_643:
	s_delay_alu instid0(SALU_CYCLE_1)
	s_and_not1_b32 vcc_lo, exec_lo, s0
	s_cbranch_vccnz .LBB472_645
; %bb.644:
	global_load_u8 v0, v[0:1], off
	s_waitcnt vmcnt(0)
	v_cvt_f32_ubyte0_e32 v2, v0
.LBB472_645:
	s_mov_b32 s0, -1
.LBB472_646:
	s_delay_alu instid0(SALU_CYCLE_1)
	s_and_not1_b32 vcc_lo, exec_lo, s0
	s_cbranch_vccnz .LBB472_654
; %bb.647:
	v_mul_lo_u32 v3, v4, s8
	v_max_f32_e64 v0, s10, s10
	s_waitcnt vmcnt(0)
	s_delay_alu instid0(VALU_DEP_3) | instskip(SKIP_2) | instid1(VALU_DEP_3)
	v_max_f32_e32 v1, v2, v2
	v_and_b32_e64 v6, 0xff, s2
	v_cmp_u_f32_e64 s0, v2, v2
	v_min_f32_e32 v0, v1, v0
	v_ashrrev_i32_e32 v1, 31, v3
	s_delay_alu instid0(VALU_DEP_4) | instskip(NEXT) | instid1(VALU_DEP_3)
	v_cmp_gt_i16_e32 vcc_lo, 11, v6
	v_cndmask_b32_e64 v2, v0, v2, s0
	v_add_co_u32 v0, s0, s4, v3
	s_delay_alu instid0(VALU_DEP_1)
	v_add_co_ci_u32_e64 v1, s0, s5, v1, s0
	s_cbranch_vccnz .LBB472_655
; %bb.648:
	v_cmp_lt_i16_e32 vcc_lo, 25, v6
	s_cbranch_vccz .LBB472_656
; %bb.649:
	v_cmp_lt_i16_e32 vcc_lo, 28, v6
	s_cbranch_vccz .LBB472_657
	;; [unrolled: 3-line block ×4, first 2 shown]
; %bb.652:
	v_cmp_eq_u16_e32 vcc_lo, 46, v6
	s_mov_b32 s21, 0
	s_mov_b32 s0, -1
	s_mov_b32 s20, 0
	s_cbranch_vccz .LBB472_660
; %bb.653:
	v_bfe_u32 v3, v2, 16, 1
	v_cmp_o_f32_e32 vcc_lo, v2, v2
	s_mov_b32 s20, -1
	s_mov_b32 s0, 0
	s_delay_alu instid0(VALU_DEP_2) | instskip(NEXT) | instid1(VALU_DEP_1)
	v_add3_u32 v3, v2, v3, 0x7fff
	v_lshrrev_b32_e32 v3, 16, v3
	s_delay_alu instid0(VALU_DEP_1)
	v_cndmask_b32_e32 v3, 0x7fc0, v3, vcc_lo
	global_store_b32 v[0:1], v3, off
	s_branch .LBB472_660
.LBB472_654:
	s_mov_b32 s21, 0
	s_mov_b32 s0, s16
	s_branch .LBB472_771
.LBB472_655:
	s_mov_b32 s21, -1
	s_mov_b32 s20, 0
	s_mov_b32 s0, s16
	s_branch .LBB472_729
.LBB472_656:
	s_mov_b32 s21, -1
	s_mov_b32 s20, 0
	s_mov_b32 s0, s16
	s_branch .LBB472_687
.LBB472_657:
	s_mov_b32 s21, -1
	s_mov_b32 s20, 0
	s_mov_b32 s0, s16
	s_branch .LBB472_670
.LBB472_658:
	s_mov_b32 s21, -1
	s_mov_b32 s20, 0
	s_mov_b32 s0, s16
	s_branch .LBB472_666
.LBB472_659:
	s_mov_b32 s21, -1
	s_mov_b32 s20, 0
	s_mov_b32 s0, s16
.LBB472_660:
	s_and_b32 vcc_lo, exec_lo, s21
	s_cbranch_vccz .LBB472_665
; %bb.661:
	v_cmp_eq_u16_e32 vcc_lo, 44, v6
	s_mov_b32 s0, -1
	s_cbranch_vccz .LBB472_665
; %bb.662:
	v_bfe_u32 v7, v2, 23, 8
	v_mov_b32_e32 v3, 0xff
	s_mov_b32 s20, exec_lo
	s_delay_alu instid0(VALU_DEP_2)
	v_cmpx_ne_u32_e32 0xff, v7
; %bb.663:
	v_and_b32_e32 v3, 0x400000, v2
	v_and_or_b32 v7, 0x3fffff, v2, v7
	s_delay_alu instid0(VALU_DEP_2) | instskip(NEXT) | instid1(VALU_DEP_2)
	v_cmp_ne_u32_e32 vcc_lo, 0, v3
	v_cmp_ne_u32_e64 s0, 0, v7
	v_lshrrev_b32_e32 v3, 23, v2
	s_delay_alu instid0(VALU_DEP_2) | instskip(NEXT) | instid1(SALU_CYCLE_1)
	s_and_b32 s0, vcc_lo, s0
	v_cndmask_b32_e64 v7, 0, 1, s0
	s_delay_alu instid0(VALU_DEP_1)
	v_add_nc_u32_e32 v3, v3, v7
; %bb.664:
	s_or_b32 exec_lo, exec_lo, s20
	s_mov_b32 s20, -1
	s_mov_b32 s0, 0
	global_store_b8 v[0:1], v3, off
.LBB472_665:
	s_mov_b32 s21, 0
.LBB472_666:
	s_delay_alu instid0(SALU_CYCLE_1)
	s_and_b32 vcc_lo, exec_lo, s21
	s_cbranch_vccz .LBB472_669
; %bb.667:
	v_cmp_eq_u16_e32 vcc_lo, 29, v6
	s_mov_b32 s0, -1
	s_cbranch_vccz .LBB472_669
; %bb.668:
	v_trunc_f32_e32 v3, v2
	s_mov_b32 s20, -1
	s_mov_b32 s0, 0
	s_mov_b32 s21, 0
	s_delay_alu instid0(VALU_DEP_1) | instskip(NEXT) | instid1(VALU_DEP_1)
	v_mul_f32_e32 v7, 0x2f800000, v3
	v_floor_f32_e32 v7, v7
	s_delay_alu instid0(VALU_DEP_1) | instskip(SKIP_1) | instid1(VALU_DEP_2)
	v_fmamk_f32 v3, v7, 0xcf800000, v3
	v_cvt_u32_f32_e32 v8, v7
	v_cvt_u32_f32_e32 v7, v3
	global_store_b64 v[0:1], v[7:8], off
	s_branch .LBB472_670
.LBB472_669:
	s_mov_b32 s21, 0
.LBB472_670:
	s_delay_alu instid0(SALU_CYCLE_1)
	s_and_b32 vcc_lo, exec_lo, s21
	s_cbranch_vccz .LBB472_686
; %bb.671:
	v_cmp_gt_i16_e32 vcc_lo, 27, v6
	s_mov_b32 s20, -1
	s_cbranch_vccnz .LBB472_677
; %bb.672:
	v_cmp_lt_i16_e32 vcc_lo, 27, v6
	s_cbranch_vccz .LBB472_674
; %bb.673:
	v_cvt_u32_f32_e32 v3, v2
	s_mov_b32 s20, 0
	global_store_b32 v[0:1], v3, off
.LBB472_674:
	s_and_not1_b32 vcc_lo, exec_lo, s20
	s_cbranch_vccnz .LBB472_676
; %bb.675:
	v_cvt_u32_f32_e32 v3, v2
	global_store_b16 v[0:1], v3, off
.LBB472_676:
	s_mov_b32 s20, 0
.LBB472_677:
	s_delay_alu instid0(SALU_CYCLE_1)
	s_and_not1_b32 vcc_lo, exec_lo, s20
	s_cbranch_vccnz .LBB472_685
; %bb.678:
	v_and_b32_e32 v3, 0x7fffffff, v2
	v_mov_b32_e32 v7, 0x80
	s_mov_b32 s20, exec_lo
	s_delay_alu instid0(VALU_DEP_2)
	v_cmpx_gt_u32_e32 0x43800000, v3
	s_cbranch_execz .LBB472_684
; %bb.679:
	v_cmp_lt_u32_e32 vcc_lo, 0x3bffffff, v3
	s_mov_b32 s21, 0
                                        ; implicit-def: $vgpr3
	s_and_saveexec_b32 s22, vcc_lo
	s_delay_alu instid0(SALU_CYCLE_1)
	s_xor_b32 s22, exec_lo, s22
	s_cbranch_execz .LBB472_786
; %bb.680:
	v_bfe_u32 v3, v2, 20, 1
	s_mov_b32 s21, exec_lo
	s_delay_alu instid0(VALU_DEP_1) | instskip(NEXT) | instid1(VALU_DEP_1)
	v_add3_u32 v3, v2, v3, 0x487ffff
	v_lshrrev_b32_e32 v3, 20, v3
	s_or_saveexec_b32 s22, s22
                                        ; implicit-def: $sgpr23
	s_delay_alu instid0(SALU_CYCLE_1)
	s_xor_b32 exec_lo, exec_lo, s22
	s_cbranch_execnz .LBB472_787
.LBB472_681:
	s_or_b32 exec_lo, exec_lo, s22
	v_mov_b32_e32 v7, s23
	s_and_saveexec_b32 s22, s21
.LBB472_682:
	v_lshrrev_b32_e32 v7, 24, v2
	s_delay_alu instid0(VALU_DEP_1)
	v_and_or_b32 v7, 0x80, v7, v3
.LBB472_683:
	s_or_b32 exec_lo, exec_lo, s22
.LBB472_684:
	s_delay_alu instid0(SALU_CYCLE_1)
	s_or_b32 exec_lo, exec_lo, s20
	global_store_b8 v[0:1], v7, off
.LBB472_685:
	s_mov_b32 s20, -1
.LBB472_686:
	s_mov_b32 s21, 0
.LBB472_687:
	s_delay_alu instid0(SALU_CYCLE_1)
	s_and_b32 vcc_lo, exec_lo, s21
	s_cbranch_vccz .LBB472_728
; %bb.688:
	v_cmp_lt_i16_e32 vcc_lo, 22, v6
	s_mov_b32 s21, -1
	s_cbranch_vccz .LBB472_720
; %bb.689:
	v_cmp_gt_i16_e32 vcc_lo, 24, v6
	s_mov_b32 s20, -1
	s_cbranch_vccnz .LBB472_709
; %bb.690:
	v_cmp_lt_i16_e32 vcc_lo, 24, v6
	s_cbranch_vccz .LBB472_698
; %bb.691:
	v_and_b32_e32 v3, 0x7fffffff, v2
	v_mov_b32_e32 v7, 0x80
	s_mov_b32 s20, exec_lo
	s_delay_alu instid0(VALU_DEP_2)
	v_cmpx_gt_u32_e32 0x47800000, v3
	s_cbranch_execz .LBB472_697
; %bb.692:
	v_cmp_lt_u32_e32 vcc_lo, 0x37ffffff, v3
	s_mov_b32 s21, 0
                                        ; implicit-def: $vgpr3
	s_and_saveexec_b32 s22, vcc_lo
	s_delay_alu instid0(SALU_CYCLE_1)
	s_xor_b32 s22, exec_lo, s22
	s_cbranch_execz .LBB472_789
; %bb.693:
	v_bfe_u32 v3, v2, 21, 1
	s_mov_b32 s21, exec_lo
	s_delay_alu instid0(VALU_DEP_1) | instskip(NEXT) | instid1(VALU_DEP_1)
	v_add3_u32 v3, v2, v3, 0x88fffff
	v_lshrrev_b32_e32 v3, 21, v3
	s_or_saveexec_b32 s22, s22
                                        ; implicit-def: $sgpr23
	s_delay_alu instid0(SALU_CYCLE_1)
	s_xor_b32 exec_lo, exec_lo, s22
	s_cbranch_execnz .LBB472_790
.LBB472_694:
	s_or_b32 exec_lo, exec_lo, s22
	v_mov_b32_e32 v7, s23
	s_and_saveexec_b32 s22, s21
.LBB472_695:
	v_lshrrev_b32_e32 v7, 24, v2
	s_delay_alu instid0(VALU_DEP_1)
	v_and_or_b32 v7, 0x80, v7, v3
.LBB472_696:
	s_or_b32 exec_lo, exec_lo, s22
.LBB472_697:
	s_delay_alu instid0(SALU_CYCLE_1)
	s_or_b32 exec_lo, exec_lo, s20
	s_mov_b32 s20, 0
	global_store_b8 v[0:1], v7, off
.LBB472_698:
	s_and_b32 vcc_lo, exec_lo, s20
	s_cbranch_vccz .LBB472_708
; %bb.699:
	v_and_b32_e32 v7, 0x7fffffff, v2
	s_mov_b32 s20, exec_lo
                                        ; implicit-def: $vgpr3
	s_delay_alu instid0(VALU_DEP_1)
	v_cmpx_gt_u32_e32 0x43f00000, v7
	s_xor_b32 s20, exec_lo, s20
	s_cbranch_execz .LBB472_705
; %bb.700:
	s_mov_b32 s21, exec_lo
                                        ; implicit-def: $vgpr3
	v_cmpx_lt_u32_e32 0x3c7fffff, v7
	s_xor_b32 s21, exec_lo, s21
; %bb.701:
	v_bfe_u32 v3, v2, 20, 1
	s_delay_alu instid0(VALU_DEP_1) | instskip(NEXT) | instid1(VALU_DEP_1)
	v_add3_u32 v3, v2, v3, 0x407ffff
	v_and_b32_e32 v7, 0xff00000, v3
	v_lshrrev_b32_e32 v3, 20, v3
	s_delay_alu instid0(VALU_DEP_2) | instskip(NEXT) | instid1(VALU_DEP_2)
	v_cmp_ne_u32_e32 vcc_lo, 0x7f00000, v7
	v_cndmask_b32_e32 v3, 0x7e, v3, vcc_lo
; %bb.702:
	s_and_not1_saveexec_b32 s21, s21
; %bb.703:
	v_add_f32_e64 v3, 0x46800000, |v2|
; %bb.704:
	s_or_b32 exec_lo, exec_lo, s21
                                        ; implicit-def: $vgpr7
.LBB472_705:
	s_and_not1_saveexec_b32 s20, s20
; %bb.706:
	v_mov_b32_e32 v3, 0x7f
	v_cmp_lt_u32_e32 vcc_lo, 0x7f800000, v7
	s_delay_alu instid0(VALU_DEP_2)
	v_cndmask_b32_e32 v3, 0x7e, v3, vcc_lo
; %bb.707:
	s_or_b32 exec_lo, exec_lo, s20
	v_lshrrev_b32_e32 v7, 24, v2
	s_delay_alu instid0(VALU_DEP_1)
	v_and_or_b32 v3, 0x80, v7, v3
	global_store_b8 v[0:1], v3, off
.LBB472_708:
	s_mov_b32 s20, 0
.LBB472_709:
	s_delay_alu instid0(SALU_CYCLE_1)
	s_and_not1_b32 vcc_lo, exec_lo, s20
	s_cbranch_vccnz .LBB472_719
; %bb.710:
	v_and_b32_e32 v7, 0x7fffffff, v2
	s_mov_b32 s20, exec_lo
                                        ; implicit-def: $vgpr3
	s_delay_alu instid0(VALU_DEP_1)
	v_cmpx_gt_u32_e32 0x47800000, v7
	s_xor_b32 s20, exec_lo, s20
	s_cbranch_execz .LBB472_716
; %bb.711:
	s_mov_b32 s21, exec_lo
                                        ; implicit-def: $vgpr3
	v_cmpx_lt_u32_e32 0x387fffff, v7
	s_xor_b32 s21, exec_lo, s21
; %bb.712:
	v_bfe_u32 v3, v2, 21, 1
	s_delay_alu instid0(VALU_DEP_1) | instskip(NEXT) | instid1(VALU_DEP_1)
	v_add3_u32 v3, v2, v3, 0x80fffff
	v_lshrrev_b32_e32 v3, 21, v3
; %bb.713:
	s_and_not1_saveexec_b32 s21, s21
; %bb.714:
	v_add_f32_e64 v3, 0x43000000, |v2|
; %bb.715:
	s_or_b32 exec_lo, exec_lo, s21
                                        ; implicit-def: $vgpr7
.LBB472_716:
	s_and_not1_saveexec_b32 s20, s20
; %bb.717:
	v_mov_b32_e32 v3, 0x7f
	v_cmp_lt_u32_e32 vcc_lo, 0x7f800000, v7
	s_delay_alu instid0(VALU_DEP_2)
	v_cndmask_b32_e32 v3, 0x7c, v3, vcc_lo
; %bb.718:
	s_or_b32 exec_lo, exec_lo, s20
	v_lshrrev_b32_e32 v7, 24, v2
	s_delay_alu instid0(VALU_DEP_1)
	v_and_or_b32 v3, 0x80, v7, v3
	global_store_b8 v[0:1], v3, off
.LBB472_719:
	s_mov_b32 s21, 0
	s_mov_b32 s20, -1
.LBB472_720:
	s_and_not1_b32 vcc_lo, exec_lo, s21
	s_cbranch_vccnz .LBB472_728
; %bb.721:
	v_cmp_lt_i16_e32 vcc_lo, 14, v6
	s_mov_b32 s21, -1
	s_cbranch_vccz .LBB472_725
; %bb.722:
	v_cmp_eq_u16_e32 vcc_lo, 15, v6
	s_mov_b32 s0, -1
	s_cbranch_vccz .LBB472_724
; %bb.723:
	v_bfe_u32 v3, v2, 16, 1
	v_cmp_o_f32_e32 vcc_lo, v2, v2
	s_mov_b32 s20, -1
	s_mov_b32 s0, 0
	s_delay_alu instid0(VALU_DEP_2) | instskip(NEXT) | instid1(VALU_DEP_1)
	v_add3_u32 v3, v2, v3, 0x7fff
	v_lshrrev_b32_e32 v3, 16, v3
	s_delay_alu instid0(VALU_DEP_1)
	v_cndmask_b32_e32 v3, 0x7fc0, v3, vcc_lo
	global_store_b16 v[0:1], v3, off
.LBB472_724:
	s_mov_b32 s21, 0
.LBB472_725:
	s_delay_alu instid0(SALU_CYCLE_1)
	s_and_b32 vcc_lo, exec_lo, s21
	s_cbranch_vccz .LBB472_728
; %bb.726:
	v_cmp_eq_u16_e32 vcc_lo, 11, v6
	s_mov_b32 s0, -1
	s_cbranch_vccz .LBB472_728
; %bb.727:
	v_cmp_neq_f32_e32 vcc_lo, 0, v2
	s_mov_b32 s0, 0
	s_mov_b32 s20, -1
	v_cndmask_b32_e64 v3, 0, 1, vcc_lo
	global_store_b8 v[0:1], v3, off
.LBB472_728:
	s_mov_b32 s21, 0
.LBB472_729:
	s_delay_alu instid0(SALU_CYCLE_1)
	s_and_b32 vcc_lo, exec_lo, s21
	s_cbranch_vccz .LBB472_768
; %bb.730:
	v_cmp_gt_i16_e32 vcc_lo, 5, v6
	s_mov_b32 s20, -1
	s_cbranch_vccnz .LBB472_751
; %bb.731:
	v_cmp_gt_i16_e32 vcc_lo, 8, v6
	s_cbranch_vccnz .LBB472_741
; %bb.732:
	v_cmp_gt_i16_e32 vcc_lo, 9, v6
	s_cbranch_vccnz .LBB472_738
; %bb.733:
	v_cmp_lt_i16_e32 vcc_lo, 9, v6
	s_cbranch_vccz .LBB472_735
; %bb.734:
	v_cvt_f64_f32_e32 v[7:8], v2
	v_mov_b32_e32 v9, 0
	s_mov_b32 s20, 0
	s_delay_alu instid0(VALU_DEP_1)
	v_mov_b32_e32 v10, v9
	global_store_b128 v[0:1], v[7:10], off
.LBB472_735:
	s_and_not1_b32 vcc_lo, exec_lo, s20
	s_cbranch_vccnz .LBB472_737
; %bb.736:
	v_mov_b32_e32 v3, 0
	global_store_b64 v[0:1], v[2:3], off
.LBB472_737:
	s_mov_b32 s20, 0
.LBB472_738:
	s_delay_alu instid0(SALU_CYCLE_1)
	s_and_not1_b32 vcc_lo, exec_lo, s20
	s_cbranch_vccnz .LBB472_740
; %bb.739:
	v_cvt_f16_f32_e32 v3, v2
	s_delay_alu instid0(VALU_DEP_1)
	v_and_b32_e32 v3, 0xffff, v3
	global_store_b32 v[0:1], v3, off
.LBB472_740:
	s_mov_b32 s20, 0
.LBB472_741:
	s_delay_alu instid0(SALU_CYCLE_1)
	s_and_not1_b32 vcc_lo, exec_lo, s20
	s_cbranch_vccnz .LBB472_750
; %bb.742:
	v_cmp_gt_i16_e32 vcc_lo, 6, v6
	s_mov_b32 s20, -1
	s_cbranch_vccnz .LBB472_748
; %bb.743:
	v_cmp_lt_i16_e32 vcc_lo, 6, v6
	s_cbranch_vccz .LBB472_745
; %bb.744:
	v_cvt_f64_f32_e32 v[7:8], v2
	s_mov_b32 s20, 0
	global_store_b64 v[0:1], v[7:8], off
.LBB472_745:
	s_and_not1_b32 vcc_lo, exec_lo, s20
	s_cbranch_vccnz .LBB472_747
; %bb.746:
	global_store_b32 v[0:1], v2, off
.LBB472_747:
	s_mov_b32 s20, 0
.LBB472_748:
	s_delay_alu instid0(SALU_CYCLE_1)
	s_and_not1_b32 vcc_lo, exec_lo, s20
	s_cbranch_vccnz .LBB472_750
; %bb.749:
	v_cvt_f16_f32_e32 v3, v2
	global_store_b16 v[0:1], v3, off
.LBB472_750:
	s_mov_b32 s20, 0
.LBB472_751:
	s_delay_alu instid0(SALU_CYCLE_1)
	s_and_not1_b32 vcc_lo, exec_lo, s20
	s_cbranch_vccnz .LBB472_767
; %bb.752:
	v_cmp_gt_i16_e32 vcc_lo, 2, v6
	s_mov_b32 s20, -1
	s_cbranch_vccnz .LBB472_762
; %bb.753:
	v_cmp_gt_i16_e32 vcc_lo, 3, v6
	s_cbranch_vccnz .LBB472_759
; %bb.754:
	v_cmp_lt_i16_e32 vcc_lo, 3, v6
	s_cbranch_vccz .LBB472_756
; %bb.755:
	v_trunc_f32_e32 v3, v2
	s_mov_b32 s20, 0
	s_delay_alu instid0(VALU_DEP_1) | instskip(NEXT) | instid1(VALU_DEP_1)
	v_mul_f32_e64 v7, 0x2f800000, |v3|
	v_floor_f32_e32 v7, v7
	s_delay_alu instid0(VALU_DEP_1) | instskip(SKIP_2) | instid1(VALU_DEP_3)
	v_fma_f32 v8, 0xcf800000, v7, |v3|
	v_ashrrev_i32_e32 v3, 31, v3
	v_cvt_u32_f32_e32 v7, v7
	v_cvt_u32_f32_e32 v8, v8
	s_delay_alu instid0(VALU_DEP_2) | instskip(NEXT) | instid1(VALU_DEP_2)
	v_xor_b32_e32 v9, v7, v3
	v_xor_b32_e32 v8, v8, v3
	s_delay_alu instid0(VALU_DEP_1) | instskip(NEXT) | instid1(VALU_DEP_3)
	v_sub_co_u32 v7, vcc_lo, v8, v3
	v_sub_co_ci_u32_e32 v8, vcc_lo, v9, v3, vcc_lo
	global_store_b64 v[0:1], v[7:8], off
.LBB472_756:
	s_and_not1_b32 vcc_lo, exec_lo, s20
	s_cbranch_vccnz .LBB472_758
; %bb.757:
	v_cvt_i32_f32_e32 v3, v2
	global_store_b32 v[0:1], v3, off
.LBB472_758:
	s_mov_b32 s20, 0
.LBB472_759:
	s_delay_alu instid0(SALU_CYCLE_1)
	s_and_not1_b32 vcc_lo, exec_lo, s20
	s_cbranch_vccnz .LBB472_761
; %bb.760:
	v_cvt_i32_f32_e32 v3, v2
	global_store_b16 v[0:1], v3, off
.LBB472_761:
	s_mov_b32 s20, 0
.LBB472_762:
	s_delay_alu instid0(SALU_CYCLE_1)
	s_and_not1_b32 vcc_lo, exec_lo, s20
	s_cbranch_vccnz .LBB472_767
; %bb.763:
	v_cmp_lt_i16_e32 vcc_lo, 0, v6
	s_mov_b32 s20, -1
	s_cbranch_vccz .LBB472_765
; %bb.764:
	v_cvt_i32_f32_e32 v3, v2
	s_mov_b32 s20, 0
	global_store_b8 v[0:1], v3, off
.LBB472_765:
	s_and_not1_b32 vcc_lo, exec_lo, s20
	s_cbranch_vccnz .LBB472_767
; %bb.766:
	v_trunc_f32_e32 v2, v2
	s_delay_alu instid0(VALU_DEP_1) | instskip(NEXT) | instid1(VALU_DEP_1)
	v_mul_f32_e64 v3, 0x2f800000, |v2|
	v_floor_f32_e32 v3, v3
	s_delay_alu instid0(VALU_DEP_1) | instskip(SKIP_1) | instid1(VALU_DEP_2)
	v_fma_f32 v3, 0xcf800000, v3, |v2|
	v_ashrrev_i32_e32 v2, 31, v2
	v_cvt_u32_f32_e32 v3, v3
	s_delay_alu instid0(VALU_DEP_1) | instskip(NEXT) | instid1(VALU_DEP_1)
	v_xor_b32_e32 v3, v3, v2
	v_sub_nc_u32_e32 v2, v3, v2
	global_store_b8 v[0:1], v2, off
.LBB472_767:
	s_mov_b32 s20, -1
.LBB472_768:
	s_delay_alu instid0(SALU_CYCLE_1)
	s_and_not1_b32 vcc_lo, exec_lo, s20
	s_cbranch_vccnz .LBB472_770
; %bb.769:
	v_add_nc_u32_e32 v4, 0x80, v4
	s_mov_b32 s21, -1
	s_branch .LBB472_772
.LBB472_770:
	s_mov_b32 s21, 0
.LBB472_771:
                                        ; implicit-def: $vgpr4
.LBB472_772:
	s_and_not1_b32 s20, s16, exec_lo
	s_and_b32 s0, s0, exec_lo
	s_and_not1_b32 s22, s15, exec_lo
	s_and_b32 s19, s19, exec_lo
	s_or_b32 s20, s20, s0
	s_or_b32 s19, s22, s19
	s_or_not1_b32 s0, s21, exec_lo
.LBB472_773:
	s_or_b32 exec_lo, exec_lo, s18
	s_mov_b32 s21, 0
	s_mov_b32 s22, 0
	;; [unrolled: 1-line block ×3, first 2 shown]
                                        ; implicit-def: $vgpr0_vgpr1
                                        ; implicit-def: $vgpr3
	s_and_saveexec_b32 s18, s0
	s_cbranch_execz .LBB472_858
; %bb.774:
	v_cmp_gt_i32_e32 vcc_lo, s12, v4
	s_mov_b32 s0, 0
	s_mov_b32 s21, s19
                                        ; implicit-def: $vgpr0_vgpr1
                                        ; implicit-def: $vgpr3
	s_and_saveexec_b32 s12, vcc_lo
	s_cbranch_execz .LBB472_857
; %bb.775:
	v_mul_lo_u32 v0, v4, s9
	v_cmp_gt_i16_e32 vcc_lo, 11, v5
	s_delay_alu instid0(VALU_DEP_2) | instskip(SKIP_1) | instid1(VALU_DEP_1)
	v_ashrrev_i32_e32 v1, 31, v0
	v_add_co_u32 v0, s0, s6, v0
	v_add_co_ci_u32_e64 v1, s0, s7, v1, s0
	s_cbranch_vccnz .LBB472_782
; %bb.776:
	v_cmp_lt_i16_e32 vcc_lo, 25, v5
	s_mov_b32 s21, 0
	s_cbranch_vccz .LBB472_783
; %bb.777:
	v_cmp_lt_i16_e32 vcc_lo, 28, v5
	s_cbranch_vccz .LBB472_784
; %bb.778:
	v_cmp_lt_i16_e32 vcc_lo, 43, v5
	;; [unrolled: 3-line block ×3, first 2 shown]
	s_cbranch_vccz .LBB472_788
; %bb.780:
	v_cmp_eq_u16_e32 vcc_lo, 46, v5
	s_cbranch_vccz .LBB472_791
; %bb.781:
	global_load_b32 v2, v[0:1], off
	s_mov_b32 s0, 0
	s_mov_b32 s22, -1
	s_waitcnt vmcnt(0)
	v_lshlrev_b32_e32 v3, 16, v2
	s_branch .LBB472_793
.LBB472_782:
	s_mov_b32 s24, -1
	s_mov_b32 s21, 0
	s_mov_b32 s0, s19
                                        ; implicit-def: $vgpr3
	s_branch .LBB472_856
.LBB472_783:
	s_mov_b32 s23, -1
	s_mov_b32 s0, s19
                                        ; implicit-def: $vgpr3
	s_branch .LBB472_822
.LBB472_784:
	s_mov_b32 s23, -1
	s_mov_b32 s0, s19
                                        ; implicit-def: $vgpr3
	s_branch .LBB472_803
.LBB472_785:
	s_mov_b32 s23, -1
	s_mov_b32 s0, s19
                                        ; implicit-def: $vgpr3
	s_branch .LBB472_798
.LBB472_786:
	s_or_saveexec_b32 s22, s22
                                        ; implicit-def: $sgpr23
	s_delay_alu instid0(SALU_CYCLE_1)
	s_xor_b32 exec_lo, exec_lo, s22
	s_cbranch_execz .LBB472_681
.LBB472_787:
	v_add_f32_e64 v3, 0x46000000, |v2|
	s_and_not1_b32 s21, s21, exec_lo
	s_mov_b32 s23, 0
	s_delay_alu instid0(VALU_DEP_1) | instskip(NEXT) | instid1(VALU_DEP_1)
	v_and_b32_e32 v3, 0xff, v3
	v_cmp_ne_u32_e32 vcc_lo, 0, v3
	s_and_b32 s24, vcc_lo, exec_lo
	s_delay_alu instid0(SALU_CYCLE_1)
	s_or_b32 s21, s21, s24
	s_or_b32 exec_lo, exec_lo, s22
	v_mov_b32_e32 v7, s23
	s_and_saveexec_b32 s22, s21
	s_cbranch_execnz .LBB472_682
	s_branch .LBB472_683
.LBB472_788:
	s_mov_b32 s23, -1
	s_mov_b32 s0, s19
	s_branch .LBB472_792
.LBB472_789:
	s_or_saveexec_b32 s22, s22
                                        ; implicit-def: $sgpr23
	s_delay_alu instid0(SALU_CYCLE_1)
	s_xor_b32 exec_lo, exec_lo, s22
	s_cbranch_execz .LBB472_694
.LBB472_790:
	v_add_f32_e64 v3, 0x42800000, |v2|
	s_and_not1_b32 s21, s21, exec_lo
	s_mov_b32 s23, 0
	s_delay_alu instid0(VALU_DEP_1) | instskip(NEXT) | instid1(VALU_DEP_1)
	v_and_b32_e32 v3, 0xff, v3
	v_cmp_ne_u32_e32 vcc_lo, 0, v3
	s_and_b32 s24, vcc_lo, exec_lo
	s_delay_alu instid0(SALU_CYCLE_1)
	s_or_b32 s21, s21, s24
	s_or_b32 exec_lo, exec_lo, s22
	v_mov_b32_e32 v7, s23
	s_and_saveexec_b32 s22, s21
	s_cbranch_execnz .LBB472_695
	s_branch .LBB472_696
.LBB472_791:
	s_mov_b32 s0, -1
.LBB472_792:
                                        ; implicit-def: $vgpr3
.LBB472_793:
	s_and_b32 vcc_lo, exec_lo, s23
	s_cbranch_vccz .LBB472_797
; %bb.794:
	v_cmp_eq_u16_e32 vcc_lo, 44, v5
	s_cbranch_vccz .LBB472_796
; %bb.795:
	global_load_u8 v2, v[0:1], off
	s_mov_b32 s0, 0
	s_mov_b32 s22, -1
	s_waitcnt vmcnt(0)
	v_lshlrev_b32_e32 v3, 23, v2
	v_cmp_ne_u32_e32 vcc_lo, 0xff, v2
	s_delay_alu instid0(VALU_DEP_2) | instskip(SKIP_1) | instid1(VALU_DEP_2)
	v_cndmask_b32_e32 v3, 0x7f800001, v3, vcc_lo
	v_cmp_ne_u32_e32 vcc_lo, 0, v2
	v_cndmask_b32_e32 v3, 0x400000, v3, vcc_lo
	s_branch .LBB472_797
.LBB472_796:
	s_mov_b32 s0, -1
                                        ; implicit-def: $vgpr3
.LBB472_797:
	s_mov_b32 s23, 0
.LBB472_798:
	s_delay_alu instid0(SALU_CYCLE_1)
	s_and_b32 vcc_lo, exec_lo, s23
	s_cbranch_vccz .LBB472_802
; %bb.799:
	v_cmp_eq_u16_e32 vcc_lo, 29, v5
	s_cbranch_vccz .LBB472_801
; %bb.800:
	global_load_b64 v[2:3], v[0:1], off
	s_mov_b32 s0, 0
	s_mov_b32 s22, -1
	s_mov_b32 s23, 0
	s_waitcnt vmcnt(0)
	v_clz_i32_u32_e32 v6, v3
	s_delay_alu instid0(VALU_DEP_1) | instskip(NEXT) | instid1(VALU_DEP_1)
	v_min_u32_e32 v6, 32, v6
	v_lshlrev_b64 v[2:3], v6, v[2:3]
	s_delay_alu instid0(VALU_DEP_1) | instskip(NEXT) | instid1(VALU_DEP_1)
	v_min_u32_e32 v2, 1, v2
	v_or_b32_e32 v2, v3, v2
	v_sub_nc_u32_e32 v3, 32, v6
	s_delay_alu instid0(VALU_DEP_2) | instskip(NEXT) | instid1(VALU_DEP_1)
	v_cvt_f32_u32_e32 v2, v2
	v_ldexp_f32 v3, v2, v3
	s_branch .LBB472_803
.LBB472_801:
	s_mov_b32 s0, -1
                                        ; implicit-def: $vgpr3
.LBB472_802:
	s_mov_b32 s23, 0
.LBB472_803:
	s_delay_alu instid0(SALU_CYCLE_1)
	s_and_b32 vcc_lo, exec_lo, s23
	s_cbranch_vccz .LBB472_821
; %bb.804:
	v_cmp_gt_i16_e32 vcc_lo, 27, v5
	s_cbranch_vccnz .LBB472_807
; %bb.805:
	v_cmp_lt_i16_e32 vcc_lo, 27, v5
	s_cbranch_vccz .LBB472_808
; %bb.806:
	global_load_b32 v2, v[0:1], off
	s_mov_b32 s22, 0
	s_waitcnt vmcnt(0)
	v_cvt_f32_u32_e32 v3, v2
	s_branch .LBB472_809
.LBB472_807:
	s_mov_b32 s22, -1
                                        ; implicit-def: $vgpr3
	s_branch .LBB472_812
.LBB472_808:
	s_mov_b32 s22, -1
                                        ; implicit-def: $vgpr3
.LBB472_809:
	s_delay_alu instid0(SALU_CYCLE_1)
	s_and_not1_b32 vcc_lo, exec_lo, s22
	s_cbranch_vccnz .LBB472_811
; %bb.810:
	global_load_u16 v2, v[0:1], off
	s_waitcnt vmcnt(0)
	v_cvt_f32_u32_e32 v3, v2
.LBB472_811:
	s_mov_b32 s22, 0
.LBB472_812:
	s_delay_alu instid0(SALU_CYCLE_1)
	s_and_not1_b32 vcc_lo, exec_lo, s22
	s_cbranch_vccnz .LBB472_820
; %bb.813:
	global_load_u8 v2, v[0:1], off
	s_mov_b32 s22, 0
	s_mov_b32 s24, exec_lo
                                        ; implicit-def: $sgpr23
	s_waitcnt vmcnt(0)
	v_cmpx_lt_i16_e32 0x7f, v2
	s_xor_b32 s24, exec_lo, s24
	s_cbranch_execz .LBB472_834
; %bb.814:
	s_mov_b32 s22, -1
	s_mov_b32 s25, exec_lo
                                        ; implicit-def: $sgpr23
	v_cmpx_eq_u16_e32 0x80, v2
; %bb.815:
	s_mov_b32 s23, 0x7f800001
	s_xor_b32 s22, exec_lo, -1
; %bb.816:
	s_or_b32 exec_lo, exec_lo, s25
	s_delay_alu instid0(SALU_CYCLE_1)
	s_and_b32 s22, s22, exec_lo
	s_or_saveexec_b32 s24, s24
	v_mov_b32_e32 v3, s23
	s_xor_b32 exec_lo, exec_lo, s24
	s_cbranch_execnz .LBB472_835
.LBB472_817:
	s_or_b32 exec_lo, exec_lo, s24
	s_and_saveexec_b32 s23, s22
	s_cbranch_execz .LBB472_819
.LBB472_818:
	v_and_b32_e32 v3, 0xffff, v2
	v_lshlrev_b32_e32 v2, 24, v2
	s_delay_alu instid0(VALU_DEP_2) | instskip(NEXT) | instid1(VALU_DEP_2)
	v_and_b32_e32 v6, 7, v3
	v_and_b32_e32 v2, 0x80000000, v2
	s_delay_alu instid0(VALU_DEP_2) | instskip(NEXT) | instid1(VALU_DEP_1)
	v_clz_i32_u32_e32 v7, v6
	v_min_u32_e32 v7, 32, v7
	s_delay_alu instid0(VALU_DEP_1) | instskip(SKIP_1) | instid1(VALU_DEP_2)
	v_subrev_nc_u32_e32 v8, 28, v7
	v_sub_nc_u32_e32 v7, 29, v7
	v_lshlrev_b32_e32 v8, v8, v3
	v_bfe_u32 v3, v3, 3, 4
	s_delay_alu instid0(VALU_DEP_1) | instskip(NEXT) | instid1(VALU_DEP_3)
	v_cmp_eq_u32_e32 vcc_lo, 0, v3
	v_dual_cndmask_b32 v3, v3, v7 :: v_dual_and_b32 v8, 7, v8
	s_delay_alu instid0(VALU_DEP_1) | instskip(NEXT) | instid1(VALU_DEP_2)
	v_cndmask_b32_e32 v6, v6, v8, vcc_lo
	v_lshl_add_u32 v3, v3, 23, 0x3b800000
	s_delay_alu instid0(VALU_DEP_2) | instskip(NEXT) | instid1(VALU_DEP_1)
	v_lshlrev_b32_e32 v6, 20, v6
	v_or3_b32 v3, v2, v3, v6
.LBB472_819:
	s_or_b32 exec_lo, exec_lo, s23
.LBB472_820:
	s_mov_b32 s22, -1
.LBB472_821:
	s_mov_b32 s23, 0
.LBB472_822:
	s_delay_alu instid0(SALU_CYCLE_1)
	s_and_b32 vcc_lo, exec_lo, s23
	s_cbranch_vccz .LBB472_855
; %bb.823:
	v_cmp_lt_i16_e32 vcc_lo, 22, v5
	s_cbranch_vccz .LBB472_833
; %bb.824:
	v_cmp_gt_i16_e32 vcc_lo, 24, v5
	s_cbranch_vccnz .LBB472_836
; %bb.825:
	v_cmp_lt_i16_e32 vcc_lo, 24, v5
	s_cbranch_vccz .LBB472_837
; %bb.826:
	global_load_u8 v2, v[0:1], off
	s_mov_b32 s23, exec_lo
                                        ; implicit-def: $sgpr22
	s_waitcnt vmcnt(0)
	v_cmpx_lt_i16_e32 0x7f, v2
	s_xor_b32 s23, exec_lo, s23
	s_cbranch_execz .LBB472_849
; %bb.827:
	s_mov_b32 s21, -1
	s_mov_b32 s24, exec_lo
                                        ; implicit-def: $sgpr22
	v_cmpx_eq_u16_e32 0x80, v2
; %bb.828:
	s_mov_b32 s22, 0x7f800001
	s_xor_b32 s21, exec_lo, -1
; %bb.829:
	s_or_b32 exec_lo, exec_lo, s24
	s_delay_alu instid0(SALU_CYCLE_1)
	s_and_b32 s21, s21, exec_lo
	s_or_saveexec_b32 s23, s23
	v_mov_b32_e32 v3, s22
	s_xor_b32 exec_lo, exec_lo, s23
	s_cbranch_execnz .LBB472_850
.LBB472_830:
	s_or_b32 exec_lo, exec_lo, s23
	s_and_saveexec_b32 s22, s21
	s_cbranch_execz .LBB472_832
.LBB472_831:
	v_and_b32_e32 v3, 0xffff, v2
	v_lshlrev_b32_e32 v2, 24, v2
	s_delay_alu instid0(VALU_DEP_2) | instskip(NEXT) | instid1(VALU_DEP_2)
	v_and_b32_e32 v6, 3, v3
	v_and_b32_e32 v2, 0x80000000, v2
	s_delay_alu instid0(VALU_DEP_2) | instskip(NEXT) | instid1(VALU_DEP_1)
	v_clz_i32_u32_e32 v7, v6
	v_min_u32_e32 v7, 32, v7
	s_delay_alu instid0(VALU_DEP_1) | instskip(SKIP_1) | instid1(VALU_DEP_2)
	v_subrev_nc_u32_e32 v8, 29, v7
	v_sub_nc_u32_e32 v7, 30, v7
	v_lshlrev_b32_e32 v8, v8, v3
	v_bfe_u32 v3, v3, 2, 5
	s_delay_alu instid0(VALU_DEP_1) | instskip(NEXT) | instid1(VALU_DEP_3)
	v_cmp_eq_u32_e32 vcc_lo, 0, v3
	v_dual_cndmask_b32 v3, v3, v7 :: v_dual_and_b32 v8, 3, v8
	s_delay_alu instid0(VALU_DEP_1) | instskip(NEXT) | instid1(VALU_DEP_2)
	v_cndmask_b32_e32 v6, v6, v8, vcc_lo
	v_lshl_add_u32 v3, v3, 23, 0x37800000
	s_delay_alu instid0(VALU_DEP_2) | instskip(NEXT) | instid1(VALU_DEP_1)
	v_lshlrev_b32_e32 v6, 21, v6
	v_or3_b32 v3, v2, v3, v6
.LBB472_832:
	s_or_b32 exec_lo, exec_lo, s22
	s_mov_b32 s21, 0
	s_branch .LBB472_838
.LBB472_833:
	s_mov_b32 s21, -1
                                        ; implicit-def: $vgpr3
	s_branch .LBB472_844
.LBB472_834:
	s_or_saveexec_b32 s24, s24
	v_mov_b32_e32 v3, s23
	s_xor_b32 exec_lo, exec_lo, s24
	s_cbranch_execz .LBB472_817
.LBB472_835:
	v_cmp_ne_u16_e32 vcc_lo, 0, v2
	v_mov_b32_e32 v3, 0
	s_and_not1_b32 s22, s22, exec_lo
	s_and_b32 s23, vcc_lo, exec_lo
	s_delay_alu instid0(SALU_CYCLE_1)
	s_or_b32 s22, s22, s23
	s_or_b32 exec_lo, exec_lo, s24
	s_and_saveexec_b32 s23, s22
	s_cbranch_execnz .LBB472_818
	s_branch .LBB472_819
.LBB472_836:
	s_mov_b32 s21, -1
                                        ; implicit-def: $vgpr3
	s_branch .LBB472_841
.LBB472_837:
	s_mov_b32 s21, -1
                                        ; implicit-def: $vgpr3
.LBB472_838:
	s_delay_alu instid0(SALU_CYCLE_1)
	s_and_b32 vcc_lo, exec_lo, s21
	s_cbranch_vccz .LBB472_840
; %bb.839:
	global_load_u8 v2, v[0:1], off
	s_waitcnt vmcnt(0)
	v_lshlrev_b32_e32 v2, 24, v2
	s_delay_alu instid0(VALU_DEP_1) | instskip(NEXT) | instid1(VALU_DEP_1)
	v_and_b32_e32 v3, 0x7f000000, v2
	v_clz_i32_u32_e32 v6, v3
	v_cmp_ne_u32_e32 vcc_lo, 0, v3
	v_add_nc_u32_e32 v8, 0x1000000, v3
	s_delay_alu instid0(VALU_DEP_3) | instskip(NEXT) | instid1(VALU_DEP_1)
	v_min_u32_e32 v6, 32, v6
	v_sub_nc_u32_e64 v6, v6, 4 clamp
	s_delay_alu instid0(VALU_DEP_1) | instskip(SKIP_1) | instid1(VALU_DEP_2)
	v_lshlrev_b32_e32 v7, v6, v3
	v_lshlrev_b32_e32 v6, 23, v6
	v_lshrrev_b32_e32 v7, 4, v7
	s_delay_alu instid0(VALU_DEP_1) | instskip(SKIP_1) | instid1(VALU_DEP_2)
	v_sub_nc_u32_e32 v6, v7, v6
	v_ashrrev_i32_e32 v7, 8, v8
	v_add_nc_u32_e32 v6, 0x3c000000, v6
	s_delay_alu instid0(VALU_DEP_1) | instskip(NEXT) | instid1(VALU_DEP_1)
	v_and_or_b32 v6, 0x7f800000, v7, v6
	v_cndmask_b32_e32 v3, 0, v6, vcc_lo
	s_delay_alu instid0(VALU_DEP_1)
	v_and_or_b32 v3, 0x80000000, v2, v3
.LBB472_840:
	s_mov_b32 s21, 0
.LBB472_841:
	s_delay_alu instid0(SALU_CYCLE_1)
	s_and_not1_b32 vcc_lo, exec_lo, s21
	s_cbranch_vccnz .LBB472_843
; %bb.842:
	global_load_u8 v2, v[0:1], off
	s_waitcnt vmcnt(0)
	v_lshlrev_b32_e32 v3, 25, v2
	v_lshlrev_b16 v2, 8, v2
	s_delay_alu instid0(VALU_DEP_2) | instskip(NEXT) | instid1(VALU_DEP_2)
	v_lshrrev_b32_e32 v6, 4, v3
	v_and_or_b32 v7, 0x7f00, v2, 0.5
	v_cmp_gt_u32_e32 vcc_lo, 0x8000000, v3
	v_bfe_i32 v2, v2, 0, 16
	s_delay_alu instid0(VALU_DEP_4) | instskip(NEXT) | instid1(VALU_DEP_1)
	v_or_b32_e32 v6, 0x70000000, v6
	v_dual_add_f32 v7, -0.5, v7 :: v_dual_mul_f32 v6, 0x7800000, v6
	s_delay_alu instid0(VALU_DEP_1) | instskip(NEXT) | instid1(VALU_DEP_1)
	v_cndmask_b32_e32 v3, v6, v7, vcc_lo
	v_and_or_b32 v3, 0x80000000, v2, v3
.LBB472_843:
	s_mov_b32 s21, 0
	s_mov_b32 s22, -1
.LBB472_844:
	s_and_not1_b32 vcc_lo, exec_lo, s21
	s_mov_b32 s21, 0
	s_cbranch_vccnz .LBB472_855
; %bb.845:
	v_cmp_lt_i16_e32 vcc_lo, 14, v5
	s_cbranch_vccz .LBB472_848
; %bb.846:
	v_cmp_eq_u16_e32 vcc_lo, 15, v5
	s_cbranch_vccz .LBB472_851
; %bb.847:
	global_load_u16 v2, v[0:1], off
	s_mov_b32 s0, 0
	s_mov_b32 s22, -1
	s_waitcnt vmcnt(0)
	v_lshlrev_b32_e32 v3, 16, v2
	s_branch .LBB472_853
.LBB472_848:
	s_mov_b32 s21, -1
	s_branch .LBB472_852
.LBB472_849:
	s_or_saveexec_b32 s23, s23
	v_mov_b32_e32 v3, s22
	s_xor_b32 exec_lo, exec_lo, s23
	s_cbranch_execz .LBB472_830
.LBB472_850:
	v_cmp_ne_u16_e32 vcc_lo, 0, v2
	v_mov_b32_e32 v3, 0
	s_and_not1_b32 s21, s21, exec_lo
	s_and_b32 s22, vcc_lo, exec_lo
	s_delay_alu instid0(SALU_CYCLE_1)
	s_or_b32 s21, s21, s22
	s_or_b32 exec_lo, exec_lo, s23
	s_and_saveexec_b32 s22, s21
	s_cbranch_execnz .LBB472_831
	s_branch .LBB472_832
.LBB472_851:
	s_mov_b32 s0, -1
.LBB472_852:
                                        ; implicit-def: $vgpr3
.LBB472_853:
	s_and_b32 vcc_lo, exec_lo, s21
	s_mov_b32 s21, 0
	s_cbranch_vccz .LBB472_855
; %bb.854:
	v_cmp_ne_u16_e32 vcc_lo, 11, v5
	s_and_not1_b32 s0, s0, exec_lo
	s_mov_b32 s21, -1
                                        ; implicit-def: $vgpr3
	s_and_b32 s23, vcc_lo, exec_lo
	s_delay_alu instid0(SALU_CYCLE_1)
	s_or_b32 s0, s0, s23
.LBB472_855:
	s_mov_b32 s24, 0
.LBB472_856:
	s_and_b32 s23, s22, exec_lo
	s_and_b32 s22, s24, exec_lo
	s_and_not1_b32 s24, s19, exec_lo
	s_and_b32 s25, s0, exec_lo
	s_and_b32 s0, s21, exec_lo
	s_or_b32 s21, s24, s25
.LBB472_857:
	s_or_b32 exec_lo, exec_lo, s12
	s_delay_alu instid0(SALU_CYCLE_1)
	s_and_not1_b32 s12, s19, exec_lo
	s_and_b32 s19, s21, exec_lo
	s_and_b32 s23, s23, exec_lo
	;; [unrolled: 1-line block ×4, first 2 shown]
	s_or_b32 s19, s12, s19
.LBB472_858:
	s_or_b32 exec_lo, exec_lo, s18
	s_delay_alu instid0(SALU_CYCLE_1)
	s_and_not1_b32 s0, s16, exec_lo
	s_and_b32 s12, s20, exec_lo
	s_and_b32 s20, s22, exec_lo
	s_or_b32 s16, s0, s12
	s_and_not1_b32 s12, s15, exec_lo
	s_and_b32 s15, s19, exec_lo
	s_and_b32 s0, s23, exec_lo
	;; [unrolled: 1-line block ×3, first 2 shown]
	s_or_b32 s15, s12, s15
.LBB472_859:
	s_or_b32 exec_lo, exec_lo, s17
	s_delay_alu instid0(SALU_CYCLE_1)
	s_and_not1_b32 s11, s11, exec_lo
	s_and_b32 s12, s16, exec_lo
	s_and_b32 s0, s0, exec_lo
	s_or_b32 s11, s11, s12
	s_and_not1_b32 s12, s13, exec_lo
	s_and_b32 s13, s15, exec_lo
	s_and_b32 s16, s20, exec_lo
	;; [unrolled: 1-line block ×3, first 2 shown]
	s_or_b32 s13, s12, s13
.LBB472_860:
	s_or_b32 exec_lo, exec_lo, s14
	s_mov_b32 s12, 0
	s_and_saveexec_b32 s14, s13
	s_cbranch_execnz .LBB472_872
; %bb.861:
	s_or_b32 exec_lo, exec_lo, s14
	s_and_saveexec_b32 s13, s15
	s_delay_alu instid0(SALU_CYCLE_1)
	s_xor_b32 s13, exec_lo, s13
	s_cbranch_execz .LBB472_863
.LBB472_862:
	global_load_u8 v2, v[0:1], off
	s_or_b32 s0, s0, exec_lo
	s_waitcnt vmcnt(0)
	v_cmp_ne_u16_e32 vcc_lo, 0, v2
	v_cndmask_b32_e64 v3, 0, 1.0, vcc_lo
.LBB472_863:
	s_or_b32 exec_lo, exec_lo, s13
	s_and_saveexec_b32 s13, s16
	s_cbranch_execz .LBB472_911
; %bb.864:
	v_cmp_gt_i16_e32 vcc_lo, 5, v5
	s_cbranch_vccnz .LBB472_869
; %bb.865:
	v_cmp_gt_i16_e32 vcc_lo, 8, v5
	s_cbranch_vccnz .LBB472_870
; %bb.866:
	v_cmp_gt_i16_e32 vcc_lo, 9, v5
	s_cbranch_vccnz .LBB472_871
; %bb.867:
	v_cmp_lt_i16_e32 vcc_lo, 9, v5
	s_cbranch_vccz .LBB472_874
; %bb.868:
	global_load_b64 v[2:3], v[0:1], off
	s_mov_b32 s14, 0
	s_waitcnt vmcnt(0)
	v_cvt_f32_f64_e32 v3, v[2:3]
	s_branch .LBB472_875
.LBB472_869:
                                        ; implicit-def: $vgpr3
	s_branch .LBB472_892
.LBB472_870:
                                        ; implicit-def: $vgpr3
	s_branch .LBB472_881
.LBB472_871:
	s_mov_b32 s14, -1
                                        ; implicit-def: $vgpr3
	s_branch .LBB472_878
.LBB472_872:
	s_cbranch_execnz .LBB472_920
; %bb.873:
	s_mov_b32 s12, exec_lo
	s_and_not1_b32 s15, s15, exec_lo
                                        ; implicit-def: $vgpr3
	s_or_b32 exec_lo, exec_lo, s14
	s_and_saveexec_b32 s13, s15
	s_delay_alu instid0(SALU_CYCLE_1)
	s_xor_b32 s13, exec_lo, s13
	s_cbranch_execnz .LBB472_862
	s_branch .LBB472_863
.LBB472_874:
	s_mov_b32 s14, -1
                                        ; implicit-def: $vgpr3
.LBB472_875:
	s_delay_alu instid0(SALU_CYCLE_1)
	s_and_not1_b32 vcc_lo, exec_lo, s14
	s_cbranch_vccnz .LBB472_877
; %bb.876:
	global_load_b32 v3, v[0:1], off
.LBB472_877:
	s_mov_b32 s14, 0
.LBB472_878:
	s_delay_alu instid0(SALU_CYCLE_1)
	s_and_not1_b32 vcc_lo, exec_lo, s14
	s_cbranch_vccnz .LBB472_880
; %bb.879:
	global_load_b32 v2, v[0:1], off
	s_waitcnt vmcnt(0)
	v_cvt_f32_f16_e32 v3, v2
.LBB472_880:
	s_cbranch_execnz .LBB472_891
.LBB472_881:
	v_cmp_gt_i16_e32 vcc_lo, 6, v5
	s_cbranch_vccnz .LBB472_884
; %bb.882:
	v_cmp_lt_i16_e32 vcc_lo, 6, v5
	s_cbranch_vccz .LBB472_885
; %bb.883:
	global_load_b64 v[2:3], v[0:1], off
	s_mov_b32 s14, 0
	s_waitcnt vmcnt(0)
	v_cvt_f32_f64_e32 v3, v[2:3]
	s_branch .LBB472_886
.LBB472_884:
	s_mov_b32 s14, -1
                                        ; implicit-def: $vgpr3
	s_branch .LBB472_889
.LBB472_885:
	s_mov_b32 s14, -1
                                        ; implicit-def: $vgpr3
.LBB472_886:
	s_delay_alu instid0(SALU_CYCLE_1)
	s_and_not1_b32 vcc_lo, exec_lo, s14
	s_cbranch_vccnz .LBB472_888
; %bb.887:
	global_load_b32 v3, v[0:1], off
.LBB472_888:
	s_mov_b32 s14, 0
.LBB472_889:
	s_delay_alu instid0(SALU_CYCLE_1)
	s_and_not1_b32 vcc_lo, exec_lo, s14
	s_cbranch_vccnz .LBB472_891
; %bb.890:
	global_load_u16 v2, v[0:1], off
	s_waitcnt vmcnt(0)
	v_cvt_f32_f16_e32 v3, v2
.LBB472_891:
	s_cbranch_execnz .LBB472_910
.LBB472_892:
	v_cmp_gt_i16_e32 vcc_lo, 2, v5
	s_cbranch_vccnz .LBB472_896
; %bb.893:
	v_cmp_gt_i16_e32 vcc_lo, 3, v5
	s_cbranch_vccnz .LBB472_897
; %bb.894:
	v_cmp_lt_i16_e32 vcc_lo, 3, v5
	s_cbranch_vccz .LBB472_898
; %bb.895:
	global_load_b64 v[2:3], v[0:1], off
	s_mov_b32 s14, 0
	s_waitcnt vmcnt(0)
	v_xor_b32_e32 v6, v2, v3
	v_cls_i32_e32 v7, v3
	s_delay_alu instid0(VALU_DEP_2) | instskip(NEXT) | instid1(VALU_DEP_2)
	v_ashrrev_i32_e32 v6, 31, v6
	v_add_nc_u32_e32 v7, -1, v7
	s_delay_alu instid0(VALU_DEP_2) | instskip(NEXT) | instid1(VALU_DEP_1)
	v_add_nc_u32_e32 v6, 32, v6
	v_min_u32_e32 v6, v7, v6
	s_delay_alu instid0(VALU_DEP_1) | instskip(NEXT) | instid1(VALU_DEP_1)
	v_lshlrev_b64 v[2:3], v6, v[2:3]
	v_min_u32_e32 v2, 1, v2
	s_delay_alu instid0(VALU_DEP_1) | instskip(SKIP_1) | instid1(VALU_DEP_2)
	v_or_b32_e32 v2, v3, v2
	v_sub_nc_u32_e32 v3, 32, v6
	v_cvt_f32_i32_e32 v2, v2
	s_delay_alu instid0(VALU_DEP_1)
	v_ldexp_f32 v3, v2, v3
	s_branch .LBB472_899
.LBB472_896:
                                        ; implicit-def: $vgpr3
	s_branch .LBB472_905
.LBB472_897:
	s_mov_b32 s14, -1
                                        ; implicit-def: $vgpr3
	s_branch .LBB472_902
.LBB472_898:
	s_mov_b32 s14, -1
                                        ; implicit-def: $vgpr3
.LBB472_899:
	s_delay_alu instid0(SALU_CYCLE_1)
	s_and_not1_b32 vcc_lo, exec_lo, s14
	s_cbranch_vccnz .LBB472_901
; %bb.900:
	global_load_b32 v2, v[0:1], off
	s_waitcnt vmcnt(0)
	v_cvt_f32_i32_e32 v3, v2
.LBB472_901:
	s_mov_b32 s14, 0
.LBB472_902:
	s_delay_alu instid0(SALU_CYCLE_1)
	s_and_not1_b32 vcc_lo, exec_lo, s14
	s_cbranch_vccnz .LBB472_904
; %bb.903:
	global_load_i16 v2, v[0:1], off
	s_waitcnt vmcnt(0)
	v_cvt_f32_i32_e32 v3, v2
.LBB472_904:
	s_cbranch_execnz .LBB472_910
.LBB472_905:
	v_cmp_lt_i16_e32 vcc_lo, 0, v5
	s_mov_b32 s14, 0
	s_cbranch_vccz .LBB472_907
; %bb.906:
	global_load_i8 v2, v[0:1], off
	s_waitcnt vmcnt(0)
	v_cvt_f32_i32_e32 v3, v2
	s_branch .LBB472_908
.LBB472_907:
	s_mov_b32 s14, -1
                                        ; implicit-def: $vgpr3
.LBB472_908:
	s_delay_alu instid0(SALU_CYCLE_1)
	s_and_not1_b32 vcc_lo, exec_lo, s14
	s_cbranch_vccnz .LBB472_910
; %bb.909:
	global_load_u8 v0, v[0:1], off
	s_waitcnt vmcnt(0)
	v_cvt_f32_ubyte0_e32 v3, v0
.LBB472_910:
	s_or_b32 s0, s0, exec_lo
.LBB472_911:
	s_or_b32 exec_lo, exec_lo, s13
	s_mov_b32 s15, 0
	s_mov_b32 s14, 0
                                        ; implicit-def: $vgpr5
                                        ; implicit-def: $vgpr0_vgpr1
                                        ; implicit-def: $vgpr2
	s_and_saveexec_b32 s13, s0
	s_cbranch_execz .LBB472_991
; %bb.912:
	v_mul_lo_u32 v4, v4, s8
	v_max_f32_e64 v0, s10, s10
	s_waitcnt vmcnt(0)
	s_delay_alu instid0(VALU_DEP_3) | instskip(SKIP_2) | instid1(VALU_DEP_3)
	v_max_f32_e32 v1, v3, v3
	v_and_b32_e64 v5, 0xff, s2
	v_cmp_u_f32_e64 s0, v3, v3
	v_min_f32_e32 v0, v1, v0
	v_ashrrev_i32_e32 v1, 31, v4
	s_delay_alu instid0(VALU_DEP_4) | instskip(NEXT) | instid1(VALU_DEP_3)
	v_cmp_gt_i16_e32 vcc_lo, 11, v5
	v_cndmask_b32_e64 v2, v0, v3, s0
	v_add_co_u32 v0, s0, s4, v4
	s_delay_alu instid0(VALU_DEP_1)
	v_add_co_ci_u32_e64 v1, s0, s5, v1, s0
	s_cbranch_vccnz .LBB472_919
; %bb.913:
	v_cmp_lt_i16_e32 vcc_lo, 25, v5
	s_mov_b32 s14, -1
	s_mov_b32 s0, s11
	s_cbranch_vccz .LBB472_949
; %bb.914:
	v_cmp_lt_i16_e32 vcc_lo, 28, v5
	s_mov_b32 s0, s11
	s_cbranch_vccz .LBB472_933
; %bb.915:
	v_cmp_lt_i16_e32 vcc_lo, 43, v5
	;; [unrolled: 4-line block ×3, first 2 shown]
	s_mov_b32 s0, s11
	s_cbranch_vccz .LBB472_923
; %bb.917:
	v_cmp_eq_u16_e32 vcc_lo, 46, v5
	s_mov_b32 s0, -1
	s_cbranch_vccz .LBB472_922
; %bb.918:
	v_bfe_u32 v3, v2, 16, 1
	v_cmp_o_f32_e32 vcc_lo, v2, v2
	s_mov_b32 s0, 0
	s_mov_b32 s14, 0
	s_delay_alu instid0(VALU_DEP_2) | instskip(NEXT) | instid1(VALU_DEP_1)
	v_add3_u32 v3, v2, v3, 0x7fff
	v_lshrrev_b32_e32 v3, 16, v3
	s_delay_alu instid0(VALU_DEP_1)
	v_cndmask_b32_e32 v3, 0x7fc0, v3, vcc_lo
	global_store_b32 v[0:1], v3, off
	s_branch .LBB472_923
.LBB472_919:
	s_mov_b32 s14, -1
	s_mov_b32 s0, s11
	s_branch .LBB472_990
.LBB472_920:
	s_trap 2
	s_sendmsg_rtn_b32 s0, sendmsg(MSG_RTN_GET_DOORBELL)
	s_mov_b32 ttmp2, m0
	s_waitcnt lgkmcnt(0)
	s_and_b32 s0, s0, 0x3ff
	s_delay_alu instid0(SALU_CYCLE_1) | instskip(NEXT) | instid1(SALU_CYCLE_1)
	s_bitset1_b32 s0, 10
	s_mov_b32 m0, s0
	s_sendmsg sendmsg(MSG_INTERRUPT)
	s_mov_b32 m0, ttmp2
.LBB472_921:                            ; =>This Inner Loop Header: Depth=1
	s_sethalt 5
	s_branch .LBB472_921
.LBB472_922:
	s_mov_b32 s14, 0
.LBB472_923:
	s_delay_alu instid0(SALU_CYCLE_1)
	s_and_b32 vcc_lo, exec_lo, s14
	s_cbranch_vccz .LBB472_928
; %bb.924:
	v_cmp_eq_u16_e32 vcc_lo, 44, v5
	s_mov_b32 s0, -1
	s_cbranch_vccz .LBB472_928
; %bb.925:
	v_bfe_u32 v4, v2, 23, 8
	v_mov_b32_e32 v3, 0xff
	s_mov_b32 s14, exec_lo
	s_delay_alu instid0(VALU_DEP_2)
	v_cmpx_ne_u32_e32 0xff, v4
; %bb.926:
	v_and_b32_e32 v3, 0x400000, v2
	v_and_or_b32 v4, 0x3fffff, v2, v4
	s_delay_alu instid0(VALU_DEP_2) | instskip(NEXT) | instid1(VALU_DEP_2)
	v_cmp_ne_u32_e32 vcc_lo, 0, v3
	v_cmp_ne_u32_e64 s0, 0, v4
	v_lshrrev_b32_e32 v3, 23, v2
	s_delay_alu instid0(VALU_DEP_2) | instskip(NEXT) | instid1(SALU_CYCLE_1)
	s_and_b32 s0, vcc_lo, s0
	v_cndmask_b32_e64 v4, 0, 1, s0
	s_delay_alu instid0(VALU_DEP_1)
	v_add_nc_u32_e32 v3, v3, v4
; %bb.927:
	s_or_b32 exec_lo, exec_lo, s14
	s_mov_b32 s0, 0
	global_store_b8 v[0:1], v3, off
.LBB472_928:
	s_mov_b32 s14, 0
.LBB472_929:
	s_delay_alu instid0(SALU_CYCLE_1)
	s_and_b32 vcc_lo, exec_lo, s14
	s_cbranch_vccz .LBB472_932
; %bb.930:
	v_cmp_eq_u16_e32 vcc_lo, 29, v5
	s_mov_b32 s0, -1
	s_cbranch_vccz .LBB472_932
; %bb.931:
	v_trunc_f32_e32 v3, v2
	s_mov_b32 s0, 0
	s_mov_b32 s14, 0
	s_delay_alu instid0(VALU_DEP_1) | instskip(NEXT) | instid1(VALU_DEP_1)
	v_mul_f32_e32 v4, 0x2f800000, v3
	v_floor_f32_e32 v4, v4
	s_delay_alu instid0(VALU_DEP_1) | instskip(SKIP_1) | instid1(VALU_DEP_2)
	v_fmamk_f32 v3, v4, 0xcf800000, v3
	v_cvt_u32_f32_e32 v4, v4
	v_cvt_u32_f32_e32 v3, v3
	global_store_b64 v[0:1], v[3:4], off
	s_branch .LBB472_933
.LBB472_932:
	s_mov_b32 s14, 0
.LBB472_933:
	s_delay_alu instid0(SALU_CYCLE_1)
	s_and_b32 vcc_lo, exec_lo, s14
	s_cbranch_vccz .LBB472_948
; %bb.934:
	v_cmp_gt_i16_e32 vcc_lo, 27, v5
	s_mov_b32 s14, -1
	s_cbranch_vccnz .LBB472_940
; %bb.935:
	v_cmp_lt_i16_e32 vcc_lo, 27, v5
	v_cvt_u32_f32_e32 v3, v2
	s_cbranch_vccz .LBB472_937
; %bb.936:
	s_mov_b32 s14, 0
	global_store_b32 v[0:1], v3, off
.LBB472_937:
	s_and_not1_b32 vcc_lo, exec_lo, s14
	s_cbranch_vccnz .LBB472_939
; %bb.938:
	global_store_b16 v[0:1], v3, off
.LBB472_939:
	s_mov_b32 s14, 0
.LBB472_940:
	s_delay_alu instid0(SALU_CYCLE_1)
	s_and_not1_b32 vcc_lo, exec_lo, s14
	s_cbranch_vccnz .LBB472_948
; %bb.941:
	v_and_b32_e32 v3, 0x7fffffff, v2
	v_mov_b32_e32 v4, 0x80
	s_mov_b32 s14, exec_lo
	s_delay_alu instid0(VALU_DEP_2)
	v_cmpx_gt_u32_e32 0x43800000, v3
	s_cbranch_execz .LBB472_947
; %bb.942:
	v_cmp_lt_u32_e32 vcc_lo, 0x3bffffff, v3
                                        ; implicit-def: $vgpr3
	s_and_saveexec_b32 s16, vcc_lo
	s_delay_alu instid0(SALU_CYCLE_1)
	s_xor_b32 s16, exec_lo, s16
	s_cbranch_execz .LBB472_1182
; %bb.943:
	v_bfe_u32 v3, v2, 20, 1
	s_mov_b32 s15, exec_lo
	s_delay_alu instid0(VALU_DEP_1) | instskip(NEXT) | instid1(VALU_DEP_1)
	v_add3_u32 v3, v2, v3, 0x487ffff
	v_lshrrev_b32_e32 v3, 20, v3
	s_or_saveexec_b32 s16, s16
                                        ; implicit-def: $sgpr17
	s_delay_alu instid0(SALU_CYCLE_1)
	s_xor_b32 exec_lo, exec_lo, s16
	s_cbranch_execnz .LBB472_1183
.LBB472_944:
	s_or_b32 exec_lo, exec_lo, s16
	v_mov_b32_e32 v4, s17
	s_and_saveexec_b32 s16, s15
.LBB472_945:
	v_lshrrev_b32_e32 v4, 24, v2
	s_delay_alu instid0(VALU_DEP_1)
	v_and_or_b32 v4, 0x80, v4, v3
.LBB472_946:
	s_or_b32 exec_lo, exec_lo, s16
.LBB472_947:
	s_delay_alu instid0(SALU_CYCLE_1)
	s_or_b32 exec_lo, exec_lo, s14
	global_store_b8 v[0:1], v4, off
.LBB472_948:
	s_mov_b32 s14, 0
.LBB472_949:
	s_delay_alu instid0(SALU_CYCLE_1)
	s_and_b32 vcc_lo, exec_lo, s14
	s_mov_b32 s14, 0
	s_cbranch_vccz .LBB472_989
; %bb.950:
	v_cmp_lt_i16_e32 vcc_lo, 22, v5
	s_mov_b32 s15, -1
	s_cbranch_vccz .LBB472_982
; %bb.951:
	v_cmp_gt_i16_e32 vcc_lo, 24, v5
	s_cbranch_vccnz .LBB472_971
; %bb.952:
	v_cmp_lt_i16_e32 vcc_lo, 24, v5
	s_cbranch_vccz .LBB472_960
; %bb.953:
	v_and_b32_e32 v3, 0x7fffffff, v2
	v_mov_b32_e32 v4, 0x80
	s_mov_b32 s15, exec_lo
	s_delay_alu instid0(VALU_DEP_2)
	v_cmpx_gt_u32_e32 0x47800000, v3
	s_cbranch_execz .LBB472_959
; %bb.954:
	v_cmp_lt_u32_e32 vcc_lo, 0x37ffffff, v3
	s_mov_b32 s16, 0
                                        ; implicit-def: $vgpr3
	s_and_saveexec_b32 s17, vcc_lo
	s_delay_alu instid0(SALU_CYCLE_1)
	s_xor_b32 s17, exec_lo, s17
	s_cbranch_execz .LBB472_1226
; %bb.955:
	v_bfe_u32 v3, v2, 21, 1
	s_mov_b32 s16, exec_lo
	s_delay_alu instid0(VALU_DEP_1) | instskip(NEXT) | instid1(VALU_DEP_1)
	v_add3_u32 v3, v2, v3, 0x88fffff
	v_lshrrev_b32_e32 v3, 21, v3
	s_or_saveexec_b32 s17, s17
                                        ; implicit-def: $sgpr18
	s_delay_alu instid0(SALU_CYCLE_1)
	s_xor_b32 exec_lo, exec_lo, s17
	s_cbranch_execnz .LBB472_1227
.LBB472_956:
	s_or_b32 exec_lo, exec_lo, s17
	v_mov_b32_e32 v4, s18
	s_and_saveexec_b32 s17, s16
.LBB472_957:
	v_lshrrev_b32_e32 v4, 24, v2
	s_delay_alu instid0(VALU_DEP_1)
	v_and_or_b32 v4, 0x80, v4, v3
.LBB472_958:
	s_or_b32 exec_lo, exec_lo, s17
.LBB472_959:
	s_delay_alu instid0(SALU_CYCLE_1)
	s_or_b32 exec_lo, exec_lo, s15
	s_mov_b32 s15, 0
	global_store_b8 v[0:1], v4, off
.LBB472_960:
	s_and_b32 vcc_lo, exec_lo, s15
	s_cbranch_vccz .LBB472_970
; %bb.961:
	v_and_b32_e32 v4, 0x7fffffff, v2
	s_mov_b32 s15, exec_lo
                                        ; implicit-def: $vgpr3
	s_delay_alu instid0(VALU_DEP_1)
	v_cmpx_gt_u32_e32 0x43f00000, v4
	s_xor_b32 s15, exec_lo, s15
	s_cbranch_execz .LBB472_967
; %bb.962:
	s_mov_b32 s16, exec_lo
                                        ; implicit-def: $vgpr3
	v_cmpx_lt_u32_e32 0x3c7fffff, v4
	s_xor_b32 s16, exec_lo, s16
; %bb.963:
	v_bfe_u32 v3, v2, 20, 1
	s_delay_alu instid0(VALU_DEP_1) | instskip(NEXT) | instid1(VALU_DEP_1)
	v_add3_u32 v3, v2, v3, 0x407ffff
	v_and_b32_e32 v4, 0xff00000, v3
	v_lshrrev_b32_e32 v3, 20, v3
	s_delay_alu instid0(VALU_DEP_2) | instskip(NEXT) | instid1(VALU_DEP_2)
	v_cmp_ne_u32_e32 vcc_lo, 0x7f00000, v4
	v_cndmask_b32_e32 v3, 0x7e, v3, vcc_lo
; %bb.964:
	s_and_not1_saveexec_b32 s16, s16
; %bb.965:
	v_add_f32_e64 v3, 0x46800000, |v2|
; %bb.966:
	s_or_b32 exec_lo, exec_lo, s16
                                        ; implicit-def: $vgpr4
.LBB472_967:
	s_and_not1_saveexec_b32 s15, s15
; %bb.968:
	v_mov_b32_e32 v3, 0x7f
	v_cmp_lt_u32_e32 vcc_lo, 0x7f800000, v4
	s_delay_alu instid0(VALU_DEP_2)
	v_cndmask_b32_e32 v3, 0x7e, v3, vcc_lo
; %bb.969:
	s_or_b32 exec_lo, exec_lo, s15
	v_lshrrev_b32_e32 v4, 24, v2
	s_delay_alu instid0(VALU_DEP_1)
	v_and_or_b32 v3, 0x80, v4, v3
	global_store_b8 v[0:1], v3, off
.LBB472_970:
	s_mov_b32 s15, 0
.LBB472_971:
	s_delay_alu instid0(SALU_CYCLE_1)
	s_and_not1_b32 vcc_lo, exec_lo, s15
	s_cbranch_vccnz .LBB472_981
; %bb.972:
	v_and_b32_e32 v4, 0x7fffffff, v2
	s_mov_b32 s15, exec_lo
                                        ; implicit-def: $vgpr3
	s_delay_alu instid0(VALU_DEP_1)
	v_cmpx_gt_u32_e32 0x47800000, v4
	s_xor_b32 s15, exec_lo, s15
	s_cbranch_execz .LBB472_978
; %bb.973:
	s_mov_b32 s16, exec_lo
                                        ; implicit-def: $vgpr3
	v_cmpx_lt_u32_e32 0x387fffff, v4
	s_xor_b32 s16, exec_lo, s16
; %bb.974:
	v_bfe_u32 v3, v2, 21, 1
	s_delay_alu instid0(VALU_DEP_1) | instskip(NEXT) | instid1(VALU_DEP_1)
	v_add3_u32 v3, v2, v3, 0x80fffff
	v_lshrrev_b32_e32 v3, 21, v3
; %bb.975:
	s_and_not1_saveexec_b32 s16, s16
; %bb.976:
	v_add_f32_e64 v3, 0x43000000, |v2|
; %bb.977:
	s_or_b32 exec_lo, exec_lo, s16
                                        ; implicit-def: $vgpr4
.LBB472_978:
	s_and_not1_saveexec_b32 s15, s15
; %bb.979:
	v_mov_b32_e32 v3, 0x7f
	v_cmp_lt_u32_e32 vcc_lo, 0x7f800000, v4
	s_delay_alu instid0(VALU_DEP_2)
	v_cndmask_b32_e32 v3, 0x7c, v3, vcc_lo
; %bb.980:
	s_or_b32 exec_lo, exec_lo, s15
	v_lshrrev_b32_e32 v4, 24, v2
	s_delay_alu instid0(VALU_DEP_1)
	v_and_or_b32 v3, 0x80, v4, v3
	global_store_b8 v[0:1], v3, off
.LBB472_981:
	s_mov_b32 s15, 0
.LBB472_982:
	s_delay_alu instid0(SALU_CYCLE_1)
	s_and_not1_b32 vcc_lo, exec_lo, s15
	s_mov_b32 s15, 0
	s_cbranch_vccnz .LBB472_990
; %bb.983:
	v_cmp_lt_i16_e32 vcc_lo, 14, v5
	s_mov_b32 s15, -1
	s_cbranch_vccz .LBB472_987
; %bb.984:
	v_cmp_eq_u16_e32 vcc_lo, 15, v5
	s_mov_b32 s0, -1
	s_cbranch_vccz .LBB472_986
; %bb.985:
	v_bfe_u32 v3, v2, 16, 1
	v_cmp_o_f32_e32 vcc_lo, v2, v2
	s_mov_b32 s0, 0
	s_delay_alu instid0(VALU_DEP_2) | instskip(NEXT) | instid1(VALU_DEP_1)
	v_add3_u32 v3, v2, v3, 0x7fff
	v_lshrrev_b32_e32 v3, 16, v3
	s_delay_alu instid0(VALU_DEP_1)
	v_cndmask_b32_e32 v3, 0x7fc0, v3, vcc_lo
	global_store_b16 v[0:1], v3, off
.LBB472_986:
	s_mov_b32 s15, 0
.LBB472_987:
	s_delay_alu instid0(SALU_CYCLE_1)
	s_and_b32 vcc_lo, exec_lo, s15
	s_mov_b32 s15, 0
	s_cbranch_vccz .LBB472_990
; %bb.988:
	v_cmp_ne_u16_e32 vcc_lo, 11, v5
	s_and_not1_b32 s0, s0, exec_lo
	s_mov_b32 s15, -1
	s_and_b32 s16, vcc_lo, exec_lo
	s_delay_alu instid0(SALU_CYCLE_1)
	s_or_b32 s0, s0, s16
	s_branch .LBB472_990
.LBB472_989:
	s_mov_b32 s15, 0
.LBB472_990:
	s_and_not1_b32 s11, s11, exec_lo
	s_and_b32 s0, s0, exec_lo
	s_and_b32 s14, s14, exec_lo
	;; [unrolled: 1-line block ×3, first 2 shown]
	s_or_b32 s11, s11, s0
.LBB472_991:
	s_or_b32 exec_lo, exec_lo, s13
	s_and_saveexec_b32 s0, s11
	s_cbranch_execnz .LBB472_1053
; %bb.992:
	s_or_b32 exec_lo, exec_lo, s0
	s_and_saveexec_b32 s0, s15
	s_delay_alu instid0(SALU_CYCLE_1)
	s_xor_b32 s0, exec_lo, s0
	s_cbranch_execz .LBB472_994
.LBB472_993:
	s_waitcnt vmcnt(0)
	v_cmp_neq_f32_e32 vcc_lo, 0, v2
	v_cndmask_b32_e64 v3, 0, 1, vcc_lo
	global_store_b8 v[0:1], v3, off
.LBB472_994:
	s_or_b32 exec_lo, exec_lo, s0
	s_and_saveexec_b32 s0, s14
	s_delay_alu instid0(SALU_CYCLE_1)
	s_xor_b32 s0, exec_lo, s0
	s_cbranch_execz .LBB472_1032
; %bb.995:
	v_cmp_gt_i16_e32 vcc_lo, 5, v5
	s_mov_b32 s11, -1
	s_cbranch_vccnz .LBB472_1016
; %bb.996:
	v_cmp_gt_i16_e32 vcc_lo, 8, v5
	s_cbranch_vccnz .LBB472_1006
; %bb.997:
	v_cmp_gt_i16_e32 vcc_lo, 9, v5
	s_cbranch_vccnz .LBB472_1003
; %bb.998:
	v_cmp_lt_i16_e32 vcc_lo, 9, v5
	s_cbranch_vccz .LBB472_1000
; %bb.999:
	s_waitcnt vmcnt(0)
	v_cvt_f64_f32_e32 v[6:7], v2
	v_mov_b32_e32 v8, 0
	s_mov_b32 s11, 0
	s_delay_alu instid0(VALU_DEP_1)
	v_mov_b32_e32 v9, v8
	global_store_b128 v[0:1], v[6:9], off
.LBB472_1000:
	s_and_not1_b32 vcc_lo, exec_lo, s11
	s_cbranch_vccnz .LBB472_1002
; %bb.1001:
	s_waitcnt vmcnt(0)
	v_mov_b32_e32 v3, 0
	global_store_b64 v[0:1], v[2:3], off
.LBB472_1002:
	s_mov_b32 s11, 0
.LBB472_1003:
	s_delay_alu instid0(SALU_CYCLE_1)
	s_and_not1_b32 vcc_lo, exec_lo, s11
	s_cbranch_vccnz .LBB472_1005
; %bb.1004:
	s_waitcnt vmcnt(0)
	v_cvt_f16_f32_e32 v3, v2
	s_delay_alu instid0(VALU_DEP_1)
	v_and_b32_e32 v3, 0xffff, v3
	global_store_b32 v[0:1], v3, off
.LBB472_1005:
	s_mov_b32 s11, 0
.LBB472_1006:
	s_delay_alu instid0(SALU_CYCLE_1)
	s_and_not1_b32 vcc_lo, exec_lo, s11
	s_cbranch_vccnz .LBB472_1015
; %bb.1007:
	v_cmp_gt_i16_e32 vcc_lo, 6, v5
	s_mov_b32 s11, -1
	s_cbranch_vccnz .LBB472_1013
; %bb.1008:
	v_cmp_lt_i16_e32 vcc_lo, 6, v5
	s_cbranch_vccz .LBB472_1010
; %bb.1009:
	s_waitcnt vmcnt(0)
	v_cvt_f64_f32_e32 v[3:4], v2
	s_mov_b32 s11, 0
	global_store_b64 v[0:1], v[3:4], off
.LBB472_1010:
	s_and_not1_b32 vcc_lo, exec_lo, s11
	s_cbranch_vccnz .LBB472_1012
; %bb.1011:
	s_waitcnt vmcnt(0)
	global_store_b32 v[0:1], v2, off
.LBB472_1012:
	s_mov_b32 s11, 0
.LBB472_1013:
	s_delay_alu instid0(SALU_CYCLE_1)
	s_and_not1_b32 vcc_lo, exec_lo, s11
	s_cbranch_vccnz .LBB472_1015
; %bb.1014:
	s_waitcnt vmcnt(0)
	v_cvt_f16_f32_e32 v3, v2
	global_store_b16 v[0:1], v3, off
.LBB472_1015:
	s_mov_b32 s11, 0
.LBB472_1016:
	s_delay_alu instid0(SALU_CYCLE_1)
	s_and_not1_b32 vcc_lo, exec_lo, s11
	s_cbranch_vccnz .LBB472_1032
; %bb.1017:
	v_cmp_gt_i16_e32 vcc_lo, 2, v5
	s_mov_b32 s11, -1
	s_cbranch_vccnz .LBB472_1027
; %bb.1018:
	v_cmp_gt_i16_e32 vcc_lo, 3, v5
	s_cbranch_vccnz .LBB472_1024
; %bb.1019:
	v_cmp_lt_i16_e32 vcc_lo, 3, v5
	s_cbranch_vccz .LBB472_1021
; %bb.1020:
	s_waitcnt vmcnt(0)
	v_trunc_f32_e32 v3, v2
	s_mov_b32 s11, 0
	s_delay_alu instid0(VALU_DEP_1) | instskip(SKIP_1) | instid1(VALU_DEP_2)
	v_mul_f32_e64 v4, 0x2f800000, |v3|
	v_ashrrev_i32_e32 v7, 31, v3
	v_floor_f32_e32 v4, v4
	s_delay_alu instid0(VALU_DEP_1) | instskip(SKIP_1) | instid1(VALU_DEP_2)
	v_fma_f32 v6, 0xcf800000, v4, |v3|
	v_cvt_u32_f32_e32 v4, v4
	v_cvt_u32_f32_e32 v3, v6
	s_delay_alu instid0(VALU_DEP_2) | instskip(NEXT) | instid1(VALU_DEP_2)
	v_xor_b32_e32 v4, v4, v7
	v_xor_b32_e32 v3, v3, v7
	s_delay_alu instid0(VALU_DEP_1) | instskip(NEXT) | instid1(VALU_DEP_3)
	v_sub_co_u32 v3, vcc_lo, v3, v7
	v_sub_co_ci_u32_e32 v4, vcc_lo, v4, v7, vcc_lo
	global_store_b64 v[0:1], v[3:4], off
.LBB472_1021:
	s_and_not1_b32 vcc_lo, exec_lo, s11
	s_cbranch_vccnz .LBB472_1023
; %bb.1022:
	s_waitcnt vmcnt(0)
	v_cvt_i32_f32_e32 v3, v2
	global_store_b32 v[0:1], v3, off
.LBB472_1023:
	s_mov_b32 s11, 0
.LBB472_1024:
	s_delay_alu instid0(SALU_CYCLE_1)
	s_and_not1_b32 vcc_lo, exec_lo, s11
	s_cbranch_vccnz .LBB472_1026
; %bb.1025:
	s_waitcnt vmcnt(0)
	v_cvt_i32_f32_e32 v3, v2
	global_store_b16 v[0:1], v3, off
.LBB472_1026:
	s_mov_b32 s11, 0
.LBB472_1027:
	s_delay_alu instid0(SALU_CYCLE_1)
	s_and_not1_b32 vcc_lo, exec_lo, s11
	s_cbranch_vccnz .LBB472_1032
; %bb.1028:
	v_cmp_lt_i16_e32 vcc_lo, 0, v5
	s_mov_b32 s11, -1
	s_cbranch_vccz .LBB472_1030
; %bb.1029:
	s_waitcnt vmcnt(0)
	v_cvt_i32_f32_e32 v3, v2
	s_mov_b32 s11, 0
	global_store_b8 v[0:1], v3, off
.LBB472_1030:
	s_and_not1_b32 vcc_lo, exec_lo, s11
	s_cbranch_vccnz .LBB472_1032
; %bb.1031:
	s_waitcnt vmcnt(0)
	v_trunc_f32_e32 v2, v2
	s_delay_alu instid0(VALU_DEP_1) | instskip(NEXT) | instid1(VALU_DEP_1)
	v_mul_f32_e64 v3, 0x2f800000, |v2|
	v_floor_f32_e32 v3, v3
	s_delay_alu instid0(VALU_DEP_1) | instskip(SKIP_1) | instid1(VALU_DEP_2)
	v_fma_f32 v3, 0xcf800000, v3, |v2|
	v_ashrrev_i32_e32 v2, 31, v2
	v_cvt_u32_f32_e32 v3, v3
	s_delay_alu instid0(VALU_DEP_1) | instskip(NEXT) | instid1(VALU_DEP_1)
	v_xor_b32_e32 v3, v3, v2
	v_sub_nc_u32_e32 v2, v3, v2
	global_store_b8 v[0:1], v2, off
.LBB472_1032:
	s_or_b32 exec_lo, exec_lo, s0
	s_delay_alu instid0(SALU_CYCLE_1)
	s_and_b32 s11, s12, exec_lo
                                        ; implicit-def: $vgpr4
                                        ; implicit-def: $vgpr5
.LBB472_1033:
	s_or_saveexec_b32 s3, s3
	s_mov_b32 s0, 0
                                        ; implicit-def: $vgpr6
                                        ; implicit-def: $vgpr0_vgpr1
                                        ; implicit-def: $vgpr2
	s_xor_b32 exec_lo, exec_lo, s3
	s_cbranch_execz .LBB472_1998
; %bb.1034:
	s_waitcnt vmcnt(0)
	v_mul_lo_u32 v3, s9, v4
	v_cmp_gt_i16_e32 vcc_lo, 11, v5
	s_delay_alu instid0(VALU_DEP_2) | instskip(SKIP_1) | instid1(VALU_DEP_1)
	v_ashrrev_i32_e32 v1, 31, v3
	v_add_co_u32 v0, s0, s6, v3
	v_add_co_ci_u32_e64 v1, s0, s7, v1, s0
	s_cbranch_vccnz .LBB472_1041
; %bb.1035:
	v_cmp_lt_i16_e32 vcc_lo, 25, v5
	s_mov_b32 s12, 0
	s_cbranch_vccz .LBB472_1047
; %bb.1036:
	v_cmp_lt_i16_e32 vcc_lo, 28, v5
	s_cbranch_vccz .LBB472_1049
; %bb.1037:
	v_cmp_lt_i16_e32 vcc_lo, 43, v5
	;; [unrolled: 3-line block ×3, first 2 shown]
	s_cbranch_vccz .LBB472_1055
; %bb.1039:
	v_cmp_eq_u16_e32 vcc_lo, 46, v5
	s_cbranch_vccz .LBB472_1095
; %bb.1040:
	global_load_b32 v2, v[0:1], off
	s_mov_b32 s0, 0
	s_mov_b32 s13, -1
	s_waitcnt vmcnt(0)
	v_lshlrev_b32_e32 v2, 16, v2
	s_branch .LBB472_1097
.LBB472_1041:
	s_mov_b32 s13, 0
	s_mov_b32 s1, s11
                                        ; implicit-def: $vgpr2
	s_cbranch_execz .LBB472_1160
; %bb.1042:
	v_cmp_gt_i16_e32 vcc_lo, 5, v5
	s_cbranch_vccnz .LBB472_1048
; %bb.1043:
	v_cmp_gt_i16_e32 vcc_lo, 8, v5
	s_cbranch_vccnz .LBB472_1050
; %bb.1044:
	v_cmp_gt_i16_e32 vcc_lo, 9, v5
	s_cbranch_vccnz .LBB472_1052
; %bb.1045:
	v_cmp_lt_i16_e32 vcc_lo, 9, v5
	s_cbranch_vccz .LBB472_1056
; %bb.1046:
	global_load_b64 v[6:7], v[0:1], off
	s_mov_b32 s0, 0
	s_waitcnt vmcnt(0)
	v_cvt_f32_f64_e32 v2, v[6:7]
	s_branch .LBB472_1057
.LBB472_1047:
	s_mov_b32 s13, 0
	s_mov_b32 s0, 0
                                        ; implicit-def: $vgpr2
	s_cbranch_execnz .LBB472_1125
	s_branch .LBB472_1156
.LBB472_1048:
                                        ; implicit-def: $vgpr2
	s_branch .LBB472_1074
.LBB472_1049:
	s_mov_b32 s1, -1
	s_mov_b32 s13, 0
	s_mov_b32 s0, 0
                                        ; implicit-def: $vgpr2
	s_branch .LBB472_1106
.LBB472_1050:
                                        ; implicit-def: $vgpr2
	s_branch .LBB472_1063
.LBB472_1051:
	s_mov_b32 s13, 0
	s_mov_b32 s0, 0
                                        ; implicit-def: $vgpr2
	s_cbranch_execnz .LBB472_1102
	s_branch .LBB472_1105
.LBB472_1052:
	s_mov_b32 s0, -1
                                        ; implicit-def: $vgpr2
	s_branch .LBB472_1060
.LBB472_1053:
	s_cbranch_execnz .LBB472_1093
; %bb.1054:
	s_or_b32 s12, s12, exec_lo
	s_and_not1_b32 s15, s15, exec_lo
	s_or_b32 exec_lo, exec_lo, s0
	s_and_saveexec_b32 s0, s15
	s_delay_alu instid0(SALU_CYCLE_1)
	s_xor_b32 s0, exec_lo, s0
	s_cbranch_execnz .LBB472_993
	s_branch .LBB472_994
.LBB472_1055:
	s_mov_b32 s1, -1
	s_mov_b32 s13, 0
	s_mov_b32 s0, 0
	s_branch .LBB472_1096
.LBB472_1056:
	s_mov_b32 s0, -1
                                        ; implicit-def: $vgpr2
.LBB472_1057:
	s_delay_alu instid0(SALU_CYCLE_1)
	s_and_not1_b32 vcc_lo, exec_lo, s0
	s_cbranch_vccnz .LBB472_1059
; %bb.1058:
	global_load_b32 v2, v[0:1], off
.LBB472_1059:
	s_mov_b32 s0, 0
.LBB472_1060:
	s_delay_alu instid0(SALU_CYCLE_1)
	s_and_not1_b32 vcc_lo, exec_lo, s0
	s_cbranch_vccnz .LBB472_1062
; %bb.1061:
	global_load_b32 v2, v[0:1], off
	s_waitcnt vmcnt(0)
	v_cvt_f32_f16_e32 v2, v2
.LBB472_1062:
	s_cbranch_execnz .LBB472_1073
.LBB472_1063:
	v_cmp_gt_i16_e32 vcc_lo, 6, v5
	s_cbranch_vccnz .LBB472_1066
; %bb.1064:
	v_cmp_lt_i16_e32 vcc_lo, 6, v5
	s_cbranch_vccz .LBB472_1067
; %bb.1065:
	global_load_b64 v[6:7], v[0:1], off
	s_mov_b32 s0, 0
	s_waitcnt vmcnt(0)
	v_cvt_f32_f64_e32 v2, v[6:7]
	s_branch .LBB472_1068
.LBB472_1066:
	s_mov_b32 s0, -1
                                        ; implicit-def: $vgpr2
	s_branch .LBB472_1071
.LBB472_1067:
	s_mov_b32 s0, -1
                                        ; implicit-def: $vgpr2
.LBB472_1068:
	s_delay_alu instid0(SALU_CYCLE_1)
	s_and_not1_b32 vcc_lo, exec_lo, s0
	s_cbranch_vccnz .LBB472_1070
; %bb.1069:
	global_load_b32 v2, v[0:1], off
.LBB472_1070:
	s_mov_b32 s0, 0
.LBB472_1071:
	s_delay_alu instid0(SALU_CYCLE_1)
	s_and_not1_b32 vcc_lo, exec_lo, s0
	s_cbranch_vccnz .LBB472_1073
; %bb.1072:
	global_load_u16 v2, v[0:1], off
	s_waitcnt vmcnt(0)
	v_cvt_f32_f16_e32 v2, v2
.LBB472_1073:
	s_cbranch_execnz .LBB472_1092
.LBB472_1074:
	v_cmp_gt_i16_e32 vcc_lo, 2, v5
	s_cbranch_vccnz .LBB472_1078
; %bb.1075:
	v_cmp_gt_i16_e32 vcc_lo, 3, v5
	s_cbranch_vccnz .LBB472_1079
; %bb.1076:
	v_cmp_lt_i16_e32 vcc_lo, 3, v5
	s_cbranch_vccz .LBB472_1080
; %bb.1077:
	global_load_b64 v[6:7], v[0:1], off
	s_mov_b32 s0, 0
	s_waitcnt vmcnt(0)
	v_xor_b32_e32 v2, v6, v7
	v_cls_i32_e32 v8, v7
	s_delay_alu instid0(VALU_DEP_2) | instskip(NEXT) | instid1(VALU_DEP_2)
	v_ashrrev_i32_e32 v2, 31, v2
	v_add_nc_u32_e32 v8, -1, v8
	s_delay_alu instid0(VALU_DEP_2) | instskip(NEXT) | instid1(VALU_DEP_1)
	v_add_nc_u32_e32 v2, 32, v2
	v_min_u32_e32 v2, v8, v2
	s_delay_alu instid0(VALU_DEP_1) | instskip(SKIP_1) | instid1(VALU_DEP_2)
	v_lshlrev_b64 v[6:7], v2, v[6:7]
	v_sub_nc_u32_e32 v2, 32, v2
	v_min_u32_e32 v6, 1, v6
	s_delay_alu instid0(VALU_DEP_1) | instskip(NEXT) | instid1(VALU_DEP_1)
	v_or_b32_e32 v6, v7, v6
	v_cvt_f32_i32_e32 v6, v6
	s_delay_alu instid0(VALU_DEP_1)
	v_ldexp_f32 v2, v6, v2
	s_branch .LBB472_1081
.LBB472_1078:
                                        ; implicit-def: $vgpr2
	s_branch .LBB472_1087
.LBB472_1079:
	s_mov_b32 s0, -1
                                        ; implicit-def: $vgpr2
	s_branch .LBB472_1084
.LBB472_1080:
	s_mov_b32 s0, -1
                                        ; implicit-def: $vgpr2
.LBB472_1081:
	s_delay_alu instid0(SALU_CYCLE_1)
	s_and_not1_b32 vcc_lo, exec_lo, s0
	s_cbranch_vccnz .LBB472_1083
; %bb.1082:
	global_load_b32 v2, v[0:1], off
	s_waitcnt vmcnt(0)
	v_cvt_f32_i32_e32 v2, v2
.LBB472_1083:
	s_mov_b32 s0, 0
.LBB472_1084:
	s_delay_alu instid0(SALU_CYCLE_1)
	s_and_not1_b32 vcc_lo, exec_lo, s0
	s_cbranch_vccnz .LBB472_1086
; %bb.1085:
	global_load_i16 v2, v[0:1], off
	s_waitcnt vmcnt(0)
	v_cvt_f32_i32_e32 v2, v2
.LBB472_1086:
	s_cbranch_execnz .LBB472_1092
.LBB472_1087:
	v_cmp_lt_i16_e32 vcc_lo, 0, v5
	s_mov_b32 s0, 0
	s_cbranch_vccz .LBB472_1089
; %bb.1088:
	global_load_i8 v2, v[0:1], off
	s_waitcnt vmcnt(0)
	v_cvt_f32_i32_e32 v2, v2
	s_branch .LBB472_1090
.LBB472_1089:
	s_mov_b32 s0, -1
                                        ; implicit-def: $vgpr2
.LBB472_1090:
	s_delay_alu instid0(SALU_CYCLE_1)
	s_and_not1_b32 vcc_lo, exec_lo, s0
	s_cbranch_vccnz .LBB472_1092
; %bb.1091:
	global_load_u8 v0, v[0:1], off
	s_waitcnt vmcnt(0)
	v_cvt_f32_ubyte0_e32 v2, v0
.LBB472_1092:
	s_branch .LBB472_1161
.LBB472_1093:
	s_trap 2
	s_sendmsg_rtn_b32 s0, sendmsg(MSG_RTN_GET_DOORBELL)
	s_mov_b32 ttmp2, m0
	s_waitcnt lgkmcnt(0)
	s_and_b32 s0, s0, 0x3ff
	s_delay_alu instid0(SALU_CYCLE_1) | instskip(NEXT) | instid1(SALU_CYCLE_1)
	s_bitset1_b32 s0, 10
	s_mov_b32 m0, s0
	s_sendmsg sendmsg(MSG_INTERRUPT)
	s_mov_b32 m0, ttmp2
.LBB472_1094:                           ; =>This Inner Loop Header: Depth=1
	s_sethalt 5
	s_branch .LBB472_1094
.LBB472_1095:
	s_mov_b32 s0, -1
	s_mov_b32 s13, 0
.LBB472_1096:
                                        ; implicit-def: $vgpr2
.LBB472_1097:
	s_and_b32 vcc_lo, exec_lo, s1
	s_cbranch_vccz .LBB472_1100
; %bb.1098:
	v_cmp_eq_u16_e32 vcc_lo, 44, v5
	s_cbranch_vccz .LBB472_1101
; %bb.1099:
	global_load_u8 v2, v[0:1], off
	s_mov_b32 s0, 0
	s_mov_b32 s13, -1
	s_waitcnt vmcnt(0)
	v_lshlrev_b32_e32 v6, 23, v2
	v_cmp_ne_u32_e32 vcc_lo, 0xff, v2
	s_delay_alu instid0(VALU_DEP_2) | instskip(SKIP_1) | instid1(VALU_DEP_2)
	v_cndmask_b32_e32 v6, 0x7f800001, v6, vcc_lo
	v_cmp_ne_u32_e32 vcc_lo, 0, v2
	v_cndmask_b32_e32 v2, 0x400000, v6, vcc_lo
.LBB472_1100:
	s_branch .LBB472_1105
.LBB472_1101:
	s_mov_b32 s0, -1
                                        ; implicit-def: $vgpr2
	s_branch .LBB472_1105
.LBB472_1102:
	v_cmp_eq_u16_e32 vcc_lo, 29, v5
	s_cbranch_vccz .LBB472_1104
; %bb.1103:
	global_load_b64 v[6:7], v[0:1], off
	s_mov_b32 s0, 0
	s_mov_b32 s13, -1
	s_mov_b32 s1, 0
	s_waitcnt vmcnt(0)
	v_clz_i32_u32_e32 v2, v7
	s_delay_alu instid0(VALU_DEP_1) | instskip(NEXT) | instid1(VALU_DEP_1)
	v_min_u32_e32 v2, 32, v2
	v_lshlrev_b64 v[6:7], v2, v[6:7]
	v_sub_nc_u32_e32 v2, 32, v2
	s_delay_alu instid0(VALU_DEP_2) | instskip(NEXT) | instid1(VALU_DEP_1)
	v_min_u32_e32 v6, 1, v6
	v_or_b32_e32 v6, v7, v6
	s_delay_alu instid0(VALU_DEP_1) | instskip(NEXT) | instid1(VALU_DEP_1)
	v_cvt_f32_u32_e32 v6, v6
	v_ldexp_f32 v2, v6, v2
	s_branch .LBB472_1106
.LBB472_1104:
	s_mov_b32 s0, -1
                                        ; implicit-def: $vgpr2
.LBB472_1105:
	s_mov_b32 s1, 0
.LBB472_1106:
	s_delay_alu instid0(SALU_CYCLE_1)
	s_and_b32 vcc_lo, exec_lo, s1
	s_cbranch_vccz .LBB472_1124
; %bb.1107:
	v_cmp_gt_i16_e32 vcc_lo, 27, v5
	s_cbranch_vccnz .LBB472_1110
; %bb.1108:
	v_cmp_lt_i16_e32 vcc_lo, 27, v5
	s_cbranch_vccz .LBB472_1111
; %bb.1109:
	global_load_b32 v2, v[0:1], off
	s_mov_b32 s1, 0
	s_waitcnt vmcnt(0)
	v_cvt_f32_u32_e32 v2, v2
	s_branch .LBB472_1112
.LBB472_1110:
	s_mov_b32 s1, -1
                                        ; implicit-def: $vgpr2
	s_branch .LBB472_1115
.LBB472_1111:
	s_mov_b32 s1, -1
                                        ; implicit-def: $vgpr2
.LBB472_1112:
	s_delay_alu instid0(SALU_CYCLE_1)
	s_and_not1_b32 vcc_lo, exec_lo, s1
	s_cbranch_vccnz .LBB472_1114
; %bb.1113:
	global_load_u16 v2, v[0:1], off
	s_waitcnt vmcnt(0)
	v_cvt_f32_u32_e32 v2, v2
.LBB472_1114:
	s_mov_b32 s1, 0
.LBB472_1115:
	s_delay_alu instid0(SALU_CYCLE_1)
	s_and_not1_b32 vcc_lo, exec_lo, s1
	s_cbranch_vccnz .LBB472_1123
; %bb.1116:
	global_load_u8 v6, v[0:1], off
	s_mov_b32 s1, 0
	s_mov_b32 s14, exec_lo
                                        ; implicit-def: $sgpr13
	s_waitcnt vmcnt(0)
	v_cmpx_lt_i16_e32 0x7f, v6
	s_xor_b32 s14, exec_lo, s14
	s_cbranch_execz .LBB472_1136
; %bb.1117:
	s_mov_b32 s1, -1
	s_mov_b32 s15, exec_lo
                                        ; implicit-def: $sgpr13
	v_cmpx_eq_u16_e32 0x80, v6
; %bb.1118:
	s_mov_b32 s13, 0x7f800001
	s_xor_b32 s1, exec_lo, -1
; %bb.1119:
	s_or_b32 exec_lo, exec_lo, s15
	s_delay_alu instid0(SALU_CYCLE_1)
	s_and_b32 s1, s1, exec_lo
	s_or_saveexec_b32 s14, s14
	v_mov_b32_e32 v2, s13
	s_xor_b32 exec_lo, exec_lo, s14
	s_cbranch_execnz .LBB472_1137
.LBB472_1120:
	s_or_b32 exec_lo, exec_lo, s14
	s_and_saveexec_b32 s13, s1
	s_cbranch_execz .LBB472_1122
.LBB472_1121:
	v_and_b32_e32 v2, 0xffff, v6
	v_lshlrev_b32_e32 v6, 24, v6
	s_delay_alu instid0(VALU_DEP_2) | instskip(NEXT) | instid1(VALU_DEP_2)
	v_and_b32_e32 v7, 7, v2
	v_and_b32_e32 v6, 0x80000000, v6
	s_delay_alu instid0(VALU_DEP_2) | instskip(NEXT) | instid1(VALU_DEP_1)
	v_clz_i32_u32_e32 v8, v7
	v_min_u32_e32 v8, 32, v8
	s_delay_alu instid0(VALU_DEP_1) | instskip(SKIP_1) | instid1(VALU_DEP_2)
	v_subrev_nc_u32_e32 v9, 28, v8
	v_sub_nc_u32_e32 v8, 29, v8
	v_lshlrev_b32_e32 v9, v9, v2
	v_bfe_u32 v2, v2, 3, 4
	s_delay_alu instid0(VALU_DEP_2) | instskip(NEXT) | instid1(VALU_DEP_2)
	v_and_b32_e32 v9, 7, v9
	v_cmp_eq_u32_e32 vcc_lo, 0, v2
	s_delay_alu instid0(VALU_DEP_2) | instskip(NEXT) | instid1(VALU_DEP_1)
	v_dual_cndmask_b32 v2, v2, v8 :: v_dual_cndmask_b32 v7, v7, v9
	v_lshl_add_u32 v2, v2, 23, 0x3b800000
	s_delay_alu instid0(VALU_DEP_2) | instskip(NEXT) | instid1(VALU_DEP_1)
	v_lshlrev_b32_e32 v7, 20, v7
	v_or3_b32 v2, v6, v2, v7
.LBB472_1122:
	s_or_b32 exec_lo, exec_lo, s13
.LBB472_1123:
	s_mov_b32 s13, -1
.LBB472_1124:
	s_branch .LBB472_1156
.LBB472_1125:
	v_cmp_lt_i16_e32 vcc_lo, 22, v5
	s_cbranch_vccz .LBB472_1135
; %bb.1126:
	v_cmp_gt_i16_e32 vcc_lo, 24, v5
	s_cbranch_vccnz .LBB472_1138
; %bb.1127:
	v_cmp_lt_i16_e32 vcc_lo, 24, v5
	s_cbranch_vccz .LBB472_1139
; %bb.1128:
	global_load_u8 v6, v[0:1], off
	s_mov_b32 s1, 0
	s_mov_b32 s13, exec_lo
                                        ; implicit-def: $sgpr12
	s_waitcnt vmcnt(0)
	v_cmpx_lt_i16_e32 0x7f, v6
	s_xor_b32 s13, exec_lo, s13
	s_cbranch_execz .LBB472_1150
; %bb.1129:
	s_mov_b32 s1, -1
	s_mov_b32 s14, exec_lo
                                        ; implicit-def: $sgpr12
	v_cmpx_eq_u16_e32 0x80, v6
; %bb.1130:
	s_mov_b32 s12, 0x7f800001
	s_xor_b32 s1, exec_lo, -1
; %bb.1131:
	s_or_b32 exec_lo, exec_lo, s14
	s_delay_alu instid0(SALU_CYCLE_1)
	s_and_b32 s1, s1, exec_lo
	s_or_saveexec_b32 s13, s13
	v_mov_b32_e32 v2, s12
	s_xor_b32 exec_lo, exec_lo, s13
	s_cbranch_execnz .LBB472_1151
.LBB472_1132:
	s_or_b32 exec_lo, exec_lo, s13
	s_and_saveexec_b32 s12, s1
	s_cbranch_execz .LBB472_1134
.LBB472_1133:
	v_and_b32_e32 v2, 0xffff, v6
	v_lshlrev_b32_e32 v6, 24, v6
	s_delay_alu instid0(VALU_DEP_2) | instskip(NEXT) | instid1(VALU_DEP_2)
	v_and_b32_e32 v7, 3, v2
	v_and_b32_e32 v6, 0x80000000, v6
	s_delay_alu instid0(VALU_DEP_2) | instskip(NEXT) | instid1(VALU_DEP_1)
	v_clz_i32_u32_e32 v8, v7
	v_min_u32_e32 v8, 32, v8
	s_delay_alu instid0(VALU_DEP_1) | instskip(SKIP_1) | instid1(VALU_DEP_2)
	v_subrev_nc_u32_e32 v9, 29, v8
	v_sub_nc_u32_e32 v8, 30, v8
	v_lshlrev_b32_e32 v9, v9, v2
	v_bfe_u32 v2, v2, 2, 5
	s_delay_alu instid0(VALU_DEP_2) | instskip(NEXT) | instid1(VALU_DEP_2)
	v_and_b32_e32 v9, 3, v9
	v_cmp_eq_u32_e32 vcc_lo, 0, v2
	s_delay_alu instid0(VALU_DEP_2) | instskip(NEXT) | instid1(VALU_DEP_1)
	v_dual_cndmask_b32 v2, v2, v8 :: v_dual_cndmask_b32 v7, v7, v9
	v_lshl_add_u32 v2, v2, 23, 0x37800000
	s_delay_alu instid0(VALU_DEP_2) | instskip(NEXT) | instid1(VALU_DEP_1)
	v_lshlrev_b32_e32 v7, 21, v7
	v_or3_b32 v2, v6, v2, v7
.LBB472_1134:
	s_or_b32 exec_lo, exec_lo, s12
	s_mov_b32 s1, 0
	s_branch .LBB472_1140
.LBB472_1135:
                                        ; implicit-def: $vgpr2
	s_mov_b32 s12, 0
	s_branch .LBB472_1146
.LBB472_1136:
	s_or_saveexec_b32 s14, s14
	v_mov_b32_e32 v2, s13
	s_xor_b32 exec_lo, exec_lo, s14
	s_cbranch_execz .LBB472_1120
.LBB472_1137:
	v_cmp_ne_u16_e32 vcc_lo, 0, v6
	v_mov_b32_e32 v2, 0
	s_and_not1_b32 s1, s1, exec_lo
	s_and_b32 s13, vcc_lo, exec_lo
	s_delay_alu instid0(SALU_CYCLE_1)
	s_or_b32 s1, s1, s13
	s_or_b32 exec_lo, exec_lo, s14
	s_and_saveexec_b32 s13, s1
	s_cbranch_execnz .LBB472_1121
	s_branch .LBB472_1122
.LBB472_1138:
	s_mov_b32 s1, -1
                                        ; implicit-def: $vgpr2
	s_branch .LBB472_1143
.LBB472_1139:
	s_mov_b32 s1, -1
                                        ; implicit-def: $vgpr2
.LBB472_1140:
	s_delay_alu instid0(SALU_CYCLE_1)
	s_and_b32 vcc_lo, exec_lo, s1
	s_cbranch_vccz .LBB472_1142
; %bb.1141:
	global_load_u8 v2, v[0:1], off
	s_waitcnt vmcnt(0)
	v_lshlrev_b32_e32 v2, 24, v2
	s_delay_alu instid0(VALU_DEP_1) | instskip(NEXT) | instid1(VALU_DEP_1)
	v_and_b32_e32 v6, 0x7f000000, v2
	v_clz_i32_u32_e32 v7, v6
	v_cmp_ne_u32_e32 vcc_lo, 0, v6
	v_add_nc_u32_e32 v9, 0x1000000, v6
	s_delay_alu instid0(VALU_DEP_3) | instskip(NEXT) | instid1(VALU_DEP_1)
	v_min_u32_e32 v7, 32, v7
	v_sub_nc_u32_e64 v7, v7, 4 clamp
	s_delay_alu instid0(VALU_DEP_1) | instskip(SKIP_1) | instid1(VALU_DEP_2)
	v_lshlrev_b32_e32 v8, v7, v6
	v_lshlrev_b32_e32 v7, 23, v7
	v_lshrrev_b32_e32 v8, 4, v8
	s_delay_alu instid0(VALU_DEP_1) | instskip(SKIP_1) | instid1(VALU_DEP_2)
	v_sub_nc_u32_e32 v7, v8, v7
	v_ashrrev_i32_e32 v8, 8, v9
	v_add_nc_u32_e32 v7, 0x3c000000, v7
	s_delay_alu instid0(VALU_DEP_1) | instskip(NEXT) | instid1(VALU_DEP_1)
	v_and_or_b32 v7, 0x7f800000, v8, v7
	v_cndmask_b32_e32 v6, 0, v7, vcc_lo
	s_delay_alu instid0(VALU_DEP_1)
	v_and_or_b32 v2, 0x80000000, v2, v6
.LBB472_1142:
	s_mov_b32 s1, 0
.LBB472_1143:
	s_delay_alu instid0(SALU_CYCLE_1)
	s_and_not1_b32 vcc_lo, exec_lo, s1
	s_cbranch_vccnz .LBB472_1145
; %bb.1144:
	global_load_u8 v2, v[0:1], off
	s_waitcnt vmcnt(0)
	v_lshlrev_b32_e32 v6, 25, v2
	v_lshlrev_b16 v2, 8, v2
	s_delay_alu instid0(VALU_DEP_2) | instskip(NEXT) | instid1(VALU_DEP_2)
	v_lshrrev_b32_e32 v7, 4, v6
	v_and_or_b32 v8, 0x7f00, v2, 0.5
	v_bfe_i32 v2, v2, 0, 16
	s_delay_alu instid0(VALU_DEP_3) | instskip(NEXT) | instid1(VALU_DEP_1)
	v_or_b32_e32 v7, 0x70000000, v7
	v_dual_add_f32 v8, -0.5, v8 :: v_dual_mul_f32 v7, 0x7800000, v7
	v_cmp_gt_u32_e32 vcc_lo, 0x8000000, v6
	s_delay_alu instid0(VALU_DEP_2) | instskip(NEXT) | instid1(VALU_DEP_1)
	v_cndmask_b32_e32 v6, v7, v8, vcc_lo
	v_and_or_b32 v2, 0x80000000, v2, v6
.LBB472_1145:
	s_mov_b32 s13, -1
	s_mov_b32 s12, 0
	s_cbranch_execnz .LBB472_1156
.LBB472_1146:
	v_cmp_lt_i16_e32 vcc_lo, 14, v5
	s_cbranch_vccz .LBB472_1149
; %bb.1147:
	v_cmp_eq_u16_e32 vcc_lo, 15, v5
	s_cbranch_vccz .LBB472_1152
; %bb.1148:
	global_load_u16 v2, v[0:1], off
	s_mov_b32 s0, 0
	s_mov_b32 s13, -1
	s_waitcnt vmcnt(0)
	v_lshlrev_b32_e32 v2, 16, v2
	s_branch .LBB472_1153
.LBB472_1149:
	s_mov_b32 s1, -1
                                        ; implicit-def: $vgpr2
	s_branch .LBB472_1154
.LBB472_1150:
	s_or_saveexec_b32 s13, s13
	v_mov_b32_e32 v2, s12
	s_xor_b32 exec_lo, exec_lo, s13
	s_cbranch_execz .LBB472_1132
.LBB472_1151:
	v_cmp_ne_u16_e32 vcc_lo, 0, v6
	v_mov_b32_e32 v2, 0
	s_and_not1_b32 s1, s1, exec_lo
	s_and_b32 s12, vcc_lo, exec_lo
	s_delay_alu instid0(SALU_CYCLE_1)
	s_or_b32 s1, s1, s12
	s_or_b32 exec_lo, exec_lo, s13
	s_and_saveexec_b32 s12, s1
	s_cbranch_execnz .LBB472_1133
	s_branch .LBB472_1134
.LBB472_1152:
	s_mov_b32 s0, -1
                                        ; implicit-def: $vgpr2
.LBB472_1153:
	s_mov_b32 s1, 0
.LBB472_1154:
	s_delay_alu instid0(SALU_CYCLE_1)
	s_and_b32 vcc_lo, exec_lo, s1
	s_cbranch_vccz .LBB472_1156
; %bb.1155:
	v_cmp_ne_u16_e64 s0, 11, v5
	s_mov_b32 s12, -1
                                        ; implicit-def: $vgpr2
.LBB472_1156:
	s_delay_alu instid0(VALU_DEP_1)
	s_and_b32 vcc_lo, exec_lo, s0
	s_mov_b32 s1, s11
	s_cbranch_vccnz .LBB472_1180
; %bb.1157:
	s_and_not1_b32 vcc_lo, exec_lo, s12
	s_cbranch_vccnz .LBB472_1159
.LBB472_1158:
	global_load_u8 v2, v[0:1], off
	s_mov_b32 s13, -1
	s_waitcnt vmcnt(0)
	v_cmp_ne_u16_e32 vcc_lo, 0, v2
	v_cndmask_b32_e64 v2, 0, 1.0, vcc_lo
.LBB472_1159:
.LBB472_1160:
	s_and_not1_b32 vcc_lo, exec_lo, s13
	s_cbranch_vccnz .LBB472_1996
.LBB472_1161:
	s_lshl_b32 s9, s9, 7
	v_cmp_gt_i16_e32 vcc_lo, 11, v5
	v_add_nc_u32_e32 v3, s9, v3
	s_delay_alu instid0(VALU_DEP_1) | instskip(SKIP_1) | instid1(VALU_DEP_1)
	v_ashrrev_i32_e32 v1, 31, v3
	v_add_co_u32 v0, s0, s6, v3
	v_add_co_ci_u32_e64 v1, s0, s7, v1, s0
	s_cbranch_vccnz .LBB472_1168
; %bb.1162:
	v_cmp_lt_i16_e32 vcc_lo, 25, v5
	s_mov_b32 s12, 0
	s_cbranch_vccz .LBB472_1174
; %bb.1163:
	v_cmp_lt_i16_e32 vcc_lo, 28, v5
	s_cbranch_vccz .LBB472_1176
; %bb.1164:
	v_cmp_lt_i16_e32 vcc_lo, 43, v5
	;; [unrolled: 3-line block ×3, first 2 shown]
	s_cbranch_vccz .LBB472_1184
; %bb.1166:
	v_cmp_eq_u16_e32 vcc_lo, 46, v5
	s_mov_b32 s14, 0
	s_cbranch_vccz .LBB472_1228
; %bb.1167:
	global_load_b32 v6, v[0:1], off
	s_mov_b32 s0, 0
	s_mov_b32 s13, -1
	s_waitcnt vmcnt(0)
	v_lshlrev_b32_e32 v7, 16, v6
	s_branch .LBB472_1230
.LBB472_1168:
	s_mov_b32 s13, 0
                                        ; implicit-def: $vgpr7
	s_cbranch_execz .LBB472_1295
; %bb.1169:
	v_cmp_gt_i16_e32 vcc_lo, 5, v5
	s_cbranch_vccnz .LBB472_1175
; %bb.1170:
	v_cmp_gt_i16_e32 vcc_lo, 8, v5
	s_cbranch_vccnz .LBB472_1177
	;; [unrolled: 3-line block ×3, first 2 shown]
; %bb.1172:
	v_cmp_lt_i16_e32 vcc_lo, 9, v5
	s_cbranch_vccz .LBB472_1185
; %bb.1173:
	global_load_b64 v[6:7], v[0:1], off
	s_mov_b32 s0, 0
	s_waitcnt vmcnt(0)
	v_cvt_f32_f64_e32 v7, v[6:7]
	s_branch .LBB472_1186
.LBB472_1174:
	s_mov_b32 s13, 0
	s_mov_b32 s0, 0
                                        ; implicit-def: $vgpr7
	s_cbranch_execnz .LBB472_1259
	s_branch .LBB472_1291
.LBB472_1175:
                                        ; implicit-def: $vgpr7
	s_branch .LBB472_1204
.LBB472_1176:
	s_mov_b32 s14, -1
	s_mov_b32 s13, 0
	s_mov_b32 s0, 0
                                        ; implicit-def: $vgpr7
	s_branch .LBB472_1240
.LBB472_1177:
	s_mov_b32 s0, -1
                                        ; implicit-def: $vgpr7
	s_branch .LBB472_1192
.LBB472_1178:
	s_mov_b32 s14, -1
	s_mov_b32 s13, 0
	s_mov_b32 s0, 0
                                        ; implicit-def: $vgpr7
	s_branch .LBB472_1235
.LBB472_1179:
	s_mov_b32 s0, -1
                                        ; implicit-def: $vgpr7
	s_branch .LBB472_1189
.LBB472_1180:
	s_cbranch_execnz .LBB472_1224
; %bb.1181:
	s_or_b32 s1, s11, exec_lo
                                        ; implicit-def: $vgpr2
	s_cbranch_execz .LBB472_1158
	s_branch .LBB472_1159
.LBB472_1182:
	s_or_saveexec_b32 s16, s16
                                        ; implicit-def: $sgpr17
	s_delay_alu instid0(SALU_CYCLE_1)
	s_xor_b32 exec_lo, exec_lo, s16
	s_cbranch_execz .LBB472_944
.LBB472_1183:
	v_add_f32_e64 v3, 0x46000000, |v2|
	s_and_not1_b32 s15, s15, exec_lo
	s_mov_b32 s17, 0
	s_delay_alu instid0(VALU_DEP_1) | instskip(NEXT) | instid1(VALU_DEP_1)
	v_and_b32_e32 v3, 0xff, v3
	v_cmp_ne_u32_e32 vcc_lo, 0, v3
	s_and_b32 s18, vcc_lo, exec_lo
	s_delay_alu instid0(SALU_CYCLE_1)
	s_or_b32 s15, s15, s18
	s_or_b32 exec_lo, exec_lo, s16
	v_mov_b32_e32 v4, s17
	s_and_saveexec_b32 s16, s15
	s_cbranch_execnz .LBB472_945
	s_branch .LBB472_946
.LBB472_1184:
	s_mov_b32 s14, -1
	s_mov_b32 s13, 0
	s_mov_b32 s0, 0
	s_branch .LBB472_1229
.LBB472_1185:
	s_mov_b32 s0, -1
                                        ; implicit-def: $vgpr7
.LBB472_1186:
	s_delay_alu instid0(SALU_CYCLE_1)
	s_and_not1_b32 vcc_lo, exec_lo, s0
	s_cbranch_vccnz .LBB472_1188
; %bb.1187:
	global_load_b32 v7, v[0:1], off
.LBB472_1188:
	s_mov_b32 s0, 0
.LBB472_1189:
	s_delay_alu instid0(SALU_CYCLE_1)
	s_and_not1_b32 vcc_lo, exec_lo, s0
	s_cbranch_vccnz .LBB472_1191
; %bb.1190:
	global_load_b32 v6, v[0:1], off
	s_waitcnt vmcnt(0)
	v_cvt_f32_f16_e32 v7, v6
.LBB472_1191:
	s_mov_b32 s0, 0
.LBB472_1192:
	s_delay_alu instid0(SALU_CYCLE_1)
	s_and_not1_b32 vcc_lo, exec_lo, s0
	s_cbranch_vccnz .LBB472_1203
; %bb.1193:
	v_cmp_gt_i16_e32 vcc_lo, 6, v5
	s_cbranch_vccnz .LBB472_1196
; %bb.1194:
	v_cmp_lt_i16_e32 vcc_lo, 6, v5
	s_cbranch_vccz .LBB472_1197
; %bb.1195:
	global_load_b64 v[6:7], v[0:1], off
	s_mov_b32 s0, 0
	s_waitcnt vmcnt(0)
	v_cvt_f32_f64_e32 v7, v[6:7]
	s_branch .LBB472_1198
.LBB472_1196:
	s_mov_b32 s0, -1
                                        ; implicit-def: $vgpr7
	s_branch .LBB472_1201
.LBB472_1197:
	s_mov_b32 s0, -1
                                        ; implicit-def: $vgpr7
.LBB472_1198:
	s_delay_alu instid0(SALU_CYCLE_1)
	s_and_not1_b32 vcc_lo, exec_lo, s0
	s_cbranch_vccnz .LBB472_1200
; %bb.1199:
	global_load_b32 v7, v[0:1], off
.LBB472_1200:
	s_mov_b32 s0, 0
.LBB472_1201:
	s_delay_alu instid0(SALU_CYCLE_1)
	s_and_not1_b32 vcc_lo, exec_lo, s0
	s_cbranch_vccnz .LBB472_1203
; %bb.1202:
	global_load_u16 v6, v[0:1], off
	s_waitcnt vmcnt(0)
	v_cvt_f32_f16_e32 v7, v6
.LBB472_1203:
	s_cbranch_execnz .LBB472_1223
.LBB472_1204:
	v_cmp_gt_i16_e32 vcc_lo, 2, v5
	s_cbranch_vccnz .LBB472_1208
; %bb.1205:
	v_cmp_gt_i16_e32 vcc_lo, 3, v5
	s_cbranch_vccnz .LBB472_1209
; %bb.1206:
	v_cmp_lt_i16_e32 vcc_lo, 3, v5
	s_cbranch_vccz .LBB472_1210
; %bb.1207:
	global_load_b64 v[6:7], v[0:1], off
	s_mov_b32 s0, 0
	s_waitcnt vmcnt(0)
	v_xor_b32_e32 v8, v6, v7
	v_cls_i32_e32 v9, v7
	s_delay_alu instid0(VALU_DEP_2) | instskip(NEXT) | instid1(VALU_DEP_2)
	v_ashrrev_i32_e32 v8, 31, v8
	v_add_nc_u32_e32 v9, -1, v9
	s_delay_alu instid0(VALU_DEP_2) | instskip(NEXT) | instid1(VALU_DEP_1)
	v_add_nc_u32_e32 v8, 32, v8
	v_min_u32_e32 v8, v9, v8
	s_delay_alu instid0(VALU_DEP_1) | instskip(NEXT) | instid1(VALU_DEP_1)
	v_lshlrev_b64 v[6:7], v8, v[6:7]
	v_min_u32_e32 v6, 1, v6
	s_delay_alu instid0(VALU_DEP_1) | instskip(SKIP_1) | instid1(VALU_DEP_2)
	v_or_b32_e32 v6, v7, v6
	v_sub_nc_u32_e32 v7, 32, v8
	v_cvt_f32_i32_e32 v6, v6
	s_delay_alu instid0(VALU_DEP_1)
	v_ldexp_f32 v7, v6, v7
	s_branch .LBB472_1211
.LBB472_1208:
	s_mov_b32 s0, -1
                                        ; implicit-def: $vgpr7
	s_branch .LBB472_1217
.LBB472_1209:
	s_mov_b32 s0, -1
                                        ; implicit-def: $vgpr7
	s_branch .LBB472_1214
.LBB472_1210:
	s_mov_b32 s0, -1
                                        ; implicit-def: $vgpr7
.LBB472_1211:
	s_delay_alu instid0(SALU_CYCLE_1)
	s_and_not1_b32 vcc_lo, exec_lo, s0
	s_cbranch_vccnz .LBB472_1213
; %bb.1212:
	global_load_b32 v6, v[0:1], off
	s_waitcnt vmcnt(0)
	v_cvt_f32_i32_e32 v7, v6
.LBB472_1213:
	s_mov_b32 s0, 0
.LBB472_1214:
	s_delay_alu instid0(SALU_CYCLE_1)
	s_and_not1_b32 vcc_lo, exec_lo, s0
	s_cbranch_vccnz .LBB472_1216
; %bb.1215:
	global_load_i16 v6, v[0:1], off
	s_waitcnt vmcnt(0)
	v_cvt_f32_i32_e32 v7, v6
.LBB472_1216:
	s_mov_b32 s0, 0
.LBB472_1217:
	s_delay_alu instid0(SALU_CYCLE_1)
	s_and_not1_b32 vcc_lo, exec_lo, s0
	s_cbranch_vccnz .LBB472_1223
; %bb.1218:
	v_cmp_lt_i16_e32 vcc_lo, 0, v5
	s_mov_b32 s0, 0
	s_cbranch_vccz .LBB472_1220
; %bb.1219:
	global_load_i8 v6, v[0:1], off
	s_waitcnt vmcnt(0)
	v_cvt_f32_i32_e32 v7, v6
	s_branch .LBB472_1221
.LBB472_1220:
	s_mov_b32 s0, -1
                                        ; implicit-def: $vgpr7
.LBB472_1221:
	s_delay_alu instid0(SALU_CYCLE_1)
	s_and_not1_b32 vcc_lo, exec_lo, s0
	s_cbranch_vccnz .LBB472_1223
; %bb.1222:
	global_load_u8 v0, v[0:1], off
	s_waitcnt vmcnt(0)
	v_cvt_f32_ubyte0_e32 v7, v0
.LBB472_1223:
	s_branch .LBB472_1296
.LBB472_1224:
	s_trap 2
	s_sendmsg_rtn_b32 s0, sendmsg(MSG_RTN_GET_DOORBELL)
	s_mov_b32 ttmp2, m0
	s_waitcnt lgkmcnt(0)
	s_and_b32 s0, s0, 0x3ff
	s_delay_alu instid0(SALU_CYCLE_1) | instskip(NEXT) | instid1(SALU_CYCLE_1)
	s_bitset1_b32 s0, 10
	s_mov_b32 m0, s0
	s_sendmsg sendmsg(MSG_INTERRUPT)
	s_mov_b32 m0, ttmp2
.LBB472_1225:                           ; =>This Inner Loop Header: Depth=1
	s_sethalt 5
	s_branch .LBB472_1225
.LBB472_1226:
	s_or_saveexec_b32 s17, s17
                                        ; implicit-def: $sgpr18
	s_delay_alu instid0(SALU_CYCLE_1)
	s_xor_b32 exec_lo, exec_lo, s17
	s_cbranch_execz .LBB472_956
.LBB472_1227:
	v_add_f32_e64 v3, 0x42800000, |v2|
	s_and_not1_b32 s16, s16, exec_lo
	s_mov_b32 s18, 0
	s_delay_alu instid0(VALU_DEP_1) | instskip(NEXT) | instid1(VALU_DEP_1)
	v_and_b32_e32 v3, 0xff, v3
	v_cmp_ne_u32_e32 vcc_lo, 0, v3
	s_and_b32 s19, vcc_lo, exec_lo
	s_delay_alu instid0(SALU_CYCLE_1)
	s_or_b32 s16, s16, s19
	s_or_b32 exec_lo, exec_lo, s17
	v_mov_b32_e32 v4, s18
	s_and_saveexec_b32 s17, s16
	s_cbranch_execnz .LBB472_957
	s_branch .LBB472_958
.LBB472_1228:
	s_mov_b32 s0, -1
	s_mov_b32 s13, 0
.LBB472_1229:
                                        ; implicit-def: $vgpr7
.LBB472_1230:
	s_and_b32 vcc_lo, exec_lo, s14
	s_cbranch_vccz .LBB472_1234
; %bb.1231:
	v_cmp_eq_u16_e32 vcc_lo, 44, v5
	s_cbranch_vccz .LBB472_1233
; %bb.1232:
	global_load_u8 v6, v[0:1], off
	s_mov_b32 s0, 0
	s_mov_b32 s13, -1
	s_waitcnt vmcnt(0)
	v_lshlrev_b32_e32 v7, 23, v6
	v_cmp_ne_u32_e32 vcc_lo, 0xff, v6
	s_delay_alu instid0(VALU_DEP_2) | instskip(SKIP_1) | instid1(VALU_DEP_2)
	v_cndmask_b32_e32 v7, 0x7f800001, v7, vcc_lo
	v_cmp_ne_u32_e32 vcc_lo, 0, v6
	v_cndmask_b32_e32 v7, 0x400000, v7, vcc_lo
	s_branch .LBB472_1234
.LBB472_1233:
	s_mov_b32 s0, -1
                                        ; implicit-def: $vgpr7
.LBB472_1234:
	s_mov_b32 s14, 0
.LBB472_1235:
	s_delay_alu instid0(SALU_CYCLE_1)
	s_and_b32 vcc_lo, exec_lo, s14
	s_cbranch_vccz .LBB472_1239
; %bb.1236:
	v_cmp_eq_u16_e32 vcc_lo, 29, v5
	s_cbranch_vccz .LBB472_1238
; %bb.1237:
	global_load_b64 v[6:7], v[0:1], off
	s_mov_b32 s0, 0
	s_mov_b32 s13, -1
	s_mov_b32 s14, 0
	s_waitcnt vmcnt(0)
	v_clz_i32_u32_e32 v8, v7
	s_delay_alu instid0(VALU_DEP_1) | instskip(NEXT) | instid1(VALU_DEP_1)
	v_min_u32_e32 v8, 32, v8
	v_lshlrev_b64 v[6:7], v8, v[6:7]
	s_delay_alu instid0(VALU_DEP_1) | instskip(NEXT) | instid1(VALU_DEP_1)
	v_min_u32_e32 v6, 1, v6
	v_or_b32_e32 v6, v7, v6
	v_sub_nc_u32_e32 v7, 32, v8
	s_delay_alu instid0(VALU_DEP_2) | instskip(NEXT) | instid1(VALU_DEP_1)
	v_cvt_f32_u32_e32 v6, v6
	v_ldexp_f32 v7, v6, v7
	s_branch .LBB472_1240
.LBB472_1238:
	s_mov_b32 s0, -1
                                        ; implicit-def: $vgpr7
.LBB472_1239:
	s_mov_b32 s14, 0
.LBB472_1240:
	s_delay_alu instid0(SALU_CYCLE_1)
	s_and_b32 vcc_lo, exec_lo, s14
	s_cbranch_vccz .LBB472_1258
; %bb.1241:
	v_cmp_gt_i16_e32 vcc_lo, 27, v5
	s_cbranch_vccnz .LBB472_1244
; %bb.1242:
	v_cmp_lt_i16_e32 vcc_lo, 27, v5
	s_cbranch_vccz .LBB472_1245
; %bb.1243:
	global_load_b32 v6, v[0:1], off
	s_mov_b32 s13, 0
	s_waitcnt vmcnt(0)
	v_cvt_f32_u32_e32 v7, v6
	s_branch .LBB472_1246
.LBB472_1244:
	s_mov_b32 s13, -1
                                        ; implicit-def: $vgpr7
	s_branch .LBB472_1249
.LBB472_1245:
	s_mov_b32 s13, -1
                                        ; implicit-def: $vgpr7
.LBB472_1246:
	s_delay_alu instid0(SALU_CYCLE_1)
	s_and_not1_b32 vcc_lo, exec_lo, s13
	s_cbranch_vccnz .LBB472_1248
; %bb.1247:
	global_load_u16 v6, v[0:1], off
	s_waitcnt vmcnt(0)
	v_cvt_f32_u32_e32 v7, v6
.LBB472_1248:
	s_mov_b32 s13, 0
.LBB472_1249:
	s_delay_alu instid0(SALU_CYCLE_1)
	s_and_not1_b32 vcc_lo, exec_lo, s13
	s_cbranch_vccnz .LBB472_1257
; %bb.1250:
	global_load_u8 v6, v[0:1], off
	s_mov_b32 s13, 0
	s_mov_b32 s15, exec_lo
                                        ; implicit-def: $sgpr14
	s_waitcnt vmcnt(0)
	v_cmpx_lt_i16_e32 0x7f, v6
	s_xor_b32 s15, exec_lo, s15
	s_cbranch_execz .LBB472_1270
; %bb.1251:
	s_mov_b32 s13, -1
	s_mov_b32 s16, exec_lo
                                        ; implicit-def: $sgpr14
	v_cmpx_eq_u16_e32 0x80, v6
; %bb.1252:
	s_mov_b32 s14, 0x7f800001
	s_xor_b32 s13, exec_lo, -1
; %bb.1253:
	s_or_b32 exec_lo, exec_lo, s16
	s_delay_alu instid0(SALU_CYCLE_1)
	s_and_b32 s13, s13, exec_lo
	s_or_saveexec_b32 s15, s15
	v_mov_b32_e32 v7, s14
	s_xor_b32 exec_lo, exec_lo, s15
	s_cbranch_execnz .LBB472_1271
.LBB472_1254:
	s_or_b32 exec_lo, exec_lo, s15
	s_and_saveexec_b32 s14, s13
	s_cbranch_execz .LBB472_1256
.LBB472_1255:
	v_and_b32_e32 v7, 0xffff, v6
	v_lshlrev_b32_e32 v6, 24, v6
	s_delay_alu instid0(VALU_DEP_2) | instskip(NEXT) | instid1(VALU_DEP_2)
	v_and_b32_e32 v8, 7, v7
	v_and_b32_e32 v6, 0x80000000, v6
	s_delay_alu instid0(VALU_DEP_2) | instskip(NEXT) | instid1(VALU_DEP_1)
	v_clz_i32_u32_e32 v9, v8
	v_min_u32_e32 v9, 32, v9
	s_delay_alu instid0(VALU_DEP_1) | instskip(SKIP_1) | instid1(VALU_DEP_2)
	v_subrev_nc_u32_e32 v10, 28, v9
	v_sub_nc_u32_e32 v9, 29, v9
	v_lshlrev_b32_e32 v10, v10, v7
	v_bfe_u32 v7, v7, 3, 4
	s_delay_alu instid0(VALU_DEP_2) | instskip(NEXT) | instid1(VALU_DEP_2)
	v_and_b32_e32 v10, 7, v10
	v_cmp_eq_u32_e32 vcc_lo, 0, v7
	s_delay_alu instid0(VALU_DEP_2) | instskip(NEXT) | instid1(VALU_DEP_1)
	v_dual_cndmask_b32 v7, v7, v9 :: v_dual_cndmask_b32 v8, v8, v10
	v_lshl_add_u32 v7, v7, 23, 0x3b800000
	s_delay_alu instid0(VALU_DEP_2) | instskip(NEXT) | instid1(VALU_DEP_1)
	v_lshlrev_b32_e32 v8, 20, v8
	v_or3_b32 v7, v6, v7, v8
.LBB472_1256:
	s_or_b32 exec_lo, exec_lo, s14
.LBB472_1257:
	s_mov_b32 s13, -1
.LBB472_1258:
	s_branch .LBB472_1291
.LBB472_1259:
	v_cmp_lt_i16_e32 vcc_lo, 22, v5
	s_cbranch_vccz .LBB472_1269
; %bb.1260:
	v_cmp_gt_i16_e32 vcc_lo, 24, v5
	s_cbranch_vccnz .LBB472_1272
; %bb.1261:
	v_cmp_lt_i16_e32 vcc_lo, 24, v5
	s_cbranch_vccz .LBB472_1273
; %bb.1262:
	global_load_u8 v6, v[0:1], off
	s_mov_b32 s14, exec_lo
                                        ; implicit-def: $sgpr13
	s_waitcnt vmcnt(0)
	v_cmpx_lt_i16_e32 0x7f, v6
	s_xor_b32 s14, exec_lo, s14
	s_cbranch_execz .LBB472_1285
; %bb.1263:
	s_mov_b32 s12, -1
	s_mov_b32 s15, exec_lo
                                        ; implicit-def: $sgpr13
	v_cmpx_eq_u16_e32 0x80, v6
; %bb.1264:
	s_mov_b32 s13, 0x7f800001
	s_xor_b32 s12, exec_lo, -1
; %bb.1265:
	s_or_b32 exec_lo, exec_lo, s15
	s_delay_alu instid0(SALU_CYCLE_1)
	s_and_b32 s12, s12, exec_lo
	s_or_saveexec_b32 s14, s14
	v_mov_b32_e32 v7, s13
	s_xor_b32 exec_lo, exec_lo, s14
	s_cbranch_execnz .LBB472_1286
.LBB472_1266:
	s_or_b32 exec_lo, exec_lo, s14
	s_and_saveexec_b32 s13, s12
	s_cbranch_execz .LBB472_1268
.LBB472_1267:
	v_and_b32_e32 v7, 0xffff, v6
	v_lshlrev_b32_e32 v6, 24, v6
	s_delay_alu instid0(VALU_DEP_2) | instskip(NEXT) | instid1(VALU_DEP_2)
	v_and_b32_e32 v8, 3, v7
	v_and_b32_e32 v6, 0x80000000, v6
	s_delay_alu instid0(VALU_DEP_2) | instskip(NEXT) | instid1(VALU_DEP_1)
	v_clz_i32_u32_e32 v9, v8
	v_min_u32_e32 v9, 32, v9
	s_delay_alu instid0(VALU_DEP_1) | instskip(SKIP_1) | instid1(VALU_DEP_2)
	v_subrev_nc_u32_e32 v10, 29, v9
	v_sub_nc_u32_e32 v9, 30, v9
	v_lshlrev_b32_e32 v10, v10, v7
	v_bfe_u32 v7, v7, 2, 5
	s_delay_alu instid0(VALU_DEP_2) | instskip(NEXT) | instid1(VALU_DEP_2)
	v_and_b32_e32 v10, 3, v10
	v_cmp_eq_u32_e32 vcc_lo, 0, v7
	s_delay_alu instid0(VALU_DEP_2) | instskip(NEXT) | instid1(VALU_DEP_1)
	v_dual_cndmask_b32 v7, v7, v9 :: v_dual_cndmask_b32 v8, v8, v10
	v_lshl_add_u32 v7, v7, 23, 0x37800000
	s_delay_alu instid0(VALU_DEP_2) | instskip(NEXT) | instid1(VALU_DEP_1)
	v_lshlrev_b32_e32 v8, 21, v8
	v_or3_b32 v7, v6, v7, v8
.LBB472_1268:
	s_or_b32 exec_lo, exec_lo, s13
	s_mov_b32 s12, 0
	s_branch .LBB472_1274
.LBB472_1269:
	s_mov_b32 s12, -1
                                        ; implicit-def: $vgpr7
	s_branch .LBB472_1280
.LBB472_1270:
	s_or_saveexec_b32 s15, s15
	v_mov_b32_e32 v7, s14
	s_xor_b32 exec_lo, exec_lo, s15
	s_cbranch_execz .LBB472_1254
.LBB472_1271:
	v_cmp_ne_u16_e32 vcc_lo, 0, v6
	v_mov_b32_e32 v7, 0
	s_and_not1_b32 s13, s13, exec_lo
	s_and_b32 s14, vcc_lo, exec_lo
	s_delay_alu instid0(SALU_CYCLE_1)
	s_or_b32 s13, s13, s14
	s_or_b32 exec_lo, exec_lo, s15
	s_and_saveexec_b32 s14, s13
	s_cbranch_execnz .LBB472_1255
	s_branch .LBB472_1256
.LBB472_1272:
	s_mov_b32 s12, -1
                                        ; implicit-def: $vgpr7
	s_branch .LBB472_1277
.LBB472_1273:
	s_mov_b32 s12, -1
                                        ; implicit-def: $vgpr7
.LBB472_1274:
	s_delay_alu instid0(SALU_CYCLE_1)
	s_and_b32 vcc_lo, exec_lo, s12
	s_cbranch_vccz .LBB472_1276
; %bb.1275:
	global_load_u8 v6, v[0:1], off
	s_waitcnt vmcnt(0)
	v_lshlrev_b32_e32 v6, 24, v6
	s_delay_alu instid0(VALU_DEP_1) | instskip(NEXT) | instid1(VALU_DEP_1)
	v_and_b32_e32 v7, 0x7f000000, v6
	v_clz_i32_u32_e32 v8, v7
	v_add_nc_u32_e32 v10, 0x1000000, v7
	v_cmp_ne_u32_e32 vcc_lo, 0, v7
	s_delay_alu instid0(VALU_DEP_3) | instskip(NEXT) | instid1(VALU_DEP_1)
	v_min_u32_e32 v8, 32, v8
	v_sub_nc_u32_e64 v8, v8, 4 clamp
	s_delay_alu instid0(VALU_DEP_1) | instskip(SKIP_1) | instid1(VALU_DEP_2)
	v_lshlrev_b32_e32 v9, v8, v7
	v_lshlrev_b32_e32 v8, 23, v8
	v_lshrrev_b32_e32 v9, 4, v9
	s_delay_alu instid0(VALU_DEP_1) | instskip(SKIP_1) | instid1(VALU_DEP_2)
	v_sub_nc_u32_e32 v8, v9, v8
	v_ashrrev_i32_e32 v9, 8, v10
	v_add_nc_u32_e32 v8, 0x3c000000, v8
	s_delay_alu instid0(VALU_DEP_1) | instskip(NEXT) | instid1(VALU_DEP_1)
	v_and_or_b32 v8, 0x7f800000, v9, v8
	v_cndmask_b32_e32 v7, 0, v8, vcc_lo
	s_delay_alu instid0(VALU_DEP_1)
	v_and_or_b32 v7, 0x80000000, v6, v7
.LBB472_1276:
	s_mov_b32 s12, 0
.LBB472_1277:
	s_delay_alu instid0(SALU_CYCLE_1)
	s_and_not1_b32 vcc_lo, exec_lo, s12
	s_cbranch_vccnz .LBB472_1279
; %bb.1278:
	global_load_u8 v6, v[0:1], off
	s_waitcnt vmcnt(0)
	v_lshlrev_b32_e32 v7, 25, v6
	v_lshlrev_b16 v6, 8, v6
	s_delay_alu instid0(VALU_DEP_2) | instskip(NEXT) | instid1(VALU_DEP_2)
	v_lshrrev_b32_e32 v8, 4, v7
	v_and_or_b32 v9, 0x7f00, v6, 0.5
	v_bfe_i32 v6, v6, 0, 16
	s_delay_alu instid0(VALU_DEP_3) | instskip(NEXT) | instid1(VALU_DEP_1)
	v_or_b32_e32 v8, 0x70000000, v8
	v_dual_add_f32 v9, -0.5, v9 :: v_dual_mul_f32 v8, 0x7800000, v8
	v_cmp_gt_u32_e32 vcc_lo, 0x8000000, v7
	s_delay_alu instid0(VALU_DEP_2) | instskip(NEXT) | instid1(VALU_DEP_1)
	v_cndmask_b32_e32 v7, v8, v9, vcc_lo
	v_and_or_b32 v7, 0x80000000, v6, v7
.LBB472_1279:
	s_mov_b32 s12, 0
	s_mov_b32 s13, -1
.LBB472_1280:
	s_and_not1_b32 vcc_lo, exec_lo, s12
	s_mov_b32 s12, 0
	s_cbranch_vccnz .LBB472_1291
; %bb.1281:
	v_cmp_lt_i16_e32 vcc_lo, 14, v5
	s_cbranch_vccz .LBB472_1284
; %bb.1282:
	v_cmp_eq_u16_e32 vcc_lo, 15, v5
	s_cbranch_vccz .LBB472_1287
; %bb.1283:
	global_load_u16 v6, v[0:1], off
	s_mov_b32 s0, 0
	s_mov_b32 s13, -1
	s_waitcnt vmcnt(0)
	v_lshlrev_b32_e32 v7, 16, v6
	s_branch .LBB472_1289
.LBB472_1284:
	s_mov_b32 s12, -1
	s_branch .LBB472_1288
.LBB472_1285:
	s_or_saveexec_b32 s14, s14
	v_mov_b32_e32 v7, s13
	s_xor_b32 exec_lo, exec_lo, s14
	s_cbranch_execz .LBB472_1266
.LBB472_1286:
	v_cmp_ne_u16_e32 vcc_lo, 0, v6
	v_mov_b32_e32 v7, 0
	s_and_not1_b32 s12, s12, exec_lo
	s_and_b32 s13, vcc_lo, exec_lo
	s_delay_alu instid0(SALU_CYCLE_1)
	s_or_b32 s12, s12, s13
	s_or_b32 exec_lo, exec_lo, s14
	s_and_saveexec_b32 s13, s12
	s_cbranch_execnz .LBB472_1267
	s_branch .LBB472_1268
.LBB472_1287:
	s_mov_b32 s0, -1
.LBB472_1288:
                                        ; implicit-def: $vgpr7
.LBB472_1289:
	s_and_b32 vcc_lo, exec_lo, s12
	s_mov_b32 s12, 0
	s_cbranch_vccz .LBB472_1291
; %bb.1290:
	v_cmp_ne_u16_e64 s0, 11, v5
	s_mov_b32 s12, -1
                                        ; implicit-def: $vgpr7
.LBB472_1291:
	s_delay_alu instid0(VALU_DEP_1)
	s_and_b32 vcc_lo, exec_lo, s0
	s_cbranch_vccnz .LBB472_1315
; %bb.1292:
	s_and_not1_b32 vcc_lo, exec_lo, s12
	s_cbranch_vccnz .LBB472_1294
.LBB472_1293:
	global_load_u8 v6, v[0:1], off
	s_mov_b32 s13, -1
	s_waitcnt vmcnt(0)
	v_cmp_ne_u16_e32 vcc_lo, 0, v6
	v_cndmask_b32_e64 v7, 0, 1.0, vcc_lo
.LBB472_1294:
.LBB472_1295:
	s_and_not1_b32 vcc_lo, exec_lo, s13
	s_cbranch_vccnz .LBB472_1996
.LBB472_1296:
	v_add_nc_u32_e32 v3, s9, v3
	v_cmp_gt_i16_e32 vcc_lo, 11, v5
	s_delay_alu instid0(VALU_DEP_2) | instskip(SKIP_1) | instid1(VALU_DEP_1)
	v_ashrrev_i32_e32 v1, 31, v3
	v_add_co_u32 v0, s0, s6, v3
	v_add_co_ci_u32_e64 v1, s0, s7, v1, s0
	s_cbranch_vccnz .LBB472_1303
; %bb.1297:
	v_cmp_lt_i16_e32 vcc_lo, 25, v5
	s_mov_b32 s12, 0
	s_cbranch_vccz .LBB472_1309
; %bb.1298:
	v_cmp_lt_i16_e32 vcc_lo, 28, v5
	s_cbranch_vccz .LBB472_1311
; %bb.1299:
	v_cmp_lt_i16_e32 vcc_lo, 43, v5
	;; [unrolled: 3-line block ×3, first 2 shown]
	s_cbranch_vccz .LBB472_1317
; %bb.1301:
	v_cmp_eq_u16_e32 vcc_lo, 46, v5
	s_mov_b32 s14, 0
	s_cbranch_vccz .LBB472_1360
; %bb.1302:
	global_load_b32 v6, v[0:1], off
	s_mov_b32 s0, 0
	s_mov_b32 s13, -1
	s_waitcnt vmcnt(0)
	v_lshlrev_b32_e32 v8, 16, v6
	s_branch .LBB472_1362
.LBB472_1303:
	s_mov_b32 s13, 0
                                        ; implicit-def: $vgpr8
	s_cbranch_execz .LBB472_1428
; %bb.1304:
	v_cmp_gt_i16_e32 vcc_lo, 5, v5
	s_cbranch_vccnz .LBB472_1310
; %bb.1305:
	v_cmp_gt_i16_e32 vcc_lo, 8, v5
	s_cbranch_vccnz .LBB472_1312
	;; [unrolled: 3-line block ×3, first 2 shown]
; %bb.1307:
	v_cmp_lt_i16_e32 vcc_lo, 9, v5
	s_cbranch_vccz .LBB472_1318
; %bb.1308:
	global_load_b64 v[8:9], v[0:1], off
	s_mov_b32 s0, 0
	s_waitcnt vmcnt(0)
	v_cvt_f32_f64_e32 v8, v[8:9]
	s_branch .LBB472_1319
.LBB472_1309:
	s_mov_b32 s14, -1
	s_mov_b32 s13, 0
	s_mov_b32 s0, 0
                                        ; implicit-def: $vgpr8
	s_branch .LBB472_1391
.LBB472_1310:
	s_mov_b32 s0, -1
                                        ; implicit-def: $vgpr8
	s_branch .LBB472_1337
.LBB472_1311:
	s_mov_b32 s14, -1
	s_mov_b32 s13, 0
	s_mov_b32 s0, 0
                                        ; implicit-def: $vgpr8
	s_branch .LBB472_1372
.LBB472_1312:
	s_mov_b32 s0, -1
                                        ; implicit-def: $vgpr8
	s_branch .LBB472_1325
.LBB472_1313:
	s_mov_b32 s14, -1
	s_mov_b32 s13, 0
	s_mov_b32 s0, 0
                                        ; implicit-def: $vgpr8
	s_branch .LBB472_1367
.LBB472_1314:
	s_mov_b32 s0, -1
                                        ; implicit-def: $vgpr8
	s_branch .LBB472_1322
.LBB472_1315:
	s_cbranch_execnz .LBB472_1358
; %bb.1316:
	s_or_b32 s1, s1, exec_lo
                                        ; implicit-def: $vgpr7
	s_cbranch_execz .LBB472_1293
	s_branch .LBB472_1294
.LBB472_1317:
	s_mov_b32 s14, -1
	s_mov_b32 s13, 0
	s_mov_b32 s0, 0
	s_branch .LBB472_1361
.LBB472_1318:
	s_mov_b32 s0, -1
                                        ; implicit-def: $vgpr8
.LBB472_1319:
	s_delay_alu instid0(SALU_CYCLE_1)
	s_and_not1_b32 vcc_lo, exec_lo, s0
	s_cbranch_vccnz .LBB472_1321
; %bb.1320:
	global_load_b32 v8, v[0:1], off
.LBB472_1321:
	s_mov_b32 s0, 0
.LBB472_1322:
	s_delay_alu instid0(SALU_CYCLE_1)
	s_and_not1_b32 vcc_lo, exec_lo, s0
	s_cbranch_vccnz .LBB472_1324
; %bb.1323:
	global_load_b32 v6, v[0:1], off
	s_waitcnt vmcnt(0)
	v_cvt_f32_f16_e32 v8, v6
.LBB472_1324:
	s_mov_b32 s0, 0
.LBB472_1325:
	s_delay_alu instid0(SALU_CYCLE_1)
	s_and_not1_b32 vcc_lo, exec_lo, s0
	s_cbranch_vccnz .LBB472_1336
; %bb.1326:
	v_cmp_gt_i16_e32 vcc_lo, 6, v5
	s_cbranch_vccnz .LBB472_1329
; %bb.1327:
	v_cmp_lt_i16_e32 vcc_lo, 6, v5
	s_cbranch_vccz .LBB472_1330
; %bb.1328:
	global_load_b64 v[8:9], v[0:1], off
	s_mov_b32 s0, 0
	s_waitcnt vmcnt(0)
	v_cvt_f32_f64_e32 v8, v[8:9]
	s_branch .LBB472_1331
.LBB472_1329:
	s_mov_b32 s0, -1
                                        ; implicit-def: $vgpr8
	s_branch .LBB472_1334
.LBB472_1330:
	s_mov_b32 s0, -1
                                        ; implicit-def: $vgpr8
.LBB472_1331:
	s_delay_alu instid0(SALU_CYCLE_1)
	s_and_not1_b32 vcc_lo, exec_lo, s0
	s_cbranch_vccnz .LBB472_1333
; %bb.1332:
	global_load_b32 v8, v[0:1], off
.LBB472_1333:
	s_mov_b32 s0, 0
.LBB472_1334:
	s_delay_alu instid0(SALU_CYCLE_1)
	s_and_not1_b32 vcc_lo, exec_lo, s0
	s_cbranch_vccnz .LBB472_1336
; %bb.1335:
	global_load_u16 v6, v[0:1], off
	s_waitcnt vmcnt(0)
	v_cvt_f32_f16_e32 v8, v6
.LBB472_1336:
	s_mov_b32 s0, 0
.LBB472_1337:
	s_delay_alu instid0(SALU_CYCLE_1)
	s_and_not1_b32 vcc_lo, exec_lo, s0
	s_cbranch_vccnz .LBB472_1357
; %bb.1338:
	v_cmp_gt_i16_e32 vcc_lo, 2, v5
	s_cbranch_vccnz .LBB472_1342
; %bb.1339:
	v_cmp_gt_i16_e32 vcc_lo, 3, v5
	s_cbranch_vccnz .LBB472_1343
; %bb.1340:
	v_cmp_lt_i16_e32 vcc_lo, 3, v5
	s_cbranch_vccz .LBB472_1344
; %bb.1341:
	global_load_b64 v[8:9], v[0:1], off
	s_mov_b32 s0, 0
	s_waitcnt vmcnt(0)
	v_xor_b32_e32 v6, v8, v9
	v_cls_i32_e32 v10, v9
	s_delay_alu instid0(VALU_DEP_2) | instskip(NEXT) | instid1(VALU_DEP_2)
	v_ashrrev_i32_e32 v6, 31, v6
	v_add_nc_u32_e32 v10, -1, v10
	s_delay_alu instid0(VALU_DEP_2) | instskip(NEXT) | instid1(VALU_DEP_1)
	v_add_nc_u32_e32 v6, 32, v6
	v_min_u32_e32 v6, v10, v6
	s_delay_alu instid0(VALU_DEP_1) | instskip(SKIP_1) | instid1(VALU_DEP_2)
	v_lshlrev_b64 v[8:9], v6, v[8:9]
	v_sub_nc_u32_e32 v6, 32, v6
	v_min_u32_e32 v8, 1, v8
	s_delay_alu instid0(VALU_DEP_1) | instskip(NEXT) | instid1(VALU_DEP_1)
	v_or_b32_e32 v8, v9, v8
	v_cvt_f32_i32_e32 v8, v8
	s_delay_alu instid0(VALU_DEP_1)
	v_ldexp_f32 v8, v8, v6
	s_branch .LBB472_1345
.LBB472_1342:
	s_mov_b32 s0, -1
                                        ; implicit-def: $vgpr8
	s_branch .LBB472_1351
.LBB472_1343:
	s_mov_b32 s0, -1
                                        ; implicit-def: $vgpr8
	s_branch .LBB472_1348
.LBB472_1344:
	s_mov_b32 s0, -1
                                        ; implicit-def: $vgpr8
.LBB472_1345:
	s_delay_alu instid0(SALU_CYCLE_1)
	s_and_not1_b32 vcc_lo, exec_lo, s0
	s_cbranch_vccnz .LBB472_1347
; %bb.1346:
	global_load_b32 v6, v[0:1], off
	s_waitcnt vmcnt(0)
	v_cvt_f32_i32_e32 v8, v6
.LBB472_1347:
	s_mov_b32 s0, 0
.LBB472_1348:
	s_delay_alu instid0(SALU_CYCLE_1)
	s_and_not1_b32 vcc_lo, exec_lo, s0
	s_cbranch_vccnz .LBB472_1350
; %bb.1349:
	global_load_i16 v6, v[0:1], off
	s_waitcnt vmcnt(0)
	v_cvt_f32_i32_e32 v8, v6
.LBB472_1350:
	s_mov_b32 s0, 0
.LBB472_1351:
	s_delay_alu instid0(SALU_CYCLE_1)
	s_and_not1_b32 vcc_lo, exec_lo, s0
	s_cbranch_vccnz .LBB472_1357
; %bb.1352:
	v_cmp_lt_i16_e32 vcc_lo, 0, v5
	s_mov_b32 s0, 0
	s_cbranch_vccz .LBB472_1354
; %bb.1353:
	global_load_i8 v6, v[0:1], off
	s_waitcnt vmcnt(0)
	v_cvt_f32_i32_e32 v8, v6
	s_branch .LBB472_1355
.LBB472_1354:
	s_mov_b32 s0, -1
                                        ; implicit-def: $vgpr8
.LBB472_1355:
	s_delay_alu instid0(SALU_CYCLE_1)
	s_and_not1_b32 vcc_lo, exec_lo, s0
	s_cbranch_vccnz .LBB472_1357
; %bb.1356:
	global_load_u8 v0, v[0:1], off
	s_waitcnt vmcnt(0)
	v_cvt_f32_ubyte0_e32 v8, v0
.LBB472_1357:
	s_branch .LBB472_1429
.LBB472_1358:
	s_trap 2
	s_sendmsg_rtn_b32 s0, sendmsg(MSG_RTN_GET_DOORBELL)
	s_mov_b32 ttmp2, m0
	s_waitcnt lgkmcnt(0)
	s_and_b32 s0, s0, 0x3ff
	s_delay_alu instid0(SALU_CYCLE_1) | instskip(NEXT) | instid1(SALU_CYCLE_1)
	s_bitset1_b32 s0, 10
	s_mov_b32 m0, s0
	s_sendmsg sendmsg(MSG_INTERRUPT)
	s_mov_b32 m0, ttmp2
.LBB472_1359:                           ; =>This Inner Loop Header: Depth=1
	s_sethalt 5
	s_branch .LBB472_1359
.LBB472_1360:
	s_mov_b32 s0, -1
	s_mov_b32 s13, 0
.LBB472_1361:
                                        ; implicit-def: $vgpr8
.LBB472_1362:
	s_and_b32 vcc_lo, exec_lo, s14
	s_cbranch_vccz .LBB472_1366
; %bb.1363:
	v_cmp_eq_u16_e32 vcc_lo, 44, v5
	s_cbranch_vccz .LBB472_1365
; %bb.1364:
	global_load_u8 v6, v[0:1], off
	s_mov_b32 s0, 0
	s_mov_b32 s13, -1
	s_waitcnt vmcnt(0)
	v_lshlrev_b32_e32 v8, 23, v6
	v_cmp_ne_u32_e32 vcc_lo, 0xff, v6
	s_delay_alu instid0(VALU_DEP_2) | instskip(SKIP_1) | instid1(VALU_DEP_2)
	v_cndmask_b32_e32 v8, 0x7f800001, v8, vcc_lo
	v_cmp_ne_u32_e32 vcc_lo, 0, v6
	v_cndmask_b32_e32 v8, 0x400000, v8, vcc_lo
	s_branch .LBB472_1366
.LBB472_1365:
	s_mov_b32 s0, -1
                                        ; implicit-def: $vgpr8
.LBB472_1366:
	s_mov_b32 s14, 0
.LBB472_1367:
	s_delay_alu instid0(SALU_CYCLE_1)
	s_and_b32 vcc_lo, exec_lo, s14
	s_cbranch_vccz .LBB472_1371
; %bb.1368:
	v_cmp_eq_u16_e32 vcc_lo, 29, v5
	s_cbranch_vccz .LBB472_1370
; %bb.1369:
	global_load_b64 v[8:9], v[0:1], off
	s_mov_b32 s0, 0
	s_mov_b32 s13, -1
	s_mov_b32 s14, 0
	s_waitcnt vmcnt(0)
	v_clz_i32_u32_e32 v6, v9
	s_delay_alu instid0(VALU_DEP_1) | instskip(NEXT) | instid1(VALU_DEP_1)
	v_min_u32_e32 v6, 32, v6
	v_lshlrev_b64 v[8:9], v6, v[8:9]
	v_sub_nc_u32_e32 v6, 32, v6
	s_delay_alu instid0(VALU_DEP_2) | instskip(NEXT) | instid1(VALU_DEP_1)
	v_min_u32_e32 v8, 1, v8
	v_or_b32_e32 v8, v9, v8
	s_delay_alu instid0(VALU_DEP_1) | instskip(NEXT) | instid1(VALU_DEP_1)
	v_cvt_f32_u32_e32 v8, v8
	v_ldexp_f32 v8, v8, v6
	s_branch .LBB472_1372
.LBB472_1370:
	s_mov_b32 s0, -1
                                        ; implicit-def: $vgpr8
.LBB472_1371:
	s_mov_b32 s14, 0
.LBB472_1372:
	s_delay_alu instid0(SALU_CYCLE_1)
	s_and_b32 vcc_lo, exec_lo, s14
	s_cbranch_vccz .LBB472_1390
; %bb.1373:
	v_cmp_gt_i16_e32 vcc_lo, 27, v5
	s_cbranch_vccnz .LBB472_1376
; %bb.1374:
	v_cmp_lt_i16_e32 vcc_lo, 27, v5
	s_cbranch_vccz .LBB472_1377
; %bb.1375:
	global_load_b32 v6, v[0:1], off
	s_mov_b32 s13, 0
	s_waitcnt vmcnt(0)
	v_cvt_f32_u32_e32 v8, v6
	s_branch .LBB472_1378
.LBB472_1376:
	s_mov_b32 s13, -1
                                        ; implicit-def: $vgpr8
	s_branch .LBB472_1381
.LBB472_1377:
	s_mov_b32 s13, -1
                                        ; implicit-def: $vgpr8
.LBB472_1378:
	s_delay_alu instid0(SALU_CYCLE_1)
	s_and_not1_b32 vcc_lo, exec_lo, s13
	s_cbranch_vccnz .LBB472_1380
; %bb.1379:
	global_load_u16 v6, v[0:1], off
	s_waitcnt vmcnt(0)
	v_cvt_f32_u32_e32 v8, v6
.LBB472_1380:
	s_mov_b32 s13, 0
.LBB472_1381:
	s_delay_alu instid0(SALU_CYCLE_1)
	s_and_not1_b32 vcc_lo, exec_lo, s13
	s_cbranch_vccnz .LBB472_1389
; %bb.1382:
	global_load_u8 v6, v[0:1], off
	s_mov_b32 s13, 0
	s_mov_b32 s15, exec_lo
                                        ; implicit-def: $sgpr14
	s_waitcnt vmcnt(0)
	v_cmpx_lt_i16_e32 0x7f, v6
	s_xor_b32 s15, exec_lo, s15
	s_cbranch_execz .LBB472_1403
; %bb.1383:
	s_mov_b32 s13, -1
	s_mov_b32 s16, exec_lo
                                        ; implicit-def: $sgpr14
	v_cmpx_eq_u16_e32 0x80, v6
; %bb.1384:
	s_mov_b32 s14, 0x7f800001
	s_xor_b32 s13, exec_lo, -1
; %bb.1385:
	s_or_b32 exec_lo, exec_lo, s16
	s_delay_alu instid0(SALU_CYCLE_1)
	s_and_b32 s13, s13, exec_lo
	s_or_saveexec_b32 s15, s15
	v_mov_b32_e32 v8, s14
	s_xor_b32 exec_lo, exec_lo, s15
	s_cbranch_execnz .LBB472_1404
.LBB472_1386:
	s_or_b32 exec_lo, exec_lo, s15
	s_and_saveexec_b32 s14, s13
	s_cbranch_execz .LBB472_1388
.LBB472_1387:
	v_and_b32_e32 v8, 0xffff, v6
	v_lshlrev_b32_e32 v6, 24, v6
	s_delay_alu instid0(VALU_DEP_2) | instskip(NEXT) | instid1(VALU_DEP_2)
	v_and_b32_e32 v9, 7, v8
	v_and_b32_e32 v6, 0x80000000, v6
	s_delay_alu instid0(VALU_DEP_2) | instskip(NEXT) | instid1(VALU_DEP_1)
	v_clz_i32_u32_e32 v10, v9
	v_min_u32_e32 v10, 32, v10
	s_delay_alu instid0(VALU_DEP_1) | instskip(SKIP_1) | instid1(VALU_DEP_2)
	v_subrev_nc_u32_e32 v11, 28, v10
	v_sub_nc_u32_e32 v10, 29, v10
	v_lshlrev_b32_e32 v11, v11, v8
	v_bfe_u32 v8, v8, 3, 4
	s_delay_alu instid0(VALU_DEP_2) | instskip(NEXT) | instid1(VALU_DEP_2)
	v_and_b32_e32 v11, 7, v11
	v_cmp_eq_u32_e32 vcc_lo, 0, v8
	s_delay_alu instid0(VALU_DEP_2) | instskip(NEXT) | instid1(VALU_DEP_1)
	v_dual_cndmask_b32 v8, v8, v10 :: v_dual_cndmask_b32 v9, v9, v11
	v_lshl_add_u32 v8, v8, 23, 0x3b800000
	s_delay_alu instid0(VALU_DEP_2) | instskip(NEXT) | instid1(VALU_DEP_1)
	v_lshlrev_b32_e32 v9, 20, v9
	v_or3_b32 v8, v6, v8, v9
.LBB472_1388:
	s_or_b32 exec_lo, exec_lo, s14
.LBB472_1389:
	s_mov_b32 s13, -1
.LBB472_1390:
	s_mov_b32 s14, 0
.LBB472_1391:
	s_delay_alu instid0(SALU_CYCLE_1)
	s_and_b32 vcc_lo, exec_lo, s14
	s_cbranch_vccz .LBB472_1424
; %bb.1392:
	v_cmp_lt_i16_e32 vcc_lo, 22, v5
	s_cbranch_vccz .LBB472_1402
; %bb.1393:
	v_cmp_gt_i16_e32 vcc_lo, 24, v5
	s_cbranch_vccnz .LBB472_1405
; %bb.1394:
	v_cmp_lt_i16_e32 vcc_lo, 24, v5
	s_cbranch_vccz .LBB472_1406
; %bb.1395:
	global_load_u8 v6, v[0:1], off
	s_mov_b32 s14, exec_lo
                                        ; implicit-def: $sgpr13
	s_waitcnt vmcnt(0)
	v_cmpx_lt_i16_e32 0x7f, v6
	s_xor_b32 s14, exec_lo, s14
	s_cbranch_execz .LBB472_1418
; %bb.1396:
	s_mov_b32 s12, -1
	s_mov_b32 s15, exec_lo
                                        ; implicit-def: $sgpr13
	v_cmpx_eq_u16_e32 0x80, v6
; %bb.1397:
	s_mov_b32 s13, 0x7f800001
	s_xor_b32 s12, exec_lo, -1
; %bb.1398:
	s_or_b32 exec_lo, exec_lo, s15
	s_delay_alu instid0(SALU_CYCLE_1)
	s_and_b32 s12, s12, exec_lo
	s_or_saveexec_b32 s14, s14
	v_mov_b32_e32 v8, s13
	s_xor_b32 exec_lo, exec_lo, s14
	s_cbranch_execnz .LBB472_1419
.LBB472_1399:
	s_or_b32 exec_lo, exec_lo, s14
	s_and_saveexec_b32 s13, s12
	s_cbranch_execz .LBB472_1401
.LBB472_1400:
	v_and_b32_e32 v8, 0xffff, v6
	v_lshlrev_b32_e32 v6, 24, v6
	s_delay_alu instid0(VALU_DEP_2) | instskip(NEXT) | instid1(VALU_DEP_2)
	v_and_b32_e32 v9, 3, v8
	v_and_b32_e32 v6, 0x80000000, v6
	s_delay_alu instid0(VALU_DEP_2) | instskip(NEXT) | instid1(VALU_DEP_1)
	v_clz_i32_u32_e32 v10, v9
	v_min_u32_e32 v10, 32, v10
	s_delay_alu instid0(VALU_DEP_1) | instskip(SKIP_1) | instid1(VALU_DEP_2)
	v_subrev_nc_u32_e32 v11, 29, v10
	v_sub_nc_u32_e32 v10, 30, v10
	v_lshlrev_b32_e32 v11, v11, v8
	v_bfe_u32 v8, v8, 2, 5
	s_delay_alu instid0(VALU_DEP_2) | instskip(NEXT) | instid1(VALU_DEP_2)
	v_and_b32_e32 v11, 3, v11
	v_cmp_eq_u32_e32 vcc_lo, 0, v8
	s_delay_alu instid0(VALU_DEP_2) | instskip(NEXT) | instid1(VALU_DEP_1)
	v_dual_cndmask_b32 v8, v8, v10 :: v_dual_cndmask_b32 v9, v9, v11
	v_lshl_add_u32 v8, v8, 23, 0x37800000
	s_delay_alu instid0(VALU_DEP_2) | instskip(NEXT) | instid1(VALU_DEP_1)
	v_lshlrev_b32_e32 v9, 21, v9
	v_or3_b32 v8, v6, v8, v9
.LBB472_1401:
	s_or_b32 exec_lo, exec_lo, s13
	s_mov_b32 s12, 0
	s_branch .LBB472_1407
.LBB472_1402:
	s_mov_b32 s12, -1
                                        ; implicit-def: $vgpr8
	s_branch .LBB472_1413
.LBB472_1403:
	s_or_saveexec_b32 s15, s15
	v_mov_b32_e32 v8, s14
	s_xor_b32 exec_lo, exec_lo, s15
	s_cbranch_execz .LBB472_1386
.LBB472_1404:
	v_cmp_ne_u16_e32 vcc_lo, 0, v6
	v_mov_b32_e32 v8, 0
	s_and_not1_b32 s13, s13, exec_lo
	s_and_b32 s14, vcc_lo, exec_lo
	s_delay_alu instid0(SALU_CYCLE_1)
	s_or_b32 s13, s13, s14
	s_or_b32 exec_lo, exec_lo, s15
	s_and_saveexec_b32 s14, s13
	s_cbranch_execnz .LBB472_1387
	s_branch .LBB472_1388
.LBB472_1405:
	s_mov_b32 s12, -1
                                        ; implicit-def: $vgpr8
	s_branch .LBB472_1410
.LBB472_1406:
	s_mov_b32 s12, -1
                                        ; implicit-def: $vgpr8
.LBB472_1407:
	s_delay_alu instid0(SALU_CYCLE_1)
	s_and_b32 vcc_lo, exec_lo, s12
	s_cbranch_vccz .LBB472_1409
; %bb.1408:
	global_load_u8 v6, v[0:1], off
	s_waitcnt vmcnt(0)
	v_lshlrev_b32_e32 v6, 24, v6
	s_delay_alu instid0(VALU_DEP_1) | instskip(NEXT) | instid1(VALU_DEP_1)
	v_and_b32_e32 v8, 0x7f000000, v6
	v_clz_i32_u32_e32 v9, v8
	v_cmp_ne_u32_e32 vcc_lo, 0, v8
	v_add_nc_u32_e32 v11, 0x1000000, v8
	s_delay_alu instid0(VALU_DEP_3) | instskip(NEXT) | instid1(VALU_DEP_1)
	v_min_u32_e32 v9, 32, v9
	v_sub_nc_u32_e64 v9, v9, 4 clamp
	s_delay_alu instid0(VALU_DEP_1) | instskip(SKIP_1) | instid1(VALU_DEP_2)
	v_lshlrev_b32_e32 v10, v9, v8
	v_lshlrev_b32_e32 v9, 23, v9
	v_lshrrev_b32_e32 v10, 4, v10
	s_delay_alu instid0(VALU_DEP_1) | instskip(SKIP_1) | instid1(VALU_DEP_2)
	v_sub_nc_u32_e32 v9, v10, v9
	v_ashrrev_i32_e32 v10, 8, v11
	v_add_nc_u32_e32 v9, 0x3c000000, v9
	s_delay_alu instid0(VALU_DEP_1) | instskip(NEXT) | instid1(VALU_DEP_1)
	v_and_or_b32 v9, 0x7f800000, v10, v9
	v_cndmask_b32_e32 v8, 0, v9, vcc_lo
	s_delay_alu instid0(VALU_DEP_1)
	v_and_or_b32 v8, 0x80000000, v6, v8
.LBB472_1409:
	s_mov_b32 s12, 0
.LBB472_1410:
	s_delay_alu instid0(SALU_CYCLE_1)
	s_and_not1_b32 vcc_lo, exec_lo, s12
	s_cbranch_vccnz .LBB472_1412
; %bb.1411:
	global_load_u8 v6, v[0:1], off
	s_waitcnt vmcnt(0)
	v_lshlrev_b32_e32 v8, 25, v6
	v_lshlrev_b16 v6, 8, v6
	s_delay_alu instid0(VALU_DEP_2) | instskip(NEXT) | instid1(VALU_DEP_2)
	v_lshrrev_b32_e32 v9, 4, v8
	v_and_or_b32 v10, 0x7f00, v6, 0.5
	v_bfe_i32 v6, v6, 0, 16
	s_delay_alu instid0(VALU_DEP_3) | instskip(NEXT) | instid1(VALU_DEP_1)
	v_or_b32_e32 v9, 0x70000000, v9
	v_dual_add_f32 v10, -0.5, v10 :: v_dual_mul_f32 v9, 0x7800000, v9
	v_cmp_gt_u32_e32 vcc_lo, 0x8000000, v8
	s_delay_alu instid0(VALU_DEP_2) | instskip(NEXT) | instid1(VALU_DEP_1)
	v_cndmask_b32_e32 v8, v9, v10, vcc_lo
	v_and_or_b32 v8, 0x80000000, v6, v8
.LBB472_1412:
	s_mov_b32 s12, 0
	s_mov_b32 s13, -1
.LBB472_1413:
	s_and_not1_b32 vcc_lo, exec_lo, s12
	s_mov_b32 s12, 0
	s_cbranch_vccnz .LBB472_1424
; %bb.1414:
	v_cmp_lt_i16_e32 vcc_lo, 14, v5
	s_cbranch_vccz .LBB472_1417
; %bb.1415:
	v_cmp_eq_u16_e32 vcc_lo, 15, v5
	s_cbranch_vccz .LBB472_1420
; %bb.1416:
	global_load_u16 v6, v[0:1], off
	s_mov_b32 s0, 0
	s_mov_b32 s13, -1
	s_waitcnt vmcnt(0)
	v_lshlrev_b32_e32 v8, 16, v6
	s_branch .LBB472_1422
.LBB472_1417:
	s_mov_b32 s12, -1
	s_branch .LBB472_1421
.LBB472_1418:
	s_or_saveexec_b32 s14, s14
	v_mov_b32_e32 v8, s13
	s_xor_b32 exec_lo, exec_lo, s14
	s_cbranch_execz .LBB472_1399
.LBB472_1419:
	v_cmp_ne_u16_e32 vcc_lo, 0, v6
	v_mov_b32_e32 v8, 0
	s_and_not1_b32 s12, s12, exec_lo
	s_and_b32 s13, vcc_lo, exec_lo
	s_delay_alu instid0(SALU_CYCLE_1)
	s_or_b32 s12, s12, s13
	s_or_b32 exec_lo, exec_lo, s14
	s_and_saveexec_b32 s13, s12
	s_cbranch_execnz .LBB472_1400
	s_branch .LBB472_1401
.LBB472_1420:
	s_mov_b32 s0, -1
.LBB472_1421:
                                        ; implicit-def: $vgpr8
.LBB472_1422:
	s_and_b32 vcc_lo, exec_lo, s12
	s_mov_b32 s12, 0
	s_cbranch_vccz .LBB472_1424
; %bb.1423:
	v_cmp_ne_u16_e64 s0, 11, v5
	s_mov_b32 s12, -1
                                        ; implicit-def: $vgpr8
.LBB472_1424:
	s_delay_alu instid0(VALU_DEP_1)
	s_and_b32 vcc_lo, exec_lo, s0
	s_cbranch_vccnz .LBB472_1440
; %bb.1425:
	s_and_not1_b32 vcc_lo, exec_lo, s12
	s_cbranch_vccnz .LBB472_1427
.LBB472_1426:
	global_load_u8 v6, v[0:1], off
	s_mov_b32 s13, -1
	s_waitcnt vmcnt(0)
	v_cmp_ne_u16_e32 vcc_lo, 0, v6
	v_cndmask_b32_e64 v8, 0, 1.0, vcc_lo
.LBB472_1427:
.LBB472_1428:
	s_and_not1_b32 vcc_lo, exec_lo, s13
	s_cbranch_vccnz .LBB472_1996
.LBB472_1429:
	v_add_nc_u32_e32 v0, s9, v3
	v_cmp_gt_i16_e32 vcc_lo, 11, v5
	s_delay_alu instid0(VALU_DEP_2) | instskip(SKIP_1) | instid1(VALU_DEP_1)
	v_ashrrev_i32_e32 v1, 31, v0
	v_add_co_u32 v0, s0, s6, v0
	v_add_co_ci_u32_e64 v1, s0, s7, v1, s0
	s_cbranch_vccnz .LBB472_1436
; %bb.1430:
	v_cmp_lt_i16_e32 vcc_lo, 25, v5
	s_mov_b32 s6, 0
	s_cbranch_vccz .LBB472_1437
; %bb.1431:
	v_cmp_lt_i16_e32 vcc_lo, 28, v5
	s_cbranch_vccz .LBB472_1438
; %bb.1432:
	v_cmp_lt_i16_e32 vcc_lo, 43, v5
	;; [unrolled: 3-line block ×3, first 2 shown]
	s_cbranch_vccz .LBB472_1442
; %bb.1434:
	v_cmp_eq_u16_e32 vcc_lo, 46, v5
	s_mov_b32 s9, 0
	s_cbranch_vccz .LBB472_1445
; %bb.1435:
	global_load_b32 v3, v[0:1], off
	s_mov_b32 s0, 0
	s_mov_b32 s7, -1
	s_waitcnt vmcnt(0)
	v_lshlrev_b32_e32 v9, 16, v3
	s_branch .LBB472_1447
.LBB472_1436:
	s_mov_b32 s0, -1
	s_mov_b32 s7, 0
                                        ; implicit-def: $vgpr9
	s_branch .LBB472_1513
.LBB472_1437:
	s_mov_b32 s9, -1
	s_mov_b32 s7, 0
	s_mov_b32 s0, 0
                                        ; implicit-def: $vgpr9
	s_branch .LBB472_1476
.LBB472_1438:
	s_mov_b32 s9, -1
	s_mov_b32 s7, 0
	s_mov_b32 s0, 0
                                        ; implicit-def: $vgpr9
	s_branch .LBB472_1457
.LBB472_1439:
	s_mov_b32 s9, -1
	s_mov_b32 s7, 0
	s_mov_b32 s0, 0
                                        ; implicit-def: $vgpr9
	s_branch .LBB472_1452
.LBB472_1440:
	s_cbranch_execnz .LBB472_1443
; %bb.1441:
	s_or_b32 s1, s1, exec_lo
                                        ; implicit-def: $vgpr8
	s_cbranch_execz .LBB472_1426
	s_branch .LBB472_1427
.LBB472_1442:
	s_mov_b32 s9, -1
	s_mov_b32 s7, 0
	s_mov_b32 s0, 0
	s_branch .LBB472_1446
.LBB472_1443:
	s_trap 2
	s_sendmsg_rtn_b32 s0, sendmsg(MSG_RTN_GET_DOORBELL)
	s_mov_b32 ttmp2, m0
	s_waitcnt lgkmcnt(0)
	s_and_b32 s0, s0, 0x3ff
	s_delay_alu instid0(SALU_CYCLE_1) | instskip(NEXT) | instid1(SALU_CYCLE_1)
	s_bitset1_b32 s0, 10
	s_mov_b32 m0, s0
	s_sendmsg sendmsg(MSG_INTERRUPT)
	s_mov_b32 m0, ttmp2
.LBB472_1444:                           ; =>This Inner Loop Header: Depth=1
	s_sethalt 5
	s_branch .LBB472_1444
.LBB472_1445:
	s_mov_b32 s0, -1
	s_mov_b32 s7, 0
.LBB472_1446:
                                        ; implicit-def: $vgpr9
.LBB472_1447:
	s_and_b32 vcc_lo, exec_lo, s9
	s_cbranch_vccz .LBB472_1451
; %bb.1448:
	v_cmp_eq_u16_e32 vcc_lo, 44, v5
	s_cbranch_vccz .LBB472_1450
; %bb.1449:
	global_load_u8 v3, v[0:1], off
	s_mov_b32 s0, 0
	s_mov_b32 s7, -1
	s_waitcnt vmcnt(0)
	v_lshlrev_b32_e32 v6, 23, v3
	v_cmp_ne_u32_e32 vcc_lo, 0xff, v3
	s_delay_alu instid0(VALU_DEP_2) | instskip(SKIP_1) | instid1(VALU_DEP_2)
	v_cndmask_b32_e32 v6, 0x7f800001, v6, vcc_lo
	v_cmp_ne_u32_e32 vcc_lo, 0, v3
	v_cndmask_b32_e32 v9, 0x400000, v6, vcc_lo
	s_branch .LBB472_1451
.LBB472_1450:
	s_mov_b32 s0, -1
                                        ; implicit-def: $vgpr9
.LBB472_1451:
	s_mov_b32 s9, 0
.LBB472_1452:
	s_delay_alu instid0(SALU_CYCLE_1)
	s_and_b32 vcc_lo, exec_lo, s9
	s_cbranch_vccz .LBB472_1456
; %bb.1453:
	v_cmp_eq_u16_e32 vcc_lo, 29, v5
	s_cbranch_vccz .LBB472_1455
; %bb.1454:
	global_load_b64 v[9:10], v[0:1], off
	s_mov_b32 s0, 0
	s_mov_b32 s7, -1
	s_mov_b32 s9, 0
	s_waitcnt vmcnt(0)
	v_clz_i32_u32_e32 v3, v10
	s_delay_alu instid0(VALU_DEP_1) | instskip(NEXT) | instid1(VALU_DEP_1)
	v_min_u32_e32 v3, 32, v3
	v_lshlrev_b64 v[9:10], v3, v[9:10]
	v_sub_nc_u32_e32 v3, 32, v3
	s_delay_alu instid0(VALU_DEP_2) | instskip(NEXT) | instid1(VALU_DEP_1)
	v_min_u32_e32 v6, 1, v9
	v_or_b32_e32 v6, v10, v6
	s_delay_alu instid0(VALU_DEP_1) | instskip(NEXT) | instid1(VALU_DEP_1)
	v_cvt_f32_u32_e32 v6, v6
	v_ldexp_f32 v9, v6, v3
	s_branch .LBB472_1457
.LBB472_1455:
	s_mov_b32 s0, -1
                                        ; implicit-def: $vgpr9
.LBB472_1456:
	s_mov_b32 s9, 0
.LBB472_1457:
	s_delay_alu instid0(SALU_CYCLE_1)
	s_and_b32 vcc_lo, exec_lo, s9
	s_cbranch_vccz .LBB472_1475
; %bb.1458:
	v_cmp_gt_i16_e32 vcc_lo, 27, v5
	s_cbranch_vccnz .LBB472_1461
; %bb.1459:
	v_cmp_lt_i16_e32 vcc_lo, 27, v5
	s_cbranch_vccz .LBB472_1462
; %bb.1460:
	global_load_b32 v3, v[0:1], off
	s_mov_b32 s7, 0
	s_waitcnt vmcnt(0)
	v_cvt_f32_u32_e32 v9, v3
	s_branch .LBB472_1463
.LBB472_1461:
	s_mov_b32 s7, -1
                                        ; implicit-def: $vgpr9
	s_branch .LBB472_1466
.LBB472_1462:
	s_mov_b32 s7, -1
                                        ; implicit-def: $vgpr9
.LBB472_1463:
	s_delay_alu instid0(SALU_CYCLE_1)
	s_and_not1_b32 vcc_lo, exec_lo, s7
	s_cbranch_vccnz .LBB472_1465
; %bb.1464:
	global_load_u16 v3, v[0:1], off
	s_waitcnt vmcnt(0)
	v_cvt_f32_u32_e32 v9, v3
.LBB472_1465:
	s_mov_b32 s7, 0
.LBB472_1466:
	s_delay_alu instid0(SALU_CYCLE_1)
	s_and_not1_b32 vcc_lo, exec_lo, s7
	s_cbranch_vccnz .LBB472_1474
; %bb.1467:
	global_load_u8 v3, v[0:1], off
	s_mov_b32 s7, 0
	s_mov_b32 s12, exec_lo
                                        ; implicit-def: $sgpr9
	s_waitcnt vmcnt(0)
	v_cmpx_lt_i16_e32 0x7f, v3
	s_xor_b32 s12, exec_lo, s12
	s_cbranch_execz .LBB472_1488
; %bb.1468:
	s_mov_b32 s7, -1
	s_mov_b32 s13, exec_lo
                                        ; implicit-def: $sgpr9
	v_cmpx_eq_u16_e32 0x80, v3
; %bb.1469:
	s_mov_b32 s9, 0x7f800001
	s_xor_b32 s7, exec_lo, -1
; %bb.1470:
	s_or_b32 exec_lo, exec_lo, s13
	s_delay_alu instid0(SALU_CYCLE_1)
	s_and_b32 s7, s7, exec_lo
	s_or_saveexec_b32 s12, s12
	v_mov_b32_e32 v9, s9
	s_xor_b32 exec_lo, exec_lo, s12
	s_cbranch_execnz .LBB472_1489
.LBB472_1471:
	s_or_b32 exec_lo, exec_lo, s12
	s_and_saveexec_b32 s9, s7
	s_cbranch_execz .LBB472_1473
.LBB472_1472:
	v_and_b32_e32 v6, 0xffff, v3
	v_lshlrev_b32_e32 v3, 24, v3
	s_delay_alu instid0(VALU_DEP_2) | instskip(NEXT) | instid1(VALU_DEP_2)
	v_and_b32_e32 v9, 7, v6
	v_and_b32_e32 v3, 0x80000000, v3
	s_delay_alu instid0(VALU_DEP_2) | instskip(NEXT) | instid1(VALU_DEP_1)
	v_clz_i32_u32_e32 v10, v9
	v_min_u32_e32 v10, 32, v10
	s_delay_alu instid0(VALU_DEP_1) | instskip(SKIP_1) | instid1(VALU_DEP_2)
	v_subrev_nc_u32_e32 v11, 28, v10
	v_sub_nc_u32_e32 v10, 29, v10
	v_lshlrev_b32_e32 v11, v11, v6
	v_bfe_u32 v6, v6, 3, 4
	s_delay_alu instid0(VALU_DEP_1) | instskip(NEXT) | instid1(VALU_DEP_3)
	v_cmp_eq_u32_e32 vcc_lo, 0, v6
	v_dual_cndmask_b32 v6, v6, v10 :: v_dual_and_b32 v11, 7, v11
	s_delay_alu instid0(VALU_DEP_1) | instskip(NEXT) | instid1(VALU_DEP_2)
	v_cndmask_b32_e32 v9, v9, v11, vcc_lo
	v_lshl_add_u32 v6, v6, 23, 0x3b800000
	s_delay_alu instid0(VALU_DEP_2) | instskip(NEXT) | instid1(VALU_DEP_1)
	v_lshlrev_b32_e32 v9, 20, v9
	v_or3_b32 v9, v3, v6, v9
.LBB472_1473:
	s_or_b32 exec_lo, exec_lo, s9
.LBB472_1474:
	s_mov_b32 s7, -1
.LBB472_1475:
	s_mov_b32 s9, 0
.LBB472_1476:
	s_delay_alu instid0(SALU_CYCLE_1)
	s_and_b32 vcc_lo, exec_lo, s9
	s_cbranch_vccz .LBB472_1509
; %bb.1477:
	v_cmp_lt_i16_e32 vcc_lo, 22, v5
	s_cbranch_vccz .LBB472_1487
; %bb.1478:
	v_cmp_gt_i16_e32 vcc_lo, 24, v5
	s_cbranch_vccnz .LBB472_1490
; %bb.1479:
	v_cmp_lt_i16_e32 vcc_lo, 24, v5
	s_cbranch_vccz .LBB472_1491
; %bb.1480:
	global_load_u8 v3, v[0:1], off
	s_mov_b32 s9, exec_lo
                                        ; implicit-def: $sgpr7
	s_waitcnt vmcnt(0)
	v_cmpx_lt_i16_e32 0x7f, v3
	s_xor_b32 s9, exec_lo, s9
	s_cbranch_execz .LBB472_1503
; %bb.1481:
	s_mov_b32 s6, -1
	s_mov_b32 s12, exec_lo
                                        ; implicit-def: $sgpr7
	v_cmpx_eq_u16_e32 0x80, v3
; %bb.1482:
	s_mov_b32 s7, 0x7f800001
	s_xor_b32 s6, exec_lo, -1
; %bb.1483:
	s_or_b32 exec_lo, exec_lo, s12
	s_delay_alu instid0(SALU_CYCLE_1)
	s_and_b32 s6, s6, exec_lo
	s_or_saveexec_b32 s9, s9
	v_mov_b32_e32 v9, s7
	s_xor_b32 exec_lo, exec_lo, s9
	s_cbranch_execnz .LBB472_1504
.LBB472_1484:
	s_or_b32 exec_lo, exec_lo, s9
	s_and_saveexec_b32 s7, s6
	s_cbranch_execz .LBB472_1486
.LBB472_1485:
	v_and_b32_e32 v6, 0xffff, v3
	v_lshlrev_b32_e32 v3, 24, v3
	s_delay_alu instid0(VALU_DEP_2) | instskip(NEXT) | instid1(VALU_DEP_2)
	v_and_b32_e32 v9, 3, v6
	v_and_b32_e32 v3, 0x80000000, v3
	s_delay_alu instid0(VALU_DEP_2) | instskip(NEXT) | instid1(VALU_DEP_1)
	v_clz_i32_u32_e32 v10, v9
	v_min_u32_e32 v10, 32, v10
	s_delay_alu instid0(VALU_DEP_1) | instskip(SKIP_1) | instid1(VALU_DEP_2)
	v_subrev_nc_u32_e32 v11, 29, v10
	v_sub_nc_u32_e32 v10, 30, v10
	v_lshlrev_b32_e32 v11, v11, v6
	v_bfe_u32 v6, v6, 2, 5
	s_delay_alu instid0(VALU_DEP_1) | instskip(NEXT) | instid1(VALU_DEP_3)
	v_cmp_eq_u32_e32 vcc_lo, 0, v6
	v_dual_cndmask_b32 v6, v6, v10 :: v_dual_and_b32 v11, 3, v11
	s_delay_alu instid0(VALU_DEP_1) | instskip(NEXT) | instid1(VALU_DEP_2)
	v_cndmask_b32_e32 v9, v9, v11, vcc_lo
	v_lshl_add_u32 v6, v6, 23, 0x37800000
	s_delay_alu instid0(VALU_DEP_2) | instskip(NEXT) | instid1(VALU_DEP_1)
	v_lshlrev_b32_e32 v9, 21, v9
	v_or3_b32 v9, v3, v6, v9
.LBB472_1486:
	s_or_b32 exec_lo, exec_lo, s7
	s_mov_b32 s6, 0
	s_branch .LBB472_1492
.LBB472_1487:
	s_mov_b32 s6, -1
                                        ; implicit-def: $vgpr9
	s_branch .LBB472_1498
.LBB472_1488:
	s_or_saveexec_b32 s12, s12
	v_mov_b32_e32 v9, s9
	s_xor_b32 exec_lo, exec_lo, s12
	s_cbranch_execz .LBB472_1471
.LBB472_1489:
	v_cmp_ne_u16_e32 vcc_lo, 0, v3
	v_mov_b32_e32 v9, 0
	s_and_not1_b32 s7, s7, exec_lo
	s_and_b32 s9, vcc_lo, exec_lo
	s_delay_alu instid0(SALU_CYCLE_1)
	s_or_b32 s7, s7, s9
	s_or_b32 exec_lo, exec_lo, s12
	s_and_saveexec_b32 s9, s7
	s_cbranch_execnz .LBB472_1472
	s_branch .LBB472_1473
.LBB472_1490:
	s_mov_b32 s6, -1
                                        ; implicit-def: $vgpr9
	s_branch .LBB472_1495
.LBB472_1491:
	s_mov_b32 s6, -1
                                        ; implicit-def: $vgpr9
.LBB472_1492:
	s_delay_alu instid0(SALU_CYCLE_1)
	s_and_b32 vcc_lo, exec_lo, s6
	s_cbranch_vccz .LBB472_1494
; %bb.1493:
	global_load_u8 v3, v[0:1], off
	s_waitcnt vmcnt(0)
	v_lshlrev_b32_e32 v3, 24, v3
	s_delay_alu instid0(VALU_DEP_1) | instskip(NEXT) | instid1(VALU_DEP_1)
	v_and_b32_e32 v6, 0x7f000000, v3
	v_clz_i32_u32_e32 v9, v6
	v_add_nc_u32_e32 v11, 0x1000000, v6
	v_cmp_ne_u32_e32 vcc_lo, 0, v6
	s_delay_alu instid0(VALU_DEP_3) | instskip(NEXT) | instid1(VALU_DEP_1)
	v_min_u32_e32 v9, 32, v9
	v_sub_nc_u32_e64 v9, v9, 4 clamp
	s_delay_alu instid0(VALU_DEP_1) | instskip(SKIP_1) | instid1(VALU_DEP_2)
	v_lshlrev_b32_e32 v10, v9, v6
	v_lshlrev_b32_e32 v9, 23, v9
	v_lshrrev_b32_e32 v10, 4, v10
	s_delay_alu instid0(VALU_DEP_1) | instskip(SKIP_1) | instid1(VALU_DEP_2)
	v_sub_nc_u32_e32 v9, v10, v9
	v_ashrrev_i32_e32 v10, 8, v11
	v_add_nc_u32_e32 v9, 0x3c000000, v9
	s_delay_alu instid0(VALU_DEP_1) | instskip(NEXT) | instid1(VALU_DEP_1)
	v_and_or_b32 v9, 0x7f800000, v10, v9
	v_cndmask_b32_e32 v6, 0, v9, vcc_lo
	s_delay_alu instid0(VALU_DEP_1)
	v_and_or_b32 v9, 0x80000000, v3, v6
.LBB472_1494:
	s_mov_b32 s6, 0
.LBB472_1495:
	s_delay_alu instid0(SALU_CYCLE_1)
	s_and_not1_b32 vcc_lo, exec_lo, s6
	s_cbranch_vccnz .LBB472_1497
; %bb.1496:
	global_load_u8 v3, v[0:1], off
	s_waitcnt vmcnt(0)
	v_lshlrev_b32_e32 v6, 25, v3
	v_lshlrev_b16 v3, 8, v3
	s_delay_alu instid0(VALU_DEP_2) | instskip(NEXT) | instid1(VALU_DEP_2)
	v_lshrrev_b32_e32 v9, 4, v6
	v_and_or_b32 v10, 0x7f00, v3, 0.5
	v_bfe_i32 v3, v3, 0, 16
	s_delay_alu instid0(VALU_DEP_3) | instskip(NEXT) | instid1(VALU_DEP_1)
	v_or_b32_e32 v9, 0x70000000, v9
	v_dual_add_f32 v10, -0.5, v10 :: v_dual_mul_f32 v9, 0x7800000, v9
	v_cmp_gt_u32_e32 vcc_lo, 0x8000000, v6
	s_delay_alu instid0(VALU_DEP_2) | instskip(NEXT) | instid1(VALU_DEP_1)
	v_cndmask_b32_e32 v6, v9, v10, vcc_lo
	v_and_or_b32 v9, 0x80000000, v3, v6
.LBB472_1497:
	s_mov_b32 s6, 0
	s_mov_b32 s7, -1
.LBB472_1498:
	s_and_not1_b32 vcc_lo, exec_lo, s6
	s_mov_b32 s6, 0
	s_cbranch_vccnz .LBB472_1509
; %bb.1499:
	v_cmp_lt_i16_e32 vcc_lo, 14, v5
	s_cbranch_vccz .LBB472_1502
; %bb.1500:
	v_cmp_eq_u16_e32 vcc_lo, 15, v5
	s_cbranch_vccz .LBB472_1505
; %bb.1501:
	global_load_u16 v3, v[0:1], off
	s_mov_b32 s0, 0
	s_mov_b32 s7, -1
	s_waitcnt vmcnt(0)
	v_lshlrev_b32_e32 v9, 16, v3
	s_branch .LBB472_1507
.LBB472_1502:
	s_mov_b32 s6, -1
	s_branch .LBB472_1506
.LBB472_1503:
	s_or_saveexec_b32 s9, s9
	v_mov_b32_e32 v9, s7
	s_xor_b32 exec_lo, exec_lo, s9
	s_cbranch_execz .LBB472_1484
.LBB472_1504:
	v_cmp_ne_u16_e32 vcc_lo, 0, v3
	v_mov_b32_e32 v9, 0
	s_and_not1_b32 s6, s6, exec_lo
	s_and_b32 s7, vcc_lo, exec_lo
	s_delay_alu instid0(SALU_CYCLE_1)
	s_or_b32 s6, s6, s7
	s_or_b32 exec_lo, exec_lo, s9
	s_and_saveexec_b32 s7, s6
	s_cbranch_execnz .LBB472_1485
	s_branch .LBB472_1486
.LBB472_1505:
	s_mov_b32 s0, -1
.LBB472_1506:
                                        ; implicit-def: $vgpr9
.LBB472_1507:
	s_and_b32 vcc_lo, exec_lo, s6
	s_mov_b32 s6, 0
	s_cbranch_vccz .LBB472_1509
; %bb.1508:
	v_cmp_ne_u16_e64 s0, 11, v5
	s_mov_b32 s6, -1
                                        ; implicit-def: $vgpr9
.LBB472_1509:
	s_delay_alu instid0(VALU_DEP_1)
	s_and_b32 vcc_lo, exec_lo, s0
	s_cbranch_vccnz .LBB472_2042
; %bb.1510:
	s_and_not1_b32 vcc_lo, exec_lo, s6
	s_cbranch_vccnz .LBB472_1512
.LBB472_1511:
	global_load_u8 v3, v[0:1], off
	s_mov_b32 s7, -1
	s_waitcnt vmcnt(0)
	v_cmp_ne_u16_e32 vcc_lo, 0, v3
	v_cndmask_b32_e64 v9, 0, 1.0, vcc_lo
.LBB472_1512:
	s_mov_b32 s0, 0
.LBB472_1513:
	s_delay_alu instid0(SALU_CYCLE_1)
	s_and_b32 vcc_lo, exec_lo, s0
	s_cbranch_vccz .LBB472_1562
; %bb.1514:
	v_cmp_gt_i16_e32 vcc_lo, 5, v5
	s_cbranch_vccnz .LBB472_1519
; %bb.1515:
	v_cmp_gt_i16_e32 vcc_lo, 8, v5
	s_cbranch_vccnz .LBB472_1520
	;; [unrolled: 3-line block ×3, first 2 shown]
; %bb.1517:
	v_cmp_lt_i16_e32 vcc_lo, 9, v5
	s_cbranch_vccz .LBB472_1522
; %bb.1518:
	global_load_b64 v[9:10], v[0:1], off
	s_mov_b32 s0, 0
	s_waitcnt vmcnt(0)
	v_cvt_f32_f64_e32 v9, v[9:10]
	s_branch .LBB472_1523
.LBB472_1519:
	s_mov_b32 s0, -1
                                        ; implicit-def: $vgpr9
	s_branch .LBB472_1541
.LBB472_1520:
	s_mov_b32 s0, -1
                                        ; implicit-def: $vgpr9
	s_branch .LBB472_1529
.LBB472_1521:
	s_mov_b32 s0, -1
                                        ; implicit-def: $vgpr9
	s_branch .LBB472_1526
.LBB472_1522:
	s_mov_b32 s0, -1
                                        ; implicit-def: $vgpr9
.LBB472_1523:
	s_delay_alu instid0(SALU_CYCLE_1)
	s_and_not1_b32 vcc_lo, exec_lo, s0
	s_cbranch_vccnz .LBB472_1525
; %bb.1524:
	global_load_b32 v9, v[0:1], off
.LBB472_1525:
	s_mov_b32 s0, 0
.LBB472_1526:
	s_delay_alu instid0(SALU_CYCLE_1)
	s_and_not1_b32 vcc_lo, exec_lo, s0
	s_cbranch_vccnz .LBB472_1528
; %bb.1527:
	global_load_b32 v3, v[0:1], off
	s_waitcnt vmcnt(0)
	v_cvt_f32_f16_e32 v9, v3
.LBB472_1528:
	s_mov_b32 s0, 0
.LBB472_1529:
	s_delay_alu instid0(SALU_CYCLE_1)
	s_and_not1_b32 vcc_lo, exec_lo, s0
	s_cbranch_vccnz .LBB472_1540
; %bb.1530:
	v_cmp_gt_i16_e32 vcc_lo, 6, v5
	s_cbranch_vccnz .LBB472_1533
; %bb.1531:
	v_cmp_lt_i16_e32 vcc_lo, 6, v5
	s_cbranch_vccz .LBB472_1534
; %bb.1532:
	global_load_b64 v[9:10], v[0:1], off
	s_mov_b32 s0, 0
	s_waitcnt vmcnt(0)
	v_cvt_f32_f64_e32 v9, v[9:10]
	s_branch .LBB472_1535
.LBB472_1533:
	s_mov_b32 s0, -1
                                        ; implicit-def: $vgpr9
	s_branch .LBB472_1538
.LBB472_1534:
	s_mov_b32 s0, -1
                                        ; implicit-def: $vgpr9
.LBB472_1535:
	s_delay_alu instid0(SALU_CYCLE_1)
	s_and_not1_b32 vcc_lo, exec_lo, s0
	s_cbranch_vccnz .LBB472_1537
; %bb.1536:
	global_load_b32 v9, v[0:1], off
.LBB472_1537:
	s_mov_b32 s0, 0
.LBB472_1538:
	s_delay_alu instid0(SALU_CYCLE_1)
	s_and_not1_b32 vcc_lo, exec_lo, s0
	s_cbranch_vccnz .LBB472_1540
; %bb.1539:
	global_load_u16 v3, v[0:1], off
	s_waitcnt vmcnt(0)
	v_cvt_f32_f16_e32 v9, v3
.LBB472_1540:
	s_mov_b32 s0, 0
.LBB472_1541:
	s_delay_alu instid0(SALU_CYCLE_1)
	s_and_not1_b32 vcc_lo, exec_lo, s0
	s_cbranch_vccnz .LBB472_1561
; %bb.1542:
	v_cmp_gt_i16_e32 vcc_lo, 2, v5
	s_cbranch_vccnz .LBB472_1546
; %bb.1543:
	v_cmp_gt_i16_e32 vcc_lo, 3, v5
	s_cbranch_vccnz .LBB472_1547
; %bb.1544:
	v_cmp_lt_i16_e32 vcc_lo, 3, v5
	s_cbranch_vccz .LBB472_1548
; %bb.1545:
	global_load_b64 v[9:10], v[0:1], off
	s_mov_b32 s0, 0
	s_waitcnt vmcnt(0)
	v_xor_b32_e32 v3, v9, v10
	v_cls_i32_e32 v6, v10
	s_delay_alu instid0(VALU_DEP_2) | instskip(NEXT) | instid1(VALU_DEP_2)
	v_ashrrev_i32_e32 v3, 31, v3
	v_add_nc_u32_e32 v6, -1, v6
	s_delay_alu instid0(VALU_DEP_2) | instskip(NEXT) | instid1(VALU_DEP_1)
	v_add_nc_u32_e32 v3, 32, v3
	v_min_u32_e32 v3, v6, v3
	s_delay_alu instid0(VALU_DEP_1) | instskip(SKIP_1) | instid1(VALU_DEP_2)
	v_lshlrev_b64 v[9:10], v3, v[9:10]
	v_sub_nc_u32_e32 v3, 32, v3
	v_min_u32_e32 v6, 1, v9
	s_delay_alu instid0(VALU_DEP_1) | instskip(NEXT) | instid1(VALU_DEP_1)
	v_or_b32_e32 v6, v10, v6
	v_cvt_f32_i32_e32 v6, v6
	s_delay_alu instid0(VALU_DEP_1)
	v_ldexp_f32 v9, v6, v3
	s_branch .LBB472_1549
.LBB472_1546:
	s_mov_b32 s0, -1
                                        ; implicit-def: $vgpr9
	s_branch .LBB472_1555
.LBB472_1547:
	s_mov_b32 s0, -1
                                        ; implicit-def: $vgpr9
	s_branch .LBB472_1552
.LBB472_1548:
	s_mov_b32 s0, -1
                                        ; implicit-def: $vgpr9
.LBB472_1549:
	s_delay_alu instid0(SALU_CYCLE_1)
	s_and_not1_b32 vcc_lo, exec_lo, s0
	s_cbranch_vccnz .LBB472_1551
; %bb.1550:
	global_load_b32 v3, v[0:1], off
	s_waitcnt vmcnt(0)
	v_cvt_f32_i32_e32 v9, v3
.LBB472_1551:
	s_mov_b32 s0, 0
.LBB472_1552:
	s_delay_alu instid0(SALU_CYCLE_1)
	s_and_not1_b32 vcc_lo, exec_lo, s0
	s_cbranch_vccnz .LBB472_1554
; %bb.1553:
	global_load_i16 v3, v[0:1], off
	s_waitcnt vmcnt(0)
	v_cvt_f32_i32_e32 v9, v3
.LBB472_1554:
	s_mov_b32 s0, 0
.LBB472_1555:
	s_delay_alu instid0(SALU_CYCLE_1)
	s_and_not1_b32 vcc_lo, exec_lo, s0
	s_cbranch_vccnz .LBB472_1561
; %bb.1556:
	v_cmp_lt_i16_e32 vcc_lo, 0, v5
	s_mov_b32 s0, 0
	s_cbranch_vccz .LBB472_1558
; %bb.1557:
	global_load_i8 v3, v[0:1], off
	s_waitcnt vmcnt(0)
	v_cvt_f32_i32_e32 v9, v3
	s_branch .LBB472_1559
.LBB472_1558:
	s_mov_b32 s0, -1
                                        ; implicit-def: $vgpr9
.LBB472_1559:
	s_delay_alu instid0(SALU_CYCLE_1)
	s_and_not1_b32 vcc_lo, exec_lo, s0
	s_cbranch_vccnz .LBB472_1561
; %bb.1560:
	global_load_u8 v0, v[0:1], off
	s_waitcnt vmcnt(0)
	v_cvt_f32_ubyte0_e32 v9, v0
.LBB472_1561:
	s_mov_b32 s7, -1
.LBB472_1562:
	s_delay_alu instid0(SALU_CYCLE_1)
	s_and_not1_b32 vcc_lo, exec_lo, s7
	s_cbranch_vccnz .LBB472_1996
; %bb.1563:
	v_mul_lo_u32 v4, s8, v4
	v_max_f32_e64 v5, s10, s10
	s_waitcnt vmcnt(0)
	v_max_f32_e32 v0, v2, v2
	v_and_b32_e64 v6, 0xff, s2
	v_cmp_u_f32_e64 s0, v2, v2
	s_delay_alu instid0(VALU_DEP_3) | instskip(SKIP_1) | instid1(VALU_DEP_4)
	v_min_f32_e32 v0, v0, v5
	v_ashrrev_i32_e32 v1, 31, v4
	v_cmp_gt_i16_e32 vcc_lo, 11, v6
	s_delay_alu instid0(VALU_DEP_3) | instskip(SKIP_1) | instid1(VALU_DEP_1)
	v_cndmask_b32_e64 v2, v0, v2, s0
	v_add_co_u32 v0, s0, s4, v4
	v_add_co_ci_u32_e64 v1, s0, s5, v1, s0
	s_cbranch_vccnz .LBB472_1641
; %bb.1564:
	v_cmp_lt_i16_e32 vcc_lo, 25, v6
	s_mov_b32 s7, -1
	s_mov_b32 s2, 0
	s_mov_b32 s6, 0
	;; [unrolled: 1-line block ×3, first 2 shown]
	s_cbranch_vccz .LBB472_1597
; %bb.1565:
	v_cmp_lt_i16_e32 vcc_lo, 28, v6
	s_cbranch_vccz .LBB472_1580
; %bb.1566:
	v_cmp_lt_i16_e32 vcc_lo, 43, v6
	;; [unrolled: 3-line block ×3, first 2 shown]
	s_cbranch_vccz .LBB472_1570
; %bb.1568:
	v_cmp_eq_u16_e32 vcc_lo, 46, v6
	s_mov_b32 s0, -1
	s_mov_b32 s7, 0
	s_cbranch_vccz .LBB472_1570
; %bb.1569:
	v_bfe_u32 v3, v2, 16, 1
	v_cmp_o_f32_e32 vcc_lo, v2, v2
	s_mov_b32 s0, 0
	s_mov_b32 s6, -1
	s_delay_alu instid0(VALU_DEP_2) | instskip(NEXT) | instid1(VALU_DEP_1)
	v_add3_u32 v3, v2, v3, 0x7fff
	v_lshrrev_b32_e32 v3, 16, v3
	s_delay_alu instid0(VALU_DEP_1)
	v_cndmask_b32_e32 v3, 0x7fc0, v3, vcc_lo
	global_store_b32 v[0:1], v3, off
.LBB472_1570:
	s_and_b32 vcc_lo, exec_lo, s7
	s_cbranch_vccz .LBB472_1575
; %bb.1571:
	v_cmp_eq_u16_e32 vcc_lo, 44, v6
	s_mov_b32 s0, -1
	s_cbranch_vccz .LBB472_1575
; %bb.1572:
	v_bfe_u32 v10, v2, 23, 8
	v_mov_b32_e32 v3, 0xff
	s_mov_b32 s6, exec_lo
	s_delay_alu instid0(VALU_DEP_2)
	v_cmpx_ne_u32_e32 0xff, v10
; %bb.1573:
	v_and_b32_e32 v3, 0x400000, v2
	v_and_or_b32 v10, 0x3fffff, v2, v10
	s_delay_alu instid0(VALU_DEP_2) | instskip(NEXT) | instid1(VALU_DEP_2)
	v_cmp_ne_u32_e32 vcc_lo, 0, v3
	v_cmp_ne_u32_e64 s0, 0, v10
	v_lshrrev_b32_e32 v3, 23, v2
	s_delay_alu instid0(VALU_DEP_2) | instskip(NEXT) | instid1(SALU_CYCLE_1)
	s_and_b32 s0, vcc_lo, s0
	v_cndmask_b32_e64 v10, 0, 1, s0
	s_delay_alu instid0(VALU_DEP_1)
	v_add_nc_u32_e32 v3, v3, v10
; %bb.1574:
	s_or_b32 exec_lo, exec_lo, s6
	s_mov_b32 s0, 0
	s_mov_b32 s6, -1
	global_store_b8 v[0:1], v3, off
.LBB472_1575:
	s_mov_b32 s7, 0
.LBB472_1576:
	s_delay_alu instid0(SALU_CYCLE_1)
	s_and_b32 vcc_lo, exec_lo, s7
	s_cbranch_vccz .LBB472_1579
; %bb.1577:
	v_cmp_eq_u16_e32 vcc_lo, 29, v6
	s_mov_b32 s0, -1
	s_cbranch_vccz .LBB472_1579
; %bb.1578:
	v_trunc_f32_e32 v3, v2
	s_mov_b32 s0, 0
	s_mov_b32 s6, -1
	s_delay_alu instid0(VALU_DEP_1) | instskip(NEXT) | instid1(VALU_DEP_1)
	v_mul_f32_e32 v10, 0x2f800000, v3
	v_floor_f32_e32 v10, v10
	s_delay_alu instid0(VALU_DEP_1) | instskip(SKIP_1) | instid1(VALU_DEP_2)
	v_fmamk_f32 v3, v10, 0xcf800000, v3
	v_cvt_u32_f32_e32 v11, v10
	v_cvt_u32_f32_e32 v10, v3
	global_store_b64 v[0:1], v[10:11], off
.LBB472_1579:
	s_mov_b32 s7, 0
.LBB472_1580:
	s_delay_alu instid0(SALU_CYCLE_1)
	s_and_b32 vcc_lo, exec_lo, s7
	s_cbranch_vccz .LBB472_1596
; %bb.1581:
	v_cmp_gt_i16_e32 vcc_lo, 27, v6
	s_mov_b32 s6, -1
	s_cbranch_vccnz .LBB472_1587
; %bb.1582:
	v_cmp_lt_i16_e32 vcc_lo, 27, v6
	v_cvt_u32_f32_e32 v3, v2
	s_cbranch_vccz .LBB472_1584
; %bb.1583:
	s_mov_b32 s6, 0
	global_store_b32 v[0:1], v3, off
.LBB472_1584:
	s_and_not1_b32 vcc_lo, exec_lo, s6
	s_cbranch_vccnz .LBB472_1586
; %bb.1585:
	global_store_b16 v[0:1], v3, off
.LBB472_1586:
	s_mov_b32 s6, 0
.LBB472_1587:
	s_delay_alu instid0(SALU_CYCLE_1)
	s_and_not1_b32 vcc_lo, exec_lo, s6
	s_cbranch_vccnz .LBB472_1595
; %bb.1588:
	v_and_b32_e32 v3, 0x7fffffff, v2
	v_mov_b32_e32 v10, 0x80
	s_mov_b32 s6, exec_lo
	s_delay_alu instid0(VALU_DEP_2)
	v_cmpx_gt_u32_e32 0x43800000, v3
	s_cbranch_execz .LBB472_1594
; %bb.1589:
	v_cmp_lt_u32_e32 vcc_lo, 0x3bffffff, v3
	s_mov_b32 s7, 0
                                        ; implicit-def: $vgpr3
	s_and_saveexec_b32 s9, vcc_lo
	s_delay_alu instid0(SALU_CYCLE_1)
	s_xor_b32 s9, exec_lo, s9
	s_cbranch_execz .LBB472_2044
; %bb.1590:
	v_bfe_u32 v3, v2, 20, 1
	s_mov_b32 s7, exec_lo
	s_delay_alu instid0(VALU_DEP_1) | instskip(NEXT) | instid1(VALU_DEP_1)
	v_add3_u32 v3, v2, v3, 0x487ffff
	v_lshrrev_b32_e32 v3, 20, v3
	s_or_saveexec_b32 s9, s9
                                        ; implicit-def: $sgpr10
	s_delay_alu instid0(SALU_CYCLE_1)
	s_xor_b32 exec_lo, exec_lo, s9
	s_cbranch_execnz .LBB472_2045
.LBB472_1591:
	s_or_b32 exec_lo, exec_lo, s9
	v_mov_b32_e32 v10, s10
	s_and_saveexec_b32 s9, s7
.LBB472_1592:
	v_lshrrev_b32_e32 v10, 24, v2
	s_delay_alu instid0(VALU_DEP_1)
	v_and_or_b32 v10, 0x80, v10, v3
.LBB472_1593:
	s_or_b32 exec_lo, exec_lo, s9
.LBB472_1594:
	s_delay_alu instid0(SALU_CYCLE_1)
	s_or_b32 exec_lo, exec_lo, s6
	global_store_b8 v[0:1], v10, off
.LBB472_1595:
	s_mov_b32 s6, -1
.LBB472_1596:
	s_mov_b32 s7, 0
.LBB472_1597:
	s_delay_alu instid0(SALU_CYCLE_1)
	s_and_b32 vcc_lo, exec_lo, s7
	s_cbranch_vccz .LBB472_1637
; %bb.1598:
	v_cmp_lt_i16_e32 vcc_lo, 22, v6
	s_mov_b32 s2, -1
	s_cbranch_vccz .LBB472_1630
; %bb.1599:
	v_cmp_gt_i16_e32 vcc_lo, 24, v6
	s_cbranch_vccnz .LBB472_1619
; %bb.1600:
	v_cmp_lt_i16_e32 vcc_lo, 24, v6
	s_cbranch_vccz .LBB472_1608
; %bb.1601:
	v_and_b32_e32 v3, 0x7fffffff, v2
	v_mov_b32_e32 v10, 0x80
	s_mov_b32 s2, exec_lo
	s_delay_alu instid0(VALU_DEP_2)
	v_cmpx_gt_u32_e32 0x47800000, v3
	s_cbranch_execz .LBB472_1607
; %bb.1602:
	v_cmp_lt_u32_e32 vcc_lo, 0x37ffffff, v3
	s_mov_b32 s6, 0
                                        ; implicit-def: $vgpr3
	s_and_saveexec_b32 s7, vcc_lo
	s_delay_alu instid0(SALU_CYCLE_1)
	s_xor_b32 s7, exec_lo, s7
	s_cbranch_execz .LBB472_2050
; %bb.1603:
	v_bfe_u32 v3, v2, 21, 1
	s_mov_b32 s6, exec_lo
	s_delay_alu instid0(VALU_DEP_1) | instskip(NEXT) | instid1(VALU_DEP_1)
	v_add3_u32 v3, v2, v3, 0x88fffff
	v_lshrrev_b32_e32 v3, 21, v3
	s_or_saveexec_b32 s7, s7
                                        ; implicit-def: $sgpr9
	s_delay_alu instid0(SALU_CYCLE_1)
	s_xor_b32 exec_lo, exec_lo, s7
	s_cbranch_execnz .LBB472_2051
.LBB472_1604:
	s_or_b32 exec_lo, exec_lo, s7
	v_mov_b32_e32 v10, s9
	s_and_saveexec_b32 s7, s6
.LBB472_1605:
	v_lshrrev_b32_e32 v10, 24, v2
	s_delay_alu instid0(VALU_DEP_1)
	v_and_or_b32 v10, 0x80, v10, v3
.LBB472_1606:
	s_or_b32 exec_lo, exec_lo, s7
.LBB472_1607:
	s_delay_alu instid0(SALU_CYCLE_1)
	s_or_b32 exec_lo, exec_lo, s2
	s_mov_b32 s2, 0
	global_store_b8 v[0:1], v10, off
.LBB472_1608:
	s_and_b32 vcc_lo, exec_lo, s2
	s_cbranch_vccz .LBB472_1618
; %bb.1609:
	v_and_b32_e32 v10, 0x7fffffff, v2
	s_mov_b32 s2, exec_lo
                                        ; implicit-def: $vgpr3
	s_delay_alu instid0(VALU_DEP_1)
	v_cmpx_gt_u32_e32 0x43f00000, v10
	s_xor_b32 s2, exec_lo, s2
	s_cbranch_execz .LBB472_1615
; %bb.1610:
	s_mov_b32 s6, exec_lo
                                        ; implicit-def: $vgpr3
	v_cmpx_lt_u32_e32 0x3c7fffff, v10
	s_xor_b32 s6, exec_lo, s6
; %bb.1611:
	v_bfe_u32 v3, v2, 20, 1
	s_delay_alu instid0(VALU_DEP_1) | instskip(NEXT) | instid1(VALU_DEP_1)
	v_add3_u32 v3, v2, v3, 0x407ffff
	v_and_b32_e32 v10, 0xff00000, v3
	v_lshrrev_b32_e32 v3, 20, v3
	s_delay_alu instid0(VALU_DEP_2) | instskip(NEXT) | instid1(VALU_DEP_2)
	v_cmp_ne_u32_e32 vcc_lo, 0x7f00000, v10
	v_cndmask_b32_e32 v3, 0x7e, v3, vcc_lo
; %bb.1612:
	s_and_not1_saveexec_b32 s6, s6
; %bb.1613:
	v_add_f32_e64 v3, 0x46800000, |v2|
; %bb.1614:
	s_or_b32 exec_lo, exec_lo, s6
                                        ; implicit-def: $vgpr10
.LBB472_1615:
	s_and_not1_saveexec_b32 s2, s2
; %bb.1616:
	v_mov_b32_e32 v3, 0x7f
	v_cmp_lt_u32_e32 vcc_lo, 0x7f800000, v10
	s_delay_alu instid0(VALU_DEP_2)
	v_cndmask_b32_e32 v3, 0x7e, v3, vcc_lo
; %bb.1617:
	s_or_b32 exec_lo, exec_lo, s2
	v_lshrrev_b32_e32 v10, 24, v2
	s_delay_alu instid0(VALU_DEP_1)
	v_and_or_b32 v3, 0x80, v10, v3
	global_store_b8 v[0:1], v3, off
.LBB472_1618:
	s_mov_b32 s2, 0
.LBB472_1619:
	s_delay_alu instid0(SALU_CYCLE_1)
	s_and_not1_b32 vcc_lo, exec_lo, s2
	s_cbranch_vccnz .LBB472_1629
; %bb.1620:
	v_and_b32_e32 v10, 0x7fffffff, v2
	s_mov_b32 s2, exec_lo
                                        ; implicit-def: $vgpr3
	s_delay_alu instid0(VALU_DEP_1)
	v_cmpx_gt_u32_e32 0x47800000, v10
	s_xor_b32 s2, exec_lo, s2
	s_cbranch_execz .LBB472_1626
; %bb.1621:
	s_mov_b32 s6, exec_lo
                                        ; implicit-def: $vgpr3
	v_cmpx_lt_u32_e32 0x387fffff, v10
	s_xor_b32 s6, exec_lo, s6
; %bb.1622:
	v_bfe_u32 v3, v2, 21, 1
	s_delay_alu instid0(VALU_DEP_1) | instskip(NEXT) | instid1(VALU_DEP_1)
	v_add3_u32 v3, v2, v3, 0x80fffff
	v_lshrrev_b32_e32 v3, 21, v3
; %bb.1623:
	s_and_not1_saveexec_b32 s6, s6
; %bb.1624:
	v_add_f32_e64 v3, 0x43000000, |v2|
; %bb.1625:
	s_or_b32 exec_lo, exec_lo, s6
                                        ; implicit-def: $vgpr10
.LBB472_1626:
	s_and_not1_saveexec_b32 s2, s2
; %bb.1627:
	v_mov_b32_e32 v3, 0x7f
	v_cmp_lt_u32_e32 vcc_lo, 0x7f800000, v10
	s_delay_alu instid0(VALU_DEP_2)
	v_cndmask_b32_e32 v3, 0x7c, v3, vcc_lo
; %bb.1628:
	s_or_b32 exec_lo, exec_lo, s2
	v_lshrrev_b32_e32 v10, 24, v2
	s_delay_alu instid0(VALU_DEP_1)
	v_and_or_b32 v3, 0x80, v10, v3
	global_store_b8 v[0:1], v3, off
.LBB472_1629:
	s_mov_b32 s2, 0
	s_mov_b32 s6, -1
.LBB472_1630:
	s_and_not1_b32 vcc_lo, exec_lo, s2
	s_mov_b32 s2, 0
	s_cbranch_vccnz .LBB472_1637
; %bb.1631:
	v_cmp_lt_i16_e32 vcc_lo, 14, v6
	s_mov_b32 s2, -1
	s_cbranch_vccz .LBB472_1635
; %bb.1632:
	v_cmp_eq_u16_e32 vcc_lo, 15, v6
	s_mov_b32 s0, -1
	s_cbranch_vccz .LBB472_1634
; %bb.1633:
	v_bfe_u32 v3, v2, 16, 1
	v_cmp_o_f32_e32 vcc_lo, v2, v2
	s_mov_b32 s0, 0
	s_mov_b32 s6, -1
	s_delay_alu instid0(VALU_DEP_2) | instskip(NEXT) | instid1(VALU_DEP_1)
	v_add3_u32 v3, v2, v3, 0x7fff
	v_lshrrev_b32_e32 v3, 16, v3
	s_delay_alu instid0(VALU_DEP_1)
	v_cndmask_b32_e32 v3, 0x7fc0, v3, vcc_lo
	global_store_b16 v[0:1], v3, off
.LBB472_1634:
	s_mov_b32 s2, 0
.LBB472_1635:
	s_delay_alu instid0(SALU_CYCLE_1)
	s_and_b32 vcc_lo, exec_lo, s2
	s_mov_b32 s2, 0
	s_cbranch_vccz .LBB472_1637
; %bb.1636:
	v_cmp_ne_u16_e64 s0, 11, v6
	s_mov_b32 s2, -1
.LBB472_1637:
	s_delay_alu instid0(VALU_DEP_1)
	s_and_b32 vcc_lo, exec_lo, s0
	s_cbranch_vccnz .LBB472_2048
; %bb.1638:
	s_and_not1_b32 vcc_lo, exec_lo, s2
	s_cbranch_vccnz .LBB472_1640
.LBB472_1639:
	v_cmp_neq_f32_e32 vcc_lo, 0, v2
	s_mov_b32 s6, -1
	v_cndmask_b32_e64 v3, 0, 1, vcc_lo
	global_store_b8 v[0:1], v3, off
.LBB472_1640:
	s_mov_b32 s0, 0
	s_branch .LBB472_1642
.LBB472_1641:
	s_mov_b32 s0, -1
	s_mov_b32 s6, 0
.LBB472_1642:
	s_and_b32 vcc_lo, exec_lo, s0
	s_cbranch_vccz .LBB472_1681
; %bb.1643:
	v_cmp_gt_i16_e32 vcc_lo, 5, v6
	s_mov_b32 s0, -1
	s_cbranch_vccnz .LBB472_1664
; %bb.1644:
	v_cmp_gt_i16_e32 vcc_lo, 8, v6
	s_cbranch_vccnz .LBB472_1654
; %bb.1645:
	v_cmp_gt_i16_e32 vcc_lo, 9, v6
	s_cbranch_vccnz .LBB472_1651
; %bb.1646:
	v_cmp_lt_i16_e32 vcc_lo, 9, v6
	s_cbranch_vccz .LBB472_1648
; %bb.1647:
	v_cvt_f64_f32_e32 v[10:11], v2
	v_mov_b32_e32 v12, 0
	s_mov_b32 s0, 0
	s_delay_alu instid0(VALU_DEP_1)
	v_mov_b32_e32 v13, v12
	global_store_b128 v[0:1], v[10:13], off
.LBB472_1648:
	s_and_not1_b32 vcc_lo, exec_lo, s0
	s_cbranch_vccnz .LBB472_1650
; %bb.1649:
	v_mov_b32_e32 v3, 0
	global_store_b64 v[0:1], v[2:3], off
.LBB472_1650:
	s_mov_b32 s0, 0
.LBB472_1651:
	s_delay_alu instid0(SALU_CYCLE_1)
	s_and_not1_b32 vcc_lo, exec_lo, s0
	s_cbranch_vccnz .LBB472_1653
; %bb.1652:
	v_cvt_f16_f32_e32 v3, v2
	s_delay_alu instid0(VALU_DEP_1)
	v_and_b32_e32 v3, 0xffff, v3
	global_store_b32 v[0:1], v3, off
.LBB472_1653:
	s_mov_b32 s0, 0
.LBB472_1654:
	s_delay_alu instid0(SALU_CYCLE_1)
	s_and_not1_b32 vcc_lo, exec_lo, s0
	s_cbranch_vccnz .LBB472_1663
; %bb.1655:
	v_cmp_gt_i16_e32 vcc_lo, 6, v6
	s_mov_b32 s0, -1
	s_cbranch_vccnz .LBB472_1661
; %bb.1656:
	v_cmp_lt_i16_e32 vcc_lo, 6, v6
	s_cbranch_vccz .LBB472_1658
; %bb.1657:
	v_cvt_f64_f32_e32 v[10:11], v2
	s_mov_b32 s0, 0
	global_store_b64 v[0:1], v[10:11], off
.LBB472_1658:
	s_and_not1_b32 vcc_lo, exec_lo, s0
	s_cbranch_vccnz .LBB472_1660
; %bb.1659:
	global_store_b32 v[0:1], v2, off
.LBB472_1660:
	s_mov_b32 s0, 0
.LBB472_1661:
	s_delay_alu instid0(SALU_CYCLE_1)
	s_and_not1_b32 vcc_lo, exec_lo, s0
	s_cbranch_vccnz .LBB472_1663
; %bb.1662:
	v_cvt_f16_f32_e32 v3, v2
	global_store_b16 v[0:1], v3, off
.LBB472_1663:
	s_mov_b32 s0, 0
.LBB472_1664:
	s_delay_alu instid0(SALU_CYCLE_1)
	s_and_not1_b32 vcc_lo, exec_lo, s0
	s_cbranch_vccnz .LBB472_1680
; %bb.1665:
	v_cmp_gt_i16_e32 vcc_lo, 2, v6
	s_mov_b32 s0, -1
	s_cbranch_vccnz .LBB472_1675
; %bb.1666:
	v_cmp_gt_i16_e32 vcc_lo, 3, v6
	s_cbranch_vccnz .LBB472_1672
; %bb.1667:
	v_cmp_lt_i16_e32 vcc_lo, 3, v6
	s_cbranch_vccz .LBB472_1669
; %bb.1668:
	v_trunc_f32_e32 v3, v2
	s_mov_b32 s0, 0
	s_delay_alu instid0(VALU_DEP_1) | instskip(NEXT) | instid1(VALU_DEP_1)
	v_mul_f32_e64 v10, 0x2f800000, |v3|
	v_floor_f32_e32 v10, v10
	s_delay_alu instid0(VALU_DEP_1) | instskip(SKIP_2) | instid1(VALU_DEP_3)
	v_fma_f32 v11, 0xcf800000, v10, |v3|
	v_ashrrev_i32_e32 v3, 31, v3
	v_cvt_u32_f32_e32 v10, v10
	v_cvt_u32_f32_e32 v11, v11
	s_delay_alu instid0(VALU_DEP_2) | instskip(NEXT) | instid1(VALU_DEP_2)
	v_xor_b32_e32 v12, v10, v3
	v_xor_b32_e32 v11, v11, v3
	s_delay_alu instid0(VALU_DEP_1) | instskip(NEXT) | instid1(VALU_DEP_3)
	v_sub_co_u32 v10, vcc_lo, v11, v3
	v_sub_co_ci_u32_e32 v11, vcc_lo, v12, v3, vcc_lo
	global_store_b64 v[0:1], v[10:11], off
.LBB472_1669:
	s_and_not1_b32 vcc_lo, exec_lo, s0
	s_cbranch_vccnz .LBB472_1671
; %bb.1670:
	v_cvt_i32_f32_e32 v3, v2
	global_store_b32 v[0:1], v3, off
.LBB472_1671:
	s_mov_b32 s0, 0
.LBB472_1672:
	s_delay_alu instid0(SALU_CYCLE_1)
	s_and_not1_b32 vcc_lo, exec_lo, s0
	s_cbranch_vccnz .LBB472_1674
; %bb.1673:
	v_cvt_i32_f32_e32 v3, v2
	global_store_b16 v[0:1], v3, off
.LBB472_1674:
	s_mov_b32 s0, 0
.LBB472_1675:
	s_delay_alu instid0(SALU_CYCLE_1)
	s_and_not1_b32 vcc_lo, exec_lo, s0
	s_cbranch_vccnz .LBB472_1680
; %bb.1676:
	v_cmp_lt_i16_e32 vcc_lo, 0, v6
	s_mov_b32 s0, -1
	s_cbranch_vccz .LBB472_1678
; %bb.1677:
	v_cvt_i32_f32_e32 v3, v2
	s_mov_b32 s0, 0
	global_store_b8 v[0:1], v3, off
.LBB472_1678:
	s_and_not1_b32 vcc_lo, exec_lo, s0
	s_cbranch_vccnz .LBB472_1680
; %bb.1679:
	v_trunc_f32_e32 v2, v2
	s_delay_alu instid0(VALU_DEP_1) | instskip(NEXT) | instid1(VALU_DEP_1)
	v_mul_f32_e64 v3, 0x2f800000, |v2|
	v_floor_f32_e32 v3, v3
	s_delay_alu instid0(VALU_DEP_1) | instskip(SKIP_1) | instid1(VALU_DEP_2)
	v_fma_f32 v3, 0xcf800000, v3, |v2|
	v_ashrrev_i32_e32 v2, 31, v2
	v_cvt_u32_f32_e32 v3, v3
	s_delay_alu instid0(VALU_DEP_1) | instskip(NEXT) | instid1(VALU_DEP_1)
	v_xor_b32_e32 v3, v3, v2
	v_sub_nc_u32_e32 v2, v3, v2
	global_store_b8 v[0:1], v2, off
.LBB472_1680:
	s_mov_b32 s6, -1
.LBB472_1681:
	s_delay_alu instid0(SALU_CYCLE_1)
	s_and_not1_b32 vcc_lo, exec_lo, s6
	s_cbranch_vccnz .LBB472_1996
; %bb.1682:
	v_max_f32_e32 v0, v7, v7
	s_lshl_b32 s2, s8, 7
	v_cmp_u_f32_e64 s0, v7, v7
	v_add_nc_u32_e32 v4, s2, v4
	v_cmp_gt_i16_e32 vcc_lo, 11, v6
	v_min_f32_e32 v0, v0, v5
	s_delay_alu instid0(VALU_DEP_3) | instskip(NEXT) | instid1(VALU_DEP_2)
	v_ashrrev_i32_e32 v1, 31, v4
	v_cndmask_b32_e64 v2, v0, v7, s0
	v_add_co_u32 v0, s0, s4, v4
	s_delay_alu instid0(VALU_DEP_1)
	v_add_co_ci_u32_e64 v1, s0, s5, v1, s0
	s_cbranch_vccnz .LBB472_1760
; %bb.1683:
	v_cmp_lt_i16_e32 vcc_lo, 25, v6
	s_mov_b32 s8, -1
	s_mov_b32 s6, 0
	s_mov_b32 s7, 0
	;; [unrolled: 1-line block ×3, first 2 shown]
	s_cbranch_vccz .LBB472_1716
; %bb.1684:
	v_cmp_lt_i16_e32 vcc_lo, 28, v6
	s_cbranch_vccz .LBB472_1699
; %bb.1685:
	v_cmp_lt_i16_e32 vcc_lo, 43, v6
	;; [unrolled: 3-line block ×3, first 2 shown]
	s_cbranch_vccz .LBB472_1689
; %bb.1687:
	v_cmp_eq_u16_e32 vcc_lo, 46, v6
	s_mov_b32 s0, -1
	s_mov_b32 s8, 0
	s_cbranch_vccz .LBB472_1689
; %bb.1688:
	v_bfe_u32 v3, v2, 16, 1
	v_cmp_o_f32_e32 vcc_lo, v2, v2
	s_mov_b32 s0, 0
	s_mov_b32 s7, -1
	s_delay_alu instid0(VALU_DEP_2) | instskip(NEXT) | instid1(VALU_DEP_1)
	v_add3_u32 v3, v2, v3, 0x7fff
	v_lshrrev_b32_e32 v3, 16, v3
	s_delay_alu instid0(VALU_DEP_1)
	v_cndmask_b32_e32 v3, 0x7fc0, v3, vcc_lo
	global_store_b32 v[0:1], v3, off
.LBB472_1689:
	s_and_b32 vcc_lo, exec_lo, s8
	s_cbranch_vccz .LBB472_1694
; %bb.1690:
	v_cmp_eq_u16_e32 vcc_lo, 44, v6
	s_mov_b32 s0, -1
	s_cbranch_vccz .LBB472_1694
; %bb.1691:
	v_bfe_u32 v7, v2, 23, 8
	v_mov_b32_e32 v3, 0xff
	s_mov_b32 s7, exec_lo
	s_delay_alu instid0(VALU_DEP_2)
	v_cmpx_ne_u32_e32 0xff, v7
; %bb.1692:
	v_and_b32_e32 v3, 0x400000, v2
	v_and_or_b32 v7, 0x3fffff, v2, v7
	s_delay_alu instid0(VALU_DEP_2) | instskip(NEXT) | instid1(VALU_DEP_2)
	v_cmp_ne_u32_e32 vcc_lo, 0, v3
	v_cmp_ne_u32_e64 s0, 0, v7
	v_lshrrev_b32_e32 v3, 23, v2
	s_delay_alu instid0(VALU_DEP_2) | instskip(NEXT) | instid1(SALU_CYCLE_1)
	s_and_b32 s0, vcc_lo, s0
	v_cndmask_b32_e64 v7, 0, 1, s0
	s_delay_alu instid0(VALU_DEP_1)
	v_add_nc_u32_e32 v3, v3, v7
; %bb.1693:
	s_or_b32 exec_lo, exec_lo, s7
	s_mov_b32 s0, 0
	s_mov_b32 s7, -1
	global_store_b8 v[0:1], v3, off
.LBB472_1694:
	s_mov_b32 s8, 0
.LBB472_1695:
	s_delay_alu instid0(SALU_CYCLE_1)
	s_and_b32 vcc_lo, exec_lo, s8
	s_cbranch_vccz .LBB472_1698
; %bb.1696:
	v_cmp_eq_u16_e32 vcc_lo, 29, v6
	s_mov_b32 s0, -1
	s_cbranch_vccz .LBB472_1698
; %bb.1697:
	v_trunc_f32_e32 v3, v2
	s_mov_b32 s0, 0
	s_mov_b32 s7, -1
	s_delay_alu instid0(VALU_DEP_1) | instskip(NEXT) | instid1(VALU_DEP_1)
	v_mul_f32_e32 v7, 0x2f800000, v3
	v_floor_f32_e32 v7, v7
	s_delay_alu instid0(VALU_DEP_1) | instskip(SKIP_1) | instid1(VALU_DEP_2)
	v_fmamk_f32 v3, v7, 0xcf800000, v3
	v_cvt_u32_f32_e32 v11, v7
	v_cvt_u32_f32_e32 v10, v3
	global_store_b64 v[0:1], v[10:11], off
.LBB472_1698:
	s_mov_b32 s8, 0
.LBB472_1699:
	s_delay_alu instid0(SALU_CYCLE_1)
	s_and_b32 vcc_lo, exec_lo, s8
	s_cbranch_vccz .LBB472_1715
; %bb.1700:
	v_cmp_gt_i16_e32 vcc_lo, 27, v6
	s_mov_b32 s7, -1
	s_cbranch_vccnz .LBB472_1706
; %bb.1701:
	v_cmp_lt_i16_e32 vcc_lo, 27, v6
	v_cvt_u32_f32_e32 v3, v2
	s_cbranch_vccz .LBB472_1703
; %bb.1702:
	s_mov_b32 s7, 0
	global_store_b32 v[0:1], v3, off
.LBB472_1703:
	s_and_not1_b32 vcc_lo, exec_lo, s7
	s_cbranch_vccnz .LBB472_1705
; %bb.1704:
	global_store_b16 v[0:1], v3, off
.LBB472_1705:
	s_mov_b32 s7, 0
.LBB472_1706:
	s_delay_alu instid0(SALU_CYCLE_1)
	s_and_not1_b32 vcc_lo, exec_lo, s7
	s_cbranch_vccnz .LBB472_1714
; %bb.1707:
	v_and_b32_e32 v3, 0x7fffffff, v2
	v_mov_b32_e32 v7, 0x80
	s_mov_b32 s7, exec_lo
	s_delay_alu instid0(VALU_DEP_2)
	v_cmpx_gt_u32_e32 0x43800000, v3
	s_cbranch_execz .LBB472_1713
; %bb.1708:
	v_cmp_lt_u32_e32 vcc_lo, 0x3bffffff, v3
	s_mov_b32 s8, 0
                                        ; implicit-def: $vgpr3
	s_and_saveexec_b32 s9, vcc_lo
	s_delay_alu instid0(SALU_CYCLE_1)
	s_xor_b32 s9, exec_lo, s9
	s_cbranch_execz .LBB472_2052
; %bb.1709:
	v_bfe_u32 v3, v2, 20, 1
	s_mov_b32 s8, exec_lo
	s_delay_alu instid0(VALU_DEP_1) | instskip(NEXT) | instid1(VALU_DEP_1)
	v_add3_u32 v3, v2, v3, 0x487ffff
	v_lshrrev_b32_e32 v3, 20, v3
	s_or_saveexec_b32 s9, s9
                                        ; implicit-def: $sgpr10
	s_delay_alu instid0(SALU_CYCLE_1)
	s_xor_b32 exec_lo, exec_lo, s9
	s_cbranch_execnz .LBB472_2053
.LBB472_1710:
	s_or_b32 exec_lo, exec_lo, s9
	v_mov_b32_e32 v7, s10
	s_and_saveexec_b32 s9, s8
.LBB472_1711:
	v_lshrrev_b32_e32 v7, 24, v2
	s_delay_alu instid0(VALU_DEP_1)
	v_and_or_b32 v7, 0x80, v7, v3
.LBB472_1712:
	s_or_b32 exec_lo, exec_lo, s9
.LBB472_1713:
	s_delay_alu instid0(SALU_CYCLE_1)
	s_or_b32 exec_lo, exec_lo, s7
	global_store_b8 v[0:1], v7, off
.LBB472_1714:
	s_mov_b32 s7, -1
.LBB472_1715:
	s_mov_b32 s8, 0
.LBB472_1716:
	s_delay_alu instid0(SALU_CYCLE_1)
	s_and_b32 vcc_lo, exec_lo, s8
	s_cbranch_vccz .LBB472_1756
; %bb.1717:
	v_cmp_lt_i16_e32 vcc_lo, 22, v6
	s_mov_b32 s6, -1
	s_cbranch_vccz .LBB472_1749
; %bb.1718:
	v_cmp_gt_i16_e32 vcc_lo, 24, v6
	s_cbranch_vccnz .LBB472_1738
; %bb.1719:
	v_cmp_lt_i16_e32 vcc_lo, 24, v6
	s_cbranch_vccz .LBB472_1727
; %bb.1720:
	v_and_b32_e32 v3, 0x7fffffff, v2
	v_mov_b32_e32 v7, 0x80
	s_mov_b32 s6, exec_lo
	s_delay_alu instid0(VALU_DEP_2)
	v_cmpx_gt_u32_e32 0x47800000, v3
	s_cbranch_execz .LBB472_1726
; %bb.1721:
	v_cmp_lt_u32_e32 vcc_lo, 0x37ffffff, v3
	s_mov_b32 s7, 0
                                        ; implicit-def: $vgpr3
	s_and_saveexec_b32 s8, vcc_lo
	s_delay_alu instid0(SALU_CYCLE_1)
	s_xor_b32 s8, exec_lo, s8
	s_cbranch_execz .LBB472_2058
; %bb.1722:
	v_bfe_u32 v3, v2, 21, 1
	s_mov_b32 s7, exec_lo
	s_delay_alu instid0(VALU_DEP_1) | instskip(NEXT) | instid1(VALU_DEP_1)
	v_add3_u32 v3, v2, v3, 0x88fffff
	v_lshrrev_b32_e32 v3, 21, v3
	s_or_saveexec_b32 s8, s8
                                        ; implicit-def: $sgpr9
	s_delay_alu instid0(SALU_CYCLE_1)
	s_xor_b32 exec_lo, exec_lo, s8
	s_cbranch_execnz .LBB472_2059
.LBB472_1723:
	s_or_b32 exec_lo, exec_lo, s8
	v_mov_b32_e32 v7, s9
	s_and_saveexec_b32 s8, s7
.LBB472_1724:
	v_lshrrev_b32_e32 v7, 24, v2
	s_delay_alu instid0(VALU_DEP_1)
	v_and_or_b32 v7, 0x80, v7, v3
.LBB472_1725:
	s_or_b32 exec_lo, exec_lo, s8
.LBB472_1726:
	s_delay_alu instid0(SALU_CYCLE_1)
	s_or_b32 exec_lo, exec_lo, s6
	s_mov_b32 s6, 0
	global_store_b8 v[0:1], v7, off
.LBB472_1727:
	s_and_b32 vcc_lo, exec_lo, s6
	s_cbranch_vccz .LBB472_1737
; %bb.1728:
	v_and_b32_e32 v7, 0x7fffffff, v2
	s_mov_b32 s6, exec_lo
                                        ; implicit-def: $vgpr3
	s_delay_alu instid0(VALU_DEP_1)
	v_cmpx_gt_u32_e32 0x43f00000, v7
	s_xor_b32 s6, exec_lo, s6
	s_cbranch_execz .LBB472_1734
; %bb.1729:
	s_mov_b32 s7, exec_lo
                                        ; implicit-def: $vgpr3
	v_cmpx_lt_u32_e32 0x3c7fffff, v7
	s_xor_b32 s7, exec_lo, s7
; %bb.1730:
	v_bfe_u32 v3, v2, 20, 1
	s_delay_alu instid0(VALU_DEP_1) | instskip(NEXT) | instid1(VALU_DEP_1)
	v_add3_u32 v3, v2, v3, 0x407ffff
	v_and_b32_e32 v7, 0xff00000, v3
	v_lshrrev_b32_e32 v3, 20, v3
	s_delay_alu instid0(VALU_DEP_2) | instskip(NEXT) | instid1(VALU_DEP_2)
	v_cmp_ne_u32_e32 vcc_lo, 0x7f00000, v7
	v_cndmask_b32_e32 v3, 0x7e, v3, vcc_lo
; %bb.1731:
	s_and_not1_saveexec_b32 s7, s7
; %bb.1732:
	v_add_f32_e64 v3, 0x46800000, |v2|
; %bb.1733:
	s_or_b32 exec_lo, exec_lo, s7
                                        ; implicit-def: $vgpr7
.LBB472_1734:
	s_and_not1_saveexec_b32 s6, s6
; %bb.1735:
	v_mov_b32_e32 v3, 0x7f
	v_cmp_lt_u32_e32 vcc_lo, 0x7f800000, v7
	s_delay_alu instid0(VALU_DEP_2)
	v_cndmask_b32_e32 v3, 0x7e, v3, vcc_lo
; %bb.1736:
	s_or_b32 exec_lo, exec_lo, s6
	v_lshrrev_b32_e32 v7, 24, v2
	s_delay_alu instid0(VALU_DEP_1)
	v_and_or_b32 v3, 0x80, v7, v3
	global_store_b8 v[0:1], v3, off
.LBB472_1737:
	s_mov_b32 s6, 0
.LBB472_1738:
	s_delay_alu instid0(SALU_CYCLE_1)
	s_and_not1_b32 vcc_lo, exec_lo, s6
	s_cbranch_vccnz .LBB472_1748
; %bb.1739:
	v_and_b32_e32 v7, 0x7fffffff, v2
	s_mov_b32 s6, exec_lo
                                        ; implicit-def: $vgpr3
	s_delay_alu instid0(VALU_DEP_1)
	v_cmpx_gt_u32_e32 0x47800000, v7
	s_xor_b32 s6, exec_lo, s6
	s_cbranch_execz .LBB472_1745
; %bb.1740:
	s_mov_b32 s7, exec_lo
                                        ; implicit-def: $vgpr3
	v_cmpx_lt_u32_e32 0x387fffff, v7
	s_xor_b32 s7, exec_lo, s7
; %bb.1741:
	v_bfe_u32 v3, v2, 21, 1
	s_delay_alu instid0(VALU_DEP_1) | instskip(NEXT) | instid1(VALU_DEP_1)
	v_add3_u32 v3, v2, v3, 0x80fffff
	v_lshrrev_b32_e32 v3, 21, v3
; %bb.1742:
	s_and_not1_saveexec_b32 s7, s7
; %bb.1743:
	v_add_f32_e64 v3, 0x43000000, |v2|
; %bb.1744:
	s_or_b32 exec_lo, exec_lo, s7
                                        ; implicit-def: $vgpr7
.LBB472_1745:
	s_and_not1_saveexec_b32 s6, s6
; %bb.1746:
	v_mov_b32_e32 v3, 0x7f
	v_cmp_lt_u32_e32 vcc_lo, 0x7f800000, v7
	s_delay_alu instid0(VALU_DEP_2)
	v_cndmask_b32_e32 v3, 0x7c, v3, vcc_lo
; %bb.1747:
	s_or_b32 exec_lo, exec_lo, s6
	v_lshrrev_b32_e32 v7, 24, v2
	s_delay_alu instid0(VALU_DEP_1)
	v_and_or_b32 v3, 0x80, v7, v3
	global_store_b8 v[0:1], v3, off
.LBB472_1748:
	s_mov_b32 s6, 0
	s_mov_b32 s7, -1
.LBB472_1749:
	s_and_not1_b32 vcc_lo, exec_lo, s6
	s_mov_b32 s6, 0
	s_cbranch_vccnz .LBB472_1756
; %bb.1750:
	v_cmp_lt_i16_e32 vcc_lo, 14, v6
	s_mov_b32 s6, -1
	s_cbranch_vccz .LBB472_1754
; %bb.1751:
	v_cmp_eq_u16_e32 vcc_lo, 15, v6
	s_mov_b32 s0, -1
	s_cbranch_vccz .LBB472_1753
; %bb.1752:
	v_bfe_u32 v3, v2, 16, 1
	v_cmp_o_f32_e32 vcc_lo, v2, v2
	s_mov_b32 s0, 0
	s_mov_b32 s7, -1
	s_delay_alu instid0(VALU_DEP_2) | instskip(NEXT) | instid1(VALU_DEP_1)
	v_add3_u32 v3, v2, v3, 0x7fff
	v_lshrrev_b32_e32 v3, 16, v3
	s_delay_alu instid0(VALU_DEP_1)
	v_cndmask_b32_e32 v3, 0x7fc0, v3, vcc_lo
	global_store_b16 v[0:1], v3, off
.LBB472_1753:
	s_mov_b32 s6, 0
.LBB472_1754:
	s_delay_alu instid0(SALU_CYCLE_1)
	s_and_b32 vcc_lo, exec_lo, s6
	s_mov_b32 s6, 0
	s_cbranch_vccz .LBB472_1756
; %bb.1755:
	v_cmp_ne_u16_e64 s0, 11, v6
	s_mov_b32 s6, -1
.LBB472_1756:
	s_delay_alu instid0(VALU_DEP_1)
	s_and_b32 vcc_lo, exec_lo, s0
	s_cbranch_vccnz .LBB472_2056
; %bb.1757:
	s_and_not1_b32 vcc_lo, exec_lo, s6
	s_cbranch_vccnz .LBB472_1759
.LBB472_1758:
	v_cmp_neq_f32_e32 vcc_lo, 0, v2
	s_mov_b32 s7, -1
	v_cndmask_b32_e64 v3, 0, 1, vcc_lo
	global_store_b8 v[0:1], v3, off
.LBB472_1759:
	s_mov_b32 s0, 0
	s_branch .LBB472_1761
.LBB472_1760:
	s_mov_b32 s0, -1
	s_mov_b32 s7, 0
.LBB472_1761:
	s_and_b32 vcc_lo, exec_lo, s0
	s_cbranch_vccz .LBB472_1800
; %bb.1762:
	v_cmp_gt_i16_e32 vcc_lo, 5, v6
	s_mov_b32 s0, -1
	s_cbranch_vccnz .LBB472_1783
; %bb.1763:
	v_cmp_gt_i16_e32 vcc_lo, 8, v6
	s_cbranch_vccnz .LBB472_1773
; %bb.1764:
	v_cmp_gt_i16_e32 vcc_lo, 9, v6
	s_cbranch_vccnz .LBB472_1770
; %bb.1765:
	v_cmp_lt_i16_e32 vcc_lo, 9, v6
	s_cbranch_vccz .LBB472_1767
; %bb.1766:
	v_cvt_f64_f32_e32 v[10:11], v2
	v_mov_b32_e32 v12, 0
	s_mov_b32 s0, 0
	s_delay_alu instid0(VALU_DEP_1)
	v_mov_b32_e32 v13, v12
	global_store_b128 v[0:1], v[10:13], off
.LBB472_1767:
	s_and_not1_b32 vcc_lo, exec_lo, s0
	s_cbranch_vccnz .LBB472_1769
; %bb.1768:
	v_mov_b32_e32 v3, 0
	global_store_b64 v[0:1], v[2:3], off
.LBB472_1769:
	s_mov_b32 s0, 0
.LBB472_1770:
	s_delay_alu instid0(SALU_CYCLE_1)
	s_and_not1_b32 vcc_lo, exec_lo, s0
	s_cbranch_vccnz .LBB472_1772
; %bb.1771:
	v_cvt_f16_f32_e32 v3, v2
	s_delay_alu instid0(VALU_DEP_1)
	v_and_b32_e32 v3, 0xffff, v3
	global_store_b32 v[0:1], v3, off
.LBB472_1772:
	s_mov_b32 s0, 0
.LBB472_1773:
	s_delay_alu instid0(SALU_CYCLE_1)
	s_and_not1_b32 vcc_lo, exec_lo, s0
	s_cbranch_vccnz .LBB472_1782
; %bb.1774:
	v_cmp_gt_i16_e32 vcc_lo, 6, v6
	s_mov_b32 s0, -1
	s_cbranch_vccnz .LBB472_1780
; %bb.1775:
	v_cmp_lt_i16_e32 vcc_lo, 6, v6
	s_cbranch_vccz .LBB472_1777
; %bb.1776:
	v_cvt_f64_f32_e32 v[10:11], v2
	s_mov_b32 s0, 0
	global_store_b64 v[0:1], v[10:11], off
.LBB472_1777:
	s_and_not1_b32 vcc_lo, exec_lo, s0
	s_cbranch_vccnz .LBB472_1779
; %bb.1778:
	global_store_b32 v[0:1], v2, off
.LBB472_1779:
	s_mov_b32 s0, 0
.LBB472_1780:
	s_delay_alu instid0(SALU_CYCLE_1)
	s_and_not1_b32 vcc_lo, exec_lo, s0
	s_cbranch_vccnz .LBB472_1782
; %bb.1781:
	v_cvt_f16_f32_e32 v3, v2
	global_store_b16 v[0:1], v3, off
.LBB472_1782:
	s_mov_b32 s0, 0
.LBB472_1783:
	s_delay_alu instid0(SALU_CYCLE_1)
	s_and_not1_b32 vcc_lo, exec_lo, s0
	s_cbranch_vccnz .LBB472_1799
; %bb.1784:
	v_cmp_gt_i16_e32 vcc_lo, 2, v6
	s_mov_b32 s0, -1
	s_cbranch_vccnz .LBB472_1794
; %bb.1785:
	v_cmp_gt_i16_e32 vcc_lo, 3, v6
	s_cbranch_vccnz .LBB472_1791
; %bb.1786:
	v_cmp_lt_i16_e32 vcc_lo, 3, v6
	s_cbranch_vccz .LBB472_1788
; %bb.1787:
	v_trunc_f32_e32 v3, v2
	s_mov_b32 s0, 0
	s_delay_alu instid0(VALU_DEP_1) | instskip(NEXT) | instid1(VALU_DEP_1)
	v_mul_f32_e64 v7, 0x2f800000, |v3|
	v_floor_f32_e32 v7, v7
	s_delay_alu instid0(VALU_DEP_1) | instskip(SKIP_2) | instid1(VALU_DEP_3)
	v_fma_f32 v10, 0xcf800000, v7, |v3|
	v_ashrrev_i32_e32 v3, 31, v3
	v_cvt_u32_f32_e32 v7, v7
	v_cvt_u32_f32_e32 v10, v10
	s_delay_alu instid0(VALU_DEP_2) | instskip(NEXT) | instid1(VALU_DEP_2)
	v_xor_b32_e32 v7, v7, v3
	v_xor_b32_e32 v10, v10, v3
	s_delay_alu instid0(VALU_DEP_1) | instskip(NEXT) | instid1(VALU_DEP_3)
	v_sub_co_u32 v10, vcc_lo, v10, v3
	v_sub_co_ci_u32_e32 v11, vcc_lo, v7, v3, vcc_lo
	global_store_b64 v[0:1], v[10:11], off
.LBB472_1788:
	s_and_not1_b32 vcc_lo, exec_lo, s0
	s_cbranch_vccnz .LBB472_1790
; %bb.1789:
	v_cvt_i32_f32_e32 v3, v2
	global_store_b32 v[0:1], v3, off
.LBB472_1790:
	s_mov_b32 s0, 0
.LBB472_1791:
	s_delay_alu instid0(SALU_CYCLE_1)
	s_and_not1_b32 vcc_lo, exec_lo, s0
	s_cbranch_vccnz .LBB472_1793
; %bb.1792:
	v_cvt_i32_f32_e32 v3, v2
	global_store_b16 v[0:1], v3, off
.LBB472_1793:
	s_mov_b32 s0, 0
.LBB472_1794:
	s_delay_alu instid0(SALU_CYCLE_1)
	s_and_not1_b32 vcc_lo, exec_lo, s0
	s_cbranch_vccnz .LBB472_1799
; %bb.1795:
	v_cmp_lt_i16_e32 vcc_lo, 0, v6
	s_mov_b32 s0, -1
	s_cbranch_vccz .LBB472_1797
; %bb.1796:
	v_cvt_i32_f32_e32 v3, v2
	s_mov_b32 s0, 0
	global_store_b8 v[0:1], v3, off
.LBB472_1797:
	s_and_not1_b32 vcc_lo, exec_lo, s0
	s_cbranch_vccnz .LBB472_1799
; %bb.1798:
	v_trunc_f32_e32 v2, v2
	s_delay_alu instid0(VALU_DEP_1) | instskip(NEXT) | instid1(VALU_DEP_1)
	v_mul_f32_e64 v3, 0x2f800000, |v2|
	v_floor_f32_e32 v3, v3
	s_delay_alu instid0(VALU_DEP_1) | instskip(SKIP_1) | instid1(VALU_DEP_2)
	v_fma_f32 v3, 0xcf800000, v3, |v2|
	v_ashrrev_i32_e32 v2, 31, v2
	v_cvt_u32_f32_e32 v3, v3
	s_delay_alu instid0(VALU_DEP_1) | instskip(NEXT) | instid1(VALU_DEP_1)
	v_xor_b32_e32 v3, v3, v2
	v_sub_nc_u32_e32 v2, v3, v2
	global_store_b8 v[0:1], v2, off
.LBB472_1799:
	s_mov_b32 s7, -1
.LBB472_1800:
	s_delay_alu instid0(SALU_CYCLE_1)
	s_and_not1_b32 vcc_lo, exec_lo, s7
	s_cbranch_vccnz .LBB472_1996
; %bb.1801:
	v_max_f32_e32 v0, v8, v8
	v_add_nc_u32_e32 v4, s2, v4
	v_cmp_u_f32_e64 s0, v8, v8
	v_cmp_gt_i16_e32 vcc_lo, 11, v6
	s_delay_alu instid0(VALU_DEP_4) | instskip(NEXT) | instid1(VALU_DEP_4)
	v_min_f32_e32 v0, v0, v5
	v_ashrrev_i32_e32 v1, 31, v4
	s_delay_alu instid0(VALU_DEP_2) | instskip(SKIP_1) | instid1(VALU_DEP_1)
	v_cndmask_b32_e64 v2, v0, v8, s0
	v_add_co_u32 v0, s0, s4, v4
	v_add_co_ci_u32_e64 v1, s0, s5, v1, s0
	s_cbranch_vccnz .LBB472_1879
; %bb.1802:
	v_cmp_lt_i16_e32 vcc_lo, 25, v6
	s_mov_b32 s8, -1
	s_mov_b32 s6, 0
	s_mov_b32 s7, 0
	;; [unrolled: 1-line block ×3, first 2 shown]
	s_cbranch_vccz .LBB472_1835
; %bb.1803:
	v_cmp_lt_i16_e32 vcc_lo, 28, v6
	s_cbranch_vccz .LBB472_1818
; %bb.1804:
	v_cmp_lt_i16_e32 vcc_lo, 43, v6
	;; [unrolled: 3-line block ×3, first 2 shown]
	s_cbranch_vccz .LBB472_1808
; %bb.1806:
	v_cmp_eq_u16_e32 vcc_lo, 46, v6
	s_mov_b32 s0, -1
	s_mov_b32 s8, 0
	s_cbranch_vccz .LBB472_1808
; %bb.1807:
	v_bfe_u32 v3, v2, 16, 1
	v_cmp_o_f32_e32 vcc_lo, v2, v2
	s_mov_b32 s0, 0
	s_mov_b32 s7, -1
	s_delay_alu instid0(VALU_DEP_2) | instskip(NEXT) | instid1(VALU_DEP_1)
	v_add3_u32 v3, v2, v3, 0x7fff
	v_lshrrev_b32_e32 v3, 16, v3
	s_delay_alu instid0(VALU_DEP_1)
	v_cndmask_b32_e32 v3, 0x7fc0, v3, vcc_lo
	global_store_b32 v[0:1], v3, off
.LBB472_1808:
	s_and_b32 vcc_lo, exec_lo, s8
	s_cbranch_vccz .LBB472_1813
; %bb.1809:
	v_cmp_eq_u16_e32 vcc_lo, 44, v6
	s_mov_b32 s0, -1
	s_cbranch_vccz .LBB472_1813
; %bb.1810:
	v_bfe_u32 v7, v2, 23, 8
	v_mov_b32_e32 v3, 0xff
	s_mov_b32 s7, exec_lo
	s_delay_alu instid0(VALU_DEP_2)
	v_cmpx_ne_u32_e32 0xff, v7
; %bb.1811:
	v_and_b32_e32 v3, 0x400000, v2
	v_and_or_b32 v7, 0x3fffff, v2, v7
	s_delay_alu instid0(VALU_DEP_2) | instskip(NEXT) | instid1(VALU_DEP_2)
	v_cmp_ne_u32_e32 vcc_lo, 0, v3
	v_cmp_ne_u32_e64 s0, 0, v7
	v_lshrrev_b32_e32 v3, 23, v2
	s_delay_alu instid0(VALU_DEP_2) | instskip(NEXT) | instid1(SALU_CYCLE_1)
	s_and_b32 s0, vcc_lo, s0
	v_cndmask_b32_e64 v7, 0, 1, s0
	s_delay_alu instid0(VALU_DEP_1)
	v_add_nc_u32_e32 v3, v3, v7
; %bb.1812:
	s_or_b32 exec_lo, exec_lo, s7
	s_mov_b32 s0, 0
	s_mov_b32 s7, -1
	global_store_b8 v[0:1], v3, off
.LBB472_1813:
	s_mov_b32 s8, 0
.LBB472_1814:
	s_delay_alu instid0(SALU_CYCLE_1)
	s_and_b32 vcc_lo, exec_lo, s8
	s_cbranch_vccz .LBB472_1817
; %bb.1815:
	v_cmp_eq_u16_e32 vcc_lo, 29, v6
	s_mov_b32 s0, -1
	s_cbranch_vccz .LBB472_1817
; %bb.1816:
	v_trunc_f32_e32 v3, v2
	s_mov_b32 s0, 0
	s_mov_b32 s7, -1
	s_delay_alu instid0(VALU_DEP_1) | instskip(NEXT) | instid1(VALU_DEP_1)
	v_mul_f32_e32 v7, 0x2f800000, v3
	v_floor_f32_e32 v7, v7
	s_delay_alu instid0(VALU_DEP_1) | instskip(SKIP_1) | instid1(VALU_DEP_2)
	v_fmamk_f32 v3, v7, 0xcf800000, v3
	v_cvt_u32_f32_e32 v8, v7
	v_cvt_u32_f32_e32 v7, v3
	global_store_b64 v[0:1], v[7:8], off
.LBB472_1817:
	s_mov_b32 s8, 0
.LBB472_1818:
	s_delay_alu instid0(SALU_CYCLE_1)
	s_and_b32 vcc_lo, exec_lo, s8
	s_cbranch_vccz .LBB472_1834
; %bb.1819:
	v_cmp_gt_i16_e32 vcc_lo, 27, v6
	s_mov_b32 s7, -1
	s_cbranch_vccnz .LBB472_1825
; %bb.1820:
	v_cmp_lt_i16_e32 vcc_lo, 27, v6
	v_cvt_u32_f32_e32 v3, v2
	s_cbranch_vccz .LBB472_1822
; %bb.1821:
	s_mov_b32 s7, 0
	global_store_b32 v[0:1], v3, off
.LBB472_1822:
	s_and_not1_b32 vcc_lo, exec_lo, s7
	s_cbranch_vccnz .LBB472_1824
; %bb.1823:
	global_store_b16 v[0:1], v3, off
.LBB472_1824:
	s_mov_b32 s7, 0
.LBB472_1825:
	s_delay_alu instid0(SALU_CYCLE_1)
	s_and_not1_b32 vcc_lo, exec_lo, s7
	s_cbranch_vccnz .LBB472_1833
; %bb.1826:
	v_and_b32_e32 v3, 0x7fffffff, v2
	v_mov_b32_e32 v7, 0x80
	s_mov_b32 s7, exec_lo
	s_delay_alu instid0(VALU_DEP_2)
	v_cmpx_gt_u32_e32 0x43800000, v3
	s_cbranch_execz .LBB472_1832
; %bb.1827:
	v_cmp_lt_u32_e32 vcc_lo, 0x3bffffff, v3
	s_mov_b32 s8, 0
                                        ; implicit-def: $vgpr3
	s_and_saveexec_b32 s9, vcc_lo
	s_delay_alu instid0(SALU_CYCLE_1)
	s_xor_b32 s9, exec_lo, s9
	s_cbranch_execz .LBB472_2060
; %bb.1828:
	v_bfe_u32 v3, v2, 20, 1
	s_mov_b32 s8, exec_lo
	s_delay_alu instid0(VALU_DEP_1) | instskip(NEXT) | instid1(VALU_DEP_1)
	v_add3_u32 v3, v2, v3, 0x487ffff
	v_lshrrev_b32_e32 v3, 20, v3
	s_or_saveexec_b32 s9, s9
                                        ; implicit-def: $sgpr10
	s_delay_alu instid0(SALU_CYCLE_1)
	s_xor_b32 exec_lo, exec_lo, s9
	s_cbranch_execnz .LBB472_2061
.LBB472_1829:
	s_or_b32 exec_lo, exec_lo, s9
	v_mov_b32_e32 v7, s10
	s_and_saveexec_b32 s9, s8
.LBB472_1830:
	v_lshrrev_b32_e32 v7, 24, v2
	s_delay_alu instid0(VALU_DEP_1)
	v_and_or_b32 v7, 0x80, v7, v3
.LBB472_1831:
	s_or_b32 exec_lo, exec_lo, s9
.LBB472_1832:
	s_delay_alu instid0(SALU_CYCLE_1)
	s_or_b32 exec_lo, exec_lo, s7
	global_store_b8 v[0:1], v7, off
.LBB472_1833:
	s_mov_b32 s7, -1
.LBB472_1834:
	s_mov_b32 s8, 0
.LBB472_1835:
	s_delay_alu instid0(SALU_CYCLE_1)
	s_and_b32 vcc_lo, exec_lo, s8
	s_cbranch_vccz .LBB472_1875
; %bb.1836:
	v_cmp_lt_i16_e32 vcc_lo, 22, v6
	s_mov_b32 s6, -1
	s_cbranch_vccz .LBB472_1868
; %bb.1837:
	v_cmp_gt_i16_e32 vcc_lo, 24, v6
	s_cbranch_vccnz .LBB472_1857
; %bb.1838:
	v_cmp_lt_i16_e32 vcc_lo, 24, v6
	s_cbranch_vccz .LBB472_1846
; %bb.1839:
	v_and_b32_e32 v3, 0x7fffffff, v2
	v_mov_b32_e32 v7, 0x80
	s_mov_b32 s6, exec_lo
	s_delay_alu instid0(VALU_DEP_2)
	v_cmpx_gt_u32_e32 0x47800000, v3
	s_cbranch_execz .LBB472_1845
; %bb.1840:
	v_cmp_lt_u32_e32 vcc_lo, 0x37ffffff, v3
	s_mov_b32 s7, 0
                                        ; implicit-def: $vgpr3
	s_and_saveexec_b32 s8, vcc_lo
	s_delay_alu instid0(SALU_CYCLE_1)
	s_xor_b32 s8, exec_lo, s8
	s_cbranch_execz .LBB472_2066
; %bb.1841:
	v_bfe_u32 v3, v2, 21, 1
	s_mov_b32 s7, exec_lo
	s_delay_alu instid0(VALU_DEP_1) | instskip(NEXT) | instid1(VALU_DEP_1)
	v_add3_u32 v3, v2, v3, 0x88fffff
	v_lshrrev_b32_e32 v3, 21, v3
	s_or_saveexec_b32 s8, s8
                                        ; implicit-def: $sgpr9
	s_delay_alu instid0(SALU_CYCLE_1)
	s_xor_b32 exec_lo, exec_lo, s8
	s_cbranch_execnz .LBB472_2067
.LBB472_1842:
	s_or_b32 exec_lo, exec_lo, s8
	v_mov_b32_e32 v7, s9
	s_and_saveexec_b32 s8, s7
.LBB472_1843:
	v_lshrrev_b32_e32 v7, 24, v2
	s_delay_alu instid0(VALU_DEP_1)
	v_and_or_b32 v7, 0x80, v7, v3
.LBB472_1844:
	s_or_b32 exec_lo, exec_lo, s8
.LBB472_1845:
	s_delay_alu instid0(SALU_CYCLE_1)
	s_or_b32 exec_lo, exec_lo, s6
	s_mov_b32 s6, 0
	global_store_b8 v[0:1], v7, off
.LBB472_1846:
	s_and_b32 vcc_lo, exec_lo, s6
	s_cbranch_vccz .LBB472_1856
; %bb.1847:
	v_and_b32_e32 v7, 0x7fffffff, v2
	s_mov_b32 s6, exec_lo
                                        ; implicit-def: $vgpr3
	s_delay_alu instid0(VALU_DEP_1)
	v_cmpx_gt_u32_e32 0x43f00000, v7
	s_xor_b32 s6, exec_lo, s6
	s_cbranch_execz .LBB472_1853
; %bb.1848:
	s_mov_b32 s7, exec_lo
                                        ; implicit-def: $vgpr3
	v_cmpx_lt_u32_e32 0x3c7fffff, v7
	s_xor_b32 s7, exec_lo, s7
; %bb.1849:
	v_bfe_u32 v3, v2, 20, 1
	s_delay_alu instid0(VALU_DEP_1) | instskip(NEXT) | instid1(VALU_DEP_1)
	v_add3_u32 v3, v2, v3, 0x407ffff
	v_and_b32_e32 v7, 0xff00000, v3
	v_lshrrev_b32_e32 v3, 20, v3
	s_delay_alu instid0(VALU_DEP_2) | instskip(NEXT) | instid1(VALU_DEP_2)
	v_cmp_ne_u32_e32 vcc_lo, 0x7f00000, v7
	v_cndmask_b32_e32 v3, 0x7e, v3, vcc_lo
; %bb.1850:
	s_and_not1_saveexec_b32 s7, s7
; %bb.1851:
	v_add_f32_e64 v3, 0x46800000, |v2|
; %bb.1852:
	s_or_b32 exec_lo, exec_lo, s7
                                        ; implicit-def: $vgpr7
.LBB472_1853:
	s_and_not1_saveexec_b32 s6, s6
; %bb.1854:
	v_mov_b32_e32 v3, 0x7f
	v_cmp_lt_u32_e32 vcc_lo, 0x7f800000, v7
	s_delay_alu instid0(VALU_DEP_2)
	v_cndmask_b32_e32 v3, 0x7e, v3, vcc_lo
; %bb.1855:
	s_or_b32 exec_lo, exec_lo, s6
	v_lshrrev_b32_e32 v7, 24, v2
	s_delay_alu instid0(VALU_DEP_1)
	v_and_or_b32 v3, 0x80, v7, v3
	global_store_b8 v[0:1], v3, off
.LBB472_1856:
	s_mov_b32 s6, 0
.LBB472_1857:
	s_delay_alu instid0(SALU_CYCLE_1)
	s_and_not1_b32 vcc_lo, exec_lo, s6
	s_cbranch_vccnz .LBB472_1867
; %bb.1858:
	v_and_b32_e32 v7, 0x7fffffff, v2
	s_mov_b32 s6, exec_lo
                                        ; implicit-def: $vgpr3
	s_delay_alu instid0(VALU_DEP_1)
	v_cmpx_gt_u32_e32 0x47800000, v7
	s_xor_b32 s6, exec_lo, s6
	s_cbranch_execz .LBB472_1864
; %bb.1859:
	s_mov_b32 s7, exec_lo
                                        ; implicit-def: $vgpr3
	v_cmpx_lt_u32_e32 0x387fffff, v7
	s_xor_b32 s7, exec_lo, s7
; %bb.1860:
	v_bfe_u32 v3, v2, 21, 1
	s_delay_alu instid0(VALU_DEP_1) | instskip(NEXT) | instid1(VALU_DEP_1)
	v_add3_u32 v3, v2, v3, 0x80fffff
	v_lshrrev_b32_e32 v3, 21, v3
; %bb.1861:
	s_and_not1_saveexec_b32 s7, s7
; %bb.1862:
	v_add_f32_e64 v3, 0x43000000, |v2|
; %bb.1863:
	s_or_b32 exec_lo, exec_lo, s7
                                        ; implicit-def: $vgpr7
.LBB472_1864:
	s_and_not1_saveexec_b32 s6, s6
; %bb.1865:
	v_mov_b32_e32 v3, 0x7f
	v_cmp_lt_u32_e32 vcc_lo, 0x7f800000, v7
	s_delay_alu instid0(VALU_DEP_2)
	v_cndmask_b32_e32 v3, 0x7c, v3, vcc_lo
; %bb.1866:
	s_or_b32 exec_lo, exec_lo, s6
	v_lshrrev_b32_e32 v7, 24, v2
	s_delay_alu instid0(VALU_DEP_1)
	v_and_or_b32 v3, 0x80, v7, v3
	global_store_b8 v[0:1], v3, off
.LBB472_1867:
	s_mov_b32 s6, 0
	s_mov_b32 s7, -1
.LBB472_1868:
	s_and_not1_b32 vcc_lo, exec_lo, s6
	s_mov_b32 s6, 0
	s_cbranch_vccnz .LBB472_1875
; %bb.1869:
	v_cmp_lt_i16_e32 vcc_lo, 14, v6
	s_mov_b32 s6, -1
	s_cbranch_vccz .LBB472_1873
; %bb.1870:
	v_cmp_eq_u16_e32 vcc_lo, 15, v6
	s_mov_b32 s0, -1
	s_cbranch_vccz .LBB472_1872
; %bb.1871:
	v_bfe_u32 v3, v2, 16, 1
	v_cmp_o_f32_e32 vcc_lo, v2, v2
	s_mov_b32 s0, 0
	s_mov_b32 s7, -1
	s_delay_alu instid0(VALU_DEP_2) | instskip(NEXT) | instid1(VALU_DEP_1)
	v_add3_u32 v3, v2, v3, 0x7fff
	v_lshrrev_b32_e32 v3, 16, v3
	s_delay_alu instid0(VALU_DEP_1)
	v_cndmask_b32_e32 v3, 0x7fc0, v3, vcc_lo
	global_store_b16 v[0:1], v3, off
.LBB472_1872:
	s_mov_b32 s6, 0
.LBB472_1873:
	s_delay_alu instid0(SALU_CYCLE_1)
	s_and_b32 vcc_lo, exec_lo, s6
	s_mov_b32 s6, 0
	s_cbranch_vccz .LBB472_1875
; %bb.1874:
	v_cmp_ne_u16_e64 s0, 11, v6
	s_mov_b32 s6, -1
.LBB472_1875:
	s_delay_alu instid0(VALU_DEP_1)
	s_and_b32 vcc_lo, exec_lo, s0
	s_cbranch_vccnz .LBB472_2064
; %bb.1876:
	s_and_not1_b32 vcc_lo, exec_lo, s6
	s_cbranch_vccnz .LBB472_1878
.LBB472_1877:
	v_cmp_neq_f32_e32 vcc_lo, 0, v2
	s_mov_b32 s7, -1
	v_cndmask_b32_e64 v3, 0, 1, vcc_lo
	global_store_b8 v[0:1], v3, off
.LBB472_1878:
	s_mov_b32 s0, 0
	s_branch .LBB472_1880
.LBB472_1879:
	s_mov_b32 s0, -1
	s_mov_b32 s7, 0
.LBB472_1880:
	s_and_b32 vcc_lo, exec_lo, s0
	s_cbranch_vccz .LBB472_1919
; %bb.1881:
	v_cmp_gt_i16_e32 vcc_lo, 5, v6
	s_mov_b32 s0, -1
	s_cbranch_vccnz .LBB472_1902
; %bb.1882:
	v_cmp_gt_i16_e32 vcc_lo, 8, v6
	s_cbranch_vccnz .LBB472_1892
; %bb.1883:
	v_cmp_gt_i16_e32 vcc_lo, 9, v6
	s_cbranch_vccnz .LBB472_1889
; %bb.1884:
	v_cmp_lt_i16_e32 vcc_lo, 9, v6
	s_cbranch_vccz .LBB472_1886
; %bb.1885:
	v_cvt_f64_f32_e32 v[10:11], v2
	v_mov_b32_e32 v12, 0
	s_mov_b32 s0, 0
	s_delay_alu instid0(VALU_DEP_1)
	v_mov_b32_e32 v13, v12
	global_store_b128 v[0:1], v[10:13], off
.LBB472_1886:
	s_and_not1_b32 vcc_lo, exec_lo, s0
	s_cbranch_vccnz .LBB472_1888
; %bb.1887:
	v_mov_b32_e32 v3, 0
	global_store_b64 v[0:1], v[2:3], off
.LBB472_1888:
	s_mov_b32 s0, 0
.LBB472_1889:
	s_delay_alu instid0(SALU_CYCLE_1)
	s_and_not1_b32 vcc_lo, exec_lo, s0
	s_cbranch_vccnz .LBB472_1891
; %bb.1890:
	v_cvt_f16_f32_e32 v3, v2
	s_delay_alu instid0(VALU_DEP_1)
	v_and_b32_e32 v3, 0xffff, v3
	global_store_b32 v[0:1], v3, off
.LBB472_1891:
	s_mov_b32 s0, 0
.LBB472_1892:
	s_delay_alu instid0(SALU_CYCLE_1)
	s_and_not1_b32 vcc_lo, exec_lo, s0
	s_cbranch_vccnz .LBB472_1901
; %bb.1893:
	v_cmp_gt_i16_e32 vcc_lo, 6, v6
	s_mov_b32 s0, -1
	s_cbranch_vccnz .LBB472_1899
; %bb.1894:
	v_cmp_lt_i16_e32 vcc_lo, 6, v6
	s_cbranch_vccz .LBB472_1896
; %bb.1895:
	v_cvt_f64_f32_e32 v[7:8], v2
	s_mov_b32 s0, 0
	global_store_b64 v[0:1], v[7:8], off
.LBB472_1896:
	s_and_not1_b32 vcc_lo, exec_lo, s0
	s_cbranch_vccnz .LBB472_1898
; %bb.1897:
	global_store_b32 v[0:1], v2, off
.LBB472_1898:
	s_mov_b32 s0, 0
.LBB472_1899:
	s_delay_alu instid0(SALU_CYCLE_1)
	s_and_not1_b32 vcc_lo, exec_lo, s0
	s_cbranch_vccnz .LBB472_1901
; %bb.1900:
	v_cvt_f16_f32_e32 v3, v2
	global_store_b16 v[0:1], v3, off
.LBB472_1901:
	s_mov_b32 s0, 0
.LBB472_1902:
	s_delay_alu instid0(SALU_CYCLE_1)
	s_and_not1_b32 vcc_lo, exec_lo, s0
	s_cbranch_vccnz .LBB472_1918
; %bb.1903:
	v_cmp_gt_i16_e32 vcc_lo, 2, v6
	s_mov_b32 s0, -1
	s_cbranch_vccnz .LBB472_1913
; %bb.1904:
	v_cmp_gt_i16_e32 vcc_lo, 3, v6
	s_cbranch_vccnz .LBB472_1910
; %bb.1905:
	v_cmp_lt_i16_e32 vcc_lo, 3, v6
	s_cbranch_vccz .LBB472_1907
; %bb.1906:
	v_trunc_f32_e32 v3, v2
	s_mov_b32 s0, 0
	s_delay_alu instid0(VALU_DEP_1) | instskip(NEXT) | instid1(VALU_DEP_1)
	v_mul_f32_e64 v7, 0x2f800000, |v3|
	v_floor_f32_e32 v7, v7
	s_delay_alu instid0(VALU_DEP_1) | instskip(SKIP_2) | instid1(VALU_DEP_3)
	v_fma_f32 v8, 0xcf800000, v7, |v3|
	v_ashrrev_i32_e32 v3, 31, v3
	v_cvt_u32_f32_e32 v7, v7
	v_cvt_u32_f32_e32 v8, v8
	s_delay_alu instid0(VALU_DEP_2) | instskip(NEXT) | instid1(VALU_DEP_2)
	v_xor_b32_e32 v10, v7, v3
	v_xor_b32_e32 v8, v8, v3
	s_delay_alu instid0(VALU_DEP_1) | instskip(NEXT) | instid1(VALU_DEP_3)
	v_sub_co_u32 v7, vcc_lo, v8, v3
	v_sub_co_ci_u32_e32 v8, vcc_lo, v10, v3, vcc_lo
	global_store_b64 v[0:1], v[7:8], off
.LBB472_1907:
	s_and_not1_b32 vcc_lo, exec_lo, s0
	s_cbranch_vccnz .LBB472_1909
; %bb.1908:
	v_cvt_i32_f32_e32 v3, v2
	global_store_b32 v[0:1], v3, off
.LBB472_1909:
	s_mov_b32 s0, 0
.LBB472_1910:
	s_delay_alu instid0(SALU_CYCLE_1)
	s_and_not1_b32 vcc_lo, exec_lo, s0
	s_cbranch_vccnz .LBB472_1912
; %bb.1911:
	v_cvt_i32_f32_e32 v3, v2
	global_store_b16 v[0:1], v3, off
.LBB472_1912:
	s_mov_b32 s0, 0
.LBB472_1913:
	s_delay_alu instid0(SALU_CYCLE_1)
	s_and_not1_b32 vcc_lo, exec_lo, s0
	s_cbranch_vccnz .LBB472_1918
; %bb.1914:
	v_cmp_lt_i16_e32 vcc_lo, 0, v6
	s_mov_b32 s0, -1
	s_cbranch_vccz .LBB472_1916
; %bb.1915:
	v_cvt_i32_f32_e32 v3, v2
	s_mov_b32 s0, 0
	global_store_b8 v[0:1], v3, off
.LBB472_1916:
	s_and_not1_b32 vcc_lo, exec_lo, s0
	s_cbranch_vccnz .LBB472_1918
; %bb.1917:
	v_trunc_f32_e32 v2, v2
	s_delay_alu instid0(VALU_DEP_1) | instskip(NEXT) | instid1(VALU_DEP_1)
	v_mul_f32_e64 v3, 0x2f800000, |v2|
	v_floor_f32_e32 v3, v3
	s_delay_alu instid0(VALU_DEP_1) | instskip(SKIP_1) | instid1(VALU_DEP_2)
	v_fma_f32 v3, 0xcf800000, v3, |v2|
	v_ashrrev_i32_e32 v2, 31, v2
	v_cvt_u32_f32_e32 v3, v3
	s_delay_alu instid0(VALU_DEP_1) | instskip(NEXT) | instid1(VALU_DEP_1)
	v_xor_b32_e32 v3, v3, v2
	v_sub_nc_u32_e32 v2, v3, v2
	global_store_b8 v[0:1], v2, off
.LBB472_1918:
	s_mov_b32 s7, -1
.LBB472_1919:
	s_delay_alu instid0(SALU_CYCLE_1)
	s_and_not1_b32 vcc_lo, exec_lo, s7
	s_cbranch_vccnz .LBB472_1996
; %bb.1920:
	v_dual_max_f32 v0, v9, v9 :: v_dual_add_nc_u32 v1, s2, v4
	v_cmp_u_f32_e64 s0, v9, v9
	v_cmp_gt_i16_e32 vcc_lo, 11, v6
	s_delay_alu instid0(VALU_DEP_3) | instskip(NEXT) | instid1(VALU_DEP_4)
	v_min_f32_e32 v0, v0, v5
	v_ashrrev_i32_e32 v3, 31, v1
	s_delay_alu instid0(VALU_DEP_2) | instskip(SKIP_1) | instid1(VALU_DEP_1)
	v_cndmask_b32_e64 v2, v0, v9, s0
	v_add_co_u32 v0, s0, s4, v1
	v_add_co_ci_u32_e64 v1, s0, s5, v3, s0
	s_cbranch_vccnz .LBB472_2041
; %bb.1921:
	v_cmp_lt_i16_e32 vcc_lo, 25, v6
	s_mov_b32 s4, -1
	s_mov_b32 s2, 0
	s_mov_b32 s0, 0
	s_cbranch_vccz .LBB472_1954
; %bb.1922:
	v_cmp_lt_i16_e32 vcc_lo, 28, v6
	s_cbranch_vccz .LBB472_1938
; %bb.1923:
	v_cmp_lt_i16_e32 vcc_lo, 43, v6
	;; [unrolled: 3-line block ×3, first 2 shown]
	s_cbranch_vccz .LBB472_1928
; %bb.1925:
	v_cmp_eq_u16_e32 vcc_lo, 46, v6
	s_mov_b32 s0, -1
	s_cbranch_vccz .LBB472_1927
; %bb.1926:
	v_bfe_u32 v3, v2, 16, 1
	v_cmp_o_f32_e32 vcc_lo, v2, v2
	s_mov_b32 s0, 0
	s_delay_alu instid0(VALU_DEP_2) | instskip(NEXT) | instid1(VALU_DEP_1)
	v_add3_u32 v3, v2, v3, 0x7fff
	v_lshrrev_b32_e32 v3, 16, v3
	s_delay_alu instid0(VALU_DEP_1)
	v_cndmask_b32_e32 v3, 0x7fc0, v3, vcc_lo
	global_store_b32 v[0:1], v3, off
.LBB472_1927:
	s_mov_b32 s4, 0
.LBB472_1928:
	s_delay_alu instid0(SALU_CYCLE_1)
	s_and_b32 vcc_lo, exec_lo, s4
	s_cbranch_vccz .LBB472_1933
; %bb.1929:
	v_cmp_eq_u16_e32 vcc_lo, 44, v6
	s_mov_b32 s0, -1
	s_cbranch_vccz .LBB472_1933
; %bb.1930:
	v_bfe_u32 v4, v2, 23, 8
	v_mov_b32_e32 v3, 0xff
	s_mov_b32 s4, exec_lo
	s_delay_alu instid0(VALU_DEP_2)
	v_cmpx_ne_u32_e32 0xff, v4
; %bb.1931:
	v_and_b32_e32 v3, 0x400000, v2
	v_and_or_b32 v4, 0x3fffff, v2, v4
	s_delay_alu instid0(VALU_DEP_2) | instskip(NEXT) | instid1(VALU_DEP_2)
	v_cmp_ne_u32_e32 vcc_lo, 0, v3
	v_cmp_ne_u32_e64 s0, 0, v4
	v_lshrrev_b32_e32 v3, 23, v2
	s_delay_alu instid0(VALU_DEP_2) | instskip(NEXT) | instid1(SALU_CYCLE_1)
	s_and_b32 s0, vcc_lo, s0
	v_cndmask_b32_e64 v4, 0, 1, s0
	s_delay_alu instid0(VALU_DEP_1)
	v_add_nc_u32_e32 v3, v3, v4
; %bb.1932:
	s_or_b32 exec_lo, exec_lo, s4
	s_mov_b32 s0, 0
	global_store_b8 v[0:1], v3, off
.LBB472_1933:
	s_mov_b32 s4, 0
.LBB472_1934:
	s_delay_alu instid0(SALU_CYCLE_1)
	s_and_b32 vcc_lo, exec_lo, s4
	s_cbranch_vccz .LBB472_1937
; %bb.1935:
	v_cmp_eq_u16_e32 vcc_lo, 29, v6
	s_mov_b32 s0, -1
	s_cbranch_vccz .LBB472_1937
; %bb.1936:
	v_trunc_f32_e32 v3, v2
	s_mov_b32 s0, 0
	s_delay_alu instid0(VALU_DEP_1) | instskip(NEXT) | instid1(VALU_DEP_1)
	v_mul_f32_e32 v4, 0x2f800000, v3
	v_floor_f32_e32 v4, v4
	s_delay_alu instid0(VALU_DEP_1) | instskip(SKIP_1) | instid1(VALU_DEP_2)
	v_fmamk_f32 v3, v4, 0xcf800000, v3
	v_cvt_u32_f32_e32 v4, v4
	v_cvt_u32_f32_e32 v3, v3
	global_store_b64 v[0:1], v[3:4], off
.LBB472_1937:
	s_mov_b32 s4, 0
.LBB472_1938:
	s_delay_alu instid0(SALU_CYCLE_1)
	s_and_b32 vcc_lo, exec_lo, s4
	s_cbranch_vccz .LBB472_1953
; %bb.1939:
	v_cmp_gt_i16_e32 vcc_lo, 27, v6
	s_mov_b32 s4, -1
	s_cbranch_vccnz .LBB472_1945
; %bb.1940:
	v_cmp_lt_i16_e32 vcc_lo, 27, v6
	v_cvt_u32_f32_e32 v3, v2
	s_cbranch_vccz .LBB472_1942
; %bb.1941:
	s_mov_b32 s4, 0
	global_store_b32 v[0:1], v3, off
.LBB472_1942:
	s_and_not1_b32 vcc_lo, exec_lo, s4
	s_cbranch_vccnz .LBB472_1944
; %bb.1943:
	global_store_b16 v[0:1], v3, off
.LBB472_1944:
	s_mov_b32 s4, 0
.LBB472_1945:
	s_delay_alu instid0(SALU_CYCLE_1)
	s_and_not1_b32 vcc_lo, exec_lo, s4
	s_cbranch_vccnz .LBB472_1953
; %bb.1946:
	v_and_b32_e32 v3, 0x7fffffff, v2
	v_mov_b32_e32 v4, 0x80
	s_mov_b32 s4, exec_lo
	s_delay_alu instid0(VALU_DEP_2)
	v_cmpx_gt_u32_e32 0x43800000, v3
	s_cbranch_execz .LBB472_1952
; %bb.1947:
	v_cmp_lt_u32_e32 vcc_lo, 0x3bffffff, v3
	s_mov_b32 s5, 0
                                        ; implicit-def: $vgpr3
	s_and_saveexec_b32 s6, vcc_lo
	s_delay_alu instid0(SALU_CYCLE_1)
	s_xor_b32 s6, exec_lo, s6
	s_cbranch_execz .LBB472_2068
; %bb.1948:
	v_bfe_u32 v3, v2, 20, 1
	s_mov_b32 s5, exec_lo
	s_delay_alu instid0(VALU_DEP_1) | instskip(NEXT) | instid1(VALU_DEP_1)
	v_add3_u32 v3, v2, v3, 0x487ffff
	v_lshrrev_b32_e32 v3, 20, v3
	s_or_saveexec_b32 s6, s6
                                        ; implicit-def: $sgpr7
	s_delay_alu instid0(SALU_CYCLE_1)
	s_xor_b32 exec_lo, exec_lo, s6
	s_cbranch_execnz .LBB472_2069
.LBB472_1949:
	s_or_b32 exec_lo, exec_lo, s6
	v_mov_b32_e32 v4, s7
	s_and_saveexec_b32 s6, s5
.LBB472_1950:
	v_lshrrev_b32_e32 v4, 24, v2
	s_delay_alu instid0(VALU_DEP_1)
	v_and_or_b32 v4, 0x80, v4, v3
.LBB472_1951:
	s_or_b32 exec_lo, exec_lo, s6
.LBB472_1952:
	s_delay_alu instid0(SALU_CYCLE_1)
	s_or_b32 exec_lo, exec_lo, s4
	global_store_b8 v[0:1], v4, off
.LBB472_1953:
	s_mov_b32 s4, 0
.LBB472_1954:
	s_delay_alu instid0(SALU_CYCLE_1)
	s_and_b32 vcc_lo, exec_lo, s4
	s_cbranch_vccz .LBB472_1994
; %bb.1955:
	v_cmp_lt_i16_e32 vcc_lo, 22, v6
	s_mov_b32 s2, -1
	s_cbranch_vccz .LBB472_1987
; %bb.1956:
	v_cmp_gt_i16_e32 vcc_lo, 24, v6
	s_cbranch_vccnz .LBB472_1976
; %bb.1957:
	v_cmp_lt_i16_e32 vcc_lo, 24, v6
	s_cbranch_vccz .LBB472_1965
; %bb.1958:
	v_and_b32_e32 v3, 0x7fffffff, v2
	v_mov_b32_e32 v4, 0x80
	s_mov_b32 s2, exec_lo
	s_delay_alu instid0(VALU_DEP_2)
	v_cmpx_gt_u32_e32 0x47800000, v3
	s_cbranch_execz .LBB472_1964
; %bb.1959:
	v_cmp_lt_u32_e32 vcc_lo, 0x37ffffff, v3
	s_mov_b32 s4, 0
                                        ; implicit-def: $vgpr3
	s_and_saveexec_b32 s5, vcc_lo
	s_delay_alu instid0(SALU_CYCLE_1)
	s_xor_b32 s5, exec_lo, s5
	s_cbranch_execz .LBB472_2074
; %bb.1960:
	v_bfe_u32 v3, v2, 21, 1
	s_mov_b32 s4, exec_lo
	s_delay_alu instid0(VALU_DEP_1) | instskip(NEXT) | instid1(VALU_DEP_1)
	v_add3_u32 v3, v2, v3, 0x88fffff
	v_lshrrev_b32_e32 v3, 21, v3
	s_or_saveexec_b32 s5, s5
                                        ; implicit-def: $sgpr6
	s_delay_alu instid0(SALU_CYCLE_1)
	s_xor_b32 exec_lo, exec_lo, s5
	s_cbranch_execnz .LBB472_2075
.LBB472_1961:
	s_or_b32 exec_lo, exec_lo, s5
	v_mov_b32_e32 v4, s6
	s_and_saveexec_b32 s5, s4
.LBB472_1962:
	v_lshrrev_b32_e32 v4, 24, v2
	s_delay_alu instid0(VALU_DEP_1)
	v_and_or_b32 v4, 0x80, v4, v3
.LBB472_1963:
	s_or_b32 exec_lo, exec_lo, s5
.LBB472_1964:
	s_delay_alu instid0(SALU_CYCLE_1)
	s_or_b32 exec_lo, exec_lo, s2
	s_mov_b32 s2, 0
	global_store_b8 v[0:1], v4, off
.LBB472_1965:
	s_and_b32 vcc_lo, exec_lo, s2
	s_cbranch_vccz .LBB472_1975
; %bb.1966:
	v_and_b32_e32 v4, 0x7fffffff, v2
	s_mov_b32 s2, exec_lo
                                        ; implicit-def: $vgpr3
	s_delay_alu instid0(VALU_DEP_1)
	v_cmpx_gt_u32_e32 0x43f00000, v4
	s_xor_b32 s2, exec_lo, s2
	s_cbranch_execz .LBB472_1972
; %bb.1967:
	s_mov_b32 s4, exec_lo
                                        ; implicit-def: $vgpr3
	v_cmpx_lt_u32_e32 0x3c7fffff, v4
	s_xor_b32 s4, exec_lo, s4
; %bb.1968:
	v_bfe_u32 v3, v2, 20, 1
	s_delay_alu instid0(VALU_DEP_1) | instskip(NEXT) | instid1(VALU_DEP_1)
	v_add3_u32 v3, v2, v3, 0x407ffff
	v_and_b32_e32 v4, 0xff00000, v3
	v_lshrrev_b32_e32 v3, 20, v3
	s_delay_alu instid0(VALU_DEP_2) | instskip(NEXT) | instid1(VALU_DEP_2)
	v_cmp_ne_u32_e32 vcc_lo, 0x7f00000, v4
	v_cndmask_b32_e32 v3, 0x7e, v3, vcc_lo
; %bb.1969:
	s_and_not1_saveexec_b32 s4, s4
; %bb.1970:
	v_add_f32_e64 v3, 0x46800000, |v2|
; %bb.1971:
	s_or_b32 exec_lo, exec_lo, s4
                                        ; implicit-def: $vgpr4
.LBB472_1972:
	s_and_not1_saveexec_b32 s2, s2
; %bb.1973:
	v_mov_b32_e32 v3, 0x7f
	v_cmp_lt_u32_e32 vcc_lo, 0x7f800000, v4
	s_delay_alu instid0(VALU_DEP_2)
	v_cndmask_b32_e32 v3, 0x7e, v3, vcc_lo
; %bb.1974:
	s_or_b32 exec_lo, exec_lo, s2
	v_lshrrev_b32_e32 v4, 24, v2
	s_delay_alu instid0(VALU_DEP_1)
	v_and_or_b32 v3, 0x80, v4, v3
	global_store_b8 v[0:1], v3, off
.LBB472_1975:
	s_mov_b32 s2, 0
.LBB472_1976:
	s_delay_alu instid0(SALU_CYCLE_1)
	s_and_not1_b32 vcc_lo, exec_lo, s2
	s_cbranch_vccnz .LBB472_1986
; %bb.1977:
	v_and_b32_e32 v4, 0x7fffffff, v2
	s_mov_b32 s2, exec_lo
                                        ; implicit-def: $vgpr3
	s_delay_alu instid0(VALU_DEP_1)
	v_cmpx_gt_u32_e32 0x47800000, v4
	s_xor_b32 s2, exec_lo, s2
	s_cbranch_execz .LBB472_1983
; %bb.1978:
	s_mov_b32 s4, exec_lo
                                        ; implicit-def: $vgpr3
	v_cmpx_lt_u32_e32 0x387fffff, v4
	s_xor_b32 s4, exec_lo, s4
; %bb.1979:
	v_bfe_u32 v3, v2, 21, 1
	s_delay_alu instid0(VALU_DEP_1) | instskip(NEXT) | instid1(VALU_DEP_1)
	v_add3_u32 v3, v2, v3, 0x80fffff
	v_lshrrev_b32_e32 v3, 21, v3
; %bb.1980:
	s_and_not1_saveexec_b32 s4, s4
; %bb.1981:
	v_add_f32_e64 v3, 0x43000000, |v2|
; %bb.1982:
	s_or_b32 exec_lo, exec_lo, s4
                                        ; implicit-def: $vgpr4
.LBB472_1983:
	s_and_not1_saveexec_b32 s2, s2
; %bb.1984:
	v_mov_b32_e32 v3, 0x7f
	v_cmp_lt_u32_e32 vcc_lo, 0x7f800000, v4
	s_delay_alu instid0(VALU_DEP_2)
	v_cndmask_b32_e32 v3, 0x7c, v3, vcc_lo
; %bb.1985:
	s_or_b32 exec_lo, exec_lo, s2
	v_lshrrev_b32_e32 v4, 24, v2
	s_delay_alu instid0(VALU_DEP_1)
	v_and_or_b32 v3, 0x80, v4, v3
	global_store_b8 v[0:1], v3, off
.LBB472_1986:
	s_mov_b32 s2, 0
.LBB472_1987:
	s_delay_alu instid0(SALU_CYCLE_1)
	s_and_not1_b32 vcc_lo, exec_lo, s2
	s_mov_b32 s2, 0
	s_cbranch_vccnz .LBB472_1994
; %bb.1988:
	v_cmp_lt_i16_e32 vcc_lo, 14, v6
	s_mov_b32 s2, -1
	s_cbranch_vccz .LBB472_1992
; %bb.1989:
	v_cmp_eq_u16_e32 vcc_lo, 15, v6
	s_mov_b32 s0, -1
	s_cbranch_vccz .LBB472_1991
; %bb.1990:
	v_bfe_u32 v3, v2, 16, 1
	v_cmp_o_f32_e32 vcc_lo, v2, v2
	s_mov_b32 s0, 0
	s_delay_alu instid0(VALU_DEP_2) | instskip(NEXT) | instid1(VALU_DEP_1)
	v_add3_u32 v3, v2, v3, 0x7fff
	v_lshrrev_b32_e32 v3, 16, v3
	s_delay_alu instid0(VALU_DEP_1)
	v_cndmask_b32_e32 v3, 0x7fc0, v3, vcc_lo
	global_store_b16 v[0:1], v3, off
.LBB472_1991:
	s_mov_b32 s2, 0
.LBB472_1992:
	s_delay_alu instid0(SALU_CYCLE_1)
	s_and_b32 vcc_lo, exec_lo, s2
	s_mov_b32 s2, 0
	s_cbranch_vccz .LBB472_1994
; %bb.1993:
	v_cmp_ne_u16_e64 s0, 11, v6
	s_mov_b32 s2, -1
.LBB472_1994:
	s_delay_alu instid0(VALU_DEP_1)
	s_and_b32 vcc_lo, exec_lo, s0
	s_cbranch_vccnz .LBB472_2072
.LBB472_1995:
	s_mov_b32 s0, 0
	s_branch .LBB472_1997
.LBB472_1996:
	s_mov_b32 s0, 0
	s_mov_b32 s2, 0
                                        ; implicit-def: $vgpr6
                                        ; implicit-def: $vgpr0_vgpr1
                                        ; implicit-def: $vgpr2
.LBB472_1997:
	s_and_not1_b32 s4, s11, exec_lo
	s_and_b32 s5, s1, exec_lo
	s_and_b32 s0, s0, exec_lo
	;; [unrolled: 1-line block ×3, first 2 shown]
	s_or_b32 s11, s4, s5
.LBB472_1998:
	s_or_b32 exec_lo, exec_lo, s3
	s_and_saveexec_b32 s2, s11
	s_cbranch_execz .LBB472_2001
; %bb.1999:
	; divergent unreachable
	s_or_b32 exec_lo, exec_lo, s2
	s_and_saveexec_b32 s2, s1
	s_delay_alu instid0(SALU_CYCLE_1)
	s_xor_b32 s1, exec_lo, s2
	s_cbranch_execnz .LBB472_2002
.LBB472_2000:
	s_or_b32 exec_lo, exec_lo, s1
	s_and_saveexec_b32 s1, s0
	s_cbranch_execnz .LBB472_2003
	s_branch .LBB472_2040
.LBB472_2001:
	s_or_b32 exec_lo, exec_lo, s2
	s_and_saveexec_b32 s2, s1
	s_delay_alu instid0(SALU_CYCLE_1)
	s_xor_b32 s1, exec_lo, s2
	s_cbranch_execz .LBB472_2000
.LBB472_2002:
	s_waitcnt vmcnt(0)
	v_cmp_neq_f32_e32 vcc_lo, 0, v2
	v_cndmask_b32_e64 v3, 0, 1, vcc_lo
	global_store_b8 v[0:1], v3, off
	s_or_b32 exec_lo, exec_lo, s1
	s_and_saveexec_b32 s1, s0
	s_cbranch_execz .LBB472_2040
.LBB472_2003:
	v_cmp_gt_i16_e32 vcc_lo, 5, v6
	s_mov_b32 s0, -1
	s_cbranch_vccnz .LBB472_2024
; %bb.2004:
	v_cmp_gt_i16_e32 vcc_lo, 8, v6
	s_cbranch_vccnz .LBB472_2014
; %bb.2005:
	v_cmp_gt_i16_e32 vcc_lo, 9, v6
	s_cbranch_vccnz .LBB472_2011
; %bb.2006:
	v_cmp_lt_i16_e32 vcc_lo, 9, v6
	s_cbranch_vccz .LBB472_2008
; %bb.2007:
	s_waitcnt vmcnt(0)
	v_cvt_f64_f32_e32 v[7:8], v2
	v_mov_b32_e32 v9, 0
	s_mov_b32 s0, 0
	s_delay_alu instid0(VALU_DEP_1)
	v_mov_b32_e32 v10, v9
	global_store_b128 v[0:1], v[7:10], off
.LBB472_2008:
	s_and_not1_b32 vcc_lo, exec_lo, s0
	s_cbranch_vccnz .LBB472_2010
; %bb.2009:
	s_waitcnt vmcnt(0)
	v_mov_b32_e32 v3, 0
	global_store_b64 v[0:1], v[2:3], off
.LBB472_2010:
	s_mov_b32 s0, 0
.LBB472_2011:
	s_delay_alu instid0(SALU_CYCLE_1)
	s_and_not1_b32 vcc_lo, exec_lo, s0
	s_cbranch_vccnz .LBB472_2013
; %bb.2012:
	s_waitcnt vmcnt(0)
	v_cvt_f16_f32_e32 v3, v2
	s_delay_alu instid0(VALU_DEP_1)
	v_and_b32_e32 v3, 0xffff, v3
	global_store_b32 v[0:1], v3, off
.LBB472_2013:
	s_mov_b32 s0, 0
.LBB472_2014:
	s_delay_alu instid0(SALU_CYCLE_1)
	s_and_not1_b32 vcc_lo, exec_lo, s0
	s_cbranch_vccnz .LBB472_2023
; %bb.2015:
	v_cmp_gt_i16_e32 vcc_lo, 6, v6
	s_mov_b32 s0, -1
	s_cbranch_vccnz .LBB472_2021
; %bb.2016:
	v_cmp_lt_i16_e32 vcc_lo, 6, v6
	s_cbranch_vccz .LBB472_2018
; %bb.2017:
	s_waitcnt vmcnt(0)
	v_cvt_f64_f32_e32 v[3:4], v2
	s_mov_b32 s0, 0
	global_store_b64 v[0:1], v[3:4], off
.LBB472_2018:
	s_and_not1_b32 vcc_lo, exec_lo, s0
	s_cbranch_vccnz .LBB472_2020
; %bb.2019:
	s_waitcnt vmcnt(0)
	global_store_b32 v[0:1], v2, off
.LBB472_2020:
	s_mov_b32 s0, 0
.LBB472_2021:
	s_delay_alu instid0(SALU_CYCLE_1)
	s_and_not1_b32 vcc_lo, exec_lo, s0
	s_cbranch_vccnz .LBB472_2023
; %bb.2022:
	s_waitcnt vmcnt(0)
	v_cvt_f16_f32_e32 v3, v2
	global_store_b16 v[0:1], v3, off
.LBB472_2023:
	s_mov_b32 s0, 0
.LBB472_2024:
	s_delay_alu instid0(SALU_CYCLE_1)
	s_and_not1_b32 vcc_lo, exec_lo, s0
	s_cbranch_vccnz .LBB472_2040
; %bb.2025:
	v_cmp_gt_i16_e32 vcc_lo, 2, v6
	s_mov_b32 s0, -1
	s_cbranch_vccnz .LBB472_2035
; %bb.2026:
	v_cmp_gt_i16_e32 vcc_lo, 3, v6
	s_cbranch_vccnz .LBB472_2032
; %bb.2027:
	v_cmp_lt_i16_e32 vcc_lo, 3, v6
	s_cbranch_vccz .LBB472_2029
; %bb.2028:
	s_waitcnt vmcnt(0)
	v_trunc_f32_e32 v3, v2
	s_mov_b32 s0, 0
	s_delay_alu instid0(VALU_DEP_1) | instskip(SKIP_1) | instid1(VALU_DEP_2)
	v_mul_f32_e64 v4, 0x2f800000, |v3|
	v_ashrrev_i32_e32 v7, 31, v3
	v_floor_f32_e32 v4, v4
	s_delay_alu instid0(VALU_DEP_1) | instskip(SKIP_1) | instid1(VALU_DEP_2)
	v_fma_f32 v5, 0xcf800000, v4, |v3|
	v_cvt_u32_f32_e32 v4, v4
	v_cvt_u32_f32_e32 v3, v5
	s_delay_alu instid0(VALU_DEP_2) | instskip(NEXT) | instid1(VALU_DEP_2)
	v_xor_b32_e32 v4, v4, v7
	v_xor_b32_e32 v3, v3, v7
	s_delay_alu instid0(VALU_DEP_1) | instskip(NEXT) | instid1(VALU_DEP_3)
	v_sub_co_u32 v3, vcc_lo, v3, v7
	v_sub_co_ci_u32_e32 v4, vcc_lo, v4, v7, vcc_lo
	global_store_b64 v[0:1], v[3:4], off
.LBB472_2029:
	s_and_not1_b32 vcc_lo, exec_lo, s0
	s_cbranch_vccnz .LBB472_2031
; %bb.2030:
	s_waitcnt vmcnt(0)
	v_cvt_i32_f32_e32 v3, v2
	global_store_b32 v[0:1], v3, off
.LBB472_2031:
	s_mov_b32 s0, 0
.LBB472_2032:
	s_delay_alu instid0(SALU_CYCLE_1)
	s_and_not1_b32 vcc_lo, exec_lo, s0
	s_cbranch_vccnz .LBB472_2034
; %bb.2033:
	s_waitcnt vmcnt(0)
	v_cvt_i32_f32_e32 v3, v2
	global_store_b16 v[0:1], v3, off
.LBB472_2034:
	s_mov_b32 s0, 0
.LBB472_2035:
	s_delay_alu instid0(SALU_CYCLE_1)
	s_and_not1_b32 vcc_lo, exec_lo, s0
	s_cbranch_vccnz .LBB472_2040
; %bb.2036:
	v_cmp_lt_i16_e32 vcc_lo, 0, v6
	s_mov_b32 s0, -1
	s_cbranch_vccz .LBB472_2038
; %bb.2037:
	s_waitcnt vmcnt(0)
	v_cvt_i32_f32_e32 v3, v2
	s_mov_b32 s0, 0
	global_store_b8 v[0:1], v3, off
.LBB472_2038:
	s_and_not1_b32 vcc_lo, exec_lo, s0
	s_cbranch_vccnz .LBB472_2040
; %bb.2039:
	s_waitcnt vmcnt(0)
	v_trunc_f32_e32 v2, v2
	s_delay_alu instid0(VALU_DEP_1) | instskip(NEXT) | instid1(VALU_DEP_1)
	v_mul_f32_e64 v3, 0x2f800000, |v2|
	v_floor_f32_e32 v3, v3
	s_delay_alu instid0(VALU_DEP_1) | instskip(SKIP_1) | instid1(VALU_DEP_2)
	v_fma_f32 v3, 0xcf800000, v3, |v2|
	v_ashrrev_i32_e32 v2, 31, v2
	v_cvt_u32_f32_e32 v3, v3
	s_delay_alu instid0(VALU_DEP_1) | instskip(NEXT) | instid1(VALU_DEP_1)
	v_xor_b32_e32 v3, v3, v2
	v_sub_nc_u32_e32 v2, v3, v2
	global_store_b8 v[0:1], v2, off
	s_nop 0
	s_sendmsg sendmsg(MSG_DEALLOC_VGPRS)
	s_endpgm
.LBB472_2040:
	s_nop 0
	s_sendmsg sendmsg(MSG_DEALLOC_VGPRS)
	s_endpgm
.LBB472_2041:
	s_mov_b32 s2, 0
	s_mov_b32 s0, -1
	s_branch .LBB472_1997
.LBB472_2042:
	s_cbranch_execnz .LBB472_2046
; %bb.2043:
	s_or_b32 s1, s1, exec_lo
                                        ; implicit-def: $vgpr9
	s_cbranch_execz .LBB472_1511
	s_branch .LBB472_1512
.LBB472_2044:
	s_or_saveexec_b32 s9, s9
                                        ; implicit-def: $sgpr10
	s_delay_alu instid0(SALU_CYCLE_1)
	s_xor_b32 exec_lo, exec_lo, s9
	s_cbranch_execz .LBB472_1591
.LBB472_2045:
	v_add_f32_e64 v3, 0x46000000, |v2|
	s_and_not1_b32 s7, s7, exec_lo
	s_mov_b32 s10, 0
	s_delay_alu instid0(VALU_DEP_1) | instskip(NEXT) | instid1(VALU_DEP_1)
	v_and_b32_e32 v3, 0xff, v3
	v_cmp_ne_u32_e32 vcc_lo, 0, v3
	s_and_b32 s12, vcc_lo, exec_lo
	s_delay_alu instid0(SALU_CYCLE_1)
	s_or_b32 s7, s7, s12
	s_or_b32 exec_lo, exec_lo, s9
	v_mov_b32_e32 v10, s10
	s_and_saveexec_b32 s9, s7
	s_cbranch_execnz .LBB472_1592
	s_branch .LBB472_1593
.LBB472_2046:
	s_trap 2
	s_sendmsg_rtn_b32 s0, sendmsg(MSG_RTN_GET_DOORBELL)
	s_mov_b32 ttmp2, m0
	s_waitcnt lgkmcnt(0)
	s_and_b32 s0, s0, 0x3ff
	s_delay_alu instid0(SALU_CYCLE_1) | instskip(NEXT) | instid1(SALU_CYCLE_1)
	s_bitset1_b32 s0, 10
	s_mov_b32 m0, s0
	s_sendmsg sendmsg(MSG_INTERRUPT)
	s_mov_b32 m0, ttmp2
.LBB472_2047:                           ; =>This Inner Loop Header: Depth=1
	s_sethalt 5
	s_branch .LBB472_2047
.LBB472_2048:
	s_cbranch_execnz .LBB472_2054
; %bb.2049:
	s_or_b32 s1, s1, exec_lo
	s_cbranch_execz .LBB472_1639
	s_branch .LBB472_1640
.LBB472_2050:
	s_or_saveexec_b32 s7, s7
                                        ; implicit-def: $sgpr9
	s_delay_alu instid0(SALU_CYCLE_1)
	s_xor_b32 exec_lo, exec_lo, s7
	s_cbranch_execz .LBB472_1604
.LBB472_2051:
	v_add_f32_e64 v3, 0x42800000, |v2|
	s_and_not1_b32 s6, s6, exec_lo
	s_mov_b32 s9, 0
	s_delay_alu instid0(VALU_DEP_1) | instskip(NEXT) | instid1(VALU_DEP_1)
	v_and_b32_e32 v3, 0xff, v3
	v_cmp_ne_u32_e32 vcc_lo, 0, v3
	s_and_b32 s10, vcc_lo, exec_lo
	s_delay_alu instid0(SALU_CYCLE_1)
	s_or_b32 s6, s6, s10
	s_or_b32 exec_lo, exec_lo, s7
	v_mov_b32_e32 v10, s9
	s_and_saveexec_b32 s7, s6
	s_cbranch_execnz .LBB472_1605
	s_branch .LBB472_1606
.LBB472_2052:
	s_or_saveexec_b32 s9, s9
                                        ; implicit-def: $sgpr10
	s_delay_alu instid0(SALU_CYCLE_1)
	s_xor_b32 exec_lo, exec_lo, s9
	s_cbranch_execz .LBB472_1710
.LBB472_2053:
	v_add_f32_e64 v3, 0x46000000, |v2|
	s_and_not1_b32 s8, s8, exec_lo
	s_mov_b32 s10, 0
	s_delay_alu instid0(VALU_DEP_1) | instskip(NEXT) | instid1(VALU_DEP_1)
	v_and_b32_e32 v3, 0xff, v3
	v_cmp_ne_u32_e32 vcc_lo, 0, v3
	s_and_b32 s12, vcc_lo, exec_lo
	s_delay_alu instid0(SALU_CYCLE_1)
	s_or_b32 s8, s8, s12
	s_or_b32 exec_lo, exec_lo, s9
	v_mov_b32_e32 v7, s10
	s_and_saveexec_b32 s9, s8
	s_cbranch_execnz .LBB472_1711
	s_branch .LBB472_1712
.LBB472_2054:
	s_trap 2
	s_sendmsg_rtn_b32 s0, sendmsg(MSG_RTN_GET_DOORBELL)
	s_mov_b32 ttmp2, m0
	s_waitcnt lgkmcnt(0)
	s_and_b32 s0, s0, 0x3ff
	s_delay_alu instid0(SALU_CYCLE_1) | instskip(NEXT) | instid1(SALU_CYCLE_1)
	s_bitset1_b32 s0, 10
	s_mov_b32 m0, s0
	s_sendmsg sendmsg(MSG_INTERRUPT)
	s_mov_b32 m0, ttmp2
.LBB472_2055:                           ; =>This Inner Loop Header: Depth=1
	s_sethalt 5
	s_branch .LBB472_2055
.LBB472_2056:
	s_cbranch_execnz .LBB472_2062
; %bb.2057:
	s_or_b32 s1, s1, exec_lo
	s_cbranch_execz .LBB472_1758
	s_branch .LBB472_1759
.LBB472_2058:
	s_or_saveexec_b32 s8, s8
                                        ; implicit-def: $sgpr9
	s_delay_alu instid0(SALU_CYCLE_1)
	s_xor_b32 exec_lo, exec_lo, s8
	s_cbranch_execz .LBB472_1723
.LBB472_2059:
	v_add_f32_e64 v3, 0x42800000, |v2|
	s_and_not1_b32 s7, s7, exec_lo
	s_mov_b32 s9, 0
	s_delay_alu instid0(VALU_DEP_1) | instskip(NEXT) | instid1(VALU_DEP_1)
	v_and_b32_e32 v3, 0xff, v3
	v_cmp_ne_u32_e32 vcc_lo, 0, v3
	s_and_b32 s10, vcc_lo, exec_lo
	s_delay_alu instid0(SALU_CYCLE_1)
	s_or_b32 s7, s7, s10
	s_or_b32 exec_lo, exec_lo, s8
	v_mov_b32_e32 v7, s9
	s_and_saveexec_b32 s8, s7
	s_cbranch_execnz .LBB472_1724
	s_branch .LBB472_1725
.LBB472_2060:
	s_or_saveexec_b32 s9, s9
                                        ; implicit-def: $sgpr10
	s_delay_alu instid0(SALU_CYCLE_1)
	s_xor_b32 exec_lo, exec_lo, s9
	s_cbranch_execz .LBB472_1829
.LBB472_2061:
	v_add_f32_e64 v3, 0x46000000, |v2|
	s_and_not1_b32 s8, s8, exec_lo
	s_mov_b32 s10, 0
	s_delay_alu instid0(VALU_DEP_1) | instskip(NEXT) | instid1(VALU_DEP_1)
	v_and_b32_e32 v3, 0xff, v3
	v_cmp_ne_u32_e32 vcc_lo, 0, v3
	s_and_b32 s12, vcc_lo, exec_lo
	s_delay_alu instid0(SALU_CYCLE_1)
	s_or_b32 s8, s8, s12
	s_or_b32 exec_lo, exec_lo, s9
	v_mov_b32_e32 v7, s10
	s_and_saveexec_b32 s9, s8
	s_cbranch_execnz .LBB472_1830
	s_branch .LBB472_1831
.LBB472_2062:
	s_trap 2
	s_sendmsg_rtn_b32 s0, sendmsg(MSG_RTN_GET_DOORBELL)
	s_mov_b32 ttmp2, m0
	s_waitcnt lgkmcnt(0)
	s_and_b32 s0, s0, 0x3ff
	s_delay_alu instid0(SALU_CYCLE_1) | instskip(NEXT) | instid1(SALU_CYCLE_1)
	s_bitset1_b32 s0, 10
	s_mov_b32 m0, s0
	s_sendmsg sendmsg(MSG_INTERRUPT)
	s_mov_b32 m0, ttmp2
.LBB472_2063:                           ; =>This Inner Loop Header: Depth=1
	s_sethalt 5
	s_branch .LBB472_2063
.LBB472_2064:
	s_cbranch_execnz .LBB472_2070
; %bb.2065:
	s_or_b32 s1, s1, exec_lo
	s_cbranch_execz .LBB472_1877
	s_branch .LBB472_1878
.LBB472_2066:
	s_or_saveexec_b32 s8, s8
                                        ; implicit-def: $sgpr9
	s_delay_alu instid0(SALU_CYCLE_1)
	s_xor_b32 exec_lo, exec_lo, s8
	s_cbranch_execz .LBB472_1842
.LBB472_2067:
	v_add_f32_e64 v3, 0x42800000, |v2|
	s_and_not1_b32 s7, s7, exec_lo
	s_mov_b32 s9, 0
	s_delay_alu instid0(VALU_DEP_1) | instskip(NEXT) | instid1(VALU_DEP_1)
	v_and_b32_e32 v3, 0xff, v3
	v_cmp_ne_u32_e32 vcc_lo, 0, v3
	s_and_b32 s10, vcc_lo, exec_lo
	s_delay_alu instid0(SALU_CYCLE_1)
	s_or_b32 s7, s7, s10
	s_or_b32 exec_lo, exec_lo, s8
	v_mov_b32_e32 v7, s9
	s_and_saveexec_b32 s8, s7
	s_cbranch_execnz .LBB472_1843
	s_branch .LBB472_1844
.LBB472_2068:
	s_or_saveexec_b32 s6, s6
                                        ; implicit-def: $sgpr7
	s_delay_alu instid0(SALU_CYCLE_1)
	s_xor_b32 exec_lo, exec_lo, s6
	s_cbranch_execz .LBB472_1949
.LBB472_2069:
	v_add_f32_e64 v3, 0x46000000, |v2|
	s_and_not1_b32 s5, s5, exec_lo
	s_mov_b32 s7, 0
	s_delay_alu instid0(VALU_DEP_1) | instskip(NEXT) | instid1(VALU_DEP_1)
	v_and_b32_e32 v3, 0xff, v3
	v_cmp_ne_u32_e32 vcc_lo, 0, v3
	s_and_b32 s8, vcc_lo, exec_lo
	s_delay_alu instid0(SALU_CYCLE_1)
	s_or_b32 s5, s5, s8
	s_or_b32 exec_lo, exec_lo, s6
	v_mov_b32_e32 v4, s7
	s_and_saveexec_b32 s6, s5
	s_cbranch_execnz .LBB472_1950
	s_branch .LBB472_1951
.LBB472_2070:
	s_trap 2
	s_sendmsg_rtn_b32 s0, sendmsg(MSG_RTN_GET_DOORBELL)
	s_mov_b32 ttmp2, m0
	s_waitcnt lgkmcnt(0)
	s_and_b32 s0, s0, 0x3ff
	s_delay_alu instid0(SALU_CYCLE_1) | instskip(NEXT) | instid1(SALU_CYCLE_1)
	s_bitset1_b32 s0, 10
	s_mov_b32 m0, s0
	s_sendmsg sendmsg(MSG_INTERRUPT)
	s_mov_b32 m0, ttmp2
.LBB472_2071:                           ; =>This Inner Loop Header: Depth=1
	s_sethalt 5
	s_branch .LBB472_2071
.LBB472_2072:
	s_cbranch_execnz .LBB472_2076
; %bb.2073:
	s_mov_b32 s2, 0
	s_or_b32 s1, s1, exec_lo
	s_branch .LBB472_1995
.LBB472_2074:
	s_or_saveexec_b32 s5, s5
                                        ; implicit-def: $sgpr6
	s_delay_alu instid0(SALU_CYCLE_1)
	s_xor_b32 exec_lo, exec_lo, s5
	s_cbranch_execz .LBB472_1961
.LBB472_2075:
	v_add_f32_e64 v3, 0x42800000, |v2|
	s_and_not1_b32 s4, s4, exec_lo
	s_mov_b32 s6, 0
	s_delay_alu instid0(VALU_DEP_1) | instskip(NEXT) | instid1(VALU_DEP_1)
	v_and_b32_e32 v3, 0xff, v3
	v_cmp_ne_u32_e32 vcc_lo, 0, v3
	s_and_b32 s7, vcc_lo, exec_lo
	s_delay_alu instid0(SALU_CYCLE_1)
	s_or_b32 s4, s4, s7
	s_or_b32 exec_lo, exec_lo, s5
	v_mov_b32_e32 v4, s6
	s_and_saveexec_b32 s5, s4
	s_cbranch_execnz .LBB472_1962
	s_branch .LBB472_1963
.LBB472_2076:
	s_trap 2
	s_sendmsg_rtn_b32 s0, sendmsg(MSG_RTN_GET_DOORBELL)
	s_mov_b32 ttmp2, m0
	s_waitcnt lgkmcnt(0)
	s_and_b32 s0, s0, 0x3ff
	s_delay_alu instid0(SALU_CYCLE_1) | instskip(NEXT) | instid1(SALU_CYCLE_1)
	s_bitset1_b32 s0, 10
	s_mov_b32 m0, s0
	s_sendmsg sendmsg(MSG_INTERRUPT)
	s_mov_b32 m0, ttmp2
.LBB472_2077:                           ; =>This Inner Loop Header: Depth=1
	s_sethalt 5
	s_branch .LBB472_2077
	.section	.rodata,"a",@progbits
	.p2align	6, 0x0
	.amdhsa_kernel _ZN2at6native32elementwise_kernel_manual_unrollILi128ELi4EZNS0_15gpu_kernel_implIZZZNS0_21clamp_max_kernel_cudaERNS_18TensorIteratorBaseERKN3c106ScalarEENKUlvE_clEvENKUlvE5_clEvEUlfE_EEvS4_RKT_EUlibE_EEviT1_
		.amdhsa_group_segment_fixed_size 0
		.amdhsa_private_segment_fixed_size 0
		.amdhsa_kernarg_size 40
		.amdhsa_user_sgpr_count 15
		.amdhsa_user_sgpr_dispatch_ptr 0
		.amdhsa_user_sgpr_queue_ptr 0
		.amdhsa_user_sgpr_kernarg_segment_ptr 1
		.amdhsa_user_sgpr_dispatch_id 0
		.amdhsa_user_sgpr_private_segment_size 0
		.amdhsa_wavefront_size32 1
		.amdhsa_uses_dynamic_stack 0
		.amdhsa_enable_private_segment 0
		.amdhsa_system_sgpr_workgroup_id_x 1
		.amdhsa_system_sgpr_workgroup_id_y 0
		.amdhsa_system_sgpr_workgroup_id_z 0
		.amdhsa_system_sgpr_workgroup_info 0
		.amdhsa_system_vgpr_workitem_id 0
		.amdhsa_next_free_vgpr 14
		.amdhsa_next_free_sgpr 26
		.amdhsa_reserve_vcc 1
		.amdhsa_float_round_mode_32 0
		.amdhsa_float_round_mode_16_64 0
		.amdhsa_float_denorm_mode_32 3
		.amdhsa_float_denorm_mode_16_64 3
		.amdhsa_dx10_clamp 1
		.amdhsa_ieee_mode 1
		.amdhsa_fp16_overflow 0
		.amdhsa_workgroup_processor_mode 1
		.amdhsa_memory_ordered 1
		.amdhsa_forward_progress 0
		.amdhsa_shared_vgpr_count 0
		.amdhsa_exception_fp_ieee_invalid_op 0
		.amdhsa_exception_fp_denorm_src 0
		.amdhsa_exception_fp_ieee_div_zero 0
		.amdhsa_exception_fp_ieee_overflow 0
		.amdhsa_exception_fp_ieee_underflow 0
		.amdhsa_exception_fp_ieee_inexact 0
		.amdhsa_exception_int_div_zero 0
	.end_amdhsa_kernel
	.section	.text._ZN2at6native32elementwise_kernel_manual_unrollILi128ELi4EZNS0_15gpu_kernel_implIZZZNS0_21clamp_max_kernel_cudaERNS_18TensorIteratorBaseERKN3c106ScalarEENKUlvE_clEvENKUlvE5_clEvEUlfE_EEvS4_RKT_EUlibE_EEviT1_,"axG",@progbits,_ZN2at6native32elementwise_kernel_manual_unrollILi128ELi4EZNS0_15gpu_kernel_implIZZZNS0_21clamp_max_kernel_cudaERNS_18TensorIteratorBaseERKN3c106ScalarEENKUlvE_clEvENKUlvE5_clEvEUlfE_EEvS4_RKT_EUlibE_EEviT1_,comdat
.Lfunc_end472:
	.size	_ZN2at6native32elementwise_kernel_manual_unrollILi128ELi4EZNS0_15gpu_kernel_implIZZZNS0_21clamp_max_kernel_cudaERNS_18TensorIteratorBaseERKN3c106ScalarEENKUlvE_clEvENKUlvE5_clEvEUlfE_EEvS4_RKT_EUlibE_EEviT1_, .Lfunc_end472-_ZN2at6native32elementwise_kernel_manual_unrollILi128ELi4EZNS0_15gpu_kernel_implIZZZNS0_21clamp_max_kernel_cudaERNS_18TensorIteratorBaseERKN3c106ScalarEENKUlvE_clEvENKUlvE5_clEvEUlfE_EEvS4_RKT_EUlibE_EEviT1_
                                        ; -- End function
	.section	.AMDGPU.csdata,"",@progbits
; Kernel info:
; codeLenInByte = 35740
; NumSgprs: 28
; NumVgprs: 14
; ScratchSize: 0
; MemoryBound: 1
; FloatMode: 240
; IeeeMode: 1
; LDSByteSize: 0 bytes/workgroup (compile time only)
; SGPRBlocks: 3
; VGPRBlocks: 1
; NumSGPRsForWavesPerEU: 28
; NumVGPRsForWavesPerEU: 14
; Occupancy: 16
; WaveLimiterHint : 0
; COMPUTE_PGM_RSRC2:SCRATCH_EN: 0
; COMPUTE_PGM_RSRC2:USER_SGPR: 15
; COMPUTE_PGM_RSRC2:TRAP_HANDLER: 0
; COMPUTE_PGM_RSRC2:TGID_X_EN: 1
; COMPUTE_PGM_RSRC2:TGID_Y_EN: 0
; COMPUTE_PGM_RSRC2:TGID_Z_EN: 0
; COMPUTE_PGM_RSRC2:TIDIG_COMP_CNT: 0
	.section	.text._ZN2at6native32elementwise_kernel_manual_unrollILi128ELi4EZNS0_15gpu_kernel_implIZZZNS0_21clamp_max_kernel_cudaERNS_18TensorIteratorBaseERKN3c106ScalarEENKUlvE_clEvENKUlvE5_clEvEUlfE_EEvS4_RKT_EUlibE0_EEviT1_,"axG",@progbits,_ZN2at6native32elementwise_kernel_manual_unrollILi128ELi4EZNS0_15gpu_kernel_implIZZZNS0_21clamp_max_kernel_cudaERNS_18TensorIteratorBaseERKN3c106ScalarEENKUlvE_clEvENKUlvE5_clEvEUlfE_EEvS4_RKT_EUlibE0_EEviT1_,comdat
	.globl	_ZN2at6native32elementwise_kernel_manual_unrollILi128ELi4EZNS0_15gpu_kernel_implIZZZNS0_21clamp_max_kernel_cudaERNS_18TensorIteratorBaseERKN3c106ScalarEENKUlvE_clEvENKUlvE5_clEvEUlfE_EEvS4_RKT_EUlibE0_EEviT1_ ; -- Begin function _ZN2at6native32elementwise_kernel_manual_unrollILi128ELi4EZNS0_15gpu_kernel_implIZZZNS0_21clamp_max_kernel_cudaERNS_18TensorIteratorBaseERKN3c106ScalarEENKUlvE_clEvENKUlvE5_clEvEUlfE_EEvS4_RKT_EUlibE0_EEviT1_
	.p2align	8
	.type	_ZN2at6native32elementwise_kernel_manual_unrollILi128ELi4EZNS0_15gpu_kernel_implIZZZNS0_21clamp_max_kernel_cudaERNS_18TensorIteratorBaseERKN3c106ScalarEENKUlvE_clEvENKUlvE5_clEvEUlfE_EEvS4_RKT_EUlibE0_EEviT1_,@function
_ZN2at6native32elementwise_kernel_manual_unrollILi128ELi4EZNS0_15gpu_kernel_implIZZZNS0_21clamp_max_kernel_cudaERNS_18TensorIteratorBaseERKN3c106ScalarEENKUlvE_clEvENKUlvE5_clEvEUlfE_EEvS4_RKT_EUlibE0_EEviT1_: ; @_ZN2at6native32elementwise_kernel_manual_unrollILi128ELi4EZNS0_15gpu_kernel_implIZZZNS0_21clamp_max_kernel_cudaERNS_18TensorIteratorBaseERKN3c106ScalarEENKUlvE_clEvENKUlvE5_clEvEUlfE_EEvS4_RKT_EUlibE0_EEviT1_
; %bb.0:
	s_clause 0x1
	s_load_b32 s26, s[0:1], 0x8
	s_load_b32 s33, s[0:1], 0x0
	v_lshl_or_b32 v5, s15, 9, v0
	s_or_b32 s16, s0, 8
	s_mov_b32 s3, -1
	s_mov_b32 s28, 0
	s_mov_b32 s17, s1
	v_or_b32_e32 v8, 0x180, v5
	s_mov_b32 s8, 0
	s_mov_b32 s2, exec_lo
	s_waitcnt lgkmcnt(0)
	s_add_i32 s27, s26, -1
	s_delay_alu instid0(SALU_CYCLE_1)
	s_cmp_gt_u32 s27, 1
	s_cselect_b32 s29, -1, 0
	v_cmpx_le_i32_e64 s33, v8
	s_xor_b32 s30, exec_lo, s2
	s_cbranch_execz .LBB473_1076
; %bb.1:
	s_clause 0x4
	s_load_b64 s[18:19], s[16:17], 0x158
	s_load_b128 s[12:15], s[16:17], 0x4
	s_load_b64 s[20:21], s[16:17], 0x14
	s_load_b128 s[8:11], s[16:17], 0xc4
	s_load_b128 s[4:7], s[16:17], 0x148
	s_cmp_lg_u32 s26, 0
	s_mov_b32 s39, 0
	s_cselect_b32 s35, -1, 0
	s_add_u32 s22, s16, 0xc4
	s_addc_u32 s23, s17, 0
	s_min_u32 s34, s27, 15
	s_cmp_gt_u32 s26, 1
	s_mov_b32 s37, 0
	s_cselect_b32 s31, -1, 0
	s_mov_b32 s36, 0
	s_mov_b32 s38, exec_lo
	s_waitcnt lgkmcnt(0)
	v_lshrrev_b16 v4, 8, s19
	v_cmpx_gt_i32_e64 s33, v5
	s_cbranch_execz .LBB473_263
; %bb.2:
	s_and_not1_b32 vcc_lo, exec_lo, s29
	s_cbranch_vccnz .LBB473_7
; %bb.3:
	v_dual_mov_b32 v0, 0 :: v_dual_mov_b32 v1, 0
	s_and_not1_b32 vcc_lo, exec_lo, s35
	s_cbranch_vccnz .LBB473_12
; %bb.4:
	v_mov_b32_e32 v0, 0
	s_add_i32 s40, s34, 1
	s_cmp_eq_u32 s27, 2
	s_cbranch_scc1 .LBB473_8
; %bb.5:
	v_dual_mov_b32 v1, 0 :: v_dual_mov_b32 v0, 0
	v_mov_b32_e32 v2, v5
	s_and_b32 s37, s40, 28
	s_mov_b32 s41, 0
	s_mov_b64 s[2:3], s[22:23]
	s_mov_b64 s[24:25], s[16:17]
.LBB473_6:                              ; =>This Inner Loop Header: Depth=1
	s_clause 0x1
	s_load_b256 s[44:51], s[24:25], 0x4
	s_load_b128 s[60:63], s[24:25], 0x24
	s_load_b256 s[52:59], s[2:3], 0x0
	s_add_u32 s24, s24, 48
	s_addc_u32 s25, s25, 0
	s_add_i32 s41, s41, 4
	s_add_u32 s2, s2, 32
	s_addc_u32 s3, s3, 0
	s_cmp_lg_u32 s37, s41
	s_waitcnt lgkmcnt(0)
	v_mul_hi_u32 v3, s45, v2
	s_delay_alu instid0(VALU_DEP_1) | instskip(NEXT) | instid1(VALU_DEP_1)
	v_add_nc_u32_e32 v3, v2, v3
	v_lshrrev_b32_e32 v3, s46, v3
	s_delay_alu instid0(VALU_DEP_1) | instskip(SKIP_1) | instid1(VALU_DEP_2)
	v_mul_hi_u32 v6, s48, v3
	v_mul_lo_u32 v8, v3, s44
	v_add_nc_u32_e32 v6, v3, v6
	s_delay_alu instid0(VALU_DEP_2) | instskip(NEXT) | instid1(VALU_DEP_2)
	v_sub_nc_u32_e32 v2, v2, v8
	v_lshrrev_b32_e32 v6, s49, v6
	s_delay_alu instid0(VALU_DEP_2) | instskip(SKIP_1) | instid1(VALU_DEP_3)
	v_mul_lo_u32 v8, v2, s52
	v_mul_lo_u32 v10, v2, s53
	v_mul_hi_u32 v7, s51, v6
	s_delay_alu instid0(VALU_DEP_1) | instskip(NEXT) | instid1(VALU_DEP_1)
	v_add_nc_u32_e32 v7, v6, v7
	v_lshrrev_b32_e32 v7, s60, v7
	s_delay_alu instid0(VALU_DEP_1) | instskip(SKIP_1) | instid1(VALU_DEP_2)
	v_mul_hi_u32 v9, s62, v7
	v_mul_lo_u32 v11, v7, s50
	v_add_nc_u32_e32 v2, v7, v9
	v_mul_lo_u32 v9, v6, s47
	s_delay_alu instid0(VALU_DEP_3) | instskip(NEXT) | instid1(VALU_DEP_3)
	v_sub_nc_u32_e32 v6, v6, v11
	v_lshrrev_b32_e32 v2, s63, v2
	s_delay_alu instid0(VALU_DEP_2) | instskip(SKIP_2) | instid1(VALU_DEP_4)
	v_mul_lo_u32 v11, v6, s56
	v_mul_lo_u32 v6, v6, s57
	v_sub_nc_u32_e32 v3, v3, v9
	v_mul_lo_u32 v12, v2, s61
	s_delay_alu instid0(VALU_DEP_2) | instskip(SKIP_1) | instid1(VALU_DEP_3)
	v_mul_lo_u32 v9, v3, s54
	v_mul_lo_u32 v3, v3, s55
	v_sub_nc_u32_e32 v7, v7, v12
	s_delay_alu instid0(VALU_DEP_3) | instskip(NEXT) | instid1(VALU_DEP_2)
	v_add3_u32 v0, v8, v0, v9
	v_mul_lo_u32 v12, v7, s58
	v_mul_lo_u32 v7, v7, s59
	v_add3_u32 v1, v10, v1, v3
	s_delay_alu instid0(VALU_DEP_3) | instskip(NEXT) | instid1(VALU_DEP_2)
	v_add3_u32 v0, v11, v0, v12
	v_add3_u32 v1, v6, v1, v7
	s_cbranch_scc1 .LBB473_6
	s_branch .LBB473_9
.LBB473_7:
	s_mov_b32 s36, -1
                                        ; implicit-def: $vgpr0
                                        ; implicit-def: $vgpr1
	s_branch .LBB473_12
.LBB473_8:
	v_dual_mov_b32 v2, v5 :: v_dual_mov_b32 v1, 0
.LBB473_9:
	s_and_b32 s40, s40, 3
	s_delay_alu instid0(SALU_CYCLE_1)
	s_cmp_eq_u32 s40, 0
	s_cbranch_scc1 .LBB473_12
; %bb.10:
	s_lshl_b32 s2, s37, 3
	s_mul_i32 s24, s37, 12
	s_add_u32 s2, s2, s16
	s_addc_u32 s3, s17, 0
	s_add_u32 s2, s2, 0xc4
	s_addc_u32 s3, s3, 0
	;; [unrolled: 2-line block ×3, first 2 shown]
	.p2align	6
.LBB473_11:                             ; =>This Inner Loop Header: Depth=1
	s_clause 0x1
	s_load_b64 s[42:43], s[24:25], 0x4
	s_load_b32 s37, s[24:25], 0xc
	s_load_b64 s[44:45], s[2:3], 0x0
	s_add_u32 s24, s24, 12
	s_addc_u32 s25, s25, 0
	s_add_u32 s2, s2, 8
	s_addc_u32 s3, s3, 0
	s_add_i32 s40, s40, -1
	s_delay_alu instid0(SALU_CYCLE_1) | instskip(SKIP_2) | instid1(VALU_DEP_1)
	s_cmp_lg_u32 s40, 0
	s_waitcnt lgkmcnt(0)
	v_mul_hi_u32 v3, s43, v2
	v_add_nc_u32_e32 v3, v2, v3
	s_delay_alu instid0(VALU_DEP_1) | instskip(NEXT) | instid1(VALU_DEP_1)
	v_lshrrev_b32_e32 v3, s37, v3
	v_mul_lo_u32 v6, v3, s42
	s_delay_alu instid0(VALU_DEP_1) | instskip(NEXT) | instid1(VALU_DEP_1)
	v_sub_nc_u32_e32 v2, v2, v6
	v_mad_u64_u32 v[6:7], null, v2, s44, v[0:1]
	v_mad_u64_u32 v[7:8], null, v2, s45, v[1:2]
	v_mov_b32_e32 v2, v3
	s_delay_alu instid0(VALU_DEP_2)
	v_dual_mov_b32 v0, v6 :: v_dual_mov_b32 v1, v7
	s_cbranch_scc1 .LBB473_11
.LBB473_12:
	s_and_not1_b32 vcc_lo, exec_lo, s36
	s_cbranch_vccnz .LBB473_15
; %bb.13:
	v_mul_hi_u32 v0, s13, v5
	s_and_not1_b32 vcc_lo, exec_lo, s31
	s_delay_alu instid0(VALU_DEP_1) | instskip(NEXT) | instid1(VALU_DEP_1)
	v_add_nc_u32_e32 v0, v5, v0
	v_lshrrev_b32_e32 v2, s14, v0
	s_delay_alu instid0(VALU_DEP_1) | instskip(NEXT) | instid1(VALU_DEP_1)
	v_mul_lo_u32 v0, v2, s12
	v_sub_nc_u32_e32 v1, v5, v0
	s_delay_alu instid0(VALU_DEP_1)
	v_mul_lo_u32 v0, v1, s8
	v_mul_lo_u32 v1, v1, s9
	s_cbranch_vccnz .LBB473_15
; %bb.14:
	v_mul_hi_u32 v3, s20, v2
	s_delay_alu instid0(VALU_DEP_1) | instskip(NEXT) | instid1(VALU_DEP_1)
	v_add_nc_u32_e32 v3, v2, v3
	v_lshrrev_b32_e32 v3, s21, v3
	s_delay_alu instid0(VALU_DEP_1) | instskip(NEXT) | instid1(VALU_DEP_1)
	v_mul_lo_u32 v3, v3, s15
	v_sub_nc_u32_e32 v8, v2, v3
	s_delay_alu instid0(VALU_DEP_1) | instskip(NEXT) | instid1(VALU_DEP_1)
	v_mad_u64_u32 v[2:3], null, v8, s10, v[0:1]
	v_mad_u64_u32 v[6:7], null, v8, s11, v[1:2]
	v_mov_b32_e32 v0, v2
	s_delay_alu instid0(VALU_DEP_2)
	v_mov_b32_e32 v1, v6
.LBB473_15:
	v_cmp_gt_i16_e32 vcc_lo, 11, v4
	s_delay_alu instid0(VALU_DEP_2) | instskip(NEXT) | instid1(VALU_DEP_1)
	v_add_co_u32 v1, s2, s6, v1
	v_add_co_ci_u32_e64 v2, null, s7, 0, s2
	s_mov_b32 s3, 0
	s_cbranch_vccnz .LBB473_22
; %bb.16:
	v_cmp_lt_i16_e32 vcc_lo, 25, v4
	s_cbranch_vccz .LBB473_141
; %bb.17:
	v_cmp_lt_i16_e32 vcc_lo, 28, v4
	s_cbranch_vccz .LBB473_142
; %bb.18:
	v_cmp_lt_i16_e32 vcc_lo, 43, v4
	s_cbranch_vccz .LBB473_143
; %bb.19:
	v_cmp_lt_i16_e32 vcc_lo, 45, v4
	s_cbranch_vccz .LBB473_144
; %bb.20:
	v_cmp_eq_u16_e32 vcc_lo, 46, v4
	s_mov_b32 s24, 0
	s_cbranch_vccz .LBB473_145
; %bb.21:
	global_load_b32 v3, v[1:2], off
	s_mov_b32 s2, -1
	s_waitcnt vmcnt(0)
	v_lshlrev_b32_e32 v3, 16, v3
	s_branch .LBB473_147
.LBB473_22:
	s_mov_b32 s2, 0
                                        ; implicit-def: $vgpr3
	s_cbranch_execnz .LBB473_213
.LBB473_23:
	s_and_not1_b32 vcc_lo, exec_lo, s2
	s_cbranch_vccnz .LBB473_260
.LBB473_24:
	v_max_f32_e64 v1, s18, s18
	s_waitcnt vmcnt(0)
	s_delay_alu instid0(VALU_DEP_2)
	v_max_f32_e32 v2, v3, v3
	v_and_b32_e64 v6, 0xff, s19
	v_cmp_u_f32_e64 s2, v3, v3
	s_mov_b32 s24, 0
	s_mov_b32 s25, -1
	v_min_f32_e32 v1, v2, v1
	v_cmp_gt_i16_e32 vcc_lo, 11, v6
	s_delay_alu instid0(VALU_DEP_2) | instskip(SKIP_1) | instid1(VALU_DEP_1)
	v_cndmask_b32_e64 v2, v1, v3, s2
	v_add_co_u32 v0, s2, s4, v0
	v_add_co_ci_u32_e64 v1, null, s5, 0, s2
	s_mov_b32 s2, 0
	s_cbranch_vccnz .LBB473_101
; %bb.25:
	v_cmp_lt_i16_e32 vcc_lo, 25, v6
	s_cbranch_vccz .LBB473_58
; %bb.26:
	v_cmp_lt_i16_e32 vcc_lo, 28, v6
	s_cbranch_vccz .LBB473_41
	;; [unrolled: 3-line block ×4, first 2 shown]
; %bb.29:
	v_cmp_eq_u16_e32 vcc_lo, 46, v6
	s_mov_b32 s25, 0
	s_mov_b32 s24, -1
	s_cbranch_vccz .LBB473_31
; %bb.30:
	v_bfe_u32 v3, v2, 16, 1
	v_cmp_o_f32_e32 vcc_lo, v2, v2
	s_mov_b32 s2, -1
	s_mov_b32 s24, 0
	s_delay_alu instid0(VALU_DEP_2) | instskip(NEXT) | instid1(VALU_DEP_1)
	v_add3_u32 v3, v2, v3, 0x7fff
	v_lshrrev_b32_e32 v3, 16, v3
	s_delay_alu instid0(VALU_DEP_1)
	v_cndmask_b32_e32 v3, 0x7fc0, v3, vcc_lo
	global_store_b32 v[0:1], v3, off
.LBB473_31:
	s_and_b32 vcc_lo, exec_lo, s25
	s_cbranch_vccz .LBB473_36
; %bb.32:
	v_cmp_eq_u16_e32 vcc_lo, 44, v6
	s_mov_b32 s24, -1
	s_cbranch_vccz .LBB473_36
; %bb.33:
	v_bfe_u32 v7, v2, 23, 8
	v_mov_b32_e32 v3, 0xff
	s_mov_b32 s24, exec_lo
	s_delay_alu instid0(VALU_DEP_2)
	v_cmpx_ne_u32_e32 0xff, v7
; %bb.34:
	v_and_b32_e32 v3, 0x400000, v2
	v_and_or_b32 v7, 0x3fffff, v2, v7
	s_delay_alu instid0(VALU_DEP_2) | instskip(NEXT) | instid1(VALU_DEP_2)
	v_cmp_ne_u32_e32 vcc_lo, 0, v3
	v_cmp_ne_u32_e64 s2, 0, v7
	v_lshrrev_b32_e32 v3, 23, v2
	s_delay_alu instid0(VALU_DEP_2) | instskip(NEXT) | instid1(SALU_CYCLE_1)
	s_and_b32 s2, vcc_lo, s2
	v_cndmask_b32_e64 v7, 0, 1, s2
	s_delay_alu instid0(VALU_DEP_1)
	v_add_nc_u32_e32 v3, v3, v7
; %bb.35:
	s_or_b32 exec_lo, exec_lo, s24
	s_mov_b32 s2, -1
	s_mov_b32 s24, 0
	global_store_b8 v[0:1], v3, off
.LBB473_36:
	s_mov_b32 s25, 0
.LBB473_37:
	s_delay_alu instid0(SALU_CYCLE_1)
	s_and_b32 vcc_lo, exec_lo, s25
	s_cbranch_vccz .LBB473_40
; %bb.38:
	v_cmp_eq_u16_e32 vcc_lo, 29, v6
	s_mov_b32 s24, -1
	s_cbranch_vccz .LBB473_40
; %bb.39:
	v_trunc_f32_e32 v3, v2
	s_mov_b32 s2, -1
	s_mov_b32 s24, 0
	s_delay_alu instid0(VALU_DEP_1) | instskip(NEXT) | instid1(VALU_DEP_1)
	v_mul_f32_e32 v7, 0x2f800000, v3
	v_floor_f32_e32 v7, v7
	s_delay_alu instid0(VALU_DEP_1) | instskip(SKIP_1) | instid1(VALU_DEP_2)
	v_fmamk_f32 v3, v7, 0xcf800000, v3
	v_cvt_u32_f32_e32 v8, v7
	v_cvt_u32_f32_e32 v7, v3
	global_store_b64 v[0:1], v[7:8], off
.LBB473_40:
	s_mov_b32 s25, 0
.LBB473_41:
	s_delay_alu instid0(SALU_CYCLE_1)
	s_and_b32 vcc_lo, exec_lo, s25
	s_cbranch_vccz .LBB473_57
; %bb.42:
	v_cmp_gt_i16_e32 vcc_lo, 27, v6
	s_mov_b32 s2, -1
	s_cbranch_vccnz .LBB473_48
; %bb.43:
	v_cmp_lt_i16_e32 vcc_lo, 27, v6
	s_cbranch_vccz .LBB473_45
; %bb.44:
	v_cvt_u32_f32_e32 v3, v2
	s_mov_b32 s2, 0
	global_store_b32 v[0:1], v3, off
.LBB473_45:
	s_and_not1_b32 vcc_lo, exec_lo, s2
	s_cbranch_vccnz .LBB473_47
; %bb.46:
	v_cvt_u32_f32_e32 v3, v2
	global_store_b16 v[0:1], v3, off
.LBB473_47:
	s_mov_b32 s2, 0
.LBB473_48:
	s_delay_alu instid0(SALU_CYCLE_1)
	s_and_not1_b32 vcc_lo, exec_lo, s2
	s_cbranch_vccnz .LBB473_56
; %bb.49:
	v_and_b32_e32 v3, 0x7fffffff, v2
	v_mov_b32_e32 v7, 0x80
	s_mov_b32 s2, exec_lo
	s_delay_alu instid0(VALU_DEP_2)
	v_cmpx_gt_u32_e32 0x43800000, v3
	s_cbranch_execz .LBB473_55
; %bb.50:
	v_cmp_lt_u32_e32 vcc_lo, 0x3bffffff, v3
	s_mov_b32 s25, 0
                                        ; implicit-def: $vgpr3
	s_and_saveexec_b32 s36, vcc_lo
	s_delay_alu instid0(SALU_CYCLE_1)
	s_xor_b32 s36, exec_lo, s36
	s_cbranch_execz .LBB473_150
; %bb.51:
	v_bfe_u32 v3, v2, 20, 1
	s_mov_b32 s25, exec_lo
	s_delay_alu instid0(VALU_DEP_1) | instskip(NEXT) | instid1(VALU_DEP_1)
	v_add3_u32 v3, v2, v3, 0x487ffff
	v_lshrrev_b32_e32 v3, 20, v3
	s_or_saveexec_b32 s36, s36
                                        ; implicit-def: $sgpr37
	s_delay_alu instid0(SALU_CYCLE_1)
	s_xor_b32 exec_lo, exec_lo, s36
	s_cbranch_execnz .LBB473_151
.LBB473_52:
	s_or_b32 exec_lo, exec_lo, s36
	v_mov_b32_e32 v7, s37
	s_and_saveexec_b32 s36, s25
.LBB473_53:
	v_lshrrev_b32_e32 v7, 24, v2
	s_delay_alu instid0(VALU_DEP_1)
	v_and_or_b32 v7, 0x80, v7, v3
.LBB473_54:
	s_or_b32 exec_lo, exec_lo, s36
.LBB473_55:
	s_delay_alu instid0(SALU_CYCLE_1)
	s_or_b32 exec_lo, exec_lo, s2
	global_store_b8 v[0:1], v7, off
.LBB473_56:
	s_mov_b32 s2, -1
.LBB473_57:
	s_mov_b32 s25, 0
.LBB473_58:
	s_delay_alu instid0(SALU_CYCLE_1)
	s_and_b32 vcc_lo, exec_lo, s25
	s_cbranch_vccz .LBB473_99
; %bb.59:
	v_cmp_lt_i16_e32 vcc_lo, 22, v6
	s_mov_b32 s25, -1
	s_cbranch_vccz .LBB473_91
; %bb.60:
	v_cmp_gt_i16_e32 vcc_lo, 24, v6
	s_mov_b32 s2, -1
	s_cbranch_vccnz .LBB473_80
; %bb.61:
	v_cmp_lt_i16_e32 vcc_lo, 24, v6
	s_cbranch_vccz .LBB473_69
; %bb.62:
	v_and_b32_e32 v3, 0x7fffffff, v2
	v_mov_b32_e32 v7, 0x80
	s_mov_b32 s2, exec_lo
	s_delay_alu instid0(VALU_DEP_2)
	v_cmpx_gt_u32_e32 0x47800000, v3
	s_cbranch_execz .LBB473_68
; %bb.63:
	v_cmp_lt_u32_e32 vcc_lo, 0x37ffffff, v3
	s_mov_b32 s25, 0
                                        ; implicit-def: $vgpr3
	s_and_saveexec_b32 s36, vcc_lo
	s_delay_alu instid0(SALU_CYCLE_1)
	s_xor_b32 s36, exec_lo, s36
	s_cbranch_execz .LBB473_341
; %bb.64:
	v_bfe_u32 v3, v2, 21, 1
	s_mov_b32 s25, exec_lo
	s_delay_alu instid0(VALU_DEP_1) | instskip(NEXT) | instid1(VALU_DEP_1)
	v_add3_u32 v3, v2, v3, 0x88fffff
	v_lshrrev_b32_e32 v3, 21, v3
	s_or_saveexec_b32 s36, s36
                                        ; implicit-def: $sgpr37
	s_delay_alu instid0(SALU_CYCLE_1)
	s_xor_b32 exec_lo, exec_lo, s36
	s_cbranch_execnz .LBB473_342
.LBB473_65:
	s_or_b32 exec_lo, exec_lo, s36
	v_mov_b32_e32 v7, s37
	s_and_saveexec_b32 s36, s25
.LBB473_66:
	v_lshrrev_b32_e32 v7, 24, v2
	s_delay_alu instid0(VALU_DEP_1)
	v_and_or_b32 v7, 0x80, v7, v3
.LBB473_67:
	s_or_b32 exec_lo, exec_lo, s36
.LBB473_68:
	s_delay_alu instid0(SALU_CYCLE_1)
	s_or_b32 exec_lo, exec_lo, s2
	s_mov_b32 s2, 0
	global_store_b8 v[0:1], v7, off
.LBB473_69:
	s_and_b32 vcc_lo, exec_lo, s2
	s_cbranch_vccz .LBB473_79
; %bb.70:
	v_and_b32_e32 v7, 0x7fffffff, v2
	s_mov_b32 s2, exec_lo
                                        ; implicit-def: $vgpr3
	s_delay_alu instid0(VALU_DEP_1)
	v_cmpx_gt_u32_e32 0x43f00000, v7
	s_xor_b32 s2, exec_lo, s2
	s_cbranch_execz .LBB473_76
; %bb.71:
	s_mov_b32 s25, exec_lo
                                        ; implicit-def: $vgpr3
	v_cmpx_lt_u32_e32 0x3c7fffff, v7
	s_xor_b32 s25, exec_lo, s25
; %bb.72:
	v_bfe_u32 v3, v2, 20, 1
	s_delay_alu instid0(VALU_DEP_1) | instskip(NEXT) | instid1(VALU_DEP_1)
	v_add3_u32 v3, v2, v3, 0x407ffff
	v_and_b32_e32 v7, 0xff00000, v3
	v_lshrrev_b32_e32 v3, 20, v3
	s_delay_alu instid0(VALU_DEP_2) | instskip(NEXT) | instid1(VALU_DEP_2)
	v_cmp_ne_u32_e32 vcc_lo, 0x7f00000, v7
	v_cndmask_b32_e32 v3, 0x7e, v3, vcc_lo
; %bb.73:
	s_and_not1_saveexec_b32 s25, s25
; %bb.74:
	v_add_f32_e64 v3, 0x46800000, |v2|
; %bb.75:
	s_or_b32 exec_lo, exec_lo, s25
                                        ; implicit-def: $vgpr7
.LBB473_76:
	s_and_not1_saveexec_b32 s2, s2
; %bb.77:
	v_mov_b32_e32 v3, 0x7f
	v_cmp_lt_u32_e32 vcc_lo, 0x7f800000, v7
	s_delay_alu instid0(VALU_DEP_2)
	v_cndmask_b32_e32 v3, 0x7e, v3, vcc_lo
; %bb.78:
	s_or_b32 exec_lo, exec_lo, s2
	v_lshrrev_b32_e32 v7, 24, v2
	s_delay_alu instid0(VALU_DEP_1)
	v_and_or_b32 v3, 0x80, v7, v3
	global_store_b8 v[0:1], v3, off
.LBB473_79:
	s_mov_b32 s2, 0
.LBB473_80:
	s_delay_alu instid0(SALU_CYCLE_1)
	s_and_not1_b32 vcc_lo, exec_lo, s2
	s_cbranch_vccnz .LBB473_90
; %bb.81:
	v_and_b32_e32 v7, 0x7fffffff, v2
	s_mov_b32 s2, exec_lo
                                        ; implicit-def: $vgpr3
	s_delay_alu instid0(VALU_DEP_1)
	v_cmpx_gt_u32_e32 0x47800000, v7
	s_xor_b32 s2, exec_lo, s2
	s_cbranch_execz .LBB473_87
; %bb.82:
	s_mov_b32 s25, exec_lo
                                        ; implicit-def: $vgpr3
	v_cmpx_lt_u32_e32 0x387fffff, v7
	s_xor_b32 s25, exec_lo, s25
; %bb.83:
	v_bfe_u32 v3, v2, 21, 1
	s_delay_alu instid0(VALU_DEP_1) | instskip(NEXT) | instid1(VALU_DEP_1)
	v_add3_u32 v3, v2, v3, 0x80fffff
	v_lshrrev_b32_e32 v3, 21, v3
; %bb.84:
	s_and_not1_saveexec_b32 s25, s25
; %bb.85:
	v_add_f32_e64 v3, 0x43000000, |v2|
; %bb.86:
	s_or_b32 exec_lo, exec_lo, s25
                                        ; implicit-def: $vgpr7
.LBB473_87:
	s_and_not1_saveexec_b32 s2, s2
; %bb.88:
	v_mov_b32_e32 v3, 0x7f
	v_cmp_lt_u32_e32 vcc_lo, 0x7f800000, v7
	s_delay_alu instid0(VALU_DEP_2)
	v_cndmask_b32_e32 v3, 0x7c, v3, vcc_lo
; %bb.89:
	s_or_b32 exec_lo, exec_lo, s2
	v_lshrrev_b32_e32 v7, 24, v2
	s_delay_alu instid0(VALU_DEP_1)
	v_and_or_b32 v3, 0x80, v7, v3
	global_store_b8 v[0:1], v3, off
.LBB473_90:
	s_mov_b32 s25, 0
	s_mov_b32 s2, -1
.LBB473_91:
	s_and_not1_b32 vcc_lo, exec_lo, s25
	s_cbranch_vccnz .LBB473_99
; %bb.92:
	v_cmp_lt_i16_e32 vcc_lo, 14, v6
	s_mov_b32 s25, -1
	s_cbranch_vccz .LBB473_96
; %bb.93:
	v_cmp_eq_u16_e32 vcc_lo, 15, v6
	s_mov_b32 s24, -1
	s_cbranch_vccz .LBB473_95
; %bb.94:
	v_bfe_u32 v3, v2, 16, 1
	v_cmp_o_f32_e32 vcc_lo, v2, v2
	s_mov_b32 s2, -1
	s_mov_b32 s24, 0
	s_delay_alu instid0(VALU_DEP_2) | instskip(NEXT) | instid1(VALU_DEP_1)
	v_add3_u32 v3, v2, v3, 0x7fff
	v_lshrrev_b32_e32 v3, 16, v3
	s_delay_alu instid0(VALU_DEP_1)
	v_cndmask_b32_e32 v3, 0x7fc0, v3, vcc_lo
	global_store_b16 v[0:1], v3, off
.LBB473_95:
	s_mov_b32 s25, 0
.LBB473_96:
	s_delay_alu instid0(SALU_CYCLE_1)
	s_and_b32 vcc_lo, exec_lo, s25
	s_cbranch_vccz .LBB473_99
; %bb.97:
	v_cmp_eq_u16_e32 vcc_lo, 11, v6
	s_mov_b32 s24, -1
	s_cbranch_vccz .LBB473_99
; %bb.98:
	v_cmp_neq_f32_e32 vcc_lo, 0, v2
	s_mov_b32 s24, 0
	s_mov_b32 s2, -1
	v_cndmask_b32_e64 v3, 0, 1, vcc_lo
	global_store_b8 v[0:1], v3, off
.LBB473_99:
.LBB473_100:
	s_and_not1_b32 vcc_lo, exec_lo, s2
	s_cbranch_vccz .LBB473_140
	s_branch .LBB473_261
.LBB473_101:
	s_and_b32 vcc_lo, exec_lo, s25
	s_cbranch_vccz .LBB473_100
; %bb.102:
	v_cmp_gt_i16_e32 vcc_lo, 5, v6
	s_mov_b32 s2, -1
	s_cbranch_vccnz .LBB473_123
; %bb.103:
	v_cmp_gt_i16_e32 vcc_lo, 8, v6
	s_cbranch_vccnz .LBB473_113
; %bb.104:
	v_cmp_gt_i16_e32 vcc_lo, 9, v6
	s_cbranch_vccnz .LBB473_110
; %bb.105:
	v_cmp_lt_i16_e32 vcc_lo, 9, v6
	s_cbranch_vccz .LBB473_107
; %bb.106:
	v_cvt_f64_f32_e32 v[7:8], v2
	v_mov_b32_e32 v9, 0
	s_mov_b32 s2, 0
	s_delay_alu instid0(VALU_DEP_1)
	v_mov_b32_e32 v10, v9
	global_store_b128 v[0:1], v[7:10], off
.LBB473_107:
	s_and_not1_b32 vcc_lo, exec_lo, s2
	s_cbranch_vccnz .LBB473_109
; %bb.108:
	v_mov_b32_e32 v3, 0
	global_store_b64 v[0:1], v[2:3], off
.LBB473_109:
	s_mov_b32 s2, 0
.LBB473_110:
	s_delay_alu instid0(SALU_CYCLE_1)
	s_and_not1_b32 vcc_lo, exec_lo, s2
	s_cbranch_vccnz .LBB473_112
; %bb.111:
	v_cvt_f16_f32_e32 v3, v2
	s_delay_alu instid0(VALU_DEP_1)
	v_and_b32_e32 v3, 0xffff, v3
	global_store_b32 v[0:1], v3, off
.LBB473_112:
	s_mov_b32 s2, 0
.LBB473_113:
	s_delay_alu instid0(SALU_CYCLE_1)
	s_and_not1_b32 vcc_lo, exec_lo, s2
	s_cbranch_vccnz .LBB473_122
; %bb.114:
	v_cmp_gt_i16_e32 vcc_lo, 6, v6
	s_mov_b32 s2, -1
	s_cbranch_vccnz .LBB473_120
; %bb.115:
	v_cmp_lt_i16_e32 vcc_lo, 6, v6
	s_cbranch_vccz .LBB473_117
; %bb.116:
	v_cvt_f64_f32_e32 v[7:8], v2
	s_mov_b32 s2, 0
	global_store_b64 v[0:1], v[7:8], off
.LBB473_117:
	s_and_not1_b32 vcc_lo, exec_lo, s2
	s_cbranch_vccnz .LBB473_119
; %bb.118:
	global_store_b32 v[0:1], v2, off
.LBB473_119:
	s_mov_b32 s2, 0
.LBB473_120:
	s_delay_alu instid0(SALU_CYCLE_1)
	s_and_not1_b32 vcc_lo, exec_lo, s2
	s_cbranch_vccnz .LBB473_122
; %bb.121:
	v_cvt_f16_f32_e32 v3, v2
	global_store_b16 v[0:1], v3, off
.LBB473_122:
	s_mov_b32 s2, 0
.LBB473_123:
	s_delay_alu instid0(SALU_CYCLE_1)
	s_and_not1_b32 vcc_lo, exec_lo, s2
	s_cbranch_vccnz .LBB473_139
; %bb.124:
	v_cmp_gt_i16_e32 vcc_lo, 2, v6
	s_mov_b32 s2, -1
	s_cbranch_vccnz .LBB473_134
; %bb.125:
	v_cmp_gt_i16_e32 vcc_lo, 3, v6
	s_cbranch_vccnz .LBB473_131
; %bb.126:
	v_cmp_lt_i16_e32 vcc_lo, 3, v6
	s_cbranch_vccz .LBB473_128
; %bb.127:
	v_trunc_f32_e32 v3, v2
	s_mov_b32 s2, 0
	s_delay_alu instid0(VALU_DEP_1) | instskip(NEXT) | instid1(VALU_DEP_1)
	v_mul_f32_e64 v7, 0x2f800000, |v3|
	v_floor_f32_e32 v7, v7
	s_delay_alu instid0(VALU_DEP_1) | instskip(SKIP_2) | instid1(VALU_DEP_3)
	v_fma_f32 v8, 0xcf800000, v7, |v3|
	v_ashrrev_i32_e32 v3, 31, v3
	v_cvt_u32_f32_e32 v7, v7
	v_cvt_u32_f32_e32 v8, v8
	s_delay_alu instid0(VALU_DEP_2) | instskip(NEXT) | instid1(VALU_DEP_2)
	v_xor_b32_e32 v9, v7, v3
	v_xor_b32_e32 v8, v8, v3
	s_delay_alu instid0(VALU_DEP_1) | instskip(NEXT) | instid1(VALU_DEP_3)
	v_sub_co_u32 v7, vcc_lo, v8, v3
	v_sub_co_ci_u32_e32 v8, vcc_lo, v9, v3, vcc_lo
	global_store_b64 v[0:1], v[7:8], off
.LBB473_128:
	s_and_not1_b32 vcc_lo, exec_lo, s2
	s_cbranch_vccnz .LBB473_130
; %bb.129:
	v_cvt_i32_f32_e32 v3, v2
	global_store_b32 v[0:1], v3, off
.LBB473_130:
	s_mov_b32 s2, 0
.LBB473_131:
	s_delay_alu instid0(SALU_CYCLE_1)
	s_and_not1_b32 vcc_lo, exec_lo, s2
	s_cbranch_vccnz .LBB473_133
; %bb.132:
	v_cvt_i32_f32_e32 v3, v2
	global_store_b16 v[0:1], v3, off
.LBB473_133:
	s_mov_b32 s2, 0
.LBB473_134:
	s_delay_alu instid0(SALU_CYCLE_1)
	s_and_not1_b32 vcc_lo, exec_lo, s2
	s_cbranch_vccnz .LBB473_139
; %bb.135:
	v_cmp_lt_i16_e32 vcc_lo, 0, v6
	s_mov_b32 s2, -1
	s_cbranch_vccz .LBB473_137
; %bb.136:
	v_cvt_i32_f32_e32 v3, v2
	s_mov_b32 s2, 0
	global_store_b8 v[0:1], v3, off
.LBB473_137:
	s_and_not1_b32 vcc_lo, exec_lo, s2
	s_cbranch_vccnz .LBB473_139
; %bb.138:
	v_trunc_f32_e32 v2, v2
	s_delay_alu instid0(VALU_DEP_1) | instskip(NEXT) | instid1(VALU_DEP_1)
	v_mul_f32_e64 v3, 0x2f800000, |v2|
	v_floor_f32_e32 v3, v3
	s_delay_alu instid0(VALU_DEP_1) | instskip(SKIP_1) | instid1(VALU_DEP_2)
	v_fma_f32 v3, 0xcf800000, v3, |v2|
	v_ashrrev_i32_e32 v2, 31, v2
	v_cvt_u32_f32_e32 v3, v3
	s_delay_alu instid0(VALU_DEP_1) | instskip(NEXT) | instid1(VALU_DEP_1)
	v_xor_b32_e32 v3, v3, v2
	v_sub_nc_u32_e32 v2, v3, v2
	global_store_b8 v[0:1], v2, off
.LBB473_139:
.LBB473_140:
	v_add_nc_u32_e32 v5, 0x80, v5
	s_mov_b32 s2, -1
	s_branch .LBB473_262
.LBB473_141:
	s_mov_b32 s2, 0
                                        ; implicit-def: $vgpr3
	s_cbranch_execnz .LBB473_178
	s_branch .LBB473_212
.LBB473_142:
	s_mov_b32 s24, -1
	s_mov_b32 s2, 0
                                        ; implicit-def: $vgpr3
	s_branch .LBB473_159
.LBB473_143:
	s_mov_b32 s24, -1
	s_mov_b32 s2, 0
                                        ; implicit-def: $vgpr3
	s_branch .LBB473_154
.LBB473_144:
	s_mov_b32 s24, -1
	s_branch .LBB473_146
.LBB473_145:
	s_mov_b32 s3, -1
.LBB473_146:
	s_mov_b32 s2, 0
                                        ; implicit-def: $vgpr3
.LBB473_147:
	s_and_b32 vcc_lo, exec_lo, s24
	s_cbranch_vccz .LBB473_153
; %bb.148:
	v_cmp_eq_u16_e32 vcc_lo, 44, v4
	s_cbranch_vccz .LBB473_152
; %bb.149:
	global_load_u8 v3, v[1:2], off
	s_mov_b32 s3, 0
	s_mov_b32 s2, -1
	s_waitcnt vmcnt(0)
	v_lshlrev_b32_e32 v6, 23, v3
	v_cmp_ne_u32_e32 vcc_lo, 0xff, v3
	s_delay_alu instid0(VALU_DEP_2) | instskip(SKIP_1) | instid1(VALU_DEP_2)
	v_cndmask_b32_e32 v6, 0x7f800001, v6, vcc_lo
	v_cmp_ne_u32_e32 vcc_lo, 0, v3
	v_cndmask_b32_e32 v3, 0x400000, v6, vcc_lo
	s_branch .LBB473_153
.LBB473_150:
	s_or_saveexec_b32 s36, s36
                                        ; implicit-def: $sgpr37
	s_delay_alu instid0(SALU_CYCLE_1)
	s_xor_b32 exec_lo, exec_lo, s36
	s_cbranch_execz .LBB473_52
.LBB473_151:
	v_add_f32_e64 v3, 0x46000000, |v2|
	s_and_not1_b32 s25, s25, exec_lo
	s_mov_b32 s37, 0
	s_delay_alu instid0(VALU_DEP_1) | instskip(NEXT) | instid1(VALU_DEP_1)
	v_and_b32_e32 v3, 0xff, v3
	v_cmp_ne_u32_e32 vcc_lo, 0, v3
	s_and_b32 s40, vcc_lo, exec_lo
	s_delay_alu instid0(SALU_CYCLE_1)
	s_or_b32 s25, s25, s40
	s_or_b32 exec_lo, exec_lo, s36
	v_mov_b32_e32 v7, s37
	s_and_saveexec_b32 s36, s25
	s_cbranch_execnz .LBB473_53
	s_branch .LBB473_54
.LBB473_152:
	s_mov_b32 s3, -1
                                        ; implicit-def: $vgpr3
.LBB473_153:
	s_mov_b32 s24, 0
.LBB473_154:
	s_delay_alu instid0(SALU_CYCLE_1)
	s_and_b32 vcc_lo, exec_lo, s24
	s_cbranch_vccz .LBB473_158
; %bb.155:
	v_cmp_eq_u16_e32 vcc_lo, 29, v4
	s_cbranch_vccz .LBB473_157
; %bb.156:
	global_load_b64 v[6:7], v[1:2], off
	s_mov_b32 s2, -1
	s_mov_b32 s3, 0
	s_mov_b32 s24, 0
	s_waitcnt vmcnt(0)
	v_clz_i32_u32_e32 v3, v7
	s_delay_alu instid0(VALU_DEP_1) | instskip(NEXT) | instid1(VALU_DEP_1)
	v_min_u32_e32 v3, 32, v3
	v_lshlrev_b64 v[6:7], v3, v[6:7]
	v_sub_nc_u32_e32 v3, 32, v3
	s_delay_alu instid0(VALU_DEP_2) | instskip(NEXT) | instid1(VALU_DEP_1)
	v_min_u32_e32 v6, 1, v6
	v_or_b32_e32 v6, v7, v6
	s_delay_alu instid0(VALU_DEP_1) | instskip(NEXT) | instid1(VALU_DEP_1)
	v_cvt_f32_u32_e32 v6, v6
	v_ldexp_f32 v3, v6, v3
	s_branch .LBB473_159
.LBB473_157:
	s_mov_b32 s3, -1
                                        ; implicit-def: $vgpr3
.LBB473_158:
	s_mov_b32 s24, 0
.LBB473_159:
	s_delay_alu instid0(SALU_CYCLE_1)
	s_and_b32 vcc_lo, exec_lo, s24
	s_cbranch_vccz .LBB473_177
; %bb.160:
	v_cmp_gt_i16_e32 vcc_lo, 27, v4
	s_cbranch_vccnz .LBB473_163
; %bb.161:
	v_cmp_lt_i16_e32 vcc_lo, 27, v4
	s_cbranch_vccz .LBB473_164
; %bb.162:
	global_load_b32 v3, v[1:2], off
	s_mov_b32 s2, 0
	s_waitcnt vmcnt(0)
	v_cvt_f32_u32_e32 v3, v3
	s_branch .LBB473_165
.LBB473_163:
	s_mov_b32 s2, -1
                                        ; implicit-def: $vgpr3
	s_branch .LBB473_168
.LBB473_164:
	s_mov_b32 s2, -1
                                        ; implicit-def: $vgpr3
.LBB473_165:
	s_delay_alu instid0(SALU_CYCLE_1)
	s_and_not1_b32 vcc_lo, exec_lo, s2
	s_cbranch_vccnz .LBB473_167
; %bb.166:
	global_load_u16 v3, v[1:2], off
	s_waitcnt vmcnt(0)
	v_cvt_f32_u32_e32 v3, v3
.LBB473_167:
	s_mov_b32 s2, 0
.LBB473_168:
	s_delay_alu instid0(SALU_CYCLE_1)
	s_and_not1_b32 vcc_lo, exec_lo, s2
	s_cbranch_vccnz .LBB473_176
; %bb.169:
	global_load_u8 v6, v[1:2], off
	s_mov_b32 s2, 0
	s_mov_b32 s25, exec_lo
                                        ; implicit-def: $sgpr24
	s_waitcnt vmcnt(0)
	v_cmpx_lt_i16_e32 0x7f, v6
	s_xor_b32 s25, exec_lo, s25
	s_cbranch_execz .LBB473_189
; %bb.170:
	s_mov_b32 s2, -1
	s_mov_b32 s36, exec_lo
                                        ; implicit-def: $sgpr24
	v_cmpx_eq_u16_e32 0x80, v6
; %bb.171:
	s_mov_b32 s24, 0x7f800001
	s_xor_b32 s2, exec_lo, -1
; %bb.172:
	s_or_b32 exec_lo, exec_lo, s36
	s_delay_alu instid0(SALU_CYCLE_1)
	s_and_b32 s2, s2, exec_lo
	s_or_saveexec_b32 s25, s25
	v_mov_b32_e32 v3, s24
	s_xor_b32 exec_lo, exec_lo, s25
	s_cbranch_execnz .LBB473_190
.LBB473_173:
	s_or_b32 exec_lo, exec_lo, s25
	s_and_saveexec_b32 s24, s2
	s_cbranch_execz .LBB473_175
.LBB473_174:
	v_and_b32_e32 v3, 0xffff, v6
	s_delay_alu instid0(VALU_DEP_1) | instskip(NEXT) | instid1(VALU_DEP_1)
	v_and_b32_e32 v7, 7, v3
	v_clz_i32_u32_e32 v8, v7
	s_delay_alu instid0(VALU_DEP_1) | instskip(NEXT) | instid1(VALU_DEP_1)
	v_min_u32_e32 v8, 32, v8
	v_subrev_nc_u32_e32 v9, 28, v8
	v_sub_nc_u32_e32 v8, 29, v8
	s_delay_alu instid0(VALU_DEP_2) | instskip(SKIP_1) | instid1(VALU_DEP_2)
	v_lshlrev_b32_e32 v9, v9, v3
	v_bfe_u32 v3, v3, 3, 4
	v_and_b32_e32 v9, 7, v9
	s_delay_alu instid0(VALU_DEP_2) | instskip(SKIP_1) | instid1(VALU_DEP_1)
	v_cmp_eq_u32_e32 vcc_lo, 0, v3
	v_dual_cndmask_b32 v3, v3, v8 :: v_dual_lshlrev_b32 v6, 24, v6
	v_dual_cndmask_b32 v7, v7, v9 :: v_dual_and_b32 v6, 0x80000000, v6
	s_delay_alu instid0(VALU_DEP_2) | instskip(NEXT) | instid1(VALU_DEP_2)
	v_lshl_add_u32 v3, v3, 23, 0x3b800000
	v_lshlrev_b32_e32 v7, 20, v7
	s_delay_alu instid0(VALU_DEP_1)
	v_or3_b32 v3, v6, v3, v7
.LBB473_175:
	s_or_b32 exec_lo, exec_lo, s24
.LBB473_176:
	s_mov_b32 s2, -1
.LBB473_177:
	s_branch .LBB473_212
.LBB473_178:
	v_cmp_lt_i16_e32 vcc_lo, 22, v4
	s_cbranch_vccz .LBB473_188
; %bb.179:
	v_cmp_gt_i16_e32 vcc_lo, 24, v4
	s_cbranch_vccnz .LBB473_191
; %bb.180:
	v_cmp_lt_i16_e32 vcc_lo, 24, v4
	s_cbranch_vccz .LBB473_192
; %bb.181:
	global_load_u8 v6, v[1:2], off
	s_mov_b32 s2, 0
	s_mov_b32 s25, exec_lo
                                        ; implicit-def: $sgpr24
	s_waitcnt vmcnt(0)
	v_cmpx_lt_i16_e32 0x7f, v6
	s_xor_b32 s25, exec_lo, s25
	s_cbranch_execz .LBB473_204
; %bb.182:
	s_mov_b32 s2, -1
	s_mov_b32 s36, exec_lo
                                        ; implicit-def: $sgpr24
	v_cmpx_eq_u16_e32 0x80, v6
; %bb.183:
	s_mov_b32 s24, 0x7f800001
	s_xor_b32 s2, exec_lo, -1
; %bb.184:
	s_or_b32 exec_lo, exec_lo, s36
	s_delay_alu instid0(SALU_CYCLE_1)
	s_and_b32 s2, s2, exec_lo
	s_or_saveexec_b32 s25, s25
	v_mov_b32_e32 v3, s24
	s_xor_b32 exec_lo, exec_lo, s25
	s_cbranch_execnz .LBB473_205
.LBB473_185:
	s_or_b32 exec_lo, exec_lo, s25
	s_and_saveexec_b32 s24, s2
	s_cbranch_execz .LBB473_187
.LBB473_186:
	v_and_b32_e32 v3, 0xffff, v6
	s_delay_alu instid0(VALU_DEP_1) | instskip(NEXT) | instid1(VALU_DEP_1)
	v_and_b32_e32 v7, 3, v3
	v_clz_i32_u32_e32 v8, v7
	s_delay_alu instid0(VALU_DEP_1) | instskip(NEXT) | instid1(VALU_DEP_1)
	v_min_u32_e32 v8, 32, v8
	v_subrev_nc_u32_e32 v9, 29, v8
	v_sub_nc_u32_e32 v8, 30, v8
	s_delay_alu instid0(VALU_DEP_2) | instskip(SKIP_1) | instid1(VALU_DEP_2)
	v_lshlrev_b32_e32 v9, v9, v3
	v_bfe_u32 v3, v3, 2, 5
	v_and_b32_e32 v9, 3, v9
	s_delay_alu instid0(VALU_DEP_2) | instskip(SKIP_1) | instid1(VALU_DEP_1)
	v_cmp_eq_u32_e32 vcc_lo, 0, v3
	v_dual_cndmask_b32 v3, v3, v8 :: v_dual_lshlrev_b32 v6, 24, v6
	v_dual_cndmask_b32 v7, v7, v9 :: v_dual_and_b32 v6, 0x80000000, v6
	s_delay_alu instid0(VALU_DEP_2) | instskip(NEXT) | instid1(VALU_DEP_2)
	v_lshl_add_u32 v3, v3, 23, 0x37800000
	v_lshlrev_b32_e32 v7, 21, v7
	s_delay_alu instid0(VALU_DEP_1)
	v_or3_b32 v3, v6, v3, v7
.LBB473_187:
	s_or_b32 exec_lo, exec_lo, s24
	s_mov_b32 s2, 0
	s_branch .LBB473_193
.LBB473_188:
	s_mov_b32 s24, -1
                                        ; implicit-def: $vgpr3
	s_branch .LBB473_199
.LBB473_189:
	s_or_saveexec_b32 s25, s25
	v_mov_b32_e32 v3, s24
	s_xor_b32 exec_lo, exec_lo, s25
	s_cbranch_execz .LBB473_173
.LBB473_190:
	v_cmp_ne_u16_e32 vcc_lo, 0, v6
	v_mov_b32_e32 v3, 0
	s_and_not1_b32 s2, s2, exec_lo
	s_and_b32 s24, vcc_lo, exec_lo
	s_delay_alu instid0(SALU_CYCLE_1)
	s_or_b32 s2, s2, s24
	s_or_b32 exec_lo, exec_lo, s25
	s_and_saveexec_b32 s24, s2
	s_cbranch_execnz .LBB473_174
	s_branch .LBB473_175
.LBB473_191:
	s_mov_b32 s2, -1
                                        ; implicit-def: $vgpr3
	s_branch .LBB473_196
.LBB473_192:
	s_mov_b32 s2, -1
                                        ; implicit-def: $vgpr3
.LBB473_193:
	s_delay_alu instid0(SALU_CYCLE_1)
	s_and_b32 vcc_lo, exec_lo, s2
	s_cbranch_vccz .LBB473_195
; %bb.194:
	global_load_u8 v3, v[1:2], off
	s_waitcnt vmcnt(0)
	v_lshlrev_b32_e32 v3, 24, v3
	s_delay_alu instid0(VALU_DEP_1) | instskip(NEXT) | instid1(VALU_DEP_1)
	v_and_b32_e32 v6, 0x7f000000, v3
	v_clz_i32_u32_e32 v7, v6
	v_cmp_ne_u32_e32 vcc_lo, 0, v6
	v_add_nc_u32_e32 v9, 0x1000000, v6
	s_delay_alu instid0(VALU_DEP_3) | instskip(NEXT) | instid1(VALU_DEP_1)
	v_min_u32_e32 v7, 32, v7
	v_sub_nc_u32_e64 v7, v7, 4 clamp
	s_delay_alu instid0(VALU_DEP_1) | instskip(SKIP_1) | instid1(VALU_DEP_2)
	v_lshlrev_b32_e32 v8, v7, v6
	v_lshlrev_b32_e32 v7, 23, v7
	v_lshrrev_b32_e32 v8, 4, v8
	s_delay_alu instid0(VALU_DEP_1) | instskip(SKIP_1) | instid1(VALU_DEP_2)
	v_sub_nc_u32_e32 v7, v8, v7
	v_ashrrev_i32_e32 v8, 8, v9
	v_add_nc_u32_e32 v7, 0x3c000000, v7
	s_delay_alu instid0(VALU_DEP_1) | instskip(NEXT) | instid1(VALU_DEP_1)
	v_and_or_b32 v7, 0x7f800000, v8, v7
	v_cndmask_b32_e32 v6, 0, v7, vcc_lo
	s_delay_alu instid0(VALU_DEP_1)
	v_and_or_b32 v3, 0x80000000, v3, v6
.LBB473_195:
	s_mov_b32 s2, 0
.LBB473_196:
	s_delay_alu instid0(SALU_CYCLE_1)
	s_and_not1_b32 vcc_lo, exec_lo, s2
	s_cbranch_vccnz .LBB473_198
; %bb.197:
	global_load_u8 v3, v[1:2], off
	s_waitcnt vmcnt(0)
	v_lshlrev_b32_e32 v6, 25, v3
	v_lshlrev_b16 v3, 8, v3
	s_delay_alu instid0(VALU_DEP_2) | instskip(NEXT) | instid1(VALU_DEP_2)
	v_lshrrev_b32_e32 v7, 4, v6
	v_and_or_b32 v8, 0x7f00, v3, 0.5
	v_cmp_gt_u32_e32 vcc_lo, 0x8000000, v6
	v_bfe_i32 v3, v3, 0, 16
	s_delay_alu instid0(VALU_DEP_4) | instskip(NEXT) | instid1(VALU_DEP_1)
	v_or_b32_e32 v7, 0x70000000, v7
	v_dual_add_f32 v8, -0.5, v8 :: v_dual_mul_f32 v7, 0x7800000, v7
	s_delay_alu instid0(VALU_DEP_1) | instskip(NEXT) | instid1(VALU_DEP_1)
	v_cndmask_b32_e32 v6, v7, v8, vcc_lo
	v_and_or_b32 v3, 0x80000000, v3, v6
.LBB473_198:
	s_mov_b32 s24, 0
	s_mov_b32 s2, -1
.LBB473_199:
	s_and_not1_b32 vcc_lo, exec_lo, s24
	s_cbranch_vccnz .LBB473_212
; %bb.200:
	v_cmp_lt_i16_e32 vcc_lo, 14, v4
	s_cbranch_vccz .LBB473_203
; %bb.201:
	v_cmp_eq_u16_e32 vcc_lo, 15, v4
	s_cbranch_vccz .LBB473_206
; %bb.202:
	global_load_u16 v3, v[1:2], off
	s_mov_b32 s2, -1
	s_mov_b32 s3, 0
	s_waitcnt vmcnt(0)
	v_lshlrev_b32_e32 v3, 16, v3
	s_branch .LBB473_207
.LBB473_203:
	s_mov_b32 s24, -1
                                        ; implicit-def: $vgpr3
	s_branch .LBB473_208
.LBB473_204:
	s_or_saveexec_b32 s25, s25
	v_mov_b32_e32 v3, s24
	s_xor_b32 exec_lo, exec_lo, s25
	s_cbranch_execz .LBB473_185
.LBB473_205:
	v_cmp_ne_u16_e32 vcc_lo, 0, v6
	v_mov_b32_e32 v3, 0
	s_and_not1_b32 s2, s2, exec_lo
	s_and_b32 s24, vcc_lo, exec_lo
	s_delay_alu instid0(SALU_CYCLE_1)
	s_or_b32 s2, s2, s24
	s_or_b32 exec_lo, exec_lo, s25
	s_and_saveexec_b32 s24, s2
	s_cbranch_execnz .LBB473_186
	s_branch .LBB473_187
.LBB473_206:
	s_mov_b32 s3, -1
                                        ; implicit-def: $vgpr3
.LBB473_207:
	s_mov_b32 s24, 0
.LBB473_208:
	s_delay_alu instid0(SALU_CYCLE_1)
	s_and_b32 vcc_lo, exec_lo, s24
	s_cbranch_vccz .LBB473_212
; %bb.209:
	v_cmp_eq_u16_e32 vcc_lo, 11, v4
	s_cbranch_vccz .LBB473_211
; %bb.210:
	global_load_u8 v3, v[1:2], off
	s_mov_b32 s3, 0
	s_mov_b32 s2, -1
	s_waitcnt vmcnt(0)
	v_cmp_ne_u16_e32 vcc_lo, 0, v3
	v_cndmask_b32_e64 v3, 0, 1.0, vcc_lo
	s_branch .LBB473_212
.LBB473_211:
	s_mov_b32 s3, -1
                                        ; implicit-def: $vgpr3
.LBB473_212:
	s_branch .LBB473_23
.LBB473_213:
	v_cmp_gt_i16_e32 vcc_lo, 5, v4
	s_cbranch_vccnz .LBB473_218
; %bb.214:
	v_cmp_gt_i16_e32 vcc_lo, 8, v4
	s_cbranch_vccnz .LBB473_219
; %bb.215:
	;; [unrolled: 3-line block ×3, first 2 shown]
	v_cmp_lt_i16_e32 vcc_lo, 9, v4
	s_cbranch_vccz .LBB473_221
; %bb.217:
	global_load_b64 v[6:7], v[1:2], off
	s_mov_b32 s2, 0
	s_waitcnt vmcnt(0)
	v_cvt_f32_f64_e32 v3, v[6:7]
	s_branch .LBB473_222
.LBB473_218:
                                        ; implicit-def: $vgpr3
	s_branch .LBB473_240
.LBB473_219:
	s_mov_b32 s2, -1
                                        ; implicit-def: $vgpr3
	s_branch .LBB473_228
.LBB473_220:
	s_mov_b32 s2, -1
                                        ; implicit-def: $vgpr3
	s_branch .LBB473_225
.LBB473_221:
	s_mov_b32 s2, -1
                                        ; implicit-def: $vgpr3
.LBB473_222:
	s_delay_alu instid0(SALU_CYCLE_1)
	s_and_not1_b32 vcc_lo, exec_lo, s2
	s_cbranch_vccnz .LBB473_224
; %bb.223:
	global_load_b32 v3, v[1:2], off
.LBB473_224:
	s_mov_b32 s2, 0
.LBB473_225:
	s_delay_alu instid0(SALU_CYCLE_1)
	s_and_not1_b32 vcc_lo, exec_lo, s2
	s_cbranch_vccnz .LBB473_227
; %bb.226:
	global_load_b32 v3, v[1:2], off
	s_waitcnt vmcnt(0)
	v_cvt_f32_f16_e32 v3, v3
.LBB473_227:
	s_mov_b32 s2, 0
.LBB473_228:
	s_delay_alu instid0(SALU_CYCLE_1)
	s_and_not1_b32 vcc_lo, exec_lo, s2
	s_cbranch_vccnz .LBB473_239
; %bb.229:
	v_cmp_gt_i16_e32 vcc_lo, 6, v4
	s_cbranch_vccnz .LBB473_232
; %bb.230:
	v_cmp_lt_i16_e32 vcc_lo, 6, v4
	s_cbranch_vccz .LBB473_233
; %bb.231:
	global_load_b64 v[6:7], v[1:2], off
	s_mov_b32 s2, 0
	s_waitcnt vmcnt(0)
	v_cvt_f32_f64_e32 v3, v[6:7]
	s_branch .LBB473_234
.LBB473_232:
	s_mov_b32 s2, -1
                                        ; implicit-def: $vgpr3
	s_branch .LBB473_237
.LBB473_233:
	s_mov_b32 s2, -1
                                        ; implicit-def: $vgpr3
.LBB473_234:
	s_delay_alu instid0(SALU_CYCLE_1)
	s_and_not1_b32 vcc_lo, exec_lo, s2
	s_cbranch_vccnz .LBB473_236
; %bb.235:
	global_load_b32 v3, v[1:2], off
.LBB473_236:
	s_mov_b32 s2, 0
.LBB473_237:
	s_delay_alu instid0(SALU_CYCLE_1)
	s_and_not1_b32 vcc_lo, exec_lo, s2
	s_cbranch_vccnz .LBB473_239
; %bb.238:
	global_load_u16 v3, v[1:2], off
	s_waitcnt vmcnt(0)
	v_cvt_f32_f16_e32 v3, v3
.LBB473_239:
	s_cbranch_execnz .LBB473_259
.LBB473_240:
	v_cmp_gt_i16_e32 vcc_lo, 2, v4
	s_cbranch_vccnz .LBB473_244
; %bb.241:
	v_cmp_gt_i16_e32 vcc_lo, 3, v4
	s_cbranch_vccnz .LBB473_245
; %bb.242:
	v_cmp_lt_i16_e32 vcc_lo, 3, v4
	s_cbranch_vccz .LBB473_246
; %bb.243:
	global_load_b64 v[6:7], v[1:2], off
	s_mov_b32 s2, 0
	s_waitcnt vmcnt(0)
	v_xor_b32_e32 v3, v6, v7
	v_cls_i32_e32 v8, v7
	s_delay_alu instid0(VALU_DEP_2) | instskip(NEXT) | instid1(VALU_DEP_2)
	v_ashrrev_i32_e32 v3, 31, v3
	v_add_nc_u32_e32 v8, -1, v8
	s_delay_alu instid0(VALU_DEP_2) | instskip(NEXT) | instid1(VALU_DEP_1)
	v_add_nc_u32_e32 v3, 32, v3
	v_min_u32_e32 v3, v8, v3
	s_delay_alu instid0(VALU_DEP_1) | instskip(SKIP_1) | instid1(VALU_DEP_2)
	v_lshlrev_b64 v[6:7], v3, v[6:7]
	v_sub_nc_u32_e32 v3, 32, v3
	v_min_u32_e32 v6, 1, v6
	s_delay_alu instid0(VALU_DEP_1) | instskip(NEXT) | instid1(VALU_DEP_1)
	v_or_b32_e32 v6, v7, v6
	v_cvt_f32_i32_e32 v6, v6
	s_delay_alu instid0(VALU_DEP_1)
	v_ldexp_f32 v3, v6, v3
	s_branch .LBB473_247
.LBB473_244:
	s_mov_b32 s2, -1
                                        ; implicit-def: $vgpr3
	s_branch .LBB473_253
.LBB473_245:
	s_mov_b32 s2, -1
                                        ; implicit-def: $vgpr3
	s_branch .LBB473_250
.LBB473_246:
	s_mov_b32 s2, -1
                                        ; implicit-def: $vgpr3
.LBB473_247:
	s_delay_alu instid0(SALU_CYCLE_1)
	s_and_not1_b32 vcc_lo, exec_lo, s2
	s_cbranch_vccnz .LBB473_249
; %bb.248:
	global_load_b32 v3, v[1:2], off
	s_waitcnt vmcnt(0)
	v_cvt_f32_i32_e32 v3, v3
.LBB473_249:
	s_mov_b32 s2, 0
.LBB473_250:
	s_delay_alu instid0(SALU_CYCLE_1)
	s_and_not1_b32 vcc_lo, exec_lo, s2
	s_cbranch_vccnz .LBB473_252
; %bb.251:
	global_load_i16 v3, v[1:2], off
	s_waitcnt vmcnt(0)
	v_cvt_f32_i32_e32 v3, v3
.LBB473_252:
	s_mov_b32 s2, 0
.LBB473_253:
	s_delay_alu instid0(SALU_CYCLE_1)
	s_and_not1_b32 vcc_lo, exec_lo, s2
	s_cbranch_vccnz .LBB473_259
; %bb.254:
	v_cmp_lt_i16_e32 vcc_lo, 0, v4
	s_mov_b32 s2, 0
	s_cbranch_vccz .LBB473_256
; %bb.255:
	global_load_i8 v3, v[1:2], off
	s_waitcnt vmcnt(0)
	v_cvt_f32_i32_e32 v3, v3
	s_branch .LBB473_257
.LBB473_256:
	s_mov_b32 s2, -1
                                        ; implicit-def: $vgpr3
.LBB473_257:
	s_delay_alu instid0(SALU_CYCLE_1)
	s_and_not1_b32 vcc_lo, exec_lo, s2
	s_cbranch_vccnz .LBB473_259
; %bb.258:
	global_load_u8 v1, v[1:2], off
	s_waitcnt vmcnt(0)
	v_cvt_f32_ubyte0_e32 v3, v1
.LBB473_259:
	s_branch .LBB473_24
.LBB473_260:
	s_mov_b32 s24, 0
.LBB473_261:
	s_mov_b32 s2, 0
                                        ; implicit-def: $vgpr5
.LBB473_262:
	s_and_b32 s36, s24, exec_lo
	s_and_b32 s37, s3, exec_lo
	s_or_not1_b32 s3, s2, exec_lo
.LBB473_263:
	s_or_b32 exec_lo, exec_lo, s38
	s_mov_b32 s24, 0
	s_mov_b32 s2, 0
                                        ; implicit-def: $vgpr1_vgpr2
                                        ; implicit-def: $vgpr0
                                        ; implicit-def: $vgpr6
	s_and_saveexec_b32 s38, s3
	s_cbranch_execz .LBB473_906
; %bb.264:
	s_mov_b32 s2, -1
	s_mov_b32 s39, s37
	s_mov_b32 s40, s36
	s_mov_b32 s41, exec_lo
	v_cmpx_gt_i32_e64 s33, v5
	s_cbranch_execz .LBB473_533
; %bb.265:
	s_and_not1_b32 vcc_lo, exec_lo, s29
	s_cbranch_vccnz .LBB473_270
; %bb.266:
	v_dual_mov_b32 v0, 0 :: v_dual_mov_b32 v1, 0
	s_and_not1_b32 vcc_lo, exec_lo, s35
	s_mov_b32 s39, 0
	s_cbranch_vccnz .LBB473_275
; %bb.267:
	v_mov_b32_e32 v0, 0
	s_add_i32 s42, s34, 1
	s_cmp_eq_u32 s27, 2
	s_mov_b32 s40, 0
	s_cbranch_scc1 .LBB473_271
; %bb.268:
	v_dual_mov_b32 v1, 0 :: v_dual_mov_b32 v0, 0
	v_mov_b32_e32 v2, v5
	s_and_b32 s40, s42, 28
	s_mov_b32 s43, 0
	s_mov_b64 s[2:3], s[22:23]
	s_mov_b64 s[24:25], s[16:17]
.LBB473_269:                            ; =>This Inner Loop Header: Depth=1
	s_clause 0x1
	s_load_b256 s[44:51], s[24:25], 0x4
	s_load_b128 s[60:63], s[24:25], 0x24
	s_load_b256 s[52:59], s[2:3], 0x0
	s_add_u32 s24, s24, 48
	s_addc_u32 s25, s25, 0
	s_add_i32 s43, s43, 4
	s_add_u32 s2, s2, 32
	s_addc_u32 s3, s3, 0
	s_cmp_eq_u32 s40, s43
	s_waitcnt vmcnt(0) lgkmcnt(0)
	v_mul_hi_u32 v3, s45, v2
	s_delay_alu instid0(VALU_DEP_1) | instskip(NEXT) | instid1(VALU_DEP_1)
	v_add_nc_u32_e32 v3, v2, v3
	v_lshrrev_b32_e32 v3, s46, v3
	s_delay_alu instid0(VALU_DEP_1) | instskip(SKIP_1) | instid1(VALU_DEP_2)
	v_mul_hi_u32 v6, s48, v3
	v_mul_lo_u32 v8, v3, s44
	v_add_nc_u32_e32 v6, v3, v6
	s_delay_alu instid0(VALU_DEP_2) | instskip(NEXT) | instid1(VALU_DEP_2)
	v_sub_nc_u32_e32 v2, v2, v8
	v_lshrrev_b32_e32 v6, s49, v6
	s_delay_alu instid0(VALU_DEP_2) | instskip(SKIP_1) | instid1(VALU_DEP_3)
	v_mul_lo_u32 v8, v2, s52
	v_mul_lo_u32 v10, v2, s53
	v_mul_hi_u32 v7, s51, v6
	s_delay_alu instid0(VALU_DEP_1) | instskip(NEXT) | instid1(VALU_DEP_1)
	v_add_nc_u32_e32 v7, v6, v7
	v_lshrrev_b32_e32 v7, s60, v7
	s_delay_alu instid0(VALU_DEP_1) | instskip(SKIP_1) | instid1(VALU_DEP_2)
	v_mul_hi_u32 v9, s62, v7
	v_mul_lo_u32 v11, v7, s50
	v_add_nc_u32_e32 v2, v7, v9
	v_mul_lo_u32 v9, v6, s47
	s_delay_alu instid0(VALU_DEP_3) | instskip(NEXT) | instid1(VALU_DEP_3)
	v_sub_nc_u32_e32 v6, v6, v11
	v_lshrrev_b32_e32 v2, s63, v2
	s_delay_alu instid0(VALU_DEP_2) | instskip(SKIP_2) | instid1(VALU_DEP_4)
	v_mul_lo_u32 v11, v6, s56
	v_mul_lo_u32 v6, v6, s57
	v_sub_nc_u32_e32 v3, v3, v9
	v_mul_lo_u32 v12, v2, s61
	s_delay_alu instid0(VALU_DEP_2) | instskip(SKIP_1) | instid1(VALU_DEP_3)
	v_mul_lo_u32 v9, v3, s54
	v_mul_lo_u32 v3, v3, s55
	v_sub_nc_u32_e32 v7, v7, v12
	s_delay_alu instid0(VALU_DEP_3) | instskip(NEXT) | instid1(VALU_DEP_2)
	v_add3_u32 v0, v8, v0, v9
	v_mul_lo_u32 v12, v7, s58
	v_mul_lo_u32 v7, v7, s59
	v_add3_u32 v1, v10, v1, v3
	s_delay_alu instid0(VALU_DEP_3) | instskip(NEXT) | instid1(VALU_DEP_2)
	v_add3_u32 v0, v11, v0, v12
	v_add3_u32 v1, v6, v1, v7
	s_cbranch_scc0 .LBB473_269
	s_branch .LBB473_272
.LBB473_270:
	s_mov_b32 s39, -1
                                        ; implicit-def: $vgpr0
                                        ; implicit-def: $vgpr1
	s_branch .LBB473_275
.LBB473_271:
	v_dual_mov_b32 v2, v5 :: v_dual_mov_b32 v1, 0
.LBB473_272:
	s_and_b32 s42, s42, 3
	s_delay_alu instid0(SALU_CYCLE_1)
	s_cmp_eq_u32 s42, 0
	s_cbranch_scc1 .LBB473_275
; %bb.273:
	s_lshl_b32 s2, s40, 3
	s_mul_i32 s24, s40, 12
	s_add_u32 s2, s2, s16
	s_addc_u32 s3, s17, 0
	s_add_u32 s2, s2, 0xc4
	s_addc_u32 s3, s3, 0
	;; [unrolled: 2-line block ×3, first 2 shown]
	.p2align	6
.LBB473_274:                            ; =>This Inner Loop Header: Depth=1
	s_clause 0x1
	s_load_b64 s[44:45], s[24:25], 0x4
	s_load_b32 s40, s[24:25], 0xc
	s_load_b64 s[46:47], s[2:3], 0x0
	s_add_u32 s24, s24, 12
	s_addc_u32 s25, s25, 0
	s_add_u32 s2, s2, 8
	s_addc_u32 s3, s3, 0
	s_add_i32 s42, s42, -1
	s_delay_alu instid0(SALU_CYCLE_1) | instskip(SKIP_2) | instid1(VALU_DEP_1)
	s_cmp_lg_u32 s42, 0
	s_waitcnt vmcnt(0) lgkmcnt(0)
	v_mul_hi_u32 v3, s45, v2
	v_add_nc_u32_e32 v3, v2, v3
	s_delay_alu instid0(VALU_DEP_1) | instskip(NEXT) | instid1(VALU_DEP_1)
	v_lshrrev_b32_e32 v3, s40, v3
	v_mul_lo_u32 v6, v3, s44
	s_delay_alu instid0(VALU_DEP_1) | instskip(NEXT) | instid1(VALU_DEP_1)
	v_sub_nc_u32_e32 v2, v2, v6
	v_mad_u64_u32 v[6:7], null, v2, s46, v[0:1]
	v_mad_u64_u32 v[7:8], null, v2, s47, v[1:2]
	v_mov_b32_e32 v2, v3
	s_delay_alu instid0(VALU_DEP_2)
	v_dual_mov_b32 v0, v6 :: v_dual_mov_b32 v1, v7
	s_cbranch_scc1 .LBB473_274
.LBB473_275:
	s_and_not1_b32 vcc_lo, exec_lo, s39
	s_cbranch_vccnz .LBB473_278
; %bb.276:
	v_mul_hi_u32 v0, s13, v5
	s_and_not1_b32 vcc_lo, exec_lo, s31
	s_delay_alu instid0(VALU_DEP_1) | instskip(NEXT) | instid1(VALU_DEP_1)
	v_add_nc_u32_e32 v0, v5, v0
	v_lshrrev_b32_e32 v2, s14, v0
	s_delay_alu instid0(VALU_DEP_1) | instskip(NEXT) | instid1(VALU_DEP_1)
	v_mul_lo_u32 v0, v2, s12
	v_sub_nc_u32_e32 v1, v5, v0
	s_delay_alu instid0(VALU_DEP_1)
	v_mul_lo_u32 v0, v1, s8
	v_mul_lo_u32 v1, v1, s9
	s_cbranch_vccnz .LBB473_278
; %bb.277:
	s_waitcnt vmcnt(0)
	v_mul_hi_u32 v3, s20, v2
	s_delay_alu instid0(VALU_DEP_1) | instskip(NEXT) | instid1(VALU_DEP_1)
	v_add_nc_u32_e32 v3, v2, v3
	v_lshrrev_b32_e32 v3, s21, v3
	s_delay_alu instid0(VALU_DEP_1) | instskip(NEXT) | instid1(VALU_DEP_1)
	v_mul_lo_u32 v3, v3, s15
	v_sub_nc_u32_e32 v8, v2, v3
	s_delay_alu instid0(VALU_DEP_1) | instskip(NEXT) | instid1(VALU_DEP_1)
	v_mad_u64_u32 v[2:3], null, v8, s10, v[0:1]
	v_mad_u64_u32 v[6:7], null, v8, s11, v[1:2]
	v_mov_b32_e32 v0, v2
	s_delay_alu instid0(VALU_DEP_2)
	v_mov_b32_e32 v1, v6
.LBB473_278:
	v_cmp_gt_i16_e32 vcc_lo, 11, v4
	s_delay_alu instid0(VALU_DEP_2) | instskip(NEXT) | instid1(VALU_DEP_1)
	v_add_co_u32 v1, s2, s6, v1
	v_add_co_ci_u32_e64 v2, null, s7, 0, s2
	s_mov_b32 s2, 0
	s_cbranch_vccnz .LBB473_285
; %bb.279:
	v_cmp_lt_i16_e32 vcc_lo, 25, v4
	s_cbranch_vccz .LBB473_334
; %bb.280:
	v_cmp_lt_i16_e32 vcc_lo, 28, v4
	s_cbranch_vccz .LBB473_335
	;; [unrolled: 3-line block ×4, first 2 shown]
; %bb.283:
	v_cmp_eq_u16_e32 vcc_lo, 46, v4
	s_mov_b32 s24, 0
	s_cbranch_vccz .LBB473_343
; %bb.284:
	global_load_b32 v3, v[1:2], off
	s_mov_b32 s2, -1
	s_mov_b32 s3, 0
	s_waitcnt vmcnt(0)
	v_lshlrev_b32_e32 v3, 16, v3
	s_branch .LBB473_345
.LBB473_285:
	s_mov_b32 s3, s37
                                        ; implicit-def: $vgpr3
	s_cbranch_execnz .LBB473_482
.LBB473_286:
	s_and_not1_b32 vcc_lo, exec_lo, s2
	s_cbranch_vccnz .LBB473_530
.LBB473_287:
	v_max_f32_e64 v1, s18, s18
	s_waitcnt vmcnt(0)
	s_delay_alu instid0(VALU_DEP_2)
	v_max_f32_e32 v2, v3, v3
	v_and_b32_e64 v6, 0xff, s19
	v_cmp_u_f32_e64 s2, v3, v3
	s_mov_b32 s24, 0
	s_mov_b32 s25, -1
	v_min_f32_e32 v1, v2, v1
	v_cmp_gt_i16_e32 vcc_lo, 11, v6
	s_delay_alu instid0(VALU_DEP_2) | instskip(SKIP_1) | instid1(VALU_DEP_1)
	v_cndmask_b32_e64 v2, v1, v3, s2
	v_add_co_u32 v0, s2, s4, v0
	v_add_co_ci_u32_e64 v1, null, s5, 0, s2
	s_mov_b32 s2, s36
	s_cbranch_vccnz .LBB473_294
; %bb.288:
	v_cmp_lt_i16_e32 vcc_lo, 25, v6
	s_cbranch_vccz .LBB473_336
; %bb.289:
	v_cmp_lt_i16_e32 vcc_lo, 28, v6
	s_cbranch_vccz .LBB473_338
	;; [unrolled: 3-line block ×4, first 2 shown]
; %bb.292:
	v_cmp_eq_u16_e32 vcc_lo, 46, v6
	s_mov_b32 s25, 0
	s_mov_b32 s2, -1
	s_cbranch_vccz .LBB473_349
; %bb.293:
	v_bfe_u32 v3, v2, 16, 1
	v_cmp_o_f32_e32 vcc_lo, v2, v2
	s_mov_b32 s24, -1
	s_mov_b32 s2, 0
	s_delay_alu instid0(VALU_DEP_2) | instskip(NEXT) | instid1(VALU_DEP_1)
	v_add3_u32 v3, v2, v3, 0x7fff
	v_lshrrev_b32_e32 v3, 16, v3
	s_delay_alu instid0(VALU_DEP_1)
	v_cndmask_b32_e32 v3, 0x7fc0, v3, vcc_lo
	global_store_b32 v[0:1], v3, off
	s_branch .LBB473_349
.LBB473_294:
	s_and_b32 vcc_lo, exec_lo, s25
	s_cbranch_vccz .LBB473_418
; %bb.295:
	v_cmp_gt_i16_e32 vcc_lo, 5, v6
	s_mov_b32 s24, -1
	s_cbranch_vccnz .LBB473_316
; %bb.296:
	v_cmp_gt_i16_e32 vcc_lo, 8, v6
	s_cbranch_vccnz .LBB473_306
; %bb.297:
	v_cmp_gt_i16_e32 vcc_lo, 9, v6
	s_cbranch_vccnz .LBB473_303
; %bb.298:
	v_cmp_lt_i16_e32 vcc_lo, 9, v6
	s_cbranch_vccz .LBB473_300
; %bb.299:
	v_cvt_f64_f32_e32 v[7:8], v2
	v_mov_b32_e32 v9, 0
	s_mov_b32 s24, 0
	s_delay_alu instid0(VALU_DEP_1)
	v_mov_b32_e32 v10, v9
	global_store_b128 v[0:1], v[7:10], off
.LBB473_300:
	s_and_not1_b32 vcc_lo, exec_lo, s24
	s_cbranch_vccnz .LBB473_302
; %bb.301:
	v_mov_b32_e32 v3, 0
	global_store_b64 v[0:1], v[2:3], off
.LBB473_302:
	s_mov_b32 s24, 0
.LBB473_303:
	s_delay_alu instid0(SALU_CYCLE_1)
	s_and_not1_b32 vcc_lo, exec_lo, s24
	s_cbranch_vccnz .LBB473_305
; %bb.304:
	v_cvt_f16_f32_e32 v3, v2
	s_delay_alu instid0(VALU_DEP_1)
	v_and_b32_e32 v3, 0xffff, v3
	global_store_b32 v[0:1], v3, off
.LBB473_305:
	s_mov_b32 s24, 0
.LBB473_306:
	s_delay_alu instid0(SALU_CYCLE_1)
	s_and_not1_b32 vcc_lo, exec_lo, s24
	s_cbranch_vccnz .LBB473_315
; %bb.307:
	v_cmp_gt_i16_e32 vcc_lo, 6, v6
	s_mov_b32 s24, -1
	s_cbranch_vccnz .LBB473_313
; %bb.308:
	v_cmp_lt_i16_e32 vcc_lo, 6, v6
	s_cbranch_vccz .LBB473_310
; %bb.309:
	v_cvt_f64_f32_e32 v[7:8], v2
	s_mov_b32 s24, 0
	global_store_b64 v[0:1], v[7:8], off
.LBB473_310:
	s_and_not1_b32 vcc_lo, exec_lo, s24
	s_cbranch_vccnz .LBB473_312
; %bb.311:
	global_store_b32 v[0:1], v2, off
.LBB473_312:
	s_mov_b32 s24, 0
.LBB473_313:
	s_delay_alu instid0(SALU_CYCLE_1)
	s_and_not1_b32 vcc_lo, exec_lo, s24
	s_cbranch_vccnz .LBB473_315
; %bb.314:
	v_cvt_f16_f32_e32 v3, v2
	global_store_b16 v[0:1], v3, off
.LBB473_315:
	s_mov_b32 s24, 0
.LBB473_316:
	s_delay_alu instid0(SALU_CYCLE_1)
	s_and_not1_b32 vcc_lo, exec_lo, s24
	s_cbranch_vccnz .LBB473_332
; %bb.317:
	v_cmp_gt_i16_e32 vcc_lo, 2, v6
	s_mov_b32 s24, -1
	s_cbranch_vccnz .LBB473_327
; %bb.318:
	v_cmp_gt_i16_e32 vcc_lo, 3, v6
	s_cbranch_vccnz .LBB473_324
; %bb.319:
	v_cmp_lt_i16_e32 vcc_lo, 3, v6
	s_cbranch_vccz .LBB473_321
; %bb.320:
	v_trunc_f32_e32 v3, v2
	s_mov_b32 s24, 0
	s_delay_alu instid0(VALU_DEP_1) | instskip(NEXT) | instid1(VALU_DEP_1)
	v_mul_f32_e64 v7, 0x2f800000, |v3|
	v_floor_f32_e32 v7, v7
	s_delay_alu instid0(VALU_DEP_1) | instskip(SKIP_2) | instid1(VALU_DEP_3)
	v_fma_f32 v8, 0xcf800000, v7, |v3|
	v_ashrrev_i32_e32 v3, 31, v3
	v_cvt_u32_f32_e32 v7, v7
	v_cvt_u32_f32_e32 v8, v8
	s_delay_alu instid0(VALU_DEP_2) | instskip(NEXT) | instid1(VALU_DEP_2)
	v_xor_b32_e32 v9, v7, v3
	v_xor_b32_e32 v8, v8, v3
	s_delay_alu instid0(VALU_DEP_1) | instskip(NEXT) | instid1(VALU_DEP_3)
	v_sub_co_u32 v7, vcc_lo, v8, v3
	v_sub_co_ci_u32_e32 v8, vcc_lo, v9, v3, vcc_lo
	global_store_b64 v[0:1], v[7:8], off
.LBB473_321:
	s_and_not1_b32 vcc_lo, exec_lo, s24
	s_cbranch_vccnz .LBB473_323
; %bb.322:
	v_cvt_i32_f32_e32 v3, v2
	global_store_b32 v[0:1], v3, off
.LBB473_323:
	s_mov_b32 s24, 0
.LBB473_324:
	s_delay_alu instid0(SALU_CYCLE_1)
	s_and_not1_b32 vcc_lo, exec_lo, s24
	s_cbranch_vccnz .LBB473_326
; %bb.325:
	v_cvt_i32_f32_e32 v3, v2
	global_store_b16 v[0:1], v3, off
.LBB473_326:
	s_mov_b32 s24, 0
.LBB473_327:
	s_delay_alu instid0(SALU_CYCLE_1)
	s_and_not1_b32 vcc_lo, exec_lo, s24
	s_cbranch_vccnz .LBB473_332
; %bb.328:
	v_cmp_lt_i16_e32 vcc_lo, 0, v6
	s_mov_b32 s24, -1
	s_cbranch_vccz .LBB473_330
; %bb.329:
	v_cvt_i32_f32_e32 v3, v2
	s_mov_b32 s24, 0
	global_store_b8 v[0:1], v3, off
.LBB473_330:
	s_and_not1_b32 vcc_lo, exec_lo, s24
	s_cbranch_vccnz .LBB473_332
; %bb.331:
	v_trunc_f32_e32 v2, v2
	s_delay_alu instid0(VALU_DEP_1) | instskip(NEXT) | instid1(VALU_DEP_1)
	v_mul_f32_e64 v3, 0x2f800000, |v2|
	v_floor_f32_e32 v3, v3
	s_delay_alu instid0(VALU_DEP_1) | instskip(SKIP_1) | instid1(VALU_DEP_2)
	v_fma_f32 v3, 0xcf800000, v3, |v2|
	v_ashrrev_i32_e32 v2, 31, v2
	v_cvt_u32_f32_e32 v3, v3
	s_delay_alu instid0(VALU_DEP_1) | instskip(NEXT) | instid1(VALU_DEP_1)
	v_xor_b32_e32 v3, v3, v2
	v_sub_nc_u32_e32 v2, v3, v2
	global_store_b8 v[0:1], v2, off
.LBB473_332:
	s_branch .LBB473_419
.LBB473_333:
	s_mov_b32 s24, 0
	s_branch .LBB473_531
.LBB473_334:
	s_mov_b32 s24, -1
	s_mov_b32 s3, s37
                                        ; implicit-def: $vgpr3
	s_branch .LBB473_446
.LBB473_335:
	s_mov_b32 s24, -1
	s_mov_b32 s3, s37
                                        ; implicit-def: $vgpr3
	s_branch .LBB473_427
.LBB473_336:
	s_mov_b32 s2, s36
	s_branch .LBB473_376
.LBB473_337:
	s_mov_b32 s24, -1
	s_mov_b32 s3, s37
                                        ; implicit-def: $vgpr3
	s_branch .LBB473_422
.LBB473_338:
	s_mov_b32 s2, s36
	s_branch .LBB473_359
.LBB473_339:
	s_mov_b32 s24, -1
	s_mov_b32 s3, s37
	s_branch .LBB473_344
.LBB473_340:
	s_mov_b32 s2, s36
	s_branch .LBB473_355
.LBB473_341:
	s_or_saveexec_b32 s36, s36
                                        ; implicit-def: $sgpr37
	s_delay_alu instid0(SALU_CYCLE_1)
	s_xor_b32 exec_lo, exec_lo, s36
	s_cbranch_execz .LBB473_65
.LBB473_342:
	v_add_f32_e64 v3, 0x42800000, |v2|
	s_and_not1_b32 s25, s25, exec_lo
	s_mov_b32 s37, 0
	s_delay_alu instid0(VALU_DEP_1) | instskip(NEXT) | instid1(VALU_DEP_1)
	v_and_b32_e32 v3, 0xff, v3
	v_cmp_ne_u32_e32 vcc_lo, 0, v3
	s_and_b32 s40, vcc_lo, exec_lo
	s_delay_alu instid0(SALU_CYCLE_1)
	s_or_b32 s25, s25, s40
	s_or_b32 exec_lo, exec_lo, s36
	v_mov_b32_e32 v7, s37
	s_and_saveexec_b32 s36, s25
	s_cbranch_execnz .LBB473_66
	s_branch .LBB473_67
.LBB473_343:
	s_mov_b32 s3, -1
.LBB473_344:
                                        ; implicit-def: $vgpr3
.LBB473_345:
	s_and_b32 vcc_lo, exec_lo, s24
	s_cbranch_vccz .LBB473_421
; %bb.346:
	v_cmp_eq_u16_e32 vcc_lo, 44, v4
	s_cbranch_vccz .LBB473_420
; %bb.347:
	global_load_u8 v3, v[1:2], off
	s_mov_b32 s3, 0
	s_mov_b32 s2, -1
	s_waitcnt vmcnt(0)
	v_lshlrev_b32_e32 v6, 23, v3
	v_cmp_ne_u32_e32 vcc_lo, 0xff, v3
	s_delay_alu instid0(VALU_DEP_2) | instskip(SKIP_1) | instid1(VALU_DEP_2)
	v_cndmask_b32_e32 v6, 0x7f800001, v6, vcc_lo
	v_cmp_ne_u32_e32 vcc_lo, 0, v3
	v_cndmask_b32_e32 v3, 0x400000, v6, vcc_lo
	s_branch .LBB473_421
.LBB473_348:
	s_mov_b32 s2, s36
.LBB473_349:
	s_and_b32 vcc_lo, exec_lo, s25
	s_cbranch_vccz .LBB473_354
; %bb.350:
	v_cmp_eq_u16_e32 vcc_lo, 44, v6
	s_mov_b32 s2, -1
	s_cbranch_vccz .LBB473_354
; %bb.351:
	v_bfe_u32 v7, v2, 23, 8
	v_mov_b32_e32 v3, 0xff
	s_mov_b32 s24, exec_lo
	s_delay_alu instid0(VALU_DEP_2)
	v_cmpx_ne_u32_e32 0xff, v7
; %bb.352:
	v_and_b32_e32 v3, 0x400000, v2
	v_and_or_b32 v7, 0x3fffff, v2, v7
	s_delay_alu instid0(VALU_DEP_2) | instskip(NEXT) | instid1(VALU_DEP_2)
	v_cmp_ne_u32_e32 vcc_lo, 0, v3
	v_cmp_ne_u32_e64 s2, 0, v7
	v_lshrrev_b32_e32 v3, 23, v2
	s_delay_alu instid0(VALU_DEP_2) | instskip(NEXT) | instid1(SALU_CYCLE_1)
	s_and_b32 s2, vcc_lo, s2
	v_cndmask_b32_e64 v7, 0, 1, s2
	s_delay_alu instid0(VALU_DEP_1)
	v_add_nc_u32_e32 v3, v3, v7
; %bb.353:
	s_or_b32 exec_lo, exec_lo, s24
	s_mov_b32 s24, -1
	s_mov_b32 s2, 0
	global_store_b8 v[0:1], v3, off
.LBB473_354:
	s_mov_b32 s25, 0
.LBB473_355:
	s_delay_alu instid0(SALU_CYCLE_1)
	s_and_b32 vcc_lo, exec_lo, s25
	s_cbranch_vccz .LBB473_358
; %bb.356:
	v_cmp_eq_u16_e32 vcc_lo, 29, v6
	s_mov_b32 s2, -1
	s_cbranch_vccz .LBB473_358
; %bb.357:
	v_trunc_f32_e32 v3, v2
	s_mov_b32 s24, -1
	s_mov_b32 s2, 0
	s_mov_b32 s25, 0
	s_delay_alu instid0(VALU_DEP_1) | instskip(NEXT) | instid1(VALU_DEP_1)
	v_mul_f32_e32 v7, 0x2f800000, v3
	v_floor_f32_e32 v7, v7
	s_delay_alu instid0(VALU_DEP_1) | instskip(SKIP_1) | instid1(VALU_DEP_2)
	v_fmamk_f32 v3, v7, 0xcf800000, v3
	v_cvt_u32_f32_e32 v8, v7
	v_cvt_u32_f32_e32 v7, v3
	global_store_b64 v[0:1], v[7:8], off
	s_branch .LBB473_359
.LBB473_358:
	s_mov_b32 s25, 0
.LBB473_359:
	s_delay_alu instid0(SALU_CYCLE_1)
	s_and_b32 vcc_lo, exec_lo, s25
	s_cbranch_vccz .LBB473_375
; %bb.360:
	v_cmp_gt_i16_e32 vcc_lo, 27, v6
	s_mov_b32 s24, -1
	s_cbranch_vccnz .LBB473_366
; %bb.361:
	v_cmp_lt_i16_e32 vcc_lo, 27, v6
	s_cbranch_vccz .LBB473_363
; %bb.362:
	v_cvt_u32_f32_e32 v3, v2
	s_mov_b32 s24, 0
	global_store_b32 v[0:1], v3, off
.LBB473_363:
	s_and_not1_b32 vcc_lo, exec_lo, s24
	s_cbranch_vccnz .LBB473_365
; %bb.364:
	v_cvt_u32_f32_e32 v3, v2
	global_store_b16 v[0:1], v3, off
.LBB473_365:
	s_mov_b32 s24, 0
.LBB473_366:
	s_delay_alu instid0(SALU_CYCLE_1)
	s_and_not1_b32 vcc_lo, exec_lo, s24
	s_cbranch_vccnz .LBB473_374
; %bb.367:
	v_and_b32_e32 v3, 0x7fffffff, v2
	v_mov_b32_e32 v7, 0x80
	s_mov_b32 s24, exec_lo
	s_delay_alu instid0(VALU_DEP_2)
	v_cmpx_gt_u32_e32 0x43800000, v3
	s_cbranch_execz .LBB473_373
; %bb.368:
	v_cmp_lt_u32_e32 vcc_lo, 0x3bffffff, v3
	s_mov_b32 s25, 0
                                        ; implicit-def: $vgpr3
	s_and_saveexec_b32 s39, vcc_lo
	s_delay_alu instid0(SALU_CYCLE_1)
	s_xor_b32 s39, exec_lo, s39
	s_cbranch_execz .LBB473_559
; %bb.369:
	v_bfe_u32 v3, v2, 20, 1
	s_mov_b32 s25, exec_lo
	s_delay_alu instid0(VALU_DEP_1) | instskip(NEXT) | instid1(VALU_DEP_1)
	v_add3_u32 v3, v2, v3, 0x487ffff
	v_lshrrev_b32_e32 v3, 20, v3
	s_or_saveexec_b32 s39, s39
                                        ; implicit-def: $sgpr40
	s_delay_alu instid0(SALU_CYCLE_1)
	s_xor_b32 exec_lo, exec_lo, s39
	s_cbranch_execnz .LBB473_560
.LBB473_370:
	s_or_b32 exec_lo, exec_lo, s39
	v_mov_b32_e32 v7, s40
	s_and_saveexec_b32 s39, s25
.LBB473_371:
	v_lshrrev_b32_e32 v7, 24, v2
	s_delay_alu instid0(VALU_DEP_1)
	v_and_or_b32 v7, 0x80, v7, v3
.LBB473_372:
	s_or_b32 exec_lo, exec_lo, s39
.LBB473_373:
	s_delay_alu instid0(SALU_CYCLE_1)
	s_or_b32 exec_lo, exec_lo, s24
	global_store_b8 v[0:1], v7, off
.LBB473_374:
	s_mov_b32 s24, -1
.LBB473_375:
	s_mov_b32 s25, 0
.LBB473_376:
	s_delay_alu instid0(SALU_CYCLE_1)
	s_and_b32 vcc_lo, exec_lo, s25
	s_cbranch_vccz .LBB473_417
; %bb.377:
	v_cmp_lt_i16_e32 vcc_lo, 22, v6
	s_mov_b32 s25, -1
	s_cbranch_vccz .LBB473_409
; %bb.378:
	v_cmp_gt_i16_e32 vcc_lo, 24, v6
	s_mov_b32 s24, -1
	s_cbranch_vccnz .LBB473_398
; %bb.379:
	v_cmp_lt_i16_e32 vcc_lo, 24, v6
	s_cbranch_vccz .LBB473_387
; %bb.380:
	v_and_b32_e32 v3, 0x7fffffff, v2
	v_mov_b32_e32 v7, 0x80
	s_mov_b32 s24, exec_lo
	s_delay_alu instid0(VALU_DEP_2)
	v_cmpx_gt_u32_e32 0x47800000, v3
	s_cbranch_execz .LBB473_386
; %bb.381:
	v_cmp_lt_u32_e32 vcc_lo, 0x37ffffff, v3
	s_mov_b32 s25, 0
                                        ; implicit-def: $vgpr3
	s_and_saveexec_b32 s39, vcc_lo
	s_delay_alu instid0(SALU_CYCLE_1)
	s_xor_b32 s39, exec_lo, s39
	s_cbranch_execz .LBB473_562
; %bb.382:
	v_bfe_u32 v3, v2, 21, 1
	s_mov_b32 s25, exec_lo
	s_delay_alu instid0(VALU_DEP_1) | instskip(NEXT) | instid1(VALU_DEP_1)
	v_add3_u32 v3, v2, v3, 0x88fffff
	v_lshrrev_b32_e32 v3, 21, v3
	s_or_saveexec_b32 s39, s39
                                        ; implicit-def: $sgpr40
	s_delay_alu instid0(SALU_CYCLE_1)
	s_xor_b32 exec_lo, exec_lo, s39
	s_cbranch_execnz .LBB473_563
.LBB473_383:
	s_or_b32 exec_lo, exec_lo, s39
	v_mov_b32_e32 v7, s40
	s_and_saveexec_b32 s39, s25
.LBB473_384:
	v_lshrrev_b32_e32 v7, 24, v2
	s_delay_alu instid0(VALU_DEP_1)
	v_and_or_b32 v7, 0x80, v7, v3
.LBB473_385:
	s_or_b32 exec_lo, exec_lo, s39
.LBB473_386:
	s_delay_alu instid0(SALU_CYCLE_1)
	s_or_b32 exec_lo, exec_lo, s24
	s_mov_b32 s24, 0
	global_store_b8 v[0:1], v7, off
.LBB473_387:
	s_and_b32 vcc_lo, exec_lo, s24
	s_cbranch_vccz .LBB473_397
; %bb.388:
	v_and_b32_e32 v7, 0x7fffffff, v2
	s_mov_b32 s24, exec_lo
                                        ; implicit-def: $vgpr3
	s_delay_alu instid0(VALU_DEP_1)
	v_cmpx_gt_u32_e32 0x43f00000, v7
	s_xor_b32 s24, exec_lo, s24
	s_cbranch_execz .LBB473_394
; %bb.389:
	s_mov_b32 s25, exec_lo
                                        ; implicit-def: $vgpr3
	v_cmpx_lt_u32_e32 0x3c7fffff, v7
	s_xor_b32 s25, exec_lo, s25
; %bb.390:
	v_bfe_u32 v3, v2, 20, 1
	s_delay_alu instid0(VALU_DEP_1) | instskip(NEXT) | instid1(VALU_DEP_1)
	v_add3_u32 v3, v2, v3, 0x407ffff
	v_and_b32_e32 v7, 0xff00000, v3
	v_lshrrev_b32_e32 v3, 20, v3
	s_delay_alu instid0(VALU_DEP_2) | instskip(NEXT) | instid1(VALU_DEP_2)
	v_cmp_ne_u32_e32 vcc_lo, 0x7f00000, v7
	v_cndmask_b32_e32 v3, 0x7e, v3, vcc_lo
; %bb.391:
	s_and_not1_saveexec_b32 s25, s25
; %bb.392:
	v_add_f32_e64 v3, 0x46800000, |v2|
; %bb.393:
	s_or_b32 exec_lo, exec_lo, s25
                                        ; implicit-def: $vgpr7
.LBB473_394:
	s_and_not1_saveexec_b32 s24, s24
; %bb.395:
	v_mov_b32_e32 v3, 0x7f
	v_cmp_lt_u32_e32 vcc_lo, 0x7f800000, v7
	s_delay_alu instid0(VALU_DEP_2)
	v_cndmask_b32_e32 v3, 0x7e, v3, vcc_lo
; %bb.396:
	s_or_b32 exec_lo, exec_lo, s24
	v_lshrrev_b32_e32 v7, 24, v2
	s_delay_alu instid0(VALU_DEP_1)
	v_and_or_b32 v3, 0x80, v7, v3
	global_store_b8 v[0:1], v3, off
.LBB473_397:
	s_mov_b32 s24, 0
.LBB473_398:
	s_delay_alu instid0(SALU_CYCLE_1)
	s_and_not1_b32 vcc_lo, exec_lo, s24
	s_cbranch_vccnz .LBB473_408
; %bb.399:
	v_and_b32_e32 v7, 0x7fffffff, v2
	s_mov_b32 s24, exec_lo
                                        ; implicit-def: $vgpr3
	s_delay_alu instid0(VALU_DEP_1)
	v_cmpx_gt_u32_e32 0x47800000, v7
	s_xor_b32 s24, exec_lo, s24
	s_cbranch_execz .LBB473_405
; %bb.400:
	s_mov_b32 s25, exec_lo
                                        ; implicit-def: $vgpr3
	v_cmpx_lt_u32_e32 0x387fffff, v7
	s_xor_b32 s25, exec_lo, s25
; %bb.401:
	v_bfe_u32 v3, v2, 21, 1
	s_delay_alu instid0(VALU_DEP_1) | instskip(NEXT) | instid1(VALU_DEP_1)
	v_add3_u32 v3, v2, v3, 0x80fffff
	v_lshrrev_b32_e32 v3, 21, v3
; %bb.402:
	s_and_not1_saveexec_b32 s25, s25
; %bb.403:
	v_add_f32_e64 v3, 0x43000000, |v2|
; %bb.404:
	s_or_b32 exec_lo, exec_lo, s25
                                        ; implicit-def: $vgpr7
.LBB473_405:
	s_and_not1_saveexec_b32 s24, s24
; %bb.406:
	v_mov_b32_e32 v3, 0x7f
	v_cmp_lt_u32_e32 vcc_lo, 0x7f800000, v7
	s_delay_alu instid0(VALU_DEP_2)
	v_cndmask_b32_e32 v3, 0x7c, v3, vcc_lo
; %bb.407:
	s_or_b32 exec_lo, exec_lo, s24
	v_lshrrev_b32_e32 v7, 24, v2
	s_delay_alu instid0(VALU_DEP_1)
	v_and_or_b32 v3, 0x80, v7, v3
	global_store_b8 v[0:1], v3, off
.LBB473_408:
	s_mov_b32 s25, 0
	s_mov_b32 s24, -1
.LBB473_409:
	s_and_not1_b32 vcc_lo, exec_lo, s25
	s_cbranch_vccnz .LBB473_417
; %bb.410:
	v_cmp_lt_i16_e32 vcc_lo, 14, v6
	s_mov_b32 s25, -1
	s_cbranch_vccz .LBB473_414
; %bb.411:
	v_cmp_eq_u16_e32 vcc_lo, 15, v6
	s_mov_b32 s2, -1
	s_cbranch_vccz .LBB473_413
; %bb.412:
	v_bfe_u32 v3, v2, 16, 1
	v_cmp_o_f32_e32 vcc_lo, v2, v2
	s_mov_b32 s24, -1
	s_mov_b32 s2, 0
	s_delay_alu instid0(VALU_DEP_2) | instskip(NEXT) | instid1(VALU_DEP_1)
	v_add3_u32 v3, v2, v3, 0x7fff
	v_lshrrev_b32_e32 v3, 16, v3
	s_delay_alu instid0(VALU_DEP_1)
	v_cndmask_b32_e32 v3, 0x7fc0, v3, vcc_lo
	global_store_b16 v[0:1], v3, off
.LBB473_413:
	s_mov_b32 s25, 0
.LBB473_414:
	s_delay_alu instid0(SALU_CYCLE_1)
	s_and_b32 vcc_lo, exec_lo, s25
	s_cbranch_vccz .LBB473_417
; %bb.415:
	v_cmp_eq_u16_e32 vcc_lo, 11, v6
	s_mov_b32 s2, -1
	s_cbranch_vccz .LBB473_417
; %bb.416:
	v_cmp_neq_f32_e32 vcc_lo, 0, v2
	s_mov_b32 s2, 0
	s_mov_b32 s24, -1
	v_cndmask_b32_e64 v3, 0, 1, vcc_lo
	global_store_b8 v[0:1], v3, off
.LBB473_417:
.LBB473_418:
	s_and_not1_b32 vcc_lo, exec_lo, s24
	s_cbranch_vccnz .LBB473_333
.LBB473_419:
	v_add_nc_u32_e32 v5, 0x80, v5
	s_mov_b32 s24, -1
	s_branch .LBB473_532
.LBB473_420:
	s_mov_b32 s3, -1
                                        ; implicit-def: $vgpr3
.LBB473_421:
	s_mov_b32 s24, 0
.LBB473_422:
	s_delay_alu instid0(SALU_CYCLE_1)
	s_and_b32 vcc_lo, exec_lo, s24
	s_cbranch_vccz .LBB473_426
; %bb.423:
	v_cmp_eq_u16_e32 vcc_lo, 29, v4
	s_cbranch_vccz .LBB473_425
; %bb.424:
	global_load_b64 v[6:7], v[1:2], off
	s_mov_b32 s2, -1
	s_mov_b32 s3, 0
	s_mov_b32 s24, 0
	s_waitcnt vmcnt(0)
	v_clz_i32_u32_e32 v3, v7
	s_delay_alu instid0(VALU_DEP_1) | instskip(NEXT) | instid1(VALU_DEP_1)
	v_min_u32_e32 v3, 32, v3
	v_lshlrev_b64 v[6:7], v3, v[6:7]
	v_sub_nc_u32_e32 v3, 32, v3
	s_delay_alu instid0(VALU_DEP_2) | instskip(NEXT) | instid1(VALU_DEP_1)
	v_min_u32_e32 v6, 1, v6
	v_or_b32_e32 v6, v7, v6
	s_delay_alu instid0(VALU_DEP_1) | instskip(NEXT) | instid1(VALU_DEP_1)
	v_cvt_f32_u32_e32 v6, v6
	v_ldexp_f32 v3, v6, v3
	s_branch .LBB473_427
.LBB473_425:
	s_mov_b32 s3, -1
                                        ; implicit-def: $vgpr3
.LBB473_426:
	s_mov_b32 s24, 0
.LBB473_427:
	s_delay_alu instid0(SALU_CYCLE_1)
	s_and_b32 vcc_lo, exec_lo, s24
	s_cbranch_vccz .LBB473_445
; %bb.428:
	v_cmp_gt_i16_e32 vcc_lo, 27, v4
	s_cbranch_vccnz .LBB473_431
; %bb.429:
	v_cmp_lt_i16_e32 vcc_lo, 27, v4
	s_cbranch_vccz .LBB473_432
; %bb.430:
	global_load_b32 v3, v[1:2], off
	s_mov_b32 s2, 0
	s_waitcnt vmcnt(0)
	v_cvt_f32_u32_e32 v3, v3
	s_branch .LBB473_433
.LBB473_431:
	s_mov_b32 s2, -1
                                        ; implicit-def: $vgpr3
	s_branch .LBB473_436
.LBB473_432:
	s_mov_b32 s2, -1
                                        ; implicit-def: $vgpr3
.LBB473_433:
	s_delay_alu instid0(SALU_CYCLE_1)
	s_and_not1_b32 vcc_lo, exec_lo, s2
	s_cbranch_vccnz .LBB473_435
; %bb.434:
	global_load_u16 v3, v[1:2], off
	s_waitcnt vmcnt(0)
	v_cvt_f32_u32_e32 v3, v3
.LBB473_435:
	s_mov_b32 s2, 0
.LBB473_436:
	s_delay_alu instid0(SALU_CYCLE_1)
	s_and_not1_b32 vcc_lo, exec_lo, s2
	s_cbranch_vccnz .LBB473_444
; %bb.437:
	global_load_u8 v6, v[1:2], off
	s_mov_b32 s2, 0
	s_mov_b32 s25, exec_lo
                                        ; implicit-def: $sgpr24
	s_waitcnt vmcnt(0)
	v_cmpx_lt_i16_e32 0x7f, v6
	s_xor_b32 s25, exec_lo, s25
	s_cbranch_execz .LBB473_458
; %bb.438:
	s_mov_b32 s2, -1
	s_mov_b32 s39, exec_lo
                                        ; implicit-def: $sgpr24
	v_cmpx_eq_u16_e32 0x80, v6
; %bb.439:
	s_mov_b32 s24, 0x7f800001
	s_xor_b32 s2, exec_lo, -1
; %bb.440:
	s_or_b32 exec_lo, exec_lo, s39
	s_delay_alu instid0(SALU_CYCLE_1)
	s_and_b32 s2, s2, exec_lo
	s_or_saveexec_b32 s25, s25
	v_mov_b32_e32 v3, s24
	s_xor_b32 exec_lo, exec_lo, s25
	s_cbranch_execnz .LBB473_459
.LBB473_441:
	s_or_b32 exec_lo, exec_lo, s25
	s_and_saveexec_b32 s24, s2
	s_cbranch_execz .LBB473_443
.LBB473_442:
	v_and_b32_e32 v3, 0xffff, v6
	s_delay_alu instid0(VALU_DEP_1) | instskip(NEXT) | instid1(VALU_DEP_1)
	v_and_b32_e32 v7, 7, v3
	v_clz_i32_u32_e32 v8, v7
	s_delay_alu instid0(VALU_DEP_1) | instskip(NEXT) | instid1(VALU_DEP_1)
	v_min_u32_e32 v8, 32, v8
	v_subrev_nc_u32_e32 v9, 28, v8
	v_sub_nc_u32_e32 v8, 29, v8
	s_delay_alu instid0(VALU_DEP_2) | instskip(SKIP_1) | instid1(VALU_DEP_2)
	v_lshlrev_b32_e32 v9, v9, v3
	v_bfe_u32 v3, v3, 3, 4
	v_and_b32_e32 v9, 7, v9
	s_delay_alu instid0(VALU_DEP_2) | instskip(SKIP_1) | instid1(VALU_DEP_1)
	v_cmp_eq_u32_e32 vcc_lo, 0, v3
	v_dual_cndmask_b32 v3, v3, v8 :: v_dual_lshlrev_b32 v6, 24, v6
	v_dual_cndmask_b32 v7, v7, v9 :: v_dual_and_b32 v6, 0x80000000, v6
	s_delay_alu instid0(VALU_DEP_2) | instskip(NEXT) | instid1(VALU_DEP_2)
	v_lshl_add_u32 v3, v3, 23, 0x3b800000
	v_lshlrev_b32_e32 v7, 20, v7
	s_delay_alu instid0(VALU_DEP_1)
	v_or3_b32 v3, v6, v3, v7
.LBB473_443:
	s_or_b32 exec_lo, exec_lo, s24
.LBB473_444:
	s_mov_b32 s2, -1
.LBB473_445:
	s_mov_b32 s24, 0
.LBB473_446:
	s_delay_alu instid0(SALU_CYCLE_1)
	s_and_b32 vcc_lo, exec_lo, s24
	s_cbranch_vccz .LBB473_481
; %bb.447:
	v_cmp_lt_i16_e32 vcc_lo, 22, v4
	s_cbranch_vccz .LBB473_457
; %bb.448:
	v_cmp_gt_i16_e32 vcc_lo, 24, v4
	s_cbranch_vccnz .LBB473_460
; %bb.449:
	v_cmp_lt_i16_e32 vcc_lo, 24, v4
	s_cbranch_vccz .LBB473_461
; %bb.450:
	global_load_u8 v6, v[1:2], off
	s_mov_b32 s2, 0
	s_mov_b32 s25, exec_lo
                                        ; implicit-def: $sgpr24
	s_waitcnt vmcnt(0)
	v_cmpx_lt_i16_e32 0x7f, v6
	s_xor_b32 s25, exec_lo, s25
	s_cbranch_execz .LBB473_473
; %bb.451:
	s_mov_b32 s2, -1
	s_mov_b32 s39, exec_lo
                                        ; implicit-def: $sgpr24
	v_cmpx_eq_u16_e32 0x80, v6
; %bb.452:
	s_mov_b32 s24, 0x7f800001
	s_xor_b32 s2, exec_lo, -1
; %bb.453:
	s_or_b32 exec_lo, exec_lo, s39
	s_delay_alu instid0(SALU_CYCLE_1)
	s_and_b32 s2, s2, exec_lo
	s_or_saveexec_b32 s25, s25
	v_mov_b32_e32 v3, s24
	s_xor_b32 exec_lo, exec_lo, s25
	s_cbranch_execnz .LBB473_474
.LBB473_454:
	s_or_b32 exec_lo, exec_lo, s25
	s_and_saveexec_b32 s24, s2
	s_cbranch_execz .LBB473_456
.LBB473_455:
	v_and_b32_e32 v3, 0xffff, v6
	s_delay_alu instid0(VALU_DEP_1) | instskip(NEXT) | instid1(VALU_DEP_1)
	v_and_b32_e32 v7, 3, v3
	v_clz_i32_u32_e32 v8, v7
	s_delay_alu instid0(VALU_DEP_1) | instskip(NEXT) | instid1(VALU_DEP_1)
	v_min_u32_e32 v8, 32, v8
	v_subrev_nc_u32_e32 v9, 29, v8
	v_sub_nc_u32_e32 v8, 30, v8
	s_delay_alu instid0(VALU_DEP_2) | instskip(SKIP_1) | instid1(VALU_DEP_2)
	v_lshlrev_b32_e32 v9, v9, v3
	v_bfe_u32 v3, v3, 2, 5
	v_and_b32_e32 v9, 3, v9
	s_delay_alu instid0(VALU_DEP_2) | instskip(SKIP_1) | instid1(VALU_DEP_1)
	v_cmp_eq_u32_e32 vcc_lo, 0, v3
	v_dual_cndmask_b32 v3, v3, v8 :: v_dual_lshlrev_b32 v6, 24, v6
	v_dual_cndmask_b32 v7, v7, v9 :: v_dual_and_b32 v6, 0x80000000, v6
	s_delay_alu instid0(VALU_DEP_2) | instskip(NEXT) | instid1(VALU_DEP_2)
	v_lshl_add_u32 v3, v3, 23, 0x37800000
	v_lshlrev_b32_e32 v7, 21, v7
	s_delay_alu instid0(VALU_DEP_1)
	v_or3_b32 v3, v6, v3, v7
.LBB473_456:
	s_or_b32 exec_lo, exec_lo, s24
	s_mov_b32 s2, 0
	s_branch .LBB473_462
.LBB473_457:
	s_mov_b32 s24, -1
                                        ; implicit-def: $vgpr3
	s_branch .LBB473_468
.LBB473_458:
	s_or_saveexec_b32 s25, s25
	v_mov_b32_e32 v3, s24
	s_xor_b32 exec_lo, exec_lo, s25
	s_cbranch_execz .LBB473_441
.LBB473_459:
	v_cmp_ne_u16_e32 vcc_lo, 0, v6
	v_mov_b32_e32 v3, 0
	s_and_not1_b32 s2, s2, exec_lo
	s_and_b32 s24, vcc_lo, exec_lo
	s_delay_alu instid0(SALU_CYCLE_1)
	s_or_b32 s2, s2, s24
	s_or_b32 exec_lo, exec_lo, s25
	s_and_saveexec_b32 s24, s2
	s_cbranch_execnz .LBB473_442
	s_branch .LBB473_443
.LBB473_460:
	s_mov_b32 s2, -1
                                        ; implicit-def: $vgpr3
	s_branch .LBB473_465
.LBB473_461:
	s_mov_b32 s2, -1
                                        ; implicit-def: $vgpr3
.LBB473_462:
	s_delay_alu instid0(SALU_CYCLE_1)
	s_and_b32 vcc_lo, exec_lo, s2
	s_cbranch_vccz .LBB473_464
; %bb.463:
	global_load_u8 v3, v[1:2], off
	s_waitcnt vmcnt(0)
	v_lshlrev_b32_e32 v3, 24, v3
	s_delay_alu instid0(VALU_DEP_1) | instskip(NEXT) | instid1(VALU_DEP_1)
	v_and_b32_e32 v6, 0x7f000000, v3
	v_clz_i32_u32_e32 v7, v6
	v_cmp_ne_u32_e32 vcc_lo, 0, v6
	v_add_nc_u32_e32 v9, 0x1000000, v6
	s_delay_alu instid0(VALU_DEP_3) | instskip(NEXT) | instid1(VALU_DEP_1)
	v_min_u32_e32 v7, 32, v7
	v_sub_nc_u32_e64 v7, v7, 4 clamp
	s_delay_alu instid0(VALU_DEP_1) | instskip(SKIP_1) | instid1(VALU_DEP_2)
	v_lshlrev_b32_e32 v8, v7, v6
	v_lshlrev_b32_e32 v7, 23, v7
	v_lshrrev_b32_e32 v8, 4, v8
	s_delay_alu instid0(VALU_DEP_1) | instskip(SKIP_1) | instid1(VALU_DEP_2)
	v_sub_nc_u32_e32 v7, v8, v7
	v_ashrrev_i32_e32 v8, 8, v9
	v_add_nc_u32_e32 v7, 0x3c000000, v7
	s_delay_alu instid0(VALU_DEP_1) | instskip(NEXT) | instid1(VALU_DEP_1)
	v_and_or_b32 v7, 0x7f800000, v8, v7
	v_cndmask_b32_e32 v6, 0, v7, vcc_lo
	s_delay_alu instid0(VALU_DEP_1)
	v_and_or_b32 v3, 0x80000000, v3, v6
.LBB473_464:
	s_mov_b32 s2, 0
.LBB473_465:
	s_delay_alu instid0(SALU_CYCLE_1)
	s_and_not1_b32 vcc_lo, exec_lo, s2
	s_cbranch_vccnz .LBB473_467
; %bb.466:
	global_load_u8 v3, v[1:2], off
	s_waitcnt vmcnt(0)
	v_lshlrev_b32_e32 v6, 25, v3
	v_lshlrev_b16 v3, 8, v3
	s_delay_alu instid0(VALU_DEP_2) | instskip(NEXT) | instid1(VALU_DEP_2)
	v_lshrrev_b32_e32 v7, 4, v6
	v_and_or_b32 v8, 0x7f00, v3, 0.5
	v_cmp_gt_u32_e32 vcc_lo, 0x8000000, v6
	v_bfe_i32 v3, v3, 0, 16
	s_delay_alu instid0(VALU_DEP_4) | instskip(NEXT) | instid1(VALU_DEP_1)
	v_or_b32_e32 v7, 0x70000000, v7
	v_dual_add_f32 v8, -0.5, v8 :: v_dual_mul_f32 v7, 0x7800000, v7
	s_delay_alu instid0(VALU_DEP_1) | instskip(NEXT) | instid1(VALU_DEP_1)
	v_cndmask_b32_e32 v6, v7, v8, vcc_lo
	v_and_or_b32 v3, 0x80000000, v3, v6
.LBB473_467:
	s_mov_b32 s24, 0
	s_mov_b32 s2, -1
.LBB473_468:
	s_and_not1_b32 vcc_lo, exec_lo, s24
	s_cbranch_vccnz .LBB473_481
; %bb.469:
	v_cmp_lt_i16_e32 vcc_lo, 14, v4
	s_cbranch_vccz .LBB473_472
; %bb.470:
	v_cmp_eq_u16_e32 vcc_lo, 15, v4
	s_cbranch_vccz .LBB473_475
; %bb.471:
	global_load_u16 v3, v[1:2], off
	s_mov_b32 s2, -1
	s_mov_b32 s3, 0
	s_waitcnt vmcnt(0)
	v_lshlrev_b32_e32 v3, 16, v3
	s_branch .LBB473_476
.LBB473_472:
	s_mov_b32 s24, -1
                                        ; implicit-def: $vgpr3
	s_branch .LBB473_477
.LBB473_473:
	s_or_saveexec_b32 s25, s25
	v_mov_b32_e32 v3, s24
	s_xor_b32 exec_lo, exec_lo, s25
	s_cbranch_execz .LBB473_454
.LBB473_474:
	v_cmp_ne_u16_e32 vcc_lo, 0, v6
	v_mov_b32_e32 v3, 0
	s_and_not1_b32 s2, s2, exec_lo
	s_and_b32 s24, vcc_lo, exec_lo
	s_delay_alu instid0(SALU_CYCLE_1)
	s_or_b32 s2, s2, s24
	s_or_b32 exec_lo, exec_lo, s25
	s_and_saveexec_b32 s24, s2
	s_cbranch_execnz .LBB473_455
	s_branch .LBB473_456
.LBB473_475:
	s_mov_b32 s3, -1
                                        ; implicit-def: $vgpr3
.LBB473_476:
	s_mov_b32 s24, 0
.LBB473_477:
	s_delay_alu instid0(SALU_CYCLE_1)
	s_and_b32 vcc_lo, exec_lo, s24
	s_cbranch_vccz .LBB473_481
; %bb.478:
	v_cmp_eq_u16_e32 vcc_lo, 11, v4
	s_cbranch_vccz .LBB473_480
; %bb.479:
	global_load_u8 v3, v[1:2], off
	s_mov_b32 s3, 0
	s_mov_b32 s2, -1
	s_waitcnt vmcnt(0)
	v_cmp_ne_u16_e32 vcc_lo, 0, v3
	v_cndmask_b32_e64 v3, 0, 1.0, vcc_lo
	s_branch .LBB473_481
.LBB473_480:
	s_mov_b32 s3, -1
                                        ; implicit-def: $vgpr3
.LBB473_481:
	s_branch .LBB473_286
.LBB473_482:
	v_cmp_gt_i16_e32 vcc_lo, 5, v4
	s_cbranch_vccnz .LBB473_487
; %bb.483:
	v_cmp_gt_i16_e32 vcc_lo, 8, v4
	s_cbranch_vccnz .LBB473_488
; %bb.484:
	;; [unrolled: 3-line block ×3, first 2 shown]
	v_cmp_lt_i16_e32 vcc_lo, 9, v4
	s_cbranch_vccz .LBB473_490
; %bb.486:
	global_load_b64 v[6:7], v[1:2], off
	s_mov_b32 s2, 0
	s_waitcnt vmcnt(0)
	v_cvt_f32_f64_e32 v3, v[6:7]
	s_branch .LBB473_491
.LBB473_487:
	s_mov_b32 s2, -1
                                        ; implicit-def: $vgpr3
	s_branch .LBB473_509
.LBB473_488:
	s_mov_b32 s2, -1
                                        ; implicit-def: $vgpr3
	s_branch .LBB473_497
.LBB473_489:
	s_mov_b32 s2, -1
                                        ; implicit-def: $vgpr3
	s_branch .LBB473_494
.LBB473_490:
	s_mov_b32 s2, -1
                                        ; implicit-def: $vgpr3
.LBB473_491:
	s_delay_alu instid0(SALU_CYCLE_1)
	s_and_not1_b32 vcc_lo, exec_lo, s2
	s_cbranch_vccnz .LBB473_493
; %bb.492:
	global_load_b32 v3, v[1:2], off
.LBB473_493:
	s_mov_b32 s2, 0
.LBB473_494:
	s_delay_alu instid0(SALU_CYCLE_1)
	s_and_not1_b32 vcc_lo, exec_lo, s2
	s_cbranch_vccnz .LBB473_496
; %bb.495:
	global_load_b32 v3, v[1:2], off
	s_waitcnt vmcnt(0)
	v_cvt_f32_f16_e32 v3, v3
.LBB473_496:
	s_mov_b32 s2, 0
.LBB473_497:
	s_delay_alu instid0(SALU_CYCLE_1)
	s_and_not1_b32 vcc_lo, exec_lo, s2
	s_cbranch_vccnz .LBB473_508
; %bb.498:
	v_cmp_gt_i16_e32 vcc_lo, 6, v4
	s_cbranch_vccnz .LBB473_501
; %bb.499:
	v_cmp_lt_i16_e32 vcc_lo, 6, v4
	s_cbranch_vccz .LBB473_502
; %bb.500:
	global_load_b64 v[6:7], v[1:2], off
	s_mov_b32 s2, 0
	s_waitcnt vmcnt(0)
	v_cvt_f32_f64_e32 v3, v[6:7]
	s_branch .LBB473_503
.LBB473_501:
	s_mov_b32 s2, -1
                                        ; implicit-def: $vgpr3
	s_branch .LBB473_506
.LBB473_502:
	s_mov_b32 s2, -1
                                        ; implicit-def: $vgpr3
.LBB473_503:
	s_delay_alu instid0(SALU_CYCLE_1)
	s_and_not1_b32 vcc_lo, exec_lo, s2
	s_cbranch_vccnz .LBB473_505
; %bb.504:
	global_load_b32 v3, v[1:2], off
.LBB473_505:
	s_mov_b32 s2, 0
.LBB473_506:
	s_delay_alu instid0(SALU_CYCLE_1)
	s_and_not1_b32 vcc_lo, exec_lo, s2
	s_cbranch_vccnz .LBB473_508
; %bb.507:
	global_load_u16 v3, v[1:2], off
	s_waitcnt vmcnt(0)
	v_cvt_f32_f16_e32 v3, v3
.LBB473_508:
	s_mov_b32 s2, 0
.LBB473_509:
	s_delay_alu instid0(SALU_CYCLE_1)
	s_and_not1_b32 vcc_lo, exec_lo, s2
	s_cbranch_vccnz .LBB473_529
; %bb.510:
	v_cmp_gt_i16_e32 vcc_lo, 2, v4
	s_cbranch_vccnz .LBB473_514
; %bb.511:
	v_cmp_gt_i16_e32 vcc_lo, 3, v4
	s_cbranch_vccnz .LBB473_515
; %bb.512:
	v_cmp_lt_i16_e32 vcc_lo, 3, v4
	s_cbranch_vccz .LBB473_516
; %bb.513:
	global_load_b64 v[6:7], v[1:2], off
	s_mov_b32 s2, 0
	s_waitcnt vmcnt(0)
	v_xor_b32_e32 v3, v6, v7
	v_cls_i32_e32 v8, v7
	s_delay_alu instid0(VALU_DEP_2) | instskip(NEXT) | instid1(VALU_DEP_2)
	v_ashrrev_i32_e32 v3, 31, v3
	v_add_nc_u32_e32 v8, -1, v8
	s_delay_alu instid0(VALU_DEP_2) | instskip(NEXT) | instid1(VALU_DEP_1)
	v_add_nc_u32_e32 v3, 32, v3
	v_min_u32_e32 v3, v8, v3
	s_delay_alu instid0(VALU_DEP_1) | instskip(SKIP_1) | instid1(VALU_DEP_2)
	v_lshlrev_b64 v[6:7], v3, v[6:7]
	v_sub_nc_u32_e32 v3, 32, v3
	v_min_u32_e32 v6, 1, v6
	s_delay_alu instid0(VALU_DEP_1) | instskip(NEXT) | instid1(VALU_DEP_1)
	v_or_b32_e32 v6, v7, v6
	v_cvt_f32_i32_e32 v6, v6
	s_delay_alu instid0(VALU_DEP_1)
	v_ldexp_f32 v3, v6, v3
	s_branch .LBB473_517
.LBB473_514:
	s_mov_b32 s2, -1
                                        ; implicit-def: $vgpr3
	s_branch .LBB473_523
.LBB473_515:
	s_mov_b32 s2, -1
                                        ; implicit-def: $vgpr3
	s_branch .LBB473_520
.LBB473_516:
	s_mov_b32 s2, -1
                                        ; implicit-def: $vgpr3
.LBB473_517:
	s_delay_alu instid0(SALU_CYCLE_1)
	s_and_not1_b32 vcc_lo, exec_lo, s2
	s_cbranch_vccnz .LBB473_519
; %bb.518:
	global_load_b32 v3, v[1:2], off
	s_waitcnt vmcnt(0)
	v_cvt_f32_i32_e32 v3, v3
.LBB473_519:
	s_mov_b32 s2, 0
.LBB473_520:
	s_delay_alu instid0(SALU_CYCLE_1)
	s_and_not1_b32 vcc_lo, exec_lo, s2
	s_cbranch_vccnz .LBB473_522
; %bb.521:
	global_load_i16 v3, v[1:2], off
	s_waitcnt vmcnt(0)
	v_cvt_f32_i32_e32 v3, v3
.LBB473_522:
	s_mov_b32 s2, 0
.LBB473_523:
	s_delay_alu instid0(SALU_CYCLE_1)
	s_and_not1_b32 vcc_lo, exec_lo, s2
	s_cbranch_vccnz .LBB473_529
; %bb.524:
	v_cmp_lt_i16_e32 vcc_lo, 0, v4
	s_mov_b32 s2, 0
	s_cbranch_vccz .LBB473_526
; %bb.525:
	global_load_i8 v3, v[1:2], off
	s_waitcnt vmcnt(0)
	v_cvt_f32_i32_e32 v3, v3
	s_branch .LBB473_527
.LBB473_526:
	s_mov_b32 s2, -1
                                        ; implicit-def: $vgpr3
.LBB473_527:
	s_delay_alu instid0(SALU_CYCLE_1)
	s_and_not1_b32 vcc_lo, exec_lo, s2
	s_cbranch_vccnz .LBB473_529
; %bb.528:
	global_load_u8 v1, v[1:2], off
	s_waitcnt vmcnt(0)
	v_cvt_f32_ubyte0_e32 v3, v1
.LBB473_529:
	s_branch .LBB473_287
.LBB473_530:
	s_mov_b32 s24, 0
	s_mov_b32 s2, s36
.LBB473_531:
                                        ; implicit-def: $vgpr5
.LBB473_532:
	s_and_not1_b32 s25, s36, exec_lo
	s_and_b32 s2, s2, exec_lo
	s_and_not1_b32 s39, s37, exec_lo
	s_and_b32 s3, s3, exec_lo
	s_or_b32 s40, s25, s2
	s_or_b32 s39, s39, s3
	s_or_not1_b32 s2, s24, exec_lo
.LBB473_533:
	s_or_b32 exec_lo, exec_lo, s41
	s_mov_b32 s3, 0
	s_mov_b32 s25, 0
	;; [unrolled: 1-line block ×3, first 2 shown]
                                        ; implicit-def: $vgpr1_vgpr2
                                        ; implicit-def: $vgpr0
                                        ; implicit-def: $vgpr6
	s_and_saveexec_b32 s41, s2
	s_cbranch_execz .LBB473_905
; %bb.534:
	s_mov_b32 s44, -1
	s_mov_b32 s24, s39
	s_mov_b32 s25, s40
	s_mov_b32 s42, exec_lo
	v_cmpx_gt_i32_e64 s33, v5
	s_cbranch_execz .LBB473_806
; %bb.535:
	s_and_not1_b32 vcc_lo, exec_lo, s29
	s_cbranch_vccnz .LBB473_540
; %bb.536:
	v_dual_mov_b32 v0, 0 :: v_dual_mov_b32 v1, 0
	s_and_not1_b32 vcc_lo, exec_lo, s35
	s_mov_b32 s43, 0
	s_cbranch_vccnz .LBB473_545
; %bb.537:
	v_mov_b32_e32 v0, 0
	s_add_i32 s45, s34, 1
	s_cmp_eq_u32 s27, 2
	s_mov_b32 s44, 0
	s_cbranch_scc1 .LBB473_541
; %bb.538:
	v_dual_mov_b32 v1, 0 :: v_dual_mov_b32 v0, 0
	v_mov_b32_e32 v2, v5
	s_and_b32 s44, s45, 28
	s_mov_b32 s46, 0
	s_mov_b64 s[2:3], s[22:23]
	s_mov_b64 s[24:25], s[16:17]
.LBB473_539:                            ; =>This Inner Loop Header: Depth=1
	s_clause 0x1
	s_load_b256 s[48:55], s[24:25], 0x4
	s_load_b128 s[64:67], s[24:25], 0x24
	s_load_b256 s[56:63], s[2:3], 0x0
	s_add_u32 s24, s24, 48
	s_addc_u32 s25, s25, 0
	s_add_i32 s46, s46, 4
	s_add_u32 s2, s2, 32
	s_addc_u32 s3, s3, 0
	s_cmp_eq_u32 s44, s46
	s_waitcnt vmcnt(0) lgkmcnt(0)
	v_mul_hi_u32 v3, s49, v2
	s_delay_alu instid0(VALU_DEP_1) | instskip(NEXT) | instid1(VALU_DEP_1)
	v_add_nc_u32_e32 v3, v2, v3
	v_lshrrev_b32_e32 v3, s50, v3
	s_delay_alu instid0(VALU_DEP_1) | instskip(SKIP_1) | instid1(VALU_DEP_2)
	v_mul_hi_u32 v6, s52, v3
	v_mul_lo_u32 v8, v3, s48
	v_add_nc_u32_e32 v6, v3, v6
	s_delay_alu instid0(VALU_DEP_2) | instskip(NEXT) | instid1(VALU_DEP_2)
	v_sub_nc_u32_e32 v2, v2, v8
	v_lshrrev_b32_e32 v6, s53, v6
	s_delay_alu instid0(VALU_DEP_2) | instskip(SKIP_1) | instid1(VALU_DEP_3)
	v_mul_lo_u32 v8, v2, s56
	v_mul_lo_u32 v10, v2, s57
	v_mul_hi_u32 v7, s55, v6
	s_delay_alu instid0(VALU_DEP_1) | instskip(NEXT) | instid1(VALU_DEP_1)
	v_add_nc_u32_e32 v7, v6, v7
	v_lshrrev_b32_e32 v7, s64, v7
	s_delay_alu instid0(VALU_DEP_1) | instskip(SKIP_1) | instid1(VALU_DEP_2)
	v_mul_hi_u32 v9, s66, v7
	v_mul_lo_u32 v11, v7, s54
	v_add_nc_u32_e32 v2, v7, v9
	v_mul_lo_u32 v9, v6, s51
	s_delay_alu instid0(VALU_DEP_3) | instskip(NEXT) | instid1(VALU_DEP_3)
	v_sub_nc_u32_e32 v6, v6, v11
	v_lshrrev_b32_e32 v2, s67, v2
	s_delay_alu instid0(VALU_DEP_2) | instskip(SKIP_2) | instid1(VALU_DEP_4)
	v_mul_lo_u32 v11, v6, s60
	v_mul_lo_u32 v6, v6, s61
	v_sub_nc_u32_e32 v3, v3, v9
	v_mul_lo_u32 v12, v2, s65
	s_delay_alu instid0(VALU_DEP_2) | instskip(SKIP_1) | instid1(VALU_DEP_3)
	v_mul_lo_u32 v9, v3, s58
	v_mul_lo_u32 v3, v3, s59
	v_sub_nc_u32_e32 v7, v7, v12
	s_delay_alu instid0(VALU_DEP_3) | instskip(NEXT) | instid1(VALU_DEP_2)
	v_add3_u32 v0, v8, v0, v9
	v_mul_lo_u32 v12, v7, s62
	v_mul_lo_u32 v7, v7, s63
	v_add3_u32 v1, v10, v1, v3
	s_delay_alu instid0(VALU_DEP_3) | instskip(NEXT) | instid1(VALU_DEP_2)
	v_add3_u32 v0, v11, v0, v12
	v_add3_u32 v1, v6, v1, v7
	s_cbranch_scc0 .LBB473_539
	s_branch .LBB473_542
.LBB473_540:
	s_mov_b32 s43, -1
                                        ; implicit-def: $vgpr0
                                        ; implicit-def: $vgpr1
	s_branch .LBB473_545
.LBB473_541:
	v_dual_mov_b32 v2, v5 :: v_dual_mov_b32 v1, 0
.LBB473_542:
	s_and_b32 s45, s45, 3
	s_delay_alu instid0(SALU_CYCLE_1)
	s_cmp_eq_u32 s45, 0
	s_cbranch_scc1 .LBB473_545
; %bb.543:
	s_lshl_b32 s2, s44, 3
	s_mul_i32 s24, s44, 12
	s_add_u32 s2, s2, s16
	s_addc_u32 s3, s17, 0
	s_add_u32 s2, s2, 0xc4
	s_addc_u32 s3, s3, 0
	;; [unrolled: 2-line block ×3, first 2 shown]
	.p2align	6
.LBB473_544:                            ; =>This Inner Loop Header: Depth=1
	s_clause 0x1
	s_load_b64 s[46:47], s[24:25], 0x4
	s_load_b32 s44, s[24:25], 0xc
	s_load_b64 s[48:49], s[2:3], 0x0
	s_add_u32 s24, s24, 12
	s_addc_u32 s25, s25, 0
	s_add_u32 s2, s2, 8
	s_addc_u32 s3, s3, 0
	s_add_i32 s45, s45, -1
	s_delay_alu instid0(SALU_CYCLE_1) | instskip(SKIP_2) | instid1(VALU_DEP_1)
	s_cmp_lg_u32 s45, 0
	s_waitcnt vmcnt(0) lgkmcnt(0)
	v_mul_hi_u32 v3, s47, v2
	v_add_nc_u32_e32 v3, v2, v3
	s_delay_alu instid0(VALU_DEP_1) | instskip(NEXT) | instid1(VALU_DEP_1)
	v_lshrrev_b32_e32 v3, s44, v3
	v_mul_lo_u32 v6, v3, s46
	s_delay_alu instid0(VALU_DEP_1) | instskip(NEXT) | instid1(VALU_DEP_1)
	v_sub_nc_u32_e32 v2, v2, v6
	v_mad_u64_u32 v[6:7], null, v2, s48, v[0:1]
	v_mad_u64_u32 v[7:8], null, v2, s49, v[1:2]
	v_mov_b32_e32 v2, v3
	s_delay_alu instid0(VALU_DEP_2)
	v_dual_mov_b32 v0, v6 :: v_dual_mov_b32 v1, v7
	s_cbranch_scc1 .LBB473_544
.LBB473_545:
	s_and_not1_b32 vcc_lo, exec_lo, s43
	s_cbranch_vccnz .LBB473_548
; %bb.546:
	v_mul_hi_u32 v0, s13, v5
	s_and_not1_b32 vcc_lo, exec_lo, s31
	s_delay_alu instid0(VALU_DEP_1) | instskip(NEXT) | instid1(VALU_DEP_1)
	v_add_nc_u32_e32 v0, v5, v0
	v_lshrrev_b32_e32 v2, s14, v0
	s_delay_alu instid0(VALU_DEP_1) | instskip(NEXT) | instid1(VALU_DEP_1)
	v_mul_lo_u32 v0, v2, s12
	v_sub_nc_u32_e32 v1, v5, v0
	s_delay_alu instid0(VALU_DEP_1)
	v_mul_lo_u32 v0, v1, s8
	v_mul_lo_u32 v1, v1, s9
	s_cbranch_vccnz .LBB473_548
; %bb.547:
	s_waitcnt vmcnt(0)
	v_mul_hi_u32 v3, s20, v2
	s_delay_alu instid0(VALU_DEP_1) | instskip(NEXT) | instid1(VALU_DEP_1)
	v_add_nc_u32_e32 v3, v2, v3
	v_lshrrev_b32_e32 v3, s21, v3
	s_delay_alu instid0(VALU_DEP_1) | instskip(NEXT) | instid1(VALU_DEP_1)
	v_mul_lo_u32 v3, v3, s15
	v_sub_nc_u32_e32 v8, v2, v3
	s_delay_alu instid0(VALU_DEP_1) | instskip(NEXT) | instid1(VALU_DEP_1)
	v_mad_u64_u32 v[2:3], null, v8, s10, v[0:1]
	v_mad_u64_u32 v[6:7], null, v8, s11, v[1:2]
	v_mov_b32_e32 v0, v2
	s_delay_alu instid0(VALU_DEP_2)
	v_mov_b32_e32 v1, v6
.LBB473_548:
	v_cmp_gt_i16_e32 vcc_lo, 11, v4
	s_delay_alu instid0(VALU_DEP_2) | instskip(NEXT) | instid1(VALU_DEP_1)
	v_add_co_u32 v1, s2, s6, v1
	v_add_co_ci_u32_e64 v2, null, s7, 0, s2
	s_mov_b32 s2, 0
	s_cbranch_vccnz .LBB473_555
; %bb.549:
	v_cmp_lt_i16_e32 vcc_lo, 25, v4
	s_cbranch_vccz .LBB473_556
; %bb.550:
	v_cmp_lt_i16_e32 vcc_lo, 28, v4
	s_cbranch_vccz .LBB473_557
	;; [unrolled: 3-line block ×4, first 2 shown]
; %bb.553:
	v_cmp_eq_u16_e32 vcc_lo, 46, v4
	s_mov_b32 s24, 0
	s_cbranch_vccz .LBB473_564
; %bb.554:
	global_load_b32 v3, v[1:2], off
	s_mov_b32 s2, -1
	s_mov_b32 s3, 0
	s_waitcnt vmcnt(0)
	v_lshlrev_b32_e32 v3, 16, v3
	s_branch .LBB473_566
.LBB473_555:
	s_mov_b32 s24, -1
	s_mov_b32 s3, s39
                                        ; implicit-def: $vgpr3
	s_branch .LBB473_631
.LBB473_556:
	s_mov_b32 s24, -1
	s_mov_b32 s3, s39
                                        ; implicit-def: $vgpr3
	s_branch .LBB473_595
.LBB473_557:
	s_mov_b32 s24, -1
	s_mov_b32 s3, s39
                                        ; implicit-def: $vgpr3
	s_branch .LBB473_576
.LBB473_558:
	s_mov_b32 s24, -1
	s_mov_b32 s3, s39
                                        ; implicit-def: $vgpr3
	s_branch .LBB473_571
.LBB473_559:
	s_or_saveexec_b32 s39, s39
                                        ; implicit-def: $sgpr40
	s_delay_alu instid0(SALU_CYCLE_1)
	s_xor_b32 exec_lo, exec_lo, s39
	s_cbranch_execz .LBB473_370
.LBB473_560:
	v_add_f32_e64 v3, 0x46000000, |v2|
	s_and_not1_b32 s25, s25, exec_lo
	s_mov_b32 s40, 0
	s_delay_alu instid0(VALU_DEP_1) | instskip(NEXT) | instid1(VALU_DEP_1)
	v_and_b32_e32 v3, 0xff, v3
	v_cmp_ne_u32_e32 vcc_lo, 0, v3
	s_and_b32 s42, vcc_lo, exec_lo
	s_delay_alu instid0(SALU_CYCLE_1)
	s_or_b32 s25, s25, s42
	s_or_b32 exec_lo, exec_lo, s39
	v_mov_b32_e32 v7, s40
	s_and_saveexec_b32 s39, s25
	s_cbranch_execnz .LBB473_371
	s_branch .LBB473_372
.LBB473_561:
	s_mov_b32 s24, -1
	s_mov_b32 s3, s39
	s_branch .LBB473_565
.LBB473_562:
	s_or_saveexec_b32 s39, s39
                                        ; implicit-def: $sgpr40
	s_delay_alu instid0(SALU_CYCLE_1)
	s_xor_b32 exec_lo, exec_lo, s39
	s_cbranch_execz .LBB473_383
.LBB473_563:
	v_add_f32_e64 v3, 0x42800000, |v2|
	s_and_not1_b32 s25, s25, exec_lo
	s_mov_b32 s40, 0
	s_delay_alu instid0(VALU_DEP_1) | instskip(NEXT) | instid1(VALU_DEP_1)
	v_and_b32_e32 v3, 0xff, v3
	v_cmp_ne_u32_e32 vcc_lo, 0, v3
	s_and_b32 s42, vcc_lo, exec_lo
	s_delay_alu instid0(SALU_CYCLE_1)
	s_or_b32 s25, s25, s42
	s_or_b32 exec_lo, exec_lo, s39
	v_mov_b32_e32 v7, s40
	s_and_saveexec_b32 s39, s25
	s_cbranch_execnz .LBB473_384
	s_branch .LBB473_385
.LBB473_564:
	s_mov_b32 s3, -1
.LBB473_565:
                                        ; implicit-def: $vgpr3
.LBB473_566:
	s_and_b32 vcc_lo, exec_lo, s24
	s_cbranch_vccz .LBB473_570
; %bb.567:
	v_cmp_eq_u16_e32 vcc_lo, 44, v4
	s_cbranch_vccz .LBB473_569
; %bb.568:
	global_load_u8 v3, v[1:2], off
	s_mov_b32 s3, 0
	s_mov_b32 s2, -1
	s_waitcnt vmcnt(0)
	v_lshlrev_b32_e32 v6, 23, v3
	v_cmp_ne_u32_e32 vcc_lo, 0xff, v3
	s_delay_alu instid0(VALU_DEP_2) | instskip(SKIP_1) | instid1(VALU_DEP_2)
	v_cndmask_b32_e32 v6, 0x7f800001, v6, vcc_lo
	v_cmp_ne_u32_e32 vcc_lo, 0, v3
	v_cndmask_b32_e32 v3, 0x400000, v6, vcc_lo
	s_branch .LBB473_570
.LBB473_569:
	s_mov_b32 s3, -1
                                        ; implicit-def: $vgpr3
.LBB473_570:
	s_mov_b32 s24, 0
.LBB473_571:
	s_delay_alu instid0(SALU_CYCLE_1)
	s_and_b32 vcc_lo, exec_lo, s24
	s_cbranch_vccz .LBB473_575
; %bb.572:
	v_cmp_eq_u16_e32 vcc_lo, 29, v4
	s_cbranch_vccz .LBB473_574
; %bb.573:
	global_load_b64 v[6:7], v[1:2], off
	s_mov_b32 s2, -1
	s_mov_b32 s3, 0
	s_mov_b32 s24, 0
	s_waitcnt vmcnt(0)
	v_clz_i32_u32_e32 v3, v7
	s_delay_alu instid0(VALU_DEP_1) | instskip(NEXT) | instid1(VALU_DEP_1)
	v_min_u32_e32 v3, 32, v3
	v_lshlrev_b64 v[6:7], v3, v[6:7]
	v_sub_nc_u32_e32 v3, 32, v3
	s_delay_alu instid0(VALU_DEP_2) | instskip(NEXT) | instid1(VALU_DEP_1)
	v_min_u32_e32 v6, 1, v6
	v_or_b32_e32 v6, v7, v6
	s_delay_alu instid0(VALU_DEP_1) | instskip(NEXT) | instid1(VALU_DEP_1)
	v_cvt_f32_u32_e32 v6, v6
	v_ldexp_f32 v3, v6, v3
	s_branch .LBB473_576
.LBB473_574:
	s_mov_b32 s3, -1
                                        ; implicit-def: $vgpr3
.LBB473_575:
	s_mov_b32 s24, 0
.LBB473_576:
	s_delay_alu instid0(SALU_CYCLE_1)
	s_and_b32 vcc_lo, exec_lo, s24
	s_cbranch_vccz .LBB473_594
; %bb.577:
	v_cmp_gt_i16_e32 vcc_lo, 27, v4
	s_cbranch_vccnz .LBB473_580
; %bb.578:
	v_cmp_lt_i16_e32 vcc_lo, 27, v4
	s_cbranch_vccz .LBB473_581
; %bb.579:
	global_load_b32 v3, v[1:2], off
	s_mov_b32 s2, 0
	s_waitcnt vmcnt(0)
	v_cvt_f32_u32_e32 v3, v3
	s_branch .LBB473_582
.LBB473_580:
	s_mov_b32 s2, -1
                                        ; implicit-def: $vgpr3
	s_branch .LBB473_585
.LBB473_581:
	s_mov_b32 s2, -1
                                        ; implicit-def: $vgpr3
.LBB473_582:
	s_delay_alu instid0(SALU_CYCLE_1)
	s_and_not1_b32 vcc_lo, exec_lo, s2
	s_cbranch_vccnz .LBB473_584
; %bb.583:
	global_load_u16 v3, v[1:2], off
	s_waitcnt vmcnt(0)
	v_cvt_f32_u32_e32 v3, v3
.LBB473_584:
	s_mov_b32 s2, 0
.LBB473_585:
	s_delay_alu instid0(SALU_CYCLE_1)
	s_and_not1_b32 vcc_lo, exec_lo, s2
	s_cbranch_vccnz .LBB473_593
; %bb.586:
	global_load_u8 v6, v[1:2], off
	s_mov_b32 s2, 0
	s_mov_b32 s25, exec_lo
                                        ; implicit-def: $sgpr24
	s_waitcnt vmcnt(0)
	v_cmpx_lt_i16_e32 0x7f, v6
	s_xor_b32 s25, exec_lo, s25
	s_cbranch_execz .LBB473_607
; %bb.587:
	s_mov_b32 s2, -1
	s_mov_b32 s43, exec_lo
                                        ; implicit-def: $sgpr24
	v_cmpx_eq_u16_e32 0x80, v6
; %bb.588:
	s_mov_b32 s24, 0x7f800001
	s_xor_b32 s2, exec_lo, -1
; %bb.589:
	s_or_b32 exec_lo, exec_lo, s43
	s_delay_alu instid0(SALU_CYCLE_1)
	s_and_b32 s2, s2, exec_lo
	s_or_saveexec_b32 s25, s25
	v_mov_b32_e32 v3, s24
	s_xor_b32 exec_lo, exec_lo, s25
	s_cbranch_execnz .LBB473_608
.LBB473_590:
	s_or_b32 exec_lo, exec_lo, s25
	s_and_saveexec_b32 s24, s2
	s_cbranch_execz .LBB473_592
.LBB473_591:
	v_and_b32_e32 v3, 0xffff, v6
	s_delay_alu instid0(VALU_DEP_1) | instskip(NEXT) | instid1(VALU_DEP_1)
	v_and_b32_e32 v7, 7, v3
	v_clz_i32_u32_e32 v8, v7
	s_delay_alu instid0(VALU_DEP_1) | instskip(NEXT) | instid1(VALU_DEP_1)
	v_min_u32_e32 v8, 32, v8
	v_subrev_nc_u32_e32 v9, 28, v8
	v_sub_nc_u32_e32 v8, 29, v8
	s_delay_alu instid0(VALU_DEP_2) | instskip(SKIP_1) | instid1(VALU_DEP_2)
	v_lshlrev_b32_e32 v9, v9, v3
	v_bfe_u32 v3, v3, 3, 4
	v_and_b32_e32 v9, 7, v9
	s_delay_alu instid0(VALU_DEP_2) | instskip(SKIP_1) | instid1(VALU_DEP_1)
	v_cmp_eq_u32_e32 vcc_lo, 0, v3
	v_dual_cndmask_b32 v3, v3, v8 :: v_dual_lshlrev_b32 v6, 24, v6
	v_dual_cndmask_b32 v7, v7, v9 :: v_dual_and_b32 v6, 0x80000000, v6
	s_delay_alu instid0(VALU_DEP_2) | instskip(NEXT) | instid1(VALU_DEP_2)
	v_lshl_add_u32 v3, v3, 23, 0x3b800000
	v_lshlrev_b32_e32 v7, 20, v7
	s_delay_alu instid0(VALU_DEP_1)
	v_or3_b32 v3, v6, v3, v7
.LBB473_592:
	s_or_b32 exec_lo, exec_lo, s24
.LBB473_593:
	s_mov_b32 s2, -1
.LBB473_594:
	s_mov_b32 s24, 0
.LBB473_595:
	s_delay_alu instid0(SALU_CYCLE_1)
	s_and_b32 vcc_lo, exec_lo, s24
	s_cbranch_vccz .LBB473_630
; %bb.596:
	v_cmp_lt_i16_e32 vcc_lo, 22, v4
	s_cbranch_vccz .LBB473_606
; %bb.597:
	v_cmp_gt_i16_e32 vcc_lo, 24, v4
	s_cbranch_vccnz .LBB473_609
; %bb.598:
	v_cmp_lt_i16_e32 vcc_lo, 24, v4
	s_cbranch_vccz .LBB473_610
; %bb.599:
	global_load_u8 v6, v[1:2], off
	s_mov_b32 s2, 0
	s_mov_b32 s25, exec_lo
                                        ; implicit-def: $sgpr24
	s_waitcnt vmcnt(0)
	v_cmpx_lt_i16_e32 0x7f, v6
	s_xor_b32 s25, exec_lo, s25
	s_cbranch_execz .LBB473_622
; %bb.600:
	s_mov_b32 s2, -1
	s_mov_b32 s43, exec_lo
                                        ; implicit-def: $sgpr24
	v_cmpx_eq_u16_e32 0x80, v6
; %bb.601:
	s_mov_b32 s24, 0x7f800001
	s_xor_b32 s2, exec_lo, -1
; %bb.602:
	s_or_b32 exec_lo, exec_lo, s43
	s_delay_alu instid0(SALU_CYCLE_1)
	s_and_b32 s2, s2, exec_lo
	s_or_saveexec_b32 s25, s25
	v_mov_b32_e32 v3, s24
	s_xor_b32 exec_lo, exec_lo, s25
	s_cbranch_execnz .LBB473_623
.LBB473_603:
	s_or_b32 exec_lo, exec_lo, s25
	s_and_saveexec_b32 s24, s2
	s_cbranch_execz .LBB473_605
.LBB473_604:
	v_and_b32_e32 v3, 0xffff, v6
	s_delay_alu instid0(VALU_DEP_1) | instskip(NEXT) | instid1(VALU_DEP_1)
	v_and_b32_e32 v7, 3, v3
	v_clz_i32_u32_e32 v8, v7
	s_delay_alu instid0(VALU_DEP_1) | instskip(NEXT) | instid1(VALU_DEP_1)
	v_min_u32_e32 v8, 32, v8
	v_subrev_nc_u32_e32 v9, 29, v8
	v_sub_nc_u32_e32 v8, 30, v8
	s_delay_alu instid0(VALU_DEP_2) | instskip(SKIP_1) | instid1(VALU_DEP_2)
	v_lshlrev_b32_e32 v9, v9, v3
	v_bfe_u32 v3, v3, 2, 5
	v_and_b32_e32 v9, 3, v9
	s_delay_alu instid0(VALU_DEP_2) | instskip(SKIP_1) | instid1(VALU_DEP_1)
	v_cmp_eq_u32_e32 vcc_lo, 0, v3
	v_dual_cndmask_b32 v3, v3, v8 :: v_dual_lshlrev_b32 v6, 24, v6
	v_dual_cndmask_b32 v7, v7, v9 :: v_dual_and_b32 v6, 0x80000000, v6
	s_delay_alu instid0(VALU_DEP_2) | instskip(NEXT) | instid1(VALU_DEP_2)
	v_lshl_add_u32 v3, v3, 23, 0x37800000
	v_lshlrev_b32_e32 v7, 21, v7
	s_delay_alu instid0(VALU_DEP_1)
	v_or3_b32 v3, v6, v3, v7
.LBB473_605:
	s_or_b32 exec_lo, exec_lo, s24
	s_mov_b32 s2, 0
	s_branch .LBB473_611
.LBB473_606:
	s_mov_b32 s24, -1
                                        ; implicit-def: $vgpr3
	s_branch .LBB473_617
.LBB473_607:
	s_or_saveexec_b32 s25, s25
	v_mov_b32_e32 v3, s24
	s_xor_b32 exec_lo, exec_lo, s25
	s_cbranch_execz .LBB473_590
.LBB473_608:
	v_cmp_ne_u16_e32 vcc_lo, 0, v6
	v_mov_b32_e32 v3, 0
	s_and_not1_b32 s2, s2, exec_lo
	s_and_b32 s24, vcc_lo, exec_lo
	s_delay_alu instid0(SALU_CYCLE_1)
	s_or_b32 s2, s2, s24
	s_or_b32 exec_lo, exec_lo, s25
	s_and_saveexec_b32 s24, s2
	s_cbranch_execnz .LBB473_591
	s_branch .LBB473_592
.LBB473_609:
	s_mov_b32 s2, -1
                                        ; implicit-def: $vgpr3
	s_branch .LBB473_614
.LBB473_610:
	s_mov_b32 s2, -1
                                        ; implicit-def: $vgpr3
.LBB473_611:
	s_delay_alu instid0(SALU_CYCLE_1)
	s_and_b32 vcc_lo, exec_lo, s2
	s_cbranch_vccz .LBB473_613
; %bb.612:
	global_load_u8 v3, v[1:2], off
	s_waitcnt vmcnt(0)
	v_lshlrev_b32_e32 v3, 24, v3
	s_delay_alu instid0(VALU_DEP_1) | instskip(NEXT) | instid1(VALU_DEP_1)
	v_and_b32_e32 v6, 0x7f000000, v3
	v_clz_i32_u32_e32 v7, v6
	v_cmp_ne_u32_e32 vcc_lo, 0, v6
	v_add_nc_u32_e32 v9, 0x1000000, v6
	s_delay_alu instid0(VALU_DEP_3) | instskip(NEXT) | instid1(VALU_DEP_1)
	v_min_u32_e32 v7, 32, v7
	v_sub_nc_u32_e64 v7, v7, 4 clamp
	s_delay_alu instid0(VALU_DEP_1) | instskip(SKIP_1) | instid1(VALU_DEP_2)
	v_lshlrev_b32_e32 v8, v7, v6
	v_lshlrev_b32_e32 v7, 23, v7
	v_lshrrev_b32_e32 v8, 4, v8
	s_delay_alu instid0(VALU_DEP_1) | instskip(SKIP_1) | instid1(VALU_DEP_2)
	v_sub_nc_u32_e32 v7, v8, v7
	v_ashrrev_i32_e32 v8, 8, v9
	v_add_nc_u32_e32 v7, 0x3c000000, v7
	s_delay_alu instid0(VALU_DEP_1) | instskip(NEXT) | instid1(VALU_DEP_1)
	v_and_or_b32 v7, 0x7f800000, v8, v7
	v_cndmask_b32_e32 v6, 0, v7, vcc_lo
	s_delay_alu instid0(VALU_DEP_1)
	v_and_or_b32 v3, 0x80000000, v3, v6
.LBB473_613:
	s_mov_b32 s2, 0
.LBB473_614:
	s_delay_alu instid0(SALU_CYCLE_1)
	s_and_not1_b32 vcc_lo, exec_lo, s2
	s_cbranch_vccnz .LBB473_616
; %bb.615:
	global_load_u8 v3, v[1:2], off
	s_waitcnt vmcnt(0)
	v_lshlrev_b32_e32 v6, 25, v3
	v_lshlrev_b16 v3, 8, v3
	s_delay_alu instid0(VALU_DEP_2) | instskip(NEXT) | instid1(VALU_DEP_2)
	v_lshrrev_b32_e32 v7, 4, v6
	v_and_or_b32 v8, 0x7f00, v3, 0.5
	v_cmp_gt_u32_e32 vcc_lo, 0x8000000, v6
	v_bfe_i32 v3, v3, 0, 16
	s_delay_alu instid0(VALU_DEP_4) | instskip(NEXT) | instid1(VALU_DEP_1)
	v_or_b32_e32 v7, 0x70000000, v7
	v_dual_add_f32 v8, -0.5, v8 :: v_dual_mul_f32 v7, 0x7800000, v7
	s_delay_alu instid0(VALU_DEP_1) | instskip(NEXT) | instid1(VALU_DEP_1)
	v_cndmask_b32_e32 v6, v7, v8, vcc_lo
	v_and_or_b32 v3, 0x80000000, v3, v6
.LBB473_616:
	s_mov_b32 s24, 0
	s_mov_b32 s2, -1
.LBB473_617:
	s_and_not1_b32 vcc_lo, exec_lo, s24
	s_cbranch_vccnz .LBB473_630
; %bb.618:
	v_cmp_lt_i16_e32 vcc_lo, 14, v4
	s_cbranch_vccz .LBB473_621
; %bb.619:
	v_cmp_eq_u16_e32 vcc_lo, 15, v4
	s_cbranch_vccz .LBB473_624
; %bb.620:
	global_load_u16 v3, v[1:2], off
	s_mov_b32 s2, -1
	s_mov_b32 s3, 0
	s_waitcnt vmcnt(0)
	v_lshlrev_b32_e32 v3, 16, v3
	s_branch .LBB473_625
.LBB473_621:
	s_mov_b32 s24, -1
                                        ; implicit-def: $vgpr3
	s_branch .LBB473_626
.LBB473_622:
	s_or_saveexec_b32 s25, s25
	v_mov_b32_e32 v3, s24
	s_xor_b32 exec_lo, exec_lo, s25
	s_cbranch_execz .LBB473_603
.LBB473_623:
	v_cmp_ne_u16_e32 vcc_lo, 0, v6
	v_mov_b32_e32 v3, 0
	s_and_not1_b32 s2, s2, exec_lo
	s_and_b32 s24, vcc_lo, exec_lo
	s_delay_alu instid0(SALU_CYCLE_1)
	s_or_b32 s2, s2, s24
	s_or_b32 exec_lo, exec_lo, s25
	s_and_saveexec_b32 s24, s2
	s_cbranch_execnz .LBB473_604
	s_branch .LBB473_605
.LBB473_624:
	s_mov_b32 s3, -1
                                        ; implicit-def: $vgpr3
.LBB473_625:
	s_mov_b32 s24, 0
.LBB473_626:
	s_delay_alu instid0(SALU_CYCLE_1)
	s_and_b32 vcc_lo, exec_lo, s24
	s_cbranch_vccz .LBB473_630
; %bb.627:
	v_cmp_eq_u16_e32 vcc_lo, 11, v4
	s_cbranch_vccz .LBB473_629
; %bb.628:
	global_load_u8 v3, v[1:2], off
	s_mov_b32 s3, 0
	s_mov_b32 s2, -1
	s_waitcnt vmcnt(0)
	v_cmp_ne_u16_e32 vcc_lo, 0, v3
	v_cndmask_b32_e64 v3, 0, 1.0, vcc_lo
	s_branch .LBB473_630
.LBB473_629:
	s_mov_b32 s3, -1
                                        ; implicit-def: $vgpr3
.LBB473_630:
	s_mov_b32 s24, 0
.LBB473_631:
	s_delay_alu instid0(SALU_CYCLE_1)
	s_and_b32 vcc_lo, exec_lo, s24
	s_cbranch_vccz .LBB473_680
; %bb.632:
	v_cmp_gt_i16_e32 vcc_lo, 5, v4
	s_cbranch_vccnz .LBB473_637
; %bb.633:
	v_cmp_gt_i16_e32 vcc_lo, 8, v4
	s_cbranch_vccnz .LBB473_638
; %bb.634:
	v_cmp_gt_i16_e32 vcc_lo, 9, v4
	s_cbranch_vccnz .LBB473_639
; %bb.635:
	v_cmp_lt_i16_e32 vcc_lo, 9, v4
	s_cbranch_vccz .LBB473_640
; %bb.636:
	global_load_b64 v[6:7], v[1:2], off
	s_mov_b32 s2, 0
	s_waitcnt vmcnt(0)
	v_cvt_f32_f64_e32 v3, v[6:7]
	s_branch .LBB473_641
.LBB473_637:
	s_mov_b32 s2, -1
                                        ; implicit-def: $vgpr3
	s_branch .LBB473_659
.LBB473_638:
	s_mov_b32 s2, -1
                                        ; implicit-def: $vgpr3
	s_branch .LBB473_647
.LBB473_639:
	s_mov_b32 s2, -1
                                        ; implicit-def: $vgpr3
	s_branch .LBB473_644
.LBB473_640:
	s_mov_b32 s2, -1
                                        ; implicit-def: $vgpr3
.LBB473_641:
	s_delay_alu instid0(SALU_CYCLE_1)
	s_and_not1_b32 vcc_lo, exec_lo, s2
	s_cbranch_vccnz .LBB473_643
; %bb.642:
	global_load_b32 v3, v[1:2], off
.LBB473_643:
	s_mov_b32 s2, 0
.LBB473_644:
	s_delay_alu instid0(SALU_CYCLE_1)
	s_and_not1_b32 vcc_lo, exec_lo, s2
	s_cbranch_vccnz .LBB473_646
; %bb.645:
	global_load_b32 v3, v[1:2], off
	s_waitcnt vmcnt(0)
	v_cvt_f32_f16_e32 v3, v3
.LBB473_646:
	s_mov_b32 s2, 0
.LBB473_647:
	s_delay_alu instid0(SALU_CYCLE_1)
	s_and_not1_b32 vcc_lo, exec_lo, s2
	s_cbranch_vccnz .LBB473_658
; %bb.648:
	v_cmp_gt_i16_e32 vcc_lo, 6, v4
	s_cbranch_vccnz .LBB473_651
; %bb.649:
	v_cmp_lt_i16_e32 vcc_lo, 6, v4
	s_cbranch_vccz .LBB473_652
; %bb.650:
	global_load_b64 v[6:7], v[1:2], off
	s_mov_b32 s2, 0
	s_waitcnt vmcnt(0)
	v_cvt_f32_f64_e32 v3, v[6:7]
	s_branch .LBB473_653
.LBB473_651:
	s_mov_b32 s2, -1
                                        ; implicit-def: $vgpr3
	s_branch .LBB473_656
.LBB473_652:
	s_mov_b32 s2, -1
                                        ; implicit-def: $vgpr3
.LBB473_653:
	s_delay_alu instid0(SALU_CYCLE_1)
	s_and_not1_b32 vcc_lo, exec_lo, s2
	s_cbranch_vccnz .LBB473_655
; %bb.654:
	global_load_b32 v3, v[1:2], off
.LBB473_655:
	s_mov_b32 s2, 0
.LBB473_656:
	s_delay_alu instid0(SALU_CYCLE_1)
	s_and_not1_b32 vcc_lo, exec_lo, s2
	s_cbranch_vccnz .LBB473_658
; %bb.657:
	global_load_u16 v3, v[1:2], off
	s_waitcnt vmcnt(0)
	v_cvt_f32_f16_e32 v3, v3
.LBB473_658:
	s_mov_b32 s2, 0
.LBB473_659:
	s_delay_alu instid0(SALU_CYCLE_1)
	s_and_not1_b32 vcc_lo, exec_lo, s2
	s_cbranch_vccnz .LBB473_679
; %bb.660:
	v_cmp_gt_i16_e32 vcc_lo, 2, v4
	s_cbranch_vccnz .LBB473_664
; %bb.661:
	v_cmp_gt_i16_e32 vcc_lo, 3, v4
	s_cbranch_vccnz .LBB473_665
; %bb.662:
	v_cmp_lt_i16_e32 vcc_lo, 3, v4
	s_cbranch_vccz .LBB473_666
; %bb.663:
	global_load_b64 v[6:7], v[1:2], off
	s_mov_b32 s2, 0
	s_waitcnt vmcnt(0)
	v_xor_b32_e32 v3, v6, v7
	v_cls_i32_e32 v8, v7
	s_delay_alu instid0(VALU_DEP_2) | instskip(NEXT) | instid1(VALU_DEP_2)
	v_ashrrev_i32_e32 v3, 31, v3
	v_add_nc_u32_e32 v8, -1, v8
	s_delay_alu instid0(VALU_DEP_2) | instskip(NEXT) | instid1(VALU_DEP_1)
	v_add_nc_u32_e32 v3, 32, v3
	v_min_u32_e32 v3, v8, v3
	s_delay_alu instid0(VALU_DEP_1) | instskip(SKIP_1) | instid1(VALU_DEP_2)
	v_lshlrev_b64 v[6:7], v3, v[6:7]
	v_sub_nc_u32_e32 v3, 32, v3
	v_min_u32_e32 v6, 1, v6
	s_delay_alu instid0(VALU_DEP_1) | instskip(NEXT) | instid1(VALU_DEP_1)
	v_or_b32_e32 v6, v7, v6
	v_cvt_f32_i32_e32 v6, v6
	s_delay_alu instid0(VALU_DEP_1)
	v_ldexp_f32 v3, v6, v3
	s_branch .LBB473_667
.LBB473_664:
	s_mov_b32 s2, -1
                                        ; implicit-def: $vgpr3
	s_branch .LBB473_673
.LBB473_665:
	s_mov_b32 s2, -1
                                        ; implicit-def: $vgpr3
	s_branch .LBB473_670
.LBB473_666:
	s_mov_b32 s2, -1
                                        ; implicit-def: $vgpr3
.LBB473_667:
	s_delay_alu instid0(SALU_CYCLE_1)
	s_and_not1_b32 vcc_lo, exec_lo, s2
	s_cbranch_vccnz .LBB473_669
; %bb.668:
	global_load_b32 v3, v[1:2], off
	s_waitcnt vmcnt(0)
	v_cvt_f32_i32_e32 v3, v3
.LBB473_669:
	s_mov_b32 s2, 0
.LBB473_670:
	s_delay_alu instid0(SALU_CYCLE_1)
	s_and_not1_b32 vcc_lo, exec_lo, s2
	s_cbranch_vccnz .LBB473_672
; %bb.671:
	global_load_i16 v3, v[1:2], off
	s_waitcnt vmcnt(0)
	v_cvt_f32_i32_e32 v3, v3
.LBB473_672:
	s_mov_b32 s2, 0
.LBB473_673:
	s_delay_alu instid0(SALU_CYCLE_1)
	s_and_not1_b32 vcc_lo, exec_lo, s2
	s_cbranch_vccnz .LBB473_679
; %bb.674:
	v_cmp_lt_i16_e32 vcc_lo, 0, v4
	s_mov_b32 s2, 0
	s_cbranch_vccz .LBB473_676
; %bb.675:
	global_load_i8 v3, v[1:2], off
	s_waitcnt vmcnt(0)
	v_cvt_f32_i32_e32 v3, v3
	s_branch .LBB473_677
.LBB473_676:
	s_mov_b32 s2, -1
                                        ; implicit-def: $vgpr3
.LBB473_677:
	s_delay_alu instid0(SALU_CYCLE_1)
	s_and_not1_b32 vcc_lo, exec_lo, s2
	s_cbranch_vccnz .LBB473_679
; %bb.678:
	global_load_u8 v1, v[1:2], off
	s_waitcnt vmcnt(0)
	v_cvt_f32_ubyte0_e32 v3, v1
.LBB473_679:
	s_mov_b32 s2, -1
.LBB473_680:
	s_delay_alu instid0(SALU_CYCLE_1)
	s_and_not1_b32 vcc_lo, exec_lo, s2
	s_cbranch_vccnz .LBB473_688
; %bb.681:
	v_max_f32_e64 v1, s18, s18
	s_waitcnt vmcnt(0)
	s_delay_alu instid0(VALU_DEP_2)
	v_max_f32_e32 v2, v3, v3
	v_and_b32_e64 v6, 0xff, s19
	v_cmp_u_f32_e64 s2, v3, v3
	s_mov_b32 s24, 0
	s_mov_b32 s25, -1
	v_min_f32_e32 v1, v2, v1
	v_cmp_gt_i16_e32 vcc_lo, 11, v6
	s_delay_alu instid0(VALU_DEP_2) | instskip(SKIP_1) | instid1(VALU_DEP_1)
	v_cndmask_b32_e64 v2, v1, v3, s2
	v_add_co_u32 v0, s2, s4, v0
	v_add_co_ci_u32_e64 v1, null, s5, 0, s2
	s_mov_b32 s2, s40
	s_cbranch_vccnz .LBB473_689
; %bb.682:
	v_cmp_lt_i16_e32 vcc_lo, 25, v6
	s_cbranch_vccz .LBB473_730
; %bb.683:
	v_cmp_lt_i16_e32 vcc_lo, 28, v6
	s_cbranch_vccz .LBB473_731
	;; [unrolled: 3-line block ×4, first 2 shown]
; %bb.686:
	v_cmp_eq_u16_e32 vcc_lo, 46, v6
	s_mov_b32 s25, 0
	s_mov_b32 s2, -1
	s_cbranch_vccz .LBB473_734
; %bb.687:
	v_bfe_u32 v3, v2, 16, 1
	v_cmp_o_f32_e32 vcc_lo, v2, v2
	s_mov_b32 s24, -1
	s_mov_b32 s2, 0
	s_delay_alu instid0(VALU_DEP_2) | instskip(NEXT) | instid1(VALU_DEP_1)
	v_add3_u32 v3, v2, v3, 0x7fff
	v_lshrrev_b32_e32 v3, 16, v3
	s_delay_alu instid0(VALU_DEP_1)
	v_cndmask_b32_e32 v3, 0x7fc0, v3, vcc_lo
	global_store_b32 v[0:1], v3, off
	s_branch .LBB473_734
.LBB473_688:
	s_mov_b32 s43, 0
	s_mov_b32 s2, s40
	s_branch .LBB473_729
.LBB473_689:
	s_and_b32 vcc_lo, exec_lo, s25
	s_cbranch_vccz .LBB473_803
; %bb.690:
	v_cmp_gt_i16_e32 vcc_lo, 5, v6
	s_mov_b32 s24, -1
	s_cbranch_vccnz .LBB473_711
; %bb.691:
	v_cmp_gt_i16_e32 vcc_lo, 8, v6
	s_cbranch_vccnz .LBB473_701
; %bb.692:
	v_cmp_gt_i16_e32 vcc_lo, 9, v6
	s_cbranch_vccnz .LBB473_698
; %bb.693:
	v_cmp_lt_i16_e32 vcc_lo, 9, v6
	s_cbranch_vccz .LBB473_695
; %bb.694:
	v_cvt_f64_f32_e32 v[7:8], v2
	v_mov_b32_e32 v9, 0
	s_mov_b32 s24, 0
	s_delay_alu instid0(VALU_DEP_1)
	v_mov_b32_e32 v10, v9
	global_store_b128 v[0:1], v[7:10], off
.LBB473_695:
	s_and_not1_b32 vcc_lo, exec_lo, s24
	s_cbranch_vccnz .LBB473_697
; %bb.696:
	v_mov_b32_e32 v3, 0
	global_store_b64 v[0:1], v[2:3], off
.LBB473_697:
	s_mov_b32 s24, 0
.LBB473_698:
	s_delay_alu instid0(SALU_CYCLE_1)
	s_and_not1_b32 vcc_lo, exec_lo, s24
	s_cbranch_vccnz .LBB473_700
; %bb.699:
	v_cvt_f16_f32_e32 v3, v2
	s_delay_alu instid0(VALU_DEP_1)
	v_and_b32_e32 v3, 0xffff, v3
	global_store_b32 v[0:1], v3, off
.LBB473_700:
	s_mov_b32 s24, 0
.LBB473_701:
	s_delay_alu instid0(SALU_CYCLE_1)
	s_and_not1_b32 vcc_lo, exec_lo, s24
	s_cbranch_vccnz .LBB473_710
; %bb.702:
	v_cmp_gt_i16_e32 vcc_lo, 6, v6
	s_mov_b32 s24, -1
	s_cbranch_vccnz .LBB473_708
; %bb.703:
	v_cmp_lt_i16_e32 vcc_lo, 6, v6
	s_cbranch_vccz .LBB473_705
; %bb.704:
	v_cvt_f64_f32_e32 v[7:8], v2
	s_mov_b32 s24, 0
	global_store_b64 v[0:1], v[7:8], off
.LBB473_705:
	s_and_not1_b32 vcc_lo, exec_lo, s24
	s_cbranch_vccnz .LBB473_707
; %bb.706:
	global_store_b32 v[0:1], v2, off
.LBB473_707:
	s_mov_b32 s24, 0
.LBB473_708:
	s_delay_alu instid0(SALU_CYCLE_1)
	s_and_not1_b32 vcc_lo, exec_lo, s24
	s_cbranch_vccnz .LBB473_710
; %bb.709:
	v_cvt_f16_f32_e32 v3, v2
	global_store_b16 v[0:1], v3, off
.LBB473_710:
	s_mov_b32 s24, 0
.LBB473_711:
	s_delay_alu instid0(SALU_CYCLE_1)
	s_and_not1_b32 vcc_lo, exec_lo, s24
	s_cbranch_vccnz .LBB473_727
; %bb.712:
	v_cmp_gt_i16_e32 vcc_lo, 2, v6
	s_mov_b32 s24, -1
	s_cbranch_vccnz .LBB473_722
; %bb.713:
	v_cmp_gt_i16_e32 vcc_lo, 3, v6
	s_cbranch_vccnz .LBB473_719
; %bb.714:
	v_cmp_lt_i16_e32 vcc_lo, 3, v6
	s_cbranch_vccz .LBB473_716
; %bb.715:
	v_trunc_f32_e32 v3, v2
	s_mov_b32 s24, 0
	s_delay_alu instid0(VALU_DEP_1) | instskip(NEXT) | instid1(VALU_DEP_1)
	v_mul_f32_e64 v7, 0x2f800000, |v3|
	v_floor_f32_e32 v7, v7
	s_delay_alu instid0(VALU_DEP_1) | instskip(SKIP_2) | instid1(VALU_DEP_3)
	v_fma_f32 v8, 0xcf800000, v7, |v3|
	v_ashrrev_i32_e32 v3, 31, v3
	v_cvt_u32_f32_e32 v7, v7
	v_cvt_u32_f32_e32 v8, v8
	s_delay_alu instid0(VALU_DEP_2) | instskip(NEXT) | instid1(VALU_DEP_2)
	v_xor_b32_e32 v9, v7, v3
	v_xor_b32_e32 v8, v8, v3
	s_delay_alu instid0(VALU_DEP_1) | instskip(NEXT) | instid1(VALU_DEP_3)
	v_sub_co_u32 v7, vcc_lo, v8, v3
	v_sub_co_ci_u32_e32 v8, vcc_lo, v9, v3, vcc_lo
	global_store_b64 v[0:1], v[7:8], off
.LBB473_716:
	s_and_not1_b32 vcc_lo, exec_lo, s24
	s_cbranch_vccnz .LBB473_718
; %bb.717:
	v_cvt_i32_f32_e32 v3, v2
	global_store_b32 v[0:1], v3, off
.LBB473_718:
	s_mov_b32 s24, 0
.LBB473_719:
	s_delay_alu instid0(SALU_CYCLE_1)
	s_and_not1_b32 vcc_lo, exec_lo, s24
	s_cbranch_vccnz .LBB473_721
; %bb.720:
	v_cvt_i32_f32_e32 v3, v2
	global_store_b16 v[0:1], v3, off
.LBB473_721:
	s_mov_b32 s24, 0
.LBB473_722:
	s_delay_alu instid0(SALU_CYCLE_1)
	s_and_not1_b32 vcc_lo, exec_lo, s24
	s_cbranch_vccnz .LBB473_727
; %bb.723:
	v_cmp_lt_i16_e32 vcc_lo, 0, v6
	s_mov_b32 s24, -1
	s_cbranch_vccz .LBB473_725
; %bb.724:
	v_cvt_i32_f32_e32 v3, v2
	s_mov_b32 s24, 0
	global_store_b8 v[0:1], v3, off
.LBB473_725:
	s_and_not1_b32 vcc_lo, exec_lo, s24
	s_cbranch_vccnz .LBB473_727
; %bb.726:
	v_trunc_f32_e32 v2, v2
	s_delay_alu instid0(VALU_DEP_1) | instskip(NEXT) | instid1(VALU_DEP_1)
	v_mul_f32_e64 v3, 0x2f800000, |v2|
	v_floor_f32_e32 v3, v3
	s_delay_alu instid0(VALU_DEP_1) | instskip(SKIP_1) | instid1(VALU_DEP_2)
	v_fma_f32 v3, 0xcf800000, v3, |v2|
	v_ashrrev_i32_e32 v2, 31, v2
	v_cvt_u32_f32_e32 v3, v3
	s_delay_alu instid0(VALU_DEP_1) | instskip(NEXT) | instid1(VALU_DEP_1)
	v_xor_b32_e32 v3, v3, v2
	v_sub_nc_u32_e32 v2, v3, v2
	global_store_b8 v[0:1], v2, off
.LBB473_727:
	s_branch .LBB473_804
.LBB473_728:
	s_mov_b32 s43, 0
.LBB473_729:
                                        ; implicit-def: $vgpr5
	s_branch .LBB473_805
.LBB473_730:
	s_mov_b32 s2, s40
	s_branch .LBB473_761
.LBB473_731:
	s_mov_b32 s2, s40
	s_branch .LBB473_744
.LBB473_732:
	s_mov_b32 s2, s40
	s_branch .LBB473_740
.LBB473_733:
	s_mov_b32 s2, s40
.LBB473_734:
	s_and_b32 vcc_lo, exec_lo, s25
	s_cbranch_vccz .LBB473_739
; %bb.735:
	v_cmp_eq_u16_e32 vcc_lo, 44, v6
	s_mov_b32 s2, -1
	s_cbranch_vccz .LBB473_739
; %bb.736:
	v_bfe_u32 v7, v2, 23, 8
	v_mov_b32_e32 v3, 0xff
	s_mov_b32 s24, exec_lo
	s_delay_alu instid0(VALU_DEP_2)
	v_cmpx_ne_u32_e32 0xff, v7
; %bb.737:
	v_and_b32_e32 v3, 0x400000, v2
	v_and_or_b32 v7, 0x3fffff, v2, v7
	s_delay_alu instid0(VALU_DEP_2) | instskip(NEXT) | instid1(VALU_DEP_2)
	v_cmp_ne_u32_e32 vcc_lo, 0, v3
	v_cmp_ne_u32_e64 s2, 0, v7
	v_lshrrev_b32_e32 v3, 23, v2
	s_delay_alu instid0(VALU_DEP_2) | instskip(NEXT) | instid1(SALU_CYCLE_1)
	s_and_b32 s2, vcc_lo, s2
	v_cndmask_b32_e64 v7, 0, 1, s2
	s_delay_alu instid0(VALU_DEP_1)
	v_add_nc_u32_e32 v3, v3, v7
; %bb.738:
	s_or_b32 exec_lo, exec_lo, s24
	s_mov_b32 s24, -1
	s_mov_b32 s2, 0
	global_store_b8 v[0:1], v3, off
.LBB473_739:
	s_mov_b32 s25, 0
.LBB473_740:
	s_delay_alu instid0(SALU_CYCLE_1)
	s_and_b32 vcc_lo, exec_lo, s25
	s_cbranch_vccz .LBB473_743
; %bb.741:
	v_cmp_eq_u16_e32 vcc_lo, 29, v6
	s_mov_b32 s2, -1
	s_cbranch_vccz .LBB473_743
; %bb.742:
	v_trunc_f32_e32 v3, v2
	s_mov_b32 s24, -1
	s_mov_b32 s2, 0
	s_mov_b32 s25, 0
	s_delay_alu instid0(VALU_DEP_1) | instskip(NEXT) | instid1(VALU_DEP_1)
	v_mul_f32_e32 v7, 0x2f800000, v3
	v_floor_f32_e32 v7, v7
	s_delay_alu instid0(VALU_DEP_1) | instskip(SKIP_1) | instid1(VALU_DEP_2)
	v_fmamk_f32 v3, v7, 0xcf800000, v3
	v_cvt_u32_f32_e32 v8, v7
	v_cvt_u32_f32_e32 v7, v3
	global_store_b64 v[0:1], v[7:8], off
	s_branch .LBB473_744
.LBB473_743:
	s_mov_b32 s25, 0
.LBB473_744:
	s_delay_alu instid0(SALU_CYCLE_1)
	s_and_b32 vcc_lo, exec_lo, s25
	s_cbranch_vccz .LBB473_760
; %bb.745:
	v_cmp_gt_i16_e32 vcc_lo, 27, v6
	s_mov_b32 s24, -1
	s_cbranch_vccnz .LBB473_751
; %bb.746:
	v_cmp_lt_i16_e32 vcc_lo, 27, v6
	s_cbranch_vccz .LBB473_748
; %bb.747:
	v_cvt_u32_f32_e32 v3, v2
	s_mov_b32 s24, 0
	global_store_b32 v[0:1], v3, off
.LBB473_748:
	s_and_not1_b32 vcc_lo, exec_lo, s24
	s_cbranch_vccnz .LBB473_750
; %bb.749:
	v_cvt_u32_f32_e32 v3, v2
	global_store_b16 v[0:1], v3, off
.LBB473_750:
	s_mov_b32 s24, 0
.LBB473_751:
	s_delay_alu instid0(SALU_CYCLE_1)
	s_and_not1_b32 vcc_lo, exec_lo, s24
	s_cbranch_vccnz .LBB473_759
; %bb.752:
	v_and_b32_e32 v3, 0x7fffffff, v2
	v_mov_b32_e32 v7, 0x80
	s_mov_b32 s24, exec_lo
	s_delay_alu instid0(VALU_DEP_2)
	v_cmpx_gt_u32_e32 0x43800000, v3
	s_cbranch_execz .LBB473_758
; %bb.753:
	v_cmp_lt_u32_e32 vcc_lo, 0x3bffffff, v3
	s_mov_b32 s25, 0
                                        ; implicit-def: $vgpr3
	s_and_saveexec_b32 s43, vcc_lo
	s_delay_alu instid0(SALU_CYCLE_1)
	s_xor_b32 s43, exec_lo, s43
	s_cbranch_execz .LBB473_832
; %bb.754:
	v_bfe_u32 v3, v2, 20, 1
	s_mov_b32 s25, exec_lo
	s_delay_alu instid0(VALU_DEP_1) | instskip(NEXT) | instid1(VALU_DEP_1)
	v_add3_u32 v3, v2, v3, 0x487ffff
	v_lshrrev_b32_e32 v3, 20, v3
	s_or_saveexec_b32 s43, s43
                                        ; implicit-def: $sgpr44
	s_delay_alu instid0(SALU_CYCLE_1)
	s_xor_b32 exec_lo, exec_lo, s43
	s_cbranch_execnz .LBB473_833
.LBB473_755:
	s_or_b32 exec_lo, exec_lo, s43
	v_mov_b32_e32 v7, s44
	s_and_saveexec_b32 s43, s25
.LBB473_756:
	v_lshrrev_b32_e32 v7, 24, v2
	s_delay_alu instid0(VALU_DEP_1)
	v_and_or_b32 v7, 0x80, v7, v3
.LBB473_757:
	s_or_b32 exec_lo, exec_lo, s43
.LBB473_758:
	s_delay_alu instid0(SALU_CYCLE_1)
	s_or_b32 exec_lo, exec_lo, s24
	global_store_b8 v[0:1], v7, off
.LBB473_759:
	s_mov_b32 s24, -1
.LBB473_760:
	s_mov_b32 s25, 0
.LBB473_761:
	s_delay_alu instid0(SALU_CYCLE_1)
	s_and_b32 vcc_lo, exec_lo, s25
	s_cbranch_vccz .LBB473_802
; %bb.762:
	v_cmp_lt_i16_e32 vcc_lo, 22, v6
	s_mov_b32 s25, -1
	s_cbranch_vccz .LBB473_794
; %bb.763:
	v_cmp_gt_i16_e32 vcc_lo, 24, v6
	s_mov_b32 s24, -1
	s_cbranch_vccnz .LBB473_783
; %bb.764:
	v_cmp_lt_i16_e32 vcc_lo, 24, v6
	s_cbranch_vccz .LBB473_772
; %bb.765:
	v_and_b32_e32 v3, 0x7fffffff, v2
	v_mov_b32_e32 v7, 0x80
	s_mov_b32 s24, exec_lo
	s_delay_alu instid0(VALU_DEP_2)
	v_cmpx_gt_u32_e32 0x47800000, v3
	s_cbranch_execz .LBB473_771
; %bb.766:
	v_cmp_lt_u32_e32 vcc_lo, 0x37ffffff, v3
	s_mov_b32 s25, 0
                                        ; implicit-def: $vgpr3
	s_and_saveexec_b32 s43, vcc_lo
	s_delay_alu instid0(SALU_CYCLE_1)
	s_xor_b32 s43, exec_lo, s43
	s_cbranch_execz .LBB473_835
; %bb.767:
	v_bfe_u32 v3, v2, 21, 1
	s_mov_b32 s25, exec_lo
	s_delay_alu instid0(VALU_DEP_1) | instskip(NEXT) | instid1(VALU_DEP_1)
	v_add3_u32 v3, v2, v3, 0x88fffff
	v_lshrrev_b32_e32 v3, 21, v3
	s_or_saveexec_b32 s43, s43
                                        ; implicit-def: $sgpr44
	s_delay_alu instid0(SALU_CYCLE_1)
	s_xor_b32 exec_lo, exec_lo, s43
	s_cbranch_execnz .LBB473_836
.LBB473_768:
	s_or_b32 exec_lo, exec_lo, s43
	v_mov_b32_e32 v7, s44
	s_and_saveexec_b32 s43, s25
.LBB473_769:
	v_lshrrev_b32_e32 v7, 24, v2
	s_delay_alu instid0(VALU_DEP_1)
	v_and_or_b32 v7, 0x80, v7, v3
.LBB473_770:
	s_or_b32 exec_lo, exec_lo, s43
.LBB473_771:
	s_delay_alu instid0(SALU_CYCLE_1)
	s_or_b32 exec_lo, exec_lo, s24
	s_mov_b32 s24, 0
	global_store_b8 v[0:1], v7, off
.LBB473_772:
	s_and_b32 vcc_lo, exec_lo, s24
	s_cbranch_vccz .LBB473_782
; %bb.773:
	v_and_b32_e32 v7, 0x7fffffff, v2
	s_mov_b32 s24, exec_lo
                                        ; implicit-def: $vgpr3
	s_delay_alu instid0(VALU_DEP_1)
	v_cmpx_gt_u32_e32 0x43f00000, v7
	s_xor_b32 s24, exec_lo, s24
	s_cbranch_execz .LBB473_779
; %bb.774:
	s_mov_b32 s25, exec_lo
                                        ; implicit-def: $vgpr3
	v_cmpx_lt_u32_e32 0x3c7fffff, v7
	s_xor_b32 s25, exec_lo, s25
; %bb.775:
	v_bfe_u32 v3, v2, 20, 1
	s_delay_alu instid0(VALU_DEP_1) | instskip(NEXT) | instid1(VALU_DEP_1)
	v_add3_u32 v3, v2, v3, 0x407ffff
	v_and_b32_e32 v7, 0xff00000, v3
	v_lshrrev_b32_e32 v3, 20, v3
	s_delay_alu instid0(VALU_DEP_2) | instskip(NEXT) | instid1(VALU_DEP_2)
	v_cmp_ne_u32_e32 vcc_lo, 0x7f00000, v7
	v_cndmask_b32_e32 v3, 0x7e, v3, vcc_lo
; %bb.776:
	s_and_not1_saveexec_b32 s25, s25
; %bb.777:
	v_add_f32_e64 v3, 0x46800000, |v2|
; %bb.778:
	s_or_b32 exec_lo, exec_lo, s25
                                        ; implicit-def: $vgpr7
.LBB473_779:
	s_and_not1_saveexec_b32 s24, s24
; %bb.780:
	v_mov_b32_e32 v3, 0x7f
	v_cmp_lt_u32_e32 vcc_lo, 0x7f800000, v7
	s_delay_alu instid0(VALU_DEP_2)
	v_cndmask_b32_e32 v3, 0x7e, v3, vcc_lo
; %bb.781:
	s_or_b32 exec_lo, exec_lo, s24
	v_lshrrev_b32_e32 v7, 24, v2
	s_delay_alu instid0(VALU_DEP_1)
	v_and_or_b32 v3, 0x80, v7, v3
	global_store_b8 v[0:1], v3, off
.LBB473_782:
	s_mov_b32 s24, 0
.LBB473_783:
	s_delay_alu instid0(SALU_CYCLE_1)
	s_and_not1_b32 vcc_lo, exec_lo, s24
	s_cbranch_vccnz .LBB473_793
; %bb.784:
	v_and_b32_e32 v7, 0x7fffffff, v2
	s_mov_b32 s24, exec_lo
                                        ; implicit-def: $vgpr3
	s_delay_alu instid0(VALU_DEP_1)
	v_cmpx_gt_u32_e32 0x47800000, v7
	s_xor_b32 s24, exec_lo, s24
	s_cbranch_execz .LBB473_790
; %bb.785:
	s_mov_b32 s25, exec_lo
                                        ; implicit-def: $vgpr3
	v_cmpx_lt_u32_e32 0x387fffff, v7
	s_xor_b32 s25, exec_lo, s25
; %bb.786:
	v_bfe_u32 v3, v2, 21, 1
	s_delay_alu instid0(VALU_DEP_1) | instskip(NEXT) | instid1(VALU_DEP_1)
	v_add3_u32 v3, v2, v3, 0x80fffff
	v_lshrrev_b32_e32 v3, 21, v3
; %bb.787:
	s_and_not1_saveexec_b32 s25, s25
; %bb.788:
	v_add_f32_e64 v3, 0x43000000, |v2|
; %bb.789:
	s_or_b32 exec_lo, exec_lo, s25
                                        ; implicit-def: $vgpr7
.LBB473_790:
	s_and_not1_saveexec_b32 s24, s24
; %bb.791:
	v_mov_b32_e32 v3, 0x7f
	v_cmp_lt_u32_e32 vcc_lo, 0x7f800000, v7
	s_delay_alu instid0(VALU_DEP_2)
	v_cndmask_b32_e32 v3, 0x7c, v3, vcc_lo
; %bb.792:
	s_or_b32 exec_lo, exec_lo, s24
	v_lshrrev_b32_e32 v7, 24, v2
	s_delay_alu instid0(VALU_DEP_1)
	v_and_or_b32 v3, 0x80, v7, v3
	global_store_b8 v[0:1], v3, off
.LBB473_793:
	s_mov_b32 s25, 0
	s_mov_b32 s24, -1
.LBB473_794:
	s_and_not1_b32 vcc_lo, exec_lo, s25
	s_cbranch_vccnz .LBB473_802
; %bb.795:
	v_cmp_lt_i16_e32 vcc_lo, 14, v6
	s_mov_b32 s25, -1
	s_cbranch_vccz .LBB473_799
; %bb.796:
	v_cmp_eq_u16_e32 vcc_lo, 15, v6
	s_mov_b32 s2, -1
	s_cbranch_vccz .LBB473_798
; %bb.797:
	v_bfe_u32 v3, v2, 16, 1
	v_cmp_o_f32_e32 vcc_lo, v2, v2
	s_mov_b32 s24, -1
	s_mov_b32 s2, 0
	s_delay_alu instid0(VALU_DEP_2) | instskip(NEXT) | instid1(VALU_DEP_1)
	v_add3_u32 v3, v2, v3, 0x7fff
	v_lshrrev_b32_e32 v3, 16, v3
	s_delay_alu instid0(VALU_DEP_1)
	v_cndmask_b32_e32 v3, 0x7fc0, v3, vcc_lo
	global_store_b16 v[0:1], v3, off
.LBB473_798:
	s_mov_b32 s25, 0
.LBB473_799:
	s_delay_alu instid0(SALU_CYCLE_1)
	s_and_b32 vcc_lo, exec_lo, s25
	s_cbranch_vccz .LBB473_802
; %bb.800:
	v_cmp_eq_u16_e32 vcc_lo, 11, v6
	s_mov_b32 s2, -1
	s_cbranch_vccz .LBB473_802
; %bb.801:
	v_cmp_neq_f32_e32 vcc_lo, 0, v2
	s_mov_b32 s2, 0
	s_mov_b32 s24, -1
	v_cndmask_b32_e64 v3, 0, 1, vcc_lo
	global_store_b8 v[0:1], v3, off
.LBB473_802:
.LBB473_803:
	s_and_not1_b32 vcc_lo, exec_lo, s24
	s_cbranch_vccnz .LBB473_728
.LBB473_804:
	v_add_nc_u32_e32 v5, 0x80, v5
	s_mov_b32 s43, -1
.LBB473_805:
	s_and_not1_b32 s24, s40, exec_lo
	s_and_b32 s2, s2, exec_lo
	s_and_not1_b32 s44, s39, exec_lo
	s_and_b32 s3, s3, exec_lo
	s_or_b32 s25, s24, s2
	s_or_b32 s24, s44, s3
	s_or_not1_b32 s44, s43, exec_lo
.LBB473_806:
	s_or_b32 exec_lo, exec_lo, s42
	s_mov_b32 s2, 0
	s_mov_b32 s3, 0
	;; [unrolled: 1-line block ×3, first 2 shown]
                                        ; implicit-def: $vgpr1_vgpr2
                                        ; implicit-def: $vgpr0
                                        ; implicit-def: $vgpr6
	s_and_saveexec_b32 s42, s44
	s_cbranch_execz .LBB473_904
; %bb.807:
	v_cmp_gt_i32_e32 vcc_lo, s33, v5
	s_mov_b32 s45, s24
	s_mov_b32 s44, 0
                                        ; implicit-def: $vgpr1_vgpr2
                                        ; implicit-def: $vgpr0
                                        ; implicit-def: $vgpr6
	s_and_saveexec_b32 s33, vcc_lo
	s_cbranch_execz .LBB473_903
; %bb.808:
	s_and_not1_b32 vcc_lo, exec_lo, s29
	s_cbranch_vccnz .LBB473_813
; %bb.809:
	v_dual_mov_b32 v0, 0 :: v_dual_mov_b32 v1, 0
	s_and_not1_b32 vcc_lo, exec_lo, s35
	s_mov_b32 s35, 0
	s_cbranch_vccnz .LBB473_818
; %bb.810:
	v_mov_b32_e32 v0, 0
	s_add_i32 s43, s34, 1
	s_cmp_eq_u32 s27, 2
	s_mov_b32 s34, 0
	s_cbranch_scc1 .LBB473_814
; %bb.811:
	v_dual_mov_b32 v1, 0 :: v_dual_mov_b32 v0, 0
	v_mov_b32_e32 v2, v5
	s_and_b32 s34, s43, 28
	s_mov_b64 s[2:3], s[16:17]
.LBB473_812:                            ; =>This Inner Loop Header: Depth=1
	s_clause 0x1
	s_load_b256 s[48:55], s[2:3], 0x4
	s_load_b128 s[64:67], s[2:3], 0x24
	s_load_b256 s[56:63], s[22:23], 0x0
	s_add_u32 s2, s2, 48
	s_addc_u32 s3, s3, 0
	s_add_i32 s44, s44, 4
	s_add_u32 s22, s22, 32
	s_addc_u32 s23, s23, 0
	s_cmp_eq_u32 s34, s44
	s_waitcnt vmcnt(0) lgkmcnt(0)
	v_mul_hi_u32 v3, s49, v2
	s_delay_alu instid0(VALU_DEP_1) | instskip(NEXT) | instid1(VALU_DEP_1)
	v_add_nc_u32_e32 v3, v2, v3
	v_lshrrev_b32_e32 v3, s50, v3
	s_delay_alu instid0(VALU_DEP_1) | instskip(SKIP_1) | instid1(VALU_DEP_2)
	v_mul_hi_u32 v6, s52, v3
	v_mul_lo_u32 v8, v3, s48
	v_add_nc_u32_e32 v6, v3, v6
	s_delay_alu instid0(VALU_DEP_2) | instskip(NEXT) | instid1(VALU_DEP_2)
	v_sub_nc_u32_e32 v2, v2, v8
	v_lshrrev_b32_e32 v6, s53, v6
	s_delay_alu instid0(VALU_DEP_2) | instskip(SKIP_1) | instid1(VALU_DEP_3)
	v_mul_lo_u32 v8, v2, s56
	v_mul_lo_u32 v10, v2, s57
	v_mul_hi_u32 v7, s55, v6
	s_delay_alu instid0(VALU_DEP_1) | instskip(NEXT) | instid1(VALU_DEP_1)
	v_add_nc_u32_e32 v7, v6, v7
	v_lshrrev_b32_e32 v7, s64, v7
	s_delay_alu instid0(VALU_DEP_1) | instskip(SKIP_1) | instid1(VALU_DEP_2)
	v_mul_hi_u32 v9, s66, v7
	v_mul_lo_u32 v11, v7, s54
	v_add_nc_u32_e32 v2, v7, v9
	v_mul_lo_u32 v9, v6, s51
	s_delay_alu instid0(VALU_DEP_3) | instskip(NEXT) | instid1(VALU_DEP_3)
	v_sub_nc_u32_e32 v6, v6, v11
	v_lshrrev_b32_e32 v2, s67, v2
	s_delay_alu instid0(VALU_DEP_2) | instskip(SKIP_2) | instid1(VALU_DEP_4)
	v_mul_lo_u32 v11, v6, s60
	v_mul_lo_u32 v6, v6, s61
	v_sub_nc_u32_e32 v3, v3, v9
	v_mul_lo_u32 v12, v2, s65
	s_delay_alu instid0(VALU_DEP_2) | instskip(SKIP_1) | instid1(VALU_DEP_3)
	v_mul_lo_u32 v9, v3, s58
	v_mul_lo_u32 v3, v3, s59
	v_sub_nc_u32_e32 v7, v7, v12
	s_delay_alu instid0(VALU_DEP_3) | instskip(NEXT) | instid1(VALU_DEP_2)
	v_add3_u32 v0, v8, v0, v9
	v_mul_lo_u32 v12, v7, s62
	v_mul_lo_u32 v7, v7, s63
	v_add3_u32 v1, v10, v1, v3
	s_delay_alu instid0(VALU_DEP_3) | instskip(NEXT) | instid1(VALU_DEP_2)
	v_add3_u32 v0, v11, v0, v12
	v_add3_u32 v1, v6, v1, v7
	s_cbranch_scc0 .LBB473_812
	s_branch .LBB473_815
.LBB473_813:
	s_mov_b32 s35, -1
                                        ; implicit-def: $vgpr0
                                        ; implicit-def: $vgpr1
	s_branch .LBB473_818
.LBB473_814:
	v_dual_mov_b32 v2, v5 :: v_dual_mov_b32 v1, 0
.LBB473_815:
	s_and_b32 s43, s43, 3
	s_delay_alu instid0(SALU_CYCLE_1)
	s_cmp_eq_u32 s43, 0
	s_cbranch_scc1 .LBB473_818
; %bb.816:
	s_lshl_b32 s2, s34, 3
	s_mul_i32 s22, s34, 12
	s_add_u32 s2, s2, s16
	s_addc_u32 s3, s17, 0
	s_add_u32 s2, s2, 0xc4
	s_addc_u32 s3, s3, 0
	;; [unrolled: 2-line block ×3, first 2 shown]
.LBB473_817:                            ; =>This Inner Loop Header: Depth=1
	s_clause 0x1
	s_load_b64 s[44:45], s[22:23], 0x4
	s_load_b32 s34, s[22:23], 0xc
	s_load_b64 s[46:47], s[2:3], 0x0
	s_add_u32 s22, s22, 12
	s_addc_u32 s23, s23, 0
	s_add_u32 s2, s2, 8
	s_addc_u32 s3, s3, 0
	s_add_i32 s43, s43, -1
	s_delay_alu instid0(SALU_CYCLE_1) | instskip(SKIP_2) | instid1(VALU_DEP_1)
	s_cmp_lg_u32 s43, 0
	s_waitcnt vmcnt(0) lgkmcnt(0)
	v_mul_hi_u32 v3, s45, v2
	v_add_nc_u32_e32 v3, v2, v3
	s_delay_alu instid0(VALU_DEP_1) | instskip(NEXT) | instid1(VALU_DEP_1)
	v_lshrrev_b32_e32 v3, s34, v3
	v_mul_lo_u32 v6, v3, s44
	s_delay_alu instid0(VALU_DEP_1) | instskip(NEXT) | instid1(VALU_DEP_1)
	v_sub_nc_u32_e32 v2, v2, v6
	v_mad_u64_u32 v[6:7], null, v2, s46, v[0:1]
	v_mad_u64_u32 v[7:8], null, v2, s47, v[1:2]
	v_mov_b32_e32 v2, v3
	s_delay_alu instid0(VALU_DEP_2)
	v_dual_mov_b32 v0, v6 :: v_dual_mov_b32 v1, v7
	s_cbranch_scc1 .LBB473_817
.LBB473_818:
	s_and_not1_b32 vcc_lo, exec_lo, s35
	s_cbranch_vccnz .LBB473_821
; %bb.819:
	v_mul_hi_u32 v0, s13, v5
	s_and_not1_b32 vcc_lo, exec_lo, s31
	s_delay_alu instid0(VALU_DEP_1) | instskip(NEXT) | instid1(VALU_DEP_1)
	v_add_nc_u32_e32 v0, v5, v0
	v_lshrrev_b32_e32 v2, s14, v0
	s_delay_alu instid0(VALU_DEP_1) | instskip(NEXT) | instid1(VALU_DEP_1)
	v_mul_lo_u32 v0, v2, s12
	v_sub_nc_u32_e32 v1, v5, v0
	s_delay_alu instid0(VALU_DEP_1)
	v_mul_lo_u32 v0, v1, s8
	v_mul_lo_u32 v1, v1, s9
	s_cbranch_vccnz .LBB473_821
; %bb.820:
	s_waitcnt vmcnt(0)
	v_mul_hi_u32 v3, s20, v2
	s_delay_alu instid0(VALU_DEP_1) | instskip(NEXT) | instid1(VALU_DEP_1)
	v_add_nc_u32_e32 v3, v2, v3
	v_lshrrev_b32_e32 v3, s21, v3
	s_delay_alu instid0(VALU_DEP_1) | instskip(NEXT) | instid1(VALU_DEP_1)
	v_mul_lo_u32 v3, v3, s15
	v_sub_nc_u32_e32 v7, v2, v3
	s_delay_alu instid0(VALU_DEP_1) | instskip(NEXT) | instid1(VALU_DEP_1)
	v_mad_u64_u32 v[2:3], null, v7, s10, v[0:1]
	v_mad_u64_u32 v[5:6], null, v7, s11, v[1:2]
	s_delay_alu instid0(VALU_DEP_1)
	v_dual_mov_b32 v0, v2 :: v_dual_mov_b32 v1, v5
.LBB473_821:
	v_cmp_gt_i16_e32 vcc_lo, 11, v4
	s_delay_alu instid0(VALU_DEP_2) | instskip(NEXT) | instid1(VALU_DEP_1)
	v_add_co_u32 v1, s2, s6, v1
	v_add_co_ci_u32_e64 v2, null, s7, 0, s2
	s_mov_b32 s6, 0
	s_cbranch_vccnz .LBB473_828
; %bb.822:
	v_cmp_lt_i16_e32 vcc_lo, 25, v4
	s_mov_b32 s3, 0
	s_cbranch_vccz .LBB473_829
; %bb.823:
	v_cmp_lt_i16_e32 vcc_lo, 28, v4
	s_cbranch_vccz .LBB473_830
; %bb.824:
	v_cmp_lt_i16_e32 vcc_lo, 43, v4
	;; [unrolled: 3-line block ×3, first 2 shown]
	s_cbranch_vccz .LBB473_834
; %bb.826:
	v_cmp_eq_u16_e32 vcc_lo, 46, v4
	s_mov_b32 s7, 0
	s_cbranch_vccz .LBB473_837
; %bb.827:
	global_load_b32 v3, v[1:2], off
	s_mov_b32 s2, 0
	s_mov_b32 s6, -1
	s_waitcnt vmcnt(0)
	v_lshlrev_b32_e32 v6, 16, v3
	s_branch .LBB473_839
.LBB473_828:
	s_mov_b32 s7, -1
	s_mov_b32 s3, 0
	s_mov_b32 s2, s24
                                        ; implicit-def: $vgpr6
	s_branch .LBB473_902
.LBB473_829:
	s_mov_b32 s7, -1
	s_mov_b32 s2, s24
                                        ; implicit-def: $vgpr6
	s_branch .LBB473_868
.LBB473_830:
	s_mov_b32 s7, -1
	s_mov_b32 s2, s24
                                        ; implicit-def: $vgpr6
	s_branch .LBB473_849
.LBB473_831:
	s_mov_b32 s7, -1
	s_mov_b32 s2, s24
                                        ; implicit-def: $vgpr6
	s_branch .LBB473_844
.LBB473_832:
	s_or_saveexec_b32 s43, s43
                                        ; implicit-def: $sgpr44
	s_delay_alu instid0(SALU_CYCLE_1)
	s_xor_b32 exec_lo, exec_lo, s43
	s_cbranch_execz .LBB473_755
.LBB473_833:
	v_add_f32_e64 v3, 0x46000000, |v2|
	s_and_not1_b32 s25, s25, exec_lo
	s_mov_b32 s44, 0
	s_delay_alu instid0(VALU_DEP_1) | instskip(NEXT) | instid1(VALU_DEP_1)
	v_and_b32_e32 v3, 0xff, v3
	v_cmp_ne_u32_e32 vcc_lo, 0, v3
	s_and_b32 s45, vcc_lo, exec_lo
	s_delay_alu instid0(SALU_CYCLE_1)
	s_or_b32 s25, s25, s45
	s_or_b32 exec_lo, exec_lo, s43
	v_mov_b32_e32 v7, s44
	s_and_saveexec_b32 s43, s25
	s_cbranch_execnz .LBB473_756
	s_branch .LBB473_757
.LBB473_834:
	s_mov_b32 s7, -1
	s_mov_b32 s2, s24
	s_branch .LBB473_838
.LBB473_835:
	s_or_saveexec_b32 s43, s43
                                        ; implicit-def: $sgpr44
	s_delay_alu instid0(SALU_CYCLE_1)
	s_xor_b32 exec_lo, exec_lo, s43
	s_cbranch_execz .LBB473_768
.LBB473_836:
	v_add_f32_e64 v3, 0x42800000, |v2|
	s_and_not1_b32 s25, s25, exec_lo
	s_mov_b32 s44, 0
	s_delay_alu instid0(VALU_DEP_1) | instskip(NEXT) | instid1(VALU_DEP_1)
	v_and_b32_e32 v3, 0xff, v3
	v_cmp_ne_u32_e32 vcc_lo, 0, v3
	s_and_b32 s45, vcc_lo, exec_lo
	s_delay_alu instid0(SALU_CYCLE_1)
	s_or_b32 s25, s25, s45
	s_or_b32 exec_lo, exec_lo, s43
	v_mov_b32_e32 v7, s44
	s_and_saveexec_b32 s43, s25
	s_cbranch_execnz .LBB473_769
	s_branch .LBB473_770
.LBB473_837:
	s_mov_b32 s2, -1
.LBB473_838:
                                        ; implicit-def: $vgpr6
.LBB473_839:
	s_and_b32 vcc_lo, exec_lo, s7
	s_cbranch_vccz .LBB473_843
; %bb.840:
	v_cmp_eq_u16_e32 vcc_lo, 44, v4
	s_cbranch_vccz .LBB473_842
; %bb.841:
	global_load_u8 v3, v[1:2], off
	s_mov_b32 s2, 0
	s_mov_b32 s6, -1
	s_waitcnt vmcnt(0)
	v_lshlrev_b32_e32 v5, 23, v3
	v_cmp_ne_u32_e32 vcc_lo, 0xff, v3
	s_delay_alu instid0(VALU_DEP_2) | instskip(SKIP_1) | instid1(VALU_DEP_2)
	v_cndmask_b32_e32 v5, 0x7f800001, v5, vcc_lo
	v_cmp_ne_u32_e32 vcc_lo, 0, v3
	v_cndmask_b32_e32 v6, 0x400000, v5, vcc_lo
	s_branch .LBB473_843
.LBB473_842:
	s_mov_b32 s2, -1
                                        ; implicit-def: $vgpr6
.LBB473_843:
	s_mov_b32 s7, 0
.LBB473_844:
	s_delay_alu instid0(SALU_CYCLE_1)
	s_and_b32 vcc_lo, exec_lo, s7
	s_cbranch_vccz .LBB473_848
; %bb.845:
	v_cmp_eq_u16_e32 vcc_lo, 29, v4
	s_cbranch_vccz .LBB473_847
; %bb.846:
	global_load_b64 v[5:6], v[1:2], off
	s_mov_b32 s2, 0
	s_mov_b32 s6, -1
	s_mov_b32 s7, 0
	s_waitcnt vmcnt(0)
	v_clz_i32_u32_e32 v3, v6
	s_delay_alu instid0(VALU_DEP_1) | instskip(NEXT) | instid1(VALU_DEP_1)
	v_min_u32_e32 v3, 32, v3
	v_lshlrev_b64 v[5:6], v3, v[5:6]
	v_sub_nc_u32_e32 v3, 32, v3
	s_delay_alu instid0(VALU_DEP_2) | instskip(NEXT) | instid1(VALU_DEP_1)
	v_min_u32_e32 v5, 1, v5
	v_or_b32_e32 v5, v6, v5
	s_delay_alu instid0(VALU_DEP_1) | instskip(NEXT) | instid1(VALU_DEP_1)
	v_cvt_f32_u32_e32 v5, v5
	v_ldexp_f32 v6, v5, v3
	s_branch .LBB473_849
.LBB473_847:
	s_mov_b32 s2, -1
                                        ; implicit-def: $vgpr6
.LBB473_848:
	s_mov_b32 s7, 0
.LBB473_849:
	s_delay_alu instid0(SALU_CYCLE_1)
	s_and_b32 vcc_lo, exec_lo, s7
	s_cbranch_vccz .LBB473_867
; %bb.850:
	v_cmp_gt_i16_e32 vcc_lo, 27, v4
	s_cbranch_vccnz .LBB473_853
; %bb.851:
	v_cmp_lt_i16_e32 vcc_lo, 27, v4
	s_cbranch_vccz .LBB473_854
; %bb.852:
	global_load_b32 v3, v[1:2], off
	s_mov_b32 s6, 0
	s_waitcnt vmcnt(0)
	v_cvt_f32_u32_e32 v6, v3
	s_branch .LBB473_855
.LBB473_853:
	s_mov_b32 s6, -1
                                        ; implicit-def: $vgpr6
	s_branch .LBB473_858
.LBB473_854:
	s_mov_b32 s6, -1
                                        ; implicit-def: $vgpr6
.LBB473_855:
	s_delay_alu instid0(SALU_CYCLE_1)
	s_and_not1_b32 vcc_lo, exec_lo, s6
	s_cbranch_vccnz .LBB473_857
; %bb.856:
	global_load_u16 v3, v[1:2], off
	s_waitcnt vmcnt(0)
	v_cvt_f32_u32_e32 v6, v3
.LBB473_857:
	s_mov_b32 s6, 0
.LBB473_858:
	s_delay_alu instid0(SALU_CYCLE_1)
	s_and_not1_b32 vcc_lo, exec_lo, s6
	s_cbranch_vccnz .LBB473_866
; %bb.859:
	global_load_u8 v3, v[1:2], off
	s_mov_b32 s6, 0
	s_mov_b32 s8, exec_lo
                                        ; implicit-def: $sgpr7
	s_waitcnt vmcnt(0)
	v_cmpx_lt_i16_e32 0x7f, v3
	s_xor_b32 s8, exec_lo, s8
	s_cbranch_execz .LBB473_880
; %bb.860:
	s_mov_b32 s6, -1
	s_mov_b32 s9, exec_lo
                                        ; implicit-def: $sgpr7
	v_cmpx_eq_u16_e32 0x80, v3
; %bb.861:
	s_mov_b32 s7, 0x7f800001
	s_xor_b32 s6, exec_lo, -1
; %bb.862:
	s_or_b32 exec_lo, exec_lo, s9
	s_delay_alu instid0(SALU_CYCLE_1)
	s_and_b32 s6, s6, exec_lo
	s_or_saveexec_b32 s8, s8
	v_mov_b32_e32 v6, s7
	s_xor_b32 exec_lo, exec_lo, s8
	s_cbranch_execnz .LBB473_881
.LBB473_863:
	s_or_b32 exec_lo, exec_lo, s8
	s_and_saveexec_b32 s7, s6
	s_cbranch_execz .LBB473_865
.LBB473_864:
	v_and_b32_e32 v5, 0xffff, v3
	v_lshlrev_b32_e32 v3, 24, v3
	s_delay_alu instid0(VALU_DEP_2) | instskip(NEXT) | instid1(VALU_DEP_2)
	v_and_b32_e32 v6, 7, v5
	v_and_b32_e32 v3, 0x80000000, v3
	s_delay_alu instid0(VALU_DEP_2) | instskip(NEXT) | instid1(VALU_DEP_1)
	v_clz_i32_u32_e32 v7, v6
	v_min_u32_e32 v7, 32, v7
	s_delay_alu instid0(VALU_DEP_1) | instskip(SKIP_1) | instid1(VALU_DEP_2)
	v_subrev_nc_u32_e32 v8, 28, v7
	v_sub_nc_u32_e32 v7, 29, v7
	v_lshlrev_b32_e32 v8, v8, v5
	v_bfe_u32 v5, v5, 3, 4
	s_delay_alu instid0(VALU_DEP_2) | instskip(NEXT) | instid1(VALU_DEP_2)
	v_and_b32_e32 v8, 7, v8
	v_cmp_eq_u32_e32 vcc_lo, 0, v5
	s_delay_alu instid0(VALU_DEP_2) | instskip(NEXT) | instid1(VALU_DEP_1)
	v_dual_cndmask_b32 v5, v5, v7 :: v_dual_cndmask_b32 v6, v6, v8
	v_lshl_add_u32 v5, v5, 23, 0x3b800000
	s_delay_alu instid0(VALU_DEP_2) | instskip(NEXT) | instid1(VALU_DEP_1)
	v_lshlrev_b32_e32 v6, 20, v6
	v_or3_b32 v6, v3, v5, v6
.LBB473_865:
	s_or_b32 exec_lo, exec_lo, s7
.LBB473_866:
	s_mov_b32 s6, -1
.LBB473_867:
	s_mov_b32 s7, 0
.LBB473_868:
	s_delay_alu instid0(SALU_CYCLE_1)
	s_and_b32 vcc_lo, exec_lo, s7
	s_cbranch_vccz .LBB473_901
; %bb.869:
	v_cmp_lt_i16_e32 vcc_lo, 22, v4
	s_cbranch_vccz .LBB473_879
; %bb.870:
	v_cmp_gt_i16_e32 vcc_lo, 24, v4
	s_cbranch_vccnz .LBB473_882
; %bb.871:
	v_cmp_lt_i16_e32 vcc_lo, 24, v4
	s_cbranch_vccz .LBB473_883
; %bb.872:
	global_load_u8 v3, v[1:2], off
	s_mov_b32 s7, exec_lo
                                        ; implicit-def: $sgpr6
	s_waitcnt vmcnt(0)
	v_cmpx_lt_i16_e32 0x7f, v3
	s_xor_b32 s7, exec_lo, s7
	s_cbranch_execz .LBB473_895
; %bb.873:
	s_mov_b32 s3, -1
	s_mov_b32 s8, exec_lo
                                        ; implicit-def: $sgpr6
	v_cmpx_eq_u16_e32 0x80, v3
; %bb.874:
	s_mov_b32 s6, 0x7f800001
	s_xor_b32 s3, exec_lo, -1
; %bb.875:
	s_or_b32 exec_lo, exec_lo, s8
	s_delay_alu instid0(SALU_CYCLE_1)
	s_and_b32 s3, s3, exec_lo
	s_or_saveexec_b32 s7, s7
	v_mov_b32_e32 v6, s6
	s_xor_b32 exec_lo, exec_lo, s7
	s_cbranch_execnz .LBB473_896
.LBB473_876:
	s_or_b32 exec_lo, exec_lo, s7
	s_and_saveexec_b32 s6, s3
	s_cbranch_execz .LBB473_878
.LBB473_877:
	v_and_b32_e32 v5, 0xffff, v3
	v_lshlrev_b32_e32 v3, 24, v3
	s_delay_alu instid0(VALU_DEP_2) | instskip(NEXT) | instid1(VALU_DEP_2)
	v_and_b32_e32 v6, 3, v5
	v_and_b32_e32 v3, 0x80000000, v3
	s_delay_alu instid0(VALU_DEP_2) | instskip(NEXT) | instid1(VALU_DEP_1)
	v_clz_i32_u32_e32 v7, v6
	v_min_u32_e32 v7, 32, v7
	s_delay_alu instid0(VALU_DEP_1) | instskip(SKIP_1) | instid1(VALU_DEP_2)
	v_subrev_nc_u32_e32 v8, 29, v7
	v_sub_nc_u32_e32 v7, 30, v7
	v_lshlrev_b32_e32 v8, v8, v5
	v_bfe_u32 v5, v5, 2, 5
	s_delay_alu instid0(VALU_DEP_2) | instskip(NEXT) | instid1(VALU_DEP_2)
	v_and_b32_e32 v8, 3, v8
	v_cmp_eq_u32_e32 vcc_lo, 0, v5
	s_delay_alu instid0(VALU_DEP_2) | instskip(NEXT) | instid1(VALU_DEP_1)
	v_dual_cndmask_b32 v5, v5, v7 :: v_dual_cndmask_b32 v6, v6, v8
	v_lshl_add_u32 v5, v5, 23, 0x37800000
	s_delay_alu instid0(VALU_DEP_2) | instskip(NEXT) | instid1(VALU_DEP_1)
	v_lshlrev_b32_e32 v6, 21, v6
	v_or3_b32 v6, v3, v5, v6
.LBB473_878:
	s_or_b32 exec_lo, exec_lo, s6
	s_mov_b32 s3, 0
	s_branch .LBB473_884
.LBB473_879:
	s_mov_b32 s3, -1
                                        ; implicit-def: $vgpr6
	s_branch .LBB473_890
.LBB473_880:
	s_or_saveexec_b32 s8, s8
	v_mov_b32_e32 v6, s7
	s_xor_b32 exec_lo, exec_lo, s8
	s_cbranch_execz .LBB473_863
.LBB473_881:
	v_cmp_ne_u16_e32 vcc_lo, 0, v3
	v_mov_b32_e32 v6, 0
	s_and_not1_b32 s6, s6, exec_lo
	s_and_b32 s7, vcc_lo, exec_lo
	s_delay_alu instid0(SALU_CYCLE_1)
	s_or_b32 s6, s6, s7
	s_or_b32 exec_lo, exec_lo, s8
	s_and_saveexec_b32 s7, s6
	s_cbranch_execnz .LBB473_864
	s_branch .LBB473_865
.LBB473_882:
	s_mov_b32 s3, -1
                                        ; implicit-def: $vgpr6
	s_branch .LBB473_887
.LBB473_883:
	s_mov_b32 s3, -1
                                        ; implicit-def: $vgpr6
.LBB473_884:
	s_delay_alu instid0(SALU_CYCLE_1)
	s_and_b32 vcc_lo, exec_lo, s3
	s_cbranch_vccz .LBB473_886
; %bb.885:
	global_load_u8 v3, v[1:2], off
	s_waitcnt vmcnt(0)
	v_lshlrev_b32_e32 v3, 24, v3
	s_delay_alu instid0(VALU_DEP_1) | instskip(NEXT) | instid1(VALU_DEP_1)
	v_and_b32_e32 v5, 0x7f000000, v3
	v_clz_i32_u32_e32 v6, v5
	v_cmp_ne_u32_e32 vcc_lo, 0, v5
	v_add_nc_u32_e32 v8, 0x1000000, v5
	s_delay_alu instid0(VALU_DEP_3) | instskip(NEXT) | instid1(VALU_DEP_1)
	v_min_u32_e32 v6, 32, v6
	v_sub_nc_u32_e64 v6, v6, 4 clamp
	s_delay_alu instid0(VALU_DEP_1) | instskip(SKIP_1) | instid1(VALU_DEP_2)
	v_lshlrev_b32_e32 v7, v6, v5
	v_lshlrev_b32_e32 v6, 23, v6
	v_lshrrev_b32_e32 v7, 4, v7
	s_delay_alu instid0(VALU_DEP_1) | instskip(SKIP_1) | instid1(VALU_DEP_2)
	v_sub_nc_u32_e32 v6, v7, v6
	v_ashrrev_i32_e32 v7, 8, v8
	v_add_nc_u32_e32 v6, 0x3c000000, v6
	s_delay_alu instid0(VALU_DEP_1) | instskip(NEXT) | instid1(VALU_DEP_1)
	v_and_or_b32 v6, 0x7f800000, v7, v6
	v_cndmask_b32_e32 v5, 0, v6, vcc_lo
	s_delay_alu instid0(VALU_DEP_1)
	v_and_or_b32 v6, 0x80000000, v3, v5
.LBB473_886:
	s_mov_b32 s3, 0
.LBB473_887:
	s_delay_alu instid0(SALU_CYCLE_1)
	s_and_not1_b32 vcc_lo, exec_lo, s3
	s_cbranch_vccnz .LBB473_889
; %bb.888:
	global_load_u8 v3, v[1:2], off
	s_waitcnt vmcnt(0)
	v_lshlrev_b32_e32 v5, 25, v3
	v_lshlrev_b16 v3, 8, v3
	s_delay_alu instid0(VALU_DEP_2) | instskip(NEXT) | instid1(VALU_DEP_2)
	v_lshrrev_b32_e32 v6, 4, v5
	v_and_or_b32 v7, 0x7f00, v3, 0.5
	v_bfe_i32 v3, v3, 0, 16
	s_delay_alu instid0(VALU_DEP_3) | instskip(NEXT) | instid1(VALU_DEP_1)
	v_or_b32_e32 v6, 0x70000000, v6
	v_dual_add_f32 v7, -0.5, v7 :: v_dual_mul_f32 v6, 0x7800000, v6
	v_cmp_gt_u32_e32 vcc_lo, 0x8000000, v5
	s_delay_alu instid0(VALU_DEP_2) | instskip(NEXT) | instid1(VALU_DEP_1)
	v_cndmask_b32_e32 v5, v6, v7, vcc_lo
	v_and_or_b32 v6, 0x80000000, v3, v5
.LBB473_889:
	s_mov_b32 s3, 0
	s_mov_b32 s6, -1
.LBB473_890:
	s_and_not1_b32 vcc_lo, exec_lo, s3
	s_mov_b32 s3, 0
	s_cbranch_vccnz .LBB473_901
; %bb.891:
	v_cmp_lt_i16_e32 vcc_lo, 14, v4
	s_cbranch_vccz .LBB473_894
; %bb.892:
	v_cmp_eq_u16_e32 vcc_lo, 15, v4
	s_cbranch_vccz .LBB473_897
; %bb.893:
	global_load_u16 v3, v[1:2], off
	s_mov_b32 s2, 0
	s_mov_b32 s6, -1
	s_waitcnt vmcnt(0)
	v_lshlrev_b32_e32 v6, 16, v3
	s_branch .LBB473_899
.LBB473_894:
	s_mov_b32 s3, -1
	s_branch .LBB473_898
.LBB473_895:
	s_or_saveexec_b32 s7, s7
	v_mov_b32_e32 v6, s6
	s_xor_b32 exec_lo, exec_lo, s7
	s_cbranch_execz .LBB473_876
.LBB473_896:
	v_cmp_ne_u16_e32 vcc_lo, 0, v3
	v_mov_b32_e32 v6, 0
	s_and_not1_b32 s3, s3, exec_lo
	s_and_b32 s6, vcc_lo, exec_lo
	s_delay_alu instid0(SALU_CYCLE_1)
	s_or_b32 s3, s3, s6
	s_or_b32 exec_lo, exec_lo, s7
	s_and_saveexec_b32 s6, s3
	s_cbranch_execnz .LBB473_877
	s_branch .LBB473_878
.LBB473_897:
	s_mov_b32 s2, -1
.LBB473_898:
                                        ; implicit-def: $vgpr6
.LBB473_899:
	s_and_b32 vcc_lo, exec_lo, s3
	s_mov_b32 s3, 0
	s_cbranch_vccz .LBB473_901
; %bb.900:
	v_cmp_ne_u16_e32 vcc_lo, 11, v4
	s_and_not1_b32 s2, s2, exec_lo
	s_mov_b32 s3, -1
                                        ; implicit-def: $vgpr6
	s_and_b32 s7, vcc_lo, exec_lo
	s_delay_alu instid0(SALU_CYCLE_1)
	s_or_b32 s2, s2, s7
.LBB473_901:
	s_mov_b32 s7, 0
.LBB473_902:
	s_and_b32 s43, s6, exec_lo
	s_and_b32 s44, s7, exec_lo
	s_and_not1_b32 s6, s24, exec_lo
	s_and_b32 s7, s2, exec_lo
	s_and_b32 s2, s3, exec_lo
	s_or_b32 s45, s6, s7
.LBB473_903:
	s_or_b32 exec_lo, exec_lo, s33
	s_delay_alu instid0(SALU_CYCLE_1)
	s_and_not1_b32 s6, s24, exec_lo
	s_and_b32 s7, s45, exec_lo
	s_and_b32 s43, s43, exec_lo
	;; [unrolled: 1-line block ×4, first 2 shown]
	s_or_b32 s24, s6, s7
.LBB473_904:
	s_or_b32 exec_lo, exec_lo, s42
	s_delay_alu instid0(SALU_CYCLE_1)
	s_and_not1_b32 s6, s40, exec_lo
	s_and_b32 s7, s25, exec_lo
	s_and_b32 s42, s43, exec_lo
	s_or_b32 s40, s6, s7
	s_and_not1_b32 s6, s39, exec_lo
	s_and_b32 s7, s24, exec_lo
	s_and_b32 s25, s3, exec_lo
	;; [unrolled: 1-line block ×3, first 2 shown]
	s_or_b32 s39, s6, s7
.LBB473_905:
	s_or_b32 exec_lo, exec_lo, s41
	s_delay_alu instid0(SALU_CYCLE_1)
	s_and_not1_b32 s2, s36, exec_lo
	s_and_b32 s6, s40, exec_lo
	s_and_b32 s7, s39, exec_lo
	s_or_b32 s36, s2, s6
	s_and_not1_b32 s6, s37, exec_lo
	s_and_b32 s2, s42, exec_lo
	s_and_b32 s24, s25, exec_lo
	;; [unrolled: 1-line block ×3, first 2 shown]
	s_or_b32 s37, s6, s7
.LBB473_906:
	s_or_b32 exec_lo, exec_lo, s38
	s_mov_b32 s3, 0
	s_and_saveexec_b32 s6, s37
	s_cbranch_execnz .LBB473_918
; %bb.907:
	s_or_b32 exec_lo, exec_lo, s6
	s_and_saveexec_b32 s6, s39
	s_delay_alu instid0(SALU_CYCLE_1)
	s_xor_b32 s6, exec_lo, s6
	s_cbranch_execz .LBB473_909
.LBB473_908:
	global_load_u8 v3, v[1:2], off
	s_or_b32 s2, s2, exec_lo
	s_waitcnt vmcnt(0)
	v_cmp_ne_u16_e32 vcc_lo, 0, v3
	v_cndmask_b32_e64 v6, 0, 1.0, vcc_lo
.LBB473_909:
	s_or_b32 exec_lo, exec_lo, s6
	s_and_saveexec_b32 s6, s24
	s_cbranch_execz .LBB473_957
; %bb.910:
	v_cmp_gt_i16_e32 vcc_lo, 5, v4
	s_cbranch_vccnz .LBB473_915
; %bb.911:
	v_cmp_gt_i16_e32 vcc_lo, 8, v4
	s_cbranch_vccnz .LBB473_916
	;; [unrolled: 3-line block ×3, first 2 shown]
; %bb.913:
	v_cmp_lt_i16_e32 vcc_lo, 9, v4
	s_cbranch_vccz .LBB473_920
; %bb.914:
	global_load_b64 v[5:6], v[1:2], off
	s_mov_b32 s7, 0
	s_waitcnt vmcnt(0)
	v_cvt_f32_f64_e32 v6, v[5:6]
	s_branch .LBB473_921
.LBB473_915:
                                        ; implicit-def: $vgpr6
	s_branch .LBB473_938
.LBB473_916:
                                        ; implicit-def: $vgpr6
	s_branch .LBB473_927
.LBB473_917:
	s_mov_b32 s7, -1
                                        ; implicit-def: $vgpr6
	s_branch .LBB473_924
.LBB473_918:
	s_cbranch_execnz .LBB473_1188
; %bb.919:
	s_mov_b32 s3, exec_lo
	s_and_not1_b32 s39, s39, exec_lo
                                        ; implicit-def: $vgpr6
	s_or_b32 exec_lo, exec_lo, s6
	s_and_saveexec_b32 s6, s39
	s_delay_alu instid0(SALU_CYCLE_1)
	s_xor_b32 s6, exec_lo, s6
	s_cbranch_execnz .LBB473_908
	s_branch .LBB473_909
.LBB473_920:
	s_mov_b32 s7, -1
                                        ; implicit-def: $vgpr6
.LBB473_921:
	s_delay_alu instid0(SALU_CYCLE_1)
	s_and_not1_b32 vcc_lo, exec_lo, s7
	s_cbranch_vccnz .LBB473_923
; %bb.922:
	global_load_b32 v6, v[1:2], off
.LBB473_923:
	s_mov_b32 s7, 0
.LBB473_924:
	s_delay_alu instid0(SALU_CYCLE_1)
	s_and_not1_b32 vcc_lo, exec_lo, s7
	s_cbranch_vccnz .LBB473_926
; %bb.925:
	global_load_b32 v3, v[1:2], off
	s_waitcnt vmcnt(0)
	v_cvt_f32_f16_e32 v6, v3
.LBB473_926:
	s_cbranch_execnz .LBB473_937
.LBB473_927:
	v_cmp_gt_i16_e32 vcc_lo, 6, v4
	s_cbranch_vccnz .LBB473_930
; %bb.928:
	v_cmp_lt_i16_e32 vcc_lo, 6, v4
	s_cbranch_vccz .LBB473_931
; %bb.929:
	global_load_b64 v[5:6], v[1:2], off
	s_mov_b32 s7, 0
	s_waitcnt vmcnt(0)
	v_cvt_f32_f64_e32 v6, v[5:6]
	s_branch .LBB473_932
.LBB473_930:
	s_mov_b32 s7, -1
                                        ; implicit-def: $vgpr6
	s_branch .LBB473_935
.LBB473_931:
	s_mov_b32 s7, -1
                                        ; implicit-def: $vgpr6
.LBB473_932:
	s_delay_alu instid0(SALU_CYCLE_1)
	s_and_not1_b32 vcc_lo, exec_lo, s7
	s_cbranch_vccnz .LBB473_934
; %bb.933:
	global_load_b32 v6, v[1:2], off
.LBB473_934:
	s_mov_b32 s7, 0
.LBB473_935:
	s_delay_alu instid0(SALU_CYCLE_1)
	s_and_not1_b32 vcc_lo, exec_lo, s7
	s_cbranch_vccnz .LBB473_937
; %bb.936:
	global_load_u16 v3, v[1:2], off
	s_waitcnt vmcnt(0)
	v_cvt_f32_f16_e32 v6, v3
.LBB473_937:
	s_cbranch_execnz .LBB473_956
.LBB473_938:
	v_cmp_gt_i16_e32 vcc_lo, 2, v4
	s_cbranch_vccnz .LBB473_942
; %bb.939:
	v_cmp_gt_i16_e32 vcc_lo, 3, v4
	s_cbranch_vccnz .LBB473_943
; %bb.940:
	v_cmp_lt_i16_e32 vcc_lo, 3, v4
	s_cbranch_vccz .LBB473_944
; %bb.941:
	global_load_b64 v[5:6], v[1:2], off
	s_mov_b32 s7, 0
	s_waitcnt vmcnt(0)
	v_xor_b32_e32 v3, v5, v6
	v_cls_i32_e32 v7, v6
	s_delay_alu instid0(VALU_DEP_2) | instskip(NEXT) | instid1(VALU_DEP_2)
	v_ashrrev_i32_e32 v3, 31, v3
	v_add_nc_u32_e32 v7, -1, v7
	s_delay_alu instid0(VALU_DEP_2) | instskip(NEXT) | instid1(VALU_DEP_1)
	v_add_nc_u32_e32 v3, 32, v3
	v_min_u32_e32 v3, v7, v3
	s_delay_alu instid0(VALU_DEP_1) | instskip(SKIP_1) | instid1(VALU_DEP_2)
	v_lshlrev_b64 v[5:6], v3, v[5:6]
	v_sub_nc_u32_e32 v3, 32, v3
	v_min_u32_e32 v5, 1, v5
	s_delay_alu instid0(VALU_DEP_1) | instskip(NEXT) | instid1(VALU_DEP_1)
	v_or_b32_e32 v5, v6, v5
	v_cvt_f32_i32_e32 v5, v5
	s_delay_alu instid0(VALU_DEP_1)
	v_ldexp_f32 v6, v5, v3
	s_branch .LBB473_945
.LBB473_942:
                                        ; implicit-def: $vgpr6
	s_branch .LBB473_951
.LBB473_943:
	s_mov_b32 s7, -1
                                        ; implicit-def: $vgpr6
	s_branch .LBB473_948
.LBB473_944:
	s_mov_b32 s7, -1
                                        ; implicit-def: $vgpr6
.LBB473_945:
	s_delay_alu instid0(SALU_CYCLE_1)
	s_and_not1_b32 vcc_lo, exec_lo, s7
	s_cbranch_vccnz .LBB473_947
; %bb.946:
	global_load_b32 v3, v[1:2], off
	s_waitcnt vmcnt(0)
	v_cvt_f32_i32_e32 v6, v3
.LBB473_947:
	s_mov_b32 s7, 0
.LBB473_948:
	s_delay_alu instid0(SALU_CYCLE_1)
	s_and_not1_b32 vcc_lo, exec_lo, s7
	s_cbranch_vccnz .LBB473_950
; %bb.949:
	global_load_i16 v3, v[1:2], off
	s_waitcnt vmcnt(0)
	v_cvt_f32_i32_e32 v6, v3
.LBB473_950:
	s_cbranch_execnz .LBB473_956
.LBB473_951:
	v_cmp_lt_i16_e32 vcc_lo, 0, v4
	s_mov_b32 s7, 0
	s_cbranch_vccz .LBB473_953
; %bb.952:
	global_load_i8 v3, v[1:2], off
	s_waitcnt vmcnt(0)
	v_cvt_f32_i32_e32 v6, v3
	s_branch .LBB473_954
.LBB473_953:
	s_mov_b32 s7, -1
                                        ; implicit-def: $vgpr6
.LBB473_954:
	s_delay_alu instid0(SALU_CYCLE_1)
	s_and_not1_b32 vcc_lo, exec_lo, s7
	s_cbranch_vccnz .LBB473_956
; %bb.955:
	global_load_u8 v1, v[1:2], off
	s_waitcnt vmcnt(0)
	v_cvt_f32_ubyte0_e32 v6, v1
.LBB473_956:
	s_or_b32 s2, s2, exec_lo
.LBB473_957:
	s_or_b32 exec_lo, exec_lo, s6
	s_mov_b32 s8, 0
	s_mov_b32 s7, 0
                                        ; implicit-def: $vgpr5
                                        ; implicit-def: $vgpr1_vgpr2
                                        ; implicit-def: $vgpr3
	s_and_saveexec_b32 s6, s2
	s_cbranch_execz .LBB473_1034
; %bb.958:
	v_max_f32_e64 v1, s18, s18
	s_waitcnt vmcnt(0)
	s_delay_alu instid0(VALU_DEP_2) | instskip(SKIP_2) | instid1(VALU_DEP_3)
	v_max_f32_e32 v2, v6, v6
	v_and_b32_e64 v5, 0xff, s19
	v_cmp_u_f32_e64 s2, v6, v6
	v_min_f32_e32 v1, v2, v1
	s_delay_alu instid0(VALU_DEP_3) | instskip(NEXT) | instid1(VALU_DEP_2)
	v_cmp_gt_i16_e32 vcc_lo, 11, v5
	v_cndmask_b32_e64 v3, v1, v6, s2
	v_add_co_u32 v1, s2, s4, v0
	s_delay_alu instid0(VALU_DEP_1)
	v_add_co_ci_u32_e64 v2, null, s5, 0, s2
	s_mov_b32 s4, -1
	s_mov_b32 s2, s36
	s_cbranch_vccnz .LBB473_1033
; %bb.959:
	v_cmp_lt_i16_e32 vcc_lo, 25, v5
	s_mov_b32 s2, s36
	s_cbranch_vccz .LBB473_992
; %bb.960:
	v_cmp_lt_i16_e32 vcc_lo, 28, v5
	s_mov_b32 s2, s36
	s_cbranch_vccz .LBB473_976
	;; [unrolled: 4-line block ×4, first 2 shown]
; %bb.963:
	v_cmp_eq_u16_e32 vcc_lo, 46, v5
	s_mov_b32 s2, -1
	s_cbranch_vccz .LBB473_965
; %bb.964:
	v_bfe_u32 v0, v3, 16, 1
	v_cmp_o_f32_e32 vcc_lo, v3, v3
	s_mov_b32 s2, 0
	s_delay_alu instid0(VALU_DEP_2) | instskip(NEXT) | instid1(VALU_DEP_1)
	v_add3_u32 v0, v3, v0, 0x7fff
	v_lshrrev_b32_e32 v0, 16, v0
	s_delay_alu instid0(VALU_DEP_1)
	v_cndmask_b32_e32 v0, 0x7fc0, v0, vcc_lo
	global_store_b32 v[1:2], v0, off
.LBB473_965:
	s_mov_b32 s4, 0
.LBB473_966:
	s_delay_alu instid0(SALU_CYCLE_1)
	s_and_b32 vcc_lo, exec_lo, s4
	s_cbranch_vccz .LBB473_971
; %bb.967:
	v_cmp_eq_u16_e32 vcc_lo, 44, v5
	s_mov_b32 s2, -1
	s_cbranch_vccz .LBB473_971
; %bb.968:
	v_bfe_u32 v4, v3, 23, 8
	v_mov_b32_e32 v0, 0xff
	s_mov_b32 s4, exec_lo
	s_delay_alu instid0(VALU_DEP_2)
	v_cmpx_ne_u32_e32 0xff, v4
; %bb.969:
	v_and_b32_e32 v0, 0x400000, v3
	v_and_or_b32 v4, 0x3fffff, v3, v4
	s_delay_alu instid0(VALU_DEP_2) | instskip(NEXT) | instid1(VALU_DEP_2)
	v_cmp_ne_u32_e32 vcc_lo, 0, v0
	v_cmp_ne_u32_e64 s2, 0, v4
	v_lshrrev_b32_e32 v0, 23, v3
	s_delay_alu instid0(VALU_DEP_2) | instskip(NEXT) | instid1(SALU_CYCLE_1)
	s_and_b32 s2, vcc_lo, s2
	v_cndmask_b32_e64 v4, 0, 1, s2
	s_delay_alu instid0(VALU_DEP_1)
	v_add_nc_u32_e32 v0, v0, v4
; %bb.970:
	s_or_b32 exec_lo, exec_lo, s4
	s_mov_b32 s2, 0
	global_store_b8 v[1:2], v0, off
.LBB473_971:
	s_mov_b32 s4, 0
.LBB473_972:
	s_delay_alu instid0(SALU_CYCLE_1)
	s_and_b32 vcc_lo, exec_lo, s4
	s_cbranch_vccz .LBB473_975
; %bb.973:
	v_cmp_eq_u16_e32 vcc_lo, 29, v5
	s_mov_b32 s2, -1
	s_cbranch_vccz .LBB473_975
; %bb.974:
	v_trunc_f32_e32 v0, v3
	s_mov_b32 s2, 0
	s_delay_alu instid0(VALU_DEP_1) | instskip(NEXT) | instid1(VALU_DEP_1)
	v_mul_f32_e32 v4, 0x2f800000, v0
	v_floor_f32_e32 v4, v4
	s_delay_alu instid0(VALU_DEP_1) | instskip(SKIP_1) | instid1(VALU_DEP_2)
	v_fmamk_f32 v0, v4, 0xcf800000, v0
	v_cvt_u32_f32_e32 v7, v4
	v_cvt_u32_f32_e32 v6, v0
	global_store_b64 v[1:2], v[6:7], off
.LBB473_975:
	s_mov_b32 s4, 0
.LBB473_976:
	s_delay_alu instid0(SALU_CYCLE_1)
	s_and_b32 vcc_lo, exec_lo, s4
	s_cbranch_vccz .LBB473_991
; %bb.977:
	v_cmp_gt_i16_e32 vcc_lo, 27, v5
	s_mov_b32 s4, -1
	s_cbranch_vccnz .LBB473_983
; %bb.978:
	v_cmp_lt_i16_e32 vcc_lo, 27, v5
	v_cvt_u32_f32_e32 v0, v3
	s_cbranch_vccz .LBB473_980
; %bb.979:
	s_mov_b32 s4, 0
	global_store_b32 v[1:2], v0, off
.LBB473_980:
	s_and_not1_b32 vcc_lo, exec_lo, s4
	s_cbranch_vccnz .LBB473_982
; %bb.981:
	global_store_b16 v[1:2], v0, off
.LBB473_982:
	s_mov_b32 s4, 0
.LBB473_983:
	s_delay_alu instid0(SALU_CYCLE_1)
	s_and_not1_b32 vcc_lo, exec_lo, s4
	s_cbranch_vccnz .LBB473_991
; %bb.984:
	v_and_b32_e32 v0, 0x7fffffff, v3
	v_mov_b32_e32 v4, 0x80
	s_mov_b32 s4, exec_lo
	s_delay_alu instid0(VALU_DEP_2)
	v_cmpx_gt_u32_e32 0x43800000, v0
	s_cbranch_execz .LBB473_990
; %bb.985:
	v_cmp_lt_u32_e32 vcc_lo, 0x3bffffff, v0
	s_mov_b32 s5, 0
                                        ; implicit-def: $vgpr0
	s_and_saveexec_b32 s7, vcc_lo
	s_delay_alu instid0(SALU_CYCLE_1)
	s_xor_b32 s7, exec_lo, s7
	s_cbranch_execz .LBB473_1279
; %bb.986:
	v_bfe_u32 v0, v3, 20, 1
	s_mov_b32 s5, exec_lo
	s_delay_alu instid0(VALU_DEP_1) | instskip(NEXT) | instid1(VALU_DEP_1)
	v_add3_u32 v0, v3, v0, 0x487ffff
	v_lshrrev_b32_e32 v0, 20, v0
	s_or_saveexec_b32 s7, s7
                                        ; implicit-def: $sgpr8
	s_delay_alu instid0(SALU_CYCLE_1)
	s_xor_b32 exec_lo, exec_lo, s7
	s_cbranch_execnz .LBB473_1280
.LBB473_987:
	s_or_b32 exec_lo, exec_lo, s7
	v_mov_b32_e32 v4, s8
	s_and_saveexec_b32 s7, s5
.LBB473_988:
	v_lshrrev_b32_e32 v4, 24, v3
	s_delay_alu instid0(VALU_DEP_1)
	v_and_or_b32 v4, 0x80, v4, v0
.LBB473_989:
	s_or_b32 exec_lo, exec_lo, s7
.LBB473_990:
	s_delay_alu instid0(SALU_CYCLE_1)
	s_or_b32 exec_lo, exec_lo, s4
	global_store_b8 v[1:2], v4, off
.LBB473_991:
	s_mov_b32 s4, 0
.LBB473_992:
	s_delay_alu instid0(SALU_CYCLE_1)
	s_and_b32 vcc_lo, exec_lo, s4
	s_mov_b32 s4, 0
	s_cbranch_vccz .LBB473_1032
; %bb.993:
	v_cmp_lt_i16_e32 vcc_lo, 22, v5
	s_mov_b32 s5, -1
	s_cbranch_vccz .LBB473_1025
; %bb.994:
	v_cmp_gt_i16_e32 vcc_lo, 24, v5
	s_cbranch_vccnz .LBB473_1014
; %bb.995:
	v_cmp_lt_i16_e32 vcc_lo, 24, v5
	s_cbranch_vccz .LBB473_1003
; %bb.996:
	v_and_b32_e32 v0, 0x7fffffff, v3
	v_mov_b32_e32 v4, 0x80
	s_mov_b32 s5, exec_lo
	s_delay_alu instid0(VALU_DEP_2)
	v_cmpx_gt_u32_e32 0x47800000, v0
	s_cbranch_execz .LBB473_1002
; %bb.997:
	v_cmp_lt_u32_e32 vcc_lo, 0x37ffffff, v0
	s_mov_b32 s7, 0
                                        ; implicit-def: $vgpr0
	s_and_saveexec_b32 s8, vcc_lo
	s_delay_alu instid0(SALU_CYCLE_1)
	s_xor_b32 s8, exec_lo, s8
	s_cbranch_execz .LBB473_1323
; %bb.998:
	v_bfe_u32 v0, v3, 21, 1
	s_mov_b32 s7, exec_lo
	s_delay_alu instid0(VALU_DEP_1) | instskip(NEXT) | instid1(VALU_DEP_1)
	v_add3_u32 v0, v3, v0, 0x88fffff
	v_lshrrev_b32_e32 v0, 21, v0
	s_or_saveexec_b32 s8, s8
                                        ; implicit-def: $sgpr9
	s_delay_alu instid0(SALU_CYCLE_1)
	s_xor_b32 exec_lo, exec_lo, s8
	s_cbranch_execnz .LBB473_1324
.LBB473_999:
	s_or_b32 exec_lo, exec_lo, s8
	v_mov_b32_e32 v4, s9
	s_and_saveexec_b32 s8, s7
.LBB473_1000:
	v_lshrrev_b32_e32 v4, 24, v3
	s_delay_alu instid0(VALU_DEP_1)
	v_and_or_b32 v4, 0x80, v4, v0
.LBB473_1001:
	s_or_b32 exec_lo, exec_lo, s8
.LBB473_1002:
	s_delay_alu instid0(SALU_CYCLE_1)
	s_or_b32 exec_lo, exec_lo, s5
	s_mov_b32 s5, 0
	global_store_b8 v[1:2], v4, off
.LBB473_1003:
	s_and_b32 vcc_lo, exec_lo, s5
	s_cbranch_vccz .LBB473_1013
; %bb.1004:
	v_and_b32_e32 v4, 0x7fffffff, v3
	s_mov_b32 s5, exec_lo
                                        ; implicit-def: $vgpr0
	s_delay_alu instid0(VALU_DEP_1)
	v_cmpx_gt_u32_e32 0x43f00000, v4
	s_xor_b32 s5, exec_lo, s5
	s_cbranch_execz .LBB473_1010
; %bb.1005:
	s_mov_b32 s7, exec_lo
                                        ; implicit-def: $vgpr0
	v_cmpx_lt_u32_e32 0x3c7fffff, v4
	s_xor_b32 s7, exec_lo, s7
; %bb.1006:
	v_bfe_u32 v0, v3, 20, 1
	s_delay_alu instid0(VALU_DEP_1) | instskip(NEXT) | instid1(VALU_DEP_1)
	v_add3_u32 v0, v3, v0, 0x407ffff
	v_and_b32_e32 v4, 0xff00000, v0
	v_lshrrev_b32_e32 v0, 20, v0
	s_delay_alu instid0(VALU_DEP_2) | instskip(NEXT) | instid1(VALU_DEP_2)
	v_cmp_ne_u32_e32 vcc_lo, 0x7f00000, v4
	v_cndmask_b32_e32 v0, 0x7e, v0, vcc_lo
; %bb.1007:
	s_and_not1_saveexec_b32 s7, s7
; %bb.1008:
	v_add_f32_e64 v0, 0x46800000, |v3|
; %bb.1009:
	s_or_b32 exec_lo, exec_lo, s7
                                        ; implicit-def: $vgpr4
.LBB473_1010:
	s_and_not1_saveexec_b32 s5, s5
; %bb.1011:
	v_mov_b32_e32 v0, 0x7f
	v_cmp_lt_u32_e32 vcc_lo, 0x7f800000, v4
	s_delay_alu instid0(VALU_DEP_2)
	v_cndmask_b32_e32 v0, 0x7e, v0, vcc_lo
; %bb.1012:
	s_or_b32 exec_lo, exec_lo, s5
	v_lshrrev_b32_e32 v4, 24, v3
	s_delay_alu instid0(VALU_DEP_1)
	v_and_or_b32 v0, 0x80, v4, v0
	global_store_b8 v[1:2], v0, off
.LBB473_1013:
	s_mov_b32 s5, 0
.LBB473_1014:
	s_delay_alu instid0(SALU_CYCLE_1)
	s_and_not1_b32 vcc_lo, exec_lo, s5
	s_cbranch_vccnz .LBB473_1024
; %bb.1015:
	v_and_b32_e32 v4, 0x7fffffff, v3
	s_mov_b32 s5, exec_lo
                                        ; implicit-def: $vgpr0
	s_delay_alu instid0(VALU_DEP_1)
	v_cmpx_gt_u32_e32 0x47800000, v4
	s_xor_b32 s5, exec_lo, s5
	s_cbranch_execz .LBB473_1021
; %bb.1016:
	s_mov_b32 s7, exec_lo
                                        ; implicit-def: $vgpr0
	v_cmpx_lt_u32_e32 0x387fffff, v4
	s_xor_b32 s7, exec_lo, s7
; %bb.1017:
	v_bfe_u32 v0, v3, 21, 1
	s_delay_alu instid0(VALU_DEP_1) | instskip(NEXT) | instid1(VALU_DEP_1)
	v_add3_u32 v0, v3, v0, 0x80fffff
	v_lshrrev_b32_e32 v0, 21, v0
; %bb.1018:
	s_and_not1_saveexec_b32 s7, s7
; %bb.1019:
	v_add_f32_e64 v0, 0x43000000, |v3|
; %bb.1020:
	s_or_b32 exec_lo, exec_lo, s7
                                        ; implicit-def: $vgpr4
.LBB473_1021:
	s_and_not1_saveexec_b32 s5, s5
; %bb.1022:
	v_mov_b32_e32 v0, 0x7f
	v_cmp_lt_u32_e32 vcc_lo, 0x7f800000, v4
	s_delay_alu instid0(VALU_DEP_2)
	v_cndmask_b32_e32 v0, 0x7c, v0, vcc_lo
; %bb.1023:
	s_or_b32 exec_lo, exec_lo, s5
	v_lshrrev_b32_e32 v4, 24, v3
	s_delay_alu instid0(VALU_DEP_1)
	v_and_or_b32 v0, 0x80, v4, v0
	global_store_b8 v[1:2], v0, off
.LBB473_1024:
	s_mov_b32 s5, 0
.LBB473_1025:
	s_delay_alu instid0(SALU_CYCLE_1)
	s_and_not1_b32 vcc_lo, exec_lo, s5
	s_mov_b32 s8, 0
	s_cbranch_vccnz .LBB473_1033
; %bb.1026:
	v_cmp_lt_i16_e32 vcc_lo, 14, v5
	s_mov_b32 s5, -1
	s_cbranch_vccz .LBB473_1030
; %bb.1027:
	v_cmp_eq_u16_e32 vcc_lo, 15, v5
	s_mov_b32 s2, -1
	s_cbranch_vccz .LBB473_1029
; %bb.1028:
	v_bfe_u32 v0, v3, 16, 1
	v_cmp_o_f32_e32 vcc_lo, v3, v3
	s_mov_b32 s2, 0
	s_delay_alu instid0(VALU_DEP_2) | instskip(NEXT) | instid1(VALU_DEP_1)
	v_add3_u32 v0, v3, v0, 0x7fff
	v_lshrrev_b32_e32 v0, 16, v0
	s_delay_alu instid0(VALU_DEP_1)
	v_cndmask_b32_e32 v0, 0x7fc0, v0, vcc_lo
	global_store_b16 v[1:2], v0, off
.LBB473_1029:
	s_mov_b32 s5, 0
.LBB473_1030:
	s_delay_alu instid0(SALU_CYCLE_1)
	s_and_b32 vcc_lo, exec_lo, s5
	s_cbranch_vccz .LBB473_1033
; %bb.1031:
	v_cmp_ne_u16_e32 vcc_lo, 11, v5
	s_and_not1_b32 s2, s2, exec_lo
	s_mov_b32 s8, -1
	s_and_b32 s5, vcc_lo, exec_lo
	s_delay_alu instid0(SALU_CYCLE_1)
	s_or_b32 s2, s2, s5
	s_branch .LBB473_1033
.LBB473_1032:
	s_mov_b32 s8, 0
.LBB473_1033:
	s_and_b32 s7, s4, exec_lo
	s_and_not1_b32 s4, s36, exec_lo
	s_and_b32 s2, s2, exec_lo
	s_and_b32 s8, s8, exec_lo
	s_or_b32 s36, s4, s2
.LBB473_1034:
	s_or_b32 exec_lo, exec_lo, s6
	s_and_saveexec_b32 s2, s36
	s_cbranch_execnz .LBB473_1148
; %bb.1035:
	s_or_b32 exec_lo, exec_lo, s2
	s_and_saveexec_b32 s2, s8
	s_delay_alu instid0(SALU_CYCLE_1)
	s_xor_b32 s2, exec_lo, s2
	s_cbranch_execz .LBB473_1037
.LBB473_1036:
	s_waitcnt vmcnt(0)
	v_cmp_neq_f32_e32 vcc_lo, 0, v3
	v_cndmask_b32_e64 v0, 0, 1, vcc_lo
	global_store_b8 v[1:2], v0, off
.LBB473_1037:
	s_or_b32 exec_lo, exec_lo, s2
	s_and_saveexec_b32 s2, s7
	s_delay_alu instid0(SALU_CYCLE_1)
	s_xor_b32 s2, exec_lo, s2
	s_cbranch_execz .LBB473_1075
; %bb.1038:
	v_cmp_gt_i16_e32 vcc_lo, 5, v5
	s_mov_b32 s4, -1
	s_cbranch_vccnz .LBB473_1059
; %bb.1039:
	v_cmp_gt_i16_e32 vcc_lo, 8, v5
	s_cbranch_vccnz .LBB473_1049
; %bb.1040:
	v_cmp_gt_i16_e32 vcc_lo, 9, v5
	s_cbranch_vccnz .LBB473_1046
; %bb.1041:
	v_cmp_lt_i16_e32 vcc_lo, 9, v5
	s_cbranch_vccz .LBB473_1043
; %bb.1042:
	s_waitcnt vmcnt(0)
	v_cvt_f64_f32_e32 v[6:7], v3
	v_mov_b32_e32 v8, 0
	s_mov_b32 s4, 0
	s_delay_alu instid0(VALU_DEP_1)
	v_mov_b32_e32 v9, v8
	global_store_b128 v[1:2], v[6:9], off
.LBB473_1043:
	s_and_not1_b32 vcc_lo, exec_lo, s4
	s_cbranch_vccnz .LBB473_1045
; %bb.1044:
	v_mov_b32_e32 v4, 0
	s_waitcnt vmcnt(0)
	global_store_b64 v[1:2], v[3:4], off
.LBB473_1045:
	s_mov_b32 s4, 0
.LBB473_1046:
	s_delay_alu instid0(SALU_CYCLE_1)
	s_and_not1_b32 vcc_lo, exec_lo, s4
	s_cbranch_vccnz .LBB473_1048
; %bb.1047:
	s_waitcnt vmcnt(0)
	v_cvt_f16_f32_e32 v0, v3
	s_delay_alu instid0(VALU_DEP_1)
	v_and_b32_e32 v0, 0xffff, v0
	global_store_b32 v[1:2], v0, off
.LBB473_1048:
	s_mov_b32 s4, 0
.LBB473_1049:
	s_delay_alu instid0(SALU_CYCLE_1)
	s_and_not1_b32 vcc_lo, exec_lo, s4
	s_cbranch_vccnz .LBB473_1058
; %bb.1050:
	v_cmp_gt_i16_e32 vcc_lo, 6, v5
	s_mov_b32 s4, -1
	s_cbranch_vccnz .LBB473_1056
; %bb.1051:
	v_cmp_lt_i16_e32 vcc_lo, 6, v5
	s_cbranch_vccz .LBB473_1053
; %bb.1052:
	s_waitcnt vmcnt(0)
	v_cvt_f64_f32_e32 v[6:7], v3
	s_mov_b32 s4, 0
	global_store_b64 v[1:2], v[6:7], off
.LBB473_1053:
	s_and_not1_b32 vcc_lo, exec_lo, s4
	s_cbranch_vccnz .LBB473_1055
; %bb.1054:
	s_waitcnt vmcnt(0)
	global_store_b32 v[1:2], v3, off
.LBB473_1055:
	s_mov_b32 s4, 0
.LBB473_1056:
	s_delay_alu instid0(SALU_CYCLE_1)
	s_and_not1_b32 vcc_lo, exec_lo, s4
	s_cbranch_vccnz .LBB473_1058
; %bb.1057:
	s_waitcnt vmcnt(0)
	v_cvt_f16_f32_e32 v0, v3
	global_store_b16 v[1:2], v0, off
.LBB473_1058:
	s_mov_b32 s4, 0
.LBB473_1059:
	s_delay_alu instid0(SALU_CYCLE_1)
	s_and_not1_b32 vcc_lo, exec_lo, s4
	s_cbranch_vccnz .LBB473_1075
; %bb.1060:
	v_cmp_gt_i16_e32 vcc_lo, 2, v5
	s_mov_b32 s4, -1
	s_cbranch_vccnz .LBB473_1070
; %bb.1061:
	v_cmp_gt_i16_e32 vcc_lo, 3, v5
	s_cbranch_vccnz .LBB473_1067
; %bb.1062:
	v_cmp_lt_i16_e32 vcc_lo, 3, v5
	s_cbranch_vccz .LBB473_1064
; %bb.1063:
	s_waitcnt vmcnt(0)
	v_trunc_f32_e32 v0, v3
	s_mov_b32 s4, 0
	s_delay_alu instid0(VALU_DEP_1) | instskip(NEXT) | instid1(VALU_DEP_1)
	v_mul_f32_e64 v4, 0x2f800000, |v0|
	v_floor_f32_e32 v4, v4
	s_delay_alu instid0(VALU_DEP_1) | instskip(SKIP_2) | instid1(VALU_DEP_3)
	v_fma_f32 v6, 0xcf800000, v4, |v0|
	v_ashrrev_i32_e32 v0, 31, v0
	v_cvt_u32_f32_e32 v4, v4
	v_cvt_u32_f32_e32 v6, v6
	s_delay_alu instid0(VALU_DEP_2) | instskip(NEXT) | instid1(VALU_DEP_2)
	v_xor_b32_e32 v4, v4, v0
	v_xor_b32_e32 v6, v6, v0
	s_delay_alu instid0(VALU_DEP_1) | instskip(NEXT) | instid1(VALU_DEP_3)
	v_sub_co_u32 v6, vcc_lo, v6, v0
	v_sub_co_ci_u32_e32 v7, vcc_lo, v4, v0, vcc_lo
	global_store_b64 v[1:2], v[6:7], off
.LBB473_1064:
	s_and_not1_b32 vcc_lo, exec_lo, s4
	s_cbranch_vccnz .LBB473_1066
; %bb.1065:
	s_waitcnt vmcnt(0)
	v_cvt_i32_f32_e32 v0, v3
	global_store_b32 v[1:2], v0, off
.LBB473_1066:
	s_mov_b32 s4, 0
.LBB473_1067:
	s_delay_alu instid0(SALU_CYCLE_1)
	s_and_not1_b32 vcc_lo, exec_lo, s4
	s_cbranch_vccnz .LBB473_1069
; %bb.1068:
	s_waitcnt vmcnt(0)
	v_cvt_i32_f32_e32 v0, v3
	global_store_b16 v[1:2], v0, off
.LBB473_1069:
	s_mov_b32 s4, 0
.LBB473_1070:
	s_delay_alu instid0(SALU_CYCLE_1)
	s_and_not1_b32 vcc_lo, exec_lo, s4
	s_cbranch_vccnz .LBB473_1075
; %bb.1071:
	v_cmp_lt_i16_e32 vcc_lo, 0, v5
	s_mov_b32 s4, -1
	s_cbranch_vccz .LBB473_1073
; %bb.1072:
	s_waitcnt vmcnt(0)
	v_cvt_i32_f32_e32 v0, v3
	s_mov_b32 s4, 0
	global_store_b8 v[1:2], v0, off
.LBB473_1073:
	s_and_not1_b32 vcc_lo, exec_lo, s4
	s_cbranch_vccnz .LBB473_1075
; %bb.1074:
	s_waitcnt vmcnt(0)
	v_trunc_f32_e32 v0, v3
	s_delay_alu instid0(VALU_DEP_1) | instskip(NEXT) | instid1(VALU_DEP_1)
	v_mul_f32_e64 v3, 0x2f800000, |v0|
	v_floor_f32_e32 v3, v3
	s_delay_alu instid0(VALU_DEP_1) | instskip(SKIP_1) | instid1(VALU_DEP_2)
	v_fma_f32 v3, 0xcf800000, v3, |v0|
	v_ashrrev_i32_e32 v0, 31, v0
	v_cvt_u32_f32_e32 v3, v3
	s_delay_alu instid0(VALU_DEP_1) | instskip(NEXT) | instid1(VALU_DEP_1)
	v_xor_b32_e32 v3, v3, v0
	v_sub_nc_u32_e32 v0, v3, v0
	global_store_b8 v[1:2], v0, off
.LBB473_1075:
	s_or_b32 exec_lo, exec_lo, s2
	s_delay_alu instid0(SALU_CYCLE_1)
	s_and_b32 s8, s3, exec_lo
                                        ; implicit-def: $vgpr8
                                        ; implicit-def: $vgpr5
.LBB473_1076:
	s_or_saveexec_b32 s9, s30
	s_mov_b32 s4, 0
                                        ; implicit-def: $vgpr0_vgpr1
                                        ; implicit-def: $sgpr2
                                        ; implicit-def: $vgpr2
	s_xor_b32 exec_lo, exec_lo, s9
	s_cbranch_execz .LBB473_2051
; %bb.1077:
	v_cndmask_b32_e64 v0, 0, 1, s29
	s_and_not1_b32 vcc_lo, exec_lo, s29
	s_cbranch_vccnz .LBB473_1083
; %bb.1078:
	s_waitcnt vmcnt(0)
	v_mov_b32_e32 v3, 0
	v_mov_b32_e32 v7, 0
	s_cmp_lg_u32 s26, 0
	s_mov_b32 s6, 0
	s_cbranch_scc0 .LBB473_1087
; %bb.1079:
	s_min_u32 s7, s27, 15
	v_mov_b32_e32 v3, 0
	s_add_i32 s7, s7, 1
	s_cmp_eq_u32 s27, 2
	s_mov_b32 s10, 0
	s_cbranch_scc1 .LBB473_1084
; %bb.1080:
	v_mov_b32_e32 v7, 0
	v_mov_b32_e32 v3, 0
	;; [unrolled: 1-line block ×3, first 2 shown]
	s_add_u32 s2, s16, 0xc4
	s_addc_u32 s3, s17, 0
	s_and_b32 s10, s7, 28
	s_mov_b32 s11, 0
	s_mov_b64 s[4:5], s[16:17]
.LBB473_1081:                           ; =>This Inner Loop Header: Depth=1
	s_clause 0x1
	s_load_b256 s[36:43], s[4:5], 0x4
	s_load_b128 s[12:15], s[4:5], 0x24
	s_load_b256 s[44:51], s[2:3], 0x0
	s_add_u32 s4, s4, 48
	s_addc_u32 s5, s5, 0
	s_add_i32 s11, s11, 4
	s_add_u32 s2, s2, 32
	s_addc_u32 s3, s3, 0
	s_cmp_lg_u32 s10, s11
	s_waitcnt lgkmcnt(0)
	v_mul_hi_u32 v2, s37, v1
	s_delay_alu instid0(VALU_DEP_1) | instskip(NEXT) | instid1(VALU_DEP_1)
	v_add_nc_u32_e32 v2, v1, v2
	v_lshrrev_b32_e32 v2, s38, v2
	s_delay_alu instid0(VALU_DEP_1) | instskip(SKIP_1) | instid1(VALU_DEP_2)
	v_mul_hi_u32 v4, s40, v2
	v_mul_lo_u32 v9, v2, s36
	v_add_nc_u32_e32 v4, v2, v4
	s_delay_alu instid0(VALU_DEP_2) | instskip(NEXT) | instid1(VALU_DEP_2)
	v_sub_nc_u32_e32 v1, v1, v9
	v_lshrrev_b32_e32 v4, s41, v4
	s_delay_alu instid0(VALU_DEP_2) | instskip(SKIP_1) | instid1(VALU_DEP_3)
	v_mul_lo_u32 v9, v1, s44
	v_mul_lo_u32 v11, v1, s45
	v_mul_hi_u32 v6, s43, v4
	s_delay_alu instid0(VALU_DEP_1) | instskip(NEXT) | instid1(VALU_DEP_1)
	v_add_nc_u32_e32 v6, v4, v6
	v_lshrrev_b32_e32 v6, s12, v6
	s_delay_alu instid0(VALU_DEP_1) | instskip(SKIP_1) | instid1(VALU_DEP_2)
	v_mul_hi_u32 v10, s14, v6
	v_mul_lo_u32 v12, v6, s42
	v_add_nc_u32_e32 v1, v6, v10
	v_mul_lo_u32 v10, v4, s39
	s_delay_alu instid0(VALU_DEP_3) | instskip(NEXT) | instid1(VALU_DEP_3)
	v_sub_nc_u32_e32 v4, v4, v12
	v_lshrrev_b32_e32 v1, s15, v1
	s_delay_alu instid0(VALU_DEP_2) | instskip(SKIP_2) | instid1(VALU_DEP_4)
	v_mul_lo_u32 v12, v4, s48
	v_mul_lo_u32 v4, v4, s49
	v_sub_nc_u32_e32 v2, v2, v10
	v_mul_lo_u32 v13, v1, s13
	s_delay_alu instid0(VALU_DEP_2) | instskip(SKIP_1) | instid1(VALU_DEP_3)
	v_mul_lo_u32 v10, v2, s46
	v_mul_lo_u32 v2, v2, s47
	v_sub_nc_u32_e32 v6, v6, v13
	s_delay_alu instid0(VALU_DEP_3) | instskip(NEXT) | instid1(VALU_DEP_2)
	v_add3_u32 v3, v9, v3, v10
	v_mul_lo_u32 v13, v6, s50
	v_mul_lo_u32 v6, v6, s51
	v_add3_u32 v2, v11, v7, v2
	s_delay_alu instid0(VALU_DEP_3) | instskip(NEXT) | instid1(VALU_DEP_2)
	v_add3_u32 v3, v12, v3, v13
	v_add3_u32 v7, v4, v2, v6
	s_cbranch_scc1 .LBB473_1081
; %bb.1082:
	s_and_b32 s7, s7, 3
	s_delay_alu instid0(SALU_CYCLE_1)
	s_cmp_eq_u32 s7, 0
	s_cbranch_scc0 .LBB473_1085
	s_branch .LBB473_1087
.LBB473_1083:
	s_mov_b32 s6, -1
                                        ; implicit-def: $vgpr3
                                        ; implicit-def: $vgpr7
	s_branch .LBB473_1087
.LBB473_1084:
	v_mov_b32_e32 v1, v5
	v_mov_b32_e32 v7, 0
	s_and_b32 s7, s7, 3
	s_delay_alu instid0(SALU_CYCLE_1)
	s_cmp_eq_u32 s7, 0
	s_cbranch_scc1 .LBB473_1087
.LBB473_1085:
	s_lshl_b32 s2, s10, 3
	s_mul_i32 s4, s10, 12
	s_add_u32 s2, s2, s16
	s_addc_u32 s3, 0, s17
	s_add_u32 s2, s2, 0xc4
	s_addc_u32 s3, s3, 0
	;; [unrolled: 2-line block ×3, first 2 shown]
	.p2align	6
.LBB473_1086:                           ; =>This Inner Loop Header: Depth=1
	s_clause 0x1
	s_load_b64 s[10:11], s[4:5], 0x4
	s_load_b32 s14, s[4:5], 0xc
	s_load_b64 s[12:13], s[2:3], 0x0
	s_add_u32 s4, s4, 12
	s_addc_u32 s5, s5, 0
	s_add_u32 s2, s2, 8
	s_addc_u32 s3, s3, 0
	s_add_i32 s7, s7, -1
	s_delay_alu instid0(SALU_CYCLE_1) | instskip(SKIP_2) | instid1(VALU_DEP_1)
	s_cmp_lg_u32 s7, 0
	s_waitcnt lgkmcnt(0)
	v_mul_hi_u32 v2, s11, v1
	v_add_nc_u32_e32 v2, v1, v2
	s_delay_alu instid0(VALU_DEP_1) | instskip(NEXT) | instid1(VALU_DEP_1)
	v_lshrrev_b32_e32 v4, s14, v2
	v_mul_lo_u32 v2, v4, s10
	s_delay_alu instid0(VALU_DEP_1) | instskip(NEXT) | instid1(VALU_DEP_1)
	v_sub_nc_u32_e32 v1, v1, v2
	v_mad_u64_u32 v[9:10], null, v1, s12, v[3:4]
	v_mad_u64_u32 v[2:3], null, v1, s13, v[7:8]
	v_mov_b32_e32 v1, v4
	s_delay_alu instid0(VALU_DEP_3) | instskip(NEXT) | instid1(VALU_DEP_3)
	v_mov_b32_e32 v3, v9
	v_mov_b32_e32 v7, v2
	s_cbranch_scc1 .LBB473_1086
.LBB473_1087:
	s_and_not1_b32 vcc_lo, exec_lo, s6
	s_cbranch_vccnz .LBB473_1090
; %bb.1088:
	s_clause 0x1
	s_load_b128 s[4:7], s[16:17], 0x4
	s_load_b64 s[2:3], s[16:17], 0xc4
	s_cmp_lt_u32 s26, 2
	s_waitcnt lgkmcnt(0)
	v_mul_hi_u32 v1, s5, v5
	s_delay_alu instid0(VALU_DEP_1) | instskip(NEXT) | instid1(VALU_DEP_1)
	v_add_nc_u32_e32 v1, v5, v1
	v_lshrrev_b32_e32 v1, s6, v1
	s_delay_alu instid0(VALU_DEP_1) | instskip(NEXT) | instid1(VALU_DEP_1)
	v_mul_lo_u32 v2, v1, s4
	v_sub_nc_u32_e32 v2, v5, v2
	s_waitcnt vmcnt(0)
	s_delay_alu instid0(VALU_DEP_1)
	v_mul_lo_u32 v3, v2, s2
	v_mul_lo_u32 v7, v2, s3
	s_cbranch_scc1 .LBB473_1090
; %bb.1089:
	s_clause 0x1
	s_load_b128 s[4:7], s[16:17], 0x10
	s_load_b64 s[2:3], s[16:17], 0xcc
	s_waitcnt lgkmcnt(0)
	v_mul_hi_u32 v2, s5, v1
	s_delay_alu instid0(VALU_DEP_1) | instskip(NEXT) | instid1(VALU_DEP_1)
	v_add_nc_u32_e32 v2, v1, v2
	v_lshrrev_b32_e32 v2, s6, v2
	s_delay_alu instid0(VALU_DEP_1) | instskip(NEXT) | instid1(VALU_DEP_1)
	v_mul_lo_u32 v2, v2, s4
	v_sub_nc_u32_e32 v4, v1, v2
	s_delay_alu instid0(VALU_DEP_1) | instskip(SKIP_1) | instid1(VALU_DEP_2)
	v_mad_u64_u32 v[1:2], null, v4, s2, v[3:4]
	v_mad_u64_u32 v[2:3], null, v4, s3, v[7:8]
	v_mov_b32_e32 v3, v1
	s_delay_alu instid0(VALU_DEP_2)
	v_mov_b32_e32 v7, v2
.LBB473_1090:
	v_cmp_ne_u32_e32 vcc_lo, 1, v0
	v_add_nc_u32_e32 v1, 0x80, v5
	s_cbranch_vccnz .LBB473_1096
; %bb.1091:
	v_mov_b32_e32 v2, 0
	s_waitcnt vmcnt(0)
	v_mov_b32_e32 v6, 0
	s_cmp_lg_u32 s26, 0
	s_mov_b32 s6, 0
	s_cbranch_scc0 .LBB473_1100
; %bb.1092:
	s_min_u32 s7, s27, 15
	v_mov_b32_e32 v2, 0
	s_add_i32 s7, s7, 1
	s_cmp_eq_u32 s27, 2
	s_mov_b32 s10, 0
	s_cbranch_scc1 .LBB473_1097
; %bb.1093:
	v_mov_b32_e32 v6, 0
	v_mov_b32_e32 v2, 0
	;; [unrolled: 1-line block ×3, first 2 shown]
	s_add_u32 s2, s16, 0xc4
	s_addc_u32 s3, s17, 0
	s_and_b32 s10, s7, 28
	s_mov_b32 s11, 0
	s_mov_b64 s[4:5], s[16:17]
.LBB473_1094:                           ; =>This Inner Loop Header: Depth=1
	s_clause 0x1
	s_load_b256 s[36:43], s[4:5], 0x4
	s_load_b128 s[12:15], s[4:5], 0x24
	s_load_b256 s[44:51], s[2:3], 0x0
	s_add_u32 s4, s4, 48
	s_addc_u32 s5, s5, 0
	s_add_i32 s11, s11, 4
	s_add_u32 s2, s2, 32
	s_addc_u32 s3, s3, 0
	s_cmp_lg_u32 s10, s11
	s_waitcnt lgkmcnt(0)
	v_mul_hi_u32 v9, s37, v4
	s_delay_alu instid0(VALU_DEP_1) | instskip(NEXT) | instid1(VALU_DEP_1)
	v_add_nc_u32_e32 v9, v4, v9
	v_lshrrev_b32_e32 v9, s38, v9
	s_delay_alu instid0(VALU_DEP_1) | instskip(SKIP_1) | instid1(VALU_DEP_2)
	v_mul_hi_u32 v10, s40, v9
	v_mul_lo_u32 v12, v9, s36
	v_add_nc_u32_e32 v10, v9, v10
	s_delay_alu instid0(VALU_DEP_2) | instskip(NEXT) | instid1(VALU_DEP_2)
	v_sub_nc_u32_e32 v4, v4, v12
	v_lshrrev_b32_e32 v10, s41, v10
	s_delay_alu instid0(VALU_DEP_2) | instskip(SKIP_1) | instid1(VALU_DEP_3)
	v_mul_lo_u32 v12, v4, s44
	v_mul_lo_u32 v14, v4, s45
	v_mul_hi_u32 v11, s43, v10
	s_delay_alu instid0(VALU_DEP_1) | instskip(NEXT) | instid1(VALU_DEP_1)
	v_add_nc_u32_e32 v11, v10, v11
	v_lshrrev_b32_e32 v11, s12, v11
	s_delay_alu instid0(VALU_DEP_1) | instskip(SKIP_1) | instid1(VALU_DEP_2)
	v_mul_hi_u32 v13, s14, v11
	v_mul_lo_u32 v15, v11, s42
	v_add_nc_u32_e32 v4, v11, v13
	v_mul_lo_u32 v13, v10, s39
	s_delay_alu instid0(VALU_DEP_3) | instskip(NEXT) | instid1(VALU_DEP_3)
	v_sub_nc_u32_e32 v10, v10, v15
	v_lshrrev_b32_e32 v4, s15, v4
	s_delay_alu instid0(VALU_DEP_2) | instskip(SKIP_2) | instid1(VALU_DEP_4)
	v_mul_lo_u32 v15, v10, s48
	v_mul_lo_u32 v10, v10, s49
	v_sub_nc_u32_e32 v9, v9, v13
	v_mul_lo_u32 v16, v4, s13
	s_delay_alu instid0(VALU_DEP_2) | instskip(SKIP_1) | instid1(VALU_DEP_3)
	v_mul_lo_u32 v13, v9, s46
	v_mul_lo_u32 v9, v9, s47
	v_sub_nc_u32_e32 v11, v11, v16
	s_delay_alu instid0(VALU_DEP_3) | instskip(NEXT) | instid1(VALU_DEP_2)
	v_add3_u32 v2, v12, v2, v13
	v_mul_lo_u32 v16, v11, s50
	v_mul_lo_u32 v11, v11, s51
	v_add3_u32 v6, v14, v6, v9
	s_delay_alu instid0(VALU_DEP_3) | instskip(NEXT) | instid1(VALU_DEP_2)
	v_add3_u32 v2, v15, v2, v16
	v_add3_u32 v6, v10, v6, v11
	s_cbranch_scc1 .LBB473_1094
; %bb.1095:
	s_and_b32 s7, s7, 3
	s_delay_alu instid0(SALU_CYCLE_1)
	s_cmp_eq_u32 s7, 0
	s_cbranch_scc0 .LBB473_1098
	s_branch .LBB473_1100
.LBB473_1096:
	s_mov_b32 s6, -1
                                        ; implicit-def: $vgpr2
                                        ; implicit-def: $vgpr6
	s_branch .LBB473_1100
.LBB473_1097:
	v_mov_b32_e32 v4, v1
	v_mov_b32_e32 v6, 0
	s_and_b32 s7, s7, 3
	s_delay_alu instid0(SALU_CYCLE_1)
	s_cmp_eq_u32 s7, 0
	s_cbranch_scc1 .LBB473_1100
.LBB473_1098:
	s_lshl_b32 s2, s10, 3
	s_mul_i32 s4, s10, 12
	s_add_u32 s2, s2, s16
	s_addc_u32 s3, 0, s17
	s_add_u32 s2, s2, 0xc4
	s_addc_u32 s3, s3, 0
	;; [unrolled: 2-line block ×3, first 2 shown]
	.p2align	6
.LBB473_1099:                           ; =>This Inner Loop Header: Depth=1
	s_clause 0x1
	s_load_b64 s[10:11], s[4:5], 0x4
	s_load_b32 s14, s[4:5], 0xc
	s_load_b64 s[12:13], s[2:3], 0x0
	s_add_u32 s4, s4, 12
	s_addc_u32 s5, s5, 0
	s_add_u32 s2, s2, 8
	s_addc_u32 s3, s3, 0
	s_add_i32 s7, s7, -1
	s_delay_alu instid0(SALU_CYCLE_1) | instskip(SKIP_2) | instid1(VALU_DEP_1)
	s_cmp_lg_u32 s7, 0
	s_waitcnt lgkmcnt(0)
	v_mul_hi_u32 v9, s11, v4
	v_add_nc_u32_e32 v9, v4, v9
	s_delay_alu instid0(VALU_DEP_1) | instskip(NEXT) | instid1(VALU_DEP_1)
	v_lshrrev_b32_e32 v12, s14, v9
	v_mul_lo_u32 v9, v12, s10
	s_delay_alu instid0(VALU_DEP_1) | instskip(NEXT) | instid1(VALU_DEP_1)
	v_sub_nc_u32_e32 v4, v4, v9
	v_mad_u64_u32 v[9:10], null, v4, s12, v[2:3]
	v_mad_u64_u32 v[10:11], null, v4, s13, v[6:7]
	v_mov_b32_e32 v4, v12
	s_delay_alu instid0(VALU_DEP_3) | instskip(NEXT) | instid1(VALU_DEP_3)
	v_mov_b32_e32 v2, v9
	v_mov_b32_e32 v6, v10
	s_cbranch_scc1 .LBB473_1099
.LBB473_1100:
	s_and_not1_b32 vcc_lo, exec_lo, s6
	s_cbranch_vccnz .LBB473_1103
; %bb.1101:
	s_clause 0x1
	s_load_b128 s[4:7], s[16:17], 0x4
	s_load_b64 s[2:3], s[16:17], 0xc4
	s_cmp_lt_u32 s26, 2
	s_waitcnt lgkmcnt(0)
	v_mul_hi_u32 v2, s5, v1
	s_delay_alu instid0(VALU_DEP_1) | instskip(NEXT) | instid1(VALU_DEP_1)
	v_add_nc_u32_e32 v2, v1, v2
	v_lshrrev_b32_e32 v4, s6, v2
	s_delay_alu instid0(VALU_DEP_1) | instskip(NEXT) | instid1(VALU_DEP_1)
	v_mul_lo_u32 v2, v4, s4
	v_sub_nc_u32_e32 v1, v1, v2
	s_delay_alu instid0(VALU_DEP_1)
	v_mul_lo_u32 v2, v1, s2
	s_waitcnt vmcnt(0)
	v_mul_lo_u32 v6, v1, s3
	s_cbranch_scc1 .LBB473_1103
; %bb.1102:
	s_clause 0x1
	s_load_b128 s[4:7], s[16:17], 0x10
	s_load_b64 s[2:3], s[16:17], 0xcc
	s_waitcnt lgkmcnt(0)
	v_mul_hi_u32 v1, s5, v4
	s_delay_alu instid0(VALU_DEP_1) | instskip(NEXT) | instid1(VALU_DEP_1)
	v_add_nc_u32_e32 v1, v4, v1
	v_lshrrev_b32_e32 v1, s6, v1
	s_delay_alu instid0(VALU_DEP_1) | instskip(NEXT) | instid1(VALU_DEP_1)
	v_mul_lo_u32 v1, v1, s4
	v_sub_nc_u32_e32 v4, v4, v1
	s_delay_alu instid0(VALU_DEP_1) | instskip(SKIP_1) | instid1(VALU_DEP_2)
	v_mad_u64_u32 v[9:10], null, v4, s2, v[2:3]
	v_mad_u64_u32 v[1:2], null, v4, s3, v[6:7]
	v_mov_b32_e32 v2, v9
	s_delay_alu instid0(VALU_DEP_2)
	v_mov_b32_e32 v6, v1
.LBB473_1103:
	v_cmp_ne_u32_e32 vcc_lo, 1, v0
	v_add_nc_u32_e32 v4, 0x100, v5
	s_cbranch_vccnz .LBB473_1109
; %bb.1104:
	v_mov_b32_e32 v1, 0
	v_mov_b32_e32 v5, 0
	s_cmp_lg_u32 s26, 0
	s_mov_b32 s6, 0
	s_cbranch_scc0 .LBB473_1113
; %bb.1105:
	s_min_u32 s7, s27, 15
	v_mov_b32_e32 v1, 0
	s_add_i32 s7, s7, 1
	s_cmp_eq_u32 s27, 2
	s_mov_b32 s10, 0
	s_cbranch_scc1 .LBB473_1110
; %bb.1106:
	v_mov_b32_e32 v5, 0
	v_mov_b32_e32 v1, 0
	;; [unrolled: 1-line block ×3, first 2 shown]
	s_add_u32 s2, s16, 0xc4
	s_addc_u32 s3, s17, 0
	s_and_b32 s10, s7, 28
	s_mov_b32 s11, 0
	s_mov_b64 s[4:5], s[16:17]
.LBB473_1107:                           ; =>This Inner Loop Header: Depth=1
	s_clause 0x1
	s_load_b256 s[36:43], s[4:5], 0x4
	s_load_b128 s[12:15], s[4:5], 0x24
	s_load_b256 s[44:51], s[2:3], 0x0
	s_add_u32 s4, s4, 48
	s_addc_u32 s5, s5, 0
	s_add_i32 s11, s11, 4
	s_add_u32 s2, s2, 32
	s_addc_u32 s3, s3, 0
	s_cmp_lg_u32 s10, s11
	s_waitcnt lgkmcnt(0)
	v_mul_hi_u32 v10, s37, v9
	s_delay_alu instid0(VALU_DEP_1) | instskip(NEXT) | instid1(VALU_DEP_1)
	v_add_nc_u32_e32 v10, v9, v10
	v_lshrrev_b32_e32 v10, s38, v10
	s_delay_alu instid0(VALU_DEP_1) | instskip(SKIP_1) | instid1(VALU_DEP_2)
	v_mul_hi_u32 v11, s40, v10
	v_mul_lo_u32 v13, v10, s36
	v_add_nc_u32_e32 v11, v10, v11
	s_delay_alu instid0(VALU_DEP_2) | instskip(NEXT) | instid1(VALU_DEP_2)
	v_sub_nc_u32_e32 v9, v9, v13
	v_lshrrev_b32_e32 v11, s41, v11
	s_delay_alu instid0(VALU_DEP_2) | instskip(SKIP_1) | instid1(VALU_DEP_3)
	v_mul_lo_u32 v13, v9, s44
	v_mul_lo_u32 v15, v9, s45
	v_mul_hi_u32 v12, s43, v11
	s_delay_alu instid0(VALU_DEP_1) | instskip(NEXT) | instid1(VALU_DEP_1)
	v_add_nc_u32_e32 v12, v11, v12
	v_lshrrev_b32_e32 v12, s12, v12
	s_delay_alu instid0(VALU_DEP_1) | instskip(SKIP_1) | instid1(VALU_DEP_2)
	v_mul_hi_u32 v14, s14, v12
	v_mul_lo_u32 v16, v12, s42
	v_add_nc_u32_e32 v9, v12, v14
	v_mul_lo_u32 v14, v11, s39
	s_delay_alu instid0(VALU_DEP_3) | instskip(NEXT) | instid1(VALU_DEP_3)
	v_sub_nc_u32_e32 v11, v11, v16
	v_lshrrev_b32_e32 v9, s15, v9
	s_delay_alu instid0(VALU_DEP_2) | instskip(SKIP_2) | instid1(VALU_DEP_4)
	v_mul_lo_u32 v16, v11, s48
	v_mul_lo_u32 v11, v11, s49
	v_sub_nc_u32_e32 v10, v10, v14
	v_mul_lo_u32 v17, v9, s13
	s_delay_alu instid0(VALU_DEP_2) | instskip(SKIP_1) | instid1(VALU_DEP_3)
	v_mul_lo_u32 v14, v10, s46
	v_mul_lo_u32 v10, v10, s47
	v_sub_nc_u32_e32 v12, v12, v17
	s_delay_alu instid0(VALU_DEP_3) | instskip(NEXT) | instid1(VALU_DEP_2)
	v_add3_u32 v1, v13, v1, v14
	v_mul_lo_u32 v17, v12, s50
	v_mul_lo_u32 v12, v12, s51
	v_add3_u32 v5, v15, v5, v10
	s_delay_alu instid0(VALU_DEP_3) | instskip(NEXT) | instid1(VALU_DEP_2)
	v_add3_u32 v1, v16, v1, v17
	v_add3_u32 v5, v11, v5, v12
	s_cbranch_scc1 .LBB473_1107
; %bb.1108:
	s_and_b32 s7, s7, 3
	s_delay_alu instid0(SALU_CYCLE_1)
	s_cmp_eq_u32 s7, 0
	s_cbranch_scc0 .LBB473_1111
	s_branch .LBB473_1113
.LBB473_1109:
	s_mov_b32 s6, -1
                                        ; implicit-def: $vgpr1
                                        ; implicit-def: $vgpr5
	s_branch .LBB473_1113
.LBB473_1110:
	v_mov_b32_e32 v9, v4
	v_mov_b32_e32 v5, 0
	s_and_b32 s7, s7, 3
	s_delay_alu instid0(SALU_CYCLE_1)
	s_cmp_eq_u32 s7, 0
	s_cbranch_scc1 .LBB473_1113
.LBB473_1111:
	s_lshl_b32 s2, s10, 3
	s_mul_i32 s4, s10, 12
	s_add_u32 s2, s2, s16
	s_addc_u32 s3, 0, s17
	s_add_u32 s2, s2, 0xc4
	s_addc_u32 s3, s3, 0
	;; [unrolled: 2-line block ×3, first 2 shown]
	.p2align	6
.LBB473_1112:                           ; =>This Inner Loop Header: Depth=1
	s_clause 0x1
	s_load_b64 s[10:11], s[4:5], 0x4
	s_load_b32 s14, s[4:5], 0xc
	s_load_b64 s[12:13], s[2:3], 0x0
	s_add_u32 s4, s4, 12
	s_addc_u32 s5, s5, 0
	s_add_u32 s2, s2, 8
	s_addc_u32 s3, s3, 0
	s_add_i32 s7, s7, -1
	s_delay_alu instid0(SALU_CYCLE_1) | instskip(SKIP_2) | instid1(VALU_DEP_1)
	s_cmp_lg_u32 s7, 0
	s_waitcnt lgkmcnt(0)
	v_mul_hi_u32 v10, s11, v9
	v_add_nc_u32_e32 v10, v9, v10
	s_delay_alu instid0(VALU_DEP_1) | instskip(NEXT) | instid1(VALU_DEP_1)
	v_lshrrev_b32_e32 v13, s14, v10
	v_mul_lo_u32 v10, v13, s10
	s_delay_alu instid0(VALU_DEP_1) | instskip(NEXT) | instid1(VALU_DEP_1)
	v_sub_nc_u32_e32 v9, v9, v10
	v_mad_u64_u32 v[10:11], null, v9, s12, v[1:2]
	s_waitcnt vmcnt(0)
	v_mad_u64_u32 v[11:12], null, v9, s13, v[5:6]
	v_mov_b32_e32 v9, v13
	s_delay_alu instid0(VALU_DEP_3) | instskip(NEXT) | instid1(VALU_DEP_3)
	v_mov_b32_e32 v1, v10
	v_mov_b32_e32 v5, v11
	s_cbranch_scc1 .LBB473_1112
.LBB473_1113:
	s_and_not1_b32 vcc_lo, exec_lo, s6
	s_cbranch_vccnz .LBB473_1116
; %bb.1114:
	s_clause 0x1
	s_load_b128 s[4:7], s[16:17], 0x4
	s_load_b64 s[2:3], s[16:17], 0xc4
	s_cmp_lt_u32 s26, 2
	s_waitcnt lgkmcnt(0)
	v_mul_hi_u32 v1, s5, v4
	s_delay_alu instid0(VALU_DEP_1) | instskip(NEXT) | instid1(VALU_DEP_1)
	v_add_nc_u32_e32 v1, v4, v1
	v_lshrrev_b32_e32 v9, s6, v1
	s_delay_alu instid0(VALU_DEP_1) | instskip(NEXT) | instid1(VALU_DEP_1)
	v_mul_lo_u32 v1, v9, s4
	v_sub_nc_u32_e32 v4, v4, v1
	s_delay_alu instid0(VALU_DEP_1)
	v_mul_lo_u32 v1, v4, s2
	v_mul_lo_u32 v5, v4, s3
	s_cbranch_scc1 .LBB473_1116
; %bb.1115:
	s_clause 0x1
	s_load_b128 s[4:7], s[16:17], 0x10
	s_load_b64 s[2:3], s[16:17], 0xcc
	s_waitcnt lgkmcnt(0)
	v_mul_hi_u32 v4, s5, v9
	s_delay_alu instid0(VALU_DEP_1) | instskip(NEXT) | instid1(VALU_DEP_1)
	v_add_nc_u32_e32 v4, v9, v4
	v_lshrrev_b32_e32 v4, s6, v4
	s_delay_alu instid0(VALU_DEP_1) | instskip(NEXT) | instid1(VALU_DEP_1)
	v_mul_lo_u32 v4, v4, s4
	v_sub_nc_u32_e32 v4, v9, v4
	s_delay_alu instid0(VALU_DEP_1) | instskip(SKIP_2) | instid1(VALU_DEP_2)
	v_mad_u64_u32 v[9:10], null, v4, s2, v[1:2]
	s_waitcnt vmcnt(0)
	v_mad_u64_u32 v[10:11], null, v4, s3, v[5:6]
	v_mov_b32_e32 v1, v9
	s_delay_alu instid0(VALU_DEP_2)
	v_mov_b32_e32 v5, v10
.LBB473_1116:
	v_cmp_ne_u32_e32 vcc_lo, 1, v0
	s_cbranch_vccnz .LBB473_1122
; %bb.1117:
	v_mov_b32_e32 v0, 0
	v_mov_b32_e32 v4, 0
	s_cmp_lg_u32 s26, 0
	s_mov_b32 s6, 0
	s_cbranch_scc0 .LBB473_1126
; %bb.1118:
	s_min_u32 s7, s27, 15
	v_mov_b32_e32 v0, 0
	s_add_i32 s7, s7, 1
	s_cmp_eq_u32 s27, 2
	s_mov_b32 s10, 0
	s_cbranch_scc1 .LBB473_1123
; %bb.1119:
	v_dual_mov_b32 v4, 0 :: v_dual_mov_b32 v9, v8
	v_mov_b32_e32 v0, 0
	s_add_u32 s2, s16, 0xc4
	s_addc_u32 s3, s17, 0
	s_and_b32 s10, s7, 28
	s_mov_b32 s11, 0
	s_mov_b64 s[4:5], s[16:17]
.LBB473_1120:                           ; =>This Inner Loop Header: Depth=1
	s_clause 0x1
	s_load_b256 s[36:43], s[4:5], 0x4
	s_load_b128 s[12:15], s[4:5], 0x24
	s_load_b256 s[44:51], s[2:3], 0x0
	s_add_u32 s4, s4, 48
	s_addc_u32 s5, s5, 0
	s_add_i32 s11, s11, 4
	s_add_u32 s2, s2, 32
	s_addc_u32 s3, s3, 0
	s_cmp_lg_u32 s10, s11
	s_waitcnt lgkmcnt(0)
	v_mul_hi_u32 v10, s37, v9
	s_delay_alu instid0(VALU_DEP_1) | instskip(NEXT) | instid1(VALU_DEP_1)
	v_add_nc_u32_e32 v10, v9, v10
	v_lshrrev_b32_e32 v10, s38, v10
	s_delay_alu instid0(VALU_DEP_1) | instskip(SKIP_1) | instid1(VALU_DEP_2)
	v_mul_hi_u32 v11, s40, v10
	v_mul_lo_u32 v13, v10, s36
	v_add_nc_u32_e32 v11, v10, v11
	s_delay_alu instid0(VALU_DEP_2) | instskip(NEXT) | instid1(VALU_DEP_2)
	v_sub_nc_u32_e32 v9, v9, v13
	v_lshrrev_b32_e32 v11, s41, v11
	s_delay_alu instid0(VALU_DEP_2) | instskip(SKIP_1) | instid1(VALU_DEP_3)
	v_mul_lo_u32 v13, v9, s44
	v_mul_lo_u32 v15, v9, s45
	v_mul_hi_u32 v12, s43, v11
	s_delay_alu instid0(VALU_DEP_1) | instskip(NEXT) | instid1(VALU_DEP_1)
	v_add_nc_u32_e32 v12, v11, v12
	v_lshrrev_b32_e32 v12, s12, v12
	s_delay_alu instid0(VALU_DEP_1) | instskip(SKIP_1) | instid1(VALU_DEP_2)
	v_mul_hi_u32 v14, s14, v12
	v_mul_lo_u32 v16, v12, s42
	v_add_nc_u32_e32 v9, v12, v14
	v_mul_lo_u32 v14, v11, s39
	s_delay_alu instid0(VALU_DEP_3) | instskip(NEXT) | instid1(VALU_DEP_3)
	v_sub_nc_u32_e32 v11, v11, v16
	v_lshrrev_b32_e32 v9, s15, v9
	s_delay_alu instid0(VALU_DEP_2) | instskip(SKIP_2) | instid1(VALU_DEP_4)
	v_mul_lo_u32 v16, v11, s48
	v_mul_lo_u32 v11, v11, s49
	v_sub_nc_u32_e32 v10, v10, v14
	v_mul_lo_u32 v17, v9, s13
	s_delay_alu instid0(VALU_DEP_2) | instskip(SKIP_1) | instid1(VALU_DEP_3)
	v_mul_lo_u32 v14, v10, s46
	v_mul_lo_u32 v10, v10, s47
	v_sub_nc_u32_e32 v12, v12, v17
	s_delay_alu instid0(VALU_DEP_3) | instskip(NEXT) | instid1(VALU_DEP_2)
	v_add3_u32 v0, v13, v0, v14
	v_mul_lo_u32 v17, v12, s50
	v_mul_lo_u32 v12, v12, s51
	v_add3_u32 v4, v15, v4, v10
	s_delay_alu instid0(VALU_DEP_3) | instskip(NEXT) | instid1(VALU_DEP_2)
	v_add3_u32 v0, v16, v0, v17
	v_add3_u32 v4, v11, v4, v12
	s_cbranch_scc1 .LBB473_1120
; %bb.1121:
	s_and_b32 s7, s7, 3
	s_delay_alu instid0(SALU_CYCLE_1)
	s_cmp_eq_u32 s7, 0
	s_cbranch_scc0 .LBB473_1124
	s_branch .LBB473_1126
.LBB473_1122:
	s_mov_b32 s6, -1
                                        ; implicit-def: $vgpr0
                                        ; implicit-def: $vgpr4
	s_branch .LBB473_1126
.LBB473_1123:
	v_dual_mov_b32 v9, v8 :: v_dual_mov_b32 v4, 0
	s_and_b32 s7, s7, 3
	s_delay_alu instid0(SALU_CYCLE_1)
	s_cmp_eq_u32 s7, 0
	s_cbranch_scc1 .LBB473_1126
.LBB473_1124:
	s_lshl_b32 s2, s10, 3
	s_mul_i32 s4, s10, 12
	s_add_u32 s2, s2, s16
	s_addc_u32 s3, 0, s17
	s_add_u32 s2, s2, 0xc4
	s_addc_u32 s3, s3, 0
	;; [unrolled: 2-line block ×3, first 2 shown]
	.p2align	6
.LBB473_1125:                           ; =>This Inner Loop Header: Depth=1
	s_clause 0x1
	s_load_b64 s[10:11], s[4:5], 0x4
	s_load_b32 s14, s[4:5], 0xc
	s_load_b64 s[12:13], s[2:3], 0x0
	s_add_u32 s4, s4, 12
	s_addc_u32 s5, s5, 0
	s_add_u32 s2, s2, 8
	s_addc_u32 s3, s3, 0
	s_add_i32 s7, s7, -1
	s_delay_alu instid0(SALU_CYCLE_1) | instskip(SKIP_2) | instid1(VALU_DEP_1)
	s_cmp_lg_u32 s7, 0
	s_waitcnt lgkmcnt(0)
	v_mul_hi_u32 v10, s11, v9
	v_add_nc_u32_e32 v10, v9, v10
	s_delay_alu instid0(VALU_DEP_1) | instskip(NEXT) | instid1(VALU_DEP_1)
	v_lshrrev_b32_e32 v13, s14, v10
	v_mul_lo_u32 v10, v13, s10
	s_delay_alu instid0(VALU_DEP_1) | instskip(NEXT) | instid1(VALU_DEP_1)
	v_sub_nc_u32_e32 v9, v9, v10
	v_mad_u64_u32 v[10:11], null, v9, s12, v[0:1]
	v_mad_u64_u32 v[11:12], null, v9, s13, v[4:5]
	s_delay_alu instid0(VALU_DEP_2) | instskip(NEXT) | instid1(VALU_DEP_2)
	v_dual_mov_b32 v9, v13 :: v_dual_mov_b32 v0, v10
	v_mov_b32_e32 v4, v11
	s_cbranch_scc1 .LBB473_1125
.LBB473_1126:
	s_and_not1_b32 vcc_lo, exec_lo, s6
	s_cbranch_vccnz .LBB473_1129
; %bb.1127:
	s_clause 0x1
	s_load_b128 s[4:7], s[16:17], 0x4
	s_load_b64 s[2:3], s[16:17], 0xc4
	s_cmp_lt_u32 s26, 2
	s_waitcnt lgkmcnt(0)
	v_mul_hi_u32 v0, s5, v8
	s_delay_alu instid0(VALU_DEP_1) | instskip(NEXT) | instid1(VALU_DEP_1)
	v_add_nc_u32_e32 v0, v8, v0
	v_lshrrev_b32_e32 v9, s6, v0
	s_delay_alu instid0(VALU_DEP_1) | instskip(NEXT) | instid1(VALU_DEP_1)
	v_mul_lo_u32 v0, v9, s4
	v_sub_nc_u32_e32 v4, v8, v0
	s_delay_alu instid0(VALU_DEP_1)
	v_mul_lo_u32 v0, v4, s2
	v_mul_lo_u32 v4, v4, s3
	s_cbranch_scc1 .LBB473_1129
; %bb.1128:
	s_clause 0x1
	s_load_b128 s[4:7], s[16:17], 0x10
	s_load_b64 s[2:3], s[16:17], 0xcc
	s_waitcnt lgkmcnt(0)
	v_mul_hi_u32 v8, s5, v9
	s_delay_alu instid0(VALU_DEP_1) | instskip(NEXT) | instid1(VALU_DEP_1)
	v_add_nc_u32_e32 v8, v9, v8
	v_lshrrev_b32_e32 v8, s6, v8
	s_delay_alu instid0(VALU_DEP_1) | instskip(NEXT) | instid1(VALU_DEP_1)
	v_mul_lo_u32 v8, v8, s4
	v_sub_nc_u32_e32 v11, v9, v8
	s_delay_alu instid0(VALU_DEP_1) | instskip(SKIP_1) | instid1(VALU_DEP_2)
	v_mad_u64_u32 v[8:9], null, v11, s2, v[0:1]
	v_mad_u64_u32 v[9:10], null, v11, s3, v[4:5]
	v_mov_b32_e32 v0, v8
	s_delay_alu instid0(VALU_DEP_2)
	v_mov_b32_e32 v4, v9
.LBB473_1129:
	s_clause 0x1
	s_load_b32 s0, s[0:1], 0x164
	s_load_b128 s[4:7], s[16:17], 0x148
	s_mov_b32 s3, 0
	s_waitcnt lgkmcnt(0)
	s_lshr_b32 s0, s0, 8
	s_delay_alu instid0(SALU_CYCLE_1) | instskip(SKIP_1) | instid1(VALU_DEP_1)
	v_and_b32_e64 v9, 0xff, s0
	v_add_co_u32 v7, s0, s6, v7
	v_add_co_ci_u32_e64 v8, null, s7, 0, s0
	s_delay_alu instid0(VALU_DEP_3)
	v_cmp_gt_i16_e32 vcc_lo, 11, v9
	s_cbranch_vccnz .LBB473_1136
; %bb.1130:
	v_cmp_lt_i16_e32 vcc_lo, 25, v9
	s_mov_b32 s2, 0
	s_cbranch_vccz .LBB473_1142
; %bb.1131:
	v_cmp_lt_i16_e32 vcc_lo, 28, v9
	s_cbranch_vccz .LBB473_1144
; %bb.1132:
	v_cmp_lt_i16_e32 vcc_lo, 43, v9
	;; [unrolled: 3-line block ×3, first 2 shown]
	s_cbranch_vccz .LBB473_1150
; %bb.1134:
	v_cmp_eq_u16_e32 vcc_lo, 46, v9
	s_mov_b32 s1, 0
	s_cbranch_vccz .LBB473_1192
; %bb.1135:
	global_load_b32 v10, v[7:8], off
	s_mov_b32 s0, 0
	s_mov_b32 s3, -1
	s_waitcnt vmcnt(0)
	v_lshlrev_b32_e32 v10, 16, v10
	s_branch .LBB473_1194
.LBB473_1136:
	s_mov_b32 s1, s8
                                        ; implicit-def: $vgpr10
	s_cbranch_execz .LBB473_1257
; %bb.1137:
	v_cmp_gt_i16_e32 vcc_lo, 5, v9
	s_cbranch_vccnz .LBB473_1143
; %bb.1138:
	v_cmp_gt_i16_e32 vcc_lo, 8, v9
	s_cbranch_vccnz .LBB473_1145
	;; [unrolled: 3-line block ×3, first 2 shown]
; %bb.1140:
	v_cmp_lt_i16_e32 vcc_lo, 9, v9
	s_cbranch_vccz .LBB473_1151
; %bb.1141:
	global_load_b64 v[10:11], v[7:8], off
	s_mov_b32 s0, 0
	s_waitcnt vmcnt(0)
	v_cvt_f32_f64_e32 v10, v[10:11]
	s_branch .LBB473_1152
.LBB473_1142:
	s_mov_b32 s0, 0
                                        ; implicit-def: $vgpr10
	s_cbranch_execnz .LBB473_1222
	s_branch .LBB473_1253
.LBB473_1143:
                                        ; implicit-def: $vgpr10
	s_branch .LBB473_1169
.LBB473_1144:
	s_mov_b32 s1, -1
	s_mov_b32 s0, 0
                                        ; implicit-def: $vgpr10
	s_branch .LBB473_1203
.LBB473_1145:
                                        ; implicit-def: $vgpr10
	s_branch .LBB473_1158
.LBB473_1146:
	s_mov_b32 s0, 0
                                        ; implicit-def: $vgpr10
	s_cbranch_execnz .LBB473_1199
	s_branch .LBB473_1202
.LBB473_1147:
	s_mov_b32 s0, -1
                                        ; implicit-def: $vgpr10
	s_branch .LBB473_1155
.LBB473_1148:
	s_cbranch_execnz .LBB473_1190
; %bb.1149:
	s_or_b32 s3, s3, exec_lo
	s_and_not1_b32 s8, s8, exec_lo
	s_or_b32 exec_lo, exec_lo, s2
	s_and_saveexec_b32 s2, s8
	s_delay_alu instid0(SALU_CYCLE_1)
	s_xor_b32 s2, exec_lo, s2
	s_cbranch_execnz .LBB473_1036
	s_branch .LBB473_1037
.LBB473_1150:
	s_mov_b32 s1, -1
	s_mov_b32 s0, 0
	s_branch .LBB473_1193
.LBB473_1151:
	s_mov_b32 s0, -1
                                        ; implicit-def: $vgpr10
.LBB473_1152:
	s_delay_alu instid0(SALU_CYCLE_1)
	s_and_not1_b32 vcc_lo, exec_lo, s0
	s_cbranch_vccnz .LBB473_1154
; %bb.1153:
	global_load_b32 v10, v[7:8], off
.LBB473_1154:
	s_mov_b32 s0, 0
.LBB473_1155:
	s_delay_alu instid0(SALU_CYCLE_1)
	s_and_not1_b32 vcc_lo, exec_lo, s0
	s_cbranch_vccnz .LBB473_1157
; %bb.1156:
	global_load_b32 v10, v[7:8], off
	s_waitcnt vmcnt(0)
	v_cvt_f32_f16_e32 v10, v10
.LBB473_1157:
	s_cbranch_execnz .LBB473_1168
.LBB473_1158:
	v_cmp_gt_i16_e32 vcc_lo, 6, v9
	s_cbranch_vccnz .LBB473_1161
; %bb.1159:
	v_cmp_lt_i16_e32 vcc_lo, 6, v9
	s_cbranch_vccz .LBB473_1162
; %bb.1160:
	global_load_b64 v[10:11], v[7:8], off
	s_mov_b32 s0, 0
	s_waitcnt vmcnt(0)
	v_cvt_f32_f64_e32 v10, v[10:11]
	s_branch .LBB473_1163
.LBB473_1161:
	s_mov_b32 s0, -1
                                        ; implicit-def: $vgpr10
	s_branch .LBB473_1166
.LBB473_1162:
	s_mov_b32 s0, -1
                                        ; implicit-def: $vgpr10
.LBB473_1163:
	s_delay_alu instid0(SALU_CYCLE_1)
	s_and_not1_b32 vcc_lo, exec_lo, s0
	s_cbranch_vccnz .LBB473_1165
; %bb.1164:
	global_load_b32 v10, v[7:8], off
.LBB473_1165:
	s_mov_b32 s0, 0
.LBB473_1166:
	s_delay_alu instid0(SALU_CYCLE_1)
	s_and_not1_b32 vcc_lo, exec_lo, s0
	s_cbranch_vccnz .LBB473_1168
; %bb.1167:
	global_load_u16 v10, v[7:8], off
	s_waitcnt vmcnt(0)
	v_cvt_f32_f16_e32 v10, v10
.LBB473_1168:
	s_cbranch_execnz .LBB473_1187
.LBB473_1169:
	v_cmp_gt_i16_e32 vcc_lo, 2, v9
	s_cbranch_vccnz .LBB473_1173
; %bb.1170:
	v_cmp_gt_i16_e32 vcc_lo, 3, v9
	s_cbranch_vccnz .LBB473_1174
; %bb.1171:
	v_cmp_lt_i16_e32 vcc_lo, 3, v9
	s_cbranch_vccz .LBB473_1175
; %bb.1172:
	global_load_b64 v[10:11], v[7:8], off
	s_mov_b32 s0, 0
	s_waitcnt vmcnt(0)
	v_xor_b32_e32 v12, v10, v11
	v_cls_i32_e32 v13, v11
	s_delay_alu instid0(VALU_DEP_2) | instskip(NEXT) | instid1(VALU_DEP_2)
	v_ashrrev_i32_e32 v12, 31, v12
	v_add_nc_u32_e32 v13, -1, v13
	s_delay_alu instid0(VALU_DEP_2) | instskip(NEXT) | instid1(VALU_DEP_1)
	v_add_nc_u32_e32 v12, 32, v12
	v_min_u32_e32 v12, v13, v12
	s_delay_alu instid0(VALU_DEP_1) | instskip(NEXT) | instid1(VALU_DEP_1)
	v_lshlrev_b64 v[10:11], v12, v[10:11]
	v_min_u32_e32 v10, 1, v10
	s_delay_alu instid0(VALU_DEP_1) | instskip(SKIP_1) | instid1(VALU_DEP_2)
	v_or_b32_e32 v10, v11, v10
	v_sub_nc_u32_e32 v11, 32, v12
	v_cvt_f32_i32_e32 v10, v10
	s_delay_alu instid0(VALU_DEP_1)
	v_ldexp_f32 v10, v10, v11
	s_branch .LBB473_1176
.LBB473_1173:
                                        ; implicit-def: $vgpr10
	s_branch .LBB473_1182
.LBB473_1174:
	s_mov_b32 s0, -1
                                        ; implicit-def: $vgpr10
	s_branch .LBB473_1179
.LBB473_1175:
	s_mov_b32 s0, -1
                                        ; implicit-def: $vgpr10
.LBB473_1176:
	s_delay_alu instid0(SALU_CYCLE_1)
	s_and_not1_b32 vcc_lo, exec_lo, s0
	s_cbranch_vccnz .LBB473_1178
; %bb.1177:
	global_load_b32 v10, v[7:8], off
	s_waitcnt vmcnt(0)
	v_cvt_f32_i32_e32 v10, v10
.LBB473_1178:
	s_mov_b32 s0, 0
.LBB473_1179:
	s_delay_alu instid0(SALU_CYCLE_1)
	s_and_not1_b32 vcc_lo, exec_lo, s0
	s_cbranch_vccnz .LBB473_1181
; %bb.1180:
	global_load_i16 v10, v[7:8], off
	s_waitcnt vmcnt(0)
	v_cvt_f32_i32_e32 v10, v10
.LBB473_1181:
	s_cbranch_execnz .LBB473_1187
.LBB473_1182:
	v_cmp_lt_i16_e32 vcc_lo, 0, v9
	s_mov_b32 s0, 0
	s_cbranch_vccz .LBB473_1184
; %bb.1183:
	global_load_i8 v10, v[7:8], off
	s_waitcnt vmcnt(0)
	v_cvt_f32_i32_e32 v10, v10
	s_branch .LBB473_1185
.LBB473_1184:
	s_mov_b32 s0, -1
                                        ; implicit-def: $vgpr10
.LBB473_1185:
	s_delay_alu instid0(SALU_CYCLE_1)
	s_and_not1_b32 vcc_lo, exec_lo, s0
	s_cbranch_vccnz .LBB473_1187
; %bb.1186:
	global_load_u8 v7, v[7:8], off
	s_waitcnt vmcnt(0)
	v_cvt_f32_ubyte0_e32 v10, v7
.LBB473_1187:
	s_branch .LBB473_1258
.LBB473_1188:
	s_trap 2
	s_sendmsg_rtn_b32 s0, sendmsg(MSG_RTN_GET_DOORBELL)
	s_mov_b32 ttmp2, m0
	s_waitcnt lgkmcnt(0)
	s_and_b32 s0, s0, 0x3ff
	s_delay_alu instid0(SALU_CYCLE_1) | instskip(NEXT) | instid1(SALU_CYCLE_1)
	s_bitset1_b32 s0, 10
	s_mov_b32 m0, s0
	s_sendmsg sendmsg(MSG_INTERRUPT)
	s_mov_b32 m0, ttmp2
.LBB473_1189:                           ; =>This Inner Loop Header: Depth=1
	s_sethalt 5
	s_branch .LBB473_1189
.LBB473_1190:
	s_trap 2
	s_sendmsg_rtn_b32 s0, sendmsg(MSG_RTN_GET_DOORBELL)
	s_mov_b32 ttmp2, m0
	s_waitcnt lgkmcnt(0)
	s_and_b32 s0, s0, 0x3ff
	s_delay_alu instid0(SALU_CYCLE_1) | instskip(NEXT) | instid1(SALU_CYCLE_1)
	s_bitset1_b32 s0, 10
	s_mov_b32 m0, s0
	s_sendmsg sendmsg(MSG_INTERRUPT)
	s_mov_b32 m0, ttmp2
.LBB473_1191:                           ; =>This Inner Loop Header: Depth=1
	s_sethalt 5
	s_branch .LBB473_1191
.LBB473_1192:
	s_mov_b32 s0, -1
.LBB473_1193:
                                        ; implicit-def: $vgpr10
.LBB473_1194:
	s_and_b32 vcc_lo, exec_lo, s1
	s_cbranch_vccz .LBB473_1197
; %bb.1195:
	v_cmp_eq_u16_e32 vcc_lo, 44, v9
	s_cbranch_vccz .LBB473_1198
; %bb.1196:
	global_load_u8 v10, v[7:8], off
	s_mov_b32 s0, 0
	s_mov_b32 s3, -1
	s_waitcnt vmcnt(0)
	v_lshlrev_b32_e32 v11, 23, v10
	v_cmp_ne_u32_e32 vcc_lo, 0xff, v10
	s_delay_alu instid0(VALU_DEP_2) | instskip(SKIP_1) | instid1(VALU_DEP_2)
	v_cndmask_b32_e32 v11, 0x7f800001, v11, vcc_lo
	v_cmp_ne_u32_e32 vcc_lo, 0, v10
	v_cndmask_b32_e32 v10, 0x400000, v11, vcc_lo
.LBB473_1197:
	s_branch .LBB473_1202
.LBB473_1198:
	s_mov_b32 s0, -1
                                        ; implicit-def: $vgpr10
	s_branch .LBB473_1202
.LBB473_1199:
	v_cmp_eq_u16_e32 vcc_lo, 29, v9
	s_cbranch_vccz .LBB473_1201
; %bb.1200:
	global_load_b64 v[10:11], v[7:8], off
	s_mov_b32 s0, 0
	s_mov_b32 s3, -1
	s_mov_b32 s1, 0
	s_waitcnt vmcnt(0)
	v_clz_i32_u32_e32 v12, v11
	s_delay_alu instid0(VALU_DEP_1) | instskip(NEXT) | instid1(VALU_DEP_1)
	v_min_u32_e32 v12, 32, v12
	v_lshlrev_b64 v[10:11], v12, v[10:11]
	s_delay_alu instid0(VALU_DEP_1) | instskip(NEXT) | instid1(VALU_DEP_1)
	v_min_u32_e32 v10, 1, v10
	v_or_b32_e32 v10, v11, v10
	v_sub_nc_u32_e32 v11, 32, v12
	s_delay_alu instid0(VALU_DEP_2) | instskip(NEXT) | instid1(VALU_DEP_1)
	v_cvt_f32_u32_e32 v10, v10
	v_ldexp_f32 v10, v10, v11
	s_branch .LBB473_1203
.LBB473_1201:
	s_mov_b32 s0, -1
                                        ; implicit-def: $vgpr10
.LBB473_1202:
	s_mov_b32 s1, 0
.LBB473_1203:
	s_delay_alu instid0(SALU_CYCLE_1)
	s_and_b32 vcc_lo, exec_lo, s1
	s_cbranch_vccz .LBB473_1221
; %bb.1204:
	v_cmp_gt_i16_e32 vcc_lo, 27, v9
	s_cbranch_vccnz .LBB473_1207
; %bb.1205:
	v_cmp_lt_i16_e32 vcc_lo, 27, v9
	s_cbranch_vccz .LBB473_1208
; %bb.1206:
	global_load_b32 v10, v[7:8], off
	s_mov_b32 s1, 0
	s_waitcnt vmcnt(0)
	v_cvt_f32_u32_e32 v10, v10
	s_branch .LBB473_1209
.LBB473_1207:
	s_mov_b32 s1, -1
                                        ; implicit-def: $vgpr10
	s_branch .LBB473_1212
.LBB473_1208:
	s_mov_b32 s1, -1
                                        ; implicit-def: $vgpr10
.LBB473_1209:
	s_delay_alu instid0(SALU_CYCLE_1)
	s_and_not1_b32 vcc_lo, exec_lo, s1
	s_cbranch_vccnz .LBB473_1211
; %bb.1210:
	global_load_u16 v10, v[7:8], off
	s_waitcnt vmcnt(0)
	v_cvt_f32_u32_e32 v10, v10
.LBB473_1211:
	s_mov_b32 s1, 0
.LBB473_1212:
	s_delay_alu instid0(SALU_CYCLE_1)
	s_and_not1_b32 vcc_lo, exec_lo, s1
	s_cbranch_vccnz .LBB473_1220
; %bb.1213:
	global_load_u8 v11, v[7:8], off
	s_mov_b32 s1, 0
	s_mov_b32 s10, exec_lo
                                        ; implicit-def: $sgpr3
	s_waitcnt vmcnt(0)
	v_cmpx_lt_i16_e32 0x7f, v11
	s_xor_b32 s10, exec_lo, s10
	s_cbranch_execz .LBB473_1233
; %bb.1214:
	s_mov_b32 s1, -1
	s_mov_b32 s11, exec_lo
                                        ; implicit-def: $sgpr3
	v_cmpx_eq_u16_e32 0x80, v11
; %bb.1215:
	s_mov_b32 s3, 0x7f800001
	s_xor_b32 s1, exec_lo, -1
; %bb.1216:
	s_or_b32 exec_lo, exec_lo, s11
	s_delay_alu instid0(SALU_CYCLE_1)
	s_and_b32 s1, s1, exec_lo
	s_or_saveexec_b32 s10, s10
	v_mov_b32_e32 v10, s3
	s_xor_b32 exec_lo, exec_lo, s10
	s_cbranch_execnz .LBB473_1234
.LBB473_1217:
	s_or_b32 exec_lo, exec_lo, s10
	s_and_saveexec_b32 s3, s1
	s_cbranch_execz .LBB473_1219
.LBB473_1218:
	v_and_b32_e32 v10, 0xffff, v11
	s_delay_alu instid0(VALU_DEP_1) | instskip(NEXT) | instid1(VALU_DEP_1)
	v_and_b32_e32 v12, 7, v10
	v_clz_i32_u32_e32 v13, v12
	s_delay_alu instid0(VALU_DEP_1) | instskip(NEXT) | instid1(VALU_DEP_1)
	v_min_u32_e32 v13, 32, v13
	v_subrev_nc_u32_e32 v14, 28, v13
	v_sub_nc_u32_e32 v13, 29, v13
	s_delay_alu instid0(VALU_DEP_2) | instskip(SKIP_1) | instid1(VALU_DEP_2)
	v_lshlrev_b32_e32 v14, v14, v10
	v_bfe_u32 v10, v10, 3, 4
	v_and_b32_e32 v14, 7, v14
	s_delay_alu instid0(VALU_DEP_2) | instskip(SKIP_1) | instid1(VALU_DEP_1)
	v_cmp_eq_u32_e32 vcc_lo, 0, v10
	v_dual_cndmask_b32 v10, v10, v13 :: v_dual_lshlrev_b32 v11, 24, v11
	v_dual_cndmask_b32 v12, v12, v14 :: v_dual_and_b32 v11, 0x80000000, v11
	s_delay_alu instid0(VALU_DEP_2) | instskip(NEXT) | instid1(VALU_DEP_2)
	v_lshl_add_u32 v10, v10, 23, 0x3b800000
	v_lshlrev_b32_e32 v12, 20, v12
	s_delay_alu instid0(VALU_DEP_1)
	v_or3_b32 v10, v11, v10, v12
.LBB473_1219:
	s_or_b32 exec_lo, exec_lo, s3
.LBB473_1220:
	s_mov_b32 s3, -1
.LBB473_1221:
	s_branch .LBB473_1253
.LBB473_1222:
	v_cmp_lt_i16_e32 vcc_lo, 22, v9
	s_cbranch_vccz .LBB473_1232
; %bb.1223:
	v_cmp_gt_i16_e32 vcc_lo, 24, v9
	s_cbranch_vccnz .LBB473_1235
; %bb.1224:
	v_cmp_lt_i16_e32 vcc_lo, 24, v9
	s_cbranch_vccz .LBB473_1236
; %bb.1225:
	global_load_u8 v11, v[7:8], off
	s_mov_b32 s1, 0
	s_mov_b32 s3, exec_lo
                                        ; implicit-def: $sgpr2
	s_waitcnt vmcnt(0)
	v_cmpx_lt_i16_e32 0x7f, v11
	s_xor_b32 s3, exec_lo, s3
	s_cbranch_execz .LBB473_1247
; %bb.1226:
	s_mov_b32 s1, -1
	s_mov_b32 s10, exec_lo
                                        ; implicit-def: $sgpr2
	v_cmpx_eq_u16_e32 0x80, v11
; %bb.1227:
	s_mov_b32 s2, 0x7f800001
	s_xor_b32 s1, exec_lo, -1
; %bb.1228:
	s_or_b32 exec_lo, exec_lo, s10
	s_delay_alu instid0(SALU_CYCLE_1)
	s_and_b32 s1, s1, exec_lo
	s_or_saveexec_b32 s3, s3
	v_mov_b32_e32 v10, s2
	s_xor_b32 exec_lo, exec_lo, s3
	s_cbranch_execnz .LBB473_1248
.LBB473_1229:
	s_or_b32 exec_lo, exec_lo, s3
	s_and_saveexec_b32 s2, s1
	s_cbranch_execz .LBB473_1231
.LBB473_1230:
	v_and_b32_e32 v10, 0xffff, v11
	s_delay_alu instid0(VALU_DEP_1) | instskip(NEXT) | instid1(VALU_DEP_1)
	v_and_b32_e32 v12, 3, v10
	v_clz_i32_u32_e32 v13, v12
	s_delay_alu instid0(VALU_DEP_1) | instskip(NEXT) | instid1(VALU_DEP_1)
	v_min_u32_e32 v13, 32, v13
	v_subrev_nc_u32_e32 v14, 29, v13
	v_sub_nc_u32_e32 v13, 30, v13
	s_delay_alu instid0(VALU_DEP_2) | instskip(SKIP_1) | instid1(VALU_DEP_2)
	v_lshlrev_b32_e32 v14, v14, v10
	v_bfe_u32 v10, v10, 2, 5
	v_and_b32_e32 v14, 3, v14
	s_delay_alu instid0(VALU_DEP_2) | instskip(SKIP_1) | instid1(VALU_DEP_1)
	v_cmp_eq_u32_e32 vcc_lo, 0, v10
	v_dual_cndmask_b32 v10, v10, v13 :: v_dual_lshlrev_b32 v11, 24, v11
	v_dual_cndmask_b32 v12, v12, v14 :: v_dual_and_b32 v11, 0x80000000, v11
	s_delay_alu instid0(VALU_DEP_2) | instskip(NEXT) | instid1(VALU_DEP_2)
	v_lshl_add_u32 v10, v10, 23, 0x37800000
	v_lshlrev_b32_e32 v12, 21, v12
	s_delay_alu instid0(VALU_DEP_1)
	v_or3_b32 v10, v11, v10, v12
.LBB473_1231:
	s_or_b32 exec_lo, exec_lo, s2
	s_mov_b32 s1, 0
	s_branch .LBB473_1237
.LBB473_1232:
                                        ; implicit-def: $vgpr10
	s_mov_b32 s2, 0
	s_branch .LBB473_1243
.LBB473_1233:
	s_or_saveexec_b32 s10, s10
	v_mov_b32_e32 v10, s3
	s_xor_b32 exec_lo, exec_lo, s10
	s_cbranch_execz .LBB473_1217
.LBB473_1234:
	v_cmp_ne_u16_e32 vcc_lo, 0, v11
	v_mov_b32_e32 v10, 0
	s_and_not1_b32 s1, s1, exec_lo
	s_and_b32 s3, vcc_lo, exec_lo
	s_delay_alu instid0(SALU_CYCLE_1)
	s_or_b32 s1, s1, s3
	s_or_b32 exec_lo, exec_lo, s10
	s_and_saveexec_b32 s3, s1
	s_cbranch_execnz .LBB473_1218
	s_branch .LBB473_1219
.LBB473_1235:
	s_mov_b32 s1, -1
                                        ; implicit-def: $vgpr10
	s_branch .LBB473_1240
.LBB473_1236:
	s_mov_b32 s1, -1
                                        ; implicit-def: $vgpr10
.LBB473_1237:
	s_delay_alu instid0(SALU_CYCLE_1)
	s_and_b32 vcc_lo, exec_lo, s1
	s_cbranch_vccz .LBB473_1239
; %bb.1238:
	global_load_u8 v10, v[7:8], off
	s_waitcnt vmcnt(0)
	v_lshlrev_b32_e32 v10, 24, v10
	s_delay_alu instid0(VALU_DEP_1) | instskip(NEXT) | instid1(VALU_DEP_1)
	v_and_b32_e32 v11, 0x7f000000, v10
	v_clz_i32_u32_e32 v12, v11
	v_add_nc_u32_e32 v14, 0x1000000, v11
	v_cmp_ne_u32_e32 vcc_lo, 0, v11
	s_delay_alu instid0(VALU_DEP_3) | instskip(NEXT) | instid1(VALU_DEP_1)
	v_min_u32_e32 v12, 32, v12
	v_sub_nc_u32_e64 v12, v12, 4 clamp
	s_delay_alu instid0(VALU_DEP_1) | instskip(SKIP_1) | instid1(VALU_DEP_2)
	v_lshlrev_b32_e32 v13, v12, v11
	v_lshlrev_b32_e32 v12, 23, v12
	v_lshrrev_b32_e32 v13, 4, v13
	s_delay_alu instid0(VALU_DEP_1) | instskip(SKIP_1) | instid1(VALU_DEP_2)
	v_sub_nc_u32_e32 v12, v13, v12
	v_ashrrev_i32_e32 v13, 8, v14
	v_add_nc_u32_e32 v12, 0x3c000000, v12
	s_delay_alu instid0(VALU_DEP_1) | instskip(NEXT) | instid1(VALU_DEP_1)
	v_and_or_b32 v12, 0x7f800000, v13, v12
	v_cndmask_b32_e32 v11, 0, v12, vcc_lo
	s_delay_alu instid0(VALU_DEP_1)
	v_and_or_b32 v10, 0x80000000, v10, v11
.LBB473_1239:
	s_mov_b32 s1, 0
.LBB473_1240:
	s_delay_alu instid0(SALU_CYCLE_1)
	s_and_not1_b32 vcc_lo, exec_lo, s1
	s_cbranch_vccnz .LBB473_1242
; %bb.1241:
	global_load_u8 v10, v[7:8], off
	s_waitcnt vmcnt(0)
	v_lshlrev_b32_e32 v11, 25, v10
	v_lshlrev_b16 v10, 8, v10
	s_delay_alu instid0(VALU_DEP_2) | instskip(NEXT) | instid1(VALU_DEP_2)
	v_lshrrev_b32_e32 v12, 4, v11
	v_and_or_b32 v13, 0x7f00, v10, 0.5
	v_bfe_i32 v10, v10, 0, 16
	s_delay_alu instid0(VALU_DEP_3) | instskip(NEXT) | instid1(VALU_DEP_1)
	v_or_b32_e32 v12, 0x70000000, v12
	v_dual_add_f32 v13, -0.5, v13 :: v_dual_mul_f32 v12, 0x7800000, v12
	v_cmp_gt_u32_e32 vcc_lo, 0x8000000, v11
	s_delay_alu instid0(VALU_DEP_2) | instskip(NEXT) | instid1(VALU_DEP_1)
	v_cndmask_b32_e32 v11, v12, v13, vcc_lo
	v_and_or_b32 v10, 0x80000000, v10, v11
.LBB473_1242:
	s_mov_b32 s3, -1
	s_mov_b32 s2, 0
	s_cbranch_execnz .LBB473_1253
.LBB473_1243:
	v_cmp_lt_i16_e32 vcc_lo, 14, v9
	s_cbranch_vccz .LBB473_1246
; %bb.1244:
	v_cmp_eq_u16_e32 vcc_lo, 15, v9
	s_cbranch_vccz .LBB473_1249
; %bb.1245:
	global_load_u16 v10, v[7:8], off
	s_mov_b32 s0, 0
	s_mov_b32 s3, -1
	s_waitcnt vmcnt(0)
	v_lshlrev_b32_e32 v10, 16, v10
	s_branch .LBB473_1250
.LBB473_1246:
	s_mov_b32 s1, -1
                                        ; implicit-def: $vgpr10
	s_branch .LBB473_1251
.LBB473_1247:
	s_or_saveexec_b32 s3, s3
	v_mov_b32_e32 v10, s2
	s_xor_b32 exec_lo, exec_lo, s3
	s_cbranch_execz .LBB473_1229
.LBB473_1248:
	v_cmp_ne_u16_e32 vcc_lo, 0, v11
	v_mov_b32_e32 v10, 0
	s_and_not1_b32 s1, s1, exec_lo
	s_and_b32 s2, vcc_lo, exec_lo
	s_delay_alu instid0(SALU_CYCLE_1)
	s_or_b32 s1, s1, s2
	s_or_b32 exec_lo, exec_lo, s3
	s_and_saveexec_b32 s2, s1
	s_cbranch_execnz .LBB473_1230
	s_branch .LBB473_1231
.LBB473_1249:
	s_mov_b32 s0, -1
                                        ; implicit-def: $vgpr10
.LBB473_1250:
	s_mov_b32 s1, 0
.LBB473_1251:
	s_delay_alu instid0(SALU_CYCLE_1)
	s_and_b32 vcc_lo, exec_lo, s1
	s_cbranch_vccz .LBB473_1253
; %bb.1252:
	v_cmp_ne_u16_e64 s0, 11, v9
	s_mov_b32 s2, -1
                                        ; implicit-def: $vgpr10
.LBB473_1253:
	s_delay_alu instid0(VALU_DEP_1)
	s_and_b32 vcc_lo, exec_lo, s0
	s_mov_b32 s1, s8
	s_cbranch_vccnz .LBB473_1277
; %bb.1254:
	s_and_not1_b32 vcc_lo, exec_lo, s2
	s_cbranch_vccnz .LBB473_1256
.LBB473_1255:
	global_load_u8 v10, v[7:8], off
	s_mov_b32 s3, -1
	s_waitcnt vmcnt(0)
	v_cmp_ne_u16_e32 vcc_lo, 0, v10
	v_cndmask_b32_e64 v10, 0, 1.0, vcc_lo
.LBB473_1256:
.LBB473_1257:
	s_and_not1_b32 vcc_lo, exec_lo, s3
	s_cbranch_vccnz .LBB473_2049
.LBB473_1258:
	v_cmp_gt_i16_e32 vcc_lo, 11, v9
	s_waitcnt vmcnt(0)
	v_add_co_u32 v6, s0, s6, v6
	s_delay_alu instid0(VALU_DEP_1)
	v_add_co_ci_u32_e64 v7, null, s7, 0, s0
	s_mov_b32 s3, 0
	s_cbranch_vccnz .LBB473_1265
; %bb.1259:
	v_cmp_lt_i16_e32 vcc_lo, 25, v9
	s_mov_b32 s2, 0
	s_cbranch_vccz .LBB473_1271
; %bb.1260:
	v_cmp_lt_i16_e32 vcc_lo, 28, v9
	s_cbranch_vccz .LBB473_1273
; %bb.1261:
	v_cmp_lt_i16_e32 vcc_lo, 43, v9
	;; [unrolled: 3-line block ×3, first 2 shown]
	s_cbranch_vccz .LBB473_1281
; %bb.1263:
	v_cmp_eq_u16_e32 vcc_lo, 46, v9
	s_mov_b32 s10, 0
	s_cbranch_vccz .LBB473_1325
; %bb.1264:
	global_load_b32 v8, v[6:7], off
	s_mov_b32 s0, 0
	s_mov_b32 s3, -1
	s_waitcnt vmcnt(0)
	v_lshlrev_b32_e32 v8, 16, v8
	s_branch .LBB473_1327
.LBB473_1265:
                                        ; implicit-def: $vgpr8
	s_cbranch_execz .LBB473_1392
; %bb.1266:
	v_cmp_gt_i16_e32 vcc_lo, 5, v9
	s_cbranch_vccnz .LBB473_1272
; %bb.1267:
	v_cmp_gt_i16_e32 vcc_lo, 8, v9
	s_cbranch_vccnz .LBB473_1274
	;; [unrolled: 3-line block ×3, first 2 shown]
; %bb.1269:
	v_cmp_lt_i16_e32 vcc_lo, 9, v9
	s_cbranch_vccz .LBB473_1282
; %bb.1270:
	global_load_b64 v[11:12], v[6:7], off
	s_mov_b32 s0, 0
	s_waitcnt vmcnt(0)
	v_cvt_f32_f64_e32 v8, v[11:12]
	s_branch .LBB473_1283
.LBB473_1271:
	s_mov_b32 s0, 0
                                        ; implicit-def: $vgpr8
	s_cbranch_execnz .LBB473_1356
	s_branch .LBB473_1388
.LBB473_1272:
                                        ; implicit-def: $vgpr8
	s_branch .LBB473_1301
.LBB473_1273:
	s_mov_b32 s10, -1
	s_mov_b32 s0, 0
                                        ; implicit-def: $vgpr8
	s_branch .LBB473_1337
.LBB473_1274:
	s_mov_b32 s0, -1
                                        ; implicit-def: $vgpr8
	s_branch .LBB473_1289
.LBB473_1275:
	s_mov_b32 s10, -1
	s_mov_b32 s0, 0
                                        ; implicit-def: $vgpr8
	s_branch .LBB473_1332
.LBB473_1276:
	s_mov_b32 s0, -1
                                        ; implicit-def: $vgpr8
	s_branch .LBB473_1286
.LBB473_1277:
	s_cbranch_execnz .LBB473_1321
; %bb.1278:
	s_or_b32 s1, s8, exec_lo
                                        ; implicit-def: $vgpr10
	s_cbranch_execz .LBB473_1255
	s_branch .LBB473_1256
.LBB473_1279:
	s_or_saveexec_b32 s7, s7
                                        ; implicit-def: $sgpr8
	s_delay_alu instid0(SALU_CYCLE_1)
	s_xor_b32 exec_lo, exec_lo, s7
	s_cbranch_execz .LBB473_987
.LBB473_1280:
	v_add_f32_e64 v0, 0x46000000, |v3|
	s_and_not1_b32 s5, s5, exec_lo
	s_mov_b32 s8, 0
	s_delay_alu instid0(VALU_DEP_1) | instskip(NEXT) | instid1(VALU_DEP_1)
	v_and_b32_e32 v0, 0xff, v0
	v_cmp_ne_u32_e32 vcc_lo, 0, v0
	s_and_b32 s9, vcc_lo, exec_lo
	s_delay_alu instid0(SALU_CYCLE_1)
	s_or_b32 s5, s5, s9
	s_or_b32 exec_lo, exec_lo, s7
	v_mov_b32_e32 v4, s8
	s_and_saveexec_b32 s7, s5
	s_cbranch_execnz .LBB473_988
	s_branch .LBB473_989
.LBB473_1281:
	s_mov_b32 s10, -1
	s_mov_b32 s0, 0
	s_branch .LBB473_1326
.LBB473_1282:
	s_mov_b32 s0, -1
                                        ; implicit-def: $vgpr8
.LBB473_1283:
	s_delay_alu instid0(SALU_CYCLE_1)
	s_and_not1_b32 vcc_lo, exec_lo, s0
	s_cbranch_vccnz .LBB473_1285
; %bb.1284:
	global_load_b32 v8, v[6:7], off
.LBB473_1285:
	s_mov_b32 s0, 0
.LBB473_1286:
	s_delay_alu instid0(SALU_CYCLE_1)
	s_and_not1_b32 vcc_lo, exec_lo, s0
	s_cbranch_vccnz .LBB473_1288
; %bb.1287:
	global_load_b32 v8, v[6:7], off
	s_waitcnt vmcnt(0)
	v_cvt_f32_f16_e32 v8, v8
.LBB473_1288:
	s_mov_b32 s0, 0
.LBB473_1289:
	s_delay_alu instid0(SALU_CYCLE_1)
	s_and_not1_b32 vcc_lo, exec_lo, s0
	s_cbranch_vccnz .LBB473_1300
; %bb.1290:
	v_cmp_gt_i16_e32 vcc_lo, 6, v9
	s_cbranch_vccnz .LBB473_1293
; %bb.1291:
	v_cmp_lt_i16_e32 vcc_lo, 6, v9
	s_cbranch_vccz .LBB473_1294
; %bb.1292:
	global_load_b64 v[11:12], v[6:7], off
	s_mov_b32 s0, 0
	s_waitcnt vmcnt(0)
	v_cvt_f32_f64_e32 v8, v[11:12]
	s_branch .LBB473_1295
.LBB473_1293:
	s_mov_b32 s0, -1
                                        ; implicit-def: $vgpr8
	s_branch .LBB473_1298
.LBB473_1294:
	s_mov_b32 s0, -1
                                        ; implicit-def: $vgpr8
.LBB473_1295:
	s_delay_alu instid0(SALU_CYCLE_1)
	s_and_not1_b32 vcc_lo, exec_lo, s0
	s_cbranch_vccnz .LBB473_1297
; %bb.1296:
	global_load_b32 v8, v[6:7], off
.LBB473_1297:
	s_mov_b32 s0, 0
.LBB473_1298:
	s_delay_alu instid0(SALU_CYCLE_1)
	s_and_not1_b32 vcc_lo, exec_lo, s0
	s_cbranch_vccnz .LBB473_1300
; %bb.1299:
	global_load_u16 v8, v[6:7], off
	s_waitcnt vmcnt(0)
	v_cvt_f32_f16_e32 v8, v8
.LBB473_1300:
	s_cbranch_execnz .LBB473_1320
.LBB473_1301:
	v_cmp_gt_i16_e32 vcc_lo, 2, v9
	s_cbranch_vccnz .LBB473_1305
; %bb.1302:
	v_cmp_gt_i16_e32 vcc_lo, 3, v9
	s_cbranch_vccnz .LBB473_1306
; %bb.1303:
	v_cmp_lt_i16_e32 vcc_lo, 3, v9
	s_cbranch_vccz .LBB473_1307
; %bb.1304:
	global_load_b64 v[11:12], v[6:7], off
	s_mov_b32 s0, 0
	s_waitcnt vmcnt(0)
	v_xor_b32_e32 v8, v11, v12
	v_cls_i32_e32 v13, v12
	s_delay_alu instid0(VALU_DEP_2) | instskip(NEXT) | instid1(VALU_DEP_2)
	v_ashrrev_i32_e32 v8, 31, v8
	v_add_nc_u32_e32 v13, -1, v13
	s_delay_alu instid0(VALU_DEP_2) | instskip(NEXT) | instid1(VALU_DEP_1)
	v_add_nc_u32_e32 v8, 32, v8
	v_min_u32_e32 v8, v13, v8
	s_delay_alu instid0(VALU_DEP_1) | instskip(SKIP_1) | instid1(VALU_DEP_2)
	v_lshlrev_b64 v[11:12], v8, v[11:12]
	v_sub_nc_u32_e32 v8, 32, v8
	v_min_u32_e32 v11, 1, v11
	s_delay_alu instid0(VALU_DEP_1) | instskip(NEXT) | instid1(VALU_DEP_1)
	v_or_b32_e32 v11, v12, v11
	v_cvt_f32_i32_e32 v11, v11
	s_delay_alu instid0(VALU_DEP_1)
	v_ldexp_f32 v8, v11, v8
	s_branch .LBB473_1308
.LBB473_1305:
	s_mov_b32 s0, -1
                                        ; implicit-def: $vgpr8
	s_branch .LBB473_1314
.LBB473_1306:
	s_mov_b32 s0, -1
                                        ; implicit-def: $vgpr8
	s_branch .LBB473_1311
.LBB473_1307:
	s_mov_b32 s0, -1
                                        ; implicit-def: $vgpr8
.LBB473_1308:
	s_delay_alu instid0(SALU_CYCLE_1)
	s_and_not1_b32 vcc_lo, exec_lo, s0
	s_cbranch_vccnz .LBB473_1310
; %bb.1309:
	global_load_b32 v8, v[6:7], off
	s_waitcnt vmcnt(0)
	v_cvt_f32_i32_e32 v8, v8
.LBB473_1310:
	s_mov_b32 s0, 0
.LBB473_1311:
	s_delay_alu instid0(SALU_CYCLE_1)
	s_and_not1_b32 vcc_lo, exec_lo, s0
	s_cbranch_vccnz .LBB473_1313
; %bb.1312:
	global_load_i16 v8, v[6:7], off
	s_waitcnt vmcnt(0)
	v_cvt_f32_i32_e32 v8, v8
.LBB473_1313:
	s_mov_b32 s0, 0
.LBB473_1314:
	s_delay_alu instid0(SALU_CYCLE_1)
	s_and_not1_b32 vcc_lo, exec_lo, s0
	s_cbranch_vccnz .LBB473_1320
; %bb.1315:
	v_cmp_lt_i16_e32 vcc_lo, 0, v9
	s_mov_b32 s0, 0
	s_cbranch_vccz .LBB473_1317
; %bb.1316:
	global_load_i8 v8, v[6:7], off
	s_waitcnt vmcnt(0)
	v_cvt_f32_i32_e32 v8, v8
	s_branch .LBB473_1318
.LBB473_1317:
	s_mov_b32 s0, -1
                                        ; implicit-def: $vgpr8
.LBB473_1318:
	s_delay_alu instid0(SALU_CYCLE_1)
	s_and_not1_b32 vcc_lo, exec_lo, s0
	s_cbranch_vccnz .LBB473_1320
; %bb.1319:
	global_load_u8 v6, v[6:7], off
	s_waitcnt vmcnt(0)
	v_cvt_f32_ubyte0_e32 v8, v6
.LBB473_1320:
	s_branch .LBB473_1393
.LBB473_1321:
	s_trap 2
	s_sendmsg_rtn_b32 s0, sendmsg(MSG_RTN_GET_DOORBELL)
	s_mov_b32 ttmp2, m0
	s_waitcnt lgkmcnt(0)
	s_and_b32 s0, s0, 0x3ff
	s_delay_alu instid0(SALU_CYCLE_1) | instskip(NEXT) | instid1(SALU_CYCLE_1)
	s_bitset1_b32 s0, 10
	s_mov_b32 m0, s0
	s_sendmsg sendmsg(MSG_INTERRUPT)
	s_mov_b32 m0, ttmp2
.LBB473_1322:                           ; =>This Inner Loop Header: Depth=1
	s_sethalt 5
	s_branch .LBB473_1322
.LBB473_1323:
	s_or_saveexec_b32 s8, s8
                                        ; implicit-def: $sgpr9
	s_delay_alu instid0(SALU_CYCLE_1)
	s_xor_b32 exec_lo, exec_lo, s8
	s_cbranch_execz .LBB473_999
.LBB473_1324:
	v_add_f32_e64 v0, 0x42800000, |v3|
	s_and_not1_b32 s7, s7, exec_lo
	s_mov_b32 s9, 0
	s_delay_alu instid0(VALU_DEP_1) | instskip(NEXT) | instid1(VALU_DEP_1)
	v_and_b32_e32 v0, 0xff, v0
	v_cmp_ne_u32_e32 vcc_lo, 0, v0
	s_and_b32 s10, vcc_lo, exec_lo
	s_delay_alu instid0(SALU_CYCLE_1)
	s_or_b32 s7, s7, s10
	s_or_b32 exec_lo, exec_lo, s8
	v_mov_b32_e32 v4, s9
	s_and_saveexec_b32 s8, s7
	s_cbranch_execnz .LBB473_1000
	s_branch .LBB473_1001
.LBB473_1325:
	s_mov_b32 s0, -1
.LBB473_1326:
                                        ; implicit-def: $vgpr8
.LBB473_1327:
	s_and_b32 vcc_lo, exec_lo, s10
	s_cbranch_vccz .LBB473_1331
; %bb.1328:
	v_cmp_eq_u16_e32 vcc_lo, 44, v9
	s_cbranch_vccz .LBB473_1330
; %bb.1329:
	global_load_u8 v8, v[6:7], off
	s_mov_b32 s0, 0
	s_mov_b32 s3, -1
	s_waitcnt vmcnt(0)
	v_lshlrev_b32_e32 v11, 23, v8
	v_cmp_ne_u32_e32 vcc_lo, 0xff, v8
	s_delay_alu instid0(VALU_DEP_2) | instskip(SKIP_1) | instid1(VALU_DEP_2)
	v_cndmask_b32_e32 v11, 0x7f800001, v11, vcc_lo
	v_cmp_ne_u32_e32 vcc_lo, 0, v8
	v_cndmask_b32_e32 v8, 0x400000, v11, vcc_lo
	s_branch .LBB473_1331
.LBB473_1330:
	s_mov_b32 s0, -1
                                        ; implicit-def: $vgpr8
.LBB473_1331:
	s_mov_b32 s10, 0
.LBB473_1332:
	s_delay_alu instid0(SALU_CYCLE_1)
	s_and_b32 vcc_lo, exec_lo, s10
	s_cbranch_vccz .LBB473_1336
; %bb.1333:
	v_cmp_eq_u16_e32 vcc_lo, 29, v9
	s_cbranch_vccz .LBB473_1335
; %bb.1334:
	global_load_b64 v[11:12], v[6:7], off
	s_mov_b32 s0, 0
	s_mov_b32 s3, -1
	s_mov_b32 s10, 0
	s_waitcnt vmcnt(0)
	v_clz_i32_u32_e32 v8, v12
	s_delay_alu instid0(VALU_DEP_1) | instskip(NEXT) | instid1(VALU_DEP_1)
	v_min_u32_e32 v8, 32, v8
	v_lshlrev_b64 v[11:12], v8, v[11:12]
	v_sub_nc_u32_e32 v8, 32, v8
	s_delay_alu instid0(VALU_DEP_2) | instskip(NEXT) | instid1(VALU_DEP_1)
	v_min_u32_e32 v11, 1, v11
	v_or_b32_e32 v11, v12, v11
	s_delay_alu instid0(VALU_DEP_1) | instskip(NEXT) | instid1(VALU_DEP_1)
	v_cvt_f32_u32_e32 v11, v11
	v_ldexp_f32 v8, v11, v8
	s_branch .LBB473_1337
.LBB473_1335:
	s_mov_b32 s0, -1
                                        ; implicit-def: $vgpr8
.LBB473_1336:
	s_mov_b32 s10, 0
.LBB473_1337:
	s_delay_alu instid0(SALU_CYCLE_1)
	s_and_b32 vcc_lo, exec_lo, s10
	s_cbranch_vccz .LBB473_1355
; %bb.1338:
	v_cmp_gt_i16_e32 vcc_lo, 27, v9
	s_cbranch_vccnz .LBB473_1341
; %bb.1339:
	v_cmp_lt_i16_e32 vcc_lo, 27, v9
	s_cbranch_vccz .LBB473_1342
; %bb.1340:
	global_load_b32 v8, v[6:7], off
	s_mov_b32 s3, 0
	s_waitcnt vmcnt(0)
	v_cvt_f32_u32_e32 v8, v8
	s_branch .LBB473_1343
.LBB473_1341:
	s_mov_b32 s3, -1
                                        ; implicit-def: $vgpr8
	s_branch .LBB473_1346
.LBB473_1342:
	s_mov_b32 s3, -1
                                        ; implicit-def: $vgpr8
.LBB473_1343:
	s_delay_alu instid0(SALU_CYCLE_1)
	s_and_not1_b32 vcc_lo, exec_lo, s3
	s_cbranch_vccnz .LBB473_1345
; %bb.1344:
	global_load_u16 v8, v[6:7], off
	s_waitcnt vmcnt(0)
	v_cvt_f32_u32_e32 v8, v8
.LBB473_1345:
	s_mov_b32 s3, 0
.LBB473_1346:
	s_delay_alu instid0(SALU_CYCLE_1)
	s_and_not1_b32 vcc_lo, exec_lo, s3
	s_cbranch_vccnz .LBB473_1354
; %bb.1347:
	global_load_u8 v11, v[6:7], off
	s_mov_b32 s3, 0
	s_mov_b32 s11, exec_lo
                                        ; implicit-def: $sgpr10
	s_waitcnt vmcnt(0)
	v_cmpx_lt_i16_e32 0x7f, v11
	s_xor_b32 s11, exec_lo, s11
	s_cbranch_execz .LBB473_1367
; %bb.1348:
	s_mov_b32 s3, -1
	s_mov_b32 s12, exec_lo
                                        ; implicit-def: $sgpr10
	v_cmpx_eq_u16_e32 0x80, v11
; %bb.1349:
	s_mov_b32 s10, 0x7f800001
	s_xor_b32 s3, exec_lo, -1
; %bb.1350:
	s_or_b32 exec_lo, exec_lo, s12
	s_delay_alu instid0(SALU_CYCLE_1)
	s_and_b32 s3, s3, exec_lo
	s_or_saveexec_b32 s11, s11
	v_mov_b32_e32 v8, s10
	s_xor_b32 exec_lo, exec_lo, s11
	s_cbranch_execnz .LBB473_1368
.LBB473_1351:
	s_or_b32 exec_lo, exec_lo, s11
	s_and_saveexec_b32 s10, s3
	s_cbranch_execz .LBB473_1353
.LBB473_1352:
	v_and_b32_e32 v8, 0xffff, v11
	s_delay_alu instid0(VALU_DEP_1) | instskip(NEXT) | instid1(VALU_DEP_1)
	v_and_b32_e32 v12, 7, v8
	v_clz_i32_u32_e32 v13, v12
	s_delay_alu instid0(VALU_DEP_1) | instskip(NEXT) | instid1(VALU_DEP_1)
	v_min_u32_e32 v13, 32, v13
	v_subrev_nc_u32_e32 v14, 28, v13
	v_sub_nc_u32_e32 v13, 29, v13
	s_delay_alu instid0(VALU_DEP_2) | instskip(SKIP_1) | instid1(VALU_DEP_2)
	v_lshlrev_b32_e32 v14, v14, v8
	v_bfe_u32 v8, v8, 3, 4
	v_and_b32_e32 v14, 7, v14
	s_delay_alu instid0(VALU_DEP_2) | instskip(SKIP_1) | instid1(VALU_DEP_1)
	v_cmp_eq_u32_e32 vcc_lo, 0, v8
	v_dual_cndmask_b32 v8, v8, v13 :: v_dual_lshlrev_b32 v11, 24, v11
	v_dual_cndmask_b32 v12, v12, v14 :: v_dual_and_b32 v11, 0x80000000, v11
	s_delay_alu instid0(VALU_DEP_2) | instskip(NEXT) | instid1(VALU_DEP_2)
	v_lshl_add_u32 v8, v8, 23, 0x3b800000
	v_lshlrev_b32_e32 v12, 20, v12
	s_delay_alu instid0(VALU_DEP_1)
	v_or3_b32 v8, v11, v8, v12
.LBB473_1353:
	s_or_b32 exec_lo, exec_lo, s10
.LBB473_1354:
	s_mov_b32 s3, -1
.LBB473_1355:
	s_branch .LBB473_1388
.LBB473_1356:
	v_cmp_lt_i16_e32 vcc_lo, 22, v9
	s_cbranch_vccz .LBB473_1366
; %bb.1357:
	v_cmp_gt_i16_e32 vcc_lo, 24, v9
	s_cbranch_vccnz .LBB473_1369
; %bb.1358:
	v_cmp_lt_i16_e32 vcc_lo, 24, v9
	s_cbranch_vccz .LBB473_1370
; %bb.1359:
	global_load_u8 v11, v[6:7], off
	s_mov_b32 s10, exec_lo
                                        ; implicit-def: $sgpr3
	s_waitcnt vmcnt(0)
	v_cmpx_lt_i16_e32 0x7f, v11
	s_xor_b32 s10, exec_lo, s10
	s_cbranch_execz .LBB473_1382
; %bb.1360:
	s_mov_b32 s2, -1
	s_mov_b32 s11, exec_lo
                                        ; implicit-def: $sgpr3
	v_cmpx_eq_u16_e32 0x80, v11
; %bb.1361:
	s_mov_b32 s3, 0x7f800001
	s_xor_b32 s2, exec_lo, -1
; %bb.1362:
	s_or_b32 exec_lo, exec_lo, s11
	s_delay_alu instid0(SALU_CYCLE_1)
	s_and_b32 s2, s2, exec_lo
	s_or_saveexec_b32 s10, s10
	v_mov_b32_e32 v8, s3
	s_xor_b32 exec_lo, exec_lo, s10
	s_cbranch_execnz .LBB473_1383
.LBB473_1363:
	s_or_b32 exec_lo, exec_lo, s10
	s_and_saveexec_b32 s3, s2
	s_cbranch_execz .LBB473_1365
.LBB473_1364:
	v_and_b32_e32 v8, 0xffff, v11
	s_delay_alu instid0(VALU_DEP_1) | instskip(NEXT) | instid1(VALU_DEP_1)
	v_and_b32_e32 v12, 3, v8
	v_clz_i32_u32_e32 v13, v12
	s_delay_alu instid0(VALU_DEP_1) | instskip(NEXT) | instid1(VALU_DEP_1)
	v_min_u32_e32 v13, 32, v13
	v_subrev_nc_u32_e32 v14, 29, v13
	v_sub_nc_u32_e32 v13, 30, v13
	s_delay_alu instid0(VALU_DEP_2) | instskip(SKIP_1) | instid1(VALU_DEP_2)
	v_lshlrev_b32_e32 v14, v14, v8
	v_bfe_u32 v8, v8, 2, 5
	v_and_b32_e32 v14, 3, v14
	s_delay_alu instid0(VALU_DEP_2) | instskip(SKIP_1) | instid1(VALU_DEP_1)
	v_cmp_eq_u32_e32 vcc_lo, 0, v8
	v_dual_cndmask_b32 v8, v8, v13 :: v_dual_lshlrev_b32 v11, 24, v11
	v_dual_cndmask_b32 v12, v12, v14 :: v_dual_and_b32 v11, 0x80000000, v11
	s_delay_alu instid0(VALU_DEP_2) | instskip(NEXT) | instid1(VALU_DEP_2)
	v_lshl_add_u32 v8, v8, 23, 0x37800000
	v_lshlrev_b32_e32 v12, 21, v12
	s_delay_alu instid0(VALU_DEP_1)
	v_or3_b32 v8, v11, v8, v12
.LBB473_1365:
	s_or_b32 exec_lo, exec_lo, s3
	s_mov_b32 s2, 0
	s_branch .LBB473_1371
.LBB473_1366:
	s_mov_b32 s2, -1
                                        ; implicit-def: $vgpr8
	s_branch .LBB473_1377
.LBB473_1367:
	s_or_saveexec_b32 s11, s11
	v_mov_b32_e32 v8, s10
	s_xor_b32 exec_lo, exec_lo, s11
	s_cbranch_execz .LBB473_1351
.LBB473_1368:
	v_cmp_ne_u16_e32 vcc_lo, 0, v11
	v_mov_b32_e32 v8, 0
	s_and_not1_b32 s3, s3, exec_lo
	s_and_b32 s10, vcc_lo, exec_lo
	s_delay_alu instid0(SALU_CYCLE_1)
	s_or_b32 s3, s3, s10
	s_or_b32 exec_lo, exec_lo, s11
	s_and_saveexec_b32 s10, s3
	s_cbranch_execnz .LBB473_1352
	s_branch .LBB473_1353
.LBB473_1369:
	s_mov_b32 s2, -1
                                        ; implicit-def: $vgpr8
	s_branch .LBB473_1374
.LBB473_1370:
	s_mov_b32 s2, -1
                                        ; implicit-def: $vgpr8
.LBB473_1371:
	s_delay_alu instid0(SALU_CYCLE_1)
	s_and_b32 vcc_lo, exec_lo, s2
	s_cbranch_vccz .LBB473_1373
; %bb.1372:
	global_load_u8 v8, v[6:7], off
	s_waitcnt vmcnt(0)
	v_lshlrev_b32_e32 v8, 24, v8
	s_delay_alu instid0(VALU_DEP_1) | instskip(NEXT) | instid1(VALU_DEP_1)
	v_and_b32_e32 v11, 0x7f000000, v8
	v_clz_i32_u32_e32 v12, v11
	v_cmp_ne_u32_e32 vcc_lo, 0, v11
	v_add_nc_u32_e32 v14, 0x1000000, v11
	s_delay_alu instid0(VALU_DEP_3) | instskip(NEXT) | instid1(VALU_DEP_1)
	v_min_u32_e32 v12, 32, v12
	v_sub_nc_u32_e64 v12, v12, 4 clamp
	s_delay_alu instid0(VALU_DEP_1) | instskip(SKIP_1) | instid1(VALU_DEP_2)
	v_lshlrev_b32_e32 v13, v12, v11
	v_lshlrev_b32_e32 v12, 23, v12
	v_lshrrev_b32_e32 v13, 4, v13
	s_delay_alu instid0(VALU_DEP_1) | instskip(SKIP_1) | instid1(VALU_DEP_2)
	v_sub_nc_u32_e32 v12, v13, v12
	v_ashrrev_i32_e32 v13, 8, v14
	v_add_nc_u32_e32 v12, 0x3c000000, v12
	s_delay_alu instid0(VALU_DEP_1) | instskip(NEXT) | instid1(VALU_DEP_1)
	v_and_or_b32 v12, 0x7f800000, v13, v12
	v_cndmask_b32_e32 v11, 0, v12, vcc_lo
	s_delay_alu instid0(VALU_DEP_1)
	v_and_or_b32 v8, 0x80000000, v8, v11
.LBB473_1373:
	s_mov_b32 s2, 0
.LBB473_1374:
	s_delay_alu instid0(SALU_CYCLE_1)
	s_and_not1_b32 vcc_lo, exec_lo, s2
	s_cbranch_vccnz .LBB473_1376
; %bb.1375:
	global_load_u8 v8, v[6:7], off
	s_waitcnt vmcnt(0)
	v_lshlrev_b32_e32 v11, 25, v8
	v_lshlrev_b16 v8, 8, v8
	s_delay_alu instid0(VALU_DEP_2) | instskip(NEXT) | instid1(VALU_DEP_2)
	v_lshrrev_b32_e32 v12, 4, v11
	v_and_or_b32 v13, 0x7f00, v8, 0.5
	v_cmp_gt_u32_e32 vcc_lo, 0x8000000, v11
	v_bfe_i32 v8, v8, 0, 16
	s_delay_alu instid0(VALU_DEP_4) | instskip(NEXT) | instid1(VALU_DEP_1)
	v_or_b32_e32 v12, 0x70000000, v12
	v_dual_add_f32 v13, -0.5, v13 :: v_dual_mul_f32 v12, 0x7800000, v12
	s_delay_alu instid0(VALU_DEP_1) | instskip(NEXT) | instid1(VALU_DEP_1)
	v_cndmask_b32_e32 v11, v12, v13, vcc_lo
	v_and_or_b32 v8, 0x80000000, v8, v11
.LBB473_1376:
	s_mov_b32 s2, 0
	s_mov_b32 s3, -1
.LBB473_1377:
	s_and_not1_b32 vcc_lo, exec_lo, s2
	s_mov_b32 s2, 0
	s_cbranch_vccnz .LBB473_1388
; %bb.1378:
	v_cmp_lt_i16_e32 vcc_lo, 14, v9
	s_cbranch_vccz .LBB473_1381
; %bb.1379:
	v_cmp_eq_u16_e32 vcc_lo, 15, v9
	s_cbranch_vccz .LBB473_1384
; %bb.1380:
	global_load_u16 v8, v[6:7], off
	s_mov_b32 s0, 0
	s_mov_b32 s3, -1
	s_waitcnt vmcnt(0)
	v_lshlrev_b32_e32 v8, 16, v8
	s_branch .LBB473_1386
.LBB473_1381:
	s_mov_b32 s2, -1
	s_branch .LBB473_1385
.LBB473_1382:
	s_or_saveexec_b32 s10, s10
	v_mov_b32_e32 v8, s3
	s_xor_b32 exec_lo, exec_lo, s10
	s_cbranch_execz .LBB473_1363
.LBB473_1383:
	v_cmp_ne_u16_e32 vcc_lo, 0, v11
	v_mov_b32_e32 v8, 0
	s_and_not1_b32 s2, s2, exec_lo
	s_and_b32 s3, vcc_lo, exec_lo
	s_delay_alu instid0(SALU_CYCLE_1)
	s_or_b32 s2, s2, s3
	s_or_b32 exec_lo, exec_lo, s10
	s_and_saveexec_b32 s3, s2
	s_cbranch_execnz .LBB473_1364
	s_branch .LBB473_1365
.LBB473_1384:
	s_mov_b32 s0, -1
.LBB473_1385:
                                        ; implicit-def: $vgpr8
.LBB473_1386:
	s_and_b32 vcc_lo, exec_lo, s2
	s_mov_b32 s2, 0
	s_cbranch_vccz .LBB473_1388
; %bb.1387:
	v_cmp_ne_u16_e64 s0, 11, v9
	s_mov_b32 s2, -1
                                        ; implicit-def: $vgpr8
.LBB473_1388:
	s_delay_alu instid0(VALU_DEP_1)
	s_and_b32 vcc_lo, exec_lo, s0
	s_cbranch_vccnz .LBB473_1412
; %bb.1389:
	s_and_not1_b32 vcc_lo, exec_lo, s2
	s_cbranch_vccnz .LBB473_1391
.LBB473_1390:
	global_load_u8 v8, v[6:7], off
	s_mov_b32 s3, -1
	s_waitcnt vmcnt(0)
	v_cmp_ne_u16_e32 vcc_lo, 0, v8
	v_cndmask_b32_e64 v8, 0, 1.0, vcc_lo
.LBB473_1391:
.LBB473_1392:
	s_and_not1_b32 vcc_lo, exec_lo, s3
	s_cbranch_vccnz .LBB473_2049
.LBB473_1393:
	v_cmp_gt_i16_e32 vcc_lo, 11, v9
	v_add_co_u32 v5, s0, s6, v5
	s_delay_alu instid0(VALU_DEP_1)
	v_add_co_ci_u32_e64 v6, null, s7, 0, s0
	s_mov_b32 s3, 0
	s_cbranch_vccnz .LBB473_1400
; %bb.1394:
	v_cmp_lt_i16_e32 vcc_lo, 25, v9
	s_mov_b32 s2, 0
	s_cbranch_vccz .LBB473_1406
; %bb.1395:
	v_cmp_lt_i16_e32 vcc_lo, 28, v9
	s_cbranch_vccz .LBB473_1408
; %bb.1396:
	v_cmp_lt_i16_e32 vcc_lo, 43, v9
	;; [unrolled: 3-line block ×3, first 2 shown]
	s_cbranch_vccz .LBB473_1414
; %bb.1398:
	v_cmp_eq_u16_e32 vcc_lo, 46, v9
	s_mov_b32 s10, 0
	s_cbranch_vccz .LBB473_1457
; %bb.1399:
	global_load_b32 v7, v[5:6], off
	s_mov_b32 s0, 0
	s_mov_b32 s3, -1
	s_waitcnt vmcnt(0)
	v_lshlrev_b32_e32 v7, 16, v7
	s_branch .LBB473_1459
.LBB473_1400:
                                        ; implicit-def: $vgpr7
	s_cbranch_execz .LBB473_1525
; %bb.1401:
	v_cmp_gt_i16_e32 vcc_lo, 5, v9
	s_cbranch_vccnz .LBB473_1407
; %bb.1402:
	v_cmp_gt_i16_e32 vcc_lo, 8, v9
	s_cbranch_vccnz .LBB473_1409
	;; [unrolled: 3-line block ×3, first 2 shown]
; %bb.1404:
	v_cmp_lt_i16_e32 vcc_lo, 9, v9
	s_cbranch_vccz .LBB473_1415
; %bb.1405:
	global_load_b64 v[11:12], v[5:6], off
	s_mov_b32 s0, 0
	s_waitcnt vmcnt(0)
	v_cvt_f32_f64_e32 v7, v[11:12]
	s_branch .LBB473_1416
.LBB473_1406:
	s_mov_b32 s10, -1
	s_mov_b32 s0, 0
                                        ; implicit-def: $vgpr7
	s_branch .LBB473_1488
.LBB473_1407:
	s_mov_b32 s0, -1
                                        ; implicit-def: $vgpr7
	s_branch .LBB473_1434
.LBB473_1408:
	s_mov_b32 s10, -1
	s_mov_b32 s0, 0
                                        ; implicit-def: $vgpr7
	s_branch .LBB473_1469
.LBB473_1409:
	s_mov_b32 s0, -1
                                        ; implicit-def: $vgpr7
	s_branch .LBB473_1422
.LBB473_1410:
	s_mov_b32 s10, -1
	s_mov_b32 s0, 0
                                        ; implicit-def: $vgpr7
	s_branch .LBB473_1464
.LBB473_1411:
	s_mov_b32 s0, -1
                                        ; implicit-def: $vgpr7
	s_branch .LBB473_1419
.LBB473_1412:
	s_cbranch_execnz .LBB473_1455
; %bb.1413:
	s_or_b32 s1, s1, exec_lo
                                        ; implicit-def: $vgpr8
	s_cbranch_execz .LBB473_1390
	s_branch .LBB473_1391
.LBB473_1414:
	s_mov_b32 s10, -1
	s_mov_b32 s0, 0
	s_branch .LBB473_1458
.LBB473_1415:
	s_mov_b32 s0, -1
                                        ; implicit-def: $vgpr7
.LBB473_1416:
	s_delay_alu instid0(SALU_CYCLE_1)
	s_and_not1_b32 vcc_lo, exec_lo, s0
	s_cbranch_vccnz .LBB473_1418
; %bb.1417:
	global_load_b32 v7, v[5:6], off
.LBB473_1418:
	s_mov_b32 s0, 0
.LBB473_1419:
	s_delay_alu instid0(SALU_CYCLE_1)
	s_and_not1_b32 vcc_lo, exec_lo, s0
	s_cbranch_vccnz .LBB473_1421
; %bb.1420:
	global_load_b32 v7, v[5:6], off
	s_waitcnt vmcnt(0)
	v_cvt_f32_f16_e32 v7, v7
.LBB473_1421:
	s_mov_b32 s0, 0
.LBB473_1422:
	s_delay_alu instid0(SALU_CYCLE_1)
	s_and_not1_b32 vcc_lo, exec_lo, s0
	s_cbranch_vccnz .LBB473_1433
; %bb.1423:
	v_cmp_gt_i16_e32 vcc_lo, 6, v9
	s_cbranch_vccnz .LBB473_1426
; %bb.1424:
	v_cmp_lt_i16_e32 vcc_lo, 6, v9
	s_cbranch_vccz .LBB473_1427
; %bb.1425:
	global_load_b64 v[11:12], v[5:6], off
	s_mov_b32 s0, 0
	s_waitcnt vmcnt(0)
	v_cvt_f32_f64_e32 v7, v[11:12]
	s_branch .LBB473_1428
.LBB473_1426:
	s_mov_b32 s0, -1
                                        ; implicit-def: $vgpr7
	s_branch .LBB473_1431
.LBB473_1427:
	s_mov_b32 s0, -1
                                        ; implicit-def: $vgpr7
.LBB473_1428:
	s_delay_alu instid0(SALU_CYCLE_1)
	s_and_not1_b32 vcc_lo, exec_lo, s0
	s_cbranch_vccnz .LBB473_1430
; %bb.1429:
	global_load_b32 v7, v[5:6], off
.LBB473_1430:
	s_mov_b32 s0, 0
.LBB473_1431:
	s_delay_alu instid0(SALU_CYCLE_1)
	s_and_not1_b32 vcc_lo, exec_lo, s0
	s_cbranch_vccnz .LBB473_1433
; %bb.1432:
	global_load_u16 v7, v[5:6], off
	s_waitcnt vmcnt(0)
	v_cvt_f32_f16_e32 v7, v7
.LBB473_1433:
	s_mov_b32 s0, 0
.LBB473_1434:
	s_delay_alu instid0(SALU_CYCLE_1)
	s_and_not1_b32 vcc_lo, exec_lo, s0
	s_cbranch_vccnz .LBB473_1454
; %bb.1435:
	v_cmp_gt_i16_e32 vcc_lo, 2, v9
	s_cbranch_vccnz .LBB473_1439
; %bb.1436:
	v_cmp_gt_i16_e32 vcc_lo, 3, v9
	s_cbranch_vccnz .LBB473_1440
; %bb.1437:
	v_cmp_lt_i16_e32 vcc_lo, 3, v9
	s_cbranch_vccz .LBB473_1441
; %bb.1438:
	global_load_b64 v[11:12], v[5:6], off
	s_mov_b32 s0, 0
	s_waitcnt vmcnt(0)
	v_xor_b32_e32 v7, v11, v12
	v_cls_i32_e32 v13, v12
	s_delay_alu instid0(VALU_DEP_2) | instskip(NEXT) | instid1(VALU_DEP_2)
	v_ashrrev_i32_e32 v7, 31, v7
	v_add_nc_u32_e32 v13, -1, v13
	s_delay_alu instid0(VALU_DEP_2) | instskip(NEXT) | instid1(VALU_DEP_1)
	v_add_nc_u32_e32 v7, 32, v7
	v_min_u32_e32 v7, v13, v7
	s_delay_alu instid0(VALU_DEP_1) | instskip(SKIP_1) | instid1(VALU_DEP_2)
	v_lshlrev_b64 v[11:12], v7, v[11:12]
	v_sub_nc_u32_e32 v7, 32, v7
	v_min_u32_e32 v11, 1, v11
	s_delay_alu instid0(VALU_DEP_1) | instskip(NEXT) | instid1(VALU_DEP_1)
	v_or_b32_e32 v11, v12, v11
	v_cvt_f32_i32_e32 v11, v11
	s_delay_alu instid0(VALU_DEP_1)
	v_ldexp_f32 v7, v11, v7
	s_branch .LBB473_1442
.LBB473_1439:
	s_mov_b32 s0, -1
                                        ; implicit-def: $vgpr7
	s_branch .LBB473_1448
.LBB473_1440:
	s_mov_b32 s0, -1
                                        ; implicit-def: $vgpr7
	s_branch .LBB473_1445
.LBB473_1441:
	s_mov_b32 s0, -1
                                        ; implicit-def: $vgpr7
.LBB473_1442:
	s_delay_alu instid0(SALU_CYCLE_1)
	s_and_not1_b32 vcc_lo, exec_lo, s0
	s_cbranch_vccnz .LBB473_1444
; %bb.1443:
	global_load_b32 v7, v[5:6], off
	s_waitcnt vmcnt(0)
	v_cvt_f32_i32_e32 v7, v7
.LBB473_1444:
	s_mov_b32 s0, 0
.LBB473_1445:
	s_delay_alu instid0(SALU_CYCLE_1)
	s_and_not1_b32 vcc_lo, exec_lo, s0
	s_cbranch_vccnz .LBB473_1447
; %bb.1446:
	global_load_i16 v7, v[5:6], off
	s_waitcnt vmcnt(0)
	v_cvt_f32_i32_e32 v7, v7
.LBB473_1447:
	s_mov_b32 s0, 0
.LBB473_1448:
	s_delay_alu instid0(SALU_CYCLE_1)
	s_and_not1_b32 vcc_lo, exec_lo, s0
	s_cbranch_vccnz .LBB473_1454
; %bb.1449:
	v_cmp_lt_i16_e32 vcc_lo, 0, v9
	s_mov_b32 s0, 0
	s_cbranch_vccz .LBB473_1451
; %bb.1450:
	global_load_i8 v7, v[5:6], off
	s_waitcnt vmcnt(0)
	v_cvt_f32_i32_e32 v7, v7
	s_branch .LBB473_1452
.LBB473_1451:
	s_mov_b32 s0, -1
                                        ; implicit-def: $vgpr7
.LBB473_1452:
	s_delay_alu instid0(SALU_CYCLE_1)
	s_and_not1_b32 vcc_lo, exec_lo, s0
	s_cbranch_vccnz .LBB473_1454
; %bb.1453:
	global_load_u8 v5, v[5:6], off
	s_waitcnt vmcnt(0)
	v_cvt_f32_ubyte0_e32 v7, v5
.LBB473_1454:
	s_branch .LBB473_1526
.LBB473_1455:
	s_trap 2
	s_sendmsg_rtn_b32 s0, sendmsg(MSG_RTN_GET_DOORBELL)
	s_mov_b32 ttmp2, m0
	s_waitcnt lgkmcnt(0)
	s_and_b32 s0, s0, 0x3ff
	s_delay_alu instid0(SALU_CYCLE_1) | instskip(NEXT) | instid1(SALU_CYCLE_1)
	s_bitset1_b32 s0, 10
	s_mov_b32 m0, s0
	s_sendmsg sendmsg(MSG_INTERRUPT)
	s_mov_b32 m0, ttmp2
.LBB473_1456:                           ; =>This Inner Loop Header: Depth=1
	s_sethalt 5
	s_branch .LBB473_1456
.LBB473_1457:
	s_mov_b32 s0, -1
.LBB473_1458:
                                        ; implicit-def: $vgpr7
.LBB473_1459:
	s_and_b32 vcc_lo, exec_lo, s10
	s_cbranch_vccz .LBB473_1463
; %bb.1460:
	v_cmp_eq_u16_e32 vcc_lo, 44, v9
	s_cbranch_vccz .LBB473_1462
; %bb.1461:
	global_load_u8 v7, v[5:6], off
	s_mov_b32 s0, 0
	s_mov_b32 s3, -1
	s_waitcnt vmcnt(0)
	v_lshlrev_b32_e32 v11, 23, v7
	v_cmp_ne_u32_e32 vcc_lo, 0xff, v7
	s_delay_alu instid0(VALU_DEP_2) | instskip(SKIP_1) | instid1(VALU_DEP_2)
	v_cndmask_b32_e32 v11, 0x7f800001, v11, vcc_lo
	v_cmp_ne_u32_e32 vcc_lo, 0, v7
	v_cndmask_b32_e32 v7, 0x400000, v11, vcc_lo
	s_branch .LBB473_1463
.LBB473_1462:
	s_mov_b32 s0, -1
                                        ; implicit-def: $vgpr7
.LBB473_1463:
	s_mov_b32 s10, 0
.LBB473_1464:
	s_delay_alu instid0(SALU_CYCLE_1)
	s_and_b32 vcc_lo, exec_lo, s10
	s_cbranch_vccz .LBB473_1468
; %bb.1465:
	v_cmp_eq_u16_e32 vcc_lo, 29, v9
	s_cbranch_vccz .LBB473_1467
; %bb.1466:
	global_load_b64 v[11:12], v[5:6], off
	s_mov_b32 s0, 0
	s_mov_b32 s3, -1
	s_mov_b32 s10, 0
	s_waitcnt vmcnt(0)
	v_clz_i32_u32_e32 v7, v12
	s_delay_alu instid0(VALU_DEP_1) | instskip(NEXT) | instid1(VALU_DEP_1)
	v_min_u32_e32 v7, 32, v7
	v_lshlrev_b64 v[11:12], v7, v[11:12]
	v_sub_nc_u32_e32 v7, 32, v7
	s_delay_alu instid0(VALU_DEP_2) | instskip(NEXT) | instid1(VALU_DEP_1)
	v_min_u32_e32 v11, 1, v11
	v_or_b32_e32 v11, v12, v11
	s_delay_alu instid0(VALU_DEP_1) | instskip(NEXT) | instid1(VALU_DEP_1)
	v_cvt_f32_u32_e32 v11, v11
	v_ldexp_f32 v7, v11, v7
	s_branch .LBB473_1469
.LBB473_1467:
	s_mov_b32 s0, -1
                                        ; implicit-def: $vgpr7
.LBB473_1468:
	s_mov_b32 s10, 0
.LBB473_1469:
	s_delay_alu instid0(SALU_CYCLE_1)
	s_and_b32 vcc_lo, exec_lo, s10
	s_cbranch_vccz .LBB473_1487
; %bb.1470:
	v_cmp_gt_i16_e32 vcc_lo, 27, v9
	s_cbranch_vccnz .LBB473_1473
; %bb.1471:
	v_cmp_lt_i16_e32 vcc_lo, 27, v9
	s_cbranch_vccz .LBB473_1474
; %bb.1472:
	global_load_b32 v7, v[5:6], off
	s_mov_b32 s3, 0
	s_waitcnt vmcnt(0)
	v_cvt_f32_u32_e32 v7, v7
	s_branch .LBB473_1475
.LBB473_1473:
	s_mov_b32 s3, -1
                                        ; implicit-def: $vgpr7
	s_branch .LBB473_1478
.LBB473_1474:
	s_mov_b32 s3, -1
                                        ; implicit-def: $vgpr7
.LBB473_1475:
	s_delay_alu instid0(SALU_CYCLE_1)
	s_and_not1_b32 vcc_lo, exec_lo, s3
	s_cbranch_vccnz .LBB473_1477
; %bb.1476:
	global_load_u16 v7, v[5:6], off
	s_waitcnt vmcnt(0)
	v_cvt_f32_u32_e32 v7, v7
.LBB473_1477:
	s_mov_b32 s3, 0
.LBB473_1478:
	s_delay_alu instid0(SALU_CYCLE_1)
	s_and_not1_b32 vcc_lo, exec_lo, s3
	s_cbranch_vccnz .LBB473_1486
; %bb.1479:
	global_load_u8 v11, v[5:6], off
	s_mov_b32 s3, 0
	s_mov_b32 s11, exec_lo
                                        ; implicit-def: $sgpr10
	s_waitcnt vmcnt(0)
	v_cmpx_lt_i16_e32 0x7f, v11
	s_xor_b32 s11, exec_lo, s11
	s_cbranch_execz .LBB473_1500
; %bb.1480:
	s_mov_b32 s3, -1
	s_mov_b32 s12, exec_lo
                                        ; implicit-def: $sgpr10
	v_cmpx_eq_u16_e32 0x80, v11
; %bb.1481:
	s_mov_b32 s10, 0x7f800001
	s_xor_b32 s3, exec_lo, -1
; %bb.1482:
	s_or_b32 exec_lo, exec_lo, s12
	s_delay_alu instid0(SALU_CYCLE_1)
	s_and_b32 s3, s3, exec_lo
	s_or_saveexec_b32 s11, s11
	v_mov_b32_e32 v7, s10
	s_xor_b32 exec_lo, exec_lo, s11
	s_cbranch_execnz .LBB473_1501
.LBB473_1483:
	s_or_b32 exec_lo, exec_lo, s11
	s_and_saveexec_b32 s10, s3
	s_cbranch_execz .LBB473_1485
.LBB473_1484:
	v_and_b32_e32 v7, 0xffff, v11
	v_lshlrev_b32_e32 v11, 24, v11
	s_delay_alu instid0(VALU_DEP_2) | instskip(NEXT) | instid1(VALU_DEP_2)
	v_and_b32_e32 v12, 7, v7
	v_and_b32_e32 v11, 0x80000000, v11
	s_delay_alu instid0(VALU_DEP_2) | instskip(NEXT) | instid1(VALU_DEP_1)
	v_clz_i32_u32_e32 v13, v12
	v_min_u32_e32 v13, 32, v13
	s_delay_alu instid0(VALU_DEP_1) | instskip(SKIP_1) | instid1(VALU_DEP_2)
	v_subrev_nc_u32_e32 v14, 28, v13
	v_sub_nc_u32_e32 v13, 29, v13
	v_lshlrev_b32_e32 v14, v14, v7
	v_bfe_u32 v7, v7, 3, 4
	s_delay_alu instid0(VALU_DEP_2) | instskip(NEXT) | instid1(VALU_DEP_2)
	v_and_b32_e32 v14, 7, v14
	v_cmp_eq_u32_e32 vcc_lo, 0, v7
	s_delay_alu instid0(VALU_DEP_2) | instskip(NEXT) | instid1(VALU_DEP_1)
	v_dual_cndmask_b32 v7, v7, v13 :: v_dual_cndmask_b32 v12, v12, v14
	v_lshl_add_u32 v7, v7, 23, 0x3b800000
	s_delay_alu instid0(VALU_DEP_2) | instskip(NEXT) | instid1(VALU_DEP_1)
	v_lshlrev_b32_e32 v12, 20, v12
	v_or3_b32 v7, v11, v7, v12
.LBB473_1485:
	s_or_b32 exec_lo, exec_lo, s10
.LBB473_1486:
	s_mov_b32 s3, -1
.LBB473_1487:
	s_mov_b32 s10, 0
.LBB473_1488:
	s_delay_alu instid0(SALU_CYCLE_1)
	s_and_b32 vcc_lo, exec_lo, s10
	s_cbranch_vccz .LBB473_1521
; %bb.1489:
	v_cmp_lt_i16_e32 vcc_lo, 22, v9
	s_cbranch_vccz .LBB473_1499
; %bb.1490:
	v_cmp_gt_i16_e32 vcc_lo, 24, v9
	s_cbranch_vccnz .LBB473_1502
; %bb.1491:
	v_cmp_lt_i16_e32 vcc_lo, 24, v9
	s_cbranch_vccz .LBB473_1503
; %bb.1492:
	global_load_u8 v11, v[5:6], off
	s_mov_b32 s10, exec_lo
                                        ; implicit-def: $sgpr3
	s_waitcnt vmcnt(0)
	v_cmpx_lt_i16_e32 0x7f, v11
	s_xor_b32 s10, exec_lo, s10
	s_cbranch_execz .LBB473_1515
; %bb.1493:
	s_mov_b32 s2, -1
	s_mov_b32 s11, exec_lo
                                        ; implicit-def: $sgpr3
	v_cmpx_eq_u16_e32 0x80, v11
; %bb.1494:
	s_mov_b32 s3, 0x7f800001
	s_xor_b32 s2, exec_lo, -1
; %bb.1495:
	s_or_b32 exec_lo, exec_lo, s11
	s_delay_alu instid0(SALU_CYCLE_1)
	s_and_b32 s2, s2, exec_lo
	s_or_saveexec_b32 s10, s10
	v_mov_b32_e32 v7, s3
	s_xor_b32 exec_lo, exec_lo, s10
	s_cbranch_execnz .LBB473_1516
.LBB473_1496:
	s_or_b32 exec_lo, exec_lo, s10
	s_and_saveexec_b32 s3, s2
	s_cbranch_execz .LBB473_1498
.LBB473_1497:
	v_and_b32_e32 v7, 0xffff, v11
	v_lshlrev_b32_e32 v11, 24, v11
	s_delay_alu instid0(VALU_DEP_2) | instskip(NEXT) | instid1(VALU_DEP_2)
	v_and_b32_e32 v12, 3, v7
	v_and_b32_e32 v11, 0x80000000, v11
	s_delay_alu instid0(VALU_DEP_2) | instskip(NEXT) | instid1(VALU_DEP_1)
	v_clz_i32_u32_e32 v13, v12
	v_min_u32_e32 v13, 32, v13
	s_delay_alu instid0(VALU_DEP_1) | instskip(SKIP_1) | instid1(VALU_DEP_2)
	v_subrev_nc_u32_e32 v14, 29, v13
	v_sub_nc_u32_e32 v13, 30, v13
	v_lshlrev_b32_e32 v14, v14, v7
	v_bfe_u32 v7, v7, 2, 5
	s_delay_alu instid0(VALU_DEP_2) | instskip(NEXT) | instid1(VALU_DEP_2)
	v_and_b32_e32 v14, 3, v14
	v_cmp_eq_u32_e32 vcc_lo, 0, v7
	s_delay_alu instid0(VALU_DEP_2) | instskip(NEXT) | instid1(VALU_DEP_1)
	v_dual_cndmask_b32 v7, v7, v13 :: v_dual_cndmask_b32 v12, v12, v14
	v_lshl_add_u32 v7, v7, 23, 0x37800000
	s_delay_alu instid0(VALU_DEP_2) | instskip(NEXT) | instid1(VALU_DEP_1)
	v_lshlrev_b32_e32 v12, 21, v12
	v_or3_b32 v7, v11, v7, v12
.LBB473_1498:
	s_or_b32 exec_lo, exec_lo, s3
	s_mov_b32 s2, 0
	s_branch .LBB473_1504
.LBB473_1499:
	s_mov_b32 s2, -1
                                        ; implicit-def: $vgpr7
	s_branch .LBB473_1510
.LBB473_1500:
	s_or_saveexec_b32 s11, s11
	v_mov_b32_e32 v7, s10
	s_xor_b32 exec_lo, exec_lo, s11
	s_cbranch_execz .LBB473_1483
.LBB473_1501:
	v_cmp_ne_u16_e32 vcc_lo, 0, v11
	v_mov_b32_e32 v7, 0
	s_and_not1_b32 s3, s3, exec_lo
	s_and_b32 s10, vcc_lo, exec_lo
	s_delay_alu instid0(SALU_CYCLE_1)
	s_or_b32 s3, s3, s10
	s_or_b32 exec_lo, exec_lo, s11
	s_and_saveexec_b32 s10, s3
	s_cbranch_execnz .LBB473_1484
	s_branch .LBB473_1485
.LBB473_1502:
	s_mov_b32 s2, -1
                                        ; implicit-def: $vgpr7
	s_branch .LBB473_1507
.LBB473_1503:
	s_mov_b32 s2, -1
                                        ; implicit-def: $vgpr7
.LBB473_1504:
	s_delay_alu instid0(SALU_CYCLE_1)
	s_and_b32 vcc_lo, exec_lo, s2
	s_cbranch_vccz .LBB473_1506
; %bb.1505:
	global_load_u8 v7, v[5:6], off
	s_waitcnt vmcnt(0)
	v_lshlrev_b32_e32 v7, 24, v7
	s_delay_alu instid0(VALU_DEP_1) | instskip(NEXT) | instid1(VALU_DEP_1)
	v_and_b32_e32 v11, 0x7f000000, v7
	v_clz_i32_u32_e32 v12, v11
	v_cmp_ne_u32_e32 vcc_lo, 0, v11
	v_add_nc_u32_e32 v14, 0x1000000, v11
	s_delay_alu instid0(VALU_DEP_3) | instskip(NEXT) | instid1(VALU_DEP_1)
	v_min_u32_e32 v12, 32, v12
	v_sub_nc_u32_e64 v12, v12, 4 clamp
	s_delay_alu instid0(VALU_DEP_1) | instskip(SKIP_1) | instid1(VALU_DEP_2)
	v_lshlrev_b32_e32 v13, v12, v11
	v_lshlrev_b32_e32 v12, 23, v12
	v_lshrrev_b32_e32 v13, 4, v13
	s_delay_alu instid0(VALU_DEP_1) | instskip(SKIP_1) | instid1(VALU_DEP_2)
	v_sub_nc_u32_e32 v12, v13, v12
	v_ashrrev_i32_e32 v13, 8, v14
	v_add_nc_u32_e32 v12, 0x3c000000, v12
	s_delay_alu instid0(VALU_DEP_1) | instskip(NEXT) | instid1(VALU_DEP_1)
	v_and_or_b32 v12, 0x7f800000, v13, v12
	v_cndmask_b32_e32 v11, 0, v12, vcc_lo
	s_delay_alu instid0(VALU_DEP_1)
	v_and_or_b32 v7, 0x80000000, v7, v11
.LBB473_1506:
	s_mov_b32 s2, 0
.LBB473_1507:
	s_delay_alu instid0(SALU_CYCLE_1)
	s_and_not1_b32 vcc_lo, exec_lo, s2
	s_cbranch_vccnz .LBB473_1509
; %bb.1508:
	global_load_u8 v7, v[5:6], off
	s_waitcnt vmcnt(0)
	v_lshlrev_b32_e32 v11, 25, v7
	v_lshlrev_b16 v7, 8, v7
	s_delay_alu instid0(VALU_DEP_2) | instskip(NEXT) | instid1(VALU_DEP_2)
	v_lshrrev_b32_e32 v12, 4, v11
	v_and_or_b32 v13, 0x7f00, v7, 0.5
	v_bfe_i32 v7, v7, 0, 16
	s_delay_alu instid0(VALU_DEP_3) | instskip(NEXT) | instid1(VALU_DEP_1)
	v_or_b32_e32 v12, 0x70000000, v12
	v_dual_add_f32 v13, -0.5, v13 :: v_dual_mul_f32 v12, 0x7800000, v12
	v_cmp_gt_u32_e32 vcc_lo, 0x8000000, v11
	s_delay_alu instid0(VALU_DEP_2) | instskip(NEXT) | instid1(VALU_DEP_1)
	v_cndmask_b32_e32 v11, v12, v13, vcc_lo
	v_and_or_b32 v7, 0x80000000, v7, v11
.LBB473_1509:
	s_mov_b32 s2, 0
	s_mov_b32 s3, -1
.LBB473_1510:
	s_and_not1_b32 vcc_lo, exec_lo, s2
	s_mov_b32 s2, 0
	s_cbranch_vccnz .LBB473_1521
; %bb.1511:
	v_cmp_lt_i16_e32 vcc_lo, 14, v9
	s_cbranch_vccz .LBB473_1514
; %bb.1512:
	v_cmp_eq_u16_e32 vcc_lo, 15, v9
	s_cbranch_vccz .LBB473_1517
; %bb.1513:
	global_load_u16 v7, v[5:6], off
	s_mov_b32 s0, 0
	s_mov_b32 s3, -1
	s_waitcnt vmcnt(0)
	v_lshlrev_b32_e32 v7, 16, v7
	s_branch .LBB473_1519
.LBB473_1514:
	s_mov_b32 s2, -1
	s_branch .LBB473_1518
.LBB473_1515:
	s_or_saveexec_b32 s10, s10
	v_mov_b32_e32 v7, s3
	s_xor_b32 exec_lo, exec_lo, s10
	s_cbranch_execz .LBB473_1496
.LBB473_1516:
	v_cmp_ne_u16_e32 vcc_lo, 0, v11
	v_mov_b32_e32 v7, 0
	s_and_not1_b32 s2, s2, exec_lo
	s_and_b32 s3, vcc_lo, exec_lo
	s_delay_alu instid0(SALU_CYCLE_1)
	s_or_b32 s2, s2, s3
	s_or_b32 exec_lo, exec_lo, s10
	s_and_saveexec_b32 s3, s2
	s_cbranch_execnz .LBB473_1497
	s_branch .LBB473_1498
.LBB473_1517:
	s_mov_b32 s0, -1
.LBB473_1518:
                                        ; implicit-def: $vgpr7
.LBB473_1519:
	s_and_b32 vcc_lo, exec_lo, s2
	s_mov_b32 s2, 0
	s_cbranch_vccz .LBB473_1521
; %bb.1520:
	v_cmp_ne_u16_e64 s0, 11, v9
	s_mov_b32 s2, -1
                                        ; implicit-def: $vgpr7
.LBB473_1521:
	s_delay_alu instid0(VALU_DEP_1)
	s_and_b32 vcc_lo, exec_lo, s0
	s_cbranch_vccnz .LBB473_1537
; %bb.1522:
	s_and_not1_b32 vcc_lo, exec_lo, s2
	s_cbranch_vccnz .LBB473_1524
.LBB473_1523:
	global_load_u8 v7, v[5:6], off
	s_mov_b32 s3, -1
	s_waitcnt vmcnt(0)
	v_cmp_ne_u16_e32 vcc_lo, 0, v7
	v_cndmask_b32_e64 v7, 0, 1.0, vcc_lo
.LBB473_1524:
.LBB473_1525:
	s_and_not1_b32 vcc_lo, exec_lo, s3
	s_cbranch_vccnz .LBB473_2049
.LBB473_1526:
	v_cmp_gt_i16_e32 vcc_lo, 11, v9
	v_add_co_u32 v4, s0, s6, v4
	s_delay_alu instid0(VALU_DEP_1)
	v_add_co_ci_u32_e64 v5, null, s7, 0, s0
	s_mov_b32 s3, 0
	s_cbranch_vccnz .LBB473_1533
; %bb.1527:
	v_cmp_lt_i16_e32 vcc_lo, 25, v9
	s_mov_b32 s2, 0
	s_cbranch_vccz .LBB473_1534
; %bb.1528:
	v_cmp_lt_i16_e32 vcc_lo, 28, v9
	s_cbranch_vccz .LBB473_1535
; %bb.1529:
	v_cmp_lt_i16_e32 vcc_lo, 43, v9
	;; [unrolled: 3-line block ×3, first 2 shown]
	s_cbranch_vccz .LBB473_1539
; %bb.1531:
	v_cmp_eq_u16_e32 vcc_lo, 46, v9
	s_mov_b32 s6, 0
	s_cbranch_vccz .LBB473_1542
; %bb.1532:
	global_load_b32 v6, v[4:5], off
	s_mov_b32 s0, 0
	s_mov_b32 s3, -1
	s_waitcnt vmcnt(0)
	v_lshlrev_b32_e32 v11, 16, v6
	s_branch .LBB473_1544
.LBB473_1533:
	s_mov_b32 s0, -1
                                        ; implicit-def: $vgpr11
	s_branch .LBB473_1610
.LBB473_1534:
	s_mov_b32 s6, -1
	s_mov_b32 s0, 0
                                        ; implicit-def: $vgpr11
	s_branch .LBB473_1573
.LBB473_1535:
	s_mov_b32 s6, -1
	s_mov_b32 s0, 0
                                        ; implicit-def: $vgpr11
	s_branch .LBB473_1554
.LBB473_1536:
	s_mov_b32 s6, -1
	s_mov_b32 s0, 0
                                        ; implicit-def: $vgpr11
	s_branch .LBB473_1549
.LBB473_1537:
	s_cbranch_execnz .LBB473_1540
; %bb.1538:
	s_or_b32 s1, s1, exec_lo
                                        ; implicit-def: $vgpr7
	s_cbranch_execz .LBB473_1523
	s_branch .LBB473_1524
.LBB473_1539:
	s_mov_b32 s6, -1
	s_mov_b32 s0, 0
	s_branch .LBB473_1543
.LBB473_1540:
	s_trap 2
	s_sendmsg_rtn_b32 s0, sendmsg(MSG_RTN_GET_DOORBELL)
	s_mov_b32 ttmp2, m0
	s_waitcnt lgkmcnt(0)
	s_and_b32 s0, s0, 0x3ff
	s_delay_alu instid0(SALU_CYCLE_1) | instskip(NEXT) | instid1(SALU_CYCLE_1)
	s_bitset1_b32 s0, 10
	s_mov_b32 m0, s0
	s_sendmsg sendmsg(MSG_INTERRUPT)
	s_mov_b32 m0, ttmp2
.LBB473_1541:                           ; =>This Inner Loop Header: Depth=1
	s_sethalt 5
	s_branch .LBB473_1541
.LBB473_1542:
	s_mov_b32 s0, -1
.LBB473_1543:
                                        ; implicit-def: $vgpr11
.LBB473_1544:
	s_and_b32 vcc_lo, exec_lo, s6
	s_cbranch_vccz .LBB473_1548
; %bb.1545:
	v_cmp_eq_u16_e32 vcc_lo, 44, v9
	s_cbranch_vccz .LBB473_1547
; %bb.1546:
	global_load_u8 v6, v[4:5], off
	s_mov_b32 s0, 0
	s_mov_b32 s3, -1
	s_waitcnt vmcnt(0)
	v_lshlrev_b32_e32 v11, 23, v6
	v_cmp_ne_u32_e32 vcc_lo, 0xff, v6
	s_delay_alu instid0(VALU_DEP_2) | instskip(SKIP_1) | instid1(VALU_DEP_2)
	v_cndmask_b32_e32 v11, 0x7f800001, v11, vcc_lo
	v_cmp_ne_u32_e32 vcc_lo, 0, v6
	v_cndmask_b32_e32 v11, 0x400000, v11, vcc_lo
	s_branch .LBB473_1548
.LBB473_1547:
	s_mov_b32 s0, -1
                                        ; implicit-def: $vgpr11
.LBB473_1548:
	s_mov_b32 s6, 0
.LBB473_1549:
	s_delay_alu instid0(SALU_CYCLE_1)
	s_and_b32 vcc_lo, exec_lo, s6
	s_cbranch_vccz .LBB473_1553
; %bb.1550:
	v_cmp_eq_u16_e32 vcc_lo, 29, v9
	s_cbranch_vccz .LBB473_1552
; %bb.1551:
	global_load_b64 v[11:12], v[4:5], off
	s_mov_b32 s0, 0
	s_mov_b32 s3, -1
	s_mov_b32 s6, 0
	s_waitcnt vmcnt(0)
	v_clz_i32_u32_e32 v6, v12
	s_delay_alu instid0(VALU_DEP_1) | instskip(NEXT) | instid1(VALU_DEP_1)
	v_min_u32_e32 v6, 32, v6
	v_lshlrev_b64 v[11:12], v6, v[11:12]
	v_sub_nc_u32_e32 v6, 32, v6
	s_delay_alu instid0(VALU_DEP_2) | instskip(NEXT) | instid1(VALU_DEP_1)
	v_min_u32_e32 v11, 1, v11
	v_or_b32_e32 v11, v12, v11
	s_delay_alu instid0(VALU_DEP_1) | instskip(NEXT) | instid1(VALU_DEP_1)
	v_cvt_f32_u32_e32 v11, v11
	v_ldexp_f32 v11, v11, v6
	s_branch .LBB473_1554
.LBB473_1552:
	s_mov_b32 s0, -1
                                        ; implicit-def: $vgpr11
.LBB473_1553:
	s_mov_b32 s6, 0
.LBB473_1554:
	s_delay_alu instid0(SALU_CYCLE_1)
	s_and_b32 vcc_lo, exec_lo, s6
	s_cbranch_vccz .LBB473_1572
; %bb.1555:
	v_cmp_gt_i16_e32 vcc_lo, 27, v9
	s_cbranch_vccnz .LBB473_1558
; %bb.1556:
	v_cmp_lt_i16_e32 vcc_lo, 27, v9
	s_cbranch_vccz .LBB473_1559
; %bb.1557:
	global_load_b32 v6, v[4:5], off
	s_mov_b32 s3, 0
	s_waitcnt vmcnt(0)
	v_cvt_f32_u32_e32 v11, v6
	s_branch .LBB473_1560
.LBB473_1558:
	s_mov_b32 s3, -1
                                        ; implicit-def: $vgpr11
	s_branch .LBB473_1563
.LBB473_1559:
	s_mov_b32 s3, -1
                                        ; implicit-def: $vgpr11
.LBB473_1560:
	s_delay_alu instid0(SALU_CYCLE_1)
	s_and_not1_b32 vcc_lo, exec_lo, s3
	s_cbranch_vccnz .LBB473_1562
; %bb.1561:
	global_load_u16 v6, v[4:5], off
	s_waitcnt vmcnt(0)
	v_cvt_f32_u32_e32 v11, v6
.LBB473_1562:
	s_mov_b32 s3, 0
.LBB473_1563:
	s_delay_alu instid0(SALU_CYCLE_1)
	s_and_not1_b32 vcc_lo, exec_lo, s3
	s_cbranch_vccnz .LBB473_1571
; %bb.1564:
	global_load_u8 v6, v[4:5], off
	s_mov_b32 s3, 0
	s_mov_b32 s7, exec_lo
                                        ; implicit-def: $sgpr6
	s_waitcnt vmcnt(0)
	v_cmpx_lt_i16_e32 0x7f, v6
	s_xor_b32 s7, exec_lo, s7
	s_cbranch_execz .LBB473_1585
; %bb.1565:
	s_mov_b32 s3, -1
	s_mov_b32 s10, exec_lo
                                        ; implicit-def: $sgpr6
	v_cmpx_eq_u16_e32 0x80, v6
; %bb.1566:
	s_mov_b32 s6, 0x7f800001
	s_xor_b32 s3, exec_lo, -1
; %bb.1567:
	s_or_b32 exec_lo, exec_lo, s10
	s_delay_alu instid0(SALU_CYCLE_1)
	s_and_b32 s3, s3, exec_lo
	s_or_saveexec_b32 s7, s7
	v_mov_b32_e32 v11, s6
	s_xor_b32 exec_lo, exec_lo, s7
	s_cbranch_execnz .LBB473_1586
.LBB473_1568:
	s_or_b32 exec_lo, exec_lo, s7
	s_and_saveexec_b32 s6, s3
	s_cbranch_execz .LBB473_1570
.LBB473_1569:
	v_and_b32_e32 v11, 0xffff, v6
	v_lshlrev_b32_e32 v6, 24, v6
	s_delay_alu instid0(VALU_DEP_2) | instskip(NEXT) | instid1(VALU_DEP_2)
	v_and_b32_e32 v12, 7, v11
	v_and_b32_e32 v6, 0x80000000, v6
	s_delay_alu instid0(VALU_DEP_2) | instskip(NEXT) | instid1(VALU_DEP_1)
	v_clz_i32_u32_e32 v13, v12
	v_min_u32_e32 v13, 32, v13
	s_delay_alu instid0(VALU_DEP_1) | instskip(SKIP_1) | instid1(VALU_DEP_2)
	v_subrev_nc_u32_e32 v14, 28, v13
	v_sub_nc_u32_e32 v13, 29, v13
	v_lshlrev_b32_e32 v14, v14, v11
	v_bfe_u32 v11, v11, 3, 4
	s_delay_alu instid0(VALU_DEP_2) | instskip(NEXT) | instid1(VALU_DEP_2)
	v_and_b32_e32 v14, 7, v14
	v_cmp_eq_u32_e32 vcc_lo, 0, v11
	s_delay_alu instid0(VALU_DEP_2) | instskip(NEXT) | instid1(VALU_DEP_1)
	v_dual_cndmask_b32 v11, v11, v13 :: v_dual_cndmask_b32 v12, v12, v14
	v_lshl_add_u32 v11, v11, 23, 0x3b800000
	s_delay_alu instid0(VALU_DEP_2) | instskip(NEXT) | instid1(VALU_DEP_1)
	v_lshlrev_b32_e32 v12, 20, v12
	v_or3_b32 v11, v6, v11, v12
.LBB473_1570:
	s_or_b32 exec_lo, exec_lo, s6
.LBB473_1571:
	s_mov_b32 s3, -1
.LBB473_1572:
	s_mov_b32 s6, 0
.LBB473_1573:
	s_delay_alu instid0(SALU_CYCLE_1)
	s_and_b32 vcc_lo, exec_lo, s6
	s_cbranch_vccz .LBB473_1606
; %bb.1574:
	v_cmp_lt_i16_e32 vcc_lo, 22, v9
	s_cbranch_vccz .LBB473_1584
; %bb.1575:
	v_cmp_gt_i16_e32 vcc_lo, 24, v9
	s_cbranch_vccnz .LBB473_1587
; %bb.1576:
	v_cmp_lt_i16_e32 vcc_lo, 24, v9
	s_cbranch_vccz .LBB473_1588
; %bb.1577:
	global_load_u8 v6, v[4:5], off
	s_mov_b32 s6, exec_lo
                                        ; implicit-def: $sgpr3
	s_waitcnt vmcnt(0)
	v_cmpx_lt_i16_e32 0x7f, v6
	s_xor_b32 s6, exec_lo, s6
	s_cbranch_execz .LBB473_1600
; %bb.1578:
	s_mov_b32 s2, -1
	s_mov_b32 s7, exec_lo
                                        ; implicit-def: $sgpr3
	v_cmpx_eq_u16_e32 0x80, v6
; %bb.1579:
	s_mov_b32 s3, 0x7f800001
	s_xor_b32 s2, exec_lo, -1
; %bb.1580:
	s_or_b32 exec_lo, exec_lo, s7
	s_delay_alu instid0(SALU_CYCLE_1)
	s_and_b32 s2, s2, exec_lo
	s_or_saveexec_b32 s6, s6
	v_mov_b32_e32 v11, s3
	s_xor_b32 exec_lo, exec_lo, s6
	s_cbranch_execnz .LBB473_1601
.LBB473_1581:
	s_or_b32 exec_lo, exec_lo, s6
	s_and_saveexec_b32 s3, s2
	s_cbranch_execz .LBB473_1583
.LBB473_1582:
	v_and_b32_e32 v11, 0xffff, v6
	v_lshlrev_b32_e32 v6, 24, v6
	s_delay_alu instid0(VALU_DEP_2) | instskip(NEXT) | instid1(VALU_DEP_2)
	v_and_b32_e32 v12, 3, v11
	v_and_b32_e32 v6, 0x80000000, v6
	s_delay_alu instid0(VALU_DEP_2) | instskip(NEXT) | instid1(VALU_DEP_1)
	v_clz_i32_u32_e32 v13, v12
	v_min_u32_e32 v13, 32, v13
	s_delay_alu instid0(VALU_DEP_1) | instskip(SKIP_1) | instid1(VALU_DEP_2)
	v_subrev_nc_u32_e32 v14, 29, v13
	v_sub_nc_u32_e32 v13, 30, v13
	v_lshlrev_b32_e32 v14, v14, v11
	v_bfe_u32 v11, v11, 2, 5
	s_delay_alu instid0(VALU_DEP_2) | instskip(NEXT) | instid1(VALU_DEP_2)
	v_and_b32_e32 v14, 3, v14
	v_cmp_eq_u32_e32 vcc_lo, 0, v11
	s_delay_alu instid0(VALU_DEP_2) | instskip(NEXT) | instid1(VALU_DEP_1)
	v_dual_cndmask_b32 v11, v11, v13 :: v_dual_cndmask_b32 v12, v12, v14
	v_lshl_add_u32 v11, v11, 23, 0x37800000
	s_delay_alu instid0(VALU_DEP_2) | instskip(NEXT) | instid1(VALU_DEP_1)
	v_lshlrev_b32_e32 v12, 21, v12
	v_or3_b32 v11, v6, v11, v12
.LBB473_1583:
	s_or_b32 exec_lo, exec_lo, s3
	s_mov_b32 s2, 0
	s_branch .LBB473_1589
.LBB473_1584:
	s_mov_b32 s2, -1
                                        ; implicit-def: $vgpr11
	s_branch .LBB473_1595
.LBB473_1585:
	s_or_saveexec_b32 s7, s7
	v_mov_b32_e32 v11, s6
	s_xor_b32 exec_lo, exec_lo, s7
	s_cbranch_execz .LBB473_1568
.LBB473_1586:
	v_cmp_ne_u16_e32 vcc_lo, 0, v6
	v_mov_b32_e32 v11, 0
	s_and_not1_b32 s3, s3, exec_lo
	s_and_b32 s6, vcc_lo, exec_lo
	s_delay_alu instid0(SALU_CYCLE_1)
	s_or_b32 s3, s3, s6
	s_or_b32 exec_lo, exec_lo, s7
	s_and_saveexec_b32 s6, s3
	s_cbranch_execnz .LBB473_1569
	s_branch .LBB473_1570
.LBB473_1587:
	s_mov_b32 s2, -1
                                        ; implicit-def: $vgpr11
	s_branch .LBB473_1592
.LBB473_1588:
	s_mov_b32 s2, -1
                                        ; implicit-def: $vgpr11
.LBB473_1589:
	s_delay_alu instid0(SALU_CYCLE_1)
	s_and_b32 vcc_lo, exec_lo, s2
	s_cbranch_vccz .LBB473_1591
; %bb.1590:
	global_load_u8 v6, v[4:5], off
	s_waitcnt vmcnt(0)
	v_lshlrev_b32_e32 v6, 24, v6
	s_delay_alu instid0(VALU_DEP_1) | instskip(NEXT) | instid1(VALU_DEP_1)
	v_and_b32_e32 v11, 0x7f000000, v6
	v_clz_i32_u32_e32 v12, v11
	v_add_nc_u32_e32 v14, 0x1000000, v11
	v_cmp_ne_u32_e32 vcc_lo, 0, v11
	s_delay_alu instid0(VALU_DEP_3) | instskip(NEXT) | instid1(VALU_DEP_1)
	v_min_u32_e32 v12, 32, v12
	v_sub_nc_u32_e64 v12, v12, 4 clamp
	s_delay_alu instid0(VALU_DEP_1) | instskip(SKIP_1) | instid1(VALU_DEP_2)
	v_lshlrev_b32_e32 v13, v12, v11
	v_lshlrev_b32_e32 v12, 23, v12
	v_lshrrev_b32_e32 v13, 4, v13
	s_delay_alu instid0(VALU_DEP_1) | instskip(SKIP_1) | instid1(VALU_DEP_2)
	v_sub_nc_u32_e32 v12, v13, v12
	v_ashrrev_i32_e32 v13, 8, v14
	v_add_nc_u32_e32 v12, 0x3c000000, v12
	s_delay_alu instid0(VALU_DEP_1) | instskip(NEXT) | instid1(VALU_DEP_1)
	v_and_or_b32 v12, 0x7f800000, v13, v12
	v_cndmask_b32_e32 v11, 0, v12, vcc_lo
	s_delay_alu instid0(VALU_DEP_1)
	v_and_or_b32 v11, 0x80000000, v6, v11
.LBB473_1591:
	s_mov_b32 s2, 0
.LBB473_1592:
	s_delay_alu instid0(SALU_CYCLE_1)
	s_and_not1_b32 vcc_lo, exec_lo, s2
	s_cbranch_vccnz .LBB473_1594
; %bb.1593:
	global_load_u8 v6, v[4:5], off
	s_waitcnt vmcnt(0)
	v_lshlrev_b32_e32 v11, 25, v6
	v_lshlrev_b16 v6, 8, v6
	s_delay_alu instid0(VALU_DEP_2) | instskip(NEXT) | instid1(VALU_DEP_2)
	v_lshrrev_b32_e32 v12, 4, v11
	v_and_or_b32 v13, 0x7f00, v6, 0.5
	v_bfe_i32 v6, v6, 0, 16
	s_delay_alu instid0(VALU_DEP_3) | instskip(NEXT) | instid1(VALU_DEP_1)
	v_or_b32_e32 v12, 0x70000000, v12
	v_dual_add_f32 v13, -0.5, v13 :: v_dual_mul_f32 v12, 0x7800000, v12
	v_cmp_gt_u32_e32 vcc_lo, 0x8000000, v11
	s_delay_alu instid0(VALU_DEP_2) | instskip(NEXT) | instid1(VALU_DEP_1)
	v_cndmask_b32_e32 v11, v12, v13, vcc_lo
	v_and_or_b32 v11, 0x80000000, v6, v11
.LBB473_1594:
	s_mov_b32 s2, 0
	s_mov_b32 s3, -1
.LBB473_1595:
	s_and_not1_b32 vcc_lo, exec_lo, s2
	s_mov_b32 s2, 0
	s_cbranch_vccnz .LBB473_1606
; %bb.1596:
	v_cmp_lt_i16_e32 vcc_lo, 14, v9
	s_cbranch_vccz .LBB473_1599
; %bb.1597:
	v_cmp_eq_u16_e32 vcc_lo, 15, v9
	s_cbranch_vccz .LBB473_1602
; %bb.1598:
	global_load_u16 v6, v[4:5], off
	s_mov_b32 s0, 0
	s_mov_b32 s3, -1
	s_waitcnt vmcnt(0)
	v_lshlrev_b32_e32 v11, 16, v6
	s_branch .LBB473_1604
.LBB473_1599:
	s_mov_b32 s2, -1
	s_branch .LBB473_1603
.LBB473_1600:
	s_or_saveexec_b32 s6, s6
	v_mov_b32_e32 v11, s3
	s_xor_b32 exec_lo, exec_lo, s6
	s_cbranch_execz .LBB473_1581
.LBB473_1601:
	v_cmp_ne_u16_e32 vcc_lo, 0, v6
	v_mov_b32_e32 v11, 0
	s_and_not1_b32 s2, s2, exec_lo
	s_and_b32 s3, vcc_lo, exec_lo
	s_delay_alu instid0(SALU_CYCLE_1)
	s_or_b32 s2, s2, s3
	s_or_b32 exec_lo, exec_lo, s6
	s_and_saveexec_b32 s3, s2
	s_cbranch_execnz .LBB473_1582
	s_branch .LBB473_1583
.LBB473_1602:
	s_mov_b32 s0, -1
.LBB473_1603:
                                        ; implicit-def: $vgpr11
.LBB473_1604:
	s_and_b32 vcc_lo, exec_lo, s2
	s_mov_b32 s2, 0
	s_cbranch_vccz .LBB473_1606
; %bb.1605:
	v_cmp_ne_u16_e64 s0, 11, v9
	s_mov_b32 s2, -1
                                        ; implicit-def: $vgpr11
.LBB473_1606:
	s_delay_alu instid0(VALU_DEP_1)
	s_and_b32 vcc_lo, exec_lo, s0
	s_cbranch_vccnz .LBB473_1669
; %bb.1607:
	s_and_not1_b32 vcc_lo, exec_lo, s2
	s_cbranch_vccnz .LBB473_1609
.LBB473_1608:
	global_load_u8 v6, v[4:5], off
	s_mov_b32 s3, -1
	s_waitcnt vmcnt(0)
	v_cmp_ne_u16_e32 vcc_lo, 0, v6
	v_cndmask_b32_e64 v11, 0, 1.0, vcc_lo
.LBB473_1609:
	s_mov_b32 s0, 0
.LBB473_1610:
	s_delay_alu instid0(SALU_CYCLE_1)
	s_and_b32 vcc_lo, exec_lo, s0
	s_cbranch_vccz .LBB473_1659
; %bb.1611:
	v_cmp_gt_i16_e32 vcc_lo, 5, v9
	s_cbranch_vccnz .LBB473_1616
; %bb.1612:
	v_cmp_gt_i16_e32 vcc_lo, 8, v9
	s_cbranch_vccnz .LBB473_1617
	;; [unrolled: 3-line block ×3, first 2 shown]
; %bb.1614:
	v_cmp_lt_i16_e32 vcc_lo, 9, v9
	s_cbranch_vccz .LBB473_1619
; %bb.1615:
	global_load_b64 v[11:12], v[4:5], off
	s_mov_b32 s0, 0
	s_waitcnt vmcnt(0)
	v_cvt_f32_f64_e32 v11, v[11:12]
	s_branch .LBB473_1620
.LBB473_1616:
	s_mov_b32 s0, -1
                                        ; implicit-def: $vgpr11
	s_branch .LBB473_1638
.LBB473_1617:
	s_mov_b32 s0, -1
                                        ; implicit-def: $vgpr11
	s_branch .LBB473_1626
.LBB473_1618:
	s_mov_b32 s0, -1
                                        ; implicit-def: $vgpr11
	s_branch .LBB473_1623
.LBB473_1619:
	s_mov_b32 s0, -1
                                        ; implicit-def: $vgpr11
.LBB473_1620:
	s_delay_alu instid0(SALU_CYCLE_1)
	s_and_not1_b32 vcc_lo, exec_lo, s0
	s_cbranch_vccnz .LBB473_1622
; %bb.1621:
	global_load_b32 v11, v[4:5], off
.LBB473_1622:
	s_mov_b32 s0, 0
.LBB473_1623:
	s_delay_alu instid0(SALU_CYCLE_1)
	s_and_not1_b32 vcc_lo, exec_lo, s0
	s_cbranch_vccnz .LBB473_1625
; %bb.1624:
	global_load_b32 v6, v[4:5], off
	s_waitcnt vmcnt(0)
	v_cvt_f32_f16_e32 v11, v6
.LBB473_1625:
	s_mov_b32 s0, 0
.LBB473_1626:
	s_delay_alu instid0(SALU_CYCLE_1)
	s_and_not1_b32 vcc_lo, exec_lo, s0
	s_cbranch_vccnz .LBB473_1637
; %bb.1627:
	v_cmp_gt_i16_e32 vcc_lo, 6, v9
	s_cbranch_vccnz .LBB473_1630
; %bb.1628:
	v_cmp_lt_i16_e32 vcc_lo, 6, v9
	s_cbranch_vccz .LBB473_1631
; %bb.1629:
	global_load_b64 v[11:12], v[4:5], off
	s_mov_b32 s0, 0
	s_waitcnt vmcnt(0)
	v_cvt_f32_f64_e32 v11, v[11:12]
	s_branch .LBB473_1632
.LBB473_1630:
	s_mov_b32 s0, -1
                                        ; implicit-def: $vgpr11
	s_branch .LBB473_1635
.LBB473_1631:
	s_mov_b32 s0, -1
                                        ; implicit-def: $vgpr11
.LBB473_1632:
	s_delay_alu instid0(SALU_CYCLE_1)
	s_and_not1_b32 vcc_lo, exec_lo, s0
	s_cbranch_vccnz .LBB473_1634
; %bb.1633:
	global_load_b32 v11, v[4:5], off
.LBB473_1634:
	s_mov_b32 s0, 0
.LBB473_1635:
	s_delay_alu instid0(SALU_CYCLE_1)
	s_and_not1_b32 vcc_lo, exec_lo, s0
	s_cbranch_vccnz .LBB473_1637
; %bb.1636:
	global_load_u16 v6, v[4:5], off
	s_waitcnt vmcnt(0)
	v_cvt_f32_f16_e32 v11, v6
.LBB473_1637:
	s_mov_b32 s0, 0
.LBB473_1638:
	s_delay_alu instid0(SALU_CYCLE_1)
	s_and_not1_b32 vcc_lo, exec_lo, s0
	s_cbranch_vccnz .LBB473_1658
; %bb.1639:
	v_cmp_gt_i16_e32 vcc_lo, 2, v9
	s_cbranch_vccnz .LBB473_1643
; %bb.1640:
	v_cmp_gt_i16_e32 vcc_lo, 3, v9
	s_cbranch_vccnz .LBB473_1644
; %bb.1641:
	v_cmp_lt_i16_e32 vcc_lo, 3, v9
	s_cbranch_vccz .LBB473_1645
; %bb.1642:
	global_load_b64 v[11:12], v[4:5], off
	s_mov_b32 s0, 0
	s_waitcnt vmcnt(0)
	v_xor_b32_e32 v6, v11, v12
	v_cls_i32_e32 v13, v12
	s_delay_alu instid0(VALU_DEP_2) | instskip(NEXT) | instid1(VALU_DEP_2)
	v_ashrrev_i32_e32 v6, 31, v6
	v_add_nc_u32_e32 v13, -1, v13
	s_delay_alu instid0(VALU_DEP_2) | instskip(NEXT) | instid1(VALU_DEP_1)
	v_add_nc_u32_e32 v6, 32, v6
	v_min_u32_e32 v6, v13, v6
	s_delay_alu instid0(VALU_DEP_1) | instskip(SKIP_1) | instid1(VALU_DEP_2)
	v_lshlrev_b64 v[11:12], v6, v[11:12]
	v_sub_nc_u32_e32 v6, 32, v6
	v_min_u32_e32 v11, 1, v11
	s_delay_alu instid0(VALU_DEP_1) | instskip(NEXT) | instid1(VALU_DEP_1)
	v_or_b32_e32 v11, v12, v11
	v_cvt_f32_i32_e32 v11, v11
	s_delay_alu instid0(VALU_DEP_1)
	v_ldexp_f32 v11, v11, v6
	s_branch .LBB473_1646
.LBB473_1643:
	s_mov_b32 s0, -1
                                        ; implicit-def: $vgpr11
	s_branch .LBB473_1652
.LBB473_1644:
	s_mov_b32 s0, -1
                                        ; implicit-def: $vgpr11
	s_branch .LBB473_1649
.LBB473_1645:
	s_mov_b32 s0, -1
                                        ; implicit-def: $vgpr11
.LBB473_1646:
	s_delay_alu instid0(SALU_CYCLE_1)
	s_and_not1_b32 vcc_lo, exec_lo, s0
	s_cbranch_vccnz .LBB473_1648
; %bb.1647:
	global_load_b32 v6, v[4:5], off
	s_waitcnt vmcnt(0)
	v_cvt_f32_i32_e32 v11, v6
.LBB473_1648:
	s_mov_b32 s0, 0
.LBB473_1649:
	s_delay_alu instid0(SALU_CYCLE_1)
	s_and_not1_b32 vcc_lo, exec_lo, s0
	s_cbranch_vccnz .LBB473_1651
; %bb.1650:
	global_load_i16 v6, v[4:5], off
	s_waitcnt vmcnt(0)
	v_cvt_f32_i32_e32 v11, v6
.LBB473_1651:
	s_mov_b32 s0, 0
.LBB473_1652:
	s_delay_alu instid0(SALU_CYCLE_1)
	s_and_not1_b32 vcc_lo, exec_lo, s0
	s_cbranch_vccnz .LBB473_1658
; %bb.1653:
	v_cmp_lt_i16_e32 vcc_lo, 0, v9
	s_mov_b32 s0, 0
	s_cbranch_vccz .LBB473_1655
; %bb.1654:
	global_load_i8 v6, v[4:5], off
	s_waitcnt vmcnt(0)
	v_cvt_f32_i32_e32 v11, v6
	s_branch .LBB473_1656
.LBB473_1655:
	s_mov_b32 s0, -1
                                        ; implicit-def: $vgpr11
.LBB473_1656:
	s_delay_alu instid0(SALU_CYCLE_1)
	s_and_not1_b32 vcc_lo, exec_lo, s0
	s_cbranch_vccnz .LBB473_1658
; %bb.1657:
	global_load_u8 v4, v[4:5], off
	s_waitcnt vmcnt(0)
	v_cvt_f32_ubyte0_e32 v11, v4
.LBB473_1658:
	s_mov_b32 s3, -1
.LBB473_1659:
	s_delay_alu instid0(SALU_CYCLE_1)
	s_and_not1_b32 vcc_lo, exec_lo, s3
	s_cbranch_vccnz .LBB473_2049
; %bb.1660:
	s_load_b64 s[2:3], s[16:17], 0x158
	v_max_f32_e32 v4, v10, v10
	v_cmp_u_f32_e32 vcc_lo, v10, v10
	s_mov_b32 s6, 0
	s_waitcnt lgkmcnt(0)
	v_max_f32_e64 v9, s2, s2
	s_and_b32 s2, s3, 0xff
	v_add_co_u32 v3, s3, s4, v3
	v_cmp_lt_i16_e64 s0, s2, 11
	s_delay_alu instid0(VALU_DEP_3) | instskip(SKIP_1) | instid1(VALU_DEP_2)
	v_min_f32_e32 v5, v4, v9
	v_add_co_ci_u32_e64 v4, null, s5, 0, s3
	v_cndmask_b32_e32 v5, v5, v10, vcc_lo
	s_delay_alu instid0(VALU_DEP_4)
	s_and_b32 vcc_lo, exec_lo, s0
	s_mov_b32 s0, -1
	s_cbranch_vccnz .LBB473_1743
; %bb.1661:
	v_cmp_gt_i16_e64 s0, s2, 25
	s_mov_b32 s7, -1
	s_mov_b32 s3, 0
	s_delay_alu instid0(VALU_DEP_1)
	s_and_b32 vcc_lo, exec_lo, s0
	s_mov_b32 s0, 0
	s_cbranch_vccz .LBB473_1699
; %bb.1662:
	v_cmp_gt_i16_e64 s0, s2, 28
	s_delay_alu instid0(VALU_DEP_1)
	s_and_b32 vcc_lo, exec_lo, s0
	s_cbranch_vccz .LBB473_1667
; %bb.1663:
	v_cmp_gt_i16_e64 s0, s2, 43
	s_delay_alu instid0(VALU_DEP_1)
	s_and_b32 vcc_lo, exec_lo, s0
	;; [unrolled: 5-line block ×3, first 2 shown]
	s_cbranch_vccz .LBB473_1671
; %bb.1665:
	v_cmp_eq_u16_e64 s6, s2, 46
	s_mov_b32 s0, -1
	s_mov_b32 s7, 0
	s_delay_alu instid0(VALU_DEP_1)
	s_and_b32 vcc_lo, exec_lo, s6
	s_mov_b32 s6, 0
	s_cbranch_vccz .LBB473_1672
; %bb.1666:
	v_bfe_u32 v6, v5, 16, 1
	v_cmp_o_f32_e32 vcc_lo, v5, v5
	s_mov_b32 s0, 0
	s_mov_b32 s6, -1
	s_delay_alu instid0(VALU_DEP_2) | instskip(NEXT) | instid1(VALU_DEP_1)
	v_add3_u32 v6, v5, v6, 0x7fff
	v_lshrrev_b32_e32 v6, 16, v6
	s_delay_alu instid0(VALU_DEP_1)
	v_cndmask_b32_e32 v6, 0x7fc0, v6, vcc_lo
	global_store_b32 v[3:4], v6, off
	s_branch .LBB473_1672
.LBB473_1667:
	s_mov_b32 s0, 0
	s_branch .LBB473_1682
.LBB473_1668:
	s_mov_b32 s0, 0
	s_branch .LBB473_1678
.LBB473_1669:
	s_cbranch_execnz .LBB473_1794
; %bb.1670:
	s_or_b32 s1, s1, exec_lo
                                        ; implicit-def: $vgpr11
	s_cbranch_execz .LBB473_1608
	s_branch .LBB473_1609
.LBB473_1671:
	s_mov_b32 s0, 0
.LBB473_1672:
	s_and_b32 vcc_lo, exec_lo, s7
	s_cbranch_vccz .LBB473_1677
; %bb.1673:
	v_cmp_eq_u16_e64 s0, s2, 44
	s_delay_alu instid0(VALU_DEP_1)
	s_and_b32 vcc_lo, exec_lo, s0
	s_mov_b32 s0, -1
	s_cbranch_vccz .LBB473_1677
; %bb.1674:
	v_bfe_u32 v10, v5, 23, 8
	v_mov_b32_e32 v6, 0xff
	s_mov_b32 s6, exec_lo
	s_delay_alu instid0(VALU_DEP_2)
	v_cmpx_ne_u32_e32 0xff, v10
; %bb.1675:
	v_and_b32_e32 v6, 0x400000, v5
	v_and_or_b32 v10, 0x3fffff, v5, v10
	s_delay_alu instid0(VALU_DEP_2) | instskip(NEXT) | instid1(VALU_DEP_2)
	v_cmp_ne_u32_e32 vcc_lo, 0, v6
	v_cmp_ne_u32_e64 s0, 0, v10
	v_lshrrev_b32_e32 v6, 23, v5
	s_delay_alu instid0(VALU_DEP_2) | instskip(NEXT) | instid1(SALU_CYCLE_1)
	s_and_b32 s0, vcc_lo, s0
	v_cndmask_b32_e64 v10, 0, 1, s0
	s_delay_alu instid0(VALU_DEP_1)
	v_add_nc_u32_e32 v6, v6, v10
; %bb.1676:
	s_or_b32 exec_lo, exec_lo, s6
	s_mov_b32 s0, 0
	s_mov_b32 s6, -1
	global_store_b8 v[3:4], v6, off
.LBB473_1677:
	s_mov_b32 s7, 0
.LBB473_1678:
	s_delay_alu instid0(SALU_CYCLE_1)
	s_and_b32 vcc_lo, exec_lo, s7
	s_cbranch_vccz .LBB473_1681
; %bb.1679:
	v_cmp_eq_u16_e64 s0, s2, 29
	s_delay_alu instid0(VALU_DEP_1)
	s_and_b32 vcc_lo, exec_lo, s0
	s_mov_b32 s0, -1
	s_cbranch_vccz .LBB473_1681
; %bb.1680:
	v_trunc_f32_e32 v6, v5
	s_mov_b32 s0, 0
	s_mov_b32 s6, -1
	s_mov_b32 s7, 0
	s_delay_alu instid0(VALU_DEP_1) | instskip(NEXT) | instid1(VALU_DEP_1)
	v_mul_f32_e32 v10, 0x2f800000, v6
	v_floor_f32_e32 v10, v10
	s_delay_alu instid0(VALU_DEP_1) | instskip(SKIP_1) | instid1(VALU_DEP_2)
	v_fmamk_f32 v6, v10, 0xcf800000, v6
	v_cvt_u32_f32_e32 v13, v10
	v_cvt_u32_f32_e32 v12, v6
	global_store_b64 v[3:4], v[12:13], off
	s_branch .LBB473_1682
.LBB473_1681:
	s_mov_b32 s7, 0
.LBB473_1682:
	s_delay_alu instid0(SALU_CYCLE_1)
	s_and_b32 vcc_lo, exec_lo, s7
	s_cbranch_vccz .LBB473_1698
; %bb.1683:
	v_cmp_lt_i16_e64 s6, s2, 27
	s_delay_alu instid0(VALU_DEP_1)
	s_and_b32 vcc_lo, exec_lo, s6
	s_mov_b32 s6, -1
	s_cbranch_vccnz .LBB473_1689
; %bb.1684:
	v_cmp_gt_i16_e64 s6, s2, 27
	v_cvt_u32_f32_e32 v6, v5
	s_delay_alu instid0(VALU_DEP_2)
	s_and_b32 vcc_lo, exec_lo, s6
	s_mov_b32 s6, -1
	s_cbranch_vccz .LBB473_1686
; %bb.1685:
	s_mov_b32 s6, 0
	global_store_b32 v[3:4], v6, off
.LBB473_1686:
	s_and_not1_b32 vcc_lo, exec_lo, s6
	s_cbranch_vccnz .LBB473_1688
; %bb.1687:
	global_store_b16 v[3:4], v6, off
.LBB473_1688:
	s_mov_b32 s6, 0
.LBB473_1689:
	s_delay_alu instid0(SALU_CYCLE_1)
	s_and_not1_b32 vcc_lo, exec_lo, s6
	s_cbranch_vccnz .LBB473_1697
; %bb.1690:
	v_and_b32_e32 v6, 0x7fffffff, v5
	v_mov_b32_e32 v10, 0x80
	s_mov_b32 s6, exec_lo
	s_delay_alu instid0(VALU_DEP_2)
	v_cmpx_gt_u32_e32 0x43800000, v6
	s_cbranch_execz .LBB473_1696
; %bb.1691:
	v_cmp_lt_u32_e32 vcc_lo, 0x3bffffff, v6
	s_mov_b32 s7, 0
                                        ; implicit-def: $vgpr6
	s_and_saveexec_b32 s10, vcc_lo
	s_delay_alu instid0(SALU_CYCLE_1)
	s_xor_b32 s10, exec_lo, s10
	s_cbranch_execz .LBB473_1791
; %bb.1692:
	v_bfe_u32 v6, v5, 20, 1
	s_mov_b32 s7, exec_lo
	s_delay_alu instid0(VALU_DEP_1) | instskip(NEXT) | instid1(VALU_DEP_1)
	v_add3_u32 v6, v5, v6, 0x487ffff
	v_lshrrev_b32_e32 v6, 20, v6
	s_or_saveexec_b32 s10, s10
                                        ; implicit-def: $sgpr11
	s_delay_alu instid0(SALU_CYCLE_1)
	s_xor_b32 exec_lo, exec_lo, s10
	s_cbranch_execnz .LBB473_1792
.LBB473_1693:
	s_or_b32 exec_lo, exec_lo, s10
	v_mov_b32_e32 v10, s11
	s_and_saveexec_b32 s10, s7
.LBB473_1694:
	v_lshrrev_b32_e32 v10, 24, v5
	s_delay_alu instid0(VALU_DEP_1)
	v_and_or_b32 v10, 0x80, v10, v6
.LBB473_1695:
	s_or_b32 exec_lo, exec_lo, s10
.LBB473_1696:
	s_delay_alu instid0(SALU_CYCLE_1)
	s_or_b32 exec_lo, exec_lo, s6
	global_store_b8 v[3:4], v10, off
.LBB473_1697:
	s_mov_b32 s6, -1
.LBB473_1698:
	s_mov_b32 s7, 0
.LBB473_1699:
	s_delay_alu instid0(SALU_CYCLE_1)
	s_and_b32 vcc_lo, exec_lo, s7
	s_cbranch_vccz .LBB473_1739
; %bb.1700:
	v_cmp_gt_i16_e64 s3, s2, 22
	s_delay_alu instid0(VALU_DEP_1)
	s_and_b32 vcc_lo, exec_lo, s3
	s_mov_b32 s3, -1
	s_cbranch_vccz .LBB473_1732
; %bb.1701:
	v_cmp_lt_i16_e64 s3, s2, 24
	s_delay_alu instid0(VALU_DEP_1)
	s_and_b32 vcc_lo, exec_lo, s3
	s_mov_b32 s3, -1
	s_cbranch_vccnz .LBB473_1721
; %bb.1702:
	v_cmp_gt_i16_e64 s3, s2, 24
	s_delay_alu instid0(VALU_DEP_1)
	s_and_b32 vcc_lo, exec_lo, s3
	s_mov_b32 s3, -1
	s_cbranch_vccz .LBB473_1710
; %bb.1703:
	v_and_b32_e32 v6, 0x7fffffff, v5
	v_mov_b32_e32 v10, 0x80
	s_mov_b32 s3, exec_lo
	s_delay_alu instid0(VALU_DEP_2)
	v_cmpx_gt_u32_e32 0x47800000, v6
	s_cbranch_execz .LBB473_1709
; %bb.1704:
	v_cmp_lt_u32_e32 vcc_lo, 0x37ffffff, v6
	s_mov_b32 s6, 0
                                        ; implicit-def: $vgpr6
	s_and_saveexec_b32 s7, vcc_lo
	s_delay_alu instid0(SALU_CYCLE_1)
	s_xor_b32 s7, exec_lo, s7
	s_cbranch_execz .LBB473_1798
; %bb.1705:
	v_bfe_u32 v6, v5, 21, 1
	s_mov_b32 s6, exec_lo
	s_delay_alu instid0(VALU_DEP_1) | instskip(NEXT) | instid1(VALU_DEP_1)
	v_add3_u32 v6, v5, v6, 0x88fffff
	v_lshrrev_b32_e32 v6, 21, v6
	s_or_saveexec_b32 s7, s7
                                        ; implicit-def: $sgpr10
	s_delay_alu instid0(SALU_CYCLE_1)
	s_xor_b32 exec_lo, exec_lo, s7
	s_cbranch_execnz .LBB473_1799
.LBB473_1706:
	s_or_b32 exec_lo, exec_lo, s7
	v_mov_b32_e32 v10, s10
	s_and_saveexec_b32 s7, s6
.LBB473_1707:
	v_lshrrev_b32_e32 v10, 24, v5
	s_delay_alu instid0(VALU_DEP_1)
	v_and_or_b32 v10, 0x80, v10, v6
.LBB473_1708:
	s_or_b32 exec_lo, exec_lo, s7
.LBB473_1709:
	s_delay_alu instid0(SALU_CYCLE_1)
	s_or_b32 exec_lo, exec_lo, s3
	s_mov_b32 s3, 0
	global_store_b8 v[3:4], v10, off
.LBB473_1710:
	s_and_b32 vcc_lo, exec_lo, s3
	s_cbranch_vccz .LBB473_1720
; %bb.1711:
	v_and_b32_e32 v10, 0x7fffffff, v5
	s_mov_b32 s3, exec_lo
                                        ; implicit-def: $vgpr6
	s_delay_alu instid0(VALU_DEP_1)
	v_cmpx_gt_u32_e32 0x43f00000, v10
	s_xor_b32 s3, exec_lo, s3
	s_cbranch_execz .LBB473_1717
; %bb.1712:
	s_mov_b32 s6, exec_lo
                                        ; implicit-def: $vgpr6
	v_cmpx_lt_u32_e32 0x3c7fffff, v10
	s_xor_b32 s6, exec_lo, s6
; %bb.1713:
	v_bfe_u32 v6, v5, 20, 1
	s_delay_alu instid0(VALU_DEP_1) | instskip(NEXT) | instid1(VALU_DEP_1)
	v_add3_u32 v6, v5, v6, 0x407ffff
	v_and_b32_e32 v10, 0xff00000, v6
	v_lshrrev_b32_e32 v6, 20, v6
	s_delay_alu instid0(VALU_DEP_2) | instskip(NEXT) | instid1(VALU_DEP_2)
	v_cmp_ne_u32_e32 vcc_lo, 0x7f00000, v10
	v_cndmask_b32_e32 v6, 0x7e, v6, vcc_lo
; %bb.1714:
	s_and_not1_saveexec_b32 s6, s6
; %bb.1715:
	v_add_f32_e64 v6, 0x46800000, |v5|
; %bb.1716:
	s_or_b32 exec_lo, exec_lo, s6
                                        ; implicit-def: $vgpr10
.LBB473_1717:
	s_and_not1_saveexec_b32 s3, s3
; %bb.1718:
	v_mov_b32_e32 v6, 0x7f
	v_cmp_lt_u32_e32 vcc_lo, 0x7f800000, v10
	s_delay_alu instid0(VALU_DEP_2)
	v_cndmask_b32_e32 v6, 0x7e, v6, vcc_lo
; %bb.1719:
	s_or_b32 exec_lo, exec_lo, s3
	v_lshrrev_b32_e32 v10, 24, v5
	s_delay_alu instid0(VALU_DEP_1)
	v_and_or_b32 v6, 0x80, v10, v6
	global_store_b8 v[3:4], v6, off
.LBB473_1720:
	s_mov_b32 s3, 0
.LBB473_1721:
	s_delay_alu instid0(SALU_CYCLE_1)
	s_and_not1_b32 vcc_lo, exec_lo, s3
	s_cbranch_vccnz .LBB473_1731
; %bb.1722:
	v_and_b32_e32 v10, 0x7fffffff, v5
	s_mov_b32 s3, exec_lo
                                        ; implicit-def: $vgpr6
	s_delay_alu instid0(VALU_DEP_1)
	v_cmpx_gt_u32_e32 0x47800000, v10
	s_xor_b32 s3, exec_lo, s3
	s_cbranch_execz .LBB473_1728
; %bb.1723:
	s_mov_b32 s6, exec_lo
                                        ; implicit-def: $vgpr6
	v_cmpx_lt_u32_e32 0x387fffff, v10
	s_xor_b32 s6, exec_lo, s6
; %bb.1724:
	v_bfe_u32 v6, v5, 21, 1
	s_delay_alu instid0(VALU_DEP_1) | instskip(NEXT) | instid1(VALU_DEP_1)
	v_add3_u32 v6, v5, v6, 0x80fffff
	v_lshrrev_b32_e32 v6, 21, v6
; %bb.1725:
	s_and_not1_saveexec_b32 s6, s6
; %bb.1726:
	v_add_f32_e64 v6, 0x43000000, |v5|
; %bb.1727:
	s_or_b32 exec_lo, exec_lo, s6
                                        ; implicit-def: $vgpr10
.LBB473_1728:
	s_and_not1_saveexec_b32 s3, s3
; %bb.1729:
	v_mov_b32_e32 v6, 0x7f
	v_cmp_lt_u32_e32 vcc_lo, 0x7f800000, v10
	s_delay_alu instid0(VALU_DEP_2)
	v_cndmask_b32_e32 v6, 0x7c, v6, vcc_lo
; %bb.1730:
	s_or_b32 exec_lo, exec_lo, s3
	v_lshrrev_b32_e32 v10, 24, v5
	s_delay_alu instid0(VALU_DEP_1)
	v_and_or_b32 v6, 0x80, v10, v6
	global_store_b8 v[3:4], v6, off
.LBB473_1731:
	s_mov_b32 s3, 0
	s_mov_b32 s6, -1
.LBB473_1732:
	s_and_not1_b32 vcc_lo, exec_lo, s3
	s_mov_b32 s3, 0
	s_cbranch_vccnz .LBB473_1739
; %bb.1733:
	v_cmp_gt_i16_e64 s3, s2, 14
	s_delay_alu instid0(VALU_DEP_1)
	s_and_b32 vcc_lo, exec_lo, s3
	s_mov_b32 s3, -1
	s_cbranch_vccz .LBB473_1737
; %bb.1734:
	v_cmp_eq_u16_e64 s0, s2, 15
	s_delay_alu instid0(VALU_DEP_1)
	s_and_b32 vcc_lo, exec_lo, s0
	s_mov_b32 s0, -1
	s_cbranch_vccz .LBB473_1736
; %bb.1735:
	v_bfe_u32 v6, v5, 16, 1
	v_cmp_o_f32_e32 vcc_lo, v5, v5
	s_mov_b32 s0, 0
	s_mov_b32 s6, -1
	s_delay_alu instid0(VALU_DEP_2) | instskip(NEXT) | instid1(VALU_DEP_1)
	v_add3_u32 v6, v5, v6, 0x7fff
	v_lshrrev_b32_e32 v6, 16, v6
	s_delay_alu instid0(VALU_DEP_1)
	v_cndmask_b32_e32 v6, 0x7fc0, v6, vcc_lo
	global_store_b16 v[3:4], v6, off
.LBB473_1736:
	s_mov_b32 s3, 0
.LBB473_1737:
	s_delay_alu instid0(SALU_CYCLE_1)
	s_and_b32 vcc_lo, exec_lo, s3
	s_mov_b32 s3, 0
	s_cbranch_vccz .LBB473_1739
; %bb.1738:
	v_cmp_ne_u16_e64 s0, s2, 11
	s_mov_b32 s3, -1
.LBB473_1739:
	s_delay_alu instid0(VALU_DEP_1)
	s_and_b32 vcc_lo, exec_lo, s0
	s_cbranch_vccnz .LBB473_1796
; %bb.1740:
	s_and_not1_b32 vcc_lo, exec_lo, s3
	s_cbranch_vccnz .LBB473_1742
.LBB473_1741:
	v_cmp_neq_f32_e32 vcc_lo, 0, v5
	s_mov_b32 s6, -1
	v_cndmask_b32_e64 v6, 0, 1, vcc_lo
	global_store_b8 v[3:4], v6, off
.LBB473_1742:
	s_mov_b32 s0, 0
.LBB473_1743:
	s_delay_alu instid0(SALU_CYCLE_1)
	s_and_b32 vcc_lo, exec_lo, s0
	s_cbranch_vccz .LBB473_1782
; %bb.1744:
	v_cmp_lt_i16_e64 s0, s2, 5
	s_delay_alu instid0(VALU_DEP_1)
	s_and_b32 vcc_lo, exec_lo, s0
	s_mov_b32 s0, -1
	s_cbranch_vccnz .LBB473_1765
; %bb.1745:
	v_cmp_lt_i16_e64 s0, s2, 8
	s_delay_alu instid0(VALU_DEP_1)
	s_and_b32 vcc_lo, exec_lo, s0
	s_mov_b32 s0, -1
	s_cbranch_vccnz .LBB473_1755
	;; [unrolled: 6-line block ×3, first 2 shown]
; %bb.1747:
	v_cmp_gt_i16_e64 s0, s2, 9
	s_delay_alu instid0(VALU_DEP_1)
	s_and_b32 vcc_lo, exec_lo, s0
	s_mov_b32 s0, -1
	s_cbranch_vccz .LBB473_1749
; %bb.1748:
	v_cvt_f64_f32_e32 v[12:13], v5
	v_mov_b32_e32 v14, 0
	s_mov_b32 s0, 0
	s_delay_alu instid0(VALU_DEP_1)
	v_mov_b32_e32 v15, v14
	global_store_b128 v[3:4], v[12:15], off
.LBB473_1749:
	s_and_not1_b32 vcc_lo, exec_lo, s0
	s_cbranch_vccnz .LBB473_1751
; %bb.1750:
	v_mov_b32_e32 v6, 0
	global_store_b64 v[3:4], v[5:6], off
.LBB473_1751:
	s_mov_b32 s0, 0
.LBB473_1752:
	s_delay_alu instid0(SALU_CYCLE_1)
	s_and_not1_b32 vcc_lo, exec_lo, s0
	s_cbranch_vccnz .LBB473_1754
; %bb.1753:
	v_cvt_f16_f32_e32 v6, v5
	s_delay_alu instid0(VALU_DEP_1)
	v_and_b32_e32 v6, 0xffff, v6
	global_store_b32 v[3:4], v6, off
.LBB473_1754:
	s_mov_b32 s0, 0
.LBB473_1755:
	s_delay_alu instid0(SALU_CYCLE_1)
	s_and_not1_b32 vcc_lo, exec_lo, s0
	s_cbranch_vccnz .LBB473_1764
; %bb.1756:
	v_cmp_lt_i16_e64 s0, s2, 6
	s_delay_alu instid0(VALU_DEP_1)
	s_and_b32 vcc_lo, exec_lo, s0
	s_mov_b32 s0, -1
	s_cbranch_vccnz .LBB473_1762
; %bb.1757:
	v_cmp_gt_i16_e64 s0, s2, 6
	s_delay_alu instid0(VALU_DEP_1)
	s_and_b32 vcc_lo, exec_lo, s0
	s_mov_b32 s0, -1
	s_cbranch_vccz .LBB473_1759
; %bb.1758:
	v_cvt_f64_f32_e32 v[12:13], v5
	s_mov_b32 s0, 0
	global_store_b64 v[3:4], v[12:13], off
.LBB473_1759:
	s_and_not1_b32 vcc_lo, exec_lo, s0
	s_cbranch_vccnz .LBB473_1761
; %bb.1760:
	global_store_b32 v[3:4], v5, off
.LBB473_1761:
	s_mov_b32 s0, 0
.LBB473_1762:
	s_delay_alu instid0(SALU_CYCLE_1)
	s_and_not1_b32 vcc_lo, exec_lo, s0
	s_cbranch_vccnz .LBB473_1764
; %bb.1763:
	v_cvt_f16_f32_e32 v6, v5
	global_store_b16 v[3:4], v6, off
.LBB473_1764:
	s_mov_b32 s0, 0
.LBB473_1765:
	s_delay_alu instid0(SALU_CYCLE_1)
	s_and_not1_b32 vcc_lo, exec_lo, s0
	s_cbranch_vccnz .LBB473_1781
; %bb.1766:
	v_cmp_lt_i16_e64 s0, s2, 2
	s_delay_alu instid0(VALU_DEP_1)
	s_and_b32 vcc_lo, exec_lo, s0
	s_mov_b32 s0, -1
	s_cbranch_vccnz .LBB473_1776
; %bb.1767:
	v_cmp_lt_i16_e64 s0, s2, 3
	s_delay_alu instid0(VALU_DEP_1)
	s_and_b32 vcc_lo, exec_lo, s0
	s_mov_b32 s0, -1
	s_cbranch_vccnz .LBB473_1773
; %bb.1768:
	v_cmp_gt_i16_e64 s0, s2, 3
	s_delay_alu instid0(VALU_DEP_1)
	s_and_b32 vcc_lo, exec_lo, s0
	s_mov_b32 s0, -1
	s_cbranch_vccz .LBB473_1770
; %bb.1769:
	v_trunc_f32_e32 v6, v5
	s_mov_b32 s0, 0
	s_delay_alu instid0(VALU_DEP_1) | instskip(NEXT) | instid1(VALU_DEP_1)
	v_mul_f32_e64 v10, 0x2f800000, |v6|
	v_floor_f32_e32 v10, v10
	s_delay_alu instid0(VALU_DEP_1) | instskip(SKIP_2) | instid1(VALU_DEP_3)
	v_fma_f32 v12, 0xcf800000, v10, |v6|
	v_ashrrev_i32_e32 v6, 31, v6
	v_cvt_u32_f32_e32 v10, v10
	v_cvt_u32_f32_e32 v12, v12
	s_delay_alu instid0(VALU_DEP_2) | instskip(NEXT) | instid1(VALU_DEP_2)
	v_xor_b32_e32 v10, v10, v6
	v_xor_b32_e32 v12, v12, v6
	s_delay_alu instid0(VALU_DEP_1) | instskip(NEXT) | instid1(VALU_DEP_3)
	v_sub_co_u32 v12, vcc_lo, v12, v6
	v_sub_co_ci_u32_e32 v13, vcc_lo, v10, v6, vcc_lo
	global_store_b64 v[3:4], v[12:13], off
.LBB473_1770:
	s_and_not1_b32 vcc_lo, exec_lo, s0
	s_cbranch_vccnz .LBB473_1772
; %bb.1771:
	v_cvt_i32_f32_e32 v6, v5
	global_store_b32 v[3:4], v6, off
.LBB473_1772:
	s_mov_b32 s0, 0
.LBB473_1773:
	s_delay_alu instid0(SALU_CYCLE_1)
	s_and_not1_b32 vcc_lo, exec_lo, s0
	s_cbranch_vccnz .LBB473_1775
; %bb.1774:
	v_cvt_i32_f32_e32 v6, v5
	global_store_b16 v[3:4], v6, off
.LBB473_1775:
	s_mov_b32 s0, 0
.LBB473_1776:
	s_delay_alu instid0(SALU_CYCLE_1)
	s_and_not1_b32 vcc_lo, exec_lo, s0
	s_cbranch_vccnz .LBB473_1781
; %bb.1777:
	v_cmp_gt_i16_e64 s0, s2, 0
	s_delay_alu instid0(VALU_DEP_1)
	s_and_b32 vcc_lo, exec_lo, s0
	s_mov_b32 s0, -1
	s_cbranch_vccz .LBB473_1779
; %bb.1778:
	v_cvt_i32_f32_e32 v6, v5
	s_mov_b32 s0, 0
	global_store_b8 v[3:4], v6, off
.LBB473_1779:
	s_and_not1_b32 vcc_lo, exec_lo, s0
	s_cbranch_vccnz .LBB473_1781
; %bb.1780:
	v_trunc_f32_e32 v5, v5
	s_delay_alu instid0(VALU_DEP_1) | instskip(NEXT) | instid1(VALU_DEP_1)
	v_mul_f32_e64 v6, 0x2f800000, |v5|
	v_floor_f32_e32 v6, v6
	s_delay_alu instid0(VALU_DEP_1) | instskip(SKIP_1) | instid1(VALU_DEP_2)
	v_fma_f32 v6, 0xcf800000, v6, |v5|
	v_ashrrev_i32_e32 v5, 31, v5
	v_cvt_u32_f32_e32 v6, v6
	s_delay_alu instid0(VALU_DEP_1) | instskip(NEXT) | instid1(VALU_DEP_1)
	v_xor_b32_e32 v6, v6, v5
	v_sub_nc_u32_e32 v5, v6, v5
	global_store_b8 v[3:4], v5, off
.LBB473_1781:
	s_mov_b32 s6, -1
.LBB473_1782:
	s_delay_alu instid0(SALU_CYCLE_1)
	s_and_not1_b32 vcc_lo, exec_lo, s6
	s_cbranch_vccnz .LBB473_2049
; %bb.1783:
	s_waitcnt vmcnt(0)
	v_max_f32_e32 v3, v8, v8
	v_cmp_u_f32_e32 vcc_lo, v8, v8
	v_cmp_lt_i16_e64 s0, s2, 11
	v_add_co_u32 v2, s3, s4, v2
	s_delay_alu instid0(VALU_DEP_4) | instskip(SKIP_2) | instid1(VALU_DEP_2)
	v_min_f32_e32 v4, v3, v9
	v_add_co_ci_u32_e64 v3, null, s5, 0, s3
	s_mov_b32 s6, 0
	v_cndmask_b32_e32 v4, v4, v8, vcc_lo
	s_and_b32 vcc_lo, exec_lo, s0
	s_mov_b32 s0, -1
	s_cbranch_vccnz .LBB473_1872
; %bb.1784:
	v_cmp_gt_i16_e64 s0, s2, 25
	s_mov_b32 s7, -1
	s_mov_b32 s3, 0
	s_delay_alu instid0(VALU_DEP_1)
	s_and_b32 vcc_lo, exec_lo, s0
	s_mov_b32 s0, 0
	s_cbranch_vccz .LBB473_1828
; %bb.1785:
	v_cmp_gt_i16_e64 s0, s2, 28
	s_delay_alu instid0(VALU_DEP_1)
	s_and_b32 vcc_lo, exec_lo, s0
	s_cbranch_vccz .LBB473_1790
; %bb.1786:
	v_cmp_gt_i16_e64 s0, s2, 43
	s_delay_alu instid0(VALU_DEP_1)
	s_and_b32 vcc_lo, exec_lo, s0
	;; [unrolled: 5-line block ×3, first 2 shown]
	s_cbranch_vccz .LBB473_1800
; %bb.1788:
	v_cmp_eq_u16_e64 s6, s2, 46
	s_mov_b32 s0, -1
	s_mov_b32 s7, 0
	s_delay_alu instid0(VALU_DEP_1)
	s_and_b32 vcc_lo, exec_lo, s6
	s_mov_b32 s6, 0
	s_cbranch_vccz .LBB473_1801
; %bb.1789:
	v_bfe_u32 v5, v4, 16, 1
	v_cmp_o_f32_e32 vcc_lo, v4, v4
	s_mov_b32 s0, 0
	s_mov_b32 s6, -1
	s_delay_alu instid0(VALU_DEP_2) | instskip(NEXT) | instid1(VALU_DEP_1)
	v_add3_u32 v5, v4, v5, 0x7fff
	v_lshrrev_b32_e32 v5, 16, v5
	s_delay_alu instid0(VALU_DEP_1)
	v_cndmask_b32_e32 v5, 0x7fc0, v5, vcc_lo
	global_store_b32 v[2:3], v5, off
	s_branch .LBB473_1801
.LBB473_1790:
	s_mov_b32 s0, 0
	s_branch .LBB473_1811
.LBB473_1791:
	s_or_saveexec_b32 s10, s10
                                        ; implicit-def: $sgpr11
	s_delay_alu instid0(SALU_CYCLE_1)
	s_xor_b32 exec_lo, exec_lo, s10
	s_cbranch_execz .LBB473_1693
.LBB473_1792:
	v_add_f32_e64 v6, 0x46000000, |v5|
	s_and_not1_b32 s7, s7, exec_lo
	s_mov_b32 s11, 0
	s_delay_alu instid0(VALU_DEP_1) | instskip(NEXT) | instid1(VALU_DEP_1)
	v_and_b32_e32 v6, 0xff, v6
	v_cmp_ne_u32_e32 vcc_lo, 0, v6
	s_and_b32 s12, vcc_lo, exec_lo
	s_delay_alu instid0(SALU_CYCLE_1)
	s_or_b32 s7, s7, s12
	s_or_b32 exec_lo, exec_lo, s10
	v_mov_b32_e32 v10, s11
	s_and_saveexec_b32 s10, s7
	s_cbranch_execnz .LBB473_1694
	s_branch .LBB473_1695
.LBB473_1793:
	s_mov_b32 s0, 0
	s_branch .LBB473_1807
.LBB473_1794:
	s_trap 2
	s_sendmsg_rtn_b32 s0, sendmsg(MSG_RTN_GET_DOORBELL)
	s_mov_b32 ttmp2, m0
	s_waitcnt lgkmcnt(0)
	s_and_b32 s0, s0, 0x3ff
	s_delay_alu instid0(SALU_CYCLE_1) | instskip(NEXT) | instid1(SALU_CYCLE_1)
	s_bitset1_b32 s0, 10
	s_mov_b32 m0, s0
	s_sendmsg sendmsg(MSG_INTERRUPT)
	s_mov_b32 m0, ttmp2
.LBB473_1795:                           ; =>This Inner Loop Header: Depth=1
	s_sethalt 5
	s_branch .LBB473_1795
.LBB473_1796:
	s_cbranch_execnz .LBB473_1923
; %bb.1797:
	s_or_b32 s1, s1, exec_lo
	s_cbranch_execz .LBB473_1741
	s_branch .LBB473_1742
.LBB473_1798:
	s_or_saveexec_b32 s7, s7
                                        ; implicit-def: $sgpr10
	s_delay_alu instid0(SALU_CYCLE_1)
	s_xor_b32 exec_lo, exec_lo, s7
	s_cbranch_execz .LBB473_1706
.LBB473_1799:
	v_add_f32_e64 v6, 0x42800000, |v5|
	s_and_not1_b32 s6, s6, exec_lo
	s_mov_b32 s10, 0
	s_delay_alu instid0(VALU_DEP_1) | instskip(NEXT) | instid1(VALU_DEP_1)
	v_and_b32_e32 v6, 0xff, v6
	v_cmp_ne_u32_e32 vcc_lo, 0, v6
	s_and_b32 s11, vcc_lo, exec_lo
	s_delay_alu instid0(SALU_CYCLE_1)
	s_or_b32 s6, s6, s11
	s_or_b32 exec_lo, exec_lo, s7
	v_mov_b32_e32 v10, s10
	s_and_saveexec_b32 s7, s6
	s_cbranch_execnz .LBB473_1707
	s_branch .LBB473_1708
.LBB473_1800:
	s_mov_b32 s0, 0
.LBB473_1801:
	s_and_b32 vcc_lo, exec_lo, s7
	s_cbranch_vccz .LBB473_1806
; %bb.1802:
	v_cmp_eq_u16_e64 s0, s2, 44
	s_delay_alu instid0(VALU_DEP_1)
	s_and_b32 vcc_lo, exec_lo, s0
	s_mov_b32 s0, -1
	s_cbranch_vccz .LBB473_1806
; %bb.1803:
	v_bfe_u32 v6, v4, 23, 8
	v_mov_b32_e32 v5, 0xff
	s_mov_b32 s6, exec_lo
	s_delay_alu instid0(VALU_DEP_2)
	v_cmpx_ne_u32_e32 0xff, v6
; %bb.1804:
	v_and_b32_e32 v5, 0x400000, v4
	v_and_or_b32 v6, 0x3fffff, v4, v6
	s_delay_alu instid0(VALU_DEP_2) | instskip(NEXT) | instid1(VALU_DEP_2)
	v_cmp_ne_u32_e32 vcc_lo, 0, v5
	v_cmp_ne_u32_e64 s0, 0, v6
	v_lshrrev_b32_e32 v5, 23, v4
	s_delay_alu instid0(VALU_DEP_2) | instskip(NEXT) | instid1(SALU_CYCLE_1)
	s_and_b32 s0, vcc_lo, s0
	v_cndmask_b32_e64 v6, 0, 1, s0
	s_delay_alu instid0(VALU_DEP_1)
	v_add_nc_u32_e32 v5, v5, v6
; %bb.1805:
	s_or_b32 exec_lo, exec_lo, s6
	s_mov_b32 s0, 0
	s_mov_b32 s6, -1
	global_store_b8 v[2:3], v5, off
.LBB473_1806:
	s_mov_b32 s7, 0
.LBB473_1807:
	s_delay_alu instid0(SALU_CYCLE_1)
	s_and_b32 vcc_lo, exec_lo, s7
	s_cbranch_vccz .LBB473_1810
; %bb.1808:
	v_cmp_eq_u16_e64 s0, s2, 29
	s_delay_alu instid0(VALU_DEP_1)
	s_and_b32 vcc_lo, exec_lo, s0
	s_mov_b32 s0, -1
	s_cbranch_vccz .LBB473_1810
; %bb.1809:
	v_trunc_f32_e32 v5, v4
	s_mov_b32 s0, 0
	s_mov_b32 s6, -1
	s_mov_b32 s7, 0
	s_delay_alu instid0(VALU_DEP_1) | instskip(NEXT) | instid1(VALU_DEP_1)
	v_mul_f32_e32 v6, 0x2f800000, v5
	v_floor_f32_e32 v6, v6
	s_delay_alu instid0(VALU_DEP_1) | instskip(SKIP_1) | instid1(VALU_DEP_2)
	v_fmamk_f32 v5, v6, 0xcf800000, v5
	v_cvt_u32_f32_e32 v6, v6
	v_cvt_u32_f32_e32 v5, v5
	global_store_b64 v[2:3], v[5:6], off
	s_branch .LBB473_1811
.LBB473_1810:
	s_mov_b32 s7, 0
.LBB473_1811:
	s_delay_alu instid0(SALU_CYCLE_1)
	s_and_b32 vcc_lo, exec_lo, s7
	s_cbranch_vccz .LBB473_1827
; %bb.1812:
	v_cmp_lt_i16_e64 s6, s2, 27
	s_delay_alu instid0(VALU_DEP_1)
	s_and_b32 vcc_lo, exec_lo, s6
	s_mov_b32 s6, -1
	s_cbranch_vccnz .LBB473_1818
; %bb.1813:
	v_cmp_gt_i16_e64 s6, s2, 27
	v_cvt_u32_f32_e32 v5, v4
	s_delay_alu instid0(VALU_DEP_2)
	s_and_b32 vcc_lo, exec_lo, s6
	s_mov_b32 s6, -1
	s_cbranch_vccz .LBB473_1815
; %bb.1814:
	s_mov_b32 s6, 0
	global_store_b32 v[2:3], v5, off
.LBB473_1815:
	s_and_not1_b32 vcc_lo, exec_lo, s6
	s_cbranch_vccnz .LBB473_1817
; %bb.1816:
	global_store_b16 v[2:3], v5, off
.LBB473_1817:
	s_mov_b32 s6, 0
.LBB473_1818:
	s_delay_alu instid0(SALU_CYCLE_1)
	s_and_not1_b32 vcc_lo, exec_lo, s6
	s_cbranch_vccnz .LBB473_1826
; %bb.1819:
	v_and_b32_e32 v5, 0x7fffffff, v4
	v_mov_b32_e32 v6, 0x80
	s_mov_b32 s6, exec_lo
	s_delay_alu instid0(VALU_DEP_2)
	v_cmpx_gt_u32_e32 0x43800000, v5
	s_cbranch_execz .LBB473_1825
; %bb.1820:
	v_cmp_lt_u32_e32 vcc_lo, 0x3bffffff, v5
	s_mov_b32 s7, 0
                                        ; implicit-def: $vgpr5
	s_and_saveexec_b32 s10, vcc_lo
	s_delay_alu instid0(SALU_CYCLE_1)
	s_xor_b32 s10, exec_lo, s10
	s_cbranch_execz .LBB473_1920
; %bb.1821:
	v_bfe_u32 v5, v4, 20, 1
	s_mov_b32 s7, exec_lo
	s_delay_alu instid0(VALU_DEP_1) | instskip(NEXT) | instid1(VALU_DEP_1)
	v_add3_u32 v5, v4, v5, 0x487ffff
	v_lshrrev_b32_e32 v5, 20, v5
	s_or_saveexec_b32 s10, s10
                                        ; implicit-def: $sgpr11
	s_delay_alu instid0(SALU_CYCLE_1)
	s_xor_b32 exec_lo, exec_lo, s10
	s_cbranch_execnz .LBB473_1921
.LBB473_1822:
	s_or_b32 exec_lo, exec_lo, s10
	v_mov_b32_e32 v6, s11
	s_and_saveexec_b32 s10, s7
.LBB473_1823:
	v_lshrrev_b32_e32 v6, 24, v4
	s_delay_alu instid0(VALU_DEP_1)
	v_and_or_b32 v6, 0x80, v6, v5
.LBB473_1824:
	s_or_b32 exec_lo, exec_lo, s10
.LBB473_1825:
	s_delay_alu instid0(SALU_CYCLE_1)
	s_or_b32 exec_lo, exec_lo, s6
	global_store_b8 v[2:3], v6, off
.LBB473_1826:
	s_mov_b32 s6, -1
.LBB473_1827:
	s_mov_b32 s7, 0
.LBB473_1828:
	s_delay_alu instid0(SALU_CYCLE_1)
	s_and_b32 vcc_lo, exec_lo, s7
	s_cbranch_vccz .LBB473_1868
; %bb.1829:
	v_cmp_gt_i16_e64 s3, s2, 22
	s_delay_alu instid0(VALU_DEP_1)
	s_and_b32 vcc_lo, exec_lo, s3
	s_mov_b32 s3, -1
	s_cbranch_vccz .LBB473_1861
; %bb.1830:
	v_cmp_lt_i16_e64 s3, s2, 24
	s_delay_alu instid0(VALU_DEP_1)
	s_and_b32 vcc_lo, exec_lo, s3
	s_mov_b32 s3, -1
	s_cbranch_vccnz .LBB473_1850
; %bb.1831:
	v_cmp_gt_i16_e64 s3, s2, 24
	s_delay_alu instid0(VALU_DEP_1)
	s_and_b32 vcc_lo, exec_lo, s3
	s_mov_b32 s3, -1
	s_cbranch_vccz .LBB473_1839
; %bb.1832:
	v_and_b32_e32 v5, 0x7fffffff, v4
	v_mov_b32_e32 v6, 0x80
	s_mov_b32 s3, exec_lo
	s_delay_alu instid0(VALU_DEP_2)
	v_cmpx_gt_u32_e32 0x47800000, v5
	s_cbranch_execz .LBB473_1838
; %bb.1833:
	v_cmp_lt_u32_e32 vcc_lo, 0x37ffffff, v5
	s_mov_b32 s6, 0
                                        ; implicit-def: $vgpr5
	s_and_saveexec_b32 s7, vcc_lo
	s_delay_alu instid0(SALU_CYCLE_1)
	s_xor_b32 s7, exec_lo, s7
	s_cbranch_execz .LBB473_1927
; %bb.1834:
	v_bfe_u32 v5, v4, 21, 1
	s_mov_b32 s6, exec_lo
	s_delay_alu instid0(VALU_DEP_1) | instskip(NEXT) | instid1(VALU_DEP_1)
	v_add3_u32 v5, v4, v5, 0x88fffff
	v_lshrrev_b32_e32 v5, 21, v5
	s_or_saveexec_b32 s7, s7
                                        ; implicit-def: $sgpr10
	s_delay_alu instid0(SALU_CYCLE_1)
	s_xor_b32 exec_lo, exec_lo, s7
	s_cbranch_execnz .LBB473_1928
.LBB473_1835:
	s_or_b32 exec_lo, exec_lo, s7
	v_mov_b32_e32 v6, s10
	s_and_saveexec_b32 s7, s6
.LBB473_1836:
	v_lshrrev_b32_e32 v6, 24, v4
	s_delay_alu instid0(VALU_DEP_1)
	v_and_or_b32 v6, 0x80, v6, v5
.LBB473_1837:
	s_or_b32 exec_lo, exec_lo, s7
.LBB473_1838:
	s_delay_alu instid0(SALU_CYCLE_1)
	s_or_b32 exec_lo, exec_lo, s3
	s_mov_b32 s3, 0
	global_store_b8 v[2:3], v6, off
.LBB473_1839:
	s_and_b32 vcc_lo, exec_lo, s3
	s_cbranch_vccz .LBB473_1849
; %bb.1840:
	v_and_b32_e32 v6, 0x7fffffff, v4
	s_mov_b32 s3, exec_lo
                                        ; implicit-def: $vgpr5
	s_delay_alu instid0(VALU_DEP_1)
	v_cmpx_gt_u32_e32 0x43f00000, v6
	s_xor_b32 s3, exec_lo, s3
	s_cbranch_execz .LBB473_1846
; %bb.1841:
	s_mov_b32 s6, exec_lo
                                        ; implicit-def: $vgpr5
	v_cmpx_lt_u32_e32 0x3c7fffff, v6
	s_xor_b32 s6, exec_lo, s6
; %bb.1842:
	v_bfe_u32 v5, v4, 20, 1
	s_delay_alu instid0(VALU_DEP_1) | instskip(NEXT) | instid1(VALU_DEP_1)
	v_add3_u32 v5, v4, v5, 0x407ffff
	v_and_b32_e32 v6, 0xff00000, v5
	v_lshrrev_b32_e32 v5, 20, v5
	s_delay_alu instid0(VALU_DEP_2) | instskip(NEXT) | instid1(VALU_DEP_2)
	v_cmp_ne_u32_e32 vcc_lo, 0x7f00000, v6
	v_cndmask_b32_e32 v5, 0x7e, v5, vcc_lo
; %bb.1843:
	s_and_not1_saveexec_b32 s6, s6
; %bb.1844:
	v_add_f32_e64 v5, 0x46800000, |v4|
; %bb.1845:
	s_or_b32 exec_lo, exec_lo, s6
                                        ; implicit-def: $vgpr6
.LBB473_1846:
	s_and_not1_saveexec_b32 s3, s3
; %bb.1847:
	v_mov_b32_e32 v5, 0x7f
	v_cmp_lt_u32_e32 vcc_lo, 0x7f800000, v6
	s_delay_alu instid0(VALU_DEP_2)
	v_cndmask_b32_e32 v5, 0x7e, v5, vcc_lo
; %bb.1848:
	s_or_b32 exec_lo, exec_lo, s3
	v_lshrrev_b32_e32 v6, 24, v4
	s_delay_alu instid0(VALU_DEP_1)
	v_and_or_b32 v5, 0x80, v6, v5
	global_store_b8 v[2:3], v5, off
.LBB473_1849:
	s_mov_b32 s3, 0
.LBB473_1850:
	s_delay_alu instid0(SALU_CYCLE_1)
	s_and_not1_b32 vcc_lo, exec_lo, s3
	s_cbranch_vccnz .LBB473_1860
; %bb.1851:
	v_and_b32_e32 v6, 0x7fffffff, v4
	s_mov_b32 s3, exec_lo
                                        ; implicit-def: $vgpr5
	s_delay_alu instid0(VALU_DEP_1)
	v_cmpx_gt_u32_e32 0x47800000, v6
	s_xor_b32 s3, exec_lo, s3
	s_cbranch_execz .LBB473_1857
; %bb.1852:
	s_mov_b32 s6, exec_lo
                                        ; implicit-def: $vgpr5
	v_cmpx_lt_u32_e32 0x387fffff, v6
	s_xor_b32 s6, exec_lo, s6
; %bb.1853:
	v_bfe_u32 v5, v4, 21, 1
	s_delay_alu instid0(VALU_DEP_1) | instskip(NEXT) | instid1(VALU_DEP_1)
	v_add3_u32 v5, v4, v5, 0x80fffff
	v_lshrrev_b32_e32 v5, 21, v5
; %bb.1854:
	s_and_not1_saveexec_b32 s6, s6
; %bb.1855:
	v_add_f32_e64 v5, 0x43000000, |v4|
; %bb.1856:
	s_or_b32 exec_lo, exec_lo, s6
                                        ; implicit-def: $vgpr6
.LBB473_1857:
	s_and_not1_saveexec_b32 s3, s3
; %bb.1858:
	v_mov_b32_e32 v5, 0x7f
	v_cmp_lt_u32_e32 vcc_lo, 0x7f800000, v6
	s_delay_alu instid0(VALU_DEP_2)
	v_cndmask_b32_e32 v5, 0x7c, v5, vcc_lo
; %bb.1859:
	s_or_b32 exec_lo, exec_lo, s3
	v_lshrrev_b32_e32 v6, 24, v4
	s_delay_alu instid0(VALU_DEP_1)
	v_and_or_b32 v5, 0x80, v6, v5
	global_store_b8 v[2:3], v5, off
.LBB473_1860:
	s_mov_b32 s3, 0
	s_mov_b32 s6, -1
.LBB473_1861:
	s_and_not1_b32 vcc_lo, exec_lo, s3
	s_mov_b32 s3, 0
	s_cbranch_vccnz .LBB473_1868
; %bb.1862:
	v_cmp_gt_i16_e64 s3, s2, 14
	s_delay_alu instid0(VALU_DEP_1)
	s_and_b32 vcc_lo, exec_lo, s3
	s_mov_b32 s3, -1
	s_cbranch_vccz .LBB473_1866
; %bb.1863:
	v_cmp_eq_u16_e64 s0, s2, 15
	s_delay_alu instid0(VALU_DEP_1)
	s_and_b32 vcc_lo, exec_lo, s0
	s_mov_b32 s0, -1
	s_cbranch_vccz .LBB473_1865
; %bb.1864:
	v_bfe_u32 v5, v4, 16, 1
	v_cmp_o_f32_e32 vcc_lo, v4, v4
	s_mov_b32 s0, 0
	s_mov_b32 s6, -1
	s_delay_alu instid0(VALU_DEP_2) | instskip(NEXT) | instid1(VALU_DEP_1)
	v_add3_u32 v5, v4, v5, 0x7fff
	v_lshrrev_b32_e32 v5, 16, v5
	s_delay_alu instid0(VALU_DEP_1)
	v_cndmask_b32_e32 v5, 0x7fc0, v5, vcc_lo
	global_store_b16 v[2:3], v5, off
.LBB473_1865:
	s_mov_b32 s3, 0
.LBB473_1866:
	s_delay_alu instid0(SALU_CYCLE_1)
	s_and_b32 vcc_lo, exec_lo, s3
	s_mov_b32 s3, 0
	s_cbranch_vccz .LBB473_1868
; %bb.1867:
	v_cmp_ne_u16_e64 s0, s2, 11
	s_mov_b32 s3, -1
.LBB473_1868:
	s_delay_alu instid0(VALU_DEP_1)
	s_and_b32 vcc_lo, exec_lo, s0
	s_cbranch_vccnz .LBB473_1925
; %bb.1869:
	s_and_not1_b32 vcc_lo, exec_lo, s3
	s_cbranch_vccnz .LBB473_1871
.LBB473_1870:
	v_cmp_neq_f32_e32 vcc_lo, 0, v4
	s_mov_b32 s6, -1
	v_cndmask_b32_e64 v5, 0, 1, vcc_lo
	global_store_b8 v[2:3], v5, off
.LBB473_1871:
	s_mov_b32 s0, 0
.LBB473_1872:
	s_delay_alu instid0(SALU_CYCLE_1)
	s_and_b32 vcc_lo, exec_lo, s0
	s_cbranch_vccz .LBB473_1911
; %bb.1873:
	v_cmp_lt_i16_e64 s0, s2, 5
	s_delay_alu instid0(VALU_DEP_1)
	s_and_b32 vcc_lo, exec_lo, s0
	s_mov_b32 s0, -1
	s_cbranch_vccnz .LBB473_1894
; %bb.1874:
	v_cmp_lt_i16_e64 s0, s2, 8
	s_delay_alu instid0(VALU_DEP_1)
	s_and_b32 vcc_lo, exec_lo, s0
	s_mov_b32 s0, -1
	s_cbranch_vccnz .LBB473_1884
	;; [unrolled: 6-line block ×3, first 2 shown]
; %bb.1876:
	v_cmp_gt_i16_e64 s0, s2, 9
	s_delay_alu instid0(VALU_DEP_1)
	s_and_b32 vcc_lo, exec_lo, s0
	s_mov_b32 s0, -1
	s_cbranch_vccz .LBB473_1878
; %bb.1877:
	v_cvt_f64_f32_e32 v[12:13], v4
	v_mov_b32_e32 v14, 0
	s_mov_b32 s0, 0
	s_delay_alu instid0(VALU_DEP_1)
	v_mov_b32_e32 v15, v14
	global_store_b128 v[2:3], v[12:15], off
.LBB473_1878:
	s_and_not1_b32 vcc_lo, exec_lo, s0
	s_cbranch_vccnz .LBB473_1880
; %bb.1879:
	v_mov_b32_e32 v5, 0
	global_store_b64 v[2:3], v[4:5], off
.LBB473_1880:
	s_mov_b32 s0, 0
.LBB473_1881:
	s_delay_alu instid0(SALU_CYCLE_1)
	s_and_not1_b32 vcc_lo, exec_lo, s0
	s_cbranch_vccnz .LBB473_1883
; %bb.1882:
	v_cvt_f16_f32_e32 v5, v4
	s_delay_alu instid0(VALU_DEP_1)
	v_and_b32_e32 v5, 0xffff, v5
	global_store_b32 v[2:3], v5, off
.LBB473_1883:
	s_mov_b32 s0, 0
.LBB473_1884:
	s_delay_alu instid0(SALU_CYCLE_1)
	s_and_not1_b32 vcc_lo, exec_lo, s0
	s_cbranch_vccnz .LBB473_1893
; %bb.1885:
	v_cmp_lt_i16_e64 s0, s2, 6
	s_delay_alu instid0(VALU_DEP_1)
	s_and_b32 vcc_lo, exec_lo, s0
	s_mov_b32 s0, -1
	s_cbranch_vccnz .LBB473_1891
; %bb.1886:
	v_cmp_gt_i16_e64 s0, s2, 6
	s_delay_alu instid0(VALU_DEP_1)
	s_and_b32 vcc_lo, exec_lo, s0
	s_mov_b32 s0, -1
	s_cbranch_vccz .LBB473_1888
; %bb.1887:
	v_cvt_f64_f32_e32 v[5:6], v4
	s_mov_b32 s0, 0
	global_store_b64 v[2:3], v[5:6], off
.LBB473_1888:
	s_and_not1_b32 vcc_lo, exec_lo, s0
	s_cbranch_vccnz .LBB473_1890
; %bb.1889:
	global_store_b32 v[2:3], v4, off
.LBB473_1890:
	s_mov_b32 s0, 0
.LBB473_1891:
	s_delay_alu instid0(SALU_CYCLE_1)
	s_and_not1_b32 vcc_lo, exec_lo, s0
	s_cbranch_vccnz .LBB473_1893
; %bb.1892:
	v_cvt_f16_f32_e32 v5, v4
	global_store_b16 v[2:3], v5, off
.LBB473_1893:
	s_mov_b32 s0, 0
.LBB473_1894:
	s_delay_alu instid0(SALU_CYCLE_1)
	s_and_not1_b32 vcc_lo, exec_lo, s0
	s_cbranch_vccnz .LBB473_1910
; %bb.1895:
	v_cmp_lt_i16_e64 s0, s2, 2
	s_delay_alu instid0(VALU_DEP_1)
	s_and_b32 vcc_lo, exec_lo, s0
	s_mov_b32 s0, -1
	s_cbranch_vccnz .LBB473_1905
; %bb.1896:
	v_cmp_lt_i16_e64 s0, s2, 3
	s_delay_alu instid0(VALU_DEP_1)
	s_and_b32 vcc_lo, exec_lo, s0
	s_mov_b32 s0, -1
	s_cbranch_vccnz .LBB473_1902
; %bb.1897:
	v_cmp_gt_i16_e64 s0, s2, 3
	s_delay_alu instid0(VALU_DEP_1)
	s_and_b32 vcc_lo, exec_lo, s0
	s_mov_b32 s0, -1
	s_cbranch_vccz .LBB473_1899
; %bb.1898:
	v_trunc_f32_e32 v5, v4
	s_mov_b32 s0, 0
	s_delay_alu instid0(VALU_DEP_1) | instskip(SKIP_1) | instid1(VALU_DEP_2)
	v_mul_f32_e64 v6, 0x2f800000, |v5|
	v_ashrrev_i32_e32 v10, 31, v5
	v_floor_f32_e32 v6, v6
	s_delay_alu instid0(VALU_DEP_1) | instskip(SKIP_1) | instid1(VALU_DEP_2)
	v_fma_f32 v8, 0xcf800000, v6, |v5|
	v_cvt_u32_f32_e32 v6, v6
	v_cvt_u32_f32_e32 v5, v8
	s_delay_alu instid0(VALU_DEP_2) | instskip(NEXT) | instid1(VALU_DEP_2)
	v_xor_b32_e32 v6, v6, v10
	v_xor_b32_e32 v5, v5, v10
	s_delay_alu instid0(VALU_DEP_1) | instskip(NEXT) | instid1(VALU_DEP_3)
	v_sub_co_u32 v5, vcc_lo, v5, v10
	v_sub_co_ci_u32_e32 v6, vcc_lo, v6, v10, vcc_lo
	global_store_b64 v[2:3], v[5:6], off
.LBB473_1899:
	s_and_not1_b32 vcc_lo, exec_lo, s0
	s_cbranch_vccnz .LBB473_1901
; %bb.1900:
	v_cvt_i32_f32_e32 v5, v4
	global_store_b32 v[2:3], v5, off
.LBB473_1901:
	s_mov_b32 s0, 0
.LBB473_1902:
	s_delay_alu instid0(SALU_CYCLE_1)
	s_and_not1_b32 vcc_lo, exec_lo, s0
	s_cbranch_vccnz .LBB473_1904
; %bb.1903:
	v_cvt_i32_f32_e32 v5, v4
	global_store_b16 v[2:3], v5, off
.LBB473_1904:
	s_mov_b32 s0, 0
.LBB473_1905:
	s_delay_alu instid0(SALU_CYCLE_1)
	s_and_not1_b32 vcc_lo, exec_lo, s0
	s_cbranch_vccnz .LBB473_1910
; %bb.1906:
	v_cmp_gt_i16_e64 s0, s2, 0
	s_delay_alu instid0(VALU_DEP_1)
	s_and_b32 vcc_lo, exec_lo, s0
	s_mov_b32 s0, -1
	s_cbranch_vccz .LBB473_1908
; %bb.1907:
	v_cvt_i32_f32_e32 v5, v4
	s_mov_b32 s0, 0
	global_store_b8 v[2:3], v5, off
.LBB473_1908:
	s_and_not1_b32 vcc_lo, exec_lo, s0
	s_cbranch_vccnz .LBB473_1910
; %bb.1909:
	v_trunc_f32_e32 v4, v4
	s_delay_alu instid0(VALU_DEP_1) | instskip(NEXT) | instid1(VALU_DEP_1)
	v_mul_f32_e64 v5, 0x2f800000, |v4|
	v_floor_f32_e32 v5, v5
	s_delay_alu instid0(VALU_DEP_1) | instskip(SKIP_1) | instid1(VALU_DEP_2)
	v_fma_f32 v5, 0xcf800000, v5, |v4|
	v_ashrrev_i32_e32 v4, 31, v4
	v_cvt_u32_f32_e32 v5, v5
	s_delay_alu instid0(VALU_DEP_1) | instskip(NEXT) | instid1(VALU_DEP_1)
	v_xor_b32_e32 v5, v5, v4
	v_sub_nc_u32_e32 v4, v5, v4
	global_store_b8 v[2:3], v4, off
.LBB473_1910:
	s_mov_b32 s6, -1
.LBB473_1911:
	s_delay_alu instid0(SALU_CYCLE_1)
	s_and_not1_b32 vcc_lo, exec_lo, s6
	s_cbranch_vccnz .LBB473_2049
; %bb.1912:
	v_max_f32_e32 v2, v7, v7
	v_cmp_u_f32_e32 vcc_lo, v7, v7
	v_cmp_lt_i16_e64 s0, s2, 11
	v_add_co_u32 v1, s3, s4, v1
	s_delay_alu instid0(VALU_DEP_4) | instskip(SKIP_2) | instid1(VALU_DEP_2)
	v_min_f32_e32 v3, v2, v9
	v_add_co_ci_u32_e64 v2, null, s5, 0, s3
	s_mov_b32 s6, 0
	v_cndmask_b32_e32 v3, v3, v7, vcc_lo
	s_and_b32 vcc_lo, exec_lo, s0
	s_mov_b32 s0, -1
	s_cbranch_vccnz .LBB473_2001
; %bb.1913:
	v_cmp_gt_i16_e64 s0, s2, 25
	s_mov_b32 s7, -1
	s_mov_b32 s3, 0
	s_delay_alu instid0(VALU_DEP_1)
	s_and_b32 vcc_lo, exec_lo, s0
	s_mov_b32 s0, 0
	s_cbranch_vccz .LBB473_1957
; %bb.1914:
	v_cmp_gt_i16_e64 s0, s2, 28
	s_delay_alu instid0(VALU_DEP_1)
	s_and_b32 vcc_lo, exec_lo, s0
	s_cbranch_vccz .LBB473_1919
; %bb.1915:
	v_cmp_gt_i16_e64 s0, s2, 43
	s_delay_alu instid0(VALU_DEP_1)
	s_and_b32 vcc_lo, exec_lo, s0
	;; [unrolled: 5-line block ×3, first 2 shown]
	s_cbranch_vccz .LBB473_1929
; %bb.1917:
	v_cmp_eq_u16_e64 s6, s2, 46
	s_mov_b32 s0, -1
	s_mov_b32 s7, 0
	s_delay_alu instid0(VALU_DEP_1)
	s_and_b32 vcc_lo, exec_lo, s6
	s_mov_b32 s6, 0
	s_cbranch_vccz .LBB473_1930
; %bb.1918:
	v_bfe_u32 v4, v3, 16, 1
	v_cmp_o_f32_e32 vcc_lo, v3, v3
	s_mov_b32 s0, 0
	s_mov_b32 s6, -1
	s_delay_alu instid0(VALU_DEP_2) | instskip(NEXT) | instid1(VALU_DEP_1)
	v_add3_u32 v4, v3, v4, 0x7fff
	v_lshrrev_b32_e32 v4, 16, v4
	s_delay_alu instid0(VALU_DEP_1)
	v_cndmask_b32_e32 v4, 0x7fc0, v4, vcc_lo
	global_store_b32 v[1:2], v4, off
	s_branch .LBB473_1930
.LBB473_1919:
	s_mov_b32 s0, 0
	s_branch .LBB473_1940
.LBB473_1920:
	s_or_saveexec_b32 s10, s10
                                        ; implicit-def: $sgpr11
	s_delay_alu instid0(SALU_CYCLE_1)
	s_xor_b32 exec_lo, exec_lo, s10
	s_cbranch_execz .LBB473_1822
.LBB473_1921:
	v_add_f32_e64 v5, 0x46000000, |v4|
	s_and_not1_b32 s7, s7, exec_lo
	s_mov_b32 s11, 0
	s_delay_alu instid0(VALU_DEP_1) | instskip(NEXT) | instid1(VALU_DEP_1)
	v_and_b32_e32 v5, 0xff, v5
	v_cmp_ne_u32_e32 vcc_lo, 0, v5
	s_and_b32 s12, vcc_lo, exec_lo
	s_delay_alu instid0(SALU_CYCLE_1)
	s_or_b32 s7, s7, s12
	s_or_b32 exec_lo, exec_lo, s10
	v_mov_b32_e32 v6, s11
	s_and_saveexec_b32 s10, s7
	s_cbranch_execnz .LBB473_1823
	s_branch .LBB473_1824
.LBB473_1922:
	s_mov_b32 s0, 0
	s_branch .LBB473_1936
.LBB473_1923:
	s_trap 2
	s_sendmsg_rtn_b32 s0, sendmsg(MSG_RTN_GET_DOORBELL)
	s_mov_b32 ttmp2, m0
	s_waitcnt lgkmcnt(0)
	s_and_b32 s0, s0, 0x3ff
	s_delay_alu instid0(SALU_CYCLE_1) | instskip(NEXT) | instid1(SALU_CYCLE_1)
	s_bitset1_b32 s0, 10
	s_mov_b32 m0, s0
	s_sendmsg sendmsg(MSG_INTERRUPT)
	s_mov_b32 m0, ttmp2
.LBB473_1924:                           ; =>This Inner Loop Header: Depth=1
	s_sethalt 5
	s_branch .LBB473_1924
.LBB473_1925:
	s_cbranch_execnz .LBB473_2098
; %bb.1926:
	s_or_b32 s1, s1, exec_lo
	s_cbranch_execz .LBB473_1870
	s_branch .LBB473_1871
.LBB473_1927:
	s_or_saveexec_b32 s7, s7
                                        ; implicit-def: $sgpr10
	s_delay_alu instid0(SALU_CYCLE_1)
	s_xor_b32 exec_lo, exec_lo, s7
	s_cbranch_execz .LBB473_1835
.LBB473_1928:
	v_add_f32_e64 v5, 0x42800000, |v4|
	s_and_not1_b32 s6, s6, exec_lo
	s_mov_b32 s10, 0
	s_delay_alu instid0(VALU_DEP_1) | instskip(NEXT) | instid1(VALU_DEP_1)
	v_and_b32_e32 v5, 0xff, v5
	v_cmp_ne_u32_e32 vcc_lo, 0, v5
	s_and_b32 s11, vcc_lo, exec_lo
	s_delay_alu instid0(SALU_CYCLE_1)
	s_or_b32 s6, s6, s11
	s_or_b32 exec_lo, exec_lo, s7
	v_mov_b32_e32 v6, s10
	s_and_saveexec_b32 s7, s6
	s_cbranch_execnz .LBB473_1836
	s_branch .LBB473_1837
.LBB473_1929:
	s_mov_b32 s0, 0
.LBB473_1930:
	s_and_b32 vcc_lo, exec_lo, s7
	s_cbranch_vccz .LBB473_1935
; %bb.1931:
	v_cmp_eq_u16_e64 s0, s2, 44
	s_delay_alu instid0(VALU_DEP_1)
	s_and_b32 vcc_lo, exec_lo, s0
	s_mov_b32 s0, -1
	s_cbranch_vccz .LBB473_1935
; %bb.1932:
	v_bfe_u32 v5, v3, 23, 8
	v_mov_b32_e32 v4, 0xff
	s_mov_b32 s6, exec_lo
	s_delay_alu instid0(VALU_DEP_2)
	v_cmpx_ne_u32_e32 0xff, v5
; %bb.1933:
	v_and_b32_e32 v4, 0x400000, v3
	v_and_or_b32 v5, 0x3fffff, v3, v5
	s_delay_alu instid0(VALU_DEP_2) | instskip(NEXT) | instid1(VALU_DEP_2)
	v_cmp_ne_u32_e32 vcc_lo, 0, v4
	v_cmp_ne_u32_e64 s0, 0, v5
	v_lshrrev_b32_e32 v4, 23, v3
	s_delay_alu instid0(VALU_DEP_2) | instskip(NEXT) | instid1(SALU_CYCLE_1)
	s_and_b32 s0, vcc_lo, s0
	v_cndmask_b32_e64 v5, 0, 1, s0
	s_delay_alu instid0(VALU_DEP_1)
	v_add_nc_u32_e32 v4, v4, v5
; %bb.1934:
	s_or_b32 exec_lo, exec_lo, s6
	s_mov_b32 s0, 0
	s_mov_b32 s6, -1
	global_store_b8 v[1:2], v4, off
.LBB473_1935:
	s_mov_b32 s7, 0
.LBB473_1936:
	s_delay_alu instid0(SALU_CYCLE_1)
	s_and_b32 vcc_lo, exec_lo, s7
	s_cbranch_vccz .LBB473_1939
; %bb.1937:
	v_cmp_eq_u16_e64 s0, s2, 29
	s_delay_alu instid0(VALU_DEP_1)
	s_and_b32 vcc_lo, exec_lo, s0
	s_mov_b32 s0, -1
	s_cbranch_vccz .LBB473_1939
; %bb.1938:
	v_trunc_f32_e32 v4, v3
	s_mov_b32 s0, 0
	s_mov_b32 s6, -1
	s_mov_b32 s7, 0
	s_delay_alu instid0(VALU_DEP_1) | instskip(NEXT) | instid1(VALU_DEP_1)
	v_mul_f32_e32 v5, 0x2f800000, v4
	v_floor_f32_e32 v5, v5
	s_delay_alu instid0(VALU_DEP_1) | instskip(SKIP_1) | instid1(VALU_DEP_2)
	v_fmamk_f32 v4, v5, 0xcf800000, v4
	v_cvt_u32_f32_e32 v5, v5
	v_cvt_u32_f32_e32 v4, v4
	global_store_b64 v[1:2], v[4:5], off
	s_branch .LBB473_1940
.LBB473_1939:
	s_mov_b32 s7, 0
.LBB473_1940:
	s_delay_alu instid0(SALU_CYCLE_1)
	s_and_b32 vcc_lo, exec_lo, s7
	s_cbranch_vccz .LBB473_1956
; %bb.1941:
	v_cmp_lt_i16_e64 s6, s2, 27
	s_delay_alu instid0(VALU_DEP_1)
	s_and_b32 vcc_lo, exec_lo, s6
	s_mov_b32 s6, -1
	s_cbranch_vccnz .LBB473_1947
; %bb.1942:
	v_cmp_gt_i16_e64 s6, s2, 27
	v_cvt_u32_f32_e32 v4, v3
	s_delay_alu instid0(VALU_DEP_2)
	s_and_b32 vcc_lo, exec_lo, s6
	s_mov_b32 s6, -1
	s_cbranch_vccz .LBB473_1944
; %bb.1943:
	s_mov_b32 s6, 0
	global_store_b32 v[1:2], v4, off
.LBB473_1944:
	s_and_not1_b32 vcc_lo, exec_lo, s6
	s_cbranch_vccnz .LBB473_1946
; %bb.1945:
	global_store_b16 v[1:2], v4, off
.LBB473_1946:
	s_mov_b32 s6, 0
.LBB473_1947:
	s_delay_alu instid0(SALU_CYCLE_1)
	s_and_not1_b32 vcc_lo, exec_lo, s6
	s_cbranch_vccnz .LBB473_1955
; %bb.1948:
	v_and_b32_e32 v4, 0x7fffffff, v3
	v_mov_b32_e32 v5, 0x80
	s_mov_b32 s6, exec_lo
	s_delay_alu instid0(VALU_DEP_2)
	v_cmpx_gt_u32_e32 0x43800000, v4
	s_cbranch_execz .LBB473_1954
; %bb.1949:
	v_cmp_lt_u32_e32 vcc_lo, 0x3bffffff, v4
	s_mov_b32 s7, 0
                                        ; implicit-def: $vgpr4
	s_and_saveexec_b32 s10, vcc_lo
	s_delay_alu instid0(SALU_CYCLE_1)
	s_xor_b32 s10, exec_lo, s10
	s_cbranch_execz .LBB473_2095
; %bb.1950:
	v_bfe_u32 v4, v3, 20, 1
	s_mov_b32 s7, exec_lo
	s_delay_alu instid0(VALU_DEP_1) | instskip(NEXT) | instid1(VALU_DEP_1)
	v_add3_u32 v4, v3, v4, 0x487ffff
	v_lshrrev_b32_e32 v4, 20, v4
	s_or_saveexec_b32 s10, s10
                                        ; implicit-def: $sgpr11
	s_delay_alu instid0(SALU_CYCLE_1)
	s_xor_b32 exec_lo, exec_lo, s10
	s_cbranch_execnz .LBB473_2096
.LBB473_1951:
	s_or_b32 exec_lo, exec_lo, s10
	v_mov_b32_e32 v5, s11
	s_and_saveexec_b32 s10, s7
.LBB473_1952:
	v_lshrrev_b32_e32 v5, 24, v3
	s_delay_alu instid0(VALU_DEP_1)
	v_and_or_b32 v5, 0x80, v5, v4
.LBB473_1953:
	s_or_b32 exec_lo, exec_lo, s10
.LBB473_1954:
	s_delay_alu instid0(SALU_CYCLE_1)
	s_or_b32 exec_lo, exec_lo, s6
	global_store_b8 v[1:2], v5, off
.LBB473_1955:
	s_mov_b32 s6, -1
.LBB473_1956:
	s_mov_b32 s7, 0
.LBB473_1957:
	s_delay_alu instid0(SALU_CYCLE_1)
	s_and_b32 vcc_lo, exec_lo, s7
	s_cbranch_vccz .LBB473_1997
; %bb.1958:
	v_cmp_gt_i16_e64 s3, s2, 22
	s_delay_alu instid0(VALU_DEP_1)
	s_and_b32 vcc_lo, exec_lo, s3
	s_mov_b32 s3, -1
	s_cbranch_vccz .LBB473_1990
; %bb.1959:
	v_cmp_lt_i16_e64 s3, s2, 24
	s_delay_alu instid0(VALU_DEP_1)
	s_and_b32 vcc_lo, exec_lo, s3
	s_mov_b32 s3, -1
	s_cbranch_vccnz .LBB473_1979
; %bb.1960:
	v_cmp_gt_i16_e64 s3, s2, 24
	s_delay_alu instid0(VALU_DEP_1)
	s_and_b32 vcc_lo, exec_lo, s3
	s_mov_b32 s3, -1
	s_cbranch_vccz .LBB473_1968
; %bb.1961:
	v_and_b32_e32 v4, 0x7fffffff, v3
	v_mov_b32_e32 v5, 0x80
	s_mov_b32 s3, exec_lo
	s_delay_alu instid0(VALU_DEP_2)
	v_cmpx_gt_u32_e32 0x47800000, v4
	s_cbranch_execz .LBB473_1967
; %bb.1962:
	v_cmp_lt_u32_e32 vcc_lo, 0x37ffffff, v4
	s_mov_b32 s6, 0
                                        ; implicit-def: $vgpr4
	s_and_saveexec_b32 s7, vcc_lo
	s_delay_alu instid0(SALU_CYCLE_1)
	s_xor_b32 s7, exec_lo, s7
	s_cbranch_execz .LBB473_2102
; %bb.1963:
	v_bfe_u32 v4, v3, 21, 1
	s_mov_b32 s6, exec_lo
	s_delay_alu instid0(VALU_DEP_1) | instskip(NEXT) | instid1(VALU_DEP_1)
	v_add3_u32 v4, v3, v4, 0x88fffff
	v_lshrrev_b32_e32 v4, 21, v4
	s_or_saveexec_b32 s7, s7
                                        ; implicit-def: $sgpr10
	s_delay_alu instid0(SALU_CYCLE_1)
	s_xor_b32 exec_lo, exec_lo, s7
	s_cbranch_execnz .LBB473_2103
.LBB473_1964:
	s_or_b32 exec_lo, exec_lo, s7
	v_mov_b32_e32 v5, s10
	s_and_saveexec_b32 s7, s6
.LBB473_1965:
	v_lshrrev_b32_e32 v5, 24, v3
	s_delay_alu instid0(VALU_DEP_1)
	v_and_or_b32 v5, 0x80, v5, v4
.LBB473_1966:
	s_or_b32 exec_lo, exec_lo, s7
.LBB473_1967:
	s_delay_alu instid0(SALU_CYCLE_1)
	s_or_b32 exec_lo, exec_lo, s3
	s_mov_b32 s3, 0
	global_store_b8 v[1:2], v5, off
.LBB473_1968:
	s_and_b32 vcc_lo, exec_lo, s3
	s_cbranch_vccz .LBB473_1978
; %bb.1969:
	v_and_b32_e32 v5, 0x7fffffff, v3
	s_mov_b32 s3, exec_lo
                                        ; implicit-def: $vgpr4
	s_delay_alu instid0(VALU_DEP_1)
	v_cmpx_gt_u32_e32 0x43f00000, v5
	s_xor_b32 s3, exec_lo, s3
	s_cbranch_execz .LBB473_1975
; %bb.1970:
	s_mov_b32 s6, exec_lo
                                        ; implicit-def: $vgpr4
	v_cmpx_lt_u32_e32 0x3c7fffff, v5
	s_xor_b32 s6, exec_lo, s6
; %bb.1971:
	v_bfe_u32 v4, v3, 20, 1
	s_delay_alu instid0(VALU_DEP_1) | instskip(NEXT) | instid1(VALU_DEP_1)
	v_add3_u32 v4, v3, v4, 0x407ffff
	v_and_b32_e32 v5, 0xff00000, v4
	v_lshrrev_b32_e32 v4, 20, v4
	s_delay_alu instid0(VALU_DEP_2) | instskip(NEXT) | instid1(VALU_DEP_2)
	v_cmp_ne_u32_e32 vcc_lo, 0x7f00000, v5
	v_cndmask_b32_e32 v4, 0x7e, v4, vcc_lo
; %bb.1972:
	s_and_not1_saveexec_b32 s6, s6
; %bb.1973:
	v_add_f32_e64 v4, 0x46800000, |v3|
; %bb.1974:
	s_or_b32 exec_lo, exec_lo, s6
                                        ; implicit-def: $vgpr5
.LBB473_1975:
	s_and_not1_saveexec_b32 s3, s3
; %bb.1976:
	v_mov_b32_e32 v4, 0x7f
	v_cmp_lt_u32_e32 vcc_lo, 0x7f800000, v5
	s_delay_alu instid0(VALU_DEP_2)
	v_cndmask_b32_e32 v4, 0x7e, v4, vcc_lo
; %bb.1977:
	s_or_b32 exec_lo, exec_lo, s3
	v_lshrrev_b32_e32 v5, 24, v3
	s_delay_alu instid0(VALU_DEP_1)
	v_and_or_b32 v4, 0x80, v5, v4
	global_store_b8 v[1:2], v4, off
.LBB473_1978:
	s_mov_b32 s3, 0
.LBB473_1979:
	s_delay_alu instid0(SALU_CYCLE_1)
	s_and_not1_b32 vcc_lo, exec_lo, s3
	s_cbranch_vccnz .LBB473_1989
; %bb.1980:
	v_and_b32_e32 v5, 0x7fffffff, v3
	s_mov_b32 s3, exec_lo
                                        ; implicit-def: $vgpr4
	s_delay_alu instid0(VALU_DEP_1)
	v_cmpx_gt_u32_e32 0x47800000, v5
	s_xor_b32 s3, exec_lo, s3
	s_cbranch_execz .LBB473_1986
; %bb.1981:
	s_mov_b32 s6, exec_lo
                                        ; implicit-def: $vgpr4
	v_cmpx_lt_u32_e32 0x387fffff, v5
	s_xor_b32 s6, exec_lo, s6
; %bb.1982:
	v_bfe_u32 v4, v3, 21, 1
	s_delay_alu instid0(VALU_DEP_1) | instskip(NEXT) | instid1(VALU_DEP_1)
	v_add3_u32 v4, v3, v4, 0x80fffff
	v_lshrrev_b32_e32 v4, 21, v4
; %bb.1983:
	s_and_not1_saveexec_b32 s6, s6
; %bb.1984:
	v_add_f32_e64 v4, 0x43000000, |v3|
; %bb.1985:
	s_or_b32 exec_lo, exec_lo, s6
                                        ; implicit-def: $vgpr5
.LBB473_1986:
	s_and_not1_saveexec_b32 s3, s3
; %bb.1987:
	v_mov_b32_e32 v4, 0x7f
	v_cmp_lt_u32_e32 vcc_lo, 0x7f800000, v5
	s_delay_alu instid0(VALU_DEP_2)
	v_cndmask_b32_e32 v4, 0x7c, v4, vcc_lo
; %bb.1988:
	s_or_b32 exec_lo, exec_lo, s3
	v_lshrrev_b32_e32 v5, 24, v3
	s_delay_alu instid0(VALU_DEP_1)
	v_and_or_b32 v4, 0x80, v5, v4
	global_store_b8 v[1:2], v4, off
.LBB473_1989:
	s_mov_b32 s3, 0
	s_mov_b32 s6, -1
.LBB473_1990:
	s_and_not1_b32 vcc_lo, exec_lo, s3
	s_mov_b32 s3, 0
	s_cbranch_vccnz .LBB473_1997
; %bb.1991:
	v_cmp_gt_i16_e64 s3, s2, 14
	s_delay_alu instid0(VALU_DEP_1)
	s_and_b32 vcc_lo, exec_lo, s3
	s_mov_b32 s3, -1
	s_cbranch_vccz .LBB473_1995
; %bb.1992:
	v_cmp_eq_u16_e64 s0, s2, 15
	s_delay_alu instid0(VALU_DEP_1)
	s_and_b32 vcc_lo, exec_lo, s0
	s_mov_b32 s0, -1
	s_cbranch_vccz .LBB473_1994
; %bb.1993:
	v_bfe_u32 v4, v3, 16, 1
	v_cmp_o_f32_e32 vcc_lo, v3, v3
	s_mov_b32 s0, 0
	s_mov_b32 s6, -1
	s_delay_alu instid0(VALU_DEP_2) | instskip(NEXT) | instid1(VALU_DEP_1)
	v_add3_u32 v4, v3, v4, 0x7fff
	v_lshrrev_b32_e32 v4, 16, v4
	s_delay_alu instid0(VALU_DEP_1)
	v_cndmask_b32_e32 v4, 0x7fc0, v4, vcc_lo
	global_store_b16 v[1:2], v4, off
.LBB473_1994:
	s_mov_b32 s3, 0
.LBB473_1995:
	s_delay_alu instid0(SALU_CYCLE_1)
	s_and_b32 vcc_lo, exec_lo, s3
	s_mov_b32 s3, 0
	s_cbranch_vccz .LBB473_1997
; %bb.1996:
	v_cmp_ne_u16_e64 s0, s2, 11
	s_mov_b32 s3, -1
.LBB473_1997:
	s_delay_alu instid0(VALU_DEP_1)
	s_and_b32 vcc_lo, exec_lo, s0
	s_cbranch_vccnz .LBB473_2100
; %bb.1998:
	s_and_not1_b32 vcc_lo, exec_lo, s3
	s_cbranch_vccnz .LBB473_2000
.LBB473_1999:
	v_cmp_neq_f32_e32 vcc_lo, 0, v3
	s_mov_b32 s6, -1
	v_cndmask_b32_e64 v4, 0, 1, vcc_lo
	global_store_b8 v[1:2], v4, off
.LBB473_2000:
	s_mov_b32 s0, 0
.LBB473_2001:
	s_delay_alu instid0(SALU_CYCLE_1)
	s_and_b32 vcc_lo, exec_lo, s0
	s_cbranch_vccz .LBB473_2040
; %bb.2002:
	v_cmp_lt_i16_e64 s0, s2, 5
	s_delay_alu instid0(VALU_DEP_1)
	s_and_b32 vcc_lo, exec_lo, s0
	s_mov_b32 s0, -1
	s_cbranch_vccnz .LBB473_2023
; %bb.2003:
	v_cmp_lt_i16_e64 s0, s2, 8
	s_delay_alu instid0(VALU_DEP_1)
	s_and_b32 vcc_lo, exec_lo, s0
	s_mov_b32 s0, -1
	s_cbranch_vccnz .LBB473_2013
	;; [unrolled: 6-line block ×3, first 2 shown]
; %bb.2005:
	v_cmp_gt_i16_e64 s0, s2, 9
	s_delay_alu instid0(VALU_DEP_1)
	s_and_b32 vcc_lo, exec_lo, s0
	s_mov_b32 s0, -1
	s_cbranch_vccz .LBB473_2007
; %bb.2006:
	v_cvt_f64_f32_e32 v[4:5], v3
	v_mov_b32_e32 v6, 0
	s_mov_b32 s0, 0
	s_delay_alu instid0(VALU_DEP_1)
	v_mov_b32_e32 v7, v6
	global_store_b128 v[1:2], v[4:7], off
.LBB473_2007:
	s_and_not1_b32 vcc_lo, exec_lo, s0
	s_cbranch_vccnz .LBB473_2009
; %bb.2008:
	v_mov_b32_e32 v4, 0
	global_store_b64 v[1:2], v[3:4], off
.LBB473_2009:
	s_mov_b32 s0, 0
.LBB473_2010:
	s_delay_alu instid0(SALU_CYCLE_1)
	s_and_not1_b32 vcc_lo, exec_lo, s0
	s_cbranch_vccnz .LBB473_2012
; %bb.2011:
	v_cvt_f16_f32_e32 v4, v3
	s_delay_alu instid0(VALU_DEP_1)
	v_and_b32_e32 v4, 0xffff, v4
	global_store_b32 v[1:2], v4, off
.LBB473_2012:
	s_mov_b32 s0, 0
.LBB473_2013:
	s_delay_alu instid0(SALU_CYCLE_1)
	s_and_not1_b32 vcc_lo, exec_lo, s0
	s_cbranch_vccnz .LBB473_2022
; %bb.2014:
	v_cmp_lt_i16_e64 s0, s2, 6
	s_delay_alu instid0(VALU_DEP_1)
	s_and_b32 vcc_lo, exec_lo, s0
	s_mov_b32 s0, -1
	s_cbranch_vccnz .LBB473_2020
; %bb.2015:
	v_cmp_gt_i16_e64 s0, s2, 6
	s_delay_alu instid0(VALU_DEP_1)
	s_and_b32 vcc_lo, exec_lo, s0
	s_mov_b32 s0, -1
	s_cbranch_vccz .LBB473_2017
; %bb.2016:
	v_cvt_f64_f32_e32 v[4:5], v3
	s_mov_b32 s0, 0
	global_store_b64 v[1:2], v[4:5], off
.LBB473_2017:
	s_and_not1_b32 vcc_lo, exec_lo, s0
	s_cbranch_vccnz .LBB473_2019
; %bb.2018:
	global_store_b32 v[1:2], v3, off
.LBB473_2019:
	s_mov_b32 s0, 0
.LBB473_2020:
	s_delay_alu instid0(SALU_CYCLE_1)
	s_and_not1_b32 vcc_lo, exec_lo, s0
	s_cbranch_vccnz .LBB473_2022
; %bb.2021:
	v_cvt_f16_f32_e32 v4, v3
	global_store_b16 v[1:2], v4, off
.LBB473_2022:
	s_mov_b32 s0, 0
.LBB473_2023:
	s_delay_alu instid0(SALU_CYCLE_1)
	s_and_not1_b32 vcc_lo, exec_lo, s0
	s_cbranch_vccnz .LBB473_2039
; %bb.2024:
	v_cmp_lt_i16_e64 s0, s2, 2
	s_delay_alu instid0(VALU_DEP_1)
	s_and_b32 vcc_lo, exec_lo, s0
	s_mov_b32 s0, -1
	s_cbranch_vccnz .LBB473_2034
; %bb.2025:
	v_cmp_lt_i16_e64 s0, s2, 3
	s_delay_alu instid0(VALU_DEP_1)
	s_and_b32 vcc_lo, exec_lo, s0
	s_mov_b32 s0, -1
	s_cbranch_vccnz .LBB473_2031
; %bb.2026:
	v_cmp_gt_i16_e64 s0, s2, 3
	s_delay_alu instid0(VALU_DEP_1)
	s_and_b32 vcc_lo, exec_lo, s0
	s_mov_b32 s0, -1
	s_cbranch_vccz .LBB473_2028
; %bb.2027:
	v_trunc_f32_e32 v4, v3
	s_mov_b32 s0, 0
	s_delay_alu instid0(VALU_DEP_1) | instskip(SKIP_1) | instid1(VALU_DEP_2)
	v_mul_f32_e64 v5, 0x2f800000, |v4|
	v_ashrrev_i32_e32 v7, 31, v4
	v_floor_f32_e32 v5, v5
	s_delay_alu instid0(VALU_DEP_1) | instskip(SKIP_1) | instid1(VALU_DEP_2)
	v_fma_f32 v6, 0xcf800000, v5, |v4|
	v_cvt_u32_f32_e32 v5, v5
	v_cvt_u32_f32_e32 v4, v6
	s_delay_alu instid0(VALU_DEP_2) | instskip(NEXT) | instid1(VALU_DEP_2)
	v_xor_b32_e32 v5, v5, v7
	v_xor_b32_e32 v4, v4, v7
	s_delay_alu instid0(VALU_DEP_1) | instskip(NEXT) | instid1(VALU_DEP_3)
	v_sub_co_u32 v4, vcc_lo, v4, v7
	v_sub_co_ci_u32_e32 v5, vcc_lo, v5, v7, vcc_lo
	global_store_b64 v[1:2], v[4:5], off
.LBB473_2028:
	s_and_not1_b32 vcc_lo, exec_lo, s0
	s_cbranch_vccnz .LBB473_2030
; %bb.2029:
	v_cvt_i32_f32_e32 v4, v3
	global_store_b32 v[1:2], v4, off
.LBB473_2030:
	s_mov_b32 s0, 0
.LBB473_2031:
	s_delay_alu instid0(SALU_CYCLE_1)
	s_and_not1_b32 vcc_lo, exec_lo, s0
	s_cbranch_vccnz .LBB473_2033
; %bb.2032:
	v_cvt_i32_f32_e32 v4, v3
	global_store_b16 v[1:2], v4, off
.LBB473_2033:
	s_mov_b32 s0, 0
.LBB473_2034:
	s_delay_alu instid0(SALU_CYCLE_1)
	s_and_not1_b32 vcc_lo, exec_lo, s0
	s_cbranch_vccnz .LBB473_2039
; %bb.2035:
	v_cmp_gt_i16_e64 s0, s2, 0
	s_delay_alu instid0(VALU_DEP_1)
	s_and_b32 vcc_lo, exec_lo, s0
	s_mov_b32 s0, -1
	s_cbranch_vccz .LBB473_2037
; %bb.2036:
	v_cvt_i32_f32_e32 v4, v3
	s_mov_b32 s0, 0
	global_store_b8 v[1:2], v4, off
.LBB473_2037:
	s_and_not1_b32 vcc_lo, exec_lo, s0
	s_cbranch_vccnz .LBB473_2039
; %bb.2038:
	v_trunc_f32_e32 v3, v3
	s_delay_alu instid0(VALU_DEP_1) | instskip(NEXT) | instid1(VALU_DEP_1)
	v_mul_f32_e64 v4, 0x2f800000, |v3|
	v_floor_f32_e32 v4, v4
	s_delay_alu instid0(VALU_DEP_1) | instskip(SKIP_1) | instid1(VALU_DEP_2)
	v_fma_f32 v4, 0xcf800000, v4, |v3|
	v_ashrrev_i32_e32 v3, 31, v3
	v_cvt_u32_f32_e32 v4, v4
	s_delay_alu instid0(VALU_DEP_1) | instskip(NEXT) | instid1(VALU_DEP_1)
	v_xor_b32_e32 v4, v4, v3
	v_sub_nc_u32_e32 v3, v4, v3
	global_store_b8 v[1:2], v3, off
.LBB473_2039:
	s_mov_b32 s6, -1
.LBB473_2040:
	s_delay_alu instid0(SALU_CYCLE_1)
	s_and_not1_b32 vcc_lo, exec_lo, s6
	s_cbranch_vccnz .LBB473_2049
; %bb.2041:
	v_max_f32_e32 v1, v11, v11
	v_cmp_u_f32_e32 vcc_lo, v11, v11
	v_cmp_lt_i16_e64 s0, s2, 11
	v_add_co_u32 v0, s4, s4, v0
	s_delay_alu instid0(VALU_DEP_4) | instskip(SKIP_2) | instid1(VALU_DEP_2)
	v_min_f32_e32 v2, v1, v9
	v_add_co_ci_u32_e64 v1, null, s5, 0, s4
	s_mov_b32 s3, 0
	v_cndmask_b32_e32 v2, v2, v11, vcc_lo
	s_and_b32 vcc_lo, exec_lo, s0
	s_mov_b32 s0, -1
	s_cbranch_vccnz .LBB473_2050
; %bb.2042:
	v_cmp_gt_i16_e64 s0, s2, 25
	s_mov_b32 s4, -1
	s_delay_alu instid0(VALU_DEP_1)
	s_and_b32 vcc_lo, exec_lo, s0
	s_mov_b32 s0, 0
	s_cbranch_vccz .LBB473_2131
; %bb.2043:
	v_cmp_gt_i16_e64 s0, s2, 28
	s_delay_alu instid0(VALU_DEP_1)
	s_and_b32 vcc_lo, exec_lo, s0
	s_cbranch_vccz .LBB473_2094
; %bb.2044:
	v_cmp_gt_i16_e64 s0, s2, 43
	s_delay_alu instid0(VALU_DEP_1)
	s_and_b32 vcc_lo, exec_lo, s0
	;; [unrolled: 5-line block ×3, first 2 shown]
	s_cbranch_vccz .LBB473_2104
; %bb.2046:
	v_cmp_eq_u16_e64 s0, s2, 46
	s_delay_alu instid0(VALU_DEP_1)
	s_and_b32 vcc_lo, exec_lo, s0
	s_mov_b32 s0, -1
	s_cbranch_vccz .LBB473_2048
; %bb.2047:
	v_bfe_u32 v3, v2, 16, 1
	v_cmp_o_f32_e32 vcc_lo, v2, v2
	s_mov_b32 s0, 0
	s_delay_alu instid0(VALU_DEP_2) | instskip(NEXT) | instid1(VALU_DEP_1)
	v_add3_u32 v3, v2, v3, 0x7fff
	v_lshrrev_b32_e32 v3, 16, v3
	s_delay_alu instid0(VALU_DEP_1)
	v_cndmask_b32_e32 v3, 0x7fc0, v3, vcc_lo
	global_store_b32 v[0:1], v3, off
.LBB473_2048:
	s_mov_b32 s4, 0
	s_branch .LBB473_2105
.LBB473_2049:
	s_mov_b32 s0, 0
	s_mov_b32 s3, 0
                                        ; implicit-def: $vgpr0_vgpr1
                                        ; implicit-def: $sgpr2
                                        ; implicit-def: $vgpr2
.LBB473_2050:
	s_and_b32 s4, s0, exec_lo
	s_and_not1_b32 s0, s8, exec_lo
	s_and_b32 s1, s1, exec_lo
	s_and_b32 s28, s3, exec_lo
	s_or_b32 s8, s0, s1
.LBB473_2051:
	s_or_b32 exec_lo, exec_lo, s9
	s_and_saveexec_b32 s0, s8
	s_cbranch_execz .LBB473_2054
; %bb.2052:
	; divergent unreachable
	s_or_b32 exec_lo, exec_lo, s0
	s_and_saveexec_b32 s0, s28
	s_delay_alu instid0(SALU_CYCLE_1)
	s_xor_b32 s0, exec_lo, s0
	s_cbranch_execnz .LBB473_2055
.LBB473_2053:
	s_or_b32 exec_lo, exec_lo, s0
	s_and_saveexec_b32 s0, s4
	s_cbranch_execnz .LBB473_2056
	s_branch .LBB473_2093
.LBB473_2054:
	s_or_b32 exec_lo, exec_lo, s0
	s_and_saveexec_b32 s0, s28
	s_delay_alu instid0(SALU_CYCLE_1)
	s_xor_b32 s0, exec_lo, s0
	s_cbranch_execz .LBB473_2053
.LBB473_2055:
	v_cmp_neq_f32_e32 vcc_lo, 0, v2
	s_waitcnt vmcnt(0)
	v_cndmask_b32_e64 v3, 0, 1, vcc_lo
	global_store_b8 v[0:1], v3, off
	s_or_b32 exec_lo, exec_lo, s0
	s_and_saveexec_b32 s0, s4
	s_cbranch_execz .LBB473_2093
.LBB473_2056:
	v_cmp_lt_i16_e64 s0, s2, 5
	s_delay_alu instid0(VALU_DEP_1)
	s_and_b32 vcc_lo, exec_lo, s0
	s_mov_b32 s0, -1
	s_cbranch_vccnz .LBB473_2077
; %bb.2057:
	v_cmp_lt_i16_e64 s0, s2, 8
	s_delay_alu instid0(VALU_DEP_1)
	s_and_b32 vcc_lo, exec_lo, s0
	s_mov_b32 s0, -1
	s_cbranch_vccnz .LBB473_2067
; %bb.2058:
	;; [unrolled: 6-line block ×3, first 2 shown]
	v_cmp_gt_i16_e64 s0, s2, 9
	s_delay_alu instid0(VALU_DEP_1)
	s_and_b32 vcc_lo, exec_lo, s0
	s_mov_b32 s0, -1
	s_cbranch_vccz .LBB473_2061
; %bb.2060:
	s_waitcnt vmcnt(0)
	v_cvt_f64_f32_e32 v[3:4], v2
	v_mov_b32_e32 v5, 0
	s_mov_b32 s0, 0
	s_delay_alu instid0(VALU_DEP_1)
	v_mov_b32_e32 v6, v5
	global_store_b128 v[0:1], v[3:6], off
.LBB473_2061:
	s_and_not1_b32 vcc_lo, exec_lo, s0
	s_cbranch_vccnz .LBB473_2063
; %bb.2062:
	s_waitcnt vmcnt(0)
	v_mov_b32_e32 v3, 0
	global_store_b64 v[0:1], v[2:3], off
.LBB473_2063:
	s_mov_b32 s0, 0
.LBB473_2064:
	s_delay_alu instid0(SALU_CYCLE_1)
	s_and_not1_b32 vcc_lo, exec_lo, s0
	s_cbranch_vccnz .LBB473_2066
; %bb.2065:
	s_waitcnt vmcnt(0)
	v_cvt_f16_f32_e32 v3, v2
	s_delay_alu instid0(VALU_DEP_1)
	v_and_b32_e32 v3, 0xffff, v3
	global_store_b32 v[0:1], v3, off
.LBB473_2066:
	s_mov_b32 s0, 0
.LBB473_2067:
	s_delay_alu instid0(SALU_CYCLE_1)
	s_and_not1_b32 vcc_lo, exec_lo, s0
	s_cbranch_vccnz .LBB473_2076
; %bb.2068:
	v_cmp_lt_i16_e64 s0, s2, 6
	s_delay_alu instid0(VALU_DEP_1)
	s_and_b32 vcc_lo, exec_lo, s0
	s_mov_b32 s0, -1
	s_cbranch_vccnz .LBB473_2074
; %bb.2069:
	v_cmp_gt_i16_e64 s0, s2, 6
	s_delay_alu instid0(VALU_DEP_1)
	s_and_b32 vcc_lo, exec_lo, s0
	s_mov_b32 s0, -1
	s_cbranch_vccz .LBB473_2071
; %bb.2070:
	s_waitcnt vmcnt(0)
	v_cvt_f64_f32_e32 v[3:4], v2
	s_mov_b32 s0, 0
	global_store_b64 v[0:1], v[3:4], off
.LBB473_2071:
	s_and_not1_b32 vcc_lo, exec_lo, s0
	s_cbranch_vccnz .LBB473_2073
; %bb.2072:
	global_store_b32 v[0:1], v2, off
.LBB473_2073:
	s_mov_b32 s0, 0
.LBB473_2074:
	s_delay_alu instid0(SALU_CYCLE_1)
	s_and_not1_b32 vcc_lo, exec_lo, s0
	s_cbranch_vccnz .LBB473_2076
; %bb.2075:
	s_waitcnt vmcnt(0)
	v_cvt_f16_f32_e32 v3, v2
	global_store_b16 v[0:1], v3, off
.LBB473_2076:
	s_mov_b32 s0, 0
.LBB473_2077:
	s_delay_alu instid0(SALU_CYCLE_1)
	s_and_not1_b32 vcc_lo, exec_lo, s0
	s_cbranch_vccnz .LBB473_2093
; %bb.2078:
	v_cmp_lt_i16_e64 s0, s2, 2
	s_delay_alu instid0(VALU_DEP_1)
	s_and_b32 vcc_lo, exec_lo, s0
	s_mov_b32 s0, -1
	s_cbranch_vccnz .LBB473_2088
; %bb.2079:
	v_cmp_lt_i16_e64 s0, s2, 3
	s_delay_alu instid0(VALU_DEP_1)
	s_and_b32 vcc_lo, exec_lo, s0
	s_mov_b32 s0, -1
	s_cbranch_vccnz .LBB473_2085
; %bb.2080:
	v_cmp_gt_i16_e64 s0, s2, 3
	s_delay_alu instid0(VALU_DEP_1)
	s_and_b32 vcc_lo, exec_lo, s0
	s_mov_b32 s0, -1
	s_cbranch_vccz .LBB473_2082
; %bb.2081:
	s_waitcnt vmcnt(0)
	v_trunc_f32_e32 v3, v2
	s_mov_b32 s0, 0
	s_delay_alu instid0(VALU_DEP_1) | instskip(SKIP_1) | instid1(VALU_DEP_2)
	v_mul_f32_e64 v4, 0x2f800000, |v3|
	v_ashrrev_i32_e32 v6, 31, v3
	v_floor_f32_e32 v4, v4
	s_delay_alu instid0(VALU_DEP_1) | instskip(SKIP_1) | instid1(VALU_DEP_2)
	v_fma_f32 v5, 0xcf800000, v4, |v3|
	v_cvt_u32_f32_e32 v4, v4
	v_cvt_u32_f32_e32 v3, v5
	s_delay_alu instid0(VALU_DEP_2) | instskip(NEXT) | instid1(VALU_DEP_2)
	v_xor_b32_e32 v4, v4, v6
	v_xor_b32_e32 v3, v3, v6
	s_delay_alu instid0(VALU_DEP_1) | instskip(NEXT) | instid1(VALU_DEP_3)
	v_sub_co_u32 v3, vcc_lo, v3, v6
	v_sub_co_ci_u32_e32 v4, vcc_lo, v4, v6, vcc_lo
	global_store_b64 v[0:1], v[3:4], off
.LBB473_2082:
	s_and_not1_b32 vcc_lo, exec_lo, s0
	s_cbranch_vccnz .LBB473_2084
; %bb.2083:
	s_waitcnt vmcnt(0)
	v_cvt_i32_f32_e32 v3, v2
	global_store_b32 v[0:1], v3, off
.LBB473_2084:
	s_mov_b32 s0, 0
.LBB473_2085:
	s_delay_alu instid0(SALU_CYCLE_1)
	s_and_not1_b32 vcc_lo, exec_lo, s0
	s_cbranch_vccnz .LBB473_2087
; %bb.2086:
	s_waitcnt vmcnt(0)
	v_cvt_i32_f32_e32 v3, v2
	global_store_b16 v[0:1], v3, off
.LBB473_2087:
	s_mov_b32 s0, 0
.LBB473_2088:
	s_delay_alu instid0(SALU_CYCLE_1)
	s_and_not1_b32 vcc_lo, exec_lo, s0
	s_cbranch_vccnz .LBB473_2093
; %bb.2089:
	v_cmp_gt_i16_e64 s0, s2, 0
	s_delay_alu instid0(VALU_DEP_1)
	s_and_b32 vcc_lo, exec_lo, s0
	s_mov_b32 s0, -1
	s_cbranch_vccz .LBB473_2091
; %bb.2090:
	s_waitcnt vmcnt(0)
	v_cvt_i32_f32_e32 v3, v2
	s_mov_b32 s0, 0
	global_store_b8 v[0:1], v3, off
.LBB473_2091:
	s_and_not1_b32 vcc_lo, exec_lo, s0
	s_cbranch_vccnz .LBB473_2093
; %bb.2092:
	v_trunc_f32_e32 v2, v2
	s_waitcnt vmcnt(0)
	s_delay_alu instid0(VALU_DEP_1) | instskip(NEXT) | instid1(VALU_DEP_1)
	v_mul_f32_e64 v3, 0x2f800000, |v2|
	v_floor_f32_e32 v3, v3
	s_delay_alu instid0(VALU_DEP_1) | instskip(SKIP_1) | instid1(VALU_DEP_2)
	v_fma_f32 v3, 0xcf800000, v3, |v2|
	v_ashrrev_i32_e32 v2, 31, v2
	v_cvt_u32_f32_e32 v3, v3
	s_delay_alu instid0(VALU_DEP_1) | instskip(NEXT) | instid1(VALU_DEP_1)
	v_xor_b32_e32 v3, v3, v2
	v_sub_nc_u32_e32 v2, v3, v2
	global_store_b8 v[0:1], v2, off
	s_nop 0
	s_sendmsg sendmsg(MSG_DEALLOC_VGPRS)
	s_endpgm
.LBB473_2093:
	s_nop 0
	s_sendmsg sendmsg(MSG_DEALLOC_VGPRS)
	s_endpgm
.LBB473_2094:
	s_mov_b32 s0, 0
	s_branch .LBB473_2115
.LBB473_2095:
	s_or_saveexec_b32 s10, s10
                                        ; implicit-def: $sgpr11
	s_delay_alu instid0(SALU_CYCLE_1)
	s_xor_b32 exec_lo, exec_lo, s10
	s_cbranch_execz .LBB473_1951
.LBB473_2096:
	v_add_f32_e64 v4, 0x46000000, |v3|
	s_and_not1_b32 s7, s7, exec_lo
	s_mov_b32 s11, 0
	s_delay_alu instid0(VALU_DEP_1) | instskip(NEXT) | instid1(VALU_DEP_1)
	v_and_b32_e32 v4, 0xff, v4
	v_cmp_ne_u32_e32 vcc_lo, 0, v4
	s_and_b32 s12, vcc_lo, exec_lo
	s_delay_alu instid0(SALU_CYCLE_1)
	s_or_b32 s7, s7, s12
	s_or_b32 exec_lo, exec_lo, s10
	v_mov_b32_e32 v5, s11
	s_and_saveexec_b32 s10, s7
	s_cbranch_execnz .LBB473_1952
	s_branch .LBB473_1953
.LBB473_2097:
	s_mov_b32 s0, 0
	s_branch .LBB473_2111
.LBB473_2098:
	s_trap 2
	s_sendmsg_rtn_b32 s0, sendmsg(MSG_RTN_GET_DOORBELL)
	s_mov_b32 ttmp2, m0
	s_waitcnt lgkmcnt(0)
	s_and_b32 s0, s0, 0x3ff
	s_delay_alu instid0(SALU_CYCLE_1) | instskip(NEXT) | instid1(SALU_CYCLE_1)
	s_bitset1_b32 s0, 10
	s_mov_b32 m0, s0
	s_sendmsg sendmsg(MSG_INTERRUPT)
	s_mov_b32 m0, ttmp2
.LBB473_2099:                           ; =>This Inner Loop Header: Depth=1
	s_sethalt 5
	s_branch .LBB473_2099
.LBB473_2100:
	s_cbranch_execnz .LBB473_2175
; %bb.2101:
	s_or_b32 s1, s1, exec_lo
	s_cbranch_execz .LBB473_1999
	s_branch .LBB473_2000
.LBB473_2102:
	s_or_saveexec_b32 s7, s7
                                        ; implicit-def: $sgpr10
	s_delay_alu instid0(SALU_CYCLE_1)
	s_xor_b32 exec_lo, exec_lo, s7
	s_cbranch_execz .LBB473_1964
.LBB473_2103:
	v_add_f32_e64 v4, 0x42800000, |v3|
	s_and_not1_b32 s6, s6, exec_lo
	s_mov_b32 s10, 0
	s_delay_alu instid0(VALU_DEP_1) | instskip(NEXT) | instid1(VALU_DEP_1)
	v_and_b32_e32 v4, 0xff, v4
	v_cmp_ne_u32_e32 vcc_lo, 0, v4
	s_and_b32 s11, vcc_lo, exec_lo
	s_delay_alu instid0(SALU_CYCLE_1)
	s_or_b32 s6, s6, s11
	s_or_b32 exec_lo, exec_lo, s7
	v_mov_b32_e32 v5, s10
	s_and_saveexec_b32 s7, s6
	s_cbranch_execnz .LBB473_1965
	s_branch .LBB473_1966
.LBB473_2104:
	s_mov_b32 s0, 0
.LBB473_2105:
	s_and_b32 vcc_lo, exec_lo, s4
	s_cbranch_vccz .LBB473_2110
; %bb.2106:
	v_cmp_eq_u16_e64 s0, s2, 44
	s_delay_alu instid0(VALU_DEP_1)
	s_and_b32 vcc_lo, exec_lo, s0
	s_mov_b32 s0, -1
	s_cbranch_vccz .LBB473_2110
; %bb.2107:
	v_bfe_u32 v4, v2, 23, 8
	v_mov_b32_e32 v3, 0xff
	s_mov_b32 s4, exec_lo
	s_delay_alu instid0(VALU_DEP_2)
	v_cmpx_ne_u32_e32 0xff, v4
; %bb.2108:
	v_and_b32_e32 v3, 0x400000, v2
	v_and_or_b32 v4, 0x3fffff, v2, v4
	s_delay_alu instid0(VALU_DEP_2) | instskip(NEXT) | instid1(VALU_DEP_2)
	v_cmp_ne_u32_e32 vcc_lo, 0, v3
	v_cmp_ne_u32_e64 s0, 0, v4
	v_lshrrev_b32_e32 v3, 23, v2
	s_delay_alu instid0(VALU_DEP_2) | instskip(NEXT) | instid1(SALU_CYCLE_1)
	s_and_b32 s0, vcc_lo, s0
	v_cndmask_b32_e64 v4, 0, 1, s0
	s_delay_alu instid0(VALU_DEP_1)
	v_add_nc_u32_e32 v3, v3, v4
; %bb.2109:
	s_or_b32 exec_lo, exec_lo, s4
	s_mov_b32 s0, 0
	global_store_b8 v[0:1], v3, off
.LBB473_2110:
	s_mov_b32 s4, 0
.LBB473_2111:
	s_delay_alu instid0(SALU_CYCLE_1)
	s_and_b32 vcc_lo, exec_lo, s4
	s_cbranch_vccz .LBB473_2114
; %bb.2112:
	v_cmp_eq_u16_e64 s0, s2, 29
	s_delay_alu instid0(VALU_DEP_1)
	s_and_b32 vcc_lo, exec_lo, s0
	s_mov_b32 s0, -1
	s_cbranch_vccz .LBB473_2114
; %bb.2113:
	v_trunc_f32_e32 v3, v2
	s_mov_b32 s0, 0
	s_delay_alu instid0(VALU_DEP_1) | instskip(NEXT) | instid1(VALU_DEP_1)
	v_mul_f32_e32 v4, 0x2f800000, v3
	v_floor_f32_e32 v4, v4
	s_delay_alu instid0(VALU_DEP_1) | instskip(SKIP_1) | instid1(VALU_DEP_2)
	v_fmamk_f32 v3, v4, 0xcf800000, v3
	v_cvt_u32_f32_e32 v4, v4
	v_cvt_u32_f32_e32 v3, v3
	global_store_b64 v[0:1], v[3:4], off
.LBB473_2114:
	s_mov_b32 s4, 0
.LBB473_2115:
	s_delay_alu instid0(SALU_CYCLE_1)
	s_and_b32 vcc_lo, exec_lo, s4
	s_cbranch_vccz .LBB473_2130
; %bb.2116:
	v_cmp_lt_i16_e64 s4, s2, 27
	s_delay_alu instid0(VALU_DEP_1)
	s_and_b32 vcc_lo, exec_lo, s4
	s_mov_b32 s4, -1
	s_cbranch_vccnz .LBB473_2122
; %bb.2117:
	v_cmp_gt_i16_e64 s4, s2, 27
	v_cvt_u32_f32_e32 v3, v2
	s_delay_alu instid0(VALU_DEP_2)
	s_and_b32 vcc_lo, exec_lo, s4
	s_mov_b32 s4, -1
	s_cbranch_vccz .LBB473_2119
; %bb.2118:
	s_mov_b32 s4, 0
	global_store_b32 v[0:1], v3, off
.LBB473_2119:
	s_and_not1_b32 vcc_lo, exec_lo, s4
	s_cbranch_vccnz .LBB473_2121
; %bb.2120:
	global_store_b16 v[0:1], v3, off
.LBB473_2121:
	s_mov_b32 s4, 0
.LBB473_2122:
	s_delay_alu instid0(SALU_CYCLE_1)
	s_and_not1_b32 vcc_lo, exec_lo, s4
	s_cbranch_vccnz .LBB473_2130
; %bb.2123:
	v_and_b32_e32 v3, 0x7fffffff, v2
	v_mov_b32_e32 v4, 0x80
	s_mov_b32 s4, exec_lo
	s_delay_alu instid0(VALU_DEP_2)
	v_cmpx_gt_u32_e32 0x43800000, v3
	s_cbranch_execz .LBB473_2129
; %bb.2124:
	v_cmp_lt_u32_e32 vcc_lo, 0x3bffffff, v3
	s_mov_b32 s5, 0
                                        ; implicit-def: $vgpr3
	s_and_saveexec_b32 s6, vcc_lo
	s_delay_alu instid0(SALU_CYCLE_1)
	s_xor_b32 s6, exec_lo, s6
	s_cbranch_execz .LBB473_2173
; %bb.2125:
	v_bfe_u32 v3, v2, 20, 1
	s_mov_b32 s5, exec_lo
	s_delay_alu instid0(VALU_DEP_1) | instskip(NEXT) | instid1(VALU_DEP_1)
	v_add3_u32 v3, v2, v3, 0x487ffff
	v_lshrrev_b32_e32 v3, 20, v3
	s_or_saveexec_b32 s6, s6
                                        ; implicit-def: $sgpr7
	s_delay_alu instid0(SALU_CYCLE_1)
	s_xor_b32 exec_lo, exec_lo, s6
	s_cbranch_execnz .LBB473_2174
.LBB473_2126:
	s_or_b32 exec_lo, exec_lo, s6
	v_mov_b32_e32 v4, s7
	s_and_saveexec_b32 s6, s5
.LBB473_2127:
	v_lshrrev_b32_e32 v4, 24, v2
	s_delay_alu instid0(VALU_DEP_1)
	v_and_or_b32 v4, 0x80, v4, v3
.LBB473_2128:
	s_or_b32 exec_lo, exec_lo, s6
.LBB473_2129:
	s_delay_alu instid0(SALU_CYCLE_1)
	s_or_b32 exec_lo, exec_lo, s4
	global_store_b8 v[0:1], v4, off
.LBB473_2130:
	s_mov_b32 s4, 0
.LBB473_2131:
	s_delay_alu instid0(SALU_CYCLE_1)
	s_and_b32 vcc_lo, exec_lo, s4
	s_cbranch_vccz .LBB473_2171
; %bb.2132:
	v_cmp_gt_i16_e64 s3, s2, 22
	s_delay_alu instid0(VALU_DEP_1)
	s_and_b32 vcc_lo, exec_lo, s3
	s_mov_b32 s3, -1
	s_cbranch_vccz .LBB473_2164
; %bb.2133:
	v_cmp_lt_i16_e64 s3, s2, 24
	s_delay_alu instid0(VALU_DEP_1)
	s_and_b32 vcc_lo, exec_lo, s3
	s_mov_b32 s3, -1
	s_cbranch_vccnz .LBB473_2153
; %bb.2134:
	v_cmp_gt_i16_e64 s3, s2, 24
	s_delay_alu instid0(VALU_DEP_1)
	s_and_b32 vcc_lo, exec_lo, s3
	s_mov_b32 s3, -1
	s_cbranch_vccz .LBB473_2142
; %bb.2135:
	v_and_b32_e32 v3, 0x7fffffff, v2
	v_mov_b32_e32 v4, 0x80
	s_mov_b32 s3, exec_lo
	s_delay_alu instid0(VALU_DEP_2)
	v_cmpx_gt_u32_e32 0x47800000, v3
	s_cbranch_execz .LBB473_2141
; %bb.2136:
	v_cmp_lt_u32_e32 vcc_lo, 0x37ffffff, v3
	s_mov_b32 s4, 0
                                        ; implicit-def: $vgpr3
	s_and_saveexec_b32 s5, vcc_lo
	s_delay_alu instid0(SALU_CYCLE_1)
	s_xor_b32 s5, exec_lo, s5
	s_cbranch_execz .LBB473_2179
; %bb.2137:
	v_bfe_u32 v3, v2, 21, 1
	s_mov_b32 s4, exec_lo
	s_delay_alu instid0(VALU_DEP_1) | instskip(NEXT) | instid1(VALU_DEP_1)
	v_add3_u32 v3, v2, v3, 0x88fffff
	v_lshrrev_b32_e32 v3, 21, v3
	s_or_saveexec_b32 s5, s5
                                        ; implicit-def: $sgpr6
	s_delay_alu instid0(SALU_CYCLE_1)
	s_xor_b32 exec_lo, exec_lo, s5
	s_cbranch_execnz .LBB473_2180
.LBB473_2138:
	s_or_b32 exec_lo, exec_lo, s5
	v_mov_b32_e32 v4, s6
	s_and_saveexec_b32 s5, s4
.LBB473_2139:
	v_lshrrev_b32_e32 v4, 24, v2
	s_delay_alu instid0(VALU_DEP_1)
	v_and_or_b32 v4, 0x80, v4, v3
.LBB473_2140:
	s_or_b32 exec_lo, exec_lo, s5
.LBB473_2141:
	s_delay_alu instid0(SALU_CYCLE_1)
	s_or_b32 exec_lo, exec_lo, s3
	s_mov_b32 s3, 0
	global_store_b8 v[0:1], v4, off
.LBB473_2142:
	s_and_b32 vcc_lo, exec_lo, s3
	s_cbranch_vccz .LBB473_2152
; %bb.2143:
	v_and_b32_e32 v4, 0x7fffffff, v2
	s_mov_b32 s3, exec_lo
                                        ; implicit-def: $vgpr3
	s_delay_alu instid0(VALU_DEP_1)
	v_cmpx_gt_u32_e32 0x43f00000, v4
	s_xor_b32 s3, exec_lo, s3
	s_cbranch_execz .LBB473_2149
; %bb.2144:
	s_mov_b32 s4, exec_lo
                                        ; implicit-def: $vgpr3
	v_cmpx_lt_u32_e32 0x3c7fffff, v4
	s_xor_b32 s4, exec_lo, s4
; %bb.2145:
	v_bfe_u32 v3, v2, 20, 1
	s_delay_alu instid0(VALU_DEP_1) | instskip(NEXT) | instid1(VALU_DEP_1)
	v_add3_u32 v3, v2, v3, 0x407ffff
	v_and_b32_e32 v4, 0xff00000, v3
	v_lshrrev_b32_e32 v3, 20, v3
	s_delay_alu instid0(VALU_DEP_2) | instskip(NEXT) | instid1(VALU_DEP_2)
	v_cmp_ne_u32_e32 vcc_lo, 0x7f00000, v4
	v_cndmask_b32_e32 v3, 0x7e, v3, vcc_lo
; %bb.2146:
	s_and_not1_saveexec_b32 s4, s4
; %bb.2147:
	v_add_f32_e64 v3, 0x46800000, |v2|
; %bb.2148:
	s_or_b32 exec_lo, exec_lo, s4
                                        ; implicit-def: $vgpr4
.LBB473_2149:
	s_and_not1_saveexec_b32 s3, s3
; %bb.2150:
	v_mov_b32_e32 v3, 0x7f
	v_cmp_lt_u32_e32 vcc_lo, 0x7f800000, v4
	s_delay_alu instid0(VALU_DEP_2)
	v_cndmask_b32_e32 v3, 0x7e, v3, vcc_lo
; %bb.2151:
	s_or_b32 exec_lo, exec_lo, s3
	v_lshrrev_b32_e32 v4, 24, v2
	s_delay_alu instid0(VALU_DEP_1)
	v_and_or_b32 v3, 0x80, v4, v3
	global_store_b8 v[0:1], v3, off
.LBB473_2152:
	s_mov_b32 s3, 0
.LBB473_2153:
	s_delay_alu instid0(SALU_CYCLE_1)
	s_and_not1_b32 vcc_lo, exec_lo, s3
	s_cbranch_vccnz .LBB473_2163
; %bb.2154:
	v_and_b32_e32 v4, 0x7fffffff, v2
	s_mov_b32 s3, exec_lo
                                        ; implicit-def: $vgpr3
	s_delay_alu instid0(VALU_DEP_1)
	v_cmpx_gt_u32_e32 0x47800000, v4
	s_xor_b32 s3, exec_lo, s3
	s_cbranch_execz .LBB473_2160
; %bb.2155:
	s_mov_b32 s4, exec_lo
                                        ; implicit-def: $vgpr3
	v_cmpx_lt_u32_e32 0x387fffff, v4
	s_xor_b32 s4, exec_lo, s4
; %bb.2156:
	v_bfe_u32 v3, v2, 21, 1
	s_delay_alu instid0(VALU_DEP_1) | instskip(NEXT) | instid1(VALU_DEP_1)
	v_add3_u32 v3, v2, v3, 0x80fffff
	v_lshrrev_b32_e32 v3, 21, v3
; %bb.2157:
	s_and_not1_saveexec_b32 s4, s4
; %bb.2158:
	v_add_f32_e64 v3, 0x43000000, |v2|
; %bb.2159:
	s_or_b32 exec_lo, exec_lo, s4
                                        ; implicit-def: $vgpr4
.LBB473_2160:
	s_and_not1_saveexec_b32 s3, s3
; %bb.2161:
	v_mov_b32_e32 v3, 0x7f
	v_cmp_lt_u32_e32 vcc_lo, 0x7f800000, v4
	s_delay_alu instid0(VALU_DEP_2)
	v_cndmask_b32_e32 v3, 0x7c, v3, vcc_lo
; %bb.2162:
	s_or_b32 exec_lo, exec_lo, s3
	v_lshrrev_b32_e32 v4, 24, v2
	s_delay_alu instid0(VALU_DEP_1)
	v_and_or_b32 v3, 0x80, v4, v3
	global_store_b8 v[0:1], v3, off
.LBB473_2163:
	s_mov_b32 s3, 0
.LBB473_2164:
	s_delay_alu instid0(SALU_CYCLE_1)
	s_and_not1_b32 vcc_lo, exec_lo, s3
	s_mov_b32 s3, 0
	s_cbranch_vccnz .LBB473_2171
; %bb.2165:
	v_cmp_gt_i16_e64 s3, s2, 14
	s_delay_alu instid0(VALU_DEP_1)
	s_and_b32 vcc_lo, exec_lo, s3
	s_mov_b32 s3, -1
	s_cbranch_vccz .LBB473_2169
; %bb.2166:
	v_cmp_eq_u16_e64 s0, s2, 15
	s_delay_alu instid0(VALU_DEP_1)
	s_and_b32 vcc_lo, exec_lo, s0
	s_mov_b32 s0, -1
	s_cbranch_vccz .LBB473_2168
; %bb.2167:
	v_bfe_u32 v3, v2, 16, 1
	v_cmp_o_f32_e32 vcc_lo, v2, v2
	s_mov_b32 s0, 0
	s_delay_alu instid0(VALU_DEP_2) | instskip(NEXT) | instid1(VALU_DEP_1)
	v_add3_u32 v3, v2, v3, 0x7fff
	v_lshrrev_b32_e32 v3, 16, v3
	s_delay_alu instid0(VALU_DEP_1)
	v_cndmask_b32_e32 v3, 0x7fc0, v3, vcc_lo
	global_store_b16 v[0:1], v3, off
.LBB473_2168:
	s_mov_b32 s3, 0
.LBB473_2169:
	s_delay_alu instid0(SALU_CYCLE_1)
	s_and_b32 vcc_lo, exec_lo, s3
	s_mov_b32 s3, 0
	s_cbranch_vccz .LBB473_2171
; %bb.2170:
	v_cmp_ne_u16_e64 s0, s2, 11
	s_mov_b32 s3, -1
.LBB473_2171:
	s_delay_alu instid0(VALU_DEP_1)
	s_and_b32 vcc_lo, exec_lo, s0
	s_cbranch_vccnz .LBB473_2177
.LBB473_2172:
	s_mov_b32 s0, 0
	s_branch .LBB473_2050
.LBB473_2173:
	s_or_saveexec_b32 s6, s6
                                        ; implicit-def: $sgpr7
	s_delay_alu instid0(SALU_CYCLE_1)
	s_xor_b32 exec_lo, exec_lo, s6
	s_cbranch_execz .LBB473_2126
.LBB473_2174:
	v_add_f32_e64 v3, 0x46000000, |v2|
	s_and_not1_b32 s5, s5, exec_lo
	s_mov_b32 s7, 0
	s_delay_alu instid0(VALU_DEP_1) | instskip(NEXT) | instid1(VALU_DEP_1)
	v_and_b32_e32 v3, 0xff, v3
	v_cmp_ne_u32_e32 vcc_lo, 0, v3
	s_and_b32 s10, vcc_lo, exec_lo
	s_delay_alu instid0(SALU_CYCLE_1)
	s_or_b32 s5, s5, s10
	s_or_b32 exec_lo, exec_lo, s6
	v_mov_b32_e32 v4, s7
	s_and_saveexec_b32 s6, s5
	s_cbranch_execnz .LBB473_2127
	s_branch .LBB473_2128
.LBB473_2175:
	s_trap 2
	s_sendmsg_rtn_b32 s0, sendmsg(MSG_RTN_GET_DOORBELL)
	s_mov_b32 ttmp2, m0
	s_waitcnt lgkmcnt(0)
	s_and_b32 s0, s0, 0x3ff
	s_delay_alu instid0(SALU_CYCLE_1) | instskip(NEXT) | instid1(SALU_CYCLE_1)
	s_bitset1_b32 s0, 10
	s_mov_b32 m0, s0
	s_sendmsg sendmsg(MSG_INTERRUPT)
	s_mov_b32 m0, ttmp2
.LBB473_2176:                           ; =>This Inner Loop Header: Depth=1
	s_sethalt 5
	s_branch .LBB473_2176
.LBB473_2177:
	s_cbranch_execnz .LBB473_2181
; %bb.2178:
	s_mov_b32 s3, 0
	s_or_b32 s1, s1, exec_lo
	s_branch .LBB473_2172
.LBB473_2179:
	s_or_saveexec_b32 s5, s5
                                        ; implicit-def: $sgpr6
	s_delay_alu instid0(SALU_CYCLE_1)
	s_xor_b32 exec_lo, exec_lo, s5
	s_cbranch_execz .LBB473_2138
.LBB473_2180:
	v_add_f32_e64 v3, 0x42800000, |v2|
	s_and_not1_b32 s4, s4, exec_lo
	s_mov_b32 s6, 0
	s_delay_alu instid0(VALU_DEP_1) | instskip(NEXT) | instid1(VALU_DEP_1)
	v_and_b32_e32 v3, 0xff, v3
	v_cmp_ne_u32_e32 vcc_lo, 0, v3
	s_and_b32 s7, vcc_lo, exec_lo
	s_delay_alu instid0(SALU_CYCLE_1)
	s_or_b32 s4, s4, s7
	s_or_b32 exec_lo, exec_lo, s5
	v_mov_b32_e32 v4, s6
	s_and_saveexec_b32 s5, s4
	s_cbranch_execnz .LBB473_2139
	s_branch .LBB473_2140
.LBB473_2181:
	s_trap 2
	s_sendmsg_rtn_b32 s0, sendmsg(MSG_RTN_GET_DOORBELL)
	s_mov_b32 ttmp2, m0
	s_waitcnt lgkmcnt(0)
	s_and_b32 s0, s0, 0x3ff
	s_delay_alu instid0(SALU_CYCLE_1) | instskip(NEXT) | instid1(SALU_CYCLE_1)
	s_bitset1_b32 s0, 10
	s_mov_b32 m0, s0
	s_sendmsg sendmsg(MSG_INTERRUPT)
	s_mov_b32 m0, ttmp2
.LBB473_2182:                           ; =>This Inner Loop Header: Depth=1
	s_sethalt 5
	s_branch .LBB473_2182
	.section	.rodata,"a",@progbits
	.p2align	6, 0x0
	.amdhsa_kernel _ZN2at6native32elementwise_kernel_manual_unrollILi128ELi4EZNS0_15gpu_kernel_implIZZZNS0_21clamp_max_kernel_cudaERNS_18TensorIteratorBaseERKN3c106ScalarEENKUlvE_clEvENKUlvE5_clEvEUlfE_EEvS4_RKT_EUlibE0_EEviT1_
		.amdhsa_group_segment_fixed_size 0
		.amdhsa_private_segment_fixed_size 0
		.amdhsa_kernarg_size 360
		.amdhsa_user_sgpr_count 15
		.amdhsa_user_sgpr_dispatch_ptr 0
		.amdhsa_user_sgpr_queue_ptr 0
		.amdhsa_user_sgpr_kernarg_segment_ptr 1
		.amdhsa_user_sgpr_dispatch_id 0
		.amdhsa_user_sgpr_private_segment_size 0
		.amdhsa_wavefront_size32 1
		.amdhsa_uses_dynamic_stack 0
		.amdhsa_enable_private_segment 0
		.amdhsa_system_sgpr_workgroup_id_x 1
		.amdhsa_system_sgpr_workgroup_id_y 0
		.amdhsa_system_sgpr_workgroup_id_z 0
		.amdhsa_system_sgpr_workgroup_info 0
		.amdhsa_system_vgpr_workitem_id 0
		.amdhsa_next_free_vgpr 18
		.amdhsa_next_free_sgpr 68
		.amdhsa_reserve_vcc 1
		.amdhsa_float_round_mode_32 0
		.amdhsa_float_round_mode_16_64 0
		.amdhsa_float_denorm_mode_32 3
		.amdhsa_float_denorm_mode_16_64 3
		.amdhsa_dx10_clamp 1
		.amdhsa_ieee_mode 1
		.amdhsa_fp16_overflow 0
		.amdhsa_workgroup_processor_mode 1
		.amdhsa_memory_ordered 1
		.amdhsa_forward_progress 0
		.amdhsa_shared_vgpr_count 0
		.amdhsa_exception_fp_ieee_invalid_op 0
		.amdhsa_exception_fp_denorm_src 0
		.amdhsa_exception_fp_ieee_div_zero 0
		.amdhsa_exception_fp_ieee_overflow 0
		.amdhsa_exception_fp_ieee_underflow 0
		.amdhsa_exception_fp_ieee_inexact 0
		.amdhsa_exception_int_div_zero 0
	.end_amdhsa_kernel
	.section	.text._ZN2at6native32elementwise_kernel_manual_unrollILi128ELi4EZNS0_15gpu_kernel_implIZZZNS0_21clamp_max_kernel_cudaERNS_18TensorIteratorBaseERKN3c106ScalarEENKUlvE_clEvENKUlvE5_clEvEUlfE_EEvS4_RKT_EUlibE0_EEviT1_,"axG",@progbits,_ZN2at6native32elementwise_kernel_manual_unrollILi128ELi4EZNS0_15gpu_kernel_implIZZZNS0_21clamp_max_kernel_cudaERNS_18TensorIteratorBaseERKN3c106ScalarEENKUlvE_clEvENKUlvE5_clEvEUlfE_EEvS4_RKT_EUlibE0_EEviT1_,comdat
.Lfunc_end473:
	.size	_ZN2at6native32elementwise_kernel_manual_unrollILi128ELi4EZNS0_15gpu_kernel_implIZZZNS0_21clamp_max_kernel_cudaERNS_18TensorIteratorBaseERKN3c106ScalarEENKUlvE_clEvENKUlvE5_clEvEUlfE_EEvS4_RKT_EUlibE0_EEviT1_, .Lfunc_end473-_ZN2at6native32elementwise_kernel_manual_unrollILi128ELi4EZNS0_15gpu_kernel_implIZZZNS0_21clamp_max_kernel_cudaERNS_18TensorIteratorBaseERKN3c106ScalarEENKUlvE_clEvENKUlvE5_clEvEUlfE_EEvS4_RKT_EUlibE0_EEviT1_
                                        ; -- End function
	.section	.AMDGPU.csdata,"",@progbits
; Kernel info:
; codeLenInByte = 42988
; NumSgprs: 70
; NumVgprs: 18
; ScratchSize: 0
; MemoryBound: 1
; FloatMode: 240
; IeeeMode: 1
; LDSByteSize: 0 bytes/workgroup (compile time only)
; SGPRBlocks: 8
; VGPRBlocks: 2
; NumSGPRsForWavesPerEU: 70
; NumVGPRsForWavesPerEU: 18
; Occupancy: 16
; WaveLimiterHint : 1
; COMPUTE_PGM_RSRC2:SCRATCH_EN: 0
; COMPUTE_PGM_RSRC2:USER_SGPR: 15
; COMPUTE_PGM_RSRC2:TRAP_HANDLER: 0
; COMPUTE_PGM_RSRC2:TGID_X_EN: 1
; COMPUTE_PGM_RSRC2:TGID_Y_EN: 0
; COMPUTE_PGM_RSRC2:TGID_Z_EN: 0
; COMPUTE_PGM_RSRC2:TIDIG_COMP_CNT: 0
	.section	.text._ZN2at6native29vectorized_elementwise_kernelILi16EZZZNS0_21clamp_max_kernel_cudaERNS_18TensorIteratorBaseERKN3c106ScalarEENKUlvE_clEvENKUlvE6_clEvEUlNS4_4HalfEE_St5arrayIPcLm2EEEEviT0_T1_,"axG",@progbits,_ZN2at6native29vectorized_elementwise_kernelILi16EZZZNS0_21clamp_max_kernel_cudaERNS_18TensorIteratorBaseERKN3c106ScalarEENKUlvE_clEvENKUlvE6_clEvEUlNS4_4HalfEE_St5arrayIPcLm2EEEEviT0_T1_,comdat
	.globl	_ZN2at6native29vectorized_elementwise_kernelILi16EZZZNS0_21clamp_max_kernel_cudaERNS_18TensorIteratorBaseERKN3c106ScalarEENKUlvE_clEvENKUlvE6_clEvEUlNS4_4HalfEE_St5arrayIPcLm2EEEEviT0_T1_ ; -- Begin function _ZN2at6native29vectorized_elementwise_kernelILi16EZZZNS0_21clamp_max_kernel_cudaERNS_18TensorIteratorBaseERKN3c106ScalarEENKUlvE_clEvENKUlvE6_clEvEUlNS4_4HalfEE_St5arrayIPcLm2EEEEviT0_T1_
	.p2align	8
	.type	_ZN2at6native29vectorized_elementwise_kernelILi16EZZZNS0_21clamp_max_kernel_cudaERNS_18TensorIteratorBaseERKN3c106ScalarEENKUlvE_clEvENKUlvE6_clEvEUlNS4_4HalfEE_St5arrayIPcLm2EEEEviT0_T1_,@function
_ZN2at6native29vectorized_elementwise_kernelILi16EZZZNS0_21clamp_max_kernel_cudaERNS_18TensorIteratorBaseERKN3c106ScalarEENKUlvE_clEvENKUlvE6_clEvEUlNS4_4HalfEE_St5arrayIPcLm2EEEEviT0_T1_: ; @_ZN2at6native29vectorized_elementwise_kernelILi16EZZZNS0_21clamp_max_kernel_cudaERNS_18TensorIteratorBaseERKN3c106ScalarEENKUlvE_clEvENKUlvE6_clEvEUlNS4_4HalfEE_St5arrayIPcLm2EEEEviT0_T1_
; %bb.0:
	s_clause 0x1
	s_load_b64 s[8:9], s[0:1], 0x0
	s_load_b128 s[16:19], s[0:1], 0x8
	s_lshl_b32 s10, s15, 11
	s_mov_b32 s0, -1
	s_waitcnt lgkmcnt(0)
	s_sub_i32 s12, s8, s10
	s_delay_alu instid0(SALU_CYCLE_1)
	s_cmpk_gt_i32 s12, 0x7ff
	s_cbranch_scc0 .LBB474_2
; %bb.1:
	s_ashr_i32 s11, s10, 31
	v_lshlrev_b32_e32 v5, 4, v0
	s_lshl_b64 s[14:15], s[10:11], 1
	s_delay_alu instid0(SALU_CYCLE_1)
	s_add_u32 s0, s18, s14
	s_addc_u32 s1, s19, s15
	global_load_b128 v[1:4], v5, s[0:1]
	s_waitcnt vmcnt(0)
	v_cmp_u_f16_e64 s1, v2, v2
	v_cmp_gt_f16_e64 s2, s9, v2
	v_lshrrev_b32_e32 v7, 16, v2
	v_lshrrev_b32_e32 v9, 16, v4
	v_cmp_u_f16_e32 vcc_lo, v1, v1
	v_cmp_gt_f16_e64 s0, s9, v1
	v_cmp_u_f16_e64 s3, v3, v3
	v_cmp_gt_f16_e64 s4, s9, v3
	s_or_b32 s1, s1, s2
	v_lshrrev_b32_e32 v6, 16, v1
	v_lshrrev_b32_e32 v8, 16, v3
	v_cndmask_b32_e64 v2, s9, v2, s1
	v_cmp_u_f16_e64 s1, v7, v7
	v_cmp_gt_f16_e64 s2, s9, v7
	s_or_b32 vcc_lo, vcc_lo, s0
	s_or_b32 s3, s3, s4
	v_cmp_u_f16_e64 s7, v9, v9
	v_cmp_gt_f16_e64 s8, s9, v9
	v_cmp_u_f16_e64 s5, v4, v4
	v_cmp_gt_f16_e64 s6, s9, v4
	v_cndmask_b32_e32 v1, s9, v1, vcc_lo
	v_cmp_u_f16_e32 vcc_lo, v6, v6
	v_cmp_gt_f16_e64 s0, s9, v6
	v_cndmask_b32_e64 v3, s9, v3, s3
	v_cmp_u_f16_e64 s3, v8, v8
	v_cmp_gt_f16_e64 s4, s9, v8
	s_or_b32 s1, s1, s2
	s_or_b32 s5, s5, s6
	v_cndmask_b32_e64 v7, s9, v7, s1
	s_or_b32 s1, s7, s8
	s_or_b32 vcc_lo, vcc_lo, s0
	v_cndmask_b32_e64 v9, s9, v9, s1
	v_cndmask_b32_e32 v6, s9, v6, vcc_lo
	s_or_b32 s1, s3, s4
	v_cndmask_b32_e64 v4, s9, v4, s5
	v_cndmask_b32_e64 v8, s9, v8, s1
	v_perm_b32 v2, v7, v2, 0x5040100
	v_perm_b32 v1, v6, v1, 0x5040100
	s_add_u32 s2, s16, s14
	v_perm_b32 v4, v9, v4, 0x5040100
	v_perm_b32 v3, v8, v3, 0x5040100
	s_addc_u32 s3, s17, s15
	s_mov_b32 s0, 0
	global_store_b128 v5, v[1:4], s[2:3]
.LBB474_2:
	s_and_not1_b32 vcc_lo, exec_lo, s0
	s_cbranch_vccnz .LBB474_26
; %bb.3:
	v_cmp_gt_i32_e32 vcc_lo, s12, v0
	v_dual_mov_b32 v6, 0 :: v_dual_mov_b32 v11, 0
	v_or_b32_e32 v1, s10, v0
	v_or_b32_e32 v8, 0x100, v0
	v_mov_b32_e32 v2, v0
	s_and_saveexec_b32 s1, vcc_lo
	s_cbranch_execz .LBB474_5
; %bb.4:
	v_mov_b32_e32 v2, 0
	s_delay_alu instid0(VALU_DEP_1) | instskip(NEXT) | instid1(VALU_DEP_1)
	v_lshlrev_b64 v[2:3], 1, v[1:2]
	v_add_co_u32 v2, s0, s18, v2
	s_delay_alu instid0(VALU_DEP_1)
	v_add_co_ci_u32_e64 v3, s0, s19, v3, s0
	global_load_u16 v11, v[2:3], off
	v_or_b32_e32 v2, 0x100, v0
.LBB474_5:
	s_or_b32 exec_lo, exec_lo, s1
	s_delay_alu instid0(SALU_CYCLE_1) | instskip(NEXT) | instid1(VALU_DEP_1)
	s_mov_b32 s1, exec_lo
	v_cmpx_gt_i32_e64 s12, v2
	s_cbranch_execz .LBB474_7
; %bb.6:
	v_dual_mov_b32 v4, 0 :: v_dual_add_nc_u32 v3, s10, v2
	v_add_nc_u32_e32 v2, 0x100, v2
	s_delay_alu instid0(VALU_DEP_2) | instskip(NEXT) | instid1(VALU_DEP_1)
	v_lshlrev_b64 v[3:4], 1, v[3:4]
	v_add_co_u32 v3, s0, s18, v3
	s_delay_alu instid0(VALU_DEP_1)
	v_add_co_ci_u32_e64 v4, s0, s19, v4, s0
	global_load_u16 v6, v[3:4], off
.LBB474_7:
	s_or_b32 exec_lo, exec_lo, s1
	v_dual_mov_b32 v5, 0 :: v_dual_mov_b32 v10, 0
	s_mov_b32 s1, exec_lo
	v_cmpx_gt_i32_e64 s12, v2
	s_cbranch_execz .LBB474_9
; %bb.8:
	v_dual_mov_b32 v4, 0 :: v_dual_add_nc_u32 v3, s10, v2
	v_add_nc_u32_e32 v2, 0x100, v2
	s_delay_alu instid0(VALU_DEP_2) | instskip(NEXT) | instid1(VALU_DEP_1)
	v_lshlrev_b64 v[3:4], 1, v[3:4]
	v_add_co_u32 v3, s0, s18, v3
	s_delay_alu instid0(VALU_DEP_1)
	v_add_co_ci_u32_e64 v4, s0, s19, v4, s0
	global_load_u16 v10, v[3:4], off
.LBB474_9:
	s_or_b32 exec_lo, exec_lo, s1
	s_delay_alu instid0(SALU_CYCLE_1)
	s_mov_b32 s1, exec_lo
	v_cmpx_gt_i32_e64 s12, v2
	s_cbranch_execz .LBB474_11
; %bb.10:
	v_dual_mov_b32 v4, 0 :: v_dual_add_nc_u32 v3, s10, v2
	v_add_nc_u32_e32 v2, 0x100, v2
	s_delay_alu instid0(VALU_DEP_2) | instskip(NEXT) | instid1(VALU_DEP_1)
	v_lshlrev_b64 v[3:4], 1, v[3:4]
	v_add_co_u32 v3, s0, s18, v3
	s_delay_alu instid0(VALU_DEP_1)
	v_add_co_ci_u32_e64 v4, s0, s19, v4, s0
	global_load_u16 v5, v[3:4], off
.LBB474_11:
	s_or_b32 exec_lo, exec_lo, s1
	v_dual_mov_b32 v4, 0 :: v_dual_mov_b32 v9, 0
	s_mov_b32 s1, exec_lo
	v_cmpx_gt_i32_e64 s12, v2
	s_cbranch_execz .LBB474_13
; %bb.12:
	v_dual_mov_b32 v13, 0 :: v_dual_add_nc_u32 v12, s10, v2
	v_add_nc_u32_e32 v2, 0x100, v2
	s_delay_alu instid0(VALU_DEP_2) | instskip(NEXT) | instid1(VALU_DEP_1)
	v_lshlrev_b64 v[12:13], 1, v[12:13]
	v_add_co_u32 v12, s0, s18, v12
	s_delay_alu instid0(VALU_DEP_1)
	v_add_co_ci_u32_e64 v13, s0, s19, v13, s0
	global_load_u16 v9, v[12:13], off
.LBB474_13:
	s_or_b32 exec_lo, exec_lo, s1
	s_delay_alu instid0(SALU_CYCLE_1)
	s_mov_b32 s1, exec_lo
	v_cmpx_gt_i32_e64 s12, v2
	s_cbranch_execz .LBB474_15
; %bb.14:
	v_dual_mov_b32 v4, 0 :: v_dual_add_nc_u32 v3, s10, v2
	v_add_nc_u32_e32 v2, 0x100, v2
	s_delay_alu instid0(VALU_DEP_2) | instskip(NEXT) | instid1(VALU_DEP_1)
	v_lshlrev_b64 v[3:4], 1, v[3:4]
	v_add_co_u32 v3, s0, s18, v3
	s_delay_alu instid0(VALU_DEP_1)
	v_add_co_ci_u32_e64 v4, s0, s19, v4, s0
	global_load_u16 v4, v[3:4], off
.LBB474_15:
	s_or_b32 exec_lo, exec_lo, s1
	v_mov_b32_e32 v3, 0
	v_mov_b32_e32 v7, 0
	s_mov_b32 s1, exec_lo
	v_cmpx_gt_i32_e64 s12, v2
	s_cbranch_execnz .LBB474_27
; %bb.16:
	s_or_b32 exec_lo, exec_lo, s1
	s_delay_alu instid0(SALU_CYCLE_1)
	s_mov_b32 s1, exec_lo
	v_cmpx_gt_i32_e64 s12, v2
	s_cbranch_execnz .LBB474_28
.LBB474_17:
	s_or_b32 exec_lo, exec_lo, s1
	s_and_saveexec_b32 s2, vcc_lo
	s_cbranch_execnz .LBB474_29
.LBB474_18:
	s_or_b32 exec_lo, exec_lo, s2
	s_delay_alu instid0(SALU_CYCLE_1)
	s_mov_b32 s1, exec_lo
	v_cmpx_gt_i32_e64 s12, v0
	s_cbranch_execnz .LBB474_30
.LBB474_19:
	s_or_b32 exec_lo, exec_lo, s1
	s_delay_alu instid0(SALU_CYCLE_1)
	s_mov_b32 s1, exec_lo
	v_cmpx_gt_i32_e64 s12, v0
	s_cbranch_execnz .LBB474_31
.LBB474_20:
	s_or_b32 exec_lo, exec_lo, s1
	s_delay_alu instid0(SALU_CYCLE_1)
	s_mov_b32 s1, exec_lo
	v_cmpx_gt_i32_e64 s12, v0
	s_cbranch_execnz .LBB474_32
.LBB474_21:
	s_or_b32 exec_lo, exec_lo, s1
	s_delay_alu instid0(SALU_CYCLE_1)
	s_mov_b32 s1, exec_lo
	v_cmpx_gt_i32_e64 s12, v0
	s_cbranch_execnz .LBB474_33
.LBB474_22:
	s_or_b32 exec_lo, exec_lo, s1
	s_delay_alu instid0(SALU_CYCLE_1)
	s_mov_b32 s1, exec_lo
	v_cmpx_gt_i32_e64 s12, v0
	s_cbranch_execnz .LBB474_34
.LBB474_23:
	s_or_b32 exec_lo, exec_lo, s1
	s_delay_alu instid0(SALU_CYCLE_1)
	s_mov_b32 s1, exec_lo
	v_cmpx_gt_i32_e64 s12, v0
	s_cbranch_execnz .LBB474_35
.LBB474_24:
	s_or_b32 exec_lo, exec_lo, s1
	s_delay_alu instid0(SALU_CYCLE_1)
	s_mov_b32 s0, exec_lo
	v_cmpx_gt_i32_e64 s12, v0
	s_cbranch_execz .LBB474_26
.LBB474_25:
	v_dual_mov_b32 v1, 0 :: v_dual_add_nc_u32 v0, s10, v0
	s_waitcnt vmcnt(0)
	v_cmp_u_f16_e32 vcc_lo, v3, v3
	v_cmp_gt_f16_e64 s0, s9, v3
	s_delay_alu instid0(VALU_DEP_3) | instskip(NEXT) | instid1(VALU_DEP_2)
	v_lshlrev_b64 v[0:1], 1, v[0:1]
	s_or_b32 vcc_lo, vcc_lo, s0
	v_cndmask_b32_e32 v2, s9, v3, vcc_lo
	s_delay_alu instid0(VALU_DEP_2) | instskip(NEXT) | instid1(VALU_DEP_3)
	v_add_co_u32 v0, vcc_lo, s16, v0
	v_add_co_ci_u32_e32 v1, vcc_lo, s17, v1, vcc_lo
	global_store_b16 v[0:1], v2, off
.LBB474_26:
	s_nop 0
	s_sendmsg sendmsg(MSG_DEALLOC_VGPRS)
	s_endpgm
.LBB474_27:
	v_dual_mov_b32 v13, 0 :: v_dual_add_nc_u32 v12, s10, v2
	v_add_nc_u32_e32 v2, 0x100, v2
	s_delay_alu instid0(VALU_DEP_2) | instskip(NEXT) | instid1(VALU_DEP_1)
	v_lshlrev_b64 v[12:13], 1, v[12:13]
	v_add_co_u32 v12, s0, s18, v12
	s_delay_alu instid0(VALU_DEP_1) | instskip(SKIP_2) | instid1(SALU_CYCLE_1)
	v_add_co_ci_u32_e64 v13, s0, s19, v13, s0
	global_load_u16 v7, v[12:13], off
	s_or_b32 exec_lo, exec_lo, s1
	s_mov_b32 s1, exec_lo
	v_cmpx_gt_i32_e64 s12, v2
	s_cbranch_execz .LBB474_17
.LBB474_28:
	v_dual_mov_b32 v3, 0 :: v_dual_add_nc_u32 v2, s10, v2
	s_delay_alu instid0(VALU_DEP_1) | instskip(NEXT) | instid1(VALU_DEP_1)
	v_lshlrev_b64 v[2:3], 1, v[2:3]
	v_add_co_u32 v2, s0, s18, v2
	s_delay_alu instid0(VALU_DEP_1)
	v_add_co_ci_u32_e64 v3, s0, s19, v3, s0
	global_load_u16 v3, v[2:3], off
	s_or_b32 exec_lo, exec_lo, s1
	s_and_saveexec_b32 s2, vcc_lo
	s_cbranch_execz .LBB474_18
.LBB474_29:
	s_waitcnt vmcnt(0)
	v_cmp_u_f16_e32 vcc_lo, v11, v11
	v_cmp_gt_f16_e64 s0, s9, v11
	s_delay_alu instid0(VALU_DEP_1) | instskip(SKIP_1) | instid1(VALU_DEP_1)
	s_or_b32 vcc_lo, vcc_lo, s0
	v_mov_b32_e32 v2, 0
	v_lshlrev_b64 v[0:1], 1, v[1:2]
	s_delay_alu instid0(VALU_DEP_1) | instskip(NEXT) | instid1(VALU_DEP_1)
	v_add_co_u32 v12, s1, s16, v0
	v_add_co_ci_u32_e64 v13, s1, s17, v1, s1
	v_dual_cndmask_b32 v1, s9, v11 :: v_dual_mov_b32 v0, v8
	global_store_b16 v[12:13], v1, off
	s_or_b32 exec_lo, exec_lo, s2
	s_delay_alu instid0(SALU_CYCLE_1)
	s_mov_b32 s1, exec_lo
	v_cmpx_gt_i32_e64 s12, v0
	s_cbranch_execz .LBB474_19
.LBB474_30:
	v_dual_mov_b32 v2, 0 :: v_dual_add_nc_u32 v1, s10, v0
	s_waitcnt vmcnt(0)
	v_cmp_u_f16_e32 vcc_lo, v6, v6
	v_cmp_gt_f16_e64 s0, s9, v6
	v_add_nc_u32_e32 v0, 0x100, v0
	v_lshlrev_b64 v[1:2], 1, v[1:2]
	s_delay_alu instid0(VALU_DEP_3) | instskip(SKIP_1) | instid1(VALU_DEP_2)
	s_or_b32 vcc_lo, vcc_lo, s0
	v_cndmask_b32_e32 v6, s9, v6, vcc_lo
	v_add_co_u32 v1, vcc_lo, s16, v1
	s_delay_alu instid0(VALU_DEP_3) | instskip(SKIP_2) | instid1(SALU_CYCLE_1)
	v_add_co_ci_u32_e32 v2, vcc_lo, s17, v2, vcc_lo
	global_store_b16 v[1:2], v6, off
	s_or_b32 exec_lo, exec_lo, s1
	s_mov_b32 s1, exec_lo
	v_cmpx_gt_i32_e64 s12, v0
	s_cbranch_execz .LBB474_20
.LBB474_31:
	v_dual_mov_b32 v2, 0 :: v_dual_add_nc_u32 v1, s10, v0
	s_waitcnt vmcnt(0)
	v_cmp_u_f16_e32 vcc_lo, v10, v10
	v_cmp_gt_f16_e64 s0, s9, v10
	v_add_nc_u32_e32 v0, 0x100, v0
	v_lshlrev_b64 v[1:2], 1, v[1:2]
	s_delay_alu instid0(VALU_DEP_3) | instskip(SKIP_1) | instid1(VALU_DEP_2)
	s_or_b32 vcc_lo, vcc_lo, s0
	v_cndmask_b32_e32 v6, s9, v10, vcc_lo
	v_add_co_u32 v1, vcc_lo, s16, v1
	s_delay_alu instid0(VALU_DEP_3) | instskip(SKIP_2) | instid1(SALU_CYCLE_1)
	v_add_co_ci_u32_e32 v2, vcc_lo, s17, v2, vcc_lo
	global_store_b16 v[1:2], v6, off
	s_or_b32 exec_lo, exec_lo, s1
	s_mov_b32 s1, exec_lo
	v_cmpx_gt_i32_e64 s12, v0
	s_cbranch_execz .LBB474_21
.LBB474_32:
	v_dual_mov_b32 v2, 0 :: v_dual_add_nc_u32 v1, s10, v0
	s_waitcnt vmcnt(0)
	v_cmp_u_f16_e32 vcc_lo, v5, v5
	v_cmp_gt_f16_e64 s0, s9, v5
	v_add_nc_u32_e32 v0, 0x100, v0
	v_lshlrev_b64 v[1:2], 1, v[1:2]
	s_delay_alu instid0(VALU_DEP_3) | instskip(SKIP_1) | instid1(VALU_DEP_2)
	s_or_b32 vcc_lo, vcc_lo, s0
	v_cndmask_b32_e32 v5, s9, v5, vcc_lo
	v_add_co_u32 v1, vcc_lo, s16, v1
	s_delay_alu instid0(VALU_DEP_3) | instskip(SKIP_2) | instid1(SALU_CYCLE_1)
	v_add_co_ci_u32_e32 v2, vcc_lo, s17, v2, vcc_lo
	global_store_b16 v[1:2], v5, off
	s_or_b32 exec_lo, exec_lo, s1
	s_mov_b32 s1, exec_lo
	v_cmpx_gt_i32_e64 s12, v0
	s_cbranch_execz .LBB474_22
.LBB474_33:
	v_dual_mov_b32 v2, 0 :: v_dual_add_nc_u32 v1, s10, v0
	s_waitcnt vmcnt(0)
	v_cmp_u_f16_e32 vcc_lo, v9, v9
	v_cmp_gt_f16_e64 s0, s9, v9
	v_add_nc_u32_e32 v0, 0x100, v0
	v_lshlrev_b64 v[1:2], 1, v[1:2]
	s_delay_alu instid0(VALU_DEP_3) | instskip(SKIP_1) | instid1(VALU_DEP_2)
	s_or_b32 vcc_lo, vcc_lo, s0
	v_cndmask_b32_e32 v5, s9, v9, vcc_lo
	v_add_co_u32 v1, vcc_lo, s16, v1
	s_delay_alu instid0(VALU_DEP_3) | instskip(SKIP_2) | instid1(SALU_CYCLE_1)
	v_add_co_ci_u32_e32 v2, vcc_lo, s17, v2, vcc_lo
	global_store_b16 v[1:2], v5, off
	s_or_b32 exec_lo, exec_lo, s1
	s_mov_b32 s1, exec_lo
	v_cmpx_gt_i32_e64 s12, v0
	s_cbranch_execz .LBB474_23
.LBB474_34:
	v_dual_mov_b32 v2, 0 :: v_dual_add_nc_u32 v1, s10, v0
	s_waitcnt vmcnt(0)
	v_cmp_u_f16_e32 vcc_lo, v4, v4
	v_cmp_gt_f16_e64 s0, s9, v4
	v_add_nc_u32_e32 v0, 0x100, v0
	v_lshlrev_b64 v[1:2], 1, v[1:2]
	s_delay_alu instid0(VALU_DEP_3) | instskip(SKIP_1) | instid1(VALU_DEP_2)
	s_or_b32 vcc_lo, vcc_lo, s0
	v_cndmask_b32_e32 v4, s9, v4, vcc_lo
	v_add_co_u32 v1, vcc_lo, s16, v1
	s_delay_alu instid0(VALU_DEP_3) | instskip(SKIP_2) | instid1(SALU_CYCLE_1)
	v_add_co_ci_u32_e32 v2, vcc_lo, s17, v2, vcc_lo
	global_store_b16 v[1:2], v4, off
	s_or_b32 exec_lo, exec_lo, s1
	s_mov_b32 s1, exec_lo
	v_cmpx_gt_i32_e64 s12, v0
	s_cbranch_execz .LBB474_24
.LBB474_35:
	v_dual_mov_b32 v2, 0 :: v_dual_add_nc_u32 v1, s10, v0
	s_waitcnt vmcnt(0)
	v_cmp_u_f16_e32 vcc_lo, v7, v7
	v_cmp_gt_f16_e64 s0, s9, v7
	v_add_nc_u32_e32 v0, 0x100, v0
	v_lshlrev_b64 v[1:2], 1, v[1:2]
	s_delay_alu instid0(VALU_DEP_3) | instskip(SKIP_1) | instid1(VALU_DEP_2)
	s_or_b32 vcc_lo, vcc_lo, s0
	v_cndmask_b32_e32 v4, s9, v7, vcc_lo
	v_add_co_u32 v1, vcc_lo, s16, v1
	s_delay_alu instid0(VALU_DEP_3) | instskip(SKIP_2) | instid1(SALU_CYCLE_1)
	v_add_co_ci_u32_e32 v2, vcc_lo, s17, v2, vcc_lo
	global_store_b16 v[1:2], v4, off
	s_or_b32 exec_lo, exec_lo, s1
	s_mov_b32 s0, exec_lo
	v_cmpx_gt_i32_e64 s12, v0
	s_cbranch_execnz .LBB474_25
	s_branch .LBB474_26
	.section	.rodata,"a",@progbits
	.p2align	6, 0x0
	.amdhsa_kernel _ZN2at6native29vectorized_elementwise_kernelILi16EZZZNS0_21clamp_max_kernel_cudaERNS_18TensorIteratorBaseERKN3c106ScalarEENKUlvE_clEvENKUlvE6_clEvEUlNS4_4HalfEE_St5arrayIPcLm2EEEEviT0_T1_
		.amdhsa_group_segment_fixed_size 0
		.amdhsa_private_segment_fixed_size 0
		.amdhsa_kernarg_size 24
		.amdhsa_user_sgpr_count 15
		.amdhsa_user_sgpr_dispatch_ptr 0
		.amdhsa_user_sgpr_queue_ptr 0
		.amdhsa_user_sgpr_kernarg_segment_ptr 1
		.amdhsa_user_sgpr_dispatch_id 0
		.amdhsa_user_sgpr_private_segment_size 0
		.amdhsa_wavefront_size32 1
		.amdhsa_uses_dynamic_stack 0
		.amdhsa_enable_private_segment 0
		.amdhsa_system_sgpr_workgroup_id_x 1
		.amdhsa_system_sgpr_workgroup_id_y 0
		.amdhsa_system_sgpr_workgroup_id_z 0
		.amdhsa_system_sgpr_workgroup_info 0
		.amdhsa_system_vgpr_workitem_id 0
		.amdhsa_next_free_vgpr 14
		.amdhsa_next_free_sgpr 20
		.amdhsa_reserve_vcc 1
		.amdhsa_float_round_mode_32 0
		.amdhsa_float_round_mode_16_64 0
		.amdhsa_float_denorm_mode_32 3
		.amdhsa_float_denorm_mode_16_64 3
		.amdhsa_dx10_clamp 1
		.amdhsa_ieee_mode 1
		.amdhsa_fp16_overflow 0
		.amdhsa_workgroup_processor_mode 1
		.amdhsa_memory_ordered 1
		.amdhsa_forward_progress 0
		.amdhsa_shared_vgpr_count 0
		.amdhsa_exception_fp_ieee_invalid_op 0
		.amdhsa_exception_fp_denorm_src 0
		.amdhsa_exception_fp_ieee_div_zero 0
		.amdhsa_exception_fp_ieee_overflow 0
		.amdhsa_exception_fp_ieee_underflow 0
		.amdhsa_exception_fp_ieee_inexact 0
		.amdhsa_exception_int_div_zero 0
	.end_amdhsa_kernel
	.section	.text._ZN2at6native29vectorized_elementwise_kernelILi16EZZZNS0_21clamp_max_kernel_cudaERNS_18TensorIteratorBaseERKN3c106ScalarEENKUlvE_clEvENKUlvE6_clEvEUlNS4_4HalfEE_St5arrayIPcLm2EEEEviT0_T1_,"axG",@progbits,_ZN2at6native29vectorized_elementwise_kernelILi16EZZZNS0_21clamp_max_kernel_cudaERNS_18TensorIteratorBaseERKN3c106ScalarEENKUlvE_clEvENKUlvE6_clEvEUlNS4_4HalfEE_St5arrayIPcLm2EEEEviT0_T1_,comdat
.Lfunc_end474:
	.size	_ZN2at6native29vectorized_elementwise_kernelILi16EZZZNS0_21clamp_max_kernel_cudaERNS_18TensorIteratorBaseERKN3c106ScalarEENKUlvE_clEvENKUlvE6_clEvEUlNS4_4HalfEE_St5arrayIPcLm2EEEEviT0_T1_, .Lfunc_end474-_ZN2at6native29vectorized_elementwise_kernelILi16EZZZNS0_21clamp_max_kernel_cudaERNS_18TensorIteratorBaseERKN3c106ScalarEENKUlvE_clEvENKUlvE6_clEvEUlNS4_4HalfEE_St5arrayIPcLm2EEEEviT0_T1_
                                        ; -- End function
	.section	.AMDGPU.csdata,"",@progbits
; Kernel info:
; codeLenInByte = 2004
; NumSgprs: 22
; NumVgprs: 14
; ScratchSize: 0
; MemoryBound: 0
; FloatMode: 240
; IeeeMode: 1
; LDSByteSize: 0 bytes/workgroup (compile time only)
; SGPRBlocks: 2
; VGPRBlocks: 1
; NumSGPRsForWavesPerEU: 22
; NumVGPRsForWavesPerEU: 14
; Occupancy: 16
; WaveLimiterHint : 0
; COMPUTE_PGM_RSRC2:SCRATCH_EN: 0
; COMPUTE_PGM_RSRC2:USER_SGPR: 15
; COMPUTE_PGM_RSRC2:TRAP_HANDLER: 0
; COMPUTE_PGM_RSRC2:TGID_X_EN: 1
; COMPUTE_PGM_RSRC2:TGID_Y_EN: 0
; COMPUTE_PGM_RSRC2:TGID_Z_EN: 0
; COMPUTE_PGM_RSRC2:TIDIG_COMP_CNT: 0
	.section	.text._ZN2at6native29vectorized_elementwise_kernelILi8EZZZNS0_21clamp_max_kernel_cudaERNS_18TensorIteratorBaseERKN3c106ScalarEENKUlvE_clEvENKUlvE6_clEvEUlNS4_4HalfEE_St5arrayIPcLm2EEEEviT0_T1_,"axG",@progbits,_ZN2at6native29vectorized_elementwise_kernelILi8EZZZNS0_21clamp_max_kernel_cudaERNS_18TensorIteratorBaseERKN3c106ScalarEENKUlvE_clEvENKUlvE6_clEvEUlNS4_4HalfEE_St5arrayIPcLm2EEEEviT0_T1_,comdat
	.globl	_ZN2at6native29vectorized_elementwise_kernelILi8EZZZNS0_21clamp_max_kernel_cudaERNS_18TensorIteratorBaseERKN3c106ScalarEENKUlvE_clEvENKUlvE6_clEvEUlNS4_4HalfEE_St5arrayIPcLm2EEEEviT0_T1_ ; -- Begin function _ZN2at6native29vectorized_elementwise_kernelILi8EZZZNS0_21clamp_max_kernel_cudaERNS_18TensorIteratorBaseERKN3c106ScalarEENKUlvE_clEvENKUlvE6_clEvEUlNS4_4HalfEE_St5arrayIPcLm2EEEEviT0_T1_
	.p2align	8
	.type	_ZN2at6native29vectorized_elementwise_kernelILi8EZZZNS0_21clamp_max_kernel_cudaERNS_18TensorIteratorBaseERKN3c106ScalarEENKUlvE_clEvENKUlvE6_clEvEUlNS4_4HalfEE_St5arrayIPcLm2EEEEviT0_T1_,@function
_ZN2at6native29vectorized_elementwise_kernelILi8EZZZNS0_21clamp_max_kernel_cudaERNS_18TensorIteratorBaseERKN3c106ScalarEENKUlvE_clEvENKUlvE6_clEvEUlNS4_4HalfEE_St5arrayIPcLm2EEEEviT0_T1_: ; @_ZN2at6native29vectorized_elementwise_kernelILi8EZZZNS0_21clamp_max_kernel_cudaERNS_18TensorIteratorBaseERKN3c106ScalarEENKUlvE_clEvENKUlvE6_clEvEUlNS4_4HalfEE_St5arrayIPcLm2EEEEviT0_T1_
; %bb.0:
	s_clause 0x1
	s_load_b64 s[8:9], s[0:1], 0x0
	s_load_b128 s[16:19], s[0:1], 0x8
	s_lshl_b32 s10, s15, 11
	s_mov_b32 s0, -1
	s_waitcnt lgkmcnt(0)
	s_sub_i32 s12, s8, s10
	s_delay_alu instid0(SALU_CYCLE_1)
	s_cmpk_gt_i32 s12, 0x7ff
	s_cbranch_scc0 .LBB475_2
; %bb.1:
	s_ashr_i32 s11, s10, 31
	v_lshlrev_b32_e32 v5, 4, v0
	s_lshl_b64 s[14:15], s[10:11], 1
	s_delay_alu instid0(SALU_CYCLE_1)
	s_add_u32 s0, s18, s14
	s_addc_u32 s1, s19, s15
	global_load_b128 v[1:4], v5, s[0:1]
	s_waitcnt vmcnt(0)
	v_cmp_u_f16_e64 s1, v2, v2
	v_cmp_gt_f16_e64 s2, s9, v2
	v_lshrrev_b32_e32 v7, 16, v2
	v_lshrrev_b32_e32 v9, 16, v4
	v_cmp_u_f16_e32 vcc_lo, v1, v1
	v_cmp_gt_f16_e64 s0, s9, v1
	v_cmp_u_f16_e64 s3, v3, v3
	v_cmp_gt_f16_e64 s4, s9, v3
	s_or_b32 s1, s1, s2
	v_lshrrev_b32_e32 v6, 16, v1
	v_lshrrev_b32_e32 v8, 16, v3
	v_cndmask_b32_e64 v2, s9, v2, s1
	v_cmp_u_f16_e64 s1, v7, v7
	v_cmp_gt_f16_e64 s2, s9, v7
	s_or_b32 vcc_lo, vcc_lo, s0
	s_or_b32 s3, s3, s4
	v_cmp_u_f16_e64 s7, v9, v9
	v_cmp_gt_f16_e64 s8, s9, v9
	v_cmp_u_f16_e64 s5, v4, v4
	v_cmp_gt_f16_e64 s6, s9, v4
	v_cndmask_b32_e32 v1, s9, v1, vcc_lo
	v_cmp_u_f16_e32 vcc_lo, v6, v6
	v_cmp_gt_f16_e64 s0, s9, v6
	v_cndmask_b32_e64 v3, s9, v3, s3
	v_cmp_u_f16_e64 s3, v8, v8
	v_cmp_gt_f16_e64 s4, s9, v8
	s_or_b32 s1, s1, s2
	s_or_b32 s5, s5, s6
	v_cndmask_b32_e64 v7, s9, v7, s1
	s_or_b32 s1, s7, s8
	s_or_b32 vcc_lo, vcc_lo, s0
	v_cndmask_b32_e64 v9, s9, v9, s1
	v_cndmask_b32_e32 v6, s9, v6, vcc_lo
	s_or_b32 s1, s3, s4
	v_cndmask_b32_e64 v4, s9, v4, s5
	v_cndmask_b32_e64 v8, s9, v8, s1
	v_perm_b32 v2, v7, v2, 0x5040100
	v_perm_b32 v1, v6, v1, 0x5040100
	s_add_u32 s2, s16, s14
	v_perm_b32 v4, v9, v4, 0x5040100
	v_perm_b32 v3, v8, v3, 0x5040100
	s_addc_u32 s3, s17, s15
	s_mov_b32 s0, 0
	global_store_b128 v5, v[1:4], s[2:3]
.LBB475_2:
	s_and_not1_b32 vcc_lo, exec_lo, s0
	s_cbranch_vccnz .LBB475_26
; %bb.3:
	v_cmp_gt_i32_e32 vcc_lo, s12, v0
	v_dual_mov_b32 v6, 0 :: v_dual_mov_b32 v11, 0
	v_or_b32_e32 v1, s10, v0
	v_or_b32_e32 v8, 0x100, v0
	v_mov_b32_e32 v2, v0
	s_and_saveexec_b32 s1, vcc_lo
	s_cbranch_execz .LBB475_5
; %bb.4:
	v_mov_b32_e32 v2, 0
	s_delay_alu instid0(VALU_DEP_1) | instskip(NEXT) | instid1(VALU_DEP_1)
	v_lshlrev_b64 v[2:3], 1, v[1:2]
	v_add_co_u32 v2, s0, s18, v2
	s_delay_alu instid0(VALU_DEP_1)
	v_add_co_ci_u32_e64 v3, s0, s19, v3, s0
	global_load_u16 v11, v[2:3], off
	v_or_b32_e32 v2, 0x100, v0
.LBB475_5:
	s_or_b32 exec_lo, exec_lo, s1
	s_delay_alu instid0(SALU_CYCLE_1) | instskip(NEXT) | instid1(VALU_DEP_1)
	s_mov_b32 s1, exec_lo
	v_cmpx_gt_i32_e64 s12, v2
	s_cbranch_execz .LBB475_7
; %bb.6:
	v_dual_mov_b32 v4, 0 :: v_dual_add_nc_u32 v3, s10, v2
	v_add_nc_u32_e32 v2, 0x100, v2
	s_delay_alu instid0(VALU_DEP_2) | instskip(NEXT) | instid1(VALU_DEP_1)
	v_lshlrev_b64 v[3:4], 1, v[3:4]
	v_add_co_u32 v3, s0, s18, v3
	s_delay_alu instid0(VALU_DEP_1)
	v_add_co_ci_u32_e64 v4, s0, s19, v4, s0
	global_load_u16 v6, v[3:4], off
.LBB475_7:
	s_or_b32 exec_lo, exec_lo, s1
	v_dual_mov_b32 v5, 0 :: v_dual_mov_b32 v10, 0
	s_mov_b32 s1, exec_lo
	v_cmpx_gt_i32_e64 s12, v2
	s_cbranch_execz .LBB475_9
; %bb.8:
	v_dual_mov_b32 v4, 0 :: v_dual_add_nc_u32 v3, s10, v2
	v_add_nc_u32_e32 v2, 0x100, v2
	s_delay_alu instid0(VALU_DEP_2) | instskip(NEXT) | instid1(VALU_DEP_1)
	v_lshlrev_b64 v[3:4], 1, v[3:4]
	v_add_co_u32 v3, s0, s18, v3
	s_delay_alu instid0(VALU_DEP_1)
	v_add_co_ci_u32_e64 v4, s0, s19, v4, s0
	global_load_u16 v10, v[3:4], off
.LBB475_9:
	s_or_b32 exec_lo, exec_lo, s1
	s_delay_alu instid0(SALU_CYCLE_1)
	s_mov_b32 s1, exec_lo
	v_cmpx_gt_i32_e64 s12, v2
	s_cbranch_execz .LBB475_11
; %bb.10:
	v_dual_mov_b32 v4, 0 :: v_dual_add_nc_u32 v3, s10, v2
	v_add_nc_u32_e32 v2, 0x100, v2
	s_delay_alu instid0(VALU_DEP_2) | instskip(NEXT) | instid1(VALU_DEP_1)
	v_lshlrev_b64 v[3:4], 1, v[3:4]
	v_add_co_u32 v3, s0, s18, v3
	s_delay_alu instid0(VALU_DEP_1)
	v_add_co_ci_u32_e64 v4, s0, s19, v4, s0
	global_load_u16 v5, v[3:4], off
.LBB475_11:
	s_or_b32 exec_lo, exec_lo, s1
	v_dual_mov_b32 v4, 0 :: v_dual_mov_b32 v9, 0
	s_mov_b32 s1, exec_lo
	v_cmpx_gt_i32_e64 s12, v2
	s_cbranch_execz .LBB475_13
; %bb.12:
	v_dual_mov_b32 v13, 0 :: v_dual_add_nc_u32 v12, s10, v2
	v_add_nc_u32_e32 v2, 0x100, v2
	s_delay_alu instid0(VALU_DEP_2) | instskip(NEXT) | instid1(VALU_DEP_1)
	v_lshlrev_b64 v[12:13], 1, v[12:13]
	v_add_co_u32 v12, s0, s18, v12
	s_delay_alu instid0(VALU_DEP_1)
	v_add_co_ci_u32_e64 v13, s0, s19, v13, s0
	global_load_u16 v9, v[12:13], off
.LBB475_13:
	s_or_b32 exec_lo, exec_lo, s1
	s_delay_alu instid0(SALU_CYCLE_1)
	s_mov_b32 s1, exec_lo
	v_cmpx_gt_i32_e64 s12, v2
	s_cbranch_execz .LBB475_15
; %bb.14:
	v_dual_mov_b32 v4, 0 :: v_dual_add_nc_u32 v3, s10, v2
	v_add_nc_u32_e32 v2, 0x100, v2
	s_delay_alu instid0(VALU_DEP_2) | instskip(NEXT) | instid1(VALU_DEP_1)
	v_lshlrev_b64 v[3:4], 1, v[3:4]
	v_add_co_u32 v3, s0, s18, v3
	s_delay_alu instid0(VALU_DEP_1)
	v_add_co_ci_u32_e64 v4, s0, s19, v4, s0
	global_load_u16 v4, v[3:4], off
.LBB475_15:
	s_or_b32 exec_lo, exec_lo, s1
	v_mov_b32_e32 v3, 0
	v_mov_b32_e32 v7, 0
	s_mov_b32 s1, exec_lo
	v_cmpx_gt_i32_e64 s12, v2
	s_cbranch_execnz .LBB475_27
; %bb.16:
	s_or_b32 exec_lo, exec_lo, s1
	s_delay_alu instid0(SALU_CYCLE_1)
	s_mov_b32 s1, exec_lo
	v_cmpx_gt_i32_e64 s12, v2
	s_cbranch_execnz .LBB475_28
.LBB475_17:
	s_or_b32 exec_lo, exec_lo, s1
	s_and_saveexec_b32 s2, vcc_lo
	s_cbranch_execnz .LBB475_29
.LBB475_18:
	s_or_b32 exec_lo, exec_lo, s2
	s_delay_alu instid0(SALU_CYCLE_1)
	s_mov_b32 s1, exec_lo
	v_cmpx_gt_i32_e64 s12, v0
	s_cbranch_execnz .LBB475_30
.LBB475_19:
	s_or_b32 exec_lo, exec_lo, s1
	s_delay_alu instid0(SALU_CYCLE_1)
	s_mov_b32 s1, exec_lo
	v_cmpx_gt_i32_e64 s12, v0
	s_cbranch_execnz .LBB475_31
.LBB475_20:
	s_or_b32 exec_lo, exec_lo, s1
	s_delay_alu instid0(SALU_CYCLE_1)
	s_mov_b32 s1, exec_lo
	v_cmpx_gt_i32_e64 s12, v0
	s_cbranch_execnz .LBB475_32
.LBB475_21:
	s_or_b32 exec_lo, exec_lo, s1
	s_delay_alu instid0(SALU_CYCLE_1)
	s_mov_b32 s1, exec_lo
	v_cmpx_gt_i32_e64 s12, v0
	s_cbranch_execnz .LBB475_33
.LBB475_22:
	s_or_b32 exec_lo, exec_lo, s1
	s_delay_alu instid0(SALU_CYCLE_1)
	s_mov_b32 s1, exec_lo
	v_cmpx_gt_i32_e64 s12, v0
	s_cbranch_execnz .LBB475_34
.LBB475_23:
	s_or_b32 exec_lo, exec_lo, s1
	s_delay_alu instid0(SALU_CYCLE_1)
	s_mov_b32 s1, exec_lo
	v_cmpx_gt_i32_e64 s12, v0
	s_cbranch_execnz .LBB475_35
.LBB475_24:
	s_or_b32 exec_lo, exec_lo, s1
	s_delay_alu instid0(SALU_CYCLE_1)
	s_mov_b32 s0, exec_lo
	v_cmpx_gt_i32_e64 s12, v0
	s_cbranch_execz .LBB475_26
.LBB475_25:
	v_dual_mov_b32 v1, 0 :: v_dual_add_nc_u32 v0, s10, v0
	s_waitcnt vmcnt(0)
	v_cmp_u_f16_e32 vcc_lo, v3, v3
	v_cmp_gt_f16_e64 s0, s9, v3
	s_delay_alu instid0(VALU_DEP_3) | instskip(NEXT) | instid1(VALU_DEP_2)
	v_lshlrev_b64 v[0:1], 1, v[0:1]
	s_or_b32 vcc_lo, vcc_lo, s0
	v_cndmask_b32_e32 v2, s9, v3, vcc_lo
	s_delay_alu instid0(VALU_DEP_2) | instskip(NEXT) | instid1(VALU_DEP_3)
	v_add_co_u32 v0, vcc_lo, s16, v0
	v_add_co_ci_u32_e32 v1, vcc_lo, s17, v1, vcc_lo
	global_store_b16 v[0:1], v2, off
.LBB475_26:
	s_nop 0
	s_sendmsg sendmsg(MSG_DEALLOC_VGPRS)
	s_endpgm
.LBB475_27:
	v_dual_mov_b32 v13, 0 :: v_dual_add_nc_u32 v12, s10, v2
	v_add_nc_u32_e32 v2, 0x100, v2
	s_delay_alu instid0(VALU_DEP_2) | instskip(NEXT) | instid1(VALU_DEP_1)
	v_lshlrev_b64 v[12:13], 1, v[12:13]
	v_add_co_u32 v12, s0, s18, v12
	s_delay_alu instid0(VALU_DEP_1) | instskip(SKIP_2) | instid1(SALU_CYCLE_1)
	v_add_co_ci_u32_e64 v13, s0, s19, v13, s0
	global_load_u16 v7, v[12:13], off
	s_or_b32 exec_lo, exec_lo, s1
	s_mov_b32 s1, exec_lo
	v_cmpx_gt_i32_e64 s12, v2
	s_cbranch_execz .LBB475_17
.LBB475_28:
	v_dual_mov_b32 v3, 0 :: v_dual_add_nc_u32 v2, s10, v2
	s_delay_alu instid0(VALU_DEP_1) | instskip(NEXT) | instid1(VALU_DEP_1)
	v_lshlrev_b64 v[2:3], 1, v[2:3]
	v_add_co_u32 v2, s0, s18, v2
	s_delay_alu instid0(VALU_DEP_1)
	v_add_co_ci_u32_e64 v3, s0, s19, v3, s0
	global_load_u16 v3, v[2:3], off
	s_or_b32 exec_lo, exec_lo, s1
	s_and_saveexec_b32 s2, vcc_lo
	s_cbranch_execz .LBB475_18
.LBB475_29:
	s_waitcnt vmcnt(0)
	v_cmp_u_f16_e32 vcc_lo, v11, v11
	v_cmp_gt_f16_e64 s0, s9, v11
	s_delay_alu instid0(VALU_DEP_1) | instskip(SKIP_1) | instid1(VALU_DEP_1)
	s_or_b32 vcc_lo, vcc_lo, s0
	v_mov_b32_e32 v2, 0
	v_lshlrev_b64 v[0:1], 1, v[1:2]
	s_delay_alu instid0(VALU_DEP_1) | instskip(NEXT) | instid1(VALU_DEP_1)
	v_add_co_u32 v12, s1, s16, v0
	v_add_co_ci_u32_e64 v13, s1, s17, v1, s1
	v_dual_cndmask_b32 v1, s9, v11 :: v_dual_mov_b32 v0, v8
	global_store_b16 v[12:13], v1, off
	s_or_b32 exec_lo, exec_lo, s2
	s_delay_alu instid0(SALU_CYCLE_1)
	s_mov_b32 s1, exec_lo
	v_cmpx_gt_i32_e64 s12, v0
	s_cbranch_execz .LBB475_19
.LBB475_30:
	v_dual_mov_b32 v2, 0 :: v_dual_add_nc_u32 v1, s10, v0
	s_waitcnt vmcnt(0)
	v_cmp_u_f16_e32 vcc_lo, v6, v6
	v_cmp_gt_f16_e64 s0, s9, v6
	v_add_nc_u32_e32 v0, 0x100, v0
	v_lshlrev_b64 v[1:2], 1, v[1:2]
	s_delay_alu instid0(VALU_DEP_3) | instskip(SKIP_1) | instid1(VALU_DEP_2)
	s_or_b32 vcc_lo, vcc_lo, s0
	v_cndmask_b32_e32 v6, s9, v6, vcc_lo
	v_add_co_u32 v1, vcc_lo, s16, v1
	s_delay_alu instid0(VALU_DEP_3) | instskip(SKIP_2) | instid1(SALU_CYCLE_1)
	v_add_co_ci_u32_e32 v2, vcc_lo, s17, v2, vcc_lo
	global_store_b16 v[1:2], v6, off
	s_or_b32 exec_lo, exec_lo, s1
	s_mov_b32 s1, exec_lo
	v_cmpx_gt_i32_e64 s12, v0
	s_cbranch_execz .LBB475_20
.LBB475_31:
	v_dual_mov_b32 v2, 0 :: v_dual_add_nc_u32 v1, s10, v0
	s_waitcnt vmcnt(0)
	v_cmp_u_f16_e32 vcc_lo, v10, v10
	v_cmp_gt_f16_e64 s0, s9, v10
	v_add_nc_u32_e32 v0, 0x100, v0
	v_lshlrev_b64 v[1:2], 1, v[1:2]
	s_delay_alu instid0(VALU_DEP_3) | instskip(SKIP_1) | instid1(VALU_DEP_2)
	s_or_b32 vcc_lo, vcc_lo, s0
	v_cndmask_b32_e32 v6, s9, v10, vcc_lo
	v_add_co_u32 v1, vcc_lo, s16, v1
	s_delay_alu instid0(VALU_DEP_3) | instskip(SKIP_2) | instid1(SALU_CYCLE_1)
	v_add_co_ci_u32_e32 v2, vcc_lo, s17, v2, vcc_lo
	global_store_b16 v[1:2], v6, off
	s_or_b32 exec_lo, exec_lo, s1
	s_mov_b32 s1, exec_lo
	v_cmpx_gt_i32_e64 s12, v0
	s_cbranch_execz .LBB475_21
.LBB475_32:
	v_dual_mov_b32 v2, 0 :: v_dual_add_nc_u32 v1, s10, v0
	s_waitcnt vmcnt(0)
	v_cmp_u_f16_e32 vcc_lo, v5, v5
	v_cmp_gt_f16_e64 s0, s9, v5
	v_add_nc_u32_e32 v0, 0x100, v0
	v_lshlrev_b64 v[1:2], 1, v[1:2]
	s_delay_alu instid0(VALU_DEP_3) | instskip(SKIP_1) | instid1(VALU_DEP_2)
	s_or_b32 vcc_lo, vcc_lo, s0
	v_cndmask_b32_e32 v5, s9, v5, vcc_lo
	v_add_co_u32 v1, vcc_lo, s16, v1
	s_delay_alu instid0(VALU_DEP_3) | instskip(SKIP_2) | instid1(SALU_CYCLE_1)
	v_add_co_ci_u32_e32 v2, vcc_lo, s17, v2, vcc_lo
	global_store_b16 v[1:2], v5, off
	s_or_b32 exec_lo, exec_lo, s1
	s_mov_b32 s1, exec_lo
	v_cmpx_gt_i32_e64 s12, v0
	s_cbranch_execz .LBB475_22
.LBB475_33:
	v_dual_mov_b32 v2, 0 :: v_dual_add_nc_u32 v1, s10, v0
	s_waitcnt vmcnt(0)
	v_cmp_u_f16_e32 vcc_lo, v9, v9
	v_cmp_gt_f16_e64 s0, s9, v9
	v_add_nc_u32_e32 v0, 0x100, v0
	v_lshlrev_b64 v[1:2], 1, v[1:2]
	s_delay_alu instid0(VALU_DEP_3) | instskip(SKIP_1) | instid1(VALU_DEP_2)
	s_or_b32 vcc_lo, vcc_lo, s0
	v_cndmask_b32_e32 v5, s9, v9, vcc_lo
	v_add_co_u32 v1, vcc_lo, s16, v1
	s_delay_alu instid0(VALU_DEP_3) | instskip(SKIP_2) | instid1(SALU_CYCLE_1)
	v_add_co_ci_u32_e32 v2, vcc_lo, s17, v2, vcc_lo
	global_store_b16 v[1:2], v5, off
	s_or_b32 exec_lo, exec_lo, s1
	s_mov_b32 s1, exec_lo
	v_cmpx_gt_i32_e64 s12, v0
	s_cbranch_execz .LBB475_23
.LBB475_34:
	v_dual_mov_b32 v2, 0 :: v_dual_add_nc_u32 v1, s10, v0
	s_waitcnt vmcnt(0)
	v_cmp_u_f16_e32 vcc_lo, v4, v4
	v_cmp_gt_f16_e64 s0, s9, v4
	v_add_nc_u32_e32 v0, 0x100, v0
	v_lshlrev_b64 v[1:2], 1, v[1:2]
	s_delay_alu instid0(VALU_DEP_3) | instskip(SKIP_1) | instid1(VALU_DEP_2)
	s_or_b32 vcc_lo, vcc_lo, s0
	v_cndmask_b32_e32 v4, s9, v4, vcc_lo
	v_add_co_u32 v1, vcc_lo, s16, v1
	s_delay_alu instid0(VALU_DEP_3) | instskip(SKIP_2) | instid1(SALU_CYCLE_1)
	v_add_co_ci_u32_e32 v2, vcc_lo, s17, v2, vcc_lo
	global_store_b16 v[1:2], v4, off
	s_or_b32 exec_lo, exec_lo, s1
	s_mov_b32 s1, exec_lo
	v_cmpx_gt_i32_e64 s12, v0
	s_cbranch_execz .LBB475_24
.LBB475_35:
	v_dual_mov_b32 v2, 0 :: v_dual_add_nc_u32 v1, s10, v0
	s_waitcnt vmcnt(0)
	v_cmp_u_f16_e32 vcc_lo, v7, v7
	v_cmp_gt_f16_e64 s0, s9, v7
	v_add_nc_u32_e32 v0, 0x100, v0
	v_lshlrev_b64 v[1:2], 1, v[1:2]
	s_delay_alu instid0(VALU_DEP_3) | instskip(SKIP_1) | instid1(VALU_DEP_2)
	s_or_b32 vcc_lo, vcc_lo, s0
	v_cndmask_b32_e32 v4, s9, v7, vcc_lo
	v_add_co_u32 v1, vcc_lo, s16, v1
	s_delay_alu instid0(VALU_DEP_3) | instskip(SKIP_2) | instid1(SALU_CYCLE_1)
	v_add_co_ci_u32_e32 v2, vcc_lo, s17, v2, vcc_lo
	global_store_b16 v[1:2], v4, off
	s_or_b32 exec_lo, exec_lo, s1
	s_mov_b32 s0, exec_lo
	v_cmpx_gt_i32_e64 s12, v0
	s_cbranch_execnz .LBB475_25
	s_branch .LBB475_26
	.section	.rodata,"a",@progbits
	.p2align	6, 0x0
	.amdhsa_kernel _ZN2at6native29vectorized_elementwise_kernelILi8EZZZNS0_21clamp_max_kernel_cudaERNS_18TensorIteratorBaseERKN3c106ScalarEENKUlvE_clEvENKUlvE6_clEvEUlNS4_4HalfEE_St5arrayIPcLm2EEEEviT0_T1_
		.amdhsa_group_segment_fixed_size 0
		.amdhsa_private_segment_fixed_size 0
		.amdhsa_kernarg_size 24
		.amdhsa_user_sgpr_count 15
		.amdhsa_user_sgpr_dispatch_ptr 0
		.amdhsa_user_sgpr_queue_ptr 0
		.amdhsa_user_sgpr_kernarg_segment_ptr 1
		.amdhsa_user_sgpr_dispatch_id 0
		.amdhsa_user_sgpr_private_segment_size 0
		.amdhsa_wavefront_size32 1
		.amdhsa_uses_dynamic_stack 0
		.amdhsa_enable_private_segment 0
		.amdhsa_system_sgpr_workgroup_id_x 1
		.amdhsa_system_sgpr_workgroup_id_y 0
		.amdhsa_system_sgpr_workgroup_id_z 0
		.amdhsa_system_sgpr_workgroup_info 0
		.amdhsa_system_vgpr_workitem_id 0
		.amdhsa_next_free_vgpr 14
		.amdhsa_next_free_sgpr 20
		.amdhsa_reserve_vcc 1
		.amdhsa_float_round_mode_32 0
		.amdhsa_float_round_mode_16_64 0
		.amdhsa_float_denorm_mode_32 3
		.amdhsa_float_denorm_mode_16_64 3
		.amdhsa_dx10_clamp 1
		.amdhsa_ieee_mode 1
		.amdhsa_fp16_overflow 0
		.amdhsa_workgroup_processor_mode 1
		.amdhsa_memory_ordered 1
		.amdhsa_forward_progress 0
		.amdhsa_shared_vgpr_count 0
		.amdhsa_exception_fp_ieee_invalid_op 0
		.amdhsa_exception_fp_denorm_src 0
		.amdhsa_exception_fp_ieee_div_zero 0
		.amdhsa_exception_fp_ieee_overflow 0
		.amdhsa_exception_fp_ieee_underflow 0
		.amdhsa_exception_fp_ieee_inexact 0
		.amdhsa_exception_int_div_zero 0
	.end_amdhsa_kernel
	.section	.text._ZN2at6native29vectorized_elementwise_kernelILi8EZZZNS0_21clamp_max_kernel_cudaERNS_18TensorIteratorBaseERKN3c106ScalarEENKUlvE_clEvENKUlvE6_clEvEUlNS4_4HalfEE_St5arrayIPcLm2EEEEviT0_T1_,"axG",@progbits,_ZN2at6native29vectorized_elementwise_kernelILi8EZZZNS0_21clamp_max_kernel_cudaERNS_18TensorIteratorBaseERKN3c106ScalarEENKUlvE_clEvENKUlvE6_clEvEUlNS4_4HalfEE_St5arrayIPcLm2EEEEviT0_T1_,comdat
.Lfunc_end475:
	.size	_ZN2at6native29vectorized_elementwise_kernelILi8EZZZNS0_21clamp_max_kernel_cudaERNS_18TensorIteratorBaseERKN3c106ScalarEENKUlvE_clEvENKUlvE6_clEvEUlNS4_4HalfEE_St5arrayIPcLm2EEEEviT0_T1_, .Lfunc_end475-_ZN2at6native29vectorized_elementwise_kernelILi8EZZZNS0_21clamp_max_kernel_cudaERNS_18TensorIteratorBaseERKN3c106ScalarEENKUlvE_clEvENKUlvE6_clEvEUlNS4_4HalfEE_St5arrayIPcLm2EEEEviT0_T1_
                                        ; -- End function
	.section	.AMDGPU.csdata,"",@progbits
; Kernel info:
; codeLenInByte = 2004
; NumSgprs: 22
; NumVgprs: 14
; ScratchSize: 0
; MemoryBound: 0
; FloatMode: 240
; IeeeMode: 1
; LDSByteSize: 0 bytes/workgroup (compile time only)
; SGPRBlocks: 2
; VGPRBlocks: 1
; NumSGPRsForWavesPerEU: 22
; NumVGPRsForWavesPerEU: 14
; Occupancy: 16
; WaveLimiterHint : 0
; COMPUTE_PGM_RSRC2:SCRATCH_EN: 0
; COMPUTE_PGM_RSRC2:USER_SGPR: 15
; COMPUTE_PGM_RSRC2:TRAP_HANDLER: 0
; COMPUTE_PGM_RSRC2:TGID_X_EN: 1
; COMPUTE_PGM_RSRC2:TGID_Y_EN: 0
; COMPUTE_PGM_RSRC2:TGID_Z_EN: 0
; COMPUTE_PGM_RSRC2:TIDIG_COMP_CNT: 0
	.section	.text._ZN2at6native29vectorized_elementwise_kernelILi4EZZZNS0_21clamp_max_kernel_cudaERNS_18TensorIteratorBaseERKN3c106ScalarEENKUlvE_clEvENKUlvE6_clEvEUlNS4_4HalfEE_St5arrayIPcLm2EEEEviT0_T1_,"axG",@progbits,_ZN2at6native29vectorized_elementwise_kernelILi4EZZZNS0_21clamp_max_kernel_cudaERNS_18TensorIteratorBaseERKN3c106ScalarEENKUlvE_clEvENKUlvE6_clEvEUlNS4_4HalfEE_St5arrayIPcLm2EEEEviT0_T1_,comdat
	.globl	_ZN2at6native29vectorized_elementwise_kernelILi4EZZZNS0_21clamp_max_kernel_cudaERNS_18TensorIteratorBaseERKN3c106ScalarEENKUlvE_clEvENKUlvE6_clEvEUlNS4_4HalfEE_St5arrayIPcLm2EEEEviT0_T1_ ; -- Begin function _ZN2at6native29vectorized_elementwise_kernelILi4EZZZNS0_21clamp_max_kernel_cudaERNS_18TensorIteratorBaseERKN3c106ScalarEENKUlvE_clEvENKUlvE6_clEvEUlNS4_4HalfEE_St5arrayIPcLm2EEEEviT0_T1_
	.p2align	8
	.type	_ZN2at6native29vectorized_elementwise_kernelILi4EZZZNS0_21clamp_max_kernel_cudaERNS_18TensorIteratorBaseERKN3c106ScalarEENKUlvE_clEvENKUlvE6_clEvEUlNS4_4HalfEE_St5arrayIPcLm2EEEEviT0_T1_,@function
_ZN2at6native29vectorized_elementwise_kernelILi4EZZZNS0_21clamp_max_kernel_cudaERNS_18TensorIteratorBaseERKN3c106ScalarEENKUlvE_clEvENKUlvE6_clEvEUlNS4_4HalfEE_St5arrayIPcLm2EEEEviT0_T1_: ; @_ZN2at6native29vectorized_elementwise_kernelILi4EZZZNS0_21clamp_max_kernel_cudaERNS_18TensorIteratorBaseERKN3c106ScalarEENKUlvE_clEvENKUlvE6_clEvEUlNS4_4HalfEE_St5arrayIPcLm2EEEEviT0_T1_
; %bb.0:
	s_clause 0x1
	s_load_b64 s[6:7], s[0:1], 0x0
	s_load_b128 s[8:11], s[0:1], 0x8
	s_lshl_b32 s12, s15, 11
	s_mov_b32 s0, -1
	s_waitcnt lgkmcnt(0)
	s_sub_i32 s14, s6, s12
	s_delay_alu instid0(SALU_CYCLE_1)
	s_cmpk_gt_i32 s14, 0x7ff
	s_cbranch_scc0 .LBB476_2
; %bb.1:
	s_ashr_i32 s13, s12, 31
	v_lshlrev_b32_e32 v5, 3, v0
	s_lshl_b64 s[16:17], s[12:13], 1
	s_delay_alu instid0(SALU_CYCLE_1)
	s_add_u32 s0, s10, s16
	s_addc_u32 s1, s11, s17
	s_clause 0x1
	global_load_b64 v[1:2], v5, s[0:1]
	global_load_b64 v[3:4], v5, s[0:1] offset:2048
	s_waitcnt vmcnt(1)
	v_cmp_u_f16_e32 vcc_lo, v1, v1
	v_cmp_gt_f16_e64 s0, s7, v1
	v_lshrrev_b32_e32 v6, 16, v1
	v_cmp_u_f16_e64 s1, v2, v2
	v_cmp_gt_f16_e64 s2, s7, v2
	v_lshrrev_b32_e32 v7, 16, v2
	s_waitcnt vmcnt(0)
	v_cmp_u_f16_e64 s3, v3, v3
	v_cmp_gt_f16_e64 s4, s7, v3
	s_or_b32 vcc_lo, vcc_lo, s0
	v_lshrrev_b32_e32 v8, 16, v3
	v_cndmask_b32_e32 v1, s7, v1, vcc_lo
	v_cmp_u_f16_e32 vcc_lo, v6, v6
	v_cmp_gt_f16_e64 s0, s7, v6
	s_or_b32 s1, s1, s2
	v_cmp_u_f16_e64 s5, v4, v4
	v_cmp_gt_f16_e64 s6, s7, v4
	v_cndmask_b32_e64 v2, s7, v2, s1
	v_cmp_u_f16_e64 s1, v7, v7
	v_cmp_gt_f16_e64 s2, s7, v7
	s_or_b32 s3, s3, s4
	v_lshrrev_b32_e32 v9, 16, v4
	v_cndmask_b32_e64 v3, s7, v3, s3
	v_cmp_u_f16_e64 s3, v8, v8
	v_cmp_gt_f16_e64 s4, s7, v8
	s_or_b32 vcc_lo, vcc_lo, s0
	s_or_b32 s5, s5, s6
	v_cndmask_b32_e32 v6, s7, v6, vcc_lo
	s_or_b32 vcc_lo, s1, s2
	v_cndmask_b32_e64 v4, s7, v4, s5
	v_cmp_u_f16_e64 s5, v9, v9
	v_cmp_gt_f16_e64 s6, s7, v9
	v_dual_cndmask_b32 v7, s7, v7 :: v_dual_lshlrev_b32 v6, 16, v6
	s_or_b32 vcc_lo, s3, s4
	v_and_b32_e32 v1, 0xffff, v1
	v_cndmask_b32_e32 v8, s7, v8, vcc_lo
	s_or_b32 vcc_lo, s5, s6
	v_and_b32_e32 v3, 0xffff, v3
	v_cndmask_b32_e32 v9, s7, v9, vcc_lo
	v_and_b32_e32 v2, 0xffff, v2
	v_lshlrev_b32_e32 v8, 16, v8
	v_lshlrev_b32_e32 v7, 16, v7
	v_or_b32_e32 v1, v6, v1
	v_and_b32_e32 v4, 0xffff, v4
	v_lshlrev_b32_e32 v9, 16, v9
	v_or_b32_e32 v3, v8, v3
	v_or3_b32 v2, 0, v2, v7
	v_or3_b32 v1, v1, 0, 0
	s_add_u32 s2, s8, s16
	v_or3_b32 v4, 0, v4, v9
	v_or3_b32 v3, v3, 0, 0
	s_addc_u32 s3, s9, s17
	s_mov_b32 s0, 0
	s_clause 0x1
	global_store_b64 v5, v[1:2], s[2:3]
	global_store_b64 v5, v[3:4], s[2:3] offset:2048
.LBB476_2:
	s_and_not1_b32 vcc_lo, exec_lo, s0
	s_cbranch_vccnz .LBB476_26
; %bb.3:
	v_cmp_gt_i32_e32 vcc_lo, s14, v0
	v_dual_mov_b32 v6, 0 :: v_dual_mov_b32 v11, 0
	v_or_b32_e32 v1, s12, v0
	v_or_b32_e32 v8, 0x100, v0
	v_mov_b32_e32 v2, v0
	s_and_saveexec_b32 s1, vcc_lo
	s_cbranch_execz .LBB476_5
; %bb.4:
	v_mov_b32_e32 v2, 0
	s_delay_alu instid0(VALU_DEP_1) | instskip(NEXT) | instid1(VALU_DEP_1)
	v_lshlrev_b64 v[2:3], 1, v[1:2]
	v_add_co_u32 v2, s0, s10, v2
	s_delay_alu instid0(VALU_DEP_1)
	v_add_co_ci_u32_e64 v3, s0, s11, v3, s0
	global_load_u16 v11, v[2:3], off
	v_or_b32_e32 v2, 0x100, v0
.LBB476_5:
	s_or_b32 exec_lo, exec_lo, s1
	s_delay_alu instid0(SALU_CYCLE_1) | instskip(NEXT) | instid1(VALU_DEP_1)
	s_mov_b32 s1, exec_lo
	v_cmpx_gt_i32_e64 s14, v2
	s_cbranch_execz .LBB476_7
; %bb.6:
	v_dual_mov_b32 v4, 0 :: v_dual_add_nc_u32 v3, s12, v2
	v_add_nc_u32_e32 v2, 0x100, v2
	s_delay_alu instid0(VALU_DEP_2) | instskip(NEXT) | instid1(VALU_DEP_1)
	v_lshlrev_b64 v[3:4], 1, v[3:4]
	v_add_co_u32 v3, s0, s10, v3
	s_delay_alu instid0(VALU_DEP_1)
	v_add_co_ci_u32_e64 v4, s0, s11, v4, s0
	global_load_u16 v6, v[3:4], off
.LBB476_7:
	s_or_b32 exec_lo, exec_lo, s1
	v_dual_mov_b32 v5, 0 :: v_dual_mov_b32 v10, 0
	s_mov_b32 s1, exec_lo
	v_cmpx_gt_i32_e64 s14, v2
	s_cbranch_execz .LBB476_9
; %bb.8:
	v_dual_mov_b32 v4, 0 :: v_dual_add_nc_u32 v3, s12, v2
	v_add_nc_u32_e32 v2, 0x100, v2
	s_delay_alu instid0(VALU_DEP_2) | instskip(NEXT) | instid1(VALU_DEP_1)
	v_lshlrev_b64 v[3:4], 1, v[3:4]
	v_add_co_u32 v3, s0, s10, v3
	s_delay_alu instid0(VALU_DEP_1)
	v_add_co_ci_u32_e64 v4, s0, s11, v4, s0
	global_load_u16 v10, v[3:4], off
.LBB476_9:
	s_or_b32 exec_lo, exec_lo, s1
	s_delay_alu instid0(SALU_CYCLE_1)
	s_mov_b32 s1, exec_lo
	v_cmpx_gt_i32_e64 s14, v2
	s_cbranch_execz .LBB476_11
; %bb.10:
	v_dual_mov_b32 v4, 0 :: v_dual_add_nc_u32 v3, s12, v2
	v_add_nc_u32_e32 v2, 0x100, v2
	s_delay_alu instid0(VALU_DEP_2) | instskip(NEXT) | instid1(VALU_DEP_1)
	v_lshlrev_b64 v[3:4], 1, v[3:4]
	v_add_co_u32 v3, s0, s10, v3
	s_delay_alu instid0(VALU_DEP_1)
	v_add_co_ci_u32_e64 v4, s0, s11, v4, s0
	global_load_u16 v5, v[3:4], off
.LBB476_11:
	s_or_b32 exec_lo, exec_lo, s1
	v_dual_mov_b32 v4, 0 :: v_dual_mov_b32 v9, 0
	s_mov_b32 s1, exec_lo
	v_cmpx_gt_i32_e64 s14, v2
	s_cbranch_execz .LBB476_13
; %bb.12:
	v_dual_mov_b32 v13, 0 :: v_dual_add_nc_u32 v12, s12, v2
	v_add_nc_u32_e32 v2, 0x100, v2
	s_delay_alu instid0(VALU_DEP_2) | instskip(NEXT) | instid1(VALU_DEP_1)
	v_lshlrev_b64 v[12:13], 1, v[12:13]
	v_add_co_u32 v12, s0, s10, v12
	s_delay_alu instid0(VALU_DEP_1)
	v_add_co_ci_u32_e64 v13, s0, s11, v13, s0
	global_load_u16 v9, v[12:13], off
.LBB476_13:
	s_or_b32 exec_lo, exec_lo, s1
	s_delay_alu instid0(SALU_CYCLE_1)
	s_mov_b32 s1, exec_lo
	v_cmpx_gt_i32_e64 s14, v2
	s_cbranch_execz .LBB476_15
; %bb.14:
	v_dual_mov_b32 v4, 0 :: v_dual_add_nc_u32 v3, s12, v2
	v_add_nc_u32_e32 v2, 0x100, v2
	s_delay_alu instid0(VALU_DEP_2) | instskip(NEXT) | instid1(VALU_DEP_1)
	v_lshlrev_b64 v[3:4], 1, v[3:4]
	v_add_co_u32 v3, s0, s10, v3
	s_delay_alu instid0(VALU_DEP_1)
	v_add_co_ci_u32_e64 v4, s0, s11, v4, s0
	global_load_u16 v4, v[3:4], off
.LBB476_15:
	s_or_b32 exec_lo, exec_lo, s1
	v_mov_b32_e32 v3, 0
	v_mov_b32_e32 v7, 0
	s_mov_b32 s1, exec_lo
	v_cmpx_gt_i32_e64 s14, v2
	s_cbranch_execnz .LBB476_27
; %bb.16:
	s_or_b32 exec_lo, exec_lo, s1
	s_delay_alu instid0(SALU_CYCLE_1)
	s_mov_b32 s1, exec_lo
	v_cmpx_gt_i32_e64 s14, v2
	s_cbranch_execnz .LBB476_28
.LBB476_17:
	s_or_b32 exec_lo, exec_lo, s1
	s_and_saveexec_b32 s2, vcc_lo
	s_cbranch_execnz .LBB476_29
.LBB476_18:
	s_or_b32 exec_lo, exec_lo, s2
	s_delay_alu instid0(SALU_CYCLE_1)
	s_mov_b32 s1, exec_lo
	v_cmpx_gt_i32_e64 s14, v0
	s_cbranch_execnz .LBB476_30
.LBB476_19:
	s_or_b32 exec_lo, exec_lo, s1
	s_delay_alu instid0(SALU_CYCLE_1)
	s_mov_b32 s1, exec_lo
	v_cmpx_gt_i32_e64 s14, v0
	s_cbranch_execnz .LBB476_31
.LBB476_20:
	s_or_b32 exec_lo, exec_lo, s1
	s_delay_alu instid0(SALU_CYCLE_1)
	s_mov_b32 s1, exec_lo
	v_cmpx_gt_i32_e64 s14, v0
	s_cbranch_execnz .LBB476_32
.LBB476_21:
	s_or_b32 exec_lo, exec_lo, s1
	s_delay_alu instid0(SALU_CYCLE_1)
	s_mov_b32 s1, exec_lo
	v_cmpx_gt_i32_e64 s14, v0
	s_cbranch_execnz .LBB476_33
.LBB476_22:
	s_or_b32 exec_lo, exec_lo, s1
	s_delay_alu instid0(SALU_CYCLE_1)
	s_mov_b32 s1, exec_lo
	v_cmpx_gt_i32_e64 s14, v0
	s_cbranch_execnz .LBB476_34
.LBB476_23:
	s_or_b32 exec_lo, exec_lo, s1
	s_delay_alu instid0(SALU_CYCLE_1)
	s_mov_b32 s1, exec_lo
	v_cmpx_gt_i32_e64 s14, v0
	s_cbranch_execnz .LBB476_35
.LBB476_24:
	s_or_b32 exec_lo, exec_lo, s1
	s_delay_alu instid0(SALU_CYCLE_1)
	s_mov_b32 s0, exec_lo
	v_cmpx_gt_i32_e64 s14, v0
	s_cbranch_execz .LBB476_26
.LBB476_25:
	v_dual_mov_b32 v1, 0 :: v_dual_add_nc_u32 v0, s12, v0
	s_waitcnt vmcnt(0)
	v_cmp_u_f16_e32 vcc_lo, v3, v3
	v_cmp_gt_f16_e64 s0, s7, v3
	s_delay_alu instid0(VALU_DEP_3) | instskip(NEXT) | instid1(VALU_DEP_2)
	v_lshlrev_b64 v[0:1], 1, v[0:1]
	s_or_b32 vcc_lo, vcc_lo, s0
	v_cndmask_b32_e32 v2, s7, v3, vcc_lo
	s_delay_alu instid0(VALU_DEP_2) | instskip(NEXT) | instid1(VALU_DEP_3)
	v_add_co_u32 v0, vcc_lo, s8, v0
	v_add_co_ci_u32_e32 v1, vcc_lo, s9, v1, vcc_lo
	global_store_b16 v[0:1], v2, off
.LBB476_26:
	s_nop 0
	s_sendmsg sendmsg(MSG_DEALLOC_VGPRS)
	s_endpgm
.LBB476_27:
	v_dual_mov_b32 v13, 0 :: v_dual_add_nc_u32 v12, s12, v2
	v_add_nc_u32_e32 v2, 0x100, v2
	s_delay_alu instid0(VALU_DEP_2) | instskip(NEXT) | instid1(VALU_DEP_1)
	v_lshlrev_b64 v[12:13], 1, v[12:13]
	v_add_co_u32 v12, s0, s10, v12
	s_delay_alu instid0(VALU_DEP_1) | instskip(SKIP_2) | instid1(SALU_CYCLE_1)
	v_add_co_ci_u32_e64 v13, s0, s11, v13, s0
	global_load_u16 v7, v[12:13], off
	s_or_b32 exec_lo, exec_lo, s1
	s_mov_b32 s1, exec_lo
	v_cmpx_gt_i32_e64 s14, v2
	s_cbranch_execz .LBB476_17
.LBB476_28:
	v_dual_mov_b32 v3, 0 :: v_dual_add_nc_u32 v2, s12, v2
	s_delay_alu instid0(VALU_DEP_1) | instskip(NEXT) | instid1(VALU_DEP_1)
	v_lshlrev_b64 v[2:3], 1, v[2:3]
	v_add_co_u32 v2, s0, s10, v2
	s_delay_alu instid0(VALU_DEP_1)
	v_add_co_ci_u32_e64 v3, s0, s11, v3, s0
	global_load_u16 v3, v[2:3], off
	s_or_b32 exec_lo, exec_lo, s1
	s_and_saveexec_b32 s2, vcc_lo
	s_cbranch_execz .LBB476_18
.LBB476_29:
	s_waitcnt vmcnt(0)
	v_cmp_u_f16_e32 vcc_lo, v11, v11
	v_cmp_gt_f16_e64 s0, s7, v11
	s_delay_alu instid0(VALU_DEP_1) | instskip(SKIP_1) | instid1(VALU_DEP_1)
	s_or_b32 vcc_lo, vcc_lo, s0
	v_mov_b32_e32 v2, 0
	v_lshlrev_b64 v[0:1], 1, v[1:2]
	s_delay_alu instid0(VALU_DEP_1) | instskip(NEXT) | instid1(VALU_DEP_1)
	v_add_co_u32 v12, s1, s8, v0
	v_add_co_ci_u32_e64 v13, s1, s9, v1, s1
	v_dual_cndmask_b32 v1, s7, v11 :: v_dual_mov_b32 v0, v8
	global_store_b16 v[12:13], v1, off
	s_or_b32 exec_lo, exec_lo, s2
	s_delay_alu instid0(SALU_CYCLE_1)
	s_mov_b32 s1, exec_lo
	v_cmpx_gt_i32_e64 s14, v0
	s_cbranch_execz .LBB476_19
.LBB476_30:
	v_dual_mov_b32 v2, 0 :: v_dual_add_nc_u32 v1, s12, v0
	s_waitcnt vmcnt(0)
	v_cmp_u_f16_e32 vcc_lo, v6, v6
	v_cmp_gt_f16_e64 s0, s7, v6
	v_add_nc_u32_e32 v0, 0x100, v0
	v_lshlrev_b64 v[1:2], 1, v[1:2]
	s_delay_alu instid0(VALU_DEP_3) | instskip(SKIP_1) | instid1(VALU_DEP_2)
	s_or_b32 vcc_lo, vcc_lo, s0
	v_cndmask_b32_e32 v6, s7, v6, vcc_lo
	v_add_co_u32 v1, vcc_lo, s8, v1
	s_delay_alu instid0(VALU_DEP_3) | instskip(SKIP_2) | instid1(SALU_CYCLE_1)
	v_add_co_ci_u32_e32 v2, vcc_lo, s9, v2, vcc_lo
	global_store_b16 v[1:2], v6, off
	s_or_b32 exec_lo, exec_lo, s1
	s_mov_b32 s1, exec_lo
	v_cmpx_gt_i32_e64 s14, v0
	s_cbranch_execz .LBB476_20
.LBB476_31:
	v_dual_mov_b32 v2, 0 :: v_dual_add_nc_u32 v1, s12, v0
	s_waitcnt vmcnt(0)
	v_cmp_u_f16_e32 vcc_lo, v10, v10
	v_cmp_gt_f16_e64 s0, s7, v10
	v_add_nc_u32_e32 v0, 0x100, v0
	v_lshlrev_b64 v[1:2], 1, v[1:2]
	s_delay_alu instid0(VALU_DEP_3) | instskip(SKIP_1) | instid1(VALU_DEP_2)
	s_or_b32 vcc_lo, vcc_lo, s0
	v_cndmask_b32_e32 v6, s7, v10, vcc_lo
	v_add_co_u32 v1, vcc_lo, s8, v1
	s_delay_alu instid0(VALU_DEP_3) | instskip(SKIP_2) | instid1(SALU_CYCLE_1)
	v_add_co_ci_u32_e32 v2, vcc_lo, s9, v2, vcc_lo
	global_store_b16 v[1:2], v6, off
	s_or_b32 exec_lo, exec_lo, s1
	s_mov_b32 s1, exec_lo
	v_cmpx_gt_i32_e64 s14, v0
	s_cbranch_execz .LBB476_21
.LBB476_32:
	v_dual_mov_b32 v2, 0 :: v_dual_add_nc_u32 v1, s12, v0
	s_waitcnt vmcnt(0)
	v_cmp_u_f16_e32 vcc_lo, v5, v5
	v_cmp_gt_f16_e64 s0, s7, v5
	v_add_nc_u32_e32 v0, 0x100, v0
	v_lshlrev_b64 v[1:2], 1, v[1:2]
	s_delay_alu instid0(VALU_DEP_3) | instskip(SKIP_1) | instid1(VALU_DEP_2)
	s_or_b32 vcc_lo, vcc_lo, s0
	v_cndmask_b32_e32 v5, s7, v5, vcc_lo
	v_add_co_u32 v1, vcc_lo, s8, v1
	s_delay_alu instid0(VALU_DEP_3) | instskip(SKIP_2) | instid1(SALU_CYCLE_1)
	v_add_co_ci_u32_e32 v2, vcc_lo, s9, v2, vcc_lo
	global_store_b16 v[1:2], v5, off
	s_or_b32 exec_lo, exec_lo, s1
	s_mov_b32 s1, exec_lo
	v_cmpx_gt_i32_e64 s14, v0
	s_cbranch_execz .LBB476_22
.LBB476_33:
	v_dual_mov_b32 v2, 0 :: v_dual_add_nc_u32 v1, s12, v0
	s_waitcnt vmcnt(0)
	v_cmp_u_f16_e32 vcc_lo, v9, v9
	v_cmp_gt_f16_e64 s0, s7, v9
	v_add_nc_u32_e32 v0, 0x100, v0
	v_lshlrev_b64 v[1:2], 1, v[1:2]
	s_delay_alu instid0(VALU_DEP_3) | instskip(SKIP_1) | instid1(VALU_DEP_2)
	s_or_b32 vcc_lo, vcc_lo, s0
	v_cndmask_b32_e32 v5, s7, v9, vcc_lo
	v_add_co_u32 v1, vcc_lo, s8, v1
	s_delay_alu instid0(VALU_DEP_3) | instskip(SKIP_2) | instid1(SALU_CYCLE_1)
	v_add_co_ci_u32_e32 v2, vcc_lo, s9, v2, vcc_lo
	global_store_b16 v[1:2], v5, off
	s_or_b32 exec_lo, exec_lo, s1
	s_mov_b32 s1, exec_lo
	v_cmpx_gt_i32_e64 s14, v0
	s_cbranch_execz .LBB476_23
.LBB476_34:
	v_dual_mov_b32 v2, 0 :: v_dual_add_nc_u32 v1, s12, v0
	s_waitcnt vmcnt(0)
	v_cmp_u_f16_e32 vcc_lo, v4, v4
	v_cmp_gt_f16_e64 s0, s7, v4
	v_add_nc_u32_e32 v0, 0x100, v0
	v_lshlrev_b64 v[1:2], 1, v[1:2]
	s_delay_alu instid0(VALU_DEP_3) | instskip(SKIP_1) | instid1(VALU_DEP_2)
	s_or_b32 vcc_lo, vcc_lo, s0
	v_cndmask_b32_e32 v4, s7, v4, vcc_lo
	v_add_co_u32 v1, vcc_lo, s8, v1
	s_delay_alu instid0(VALU_DEP_3) | instskip(SKIP_2) | instid1(SALU_CYCLE_1)
	v_add_co_ci_u32_e32 v2, vcc_lo, s9, v2, vcc_lo
	global_store_b16 v[1:2], v4, off
	s_or_b32 exec_lo, exec_lo, s1
	s_mov_b32 s1, exec_lo
	v_cmpx_gt_i32_e64 s14, v0
	s_cbranch_execz .LBB476_24
.LBB476_35:
	v_dual_mov_b32 v2, 0 :: v_dual_add_nc_u32 v1, s12, v0
	s_waitcnt vmcnt(0)
	v_cmp_u_f16_e32 vcc_lo, v7, v7
	v_cmp_gt_f16_e64 s0, s7, v7
	v_add_nc_u32_e32 v0, 0x100, v0
	v_lshlrev_b64 v[1:2], 1, v[1:2]
	s_delay_alu instid0(VALU_DEP_3) | instskip(SKIP_1) | instid1(VALU_DEP_2)
	s_or_b32 vcc_lo, vcc_lo, s0
	v_cndmask_b32_e32 v4, s7, v7, vcc_lo
	v_add_co_u32 v1, vcc_lo, s8, v1
	s_delay_alu instid0(VALU_DEP_3) | instskip(SKIP_2) | instid1(SALU_CYCLE_1)
	v_add_co_ci_u32_e32 v2, vcc_lo, s9, v2, vcc_lo
	global_store_b16 v[1:2], v4, off
	s_or_b32 exec_lo, exec_lo, s1
	s_mov_b32 s0, exec_lo
	v_cmpx_gt_i32_e64 s14, v0
	s_cbranch_execnz .LBB476_25
	s_branch .LBB476_26
	.section	.rodata,"a",@progbits
	.p2align	6, 0x0
	.amdhsa_kernel _ZN2at6native29vectorized_elementwise_kernelILi4EZZZNS0_21clamp_max_kernel_cudaERNS_18TensorIteratorBaseERKN3c106ScalarEENKUlvE_clEvENKUlvE6_clEvEUlNS4_4HalfEE_St5arrayIPcLm2EEEEviT0_T1_
		.amdhsa_group_segment_fixed_size 0
		.amdhsa_private_segment_fixed_size 0
		.amdhsa_kernarg_size 24
		.amdhsa_user_sgpr_count 15
		.amdhsa_user_sgpr_dispatch_ptr 0
		.amdhsa_user_sgpr_queue_ptr 0
		.amdhsa_user_sgpr_kernarg_segment_ptr 1
		.amdhsa_user_sgpr_dispatch_id 0
		.amdhsa_user_sgpr_private_segment_size 0
		.amdhsa_wavefront_size32 1
		.amdhsa_uses_dynamic_stack 0
		.amdhsa_enable_private_segment 0
		.amdhsa_system_sgpr_workgroup_id_x 1
		.amdhsa_system_sgpr_workgroup_id_y 0
		.amdhsa_system_sgpr_workgroup_id_z 0
		.amdhsa_system_sgpr_workgroup_info 0
		.amdhsa_system_vgpr_workitem_id 0
		.amdhsa_next_free_vgpr 14
		.amdhsa_next_free_sgpr 18
		.amdhsa_reserve_vcc 1
		.amdhsa_float_round_mode_32 0
		.amdhsa_float_round_mode_16_64 0
		.amdhsa_float_denorm_mode_32 3
		.amdhsa_float_denorm_mode_16_64 3
		.amdhsa_dx10_clamp 1
		.amdhsa_ieee_mode 1
		.amdhsa_fp16_overflow 0
		.amdhsa_workgroup_processor_mode 1
		.amdhsa_memory_ordered 1
		.amdhsa_forward_progress 0
		.amdhsa_shared_vgpr_count 0
		.amdhsa_exception_fp_ieee_invalid_op 0
		.amdhsa_exception_fp_denorm_src 0
		.amdhsa_exception_fp_ieee_div_zero 0
		.amdhsa_exception_fp_ieee_overflow 0
		.amdhsa_exception_fp_ieee_underflow 0
		.amdhsa_exception_fp_ieee_inexact 0
		.amdhsa_exception_int_div_zero 0
	.end_amdhsa_kernel
	.section	.text._ZN2at6native29vectorized_elementwise_kernelILi4EZZZNS0_21clamp_max_kernel_cudaERNS_18TensorIteratorBaseERKN3c106ScalarEENKUlvE_clEvENKUlvE6_clEvEUlNS4_4HalfEE_St5arrayIPcLm2EEEEviT0_T1_,"axG",@progbits,_ZN2at6native29vectorized_elementwise_kernelILi4EZZZNS0_21clamp_max_kernel_cudaERNS_18TensorIteratorBaseERKN3c106ScalarEENKUlvE_clEvENKUlvE6_clEvEUlNS4_4HalfEE_St5arrayIPcLm2EEEEviT0_T1_,comdat
.Lfunc_end476:
	.size	_ZN2at6native29vectorized_elementwise_kernelILi4EZZZNS0_21clamp_max_kernel_cudaERNS_18TensorIteratorBaseERKN3c106ScalarEENKUlvE_clEvENKUlvE6_clEvEUlNS4_4HalfEE_St5arrayIPcLm2EEEEviT0_T1_, .Lfunc_end476-_ZN2at6native29vectorized_elementwise_kernelILi4EZZZNS0_21clamp_max_kernel_cudaERNS_18TensorIteratorBaseERKN3c106ScalarEENKUlvE_clEvENKUlvE6_clEvEUlNS4_4HalfEE_St5arrayIPcLm2EEEEviT0_T1_
                                        ; -- End function
	.section	.AMDGPU.csdata,"",@progbits
; Kernel info:
; codeLenInByte = 2060
; NumSgprs: 20
; NumVgprs: 14
; ScratchSize: 0
; MemoryBound: 0
; FloatMode: 240
; IeeeMode: 1
; LDSByteSize: 0 bytes/workgroup (compile time only)
; SGPRBlocks: 2
; VGPRBlocks: 1
; NumSGPRsForWavesPerEU: 20
; NumVGPRsForWavesPerEU: 14
; Occupancy: 16
; WaveLimiterHint : 1
; COMPUTE_PGM_RSRC2:SCRATCH_EN: 0
; COMPUTE_PGM_RSRC2:USER_SGPR: 15
; COMPUTE_PGM_RSRC2:TRAP_HANDLER: 0
; COMPUTE_PGM_RSRC2:TGID_X_EN: 1
; COMPUTE_PGM_RSRC2:TGID_Y_EN: 0
; COMPUTE_PGM_RSRC2:TGID_Z_EN: 0
; COMPUTE_PGM_RSRC2:TIDIG_COMP_CNT: 0
	.section	.text._ZN2at6native29vectorized_elementwise_kernelILi2EZZZNS0_21clamp_max_kernel_cudaERNS_18TensorIteratorBaseERKN3c106ScalarEENKUlvE_clEvENKUlvE6_clEvEUlNS4_4HalfEE_St5arrayIPcLm2EEEEviT0_T1_,"axG",@progbits,_ZN2at6native29vectorized_elementwise_kernelILi2EZZZNS0_21clamp_max_kernel_cudaERNS_18TensorIteratorBaseERKN3c106ScalarEENKUlvE_clEvENKUlvE6_clEvEUlNS4_4HalfEE_St5arrayIPcLm2EEEEviT0_T1_,comdat
	.globl	_ZN2at6native29vectorized_elementwise_kernelILi2EZZZNS0_21clamp_max_kernel_cudaERNS_18TensorIteratorBaseERKN3c106ScalarEENKUlvE_clEvENKUlvE6_clEvEUlNS4_4HalfEE_St5arrayIPcLm2EEEEviT0_T1_ ; -- Begin function _ZN2at6native29vectorized_elementwise_kernelILi2EZZZNS0_21clamp_max_kernel_cudaERNS_18TensorIteratorBaseERKN3c106ScalarEENKUlvE_clEvENKUlvE6_clEvEUlNS4_4HalfEE_St5arrayIPcLm2EEEEviT0_T1_
	.p2align	8
	.type	_ZN2at6native29vectorized_elementwise_kernelILi2EZZZNS0_21clamp_max_kernel_cudaERNS_18TensorIteratorBaseERKN3c106ScalarEENKUlvE_clEvENKUlvE6_clEvEUlNS4_4HalfEE_St5arrayIPcLm2EEEEviT0_T1_,@function
_ZN2at6native29vectorized_elementwise_kernelILi2EZZZNS0_21clamp_max_kernel_cudaERNS_18TensorIteratorBaseERKN3c106ScalarEENKUlvE_clEvENKUlvE6_clEvEUlNS4_4HalfEE_St5arrayIPcLm2EEEEviT0_T1_: ; @_ZN2at6native29vectorized_elementwise_kernelILi2EZZZNS0_21clamp_max_kernel_cudaERNS_18TensorIteratorBaseERKN3c106ScalarEENKUlvE_clEvENKUlvE6_clEvEUlNS4_4HalfEE_St5arrayIPcLm2EEEEviT0_T1_
; %bb.0:
	s_clause 0x1
	s_load_b64 s[6:7], s[0:1], 0x0
	s_load_b128 s[8:11], s[0:1], 0x8
	s_lshl_b32 s12, s15, 11
	s_mov_b32 s0, -1
	s_waitcnt lgkmcnt(0)
	s_sub_i32 s14, s6, s12
	s_delay_alu instid0(SALU_CYCLE_1)
	s_cmpk_gt_i32 s14, 0x7ff
	s_cbranch_scc0 .LBB477_2
; %bb.1:
	s_ashr_i32 s13, s12, 31
	v_lshlrev_b32_e32 v1, 2, v0
	s_lshl_b64 s[16:17], s[12:13], 1
	s_delay_alu instid0(SALU_CYCLE_1)
	s_add_u32 s0, s10, s16
	s_addc_u32 s1, s11, s17
	s_clause 0x3
	global_load_b32 v2, v1, s[0:1]
	global_load_b32 v3, v1, s[0:1] offset:1024
	global_load_b32 v4, v1, s[0:1] offset:2048
	;; [unrolled: 1-line block ×3, first 2 shown]
	s_waitcnt vmcnt(3)
	v_cmp_u_f16_e32 vcc_lo, v2, v2
	v_cmp_gt_f16_e64 s0, s7, v2
	v_lshrrev_b32_e32 v6, 16, v2
	s_waitcnt vmcnt(2)
	v_cmp_u_f16_e64 s1, v3, v3
	v_cmp_gt_f16_e64 s2, s7, v3
	v_lshrrev_b32_e32 v7, 16, v3
	s_waitcnt vmcnt(1)
	v_cmp_u_f16_e64 s3, v4, v4
	v_cmp_gt_f16_e64 s4, s7, v4
	s_or_b32 vcc_lo, vcc_lo, s0
	v_lshrrev_b32_e32 v8, 16, v4
	v_cndmask_b32_e32 v2, s7, v2, vcc_lo
	s_waitcnt vmcnt(0)
	v_cmp_u_f16_e64 s5, v5, v5
	v_cmp_gt_f16_e64 s6, s7, v5
	v_cmp_u_f16_e32 vcc_lo, v6, v6
	v_cmp_gt_f16_e64 s0, s7, v6
	s_or_b32 s1, s1, s2
	v_lshrrev_b32_e32 v9, 16, v5
	v_cndmask_b32_e64 v3, s7, v3, s1
	v_cmp_u_f16_e64 s1, v7, v7
	v_cmp_gt_f16_e64 s2, s7, v7
	s_or_b32 s3, s3, s4
	v_cmp_gt_f16_e64 s4, s7, v8
	v_cndmask_b32_e64 v4, s7, v4, s3
	v_cmp_u_f16_e64 s3, v8, v8
	s_or_b32 s5, s5, s6
	s_or_b32 vcc_lo, vcc_lo, s0
	v_cndmask_b32_e64 v5, s7, v5, s5
	v_cmp_u_f16_e64 s5, v9, v9
	v_cmp_gt_f16_e64 s6, s7, v9
	v_cndmask_b32_e32 v6, s7, v6, vcc_lo
	s_or_b32 vcc_lo, s1, s2
	v_and_b32_e32 v2, 0xffff, v2
	v_cndmask_b32_e32 v7, s7, v7, vcc_lo
	s_or_b32 vcc_lo, s3, s4
	v_and_b32_e32 v3, 0xffff, v3
	v_cndmask_b32_e32 v8, s7, v8, vcc_lo
	s_or_b32 vcc_lo, s5, s6
	v_lshlrev_b32_e32 v7, 16, v7
	v_dual_cndmask_b32 v9, s7, v9 :: v_dual_lshlrev_b32 v6, 16, v6
	v_and_b32_e32 v4, 0xffff, v4
	v_and_b32_e32 v5, 0xffff, v5
	s_delay_alu instid0(VALU_DEP_4) | instskip(NEXT) | instid1(VALU_DEP_4)
	v_or_b32_e32 v3, v7, v3
	v_lshlrev_b32_e32 v9, 16, v9
	v_lshlrev_b32_e32 v8, 16, v8
	v_or_b32_e32 v2, v6, v2
	s_add_u32 s2, s8, s16
	s_addc_u32 s3, s9, s17
	v_or_b32_e32 v5, v9, v5
	v_or_b32_e32 v4, v8, v4
	s_mov_b32 s0, 0
	s_clause 0x3
	global_store_b32 v1, v2, s[2:3]
	global_store_b32 v1, v3, s[2:3] offset:1024
	global_store_b32 v1, v4, s[2:3] offset:2048
	global_store_b32 v1, v5, s[2:3] offset:3072
.LBB477_2:
	s_and_not1_b32 vcc_lo, exec_lo, s0
	s_cbranch_vccnz .LBB477_26
; %bb.3:
	v_cmp_gt_i32_e32 vcc_lo, s14, v0
	v_dual_mov_b32 v6, 0 :: v_dual_mov_b32 v11, 0
	v_or_b32_e32 v1, s12, v0
	v_or_b32_e32 v8, 0x100, v0
	v_mov_b32_e32 v2, v0
	s_and_saveexec_b32 s1, vcc_lo
	s_cbranch_execz .LBB477_5
; %bb.4:
	v_mov_b32_e32 v2, 0
	s_delay_alu instid0(VALU_DEP_1) | instskip(NEXT) | instid1(VALU_DEP_1)
	v_lshlrev_b64 v[2:3], 1, v[1:2]
	v_add_co_u32 v2, s0, s10, v2
	s_delay_alu instid0(VALU_DEP_1)
	v_add_co_ci_u32_e64 v3, s0, s11, v3, s0
	global_load_u16 v11, v[2:3], off
	v_or_b32_e32 v2, 0x100, v0
.LBB477_5:
	s_or_b32 exec_lo, exec_lo, s1
	s_delay_alu instid0(SALU_CYCLE_1) | instskip(NEXT) | instid1(VALU_DEP_1)
	s_mov_b32 s1, exec_lo
	v_cmpx_gt_i32_e64 s14, v2
	s_cbranch_execz .LBB477_7
; %bb.6:
	v_dual_mov_b32 v4, 0 :: v_dual_add_nc_u32 v3, s12, v2
	v_add_nc_u32_e32 v2, 0x100, v2
	s_delay_alu instid0(VALU_DEP_2) | instskip(NEXT) | instid1(VALU_DEP_1)
	v_lshlrev_b64 v[3:4], 1, v[3:4]
	v_add_co_u32 v3, s0, s10, v3
	s_delay_alu instid0(VALU_DEP_1)
	v_add_co_ci_u32_e64 v4, s0, s11, v4, s0
	global_load_u16 v6, v[3:4], off
.LBB477_7:
	s_or_b32 exec_lo, exec_lo, s1
	v_dual_mov_b32 v5, 0 :: v_dual_mov_b32 v10, 0
	s_mov_b32 s1, exec_lo
	v_cmpx_gt_i32_e64 s14, v2
	s_cbranch_execz .LBB477_9
; %bb.8:
	v_dual_mov_b32 v4, 0 :: v_dual_add_nc_u32 v3, s12, v2
	v_add_nc_u32_e32 v2, 0x100, v2
	s_delay_alu instid0(VALU_DEP_2) | instskip(NEXT) | instid1(VALU_DEP_1)
	v_lshlrev_b64 v[3:4], 1, v[3:4]
	v_add_co_u32 v3, s0, s10, v3
	s_delay_alu instid0(VALU_DEP_1)
	v_add_co_ci_u32_e64 v4, s0, s11, v4, s0
	global_load_u16 v10, v[3:4], off
.LBB477_9:
	s_or_b32 exec_lo, exec_lo, s1
	s_delay_alu instid0(SALU_CYCLE_1)
	s_mov_b32 s1, exec_lo
	v_cmpx_gt_i32_e64 s14, v2
	s_cbranch_execz .LBB477_11
; %bb.10:
	v_dual_mov_b32 v4, 0 :: v_dual_add_nc_u32 v3, s12, v2
	v_add_nc_u32_e32 v2, 0x100, v2
	s_delay_alu instid0(VALU_DEP_2) | instskip(NEXT) | instid1(VALU_DEP_1)
	v_lshlrev_b64 v[3:4], 1, v[3:4]
	v_add_co_u32 v3, s0, s10, v3
	s_delay_alu instid0(VALU_DEP_1)
	v_add_co_ci_u32_e64 v4, s0, s11, v4, s0
	global_load_u16 v5, v[3:4], off
.LBB477_11:
	s_or_b32 exec_lo, exec_lo, s1
	v_dual_mov_b32 v4, 0 :: v_dual_mov_b32 v9, 0
	s_mov_b32 s1, exec_lo
	v_cmpx_gt_i32_e64 s14, v2
	s_cbranch_execz .LBB477_13
; %bb.12:
	v_dual_mov_b32 v13, 0 :: v_dual_add_nc_u32 v12, s12, v2
	v_add_nc_u32_e32 v2, 0x100, v2
	s_delay_alu instid0(VALU_DEP_2) | instskip(NEXT) | instid1(VALU_DEP_1)
	v_lshlrev_b64 v[12:13], 1, v[12:13]
	v_add_co_u32 v12, s0, s10, v12
	s_delay_alu instid0(VALU_DEP_1)
	v_add_co_ci_u32_e64 v13, s0, s11, v13, s0
	global_load_u16 v9, v[12:13], off
.LBB477_13:
	s_or_b32 exec_lo, exec_lo, s1
	s_delay_alu instid0(SALU_CYCLE_1)
	s_mov_b32 s1, exec_lo
	v_cmpx_gt_i32_e64 s14, v2
	s_cbranch_execz .LBB477_15
; %bb.14:
	v_dual_mov_b32 v4, 0 :: v_dual_add_nc_u32 v3, s12, v2
	v_add_nc_u32_e32 v2, 0x100, v2
	s_delay_alu instid0(VALU_DEP_2) | instskip(NEXT) | instid1(VALU_DEP_1)
	v_lshlrev_b64 v[3:4], 1, v[3:4]
	v_add_co_u32 v3, s0, s10, v3
	s_delay_alu instid0(VALU_DEP_1)
	v_add_co_ci_u32_e64 v4, s0, s11, v4, s0
	global_load_u16 v4, v[3:4], off
.LBB477_15:
	s_or_b32 exec_lo, exec_lo, s1
	v_mov_b32_e32 v3, 0
	v_mov_b32_e32 v7, 0
	s_mov_b32 s1, exec_lo
	v_cmpx_gt_i32_e64 s14, v2
	s_cbranch_execnz .LBB477_27
; %bb.16:
	s_or_b32 exec_lo, exec_lo, s1
	s_delay_alu instid0(SALU_CYCLE_1)
	s_mov_b32 s1, exec_lo
	v_cmpx_gt_i32_e64 s14, v2
	s_cbranch_execnz .LBB477_28
.LBB477_17:
	s_or_b32 exec_lo, exec_lo, s1
	s_and_saveexec_b32 s2, vcc_lo
	s_cbranch_execnz .LBB477_29
.LBB477_18:
	s_or_b32 exec_lo, exec_lo, s2
	s_delay_alu instid0(SALU_CYCLE_1)
	s_mov_b32 s1, exec_lo
	v_cmpx_gt_i32_e64 s14, v0
	s_cbranch_execnz .LBB477_30
.LBB477_19:
	s_or_b32 exec_lo, exec_lo, s1
	s_delay_alu instid0(SALU_CYCLE_1)
	s_mov_b32 s1, exec_lo
	v_cmpx_gt_i32_e64 s14, v0
	s_cbranch_execnz .LBB477_31
.LBB477_20:
	s_or_b32 exec_lo, exec_lo, s1
	s_delay_alu instid0(SALU_CYCLE_1)
	s_mov_b32 s1, exec_lo
	v_cmpx_gt_i32_e64 s14, v0
	s_cbranch_execnz .LBB477_32
.LBB477_21:
	s_or_b32 exec_lo, exec_lo, s1
	s_delay_alu instid0(SALU_CYCLE_1)
	s_mov_b32 s1, exec_lo
	v_cmpx_gt_i32_e64 s14, v0
	s_cbranch_execnz .LBB477_33
.LBB477_22:
	s_or_b32 exec_lo, exec_lo, s1
	s_delay_alu instid0(SALU_CYCLE_1)
	s_mov_b32 s1, exec_lo
	v_cmpx_gt_i32_e64 s14, v0
	s_cbranch_execnz .LBB477_34
.LBB477_23:
	s_or_b32 exec_lo, exec_lo, s1
	s_delay_alu instid0(SALU_CYCLE_1)
	s_mov_b32 s1, exec_lo
	v_cmpx_gt_i32_e64 s14, v0
	s_cbranch_execnz .LBB477_35
.LBB477_24:
	s_or_b32 exec_lo, exec_lo, s1
	s_delay_alu instid0(SALU_CYCLE_1)
	s_mov_b32 s0, exec_lo
	v_cmpx_gt_i32_e64 s14, v0
	s_cbranch_execz .LBB477_26
.LBB477_25:
	v_dual_mov_b32 v1, 0 :: v_dual_add_nc_u32 v0, s12, v0
	s_waitcnt vmcnt(0)
	v_cmp_u_f16_e32 vcc_lo, v3, v3
	v_cmp_gt_f16_e64 s0, s7, v3
	s_delay_alu instid0(VALU_DEP_3) | instskip(NEXT) | instid1(VALU_DEP_2)
	v_lshlrev_b64 v[0:1], 1, v[0:1]
	s_or_b32 vcc_lo, vcc_lo, s0
	v_cndmask_b32_e32 v2, s7, v3, vcc_lo
	s_delay_alu instid0(VALU_DEP_2) | instskip(NEXT) | instid1(VALU_DEP_3)
	v_add_co_u32 v0, vcc_lo, s8, v0
	v_add_co_ci_u32_e32 v1, vcc_lo, s9, v1, vcc_lo
	global_store_b16 v[0:1], v2, off
.LBB477_26:
	s_nop 0
	s_sendmsg sendmsg(MSG_DEALLOC_VGPRS)
	s_endpgm
.LBB477_27:
	v_dual_mov_b32 v13, 0 :: v_dual_add_nc_u32 v12, s12, v2
	v_add_nc_u32_e32 v2, 0x100, v2
	s_delay_alu instid0(VALU_DEP_2) | instskip(NEXT) | instid1(VALU_DEP_1)
	v_lshlrev_b64 v[12:13], 1, v[12:13]
	v_add_co_u32 v12, s0, s10, v12
	s_delay_alu instid0(VALU_DEP_1) | instskip(SKIP_2) | instid1(SALU_CYCLE_1)
	v_add_co_ci_u32_e64 v13, s0, s11, v13, s0
	global_load_u16 v7, v[12:13], off
	s_or_b32 exec_lo, exec_lo, s1
	s_mov_b32 s1, exec_lo
	v_cmpx_gt_i32_e64 s14, v2
	s_cbranch_execz .LBB477_17
.LBB477_28:
	v_dual_mov_b32 v3, 0 :: v_dual_add_nc_u32 v2, s12, v2
	s_delay_alu instid0(VALU_DEP_1) | instskip(NEXT) | instid1(VALU_DEP_1)
	v_lshlrev_b64 v[2:3], 1, v[2:3]
	v_add_co_u32 v2, s0, s10, v2
	s_delay_alu instid0(VALU_DEP_1)
	v_add_co_ci_u32_e64 v3, s0, s11, v3, s0
	global_load_u16 v3, v[2:3], off
	s_or_b32 exec_lo, exec_lo, s1
	s_and_saveexec_b32 s2, vcc_lo
	s_cbranch_execz .LBB477_18
.LBB477_29:
	s_waitcnt vmcnt(0)
	v_cmp_u_f16_e32 vcc_lo, v11, v11
	v_cmp_gt_f16_e64 s0, s7, v11
	s_delay_alu instid0(VALU_DEP_1) | instskip(SKIP_1) | instid1(VALU_DEP_1)
	s_or_b32 vcc_lo, vcc_lo, s0
	v_mov_b32_e32 v2, 0
	v_lshlrev_b64 v[0:1], 1, v[1:2]
	s_delay_alu instid0(VALU_DEP_1) | instskip(NEXT) | instid1(VALU_DEP_1)
	v_add_co_u32 v12, s1, s8, v0
	v_add_co_ci_u32_e64 v13, s1, s9, v1, s1
	v_dual_cndmask_b32 v1, s7, v11 :: v_dual_mov_b32 v0, v8
	global_store_b16 v[12:13], v1, off
	s_or_b32 exec_lo, exec_lo, s2
	s_delay_alu instid0(SALU_CYCLE_1)
	s_mov_b32 s1, exec_lo
	v_cmpx_gt_i32_e64 s14, v0
	s_cbranch_execz .LBB477_19
.LBB477_30:
	v_dual_mov_b32 v2, 0 :: v_dual_add_nc_u32 v1, s12, v0
	s_waitcnt vmcnt(0)
	v_cmp_u_f16_e32 vcc_lo, v6, v6
	v_cmp_gt_f16_e64 s0, s7, v6
	v_add_nc_u32_e32 v0, 0x100, v0
	v_lshlrev_b64 v[1:2], 1, v[1:2]
	s_delay_alu instid0(VALU_DEP_3) | instskip(SKIP_1) | instid1(VALU_DEP_2)
	s_or_b32 vcc_lo, vcc_lo, s0
	v_cndmask_b32_e32 v6, s7, v6, vcc_lo
	v_add_co_u32 v1, vcc_lo, s8, v1
	s_delay_alu instid0(VALU_DEP_3) | instskip(SKIP_2) | instid1(SALU_CYCLE_1)
	v_add_co_ci_u32_e32 v2, vcc_lo, s9, v2, vcc_lo
	global_store_b16 v[1:2], v6, off
	s_or_b32 exec_lo, exec_lo, s1
	s_mov_b32 s1, exec_lo
	v_cmpx_gt_i32_e64 s14, v0
	s_cbranch_execz .LBB477_20
.LBB477_31:
	v_dual_mov_b32 v2, 0 :: v_dual_add_nc_u32 v1, s12, v0
	s_waitcnt vmcnt(0)
	v_cmp_u_f16_e32 vcc_lo, v10, v10
	v_cmp_gt_f16_e64 s0, s7, v10
	v_add_nc_u32_e32 v0, 0x100, v0
	v_lshlrev_b64 v[1:2], 1, v[1:2]
	s_delay_alu instid0(VALU_DEP_3) | instskip(SKIP_1) | instid1(VALU_DEP_2)
	s_or_b32 vcc_lo, vcc_lo, s0
	v_cndmask_b32_e32 v6, s7, v10, vcc_lo
	v_add_co_u32 v1, vcc_lo, s8, v1
	s_delay_alu instid0(VALU_DEP_3) | instskip(SKIP_2) | instid1(SALU_CYCLE_1)
	v_add_co_ci_u32_e32 v2, vcc_lo, s9, v2, vcc_lo
	global_store_b16 v[1:2], v6, off
	s_or_b32 exec_lo, exec_lo, s1
	s_mov_b32 s1, exec_lo
	v_cmpx_gt_i32_e64 s14, v0
	s_cbranch_execz .LBB477_21
.LBB477_32:
	v_dual_mov_b32 v2, 0 :: v_dual_add_nc_u32 v1, s12, v0
	s_waitcnt vmcnt(0)
	v_cmp_u_f16_e32 vcc_lo, v5, v5
	v_cmp_gt_f16_e64 s0, s7, v5
	v_add_nc_u32_e32 v0, 0x100, v0
	v_lshlrev_b64 v[1:2], 1, v[1:2]
	s_delay_alu instid0(VALU_DEP_3) | instskip(SKIP_1) | instid1(VALU_DEP_2)
	s_or_b32 vcc_lo, vcc_lo, s0
	v_cndmask_b32_e32 v5, s7, v5, vcc_lo
	v_add_co_u32 v1, vcc_lo, s8, v1
	s_delay_alu instid0(VALU_DEP_3) | instskip(SKIP_2) | instid1(SALU_CYCLE_1)
	v_add_co_ci_u32_e32 v2, vcc_lo, s9, v2, vcc_lo
	global_store_b16 v[1:2], v5, off
	s_or_b32 exec_lo, exec_lo, s1
	s_mov_b32 s1, exec_lo
	v_cmpx_gt_i32_e64 s14, v0
	s_cbranch_execz .LBB477_22
.LBB477_33:
	v_dual_mov_b32 v2, 0 :: v_dual_add_nc_u32 v1, s12, v0
	s_waitcnt vmcnt(0)
	v_cmp_u_f16_e32 vcc_lo, v9, v9
	v_cmp_gt_f16_e64 s0, s7, v9
	v_add_nc_u32_e32 v0, 0x100, v0
	v_lshlrev_b64 v[1:2], 1, v[1:2]
	s_delay_alu instid0(VALU_DEP_3) | instskip(SKIP_1) | instid1(VALU_DEP_2)
	s_or_b32 vcc_lo, vcc_lo, s0
	v_cndmask_b32_e32 v5, s7, v9, vcc_lo
	v_add_co_u32 v1, vcc_lo, s8, v1
	s_delay_alu instid0(VALU_DEP_3) | instskip(SKIP_2) | instid1(SALU_CYCLE_1)
	v_add_co_ci_u32_e32 v2, vcc_lo, s9, v2, vcc_lo
	global_store_b16 v[1:2], v5, off
	s_or_b32 exec_lo, exec_lo, s1
	s_mov_b32 s1, exec_lo
	v_cmpx_gt_i32_e64 s14, v0
	s_cbranch_execz .LBB477_23
.LBB477_34:
	v_dual_mov_b32 v2, 0 :: v_dual_add_nc_u32 v1, s12, v0
	s_waitcnt vmcnt(0)
	v_cmp_u_f16_e32 vcc_lo, v4, v4
	v_cmp_gt_f16_e64 s0, s7, v4
	v_add_nc_u32_e32 v0, 0x100, v0
	v_lshlrev_b64 v[1:2], 1, v[1:2]
	s_delay_alu instid0(VALU_DEP_3) | instskip(SKIP_1) | instid1(VALU_DEP_2)
	s_or_b32 vcc_lo, vcc_lo, s0
	v_cndmask_b32_e32 v4, s7, v4, vcc_lo
	v_add_co_u32 v1, vcc_lo, s8, v1
	s_delay_alu instid0(VALU_DEP_3) | instskip(SKIP_2) | instid1(SALU_CYCLE_1)
	v_add_co_ci_u32_e32 v2, vcc_lo, s9, v2, vcc_lo
	global_store_b16 v[1:2], v4, off
	s_or_b32 exec_lo, exec_lo, s1
	s_mov_b32 s1, exec_lo
	v_cmpx_gt_i32_e64 s14, v0
	s_cbranch_execz .LBB477_24
.LBB477_35:
	v_dual_mov_b32 v2, 0 :: v_dual_add_nc_u32 v1, s12, v0
	s_waitcnt vmcnt(0)
	v_cmp_u_f16_e32 vcc_lo, v7, v7
	v_cmp_gt_f16_e64 s0, s7, v7
	v_add_nc_u32_e32 v0, 0x100, v0
	v_lshlrev_b64 v[1:2], 1, v[1:2]
	s_delay_alu instid0(VALU_DEP_3) | instskip(SKIP_1) | instid1(VALU_DEP_2)
	s_or_b32 vcc_lo, vcc_lo, s0
	v_cndmask_b32_e32 v4, s7, v7, vcc_lo
	v_add_co_u32 v1, vcc_lo, s8, v1
	s_delay_alu instid0(VALU_DEP_3) | instskip(SKIP_2) | instid1(SALU_CYCLE_1)
	v_add_co_ci_u32_e32 v2, vcc_lo, s9, v2, vcc_lo
	global_store_b16 v[1:2], v4, off
	s_or_b32 exec_lo, exec_lo, s1
	s_mov_b32 s0, exec_lo
	v_cmpx_gt_i32_e64 s14, v0
	s_cbranch_execnz .LBB477_25
	s_branch .LBB477_26
	.section	.rodata,"a",@progbits
	.p2align	6, 0x0
	.amdhsa_kernel _ZN2at6native29vectorized_elementwise_kernelILi2EZZZNS0_21clamp_max_kernel_cudaERNS_18TensorIteratorBaseERKN3c106ScalarEENKUlvE_clEvENKUlvE6_clEvEUlNS4_4HalfEE_St5arrayIPcLm2EEEEviT0_T1_
		.amdhsa_group_segment_fixed_size 0
		.amdhsa_private_segment_fixed_size 0
		.amdhsa_kernarg_size 24
		.amdhsa_user_sgpr_count 15
		.amdhsa_user_sgpr_dispatch_ptr 0
		.amdhsa_user_sgpr_queue_ptr 0
		.amdhsa_user_sgpr_kernarg_segment_ptr 1
		.amdhsa_user_sgpr_dispatch_id 0
		.amdhsa_user_sgpr_private_segment_size 0
		.amdhsa_wavefront_size32 1
		.amdhsa_uses_dynamic_stack 0
		.amdhsa_enable_private_segment 0
		.amdhsa_system_sgpr_workgroup_id_x 1
		.amdhsa_system_sgpr_workgroup_id_y 0
		.amdhsa_system_sgpr_workgroup_id_z 0
		.amdhsa_system_sgpr_workgroup_info 0
		.amdhsa_system_vgpr_workitem_id 0
		.amdhsa_next_free_vgpr 14
		.amdhsa_next_free_sgpr 18
		.amdhsa_reserve_vcc 1
		.amdhsa_float_round_mode_32 0
		.amdhsa_float_round_mode_16_64 0
		.amdhsa_float_denorm_mode_32 3
		.amdhsa_float_denorm_mode_16_64 3
		.amdhsa_dx10_clamp 1
		.amdhsa_ieee_mode 1
		.amdhsa_fp16_overflow 0
		.amdhsa_workgroup_processor_mode 1
		.amdhsa_memory_ordered 1
		.amdhsa_forward_progress 0
		.amdhsa_shared_vgpr_count 0
		.amdhsa_exception_fp_ieee_invalid_op 0
		.amdhsa_exception_fp_denorm_src 0
		.amdhsa_exception_fp_ieee_div_zero 0
		.amdhsa_exception_fp_ieee_overflow 0
		.amdhsa_exception_fp_ieee_underflow 0
		.amdhsa_exception_fp_ieee_inexact 0
		.amdhsa_exception_int_div_zero 0
	.end_amdhsa_kernel
	.section	.text._ZN2at6native29vectorized_elementwise_kernelILi2EZZZNS0_21clamp_max_kernel_cudaERNS_18TensorIteratorBaseERKN3c106ScalarEENKUlvE_clEvENKUlvE6_clEvEUlNS4_4HalfEE_St5arrayIPcLm2EEEEviT0_T1_,"axG",@progbits,_ZN2at6native29vectorized_elementwise_kernelILi2EZZZNS0_21clamp_max_kernel_cudaERNS_18TensorIteratorBaseERKN3c106ScalarEENKUlvE_clEvENKUlvE6_clEvEUlNS4_4HalfEE_St5arrayIPcLm2EEEEviT0_T1_,comdat
.Lfunc_end477:
	.size	_ZN2at6native29vectorized_elementwise_kernelILi2EZZZNS0_21clamp_max_kernel_cudaERNS_18TensorIteratorBaseERKN3c106ScalarEENKUlvE_clEvENKUlvE6_clEvEUlNS4_4HalfEE_St5arrayIPcLm2EEEEviT0_T1_, .Lfunc_end477-_ZN2at6native29vectorized_elementwise_kernelILi2EZZZNS0_21clamp_max_kernel_cudaERNS_18TensorIteratorBaseERKN3c106ScalarEENKUlvE_clEvENKUlvE6_clEvEUlNS4_4HalfEE_St5arrayIPcLm2EEEEviT0_T1_
                                        ; -- End function
	.section	.AMDGPU.csdata,"",@progbits
; Kernel info:
; codeLenInByte = 2080
; NumSgprs: 20
; NumVgprs: 14
; ScratchSize: 0
; MemoryBound: 0
; FloatMode: 240
; IeeeMode: 1
; LDSByteSize: 0 bytes/workgroup (compile time only)
; SGPRBlocks: 2
; VGPRBlocks: 1
; NumSGPRsForWavesPerEU: 20
; NumVGPRsForWavesPerEU: 14
; Occupancy: 16
; WaveLimiterHint : 1
; COMPUTE_PGM_RSRC2:SCRATCH_EN: 0
; COMPUTE_PGM_RSRC2:USER_SGPR: 15
; COMPUTE_PGM_RSRC2:TRAP_HANDLER: 0
; COMPUTE_PGM_RSRC2:TGID_X_EN: 1
; COMPUTE_PGM_RSRC2:TGID_Y_EN: 0
; COMPUTE_PGM_RSRC2:TGID_Z_EN: 0
; COMPUTE_PGM_RSRC2:TIDIG_COMP_CNT: 0
	.section	.text._ZN2at6native27unrolled_elementwise_kernelIZZZNS0_21clamp_max_kernel_cudaERNS_18TensorIteratorBaseERKN3c106ScalarEENKUlvE_clEvENKUlvE6_clEvEUlNS4_4HalfEE_St5arrayIPcLm2EELi4E23TrivialOffsetCalculatorILi1EjESG_NS0_6memory15LoadWithoutCastENSH_16StoreWithoutCastEEEviT_T0_T2_T3_T4_T5_,"axG",@progbits,_ZN2at6native27unrolled_elementwise_kernelIZZZNS0_21clamp_max_kernel_cudaERNS_18TensorIteratorBaseERKN3c106ScalarEENKUlvE_clEvENKUlvE6_clEvEUlNS4_4HalfEE_St5arrayIPcLm2EELi4E23TrivialOffsetCalculatorILi1EjESG_NS0_6memory15LoadWithoutCastENSH_16StoreWithoutCastEEEviT_T0_T2_T3_T4_T5_,comdat
	.globl	_ZN2at6native27unrolled_elementwise_kernelIZZZNS0_21clamp_max_kernel_cudaERNS_18TensorIteratorBaseERKN3c106ScalarEENKUlvE_clEvENKUlvE6_clEvEUlNS4_4HalfEE_St5arrayIPcLm2EELi4E23TrivialOffsetCalculatorILi1EjESG_NS0_6memory15LoadWithoutCastENSH_16StoreWithoutCastEEEviT_T0_T2_T3_T4_T5_ ; -- Begin function _ZN2at6native27unrolled_elementwise_kernelIZZZNS0_21clamp_max_kernel_cudaERNS_18TensorIteratorBaseERKN3c106ScalarEENKUlvE_clEvENKUlvE6_clEvEUlNS4_4HalfEE_St5arrayIPcLm2EELi4E23TrivialOffsetCalculatorILi1EjESG_NS0_6memory15LoadWithoutCastENSH_16StoreWithoutCastEEEviT_T0_T2_T3_T4_T5_
	.p2align	8
	.type	_ZN2at6native27unrolled_elementwise_kernelIZZZNS0_21clamp_max_kernel_cudaERNS_18TensorIteratorBaseERKN3c106ScalarEENKUlvE_clEvENKUlvE6_clEvEUlNS4_4HalfEE_St5arrayIPcLm2EELi4E23TrivialOffsetCalculatorILi1EjESG_NS0_6memory15LoadWithoutCastENSH_16StoreWithoutCastEEEviT_T0_T2_T3_T4_T5_,@function
_ZN2at6native27unrolled_elementwise_kernelIZZZNS0_21clamp_max_kernel_cudaERNS_18TensorIteratorBaseERKN3c106ScalarEENKUlvE_clEvENKUlvE6_clEvEUlNS4_4HalfEE_St5arrayIPcLm2EELi4E23TrivialOffsetCalculatorILi1EjESG_NS0_6memory15LoadWithoutCastENSH_16StoreWithoutCastEEEviT_T0_T2_T3_T4_T5_: ; @_ZN2at6native27unrolled_elementwise_kernelIZZZNS0_21clamp_max_kernel_cudaERNS_18TensorIteratorBaseERKN3c106ScalarEENKUlvE_clEvENKUlvE6_clEvEUlNS4_4HalfEE_St5arrayIPcLm2EELi4E23TrivialOffsetCalculatorILi1EjESG_NS0_6memory15LoadWithoutCastENSH_16StoreWithoutCastEEEviT_T0_T2_T3_T4_T5_
; %bb.0:
	s_clause 0x1
	s_load_b64 s[2:3], s[0:1], 0x0
	s_load_b128 s[4:7], s[0:1], 0x8
	s_lshl_b32 s8, s15, 10
	v_dual_mov_b32 v4, 0 :: v_dual_mov_b32 v7, 0
	v_or_b32_e32 v1, s8, v0
	v_or_b32_e32 v5, 0x100, v0
	v_mov_b32_e32 v2, v0
	s_waitcnt lgkmcnt(0)
	s_sub_i32 s2, s2, s8
	s_delay_alu instid0(SALU_CYCLE_1)
	v_cmp_gt_i32_e32 vcc_lo, s2, v0
	s_and_saveexec_b32 s1, vcc_lo
	s_cbranch_execz .LBB478_2
; %bb.1:
	v_mov_b32_e32 v2, 0
	s_delay_alu instid0(VALU_DEP_1) | instskip(NEXT) | instid1(VALU_DEP_1)
	v_lshlrev_b64 v[2:3], 1, v[1:2]
	v_add_co_u32 v2, s0, s6, v2
	s_delay_alu instid0(VALU_DEP_1)
	v_add_co_ci_u32_e64 v3, s0, s7, v3, s0
	global_load_u16 v7, v[2:3], off
	v_or_b32_e32 v2, 0x100, v0
.LBB478_2:
	s_or_b32 exec_lo, exec_lo, s1
	s_delay_alu instid0(SALU_CYCLE_1) | instskip(NEXT) | instid1(VALU_DEP_1)
	s_mov_b32 s1, exec_lo
	v_cmpx_gt_i32_e64 s2, v2
	s_cbranch_execz .LBB478_4
; %bb.3:
	v_dual_mov_b32 v4, 0 :: v_dual_add_nc_u32 v3, s8, v2
	v_add_nc_u32_e32 v2, 0x100, v2
	s_delay_alu instid0(VALU_DEP_2) | instskip(NEXT) | instid1(VALU_DEP_1)
	v_lshlrev_b64 v[3:4], 1, v[3:4]
	v_add_co_u32 v3, s0, s6, v3
	s_delay_alu instid0(VALU_DEP_1)
	v_add_co_ci_u32_e64 v4, s0, s7, v4, s0
	global_load_u16 v4, v[3:4], off
.LBB478_4:
	s_or_b32 exec_lo, exec_lo, s1
	v_dual_mov_b32 v3, 0 :: v_dual_mov_b32 v6, 0
	s_mov_b32 s1, exec_lo
	v_cmpx_gt_i32_e64 s2, v2
	s_cbranch_execnz .LBB478_11
; %bb.5:
	s_or_b32 exec_lo, exec_lo, s1
	s_delay_alu instid0(SALU_CYCLE_1)
	s_mov_b32 s1, exec_lo
	v_cmpx_gt_i32_e64 s2, v2
	s_cbranch_execnz .LBB478_12
.LBB478_6:
	s_or_b32 exec_lo, exec_lo, s1
	s_and_saveexec_b32 s6, vcc_lo
	s_cbranch_execnz .LBB478_13
.LBB478_7:
	s_or_b32 exec_lo, exec_lo, s6
	s_delay_alu instid0(SALU_CYCLE_1)
	s_mov_b32 s1, exec_lo
	v_cmpx_gt_i32_e64 s2, v0
	s_cbranch_execnz .LBB478_14
.LBB478_8:
	s_or_b32 exec_lo, exec_lo, s1
	s_delay_alu instid0(SALU_CYCLE_1)
	s_mov_b32 s1, exec_lo
	v_cmpx_gt_i32_e64 s2, v0
	s_cbranch_execnz .LBB478_15
.LBB478_9:
	s_or_b32 exec_lo, exec_lo, s1
	s_delay_alu instid0(SALU_CYCLE_1)
	s_mov_b32 s0, exec_lo
	v_cmpx_gt_i32_e64 s2, v0
	s_cbranch_execnz .LBB478_16
.LBB478_10:
	s_nop 0
	s_sendmsg sendmsg(MSG_DEALLOC_VGPRS)
	s_endpgm
.LBB478_11:
	v_dual_mov_b32 v9, 0 :: v_dual_add_nc_u32 v8, s8, v2
	v_add_nc_u32_e32 v2, 0x100, v2
	s_delay_alu instid0(VALU_DEP_2) | instskip(NEXT) | instid1(VALU_DEP_1)
	v_lshlrev_b64 v[8:9], 1, v[8:9]
	v_add_co_u32 v8, s0, s6, v8
	s_delay_alu instid0(VALU_DEP_1) | instskip(SKIP_2) | instid1(SALU_CYCLE_1)
	v_add_co_ci_u32_e64 v9, s0, s7, v9, s0
	global_load_u16 v6, v[8:9], off
	s_or_b32 exec_lo, exec_lo, s1
	s_mov_b32 s1, exec_lo
	v_cmpx_gt_i32_e64 s2, v2
	s_cbranch_execz .LBB478_6
.LBB478_12:
	v_dual_mov_b32 v3, 0 :: v_dual_add_nc_u32 v2, s8, v2
	s_delay_alu instid0(VALU_DEP_1) | instskip(NEXT) | instid1(VALU_DEP_1)
	v_lshlrev_b64 v[2:3], 1, v[2:3]
	v_add_co_u32 v2, s0, s6, v2
	s_delay_alu instid0(VALU_DEP_1)
	v_add_co_ci_u32_e64 v3, s0, s7, v3, s0
	global_load_u16 v3, v[2:3], off
	s_or_b32 exec_lo, exec_lo, s1
	s_and_saveexec_b32 s6, vcc_lo
	s_cbranch_execz .LBB478_7
.LBB478_13:
	s_waitcnt vmcnt(0)
	v_cmp_u_f16_e32 vcc_lo, v7, v7
	v_cmp_gt_f16_e64 s0, s3, v7
	s_delay_alu instid0(VALU_DEP_1) | instskip(SKIP_1) | instid1(VALU_DEP_1)
	s_or_b32 vcc_lo, vcc_lo, s0
	v_mov_b32_e32 v2, 0
	v_lshlrev_b64 v[0:1], 1, v[1:2]
	s_delay_alu instid0(VALU_DEP_1) | instskip(NEXT) | instid1(VALU_DEP_1)
	v_add_co_u32 v8, s1, s4, v0
	v_add_co_ci_u32_e64 v9, s1, s5, v1, s1
	v_dual_cndmask_b32 v1, s3, v7 :: v_dual_mov_b32 v0, v5
	global_store_b16 v[8:9], v1, off
	s_or_b32 exec_lo, exec_lo, s6
	s_delay_alu instid0(SALU_CYCLE_1)
	s_mov_b32 s1, exec_lo
	v_cmpx_gt_i32_e64 s2, v0
	s_cbranch_execz .LBB478_8
.LBB478_14:
	v_dual_mov_b32 v2, 0 :: v_dual_add_nc_u32 v1, s8, v0
	s_waitcnt vmcnt(0)
	v_cmp_u_f16_e32 vcc_lo, v4, v4
	v_cmp_gt_f16_e64 s0, s3, v4
	v_add_nc_u32_e32 v0, 0x100, v0
	v_lshlrev_b64 v[1:2], 1, v[1:2]
	s_delay_alu instid0(VALU_DEP_3) | instskip(SKIP_1) | instid1(VALU_DEP_2)
	s_or_b32 vcc_lo, vcc_lo, s0
	v_cndmask_b32_e32 v4, s3, v4, vcc_lo
	v_add_co_u32 v1, vcc_lo, s4, v1
	s_delay_alu instid0(VALU_DEP_3) | instskip(SKIP_2) | instid1(SALU_CYCLE_1)
	v_add_co_ci_u32_e32 v2, vcc_lo, s5, v2, vcc_lo
	global_store_b16 v[1:2], v4, off
	s_or_b32 exec_lo, exec_lo, s1
	s_mov_b32 s1, exec_lo
	v_cmpx_gt_i32_e64 s2, v0
	s_cbranch_execz .LBB478_9
.LBB478_15:
	v_dual_mov_b32 v2, 0 :: v_dual_add_nc_u32 v1, s8, v0
	s_waitcnt vmcnt(0)
	v_cmp_u_f16_e32 vcc_lo, v6, v6
	v_cmp_gt_f16_e64 s0, s3, v6
	v_add_nc_u32_e32 v0, 0x100, v0
	v_lshlrev_b64 v[1:2], 1, v[1:2]
	s_delay_alu instid0(VALU_DEP_3) | instskip(SKIP_1) | instid1(VALU_DEP_2)
	s_or_b32 vcc_lo, vcc_lo, s0
	v_cndmask_b32_e32 v4, s3, v6, vcc_lo
	v_add_co_u32 v1, vcc_lo, s4, v1
	s_delay_alu instid0(VALU_DEP_3) | instskip(SKIP_2) | instid1(SALU_CYCLE_1)
	v_add_co_ci_u32_e32 v2, vcc_lo, s5, v2, vcc_lo
	global_store_b16 v[1:2], v4, off
	s_or_b32 exec_lo, exec_lo, s1
	s_mov_b32 s0, exec_lo
	v_cmpx_gt_i32_e64 s2, v0
	s_cbranch_execz .LBB478_10
.LBB478_16:
	v_dual_mov_b32 v1, 0 :: v_dual_add_nc_u32 v0, s8, v0
	s_waitcnt vmcnt(0)
	v_cmp_u_f16_e32 vcc_lo, v3, v3
	v_cmp_gt_f16_e64 s0, s3, v3
	s_delay_alu instid0(VALU_DEP_3) | instskip(NEXT) | instid1(VALU_DEP_2)
	v_lshlrev_b64 v[0:1], 1, v[0:1]
	s_or_b32 vcc_lo, vcc_lo, s0
	v_cndmask_b32_e32 v2, s3, v3, vcc_lo
	s_delay_alu instid0(VALU_DEP_2) | instskip(NEXT) | instid1(VALU_DEP_3)
	v_add_co_u32 v0, vcc_lo, s4, v0
	v_add_co_ci_u32_e32 v1, vcc_lo, s5, v1, vcc_lo
	global_store_b16 v[0:1], v2, off
	s_nop 0
	s_sendmsg sendmsg(MSG_DEALLOC_VGPRS)
	s_endpgm
	.section	.rodata,"a",@progbits
	.p2align	6, 0x0
	.amdhsa_kernel _ZN2at6native27unrolled_elementwise_kernelIZZZNS0_21clamp_max_kernel_cudaERNS_18TensorIteratorBaseERKN3c106ScalarEENKUlvE_clEvENKUlvE6_clEvEUlNS4_4HalfEE_St5arrayIPcLm2EELi4E23TrivialOffsetCalculatorILi1EjESG_NS0_6memory15LoadWithoutCastENSH_16StoreWithoutCastEEEviT_T0_T2_T3_T4_T5_
		.amdhsa_group_segment_fixed_size 0
		.amdhsa_private_segment_fixed_size 0
		.amdhsa_kernarg_size 28
		.amdhsa_user_sgpr_count 15
		.amdhsa_user_sgpr_dispatch_ptr 0
		.amdhsa_user_sgpr_queue_ptr 0
		.amdhsa_user_sgpr_kernarg_segment_ptr 1
		.amdhsa_user_sgpr_dispatch_id 0
		.amdhsa_user_sgpr_private_segment_size 0
		.amdhsa_wavefront_size32 1
		.amdhsa_uses_dynamic_stack 0
		.amdhsa_enable_private_segment 0
		.amdhsa_system_sgpr_workgroup_id_x 1
		.amdhsa_system_sgpr_workgroup_id_y 0
		.amdhsa_system_sgpr_workgroup_id_z 0
		.amdhsa_system_sgpr_workgroup_info 0
		.amdhsa_system_vgpr_workitem_id 0
		.amdhsa_next_free_vgpr 10
		.amdhsa_next_free_sgpr 16
		.amdhsa_reserve_vcc 1
		.amdhsa_float_round_mode_32 0
		.amdhsa_float_round_mode_16_64 0
		.amdhsa_float_denorm_mode_32 3
		.amdhsa_float_denorm_mode_16_64 3
		.amdhsa_dx10_clamp 1
		.amdhsa_ieee_mode 1
		.amdhsa_fp16_overflow 0
		.amdhsa_workgroup_processor_mode 1
		.amdhsa_memory_ordered 1
		.amdhsa_forward_progress 0
		.amdhsa_shared_vgpr_count 0
		.amdhsa_exception_fp_ieee_invalid_op 0
		.amdhsa_exception_fp_denorm_src 0
		.amdhsa_exception_fp_ieee_div_zero 0
		.amdhsa_exception_fp_ieee_overflow 0
		.amdhsa_exception_fp_ieee_underflow 0
		.amdhsa_exception_fp_ieee_inexact 0
		.amdhsa_exception_int_div_zero 0
	.end_amdhsa_kernel
	.section	.text._ZN2at6native27unrolled_elementwise_kernelIZZZNS0_21clamp_max_kernel_cudaERNS_18TensorIteratorBaseERKN3c106ScalarEENKUlvE_clEvENKUlvE6_clEvEUlNS4_4HalfEE_St5arrayIPcLm2EELi4E23TrivialOffsetCalculatorILi1EjESG_NS0_6memory15LoadWithoutCastENSH_16StoreWithoutCastEEEviT_T0_T2_T3_T4_T5_,"axG",@progbits,_ZN2at6native27unrolled_elementwise_kernelIZZZNS0_21clamp_max_kernel_cudaERNS_18TensorIteratorBaseERKN3c106ScalarEENKUlvE_clEvENKUlvE6_clEvEUlNS4_4HalfEE_St5arrayIPcLm2EELi4E23TrivialOffsetCalculatorILi1EjESG_NS0_6memory15LoadWithoutCastENSH_16StoreWithoutCastEEEviT_T0_T2_T3_T4_T5_,comdat
.Lfunc_end478:
	.size	_ZN2at6native27unrolled_elementwise_kernelIZZZNS0_21clamp_max_kernel_cudaERNS_18TensorIteratorBaseERKN3c106ScalarEENKUlvE_clEvENKUlvE6_clEvEUlNS4_4HalfEE_St5arrayIPcLm2EELi4E23TrivialOffsetCalculatorILi1EjESG_NS0_6memory15LoadWithoutCastENSH_16StoreWithoutCastEEEviT_T0_T2_T3_T4_T5_, .Lfunc_end478-_ZN2at6native27unrolled_elementwise_kernelIZZZNS0_21clamp_max_kernel_cudaERNS_18TensorIteratorBaseERKN3c106ScalarEENKUlvE_clEvENKUlvE6_clEvEUlNS4_4HalfEE_St5arrayIPcLm2EELi4E23TrivialOffsetCalculatorILi1EjESG_NS0_6memory15LoadWithoutCastENSH_16StoreWithoutCastEEEviT_T0_T2_T3_T4_T5_
                                        ; -- End function
	.section	.AMDGPU.csdata,"",@progbits
; Kernel info:
; codeLenInByte = 856
; NumSgprs: 18
; NumVgprs: 10
; ScratchSize: 0
; MemoryBound: 0
; FloatMode: 240
; IeeeMode: 1
; LDSByteSize: 0 bytes/workgroup (compile time only)
; SGPRBlocks: 2
; VGPRBlocks: 1
; NumSGPRsForWavesPerEU: 18
; NumVGPRsForWavesPerEU: 10
; Occupancy: 16
; WaveLimiterHint : 0
; COMPUTE_PGM_RSRC2:SCRATCH_EN: 0
; COMPUTE_PGM_RSRC2:USER_SGPR: 15
; COMPUTE_PGM_RSRC2:TRAP_HANDLER: 0
; COMPUTE_PGM_RSRC2:TGID_X_EN: 1
; COMPUTE_PGM_RSRC2:TGID_Y_EN: 0
; COMPUTE_PGM_RSRC2:TGID_Z_EN: 0
; COMPUTE_PGM_RSRC2:TIDIG_COMP_CNT: 0
	.section	.text._ZN2at6native32elementwise_kernel_manual_unrollILi128ELi8EZNS0_22gpu_kernel_impl_nocastIZZZNS0_21clamp_max_kernel_cudaERNS_18TensorIteratorBaseERKN3c106ScalarEENKUlvE_clEvENKUlvE6_clEvEUlNS5_4HalfEE_EEvS4_RKT_EUlibE_EEviT1_,"axG",@progbits,_ZN2at6native32elementwise_kernel_manual_unrollILi128ELi8EZNS0_22gpu_kernel_impl_nocastIZZZNS0_21clamp_max_kernel_cudaERNS_18TensorIteratorBaseERKN3c106ScalarEENKUlvE_clEvENKUlvE6_clEvEUlNS5_4HalfEE_EEvS4_RKT_EUlibE_EEviT1_,comdat
	.globl	_ZN2at6native32elementwise_kernel_manual_unrollILi128ELi8EZNS0_22gpu_kernel_impl_nocastIZZZNS0_21clamp_max_kernel_cudaERNS_18TensorIteratorBaseERKN3c106ScalarEENKUlvE_clEvENKUlvE6_clEvEUlNS5_4HalfEE_EEvS4_RKT_EUlibE_EEviT1_ ; -- Begin function _ZN2at6native32elementwise_kernel_manual_unrollILi128ELi8EZNS0_22gpu_kernel_impl_nocastIZZZNS0_21clamp_max_kernel_cudaERNS_18TensorIteratorBaseERKN3c106ScalarEENKUlvE_clEvENKUlvE6_clEvEUlNS5_4HalfEE_EEvS4_RKT_EUlibE_EEviT1_
	.p2align	8
	.type	_ZN2at6native32elementwise_kernel_manual_unrollILi128ELi8EZNS0_22gpu_kernel_impl_nocastIZZZNS0_21clamp_max_kernel_cudaERNS_18TensorIteratorBaseERKN3c106ScalarEENKUlvE_clEvENKUlvE6_clEvEUlNS5_4HalfEE_EEvS4_RKT_EUlibE_EEviT1_,@function
_ZN2at6native32elementwise_kernel_manual_unrollILi128ELi8EZNS0_22gpu_kernel_impl_nocastIZZZNS0_21clamp_max_kernel_cudaERNS_18TensorIteratorBaseERKN3c106ScalarEENKUlvE_clEvENKUlvE6_clEvEUlNS5_4HalfEE_EEvS4_RKT_EUlibE_EEviT1_: ; @_ZN2at6native32elementwise_kernel_manual_unrollILi128ELi8EZNS0_22gpu_kernel_impl_nocastIZZZNS0_21clamp_max_kernel_cudaERNS_18TensorIteratorBaseERKN3c106ScalarEENKUlvE_clEvENKUlvE6_clEvEUlNS5_4HalfEE_EEvS4_RKT_EUlibE_EEviT1_
; %bb.0:
	s_clause 0x1
	s_load_b32 s22, s[0:1], 0x8
	s_load_b32 s28, s[0:1], 0x0
	v_lshl_or_b32 v12, s15, 10, v0
	s_or_b32 s0, s0, 8
	s_mov_b32 s2, exec_lo
	s_delay_alu instid0(VALU_DEP_1) | instskip(SKIP_2) | instid1(SALU_CYCLE_1)
	v_or_b32_e32 v16, 0x380, v12
	s_waitcnt lgkmcnt(0)
	s_add_i32 s23, s22, -1
	s_cmp_gt_u32 s23, 1
	s_cselect_b32 s24, -1, 0
	v_cmpx_le_i32_e64 s28, v16
	s_xor_b32 s25, exec_lo, s2
	s_cbranch_execz .LBB479_7
; %bb.1:
	s_clause 0x4
	s_load_b128 s[12:15], s[0:1], 0x4
	s_load_b64 s[16:17], s[0:1], 0x14
	s_load_b128 s[8:11], s[0:1], 0xc4
	s_load_b128 s[4:7], s[0:1], 0x148
	s_load_b32 s26, s[0:1], 0x158
	s_cmp_lg_u32 s22, 0
	s_mov_b32 s31, exec_lo
	s_cselect_b32 s30, -1, 0
	s_add_u32 s18, s0, 0xc4
	s_addc_u32 s19, s1, 0
	s_min_u32 s29, s23, 15
	s_cmp_gt_u32 s22, 1
	s_cselect_b32 s27, -1, 0
	v_cmpx_gt_i32_e64 s28, v12
	s_cbranch_execz .LBB479_14
; %bb.2:
	s_and_not1_b32 vcc_lo, exec_lo, s24
	s_cbranch_vccnz .LBB479_21
; %bb.3:
	v_dual_mov_b32 v0, 0 :: v_dual_mov_b32 v1, 0
	s_and_not1_b32 vcc_lo, exec_lo, s30
	s_mov_b32 s33, 0
	s_cbranch_vccnz .LBB479_125
; %bb.4:
	v_mov_b32_e32 v0, 0
	s_add_i32 s35, s29, 1
	s_cmp_eq_u32 s23, 2
	s_mov_b32 s34, 0
	s_cbranch_scc1 .LBB479_121
; %bb.5:
	v_dual_mov_b32 v1, 0 :: v_dual_mov_b32 v0, 0
	v_mov_b32_e32 v2, v12
	s_and_b32 s34, s35, 28
	s_mov_b32 s36, 0
	s_mov_b64 s[2:3], s[18:19]
	s_mov_b64 s[20:21], s[0:1]
.LBB479_6:                              ; =>This Inner Loop Header: Depth=1
	s_clause 0x1
	s_load_b256 s[40:47], s[20:21], 0x4
	s_load_b128 s[56:59], s[20:21], 0x24
	s_load_b256 s[48:55], s[2:3], 0x0
	s_add_u32 s20, s20, 48
	s_addc_u32 s21, s21, 0
	s_add_i32 s36, s36, 4
	s_add_u32 s2, s2, 32
	s_addc_u32 s3, s3, 0
	s_cmp_lg_u32 s34, s36
	s_waitcnt lgkmcnt(0)
	v_mul_hi_u32 v3, s41, v2
	s_delay_alu instid0(VALU_DEP_1) | instskip(NEXT) | instid1(VALU_DEP_1)
	v_add_nc_u32_e32 v3, v2, v3
	v_lshrrev_b32_e32 v3, s42, v3
	s_delay_alu instid0(VALU_DEP_1) | instskip(SKIP_1) | instid1(VALU_DEP_2)
	v_mul_hi_u32 v4, s44, v3
	v_mul_lo_u32 v6, v3, s40
	v_add_nc_u32_e32 v4, v3, v4
	s_delay_alu instid0(VALU_DEP_2) | instskip(NEXT) | instid1(VALU_DEP_2)
	v_sub_nc_u32_e32 v2, v2, v6
	v_lshrrev_b32_e32 v4, s45, v4
	s_delay_alu instid0(VALU_DEP_2) | instskip(SKIP_1) | instid1(VALU_DEP_3)
	v_mul_lo_u32 v6, v2, s48
	v_mul_lo_u32 v8, v2, s49
	v_mul_hi_u32 v5, s47, v4
	s_delay_alu instid0(VALU_DEP_1) | instskip(NEXT) | instid1(VALU_DEP_1)
	v_add_nc_u32_e32 v5, v4, v5
	v_lshrrev_b32_e32 v5, s56, v5
	s_delay_alu instid0(VALU_DEP_1) | instskip(SKIP_1) | instid1(VALU_DEP_2)
	v_mul_hi_u32 v7, s58, v5
	v_mul_lo_u32 v9, v5, s46
	v_add_nc_u32_e32 v2, v5, v7
	v_mul_lo_u32 v7, v4, s43
	s_delay_alu instid0(VALU_DEP_3) | instskip(NEXT) | instid1(VALU_DEP_3)
	v_sub_nc_u32_e32 v4, v4, v9
	v_lshrrev_b32_e32 v2, s59, v2
	s_delay_alu instid0(VALU_DEP_2) | instskip(SKIP_2) | instid1(VALU_DEP_4)
	v_mul_lo_u32 v9, v4, s52
	v_mul_lo_u32 v4, v4, s53
	v_sub_nc_u32_e32 v3, v3, v7
	v_mul_lo_u32 v10, v2, s57
	s_delay_alu instid0(VALU_DEP_2) | instskip(SKIP_1) | instid1(VALU_DEP_3)
	v_mul_lo_u32 v7, v3, s50
	v_mul_lo_u32 v3, v3, s51
	v_sub_nc_u32_e32 v5, v5, v10
	s_delay_alu instid0(VALU_DEP_3) | instskip(NEXT) | instid1(VALU_DEP_2)
	v_add3_u32 v0, v6, v0, v7
	v_mul_lo_u32 v10, v5, s54
	v_mul_lo_u32 v5, v5, s55
	v_add3_u32 v1, v8, v1, v3
	s_delay_alu instid0(VALU_DEP_3) | instskip(NEXT) | instid1(VALU_DEP_2)
	v_add3_u32 v0, v9, v0, v10
	v_add3_u32 v1, v4, v1, v5
	s_cbranch_scc1 .LBB479_6
	s_branch .LBB479_122
.LBB479_7:
	s_and_not1_saveexec_b32 s2, s25
	s_cbranch_execz .LBB479_206
.LBB479_8:
	v_cndmask_b32_e64 v14, 0, 1, s24
	s_and_not1_b32 vcc_lo, exec_lo, s24
	s_cbranch_vccnz .LBB479_20
; %bb.9:
	v_dual_mov_b32 v0, 0 :: v_dual_mov_b32 v1, 0
	s_cmp_lg_u32 s22, 0
	s_waitcnt lgkmcnt(0)
	s_mov_b32 s6, 0
	s_cbranch_scc0 .LBB479_26
; %bb.10:
	s_min_u32 s7, s23, 15
	v_mov_b32_e32 v0, 0
	s_add_i32 s7, s7, 1
	s_cmp_eq_u32 s23, 2
	s_mov_b32 s8, 0
	s_cbranch_scc1 .LBB479_23
; %bb.11:
	v_dual_mov_b32 v1, 0 :: v_dual_mov_b32 v0, 0
	v_mov_b32_e32 v2, v12
	s_add_u32 s2, s0, 0xc4
	s_addc_u32 s3, s1, 0
	s_and_b32 s8, s7, 28
	s_mov_b32 s9, 0
	s_mov_b64 s[4:5], s[0:1]
.LBB479_12:                             ; =>This Inner Loop Header: Depth=1
	s_clause 0x1
	s_load_b256 s[12:19], s[4:5], 0x4
	s_load_b128 s[36:39], s[4:5], 0x24
	s_load_b256 s[24:31], s[2:3], 0x0
	s_add_u32 s4, s4, 48
	s_addc_u32 s5, s5, 0
	s_add_i32 s9, s9, 4
	s_add_u32 s2, s2, 32
	s_addc_u32 s3, s3, 0
	s_cmp_lg_u32 s8, s9
	s_waitcnt lgkmcnt(0)
	v_mul_hi_u32 v3, s13, v2
	s_delay_alu instid0(VALU_DEP_1) | instskip(NEXT) | instid1(VALU_DEP_1)
	v_add_nc_u32_e32 v3, v2, v3
	v_lshrrev_b32_e32 v3, s14, v3
	s_delay_alu instid0(VALU_DEP_1) | instskip(SKIP_1) | instid1(VALU_DEP_2)
	v_mul_hi_u32 v4, s16, v3
	v_mul_lo_u32 v6, v3, s12
	v_add_nc_u32_e32 v4, v3, v4
	s_delay_alu instid0(VALU_DEP_2) | instskip(NEXT) | instid1(VALU_DEP_2)
	v_sub_nc_u32_e32 v2, v2, v6
	v_lshrrev_b32_e32 v4, s17, v4
	s_delay_alu instid0(VALU_DEP_2) | instskip(SKIP_1) | instid1(VALU_DEP_3)
	v_mul_lo_u32 v6, v2, s24
	v_mul_lo_u32 v8, v2, s25
	v_mul_hi_u32 v5, s19, v4
	s_delay_alu instid0(VALU_DEP_1) | instskip(NEXT) | instid1(VALU_DEP_1)
	v_add_nc_u32_e32 v5, v4, v5
	v_lshrrev_b32_e32 v5, s36, v5
	s_delay_alu instid0(VALU_DEP_1) | instskip(SKIP_1) | instid1(VALU_DEP_2)
	v_mul_hi_u32 v7, s38, v5
	v_mul_lo_u32 v9, v5, s18
	v_add_nc_u32_e32 v2, v5, v7
	v_mul_lo_u32 v7, v4, s15
	s_delay_alu instid0(VALU_DEP_3) | instskip(NEXT) | instid1(VALU_DEP_3)
	v_sub_nc_u32_e32 v4, v4, v9
	v_lshrrev_b32_e32 v2, s39, v2
	s_delay_alu instid0(VALU_DEP_2) | instskip(SKIP_2) | instid1(VALU_DEP_4)
	v_mul_lo_u32 v9, v4, s28
	v_mul_lo_u32 v4, v4, s29
	v_sub_nc_u32_e32 v3, v3, v7
	v_mul_lo_u32 v10, v2, s37
	s_delay_alu instid0(VALU_DEP_2) | instskip(SKIP_1) | instid1(VALU_DEP_3)
	v_mul_lo_u32 v7, v3, s26
	v_mul_lo_u32 v3, v3, s27
	v_sub_nc_u32_e32 v5, v5, v10
	s_delay_alu instid0(VALU_DEP_3) | instskip(NEXT) | instid1(VALU_DEP_2)
	v_add3_u32 v0, v6, v0, v7
	v_mul_lo_u32 v10, v5, s30
	v_mul_lo_u32 v5, v5, s31
	v_add3_u32 v1, v8, v1, v3
	s_delay_alu instid0(VALU_DEP_3) | instskip(NEXT) | instid1(VALU_DEP_2)
	v_add3_u32 v0, v9, v0, v10
	v_add3_u32 v1, v4, v1, v5
	s_cbranch_scc1 .LBB479_12
; %bb.13:
	s_and_b32 s7, s7, 3
	s_delay_alu instid0(SALU_CYCLE_1)
	s_cmp_eq_u32 s7, 0
	s_cbranch_scc0 .LBB479_24
	s_branch .LBB479_26
.LBB479_14:
	s_or_b32 exec_lo, exec_lo, s31
	s_delay_alu instid0(SALU_CYCLE_1)
	s_mov_b32 s31, exec_lo
	v_cmpx_gt_i32_e64 s28, v12
	s_cbranch_execz .LBB479_129
.LBB479_15:
	s_and_not1_b32 vcc_lo, exec_lo, s24
	s_cbranch_vccnz .LBB479_22
; %bb.16:
	v_dual_mov_b32 v0, 0 :: v_dual_mov_b32 v1, 0
	s_and_not1_b32 vcc_lo, exec_lo, s30
	s_mov_b32 s33, 0
	s_cbranch_vccnz .LBB479_140
; %bb.17:
	v_mov_b32_e32 v0, 0
	s_add_i32 s35, s29, 1
	s_cmp_eq_u32 s23, 2
	s_mov_b32 s34, 0
	s_cbranch_scc1 .LBB479_136
; %bb.18:
	v_dual_mov_b32 v1, 0 :: v_dual_mov_b32 v0, 0
	v_mov_b32_e32 v2, v12
	s_and_b32 s34, s35, 28
	s_mov_b32 s36, 0
	s_mov_b64 s[2:3], s[18:19]
	s_mov_b64 s[20:21], s[0:1]
.LBB479_19:                             ; =>This Inner Loop Header: Depth=1
	s_clause 0x1
	s_load_b256 s[40:47], s[20:21], 0x4
	s_load_b128 s[56:59], s[20:21], 0x24
	s_load_b256 s[48:55], s[2:3], 0x0
	s_add_u32 s20, s20, 48
	s_addc_u32 s21, s21, 0
	s_add_i32 s36, s36, 4
	s_add_u32 s2, s2, 32
	s_addc_u32 s3, s3, 0
	s_cmp_eq_u32 s34, s36
	s_waitcnt lgkmcnt(0)
	v_mul_hi_u32 v3, s41, v2
	s_delay_alu instid0(VALU_DEP_1) | instskip(NEXT) | instid1(VALU_DEP_1)
	v_add_nc_u32_e32 v3, v2, v3
	v_lshrrev_b32_e32 v3, s42, v3
	s_delay_alu instid0(VALU_DEP_1) | instskip(SKIP_1) | instid1(VALU_DEP_2)
	v_mul_hi_u32 v4, s44, v3
	v_mul_lo_u32 v6, v3, s40
	v_add_nc_u32_e32 v4, v3, v4
	s_delay_alu instid0(VALU_DEP_2) | instskip(NEXT) | instid1(VALU_DEP_2)
	v_sub_nc_u32_e32 v2, v2, v6
	v_lshrrev_b32_e32 v4, s45, v4
	s_delay_alu instid0(VALU_DEP_2) | instskip(SKIP_1) | instid1(VALU_DEP_3)
	v_mul_lo_u32 v6, v2, s48
	v_mul_lo_u32 v8, v2, s49
	v_mul_hi_u32 v5, s47, v4
	s_delay_alu instid0(VALU_DEP_1) | instskip(NEXT) | instid1(VALU_DEP_1)
	v_add_nc_u32_e32 v5, v4, v5
	v_lshrrev_b32_e32 v5, s56, v5
	s_delay_alu instid0(VALU_DEP_1) | instskip(SKIP_1) | instid1(VALU_DEP_2)
	v_mul_hi_u32 v7, s58, v5
	v_mul_lo_u32 v9, v5, s46
	v_add_nc_u32_e32 v2, v5, v7
	v_mul_lo_u32 v7, v4, s43
	s_delay_alu instid0(VALU_DEP_3) | instskip(NEXT) | instid1(VALU_DEP_3)
	v_sub_nc_u32_e32 v4, v4, v9
	v_lshrrev_b32_e32 v2, s59, v2
	s_delay_alu instid0(VALU_DEP_2) | instskip(SKIP_2) | instid1(VALU_DEP_4)
	v_mul_lo_u32 v9, v4, s52
	v_mul_lo_u32 v4, v4, s53
	v_sub_nc_u32_e32 v3, v3, v7
	v_mul_lo_u32 v10, v2, s57
	s_delay_alu instid0(VALU_DEP_2) | instskip(SKIP_1) | instid1(VALU_DEP_3)
	v_mul_lo_u32 v7, v3, s50
	v_mul_lo_u32 v3, v3, s51
	v_sub_nc_u32_e32 v5, v5, v10
	s_delay_alu instid0(VALU_DEP_3) | instskip(NEXT) | instid1(VALU_DEP_2)
	v_add3_u32 v0, v6, v0, v7
	v_mul_lo_u32 v10, v5, s54
	v_mul_lo_u32 v5, v5, s55
	v_add3_u32 v1, v8, v1, v3
	s_delay_alu instid0(VALU_DEP_3) | instskip(NEXT) | instid1(VALU_DEP_2)
	v_add3_u32 v0, v9, v0, v10
	v_add3_u32 v1, v4, v1, v5
	s_cbranch_scc0 .LBB479_19
	s_branch .LBB479_137
.LBB479_20:
	s_waitcnt lgkmcnt(0)
	s_mov_b32 s6, -1
                                        ; implicit-def: $vgpr0
                                        ; implicit-def: $vgpr1
	s_branch .LBB479_26
.LBB479_21:
	s_mov_b32 s33, -1
                                        ; implicit-def: $vgpr0
                                        ; implicit-def: $vgpr1
	s_branch .LBB479_125
.LBB479_22:
	s_mov_b32 s33, -1
                                        ; implicit-def: $vgpr0
                                        ; implicit-def: $vgpr1
	s_branch .LBB479_140
.LBB479_23:
	v_dual_mov_b32 v2, v12 :: v_dual_mov_b32 v1, 0
	s_and_b32 s7, s7, 3
	s_delay_alu instid0(SALU_CYCLE_1)
	s_cmp_eq_u32 s7, 0
	s_cbranch_scc1 .LBB479_26
.LBB479_24:
	s_lshl_b32 s2, s8, 3
	s_mul_i32 s4, s8, 12
	s_add_u32 s2, s2, s0
	s_addc_u32 s3, 0, s1
	s_add_u32 s2, s2, 0xc4
	s_addc_u32 s3, s3, 0
	;; [unrolled: 2-line block ×3, first 2 shown]
	.p2align	6
.LBB479_25:                             ; =>This Inner Loop Header: Depth=1
	s_clause 0x1
	s_load_b64 s[8:9], s[4:5], 0x4
	s_load_b32 s12, s[4:5], 0xc
	s_load_b64 s[10:11], s[2:3], 0x0
	s_add_u32 s4, s4, 12
	s_addc_u32 s5, s5, 0
	s_add_u32 s2, s2, 8
	s_addc_u32 s3, s3, 0
	s_add_i32 s7, s7, -1
	s_delay_alu instid0(SALU_CYCLE_1) | instskip(SKIP_2) | instid1(VALU_DEP_1)
	s_cmp_lg_u32 s7, 0
	s_waitcnt lgkmcnt(0)
	v_mul_hi_u32 v3, s9, v2
	v_add_nc_u32_e32 v3, v2, v3
	s_delay_alu instid0(VALU_DEP_1) | instskip(NEXT) | instid1(VALU_DEP_1)
	v_lshrrev_b32_e32 v6, s12, v3
	v_mul_lo_u32 v3, v6, s8
	s_delay_alu instid0(VALU_DEP_1) | instskip(NEXT) | instid1(VALU_DEP_1)
	v_sub_nc_u32_e32 v2, v2, v3
	v_mad_u64_u32 v[3:4], null, v2, s10, v[0:1]
	v_mad_u64_u32 v[4:5], null, v2, s11, v[1:2]
	v_mov_b32_e32 v2, v6
	s_delay_alu instid0(VALU_DEP_2)
	v_dual_mov_b32 v0, v3 :: v_dual_mov_b32 v1, v4
	s_cbranch_scc1 .LBB479_25
.LBB479_26:
	s_and_not1_b32 vcc_lo, exec_lo, s6
	s_cbranch_vccnz .LBB479_29
; %bb.27:
	s_clause 0x1
	s_load_b128 s[4:7], s[0:1], 0x4
	s_load_b64 s[2:3], s[0:1], 0xc4
	s_cmp_lt_u32 s22, 2
	s_waitcnt lgkmcnt(0)
	v_mul_hi_u32 v0, s5, v12
	s_delay_alu instid0(VALU_DEP_1) | instskip(NEXT) | instid1(VALU_DEP_1)
	v_add_nc_u32_e32 v0, v12, v0
	v_lshrrev_b32_e32 v2, s6, v0
	s_delay_alu instid0(VALU_DEP_1) | instskip(NEXT) | instid1(VALU_DEP_1)
	v_mul_lo_u32 v0, v2, s4
	v_sub_nc_u32_e32 v1, v12, v0
	s_delay_alu instid0(VALU_DEP_1)
	v_mul_lo_u32 v0, v1, s2
	v_mul_lo_u32 v1, v1, s3
	s_cbranch_scc1 .LBB479_29
; %bb.28:
	s_clause 0x1
	s_load_b128 s[4:7], s[0:1], 0x10
	s_load_b64 s[2:3], s[0:1], 0xcc
	s_waitcnt lgkmcnt(0)
	v_mul_hi_u32 v3, s5, v2
	s_delay_alu instid0(VALU_DEP_1) | instskip(NEXT) | instid1(VALU_DEP_1)
	v_add_nc_u32_e32 v3, v2, v3
	v_lshrrev_b32_e32 v3, s6, v3
	s_delay_alu instid0(VALU_DEP_1) | instskip(NEXT) | instid1(VALU_DEP_1)
	v_mul_lo_u32 v3, v3, s4
	v_sub_nc_u32_e32 v5, v2, v3
	s_delay_alu instid0(VALU_DEP_1) | instskip(NEXT) | instid1(VALU_DEP_1)
	v_mad_u64_u32 v[2:3], null, v5, s2, v[0:1]
	v_mad_u64_u32 v[3:4], null, v5, s3, v[1:2]
	s_delay_alu instid0(VALU_DEP_1)
	v_dual_mov_b32 v0, v2 :: v_dual_mov_b32 v1, v3
.LBB479_29:
	v_cmp_ne_u32_e32 vcc_lo, 1, v14
	v_add_nc_u32_e32 v4, 0x80, v12
	s_cbranch_vccnz .LBB479_35
; %bb.30:
	v_dual_mov_b32 v2, 0 :: v_dual_mov_b32 v3, 0
	s_cmp_lg_u32 s22, 0
	s_mov_b32 s6, 0
	s_cbranch_scc0 .LBB479_39
; %bb.31:
	s_min_u32 s7, s23, 15
	v_mov_b32_e32 v2, 0
	s_add_i32 s7, s7, 1
	s_cmp_eq_u32 s23, 2
	s_mov_b32 s8, 0
	s_cbranch_scc1 .LBB479_36
; %bb.32:
	v_dual_mov_b32 v3, 0 :: v_dual_mov_b32 v2, 0
	v_mov_b32_e32 v5, v4
	s_add_u32 s2, s0, 0xc4
	s_addc_u32 s3, s1, 0
	s_and_b32 s8, s7, 28
	s_mov_b32 s9, 0
	s_mov_b64 s[4:5], s[0:1]
.LBB479_33:                             ; =>This Inner Loop Header: Depth=1
	s_clause 0x1
	s_load_b256 s[12:19], s[4:5], 0x4
	s_load_b128 s[36:39], s[4:5], 0x24
	s_load_b256 s[24:31], s[2:3], 0x0
	s_add_u32 s4, s4, 48
	s_addc_u32 s5, s5, 0
	s_add_i32 s9, s9, 4
	s_add_u32 s2, s2, 32
	s_addc_u32 s3, s3, 0
	s_cmp_lg_u32 s8, s9
	s_waitcnt lgkmcnt(0)
	v_mul_hi_u32 v6, s13, v5
	s_delay_alu instid0(VALU_DEP_1) | instskip(NEXT) | instid1(VALU_DEP_1)
	v_add_nc_u32_e32 v6, v5, v6
	v_lshrrev_b32_e32 v6, s14, v6
	s_delay_alu instid0(VALU_DEP_1) | instskip(SKIP_1) | instid1(VALU_DEP_2)
	v_mul_hi_u32 v7, s16, v6
	v_mul_lo_u32 v9, v6, s12
	v_add_nc_u32_e32 v7, v6, v7
	s_delay_alu instid0(VALU_DEP_2) | instskip(NEXT) | instid1(VALU_DEP_2)
	v_sub_nc_u32_e32 v5, v5, v9
	v_lshrrev_b32_e32 v7, s17, v7
	s_delay_alu instid0(VALU_DEP_2) | instskip(SKIP_1) | instid1(VALU_DEP_3)
	v_mul_lo_u32 v9, v5, s24
	v_mul_lo_u32 v11, v5, s25
	v_mul_hi_u32 v8, s19, v7
	s_delay_alu instid0(VALU_DEP_1) | instskip(NEXT) | instid1(VALU_DEP_1)
	v_add_nc_u32_e32 v8, v7, v8
	v_lshrrev_b32_e32 v8, s36, v8
	s_delay_alu instid0(VALU_DEP_1) | instskip(SKIP_1) | instid1(VALU_DEP_2)
	v_mul_hi_u32 v10, s38, v8
	v_mul_lo_u32 v13, v8, s18
	v_add_nc_u32_e32 v5, v8, v10
	v_mul_lo_u32 v10, v7, s15
	s_delay_alu instid0(VALU_DEP_3) | instskip(NEXT) | instid1(VALU_DEP_3)
	v_sub_nc_u32_e32 v7, v7, v13
	v_lshrrev_b32_e32 v5, s39, v5
	s_delay_alu instid0(VALU_DEP_2) | instskip(SKIP_2) | instid1(VALU_DEP_4)
	v_mul_lo_u32 v13, v7, s28
	v_mul_lo_u32 v7, v7, s29
	v_sub_nc_u32_e32 v6, v6, v10
	v_mul_lo_u32 v15, v5, s37
	s_delay_alu instid0(VALU_DEP_2) | instskip(SKIP_1) | instid1(VALU_DEP_3)
	v_mul_lo_u32 v10, v6, s26
	v_mul_lo_u32 v6, v6, s27
	v_sub_nc_u32_e32 v8, v8, v15
	s_delay_alu instid0(VALU_DEP_3) | instskip(NEXT) | instid1(VALU_DEP_2)
	v_add3_u32 v2, v9, v2, v10
	v_mul_lo_u32 v15, v8, s30
	v_mul_lo_u32 v8, v8, s31
	v_add3_u32 v3, v11, v3, v6
	s_delay_alu instid0(VALU_DEP_3) | instskip(NEXT) | instid1(VALU_DEP_2)
	v_add3_u32 v2, v13, v2, v15
	v_add3_u32 v3, v7, v3, v8
	s_cbranch_scc1 .LBB479_33
; %bb.34:
	s_and_b32 s7, s7, 3
	s_delay_alu instid0(SALU_CYCLE_1)
	s_cmp_eq_u32 s7, 0
	s_cbranch_scc0 .LBB479_37
	s_branch .LBB479_39
.LBB479_35:
	s_mov_b32 s6, -1
                                        ; implicit-def: $vgpr2
                                        ; implicit-def: $vgpr3
	s_branch .LBB479_39
.LBB479_36:
	v_mov_b32_e32 v5, v4
	v_mov_b32_e32 v3, 0
	s_and_b32 s7, s7, 3
	s_delay_alu instid0(SALU_CYCLE_1)
	s_cmp_eq_u32 s7, 0
	s_cbranch_scc1 .LBB479_39
.LBB479_37:
	s_lshl_b32 s2, s8, 3
	s_mul_i32 s4, s8, 12
	s_add_u32 s2, s2, s0
	s_addc_u32 s3, 0, s1
	s_add_u32 s2, s2, 0xc4
	s_addc_u32 s3, s3, 0
	;; [unrolled: 2-line block ×3, first 2 shown]
	.p2align	6
.LBB479_38:                             ; =>This Inner Loop Header: Depth=1
	s_clause 0x1
	s_load_b64 s[8:9], s[4:5], 0x4
	s_load_b32 s12, s[4:5], 0xc
	s_load_b64 s[10:11], s[2:3], 0x0
	s_add_u32 s4, s4, 12
	s_addc_u32 s5, s5, 0
	s_add_u32 s2, s2, 8
	s_addc_u32 s3, s3, 0
	s_add_i32 s7, s7, -1
	s_delay_alu instid0(SALU_CYCLE_1) | instskip(SKIP_2) | instid1(VALU_DEP_1)
	s_cmp_lg_u32 s7, 0
	s_waitcnt lgkmcnt(0)
	v_mul_hi_u32 v6, s9, v5
	v_add_nc_u32_e32 v6, v5, v6
	s_delay_alu instid0(VALU_DEP_1) | instskip(NEXT) | instid1(VALU_DEP_1)
	v_lshrrev_b32_e32 v9, s12, v6
	v_mul_lo_u32 v6, v9, s8
	s_delay_alu instid0(VALU_DEP_1) | instskip(NEXT) | instid1(VALU_DEP_1)
	v_sub_nc_u32_e32 v5, v5, v6
	v_mad_u64_u32 v[6:7], null, v5, s10, v[2:3]
	v_mad_u64_u32 v[7:8], null, v5, s11, v[3:4]
	s_delay_alu instid0(VALU_DEP_2) | instskip(NEXT) | instid1(VALU_DEP_2)
	v_dual_mov_b32 v5, v9 :: v_dual_mov_b32 v2, v6
	v_mov_b32_e32 v3, v7
	s_cbranch_scc1 .LBB479_38
.LBB479_39:
	s_and_not1_b32 vcc_lo, exec_lo, s6
	s_cbranch_vccnz .LBB479_42
; %bb.40:
	s_clause 0x1
	s_load_b128 s[4:7], s[0:1], 0x4
	s_load_b64 s[2:3], s[0:1], 0xc4
	s_cmp_lt_u32 s22, 2
	s_waitcnt lgkmcnt(0)
	v_mul_hi_u32 v2, s5, v4
	s_delay_alu instid0(VALU_DEP_1) | instskip(NEXT) | instid1(VALU_DEP_1)
	v_add_nc_u32_e32 v2, v4, v2
	v_lshrrev_b32_e32 v5, s6, v2
	s_delay_alu instid0(VALU_DEP_1) | instskip(NEXT) | instid1(VALU_DEP_1)
	v_mul_lo_u32 v2, v5, s4
	v_sub_nc_u32_e32 v3, v4, v2
	s_delay_alu instid0(VALU_DEP_1)
	v_mul_lo_u32 v2, v3, s2
	v_mul_lo_u32 v3, v3, s3
	s_cbranch_scc1 .LBB479_42
; %bb.41:
	s_clause 0x1
	s_load_b128 s[4:7], s[0:1], 0x10
	s_load_b64 s[2:3], s[0:1], 0xcc
	s_waitcnt lgkmcnt(0)
	v_mul_hi_u32 v4, s5, v5
	s_delay_alu instid0(VALU_DEP_1) | instskip(NEXT) | instid1(VALU_DEP_1)
	v_add_nc_u32_e32 v4, v5, v4
	v_lshrrev_b32_e32 v4, s6, v4
	s_delay_alu instid0(VALU_DEP_1) | instskip(NEXT) | instid1(VALU_DEP_1)
	v_mul_lo_u32 v4, v4, s4
	v_sub_nc_u32_e32 v7, v5, v4
	s_delay_alu instid0(VALU_DEP_1) | instskip(NEXT) | instid1(VALU_DEP_1)
	v_mad_u64_u32 v[4:5], null, v7, s2, v[2:3]
	v_mad_u64_u32 v[5:6], null, v7, s3, v[3:4]
	s_delay_alu instid0(VALU_DEP_1)
	v_dual_mov_b32 v2, v4 :: v_dual_mov_b32 v3, v5
.LBB479_42:
	v_cmp_ne_u32_e32 vcc_lo, 1, v14
	v_add_nc_u32_e32 v6, 0x100, v12
	s_cbranch_vccnz .LBB479_48
; %bb.43:
	v_dual_mov_b32 v4, 0 :: v_dual_mov_b32 v5, 0
	s_cmp_lg_u32 s22, 0
	s_mov_b32 s6, 0
	s_cbranch_scc0 .LBB479_52
; %bb.44:
	s_min_u32 s7, s23, 15
	v_mov_b32_e32 v4, 0
	s_add_i32 s7, s7, 1
	s_cmp_eq_u32 s23, 2
	s_mov_b32 s8, 0
	s_cbranch_scc1 .LBB479_49
; %bb.45:
	v_dual_mov_b32 v5, 0 :: v_dual_mov_b32 v4, 0
	v_mov_b32_e32 v7, v6
	s_add_u32 s2, s0, 0xc4
	s_addc_u32 s3, s1, 0
	s_and_b32 s8, s7, 28
	s_mov_b32 s9, 0
	s_mov_b64 s[4:5], s[0:1]
.LBB479_46:                             ; =>This Inner Loop Header: Depth=1
	s_clause 0x1
	s_load_b256 s[12:19], s[4:5], 0x4
	s_load_b128 s[36:39], s[4:5], 0x24
	s_load_b256 s[24:31], s[2:3], 0x0
	s_add_u32 s4, s4, 48
	s_addc_u32 s5, s5, 0
	s_add_i32 s9, s9, 4
	s_add_u32 s2, s2, 32
	s_addc_u32 s3, s3, 0
	s_cmp_lg_u32 s8, s9
	s_waitcnt lgkmcnt(0)
	v_mul_hi_u32 v8, s13, v7
	s_delay_alu instid0(VALU_DEP_1) | instskip(NEXT) | instid1(VALU_DEP_1)
	v_add_nc_u32_e32 v8, v7, v8
	v_lshrrev_b32_e32 v8, s14, v8
	s_delay_alu instid0(VALU_DEP_1) | instskip(SKIP_1) | instid1(VALU_DEP_2)
	v_mul_hi_u32 v9, s16, v8
	v_mul_lo_u32 v11, v8, s12
	v_add_nc_u32_e32 v9, v8, v9
	s_delay_alu instid0(VALU_DEP_2) | instskip(NEXT) | instid1(VALU_DEP_2)
	v_sub_nc_u32_e32 v7, v7, v11
	v_lshrrev_b32_e32 v9, s17, v9
	s_delay_alu instid0(VALU_DEP_2) | instskip(SKIP_1) | instid1(VALU_DEP_3)
	v_mul_lo_u32 v11, v7, s24
	v_mul_lo_u32 v15, v7, s25
	v_mul_hi_u32 v10, s19, v9
	s_delay_alu instid0(VALU_DEP_1) | instskip(NEXT) | instid1(VALU_DEP_1)
	v_add_nc_u32_e32 v10, v9, v10
	v_lshrrev_b32_e32 v10, s36, v10
	s_delay_alu instid0(VALU_DEP_1) | instskip(SKIP_1) | instid1(VALU_DEP_2)
	v_mul_hi_u32 v13, s38, v10
	v_mul_lo_u32 v17, v10, s18
	v_add_nc_u32_e32 v7, v10, v13
	v_mul_lo_u32 v13, v9, s15
	s_delay_alu instid0(VALU_DEP_3) | instskip(NEXT) | instid1(VALU_DEP_3)
	v_sub_nc_u32_e32 v9, v9, v17
	v_lshrrev_b32_e32 v7, s39, v7
	s_delay_alu instid0(VALU_DEP_2) | instskip(SKIP_2) | instid1(VALU_DEP_4)
	v_mul_lo_u32 v17, v9, s28
	v_mul_lo_u32 v9, v9, s29
	v_sub_nc_u32_e32 v8, v8, v13
	v_mul_lo_u32 v18, v7, s37
	s_delay_alu instid0(VALU_DEP_2) | instskip(SKIP_1) | instid1(VALU_DEP_3)
	v_mul_lo_u32 v13, v8, s26
	v_mul_lo_u32 v8, v8, s27
	v_sub_nc_u32_e32 v10, v10, v18
	s_delay_alu instid0(VALU_DEP_3) | instskip(NEXT) | instid1(VALU_DEP_2)
	v_add3_u32 v4, v11, v4, v13
	v_mul_lo_u32 v18, v10, s30
	v_mul_lo_u32 v10, v10, s31
	v_add3_u32 v5, v15, v5, v8
	s_delay_alu instid0(VALU_DEP_3) | instskip(NEXT) | instid1(VALU_DEP_2)
	v_add3_u32 v4, v17, v4, v18
	v_add3_u32 v5, v9, v5, v10
	s_cbranch_scc1 .LBB479_46
; %bb.47:
	s_and_b32 s7, s7, 3
	s_delay_alu instid0(SALU_CYCLE_1)
	s_cmp_eq_u32 s7, 0
	s_cbranch_scc0 .LBB479_50
	s_branch .LBB479_52
.LBB479_48:
	s_mov_b32 s6, -1
                                        ; implicit-def: $vgpr4
                                        ; implicit-def: $vgpr5
	s_branch .LBB479_52
.LBB479_49:
	v_mov_b32_e32 v7, v6
	v_mov_b32_e32 v5, 0
	s_and_b32 s7, s7, 3
	s_delay_alu instid0(SALU_CYCLE_1)
	s_cmp_eq_u32 s7, 0
	s_cbranch_scc1 .LBB479_52
.LBB479_50:
	s_lshl_b32 s2, s8, 3
	s_mul_i32 s4, s8, 12
	s_add_u32 s2, s2, s0
	s_addc_u32 s3, 0, s1
	s_add_u32 s2, s2, 0xc4
	s_addc_u32 s3, s3, 0
	s_add_u32 s4, s0, s4
	s_addc_u32 s5, 0, s1
	.p2align	6
.LBB479_51:                             ; =>This Inner Loop Header: Depth=1
	s_clause 0x1
	s_load_b64 s[8:9], s[4:5], 0x4
	s_load_b32 s12, s[4:5], 0xc
	s_load_b64 s[10:11], s[2:3], 0x0
	s_add_u32 s4, s4, 12
	s_addc_u32 s5, s5, 0
	s_add_u32 s2, s2, 8
	s_addc_u32 s3, s3, 0
	s_add_i32 s7, s7, -1
	s_delay_alu instid0(SALU_CYCLE_1) | instskip(SKIP_2) | instid1(VALU_DEP_1)
	s_cmp_lg_u32 s7, 0
	s_waitcnt lgkmcnt(0)
	v_mul_hi_u32 v8, s9, v7
	v_add_nc_u32_e32 v8, v7, v8
	s_delay_alu instid0(VALU_DEP_1) | instskip(NEXT) | instid1(VALU_DEP_1)
	v_lshrrev_b32_e32 v11, s12, v8
	v_mul_lo_u32 v8, v11, s8
	s_delay_alu instid0(VALU_DEP_1) | instskip(NEXT) | instid1(VALU_DEP_1)
	v_sub_nc_u32_e32 v7, v7, v8
	v_mad_u64_u32 v[8:9], null, v7, s10, v[4:5]
	v_mad_u64_u32 v[9:10], null, v7, s11, v[5:6]
	s_delay_alu instid0(VALU_DEP_2) | instskip(NEXT) | instid1(VALU_DEP_2)
	v_dual_mov_b32 v7, v11 :: v_dual_mov_b32 v4, v8
	v_mov_b32_e32 v5, v9
	s_cbranch_scc1 .LBB479_51
.LBB479_52:
	s_and_not1_b32 vcc_lo, exec_lo, s6
	s_cbranch_vccnz .LBB479_55
; %bb.53:
	s_clause 0x1
	s_load_b128 s[4:7], s[0:1], 0x4
	s_load_b64 s[2:3], s[0:1], 0xc4
	s_cmp_lt_u32 s22, 2
	s_waitcnt lgkmcnt(0)
	v_mul_hi_u32 v4, s5, v6
	s_delay_alu instid0(VALU_DEP_1) | instskip(NEXT) | instid1(VALU_DEP_1)
	v_add_nc_u32_e32 v4, v6, v4
	v_lshrrev_b32_e32 v7, s6, v4
	s_delay_alu instid0(VALU_DEP_1) | instskip(NEXT) | instid1(VALU_DEP_1)
	v_mul_lo_u32 v4, v7, s4
	v_sub_nc_u32_e32 v5, v6, v4
	s_delay_alu instid0(VALU_DEP_1)
	v_mul_lo_u32 v4, v5, s2
	v_mul_lo_u32 v5, v5, s3
	s_cbranch_scc1 .LBB479_55
; %bb.54:
	s_clause 0x1
	s_load_b128 s[4:7], s[0:1], 0x10
	s_load_b64 s[2:3], s[0:1], 0xcc
	s_waitcnt lgkmcnt(0)
	v_mul_hi_u32 v6, s5, v7
	s_delay_alu instid0(VALU_DEP_1) | instskip(NEXT) | instid1(VALU_DEP_1)
	v_add_nc_u32_e32 v6, v7, v6
	v_lshrrev_b32_e32 v6, s6, v6
	s_delay_alu instid0(VALU_DEP_1) | instskip(NEXT) | instid1(VALU_DEP_1)
	v_mul_lo_u32 v6, v6, s4
	v_sub_nc_u32_e32 v9, v7, v6
	s_delay_alu instid0(VALU_DEP_1) | instskip(NEXT) | instid1(VALU_DEP_1)
	v_mad_u64_u32 v[6:7], null, v9, s2, v[4:5]
	v_mad_u64_u32 v[7:8], null, v9, s3, v[5:6]
	s_delay_alu instid0(VALU_DEP_1)
	v_dual_mov_b32 v4, v6 :: v_dual_mov_b32 v5, v7
.LBB479_55:
	v_cmp_ne_u32_e32 vcc_lo, 1, v14
	v_add_nc_u32_e32 v8, 0x180, v12
	s_cbranch_vccnz .LBB479_61
; %bb.56:
	v_dual_mov_b32 v6, 0 :: v_dual_mov_b32 v7, 0
	s_cmp_lg_u32 s22, 0
	s_mov_b32 s6, 0
	s_cbranch_scc0 .LBB479_65
; %bb.57:
	s_min_u32 s7, s23, 15
	v_mov_b32_e32 v6, 0
	s_add_i32 s7, s7, 1
	s_cmp_eq_u32 s23, 2
	s_mov_b32 s8, 0
	s_cbranch_scc1 .LBB479_62
; %bb.58:
	v_dual_mov_b32 v7, 0 :: v_dual_mov_b32 v6, 0
	v_mov_b32_e32 v9, v8
	s_add_u32 s2, s0, 0xc4
	s_addc_u32 s3, s1, 0
	s_and_b32 s8, s7, 28
	s_mov_b32 s9, 0
	s_mov_b64 s[4:5], s[0:1]
.LBB479_59:                             ; =>This Inner Loop Header: Depth=1
	s_clause 0x1
	s_load_b256 s[12:19], s[4:5], 0x4
	s_load_b128 s[36:39], s[4:5], 0x24
	s_load_b256 s[24:31], s[2:3], 0x0
	s_add_u32 s4, s4, 48
	s_addc_u32 s5, s5, 0
	s_add_i32 s9, s9, 4
	s_add_u32 s2, s2, 32
	s_addc_u32 s3, s3, 0
	s_cmp_lg_u32 s8, s9
	s_waitcnt lgkmcnt(0)
	v_mul_hi_u32 v10, s13, v9
	s_delay_alu instid0(VALU_DEP_1) | instskip(NEXT) | instid1(VALU_DEP_1)
	v_add_nc_u32_e32 v10, v9, v10
	v_lshrrev_b32_e32 v10, s14, v10
	s_delay_alu instid0(VALU_DEP_1) | instskip(SKIP_1) | instid1(VALU_DEP_2)
	v_mul_hi_u32 v11, s16, v10
	v_mul_lo_u32 v15, v10, s12
	v_add_nc_u32_e32 v11, v10, v11
	s_delay_alu instid0(VALU_DEP_2) | instskip(NEXT) | instid1(VALU_DEP_2)
	v_sub_nc_u32_e32 v9, v9, v15
	v_lshrrev_b32_e32 v11, s17, v11
	s_delay_alu instid0(VALU_DEP_2) | instskip(SKIP_1) | instid1(VALU_DEP_3)
	v_mul_lo_u32 v15, v9, s24
	v_mul_lo_u32 v18, v9, s25
	v_mul_hi_u32 v13, s19, v11
	s_delay_alu instid0(VALU_DEP_1) | instskip(NEXT) | instid1(VALU_DEP_1)
	v_add_nc_u32_e32 v13, v11, v13
	v_lshrrev_b32_e32 v13, s36, v13
	s_delay_alu instid0(VALU_DEP_1) | instskip(SKIP_1) | instid1(VALU_DEP_2)
	v_mul_hi_u32 v17, s38, v13
	v_mul_lo_u32 v19, v13, s18
	v_add_nc_u32_e32 v9, v13, v17
	v_mul_lo_u32 v17, v11, s15
	s_delay_alu instid0(VALU_DEP_3) | instskip(NEXT) | instid1(VALU_DEP_3)
	v_sub_nc_u32_e32 v11, v11, v19
	v_lshrrev_b32_e32 v9, s39, v9
	s_delay_alu instid0(VALU_DEP_2) | instskip(SKIP_2) | instid1(VALU_DEP_4)
	v_mul_lo_u32 v19, v11, s28
	v_mul_lo_u32 v11, v11, s29
	v_sub_nc_u32_e32 v10, v10, v17
	v_mul_lo_u32 v20, v9, s37
	s_delay_alu instid0(VALU_DEP_2) | instskip(SKIP_1) | instid1(VALU_DEP_3)
	v_mul_lo_u32 v17, v10, s26
	v_mul_lo_u32 v10, v10, s27
	v_sub_nc_u32_e32 v13, v13, v20
	s_delay_alu instid0(VALU_DEP_3) | instskip(NEXT) | instid1(VALU_DEP_2)
	v_add3_u32 v6, v15, v6, v17
	v_mul_lo_u32 v20, v13, s30
	v_mul_lo_u32 v13, v13, s31
	v_add3_u32 v7, v18, v7, v10
	s_delay_alu instid0(VALU_DEP_3) | instskip(NEXT) | instid1(VALU_DEP_2)
	v_add3_u32 v6, v19, v6, v20
	v_add3_u32 v7, v11, v7, v13
	s_cbranch_scc1 .LBB479_59
; %bb.60:
	s_and_b32 s7, s7, 3
	s_delay_alu instid0(SALU_CYCLE_1)
	s_cmp_eq_u32 s7, 0
	s_cbranch_scc0 .LBB479_63
	s_branch .LBB479_65
.LBB479_61:
	s_mov_b32 s6, -1
                                        ; implicit-def: $vgpr6
                                        ; implicit-def: $vgpr7
	s_branch .LBB479_65
.LBB479_62:
	v_mov_b32_e32 v9, v8
	v_mov_b32_e32 v7, 0
	s_and_b32 s7, s7, 3
	s_delay_alu instid0(SALU_CYCLE_1)
	s_cmp_eq_u32 s7, 0
	s_cbranch_scc1 .LBB479_65
.LBB479_63:
	s_lshl_b32 s2, s8, 3
	s_mul_i32 s4, s8, 12
	s_add_u32 s2, s2, s0
	s_addc_u32 s3, 0, s1
	s_add_u32 s2, s2, 0xc4
	s_addc_u32 s3, s3, 0
	;; [unrolled: 2-line block ×3, first 2 shown]
	.p2align	6
.LBB479_64:                             ; =>This Inner Loop Header: Depth=1
	s_clause 0x1
	s_load_b64 s[8:9], s[4:5], 0x4
	s_load_b32 s12, s[4:5], 0xc
	s_load_b64 s[10:11], s[2:3], 0x0
	s_add_u32 s4, s4, 12
	s_addc_u32 s5, s5, 0
	s_add_u32 s2, s2, 8
	s_addc_u32 s3, s3, 0
	s_add_i32 s7, s7, -1
	s_delay_alu instid0(SALU_CYCLE_1) | instskip(SKIP_2) | instid1(VALU_DEP_1)
	s_cmp_lg_u32 s7, 0
	s_waitcnt lgkmcnt(0)
	v_mul_hi_u32 v10, s9, v9
	v_add_nc_u32_e32 v10, v9, v10
	s_delay_alu instid0(VALU_DEP_1) | instskip(NEXT) | instid1(VALU_DEP_1)
	v_lshrrev_b32_e32 v13, s12, v10
	v_mul_lo_u32 v10, v13, s8
	s_delay_alu instid0(VALU_DEP_1) | instskip(NEXT) | instid1(VALU_DEP_1)
	v_sub_nc_u32_e32 v9, v9, v10
	v_mad_u64_u32 v[10:11], null, v9, s10, v[6:7]
	v_mad_u64_u32 v[17:18], null, v9, s11, v[7:8]
	s_delay_alu instid0(VALU_DEP_2) | instskip(NEXT) | instid1(VALU_DEP_2)
	v_dual_mov_b32 v9, v13 :: v_dual_mov_b32 v6, v10
	v_mov_b32_e32 v7, v17
	s_cbranch_scc1 .LBB479_64
.LBB479_65:
	s_and_not1_b32 vcc_lo, exec_lo, s6
	s_cbranch_vccnz .LBB479_68
; %bb.66:
	s_clause 0x1
	s_load_b128 s[4:7], s[0:1], 0x4
	s_load_b64 s[2:3], s[0:1], 0xc4
	s_cmp_lt_u32 s22, 2
	s_waitcnt lgkmcnt(0)
	v_mul_hi_u32 v6, s5, v8
	s_delay_alu instid0(VALU_DEP_1) | instskip(NEXT) | instid1(VALU_DEP_1)
	v_add_nc_u32_e32 v6, v8, v6
	v_lshrrev_b32_e32 v9, s6, v6
	s_delay_alu instid0(VALU_DEP_1) | instskip(NEXT) | instid1(VALU_DEP_1)
	v_mul_lo_u32 v6, v9, s4
	v_sub_nc_u32_e32 v7, v8, v6
	s_delay_alu instid0(VALU_DEP_1)
	v_mul_lo_u32 v6, v7, s2
	v_mul_lo_u32 v7, v7, s3
	s_cbranch_scc1 .LBB479_68
; %bb.67:
	s_clause 0x1
	s_load_b128 s[4:7], s[0:1], 0x10
	s_load_b64 s[2:3], s[0:1], 0xcc
	s_waitcnt lgkmcnt(0)
	v_mul_hi_u32 v8, s5, v9
	s_delay_alu instid0(VALU_DEP_1) | instskip(NEXT) | instid1(VALU_DEP_1)
	v_add_nc_u32_e32 v8, v9, v8
	v_lshrrev_b32_e32 v8, s6, v8
	s_delay_alu instid0(VALU_DEP_1) | instskip(NEXT) | instid1(VALU_DEP_1)
	v_mul_lo_u32 v8, v8, s4
	v_sub_nc_u32_e32 v11, v9, v8
	s_delay_alu instid0(VALU_DEP_1) | instskip(NEXT) | instid1(VALU_DEP_1)
	v_mad_u64_u32 v[8:9], null, v11, s2, v[6:7]
	v_mad_u64_u32 v[9:10], null, v11, s3, v[7:8]
	s_delay_alu instid0(VALU_DEP_1)
	v_dual_mov_b32 v6, v8 :: v_dual_mov_b32 v7, v9
.LBB479_68:
	v_cmp_ne_u32_e32 vcc_lo, 1, v14
	v_add_nc_u32_e32 v10, 0x200, v12
	s_cbranch_vccnz .LBB479_74
; %bb.69:
	v_dual_mov_b32 v8, 0 :: v_dual_mov_b32 v9, 0
	s_cmp_lg_u32 s22, 0
	s_mov_b32 s6, 0
	s_cbranch_scc0 .LBB479_78
; %bb.70:
	s_min_u32 s7, s23, 15
	v_mov_b32_e32 v8, 0
	s_add_i32 s7, s7, 1
	s_cmp_eq_u32 s23, 2
	s_mov_b32 s8, 0
	s_cbranch_scc1 .LBB479_75
; %bb.71:
	v_dual_mov_b32 v9, 0 :: v_dual_mov_b32 v8, 0
	v_mov_b32_e32 v11, v10
	s_add_u32 s2, s0, 0xc4
	s_addc_u32 s3, s1, 0
	s_and_b32 s8, s7, 28
	s_mov_b32 s9, 0
	s_mov_b64 s[4:5], s[0:1]
.LBB479_72:                             ; =>This Inner Loop Header: Depth=1
	s_clause 0x1
	s_load_b256 s[12:19], s[4:5], 0x4
	s_load_b128 s[36:39], s[4:5], 0x24
	s_load_b256 s[24:31], s[2:3], 0x0
	s_add_u32 s4, s4, 48
	s_addc_u32 s5, s5, 0
	s_add_i32 s9, s9, 4
	s_add_u32 s2, s2, 32
	s_addc_u32 s3, s3, 0
	s_cmp_lg_u32 s8, s9
	s_waitcnt lgkmcnt(0)
	v_mul_hi_u32 v13, s13, v11
	s_delay_alu instid0(VALU_DEP_1) | instskip(NEXT) | instid1(VALU_DEP_1)
	v_add_nc_u32_e32 v13, v11, v13
	v_lshrrev_b32_e32 v13, s14, v13
	s_delay_alu instid0(VALU_DEP_1) | instskip(SKIP_1) | instid1(VALU_DEP_2)
	v_mul_hi_u32 v15, s16, v13
	v_mul_lo_u32 v18, v13, s12
	v_add_nc_u32_e32 v15, v13, v15
	s_delay_alu instid0(VALU_DEP_2) | instskip(NEXT) | instid1(VALU_DEP_2)
	v_sub_nc_u32_e32 v11, v11, v18
	v_lshrrev_b32_e32 v15, s17, v15
	s_delay_alu instid0(VALU_DEP_2) | instskip(SKIP_1) | instid1(VALU_DEP_3)
	v_mul_lo_u32 v18, v11, s24
	v_mul_lo_u32 v20, v11, s25
	v_mul_hi_u32 v17, s19, v15
	s_delay_alu instid0(VALU_DEP_1) | instskip(NEXT) | instid1(VALU_DEP_1)
	v_add_nc_u32_e32 v17, v15, v17
	v_lshrrev_b32_e32 v17, s36, v17
	s_delay_alu instid0(VALU_DEP_1) | instskip(SKIP_1) | instid1(VALU_DEP_2)
	v_mul_hi_u32 v19, s38, v17
	v_mul_lo_u32 v21, v17, s18
	v_add_nc_u32_e32 v11, v17, v19
	v_mul_lo_u32 v19, v15, s15
	s_delay_alu instid0(VALU_DEP_3) | instskip(NEXT) | instid1(VALU_DEP_3)
	v_sub_nc_u32_e32 v15, v15, v21
	v_lshrrev_b32_e32 v11, s39, v11
	s_delay_alu instid0(VALU_DEP_2) | instskip(SKIP_2) | instid1(VALU_DEP_4)
	v_mul_lo_u32 v21, v15, s28
	v_mul_lo_u32 v15, v15, s29
	v_sub_nc_u32_e32 v13, v13, v19
	v_mul_lo_u32 v22, v11, s37
	s_delay_alu instid0(VALU_DEP_2) | instskip(SKIP_1) | instid1(VALU_DEP_3)
	v_mul_lo_u32 v19, v13, s26
	v_mul_lo_u32 v13, v13, s27
	v_sub_nc_u32_e32 v17, v17, v22
	s_delay_alu instid0(VALU_DEP_3) | instskip(NEXT) | instid1(VALU_DEP_2)
	v_add3_u32 v8, v18, v8, v19
	v_mul_lo_u32 v22, v17, s30
	v_mul_lo_u32 v17, v17, s31
	v_add3_u32 v9, v20, v9, v13
	s_delay_alu instid0(VALU_DEP_3) | instskip(NEXT) | instid1(VALU_DEP_2)
	v_add3_u32 v8, v21, v8, v22
	v_add3_u32 v9, v15, v9, v17
	s_cbranch_scc1 .LBB479_72
; %bb.73:
	s_and_b32 s7, s7, 3
	s_delay_alu instid0(SALU_CYCLE_1)
	s_cmp_eq_u32 s7, 0
	s_cbranch_scc0 .LBB479_76
	s_branch .LBB479_78
.LBB479_74:
	s_mov_b32 s6, -1
                                        ; implicit-def: $vgpr8
                                        ; implicit-def: $vgpr9
	s_branch .LBB479_78
.LBB479_75:
	v_mov_b32_e32 v11, v10
	v_mov_b32_e32 v9, 0
	s_and_b32 s7, s7, 3
	s_delay_alu instid0(SALU_CYCLE_1)
	s_cmp_eq_u32 s7, 0
	s_cbranch_scc1 .LBB479_78
.LBB479_76:
	s_lshl_b32 s2, s8, 3
	s_mul_i32 s4, s8, 12
	s_add_u32 s2, s2, s0
	s_addc_u32 s3, 0, s1
	s_add_u32 s2, s2, 0xc4
	s_addc_u32 s3, s3, 0
	;; [unrolled: 2-line block ×3, first 2 shown]
	.p2align	6
.LBB479_77:                             ; =>This Inner Loop Header: Depth=1
	s_clause 0x1
	s_load_b64 s[8:9], s[4:5], 0x4
	s_load_b32 s12, s[4:5], 0xc
	s_load_b64 s[10:11], s[2:3], 0x0
	s_add_u32 s4, s4, 12
	s_addc_u32 s5, s5, 0
	s_add_u32 s2, s2, 8
	s_addc_u32 s3, s3, 0
	s_add_i32 s7, s7, -1
	s_delay_alu instid0(SALU_CYCLE_1) | instskip(SKIP_2) | instid1(VALU_DEP_1)
	s_cmp_lg_u32 s7, 0
	s_waitcnt lgkmcnt(0)
	v_mul_hi_u32 v13, s9, v11
	v_add_nc_u32_e32 v13, v11, v13
	s_delay_alu instid0(VALU_DEP_1) | instskip(NEXT) | instid1(VALU_DEP_1)
	v_lshrrev_b32_e32 v13, s12, v13
	v_mul_lo_u32 v15, v13, s8
	s_delay_alu instid0(VALU_DEP_1) | instskip(NEXT) | instid1(VALU_DEP_1)
	v_sub_nc_u32_e32 v11, v11, v15
	v_mad_u64_u32 v[17:18], null, v11, s10, v[8:9]
	v_mad_u64_u32 v[18:19], null, v11, s11, v[9:10]
	v_mov_b32_e32 v11, v13
	s_delay_alu instid0(VALU_DEP_2)
	v_dual_mov_b32 v8, v17 :: v_dual_mov_b32 v9, v18
	s_cbranch_scc1 .LBB479_77
.LBB479_78:
	s_and_not1_b32 vcc_lo, exec_lo, s6
	s_cbranch_vccnz .LBB479_81
; %bb.79:
	s_clause 0x1
	s_load_b128 s[4:7], s[0:1], 0x4
	s_load_b64 s[2:3], s[0:1], 0xc4
	s_cmp_lt_u32 s22, 2
	s_waitcnt lgkmcnt(0)
	v_mul_hi_u32 v8, s5, v10
	s_delay_alu instid0(VALU_DEP_1) | instskip(NEXT) | instid1(VALU_DEP_1)
	v_add_nc_u32_e32 v8, v10, v8
	v_lshrrev_b32_e32 v11, s6, v8
	s_delay_alu instid0(VALU_DEP_1) | instskip(NEXT) | instid1(VALU_DEP_1)
	v_mul_lo_u32 v8, v11, s4
	v_sub_nc_u32_e32 v9, v10, v8
	s_delay_alu instid0(VALU_DEP_1)
	v_mul_lo_u32 v8, v9, s2
	v_mul_lo_u32 v9, v9, s3
	s_cbranch_scc1 .LBB479_81
; %bb.80:
	s_clause 0x1
	s_load_b128 s[4:7], s[0:1], 0x10
	s_load_b64 s[2:3], s[0:1], 0xcc
	s_waitcnt lgkmcnt(0)
	v_mul_hi_u32 v10, s5, v11
	s_delay_alu instid0(VALU_DEP_1) | instskip(NEXT) | instid1(VALU_DEP_1)
	v_add_nc_u32_e32 v10, v11, v10
	v_lshrrev_b32_e32 v10, s6, v10
	s_delay_alu instid0(VALU_DEP_1) | instskip(NEXT) | instid1(VALU_DEP_1)
	v_mul_lo_u32 v10, v10, s4
	v_sub_nc_u32_e32 v13, v11, v10
	s_delay_alu instid0(VALU_DEP_1) | instskip(NEXT) | instid1(VALU_DEP_1)
	v_mad_u64_u32 v[10:11], null, v13, s2, v[8:9]
	v_mad_u64_u32 v[17:18], null, v13, s3, v[9:10]
	s_delay_alu instid0(VALU_DEP_1)
	v_dual_mov_b32 v8, v10 :: v_dual_mov_b32 v9, v17
.LBB479_81:
	v_cmp_ne_u32_e32 vcc_lo, 1, v14
	v_add_nc_u32_e32 v13, 0x280, v12
	s_cbranch_vccnz .LBB479_87
; %bb.82:
	v_dual_mov_b32 v10, 0 :: v_dual_mov_b32 v11, 0
	s_cmp_lg_u32 s22, 0
	s_mov_b32 s6, 0
	s_cbranch_scc0 .LBB479_91
; %bb.83:
	s_min_u32 s7, s23, 15
	v_mov_b32_e32 v10, 0
	s_add_i32 s7, s7, 1
	s_cmp_eq_u32 s23, 2
	s_mov_b32 s8, 0
	s_cbranch_scc1 .LBB479_88
; %bb.84:
	v_dual_mov_b32 v11, 0 :: v_dual_mov_b32 v10, 0
	v_mov_b32_e32 v15, v13
	s_add_u32 s2, s0, 0xc4
	s_addc_u32 s3, s1, 0
	s_and_b32 s8, s7, 28
	s_mov_b32 s9, 0
	s_mov_b64 s[4:5], s[0:1]
.LBB479_85:                             ; =>This Inner Loop Header: Depth=1
	s_clause 0x1
	s_load_b256 s[12:19], s[4:5], 0x4
	s_load_b128 s[36:39], s[4:5], 0x24
	s_load_b256 s[24:31], s[2:3], 0x0
	s_add_u32 s4, s4, 48
	s_addc_u32 s5, s5, 0
	s_add_i32 s9, s9, 4
	s_add_u32 s2, s2, 32
	s_addc_u32 s3, s3, 0
	s_cmp_lg_u32 s8, s9
	s_waitcnt lgkmcnt(0)
	v_mul_hi_u32 v17, s13, v15
	s_delay_alu instid0(VALU_DEP_1) | instskip(NEXT) | instid1(VALU_DEP_1)
	v_add_nc_u32_e32 v17, v15, v17
	v_lshrrev_b32_e32 v17, s14, v17
	s_delay_alu instid0(VALU_DEP_1) | instskip(SKIP_1) | instid1(VALU_DEP_2)
	v_mul_hi_u32 v18, s16, v17
	v_mul_lo_u32 v20, v17, s12
	v_add_nc_u32_e32 v18, v17, v18
	s_delay_alu instid0(VALU_DEP_2) | instskip(NEXT) | instid1(VALU_DEP_2)
	v_sub_nc_u32_e32 v15, v15, v20
	v_lshrrev_b32_e32 v18, s17, v18
	s_delay_alu instid0(VALU_DEP_2) | instskip(SKIP_1) | instid1(VALU_DEP_3)
	v_mul_lo_u32 v20, v15, s24
	v_mul_lo_u32 v22, v15, s25
	v_mul_hi_u32 v19, s19, v18
	s_delay_alu instid0(VALU_DEP_1) | instskip(NEXT) | instid1(VALU_DEP_1)
	v_add_nc_u32_e32 v19, v18, v19
	v_lshrrev_b32_e32 v19, s36, v19
	s_delay_alu instid0(VALU_DEP_1) | instskip(SKIP_1) | instid1(VALU_DEP_2)
	v_mul_hi_u32 v21, s38, v19
	v_mul_lo_u32 v23, v19, s18
	v_add_nc_u32_e32 v15, v19, v21
	v_mul_lo_u32 v21, v18, s15
	s_delay_alu instid0(VALU_DEP_3) | instskip(NEXT) | instid1(VALU_DEP_3)
	v_sub_nc_u32_e32 v18, v18, v23
	v_lshrrev_b32_e32 v15, s39, v15
	s_delay_alu instid0(VALU_DEP_2) | instskip(SKIP_2) | instid1(VALU_DEP_4)
	v_mul_lo_u32 v23, v18, s28
	v_mul_lo_u32 v18, v18, s29
	v_sub_nc_u32_e32 v17, v17, v21
	v_mul_lo_u32 v24, v15, s37
	s_delay_alu instid0(VALU_DEP_2) | instskip(SKIP_1) | instid1(VALU_DEP_3)
	v_mul_lo_u32 v21, v17, s26
	v_mul_lo_u32 v17, v17, s27
	v_sub_nc_u32_e32 v19, v19, v24
	s_delay_alu instid0(VALU_DEP_3) | instskip(NEXT) | instid1(VALU_DEP_2)
	v_add3_u32 v10, v20, v10, v21
	v_mul_lo_u32 v24, v19, s30
	v_mul_lo_u32 v19, v19, s31
	v_add3_u32 v11, v22, v11, v17
	s_delay_alu instid0(VALU_DEP_3) | instskip(NEXT) | instid1(VALU_DEP_2)
	v_add3_u32 v10, v23, v10, v24
	v_add3_u32 v11, v18, v11, v19
	s_cbranch_scc1 .LBB479_85
; %bb.86:
	s_and_b32 s7, s7, 3
	s_delay_alu instid0(SALU_CYCLE_1)
	s_cmp_eq_u32 s7, 0
	s_cbranch_scc0 .LBB479_89
	s_branch .LBB479_91
.LBB479_87:
	s_mov_b32 s6, -1
                                        ; implicit-def: $vgpr10
                                        ; implicit-def: $vgpr11
	s_branch .LBB479_91
.LBB479_88:
	v_mov_b32_e32 v15, v13
	v_mov_b32_e32 v11, 0
	s_and_b32 s7, s7, 3
	s_delay_alu instid0(SALU_CYCLE_1)
	s_cmp_eq_u32 s7, 0
	s_cbranch_scc1 .LBB479_91
.LBB479_89:
	s_lshl_b32 s2, s8, 3
	s_mul_i32 s4, s8, 12
	s_add_u32 s2, s2, s0
	s_addc_u32 s3, 0, s1
	s_add_u32 s2, s2, 0xc4
	s_addc_u32 s3, s3, 0
	s_add_u32 s4, s0, s4
	s_addc_u32 s5, 0, s1
	.p2align	6
.LBB479_90:                             ; =>This Inner Loop Header: Depth=1
	s_clause 0x1
	s_load_b64 s[8:9], s[4:5], 0x4
	s_load_b32 s12, s[4:5], 0xc
	s_load_b64 s[10:11], s[2:3], 0x0
	s_add_u32 s4, s4, 12
	s_addc_u32 s5, s5, 0
	s_add_u32 s2, s2, 8
	s_addc_u32 s3, s3, 0
	s_add_i32 s7, s7, -1
	s_delay_alu instid0(SALU_CYCLE_1) | instskip(SKIP_2) | instid1(VALU_DEP_1)
	s_cmp_lg_u32 s7, 0
	s_waitcnt lgkmcnt(0)
	v_mul_hi_u32 v17, s9, v15
	v_add_nc_u32_e32 v17, v15, v17
	s_delay_alu instid0(VALU_DEP_1) | instskip(NEXT) | instid1(VALU_DEP_1)
	v_lshrrev_b32_e32 v20, s12, v17
	v_mul_lo_u32 v17, v20, s8
	s_delay_alu instid0(VALU_DEP_1) | instskip(NEXT) | instid1(VALU_DEP_1)
	v_sub_nc_u32_e32 v15, v15, v17
	v_mad_u64_u32 v[17:18], null, v15, s10, v[10:11]
	v_mad_u64_u32 v[18:19], null, v15, s11, v[11:12]
	s_delay_alu instid0(VALU_DEP_2) | instskip(NEXT) | instid1(VALU_DEP_2)
	v_dual_mov_b32 v15, v20 :: v_dual_mov_b32 v10, v17
	v_mov_b32_e32 v11, v18
	s_cbranch_scc1 .LBB479_90
.LBB479_91:
	s_and_not1_b32 vcc_lo, exec_lo, s6
	s_cbranch_vccnz .LBB479_94
; %bb.92:
	s_clause 0x1
	s_load_b128 s[4:7], s[0:1], 0x4
	s_load_b64 s[2:3], s[0:1], 0xc4
	s_cmp_lt_u32 s22, 2
	s_waitcnt lgkmcnt(0)
	v_mul_hi_u32 v10, s5, v13
	s_delay_alu instid0(VALU_DEP_1) | instskip(NEXT) | instid1(VALU_DEP_1)
	v_add_nc_u32_e32 v10, v13, v10
	v_lshrrev_b32_e32 v15, s6, v10
	s_delay_alu instid0(VALU_DEP_1) | instskip(NEXT) | instid1(VALU_DEP_1)
	v_mul_lo_u32 v10, v15, s4
	v_sub_nc_u32_e32 v11, v13, v10
	s_delay_alu instid0(VALU_DEP_1)
	v_mul_lo_u32 v10, v11, s2
	v_mul_lo_u32 v11, v11, s3
	s_cbranch_scc1 .LBB479_94
; %bb.93:
	s_clause 0x1
	s_load_b128 s[4:7], s[0:1], 0x10
	s_load_b64 s[2:3], s[0:1], 0xcc
	s_waitcnt lgkmcnt(0)
	v_mul_hi_u32 v13, s5, v15
	s_delay_alu instid0(VALU_DEP_1) | instskip(NEXT) | instid1(VALU_DEP_1)
	v_add_nc_u32_e32 v13, v15, v13
	v_lshrrev_b32_e32 v13, s6, v13
	s_delay_alu instid0(VALU_DEP_1) | instskip(NEXT) | instid1(VALU_DEP_1)
	v_mul_lo_u32 v13, v13, s4
	v_sub_nc_u32_e32 v13, v15, v13
	s_delay_alu instid0(VALU_DEP_1) | instskip(SKIP_1) | instid1(VALU_DEP_1)
	v_mad_u64_u32 v[17:18], null, v13, s2, v[10:11]
	v_mad_u64_u32 v[18:19], null, v13, s3, v[11:12]
	v_dual_mov_b32 v10, v17 :: v_dual_mov_b32 v11, v18
.LBB479_94:
	v_cmp_ne_u32_e32 vcc_lo, 1, v14
	v_add_nc_u32_e32 v15, 0x300, v12
	s_cbranch_vccnz .LBB479_100
; %bb.95:
	v_dual_mov_b32 v12, 0 :: v_dual_mov_b32 v13, 0
	s_cmp_lg_u32 s22, 0
	s_mov_b32 s6, 0
	s_cbranch_scc0 .LBB479_104
; %bb.96:
	s_min_u32 s7, s23, 15
	v_mov_b32_e32 v12, 0
	s_add_i32 s7, s7, 1
	s_cmp_eq_u32 s23, 2
	s_mov_b32 s8, 0
	s_cbranch_scc1 .LBB479_101
; %bb.97:
	v_dual_mov_b32 v13, 0 :: v_dual_mov_b32 v12, 0
	v_mov_b32_e32 v17, v15
	s_add_u32 s2, s0, 0xc4
	s_addc_u32 s3, s1, 0
	s_and_b32 s8, s7, 28
	s_mov_b32 s9, 0
	s_mov_b64 s[4:5], s[0:1]
.LBB479_98:                             ; =>This Inner Loop Header: Depth=1
	s_clause 0x1
	s_load_b256 s[12:19], s[4:5], 0x4
	s_load_b128 s[36:39], s[4:5], 0x24
	s_load_b256 s[24:31], s[2:3], 0x0
	s_add_u32 s4, s4, 48
	s_addc_u32 s5, s5, 0
	s_add_i32 s9, s9, 4
	s_add_u32 s2, s2, 32
	s_addc_u32 s3, s3, 0
	s_cmp_lg_u32 s8, s9
	s_waitcnt lgkmcnt(0)
	v_mul_hi_u32 v18, s13, v17
	s_delay_alu instid0(VALU_DEP_1) | instskip(NEXT) | instid1(VALU_DEP_1)
	v_add_nc_u32_e32 v18, v17, v18
	v_lshrrev_b32_e32 v18, s14, v18
	s_delay_alu instid0(VALU_DEP_1) | instskip(SKIP_1) | instid1(VALU_DEP_2)
	v_mul_hi_u32 v19, s16, v18
	v_mul_lo_u32 v21, v18, s12
	v_add_nc_u32_e32 v19, v18, v19
	s_delay_alu instid0(VALU_DEP_2) | instskip(NEXT) | instid1(VALU_DEP_2)
	v_sub_nc_u32_e32 v17, v17, v21
	v_lshrrev_b32_e32 v19, s17, v19
	s_delay_alu instid0(VALU_DEP_2) | instskip(SKIP_1) | instid1(VALU_DEP_3)
	v_mul_lo_u32 v21, v17, s24
	v_mul_lo_u32 v23, v17, s25
	v_mul_hi_u32 v20, s19, v19
	s_delay_alu instid0(VALU_DEP_1) | instskip(NEXT) | instid1(VALU_DEP_1)
	v_add_nc_u32_e32 v20, v19, v20
	v_lshrrev_b32_e32 v20, s36, v20
	s_delay_alu instid0(VALU_DEP_1) | instskip(SKIP_1) | instid1(VALU_DEP_2)
	v_mul_hi_u32 v22, s38, v20
	v_mul_lo_u32 v24, v20, s18
	v_add_nc_u32_e32 v17, v20, v22
	v_mul_lo_u32 v22, v19, s15
	s_delay_alu instid0(VALU_DEP_3) | instskip(NEXT) | instid1(VALU_DEP_3)
	v_sub_nc_u32_e32 v19, v19, v24
	v_lshrrev_b32_e32 v17, s39, v17
	s_delay_alu instid0(VALU_DEP_2) | instskip(SKIP_2) | instid1(VALU_DEP_4)
	v_mul_lo_u32 v24, v19, s28
	v_mul_lo_u32 v19, v19, s29
	v_sub_nc_u32_e32 v18, v18, v22
	v_mul_lo_u32 v25, v17, s37
	s_delay_alu instid0(VALU_DEP_2) | instskip(SKIP_1) | instid1(VALU_DEP_3)
	v_mul_lo_u32 v22, v18, s26
	v_mul_lo_u32 v18, v18, s27
	v_sub_nc_u32_e32 v20, v20, v25
	s_delay_alu instid0(VALU_DEP_3) | instskip(NEXT) | instid1(VALU_DEP_2)
	v_add3_u32 v12, v21, v12, v22
	v_mul_lo_u32 v25, v20, s30
	v_mul_lo_u32 v20, v20, s31
	v_add3_u32 v13, v23, v13, v18
	s_delay_alu instid0(VALU_DEP_3) | instskip(NEXT) | instid1(VALU_DEP_2)
	v_add3_u32 v12, v24, v12, v25
	v_add3_u32 v13, v19, v13, v20
	s_cbranch_scc1 .LBB479_98
; %bb.99:
	s_and_b32 s7, s7, 3
	s_delay_alu instid0(SALU_CYCLE_1)
	s_cmp_eq_u32 s7, 0
	s_cbranch_scc0 .LBB479_102
	s_branch .LBB479_104
.LBB479_100:
	s_mov_b32 s6, -1
                                        ; implicit-def: $vgpr12
                                        ; implicit-def: $vgpr13
	s_branch .LBB479_104
.LBB479_101:
	v_mov_b32_e32 v17, v15
	v_mov_b32_e32 v13, 0
	s_and_b32 s7, s7, 3
	s_delay_alu instid0(SALU_CYCLE_1)
	s_cmp_eq_u32 s7, 0
	s_cbranch_scc1 .LBB479_104
.LBB479_102:
	s_lshl_b32 s2, s8, 3
	s_mul_i32 s4, s8, 12
	s_add_u32 s2, s2, s0
	s_addc_u32 s3, 0, s1
	s_add_u32 s2, s2, 0xc4
	s_addc_u32 s3, s3, 0
	;; [unrolled: 2-line block ×3, first 2 shown]
	.p2align	6
.LBB479_103:                            ; =>This Inner Loop Header: Depth=1
	s_clause 0x1
	s_load_b64 s[8:9], s[4:5], 0x4
	s_load_b32 s12, s[4:5], 0xc
	s_load_b64 s[10:11], s[2:3], 0x0
	s_add_u32 s4, s4, 12
	s_addc_u32 s5, s5, 0
	s_add_u32 s2, s2, 8
	s_addc_u32 s3, s3, 0
	s_add_i32 s7, s7, -1
	s_delay_alu instid0(SALU_CYCLE_1) | instskip(SKIP_2) | instid1(VALU_DEP_1)
	s_cmp_lg_u32 s7, 0
	s_waitcnt lgkmcnt(0)
	v_mul_hi_u32 v18, s9, v17
	v_add_nc_u32_e32 v18, v17, v18
	s_delay_alu instid0(VALU_DEP_1) | instskip(NEXT) | instid1(VALU_DEP_1)
	v_lshrrev_b32_e32 v21, s12, v18
	v_mul_lo_u32 v18, v21, s8
	s_delay_alu instid0(VALU_DEP_1) | instskip(NEXT) | instid1(VALU_DEP_1)
	v_sub_nc_u32_e32 v17, v17, v18
	v_mad_u64_u32 v[18:19], null, v17, s10, v[12:13]
	v_mad_u64_u32 v[19:20], null, v17, s11, v[13:14]
	s_delay_alu instid0(VALU_DEP_2) | instskip(NEXT) | instid1(VALU_DEP_2)
	v_dual_mov_b32 v17, v21 :: v_dual_mov_b32 v12, v18
	v_mov_b32_e32 v13, v19
	s_cbranch_scc1 .LBB479_103
.LBB479_104:
	s_and_not1_b32 vcc_lo, exec_lo, s6
	s_cbranch_vccnz .LBB479_107
; %bb.105:
	s_clause 0x1
	s_load_b128 s[4:7], s[0:1], 0x4
	s_load_b64 s[2:3], s[0:1], 0xc4
	s_cmp_lt_u32 s22, 2
	s_waitcnt lgkmcnt(0)
	v_mul_hi_u32 v12, s5, v15
	s_delay_alu instid0(VALU_DEP_1) | instskip(NEXT) | instid1(VALU_DEP_1)
	v_add_nc_u32_e32 v12, v15, v12
	v_lshrrev_b32_e32 v17, s6, v12
	s_delay_alu instid0(VALU_DEP_1) | instskip(NEXT) | instid1(VALU_DEP_1)
	v_mul_lo_u32 v12, v17, s4
	v_sub_nc_u32_e32 v13, v15, v12
	s_delay_alu instid0(VALU_DEP_1)
	v_mul_lo_u32 v12, v13, s2
	v_mul_lo_u32 v13, v13, s3
	s_cbranch_scc1 .LBB479_107
; %bb.106:
	s_clause 0x1
	s_load_b128 s[4:7], s[0:1], 0x10
	s_load_b64 s[2:3], s[0:1], 0xcc
	s_waitcnt lgkmcnt(0)
	v_mul_hi_u32 v15, s5, v17
	s_delay_alu instid0(VALU_DEP_1) | instskip(NEXT) | instid1(VALU_DEP_1)
	v_add_nc_u32_e32 v15, v17, v15
	v_lshrrev_b32_e32 v15, s6, v15
	s_delay_alu instid0(VALU_DEP_1) | instskip(NEXT) | instid1(VALU_DEP_1)
	v_mul_lo_u32 v15, v15, s4
	v_sub_nc_u32_e32 v15, v17, v15
	s_delay_alu instid0(VALU_DEP_1) | instskip(SKIP_1) | instid1(VALU_DEP_1)
	v_mad_u64_u32 v[17:18], null, v15, s2, v[12:13]
	v_mad_u64_u32 v[18:19], null, v15, s3, v[13:14]
	v_dual_mov_b32 v12, v17 :: v_dual_mov_b32 v13, v18
.LBB479_107:
	v_cmp_ne_u32_e32 vcc_lo, 1, v14
	s_cbranch_vccnz .LBB479_113
; %bb.108:
	v_dual_mov_b32 v14, 0 :: v_dual_mov_b32 v15, 0
	s_cmp_lg_u32 s22, 0
	s_mov_b32 s6, 0
	s_cbranch_scc0 .LBB479_117
; %bb.109:
	s_min_u32 s7, s23, 15
	v_mov_b32_e32 v14, 0
	s_add_i32 s7, s7, 1
	s_cmp_eq_u32 s23, 2
	s_mov_b32 s8, 0
	s_cbranch_scc1 .LBB479_114
; %bb.110:
	v_dual_mov_b32 v15, 0 :: v_dual_mov_b32 v14, 0
	v_mov_b32_e32 v17, v16
	s_add_u32 s2, s0, 0xc4
	s_addc_u32 s3, s1, 0
	s_and_b32 s8, s7, 28
	s_mov_b32 s9, 0
	s_mov_b64 s[4:5], s[0:1]
.LBB479_111:                            ; =>This Inner Loop Header: Depth=1
	s_clause 0x1
	s_load_b256 s[12:19], s[4:5], 0x4
	s_load_b128 s[36:39], s[4:5], 0x24
	s_load_b256 s[24:31], s[2:3], 0x0
	s_add_u32 s4, s4, 48
	s_addc_u32 s5, s5, 0
	s_add_i32 s9, s9, 4
	s_add_u32 s2, s2, 32
	s_addc_u32 s3, s3, 0
	s_cmp_lg_u32 s8, s9
	s_waitcnt lgkmcnt(0)
	v_mul_hi_u32 v18, s13, v17
	s_delay_alu instid0(VALU_DEP_1) | instskip(NEXT) | instid1(VALU_DEP_1)
	v_add_nc_u32_e32 v18, v17, v18
	v_lshrrev_b32_e32 v18, s14, v18
	s_delay_alu instid0(VALU_DEP_1) | instskip(SKIP_1) | instid1(VALU_DEP_2)
	v_mul_hi_u32 v19, s16, v18
	v_mul_lo_u32 v21, v18, s12
	v_add_nc_u32_e32 v19, v18, v19
	s_delay_alu instid0(VALU_DEP_2) | instskip(NEXT) | instid1(VALU_DEP_2)
	v_sub_nc_u32_e32 v17, v17, v21
	v_lshrrev_b32_e32 v19, s17, v19
	s_delay_alu instid0(VALU_DEP_2) | instskip(SKIP_1) | instid1(VALU_DEP_3)
	v_mul_lo_u32 v21, v17, s24
	v_mul_lo_u32 v23, v17, s25
	v_mul_hi_u32 v20, s19, v19
	s_delay_alu instid0(VALU_DEP_1) | instskip(NEXT) | instid1(VALU_DEP_1)
	v_add_nc_u32_e32 v20, v19, v20
	v_lshrrev_b32_e32 v20, s36, v20
	s_delay_alu instid0(VALU_DEP_1) | instskip(SKIP_1) | instid1(VALU_DEP_2)
	v_mul_hi_u32 v22, s38, v20
	v_mul_lo_u32 v24, v20, s18
	v_add_nc_u32_e32 v17, v20, v22
	v_mul_lo_u32 v22, v19, s15
	s_delay_alu instid0(VALU_DEP_3) | instskip(NEXT) | instid1(VALU_DEP_3)
	v_sub_nc_u32_e32 v19, v19, v24
	v_lshrrev_b32_e32 v17, s39, v17
	s_delay_alu instid0(VALU_DEP_2) | instskip(SKIP_2) | instid1(VALU_DEP_4)
	v_mul_lo_u32 v24, v19, s28
	v_mul_lo_u32 v19, v19, s29
	v_sub_nc_u32_e32 v18, v18, v22
	v_mul_lo_u32 v25, v17, s37
	s_delay_alu instid0(VALU_DEP_2) | instskip(SKIP_1) | instid1(VALU_DEP_3)
	v_mul_lo_u32 v22, v18, s26
	v_mul_lo_u32 v18, v18, s27
	v_sub_nc_u32_e32 v20, v20, v25
	s_delay_alu instid0(VALU_DEP_3) | instskip(NEXT) | instid1(VALU_DEP_2)
	v_add3_u32 v14, v21, v14, v22
	v_mul_lo_u32 v25, v20, s30
	v_mul_lo_u32 v20, v20, s31
	v_add3_u32 v15, v23, v15, v18
	s_delay_alu instid0(VALU_DEP_3) | instskip(NEXT) | instid1(VALU_DEP_2)
	v_add3_u32 v14, v24, v14, v25
	v_add3_u32 v15, v19, v15, v20
	s_cbranch_scc1 .LBB479_111
; %bb.112:
	s_and_b32 s7, s7, 3
	s_delay_alu instid0(SALU_CYCLE_1)
	s_cmp_eq_u32 s7, 0
	s_cbranch_scc0 .LBB479_115
	s_branch .LBB479_117
.LBB479_113:
	s_mov_b32 s6, -1
                                        ; implicit-def: $vgpr14
                                        ; implicit-def: $vgpr15
	s_branch .LBB479_117
.LBB479_114:
	v_mov_b32_e32 v17, v16
	v_mov_b32_e32 v15, 0
	s_and_b32 s7, s7, 3
	s_delay_alu instid0(SALU_CYCLE_1)
	s_cmp_eq_u32 s7, 0
	s_cbranch_scc1 .LBB479_117
.LBB479_115:
	s_lshl_b32 s2, s8, 3
	s_mul_i32 s4, s8, 12
	s_add_u32 s2, s2, s0
	s_addc_u32 s3, 0, s1
	s_add_u32 s2, s2, 0xc4
	s_addc_u32 s3, s3, 0
	;; [unrolled: 2-line block ×3, first 2 shown]
	.p2align	6
.LBB479_116:                            ; =>This Inner Loop Header: Depth=1
	s_clause 0x1
	s_load_b64 s[8:9], s[4:5], 0x4
	s_load_b32 s12, s[4:5], 0xc
	s_load_b64 s[10:11], s[2:3], 0x0
	s_add_u32 s4, s4, 12
	s_addc_u32 s5, s5, 0
	s_add_u32 s2, s2, 8
	s_addc_u32 s3, s3, 0
	s_add_i32 s7, s7, -1
	s_delay_alu instid0(SALU_CYCLE_1) | instskip(SKIP_2) | instid1(VALU_DEP_1)
	s_cmp_lg_u32 s7, 0
	s_waitcnt lgkmcnt(0)
	v_mul_hi_u32 v18, s9, v17
	v_add_nc_u32_e32 v18, v17, v18
	s_delay_alu instid0(VALU_DEP_1) | instskip(NEXT) | instid1(VALU_DEP_1)
	v_lshrrev_b32_e32 v21, s12, v18
	v_mul_lo_u32 v18, v21, s8
	s_delay_alu instid0(VALU_DEP_1) | instskip(NEXT) | instid1(VALU_DEP_1)
	v_sub_nc_u32_e32 v17, v17, v18
	v_mad_u64_u32 v[18:19], null, v17, s10, v[14:15]
	v_mad_u64_u32 v[19:20], null, v17, s11, v[15:16]
	s_delay_alu instid0(VALU_DEP_2) | instskip(NEXT) | instid1(VALU_DEP_2)
	v_dual_mov_b32 v17, v21 :: v_dual_mov_b32 v14, v18
	v_mov_b32_e32 v15, v19
	s_cbranch_scc1 .LBB479_116
.LBB479_117:
	s_and_not1_b32 vcc_lo, exec_lo, s6
	s_cbranch_vccnz .LBB479_120
; %bb.118:
	s_clause 0x1
	s_load_b128 s[4:7], s[0:1], 0x4
	s_load_b64 s[2:3], s[0:1], 0xc4
	s_cmp_lt_u32 s22, 2
	s_waitcnt lgkmcnt(0)
	v_mul_hi_u32 v14, s5, v16
	s_delay_alu instid0(VALU_DEP_1) | instskip(NEXT) | instid1(VALU_DEP_1)
	v_add_nc_u32_e32 v14, v16, v14
	v_lshrrev_b32_e32 v17, s6, v14
	s_delay_alu instid0(VALU_DEP_1) | instskip(NEXT) | instid1(VALU_DEP_1)
	v_mul_lo_u32 v14, v17, s4
	v_sub_nc_u32_e32 v15, v16, v14
	s_delay_alu instid0(VALU_DEP_1)
	v_mul_lo_u32 v14, v15, s2
	v_mul_lo_u32 v15, v15, s3
	s_cbranch_scc1 .LBB479_120
; %bb.119:
	s_clause 0x1
	s_load_b128 s[4:7], s[0:1], 0x10
	s_load_b64 s[2:3], s[0:1], 0xcc
	s_waitcnt lgkmcnt(0)
	v_mul_hi_u32 v16, s5, v17
	s_delay_alu instid0(VALU_DEP_1) | instskip(NEXT) | instid1(VALU_DEP_1)
	v_add_nc_u32_e32 v16, v17, v16
	v_lshrrev_b32_e32 v16, s6, v16
	s_delay_alu instid0(VALU_DEP_1) | instskip(NEXT) | instid1(VALU_DEP_1)
	v_mul_lo_u32 v16, v16, s4
	v_sub_nc_u32_e32 v19, v17, v16
	s_delay_alu instid0(VALU_DEP_1) | instskip(NEXT) | instid1(VALU_DEP_1)
	v_mad_u64_u32 v[16:17], null, v19, s2, v[14:15]
	v_mad_u64_u32 v[17:18], null, v19, s3, v[15:16]
	s_delay_alu instid0(VALU_DEP_1)
	v_dual_mov_b32 v14, v16 :: v_dual_mov_b32 v15, v17
.LBB479_120:
	s_clause 0x1
	s_load_b128 s[16:19], s[0:1], 0x148
	s_load_b32 s15, s[0:1], 0x158
	s_waitcnt lgkmcnt(0)
	s_clause 0x7
	global_load_u16 v1, v1, s[18:19]
	global_load_u16 v3, v3, s[18:19]
	;; [unrolled: 1-line block ×8, first 2 shown]
	s_waitcnt vmcnt(7)
	v_cmp_u_f16_e32 vcc_lo, v1, v1
	v_cmp_gt_f16_e64 s0, s15, v1
	s_waitcnt vmcnt(6)
	v_cmp_u_f16_e64 s1, v3, v3
	v_cmp_gt_f16_e64 s2, s15, v3
	s_waitcnt vmcnt(5)
	v_cmp_u_f16_e64 s3, v5, v5
	v_cmp_gt_f16_e64 s4, s15, v5
	s_or_b32 vcc_lo, vcc_lo, s0
	s_waitcnt vmcnt(4)
	v_cmp_u_f16_e64 s5, v7, v7
	v_cmp_gt_f16_e64 s6, s15, v7
	v_cndmask_b32_e32 v1, s15, v1, vcc_lo
	s_or_b32 vcc_lo, s1, s2
	s_waitcnt vmcnt(3)
	v_cmp_u_f16_e64 s7, v9, v9
	v_cmp_gt_f16_e64 s8, s15, v9
	v_cndmask_b32_e32 v3, s15, v3, vcc_lo
	s_or_b32 vcc_lo, s3, s4
	;; [unrolled: 5-line block ×5, first 2 shown]
	v_cndmask_b32_e32 v11, s15, v11, vcc_lo
	s_or_b32 vcc_lo, s11, s12
	v_cndmask_b32_e32 v13, s15, v13, vcc_lo
	s_or_b32 vcc_lo, s13, s14
	v_cndmask_b32_e32 v15, s15, v15, vcc_lo
	s_clause 0x7
	global_store_b16 v0, v1, s[16:17]
	global_store_b16 v2, v3, s[16:17]
	;; [unrolled: 1-line block ×8, first 2 shown]
	s_nop 0
	s_sendmsg sendmsg(MSG_DEALLOC_VGPRS)
	s_endpgm
.LBB479_121:
	v_dual_mov_b32 v2, v12 :: v_dual_mov_b32 v1, 0
.LBB479_122:
	s_and_b32 s35, s35, 3
	s_delay_alu instid0(SALU_CYCLE_1)
	s_cmp_eq_u32 s35, 0
	s_cbranch_scc1 .LBB479_125
; %bb.123:
	s_lshl_b32 s2, s34, 3
	s_mul_i32 s20, s34, 12
	s_add_u32 s2, s2, s0
	s_addc_u32 s3, s1, 0
	s_add_u32 s2, s2, 0xc4
	s_addc_u32 s3, s3, 0
	;; [unrolled: 2-line block ×3, first 2 shown]
	.p2align	6
.LBB479_124:                            ; =>This Inner Loop Header: Depth=1
	s_clause 0x1
	s_load_b64 s[36:37], s[20:21], 0x4
	s_load_b32 s34, s[20:21], 0xc
	s_load_b64 s[38:39], s[2:3], 0x0
	s_add_u32 s20, s20, 12
	s_addc_u32 s21, s21, 0
	s_add_u32 s2, s2, 8
	s_addc_u32 s3, s3, 0
	s_add_i32 s35, s35, -1
	s_delay_alu instid0(SALU_CYCLE_1) | instskip(SKIP_2) | instid1(VALU_DEP_1)
	s_cmp_lg_u32 s35, 0
	s_waitcnt lgkmcnt(0)
	v_mul_hi_u32 v3, s37, v2
	v_add_nc_u32_e32 v3, v2, v3
	s_delay_alu instid0(VALU_DEP_1) | instskip(NEXT) | instid1(VALU_DEP_1)
	v_lshrrev_b32_e32 v6, s34, v3
	v_mul_lo_u32 v3, v6, s36
	s_delay_alu instid0(VALU_DEP_1) | instskip(NEXT) | instid1(VALU_DEP_1)
	v_sub_nc_u32_e32 v2, v2, v3
	v_mad_u64_u32 v[3:4], null, v2, s38, v[0:1]
	v_mad_u64_u32 v[4:5], null, v2, s39, v[1:2]
	v_mov_b32_e32 v2, v6
	s_delay_alu instid0(VALU_DEP_2)
	v_dual_mov_b32 v0, v3 :: v_dual_mov_b32 v1, v4
	s_cbranch_scc1 .LBB479_124
.LBB479_125:
	s_and_not1_b32 vcc_lo, exec_lo, s33
	s_cbranch_vccnz .LBB479_128
; %bb.126:
	s_waitcnt lgkmcnt(0)
	v_mul_hi_u32 v0, s13, v12
	s_and_not1_b32 vcc_lo, exec_lo, s27
	s_delay_alu instid0(VALU_DEP_1) | instskip(NEXT) | instid1(VALU_DEP_1)
	v_add_nc_u32_e32 v0, v12, v0
	v_lshrrev_b32_e32 v2, s14, v0
	s_delay_alu instid0(VALU_DEP_1) | instskip(NEXT) | instid1(VALU_DEP_1)
	v_mul_lo_u32 v0, v2, s12
	v_sub_nc_u32_e32 v1, v12, v0
	s_delay_alu instid0(VALU_DEP_1)
	v_mul_lo_u32 v0, v1, s8
	v_mul_lo_u32 v1, v1, s9
	s_cbranch_vccnz .LBB479_128
; %bb.127:
	v_mul_hi_u32 v3, s16, v2
	s_delay_alu instid0(VALU_DEP_1) | instskip(NEXT) | instid1(VALU_DEP_1)
	v_add_nc_u32_e32 v3, v2, v3
	v_lshrrev_b32_e32 v3, s17, v3
	s_delay_alu instid0(VALU_DEP_1) | instskip(NEXT) | instid1(VALU_DEP_1)
	v_mul_lo_u32 v3, v3, s15
	v_sub_nc_u32_e32 v5, v2, v3
	s_delay_alu instid0(VALU_DEP_1) | instskip(NEXT) | instid1(VALU_DEP_1)
	v_mad_u64_u32 v[2:3], null, v5, s10, v[0:1]
	v_mad_u64_u32 v[3:4], null, v5, s11, v[1:2]
	s_delay_alu instid0(VALU_DEP_1)
	v_dual_mov_b32 v0, v2 :: v_dual_mov_b32 v1, v3
.LBB479_128:
	s_waitcnt lgkmcnt(0)
	global_load_u16 v1, v1, s[6:7]
	v_add_nc_u32_e32 v12, 0x80, v12
	s_waitcnt vmcnt(0)
	v_cmp_u_f16_e32 vcc_lo, v1, v1
	v_cmp_gt_f16_e64 s2, s26, v1
	s_delay_alu instid0(VALU_DEP_1) | instskip(SKIP_3) | instid1(SALU_CYCLE_1)
	s_or_b32 vcc_lo, vcc_lo, s2
	v_cndmask_b32_e32 v1, s26, v1, vcc_lo
	global_store_b16 v0, v1, s[4:5]
	s_or_b32 exec_lo, exec_lo, s31
	s_mov_b32 s31, exec_lo
	v_cmpx_gt_i32_e64 s28, v12
	s_cbranch_execnz .LBB479_15
.LBB479_129:
	s_or_b32 exec_lo, exec_lo, s31
	s_delay_alu instid0(SALU_CYCLE_1)
	s_mov_b32 s31, exec_lo
	v_cmpx_gt_i32_e64 s28, v12
	s_cbranch_execz .LBB479_144
.LBB479_130:
	s_and_not1_b32 vcc_lo, exec_lo, s24
	s_cbranch_vccnz .LBB479_135
; %bb.131:
	v_dual_mov_b32 v0, 0 :: v_dual_mov_b32 v1, 0
	s_and_not1_b32 vcc_lo, exec_lo, s30
	s_mov_b32 s33, 0
	s_cbranch_vccnz .LBB479_155
; %bb.132:
	v_mov_b32_e32 v0, 0
	s_add_i32 s35, s29, 1
	s_cmp_eq_u32 s23, 2
	s_mov_b32 s34, 0
	s_cbranch_scc1 .LBB479_151
; %bb.133:
	v_dual_mov_b32 v1, 0 :: v_dual_mov_b32 v0, 0
	v_mov_b32_e32 v2, v12
	s_and_b32 s34, s35, 28
	s_mov_b32 s36, 0
	s_mov_b64 s[2:3], s[18:19]
	s_mov_b64 s[20:21], s[0:1]
.LBB479_134:                            ; =>This Inner Loop Header: Depth=1
	s_clause 0x1
	s_load_b256 s[40:47], s[20:21], 0x4
	s_load_b128 s[56:59], s[20:21], 0x24
	s_load_b256 s[48:55], s[2:3], 0x0
	s_add_u32 s20, s20, 48
	s_addc_u32 s21, s21, 0
	s_add_i32 s36, s36, 4
	s_add_u32 s2, s2, 32
	s_addc_u32 s3, s3, 0
	s_cmp_eq_u32 s34, s36
	s_waitcnt lgkmcnt(0)
	v_mul_hi_u32 v3, s41, v2
	s_delay_alu instid0(VALU_DEP_1) | instskip(NEXT) | instid1(VALU_DEP_1)
	v_add_nc_u32_e32 v3, v2, v3
	v_lshrrev_b32_e32 v3, s42, v3
	s_delay_alu instid0(VALU_DEP_1) | instskip(SKIP_1) | instid1(VALU_DEP_2)
	v_mul_hi_u32 v4, s44, v3
	v_mul_lo_u32 v6, v3, s40
	v_add_nc_u32_e32 v4, v3, v4
	s_delay_alu instid0(VALU_DEP_2) | instskip(NEXT) | instid1(VALU_DEP_2)
	v_sub_nc_u32_e32 v2, v2, v6
	v_lshrrev_b32_e32 v4, s45, v4
	s_delay_alu instid0(VALU_DEP_2) | instskip(SKIP_1) | instid1(VALU_DEP_3)
	v_mul_lo_u32 v6, v2, s48
	v_mul_lo_u32 v8, v2, s49
	v_mul_hi_u32 v5, s47, v4
	s_delay_alu instid0(VALU_DEP_1) | instskip(NEXT) | instid1(VALU_DEP_1)
	v_add_nc_u32_e32 v5, v4, v5
	v_lshrrev_b32_e32 v5, s56, v5
	s_delay_alu instid0(VALU_DEP_1) | instskip(SKIP_1) | instid1(VALU_DEP_2)
	v_mul_hi_u32 v7, s58, v5
	v_mul_lo_u32 v9, v5, s46
	v_add_nc_u32_e32 v2, v5, v7
	v_mul_lo_u32 v7, v4, s43
	s_delay_alu instid0(VALU_DEP_3) | instskip(NEXT) | instid1(VALU_DEP_3)
	v_sub_nc_u32_e32 v4, v4, v9
	v_lshrrev_b32_e32 v2, s59, v2
	s_delay_alu instid0(VALU_DEP_2) | instskip(SKIP_2) | instid1(VALU_DEP_4)
	v_mul_lo_u32 v9, v4, s52
	v_mul_lo_u32 v4, v4, s53
	v_sub_nc_u32_e32 v3, v3, v7
	v_mul_lo_u32 v10, v2, s57
	s_delay_alu instid0(VALU_DEP_2) | instskip(SKIP_1) | instid1(VALU_DEP_3)
	v_mul_lo_u32 v7, v3, s50
	v_mul_lo_u32 v3, v3, s51
	v_sub_nc_u32_e32 v5, v5, v10
	s_delay_alu instid0(VALU_DEP_3) | instskip(NEXT) | instid1(VALU_DEP_2)
	v_add3_u32 v0, v6, v0, v7
	v_mul_lo_u32 v10, v5, s54
	v_mul_lo_u32 v5, v5, s55
	v_add3_u32 v1, v8, v1, v3
	s_delay_alu instid0(VALU_DEP_3) | instskip(NEXT) | instid1(VALU_DEP_2)
	v_add3_u32 v0, v9, v0, v10
	v_add3_u32 v1, v4, v1, v5
	s_cbranch_scc0 .LBB479_134
	s_branch .LBB479_152
.LBB479_135:
	s_mov_b32 s33, -1
                                        ; implicit-def: $vgpr0
                                        ; implicit-def: $vgpr1
	s_branch .LBB479_155
.LBB479_136:
	v_dual_mov_b32 v2, v12 :: v_dual_mov_b32 v1, 0
.LBB479_137:
	s_and_b32 s35, s35, 3
	s_delay_alu instid0(SALU_CYCLE_1)
	s_cmp_eq_u32 s35, 0
	s_cbranch_scc1 .LBB479_140
; %bb.138:
	s_lshl_b32 s2, s34, 3
	s_mul_i32 s20, s34, 12
	s_add_u32 s2, s2, s0
	s_addc_u32 s3, s1, 0
	s_add_u32 s2, s2, 0xc4
	s_addc_u32 s3, s3, 0
	;; [unrolled: 2-line block ×3, first 2 shown]
	.p2align	6
.LBB479_139:                            ; =>This Inner Loop Header: Depth=1
	s_clause 0x1
	s_load_b64 s[36:37], s[20:21], 0x4
	s_load_b32 s34, s[20:21], 0xc
	s_load_b64 s[38:39], s[2:3], 0x0
	s_add_u32 s20, s20, 12
	s_addc_u32 s21, s21, 0
	s_add_u32 s2, s2, 8
	s_addc_u32 s3, s3, 0
	s_add_i32 s35, s35, -1
	s_delay_alu instid0(SALU_CYCLE_1) | instskip(SKIP_2) | instid1(VALU_DEP_1)
	s_cmp_lg_u32 s35, 0
	s_waitcnt lgkmcnt(0)
	v_mul_hi_u32 v3, s37, v2
	v_add_nc_u32_e32 v3, v2, v3
	s_delay_alu instid0(VALU_DEP_1) | instskip(NEXT) | instid1(VALU_DEP_1)
	v_lshrrev_b32_e32 v6, s34, v3
	v_mul_lo_u32 v3, v6, s36
	s_delay_alu instid0(VALU_DEP_1) | instskip(NEXT) | instid1(VALU_DEP_1)
	v_sub_nc_u32_e32 v2, v2, v3
	v_mad_u64_u32 v[3:4], null, v2, s38, v[0:1]
	v_mad_u64_u32 v[4:5], null, v2, s39, v[1:2]
	v_mov_b32_e32 v2, v6
	s_delay_alu instid0(VALU_DEP_2)
	v_dual_mov_b32 v0, v3 :: v_dual_mov_b32 v1, v4
	s_cbranch_scc1 .LBB479_139
.LBB479_140:
	s_and_not1_b32 vcc_lo, exec_lo, s33
	s_cbranch_vccnz .LBB479_143
; %bb.141:
	s_waitcnt lgkmcnt(0)
	v_mul_hi_u32 v0, s13, v12
	s_and_not1_b32 vcc_lo, exec_lo, s27
	s_delay_alu instid0(VALU_DEP_1) | instskip(NEXT) | instid1(VALU_DEP_1)
	v_add_nc_u32_e32 v0, v12, v0
	v_lshrrev_b32_e32 v2, s14, v0
	s_delay_alu instid0(VALU_DEP_1) | instskip(NEXT) | instid1(VALU_DEP_1)
	v_mul_lo_u32 v0, v2, s12
	v_sub_nc_u32_e32 v1, v12, v0
	s_delay_alu instid0(VALU_DEP_1)
	v_mul_lo_u32 v0, v1, s8
	v_mul_lo_u32 v1, v1, s9
	s_cbranch_vccnz .LBB479_143
; %bb.142:
	v_mul_hi_u32 v3, s16, v2
	s_delay_alu instid0(VALU_DEP_1) | instskip(NEXT) | instid1(VALU_DEP_1)
	v_add_nc_u32_e32 v3, v2, v3
	v_lshrrev_b32_e32 v3, s17, v3
	s_delay_alu instid0(VALU_DEP_1) | instskip(NEXT) | instid1(VALU_DEP_1)
	v_mul_lo_u32 v3, v3, s15
	v_sub_nc_u32_e32 v5, v2, v3
	s_delay_alu instid0(VALU_DEP_1) | instskip(NEXT) | instid1(VALU_DEP_1)
	v_mad_u64_u32 v[2:3], null, v5, s10, v[0:1]
	v_mad_u64_u32 v[3:4], null, v5, s11, v[1:2]
	s_delay_alu instid0(VALU_DEP_1)
	v_dual_mov_b32 v0, v2 :: v_dual_mov_b32 v1, v3
.LBB479_143:
	s_waitcnt lgkmcnt(0)
	global_load_u16 v1, v1, s[6:7]
	v_add_nc_u32_e32 v12, 0x80, v12
	s_waitcnt vmcnt(0)
	v_cmp_u_f16_e32 vcc_lo, v1, v1
	v_cmp_gt_f16_e64 s2, s26, v1
	s_delay_alu instid0(VALU_DEP_1) | instskip(SKIP_3) | instid1(SALU_CYCLE_1)
	s_or_b32 vcc_lo, vcc_lo, s2
	v_cndmask_b32_e32 v1, s26, v1, vcc_lo
	global_store_b16 v0, v1, s[4:5]
	s_or_b32 exec_lo, exec_lo, s31
	s_mov_b32 s31, exec_lo
	v_cmpx_gt_i32_e64 s28, v12
	s_cbranch_execnz .LBB479_130
.LBB479_144:
	s_or_b32 exec_lo, exec_lo, s31
	s_delay_alu instid0(SALU_CYCLE_1)
	s_mov_b32 s31, exec_lo
	v_cmpx_gt_i32_e64 s28, v12
	s_cbranch_execz .LBB479_159
.LBB479_145:
	s_and_not1_b32 vcc_lo, exec_lo, s24
	s_cbranch_vccnz .LBB479_150
; %bb.146:
	v_dual_mov_b32 v0, 0 :: v_dual_mov_b32 v1, 0
	s_and_not1_b32 vcc_lo, exec_lo, s30
	s_mov_b32 s33, 0
	s_cbranch_vccnz .LBB479_170
; %bb.147:
	v_mov_b32_e32 v0, 0
	s_add_i32 s35, s29, 1
	s_cmp_eq_u32 s23, 2
	s_mov_b32 s34, 0
	s_cbranch_scc1 .LBB479_166
; %bb.148:
	v_dual_mov_b32 v1, 0 :: v_dual_mov_b32 v0, 0
	v_mov_b32_e32 v2, v12
	s_and_b32 s34, s35, 28
	s_mov_b32 s36, 0
	s_mov_b64 s[2:3], s[18:19]
	s_mov_b64 s[20:21], s[0:1]
.LBB479_149:                            ; =>This Inner Loop Header: Depth=1
	s_clause 0x1
	s_load_b256 s[40:47], s[20:21], 0x4
	s_load_b128 s[56:59], s[20:21], 0x24
	s_load_b256 s[48:55], s[2:3], 0x0
	s_add_u32 s20, s20, 48
	s_addc_u32 s21, s21, 0
	s_add_i32 s36, s36, 4
	s_add_u32 s2, s2, 32
	s_addc_u32 s3, s3, 0
	s_cmp_eq_u32 s34, s36
	s_waitcnt lgkmcnt(0)
	v_mul_hi_u32 v3, s41, v2
	s_delay_alu instid0(VALU_DEP_1) | instskip(NEXT) | instid1(VALU_DEP_1)
	v_add_nc_u32_e32 v3, v2, v3
	v_lshrrev_b32_e32 v3, s42, v3
	s_delay_alu instid0(VALU_DEP_1) | instskip(SKIP_1) | instid1(VALU_DEP_2)
	v_mul_hi_u32 v4, s44, v3
	v_mul_lo_u32 v6, v3, s40
	v_add_nc_u32_e32 v4, v3, v4
	s_delay_alu instid0(VALU_DEP_2) | instskip(NEXT) | instid1(VALU_DEP_2)
	v_sub_nc_u32_e32 v2, v2, v6
	v_lshrrev_b32_e32 v4, s45, v4
	s_delay_alu instid0(VALU_DEP_2) | instskip(SKIP_1) | instid1(VALU_DEP_3)
	v_mul_lo_u32 v6, v2, s48
	v_mul_lo_u32 v8, v2, s49
	v_mul_hi_u32 v5, s47, v4
	s_delay_alu instid0(VALU_DEP_1) | instskip(NEXT) | instid1(VALU_DEP_1)
	v_add_nc_u32_e32 v5, v4, v5
	v_lshrrev_b32_e32 v5, s56, v5
	s_delay_alu instid0(VALU_DEP_1) | instskip(SKIP_1) | instid1(VALU_DEP_2)
	v_mul_hi_u32 v7, s58, v5
	v_mul_lo_u32 v9, v5, s46
	v_add_nc_u32_e32 v2, v5, v7
	v_mul_lo_u32 v7, v4, s43
	s_delay_alu instid0(VALU_DEP_3) | instskip(NEXT) | instid1(VALU_DEP_3)
	v_sub_nc_u32_e32 v4, v4, v9
	v_lshrrev_b32_e32 v2, s59, v2
	s_delay_alu instid0(VALU_DEP_2) | instskip(SKIP_2) | instid1(VALU_DEP_4)
	v_mul_lo_u32 v9, v4, s52
	v_mul_lo_u32 v4, v4, s53
	v_sub_nc_u32_e32 v3, v3, v7
	v_mul_lo_u32 v10, v2, s57
	s_delay_alu instid0(VALU_DEP_2) | instskip(SKIP_1) | instid1(VALU_DEP_3)
	v_mul_lo_u32 v7, v3, s50
	v_mul_lo_u32 v3, v3, s51
	v_sub_nc_u32_e32 v5, v5, v10
	s_delay_alu instid0(VALU_DEP_3) | instskip(NEXT) | instid1(VALU_DEP_2)
	v_add3_u32 v0, v6, v0, v7
	v_mul_lo_u32 v10, v5, s54
	v_mul_lo_u32 v5, v5, s55
	v_add3_u32 v1, v8, v1, v3
	s_delay_alu instid0(VALU_DEP_3) | instskip(NEXT) | instid1(VALU_DEP_2)
	v_add3_u32 v0, v9, v0, v10
	v_add3_u32 v1, v4, v1, v5
	s_cbranch_scc0 .LBB479_149
	s_branch .LBB479_167
.LBB479_150:
	s_mov_b32 s33, -1
                                        ; implicit-def: $vgpr0
                                        ; implicit-def: $vgpr1
	s_branch .LBB479_170
.LBB479_151:
	v_dual_mov_b32 v2, v12 :: v_dual_mov_b32 v1, 0
.LBB479_152:
	s_and_b32 s35, s35, 3
	s_delay_alu instid0(SALU_CYCLE_1)
	s_cmp_eq_u32 s35, 0
	s_cbranch_scc1 .LBB479_155
; %bb.153:
	s_lshl_b32 s2, s34, 3
	s_mul_i32 s20, s34, 12
	s_add_u32 s2, s2, s0
	s_addc_u32 s3, s1, 0
	s_add_u32 s2, s2, 0xc4
	s_addc_u32 s3, s3, 0
	;; [unrolled: 2-line block ×3, first 2 shown]
	.p2align	6
.LBB479_154:                            ; =>This Inner Loop Header: Depth=1
	s_clause 0x1
	s_load_b64 s[36:37], s[20:21], 0x4
	s_load_b32 s34, s[20:21], 0xc
	s_load_b64 s[38:39], s[2:3], 0x0
	s_add_u32 s20, s20, 12
	s_addc_u32 s21, s21, 0
	s_add_u32 s2, s2, 8
	s_addc_u32 s3, s3, 0
	s_add_i32 s35, s35, -1
	s_delay_alu instid0(SALU_CYCLE_1) | instskip(SKIP_2) | instid1(VALU_DEP_1)
	s_cmp_lg_u32 s35, 0
	s_waitcnt lgkmcnt(0)
	v_mul_hi_u32 v3, s37, v2
	v_add_nc_u32_e32 v3, v2, v3
	s_delay_alu instid0(VALU_DEP_1) | instskip(NEXT) | instid1(VALU_DEP_1)
	v_lshrrev_b32_e32 v6, s34, v3
	v_mul_lo_u32 v3, v6, s36
	s_delay_alu instid0(VALU_DEP_1) | instskip(NEXT) | instid1(VALU_DEP_1)
	v_sub_nc_u32_e32 v2, v2, v3
	v_mad_u64_u32 v[3:4], null, v2, s38, v[0:1]
	v_mad_u64_u32 v[4:5], null, v2, s39, v[1:2]
	v_mov_b32_e32 v2, v6
	s_delay_alu instid0(VALU_DEP_2)
	v_dual_mov_b32 v0, v3 :: v_dual_mov_b32 v1, v4
	s_cbranch_scc1 .LBB479_154
.LBB479_155:
	s_and_not1_b32 vcc_lo, exec_lo, s33
	s_cbranch_vccnz .LBB479_158
; %bb.156:
	s_waitcnt lgkmcnt(0)
	v_mul_hi_u32 v0, s13, v12
	s_and_not1_b32 vcc_lo, exec_lo, s27
	s_delay_alu instid0(VALU_DEP_1) | instskip(NEXT) | instid1(VALU_DEP_1)
	v_add_nc_u32_e32 v0, v12, v0
	v_lshrrev_b32_e32 v2, s14, v0
	s_delay_alu instid0(VALU_DEP_1) | instskip(NEXT) | instid1(VALU_DEP_1)
	v_mul_lo_u32 v0, v2, s12
	v_sub_nc_u32_e32 v1, v12, v0
	s_delay_alu instid0(VALU_DEP_1)
	v_mul_lo_u32 v0, v1, s8
	v_mul_lo_u32 v1, v1, s9
	s_cbranch_vccnz .LBB479_158
; %bb.157:
	v_mul_hi_u32 v3, s16, v2
	s_delay_alu instid0(VALU_DEP_1) | instskip(NEXT) | instid1(VALU_DEP_1)
	v_add_nc_u32_e32 v3, v2, v3
	v_lshrrev_b32_e32 v3, s17, v3
	s_delay_alu instid0(VALU_DEP_1) | instskip(NEXT) | instid1(VALU_DEP_1)
	v_mul_lo_u32 v3, v3, s15
	v_sub_nc_u32_e32 v5, v2, v3
	s_delay_alu instid0(VALU_DEP_1) | instskip(NEXT) | instid1(VALU_DEP_1)
	v_mad_u64_u32 v[2:3], null, v5, s10, v[0:1]
	v_mad_u64_u32 v[3:4], null, v5, s11, v[1:2]
	s_delay_alu instid0(VALU_DEP_1)
	v_dual_mov_b32 v0, v2 :: v_dual_mov_b32 v1, v3
.LBB479_158:
	s_waitcnt lgkmcnt(0)
	global_load_u16 v1, v1, s[6:7]
	v_add_nc_u32_e32 v12, 0x80, v12
	s_waitcnt vmcnt(0)
	v_cmp_u_f16_e32 vcc_lo, v1, v1
	v_cmp_gt_f16_e64 s2, s26, v1
	s_delay_alu instid0(VALU_DEP_1) | instskip(SKIP_3) | instid1(SALU_CYCLE_1)
	s_or_b32 vcc_lo, vcc_lo, s2
	v_cndmask_b32_e32 v1, s26, v1, vcc_lo
	global_store_b16 v0, v1, s[4:5]
	s_or_b32 exec_lo, exec_lo, s31
	s_mov_b32 s31, exec_lo
	v_cmpx_gt_i32_e64 s28, v12
	s_cbranch_execnz .LBB479_145
.LBB479_159:
	s_or_b32 exec_lo, exec_lo, s31
	s_delay_alu instid0(SALU_CYCLE_1)
	s_mov_b32 s31, exec_lo
	v_cmpx_gt_i32_e64 s28, v12
	s_cbranch_execz .LBB479_174
.LBB479_160:
	s_and_not1_b32 vcc_lo, exec_lo, s24
	s_cbranch_vccnz .LBB479_165
; %bb.161:
	v_dual_mov_b32 v0, 0 :: v_dual_mov_b32 v1, 0
	s_and_not1_b32 vcc_lo, exec_lo, s30
	s_mov_b32 s33, 0
	s_cbranch_vccnz .LBB479_185
; %bb.162:
	v_mov_b32_e32 v0, 0
	s_add_i32 s35, s29, 1
	s_cmp_eq_u32 s23, 2
	s_mov_b32 s34, 0
	s_cbranch_scc1 .LBB479_181
; %bb.163:
	v_dual_mov_b32 v1, 0 :: v_dual_mov_b32 v0, 0
	v_mov_b32_e32 v2, v12
	s_and_b32 s34, s35, 28
	s_mov_b32 s36, 0
	s_mov_b64 s[2:3], s[18:19]
	s_mov_b64 s[20:21], s[0:1]
.LBB479_164:                            ; =>This Inner Loop Header: Depth=1
	s_clause 0x1
	s_load_b256 s[40:47], s[20:21], 0x4
	s_load_b128 s[56:59], s[20:21], 0x24
	s_load_b256 s[48:55], s[2:3], 0x0
	s_add_u32 s20, s20, 48
	s_addc_u32 s21, s21, 0
	s_add_i32 s36, s36, 4
	s_add_u32 s2, s2, 32
	s_addc_u32 s3, s3, 0
	s_cmp_eq_u32 s34, s36
	s_waitcnt lgkmcnt(0)
	v_mul_hi_u32 v3, s41, v2
	s_delay_alu instid0(VALU_DEP_1) | instskip(NEXT) | instid1(VALU_DEP_1)
	v_add_nc_u32_e32 v3, v2, v3
	v_lshrrev_b32_e32 v3, s42, v3
	s_delay_alu instid0(VALU_DEP_1) | instskip(SKIP_1) | instid1(VALU_DEP_2)
	v_mul_hi_u32 v4, s44, v3
	v_mul_lo_u32 v6, v3, s40
	v_add_nc_u32_e32 v4, v3, v4
	s_delay_alu instid0(VALU_DEP_2) | instskip(NEXT) | instid1(VALU_DEP_2)
	v_sub_nc_u32_e32 v2, v2, v6
	v_lshrrev_b32_e32 v4, s45, v4
	s_delay_alu instid0(VALU_DEP_2) | instskip(SKIP_1) | instid1(VALU_DEP_3)
	v_mul_lo_u32 v6, v2, s48
	v_mul_lo_u32 v8, v2, s49
	v_mul_hi_u32 v5, s47, v4
	s_delay_alu instid0(VALU_DEP_1) | instskip(NEXT) | instid1(VALU_DEP_1)
	v_add_nc_u32_e32 v5, v4, v5
	v_lshrrev_b32_e32 v5, s56, v5
	s_delay_alu instid0(VALU_DEP_1) | instskip(SKIP_1) | instid1(VALU_DEP_2)
	v_mul_hi_u32 v7, s58, v5
	v_mul_lo_u32 v9, v5, s46
	v_add_nc_u32_e32 v2, v5, v7
	v_mul_lo_u32 v7, v4, s43
	s_delay_alu instid0(VALU_DEP_3) | instskip(NEXT) | instid1(VALU_DEP_3)
	v_sub_nc_u32_e32 v4, v4, v9
	v_lshrrev_b32_e32 v2, s59, v2
	s_delay_alu instid0(VALU_DEP_2) | instskip(SKIP_2) | instid1(VALU_DEP_4)
	v_mul_lo_u32 v9, v4, s52
	v_mul_lo_u32 v4, v4, s53
	v_sub_nc_u32_e32 v3, v3, v7
	v_mul_lo_u32 v10, v2, s57
	s_delay_alu instid0(VALU_DEP_2) | instskip(SKIP_1) | instid1(VALU_DEP_3)
	v_mul_lo_u32 v7, v3, s50
	v_mul_lo_u32 v3, v3, s51
	v_sub_nc_u32_e32 v5, v5, v10
	s_delay_alu instid0(VALU_DEP_3) | instskip(NEXT) | instid1(VALU_DEP_2)
	v_add3_u32 v0, v6, v0, v7
	v_mul_lo_u32 v10, v5, s54
	v_mul_lo_u32 v5, v5, s55
	v_add3_u32 v1, v8, v1, v3
	s_delay_alu instid0(VALU_DEP_3) | instskip(NEXT) | instid1(VALU_DEP_2)
	v_add3_u32 v0, v9, v0, v10
	v_add3_u32 v1, v4, v1, v5
	s_cbranch_scc0 .LBB479_164
	s_branch .LBB479_182
.LBB479_165:
	s_mov_b32 s33, -1
                                        ; implicit-def: $vgpr0
                                        ; implicit-def: $vgpr1
	s_branch .LBB479_185
.LBB479_166:
	v_dual_mov_b32 v2, v12 :: v_dual_mov_b32 v1, 0
.LBB479_167:
	s_and_b32 s35, s35, 3
	s_delay_alu instid0(SALU_CYCLE_1)
	s_cmp_eq_u32 s35, 0
	s_cbranch_scc1 .LBB479_170
; %bb.168:
	s_lshl_b32 s2, s34, 3
	s_mul_i32 s20, s34, 12
	s_add_u32 s2, s2, s0
	s_addc_u32 s3, s1, 0
	s_add_u32 s2, s2, 0xc4
	s_addc_u32 s3, s3, 0
	s_add_u32 s20, s0, s20
	s_addc_u32 s21, s1, 0
	.p2align	6
.LBB479_169:                            ; =>This Inner Loop Header: Depth=1
	s_clause 0x1
	s_load_b64 s[36:37], s[20:21], 0x4
	s_load_b32 s34, s[20:21], 0xc
	s_load_b64 s[38:39], s[2:3], 0x0
	s_add_u32 s20, s20, 12
	s_addc_u32 s21, s21, 0
	s_add_u32 s2, s2, 8
	s_addc_u32 s3, s3, 0
	s_add_i32 s35, s35, -1
	s_delay_alu instid0(SALU_CYCLE_1) | instskip(SKIP_2) | instid1(VALU_DEP_1)
	s_cmp_lg_u32 s35, 0
	s_waitcnt lgkmcnt(0)
	v_mul_hi_u32 v3, s37, v2
	v_add_nc_u32_e32 v3, v2, v3
	s_delay_alu instid0(VALU_DEP_1) | instskip(NEXT) | instid1(VALU_DEP_1)
	v_lshrrev_b32_e32 v6, s34, v3
	v_mul_lo_u32 v3, v6, s36
	s_delay_alu instid0(VALU_DEP_1) | instskip(NEXT) | instid1(VALU_DEP_1)
	v_sub_nc_u32_e32 v2, v2, v3
	v_mad_u64_u32 v[3:4], null, v2, s38, v[0:1]
	v_mad_u64_u32 v[4:5], null, v2, s39, v[1:2]
	v_mov_b32_e32 v2, v6
	s_delay_alu instid0(VALU_DEP_2)
	v_dual_mov_b32 v0, v3 :: v_dual_mov_b32 v1, v4
	s_cbranch_scc1 .LBB479_169
.LBB479_170:
	s_and_not1_b32 vcc_lo, exec_lo, s33
	s_cbranch_vccnz .LBB479_173
; %bb.171:
	s_waitcnt lgkmcnt(0)
	v_mul_hi_u32 v0, s13, v12
	s_and_not1_b32 vcc_lo, exec_lo, s27
	s_delay_alu instid0(VALU_DEP_1) | instskip(NEXT) | instid1(VALU_DEP_1)
	v_add_nc_u32_e32 v0, v12, v0
	v_lshrrev_b32_e32 v2, s14, v0
	s_delay_alu instid0(VALU_DEP_1) | instskip(NEXT) | instid1(VALU_DEP_1)
	v_mul_lo_u32 v0, v2, s12
	v_sub_nc_u32_e32 v1, v12, v0
	s_delay_alu instid0(VALU_DEP_1)
	v_mul_lo_u32 v0, v1, s8
	v_mul_lo_u32 v1, v1, s9
	s_cbranch_vccnz .LBB479_173
; %bb.172:
	v_mul_hi_u32 v3, s16, v2
	s_delay_alu instid0(VALU_DEP_1) | instskip(NEXT) | instid1(VALU_DEP_1)
	v_add_nc_u32_e32 v3, v2, v3
	v_lshrrev_b32_e32 v3, s17, v3
	s_delay_alu instid0(VALU_DEP_1) | instskip(NEXT) | instid1(VALU_DEP_1)
	v_mul_lo_u32 v3, v3, s15
	v_sub_nc_u32_e32 v5, v2, v3
	s_delay_alu instid0(VALU_DEP_1) | instskip(NEXT) | instid1(VALU_DEP_1)
	v_mad_u64_u32 v[2:3], null, v5, s10, v[0:1]
	v_mad_u64_u32 v[3:4], null, v5, s11, v[1:2]
	s_delay_alu instid0(VALU_DEP_1)
	v_dual_mov_b32 v0, v2 :: v_dual_mov_b32 v1, v3
.LBB479_173:
	s_waitcnt lgkmcnt(0)
	global_load_u16 v1, v1, s[6:7]
	v_add_nc_u32_e32 v12, 0x80, v12
	s_waitcnt vmcnt(0)
	v_cmp_u_f16_e32 vcc_lo, v1, v1
	v_cmp_gt_f16_e64 s2, s26, v1
	s_delay_alu instid0(VALU_DEP_1) | instskip(SKIP_3) | instid1(SALU_CYCLE_1)
	s_or_b32 vcc_lo, vcc_lo, s2
	v_cndmask_b32_e32 v1, s26, v1, vcc_lo
	global_store_b16 v0, v1, s[4:5]
	s_or_b32 exec_lo, exec_lo, s31
	s_mov_b32 s31, exec_lo
	v_cmpx_gt_i32_e64 s28, v12
	s_cbranch_execnz .LBB479_160
.LBB479_174:
	s_or_b32 exec_lo, exec_lo, s31
	s_delay_alu instid0(SALU_CYCLE_1)
	s_mov_b32 s31, exec_lo
	v_cmpx_gt_i32_e64 s28, v12
	s_cbranch_execz .LBB479_189
.LBB479_175:
	s_and_not1_b32 vcc_lo, exec_lo, s24
	s_cbranch_vccnz .LBB479_180
; %bb.176:
	v_dual_mov_b32 v0, 0 :: v_dual_mov_b32 v1, 0
	s_and_not1_b32 vcc_lo, exec_lo, s30
	s_mov_b32 s33, 0
	s_cbranch_vccnz .LBB479_200
; %bb.177:
	v_mov_b32_e32 v0, 0
	s_add_i32 s35, s29, 1
	s_cmp_eq_u32 s23, 2
	s_mov_b32 s34, 0
	s_cbranch_scc1 .LBB479_196
; %bb.178:
	v_dual_mov_b32 v1, 0 :: v_dual_mov_b32 v0, 0
	v_mov_b32_e32 v2, v12
	s_and_b32 s34, s35, 28
	s_mov_b32 s36, 0
	s_mov_b64 s[2:3], s[18:19]
	s_mov_b64 s[20:21], s[0:1]
.LBB479_179:                            ; =>This Inner Loop Header: Depth=1
	s_clause 0x1
	s_load_b256 s[40:47], s[20:21], 0x4
	s_load_b128 s[56:59], s[20:21], 0x24
	s_load_b256 s[48:55], s[2:3], 0x0
	s_add_u32 s20, s20, 48
	s_addc_u32 s21, s21, 0
	s_add_i32 s36, s36, 4
	s_add_u32 s2, s2, 32
	s_addc_u32 s3, s3, 0
	s_cmp_eq_u32 s34, s36
	s_waitcnt lgkmcnt(0)
	v_mul_hi_u32 v3, s41, v2
	s_delay_alu instid0(VALU_DEP_1) | instskip(NEXT) | instid1(VALU_DEP_1)
	v_add_nc_u32_e32 v3, v2, v3
	v_lshrrev_b32_e32 v3, s42, v3
	s_delay_alu instid0(VALU_DEP_1) | instskip(SKIP_1) | instid1(VALU_DEP_2)
	v_mul_hi_u32 v4, s44, v3
	v_mul_lo_u32 v6, v3, s40
	v_add_nc_u32_e32 v4, v3, v4
	s_delay_alu instid0(VALU_DEP_2) | instskip(NEXT) | instid1(VALU_DEP_2)
	v_sub_nc_u32_e32 v2, v2, v6
	v_lshrrev_b32_e32 v4, s45, v4
	s_delay_alu instid0(VALU_DEP_2) | instskip(SKIP_1) | instid1(VALU_DEP_3)
	v_mul_lo_u32 v6, v2, s48
	v_mul_lo_u32 v8, v2, s49
	v_mul_hi_u32 v5, s47, v4
	s_delay_alu instid0(VALU_DEP_1) | instskip(NEXT) | instid1(VALU_DEP_1)
	v_add_nc_u32_e32 v5, v4, v5
	v_lshrrev_b32_e32 v5, s56, v5
	s_delay_alu instid0(VALU_DEP_1) | instskip(SKIP_1) | instid1(VALU_DEP_2)
	v_mul_hi_u32 v7, s58, v5
	v_mul_lo_u32 v9, v5, s46
	v_add_nc_u32_e32 v2, v5, v7
	v_mul_lo_u32 v7, v4, s43
	s_delay_alu instid0(VALU_DEP_3) | instskip(NEXT) | instid1(VALU_DEP_3)
	v_sub_nc_u32_e32 v4, v4, v9
	v_lshrrev_b32_e32 v2, s59, v2
	s_delay_alu instid0(VALU_DEP_2) | instskip(SKIP_2) | instid1(VALU_DEP_4)
	v_mul_lo_u32 v9, v4, s52
	v_mul_lo_u32 v4, v4, s53
	v_sub_nc_u32_e32 v3, v3, v7
	v_mul_lo_u32 v10, v2, s57
	s_delay_alu instid0(VALU_DEP_2) | instskip(SKIP_1) | instid1(VALU_DEP_3)
	v_mul_lo_u32 v7, v3, s50
	v_mul_lo_u32 v3, v3, s51
	v_sub_nc_u32_e32 v5, v5, v10
	s_delay_alu instid0(VALU_DEP_3) | instskip(NEXT) | instid1(VALU_DEP_2)
	v_add3_u32 v0, v6, v0, v7
	v_mul_lo_u32 v10, v5, s54
	v_mul_lo_u32 v5, v5, s55
	v_add3_u32 v1, v8, v1, v3
	s_delay_alu instid0(VALU_DEP_3) | instskip(NEXT) | instid1(VALU_DEP_2)
	v_add3_u32 v0, v9, v0, v10
	v_add3_u32 v1, v4, v1, v5
	s_cbranch_scc0 .LBB479_179
	s_branch .LBB479_197
.LBB479_180:
	s_mov_b32 s33, -1
                                        ; implicit-def: $vgpr0
                                        ; implicit-def: $vgpr1
	s_branch .LBB479_200
.LBB479_181:
	v_dual_mov_b32 v2, v12 :: v_dual_mov_b32 v1, 0
.LBB479_182:
	s_and_b32 s35, s35, 3
	s_delay_alu instid0(SALU_CYCLE_1)
	s_cmp_eq_u32 s35, 0
	s_cbranch_scc1 .LBB479_185
; %bb.183:
	s_lshl_b32 s2, s34, 3
	s_mul_i32 s20, s34, 12
	s_add_u32 s2, s2, s0
	s_addc_u32 s3, s1, 0
	s_add_u32 s2, s2, 0xc4
	s_addc_u32 s3, s3, 0
	;; [unrolled: 2-line block ×3, first 2 shown]
	.p2align	6
.LBB479_184:                            ; =>This Inner Loop Header: Depth=1
	s_clause 0x1
	s_load_b64 s[36:37], s[20:21], 0x4
	s_load_b32 s34, s[20:21], 0xc
	s_load_b64 s[38:39], s[2:3], 0x0
	s_add_u32 s20, s20, 12
	s_addc_u32 s21, s21, 0
	s_add_u32 s2, s2, 8
	s_addc_u32 s3, s3, 0
	s_add_i32 s35, s35, -1
	s_delay_alu instid0(SALU_CYCLE_1) | instskip(SKIP_2) | instid1(VALU_DEP_1)
	s_cmp_lg_u32 s35, 0
	s_waitcnt lgkmcnt(0)
	v_mul_hi_u32 v3, s37, v2
	v_add_nc_u32_e32 v3, v2, v3
	s_delay_alu instid0(VALU_DEP_1) | instskip(NEXT) | instid1(VALU_DEP_1)
	v_lshrrev_b32_e32 v6, s34, v3
	v_mul_lo_u32 v3, v6, s36
	s_delay_alu instid0(VALU_DEP_1) | instskip(NEXT) | instid1(VALU_DEP_1)
	v_sub_nc_u32_e32 v2, v2, v3
	v_mad_u64_u32 v[3:4], null, v2, s38, v[0:1]
	v_mad_u64_u32 v[4:5], null, v2, s39, v[1:2]
	v_mov_b32_e32 v2, v6
	s_delay_alu instid0(VALU_DEP_2)
	v_dual_mov_b32 v0, v3 :: v_dual_mov_b32 v1, v4
	s_cbranch_scc1 .LBB479_184
.LBB479_185:
	s_and_not1_b32 vcc_lo, exec_lo, s33
	s_cbranch_vccnz .LBB479_188
; %bb.186:
	s_waitcnt lgkmcnt(0)
	v_mul_hi_u32 v0, s13, v12
	s_and_not1_b32 vcc_lo, exec_lo, s27
	s_delay_alu instid0(VALU_DEP_1) | instskip(NEXT) | instid1(VALU_DEP_1)
	v_add_nc_u32_e32 v0, v12, v0
	v_lshrrev_b32_e32 v2, s14, v0
	s_delay_alu instid0(VALU_DEP_1) | instskip(NEXT) | instid1(VALU_DEP_1)
	v_mul_lo_u32 v0, v2, s12
	v_sub_nc_u32_e32 v1, v12, v0
	s_delay_alu instid0(VALU_DEP_1)
	v_mul_lo_u32 v0, v1, s8
	v_mul_lo_u32 v1, v1, s9
	s_cbranch_vccnz .LBB479_188
; %bb.187:
	v_mul_hi_u32 v3, s16, v2
	s_delay_alu instid0(VALU_DEP_1) | instskip(NEXT) | instid1(VALU_DEP_1)
	v_add_nc_u32_e32 v3, v2, v3
	v_lshrrev_b32_e32 v3, s17, v3
	s_delay_alu instid0(VALU_DEP_1) | instskip(NEXT) | instid1(VALU_DEP_1)
	v_mul_lo_u32 v3, v3, s15
	v_sub_nc_u32_e32 v5, v2, v3
	s_delay_alu instid0(VALU_DEP_1) | instskip(NEXT) | instid1(VALU_DEP_1)
	v_mad_u64_u32 v[2:3], null, v5, s10, v[0:1]
	v_mad_u64_u32 v[3:4], null, v5, s11, v[1:2]
	s_delay_alu instid0(VALU_DEP_1)
	v_dual_mov_b32 v0, v2 :: v_dual_mov_b32 v1, v3
.LBB479_188:
	s_waitcnt lgkmcnt(0)
	global_load_u16 v1, v1, s[6:7]
	v_add_nc_u32_e32 v12, 0x80, v12
	s_waitcnt vmcnt(0)
	v_cmp_u_f16_e32 vcc_lo, v1, v1
	v_cmp_gt_f16_e64 s2, s26, v1
	s_delay_alu instid0(VALU_DEP_1) | instskip(SKIP_3) | instid1(SALU_CYCLE_1)
	s_or_b32 vcc_lo, vcc_lo, s2
	v_cndmask_b32_e32 v1, s26, v1, vcc_lo
	global_store_b16 v0, v1, s[4:5]
	s_or_b32 exec_lo, exec_lo, s31
	s_mov_b32 s31, exec_lo
	v_cmpx_gt_i32_e64 s28, v12
	s_cbranch_execnz .LBB479_175
.LBB479_189:
	s_or_b32 exec_lo, exec_lo, s31
	s_delay_alu instid0(SALU_CYCLE_1)
	s_mov_b32 s31, exec_lo
	v_cmpx_gt_i32_e64 s28, v12
	s_cbranch_execz .LBB479_204
.LBB479_190:
	s_and_not1_b32 vcc_lo, exec_lo, s24
	s_cbranch_vccnz .LBB479_195
; %bb.191:
	v_dual_mov_b32 v0, 0 :: v_dual_mov_b32 v1, 0
	s_and_not1_b32 vcc_lo, exec_lo, s30
	s_mov_b32 s33, 0
	s_cbranch_vccnz .LBB479_211
; %bb.192:
	v_mov_b32_e32 v0, 0
	s_add_i32 s35, s29, 1
	s_cmp_eq_u32 s23, 2
	s_mov_b32 s34, 0
	s_cbranch_scc1 .LBB479_207
; %bb.193:
	v_dual_mov_b32 v1, 0 :: v_dual_mov_b32 v0, 0
	v_mov_b32_e32 v2, v12
	s_and_b32 s34, s35, 28
	s_mov_b32 s36, 0
	s_mov_b64 s[2:3], s[18:19]
	s_mov_b64 s[20:21], s[0:1]
.LBB479_194:                            ; =>This Inner Loop Header: Depth=1
	s_clause 0x1
	s_load_b256 s[40:47], s[20:21], 0x4
	s_load_b128 s[56:59], s[20:21], 0x24
	s_load_b256 s[48:55], s[2:3], 0x0
	s_add_u32 s20, s20, 48
	s_addc_u32 s21, s21, 0
	s_add_i32 s36, s36, 4
	s_add_u32 s2, s2, 32
	s_addc_u32 s3, s3, 0
	s_cmp_eq_u32 s34, s36
	s_waitcnt lgkmcnt(0)
	v_mul_hi_u32 v3, s41, v2
	s_delay_alu instid0(VALU_DEP_1) | instskip(NEXT) | instid1(VALU_DEP_1)
	v_add_nc_u32_e32 v3, v2, v3
	v_lshrrev_b32_e32 v3, s42, v3
	s_delay_alu instid0(VALU_DEP_1) | instskip(SKIP_1) | instid1(VALU_DEP_2)
	v_mul_hi_u32 v4, s44, v3
	v_mul_lo_u32 v6, v3, s40
	v_add_nc_u32_e32 v4, v3, v4
	s_delay_alu instid0(VALU_DEP_2) | instskip(NEXT) | instid1(VALU_DEP_2)
	v_sub_nc_u32_e32 v2, v2, v6
	v_lshrrev_b32_e32 v4, s45, v4
	s_delay_alu instid0(VALU_DEP_2) | instskip(SKIP_1) | instid1(VALU_DEP_3)
	v_mul_lo_u32 v6, v2, s48
	v_mul_lo_u32 v8, v2, s49
	v_mul_hi_u32 v5, s47, v4
	s_delay_alu instid0(VALU_DEP_1) | instskip(NEXT) | instid1(VALU_DEP_1)
	v_add_nc_u32_e32 v5, v4, v5
	v_lshrrev_b32_e32 v5, s56, v5
	s_delay_alu instid0(VALU_DEP_1) | instskip(SKIP_1) | instid1(VALU_DEP_2)
	v_mul_hi_u32 v7, s58, v5
	v_mul_lo_u32 v9, v5, s46
	v_add_nc_u32_e32 v2, v5, v7
	v_mul_lo_u32 v7, v4, s43
	s_delay_alu instid0(VALU_DEP_3) | instskip(NEXT) | instid1(VALU_DEP_3)
	v_sub_nc_u32_e32 v4, v4, v9
	v_lshrrev_b32_e32 v2, s59, v2
	s_delay_alu instid0(VALU_DEP_2) | instskip(SKIP_2) | instid1(VALU_DEP_4)
	v_mul_lo_u32 v9, v4, s52
	v_mul_lo_u32 v4, v4, s53
	v_sub_nc_u32_e32 v3, v3, v7
	v_mul_lo_u32 v10, v2, s57
	s_delay_alu instid0(VALU_DEP_2) | instskip(SKIP_1) | instid1(VALU_DEP_3)
	v_mul_lo_u32 v7, v3, s50
	v_mul_lo_u32 v3, v3, s51
	v_sub_nc_u32_e32 v5, v5, v10
	s_delay_alu instid0(VALU_DEP_3) | instskip(NEXT) | instid1(VALU_DEP_2)
	v_add3_u32 v0, v6, v0, v7
	v_mul_lo_u32 v10, v5, s54
	v_mul_lo_u32 v5, v5, s55
	v_add3_u32 v1, v8, v1, v3
	s_delay_alu instid0(VALU_DEP_3) | instskip(NEXT) | instid1(VALU_DEP_2)
	v_add3_u32 v0, v9, v0, v10
	v_add3_u32 v1, v4, v1, v5
	s_cbranch_scc0 .LBB479_194
	s_branch .LBB479_208
.LBB479_195:
	s_mov_b32 s33, -1
                                        ; implicit-def: $vgpr0
                                        ; implicit-def: $vgpr1
	s_branch .LBB479_211
.LBB479_196:
	v_dual_mov_b32 v2, v12 :: v_dual_mov_b32 v1, 0
.LBB479_197:
	s_and_b32 s35, s35, 3
	s_delay_alu instid0(SALU_CYCLE_1)
	s_cmp_eq_u32 s35, 0
	s_cbranch_scc1 .LBB479_200
; %bb.198:
	s_lshl_b32 s2, s34, 3
	s_mul_i32 s20, s34, 12
	s_add_u32 s2, s2, s0
	s_addc_u32 s3, s1, 0
	s_add_u32 s2, s2, 0xc4
	s_addc_u32 s3, s3, 0
	;; [unrolled: 2-line block ×3, first 2 shown]
	.p2align	6
.LBB479_199:                            ; =>This Inner Loop Header: Depth=1
	s_clause 0x1
	s_load_b64 s[36:37], s[20:21], 0x4
	s_load_b32 s34, s[20:21], 0xc
	s_load_b64 s[38:39], s[2:3], 0x0
	s_add_u32 s20, s20, 12
	s_addc_u32 s21, s21, 0
	s_add_u32 s2, s2, 8
	s_addc_u32 s3, s3, 0
	s_add_i32 s35, s35, -1
	s_delay_alu instid0(SALU_CYCLE_1) | instskip(SKIP_2) | instid1(VALU_DEP_1)
	s_cmp_lg_u32 s35, 0
	s_waitcnt lgkmcnt(0)
	v_mul_hi_u32 v3, s37, v2
	v_add_nc_u32_e32 v3, v2, v3
	s_delay_alu instid0(VALU_DEP_1) | instskip(NEXT) | instid1(VALU_DEP_1)
	v_lshrrev_b32_e32 v6, s34, v3
	v_mul_lo_u32 v3, v6, s36
	s_delay_alu instid0(VALU_DEP_1) | instskip(NEXT) | instid1(VALU_DEP_1)
	v_sub_nc_u32_e32 v2, v2, v3
	v_mad_u64_u32 v[3:4], null, v2, s38, v[0:1]
	v_mad_u64_u32 v[4:5], null, v2, s39, v[1:2]
	v_mov_b32_e32 v2, v6
	s_delay_alu instid0(VALU_DEP_2)
	v_dual_mov_b32 v0, v3 :: v_dual_mov_b32 v1, v4
	s_cbranch_scc1 .LBB479_199
.LBB479_200:
	s_and_not1_b32 vcc_lo, exec_lo, s33
	s_cbranch_vccnz .LBB479_203
; %bb.201:
	s_waitcnt lgkmcnt(0)
	v_mul_hi_u32 v0, s13, v12
	s_and_not1_b32 vcc_lo, exec_lo, s27
	s_delay_alu instid0(VALU_DEP_1) | instskip(NEXT) | instid1(VALU_DEP_1)
	v_add_nc_u32_e32 v0, v12, v0
	v_lshrrev_b32_e32 v2, s14, v0
	s_delay_alu instid0(VALU_DEP_1) | instskip(NEXT) | instid1(VALU_DEP_1)
	v_mul_lo_u32 v0, v2, s12
	v_sub_nc_u32_e32 v1, v12, v0
	s_delay_alu instid0(VALU_DEP_1)
	v_mul_lo_u32 v0, v1, s8
	v_mul_lo_u32 v1, v1, s9
	s_cbranch_vccnz .LBB479_203
; %bb.202:
	v_mul_hi_u32 v3, s16, v2
	s_delay_alu instid0(VALU_DEP_1) | instskip(NEXT) | instid1(VALU_DEP_1)
	v_add_nc_u32_e32 v3, v2, v3
	v_lshrrev_b32_e32 v3, s17, v3
	s_delay_alu instid0(VALU_DEP_1) | instskip(NEXT) | instid1(VALU_DEP_1)
	v_mul_lo_u32 v3, v3, s15
	v_sub_nc_u32_e32 v5, v2, v3
	s_delay_alu instid0(VALU_DEP_1) | instskip(NEXT) | instid1(VALU_DEP_1)
	v_mad_u64_u32 v[2:3], null, v5, s10, v[0:1]
	v_mad_u64_u32 v[3:4], null, v5, s11, v[1:2]
	s_delay_alu instid0(VALU_DEP_1)
	v_dual_mov_b32 v0, v2 :: v_dual_mov_b32 v1, v3
.LBB479_203:
	s_waitcnt lgkmcnt(0)
	global_load_u16 v1, v1, s[6:7]
	v_add_nc_u32_e32 v12, 0x80, v12
	s_waitcnt vmcnt(0)
	v_cmp_u_f16_e32 vcc_lo, v1, v1
	v_cmp_gt_f16_e64 s2, s26, v1
	s_delay_alu instid0(VALU_DEP_1) | instskip(SKIP_3) | instid1(SALU_CYCLE_1)
	s_or_b32 vcc_lo, vcc_lo, s2
	v_cndmask_b32_e32 v1, s26, v1, vcc_lo
	global_store_b16 v0, v1, s[4:5]
	s_or_b32 exec_lo, exec_lo, s31
	s_mov_b32 s31, exec_lo
	v_cmpx_gt_i32_e64 s28, v12
	s_cbranch_execnz .LBB479_190
.LBB479_204:
	s_or_b32 exec_lo, exec_lo, s31
	s_delay_alu instid0(SALU_CYCLE_1)
	s_mov_b32 s20, exec_lo
	v_cmpx_gt_i32_e64 s28, v12
	s_cbranch_execnz .LBB479_215
.LBB479_205:
	s_or_b32 exec_lo, exec_lo, s20
                                        ; implicit-def: $vgpr16
                                        ; implicit-def: $vgpr12
	s_and_not1_saveexec_b32 s2, s25
	s_cbranch_execnz .LBB479_8
.LBB479_206:
	s_nop 0
	s_sendmsg sendmsg(MSG_DEALLOC_VGPRS)
	s_endpgm
.LBB479_207:
	v_dual_mov_b32 v2, v12 :: v_dual_mov_b32 v1, 0
.LBB479_208:
	s_and_b32 s35, s35, 3
	s_delay_alu instid0(SALU_CYCLE_1)
	s_cmp_eq_u32 s35, 0
	s_cbranch_scc1 .LBB479_211
; %bb.209:
	s_lshl_b32 s2, s34, 3
	s_mul_i32 s20, s34, 12
	s_add_u32 s2, s2, s0
	s_addc_u32 s3, s1, 0
	s_add_u32 s2, s2, 0xc4
	s_addc_u32 s3, s3, 0
	;; [unrolled: 2-line block ×3, first 2 shown]
	.p2align	6
.LBB479_210:                            ; =>This Inner Loop Header: Depth=1
	s_clause 0x1
	s_load_b64 s[36:37], s[20:21], 0x4
	s_load_b32 s34, s[20:21], 0xc
	s_load_b64 s[38:39], s[2:3], 0x0
	s_add_u32 s20, s20, 12
	s_addc_u32 s21, s21, 0
	s_add_u32 s2, s2, 8
	s_addc_u32 s3, s3, 0
	s_add_i32 s35, s35, -1
	s_delay_alu instid0(SALU_CYCLE_1) | instskip(SKIP_2) | instid1(VALU_DEP_1)
	s_cmp_lg_u32 s35, 0
	s_waitcnt lgkmcnt(0)
	v_mul_hi_u32 v3, s37, v2
	v_add_nc_u32_e32 v3, v2, v3
	s_delay_alu instid0(VALU_DEP_1) | instskip(NEXT) | instid1(VALU_DEP_1)
	v_lshrrev_b32_e32 v6, s34, v3
	v_mul_lo_u32 v3, v6, s36
	s_delay_alu instid0(VALU_DEP_1) | instskip(NEXT) | instid1(VALU_DEP_1)
	v_sub_nc_u32_e32 v2, v2, v3
	v_mad_u64_u32 v[3:4], null, v2, s38, v[0:1]
	v_mad_u64_u32 v[4:5], null, v2, s39, v[1:2]
	v_mov_b32_e32 v2, v6
	s_delay_alu instid0(VALU_DEP_2)
	v_dual_mov_b32 v0, v3 :: v_dual_mov_b32 v1, v4
	s_cbranch_scc1 .LBB479_210
.LBB479_211:
	s_and_not1_b32 vcc_lo, exec_lo, s33
	s_cbranch_vccnz .LBB479_214
; %bb.212:
	s_waitcnt lgkmcnt(0)
	v_mul_hi_u32 v0, s13, v12
	s_and_not1_b32 vcc_lo, exec_lo, s27
	s_delay_alu instid0(VALU_DEP_1) | instskip(NEXT) | instid1(VALU_DEP_1)
	v_add_nc_u32_e32 v0, v12, v0
	v_lshrrev_b32_e32 v2, s14, v0
	s_delay_alu instid0(VALU_DEP_1) | instskip(NEXT) | instid1(VALU_DEP_1)
	v_mul_lo_u32 v0, v2, s12
	v_sub_nc_u32_e32 v1, v12, v0
	s_delay_alu instid0(VALU_DEP_1)
	v_mul_lo_u32 v0, v1, s8
	v_mul_lo_u32 v1, v1, s9
	s_cbranch_vccnz .LBB479_214
; %bb.213:
	v_mul_hi_u32 v3, s16, v2
	s_delay_alu instid0(VALU_DEP_1) | instskip(NEXT) | instid1(VALU_DEP_1)
	v_add_nc_u32_e32 v3, v2, v3
	v_lshrrev_b32_e32 v3, s17, v3
	s_delay_alu instid0(VALU_DEP_1) | instskip(NEXT) | instid1(VALU_DEP_1)
	v_mul_lo_u32 v3, v3, s15
	v_sub_nc_u32_e32 v5, v2, v3
	s_delay_alu instid0(VALU_DEP_1) | instskip(NEXT) | instid1(VALU_DEP_1)
	v_mad_u64_u32 v[2:3], null, v5, s10, v[0:1]
	v_mad_u64_u32 v[3:4], null, v5, s11, v[1:2]
	s_delay_alu instid0(VALU_DEP_1)
	v_dual_mov_b32 v0, v2 :: v_dual_mov_b32 v1, v3
.LBB479_214:
	s_waitcnt lgkmcnt(0)
	global_load_u16 v1, v1, s[6:7]
	v_add_nc_u32_e32 v12, 0x80, v12
	s_waitcnt vmcnt(0)
	v_cmp_u_f16_e32 vcc_lo, v1, v1
	v_cmp_gt_f16_e64 s2, s26, v1
	s_delay_alu instid0(VALU_DEP_1) | instskip(SKIP_3) | instid1(SALU_CYCLE_1)
	s_or_b32 vcc_lo, vcc_lo, s2
	v_cndmask_b32_e32 v1, s26, v1, vcc_lo
	global_store_b16 v0, v1, s[4:5]
	s_or_b32 exec_lo, exec_lo, s31
	s_mov_b32 s20, exec_lo
	v_cmpx_gt_i32_e64 s28, v12
	s_cbranch_execz .LBB479_205
.LBB479_215:
	s_and_not1_b32 vcc_lo, exec_lo, s24
	s_cbranch_vccnz .LBB479_220
; %bb.216:
	v_dual_mov_b32 v0, 0 :: v_dual_mov_b32 v1, 0
	s_and_not1_b32 vcc_lo, exec_lo, s30
	s_mov_b32 s21, 0
	s_cbranch_vccnz .LBB479_225
; %bb.217:
	v_mov_b32_e32 v0, 0
	s_add_i32 s29, s29, 1
	s_cmp_eq_u32 s23, 2
	s_mov_b32 s28, 0
	s_cbranch_scc1 .LBB479_221
; %bb.218:
	v_dual_mov_b32 v1, 0 :: v_dual_mov_b32 v0, 0
	v_mov_b32_e32 v2, v12
	s_and_b32 s28, s29, 28
	s_mov_b32 s30, 0
	s_mov_b64 s[2:3], s[0:1]
.LBB479_219:                            ; =>This Inner Loop Header: Depth=1
	s_clause 0x1
	s_load_b256 s[36:43], s[2:3], 0x4
	s_load_b128 s[52:55], s[2:3], 0x24
	s_load_b256 s[44:51], s[18:19], 0x0
	s_add_u32 s2, s2, 48
	s_addc_u32 s3, s3, 0
	s_add_i32 s30, s30, 4
	s_add_u32 s18, s18, 32
	s_addc_u32 s19, s19, 0
	s_cmp_eq_u32 s28, s30
	s_waitcnt lgkmcnt(0)
	v_mul_hi_u32 v3, s37, v2
	s_delay_alu instid0(VALU_DEP_1) | instskip(NEXT) | instid1(VALU_DEP_1)
	v_add_nc_u32_e32 v3, v2, v3
	v_lshrrev_b32_e32 v3, s38, v3
	s_delay_alu instid0(VALU_DEP_1) | instskip(SKIP_1) | instid1(VALU_DEP_2)
	v_mul_hi_u32 v4, s40, v3
	v_mul_lo_u32 v6, v3, s36
	v_add_nc_u32_e32 v4, v3, v4
	s_delay_alu instid0(VALU_DEP_2) | instskip(NEXT) | instid1(VALU_DEP_2)
	v_sub_nc_u32_e32 v2, v2, v6
	v_lshrrev_b32_e32 v4, s41, v4
	s_delay_alu instid0(VALU_DEP_2) | instskip(SKIP_1) | instid1(VALU_DEP_3)
	v_mul_lo_u32 v6, v2, s44
	v_mul_lo_u32 v8, v2, s45
	v_mul_hi_u32 v5, s43, v4
	s_delay_alu instid0(VALU_DEP_1) | instskip(NEXT) | instid1(VALU_DEP_1)
	v_add_nc_u32_e32 v5, v4, v5
	v_lshrrev_b32_e32 v5, s52, v5
	s_delay_alu instid0(VALU_DEP_1) | instskip(SKIP_1) | instid1(VALU_DEP_2)
	v_mul_hi_u32 v7, s54, v5
	v_mul_lo_u32 v9, v5, s42
	v_add_nc_u32_e32 v2, v5, v7
	v_mul_lo_u32 v7, v4, s39
	s_delay_alu instid0(VALU_DEP_3) | instskip(NEXT) | instid1(VALU_DEP_3)
	v_sub_nc_u32_e32 v4, v4, v9
	v_lshrrev_b32_e32 v2, s55, v2
	s_delay_alu instid0(VALU_DEP_2) | instskip(SKIP_2) | instid1(VALU_DEP_4)
	v_mul_lo_u32 v9, v4, s48
	v_mul_lo_u32 v4, v4, s49
	v_sub_nc_u32_e32 v3, v3, v7
	v_mul_lo_u32 v10, v2, s53
	s_delay_alu instid0(VALU_DEP_2) | instskip(SKIP_1) | instid1(VALU_DEP_3)
	v_mul_lo_u32 v7, v3, s46
	v_mul_lo_u32 v3, v3, s47
	v_sub_nc_u32_e32 v5, v5, v10
	s_delay_alu instid0(VALU_DEP_3) | instskip(NEXT) | instid1(VALU_DEP_2)
	v_add3_u32 v0, v6, v0, v7
	v_mul_lo_u32 v10, v5, s50
	v_mul_lo_u32 v5, v5, s51
	v_add3_u32 v1, v8, v1, v3
	s_delay_alu instid0(VALU_DEP_3) | instskip(NEXT) | instid1(VALU_DEP_2)
	v_add3_u32 v0, v9, v0, v10
	v_add3_u32 v1, v4, v1, v5
	s_cbranch_scc0 .LBB479_219
	s_branch .LBB479_222
.LBB479_220:
	s_mov_b32 s21, -1
                                        ; implicit-def: $vgpr0
                                        ; implicit-def: $vgpr1
	s_branch .LBB479_225
.LBB479_221:
	v_dual_mov_b32 v2, v12 :: v_dual_mov_b32 v1, 0
.LBB479_222:
	s_and_b32 s29, s29, 3
	s_delay_alu instid0(SALU_CYCLE_1)
	s_cmp_eq_u32 s29, 0
	s_cbranch_scc1 .LBB479_225
; %bb.223:
	s_lshl_b32 s2, s28, 3
	s_mul_i32 s18, s28, 12
	s_add_u32 s2, s2, s0
	s_addc_u32 s3, s1, 0
	s_add_u32 s2, s2, 0xc4
	s_addc_u32 s3, s3, 0
	;; [unrolled: 2-line block ×3, first 2 shown]
	.p2align	6
.LBB479_224:                            ; =>This Inner Loop Header: Depth=1
	s_clause 0x1
	s_load_b64 s[30:31], s[18:19], 0x4
	s_load_b32 s28, s[18:19], 0xc
	s_load_b64 s[34:35], s[2:3], 0x0
	s_add_u32 s18, s18, 12
	s_addc_u32 s19, s19, 0
	s_add_u32 s2, s2, 8
	s_addc_u32 s3, s3, 0
	s_add_i32 s29, s29, -1
	s_delay_alu instid0(SALU_CYCLE_1) | instskip(SKIP_2) | instid1(VALU_DEP_1)
	s_cmp_lg_u32 s29, 0
	s_waitcnt lgkmcnt(0)
	v_mul_hi_u32 v3, s31, v2
	v_add_nc_u32_e32 v3, v2, v3
	s_delay_alu instid0(VALU_DEP_1) | instskip(NEXT) | instid1(VALU_DEP_1)
	v_lshrrev_b32_e32 v6, s28, v3
	v_mul_lo_u32 v3, v6, s30
	s_delay_alu instid0(VALU_DEP_1) | instskip(NEXT) | instid1(VALU_DEP_1)
	v_sub_nc_u32_e32 v2, v2, v3
	v_mad_u64_u32 v[3:4], null, v2, s34, v[0:1]
	v_mad_u64_u32 v[4:5], null, v2, s35, v[1:2]
	v_mov_b32_e32 v2, v6
	s_delay_alu instid0(VALU_DEP_2)
	v_dual_mov_b32 v0, v3 :: v_dual_mov_b32 v1, v4
	s_cbranch_scc1 .LBB479_224
.LBB479_225:
	s_and_not1_b32 vcc_lo, exec_lo, s21
	s_cbranch_vccnz .LBB479_228
; %bb.226:
	s_waitcnt lgkmcnt(0)
	v_mul_hi_u32 v0, s13, v12
	s_and_not1_b32 vcc_lo, exec_lo, s27
	s_delay_alu instid0(VALU_DEP_1) | instskip(NEXT) | instid1(VALU_DEP_1)
	v_add_nc_u32_e32 v0, v12, v0
	v_lshrrev_b32_e32 v2, s14, v0
	s_delay_alu instid0(VALU_DEP_1) | instskip(NEXT) | instid1(VALU_DEP_1)
	v_mul_lo_u32 v0, v2, s12
	v_sub_nc_u32_e32 v1, v12, v0
	s_delay_alu instid0(VALU_DEP_1)
	v_mul_lo_u32 v0, v1, s8
	v_mul_lo_u32 v1, v1, s9
	s_cbranch_vccnz .LBB479_228
; %bb.227:
	v_mul_hi_u32 v3, s16, v2
	s_delay_alu instid0(VALU_DEP_1) | instskip(NEXT) | instid1(VALU_DEP_1)
	v_add_nc_u32_e32 v3, v2, v3
	v_lshrrev_b32_e32 v3, s17, v3
	s_delay_alu instid0(VALU_DEP_1) | instskip(NEXT) | instid1(VALU_DEP_1)
	v_mul_lo_u32 v3, v3, s15
	v_sub_nc_u32_e32 v5, v2, v3
	s_delay_alu instid0(VALU_DEP_1) | instskip(NEXT) | instid1(VALU_DEP_1)
	v_mad_u64_u32 v[2:3], null, v5, s10, v[0:1]
	v_mad_u64_u32 v[3:4], null, v5, s11, v[1:2]
	s_delay_alu instid0(VALU_DEP_1)
	v_dual_mov_b32 v0, v2 :: v_dual_mov_b32 v1, v3
.LBB479_228:
	s_waitcnt lgkmcnt(0)
	global_load_u16 v1, v1, s[6:7]
	s_waitcnt vmcnt(0)
	v_cmp_u_f16_e32 vcc_lo, v1, v1
	v_cmp_gt_f16_e64 s2, s26, v1
	s_delay_alu instid0(VALU_DEP_1)
	s_or_b32 vcc_lo, vcc_lo, s2
	v_cndmask_b32_e32 v1, s26, v1, vcc_lo
	global_store_b16 v0, v1, s[4:5]
	s_or_b32 exec_lo, exec_lo, s20
                                        ; implicit-def: $vgpr16
                                        ; implicit-def: $vgpr12
	s_and_not1_saveexec_b32 s2, s25
	s_cbranch_execz .LBB479_206
	s_branch .LBB479_8
	.section	.rodata,"a",@progbits
	.p2align	6, 0x0
	.amdhsa_kernel _ZN2at6native32elementwise_kernel_manual_unrollILi128ELi8EZNS0_22gpu_kernel_impl_nocastIZZZNS0_21clamp_max_kernel_cudaERNS_18TensorIteratorBaseERKN3c106ScalarEENKUlvE_clEvENKUlvE6_clEvEUlNS5_4HalfEE_EEvS4_RKT_EUlibE_EEviT1_
		.amdhsa_group_segment_fixed_size 0
		.amdhsa_private_segment_fixed_size 0
		.amdhsa_kernarg_size 360
		.amdhsa_user_sgpr_count 15
		.amdhsa_user_sgpr_dispatch_ptr 0
		.amdhsa_user_sgpr_queue_ptr 0
		.amdhsa_user_sgpr_kernarg_segment_ptr 1
		.amdhsa_user_sgpr_dispatch_id 0
		.amdhsa_user_sgpr_private_segment_size 0
		.amdhsa_wavefront_size32 1
		.amdhsa_uses_dynamic_stack 0
		.amdhsa_enable_private_segment 0
		.amdhsa_system_sgpr_workgroup_id_x 1
		.amdhsa_system_sgpr_workgroup_id_y 0
		.amdhsa_system_sgpr_workgroup_id_z 0
		.amdhsa_system_sgpr_workgroup_info 0
		.amdhsa_system_vgpr_workitem_id 0
		.amdhsa_next_free_vgpr 26
		.amdhsa_next_free_sgpr 60
		.amdhsa_reserve_vcc 1
		.amdhsa_float_round_mode_32 0
		.amdhsa_float_round_mode_16_64 0
		.amdhsa_float_denorm_mode_32 3
		.amdhsa_float_denorm_mode_16_64 3
		.amdhsa_dx10_clamp 1
		.amdhsa_ieee_mode 1
		.amdhsa_fp16_overflow 0
		.amdhsa_workgroup_processor_mode 1
		.amdhsa_memory_ordered 1
		.amdhsa_forward_progress 0
		.amdhsa_shared_vgpr_count 0
		.amdhsa_exception_fp_ieee_invalid_op 0
		.amdhsa_exception_fp_denorm_src 0
		.amdhsa_exception_fp_ieee_div_zero 0
		.amdhsa_exception_fp_ieee_overflow 0
		.amdhsa_exception_fp_ieee_underflow 0
		.amdhsa_exception_fp_ieee_inexact 0
		.amdhsa_exception_int_div_zero 0
	.end_amdhsa_kernel
	.section	.text._ZN2at6native32elementwise_kernel_manual_unrollILi128ELi8EZNS0_22gpu_kernel_impl_nocastIZZZNS0_21clamp_max_kernel_cudaERNS_18TensorIteratorBaseERKN3c106ScalarEENKUlvE_clEvENKUlvE6_clEvEUlNS5_4HalfEE_EEvS4_RKT_EUlibE_EEviT1_,"axG",@progbits,_ZN2at6native32elementwise_kernel_manual_unrollILi128ELi8EZNS0_22gpu_kernel_impl_nocastIZZZNS0_21clamp_max_kernel_cudaERNS_18TensorIteratorBaseERKN3c106ScalarEENKUlvE_clEvENKUlvE6_clEvEUlNS5_4HalfEE_EEvS4_RKT_EUlibE_EEviT1_,comdat
.Lfunc_end479:
	.size	_ZN2at6native32elementwise_kernel_manual_unrollILi128ELi8EZNS0_22gpu_kernel_impl_nocastIZZZNS0_21clamp_max_kernel_cudaERNS_18TensorIteratorBaseERKN3c106ScalarEENKUlvE_clEvENKUlvE6_clEvEUlNS5_4HalfEE_EEvS4_RKT_EUlibE_EEviT1_, .Lfunc_end479-_ZN2at6native32elementwise_kernel_manual_unrollILi128ELi8EZNS0_22gpu_kernel_impl_nocastIZZZNS0_21clamp_max_kernel_cudaERNS_18TensorIteratorBaseERKN3c106ScalarEENKUlvE_clEvENKUlvE6_clEvEUlNS5_4HalfEE_EEvS4_RKT_EUlibE_EEviT1_
                                        ; -- End function
	.section	.AMDGPU.csdata,"",@progbits
; Kernel info:
; codeLenInByte = 13764
; NumSgprs: 62
; NumVgprs: 26
; ScratchSize: 0
; MemoryBound: 0
; FloatMode: 240
; IeeeMode: 1
; LDSByteSize: 0 bytes/workgroup (compile time only)
; SGPRBlocks: 7
; VGPRBlocks: 3
; NumSGPRsForWavesPerEU: 62
; NumVGPRsForWavesPerEU: 26
; Occupancy: 16
; WaveLimiterHint : 1
; COMPUTE_PGM_RSRC2:SCRATCH_EN: 0
; COMPUTE_PGM_RSRC2:USER_SGPR: 15
; COMPUTE_PGM_RSRC2:TRAP_HANDLER: 0
; COMPUTE_PGM_RSRC2:TGID_X_EN: 1
; COMPUTE_PGM_RSRC2:TGID_Y_EN: 0
; COMPUTE_PGM_RSRC2:TGID_Z_EN: 0
; COMPUTE_PGM_RSRC2:TIDIG_COMP_CNT: 0
	.section	.text._ZN2at6native32elementwise_kernel_manual_unrollILi128ELi4EZNS0_15gpu_kernel_implIZZZNS0_21clamp_max_kernel_cudaERNS_18TensorIteratorBaseERKN3c106ScalarEENKUlvE_clEvENKUlvE6_clEvEUlNS5_4HalfEE_EEvS4_RKT_EUlibE_EEviT1_,"axG",@progbits,_ZN2at6native32elementwise_kernel_manual_unrollILi128ELi4EZNS0_15gpu_kernel_implIZZZNS0_21clamp_max_kernel_cudaERNS_18TensorIteratorBaseERKN3c106ScalarEENKUlvE_clEvENKUlvE6_clEvEUlNS5_4HalfEE_EEvS4_RKT_EUlibE_EEviT1_,comdat
	.globl	_ZN2at6native32elementwise_kernel_manual_unrollILi128ELi4EZNS0_15gpu_kernel_implIZZZNS0_21clamp_max_kernel_cudaERNS_18TensorIteratorBaseERKN3c106ScalarEENKUlvE_clEvENKUlvE6_clEvEUlNS5_4HalfEE_EEvS4_RKT_EUlibE_EEviT1_ ; -- Begin function _ZN2at6native32elementwise_kernel_manual_unrollILi128ELi4EZNS0_15gpu_kernel_implIZZZNS0_21clamp_max_kernel_cudaERNS_18TensorIteratorBaseERKN3c106ScalarEENKUlvE_clEvENKUlvE6_clEvEUlNS5_4HalfEE_EEvS4_RKT_EUlibE_EEviT1_
	.p2align	8
	.type	_ZN2at6native32elementwise_kernel_manual_unrollILi128ELi4EZNS0_15gpu_kernel_implIZZZNS0_21clamp_max_kernel_cudaERNS_18TensorIteratorBaseERKN3c106ScalarEENKUlvE_clEvENKUlvE6_clEvEUlNS5_4HalfEE_EEvS4_RKT_EUlibE_EEviT1_,@function
_ZN2at6native32elementwise_kernel_manual_unrollILi128ELi4EZNS0_15gpu_kernel_implIZZZNS0_21clamp_max_kernel_cudaERNS_18TensorIteratorBaseERKN3c106ScalarEENKUlvE_clEvENKUlvE6_clEvEUlNS5_4HalfEE_EEvS4_RKT_EUlibE_EEviT1_: ; @_ZN2at6native32elementwise_kernel_manual_unrollILi128ELi4EZNS0_15gpu_kernel_implIZZZNS0_21clamp_max_kernel_cudaERNS_18TensorIteratorBaseERKN3c106ScalarEENKUlvE_clEvENKUlvE6_clEvEUlNS5_4HalfEE_EEvS4_RKT_EUlibE_EEviT1_
; %bb.0:
	s_clause 0x3
	s_load_b32 s8, s[0:1], 0x20
	s_load_b32 s13, s[0:1], 0x0
	s_load_b64 s[2:3], s[0:1], 0x18
	s_load_b128 s[4:7], s[0:1], 0x8
	v_lshl_or_b32 v2, s15, 9, v0
	s_mov_b32 s10, 0
	s_mov_b32 s12, 0
	s_mov_b32 s0, exec_lo
	s_delay_alu instid0(VALU_DEP_1) | instskip(SKIP_3) | instid1(VALU_DEP_1)
	v_or_b32_e32 v0, 0x180, v2
	s_waitcnt lgkmcnt(0)
	s_lshr_b32 s1, s8, 16
	s_lshr_b32 s9, s8, 24
	v_cmpx_le_i32_e64 s13, v0
	s_xor_b32 s11, exec_lo, s0
	s_cbranch_execz .LBB480_1033
; %bb.1:
	s_mov_b32 s18, -1
	s_mov_b32 s16, 0
	s_mov_b32 s14, 0
	s_mov_b32 s15, exec_lo
	v_cmpx_gt_i32_e64 s13, v2
	s_cbranch_execz .LBB480_252
; %bb.2:
	v_mul_lo_u32 v0, v2, s3
	v_cmp_lt_i16_e64 s0, s9, 11
	s_delay_alu instid0(VALU_DEP_2) | instskip(SKIP_1) | instid1(VALU_DEP_2)
	v_ashrrev_i32_e32 v1, 31, v0
	v_add_co_u32 v0, vcc_lo, s6, v0
	v_add_co_ci_u32_e32 v1, vcc_lo, s7, v1, vcc_lo
	s_delay_alu instid0(VALU_DEP_4)
	s_and_b32 vcc_lo, exec_lo, s0
	s_cbranch_vccnz .LBB480_9
; %bb.3:
	v_cmp_gt_i16_e64 s0, s9, 25
	s_delay_alu instid0(VALU_DEP_1)
	s_and_b32 vcc_lo, exec_lo, s0
	s_cbranch_vccz .LBB480_18
; %bb.4:
	v_cmp_gt_i16_e64 s0, s9, 28
	s_delay_alu instid0(VALU_DEP_1)
	s_and_b32 vcc_lo, exec_lo, s0
	s_cbranch_vccz .LBB480_21
	;; [unrolled: 5-line block ×4, first 2 shown]
; %bb.7:
	v_cmp_eq_u16_e64 s0, s9, 46
	s_delay_alu instid0(VALU_DEP_1)
	s_and_b32 vcc_lo, exec_lo, s0
	s_cbranch_vccz .LBB480_27
; %bb.8:
	global_load_b32 v3, v[0:1], off
	s_mov_b32 s0, -1
	s_waitcnt vmcnt(0)
	v_lshlrev_b32_e32 v3, 16, v3
	s_delay_alu instid0(VALU_DEP_1)
	v_cvt_f16_f32_e32 v3, v3
	s_branch .LBB480_29
.LBB480_9:
	s_mov_b32 s0, 0
                                        ; implicit-def: $vgpr3
	s_cbranch_execnz .LBB480_202
.LBB480_10:
	s_and_not1_b32 vcc_lo, exec_lo, s0
	s_cbranch_vccnz .LBB480_249
.LBB480_11:
	v_mul_lo_u32 v0, v2, s2
	s_waitcnt vmcnt(0)
	s_delay_alu instid0(VALU_DEP_2) | instskip(SKIP_2) | instid1(VALU_DEP_2)
	v_cmp_u_f16_e32 vcc_lo, v3, v3
	v_cmp_gt_f16_e64 s0, s8, v3
	v_and_b32_e64 v4, 0xff, s1
	s_or_b32 vcc_lo, vcc_lo, s0
	s_delay_alu instid0(VALU_DEP_4) | instskip(SKIP_1) | instid1(VALU_DEP_3)
	v_ashrrev_i32_e32 v1, 31, v0
	v_cndmask_b32_e32 v3, s8, v3, vcc_lo
	v_cmp_gt_i16_e32 vcc_lo, 11, v4
	v_add_co_u32 v0, s0, s4, v0
	s_delay_alu instid0(VALU_DEP_1)
	v_add_co_ci_u32_e64 v1, s0, s5, v1, s0
	s_cbranch_vccnz .LBB480_19
; %bb.12:
	v_cmp_lt_i16_e32 vcc_lo, 25, v4
	s_cbranch_vccz .LBB480_22
; %bb.13:
	v_cmp_lt_i16_e32 vcc_lo, 28, v4
	s_cbranch_vccz .LBB480_24
	;; [unrolled: 3-line block ×4, first 2 shown]
; %bb.16:
	v_cmp_eq_u16_e32 vcc_lo, 46, v4
	s_mov_b32 s17, 0
	s_mov_b32 s0, -1
	s_mov_b32 s12, 0
	s_cbranch_vccz .LBB480_33
; %bb.17:
	v_cvt_f32_f16_e32 v5, v3
	v_cmp_o_f16_e32 vcc_lo, v3, v3
	s_mov_b32 s12, -1
	s_mov_b32 s0, 0
	s_delay_alu instid0(VALU_DEP_2) | instskip(NEXT) | instid1(VALU_DEP_1)
	v_bfe_u32 v6, v5, 16, 1
	v_add3_u32 v5, v5, v6, 0x7fff
	s_delay_alu instid0(VALU_DEP_1) | instskip(NEXT) | instid1(VALU_DEP_1)
	v_lshrrev_b32_e32 v5, 16, v5
	v_cndmask_b32_e32 v5, 0x7fc0, v5, vcc_lo
	global_store_b32 v[0:1], v5, off
	s_branch .LBB480_33
.LBB480_18:
	s_mov_b32 s0, 0
                                        ; implicit-def: $vgpr3
	s_cbranch_execnz .LBB480_167
	s_branch .LBB480_201
.LBB480_19:
	s_mov_b32 s0, 0
	s_mov_b32 s12, 0
	s_cbranch_execnz .LBB480_102
.LBB480_20:
	s_and_not1_b32 vcc_lo, exec_lo, s12
	s_cbranch_vccnz .LBB480_250
	s_branch .LBB480_140
.LBB480_21:
	s_mov_b32 s12, -1
	s_mov_b32 s0, 0
                                        ; implicit-def: $vgpr3
	s_branch .LBB480_148
.LBB480_22:
	s_mov_b32 s17, -1
	s_mov_b32 s0, 0
	s_mov_b32 s12, 0
	s_branch .LBB480_60
.LBB480_23:
	s_mov_b32 s12, -1
	s_mov_b32 s0, 0
                                        ; implicit-def: $vgpr3
	s_branch .LBB480_143
.LBB480_24:
	s_mov_b32 s17, -1
	s_mov_b32 s0, 0
	s_mov_b32 s12, 0
	s_branch .LBB480_43
.LBB480_25:
	s_mov_b32 s12, -1
	s_branch .LBB480_28
.LBB480_26:
	s_mov_b32 s17, -1
	s_mov_b32 s0, 0
	s_mov_b32 s12, 0
	s_branch .LBB480_39
.LBB480_27:
	s_mov_b32 s14, -1
.LBB480_28:
	s_mov_b32 s0, 0
                                        ; implicit-def: $vgpr3
.LBB480_29:
	s_and_b32 vcc_lo, exec_lo, s12
	s_cbranch_vccz .LBB480_142
; %bb.30:
	v_cmp_eq_u16_e64 s12, s9, 44
	s_delay_alu instid0(VALU_DEP_1)
	s_and_b32 vcc_lo, exec_lo, s12
	s_cbranch_vccz .LBB480_141
; %bb.31:
	global_load_u8 v3, v[0:1], off
	s_mov_b32 s14, 0
	s_mov_b32 s0, -1
	s_waitcnt vmcnt(0)
	v_lshlrev_b32_e32 v4, 23, v3
	v_cmp_ne_u32_e32 vcc_lo, 0xff, v3
	s_delay_alu instid0(VALU_DEP_2) | instskip(NEXT) | instid1(VALU_DEP_1)
	v_cvt_f16_f32_e32 v4, v4
	v_cndmask_b32_e32 v4, 0x7e00, v4, vcc_lo
	v_cmp_ne_u32_e32 vcc_lo, 0, v3
	s_delay_alu instid0(VALU_DEP_2)
	v_cndmask_b32_e32 v3, 0, v4, vcc_lo
	s_branch .LBB480_142
.LBB480_32:
	s_mov_b32 s17, -1
	s_mov_b32 s0, 0
	s_mov_b32 s12, 0
.LBB480_33:
	s_and_b32 vcc_lo, exec_lo, s17
	s_cbranch_vccz .LBB480_38
; %bb.34:
	v_cmp_eq_u16_e32 vcc_lo, 44, v4
	s_mov_b32 s0, -1
	s_cbranch_vccz .LBB480_38
; %bb.35:
	v_cvt_f32_f16_e32 v5, v3
	v_mov_b32_e32 v6, 0xff
	s_mov_b32 s12, exec_lo
	s_delay_alu instid0(VALU_DEP_2) | instskip(NEXT) | instid1(VALU_DEP_1)
	v_bfe_u32 v7, v5, 23, 8
	v_cmpx_ne_u32_e32 0xff, v7
; %bb.36:
	v_and_b32_e32 v6, 0x400000, v5
	v_and_or_b32 v7, 0x3fffff, v5, v7
	v_lshrrev_b32_e32 v5, 23, v5
	s_delay_alu instid0(VALU_DEP_3) | instskip(NEXT) | instid1(VALU_DEP_3)
	v_cmp_ne_u32_e32 vcc_lo, 0, v6
	v_cmp_ne_u32_e64 s0, 0, v7
	s_delay_alu instid0(VALU_DEP_1) | instskip(NEXT) | instid1(SALU_CYCLE_1)
	s_and_b32 s0, vcc_lo, s0
	v_cndmask_b32_e64 v6, 0, 1, s0
	s_delay_alu instid0(VALU_DEP_1)
	v_add_nc_u32_e32 v6, v5, v6
; %bb.37:
	s_or_b32 exec_lo, exec_lo, s12
	s_mov_b32 s12, -1
	s_mov_b32 s0, 0
	global_store_b8 v[0:1], v6, off
.LBB480_38:
	s_mov_b32 s17, 0
.LBB480_39:
	s_delay_alu instid0(SALU_CYCLE_1)
	s_and_b32 vcc_lo, exec_lo, s17
	s_cbranch_vccz .LBB480_42
; %bb.40:
	v_cmp_eq_u16_e32 vcc_lo, 29, v4
	s_mov_b32 s0, -1
	s_cbranch_vccz .LBB480_42
; %bb.41:
	v_cvt_f32_f16_e32 v5, v3
	v_mov_b32_e32 v6, 0
	s_mov_b32 s0, 0
	s_mov_b32 s12, -1
	s_mov_b32 s17, 0
	v_cvt_u32_f32_e32 v5, v5
	global_store_b64 v[0:1], v[5:6], off
	s_branch .LBB480_43
.LBB480_42:
	s_mov_b32 s17, 0
.LBB480_43:
	s_delay_alu instid0(SALU_CYCLE_1)
	s_and_b32 vcc_lo, exec_lo, s17
	s_cbranch_vccz .LBB480_59
; %bb.44:
	v_cmp_gt_i16_e32 vcc_lo, 27, v4
	s_mov_b32 s12, -1
	s_cbranch_vccnz .LBB480_50
; %bb.45:
	v_cmp_lt_i16_e32 vcc_lo, 27, v4
	s_cbranch_vccz .LBB480_47
; %bb.46:
	v_cvt_f32_f16_e32 v5, v3
	s_mov_b32 s12, 0
	s_delay_alu instid0(VALU_DEP_1)
	v_cvt_u32_f32_e32 v5, v5
	global_store_b32 v[0:1], v5, off
.LBB480_47:
	s_and_not1_b32 vcc_lo, exec_lo, s12
	s_cbranch_vccnz .LBB480_49
; %bb.48:
	v_cvt_u16_f16_e32 v5, v3
	global_store_b16 v[0:1], v5, off
.LBB480_49:
	s_mov_b32 s12, 0
.LBB480_50:
	s_delay_alu instid0(SALU_CYCLE_1)
	s_and_not1_b32 vcc_lo, exec_lo, s12
	s_cbranch_vccnz .LBB480_58
; %bb.51:
	v_cvt_f32_f16_e32 v5, v3
	v_mov_b32_e32 v7, 0x80
	s_mov_b32 s12, exec_lo
	s_delay_alu instid0(VALU_DEP_2) | instskip(NEXT) | instid1(VALU_DEP_1)
	v_and_b32_e32 v6, 0x7fffffff, v5
	v_cmpx_gt_u32_e32 0x43800000, v6
	s_cbranch_execz .LBB480_57
; %bb.52:
	v_cmp_lt_u32_e32 vcc_lo, 0x3bffffff, v6
	s_mov_b32 s17, 0
                                        ; implicit-def: $vgpr6
	s_and_saveexec_b32 s18, vcc_lo
	s_delay_alu instid0(SALU_CYCLE_1)
	s_xor_b32 s18, exec_lo, s18
	s_cbranch_execz .LBB480_276
; %bb.53:
	v_bfe_u32 v6, v5, 20, 1
	s_mov_b32 s17, exec_lo
	s_delay_alu instid0(VALU_DEP_1) | instskip(NEXT) | instid1(VALU_DEP_1)
	v_add3_u32 v6, v5, v6, 0x487ffff
	v_lshrrev_b32_e32 v6, 20, v6
	s_or_saveexec_b32 s18, s18
                                        ; implicit-def: $sgpr19
	s_delay_alu instid0(SALU_CYCLE_1)
	s_xor_b32 exec_lo, exec_lo, s18
	s_cbranch_execnz .LBB480_277
.LBB480_54:
	s_or_b32 exec_lo, exec_lo, s18
	v_mov_b32_e32 v7, s19
	s_and_saveexec_b32 s18, s17
.LBB480_55:
	v_lshrrev_b32_e32 v5, 24, v5
	s_delay_alu instid0(VALU_DEP_1)
	v_and_or_b32 v7, 0x80, v5, v6
.LBB480_56:
	s_or_b32 exec_lo, exec_lo, s18
.LBB480_57:
	s_delay_alu instid0(SALU_CYCLE_1)
	s_or_b32 exec_lo, exec_lo, s12
	global_store_b8 v[0:1], v7, off
.LBB480_58:
	s_mov_b32 s12, -1
.LBB480_59:
	s_mov_b32 s17, 0
.LBB480_60:
	s_delay_alu instid0(SALU_CYCLE_1)
	s_and_b32 vcc_lo, exec_lo, s17
	s_cbranch_vccz .LBB480_101
; %bb.61:
	v_cmp_lt_i16_e32 vcc_lo, 22, v4
	s_mov_b32 s17, -1
	s_cbranch_vccz .LBB480_93
; %bb.62:
	v_cmp_gt_i16_e32 vcc_lo, 24, v4
	s_mov_b32 s12, -1
	s_cbranch_vccnz .LBB480_82
; %bb.63:
	v_cmp_lt_i16_e32 vcc_lo, 24, v4
	s_cbranch_vccz .LBB480_71
; %bb.64:
	v_cvt_f32_f16_e32 v5, v3
	v_mov_b32_e32 v7, 0x80
	s_mov_b32 s12, exec_lo
	s_delay_alu instid0(VALU_DEP_2) | instskip(NEXT) | instid1(VALU_DEP_1)
	v_and_b32_e32 v6, 0x7fffffff, v5
	v_cmpx_gt_u32_e32 0x47800000, v6
	s_cbranch_execz .LBB480_70
; %bb.65:
	v_cmp_lt_u32_e32 vcc_lo, 0x37ffffff, v6
	s_mov_b32 s17, 0
                                        ; implicit-def: $vgpr6
	s_and_saveexec_b32 s18, vcc_lo
	s_delay_alu instid0(SALU_CYCLE_1)
	s_xor_b32 s18, exec_lo, s18
	s_cbranch_execz .LBB480_280
; %bb.66:
	v_bfe_u32 v6, v5, 21, 1
	s_mov_b32 s17, exec_lo
	s_delay_alu instid0(VALU_DEP_1) | instskip(NEXT) | instid1(VALU_DEP_1)
	v_add3_u32 v6, v5, v6, 0x88fffff
	v_lshrrev_b32_e32 v6, 21, v6
	s_or_saveexec_b32 s18, s18
                                        ; implicit-def: $sgpr19
	s_delay_alu instid0(SALU_CYCLE_1)
	s_xor_b32 exec_lo, exec_lo, s18
	s_cbranch_execnz .LBB480_281
.LBB480_67:
	s_or_b32 exec_lo, exec_lo, s18
	v_mov_b32_e32 v7, s19
	s_and_saveexec_b32 s18, s17
.LBB480_68:
	v_lshrrev_b32_e32 v5, 24, v5
	s_delay_alu instid0(VALU_DEP_1)
	v_and_or_b32 v7, 0x80, v5, v6
.LBB480_69:
	s_or_b32 exec_lo, exec_lo, s18
.LBB480_70:
	s_delay_alu instid0(SALU_CYCLE_1)
	s_or_b32 exec_lo, exec_lo, s12
	s_mov_b32 s12, 0
	global_store_b8 v[0:1], v7, off
.LBB480_71:
	s_and_b32 vcc_lo, exec_lo, s12
	s_cbranch_vccz .LBB480_81
; %bb.72:
	v_cvt_f32_f16_e32 v5, v3
	s_mov_b32 s12, exec_lo
                                        ; implicit-def: $vgpr6
	s_delay_alu instid0(VALU_DEP_1) | instskip(NEXT) | instid1(VALU_DEP_1)
	v_and_b32_e32 v7, 0x7fffffff, v5
	v_cmpx_gt_u32_e32 0x43f00000, v7
	s_xor_b32 s12, exec_lo, s12
	s_cbranch_execz .LBB480_78
; %bb.73:
	s_mov_b32 s17, exec_lo
                                        ; implicit-def: $vgpr6
	v_cmpx_lt_u32_e32 0x3c7fffff, v7
	s_xor_b32 s17, exec_lo, s17
; %bb.74:
	v_bfe_u32 v6, v5, 20, 1
	s_delay_alu instid0(VALU_DEP_1) | instskip(NEXT) | instid1(VALU_DEP_1)
	v_add3_u32 v6, v5, v6, 0x407ffff
	v_and_b32_e32 v7, 0xff00000, v6
	v_lshrrev_b32_e32 v6, 20, v6
	s_delay_alu instid0(VALU_DEP_2) | instskip(NEXT) | instid1(VALU_DEP_2)
	v_cmp_ne_u32_e32 vcc_lo, 0x7f00000, v7
	v_cndmask_b32_e32 v6, 0x7e, v6, vcc_lo
; %bb.75:
	s_and_not1_saveexec_b32 s17, s17
; %bb.76:
	v_add_f32_e64 v6, 0x46800000, |v5|
; %bb.77:
	s_or_b32 exec_lo, exec_lo, s17
                                        ; implicit-def: $vgpr7
.LBB480_78:
	s_and_not1_saveexec_b32 s12, s12
; %bb.79:
	v_mov_b32_e32 v6, 0x7f
	v_cmp_lt_u32_e32 vcc_lo, 0x7f800000, v7
	s_delay_alu instid0(VALU_DEP_2)
	v_cndmask_b32_e32 v6, 0x7e, v6, vcc_lo
; %bb.80:
	s_or_b32 exec_lo, exec_lo, s12
	v_lshrrev_b32_e32 v5, 24, v5
	s_delay_alu instid0(VALU_DEP_1)
	v_and_or_b32 v5, 0x80, v5, v6
	global_store_b8 v[0:1], v5, off
.LBB480_81:
	s_mov_b32 s12, 0
.LBB480_82:
	s_delay_alu instid0(SALU_CYCLE_1)
	s_and_not1_b32 vcc_lo, exec_lo, s12
	s_cbranch_vccnz .LBB480_92
; %bb.83:
	v_cvt_f32_f16_e32 v5, v3
	s_mov_b32 s12, exec_lo
                                        ; implicit-def: $vgpr6
	s_delay_alu instid0(VALU_DEP_1) | instskip(NEXT) | instid1(VALU_DEP_1)
	v_and_b32_e32 v7, 0x7fffffff, v5
	v_cmpx_gt_u32_e32 0x47800000, v7
	s_xor_b32 s12, exec_lo, s12
	s_cbranch_execz .LBB480_89
; %bb.84:
	s_mov_b32 s17, exec_lo
                                        ; implicit-def: $vgpr6
	v_cmpx_lt_u32_e32 0x387fffff, v7
	s_xor_b32 s17, exec_lo, s17
; %bb.85:
	v_bfe_u32 v6, v5, 21, 1
	s_delay_alu instid0(VALU_DEP_1) | instskip(NEXT) | instid1(VALU_DEP_1)
	v_add3_u32 v6, v5, v6, 0x80fffff
	v_lshrrev_b32_e32 v6, 21, v6
; %bb.86:
	s_and_not1_saveexec_b32 s17, s17
; %bb.87:
	v_add_f32_e64 v6, 0x43000000, |v5|
; %bb.88:
	s_or_b32 exec_lo, exec_lo, s17
                                        ; implicit-def: $vgpr7
.LBB480_89:
	s_and_not1_saveexec_b32 s12, s12
; %bb.90:
	v_mov_b32_e32 v6, 0x7f
	v_cmp_lt_u32_e32 vcc_lo, 0x7f800000, v7
	s_delay_alu instid0(VALU_DEP_2)
	v_cndmask_b32_e32 v6, 0x7c, v6, vcc_lo
; %bb.91:
	s_or_b32 exec_lo, exec_lo, s12
	v_lshrrev_b32_e32 v5, 24, v5
	s_delay_alu instid0(VALU_DEP_1)
	v_and_or_b32 v5, 0x80, v5, v6
	global_store_b8 v[0:1], v5, off
.LBB480_92:
	s_mov_b32 s17, 0
	s_mov_b32 s12, -1
.LBB480_93:
	s_and_not1_b32 vcc_lo, exec_lo, s17
	s_cbranch_vccnz .LBB480_101
; %bb.94:
	v_cmp_lt_i16_e32 vcc_lo, 14, v4
	s_mov_b32 s17, -1
	s_cbranch_vccz .LBB480_98
; %bb.95:
	v_cmp_eq_u16_e32 vcc_lo, 15, v4
	s_mov_b32 s0, -1
	s_cbranch_vccz .LBB480_97
; %bb.96:
	v_cvt_f32_f16_e32 v5, v3
	v_cmp_o_f16_e32 vcc_lo, v3, v3
	s_mov_b32 s12, -1
	s_mov_b32 s0, 0
	s_delay_alu instid0(VALU_DEP_2) | instskip(NEXT) | instid1(VALU_DEP_1)
	v_bfe_u32 v6, v5, 16, 1
	v_add3_u32 v5, v5, v6, 0x7fff
	s_delay_alu instid0(VALU_DEP_1) | instskip(NEXT) | instid1(VALU_DEP_1)
	v_lshrrev_b32_e32 v5, 16, v5
	v_cndmask_b32_e32 v5, 0x7fc0, v5, vcc_lo
	global_store_b16 v[0:1], v5, off
.LBB480_97:
	s_mov_b32 s17, 0
.LBB480_98:
	s_delay_alu instid0(SALU_CYCLE_1)
	s_and_b32 vcc_lo, exec_lo, s17
	s_cbranch_vccz .LBB480_101
; %bb.99:
	v_cmp_eq_u16_e32 vcc_lo, 11, v4
	s_mov_b32 s0, -1
	s_cbranch_vccz .LBB480_101
; %bb.100:
	v_and_b32_e32 v5, 0x7fff, v3
	s_mov_b32 s0, 0
	s_mov_b32 s12, -1
	s_delay_alu instid0(VALU_DEP_1)
	v_cmp_ne_u16_e32 vcc_lo, 0, v5
	v_cndmask_b32_e64 v5, 0, 1, vcc_lo
	global_store_b8 v[0:1], v5, off
.LBB480_101:
	s_branch .LBB480_20
.LBB480_102:
	v_cmp_gt_i16_e32 vcc_lo, 5, v4
	s_mov_b32 s12, -1
	s_cbranch_vccnz .LBB480_123
; %bb.103:
	v_cmp_gt_i16_e32 vcc_lo, 8, v4
	s_cbranch_vccnz .LBB480_113
; %bb.104:
	v_cmp_gt_i16_e32 vcc_lo, 9, v4
	s_cbranch_vccnz .LBB480_110
; %bb.105:
	v_cmp_lt_i16_e32 vcc_lo, 9, v4
	s_cbranch_vccz .LBB480_107
; %bb.106:
	v_cvt_f32_f16_e32 v5, v3
	v_mov_b32_e32 v7, 0
	s_mov_b32 s12, 0
	s_delay_alu instid0(VALU_DEP_2) | instskip(NEXT) | instid1(VALU_DEP_2)
	v_cvt_f64_f32_e32 v[5:6], v5
	v_mov_b32_e32 v8, v7
	global_store_b128 v[0:1], v[5:8], off
.LBB480_107:
	s_and_not1_b32 vcc_lo, exec_lo, s12
	s_cbranch_vccnz .LBB480_109
; %bb.108:
	v_cvt_f32_f16_e32 v5, v3
	v_mov_b32_e32 v6, 0
	global_store_b64 v[0:1], v[5:6], off
.LBB480_109:
	s_mov_b32 s12, 0
.LBB480_110:
	s_delay_alu instid0(SALU_CYCLE_1)
	s_and_not1_b32 vcc_lo, exec_lo, s12
	s_cbranch_vccnz .LBB480_112
; %bb.111:
	v_and_b32_e32 v5, 0xffff, v3
	global_store_b32 v[0:1], v5, off
.LBB480_112:
	s_mov_b32 s12, 0
.LBB480_113:
	s_delay_alu instid0(SALU_CYCLE_1)
	s_and_not1_b32 vcc_lo, exec_lo, s12
	s_cbranch_vccnz .LBB480_122
; %bb.114:
	v_cmp_gt_i16_e32 vcc_lo, 6, v4
	s_mov_b32 s12, -1
	s_cbranch_vccnz .LBB480_120
; %bb.115:
	v_cmp_lt_i16_e32 vcc_lo, 6, v4
	s_cbranch_vccz .LBB480_117
; %bb.116:
	v_cvt_f32_f16_e32 v5, v3
	s_mov_b32 s12, 0
	s_delay_alu instid0(VALU_DEP_1)
	v_cvt_f64_f32_e32 v[5:6], v5
	global_store_b64 v[0:1], v[5:6], off
.LBB480_117:
	s_and_not1_b32 vcc_lo, exec_lo, s12
	s_cbranch_vccnz .LBB480_119
; %bb.118:
	v_cvt_f32_f16_e32 v5, v3
	global_store_b32 v[0:1], v5, off
.LBB480_119:
	s_mov_b32 s12, 0
.LBB480_120:
	s_delay_alu instid0(SALU_CYCLE_1)
	s_and_not1_b32 vcc_lo, exec_lo, s12
	s_cbranch_vccnz .LBB480_122
; %bb.121:
	global_store_b16 v[0:1], v3, off
.LBB480_122:
	s_mov_b32 s12, 0
.LBB480_123:
	s_delay_alu instid0(SALU_CYCLE_1)
	s_and_not1_b32 vcc_lo, exec_lo, s12
	s_cbranch_vccnz .LBB480_139
; %bb.124:
	v_cmp_gt_i16_e32 vcc_lo, 2, v4
	s_mov_b32 s12, -1
	s_cbranch_vccnz .LBB480_134
; %bb.125:
	v_cmp_gt_i16_e32 vcc_lo, 3, v4
	s_cbranch_vccnz .LBB480_131
; %bb.126:
	v_cmp_lt_i16_e32 vcc_lo, 3, v4
	s_cbranch_vccz .LBB480_128
; %bb.127:
	v_cvt_f32_f16_e32 v5, v3
	s_mov_b32 s12, 0
	s_delay_alu instid0(VALU_DEP_1) | instskip(NEXT) | instid1(VALU_DEP_1)
	v_cvt_i32_f32_e32 v5, v5
	v_ashrrev_i32_e32 v6, 31, v5
	global_store_b64 v[0:1], v[5:6], off
.LBB480_128:
	s_and_not1_b32 vcc_lo, exec_lo, s12
	s_cbranch_vccnz .LBB480_130
; %bb.129:
	v_cvt_f32_f16_e32 v5, v3
	s_delay_alu instid0(VALU_DEP_1)
	v_cvt_i32_f32_e32 v5, v5
	global_store_b32 v[0:1], v5, off
.LBB480_130:
	s_mov_b32 s12, 0
.LBB480_131:
	s_delay_alu instid0(SALU_CYCLE_1)
	s_and_not1_b32 vcc_lo, exec_lo, s12
	s_cbranch_vccnz .LBB480_133
; %bb.132:
	v_cvt_i16_f16_e32 v5, v3
	global_store_b16 v[0:1], v5, off
.LBB480_133:
	s_mov_b32 s12, 0
.LBB480_134:
	s_delay_alu instid0(SALU_CYCLE_1)
	s_and_not1_b32 vcc_lo, exec_lo, s12
	s_cbranch_vccnz .LBB480_139
; %bb.135:
	v_cmp_lt_i16_e32 vcc_lo, 0, v4
	s_mov_b32 s12, -1
	s_cbranch_vccz .LBB480_137
; %bb.136:
	v_cvt_i16_f16_e32 v4, v3
	s_mov_b32 s12, 0
	global_store_b8 v[0:1], v4, off
.LBB480_137:
	s_and_not1_b32 vcc_lo, exec_lo, s12
	s_cbranch_vccnz .LBB480_139
; %bb.138:
	v_cvt_f32_f16_e32 v3, v3
	s_delay_alu instid0(VALU_DEP_1)
	v_cvt_i32_f32_e32 v3, v3
	global_store_b8 v[0:1], v3, off
.LBB480_139:
.LBB480_140:
	v_add_nc_u32_e32 v2, 0x80, v2
	s_mov_b32 s17, -1
	s_branch .LBB480_251
.LBB480_141:
	s_mov_b32 s14, -1
                                        ; implicit-def: $vgpr3
.LBB480_142:
	s_mov_b32 s12, 0
.LBB480_143:
	s_delay_alu instid0(SALU_CYCLE_1)
	s_and_b32 vcc_lo, exec_lo, s12
	s_cbranch_vccz .LBB480_147
; %bb.144:
	v_cmp_eq_u16_e64 s12, s9, 29
	s_delay_alu instid0(VALU_DEP_1)
	s_and_b32 vcc_lo, exec_lo, s12
	s_cbranch_vccz .LBB480_146
; %bb.145:
	global_load_b64 v[3:4], v[0:1], off
	s_mov_b32 s0, -1
	s_mov_b32 s14, 0
	s_mov_b32 s12, 0
	s_waitcnt vmcnt(0)
	v_clz_i32_u32_e32 v5, v4
	s_delay_alu instid0(VALU_DEP_1) | instskip(NEXT) | instid1(VALU_DEP_1)
	v_min_u32_e32 v5, 32, v5
	v_lshlrev_b64 v[3:4], v5, v[3:4]
	s_delay_alu instid0(VALU_DEP_1) | instskip(NEXT) | instid1(VALU_DEP_1)
	v_min_u32_e32 v3, 1, v3
	v_or_b32_e32 v3, v4, v3
	v_sub_nc_u32_e32 v4, 32, v5
	s_delay_alu instid0(VALU_DEP_2) | instskip(NEXT) | instid1(VALU_DEP_1)
	v_cvt_f32_u32_e32 v3, v3
	v_ldexp_f32 v3, v3, v4
	s_delay_alu instid0(VALU_DEP_1)
	v_cvt_f16_f32_e32 v3, v3
	s_branch .LBB480_148
.LBB480_146:
	s_mov_b32 s14, -1
                                        ; implicit-def: $vgpr3
.LBB480_147:
	s_mov_b32 s12, 0
.LBB480_148:
	s_delay_alu instid0(SALU_CYCLE_1)
	s_and_b32 vcc_lo, exec_lo, s12
	s_cbranch_vccz .LBB480_166
; %bb.149:
	v_cmp_lt_i16_e64 s0, s9, 27
	s_delay_alu instid0(VALU_DEP_1)
	s_and_b32 vcc_lo, exec_lo, s0
	s_cbranch_vccnz .LBB480_152
; %bb.150:
	v_cmp_gt_i16_e64 s0, s9, 27
	s_delay_alu instid0(VALU_DEP_1)
	s_and_b32 vcc_lo, exec_lo, s0
	s_cbranch_vccz .LBB480_153
; %bb.151:
	global_load_b32 v3, v[0:1], off
	s_mov_b32 s0, 0
	s_waitcnt vmcnt(0)
	v_cvt_f32_u32_e32 v3, v3
	s_delay_alu instid0(VALU_DEP_1)
	v_cvt_f16_f32_e32 v3, v3
	s_branch .LBB480_154
.LBB480_152:
	s_mov_b32 s0, -1
                                        ; implicit-def: $vgpr3
	s_branch .LBB480_157
.LBB480_153:
	s_mov_b32 s0, -1
                                        ; implicit-def: $vgpr3
.LBB480_154:
	s_delay_alu instid0(SALU_CYCLE_1)
	s_and_not1_b32 vcc_lo, exec_lo, s0
	s_cbranch_vccnz .LBB480_156
; %bb.155:
	global_load_u16 v3, v[0:1], off
	s_waitcnt vmcnt(0)
	v_cvt_f16_u16_e32 v3, v3
.LBB480_156:
	s_mov_b32 s0, 0
.LBB480_157:
	s_delay_alu instid0(SALU_CYCLE_1)
	s_and_not1_b32 vcc_lo, exec_lo, s0
	s_cbranch_vccnz .LBB480_165
; %bb.158:
	global_load_u8 v4, v[0:1], off
	s_mov_b32 s0, 0
	s_mov_b32 s17, exec_lo
                                        ; implicit-def: $sgpr12
	s_waitcnt vmcnt(0)
	v_cmpx_lt_i16_e32 0x7f, v4
	s_xor_b32 s17, exec_lo, s17
	s_cbranch_execz .LBB480_178
; %bb.159:
	s_mov_b32 s0, -1
	s_mov_b32 s18, exec_lo
                                        ; implicit-def: $sgpr12
	v_cmpx_eq_u16_e32 0x80, v4
; %bb.160:
	s_movk_i32 s12, 0x7e00
	s_xor_b32 s0, exec_lo, -1
; %bb.161:
	s_or_b32 exec_lo, exec_lo, s18
	s_delay_alu instid0(SALU_CYCLE_1)
	s_and_b32 s0, s0, exec_lo
	s_or_saveexec_b32 s17, s17
	v_mov_b32_e32 v3, s12
	s_xor_b32 exec_lo, exec_lo, s17
	s_cbranch_execnz .LBB480_179
.LBB480_162:
	s_or_b32 exec_lo, exec_lo, s17
	s_and_saveexec_b32 s12, s0
	s_cbranch_execz .LBB480_164
.LBB480_163:
	v_and_b32_e32 v3, 0xffff, v4
	s_delay_alu instid0(VALU_DEP_1) | instskip(NEXT) | instid1(VALU_DEP_1)
	v_and_b32_e32 v5, 7, v3
	v_clz_i32_u32_e32 v6, v5
	s_delay_alu instid0(VALU_DEP_1) | instskip(NEXT) | instid1(VALU_DEP_1)
	v_min_u32_e32 v6, 32, v6
	v_subrev_nc_u32_e32 v7, 28, v6
	v_sub_nc_u32_e32 v6, 29, v6
	s_delay_alu instid0(VALU_DEP_2) | instskip(SKIP_1) | instid1(VALU_DEP_2)
	v_lshlrev_b32_e32 v7, v7, v3
	v_bfe_u32 v3, v3, 3, 4
	v_and_b32_e32 v7, 7, v7
	s_delay_alu instid0(VALU_DEP_2) | instskip(SKIP_1) | instid1(VALU_DEP_1)
	v_cmp_eq_u32_e32 vcc_lo, 0, v3
	v_dual_cndmask_b32 v3, v3, v6 :: v_dual_lshlrev_b32 v4, 24, v4
	v_dual_cndmask_b32 v5, v5, v7 :: v_dual_and_b32 v4, 0x80000000, v4
	s_delay_alu instid0(VALU_DEP_2) | instskip(NEXT) | instid1(VALU_DEP_2)
	v_lshl_add_u32 v3, v3, 23, 0x3b800000
	v_lshlrev_b32_e32 v5, 20, v5
	s_delay_alu instid0(VALU_DEP_1) | instskip(NEXT) | instid1(VALU_DEP_1)
	v_or3_b32 v3, v4, v3, v5
	v_cvt_f16_f32_e32 v3, v3
.LBB480_164:
	s_or_b32 exec_lo, exec_lo, s12
.LBB480_165:
	s_mov_b32 s0, -1
.LBB480_166:
	s_branch .LBB480_201
.LBB480_167:
	v_cmp_gt_i16_e64 s12, s9, 22
	s_delay_alu instid0(VALU_DEP_1)
	s_and_b32 vcc_lo, exec_lo, s12
	s_cbranch_vccz .LBB480_177
; %bb.168:
	v_cmp_lt_i16_e64 s0, s9, 24
	s_delay_alu instid0(VALU_DEP_1)
	s_and_b32 vcc_lo, exec_lo, s0
	s_cbranch_vccnz .LBB480_180
; %bb.169:
	v_cmp_gt_i16_e64 s0, s9, 24
	s_delay_alu instid0(VALU_DEP_1)
	s_and_b32 vcc_lo, exec_lo, s0
	s_cbranch_vccz .LBB480_181
; %bb.170:
	global_load_u8 v4, v[0:1], off
	s_mov_b32 s0, 0
	s_mov_b32 s17, exec_lo
                                        ; implicit-def: $sgpr12
	s_waitcnt vmcnt(0)
	v_cmpx_lt_i16_e32 0x7f, v4
	s_xor_b32 s17, exec_lo, s17
	s_cbranch_execz .LBB480_193
; %bb.171:
	s_mov_b32 s0, -1
	s_mov_b32 s18, exec_lo
                                        ; implicit-def: $sgpr12
	v_cmpx_eq_u16_e32 0x80, v4
; %bb.172:
	s_movk_i32 s12, 0x7e00
	s_xor_b32 s0, exec_lo, -1
; %bb.173:
	s_or_b32 exec_lo, exec_lo, s18
	s_delay_alu instid0(SALU_CYCLE_1)
	s_and_b32 s0, s0, exec_lo
	s_or_saveexec_b32 s17, s17
	v_mov_b32_e32 v3, s12
	s_xor_b32 exec_lo, exec_lo, s17
	s_cbranch_execnz .LBB480_194
.LBB480_174:
	s_or_b32 exec_lo, exec_lo, s17
	s_and_saveexec_b32 s12, s0
	s_cbranch_execz .LBB480_176
.LBB480_175:
	v_and_b32_e32 v3, 0xffff, v4
	s_delay_alu instid0(VALU_DEP_1) | instskip(NEXT) | instid1(VALU_DEP_1)
	v_and_b32_e32 v5, 3, v3
	v_clz_i32_u32_e32 v6, v5
	s_delay_alu instid0(VALU_DEP_1) | instskip(NEXT) | instid1(VALU_DEP_1)
	v_min_u32_e32 v6, 32, v6
	v_subrev_nc_u32_e32 v7, 29, v6
	v_sub_nc_u32_e32 v6, 30, v6
	s_delay_alu instid0(VALU_DEP_2) | instskip(SKIP_1) | instid1(VALU_DEP_2)
	v_lshlrev_b32_e32 v7, v7, v3
	v_bfe_u32 v3, v3, 2, 5
	v_and_b32_e32 v7, 3, v7
	s_delay_alu instid0(VALU_DEP_2) | instskip(SKIP_1) | instid1(VALU_DEP_1)
	v_cmp_eq_u32_e32 vcc_lo, 0, v3
	v_dual_cndmask_b32 v3, v3, v6 :: v_dual_lshlrev_b32 v4, 24, v4
	v_dual_cndmask_b32 v5, v5, v7 :: v_dual_and_b32 v4, 0x80000000, v4
	s_delay_alu instid0(VALU_DEP_2) | instskip(NEXT) | instid1(VALU_DEP_2)
	v_lshl_add_u32 v3, v3, 23, 0x37800000
	v_lshlrev_b32_e32 v5, 21, v5
	s_delay_alu instid0(VALU_DEP_1) | instskip(NEXT) | instid1(VALU_DEP_1)
	v_or3_b32 v3, v4, v3, v5
	v_cvt_f16_f32_e32 v3, v3
.LBB480_176:
	s_or_b32 exec_lo, exec_lo, s12
	s_mov_b32 s0, 0
	s_branch .LBB480_182
.LBB480_177:
	s_mov_b32 s12, -1
                                        ; implicit-def: $vgpr3
	s_branch .LBB480_188
.LBB480_178:
	s_or_saveexec_b32 s17, s17
	v_mov_b32_e32 v3, s12
	s_xor_b32 exec_lo, exec_lo, s17
	s_cbranch_execz .LBB480_162
.LBB480_179:
	v_cmp_ne_u16_e32 vcc_lo, 0, v4
	v_mov_b32_e32 v3, v4
	s_and_not1_b32 s0, s0, exec_lo
	s_and_b32 s12, vcc_lo, exec_lo
	s_delay_alu instid0(SALU_CYCLE_1)
	s_or_b32 s0, s0, s12
	s_or_b32 exec_lo, exec_lo, s17
	s_and_saveexec_b32 s12, s0
	s_cbranch_execnz .LBB480_163
	s_branch .LBB480_164
.LBB480_180:
	s_mov_b32 s0, -1
                                        ; implicit-def: $vgpr3
	s_branch .LBB480_185
.LBB480_181:
	s_mov_b32 s0, -1
                                        ; implicit-def: $vgpr3
.LBB480_182:
	s_delay_alu instid0(SALU_CYCLE_1)
	s_and_b32 vcc_lo, exec_lo, s0
	s_cbranch_vccz .LBB480_184
; %bb.183:
	global_load_u8 v3, v[0:1], off
	s_waitcnt vmcnt(0)
	v_lshlrev_b32_e32 v3, 24, v3
	s_delay_alu instid0(VALU_DEP_1) | instskip(NEXT) | instid1(VALU_DEP_1)
	v_and_b32_e32 v4, 0x7f000000, v3
	v_clz_i32_u32_e32 v5, v4
	v_add_nc_u32_e32 v7, 0x1000000, v4
	v_cmp_ne_u32_e32 vcc_lo, 0, v4
	s_delay_alu instid0(VALU_DEP_3) | instskip(NEXT) | instid1(VALU_DEP_1)
	v_min_u32_e32 v5, 32, v5
	v_sub_nc_u32_e64 v5, v5, 4 clamp
	s_delay_alu instid0(VALU_DEP_1) | instskip(SKIP_1) | instid1(VALU_DEP_2)
	v_lshlrev_b32_e32 v6, v5, v4
	v_lshlrev_b32_e32 v5, 23, v5
	v_lshrrev_b32_e32 v6, 4, v6
	s_delay_alu instid0(VALU_DEP_1) | instskip(SKIP_1) | instid1(VALU_DEP_2)
	v_sub_nc_u32_e32 v5, v6, v5
	v_ashrrev_i32_e32 v6, 8, v7
	v_add_nc_u32_e32 v5, 0x3c000000, v5
	s_delay_alu instid0(VALU_DEP_1) | instskip(NEXT) | instid1(VALU_DEP_1)
	v_and_or_b32 v5, 0x7f800000, v6, v5
	v_cndmask_b32_e32 v4, 0, v5, vcc_lo
	s_delay_alu instid0(VALU_DEP_1) | instskip(NEXT) | instid1(VALU_DEP_1)
	v_and_or_b32 v3, 0x80000000, v3, v4
	v_cvt_f16_f32_e32 v3, v3
.LBB480_184:
	s_mov_b32 s0, 0
.LBB480_185:
	s_delay_alu instid0(SALU_CYCLE_1)
	s_and_not1_b32 vcc_lo, exec_lo, s0
	s_cbranch_vccnz .LBB480_187
; %bb.186:
	global_load_u8 v3, v[0:1], off
	s_waitcnt vmcnt(0)
	v_lshlrev_b32_e32 v4, 25, v3
	v_lshlrev_b16 v3, 8, v3
	s_delay_alu instid0(VALU_DEP_2) | instskip(NEXT) | instid1(VALU_DEP_2)
	v_lshrrev_b32_e32 v5, 4, v4
	v_and_or_b32 v6, 0x7f00, v3, 0.5
	v_bfe_i32 v3, v3, 0, 16
	s_delay_alu instid0(VALU_DEP_3) | instskip(NEXT) | instid1(VALU_DEP_1)
	v_or_b32_e32 v5, 0x70000000, v5
	v_dual_add_f32 v6, -0.5, v6 :: v_dual_mul_f32 v5, 0x7800000, v5
	v_cmp_gt_u32_e32 vcc_lo, 0x8000000, v4
	s_delay_alu instid0(VALU_DEP_2) | instskip(NEXT) | instid1(VALU_DEP_1)
	v_cndmask_b32_e32 v4, v5, v6, vcc_lo
	v_and_or_b32 v3, 0x80000000, v3, v4
	s_delay_alu instid0(VALU_DEP_1)
	v_cvt_f16_f32_e32 v3, v3
.LBB480_187:
	s_mov_b32 s12, 0
	s_mov_b32 s0, -1
.LBB480_188:
	s_and_not1_b32 vcc_lo, exec_lo, s12
	s_cbranch_vccnz .LBB480_201
; %bb.189:
	v_cmp_gt_i16_e64 s12, s9, 14
	s_delay_alu instid0(VALU_DEP_1)
	s_and_b32 vcc_lo, exec_lo, s12
	s_cbranch_vccz .LBB480_192
; %bb.190:
	v_cmp_eq_u16_e64 s12, s9, 15
	s_delay_alu instid0(VALU_DEP_1)
	s_and_b32 vcc_lo, exec_lo, s12
	s_cbranch_vccz .LBB480_195
; %bb.191:
	global_load_u16 v3, v[0:1], off
	s_mov_b32 s0, -1
	s_mov_b32 s14, 0
	s_waitcnt vmcnt(0)
	v_lshlrev_b32_e32 v3, 16, v3
	s_delay_alu instid0(VALU_DEP_1)
	v_cvt_f16_f32_e32 v3, v3
	s_branch .LBB480_196
.LBB480_192:
	s_mov_b32 s12, -1
                                        ; implicit-def: $vgpr3
	s_branch .LBB480_197
.LBB480_193:
	s_or_saveexec_b32 s17, s17
	v_mov_b32_e32 v3, s12
	s_xor_b32 exec_lo, exec_lo, s17
	s_cbranch_execz .LBB480_174
.LBB480_194:
	v_cmp_ne_u16_e32 vcc_lo, 0, v4
	v_mov_b32_e32 v3, v4
	s_and_not1_b32 s0, s0, exec_lo
	s_and_b32 s12, vcc_lo, exec_lo
	s_delay_alu instid0(SALU_CYCLE_1)
	s_or_b32 s0, s0, s12
	s_or_b32 exec_lo, exec_lo, s17
	s_and_saveexec_b32 s12, s0
	s_cbranch_execnz .LBB480_175
	s_branch .LBB480_176
.LBB480_195:
	s_mov_b32 s14, -1
                                        ; implicit-def: $vgpr3
.LBB480_196:
	s_mov_b32 s12, 0
.LBB480_197:
	s_delay_alu instid0(SALU_CYCLE_1)
	s_and_b32 vcc_lo, exec_lo, s12
	s_cbranch_vccz .LBB480_201
; %bb.198:
	v_cmp_eq_u16_e64 s12, s9, 11
	s_delay_alu instid0(VALU_DEP_1)
	s_and_b32 vcc_lo, exec_lo, s12
	s_cbranch_vccz .LBB480_200
; %bb.199:
	global_load_u8 v3, v[0:1], off
	s_mov_b32 s14, 0
	s_mov_b32 s0, -1
	s_waitcnt vmcnt(0)
	v_cmp_ne_u16_e32 vcc_lo, 0, v3
	v_cndmask_b32_e64 v3, 0, 0x3c00, vcc_lo
	s_branch .LBB480_201
.LBB480_200:
	s_mov_b32 s14, -1
                                        ; implicit-def: $vgpr3
.LBB480_201:
	s_branch .LBB480_10
.LBB480_202:
	v_cmp_lt_i16_e64 s0, s9, 5
	s_delay_alu instid0(VALU_DEP_1)
	s_and_b32 vcc_lo, exec_lo, s0
	s_cbranch_vccnz .LBB480_207
; %bb.203:
	v_cmp_lt_i16_e64 s0, s9, 8
	s_delay_alu instid0(VALU_DEP_1)
	s_and_b32 vcc_lo, exec_lo, s0
	s_cbranch_vccnz .LBB480_208
; %bb.204:
	v_cmp_lt_i16_e64 s0, s9, 9
	s_delay_alu instid0(VALU_DEP_1)
	s_and_b32 vcc_lo, exec_lo, s0
	s_cbranch_vccnz .LBB480_209
; %bb.205:
	v_cmp_gt_i16_e64 s0, s9, 9
	s_delay_alu instid0(VALU_DEP_1)
	s_and_b32 vcc_lo, exec_lo, s0
	s_cbranch_vccz .LBB480_210
; %bb.206:
	global_load_b64 v[3:4], v[0:1], off
	s_mov_b32 s0, 0
	s_waitcnt vmcnt(0)
	v_cvt_f32_f64_e32 v3, v[3:4]
	s_delay_alu instid0(VALU_DEP_1)
	v_cvt_f16_f32_e32 v3, v3
	s_branch .LBB480_211
.LBB480_207:
                                        ; implicit-def: $vgpr3
	s_branch .LBB480_229
.LBB480_208:
	s_mov_b32 s0, -1
                                        ; implicit-def: $vgpr3
	s_branch .LBB480_217
.LBB480_209:
	s_mov_b32 s0, -1
                                        ; implicit-def: $vgpr3
	s_branch .LBB480_214
.LBB480_210:
	s_mov_b32 s0, -1
                                        ; implicit-def: $vgpr3
.LBB480_211:
	s_delay_alu instid0(SALU_CYCLE_1)
	s_and_not1_b32 vcc_lo, exec_lo, s0
	s_cbranch_vccnz .LBB480_213
; %bb.212:
	global_load_b32 v3, v[0:1], off
	s_waitcnt vmcnt(0)
	v_cvt_f16_f32_e32 v3, v3
.LBB480_213:
	s_mov_b32 s0, 0
.LBB480_214:
	s_delay_alu instid0(SALU_CYCLE_1)
	s_and_not1_b32 vcc_lo, exec_lo, s0
	s_cbranch_vccnz .LBB480_216
; %bb.215:
	global_load_b32 v3, v[0:1], off
.LBB480_216:
	s_mov_b32 s0, 0
.LBB480_217:
	s_delay_alu instid0(SALU_CYCLE_1)
	s_and_not1_b32 vcc_lo, exec_lo, s0
	s_cbranch_vccnz .LBB480_228
; %bb.218:
	v_cmp_lt_i16_e64 s0, s9, 6
	s_delay_alu instid0(VALU_DEP_1)
	s_and_b32 vcc_lo, exec_lo, s0
	s_cbranch_vccnz .LBB480_221
; %bb.219:
	v_cmp_gt_i16_e64 s0, s9, 6
	s_delay_alu instid0(VALU_DEP_1)
	s_and_b32 vcc_lo, exec_lo, s0
	s_cbranch_vccz .LBB480_222
; %bb.220:
	global_load_b64 v[3:4], v[0:1], off
	s_mov_b32 s0, 0
	s_waitcnt vmcnt(0)
	v_cvt_f32_f64_e32 v3, v[3:4]
	s_delay_alu instid0(VALU_DEP_1)
	v_cvt_f16_f32_e32 v3, v3
	s_branch .LBB480_223
.LBB480_221:
	s_mov_b32 s0, -1
                                        ; implicit-def: $vgpr3
	s_branch .LBB480_226
.LBB480_222:
	s_mov_b32 s0, -1
                                        ; implicit-def: $vgpr3
.LBB480_223:
	s_delay_alu instid0(SALU_CYCLE_1)
	s_and_not1_b32 vcc_lo, exec_lo, s0
	s_cbranch_vccnz .LBB480_225
; %bb.224:
	global_load_b32 v3, v[0:1], off
	s_waitcnt vmcnt(0)
	v_cvt_f16_f32_e32 v3, v3
.LBB480_225:
	s_mov_b32 s0, 0
.LBB480_226:
	s_delay_alu instid0(SALU_CYCLE_1)
	s_and_not1_b32 vcc_lo, exec_lo, s0
	s_cbranch_vccnz .LBB480_228
; %bb.227:
	global_load_u16 v3, v[0:1], off
.LBB480_228:
	s_cbranch_execnz .LBB480_248
.LBB480_229:
	v_cmp_lt_i16_e64 s0, s9, 2
	s_delay_alu instid0(VALU_DEP_1)
	s_and_b32 vcc_lo, exec_lo, s0
	s_cbranch_vccnz .LBB480_233
; %bb.230:
	v_cmp_lt_i16_e64 s0, s9, 3
	s_delay_alu instid0(VALU_DEP_1)
	s_and_b32 vcc_lo, exec_lo, s0
	s_cbranch_vccnz .LBB480_234
; %bb.231:
	v_cmp_gt_i16_e64 s0, s9, 3
	s_delay_alu instid0(VALU_DEP_1)
	s_and_b32 vcc_lo, exec_lo, s0
	s_cbranch_vccz .LBB480_235
; %bb.232:
	global_load_b64 v[3:4], v[0:1], off
	s_mov_b32 s0, 0
	s_waitcnt vmcnt(0)
	v_xor_b32_e32 v5, v3, v4
	v_cls_i32_e32 v6, v4
	s_delay_alu instid0(VALU_DEP_2) | instskip(NEXT) | instid1(VALU_DEP_2)
	v_ashrrev_i32_e32 v5, 31, v5
	v_add_nc_u32_e32 v6, -1, v6
	s_delay_alu instid0(VALU_DEP_2) | instskip(NEXT) | instid1(VALU_DEP_1)
	v_add_nc_u32_e32 v5, 32, v5
	v_min_u32_e32 v5, v6, v5
	s_delay_alu instid0(VALU_DEP_1) | instskip(NEXT) | instid1(VALU_DEP_1)
	v_lshlrev_b64 v[3:4], v5, v[3:4]
	v_min_u32_e32 v3, 1, v3
	s_delay_alu instid0(VALU_DEP_1) | instskip(SKIP_1) | instid1(VALU_DEP_2)
	v_or_b32_e32 v3, v4, v3
	v_sub_nc_u32_e32 v4, 32, v5
	v_cvt_f32_i32_e32 v3, v3
	s_delay_alu instid0(VALU_DEP_1) | instskip(NEXT) | instid1(VALU_DEP_1)
	v_ldexp_f32 v3, v3, v4
	v_cvt_f16_f32_e32 v3, v3
	s_branch .LBB480_236
.LBB480_233:
	s_mov_b32 s0, -1
                                        ; implicit-def: $vgpr3
	s_branch .LBB480_242
.LBB480_234:
	s_mov_b32 s0, -1
                                        ; implicit-def: $vgpr3
	s_branch .LBB480_239
.LBB480_235:
	s_mov_b32 s0, -1
                                        ; implicit-def: $vgpr3
.LBB480_236:
	s_delay_alu instid0(SALU_CYCLE_1)
	s_and_not1_b32 vcc_lo, exec_lo, s0
	s_cbranch_vccnz .LBB480_238
; %bb.237:
	global_load_b32 v3, v[0:1], off
	s_waitcnt vmcnt(0)
	v_cvt_f32_i32_e32 v3, v3
	s_delay_alu instid0(VALU_DEP_1)
	v_cvt_f16_f32_e32 v3, v3
.LBB480_238:
	s_mov_b32 s0, 0
.LBB480_239:
	s_delay_alu instid0(SALU_CYCLE_1)
	s_and_not1_b32 vcc_lo, exec_lo, s0
	s_cbranch_vccnz .LBB480_241
; %bb.240:
	global_load_u16 v3, v[0:1], off
	s_waitcnt vmcnt(0)
	v_cvt_f16_i16_e32 v3, v3
.LBB480_241:
	s_mov_b32 s0, 0
.LBB480_242:
	s_delay_alu instid0(SALU_CYCLE_1)
	s_and_not1_b32 vcc_lo, exec_lo, s0
	s_cbranch_vccnz .LBB480_248
; %bb.243:
	v_cmp_gt_i16_e64 s0, s9, 0
	s_delay_alu instid0(VALU_DEP_1)
	s_and_b32 vcc_lo, exec_lo, s0
	s_mov_b32 s0, 0
	s_cbranch_vccz .LBB480_245
; %bb.244:
	global_load_i8 v3, v[0:1], off
	s_waitcnt vmcnt(0)
	v_cvt_f16_i16_e32 v3, v3
	s_branch .LBB480_246
.LBB480_245:
	s_mov_b32 s0, -1
                                        ; implicit-def: $vgpr3
.LBB480_246:
	s_delay_alu instid0(SALU_CYCLE_1)
	s_and_not1_b32 vcc_lo, exec_lo, s0
	s_cbranch_vccnz .LBB480_248
; %bb.247:
	global_load_u8 v0, v[0:1], off
	s_waitcnt vmcnt(0)
	v_cvt_f16_u16_e32 v3, v0
.LBB480_248:
	s_branch .LBB480_11
.LBB480_249:
	s_mov_b32 s0, 0
.LBB480_250:
	s_mov_b32 s17, 0
                                        ; implicit-def: $vgpr2
.LBB480_251:
	s_and_b32 s12, s0, exec_lo
	s_and_b32 s14, s14, exec_lo
	s_or_not1_b32 s18, s17, exec_lo
.LBB480_252:
	s_or_b32 exec_lo, exec_lo, s15
	s_mov_b32 s17, 0
	s_mov_b32 s0, 0
                                        ; implicit-def: $vgpr0_vgpr1
                                        ; implicit-def: $vgpr5
	s_and_saveexec_b32 s15, s18
	s_cbranch_execz .LBB480_860
; %bb.253:
	s_mov_b32 s0, -1
	s_mov_b32 s16, s14
	s_mov_b32 s17, s12
	s_mov_b32 s18, exec_lo
	v_cmpx_gt_i32_e64 s13, v2
	s_cbranch_execz .LBB480_512
; %bb.254:
	v_mul_lo_u32 v0, v2, s3
	v_cmp_lt_i16_e64 s0, s9, 11
	s_delay_alu instid0(VALU_DEP_2) | instskip(SKIP_1) | instid1(VALU_DEP_2)
	v_ashrrev_i32_e32 v1, 31, v0
	v_add_co_u32 v0, vcc_lo, s6, v0
	v_add_co_ci_u32_e32 v1, vcc_lo, s7, v1, vcc_lo
	s_delay_alu instid0(VALU_DEP_4)
	s_and_b32 vcc_lo, exec_lo, s0
	s_cbranch_vccnz .LBB480_261
; %bb.255:
	v_cmp_gt_i16_e64 s0, s9, 25
	s_delay_alu instid0(VALU_DEP_1)
	s_and_b32 vcc_lo, exec_lo, s0
	s_cbranch_vccz .LBB480_270
; %bb.256:
	v_cmp_gt_i16_e64 s0, s9, 28
	s_delay_alu instid0(VALU_DEP_1)
	s_and_b32 vcc_lo, exec_lo, s0
	s_cbranch_vccz .LBB480_272
	;; [unrolled: 5-line block ×4, first 2 shown]
; %bb.259:
	v_cmp_eq_u16_e64 s0, s9, 46
	s_mov_b32 s17, 0
	s_delay_alu instid0(VALU_DEP_1)
	s_and_b32 vcc_lo, exec_lo, s0
	s_cbranch_vccz .LBB480_282
; %bb.260:
	global_load_b32 v3, v[0:1], off
	s_mov_b32 s0, -1
	s_mov_b32 s16, 0
	s_waitcnt vmcnt(0)
	v_lshlrev_b32_e32 v3, 16, v3
	s_delay_alu instid0(VALU_DEP_1)
	v_cvt_f16_f32_e32 v3, v3
	s_branch .LBB480_284
.LBB480_261:
	s_mov_b32 s0, 0
	s_mov_b32 s16, s14
                                        ; implicit-def: $vgpr3
	s_cbranch_execnz .LBB480_461
.LBB480_262:
	s_and_not1_b32 vcc_lo, exec_lo, s0
	s_cbranch_vccnz .LBB480_509
.LBB480_263:
	v_mul_lo_u32 v0, v2, s2
	s_waitcnt vmcnt(0)
	s_delay_alu instid0(VALU_DEP_2) | instskip(SKIP_2) | instid1(VALU_DEP_2)
	v_cmp_u_f16_e32 vcc_lo, v3, v3
	v_cmp_gt_f16_e64 s0, s8, v3
	v_and_b32_e64 v4, 0xff, s1
	s_or_b32 vcc_lo, vcc_lo, s0
	s_delay_alu instid0(VALU_DEP_4) | instskip(SKIP_1) | instid1(VALU_DEP_3)
	v_ashrrev_i32_e32 v1, 31, v0
	v_cndmask_b32_e32 v3, s8, v3, vcc_lo
	v_cmp_gt_i16_e32 vcc_lo, 11, v4
	v_add_co_u32 v0, s0, s4, v0
	s_delay_alu instid0(VALU_DEP_1)
	v_add_co_ci_u32_e64 v1, s0, s5, v1, s0
	s_cbranch_vccnz .LBB480_271
; %bb.264:
	v_cmp_lt_i16_e32 vcc_lo, 25, v4
	s_cbranch_vccz .LBB480_273
; %bb.265:
	v_cmp_lt_i16_e32 vcc_lo, 28, v4
	s_cbranch_vccz .LBB480_275
	;; [unrolled: 3-line block ×4, first 2 shown]
; %bb.268:
	v_cmp_eq_u16_e32 vcc_lo, 46, v4
	s_mov_b32 s19, 0
	s_mov_b32 s0, -1
	s_mov_b32 s17, 0
	s_cbranch_vccz .LBB480_288
; %bb.269:
	v_cvt_f32_f16_e32 v5, v3
	v_cmp_o_f16_e32 vcc_lo, v3, v3
	s_mov_b32 s17, -1
	s_mov_b32 s0, 0
	s_delay_alu instid0(VALU_DEP_2) | instskip(NEXT) | instid1(VALU_DEP_1)
	v_bfe_u32 v6, v5, 16, 1
	v_add3_u32 v5, v5, v6, 0x7fff
	s_delay_alu instid0(VALU_DEP_1) | instskip(NEXT) | instid1(VALU_DEP_1)
	v_lshrrev_b32_e32 v5, 16, v5
	v_cndmask_b32_e32 v5, 0x7fc0, v5, vcc_lo
	global_store_b32 v[0:1], v5, off
	s_branch .LBB480_288
.LBB480_270:
	s_mov_b32 s17, -1
	s_mov_b32 s0, 0
	s_mov_b32 s16, s14
                                        ; implicit-def: $vgpr3
	s_branch .LBB480_425
.LBB480_271:
	s_mov_b32 s19, -1
	s_mov_b32 s17, 0
	s_mov_b32 s0, s12
	s_branch .LBB480_357
.LBB480_272:
	s_mov_b32 s17, -1
	s_mov_b32 s0, 0
	s_mov_b32 s16, s14
                                        ; implicit-def: $vgpr3
	s_branch .LBB480_406
.LBB480_273:
	s_mov_b32 s19, -1
	s_mov_b32 s17, 0
	s_mov_b32 s0, s12
	s_branch .LBB480_315
.LBB480_274:
	s_mov_b32 s17, -1
	s_mov_b32 s0, 0
	s_mov_b32 s16, s14
                                        ; implicit-def: $vgpr3
	s_branch .LBB480_401
.LBB480_275:
	s_mov_b32 s19, -1
	s_mov_b32 s17, 0
	s_mov_b32 s0, s12
	s_branch .LBB480_298
.LBB480_276:
	s_or_saveexec_b32 s18, s18
                                        ; implicit-def: $sgpr19
	s_delay_alu instid0(SALU_CYCLE_1)
	s_xor_b32 exec_lo, exec_lo, s18
	s_cbranch_execz .LBB480_54
.LBB480_277:
	v_add_f32_e64 v6, 0x46000000, |v5|
	s_and_not1_b32 s17, s17, exec_lo
	s_mov_b32 s19, 0
	s_delay_alu instid0(VALU_DEP_1) | instskip(NEXT) | instid1(VALU_DEP_1)
	v_and_b32_e32 v6, 0xff, v6
	v_cmp_ne_u32_e32 vcc_lo, 0, v6
	s_and_b32 s20, vcc_lo, exec_lo
	s_delay_alu instid0(SALU_CYCLE_1)
	s_or_b32 s17, s17, s20
	s_or_b32 exec_lo, exec_lo, s18
	v_mov_b32_e32 v7, s19
	s_and_saveexec_b32 s18, s17
	s_cbranch_execnz .LBB480_55
	s_branch .LBB480_56
.LBB480_278:
	s_mov_b32 s17, -1
	s_mov_b32 s0, 0
	s_mov_b32 s16, s14
	s_branch .LBB480_283
.LBB480_279:
	s_mov_b32 s19, -1
	s_mov_b32 s17, 0
	s_mov_b32 s0, s12
	s_branch .LBB480_294
.LBB480_280:
	s_or_saveexec_b32 s18, s18
                                        ; implicit-def: $sgpr19
	s_delay_alu instid0(SALU_CYCLE_1)
	s_xor_b32 exec_lo, exec_lo, s18
	s_cbranch_execz .LBB480_67
.LBB480_281:
	v_add_f32_e64 v6, 0x42800000, |v5|
	s_and_not1_b32 s17, s17, exec_lo
	s_mov_b32 s19, 0
	s_delay_alu instid0(VALU_DEP_1) | instskip(NEXT) | instid1(VALU_DEP_1)
	v_and_b32_e32 v6, 0xff, v6
	v_cmp_ne_u32_e32 vcc_lo, 0, v6
	s_and_b32 s20, vcc_lo, exec_lo
	s_delay_alu instid0(SALU_CYCLE_1)
	s_or_b32 s17, s17, s20
	s_or_b32 exec_lo, exec_lo, s18
	v_mov_b32_e32 v7, s19
	s_and_saveexec_b32 s18, s17
	s_cbranch_execnz .LBB480_68
	s_branch .LBB480_69
.LBB480_282:
	s_mov_b32 s16, -1
	s_mov_b32 s0, 0
.LBB480_283:
                                        ; implicit-def: $vgpr3
.LBB480_284:
	s_and_b32 vcc_lo, exec_lo, s17
	s_cbranch_vccz .LBB480_400
; %bb.285:
	v_cmp_eq_u16_e64 s16, s9, 44
	s_delay_alu instid0(VALU_DEP_1)
	s_and_b32 vcc_lo, exec_lo, s16
	s_cbranch_vccz .LBB480_399
; %bb.286:
	global_load_u8 v3, v[0:1], off
	s_mov_b32 s16, 0
	s_mov_b32 s0, -1
	s_waitcnt vmcnt(0)
	v_lshlrev_b32_e32 v4, 23, v3
	v_cmp_ne_u32_e32 vcc_lo, 0xff, v3
	s_delay_alu instid0(VALU_DEP_2) | instskip(NEXT) | instid1(VALU_DEP_1)
	v_cvt_f16_f32_e32 v4, v4
	v_cndmask_b32_e32 v4, 0x7e00, v4, vcc_lo
	v_cmp_ne_u32_e32 vcc_lo, 0, v3
	s_delay_alu instid0(VALU_DEP_2)
	v_cndmask_b32_e32 v3, 0, v4, vcc_lo
	s_branch .LBB480_400
.LBB480_287:
	s_mov_b32 s19, -1
	s_mov_b32 s17, 0
	s_mov_b32 s0, s12
.LBB480_288:
	s_and_b32 vcc_lo, exec_lo, s19
	s_cbranch_vccz .LBB480_293
; %bb.289:
	v_cmp_eq_u16_e32 vcc_lo, 44, v4
	s_mov_b32 s0, -1
	s_cbranch_vccz .LBB480_293
; %bb.290:
	v_cvt_f32_f16_e32 v5, v3
	v_mov_b32_e32 v6, 0xff
	s_mov_b32 s17, exec_lo
	s_delay_alu instid0(VALU_DEP_2) | instskip(NEXT) | instid1(VALU_DEP_1)
	v_bfe_u32 v7, v5, 23, 8
	v_cmpx_ne_u32_e32 0xff, v7
; %bb.291:
	v_and_b32_e32 v6, 0x400000, v5
	v_and_or_b32 v7, 0x3fffff, v5, v7
	v_lshrrev_b32_e32 v5, 23, v5
	s_delay_alu instid0(VALU_DEP_3) | instskip(NEXT) | instid1(VALU_DEP_3)
	v_cmp_ne_u32_e32 vcc_lo, 0, v6
	v_cmp_ne_u32_e64 s0, 0, v7
	s_delay_alu instid0(VALU_DEP_1) | instskip(NEXT) | instid1(SALU_CYCLE_1)
	s_and_b32 s0, vcc_lo, s0
	v_cndmask_b32_e64 v6, 0, 1, s0
	s_delay_alu instid0(VALU_DEP_1)
	v_add_nc_u32_e32 v6, v5, v6
; %bb.292:
	s_or_b32 exec_lo, exec_lo, s17
	s_mov_b32 s17, -1
	s_mov_b32 s0, 0
	global_store_b8 v[0:1], v6, off
.LBB480_293:
	s_mov_b32 s19, 0
.LBB480_294:
	s_delay_alu instid0(SALU_CYCLE_1)
	s_and_b32 vcc_lo, exec_lo, s19
	s_cbranch_vccz .LBB480_297
; %bb.295:
	v_cmp_eq_u16_e32 vcc_lo, 29, v4
	s_mov_b32 s0, -1
	s_cbranch_vccz .LBB480_297
; %bb.296:
	v_cvt_f32_f16_e32 v5, v3
	v_mov_b32_e32 v6, 0
	s_mov_b32 s0, 0
	s_mov_b32 s17, -1
	s_mov_b32 s19, 0
	v_cvt_u32_f32_e32 v5, v5
	global_store_b64 v[0:1], v[5:6], off
	s_branch .LBB480_298
.LBB480_297:
	s_mov_b32 s19, 0
.LBB480_298:
	s_delay_alu instid0(SALU_CYCLE_1)
	s_and_b32 vcc_lo, exec_lo, s19
	s_cbranch_vccz .LBB480_314
; %bb.299:
	v_cmp_gt_i16_e32 vcc_lo, 27, v4
	s_mov_b32 s17, -1
	s_cbranch_vccnz .LBB480_305
; %bb.300:
	v_cmp_lt_i16_e32 vcc_lo, 27, v4
	s_cbranch_vccz .LBB480_302
; %bb.301:
	v_cvt_f32_f16_e32 v5, v3
	s_mov_b32 s17, 0
	s_delay_alu instid0(VALU_DEP_1)
	v_cvt_u32_f32_e32 v5, v5
	global_store_b32 v[0:1], v5, off
.LBB480_302:
	s_and_not1_b32 vcc_lo, exec_lo, s17
	s_cbranch_vccnz .LBB480_304
; %bb.303:
	v_cvt_u16_f16_e32 v5, v3
	global_store_b16 v[0:1], v5, off
.LBB480_304:
	s_mov_b32 s17, 0
.LBB480_305:
	s_delay_alu instid0(SALU_CYCLE_1)
	s_and_not1_b32 vcc_lo, exec_lo, s17
	s_cbranch_vccnz .LBB480_313
; %bb.306:
	v_cvt_f32_f16_e32 v5, v3
	v_mov_b32_e32 v7, 0x80
	s_mov_b32 s17, exec_lo
	s_delay_alu instid0(VALU_DEP_2) | instskip(NEXT) | instid1(VALU_DEP_1)
	v_and_b32_e32 v6, 0x7fffffff, v5
	v_cmpx_gt_u32_e32 0x43800000, v6
	s_cbranch_execz .LBB480_312
; %bb.307:
	v_cmp_lt_u32_e32 vcc_lo, 0x3bffffff, v6
	s_mov_b32 s19, 0
                                        ; implicit-def: $vgpr6
	s_and_saveexec_b32 s20, vcc_lo
	s_delay_alu instid0(SALU_CYCLE_1)
	s_xor_b32 s20, exec_lo, s20
	s_cbranch_execz .LBB480_525
; %bb.308:
	v_bfe_u32 v6, v5, 20, 1
	s_mov_b32 s19, exec_lo
	s_delay_alu instid0(VALU_DEP_1) | instskip(NEXT) | instid1(VALU_DEP_1)
	v_add3_u32 v6, v5, v6, 0x487ffff
	v_lshrrev_b32_e32 v6, 20, v6
	s_or_saveexec_b32 s20, s20
                                        ; implicit-def: $sgpr21
	s_delay_alu instid0(SALU_CYCLE_1)
	s_xor_b32 exec_lo, exec_lo, s20
	s_cbranch_execnz .LBB480_526
.LBB480_309:
	s_or_b32 exec_lo, exec_lo, s20
	v_mov_b32_e32 v7, s21
	s_and_saveexec_b32 s20, s19
.LBB480_310:
	v_lshrrev_b32_e32 v5, 24, v5
	s_delay_alu instid0(VALU_DEP_1)
	v_and_or_b32 v7, 0x80, v5, v6
.LBB480_311:
	s_or_b32 exec_lo, exec_lo, s20
.LBB480_312:
	s_delay_alu instid0(SALU_CYCLE_1)
	s_or_b32 exec_lo, exec_lo, s17
	global_store_b8 v[0:1], v7, off
.LBB480_313:
	s_mov_b32 s17, -1
.LBB480_314:
	s_mov_b32 s19, 0
.LBB480_315:
	s_delay_alu instid0(SALU_CYCLE_1)
	s_and_b32 vcc_lo, exec_lo, s19
	s_cbranch_vccz .LBB480_356
; %bb.316:
	v_cmp_lt_i16_e32 vcc_lo, 22, v4
	s_mov_b32 s19, -1
	s_cbranch_vccz .LBB480_348
; %bb.317:
	v_cmp_gt_i16_e32 vcc_lo, 24, v4
	s_mov_b32 s17, -1
	s_cbranch_vccnz .LBB480_337
; %bb.318:
	v_cmp_lt_i16_e32 vcc_lo, 24, v4
	s_cbranch_vccz .LBB480_326
; %bb.319:
	v_cvt_f32_f16_e32 v5, v3
	v_mov_b32_e32 v7, 0x80
	s_mov_b32 s17, exec_lo
	s_delay_alu instid0(VALU_DEP_2) | instskip(NEXT) | instid1(VALU_DEP_1)
	v_and_b32_e32 v6, 0x7fffffff, v5
	v_cmpx_gt_u32_e32 0x47800000, v6
	s_cbranch_execz .LBB480_325
; %bb.320:
	v_cmp_lt_u32_e32 vcc_lo, 0x37ffffff, v6
	s_mov_b32 s19, 0
                                        ; implicit-def: $vgpr6
	s_and_saveexec_b32 s20, vcc_lo
	s_delay_alu instid0(SALU_CYCLE_1)
	s_xor_b32 s20, exec_lo, s20
	s_cbranch_execz .LBB480_528
; %bb.321:
	v_bfe_u32 v6, v5, 21, 1
	s_mov_b32 s19, exec_lo
	s_delay_alu instid0(VALU_DEP_1) | instskip(NEXT) | instid1(VALU_DEP_1)
	v_add3_u32 v6, v5, v6, 0x88fffff
	v_lshrrev_b32_e32 v6, 21, v6
	s_or_saveexec_b32 s20, s20
                                        ; implicit-def: $sgpr21
	s_delay_alu instid0(SALU_CYCLE_1)
	s_xor_b32 exec_lo, exec_lo, s20
	s_cbranch_execnz .LBB480_529
.LBB480_322:
	s_or_b32 exec_lo, exec_lo, s20
	v_mov_b32_e32 v7, s21
	s_and_saveexec_b32 s20, s19
.LBB480_323:
	v_lshrrev_b32_e32 v5, 24, v5
	s_delay_alu instid0(VALU_DEP_1)
	v_and_or_b32 v7, 0x80, v5, v6
.LBB480_324:
	s_or_b32 exec_lo, exec_lo, s20
.LBB480_325:
	s_delay_alu instid0(SALU_CYCLE_1)
	s_or_b32 exec_lo, exec_lo, s17
	s_mov_b32 s17, 0
	global_store_b8 v[0:1], v7, off
.LBB480_326:
	s_and_b32 vcc_lo, exec_lo, s17
	s_cbranch_vccz .LBB480_336
; %bb.327:
	v_cvt_f32_f16_e32 v5, v3
	s_mov_b32 s17, exec_lo
                                        ; implicit-def: $vgpr6
	s_delay_alu instid0(VALU_DEP_1) | instskip(NEXT) | instid1(VALU_DEP_1)
	v_and_b32_e32 v7, 0x7fffffff, v5
	v_cmpx_gt_u32_e32 0x43f00000, v7
	s_xor_b32 s17, exec_lo, s17
	s_cbranch_execz .LBB480_333
; %bb.328:
	s_mov_b32 s19, exec_lo
                                        ; implicit-def: $vgpr6
	v_cmpx_lt_u32_e32 0x3c7fffff, v7
	s_xor_b32 s19, exec_lo, s19
; %bb.329:
	v_bfe_u32 v6, v5, 20, 1
	s_delay_alu instid0(VALU_DEP_1) | instskip(NEXT) | instid1(VALU_DEP_1)
	v_add3_u32 v6, v5, v6, 0x407ffff
	v_and_b32_e32 v7, 0xff00000, v6
	v_lshrrev_b32_e32 v6, 20, v6
	s_delay_alu instid0(VALU_DEP_2) | instskip(NEXT) | instid1(VALU_DEP_2)
	v_cmp_ne_u32_e32 vcc_lo, 0x7f00000, v7
	v_cndmask_b32_e32 v6, 0x7e, v6, vcc_lo
; %bb.330:
	s_and_not1_saveexec_b32 s19, s19
; %bb.331:
	v_add_f32_e64 v6, 0x46800000, |v5|
; %bb.332:
	s_or_b32 exec_lo, exec_lo, s19
                                        ; implicit-def: $vgpr7
.LBB480_333:
	s_and_not1_saveexec_b32 s17, s17
; %bb.334:
	v_mov_b32_e32 v6, 0x7f
	v_cmp_lt_u32_e32 vcc_lo, 0x7f800000, v7
	s_delay_alu instid0(VALU_DEP_2)
	v_cndmask_b32_e32 v6, 0x7e, v6, vcc_lo
; %bb.335:
	s_or_b32 exec_lo, exec_lo, s17
	v_lshrrev_b32_e32 v5, 24, v5
	s_delay_alu instid0(VALU_DEP_1)
	v_and_or_b32 v5, 0x80, v5, v6
	global_store_b8 v[0:1], v5, off
.LBB480_336:
	s_mov_b32 s17, 0
.LBB480_337:
	s_delay_alu instid0(SALU_CYCLE_1)
	s_and_not1_b32 vcc_lo, exec_lo, s17
	s_cbranch_vccnz .LBB480_347
; %bb.338:
	v_cvt_f32_f16_e32 v5, v3
	s_mov_b32 s17, exec_lo
                                        ; implicit-def: $vgpr6
	s_delay_alu instid0(VALU_DEP_1) | instskip(NEXT) | instid1(VALU_DEP_1)
	v_and_b32_e32 v7, 0x7fffffff, v5
	v_cmpx_gt_u32_e32 0x47800000, v7
	s_xor_b32 s17, exec_lo, s17
	s_cbranch_execz .LBB480_344
; %bb.339:
	s_mov_b32 s19, exec_lo
                                        ; implicit-def: $vgpr6
	v_cmpx_lt_u32_e32 0x387fffff, v7
	s_xor_b32 s19, exec_lo, s19
; %bb.340:
	v_bfe_u32 v6, v5, 21, 1
	s_delay_alu instid0(VALU_DEP_1) | instskip(NEXT) | instid1(VALU_DEP_1)
	v_add3_u32 v6, v5, v6, 0x80fffff
	v_lshrrev_b32_e32 v6, 21, v6
; %bb.341:
	s_and_not1_saveexec_b32 s19, s19
; %bb.342:
	v_add_f32_e64 v6, 0x43000000, |v5|
; %bb.343:
	s_or_b32 exec_lo, exec_lo, s19
                                        ; implicit-def: $vgpr7
.LBB480_344:
	s_and_not1_saveexec_b32 s17, s17
; %bb.345:
	v_mov_b32_e32 v6, 0x7f
	v_cmp_lt_u32_e32 vcc_lo, 0x7f800000, v7
	s_delay_alu instid0(VALU_DEP_2)
	v_cndmask_b32_e32 v6, 0x7c, v6, vcc_lo
; %bb.346:
	s_or_b32 exec_lo, exec_lo, s17
	v_lshrrev_b32_e32 v5, 24, v5
	s_delay_alu instid0(VALU_DEP_1)
	v_and_or_b32 v5, 0x80, v5, v6
	global_store_b8 v[0:1], v5, off
.LBB480_347:
	s_mov_b32 s19, 0
	s_mov_b32 s17, -1
.LBB480_348:
	s_and_not1_b32 vcc_lo, exec_lo, s19
	s_cbranch_vccnz .LBB480_356
; %bb.349:
	v_cmp_lt_i16_e32 vcc_lo, 14, v4
	s_mov_b32 s19, -1
	s_cbranch_vccz .LBB480_353
; %bb.350:
	v_cmp_eq_u16_e32 vcc_lo, 15, v4
	s_mov_b32 s0, -1
	s_cbranch_vccz .LBB480_352
; %bb.351:
	v_cvt_f32_f16_e32 v5, v3
	v_cmp_o_f16_e32 vcc_lo, v3, v3
	s_mov_b32 s17, -1
	s_mov_b32 s0, 0
	s_delay_alu instid0(VALU_DEP_2) | instskip(NEXT) | instid1(VALU_DEP_1)
	v_bfe_u32 v6, v5, 16, 1
	v_add3_u32 v5, v5, v6, 0x7fff
	s_delay_alu instid0(VALU_DEP_1) | instskip(NEXT) | instid1(VALU_DEP_1)
	v_lshrrev_b32_e32 v5, 16, v5
	v_cndmask_b32_e32 v5, 0x7fc0, v5, vcc_lo
	global_store_b16 v[0:1], v5, off
.LBB480_352:
	s_mov_b32 s19, 0
.LBB480_353:
	s_delay_alu instid0(SALU_CYCLE_1)
	s_and_b32 vcc_lo, exec_lo, s19
	s_cbranch_vccz .LBB480_356
; %bb.354:
	v_cmp_eq_u16_e32 vcc_lo, 11, v4
	s_mov_b32 s0, -1
	s_cbranch_vccz .LBB480_356
; %bb.355:
	v_and_b32_e32 v5, 0x7fff, v3
	s_mov_b32 s0, 0
	s_mov_b32 s17, -1
	s_delay_alu instid0(VALU_DEP_1)
	v_cmp_ne_u16_e32 vcc_lo, 0, v5
	v_cndmask_b32_e64 v5, 0, 1, vcc_lo
	global_store_b8 v[0:1], v5, off
.LBB480_356:
	s_mov_b32 s19, 0
.LBB480_357:
	s_delay_alu instid0(SALU_CYCLE_1)
	s_and_b32 vcc_lo, exec_lo, s19
	s_cbranch_vccz .LBB480_396
; %bb.358:
	v_cmp_gt_i16_e32 vcc_lo, 5, v4
	s_mov_b32 s17, -1
	s_cbranch_vccnz .LBB480_379
; %bb.359:
	v_cmp_gt_i16_e32 vcc_lo, 8, v4
	s_cbranch_vccnz .LBB480_369
; %bb.360:
	v_cmp_gt_i16_e32 vcc_lo, 9, v4
	s_cbranch_vccnz .LBB480_366
; %bb.361:
	v_cmp_lt_i16_e32 vcc_lo, 9, v4
	s_cbranch_vccz .LBB480_363
; %bb.362:
	v_cvt_f32_f16_e32 v5, v3
	v_mov_b32_e32 v7, 0
	s_mov_b32 s17, 0
	s_delay_alu instid0(VALU_DEP_2) | instskip(NEXT) | instid1(VALU_DEP_2)
	v_cvt_f64_f32_e32 v[5:6], v5
	v_mov_b32_e32 v8, v7
	global_store_b128 v[0:1], v[5:8], off
.LBB480_363:
	s_and_not1_b32 vcc_lo, exec_lo, s17
	s_cbranch_vccnz .LBB480_365
; %bb.364:
	v_cvt_f32_f16_e32 v5, v3
	v_mov_b32_e32 v6, 0
	global_store_b64 v[0:1], v[5:6], off
.LBB480_365:
	s_mov_b32 s17, 0
.LBB480_366:
	s_delay_alu instid0(SALU_CYCLE_1)
	s_and_not1_b32 vcc_lo, exec_lo, s17
	s_cbranch_vccnz .LBB480_368
; %bb.367:
	v_and_b32_e32 v5, 0xffff, v3
	global_store_b32 v[0:1], v5, off
.LBB480_368:
	s_mov_b32 s17, 0
.LBB480_369:
	s_delay_alu instid0(SALU_CYCLE_1)
	s_and_not1_b32 vcc_lo, exec_lo, s17
	s_cbranch_vccnz .LBB480_378
; %bb.370:
	v_cmp_gt_i16_e32 vcc_lo, 6, v4
	s_mov_b32 s17, -1
	s_cbranch_vccnz .LBB480_376
; %bb.371:
	v_cmp_lt_i16_e32 vcc_lo, 6, v4
	s_cbranch_vccz .LBB480_373
; %bb.372:
	v_cvt_f32_f16_e32 v5, v3
	s_mov_b32 s17, 0
	s_delay_alu instid0(VALU_DEP_1)
	v_cvt_f64_f32_e32 v[5:6], v5
	global_store_b64 v[0:1], v[5:6], off
.LBB480_373:
	s_and_not1_b32 vcc_lo, exec_lo, s17
	s_cbranch_vccnz .LBB480_375
; %bb.374:
	v_cvt_f32_f16_e32 v5, v3
	global_store_b32 v[0:1], v5, off
.LBB480_375:
	s_mov_b32 s17, 0
.LBB480_376:
	s_delay_alu instid0(SALU_CYCLE_1)
	s_and_not1_b32 vcc_lo, exec_lo, s17
	s_cbranch_vccnz .LBB480_378
; %bb.377:
	global_store_b16 v[0:1], v3, off
.LBB480_378:
	s_mov_b32 s17, 0
.LBB480_379:
	s_delay_alu instid0(SALU_CYCLE_1)
	s_and_not1_b32 vcc_lo, exec_lo, s17
	s_cbranch_vccnz .LBB480_395
; %bb.380:
	v_cmp_gt_i16_e32 vcc_lo, 2, v4
	s_mov_b32 s17, -1
	s_cbranch_vccnz .LBB480_390
; %bb.381:
	v_cmp_gt_i16_e32 vcc_lo, 3, v4
	s_cbranch_vccnz .LBB480_387
; %bb.382:
	v_cmp_lt_i16_e32 vcc_lo, 3, v4
	s_cbranch_vccz .LBB480_384
; %bb.383:
	v_cvt_f32_f16_e32 v5, v3
	s_mov_b32 s17, 0
	s_delay_alu instid0(VALU_DEP_1) | instskip(NEXT) | instid1(VALU_DEP_1)
	v_cvt_i32_f32_e32 v5, v5
	v_ashrrev_i32_e32 v6, 31, v5
	global_store_b64 v[0:1], v[5:6], off
.LBB480_384:
	s_and_not1_b32 vcc_lo, exec_lo, s17
	s_cbranch_vccnz .LBB480_386
; %bb.385:
	v_cvt_f32_f16_e32 v5, v3
	s_delay_alu instid0(VALU_DEP_1)
	v_cvt_i32_f32_e32 v5, v5
	global_store_b32 v[0:1], v5, off
.LBB480_386:
	s_mov_b32 s17, 0
.LBB480_387:
	s_delay_alu instid0(SALU_CYCLE_1)
	s_and_not1_b32 vcc_lo, exec_lo, s17
	s_cbranch_vccnz .LBB480_389
; %bb.388:
	v_cvt_i16_f16_e32 v5, v3
	global_store_b16 v[0:1], v5, off
.LBB480_389:
	s_mov_b32 s17, 0
.LBB480_390:
	s_delay_alu instid0(SALU_CYCLE_1)
	s_and_not1_b32 vcc_lo, exec_lo, s17
	s_cbranch_vccnz .LBB480_395
; %bb.391:
	v_cmp_lt_i16_e32 vcc_lo, 0, v4
	s_mov_b32 s17, -1
	s_cbranch_vccz .LBB480_393
; %bb.392:
	v_cvt_i16_f16_e32 v4, v3
	s_mov_b32 s17, 0
	global_store_b8 v[0:1], v4, off
.LBB480_393:
	s_and_not1_b32 vcc_lo, exec_lo, s17
	s_cbranch_vccnz .LBB480_395
; %bb.394:
	v_cvt_f32_f16_e32 v3, v3
	s_delay_alu instid0(VALU_DEP_1)
	v_cvt_i32_f32_e32 v3, v3
	global_store_b8 v[0:1], v3, off
.LBB480_395:
	s_mov_b32 s17, -1
.LBB480_396:
	s_delay_alu instid0(SALU_CYCLE_1)
	s_and_not1_b32 vcc_lo, exec_lo, s17
	s_cbranch_vccnz .LBB480_398
; %bb.397:
	v_add_nc_u32_e32 v2, 0x80, v2
	s_mov_b32 s19, -1
	s_branch .LBB480_511
.LBB480_398:
	s_mov_b32 s19, 0
	s_branch .LBB480_510
.LBB480_399:
	s_mov_b32 s16, -1
                                        ; implicit-def: $vgpr3
.LBB480_400:
	s_mov_b32 s17, 0
.LBB480_401:
	s_delay_alu instid0(SALU_CYCLE_1)
	s_and_b32 vcc_lo, exec_lo, s17
	s_cbranch_vccz .LBB480_405
; %bb.402:
	v_cmp_eq_u16_e64 s16, s9, 29
	s_delay_alu instid0(VALU_DEP_1)
	s_and_b32 vcc_lo, exec_lo, s16
	s_cbranch_vccz .LBB480_404
; %bb.403:
	global_load_b64 v[3:4], v[0:1], off
	s_mov_b32 s0, -1
	s_mov_b32 s16, 0
	s_mov_b32 s17, 0
	s_waitcnt vmcnt(0)
	v_clz_i32_u32_e32 v5, v4
	s_delay_alu instid0(VALU_DEP_1) | instskip(NEXT) | instid1(VALU_DEP_1)
	v_min_u32_e32 v5, 32, v5
	v_lshlrev_b64 v[3:4], v5, v[3:4]
	s_delay_alu instid0(VALU_DEP_1) | instskip(NEXT) | instid1(VALU_DEP_1)
	v_min_u32_e32 v3, 1, v3
	v_or_b32_e32 v3, v4, v3
	v_sub_nc_u32_e32 v4, 32, v5
	s_delay_alu instid0(VALU_DEP_2) | instskip(NEXT) | instid1(VALU_DEP_1)
	v_cvt_f32_u32_e32 v3, v3
	v_ldexp_f32 v3, v3, v4
	s_delay_alu instid0(VALU_DEP_1)
	v_cvt_f16_f32_e32 v3, v3
	s_branch .LBB480_406
.LBB480_404:
	s_mov_b32 s16, -1
                                        ; implicit-def: $vgpr3
.LBB480_405:
	s_mov_b32 s17, 0
.LBB480_406:
	s_delay_alu instid0(SALU_CYCLE_1)
	s_and_b32 vcc_lo, exec_lo, s17
	s_cbranch_vccz .LBB480_424
; %bb.407:
	v_cmp_lt_i16_e64 s0, s9, 27
	s_delay_alu instid0(VALU_DEP_1)
	s_and_b32 vcc_lo, exec_lo, s0
	s_cbranch_vccnz .LBB480_410
; %bb.408:
	v_cmp_gt_i16_e64 s0, s9, 27
	s_delay_alu instid0(VALU_DEP_1)
	s_and_b32 vcc_lo, exec_lo, s0
	s_cbranch_vccz .LBB480_411
; %bb.409:
	global_load_b32 v3, v[0:1], off
	s_mov_b32 s0, 0
	s_waitcnt vmcnt(0)
	v_cvt_f32_u32_e32 v3, v3
	s_delay_alu instid0(VALU_DEP_1)
	v_cvt_f16_f32_e32 v3, v3
	s_branch .LBB480_412
.LBB480_410:
	s_mov_b32 s0, -1
                                        ; implicit-def: $vgpr3
	s_branch .LBB480_415
.LBB480_411:
	s_mov_b32 s0, -1
                                        ; implicit-def: $vgpr3
.LBB480_412:
	s_delay_alu instid0(SALU_CYCLE_1)
	s_and_not1_b32 vcc_lo, exec_lo, s0
	s_cbranch_vccnz .LBB480_414
; %bb.413:
	global_load_u16 v3, v[0:1], off
	s_waitcnt vmcnt(0)
	v_cvt_f16_u16_e32 v3, v3
.LBB480_414:
	s_mov_b32 s0, 0
.LBB480_415:
	s_delay_alu instid0(SALU_CYCLE_1)
	s_and_not1_b32 vcc_lo, exec_lo, s0
	s_cbranch_vccnz .LBB480_423
; %bb.416:
	global_load_u8 v4, v[0:1], off
	s_mov_b32 s0, 0
	s_mov_b32 s19, exec_lo
                                        ; implicit-def: $sgpr17
	s_waitcnt vmcnt(0)
	v_cmpx_lt_i16_e32 0x7f, v4
	s_xor_b32 s19, exec_lo, s19
	s_cbranch_execz .LBB480_437
; %bb.417:
	s_mov_b32 s0, -1
	s_mov_b32 s20, exec_lo
                                        ; implicit-def: $sgpr17
	v_cmpx_eq_u16_e32 0x80, v4
; %bb.418:
	s_movk_i32 s17, 0x7e00
	s_xor_b32 s0, exec_lo, -1
; %bb.419:
	s_or_b32 exec_lo, exec_lo, s20
	s_delay_alu instid0(SALU_CYCLE_1)
	s_and_b32 s0, s0, exec_lo
	s_or_saveexec_b32 s19, s19
	v_mov_b32_e32 v3, s17
	s_xor_b32 exec_lo, exec_lo, s19
	s_cbranch_execnz .LBB480_438
.LBB480_420:
	s_or_b32 exec_lo, exec_lo, s19
	s_and_saveexec_b32 s17, s0
	s_cbranch_execz .LBB480_422
.LBB480_421:
	v_and_b32_e32 v3, 0xffff, v4
	s_delay_alu instid0(VALU_DEP_1) | instskip(NEXT) | instid1(VALU_DEP_1)
	v_and_b32_e32 v5, 7, v3
	v_clz_i32_u32_e32 v6, v5
	s_delay_alu instid0(VALU_DEP_1) | instskip(NEXT) | instid1(VALU_DEP_1)
	v_min_u32_e32 v6, 32, v6
	v_subrev_nc_u32_e32 v7, 28, v6
	v_sub_nc_u32_e32 v6, 29, v6
	s_delay_alu instid0(VALU_DEP_2) | instskip(SKIP_1) | instid1(VALU_DEP_2)
	v_lshlrev_b32_e32 v7, v7, v3
	v_bfe_u32 v3, v3, 3, 4
	v_and_b32_e32 v7, 7, v7
	s_delay_alu instid0(VALU_DEP_2) | instskip(SKIP_1) | instid1(VALU_DEP_1)
	v_cmp_eq_u32_e32 vcc_lo, 0, v3
	v_dual_cndmask_b32 v3, v3, v6 :: v_dual_lshlrev_b32 v4, 24, v4
	v_dual_cndmask_b32 v5, v5, v7 :: v_dual_and_b32 v4, 0x80000000, v4
	s_delay_alu instid0(VALU_DEP_2) | instskip(NEXT) | instid1(VALU_DEP_2)
	v_lshl_add_u32 v3, v3, 23, 0x3b800000
	v_lshlrev_b32_e32 v5, 20, v5
	s_delay_alu instid0(VALU_DEP_1) | instskip(NEXT) | instid1(VALU_DEP_1)
	v_or3_b32 v3, v4, v3, v5
	v_cvt_f16_f32_e32 v3, v3
.LBB480_422:
	s_or_b32 exec_lo, exec_lo, s17
.LBB480_423:
	s_mov_b32 s0, -1
.LBB480_424:
	s_mov_b32 s17, 0
.LBB480_425:
	s_delay_alu instid0(SALU_CYCLE_1)
	s_and_b32 vcc_lo, exec_lo, s17
	s_cbranch_vccz .LBB480_460
; %bb.426:
	v_cmp_gt_i16_e64 s17, s9, 22
	s_delay_alu instid0(VALU_DEP_1)
	s_and_b32 vcc_lo, exec_lo, s17
	s_cbranch_vccz .LBB480_436
; %bb.427:
	v_cmp_lt_i16_e64 s0, s9, 24
	s_delay_alu instid0(VALU_DEP_1)
	s_and_b32 vcc_lo, exec_lo, s0
	s_cbranch_vccnz .LBB480_439
; %bb.428:
	v_cmp_gt_i16_e64 s0, s9, 24
	s_delay_alu instid0(VALU_DEP_1)
	s_and_b32 vcc_lo, exec_lo, s0
	s_cbranch_vccz .LBB480_440
; %bb.429:
	global_load_u8 v4, v[0:1], off
	s_mov_b32 s0, 0
	s_mov_b32 s19, exec_lo
                                        ; implicit-def: $sgpr17
	s_waitcnt vmcnt(0)
	v_cmpx_lt_i16_e32 0x7f, v4
	s_xor_b32 s19, exec_lo, s19
	s_cbranch_execz .LBB480_452
; %bb.430:
	s_mov_b32 s0, -1
	s_mov_b32 s20, exec_lo
                                        ; implicit-def: $sgpr17
	v_cmpx_eq_u16_e32 0x80, v4
; %bb.431:
	s_movk_i32 s17, 0x7e00
	s_xor_b32 s0, exec_lo, -1
; %bb.432:
	s_or_b32 exec_lo, exec_lo, s20
	s_delay_alu instid0(SALU_CYCLE_1)
	s_and_b32 s0, s0, exec_lo
	s_or_saveexec_b32 s19, s19
	v_mov_b32_e32 v3, s17
	s_xor_b32 exec_lo, exec_lo, s19
	s_cbranch_execnz .LBB480_453
.LBB480_433:
	s_or_b32 exec_lo, exec_lo, s19
	s_and_saveexec_b32 s17, s0
	s_cbranch_execz .LBB480_435
.LBB480_434:
	v_and_b32_e32 v3, 0xffff, v4
	s_delay_alu instid0(VALU_DEP_1) | instskip(NEXT) | instid1(VALU_DEP_1)
	v_and_b32_e32 v5, 3, v3
	v_clz_i32_u32_e32 v6, v5
	s_delay_alu instid0(VALU_DEP_1) | instskip(NEXT) | instid1(VALU_DEP_1)
	v_min_u32_e32 v6, 32, v6
	v_subrev_nc_u32_e32 v7, 29, v6
	v_sub_nc_u32_e32 v6, 30, v6
	s_delay_alu instid0(VALU_DEP_2) | instskip(SKIP_1) | instid1(VALU_DEP_2)
	v_lshlrev_b32_e32 v7, v7, v3
	v_bfe_u32 v3, v3, 2, 5
	v_and_b32_e32 v7, 3, v7
	s_delay_alu instid0(VALU_DEP_2) | instskip(SKIP_1) | instid1(VALU_DEP_1)
	v_cmp_eq_u32_e32 vcc_lo, 0, v3
	v_dual_cndmask_b32 v3, v3, v6 :: v_dual_lshlrev_b32 v4, 24, v4
	v_dual_cndmask_b32 v5, v5, v7 :: v_dual_and_b32 v4, 0x80000000, v4
	s_delay_alu instid0(VALU_DEP_2) | instskip(NEXT) | instid1(VALU_DEP_2)
	v_lshl_add_u32 v3, v3, 23, 0x37800000
	v_lshlrev_b32_e32 v5, 21, v5
	s_delay_alu instid0(VALU_DEP_1) | instskip(NEXT) | instid1(VALU_DEP_1)
	v_or3_b32 v3, v4, v3, v5
	v_cvt_f16_f32_e32 v3, v3
.LBB480_435:
	s_or_b32 exec_lo, exec_lo, s17
	s_mov_b32 s0, 0
	s_branch .LBB480_441
.LBB480_436:
	s_mov_b32 s17, -1
                                        ; implicit-def: $vgpr3
	s_branch .LBB480_447
.LBB480_437:
	s_or_saveexec_b32 s19, s19
	v_mov_b32_e32 v3, s17
	s_xor_b32 exec_lo, exec_lo, s19
	s_cbranch_execz .LBB480_420
.LBB480_438:
	v_cmp_ne_u16_e32 vcc_lo, 0, v4
	v_mov_b32_e32 v3, v4
	s_and_not1_b32 s0, s0, exec_lo
	s_and_b32 s17, vcc_lo, exec_lo
	s_delay_alu instid0(SALU_CYCLE_1)
	s_or_b32 s0, s0, s17
	s_or_b32 exec_lo, exec_lo, s19
	s_and_saveexec_b32 s17, s0
	s_cbranch_execnz .LBB480_421
	s_branch .LBB480_422
.LBB480_439:
	s_mov_b32 s0, -1
                                        ; implicit-def: $vgpr3
	s_branch .LBB480_444
.LBB480_440:
	s_mov_b32 s0, -1
                                        ; implicit-def: $vgpr3
.LBB480_441:
	s_delay_alu instid0(SALU_CYCLE_1)
	s_and_b32 vcc_lo, exec_lo, s0
	s_cbranch_vccz .LBB480_443
; %bb.442:
	global_load_u8 v3, v[0:1], off
	s_waitcnt vmcnt(0)
	v_lshlrev_b32_e32 v3, 24, v3
	s_delay_alu instid0(VALU_DEP_1) | instskip(NEXT) | instid1(VALU_DEP_1)
	v_and_b32_e32 v4, 0x7f000000, v3
	v_clz_i32_u32_e32 v5, v4
	v_add_nc_u32_e32 v7, 0x1000000, v4
	v_cmp_ne_u32_e32 vcc_lo, 0, v4
	s_delay_alu instid0(VALU_DEP_3) | instskip(NEXT) | instid1(VALU_DEP_1)
	v_min_u32_e32 v5, 32, v5
	v_sub_nc_u32_e64 v5, v5, 4 clamp
	s_delay_alu instid0(VALU_DEP_1) | instskip(SKIP_1) | instid1(VALU_DEP_2)
	v_lshlrev_b32_e32 v6, v5, v4
	v_lshlrev_b32_e32 v5, 23, v5
	v_lshrrev_b32_e32 v6, 4, v6
	s_delay_alu instid0(VALU_DEP_1) | instskip(SKIP_1) | instid1(VALU_DEP_2)
	v_sub_nc_u32_e32 v5, v6, v5
	v_ashrrev_i32_e32 v6, 8, v7
	v_add_nc_u32_e32 v5, 0x3c000000, v5
	s_delay_alu instid0(VALU_DEP_1) | instskip(NEXT) | instid1(VALU_DEP_1)
	v_and_or_b32 v5, 0x7f800000, v6, v5
	v_cndmask_b32_e32 v4, 0, v5, vcc_lo
	s_delay_alu instid0(VALU_DEP_1) | instskip(NEXT) | instid1(VALU_DEP_1)
	v_and_or_b32 v3, 0x80000000, v3, v4
	v_cvt_f16_f32_e32 v3, v3
.LBB480_443:
	s_mov_b32 s0, 0
.LBB480_444:
	s_delay_alu instid0(SALU_CYCLE_1)
	s_and_not1_b32 vcc_lo, exec_lo, s0
	s_cbranch_vccnz .LBB480_446
; %bb.445:
	global_load_u8 v3, v[0:1], off
	s_waitcnt vmcnt(0)
	v_lshlrev_b32_e32 v4, 25, v3
	v_lshlrev_b16 v3, 8, v3
	s_delay_alu instid0(VALU_DEP_2) | instskip(NEXT) | instid1(VALU_DEP_2)
	v_lshrrev_b32_e32 v5, 4, v4
	v_and_or_b32 v6, 0x7f00, v3, 0.5
	v_bfe_i32 v3, v3, 0, 16
	s_delay_alu instid0(VALU_DEP_3) | instskip(NEXT) | instid1(VALU_DEP_1)
	v_or_b32_e32 v5, 0x70000000, v5
	v_dual_add_f32 v6, -0.5, v6 :: v_dual_mul_f32 v5, 0x7800000, v5
	v_cmp_gt_u32_e32 vcc_lo, 0x8000000, v4
	s_delay_alu instid0(VALU_DEP_2) | instskip(NEXT) | instid1(VALU_DEP_1)
	v_cndmask_b32_e32 v4, v5, v6, vcc_lo
	v_and_or_b32 v3, 0x80000000, v3, v4
	s_delay_alu instid0(VALU_DEP_1)
	v_cvt_f16_f32_e32 v3, v3
.LBB480_446:
	s_mov_b32 s17, 0
	s_mov_b32 s0, -1
.LBB480_447:
	s_and_not1_b32 vcc_lo, exec_lo, s17
	s_cbranch_vccnz .LBB480_460
; %bb.448:
	v_cmp_gt_i16_e64 s17, s9, 14
	s_delay_alu instid0(VALU_DEP_1)
	s_and_b32 vcc_lo, exec_lo, s17
	s_cbranch_vccz .LBB480_451
; %bb.449:
	v_cmp_eq_u16_e64 s16, s9, 15
	s_delay_alu instid0(VALU_DEP_1)
	s_and_b32 vcc_lo, exec_lo, s16
	s_cbranch_vccz .LBB480_454
; %bb.450:
	global_load_u16 v3, v[0:1], off
	s_mov_b32 s0, -1
	s_mov_b32 s16, 0
	s_waitcnt vmcnt(0)
	v_lshlrev_b32_e32 v3, 16, v3
	s_delay_alu instid0(VALU_DEP_1)
	v_cvt_f16_f32_e32 v3, v3
	s_branch .LBB480_455
.LBB480_451:
	s_mov_b32 s17, -1
                                        ; implicit-def: $vgpr3
	s_branch .LBB480_456
.LBB480_452:
	s_or_saveexec_b32 s19, s19
	v_mov_b32_e32 v3, s17
	s_xor_b32 exec_lo, exec_lo, s19
	s_cbranch_execz .LBB480_433
.LBB480_453:
	v_cmp_ne_u16_e32 vcc_lo, 0, v4
	v_mov_b32_e32 v3, v4
	s_and_not1_b32 s0, s0, exec_lo
	s_and_b32 s17, vcc_lo, exec_lo
	s_delay_alu instid0(SALU_CYCLE_1)
	s_or_b32 s0, s0, s17
	s_or_b32 exec_lo, exec_lo, s19
	s_and_saveexec_b32 s17, s0
	s_cbranch_execnz .LBB480_434
	s_branch .LBB480_435
.LBB480_454:
	s_mov_b32 s16, -1
                                        ; implicit-def: $vgpr3
.LBB480_455:
	s_mov_b32 s17, 0
.LBB480_456:
	s_delay_alu instid0(SALU_CYCLE_1)
	s_and_b32 vcc_lo, exec_lo, s17
	s_cbranch_vccz .LBB480_460
; %bb.457:
	v_cmp_eq_u16_e64 s16, s9, 11
	s_delay_alu instid0(VALU_DEP_1)
	s_and_b32 vcc_lo, exec_lo, s16
	s_cbranch_vccz .LBB480_459
; %bb.458:
	global_load_u8 v3, v[0:1], off
	s_mov_b32 s16, 0
	s_mov_b32 s0, -1
	s_waitcnt vmcnt(0)
	v_cmp_ne_u16_e32 vcc_lo, 0, v3
	v_cndmask_b32_e64 v3, 0, 0x3c00, vcc_lo
	s_branch .LBB480_460
.LBB480_459:
	s_mov_b32 s16, -1
                                        ; implicit-def: $vgpr3
.LBB480_460:
	s_branch .LBB480_262
.LBB480_461:
	v_cmp_lt_i16_e64 s0, s9, 5
	s_delay_alu instid0(VALU_DEP_1)
	s_and_b32 vcc_lo, exec_lo, s0
	s_cbranch_vccnz .LBB480_466
; %bb.462:
	v_cmp_lt_i16_e64 s0, s9, 8
	s_delay_alu instid0(VALU_DEP_1)
	s_and_b32 vcc_lo, exec_lo, s0
	s_cbranch_vccnz .LBB480_467
; %bb.463:
	;; [unrolled: 5-line block ×3, first 2 shown]
	v_cmp_gt_i16_e64 s0, s9, 9
	s_delay_alu instid0(VALU_DEP_1)
	s_and_b32 vcc_lo, exec_lo, s0
	s_cbranch_vccz .LBB480_469
; %bb.465:
	global_load_b64 v[3:4], v[0:1], off
	s_mov_b32 s0, 0
	s_waitcnt vmcnt(0)
	v_cvt_f32_f64_e32 v3, v[3:4]
	s_delay_alu instid0(VALU_DEP_1)
	v_cvt_f16_f32_e32 v3, v3
	s_branch .LBB480_470
.LBB480_466:
	s_mov_b32 s0, -1
                                        ; implicit-def: $vgpr3
	s_branch .LBB480_488
.LBB480_467:
	s_mov_b32 s0, -1
                                        ; implicit-def: $vgpr3
	s_branch .LBB480_476
.LBB480_468:
	s_mov_b32 s0, -1
                                        ; implicit-def: $vgpr3
	s_branch .LBB480_473
.LBB480_469:
	s_mov_b32 s0, -1
                                        ; implicit-def: $vgpr3
.LBB480_470:
	s_delay_alu instid0(SALU_CYCLE_1)
	s_and_not1_b32 vcc_lo, exec_lo, s0
	s_cbranch_vccnz .LBB480_472
; %bb.471:
	global_load_b32 v3, v[0:1], off
	s_waitcnt vmcnt(0)
	v_cvt_f16_f32_e32 v3, v3
.LBB480_472:
	s_mov_b32 s0, 0
.LBB480_473:
	s_delay_alu instid0(SALU_CYCLE_1)
	s_and_not1_b32 vcc_lo, exec_lo, s0
	s_cbranch_vccnz .LBB480_475
; %bb.474:
	global_load_b32 v3, v[0:1], off
.LBB480_475:
	s_mov_b32 s0, 0
.LBB480_476:
	s_delay_alu instid0(SALU_CYCLE_1)
	s_and_not1_b32 vcc_lo, exec_lo, s0
	s_cbranch_vccnz .LBB480_487
; %bb.477:
	v_cmp_lt_i16_e64 s0, s9, 6
	s_delay_alu instid0(VALU_DEP_1)
	s_and_b32 vcc_lo, exec_lo, s0
	s_cbranch_vccnz .LBB480_480
; %bb.478:
	v_cmp_gt_i16_e64 s0, s9, 6
	s_delay_alu instid0(VALU_DEP_1)
	s_and_b32 vcc_lo, exec_lo, s0
	s_cbranch_vccz .LBB480_481
; %bb.479:
	global_load_b64 v[3:4], v[0:1], off
	s_mov_b32 s0, 0
	s_waitcnt vmcnt(0)
	v_cvt_f32_f64_e32 v3, v[3:4]
	s_delay_alu instid0(VALU_DEP_1)
	v_cvt_f16_f32_e32 v3, v3
	s_branch .LBB480_482
.LBB480_480:
	s_mov_b32 s0, -1
                                        ; implicit-def: $vgpr3
	s_branch .LBB480_485
.LBB480_481:
	s_mov_b32 s0, -1
                                        ; implicit-def: $vgpr3
.LBB480_482:
	s_delay_alu instid0(SALU_CYCLE_1)
	s_and_not1_b32 vcc_lo, exec_lo, s0
	s_cbranch_vccnz .LBB480_484
; %bb.483:
	global_load_b32 v3, v[0:1], off
	s_waitcnt vmcnt(0)
	v_cvt_f16_f32_e32 v3, v3
.LBB480_484:
	s_mov_b32 s0, 0
.LBB480_485:
	s_delay_alu instid0(SALU_CYCLE_1)
	s_and_not1_b32 vcc_lo, exec_lo, s0
	s_cbranch_vccnz .LBB480_487
; %bb.486:
	global_load_u16 v3, v[0:1], off
.LBB480_487:
	s_mov_b32 s0, 0
.LBB480_488:
	s_delay_alu instid0(SALU_CYCLE_1)
	s_and_not1_b32 vcc_lo, exec_lo, s0
	s_cbranch_vccnz .LBB480_508
; %bb.489:
	v_cmp_lt_i16_e64 s0, s9, 2
	s_delay_alu instid0(VALU_DEP_1)
	s_and_b32 vcc_lo, exec_lo, s0
	s_cbranch_vccnz .LBB480_493
; %bb.490:
	v_cmp_lt_i16_e64 s0, s9, 3
	s_delay_alu instid0(VALU_DEP_1)
	s_and_b32 vcc_lo, exec_lo, s0
	s_cbranch_vccnz .LBB480_494
; %bb.491:
	v_cmp_gt_i16_e64 s0, s9, 3
	s_delay_alu instid0(VALU_DEP_1)
	s_and_b32 vcc_lo, exec_lo, s0
	s_cbranch_vccz .LBB480_495
; %bb.492:
	global_load_b64 v[3:4], v[0:1], off
	s_mov_b32 s0, 0
	s_waitcnt vmcnt(0)
	v_xor_b32_e32 v5, v3, v4
	v_cls_i32_e32 v6, v4
	s_delay_alu instid0(VALU_DEP_2) | instskip(NEXT) | instid1(VALU_DEP_2)
	v_ashrrev_i32_e32 v5, 31, v5
	v_add_nc_u32_e32 v6, -1, v6
	s_delay_alu instid0(VALU_DEP_2) | instskip(NEXT) | instid1(VALU_DEP_1)
	v_add_nc_u32_e32 v5, 32, v5
	v_min_u32_e32 v5, v6, v5
	s_delay_alu instid0(VALU_DEP_1) | instskip(NEXT) | instid1(VALU_DEP_1)
	v_lshlrev_b64 v[3:4], v5, v[3:4]
	v_min_u32_e32 v3, 1, v3
	s_delay_alu instid0(VALU_DEP_1) | instskip(SKIP_1) | instid1(VALU_DEP_2)
	v_or_b32_e32 v3, v4, v3
	v_sub_nc_u32_e32 v4, 32, v5
	v_cvt_f32_i32_e32 v3, v3
	s_delay_alu instid0(VALU_DEP_1) | instskip(NEXT) | instid1(VALU_DEP_1)
	v_ldexp_f32 v3, v3, v4
	v_cvt_f16_f32_e32 v3, v3
	s_branch .LBB480_496
.LBB480_493:
	s_mov_b32 s0, -1
                                        ; implicit-def: $vgpr3
	s_branch .LBB480_502
.LBB480_494:
	s_mov_b32 s0, -1
                                        ; implicit-def: $vgpr3
	s_branch .LBB480_499
.LBB480_495:
	s_mov_b32 s0, -1
                                        ; implicit-def: $vgpr3
.LBB480_496:
	s_delay_alu instid0(SALU_CYCLE_1)
	s_and_not1_b32 vcc_lo, exec_lo, s0
	s_cbranch_vccnz .LBB480_498
; %bb.497:
	global_load_b32 v3, v[0:1], off
	s_waitcnt vmcnt(0)
	v_cvt_f32_i32_e32 v3, v3
	s_delay_alu instid0(VALU_DEP_1)
	v_cvt_f16_f32_e32 v3, v3
.LBB480_498:
	s_mov_b32 s0, 0
.LBB480_499:
	s_delay_alu instid0(SALU_CYCLE_1)
	s_and_not1_b32 vcc_lo, exec_lo, s0
	s_cbranch_vccnz .LBB480_501
; %bb.500:
	global_load_u16 v3, v[0:1], off
	s_waitcnt vmcnt(0)
	v_cvt_f16_i16_e32 v3, v3
.LBB480_501:
	s_mov_b32 s0, 0
.LBB480_502:
	s_delay_alu instid0(SALU_CYCLE_1)
	s_and_not1_b32 vcc_lo, exec_lo, s0
	s_cbranch_vccnz .LBB480_508
; %bb.503:
	v_cmp_gt_i16_e64 s0, s9, 0
	s_delay_alu instid0(VALU_DEP_1)
	s_and_b32 vcc_lo, exec_lo, s0
	s_mov_b32 s0, 0
	s_cbranch_vccz .LBB480_505
; %bb.504:
	global_load_i8 v3, v[0:1], off
	s_waitcnt vmcnt(0)
	v_cvt_f16_i16_e32 v3, v3
	s_branch .LBB480_506
.LBB480_505:
	s_mov_b32 s0, -1
                                        ; implicit-def: $vgpr3
.LBB480_506:
	s_delay_alu instid0(SALU_CYCLE_1)
	s_and_not1_b32 vcc_lo, exec_lo, s0
	s_cbranch_vccnz .LBB480_508
; %bb.507:
	global_load_u8 v0, v[0:1], off
	s_waitcnt vmcnt(0)
	v_cvt_f16_u16_e32 v3, v0
.LBB480_508:
	s_branch .LBB480_263
.LBB480_509:
	s_mov_b32 s19, 0
	s_mov_b32 s0, s12
.LBB480_510:
                                        ; implicit-def: $vgpr2
.LBB480_511:
	s_and_not1_b32 s17, s12, exec_lo
	s_and_b32 s0, s0, exec_lo
	s_and_not1_b32 s20, s14, exec_lo
	s_and_b32 s16, s16, exec_lo
	s_or_b32 s17, s17, s0
	s_or_b32 s16, s20, s16
	s_or_not1_b32 s0, s19, exec_lo
.LBB480_512:
	s_or_b32 exec_lo, exec_lo, s18
	s_mov_b32 s19, 0
	s_mov_b32 s20, 0
	;; [unrolled: 1-line block ×3, first 2 shown]
                                        ; implicit-def: $vgpr0_vgpr1
                                        ; implicit-def: $vgpr5
	s_and_saveexec_b32 s18, s0
	s_cbranch_execz .LBB480_859
; %bb.513:
	s_mov_b32 s21, -1
	s_mov_b32 s0, s16
	s_mov_b32 s20, s17
	s_mov_b32 s19, exec_lo
	v_cmpx_gt_i32_e64 s13, v2
	s_cbranch_execz .LBB480_773
; %bb.514:
	v_mul_lo_u32 v0, v2, s3
	v_cmp_lt_i16_e64 s0, s9, 11
	s_delay_alu instid0(VALU_DEP_2) | instskip(SKIP_1) | instid1(VALU_DEP_2)
	v_ashrrev_i32_e32 v1, 31, v0
	v_add_co_u32 v0, vcc_lo, s6, v0
	v_add_co_ci_u32_e32 v1, vcc_lo, s7, v1, vcc_lo
	s_delay_alu instid0(VALU_DEP_4)
	s_and_b32 vcc_lo, exec_lo, s0
	s_cbranch_vccnz .LBB480_521
; %bb.515:
	v_cmp_gt_i16_e64 s0, s9, 25
	s_delay_alu instid0(VALU_DEP_1)
	s_and_b32 vcc_lo, exec_lo, s0
	s_cbranch_vccz .LBB480_522
; %bb.516:
	v_cmp_gt_i16_e64 s0, s9, 28
	s_delay_alu instid0(VALU_DEP_1)
	s_and_b32 vcc_lo, exec_lo, s0
	s_cbranch_vccz .LBB480_523
	;; [unrolled: 5-line block ×4, first 2 shown]
; %bb.519:
	v_cmp_eq_u16_e64 s0, s9, 46
	s_mov_b32 s21, 0
	s_delay_alu instid0(VALU_DEP_1)
	s_and_b32 vcc_lo, exec_lo, s0
	s_cbranch_vccz .LBB480_530
; %bb.520:
	global_load_b32 v3, v[0:1], off
	s_mov_b32 s0, -1
	s_mov_b32 s20, 0
	s_waitcnt vmcnt(0)
	v_lshlrev_b32_e32 v3, 16, v3
	s_delay_alu instid0(VALU_DEP_1)
	v_cvt_f16_f32_e32 v3, v3
	s_branch .LBB480_532
.LBB480_521:
	s_mov_b32 s0, 0
	s_mov_b32 s20, s16
                                        ; implicit-def: $vgpr3
	s_branch .LBB480_597
.LBB480_522:
	s_mov_b32 s0, 0
	s_mov_b32 s20, s16
                                        ; implicit-def: $vgpr3
	s_branch .LBB480_561
.LBB480_523:
	s_mov_b32 s0, 0
	s_mov_b32 s20, s16
                                        ; implicit-def: $vgpr3
	s_branch .LBB480_542
.LBB480_524:
	s_mov_b32 s0, 0
	s_mov_b32 s20, s16
                                        ; implicit-def: $vgpr3
	s_branch .LBB480_537
.LBB480_525:
	s_or_saveexec_b32 s20, s20
                                        ; implicit-def: $sgpr21
	s_delay_alu instid0(SALU_CYCLE_1)
	s_xor_b32 exec_lo, exec_lo, s20
	s_cbranch_execz .LBB480_309
.LBB480_526:
	v_add_f32_e64 v6, 0x46000000, |v5|
	s_and_not1_b32 s19, s19, exec_lo
	s_mov_b32 s21, 0
	s_delay_alu instid0(VALU_DEP_1) | instskip(NEXT) | instid1(VALU_DEP_1)
	v_and_b32_e32 v6, 0xff, v6
	v_cmp_ne_u32_e32 vcc_lo, 0, v6
	s_and_b32 s22, vcc_lo, exec_lo
	s_delay_alu instid0(SALU_CYCLE_1)
	s_or_b32 s19, s19, s22
	s_or_b32 exec_lo, exec_lo, s20
	v_mov_b32_e32 v7, s21
	s_and_saveexec_b32 s20, s19
	s_cbranch_execnz .LBB480_310
	s_branch .LBB480_311
.LBB480_527:
	s_mov_b32 s0, 0
	s_mov_b32 s20, s16
	s_branch .LBB480_531
.LBB480_528:
	s_or_saveexec_b32 s20, s20
                                        ; implicit-def: $sgpr21
	s_delay_alu instid0(SALU_CYCLE_1)
	s_xor_b32 exec_lo, exec_lo, s20
	s_cbranch_execz .LBB480_322
.LBB480_529:
	v_add_f32_e64 v6, 0x42800000, |v5|
	s_and_not1_b32 s19, s19, exec_lo
	s_mov_b32 s21, 0
	s_delay_alu instid0(VALU_DEP_1) | instskip(NEXT) | instid1(VALU_DEP_1)
	v_and_b32_e32 v6, 0xff, v6
	v_cmp_ne_u32_e32 vcc_lo, 0, v6
	s_and_b32 s22, vcc_lo, exec_lo
	s_delay_alu instid0(SALU_CYCLE_1)
	s_or_b32 s19, s19, s22
	s_or_b32 exec_lo, exec_lo, s20
	v_mov_b32_e32 v7, s21
	s_and_saveexec_b32 s20, s19
	s_cbranch_execnz .LBB480_323
	s_branch .LBB480_324
.LBB480_530:
	s_mov_b32 s20, -1
	s_mov_b32 s0, 0
.LBB480_531:
                                        ; implicit-def: $vgpr3
.LBB480_532:
	s_and_b32 vcc_lo, exec_lo, s21
	s_cbranch_vccz .LBB480_536
; %bb.533:
	v_cmp_eq_u16_e64 s20, s9, 44
	s_delay_alu instid0(VALU_DEP_1)
	s_and_b32 vcc_lo, exec_lo, s20
	s_cbranch_vccz .LBB480_535
; %bb.534:
	global_load_u8 v3, v[0:1], off
	s_mov_b32 s20, 0
	s_mov_b32 s0, -1
	s_waitcnt vmcnt(0)
	v_lshlrev_b32_e32 v4, 23, v3
	v_cmp_ne_u32_e32 vcc_lo, 0xff, v3
	s_delay_alu instid0(VALU_DEP_2) | instskip(NEXT) | instid1(VALU_DEP_1)
	v_cvt_f16_f32_e32 v4, v4
	v_cndmask_b32_e32 v4, 0x7e00, v4, vcc_lo
	v_cmp_ne_u32_e32 vcc_lo, 0, v3
	s_delay_alu instid0(VALU_DEP_2)
	v_cndmask_b32_e32 v3, 0, v4, vcc_lo
	s_branch .LBB480_536
.LBB480_535:
	s_mov_b32 s20, -1
                                        ; implicit-def: $vgpr3
.LBB480_536:
	s_mov_b32 s21, 0
.LBB480_537:
	s_delay_alu instid0(SALU_CYCLE_1)
	s_and_b32 vcc_lo, exec_lo, s21
	s_cbranch_vccz .LBB480_541
; %bb.538:
	v_cmp_eq_u16_e64 s20, s9, 29
	s_delay_alu instid0(VALU_DEP_1)
	s_and_b32 vcc_lo, exec_lo, s20
	s_cbranch_vccz .LBB480_540
; %bb.539:
	global_load_b64 v[3:4], v[0:1], off
	s_mov_b32 s0, -1
	s_mov_b32 s20, 0
	s_mov_b32 s21, 0
	s_waitcnt vmcnt(0)
	v_clz_i32_u32_e32 v5, v4
	s_delay_alu instid0(VALU_DEP_1) | instskip(NEXT) | instid1(VALU_DEP_1)
	v_min_u32_e32 v5, 32, v5
	v_lshlrev_b64 v[3:4], v5, v[3:4]
	s_delay_alu instid0(VALU_DEP_1) | instskip(NEXT) | instid1(VALU_DEP_1)
	v_min_u32_e32 v3, 1, v3
	v_or_b32_e32 v3, v4, v3
	v_sub_nc_u32_e32 v4, 32, v5
	s_delay_alu instid0(VALU_DEP_2) | instskip(NEXT) | instid1(VALU_DEP_1)
	v_cvt_f32_u32_e32 v3, v3
	v_ldexp_f32 v3, v3, v4
	s_delay_alu instid0(VALU_DEP_1)
	v_cvt_f16_f32_e32 v3, v3
	s_branch .LBB480_542
.LBB480_540:
	s_mov_b32 s20, -1
                                        ; implicit-def: $vgpr3
.LBB480_541:
	s_mov_b32 s21, 0
.LBB480_542:
	s_delay_alu instid0(SALU_CYCLE_1)
	s_and_b32 vcc_lo, exec_lo, s21
	s_cbranch_vccz .LBB480_560
; %bb.543:
	v_cmp_lt_i16_e64 s0, s9, 27
	s_delay_alu instid0(VALU_DEP_1)
	s_and_b32 vcc_lo, exec_lo, s0
	s_cbranch_vccnz .LBB480_546
; %bb.544:
	v_cmp_gt_i16_e64 s0, s9, 27
	s_delay_alu instid0(VALU_DEP_1)
	s_and_b32 vcc_lo, exec_lo, s0
	s_cbranch_vccz .LBB480_547
; %bb.545:
	global_load_b32 v3, v[0:1], off
	s_mov_b32 s0, 0
	s_waitcnt vmcnt(0)
	v_cvt_f32_u32_e32 v3, v3
	s_delay_alu instid0(VALU_DEP_1)
	v_cvt_f16_f32_e32 v3, v3
	s_branch .LBB480_548
.LBB480_546:
	s_mov_b32 s0, -1
                                        ; implicit-def: $vgpr3
	s_branch .LBB480_551
.LBB480_547:
	s_mov_b32 s0, -1
                                        ; implicit-def: $vgpr3
.LBB480_548:
	s_delay_alu instid0(SALU_CYCLE_1)
	s_and_not1_b32 vcc_lo, exec_lo, s0
	s_cbranch_vccnz .LBB480_550
; %bb.549:
	global_load_u16 v3, v[0:1], off
	s_waitcnt vmcnt(0)
	v_cvt_f16_u16_e32 v3, v3
.LBB480_550:
	s_mov_b32 s0, 0
.LBB480_551:
	s_delay_alu instid0(SALU_CYCLE_1)
	s_and_not1_b32 vcc_lo, exec_lo, s0
	s_cbranch_vccnz .LBB480_559
; %bb.552:
	global_load_u8 v4, v[0:1], off
	s_mov_b32 s0, 0
	s_mov_b32 s22, exec_lo
                                        ; implicit-def: $sgpr21
	s_waitcnt vmcnt(0)
	v_cmpx_lt_i16_e32 0x7f, v4
	s_xor_b32 s22, exec_lo, s22
	s_cbranch_execz .LBB480_573
; %bb.553:
	s_mov_b32 s0, -1
	s_mov_b32 s23, exec_lo
                                        ; implicit-def: $sgpr21
	v_cmpx_eq_u16_e32 0x80, v4
; %bb.554:
	s_movk_i32 s21, 0x7e00
	s_xor_b32 s0, exec_lo, -1
; %bb.555:
	s_or_b32 exec_lo, exec_lo, s23
	s_delay_alu instid0(SALU_CYCLE_1)
	s_and_b32 s0, s0, exec_lo
	s_or_saveexec_b32 s22, s22
	v_mov_b32_e32 v3, s21
	s_xor_b32 exec_lo, exec_lo, s22
	s_cbranch_execnz .LBB480_574
.LBB480_556:
	s_or_b32 exec_lo, exec_lo, s22
	s_and_saveexec_b32 s21, s0
	s_cbranch_execz .LBB480_558
.LBB480_557:
	v_and_b32_e32 v3, 0xffff, v4
	s_delay_alu instid0(VALU_DEP_1) | instskip(NEXT) | instid1(VALU_DEP_1)
	v_and_b32_e32 v5, 7, v3
	v_clz_i32_u32_e32 v6, v5
	s_delay_alu instid0(VALU_DEP_1) | instskip(NEXT) | instid1(VALU_DEP_1)
	v_min_u32_e32 v6, 32, v6
	v_subrev_nc_u32_e32 v7, 28, v6
	v_sub_nc_u32_e32 v6, 29, v6
	s_delay_alu instid0(VALU_DEP_2) | instskip(SKIP_1) | instid1(VALU_DEP_2)
	v_lshlrev_b32_e32 v7, v7, v3
	v_bfe_u32 v3, v3, 3, 4
	v_and_b32_e32 v7, 7, v7
	s_delay_alu instid0(VALU_DEP_2) | instskip(SKIP_1) | instid1(VALU_DEP_1)
	v_cmp_eq_u32_e32 vcc_lo, 0, v3
	v_dual_cndmask_b32 v3, v3, v6 :: v_dual_lshlrev_b32 v4, 24, v4
	v_dual_cndmask_b32 v5, v5, v7 :: v_dual_and_b32 v4, 0x80000000, v4
	s_delay_alu instid0(VALU_DEP_2) | instskip(NEXT) | instid1(VALU_DEP_2)
	v_lshl_add_u32 v3, v3, 23, 0x3b800000
	v_lshlrev_b32_e32 v5, 20, v5
	s_delay_alu instid0(VALU_DEP_1) | instskip(NEXT) | instid1(VALU_DEP_1)
	v_or3_b32 v3, v4, v3, v5
	v_cvt_f16_f32_e32 v3, v3
.LBB480_558:
	s_or_b32 exec_lo, exec_lo, s21
.LBB480_559:
	s_mov_b32 s0, -1
.LBB480_560:
	s_mov_b32 s21, 0
.LBB480_561:
	s_delay_alu instid0(SALU_CYCLE_1)
	s_and_b32 vcc_lo, exec_lo, s21
	s_cbranch_vccz .LBB480_596
; %bb.562:
	v_cmp_gt_i16_e64 s21, s9, 22
	s_delay_alu instid0(VALU_DEP_1)
	s_and_b32 vcc_lo, exec_lo, s21
	s_cbranch_vccz .LBB480_572
; %bb.563:
	v_cmp_lt_i16_e64 s0, s9, 24
	s_delay_alu instid0(VALU_DEP_1)
	s_and_b32 vcc_lo, exec_lo, s0
	s_cbranch_vccnz .LBB480_575
; %bb.564:
	v_cmp_gt_i16_e64 s0, s9, 24
	s_delay_alu instid0(VALU_DEP_1)
	s_and_b32 vcc_lo, exec_lo, s0
	s_cbranch_vccz .LBB480_576
; %bb.565:
	global_load_u8 v4, v[0:1], off
	s_mov_b32 s0, 0
	s_mov_b32 s22, exec_lo
                                        ; implicit-def: $sgpr21
	s_waitcnt vmcnt(0)
	v_cmpx_lt_i16_e32 0x7f, v4
	s_xor_b32 s22, exec_lo, s22
	s_cbranch_execz .LBB480_588
; %bb.566:
	s_mov_b32 s0, -1
	s_mov_b32 s23, exec_lo
                                        ; implicit-def: $sgpr21
	v_cmpx_eq_u16_e32 0x80, v4
; %bb.567:
	s_movk_i32 s21, 0x7e00
	s_xor_b32 s0, exec_lo, -1
; %bb.568:
	s_or_b32 exec_lo, exec_lo, s23
	s_delay_alu instid0(SALU_CYCLE_1)
	s_and_b32 s0, s0, exec_lo
	s_or_saveexec_b32 s22, s22
	v_mov_b32_e32 v3, s21
	s_xor_b32 exec_lo, exec_lo, s22
	s_cbranch_execnz .LBB480_589
.LBB480_569:
	s_or_b32 exec_lo, exec_lo, s22
	s_and_saveexec_b32 s21, s0
	s_cbranch_execz .LBB480_571
.LBB480_570:
	v_and_b32_e32 v3, 0xffff, v4
	s_delay_alu instid0(VALU_DEP_1) | instskip(NEXT) | instid1(VALU_DEP_1)
	v_and_b32_e32 v5, 3, v3
	v_clz_i32_u32_e32 v6, v5
	s_delay_alu instid0(VALU_DEP_1) | instskip(NEXT) | instid1(VALU_DEP_1)
	v_min_u32_e32 v6, 32, v6
	v_subrev_nc_u32_e32 v7, 29, v6
	v_sub_nc_u32_e32 v6, 30, v6
	s_delay_alu instid0(VALU_DEP_2) | instskip(SKIP_1) | instid1(VALU_DEP_2)
	v_lshlrev_b32_e32 v7, v7, v3
	v_bfe_u32 v3, v3, 2, 5
	v_and_b32_e32 v7, 3, v7
	s_delay_alu instid0(VALU_DEP_2) | instskip(SKIP_1) | instid1(VALU_DEP_1)
	v_cmp_eq_u32_e32 vcc_lo, 0, v3
	v_dual_cndmask_b32 v3, v3, v6 :: v_dual_lshlrev_b32 v4, 24, v4
	v_dual_cndmask_b32 v5, v5, v7 :: v_dual_and_b32 v4, 0x80000000, v4
	s_delay_alu instid0(VALU_DEP_2) | instskip(NEXT) | instid1(VALU_DEP_2)
	v_lshl_add_u32 v3, v3, 23, 0x37800000
	v_lshlrev_b32_e32 v5, 21, v5
	s_delay_alu instid0(VALU_DEP_1) | instskip(NEXT) | instid1(VALU_DEP_1)
	v_or3_b32 v3, v4, v3, v5
	v_cvt_f16_f32_e32 v3, v3
.LBB480_571:
	s_or_b32 exec_lo, exec_lo, s21
	s_mov_b32 s0, 0
	s_branch .LBB480_577
.LBB480_572:
	s_mov_b32 s21, -1
                                        ; implicit-def: $vgpr3
	s_branch .LBB480_583
.LBB480_573:
	s_or_saveexec_b32 s22, s22
	v_mov_b32_e32 v3, s21
	s_xor_b32 exec_lo, exec_lo, s22
	s_cbranch_execz .LBB480_556
.LBB480_574:
	v_cmp_ne_u16_e32 vcc_lo, 0, v4
	v_mov_b32_e32 v3, v4
	s_and_not1_b32 s0, s0, exec_lo
	s_and_b32 s21, vcc_lo, exec_lo
	s_delay_alu instid0(SALU_CYCLE_1)
	s_or_b32 s0, s0, s21
	s_or_b32 exec_lo, exec_lo, s22
	s_and_saveexec_b32 s21, s0
	s_cbranch_execnz .LBB480_557
	s_branch .LBB480_558
.LBB480_575:
	s_mov_b32 s0, -1
                                        ; implicit-def: $vgpr3
	s_branch .LBB480_580
.LBB480_576:
	s_mov_b32 s0, -1
                                        ; implicit-def: $vgpr3
.LBB480_577:
	s_delay_alu instid0(SALU_CYCLE_1)
	s_and_b32 vcc_lo, exec_lo, s0
	s_cbranch_vccz .LBB480_579
; %bb.578:
	global_load_u8 v3, v[0:1], off
	s_waitcnt vmcnt(0)
	v_lshlrev_b32_e32 v3, 24, v3
	s_delay_alu instid0(VALU_DEP_1) | instskip(NEXT) | instid1(VALU_DEP_1)
	v_and_b32_e32 v4, 0x7f000000, v3
	v_clz_i32_u32_e32 v5, v4
	v_add_nc_u32_e32 v7, 0x1000000, v4
	v_cmp_ne_u32_e32 vcc_lo, 0, v4
	s_delay_alu instid0(VALU_DEP_3) | instskip(NEXT) | instid1(VALU_DEP_1)
	v_min_u32_e32 v5, 32, v5
	v_sub_nc_u32_e64 v5, v5, 4 clamp
	s_delay_alu instid0(VALU_DEP_1) | instskip(SKIP_1) | instid1(VALU_DEP_2)
	v_lshlrev_b32_e32 v6, v5, v4
	v_lshlrev_b32_e32 v5, 23, v5
	v_lshrrev_b32_e32 v6, 4, v6
	s_delay_alu instid0(VALU_DEP_1) | instskip(SKIP_1) | instid1(VALU_DEP_2)
	v_sub_nc_u32_e32 v5, v6, v5
	v_ashrrev_i32_e32 v6, 8, v7
	v_add_nc_u32_e32 v5, 0x3c000000, v5
	s_delay_alu instid0(VALU_DEP_1) | instskip(NEXT) | instid1(VALU_DEP_1)
	v_and_or_b32 v5, 0x7f800000, v6, v5
	v_cndmask_b32_e32 v4, 0, v5, vcc_lo
	s_delay_alu instid0(VALU_DEP_1) | instskip(NEXT) | instid1(VALU_DEP_1)
	v_and_or_b32 v3, 0x80000000, v3, v4
	v_cvt_f16_f32_e32 v3, v3
.LBB480_579:
	s_mov_b32 s0, 0
.LBB480_580:
	s_delay_alu instid0(SALU_CYCLE_1)
	s_and_not1_b32 vcc_lo, exec_lo, s0
	s_cbranch_vccnz .LBB480_582
; %bb.581:
	global_load_u8 v3, v[0:1], off
	s_waitcnt vmcnt(0)
	v_lshlrev_b32_e32 v4, 25, v3
	v_lshlrev_b16 v3, 8, v3
	s_delay_alu instid0(VALU_DEP_2) | instskip(NEXT) | instid1(VALU_DEP_2)
	v_lshrrev_b32_e32 v5, 4, v4
	v_and_or_b32 v6, 0x7f00, v3, 0.5
	v_bfe_i32 v3, v3, 0, 16
	s_delay_alu instid0(VALU_DEP_3) | instskip(NEXT) | instid1(VALU_DEP_1)
	v_or_b32_e32 v5, 0x70000000, v5
	v_dual_add_f32 v6, -0.5, v6 :: v_dual_mul_f32 v5, 0x7800000, v5
	v_cmp_gt_u32_e32 vcc_lo, 0x8000000, v4
	s_delay_alu instid0(VALU_DEP_2) | instskip(NEXT) | instid1(VALU_DEP_1)
	v_cndmask_b32_e32 v4, v5, v6, vcc_lo
	v_and_or_b32 v3, 0x80000000, v3, v4
	s_delay_alu instid0(VALU_DEP_1)
	v_cvt_f16_f32_e32 v3, v3
.LBB480_582:
	s_mov_b32 s21, 0
	s_mov_b32 s0, -1
.LBB480_583:
	s_and_not1_b32 vcc_lo, exec_lo, s21
	s_cbranch_vccnz .LBB480_596
; %bb.584:
	v_cmp_gt_i16_e64 s21, s9, 14
	s_delay_alu instid0(VALU_DEP_1)
	s_and_b32 vcc_lo, exec_lo, s21
	s_cbranch_vccz .LBB480_587
; %bb.585:
	v_cmp_eq_u16_e64 s20, s9, 15
	s_delay_alu instid0(VALU_DEP_1)
	s_and_b32 vcc_lo, exec_lo, s20
	s_cbranch_vccz .LBB480_590
; %bb.586:
	global_load_u16 v3, v[0:1], off
	s_mov_b32 s0, -1
	s_mov_b32 s20, 0
	s_waitcnt vmcnt(0)
	v_lshlrev_b32_e32 v3, 16, v3
	s_delay_alu instid0(VALU_DEP_1)
	v_cvt_f16_f32_e32 v3, v3
	s_branch .LBB480_591
.LBB480_587:
	s_mov_b32 s21, -1
                                        ; implicit-def: $vgpr3
	s_branch .LBB480_592
.LBB480_588:
	s_or_saveexec_b32 s22, s22
	v_mov_b32_e32 v3, s21
	s_xor_b32 exec_lo, exec_lo, s22
	s_cbranch_execz .LBB480_569
.LBB480_589:
	v_cmp_ne_u16_e32 vcc_lo, 0, v4
	v_mov_b32_e32 v3, v4
	s_and_not1_b32 s0, s0, exec_lo
	s_and_b32 s21, vcc_lo, exec_lo
	s_delay_alu instid0(SALU_CYCLE_1)
	s_or_b32 s0, s0, s21
	s_or_b32 exec_lo, exec_lo, s22
	s_and_saveexec_b32 s21, s0
	s_cbranch_execnz .LBB480_570
	s_branch .LBB480_571
.LBB480_590:
	s_mov_b32 s20, -1
                                        ; implicit-def: $vgpr3
.LBB480_591:
	s_mov_b32 s21, 0
.LBB480_592:
	s_delay_alu instid0(SALU_CYCLE_1)
	s_and_b32 vcc_lo, exec_lo, s21
	s_cbranch_vccz .LBB480_596
; %bb.593:
	v_cmp_eq_u16_e64 s20, s9, 11
	s_delay_alu instid0(VALU_DEP_1)
	s_and_b32 vcc_lo, exec_lo, s20
	s_cbranch_vccz .LBB480_595
; %bb.594:
	global_load_u8 v3, v[0:1], off
	s_mov_b32 s20, 0
	s_mov_b32 s0, -1
	s_waitcnt vmcnt(0)
	v_cmp_ne_u16_e32 vcc_lo, 0, v3
	v_cndmask_b32_e64 v3, 0, 0x3c00, vcc_lo
	s_branch .LBB480_596
.LBB480_595:
	s_mov_b32 s20, -1
                                        ; implicit-def: $vgpr3
.LBB480_596:
	s_mov_b32 s21, 0
.LBB480_597:
	s_delay_alu instid0(SALU_CYCLE_1)
	s_and_b32 vcc_lo, exec_lo, s21
	s_cbranch_vccz .LBB480_646
; %bb.598:
	v_cmp_lt_i16_e64 s0, s9, 5
	s_delay_alu instid0(VALU_DEP_1)
	s_and_b32 vcc_lo, exec_lo, s0
	s_cbranch_vccnz .LBB480_603
; %bb.599:
	v_cmp_lt_i16_e64 s0, s9, 8
	s_delay_alu instid0(VALU_DEP_1)
	s_and_b32 vcc_lo, exec_lo, s0
	s_cbranch_vccnz .LBB480_604
	;; [unrolled: 5-line block ×3, first 2 shown]
; %bb.601:
	v_cmp_gt_i16_e64 s0, s9, 9
	s_delay_alu instid0(VALU_DEP_1)
	s_and_b32 vcc_lo, exec_lo, s0
	s_cbranch_vccz .LBB480_606
; %bb.602:
	global_load_b64 v[3:4], v[0:1], off
	s_mov_b32 s0, 0
	s_waitcnt vmcnt(0)
	v_cvt_f32_f64_e32 v3, v[3:4]
	s_delay_alu instid0(VALU_DEP_1)
	v_cvt_f16_f32_e32 v3, v3
	s_branch .LBB480_607
.LBB480_603:
	s_mov_b32 s0, -1
                                        ; implicit-def: $vgpr3
	s_branch .LBB480_625
.LBB480_604:
	s_mov_b32 s0, -1
                                        ; implicit-def: $vgpr3
	s_branch .LBB480_613
.LBB480_605:
	s_mov_b32 s0, -1
                                        ; implicit-def: $vgpr3
	s_branch .LBB480_610
.LBB480_606:
	s_mov_b32 s0, -1
                                        ; implicit-def: $vgpr3
.LBB480_607:
	s_delay_alu instid0(SALU_CYCLE_1)
	s_and_not1_b32 vcc_lo, exec_lo, s0
	s_cbranch_vccnz .LBB480_609
; %bb.608:
	global_load_b32 v3, v[0:1], off
	s_waitcnt vmcnt(0)
	v_cvt_f16_f32_e32 v3, v3
.LBB480_609:
	s_mov_b32 s0, 0
.LBB480_610:
	s_delay_alu instid0(SALU_CYCLE_1)
	s_and_not1_b32 vcc_lo, exec_lo, s0
	s_cbranch_vccnz .LBB480_612
; %bb.611:
	global_load_b32 v3, v[0:1], off
.LBB480_612:
	s_mov_b32 s0, 0
.LBB480_613:
	s_delay_alu instid0(SALU_CYCLE_1)
	s_and_not1_b32 vcc_lo, exec_lo, s0
	s_cbranch_vccnz .LBB480_624
; %bb.614:
	v_cmp_lt_i16_e64 s0, s9, 6
	s_delay_alu instid0(VALU_DEP_1)
	s_and_b32 vcc_lo, exec_lo, s0
	s_cbranch_vccnz .LBB480_617
; %bb.615:
	v_cmp_gt_i16_e64 s0, s9, 6
	s_delay_alu instid0(VALU_DEP_1)
	s_and_b32 vcc_lo, exec_lo, s0
	s_cbranch_vccz .LBB480_618
; %bb.616:
	global_load_b64 v[3:4], v[0:1], off
	s_mov_b32 s0, 0
	s_waitcnt vmcnt(0)
	v_cvt_f32_f64_e32 v3, v[3:4]
	s_delay_alu instid0(VALU_DEP_1)
	v_cvt_f16_f32_e32 v3, v3
	s_branch .LBB480_619
.LBB480_617:
	s_mov_b32 s0, -1
                                        ; implicit-def: $vgpr3
	s_branch .LBB480_622
.LBB480_618:
	s_mov_b32 s0, -1
                                        ; implicit-def: $vgpr3
.LBB480_619:
	s_delay_alu instid0(SALU_CYCLE_1)
	s_and_not1_b32 vcc_lo, exec_lo, s0
	s_cbranch_vccnz .LBB480_621
; %bb.620:
	global_load_b32 v3, v[0:1], off
	s_waitcnt vmcnt(0)
	v_cvt_f16_f32_e32 v3, v3
.LBB480_621:
	s_mov_b32 s0, 0
.LBB480_622:
	s_delay_alu instid0(SALU_CYCLE_1)
	s_and_not1_b32 vcc_lo, exec_lo, s0
	s_cbranch_vccnz .LBB480_624
; %bb.623:
	global_load_u16 v3, v[0:1], off
.LBB480_624:
	s_mov_b32 s0, 0
.LBB480_625:
	s_delay_alu instid0(SALU_CYCLE_1)
	s_and_not1_b32 vcc_lo, exec_lo, s0
	s_cbranch_vccnz .LBB480_645
; %bb.626:
	v_cmp_lt_i16_e64 s0, s9, 2
	s_delay_alu instid0(VALU_DEP_1)
	s_and_b32 vcc_lo, exec_lo, s0
	s_cbranch_vccnz .LBB480_630
; %bb.627:
	v_cmp_lt_i16_e64 s0, s9, 3
	s_delay_alu instid0(VALU_DEP_1)
	s_and_b32 vcc_lo, exec_lo, s0
	s_cbranch_vccnz .LBB480_631
; %bb.628:
	v_cmp_gt_i16_e64 s0, s9, 3
	s_delay_alu instid0(VALU_DEP_1)
	s_and_b32 vcc_lo, exec_lo, s0
	s_cbranch_vccz .LBB480_632
; %bb.629:
	global_load_b64 v[3:4], v[0:1], off
	s_mov_b32 s0, 0
	s_waitcnt vmcnt(0)
	v_xor_b32_e32 v5, v3, v4
	v_cls_i32_e32 v6, v4
	s_delay_alu instid0(VALU_DEP_2) | instskip(NEXT) | instid1(VALU_DEP_2)
	v_ashrrev_i32_e32 v5, 31, v5
	v_add_nc_u32_e32 v6, -1, v6
	s_delay_alu instid0(VALU_DEP_2) | instskip(NEXT) | instid1(VALU_DEP_1)
	v_add_nc_u32_e32 v5, 32, v5
	v_min_u32_e32 v5, v6, v5
	s_delay_alu instid0(VALU_DEP_1) | instskip(NEXT) | instid1(VALU_DEP_1)
	v_lshlrev_b64 v[3:4], v5, v[3:4]
	v_min_u32_e32 v3, 1, v3
	s_delay_alu instid0(VALU_DEP_1) | instskip(SKIP_1) | instid1(VALU_DEP_2)
	v_or_b32_e32 v3, v4, v3
	v_sub_nc_u32_e32 v4, 32, v5
	v_cvt_f32_i32_e32 v3, v3
	s_delay_alu instid0(VALU_DEP_1) | instskip(NEXT) | instid1(VALU_DEP_1)
	v_ldexp_f32 v3, v3, v4
	v_cvt_f16_f32_e32 v3, v3
	s_branch .LBB480_633
.LBB480_630:
	s_mov_b32 s0, -1
                                        ; implicit-def: $vgpr3
	s_branch .LBB480_639
.LBB480_631:
	s_mov_b32 s0, -1
                                        ; implicit-def: $vgpr3
	s_branch .LBB480_636
.LBB480_632:
	s_mov_b32 s0, -1
                                        ; implicit-def: $vgpr3
.LBB480_633:
	s_delay_alu instid0(SALU_CYCLE_1)
	s_and_not1_b32 vcc_lo, exec_lo, s0
	s_cbranch_vccnz .LBB480_635
; %bb.634:
	global_load_b32 v3, v[0:1], off
	s_waitcnt vmcnt(0)
	v_cvt_f32_i32_e32 v3, v3
	s_delay_alu instid0(VALU_DEP_1)
	v_cvt_f16_f32_e32 v3, v3
.LBB480_635:
	s_mov_b32 s0, 0
.LBB480_636:
	s_delay_alu instid0(SALU_CYCLE_1)
	s_and_not1_b32 vcc_lo, exec_lo, s0
	s_cbranch_vccnz .LBB480_638
; %bb.637:
	global_load_u16 v3, v[0:1], off
	s_waitcnt vmcnt(0)
	v_cvt_f16_i16_e32 v3, v3
.LBB480_638:
	s_mov_b32 s0, 0
.LBB480_639:
	s_delay_alu instid0(SALU_CYCLE_1)
	s_and_not1_b32 vcc_lo, exec_lo, s0
	s_cbranch_vccnz .LBB480_645
; %bb.640:
	v_cmp_gt_i16_e64 s0, s9, 0
	s_delay_alu instid0(VALU_DEP_1)
	s_and_b32 vcc_lo, exec_lo, s0
	s_mov_b32 s0, 0
	s_cbranch_vccz .LBB480_642
; %bb.641:
	global_load_i8 v3, v[0:1], off
	s_waitcnt vmcnt(0)
	v_cvt_f16_i16_e32 v3, v3
	s_branch .LBB480_643
.LBB480_642:
	s_mov_b32 s0, -1
                                        ; implicit-def: $vgpr3
.LBB480_643:
	s_delay_alu instid0(SALU_CYCLE_1)
	s_and_not1_b32 vcc_lo, exec_lo, s0
	s_cbranch_vccnz .LBB480_645
; %bb.644:
	global_load_u8 v0, v[0:1], off
	s_waitcnt vmcnt(0)
	v_cvt_f16_u16_e32 v3, v0
.LBB480_645:
	s_mov_b32 s0, -1
.LBB480_646:
	s_delay_alu instid0(SALU_CYCLE_1)
	s_and_not1_b32 vcc_lo, exec_lo, s0
	s_cbranch_vccnz .LBB480_654
; %bb.647:
	v_mul_lo_u32 v0, v2, s2
	s_waitcnt vmcnt(0)
	v_cmp_u_f16_e32 vcc_lo, v3, v3
	v_cmp_gt_f16_e64 s0, s8, v3
	v_and_b32_e64 v4, 0xff, s1
	s_delay_alu instid0(VALU_DEP_2) | instskip(NEXT) | instid1(VALU_DEP_4)
	s_or_b32 vcc_lo, vcc_lo, s0
	v_ashrrev_i32_e32 v1, 31, v0
	v_cndmask_b32_e32 v3, s8, v3, vcc_lo
	s_delay_alu instid0(VALU_DEP_3) | instskip(SKIP_1) | instid1(VALU_DEP_1)
	v_cmp_gt_i16_e32 vcc_lo, 11, v4
	v_add_co_u32 v0, s0, s4, v0
	v_add_co_ci_u32_e64 v1, s0, s5, v1, s0
	s_cbranch_vccnz .LBB480_655
; %bb.648:
	v_cmp_lt_i16_e32 vcc_lo, 25, v4
	s_cbranch_vccz .LBB480_656
; %bb.649:
	v_cmp_lt_i16_e32 vcc_lo, 28, v4
	s_cbranch_vccz .LBB480_657
	;; [unrolled: 3-line block ×4, first 2 shown]
; %bb.652:
	v_cmp_eq_u16_e32 vcc_lo, 46, v4
	s_mov_b32 s22, 0
	s_mov_b32 s0, -1
	s_mov_b32 s21, 0
	s_cbranch_vccz .LBB480_660
; %bb.653:
	v_cvt_f32_f16_e32 v5, v3
	v_cmp_o_f16_e32 vcc_lo, v3, v3
	s_mov_b32 s21, -1
	s_mov_b32 s0, 0
	s_delay_alu instid0(VALU_DEP_2) | instskip(NEXT) | instid1(VALU_DEP_1)
	v_bfe_u32 v6, v5, 16, 1
	v_add3_u32 v5, v5, v6, 0x7fff
	s_delay_alu instid0(VALU_DEP_1) | instskip(NEXT) | instid1(VALU_DEP_1)
	v_lshrrev_b32_e32 v5, 16, v5
	v_cndmask_b32_e32 v5, 0x7fc0, v5, vcc_lo
	global_store_b32 v[0:1], v5, off
	s_branch .LBB480_660
.LBB480_654:
	s_mov_b32 s21, 0
	s_mov_b32 s0, s17
	s_branch .LBB480_771
.LBB480_655:
	s_mov_b32 s22, -1
	s_mov_b32 s21, 0
	s_mov_b32 s0, s17
	s_branch .LBB480_729
.LBB480_656:
	s_mov_b32 s22, -1
	s_mov_b32 s21, 0
	s_mov_b32 s0, s17
	s_branch .LBB480_687
.LBB480_657:
	s_mov_b32 s22, -1
	s_mov_b32 s21, 0
	s_mov_b32 s0, s17
	s_branch .LBB480_670
.LBB480_658:
	s_mov_b32 s22, -1
	s_mov_b32 s21, 0
	s_mov_b32 s0, s17
	s_branch .LBB480_666
.LBB480_659:
	s_mov_b32 s22, -1
	s_mov_b32 s21, 0
	s_mov_b32 s0, s17
.LBB480_660:
	s_and_b32 vcc_lo, exec_lo, s22
	s_cbranch_vccz .LBB480_665
; %bb.661:
	v_cmp_eq_u16_e32 vcc_lo, 44, v4
	s_mov_b32 s0, -1
	s_cbranch_vccz .LBB480_665
; %bb.662:
	v_cvt_f32_f16_e32 v5, v3
	v_mov_b32_e32 v6, 0xff
	s_mov_b32 s21, exec_lo
	s_delay_alu instid0(VALU_DEP_2) | instskip(NEXT) | instid1(VALU_DEP_1)
	v_bfe_u32 v7, v5, 23, 8
	v_cmpx_ne_u32_e32 0xff, v7
; %bb.663:
	v_and_b32_e32 v6, 0x400000, v5
	v_and_or_b32 v7, 0x3fffff, v5, v7
	v_lshrrev_b32_e32 v5, 23, v5
	s_delay_alu instid0(VALU_DEP_3) | instskip(NEXT) | instid1(VALU_DEP_3)
	v_cmp_ne_u32_e32 vcc_lo, 0, v6
	v_cmp_ne_u32_e64 s0, 0, v7
	s_delay_alu instid0(VALU_DEP_1) | instskip(NEXT) | instid1(SALU_CYCLE_1)
	s_and_b32 s0, vcc_lo, s0
	v_cndmask_b32_e64 v6, 0, 1, s0
	s_delay_alu instid0(VALU_DEP_1)
	v_add_nc_u32_e32 v6, v5, v6
; %bb.664:
	s_or_b32 exec_lo, exec_lo, s21
	s_mov_b32 s21, -1
	s_mov_b32 s0, 0
	global_store_b8 v[0:1], v6, off
.LBB480_665:
	s_mov_b32 s22, 0
.LBB480_666:
	s_delay_alu instid0(SALU_CYCLE_1)
	s_and_b32 vcc_lo, exec_lo, s22
	s_cbranch_vccz .LBB480_669
; %bb.667:
	v_cmp_eq_u16_e32 vcc_lo, 29, v4
	s_mov_b32 s0, -1
	s_cbranch_vccz .LBB480_669
; %bb.668:
	v_cvt_f32_f16_e32 v5, v3
	v_mov_b32_e32 v6, 0
	s_mov_b32 s0, 0
	s_mov_b32 s21, -1
	s_mov_b32 s22, 0
	v_cvt_u32_f32_e32 v5, v5
	global_store_b64 v[0:1], v[5:6], off
	s_branch .LBB480_670
.LBB480_669:
	s_mov_b32 s22, 0
.LBB480_670:
	s_delay_alu instid0(SALU_CYCLE_1)
	s_and_b32 vcc_lo, exec_lo, s22
	s_cbranch_vccz .LBB480_686
; %bb.671:
	v_cmp_gt_i16_e32 vcc_lo, 27, v4
	s_mov_b32 s21, -1
	s_cbranch_vccnz .LBB480_677
; %bb.672:
	v_cmp_lt_i16_e32 vcc_lo, 27, v4
	s_cbranch_vccz .LBB480_674
; %bb.673:
	v_cvt_f32_f16_e32 v5, v3
	s_mov_b32 s21, 0
	s_delay_alu instid0(VALU_DEP_1)
	v_cvt_u32_f32_e32 v5, v5
	global_store_b32 v[0:1], v5, off
.LBB480_674:
	s_and_not1_b32 vcc_lo, exec_lo, s21
	s_cbranch_vccnz .LBB480_676
; %bb.675:
	v_cvt_u16_f16_e32 v5, v3
	global_store_b16 v[0:1], v5, off
.LBB480_676:
	s_mov_b32 s21, 0
.LBB480_677:
	s_delay_alu instid0(SALU_CYCLE_1)
	s_and_not1_b32 vcc_lo, exec_lo, s21
	s_cbranch_vccnz .LBB480_685
; %bb.678:
	v_cvt_f32_f16_e32 v5, v3
	v_mov_b32_e32 v7, 0x80
	s_mov_b32 s21, exec_lo
	s_delay_alu instid0(VALU_DEP_2) | instskip(NEXT) | instid1(VALU_DEP_1)
	v_and_b32_e32 v6, 0x7fffffff, v5
	v_cmpx_gt_u32_e32 0x43800000, v6
	s_cbranch_execz .LBB480_684
; %bb.679:
	v_cmp_lt_u32_e32 vcc_lo, 0x3bffffff, v6
	s_mov_b32 s22, 0
                                        ; implicit-def: $vgpr6
	s_and_saveexec_b32 s23, vcc_lo
	s_delay_alu instid0(SALU_CYCLE_1)
	s_xor_b32 s23, exec_lo, s23
	s_cbranch_execz .LBB480_786
; %bb.680:
	v_bfe_u32 v6, v5, 20, 1
	s_mov_b32 s22, exec_lo
	s_delay_alu instid0(VALU_DEP_1) | instskip(NEXT) | instid1(VALU_DEP_1)
	v_add3_u32 v6, v5, v6, 0x487ffff
	v_lshrrev_b32_e32 v6, 20, v6
	s_or_saveexec_b32 s23, s23
                                        ; implicit-def: $sgpr24
	s_delay_alu instid0(SALU_CYCLE_1)
	s_xor_b32 exec_lo, exec_lo, s23
	s_cbranch_execnz .LBB480_787
.LBB480_681:
	s_or_b32 exec_lo, exec_lo, s23
	v_mov_b32_e32 v7, s24
	s_and_saveexec_b32 s23, s22
.LBB480_682:
	v_lshrrev_b32_e32 v5, 24, v5
	s_delay_alu instid0(VALU_DEP_1)
	v_and_or_b32 v7, 0x80, v5, v6
.LBB480_683:
	s_or_b32 exec_lo, exec_lo, s23
.LBB480_684:
	s_delay_alu instid0(SALU_CYCLE_1)
	s_or_b32 exec_lo, exec_lo, s21
	global_store_b8 v[0:1], v7, off
.LBB480_685:
	s_mov_b32 s21, -1
.LBB480_686:
	s_mov_b32 s22, 0
.LBB480_687:
	s_delay_alu instid0(SALU_CYCLE_1)
	s_and_b32 vcc_lo, exec_lo, s22
	s_cbranch_vccz .LBB480_728
; %bb.688:
	v_cmp_lt_i16_e32 vcc_lo, 22, v4
	s_mov_b32 s22, -1
	s_cbranch_vccz .LBB480_720
; %bb.689:
	v_cmp_gt_i16_e32 vcc_lo, 24, v4
	s_mov_b32 s21, -1
	s_cbranch_vccnz .LBB480_709
; %bb.690:
	v_cmp_lt_i16_e32 vcc_lo, 24, v4
	s_cbranch_vccz .LBB480_698
; %bb.691:
	v_cvt_f32_f16_e32 v5, v3
	v_mov_b32_e32 v7, 0x80
	s_mov_b32 s21, exec_lo
	s_delay_alu instid0(VALU_DEP_2) | instskip(NEXT) | instid1(VALU_DEP_1)
	v_and_b32_e32 v6, 0x7fffffff, v5
	v_cmpx_gt_u32_e32 0x47800000, v6
	s_cbranch_execz .LBB480_697
; %bb.692:
	v_cmp_lt_u32_e32 vcc_lo, 0x37ffffff, v6
	s_mov_b32 s22, 0
                                        ; implicit-def: $vgpr6
	s_and_saveexec_b32 s23, vcc_lo
	s_delay_alu instid0(SALU_CYCLE_1)
	s_xor_b32 s23, exec_lo, s23
	s_cbranch_execz .LBB480_789
; %bb.693:
	v_bfe_u32 v6, v5, 21, 1
	s_mov_b32 s22, exec_lo
	s_delay_alu instid0(VALU_DEP_1) | instskip(NEXT) | instid1(VALU_DEP_1)
	v_add3_u32 v6, v5, v6, 0x88fffff
	v_lshrrev_b32_e32 v6, 21, v6
	s_or_saveexec_b32 s23, s23
                                        ; implicit-def: $sgpr24
	s_delay_alu instid0(SALU_CYCLE_1)
	s_xor_b32 exec_lo, exec_lo, s23
	s_cbranch_execnz .LBB480_790
.LBB480_694:
	s_or_b32 exec_lo, exec_lo, s23
	v_mov_b32_e32 v7, s24
	s_and_saveexec_b32 s23, s22
.LBB480_695:
	v_lshrrev_b32_e32 v5, 24, v5
	s_delay_alu instid0(VALU_DEP_1)
	v_and_or_b32 v7, 0x80, v5, v6
.LBB480_696:
	s_or_b32 exec_lo, exec_lo, s23
.LBB480_697:
	s_delay_alu instid0(SALU_CYCLE_1)
	s_or_b32 exec_lo, exec_lo, s21
	s_mov_b32 s21, 0
	global_store_b8 v[0:1], v7, off
.LBB480_698:
	s_and_b32 vcc_lo, exec_lo, s21
	s_cbranch_vccz .LBB480_708
; %bb.699:
	v_cvt_f32_f16_e32 v5, v3
	s_mov_b32 s21, exec_lo
                                        ; implicit-def: $vgpr6
	s_delay_alu instid0(VALU_DEP_1) | instskip(NEXT) | instid1(VALU_DEP_1)
	v_and_b32_e32 v7, 0x7fffffff, v5
	v_cmpx_gt_u32_e32 0x43f00000, v7
	s_xor_b32 s21, exec_lo, s21
	s_cbranch_execz .LBB480_705
; %bb.700:
	s_mov_b32 s22, exec_lo
                                        ; implicit-def: $vgpr6
	v_cmpx_lt_u32_e32 0x3c7fffff, v7
	s_xor_b32 s22, exec_lo, s22
; %bb.701:
	v_bfe_u32 v6, v5, 20, 1
	s_delay_alu instid0(VALU_DEP_1) | instskip(NEXT) | instid1(VALU_DEP_1)
	v_add3_u32 v6, v5, v6, 0x407ffff
	v_and_b32_e32 v7, 0xff00000, v6
	v_lshrrev_b32_e32 v6, 20, v6
	s_delay_alu instid0(VALU_DEP_2) | instskip(NEXT) | instid1(VALU_DEP_2)
	v_cmp_ne_u32_e32 vcc_lo, 0x7f00000, v7
	v_cndmask_b32_e32 v6, 0x7e, v6, vcc_lo
; %bb.702:
	s_and_not1_saveexec_b32 s22, s22
; %bb.703:
	v_add_f32_e64 v6, 0x46800000, |v5|
; %bb.704:
	s_or_b32 exec_lo, exec_lo, s22
                                        ; implicit-def: $vgpr7
.LBB480_705:
	s_and_not1_saveexec_b32 s21, s21
; %bb.706:
	v_mov_b32_e32 v6, 0x7f
	v_cmp_lt_u32_e32 vcc_lo, 0x7f800000, v7
	s_delay_alu instid0(VALU_DEP_2)
	v_cndmask_b32_e32 v6, 0x7e, v6, vcc_lo
; %bb.707:
	s_or_b32 exec_lo, exec_lo, s21
	v_lshrrev_b32_e32 v5, 24, v5
	s_delay_alu instid0(VALU_DEP_1)
	v_and_or_b32 v5, 0x80, v5, v6
	global_store_b8 v[0:1], v5, off
.LBB480_708:
	s_mov_b32 s21, 0
.LBB480_709:
	s_delay_alu instid0(SALU_CYCLE_1)
	s_and_not1_b32 vcc_lo, exec_lo, s21
	s_cbranch_vccnz .LBB480_719
; %bb.710:
	v_cvt_f32_f16_e32 v5, v3
	s_mov_b32 s21, exec_lo
                                        ; implicit-def: $vgpr6
	s_delay_alu instid0(VALU_DEP_1) | instskip(NEXT) | instid1(VALU_DEP_1)
	v_and_b32_e32 v7, 0x7fffffff, v5
	v_cmpx_gt_u32_e32 0x47800000, v7
	s_xor_b32 s21, exec_lo, s21
	s_cbranch_execz .LBB480_716
; %bb.711:
	s_mov_b32 s22, exec_lo
                                        ; implicit-def: $vgpr6
	v_cmpx_lt_u32_e32 0x387fffff, v7
	s_xor_b32 s22, exec_lo, s22
; %bb.712:
	v_bfe_u32 v6, v5, 21, 1
	s_delay_alu instid0(VALU_DEP_1) | instskip(NEXT) | instid1(VALU_DEP_1)
	v_add3_u32 v6, v5, v6, 0x80fffff
	v_lshrrev_b32_e32 v6, 21, v6
; %bb.713:
	s_and_not1_saveexec_b32 s22, s22
; %bb.714:
	v_add_f32_e64 v6, 0x43000000, |v5|
; %bb.715:
	s_or_b32 exec_lo, exec_lo, s22
                                        ; implicit-def: $vgpr7
.LBB480_716:
	s_and_not1_saveexec_b32 s21, s21
; %bb.717:
	v_mov_b32_e32 v6, 0x7f
	v_cmp_lt_u32_e32 vcc_lo, 0x7f800000, v7
	s_delay_alu instid0(VALU_DEP_2)
	v_cndmask_b32_e32 v6, 0x7c, v6, vcc_lo
; %bb.718:
	s_or_b32 exec_lo, exec_lo, s21
	v_lshrrev_b32_e32 v5, 24, v5
	s_delay_alu instid0(VALU_DEP_1)
	v_and_or_b32 v5, 0x80, v5, v6
	global_store_b8 v[0:1], v5, off
.LBB480_719:
	s_mov_b32 s22, 0
	s_mov_b32 s21, -1
.LBB480_720:
	s_and_not1_b32 vcc_lo, exec_lo, s22
	s_cbranch_vccnz .LBB480_728
; %bb.721:
	v_cmp_lt_i16_e32 vcc_lo, 14, v4
	s_mov_b32 s22, -1
	s_cbranch_vccz .LBB480_725
; %bb.722:
	v_cmp_eq_u16_e32 vcc_lo, 15, v4
	s_mov_b32 s0, -1
	s_cbranch_vccz .LBB480_724
; %bb.723:
	v_cvt_f32_f16_e32 v5, v3
	v_cmp_o_f16_e32 vcc_lo, v3, v3
	s_mov_b32 s21, -1
	s_mov_b32 s0, 0
	s_delay_alu instid0(VALU_DEP_2) | instskip(NEXT) | instid1(VALU_DEP_1)
	v_bfe_u32 v6, v5, 16, 1
	v_add3_u32 v5, v5, v6, 0x7fff
	s_delay_alu instid0(VALU_DEP_1) | instskip(NEXT) | instid1(VALU_DEP_1)
	v_lshrrev_b32_e32 v5, 16, v5
	v_cndmask_b32_e32 v5, 0x7fc0, v5, vcc_lo
	global_store_b16 v[0:1], v5, off
.LBB480_724:
	s_mov_b32 s22, 0
.LBB480_725:
	s_delay_alu instid0(SALU_CYCLE_1)
	s_and_b32 vcc_lo, exec_lo, s22
	s_cbranch_vccz .LBB480_728
; %bb.726:
	v_cmp_eq_u16_e32 vcc_lo, 11, v4
	s_mov_b32 s0, -1
	s_cbranch_vccz .LBB480_728
; %bb.727:
	v_and_b32_e32 v5, 0x7fff, v3
	s_mov_b32 s0, 0
	s_mov_b32 s21, -1
	s_delay_alu instid0(VALU_DEP_1)
	v_cmp_ne_u16_e32 vcc_lo, 0, v5
	v_cndmask_b32_e64 v5, 0, 1, vcc_lo
	global_store_b8 v[0:1], v5, off
.LBB480_728:
	s_mov_b32 s22, 0
.LBB480_729:
	s_delay_alu instid0(SALU_CYCLE_1)
	s_and_b32 vcc_lo, exec_lo, s22
	s_cbranch_vccz .LBB480_768
; %bb.730:
	v_cmp_gt_i16_e32 vcc_lo, 5, v4
	s_mov_b32 s21, -1
	s_cbranch_vccnz .LBB480_751
; %bb.731:
	v_cmp_gt_i16_e32 vcc_lo, 8, v4
	s_cbranch_vccnz .LBB480_741
; %bb.732:
	v_cmp_gt_i16_e32 vcc_lo, 9, v4
	s_cbranch_vccnz .LBB480_738
; %bb.733:
	v_cmp_lt_i16_e32 vcc_lo, 9, v4
	s_cbranch_vccz .LBB480_735
; %bb.734:
	v_cvt_f32_f16_e32 v5, v3
	v_mov_b32_e32 v7, 0
	s_mov_b32 s21, 0
	s_delay_alu instid0(VALU_DEP_2) | instskip(NEXT) | instid1(VALU_DEP_2)
	v_cvt_f64_f32_e32 v[5:6], v5
	v_mov_b32_e32 v8, v7
	global_store_b128 v[0:1], v[5:8], off
.LBB480_735:
	s_and_not1_b32 vcc_lo, exec_lo, s21
	s_cbranch_vccnz .LBB480_737
; %bb.736:
	v_cvt_f32_f16_e32 v5, v3
	v_mov_b32_e32 v6, 0
	global_store_b64 v[0:1], v[5:6], off
.LBB480_737:
	s_mov_b32 s21, 0
.LBB480_738:
	s_delay_alu instid0(SALU_CYCLE_1)
	s_and_not1_b32 vcc_lo, exec_lo, s21
	s_cbranch_vccnz .LBB480_740
; %bb.739:
	v_and_b32_e32 v5, 0xffff, v3
	global_store_b32 v[0:1], v5, off
.LBB480_740:
	s_mov_b32 s21, 0
.LBB480_741:
	s_delay_alu instid0(SALU_CYCLE_1)
	s_and_not1_b32 vcc_lo, exec_lo, s21
	s_cbranch_vccnz .LBB480_750
; %bb.742:
	v_cmp_gt_i16_e32 vcc_lo, 6, v4
	s_mov_b32 s21, -1
	s_cbranch_vccnz .LBB480_748
; %bb.743:
	v_cmp_lt_i16_e32 vcc_lo, 6, v4
	s_cbranch_vccz .LBB480_745
; %bb.744:
	v_cvt_f32_f16_e32 v5, v3
	s_mov_b32 s21, 0
	s_delay_alu instid0(VALU_DEP_1)
	v_cvt_f64_f32_e32 v[5:6], v5
	global_store_b64 v[0:1], v[5:6], off
.LBB480_745:
	s_and_not1_b32 vcc_lo, exec_lo, s21
	s_cbranch_vccnz .LBB480_747
; %bb.746:
	v_cvt_f32_f16_e32 v5, v3
	global_store_b32 v[0:1], v5, off
.LBB480_747:
	s_mov_b32 s21, 0
.LBB480_748:
	s_delay_alu instid0(SALU_CYCLE_1)
	s_and_not1_b32 vcc_lo, exec_lo, s21
	s_cbranch_vccnz .LBB480_750
; %bb.749:
	global_store_b16 v[0:1], v3, off
.LBB480_750:
	s_mov_b32 s21, 0
.LBB480_751:
	s_delay_alu instid0(SALU_CYCLE_1)
	s_and_not1_b32 vcc_lo, exec_lo, s21
	s_cbranch_vccnz .LBB480_767
; %bb.752:
	v_cmp_gt_i16_e32 vcc_lo, 2, v4
	s_mov_b32 s21, -1
	s_cbranch_vccnz .LBB480_762
; %bb.753:
	v_cmp_gt_i16_e32 vcc_lo, 3, v4
	s_cbranch_vccnz .LBB480_759
; %bb.754:
	v_cmp_lt_i16_e32 vcc_lo, 3, v4
	s_cbranch_vccz .LBB480_756
; %bb.755:
	v_cvt_f32_f16_e32 v5, v3
	s_mov_b32 s21, 0
	s_delay_alu instid0(VALU_DEP_1) | instskip(NEXT) | instid1(VALU_DEP_1)
	v_cvt_i32_f32_e32 v5, v5
	v_ashrrev_i32_e32 v6, 31, v5
	global_store_b64 v[0:1], v[5:6], off
.LBB480_756:
	s_and_not1_b32 vcc_lo, exec_lo, s21
	s_cbranch_vccnz .LBB480_758
; %bb.757:
	v_cvt_f32_f16_e32 v5, v3
	s_delay_alu instid0(VALU_DEP_1)
	v_cvt_i32_f32_e32 v5, v5
	global_store_b32 v[0:1], v5, off
.LBB480_758:
	s_mov_b32 s21, 0
.LBB480_759:
	s_delay_alu instid0(SALU_CYCLE_1)
	s_and_not1_b32 vcc_lo, exec_lo, s21
	s_cbranch_vccnz .LBB480_761
; %bb.760:
	v_cvt_i16_f16_e32 v5, v3
	global_store_b16 v[0:1], v5, off
.LBB480_761:
	s_mov_b32 s21, 0
.LBB480_762:
	s_delay_alu instid0(SALU_CYCLE_1)
	s_and_not1_b32 vcc_lo, exec_lo, s21
	s_cbranch_vccnz .LBB480_767
; %bb.763:
	v_cmp_lt_i16_e32 vcc_lo, 0, v4
	s_mov_b32 s21, -1
	s_cbranch_vccz .LBB480_765
; %bb.764:
	v_cvt_i16_f16_e32 v4, v3
	s_mov_b32 s21, 0
	global_store_b8 v[0:1], v4, off
.LBB480_765:
	s_and_not1_b32 vcc_lo, exec_lo, s21
	s_cbranch_vccnz .LBB480_767
; %bb.766:
	v_cvt_f32_f16_e32 v3, v3
	s_delay_alu instid0(VALU_DEP_1)
	v_cvt_i32_f32_e32 v3, v3
	global_store_b8 v[0:1], v3, off
.LBB480_767:
	s_mov_b32 s21, -1
.LBB480_768:
	s_delay_alu instid0(SALU_CYCLE_1)
	s_and_not1_b32 vcc_lo, exec_lo, s21
	s_cbranch_vccnz .LBB480_770
; %bb.769:
	v_add_nc_u32_e32 v2, 0x80, v2
	s_mov_b32 s21, -1
	s_branch .LBB480_772
.LBB480_770:
	s_mov_b32 s21, 0
.LBB480_771:
                                        ; implicit-def: $vgpr2
.LBB480_772:
	s_and_not1_b32 s22, s17, exec_lo
	s_and_b32 s0, s0, exec_lo
	s_and_not1_b32 s23, s16, exec_lo
	s_and_b32 s24, s20, exec_lo
	s_or_b32 s20, s22, s0
	s_or_b32 s0, s23, s24
	s_or_not1_b32 s21, s21, exec_lo
.LBB480_773:
	s_or_b32 exec_lo, exec_lo, s19
	s_mov_b32 s22, 0
	s_mov_b32 s23, 0
	;; [unrolled: 1-line block ×3, first 2 shown]
                                        ; implicit-def: $vgpr0_vgpr1
                                        ; implicit-def: $vgpr5
	s_and_saveexec_b32 s19, s21
	s_cbranch_execz .LBB480_858
; %bb.774:
	v_cmp_gt_i32_e32 vcc_lo, s13, v2
	s_mov_b32 s21, 0
	s_mov_b32 s22, s0
                                        ; implicit-def: $vgpr0_vgpr1
                                        ; implicit-def: $vgpr5
	s_and_saveexec_b32 s13, vcc_lo
	s_cbranch_execz .LBB480_857
; %bb.775:
	v_mul_lo_u32 v0, v2, s3
	v_cmp_lt_i16_e64 s21, s9, 11
	s_delay_alu instid0(VALU_DEP_2) | instskip(SKIP_1) | instid1(VALU_DEP_2)
	v_ashrrev_i32_e32 v1, 31, v0
	v_add_co_u32 v0, vcc_lo, s6, v0
	v_add_co_ci_u32_e32 v1, vcc_lo, s7, v1, vcc_lo
	s_delay_alu instid0(VALU_DEP_4)
	s_and_b32 vcc_lo, exec_lo, s21
	s_cbranch_vccnz .LBB480_782
; %bb.776:
	v_cmp_gt_i16_e64 s21, s9, 25
	s_mov_b32 s22, 0
	s_delay_alu instid0(VALU_DEP_1)
	s_and_b32 vcc_lo, exec_lo, s21
	s_cbranch_vccz .LBB480_783
; %bb.777:
	v_cmp_gt_i16_e64 s21, s9, 28
	s_delay_alu instid0(VALU_DEP_1)
	s_and_b32 vcc_lo, exec_lo, s21
	s_cbranch_vccz .LBB480_784
; %bb.778:
	v_cmp_gt_i16_e64 s21, s9, 43
	;; [unrolled: 5-line block ×3, first 2 shown]
	s_delay_alu instid0(VALU_DEP_1)
	s_and_b32 vcc_lo, exec_lo, s21
	s_cbranch_vccz .LBB480_788
; %bb.780:
	v_cmp_eq_u16_e64 s21, s9, 46
	s_delay_alu instid0(VALU_DEP_1)
	s_and_b32 vcc_lo, exec_lo, s21
	s_cbranch_vccz .LBB480_791
; %bb.781:
	global_load_b32 v3, v[0:1], off
	s_mov_b32 s21, 0
	s_mov_b32 s23, -1
	s_waitcnt vmcnt(0)
	v_lshlrev_b32_e32 v3, 16, v3
	s_delay_alu instid0(VALU_DEP_1)
	v_cvt_f16_f32_e32 v5, v3
	s_branch .LBB480_793
.LBB480_782:
	s_mov_b32 s25, -1
	s_mov_b32 s22, 0
	s_mov_b32 s21, s0
                                        ; implicit-def: $vgpr5
	s_branch .LBB480_856
.LBB480_783:
	s_mov_b32 s24, -1
	s_mov_b32 s21, s0
                                        ; implicit-def: $vgpr5
	s_branch .LBB480_822
.LBB480_784:
	s_mov_b32 s24, -1
	s_mov_b32 s21, s0
                                        ; implicit-def: $vgpr5
	s_branch .LBB480_803
.LBB480_785:
	s_mov_b32 s24, -1
	s_mov_b32 s21, s0
                                        ; implicit-def: $vgpr5
	s_branch .LBB480_798
.LBB480_786:
	s_or_saveexec_b32 s23, s23
                                        ; implicit-def: $sgpr24
	s_delay_alu instid0(SALU_CYCLE_1)
	s_xor_b32 exec_lo, exec_lo, s23
	s_cbranch_execz .LBB480_681
.LBB480_787:
	v_add_f32_e64 v6, 0x46000000, |v5|
	s_and_not1_b32 s22, s22, exec_lo
	s_mov_b32 s24, 0
	s_delay_alu instid0(VALU_DEP_1) | instskip(NEXT) | instid1(VALU_DEP_1)
	v_and_b32_e32 v6, 0xff, v6
	v_cmp_ne_u32_e32 vcc_lo, 0, v6
	s_and_b32 s25, vcc_lo, exec_lo
	s_delay_alu instid0(SALU_CYCLE_1)
	s_or_b32 s22, s22, s25
	s_or_b32 exec_lo, exec_lo, s23
	v_mov_b32_e32 v7, s24
	s_and_saveexec_b32 s23, s22
	s_cbranch_execnz .LBB480_682
	s_branch .LBB480_683
.LBB480_788:
	s_mov_b32 s24, -1
	s_mov_b32 s21, s0
	s_branch .LBB480_792
.LBB480_789:
	s_or_saveexec_b32 s23, s23
                                        ; implicit-def: $sgpr24
	s_delay_alu instid0(SALU_CYCLE_1)
	s_xor_b32 exec_lo, exec_lo, s23
	s_cbranch_execz .LBB480_694
.LBB480_790:
	v_add_f32_e64 v6, 0x42800000, |v5|
	s_and_not1_b32 s22, s22, exec_lo
	s_mov_b32 s24, 0
	s_delay_alu instid0(VALU_DEP_1) | instskip(NEXT) | instid1(VALU_DEP_1)
	v_and_b32_e32 v6, 0xff, v6
	v_cmp_ne_u32_e32 vcc_lo, 0, v6
	s_and_b32 s25, vcc_lo, exec_lo
	s_delay_alu instid0(SALU_CYCLE_1)
	s_or_b32 s22, s22, s25
	s_or_b32 exec_lo, exec_lo, s23
	v_mov_b32_e32 v7, s24
	s_and_saveexec_b32 s23, s22
	s_cbranch_execnz .LBB480_695
	s_branch .LBB480_696
.LBB480_791:
	s_mov_b32 s21, -1
.LBB480_792:
                                        ; implicit-def: $vgpr5
.LBB480_793:
	s_and_b32 vcc_lo, exec_lo, s24
	s_cbranch_vccz .LBB480_797
; %bb.794:
	v_cmp_eq_u16_e64 s21, s9, 44
	s_delay_alu instid0(VALU_DEP_1)
	s_and_b32 vcc_lo, exec_lo, s21
	s_cbranch_vccz .LBB480_796
; %bb.795:
	global_load_u8 v3, v[0:1], off
	s_mov_b32 s21, 0
	s_mov_b32 s23, -1
	s_waitcnt vmcnt(0)
	v_lshlrev_b32_e32 v4, 23, v3
	v_cmp_ne_u32_e32 vcc_lo, 0xff, v3
	s_delay_alu instid0(VALU_DEP_2) | instskip(NEXT) | instid1(VALU_DEP_1)
	v_cvt_f16_f32_e32 v4, v4
	v_cndmask_b32_e32 v4, 0x7e00, v4, vcc_lo
	v_cmp_ne_u32_e32 vcc_lo, 0, v3
	s_delay_alu instid0(VALU_DEP_2)
	v_cndmask_b32_e32 v5, 0, v4, vcc_lo
	s_branch .LBB480_797
.LBB480_796:
	s_mov_b32 s21, -1
                                        ; implicit-def: $vgpr5
.LBB480_797:
	s_mov_b32 s24, 0
.LBB480_798:
	s_delay_alu instid0(SALU_CYCLE_1)
	s_and_b32 vcc_lo, exec_lo, s24
	s_cbranch_vccz .LBB480_802
; %bb.799:
	v_cmp_eq_u16_e64 s21, s9, 29
	s_delay_alu instid0(VALU_DEP_1)
	s_and_b32 vcc_lo, exec_lo, s21
	s_cbranch_vccz .LBB480_801
; %bb.800:
	global_load_b64 v[3:4], v[0:1], off
	s_mov_b32 s21, 0
	s_mov_b32 s23, -1
	s_mov_b32 s24, 0
	s_waitcnt vmcnt(0)
	v_clz_i32_u32_e32 v5, v4
	s_delay_alu instid0(VALU_DEP_1) | instskip(NEXT) | instid1(VALU_DEP_1)
	v_min_u32_e32 v5, 32, v5
	v_lshlrev_b64 v[3:4], v5, v[3:4]
	s_delay_alu instid0(VALU_DEP_1) | instskip(NEXT) | instid1(VALU_DEP_1)
	v_min_u32_e32 v3, 1, v3
	v_or_b32_e32 v3, v4, v3
	v_sub_nc_u32_e32 v4, 32, v5
	s_delay_alu instid0(VALU_DEP_2) | instskip(NEXT) | instid1(VALU_DEP_1)
	v_cvt_f32_u32_e32 v3, v3
	v_ldexp_f32 v3, v3, v4
	s_delay_alu instid0(VALU_DEP_1)
	v_cvt_f16_f32_e32 v5, v3
	s_branch .LBB480_803
.LBB480_801:
	s_mov_b32 s21, -1
                                        ; implicit-def: $vgpr5
.LBB480_802:
	s_mov_b32 s24, 0
.LBB480_803:
	s_delay_alu instid0(SALU_CYCLE_1)
	s_and_b32 vcc_lo, exec_lo, s24
	s_cbranch_vccz .LBB480_821
; %bb.804:
	v_cmp_lt_i16_e64 s23, s9, 27
	s_delay_alu instid0(VALU_DEP_1)
	s_and_b32 vcc_lo, exec_lo, s23
	s_cbranch_vccnz .LBB480_807
; %bb.805:
	v_cmp_gt_i16_e64 s23, s9, 27
	s_delay_alu instid0(VALU_DEP_1)
	s_and_b32 vcc_lo, exec_lo, s23
	s_cbranch_vccz .LBB480_808
; %bb.806:
	global_load_b32 v3, v[0:1], off
	s_mov_b32 s23, 0
	s_waitcnt vmcnt(0)
	v_cvt_f32_u32_e32 v3, v3
	s_delay_alu instid0(VALU_DEP_1)
	v_cvt_f16_f32_e32 v5, v3
	s_branch .LBB480_809
.LBB480_807:
	s_mov_b32 s23, -1
                                        ; implicit-def: $vgpr5
	s_branch .LBB480_812
.LBB480_808:
	s_mov_b32 s23, -1
                                        ; implicit-def: $vgpr5
.LBB480_809:
	s_delay_alu instid0(SALU_CYCLE_1)
	s_and_not1_b32 vcc_lo, exec_lo, s23
	s_cbranch_vccnz .LBB480_811
; %bb.810:
	global_load_u16 v3, v[0:1], off
	s_waitcnt vmcnt(0)
	v_cvt_f16_u16_e32 v5, v3
.LBB480_811:
	s_mov_b32 s23, 0
.LBB480_812:
	s_delay_alu instid0(SALU_CYCLE_1)
	s_and_not1_b32 vcc_lo, exec_lo, s23
	s_cbranch_vccnz .LBB480_820
; %bb.813:
	global_load_u8 v3, v[0:1], off
	s_mov_b32 s23, 0
	s_mov_b32 s25, exec_lo
                                        ; implicit-def: $sgpr24
	s_waitcnt vmcnt(0)
	v_cmpx_lt_i16_e32 0x7f, v3
	s_xor_b32 s25, exec_lo, s25
	s_cbranch_execz .LBB480_834
; %bb.814:
	s_mov_b32 s23, -1
	s_mov_b32 s26, exec_lo
                                        ; implicit-def: $sgpr24
	v_cmpx_eq_u16_e32 0x80, v3
; %bb.815:
	s_movk_i32 s24, 0x7e00
	s_xor_b32 s23, exec_lo, -1
; %bb.816:
	s_or_b32 exec_lo, exec_lo, s26
	s_delay_alu instid0(SALU_CYCLE_1)
	s_and_b32 s23, s23, exec_lo
	s_or_saveexec_b32 s25, s25
	v_mov_b32_e32 v5, s24
	s_xor_b32 exec_lo, exec_lo, s25
	s_cbranch_execnz .LBB480_835
.LBB480_817:
	s_or_b32 exec_lo, exec_lo, s25
	s_and_saveexec_b32 s24, s23
	s_cbranch_execz .LBB480_819
.LBB480_818:
	v_and_b32_e32 v4, 0xffff, v3
	v_lshlrev_b32_e32 v3, 24, v3
	s_delay_alu instid0(VALU_DEP_2) | instskip(NEXT) | instid1(VALU_DEP_2)
	v_and_b32_e32 v5, 7, v4
	v_and_b32_e32 v3, 0x80000000, v3
	s_delay_alu instid0(VALU_DEP_2) | instskip(NEXT) | instid1(VALU_DEP_1)
	v_clz_i32_u32_e32 v6, v5
	v_min_u32_e32 v6, 32, v6
	s_delay_alu instid0(VALU_DEP_1) | instskip(SKIP_1) | instid1(VALU_DEP_2)
	v_subrev_nc_u32_e32 v7, 28, v6
	v_sub_nc_u32_e32 v6, 29, v6
	v_lshlrev_b32_e32 v7, v7, v4
	v_bfe_u32 v4, v4, 3, 4
	s_delay_alu instid0(VALU_DEP_2) | instskip(NEXT) | instid1(VALU_DEP_2)
	v_and_b32_e32 v7, 7, v7
	v_cmp_eq_u32_e32 vcc_lo, 0, v4
	s_delay_alu instid0(VALU_DEP_2) | instskip(NEXT) | instid1(VALU_DEP_1)
	v_dual_cndmask_b32 v4, v4, v6 :: v_dual_cndmask_b32 v5, v5, v7
	v_lshl_add_u32 v4, v4, 23, 0x3b800000
	s_delay_alu instid0(VALU_DEP_2) | instskip(NEXT) | instid1(VALU_DEP_1)
	v_lshlrev_b32_e32 v5, 20, v5
	v_or3_b32 v3, v3, v4, v5
	s_delay_alu instid0(VALU_DEP_1)
	v_cvt_f16_f32_e32 v5, v3
.LBB480_819:
	s_or_b32 exec_lo, exec_lo, s24
.LBB480_820:
	s_mov_b32 s23, -1
.LBB480_821:
	s_mov_b32 s24, 0
.LBB480_822:
	s_delay_alu instid0(SALU_CYCLE_1)
	s_and_b32 vcc_lo, exec_lo, s24
	s_cbranch_vccz .LBB480_855
; %bb.823:
	v_cmp_gt_i16_e64 s22, s9, 22
	s_delay_alu instid0(VALU_DEP_1)
	s_and_b32 vcc_lo, exec_lo, s22
	s_cbranch_vccz .LBB480_833
; %bb.824:
	v_cmp_lt_i16_e64 s22, s9, 24
	s_delay_alu instid0(VALU_DEP_1)
	s_and_b32 vcc_lo, exec_lo, s22
	s_cbranch_vccnz .LBB480_836
; %bb.825:
	v_cmp_gt_i16_e64 s22, s9, 24
	s_delay_alu instid0(VALU_DEP_1)
	s_and_b32 vcc_lo, exec_lo, s22
	s_cbranch_vccz .LBB480_837
; %bb.826:
	global_load_u8 v3, v[0:1], off
	s_mov_b32 s22, 0
	s_mov_b32 s24, exec_lo
                                        ; implicit-def: $sgpr23
	s_waitcnt vmcnt(0)
	v_cmpx_lt_i16_e32 0x7f, v3
	s_xor_b32 s24, exec_lo, s24
	s_cbranch_execz .LBB480_849
; %bb.827:
	s_mov_b32 s22, -1
	s_mov_b32 s25, exec_lo
                                        ; implicit-def: $sgpr23
	v_cmpx_eq_u16_e32 0x80, v3
; %bb.828:
	s_movk_i32 s23, 0x7e00
	s_xor_b32 s22, exec_lo, -1
; %bb.829:
	s_or_b32 exec_lo, exec_lo, s25
	s_delay_alu instid0(SALU_CYCLE_1)
	s_and_b32 s22, s22, exec_lo
	s_or_saveexec_b32 s24, s24
	v_mov_b32_e32 v5, s23
	s_xor_b32 exec_lo, exec_lo, s24
	s_cbranch_execnz .LBB480_850
.LBB480_830:
	s_or_b32 exec_lo, exec_lo, s24
	s_and_saveexec_b32 s23, s22
	s_cbranch_execz .LBB480_832
.LBB480_831:
	v_and_b32_e32 v4, 0xffff, v3
	v_lshlrev_b32_e32 v3, 24, v3
	s_delay_alu instid0(VALU_DEP_2) | instskip(NEXT) | instid1(VALU_DEP_2)
	v_and_b32_e32 v5, 3, v4
	v_and_b32_e32 v3, 0x80000000, v3
	s_delay_alu instid0(VALU_DEP_2) | instskip(NEXT) | instid1(VALU_DEP_1)
	v_clz_i32_u32_e32 v6, v5
	v_min_u32_e32 v6, 32, v6
	s_delay_alu instid0(VALU_DEP_1) | instskip(SKIP_1) | instid1(VALU_DEP_2)
	v_subrev_nc_u32_e32 v7, 29, v6
	v_sub_nc_u32_e32 v6, 30, v6
	v_lshlrev_b32_e32 v7, v7, v4
	v_bfe_u32 v4, v4, 2, 5
	s_delay_alu instid0(VALU_DEP_2) | instskip(NEXT) | instid1(VALU_DEP_2)
	v_and_b32_e32 v7, 3, v7
	v_cmp_eq_u32_e32 vcc_lo, 0, v4
	s_delay_alu instid0(VALU_DEP_2) | instskip(NEXT) | instid1(VALU_DEP_1)
	v_dual_cndmask_b32 v4, v4, v6 :: v_dual_cndmask_b32 v5, v5, v7
	v_lshl_add_u32 v4, v4, 23, 0x37800000
	s_delay_alu instid0(VALU_DEP_2) | instskip(NEXT) | instid1(VALU_DEP_1)
	v_lshlrev_b32_e32 v5, 21, v5
	v_or3_b32 v3, v3, v4, v5
	s_delay_alu instid0(VALU_DEP_1)
	v_cvt_f16_f32_e32 v5, v3
.LBB480_832:
	s_or_b32 exec_lo, exec_lo, s23
	s_mov_b32 s22, 0
	s_branch .LBB480_838
.LBB480_833:
	s_mov_b32 s22, -1
                                        ; implicit-def: $vgpr5
	s_branch .LBB480_844
.LBB480_834:
	s_or_saveexec_b32 s25, s25
	v_mov_b32_e32 v5, s24
	s_xor_b32 exec_lo, exec_lo, s25
	s_cbranch_execz .LBB480_817
.LBB480_835:
	v_cmp_ne_u16_e32 vcc_lo, 0, v3
	v_mov_b32_e32 v5, v3
	s_and_not1_b32 s23, s23, exec_lo
	s_and_b32 s24, vcc_lo, exec_lo
	s_delay_alu instid0(SALU_CYCLE_1)
	s_or_b32 s23, s23, s24
	s_or_b32 exec_lo, exec_lo, s25
	s_and_saveexec_b32 s24, s23
	s_cbranch_execnz .LBB480_818
	s_branch .LBB480_819
.LBB480_836:
	s_mov_b32 s22, -1
                                        ; implicit-def: $vgpr5
	s_branch .LBB480_841
.LBB480_837:
	s_mov_b32 s22, -1
                                        ; implicit-def: $vgpr5
.LBB480_838:
	s_delay_alu instid0(SALU_CYCLE_1)
	s_and_b32 vcc_lo, exec_lo, s22
	s_cbranch_vccz .LBB480_840
; %bb.839:
	global_load_u8 v3, v[0:1], off
	s_waitcnt vmcnt(0)
	v_lshlrev_b32_e32 v3, 24, v3
	s_delay_alu instid0(VALU_DEP_1) | instskip(NEXT) | instid1(VALU_DEP_1)
	v_and_b32_e32 v4, 0x7f000000, v3
	v_clz_i32_u32_e32 v5, v4
	v_add_nc_u32_e32 v7, 0x1000000, v4
	v_cmp_ne_u32_e32 vcc_lo, 0, v4
	s_delay_alu instid0(VALU_DEP_3) | instskip(NEXT) | instid1(VALU_DEP_1)
	v_min_u32_e32 v5, 32, v5
	v_sub_nc_u32_e64 v5, v5, 4 clamp
	s_delay_alu instid0(VALU_DEP_1) | instskip(SKIP_1) | instid1(VALU_DEP_2)
	v_lshlrev_b32_e32 v6, v5, v4
	v_lshlrev_b32_e32 v5, 23, v5
	v_lshrrev_b32_e32 v6, 4, v6
	s_delay_alu instid0(VALU_DEP_1) | instskip(SKIP_1) | instid1(VALU_DEP_2)
	v_sub_nc_u32_e32 v5, v6, v5
	v_ashrrev_i32_e32 v6, 8, v7
	v_add_nc_u32_e32 v5, 0x3c000000, v5
	s_delay_alu instid0(VALU_DEP_1) | instskip(NEXT) | instid1(VALU_DEP_1)
	v_and_or_b32 v5, 0x7f800000, v6, v5
	v_cndmask_b32_e32 v4, 0, v5, vcc_lo
	s_delay_alu instid0(VALU_DEP_1) | instskip(NEXT) | instid1(VALU_DEP_1)
	v_and_or_b32 v3, 0x80000000, v3, v4
	v_cvt_f16_f32_e32 v5, v3
.LBB480_840:
	s_mov_b32 s22, 0
.LBB480_841:
	s_delay_alu instid0(SALU_CYCLE_1)
	s_and_not1_b32 vcc_lo, exec_lo, s22
	s_cbranch_vccnz .LBB480_843
; %bb.842:
	global_load_u8 v3, v[0:1], off
	s_waitcnt vmcnt(0)
	v_lshlrev_b32_e32 v4, 25, v3
	v_lshlrev_b16 v3, 8, v3
	s_delay_alu instid0(VALU_DEP_2) | instskip(NEXT) | instid1(VALU_DEP_2)
	v_lshrrev_b32_e32 v5, 4, v4
	v_and_or_b32 v6, 0x7f00, v3, 0.5
	v_bfe_i32 v3, v3, 0, 16
	s_delay_alu instid0(VALU_DEP_3) | instskip(NEXT) | instid1(VALU_DEP_1)
	v_or_b32_e32 v5, 0x70000000, v5
	v_dual_add_f32 v6, -0.5, v6 :: v_dual_mul_f32 v5, 0x7800000, v5
	v_cmp_gt_u32_e32 vcc_lo, 0x8000000, v4
	s_delay_alu instid0(VALU_DEP_2) | instskip(NEXT) | instid1(VALU_DEP_1)
	v_cndmask_b32_e32 v4, v5, v6, vcc_lo
	v_and_or_b32 v3, 0x80000000, v3, v4
	s_delay_alu instid0(VALU_DEP_1)
	v_cvt_f16_f32_e32 v5, v3
.LBB480_843:
	s_mov_b32 s22, 0
	s_mov_b32 s23, -1
.LBB480_844:
	s_and_not1_b32 vcc_lo, exec_lo, s22
	s_mov_b32 s22, 0
	s_cbranch_vccnz .LBB480_855
; %bb.845:
	v_cmp_gt_i16_e64 s22, s9, 14
	s_delay_alu instid0(VALU_DEP_1)
	s_and_b32 vcc_lo, exec_lo, s22
	s_cbranch_vccz .LBB480_848
; %bb.846:
	v_cmp_eq_u16_e64 s21, s9, 15
	s_delay_alu instid0(VALU_DEP_1)
	s_and_b32 vcc_lo, exec_lo, s21
	s_cbranch_vccz .LBB480_851
; %bb.847:
	global_load_u16 v3, v[0:1], off
	s_mov_b32 s21, 0
	s_mov_b32 s23, -1
	s_waitcnt vmcnt(0)
	v_lshlrev_b32_e32 v3, 16, v3
	s_delay_alu instid0(VALU_DEP_1)
	v_cvt_f16_f32_e32 v5, v3
	s_branch .LBB480_852
.LBB480_848:
	s_mov_b32 s22, -1
                                        ; implicit-def: $vgpr5
	s_branch .LBB480_853
.LBB480_849:
	s_or_saveexec_b32 s24, s24
	v_mov_b32_e32 v5, s23
	s_xor_b32 exec_lo, exec_lo, s24
	s_cbranch_execz .LBB480_830
.LBB480_850:
	v_cmp_ne_u16_e32 vcc_lo, 0, v3
	v_mov_b32_e32 v5, v3
	s_and_not1_b32 s22, s22, exec_lo
	s_and_b32 s23, vcc_lo, exec_lo
	s_delay_alu instid0(SALU_CYCLE_1)
	s_or_b32 s22, s22, s23
	s_or_b32 exec_lo, exec_lo, s24
	s_and_saveexec_b32 s23, s22
	s_cbranch_execnz .LBB480_831
	s_branch .LBB480_832
.LBB480_851:
	s_mov_b32 s21, -1
                                        ; implicit-def: $vgpr5
.LBB480_852:
	s_mov_b32 s22, 0
.LBB480_853:
	s_delay_alu instid0(SALU_CYCLE_1)
	s_and_b32 vcc_lo, exec_lo, s22
	s_mov_b32 s22, 0
	s_cbranch_vccz .LBB480_855
; %bb.854:
	v_cmp_ne_u16_e64 s22, s9, 11
	s_and_not1_b32 s21, s21, exec_lo
                                        ; implicit-def: $vgpr5
	s_delay_alu instid0(VALU_DEP_1)
	s_and_b32 s24, s22, exec_lo
	s_mov_b32 s22, -1
	s_or_b32 s21, s21, s24
.LBB480_855:
	s_mov_b32 s25, 0
.LBB480_856:
	s_and_b32 s24, s23, exec_lo
	s_and_b32 s23, s25, exec_lo
	s_and_not1_b32 s25, s0, exec_lo
	s_and_b32 s26, s21, exec_lo
	s_and_b32 s21, s22, exec_lo
	s_or_b32 s22, s25, s26
.LBB480_857:
	s_or_b32 exec_lo, exec_lo, s13
	s_delay_alu instid0(SALU_CYCLE_1)
	s_and_not1_b32 s0, s0, exec_lo
	s_and_b32 s13, s22, exec_lo
	s_and_b32 s24, s24, exec_lo
	;; [unrolled: 1-line block ×4, first 2 shown]
	s_or_b32 s0, s0, s13
.LBB480_858:
	s_or_b32 exec_lo, exec_lo, s19
	s_delay_alu instid0(SALU_CYCLE_1)
	s_and_not1_b32 s13, s17, exec_lo
	s_and_b32 s17, s20, exec_lo
	s_and_b32 s0, s0, exec_lo
	s_or_b32 s17, s13, s17
	s_and_not1_b32 s13, s16, exec_lo
	s_and_b32 s21, s24, exec_lo
	s_and_b32 s20, s23, exec_lo
	;; [unrolled: 1-line block ×3, first 2 shown]
	s_or_b32 s16, s13, s0
.LBB480_859:
	s_or_b32 exec_lo, exec_lo, s18
	s_delay_alu instid0(SALU_CYCLE_1)
	s_and_not1_b32 s0, s12, exec_lo
	s_and_b32 s12, s17, exec_lo
	s_and_not1_b32 s13, s14, exec_lo
	s_and_b32 s14, s16, exec_lo
	s_or_b32 s12, s0, s12
	s_and_b32 s0, s21, exec_lo
	s_and_b32 s17, s20, exec_lo
	;; [unrolled: 1-line block ×3, first 2 shown]
	s_or_b32 s14, s13, s14
.LBB480_860:
	s_or_b32 exec_lo, exec_lo, s15
	s_mov_b32 s13, 0
	s_and_saveexec_b32 s15, s14
	s_cbranch_execnz .LBB480_872
; %bb.861:
	s_or_b32 exec_lo, exec_lo, s15
	s_and_saveexec_b32 s14, s16
	s_delay_alu instid0(SALU_CYCLE_1)
	s_xor_b32 s14, exec_lo, s14
	s_cbranch_execz .LBB480_863
.LBB480_862:
	global_load_u8 v3, v[0:1], off
	s_or_b32 s0, s0, exec_lo
	s_waitcnt vmcnt(0)
	v_cmp_ne_u16_e32 vcc_lo, 0, v3
	v_cndmask_b32_e64 v5, 0, 0x3c00, vcc_lo
.LBB480_863:
	s_or_b32 exec_lo, exec_lo, s14
	s_and_saveexec_b32 s14, s17
	s_cbranch_execz .LBB480_911
; %bb.864:
	v_cmp_lt_i16_e64 s15, s9, 5
	s_delay_alu instid0(VALU_DEP_1)
	s_and_b32 vcc_lo, exec_lo, s15
	s_cbranch_vccnz .LBB480_869
; %bb.865:
	v_cmp_lt_i16_e64 s15, s9, 8
	s_delay_alu instid0(VALU_DEP_1)
	s_and_b32 vcc_lo, exec_lo, s15
	s_cbranch_vccnz .LBB480_870
	;; [unrolled: 5-line block ×3, first 2 shown]
; %bb.867:
	v_cmp_gt_i16_e64 s15, s9, 9
	s_delay_alu instid0(VALU_DEP_1)
	s_and_b32 vcc_lo, exec_lo, s15
	s_cbranch_vccz .LBB480_874
; %bb.868:
	global_load_b64 v[3:4], v[0:1], off
	s_mov_b32 s15, 0
	s_waitcnt vmcnt(0)
	v_cvt_f32_f64_e32 v3, v[3:4]
	s_delay_alu instid0(VALU_DEP_1)
	v_cvt_f16_f32_e32 v5, v3
	s_branch .LBB480_875
.LBB480_869:
                                        ; implicit-def: $vgpr5
	s_branch .LBB480_892
.LBB480_870:
                                        ; implicit-def: $vgpr5
	s_branch .LBB480_881
.LBB480_871:
	s_mov_b32 s15, -1
                                        ; implicit-def: $vgpr5
	s_branch .LBB480_878
.LBB480_872:
	s_cbranch_execnz .LBB480_920
; %bb.873:
	s_mov_b32 s13, exec_lo
	s_and_not1_b32 s16, s16, exec_lo
                                        ; implicit-def: $vgpr5
	s_or_b32 exec_lo, exec_lo, s15
	s_and_saveexec_b32 s14, s16
	s_delay_alu instid0(SALU_CYCLE_1)
	s_xor_b32 s14, exec_lo, s14
	s_cbranch_execnz .LBB480_862
	s_branch .LBB480_863
.LBB480_874:
	s_mov_b32 s15, -1
                                        ; implicit-def: $vgpr5
.LBB480_875:
	s_delay_alu instid0(SALU_CYCLE_1)
	s_and_not1_b32 vcc_lo, exec_lo, s15
	s_cbranch_vccnz .LBB480_877
; %bb.876:
	global_load_b32 v3, v[0:1], off
	s_waitcnt vmcnt(0)
	v_cvt_f16_f32_e32 v5, v3
.LBB480_877:
	s_mov_b32 s15, 0
.LBB480_878:
	s_delay_alu instid0(SALU_CYCLE_1)
	s_and_not1_b32 vcc_lo, exec_lo, s15
	s_cbranch_vccnz .LBB480_880
; %bb.879:
	global_load_b32 v5, v[0:1], off
.LBB480_880:
	s_cbranch_execnz .LBB480_891
.LBB480_881:
	v_cmp_lt_i16_e64 s15, s9, 6
	s_delay_alu instid0(VALU_DEP_1)
	s_and_b32 vcc_lo, exec_lo, s15
	s_cbranch_vccnz .LBB480_884
; %bb.882:
	v_cmp_gt_i16_e64 s15, s9, 6
	s_delay_alu instid0(VALU_DEP_1)
	s_and_b32 vcc_lo, exec_lo, s15
	s_cbranch_vccz .LBB480_885
; %bb.883:
	global_load_b64 v[3:4], v[0:1], off
	s_mov_b32 s15, 0
	s_waitcnt vmcnt(0)
	v_cvt_f32_f64_e32 v3, v[3:4]
	s_delay_alu instid0(VALU_DEP_1)
	v_cvt_f16_f32_e32 v5, v3
	s_branch .LBB480_886
.LBB480_884:
	s_mov_b32 s15, -1
                                        ; implicit-def: $vgpr5
	s_branch .LBB480_889
.LBB480_885:
	s_mov_b32 s15, -1
                                        ; implicit-def: $vgpr5
.LBB480_886:
	s_delay_alu instid0(SALU_CYCLE_1)
	s_and_not1_b32 vcc_lo, exec_lo, s15
	s_cbranch_vccnz .LBB480_888
; %bb.887:
	global_load_b32 v3, v[0:1], off
	s_waitcnt vmcnt(0)
	v_cvt_f16_f32_e32 v5, v3
.LBB480_888:
	s_mov_b32 s15, 0
.LBB480_889:
	s_delay_alu instid0(SALU_CYCLE_1)
	s_and_not1_b32 vcc_lo, exec_lo, s15
	s_cbranch_vccnz .LBB480_891
; %bb.890:
	global_load_u16 v5, v[0:1], off
.LBB480_891:
	s_cbranch_execnz .LBB480_910
.LBB480_892:
	v_cmp_lt_i16_e64 s15, s9, 2
	s_delay_alu instid0(VALU_DEP_1)
	s_and_b32 vcc_lo, exec_lo, s15
	s_cbranch_vccnz .LBB480_896
; %bb.893:
	v_cmp_lt_i16_e64 s15, s9, 3
	s_delay_alu instid0(VALU_DEP_1)
	s_and_b32 vcc_lo, exec_lo, s15
	s_cbranch_vccnz .LBB480_897
; %bb.894:
	v_cmp_gt_i16_e64 s15, s9, 3
	s_delay_alu instid0(VALU_DEP_1)
	s_and_b32 vcc_lo, exec_lo, s15
	s_cbranch_vccz .LBB480_898
; %bb.895:
	global_load_b64 v[3:4], v[0:1], off
	s_mov_b32 s15, 0
	s_waitcnt vmcnt(0)
	v_xor_b32_e32 v5, v3, v4
	v_cls_i32_e32 v6, v4
	s_delay_alu instid0(VALU_DEP_2) | instskip(NEXT) | instid1(VALU_DEP_2)
	v_ashrrev_i32_e32 v5, 31, v5
	v_add_nc_u32_e32 v6, -1, v6
	s_delay_alu instid0(VALU_DEP_2) | instskip(NEXT) | instid1(VALU_DEP_1)
	v_add_nc_u32_e32 v5, 32, v5
	v_min_u32_e32 v5, v6, v5
	s_delay_alu instid0(VALU_DEP_1) | instskip(NEXT) | instid1(VALU_DEP_1)
	v_lshlrev_b64 v[3:4], v5, v[3:4]
	v_min_u32_e32 v3, 1, v3
	s_delay_alu instid0(VALU_DEP_1) | instskip(SKIP_1) | instid1(VALU_DEP_2)
	v_or_b32_e32 v3, v4, v3
	v_sub_nc_u32_e32 v4, 32, v5
	v_cvt_f32_i32_e32 v3, v3
	s_delay_alu instid0(VALU_DEP_1) | instskip(NEXT) | instid1(VALU_DEP_1)
	v_ldexp_f32 v3, v3, v4
	v_cvt_f16_f32_e32 v5, v3
	s_branch .LBB480_899
.LBB480_896:
                                        ; implicit-def: $vgpr5
	s_branch .LBB480_905
.LBB480_897:
	s_mov_b32 s15, -1
                                        ; implicit-def: $vgpr5
	s_branch .LBB480_902
.LBB480_898:
	s_mov_b32 s15, -1
                                        ; implicit-def: $vgpr5
.LBB480_899:
	s_delay_alu instid0(SALU_CYCLE_1)
	s_and_not1_b32 vcc_lo, exec_lo, s15
	s_cbranch_vccnz .LBB480_901
; %bb.900:
	global_load_b32 v3, v[0:1], off
	s_waitcnt vmcnt(0)
	v_cvt_f32_i32_e32 v3, v3
	s_delay_alu instid0(VALU_DEP_1)
	v_cvt_f16_f32_e32 v5, v3
.LBB480_901:
	s_mov_b32 s15, 0
.LBB480_902:
	s_delay_alu instid0(SALU_CYCLE_1)
	s_and_not1_b32 vcc_lo, exec_lo, s15
	s_cbranch_vccnz .LBB480_904
; %bb.903:
	global_load_u16 v3, v[0:1], off
	s_waitcnt vmcnt(0)
	v_cvt_f16_i16_e32 v5, v3
.LBB480_904:
	s_cbranch_execnz .LBB480_910
.LBB480_905:
	v_cmp_gt_i16_e64 s15, s9, 0
	s_delay_alu instid0(VALU_DEP_1)
	s_and_b32 vcc_lo, exec_lo, s15
	s_mov_b32 s15, 0
	s_cbranch_vccz .LBB480_907
; %bb.906:
	global_load_i8 v3, v[0:1], off
	s_waitcnt vmcnt(0)
	v_cvt_f16_i16_e32 v5, v3
	s_branch .LBB480_908
.LBB480_907:
	s_mov_b32 s15, -1
                                        ; implicit-def: $vgpr5
.LBB480_908:
	s_delay_alu instid0(SALU_CYCLE_1)
	s_and_not1_b32 vcc_lo, exec_lo, s15
	s_cbranch_vccnz .LBB480_910
; %bb.909:
	global_load_u8 v0, v[0:1], off
	s_waitcnt vmcnt(0)
	v_cvt_f16_u16_e32 v5, v0
.LBB480_910:
	s_or_b32 s0, s0, exec_lo
.LBB480_911:
	s_or_b32 exec_lo, exec_lo, s14
	s_mov_b32 s16, 0
	s_mov_b32 s15, 0
                                        ; implicit-def: $vgpr4
                                        ; implicit-def: $vgpr0_vgpr1
                                        ; implicit-def: $vgpr3
	s_and_saveexec_b32 s14, s0
	s_cbranch_execz .LBB480_991
; %bb.912:
	v_mul_lo_u32 v0, v2, s2
	s_waitcnt vmcnt(0)
	v_cmp_u_f16_e32 vcc_lo, v5, v5
	v_cmp_gt_f16_e64 s0, s8, v5
	v_and_b32_e64 v4, 0xff, s1
	s_delay_alu instid0(VALU_DEP_2) | instskip(NEXT) | instid1(VALU_DEP_4)
	s_or_b32 vcc_lo, vcc_lo, s0
	v_ashrrev_i32_e32 v1, 31, v0
	v_cndmask_b32_e32 v3, s8, v5, vcc_lo
	s_delay_alu instid0(VALU_DEP_3) | instskip(SKIP_1) | instid1(VALU_DEP_1)
	v_cmp_gt_i16_e32 vcc_lo, 11, v4
	v_add_co_u32 v0, s0, s4, v0
	v_add_co_ci_u32_e64 v1, s0, s5, v1, s0
	s_cbranch_vccnz .LBB480_919
; %bb.913:
	v_cmp_lt_i16_e32 vcc_lo, 25, v4
	s_mov_b32 s15, -1
	s_mov_b32 s0, s12
	s_cbranch_vccz .LBB480_949
; %bb.914:
	v_cmp_lt_i16_e32 vcc_lo, 28, v4
	s_mov_b32 s0, s12
	s_cbranch_vccz .LBB480_933
; %bb.915:
	v_cmp_lt_i16_e32 vcc_lo, 43, v4
	;; [unrolled: 4-line block ×3, first 2 shown]
	s_mov_b32 s0, s12
	s_cbranch_vccz .LBB480_923
; %bb.917:
	v_cmp_eq_u16_e32 vcc_lo, 46, v4
	s_mov_b32 s0, -1
	s_cbranch_vccz .LBB480_922
; %bb.918:
	v_cvt_f32_f16_e32 v2, v3
	v_cmp_o_f16_e32 vcc_lo, v3, v3
	s_mov_b32 s0, 0
	s_mov_b32 s15, 0
	s_delay_alu instid0(VALU_DEP_2) | instskip(NEXT) | instid1(VALU_DEP_1)
	v_bfe_u32 v5, v2, 16, 1
	v_add3_u32 v2, v2, v5, 0x7fff
	s_delay_alu instid0(VALU_DEP_1) | instskip(NEXT) | instid1(VALU_DEP_1)
	v_lshrrev_b32_e32 v2, 16, v2
	v_cndmask_b32_e32 v2, 0x7fc0, v2, vcc_lo
	global_store_b32 v[0:1], v2, off
	s_branch .LBB480_923
.LBB480_919:
	s_mov_b32 s15, -1
	s_mov_b32 s0, s12
	s_branch .LBB480_990
.LBB480_920:
	s_trap 2
	s_sendmsg_rtn_b32 s0, sendmsg(MSG_RTN_GET_DOORBELL)
	s_mov_b32 ttmp2, m0
	s_waitcnt lgkmcnt(0)
	s_and_b32 s0, s0, 0x3ff
	s_delay_alu instid0(SALU_CYCLE_1) | instskip(NEXT) | instid1(SALU_CYCLE_1)
	s_bitset1_b32 s0, 10
	s_mov_b32 m0, s0
	s_sendmsg sendmsg(MSG_INTERRUPT)
	s_mov_b32 m0, ttmp2
.LBB480_921:                            ; =>This Inner Loop Header: Depth=1
	s_sethalt 5
	s_branch .LBB480_921
.LBB480_922:
	s_mov_b32 s15, 0
.LBB480_923:
	s_delay_alu instid0(SALU_CYCLE_1)
	s_and_b32 vcc_lo, exec_lo, s15
	s_cbranch_vccz .LBB480_928
; %bb.924:
	v_cmp_eq_u16_e32 vcc_lo, 44, v4
	s_mov_b32 s0, -1
	s_cbranch_vccz .LBB480_928
; %bb.925:
	v_cvt_f32_f16_e32 v2, v3
	v_mov_b32_e32 v5, 0xff
	s_mov_b32 s15, exec_lo
	s_delay_alu instid0(VALU_DEP_2) | instskip(NEXT) | instid1(VALU_DEP_1)
	v_bfe_u32 v6, v2, 23, 8
	v_cmpx_ne_u32_e32 0xff, v6
; %bb.926:
	v_and_b32_e32 v5, 0x400000, v2
	v_and_or_b32 v6, 0x3fffff, v2, v6
	v_lshrrev_b32_e32 v2, 23, v2
	s_delay_alu instid0(VALU_DEP_3) | instskip(NEXT) | instid1(VALU_DEP_3)
	v_cmp_ne_u32_e32 vcc_lo, 0, v5
	v_cmp_ne_u32_e64 s0, 0, v6
	s_delay_alu instid0(VALU_DEP_1) | instskip(NEXT) | instid1(SALU_CYCLE_1)
	s_and_b32 s0, vcc_lo, s0
	v_cndmask_b32_e64 v5, 0, 1, s0
	s_delay_alu instid0(VALU_DEP_1)
	v_add_nc_u32_e32 v5, v2, v5
; %bb.927:
	s_or_b32 exec_lo, exec_lo, s15
	s_mov_b32 s0, 0
	global_store_b8 v[0:1], v5, off
.LBB480_928:
	s_mov_b32 s15, 0
.LBB480_929:
	s_delay_alu instid0(SALU_CYCLE_1)
	s_and_b32 vcc_lo, exec_lo, s15
	s_cbranch_vccz .LBB480_932
; %bb.930:
	v_cmp_eq_u16_e32 vcc_lo, 29, v4
	s_mov_b32 s0, -1
	s_cbranch_vccz .LBB480_932
; %bb.931:
	v_cvt_f32_f16_e32 v2, v3
	v_mov_b32_e32 v6, 0
	s_mov_b32 s0, 0
	s_mov_b32 s15, 0
	s_delay_alu instid0(VALU_DEP_2)
	v_cvt_u32_f32_e32 v5, v2
	global_store_b64 v[0:1], v[5:6], off
	s_branch .LBB480_933
.LBB480_932:
	s_mov_b32 s15, 0
.LBB480_933:
	s_delay_alu instid0(SALU_CYCLE_1)
	s_and_b32 vcc_lo, exec_lo, s15
	s_cbranch_vccz .LBB480_948
; %bb.934:
	v_cmp_gt_i16_e32 vcc_lo, 27, v4
	s_mov_b32 s15, -1
	s_cbranch_vccnz .LBB480_940
; %bb.935:
	v_cmp_lt_i16_e32 vcc_lo, 27, v4
	s_cbranch_vccz .LBB480_937
; %bb.936:
	v_cvt_f32_f16_e32 v2, v3
	s_mov_b32 s15, 0
	s_delay_alu instid0(VALU_DEP_1)
	v_cvt_u32_f32_e32 v2, v2
	global_store_b32 v[0:1], v2, off
.LBB480_937:
	s_and_not1_b32 vcc_lo, exec_lo, s15
	s_cbranch_vccnz .LBB480_939
; %bb.938:
	v_cvt_u16_f16_e32 v2, v3
	global_store_b16 v[0:1], v2, off
.LBB480_939:
	s_mov_b32 s15, 0
.LBB480_940:
	s_delay_alu instid0(SALU_CYCLE_1)
	s_and_not1_b32 vcc_lo, exec_lo, s15
	s_cbranch_vccnz .LBB480_948
; %bb.941:
	v_cvt_f32_f16_e32 v2, v3
	v_mov_b32_e32 v6, 0x80
	s_mov_b32 s15, exec_lo
	s_delay_alu instid0(VALU_DEP_2) | instskip(NEXT) | instid1(VALU_DEP_1)
	v_and_b32_e32 v5, 0x7fffffff, v2
	v_cmpx_gt_u32_e32 0x43800000, v5
	s_cbranch_execz .LBB480_947
; %bb.942:
	v_cmp_lt_u32_e32 vcc_lo, 0x3bffffff, v5
                                        ; implicit-def: $vgpr5
	s_and_saveexec_b32 s17, vcc_lo
	s_delay_alu instid0(SALU_CYCLE_1)
	s_xor_b32 s17, exec_lo, s17
	s_cbranch_execz .LBB480_1182
; %bb.943:
	v_bfe_u32 v5, v2, 20, 1
	s_mov_b32 s16, exec_lo
	s_delay_alu instid0(VALU_DEP_1) | instskip(NEXT) | instid1(VALU_DEP_1)
	v_add3_u32 v5, v2, v5, 0x487ffff
	v_lshrrev_b32_e32 v5, 20, v5
	s_or_saveexec_b32 s17, s17
                                        ; implicit-def: $sgpr18
	s_delay_alu instid0(SALU_CYCLE_1)
	s_xor_b32 exec_lo, exec_lo, s17
	s_cbranch_execnz .LBB480_1183
.LBB480_944:
	s_or_b32 exec_lo, exec_lo, s17
	v_mov_b32_e32 v6, s18
	s_and_saveexec_b32 s17, s16
.LBB480_945:
	v_lshrrev_b32_e32 v2, 24, v2
	s_delay_alu instid0(VALU_DEP_1)
	v_and_or_b32 v6, 0x80, v2, v5
.LBB480_946:
	s_or_b32 exec_lo, exec_lo, s17
.LBB480_947:
	s_delay_alu instid0(SALU_CYCLE_1)
	s_or_b32 exec_lo, exec_lo, s15
	global_store_b8 v[0:1], v6, off
.LBB480_948:
	s_mov_b32 s15, 0
.LBB480_949:
	s_delay_alu instid0(SALU_CYCLE_1)
	s_and_b32 vcc_lo, exec_lo, s15
	s_mov_b32 s15, 0
	s_cbranch_vccz .LBB480_989
; %bb.950:
	v_cmp_lt_i16_e32 vcc_lo, 22, v4
	s_mov_b32 s16, -1
	s_cbranch_vccz .LBB480_982
; %bb.951:
	v_cmp_gt_i16_e32 vcc_lo, 24, v4
	s_cbranch_vccnz .LBB480_971
; %bb.952:
	v_cmp_lt_i16_e32 vcc_lo, 24, v4
	s_cbranch_vccz .LBB480_960
; %bb.953:
	v_cvt_f32_f16_e32 v2, v3
	v_mov_b32_e32 v6, 0x80
	s_mov_b32 s16, exec_lo
	s_delay_alu instid0(VALU_DEP_2) | instskip(NEXT) | instid1(VALU_DEP_1)
	v_and_b32_e32 v5, 0x7fffffff, v2
	v_cmpx_gt_u32_e32 0x47800000, v5
	s_cbranch_execz .LBB480_959
; %bb.954:
	v_cmp_lt_u32_e32 vcc_lo, 0x37ffffff, v5
	s_mov_b32 s17, 0
                                        ; implicit-def: $vgpr5
	s_and_saveexec_b32 s18, vcc_lo
	s_delay_alu instid0(SALU_CYCLE_1)
	s_xor_b32 s18, exec_lo, s18
	s_cbranch_execz .LBB480_1226
; %bb.955:
	v_bfe_u32 v5, v2, 21, 1
	s_mov_b32 s17, exec_lo
	s_delay_alu instid0(VALU_DEP_1) | instskip(NEXT) | instid1(VALU_DEP_1)
	v_add3_u32 v5, v2, v5, 0x88fffff
	v_lshrrev_b32_e32 v5, 21, v5
	s_or_saveexec_b32 s18, s18
                                        ; implicit-def: $sgpr19
	s_delay_alu instid0(SALU_CYCLE_1)
	s_xor_b32 exec_lo, exec_lo, s18
	s_cbranch_execnz .LBB480_1227
.LBB480_956:
	s_or_b32 exec_lo, exec_lo, s18
	v_mov_b32_e32 v6, s19
	s_and_saveexec_b32 s18, s17
.LBB480_957:
	v_lshrrev_b32_e32 v2, 24, v2
	s_delay_alu instid0(VALU_DEP_1)
	v_and_or_b32 v6, 0x80, v2, v5
.LBB480_958:
	s_or_b32 exec_lo, exec_lo, s18
.LBB480_959:
	s_delay_alu instid0(SALU_CYCLE_1)
	s_or_b32 exec_lo, exec_lo, s16
	s_mov_b32 s16, 0
	global_store_b8 v[0:1], v6, off
.LBB480_960:
	s_and_b32 vcc_lo, exec_lo, s16
	s_cbranch_vccz .LBB480_970
; %bb.961:
	v_cvt_f32_f16_e32 v2, v3
	s_mov_b32 s16, exec_lo
                                        ; implicit-def: $vgpr5
	s_delay_alu instid0(VALU_DEP_1) | instskip(NEXT) | instid1(VALU_DEP_1)
	v_and_b32_e32 v6, 0x7fffffff, v2
	v_cmpx_gt_u32_e32 0x43f00000, v6
	s_xor_b32 s16, exec_lo, s16
	s_cbranch_execz .LBB480_967
; %bb.962:
	s_mov_b32 s17, exec_lo
                                        ; implicit-def: $vgpr5
	v_cmpx_lt_u32_e32 0x3c7fffff, v6
	s_xor_b32 s17, exec_lo, s17
; %bb.963:
	v_bfe_u32 v5, v2, 20, 1
	s_delay_alu instid0(VALU_DEP_1) | instskip(NEXT) | instid1(VALU_DEP_1)
	v_add3_u32 v5, v2, v5, 0x407ffff
	v_and_b32_e32 v6, 0xff00000, v5
	v_lshrrev_b32_e32 v5, 20, v5
	s_delay_alu instid0(VALU_DEP_2) | instskip(NEXT) | instid1(VALU_DEP_2)
	v_cmp_ne_u32_e32 vcc_lo, 0x7f00000, v6
	v_cndmask_b32_e32 v5, 0x7e, v5, vcc_lo
; %bb.964:
	s_and_not1_saveexec_b32 s17, s17
; %bb.965:
	v_add_f32_e64 v5, 0x46800000, |v2|
; %bb.966:
	s_or_b32 exec_lo, exec_lo, s17
                                        ; implicit-def: $vgpr6
.LBB480_967:
	s_and_not1_saveexec_b32 s16, s16
; %bb.968:
	v_mov_b32_e32 v5, 0x7f
	v_cmp_lt_u32_e32 vcc_lo, 0x7f800000, v6
	s_delay_alu instid0(VALU_DEP_2)
	v_cndmask_b32_e32 v5, 0x7e, v5, vcc_lo
; %bb.969:
	s_or_b32 exec_lo, exec_lo, s16
	v_lshrrev_b32_e32 v2, 24, v2
	s_delay_alu instid0(VALU_DEP_1)
	v_and_or_b32 v2, 0x80, v2, v5
	global_store_b8 v[0:1], v2, off
.LBB480_970:
	s_mov_b32 s16, 0
.LBB480_971:
	s_delay_alu instid0(SALU_CYCLE_1)
	s_and_not1_b32 vcc_lo, exec_lo, s16
	s_cbranch_vccnz .LBB480_981
; %bb.972:
	v_cvt_f32_f16_e32 v2, v3
	s_mov_b32 s16, exec_lo
                                        ; implicit-def: $vgpr5
	s_delay_alu instid0(VALU_DEP_1) | instskip(NEXT) | instid1(VALU_DEP_1)
	v_and_b32_e32 v6, 0x7fffffff, v2
	v_cmpx_gt_u32_e32 0x47800000, v6
	s_xor_b32 s16, exec_lo, s16
	s_cbranch_execz .LBB480_978
; %bb.973:
	s_mov_b32 s17, exec_lo
                                        ; implicit-def: $vgpr5
	v_cmpx_lt_u32_e32 0x387fffff, v6
	s_xor_b32 s17, exec_lo, s17
; %bb.974:
	v_bfe_u32 v5, v2, 21, 1
	s_delay_alu instid0(VALU_DEP_1) | instskip(NEXT) | instid1(VALU_DEP_1)
	v_add3_u32 v5, v2, v5, 0x80fffff
	v_lshrrev_b32_e32 v5, 21, v5
; %bb.975:
	s_and_not1_saveexec_b32 s17, s17
; %bb.976:
	v_add_f32_e64 v5, 0x43000000, |v2|
; %bb.977:
	s_or_b32 exec_lo, exec_lo, s17
                                        ; implicit-def: $vgpr6
.LBB480_978:
	s_and_not1_saveexec_b32 s16, s16
; %bb.979:
	v_mov_b32_e32 v5, 0x7f
	v_cmp_lt_u32_e32 vcc_lo, 0x7f800000, v6
	s_delay_alu instid0(VALU_DEP_2)
	v_cndmask_b32_e32 v5, 0x7c, v5, vcc_lo
; %bb.980:
	s_or_b32 exec_lo, exec_lo, s16
	v_lshrrev_b32_e32 v2, 24, v2
	s_delay_alu instid0(VALU_DEP_1)
	v_and_or_b32 v2, 0x80, v2, v5
	global_store_b8 v[0:1], v2, off
.LBB480_981:
	s_mov_b32 s16, 0
.LBB480_982:
	s_delay_alu instid0(SALU_CYCLE_1)
	s_and_not1_b32 vcc_lo, exec_lo, s16
	s_mov_b32 s16, 0
	s_cbranch_vccnz .LBB480_990
; %bb.983:
	v_cmp_lt_i16_e32 vcc_lo, 14, v4
	s_mov_b32 s16, -1
	s_cbranch_vccz .LBB480_987
; %bb.984:
	v_cmp_eq_u16_e32 vcc_lo, 15, v4
	s_mov_b32 s0, -1
	s_cbranch_vccz .LBB480_986
; %bb.985:
	v_cvt_f32_f16_e32 v2, v3
	v_cmp_o_f16_e32 vcc_lo, v3, v3
	s_mov_b32 s0, 0
	s_delay_alu instid0(VALU_DEP_2) | instskip(NEXT) | instid1(VALU_DEP_1)
	v_bfe_u32 v5, v2, 16, 1
	v_add3_u32 v2, v2, v5, 0x7fff
	s_delay_alu instid0(VALU_DEP_1) | instskip(NEXT) | instid1(VALU_DEP_1)
	v_lshrrev_b32_e32 v2, 16, v2
	v_cndmask_b32_e32 v2, 0x7fc0, v2, vcc_lo
	global_store_b16 v[0:1], v2, off
.LBB480_986:
	s_mov_b32 s16, 0
.LBB480_987:
	s_delay_alu instid0(SALU_CYCLE_1)
	s_and_b32 vcc_lo, exec_lo, s16
	s_mov_b32 s16, 0
	s_cbranch_vccz .LBB480_990
; %bb.988:
	v_cmp_ne_u16_e32 vcc_lo, 11, v4
	s_and_not1_b32 s0, s0, exec_lo
	s_mov_b32 s16, -1
	s_and_b32 s17, vcc_lo, exec_lo
	s_delay_alu instid0(SALU_CYCLE_1)
	s_or_b32 s0, s0, s17
	s_branch .LBB480_990
.LBB480_989:
	s_mov_b32 s16, 0
.LBB480_990:
	s_and_not1_b32 s12, s12, exec_lo
	s_and_b32 s0, s0, exec_lo
	s_and_b32 s15, s15, exec_lo
	;; [unrolled: 1-line block ×3, first 2 shown]
	s_or_b32 s12, s12, s0
.LBB480_991:
	s_or_b32 exec_lo, exec_lo, s14
	s_and_saveexec_b32 s0, s12
	s_cbranch_execnz .LBB480_1053
; %bb.992:
	s_or_b32 exec_lo, exec_lo, s0
	s_and_saveexec_b32 s0, s16
	s_delay_alu instid0(SALU_CYCLE_1)
	s_xor_b32 s0, exec_lo, s0
	s_cbranch_execz .LBB480_994
.LBB480_993:
	s_waitcnt vmcnt(0)
	v_and_b32_e32 v2, 0x7fff, v3
	s_delay_alu instid0(VALU_DEP_1)
	v_cmp_ne_u16_e32 vcc_lo, 0, v2
	v_cndmask_b32_e64 v2, 0, 1, vcc_lo
	global_store_b8 v[0:1], v2, off
.LBB480_994:
	s_or_b32 exec_lo, exec_lo, s0
	s_and_saveexec_b32 s0, s15
	s_delay_alu instid0(SALU_CYCLE_1)
	s_xor_b32 s0, exec_lo, s0
	s_cbranch_execz .LBB480_1032
; %bb.995:
	v_cmp_gt_i16_e32 vcc_lo, 5, v4
	s_mov_b32 s12, -1
	s_cbranch_vccnz .LBB480_1016
; %bb.996:
	v_cmp_gt_i16_e32 vcc_lo, 8, v4
	s_cbranch_vccnz .LBB480_1006
; %bb.997:
	v_cmp_gt_i16_e32 vcc_lo, 9, v4
	s_cbranch_vccnz .LBB480_1003
; %bb.998:
	v_cmp_lt_i16_e32 vcc_lo, 9, v4
	s_cbranch_vccz .LBB480_1000
; %bb.999:
	s_waitcnt vmcnt(0)
	v_cvt_f32_f16_e32 v2, v3
	v_mov_b32_e32 v7, 0
	s_mov_b32 s12, 0
	s_delay_alu instid0(VALU_DEP_2) | instskip(NEXT) | instid1(VALU_DEP_2)
	v_cvt_f64_f32_e32 v[5:6], v2
	v_mov_b32_e32 v8, v7
	global_store_b128 v[0:1], v[5:8], off
.LBB480_1000:
	s_and_not1_b32 vcc_lo, exec_lo, s12
	s_cbranch_vccnz .LBB480_1002
; %bb.1001:
	s_waitcnt vmcnt(0)
	v_cvt_f32_f16_e32 v5, v3
	v_mov_b32_e32 v6, 0
	global_store_b64 v[0:1], v[5:6], off
.LBB480_1002:
	s_mov_b32 s12, 0
.LBB480_1003:
	s_delay_alu instid0(SALU_CYCLE_1)
	s_and_not1_b32 vcc_lo, exec_lo, s12
	s_cbranch_vccnz .LBB480_1005
; %bb.1004:
	s_waitcnt vmcnt(0)
	v_and_b32_e32 v2, 0xffff, v3
	global_store_b32 v[0:1], v2, off
.LBB480_1005:
	s_mov_b32 s12, 0
.LBB480_1006:
	s_delay_alu instid0(SALU_CYCLE_1)
	s_and_not1_b32 vcc_lo, exec_lo, s12
	s_cbranch_vccnz .LBB480_1015
; %bb.1007:
	v_cmp_gt_i16_e32 vcc_lo, 6, v4
	s_mov_b32 s12, -1
	s_cbranch_vccnz .LBB480_1013
; %bb.1008:
	v_cmp_lt_i16_e32 vcc_lo, 6, v4
	s_cbranch_vccz .LBB480_1010
; %bb.1009:
	s_waitcnt vmcnt(0)
	v_cvt_f32_f16_e32 v2, v3
	s_mov_b32 s12, 0
	s_delay_alu instid0(VALU_DEP_1)
	v_cvt_f64_f32_e32 v[5:6], v2
	global_store_b64 v[0:1], v[5:6], off
.LBB480_1010:
	s_and_not1_b32 vcc_lo, exec_lo, s12
	s_cbranch_vccnz .LBB480_1012
; %bb.1011:
	s_waitcnt vmcnt(0)
	v_cvt_f32_f16_e32 v2, v3
	global_store_b32 v[0:1], v2, off
.LBB480_1012:
	s_mov_b32 s12, 0
.LBB480_1013:
	s_delay_alu instid0(SALU_CYCLE_1)
	s_and_not1_b32 vcc_lo, exec_lo, s12
	s_cbranch_vccnz .LBB480_1015
; %bb.1014:
	s_waitcnt vmcnt(0)
	global_store_b16 v[0:1], v3, off
.LBB480_1015:
	s_mov_b32 s12, 0
.LBB480_1016:
	s_delay_alu instid0(SALU_CYCLE_1)
	s_and_not1_b32 vcc_lo, exec_lo, s12
	s_cbranch_vccnz .LBB480_1032
; %bb.1017:
	v_cmp_gt_i16_e32 vcc_lo, 2, v4
	s_mov_b32 s12, -1
	s_cbranch_vccnz .LBB480_1027
; %bb.1018:
	v_cmp_gt_i16_e32 vcc_lo, 3, v4
	s_cbranch_vccnz .LBB480_1024
; %bb.1019:
	v_cmp_lt_i16_e32 vcc_lo, 3, v4
	s_cbranch_vccz .LBB480_1021
; %bb.1020:
	s_waitcnt vmcnt(0)
	v_cvt_f32_f16_e32 v2, v3
	s_mov_b32 s12, 0
	s_delay_alu instid0(VALU_DEP_1) | instskip(NEXT) | instid1(VALU_DEP_1)
	v_cvt_i32_f32_e32 v5, v2
	v_ashrrev_i32_e32 v6, 31, v5
	global_store_b64 v[0:1], v[5:6], off
.LBB480_1021:
	s_and_not1_b32 vcc_lo, exec_lo, s12
	s_cbranch_vccnz .LBB480_1023
; %bb.1022:
	s_waitcnt vmcnt(0)
	v_cvt_f32_f16_e32 v2, v3
	s_delay_alu instid0(VALU_DEP_1)
	v_cvt_i32_f32_e32 v2, v2
	global_store_b32 v[0:1], v2, off
.LBB480_1023:
	s_mov_b32 s12, 0
.LBB480_1024:
	s_delay_alu instid0(SALU_CYCLE_1)
	s_and_not1_b32 vcc_lo, exec_lo, s12
	s_cbranch_vccnz .LBB480_1026
; %bb.1025:
	s_waitcnt vmcnt(0)
	v_cvt_i16_f16_e32 v2, v3
	global_store_b16 v[0:1], v2, off
.LBB480_1026:
	s_mov_b32 s12, 0
.LBB480_1027:
	s_delay_alu instid0(SALU_CYCLE_1)
	s_and_not1_b32 vcc_lo, exec_lo, s12
	s_cbranch_vccnz .LBB480_1032
; %bb.1028:
	v_cmp_lt_i16_e32 vcc_lo, 0, v4
	s_mov_b32 s12, -1
	s_cbranch_vccz .LBB480_1030
; %bb.1029:
	s_waitcnt vmcnt(0)
	v_cvt_i16_f16_e32 v2, v3
	s_mov_b32 s12, 0
	global_store_b8 v[0:1], v2, off
.LBB480_1030:
	s_and_not1_b32 vcc_lo, exec_lo, s12
	s_cbranch_vccnz .LBB480_1032
; %bb.1031:
	s_waitcnt vmcnt(0)
	v_cvt_f32_f16_e32 v2, v3
	s_delay_alu instid0(VALU_DEP_1)
	v_cvt_i32_f32_e32 v2, v2
	global_store_b8 v[0:1], v2, off
.LBB480_1032:
	s_or_b32 exec_lo, exec_lo, s0
	s_delay_alu instid0(SALU_CYCLE_1)
	s_and_b32 s12, s13, exec_lo
                                        ; implicit-def: $vgpr2
.LBB480_1033:
	s_or_saveexec_b32 s11, s11
	s_mov_b32 s0, 0
                                        ; implicit-def: $vgpr3
                                        ; implicit-def: $vgpr0_vgpr1
                                        ; implicit-def: $vgpr4
	s_xor_b32 exec_lo, exec_lo, s11
	s_cbranch_execz .LBB480_1998
; %bb.1034:
	s_waitcnt vmcnt(0)
	v_mul_lo_u32 v3, s3, v2
	v_cmp_lt_i16_e64 s0, s9, 11
	s_delay_alu instid0(VALU_DEP_2) | instskip(SKIP_1) | instid1(VALU_DEP_2)
	v_ashrrev_i32_e32 v1, 31, v3
	v_add_co_u32 v0, vcc_lo, s6, v3
	v_add_co_ci_u32_e32 v1, vcc_lo, s7, v1, vcc_lo
	s_delay_alu instid0(VALU_DEP_4)
	s_and_b32 vcc_lo, exec_lo, s0
	s_cbranch_vccnz .LBB480_1041
; %bb.1035:
	v_cmp_gt_i16_e64 s0, s9, 25
	s_mov_b32 s13, 0
	s_delay_alu instid0(VALU_DEP_1)
	s_and_b32 vcc_lo, exec_lo, s0
	s_cbranch_vccz .LBB480_1047
; %bb.1036:
	v_cmp_gt_i16_e64 s0, s9, 28
	s_delay_alu instid0(VALU_DEP_1)
	s_and_b32 vcc_lo, exec_lo, s0
	s_cbranch_vccz .LBB480_1049
; %bb.1037:
	v_cmp_gt_i16_e64 s0, s9, 43
	;; [unrolled: 5-line block ×3, first 2 shown]
	s_delay_alu instid0(VALU_DEP_1)
	s_and_b32 vcc_lo, exec_lo, s0
	s_cbranch_vccz .LBB480_1055
; %bb.1039:
	v_cmp_eq_u16_e64 s0, s9, 46
	s_delay_alu instid0(VALU_DEP_1)
	s_and_b32 vcc_lo, exec_lo, s0
	s_cbranch_vccz .LBB480_1095
; %bb.1040:
	global_load_b32 v4, v[0:1], off
	s_mov_b32 s0, 0
	s_mov_b32 s14, -1
	s_waitcnt vmcnt(0)
	v_lshlrev_b32_e32 v4, 16, v4
	s_delay_alu instid0(VALU_DEP_1)
	v_cvt_f16_f32_e32 v4, v4
	s_branch .LBB480_1097
.LBB480_1041:
	s_mov_b32 s14, 0
	s_mov_b32 s10, s12
                                        ; implicit-def: $vgpr4
	s_cbranch_execz .LBB480_1160
; %bb.1042:
	v_cmp_lt_i16_e64 s0, s9, 5
	s_delay_alu instid0(VALU_DEP_1)
	s_and_b32 vcc_lo, exec_lo, s0
	s_cbranch_vccnz .LBB480_1048
; %bb.1043:
	v_cmp_lt_i16_e64 s0, s9, 8
	s_delay_alu instid0(VALU_DEP_1)
	s_and_b32 vcc_lo, exec_lo, s0
	s_cbranch_vccnz .LBB480_1050
	;; [unrolled: 5-line block ×3, first 2 shown]
; %bb.1045:
	v_cmp_gt_i16_e64 s0, s9, 9
	s_delay_alu instid0(VALU_DEP_1)
	s_and_b32 vcc_lo, exec_lo, s0
	s_cbranch_vccz .LBB480_1056
; %bb.1046:
	global_load_b64 v[4:5], v[0:1], off
	s_mov_b32 s0, 0
	s_waitcnt vmcnt(0)
	v_cvt_f32_f64_e32 v4, v[4:5]
	s_delay_alu instid0(VALU_DEP_1)
	v_cvt_f16_f32_e32 v4, v4
	s_branch .LBB480_1057
.LBB480_1047:
	s_mov_b32 s14, 0
	s_mov_b32 s0, 0
                                        ; implicit-def: $vgpr4
	s_cbranch_execnz .LBB480_1125
	s_branch .LBB480_1156
.LBB480_1048:
                                        ; implicit-def: $vgpr4
	s_branch .LBB480_1074
.LBB480_1049:
	s_mov_b32 s10, -1
	s_mov_b32 s14, 0
	s_mov_b32 s0, 0
                                        ; implicit-def: $vgpr4
	s_branch .LBB480_1106
.LBB480_1050:
                                        ; implicit-def: $vgpr4
	s_branch .LBB480_1063
.LBB480_1051:
	s_mov_b32 s14, 0
	s_mov_b32 s0, 0
                                        ; implicit-def: $vgpr4
	s_cbranch_execnz .LBB480_1102
	s_branch .LBB480_1105
.LBB480_1052:
	s_mov_b32 s0, -1
                                        ; implicit-def: $vgpr4
	s_branch .LBB480_1060
.LBB480_1053:
	s_cbranch_execnz .LBB480_1093
; %bb.1054:
	s_or_b32 s13, s13, exec_lo
	s_and_not1_b32 s16, s16, exec_lo
	s_or_b32 exec_lo, exec_lo, s0
	s_and_saveexec_b32 s0, s16
	s_delay_alu instid0(SALU_CYCLE_1)
	s_xor_b32 s0, exec_lo, s0
	s_cbranch_execnz .LBB480_993
	s_branch .LBB480_994
.LBB480_1055:
	s_mov_b32 s10, -1
	s_mov_b32 s14, 0
	s_mov_b32 s0, 0
	s_branch .LBB480_1096
.LBB480_1056:
	s_mov_b32 s0, -1
                                        ; implicit-def: $vgpr4
.LBB480_1057:
	s_delay_alu instid0(SALU_CYCLE_1)
	s_and_not1_b32 vcc_lo, exec_lo, s0
	s_cbranch_vccnz .LBB480_1059
; %bb.1058:
	global_load_b32 v4, v[0:1], off
	s_waitcnt vmcnt(0)
	v_cvt_f16_f32_e32 v4, v4
.LBB480_1059:
	s_mov_b32 s0, 0
.LBB480_1060:
	s_delay_alu instid0(SALU_CYCLE_1)
	s_and_not1_b32 vcc_lo, exec_lo, s0
	s_cbranch_vccnz .LBB480_1062
; %bb.1061:
	global_load_b32 v4, v[0:1], off
.LBB480_1062:
	s_cbranch_execnz .LBB480_1073
.LBB480_1063:
	v_cmp_lt_i16_e64 s0, s9, 6
	s_delay_alu instid0(VALU_DEP_1)
	s_and_b32 vcc_lo, exec_lo, s0
	s_cbranch_vccnz .LBB480_1066
; %bb.1064:
	v_cmp_gt_i16_e64 s0, s9, 6
	s_delay_alu instid0(VALU_DEP_1)
	s_and_b32 vcc_lo, exec_lo, s0
	s_cbranch_vccz .LBB480_1067
; %bb.1065:
	global_load_b64 v[4:5], v[0:1], off
	s_mov_b32 s0, 0
	s_waitcnt vmcnt(0)
	v_cvt_f32_f64_e32 v4, v[4:5]
	s_delay_alu instid0(VALU_DEP_1)
	v_cvt_f16_f32_e32 v4, v4
	s_branch .LBB480_1068
.LBB480_1066:
	s_mov_b32 s0, -1
                                        ; implicit-def: $vgpr4
	s_branch .LBB480_1071
.LBB480_1067:
	s_mov_b32 s0, -1
                                        ; implicit-def: $vgpr4
.LBB480_1068:
	s_delay_alu instid0(SALU_CYCLE_1)
	s_and_not1_b32 vcc_lo, exec_lo, s0
	s_cbranch_vccnz .LBB480_1070
; %bb.1069:
	global_load_b32 v4, v[0:1], off
	s_waitcnt vmcnt(0)
	v_cvt_f16_f32_e32 v4, v4
.LBB480_1070:
	s_mov_b32 s0, 0
.LBB480_1071:
	s_delay_alu instid0(SALU_CYCLE_1)
	s_and_not1_b32 vcc_lo, exec_lo, s0
	s_cbranch_vccnz .LBB480_1073
; %bb.1072:
	global_load_u16 v4, v[0:1], off
.LBB480_1073:
	s_cbranch_execnz .LBB480_1092
.LBB480_1074:
	v_cmp_lt_i16_e64 s0, s9, 2
	s_delay_alu instid0(VALU_DEP_1)
	s_and_b32 vcc_lo, exec_lo, s0
	s_cbranch_vccnz .LBB480_1078
; %bb.1075:
	v_cmp_lt_i16_e64 s0, s9, 3
	s_delay_alu instid0(VALU_DEP_1)
	s_and_b32 vcc_lo, exec_lo, s0
	s_cbranch_vccnz .LBB480_1079
; %bb.1076:
	v_cmp_gt_i16_e64 s0, s9, 3
	s_delay_alu instid0(VALU_DEP_1)
	s_and_b32 vcc_lo, exec_lo, s0
	s_cbranch_vccz .LBB480_1080
; %bb.1077:
	global_load_b64 v[4:5], v[0:1], off
	s_mov_b32 s0, 0
	s_waitcnt vmcnt(0)
	v_xor_b32_e32 v6, v4, v5
	v_cls_i32_e32 v7, v5
	s_delay_alu instid0(VALU_DEP_2) | instskip(NEXT) | instid1(VALU_DEP_2)
	v_ashrrev_i32_e32 v6, 31, v6
	v_add_nc_u32_e32 v7, -1, v7
	s_delay_alu instid0(VALU_DEP_2) | instskip(NEXT) | instid1(VALU_DEP_1)
	v_add_nc_u32_e32 v6, 32, v6
	v_min_u32_e32 v6, v7, v6
	s_delay_alu instid0(VALU_DEP_1) | instskip(NEXT) | instid1(VALU_DEP_1)
	v_lshlrev_b64 v[4:5], v6, v[4:5]
	v_min_u32_e32 v4, 1, v4
	s_delay_alu instid0(VALU_DEP_1) | instskip(SKIP_1) | instid1(VALU_DEP_2)
	v_or_b32_e32 v4, v5, v4
	v_sub_nc_u32_e32 v5, 32, v6
	v_cvt_f32_i32_e32 v4, v4
	s_delay_alu instid0(VALU_DEP_1) | instskip(NEXT) | instid1(VALU_DEP_1)
	v_ldexp_f32 v4, v4, v5
	v_cvt_f16_f32_e32 v4, v4
	s_branch .LBB480_1081
.LBB480_1078:
                                        ; implicit-def: $vgpr4
	s_branch .LBB480_1087
.LBB480_1079:
	s_mov_b32 s0, -1
                                        ; implicit-def: $vgpr4
	s_branch .LBB480_1084
.LBB480_1080:
	s_mov_b32 s0, -1
                                        ; implicit-def: $vgpr4
.LBB480_1081:
	s_delay_alu instid0(SALU_CYCLE_1)
	s_and_not1_b32 vcc_lo, exec_lo, s0
	s_cbranch_vccnz .LBB480_1083
; %bb.1082:
	global_load_b32 v4, v[0:1], off
	s_waitcnt vmcnt(0)
	v_cvt_f32_i32_e32 v4, v4
	s_delay_alu instid0(VALU_DEP_1)
	v_cvt_f16_f32_e32 v4, v4
.LBB480_1083:
	s_mov_b32 s0, 0
.LBB480_1084:
	s_delay_alu instid0(SALU_CYCLE_1)
	s_and_not1_b32 vcc_lo, exec_lo, s0
	s_cbranch_vccnz .LBB480_1086
; %bb.1085:
	global_load_u16 v4, v[0:1], off
	s_waitcnt vmcnt(0)
	v_cvt_f16_i16_e32 v4, v4
.LBB480_1086:
	s_cbranch_execnz .LBB480_1092
.LBB480_1087:
	v_cmp_gt_i16_e64 s0, s9, 0
	s_delay_alu instid0(VALU_DEP_1)
	s_and_b32 vcc_lo, exec_lo, s0
	s_mov_b32 s0, 0
	s_cbranch_vccz .LBB480_1089
; %bb.1088:
	global_load_i8 v4, v[0:1], off
	s_waitcnt vmcnt(0)
	v_cvt_f16_i16_e32 v4, v4
	s_branch .LBB480_1090
.LBB480_1089:
	s_mov_b32 s0, -1
                                        ; implicit-def: $vgpr4
.LBB480_1090:
	s_delay_alu instid0(SALU_CYCLE_1)
	s_and_not1_b32 vcc_lo, exec_lo, s0
	s_cbranch_vccnz .LBB480_1092
; %bb.1091:
	global_load_u8 v0, v[0:1], off
	s_waitcnt vmcnt(0)
	v_cvt_f16_u16_e32 v4, v0
.LBB480_1092:
	s_branch .LBB480_1161
.LBB480_1093:
	s_trap 2
	s_sendmsg_rtn_b32 s0, sendmsg(MSG_RTN_GET_DOORBELL)
	s_mov_b32 ttmp2, m0
	s_waitcnt lgkmcnt(0)
	s_and_b32 s0, s0, 0x3ff
	s_delay_alu instid0(SALU_CYCLE_1) | instskip(NEXT) | instid1(SALU_CYCLE_1)
	s_bitset1_b32 s0, 10
	s_mov_b32 m0, s0
	s_sendmsg sendmsg(MSG_INTERRUPT)
	s_mov_b32 m0, ttmp2
.LBB480_1094:                           ; =>This Inner Loop Header: Depth=1
	s_sethalt 5
	s_branch .LBB480_1094
.LBB480_1095:
	s_mov_b32 s0, -1
	s_mov_b32 s14, 0
.LBB480_1096:
                                        ; implicit-def: $vgpr4
.LBB480_1097:
	s_and_b32 vcc_lo, exec_lo, s10
	s_cbranch_vccz .LBB480_1100
; %bb.1098:
	v_cmp_eq_u16_e64 s0, s9, 44
	s_delay_alu instid0(VALU_DEP_1)
	s_and_b32 vcc_lo, exec_lo, s0
	s_cbranch_vccz .LBB480_1101
; %bb.1099:
	global_load_u8 v4, v[0:1], off
	s_mov_b32 s0, 0
	s_mov_b32 s14, -1
	s_waitcnt vmcnt(0)
	v_lshlrev_b32_e32 v5, 23, v4
	v_cmp_ne_u32_e32 vcc_lo, 0xff, v4
	s_delay_alu instid0(VALU_DEP_2) | instskip(NEXT) | instid1(VALU_DEP_1)
	v_cvt_f16_f32_e32 v5, v5
	v_cndmask_b32_e32 v5, 0x7e00, v5, vcc_lo
	v_cmp_ne_u32_e32 vcc_lo, 0, v4
	s_delay_alu instid0(VALU_DEP_2)
	v_cndmask_b32_e32 v4, 0, v5, vcc_lo
.LBB480_1100:
	s_branch .LBB480_1105
.LBB480_1101:
	s_mov_b32 s0, -1
                                        ; implicit-def: $vgpr4
	s_branch .LBB480_1105
.LBB480_1102:
	v_cmp_eq_u16_e64 s0, s9, 29
	s_delay_alu instid0(VALU_DEP_1)
	s_and_b32 vcc_lo, exec_lo, s0
	s_cbranch_vccz .LBB480_1104
; %bb.1103:
	global_load_b64 v[4:5], v[0:1], off
	s_mov_b32 s0, 0
	s_mov_b32 s14, -1
	s_mov_b32 s10, 0
	s_waitcnt vmcnt(0)
	v_clz_i32_u32_e32 v6, v5
	s_delay_alu instid0(VALU_DEP_1) | instskip(NEXT) | instid1(VALU_DEP_1)
	v_min_u32_e32 v6, 32, v6
	v_lshlrev_b64 v[4:5], v6, v[4:5]
	s_delay_alu instid0(VALU_DEP_1) | instskip(NEXT) | instid1(VALU_DEP_1)
	v_min_u32_e32 v4, 1, v4
	v_or_b32_e32 v4, v5, v4
	v_sub_nc_u32_e32 v5, 32, v6
	s_delay_alu instid0(VALU_DEP_2) | instskip(NEXT) | instid1(VALU_DEP_1)
	v_cvt_f32_u32_e32 v4, v4
	v_ldexp_f32 v4, v4, v5
	s_delay_alu instid0(VALU_DEP_1)
	v_cvt_f16_f32_e32 v4, v4
	s_branch .LBB480_1106
.LBB480_1104:
	s_mov_b32 s0, -1
                                        ; implicit-def: $vgpr4
.LBB480_1105:
	s_mov_b32 s10, 0
.LBB480_1106:
	s_delay_alu instid0(SALU_CYCLE_1)
	s_and_b32 vcc_lo, exec_lo, s10
	s_cbranch_vccz .LBB480_1124
; %bb.1107:
	v_cmp_lt_i16_e64 s10, s9, 27
	s_delay_alu instid0(VALU_DEP_1)
	s_and_b32 vcc_lo, exec_lo, s10
	s_cbranch_vccnz .LBB480_1110
; %bb.1108:
	v_cmp_gt_i16_e64 s10, s9, 27
	s_delay_alu instid0(VALU_DEP_1)
	s_and_b32 vcc_lo, exec_lo, s10
	s_cbranch_vccz .LBB480_1111
; %bb.1109:
	global_load_b32 v4, v[0:1], off
	s_mov_b32 s10, 0
	s_waitcnt vmcnt(0)
	v_cvt_f32_u32_e32 v4, v4
	s_delay_alu instid0(VALU_DEP_1)
	v_cvt_f16_f32_e32 v4, v4
	s_branch .LBB480_1112
.LBB480_1110:
	s_mov_b32 s10, -1
                                        ; implicit-def: $vgpr4
	s_branch .LBB480_1115
.LBB480_1111:
	s_mov_b32 s10, -1
                                        ; implicit-def: $vgpr4
.LBB480_1112:
	s_delay_alu instid0(SALU_CYCLE_1)
	s_and_not1_b32 vcc_lo, exec_lo, s10
	s_cbranch_vccnz .LBB480_1114
; %bb.1113:
	global_load_u16 v4, v[0:1], off
	s_waitcnt vmcnt(0)
	v_cvt_f16_u16_e32 v4, v4
.LBB480_1114:
	s_mov_b32 s10, 0
.LBB480_1115:
	s_delay_alu instid0(SALU_CYCLE_1)
	s_and_not1_b32 vcc_lo, exec_lo, s10
	s_cbranch_vccnz .LBB480_1123
; %bb.1116:
	global_load_u8 v5, v[0:1], off
	s_mov_b32 s10, 0
	s_mov_b32 s15, exec_lo
                                        ; implicit-def: $sgpr14
	s_waitcnt vmcnt(0)
	v_cmpx_lt_i16_e32 0x7f, v5
	s_xor_b32 s15, exec_lo, s15
	s_cbranch_execz .LBB480_1136
; %bb.1117:
	s_mov_b32 s10, -1
	s_mov_b32 s16, exec_lo
                                        ; implicit-def: $sgpr14
	v_cmpx_eq_u16_e32 0x80, v5
; %bb.1118:
	s_movk_i32 s14, 0x7e00
	s_xor_b32 s10, exec_lo, -1
; %bb.1119:
	s_or_b32 exec_lo, exec_lo, s16
	s_delay_alu instid0(SALU_CYCLE_1)
	s_and_b32 s10, s10, exec_lo
	s_or_saveexec_b32 s15, s15
	v_mov_b32_e32 v4, s14
	s_xor_b32 exec_lo, exec_lo, s15
	s_cbranch_execnz .LBB480_1137
.LBB480_1120:
	s_or_b32 exec_lo, exec_lo, s15
	s_and_saveexec_b32 s14, s10
	s_cbranch_execz .LBB480_1122
.LBB480_1121:
	v_and_b32_e32 v4, 0xffff, v5
	s_delay_alu instid0(VALU_DEP_1) | instskip(NEXT) | instid1(VALU_DEP_1)
	v_and_b32_e32 v6, 7, v4
	v_clz_i32_u32_e32 v7, v6
	s_delay_alu instid0(VALU_DEP_1) | instskip(NEXT) | instid1(VALU_DEP_1)
	v_min_u32_e32 v7, 32, v7
	v_subrev_nc_u32_e32 v8, 28, v7
	v_sub_nc_u32_e32 v7, 29, v7
	s_delay_alu instid0(VALU_DEP_2) | instskip(SKIP_1) | instid1(VALU_DEP_2)
	v_lshlrev_b32_e32 v8, v8, v4
	v_bfe_u32 v4, v4, 3, 4
	v_and_b32_e32 v8, 7, v8
	s_delay_alu instid0(VALU_DEP_2) | instskip(SKIP_1) | instid1(VALU_DEP_1)
	v_cmp_eq_u32_e32 vcc_lo, 0, v4
	v_dual_cndmask_b32 v4, v4, v7 :: v_dual_lshlrev_b32 v5, 24, v5
	v_dual_cndmask_b32 v6, v6, v8 :: v_dual_and_b32 v5, 0x80000000, v5
	s_delay_alu instid0(VALU_DEP_2) | instskip(NEXT) | instid1(VALU_DEP_2)
	v_lshl_add_u32 v4, v4, 23, 0x3b800000
	v_lshlrev_b32_e32 v6, 20, v6
	s_delay_alu instid0(VALU_DEP_1) | instskip(NEXT) | instid1(VALU_DEP_1)
	v_or3_b32 v4, v5, v4, v6
	v_cvt_f16_f32_e32 v4, v4
.LBB480_1122:
	s_or_b32 exec_lo, exec_lo, s14
.LBB480_1123:
	s_mov_b32 s14, -1
.LBB480_1124:
	s_branch .LBB480_1156
.LBB480_1125:
	v_cmp_gt_i16_e64 s10, s9, 22
	s_delay_alu instid0(VALU_DEP_1)
	s_and_b32 vcc_lo, exec_lo, s10
	s_cbranch_vccz .LBB480_1135
; %bb.1126:
	v_cmp_lt_i16_e64 s10, s9, 24
	s_delay_alu instid0(VALU_DEP_1)
	s_and_b32 vcc_lo, exec_lo, s10
	s_cbranch_vccnz .LBB480_1138
; %bb.1127:
	v_cmp_gt_i16_e64 s10, s9, 24
	s_delay_alu instid0(VALU_DEP_1)
	s_and_b32 vcc_lo, exec_lo, s10
	s_cbranch_vccz .LBB480_1139
; %bb.1128:
	global_load_u8 v5, v[0:1], off
	s_mov_b32 s10, 0
	s_mov_b32 s14, exec_lo
                                        ; implicit-def: $sgpr13
	s_waitcnt vmcnt(0)
	v_cmpx_lt_i16_e32 0x7f, v5
	s_xor_b32 s14, exec_lo, s14
	s_cbranch_execz .LBB480_1150
; %bb.1129:
	s_mov_b32 s10, -1
	s_mov_b32 s15, exec_lo
                                        ; implicit-def: $sgpr13
	v_cmpx_eq_u16_e32 0x80, v5
; %bb.1130:
	s_movk_i32 s13, 0x7e00
	s_xor_b32 s10, exec_lo, -1
; %bb.1131:
	s_or_b32 exec_lo, exec_lo, s15
	s_delay_alu instid0(SALU_CYCLE_1)
	s_and_b32 s10, s10, exec_lo
	s_or_saveexec_b32 s14, s14
	v_mov_b32_e32 v4, s13
	s_xor_b32 exec_lo, exec_lo, s14
	s_cbranch_execnz .LBB480_1151
.LBB480_1132:
	s_or_b32 exec_lo, exec_lo, s14
	s_and_saveexec_b32 s13, s10
	s_cbranch_execz .LBB480_1134
.LBB480_1133:
	v_and_b32_e32 v4, 0xffff, v5
	s_delay_alu instid0(VALU_DEP_1) | instskip(NEXT) | instid1(VALU_DEP_1)
	v_and_b32_e32 v6, 3, v4
	v_clz_i32_u32_e32 v7, v6
	s_delay_alu instid0(VALU_DEP_1) | instskip(NEXT) | instid1(VALU_DEP_1)
	v_min_u32_e32 v7, 32, v7
	v_subrev_nc_u32_e32 v8, 29, v7
	v_sub_nc_u32_e32 v7, 30, v7
	s_delay_alu instid0(VALU_DEP_2) | instskip(SKIP_1) | instid1(VALU_DEP_2)
	v_lshlrev_b32_e32 v8, v8, v4
	v_bfe_u32 v4, v4, 2, 5
	v_and_b32_e32 v8, 3, v8
	s_delay_alu instid0(VALU_DEP_2) | instskip(SKIP_1) | instid1(VALU_DEP_1)
	v_cmp_eq_u32_e32 vcc_lo, 0, v4
	v_dual_cndmask_b32 v4, v4, v7 :: v_dual_lshlrev_b32 v5, 24, v5
	v_dual_cndmask_b32 v6, v6, v8 :: v_dual_and_b32 v5, 0x80000000, v5
	s_delay_alu instid0(VALU_DEP_2) | instskip(NEXT) | instid1(VALU_DEP_2)
	v_lshl_add_u32 v4, v4, 23, 0x37800000
	v_lshlrev_b32_e32 v6, 21, v6
	s_delay_alu instid0(VALU_DEP_1) | instskip(NEXT) | instid1(VALU_DEP_1)
	v_or3_b32 v4, v5, v4, v6
	v_cvt_f16_f32_e32 v4, v4
.LBB480_1134:
	s_or_b32 exec_lo, exec_lo, s13
	s_mov_b32 s10, 0
	s_branch .LBB480_1140
.LBB480_1135:
                                        ; implicit-def: $vgpr4
	s_mov_b32 s13, 0
	s_branch .LBB480_1146
.LBB480_1136:
	s_or_saveexec_b32 s15, s15
	v_mov_b32_e32 v4, s14
	s_xor_b32 exec_lo, exec_lo, s15
	s_cbranch_execz .LBB480_1120
.LBB480_1137:
	v_cmp_ne_u16_e32 vcc_lo, 0, v5
	v_mov_b32_e32 v4, v5
	s_and_not1_b32 s10, s10, exec_lo
	s_and_b32 s14, vcc_lo, exec_lo
	s_delay_alu instid0(SALU_CYCLE_1)
	s_or_b32 s10, s10, s14
	s_or_b32 exec_lo, exec_lo, s15
	s_and_saveexec_b32 s14, s10
	s_cbranch_execnz .LBB480_1121
	s_branch .LBB480_1122
.LBB480_1138:
	s_mov_b32 s10, -1
                                        ; implicit-def: $vgpr4
	s_branch .LBB480_1143
.LBB480_1139:
	s_mov_b32 s10, -1
                                        ; implicit-def: $vgpr4
.LBB480_1140:
	s_delay_alu instid0(SALU_CYCLE_1)
	s_and_b32 vcc_lo, exec_lo, s10
	s_cbranch_vccz .LBB480_1142
; %bb.1141:
	global_load_u8 v4, v[0:1], off
	s_waitcnt vmcnt(0)
	v_lshlrev_b32_e32 v4, 24, v4
	s_delay_alu instid0(VALU_DEP_1) | instskip(NEXT) | instid1(VALU_DEP_1)
	v_and_b32_e32 v5, 0x7f000000, v4
	v_clz_i32_u32_e32 v6, v5
	v_add_nc_u32_e32 v8, 0x1000000, v5
	v_cmp_ne_u32_e32 vcc_lo, 0, v5
	s_delay_alu instid0(VALU_DEP_3) | instskip(NEXT) | instid1(VALU_DEP_1)
	v_min_u32_e32 v6, 32, v6
	v_sub_nc_u32_e64 v6, v6, 4 clamp
	s_delay_alu instid0(VALU_DEP_1) | instskip(SKIP_1) | instid1(VALU_DEP_2)
	v_lshlrev_b32_e32 v7, v6, v5
	v_lshlrev_b32_e32 v6, 23, v6
	v_lshrrev_b32_e32 v7, 4, v7
	s_delay_alu instid0(VALU_DEP_1) | instskip(SKIP_1) | instid1(VALU_DEP_2)
	v_sub_nc_u32_e32 v6, v7, v6
	v_ashrrev_i32_e32 v7, 8, v8
	v_add_nc_u32_e32 v6, 0x3c000000, v6
	s_delay_alu instid0(VALU_DEP_1) | instskip(NEXT) | instid1(VALU_DEP_1)
	v_and_or_b32 v6, 0x7f800000, v7, v6
	v_cndmask_b32_e32 v5, 0, v6, vcc_lo
	s_delay_alu instid0(VALU_DEP_1) | instskip(NEXT) | instid1(VALU_DEP_1)
	v_and_or_b32 v4, 0x80000000, v4, v5
	v_cvt_f16_f32_e32 v4, v4
.LBB480_1142:
	s_mov_b32 s10, 0
.LBB480_1143:
	s_delay_alu instid0(SALU_CYCLE_1)
	s_and_not1_b32 vcc_lo, exec_lo, s10
	s_cbranch_vccnz .LBB480_1145
; %bb.1144:
	global_load_u8 v4, v[0:1], off
	s_waitcnt vmcnt(0)
	v_lshlrev_b32_e32 v5, 25, v4
	v_lshlrev_b16 v4, 8, v4
	s_delay_alu instid0(VALU_DEP_2) | instskip(NEXT) | instid1(VALU_DEP_2)
	v_lshrrev_b32_e32 v6, 4, v5
	v_and_or_b32 v7, 0x7f00, v4, 0.5
	v_bfe_i32 v4, v4, 0, 16
	s_delay_alu instid0(VALU_DEP_3) | instskip(NEXT) | instid1(VALU_DEP_1)
	v_or_b32_e32 v6, 0x70000000, v6
	v_dual_add_f32 v7, -0.5, v7 :: v_dual_mul_f32 v6, 0x7800000, v6
	v_cmp_gt_u32_e32 vcc_lo, 0x8000000, v5
	s_delay_alu instid0(VALU_DEP_2) | instskip(NEXT) | instid1(VALU_DEP_1)
	v_cndmask_b32_e32 v5, v6, v7, vcc_lo
	v_and_or_b32 v4, 0x80000000, v4, v5
	s_delay_alu instid0(VALU_DEP_1)
	v_cvt_f16_f32_e32 v4, v4
.LBB480_1145:
	s_mov_b32 s14, -1
	s_mov_b32 s13, 0
	s_cbranch_execnz .LBB480_1156
.LBB480_1146:
	v_cmp_gt_i16_e64 s10, s9, 14
	s_delay_alu instid0(VALU_DEP_1)
	s_and_b32 vcc_lo, exec_lo, s10
	s_cbranch_vccz .LBB480_1149
; %bb.1147:
	v_cmp_eq_u16_e64 s0, s9, 15
	s_delay_alu instid0(VALU_DEP_1)
	s_and_b32 vcc_lo, exec_lo, s0
	s_cbranch_vccz .LBB480_1152
; %bb.1148:
	global_load_u16 v4, v[0:1], off
	s_mov_b32 s0, 0
	s_mov_b32 s14, -1
	s_waitcnt vmcnt(0)
	v_lshlrev_b32_e32 v4, 16, v4
	s_delay_alu instid0(VALU_DEP_1)
	v_cvt_f16_f32_e32 v4, v4
	s_branch .LBB480_1153
.LBB480_1149:
	s_mov_b32 s10, -1
                                        ; implicit-def: $vgpr4
	s_branch .LBB480_1154
.LBB480_1150:
	s_or_saveexec_b32 s14, s14
	v_mov_b32_e32 v4, s13
	s_xor_b32 exec_lo, exec_lo, s14
	s_cbranch_execz .LBB480_1132
.LBB480_1151:
	v_cmp_ne_u16_e32 vcc_lo, 0, v5
	v_mov_b32_e32 v4, v5
	s_and_not1_b32 s10, s10, exec_lo
	s_and_b32 s13, vcc_lo, exec_lo
	s_delay_alu instid0(SALU_CYCLE_1)
	s_or_b32 s10, s10, s13
	s_or_b32 exec_lo, exec_lo, s14
	s_and_saveexec_b32 s13, s10
	s_cbranch_execnz .LBB480_1133
	s_branch .LBB480_1134
.LBB480_1152:
	s_mov_b32 s0, -1
                                        ; implicit-def: $vgpr4
.LBB480_1153:
	s_mov_b32 s10, 0
.LBB480_1154:
	s_delay_alu instid0(SALU_CYCLE_1)
	s_and_b32 vcc_lo, exec_lo, s10
	s_cbranch_vccz .LBB480_1156
; %bb.1155:
	v_cmp_ne_u16_e64 s0, s9, 11
	s_mov_b32 s13, -1
                                        ; implicit-def: $vgpr4
.LBB480_1156:
	s_delay_alu instid0(VALU_DEP_1)
	s_and_b32 vcc_lo, exec_lo, s0
	s_mov_b32 s10, s12
	s_cbranch_vccnz .LBB480_1180
; %bb.1157:
	s_and_not1_b32 vcc_lo, exec_lo, s13
	s_cbranch_vccnz .LBB480_1159
.LBB480_1158:
	global_load_u8 v4, v[0:1], off
	s_mov_b32 s14, -1
	s_waitcnt vmcnt(0)
	v_cmp_ne_u16_e32 vcc_lo, 0, v4
	v_cndmask_b32_e64 v4, 0, 0x3c00, vcc_lo
.LBB480_1159:
.LBB480_1160:
	s_and_not1_b32 vcc_lo, exec_lo, s14
	s_cbranch_vccnz .LBB480_1996
.LBB480_1161:
	s_lshl_b32 s0, s3, 7
	v_cmp_lt_i16_e64 s3, s9, 11
	v_add_nc_u32_e32 v3, s0, v3
	s_delay_alu instid0(VALU_DEP_1) | instskip(SKIP_1) | instid1(VALU_DEP_2)
	v_ashrrev_i32_e32 v1, 31, v3
	v_add_co_u32 v0, vcc_lo, s6, v3
	v_add_co_ci_u32_e32 v1, vcc_lo, s7, v1, vcc_lo
	s_and_b32 vcc_lo, exec_lo, s3
	s_cbranch_vccnz .LBB480_1168
; %bb.1162:
	v_cmp_gt_i16_e64 s3, s9, 25
	s_mov_b32 s13, 0
	s_delay_alu instid0(VALU_DEP_1)
	s_and_b32 vcc_lo, exec_lo, s3
	s_cbranch_vccz .LBB480_1174
; %bb.1163:
	v_cmp_gt_i16_e64 s3, s9, 28
	s_delay_alu instid0(VALU_DEP_1)
	s_and_b32 vcc_lo, exec_lo, s3
	s_cbranch_vccz .LBB480_1176
; %bb.1164:
	v_cmp_gt_i16_e64 s3, s9, 43
	;; [unrolled: 5-line block ×3, first 2 shown]
	s_delay_alu instid0(VALU_DEP_1)
	s_and_b32 vcc_lo, exec_lo, s3
	s_cbranch_vccz .LBB480_1184
; %bb.1166:
	v_cmp_eq_u16_e64 s3, s9, 46
	s_mov_b32 s15, 0
	s_delay_alu instid0(VALU_DEP_1)
	s_and_b32 vcc_lo, exec_lo, s3
	s_cbranch_vccz .LBB480_1228
; %bb.1167:
	global_load_b32 v5, v[0:1], off
	s_mov_b32 s3, 0
	s_mov_b32 s14, -1
	s_waitcnt vmcnt(0)
	v_lshlrev_b32_e32 v5, 16, v5
	s_delay_alu instid0(VALU_DEP_1)
	v_cvt_f16_f32_e32 v5, v5
	s_branch .LBB480_1230
.LBB480_1168:
	s_mov_b32 s14, 0
                                        ; implicit-def: $vgpr5
	s_cbranch_execz .LBB480_1295
; %bb.1169:
	v_cmp_lt_i16_e64 s3, s9, 5
	s_delay_alu instid0(VALU_DEP_1)
	s_and_b32 vcc_lo, exec_lo, s3
	s_cbranch_vccnz .LBB480_1175
; %bb.1170:
	v_cmp_lt_i16_e64 s3, s9, 8
	s_delay_alu instid0(VALU_DEP_1)
	s_and_b32 vcc_lo, exec_lo, s3
	s_cbranch_vccnz .LBB480_1177
	;; [unrolled: 5-line block ×3, first 2 shown]
; %bb.1172:
	v_cmp_gt_i16_e64 s3, s9, 9
	s_delay_alu instid0(VALU_DEP_1)
	s_and_b32 vcc_lo, exec_lo, s3
	s_cbranch_vccz .LBB480_1185
; %bb.1173:
	global_load_b64 v[5:6], v[0:1], off
	s_mov_b32 s3, 0
	s_waitcnt vmcnt(0)
	v_cvt_f32_f64_e32 v5, v[5:6]
	s_delay_alu instid0(VALU_DEP_1)
	v_cvt_f16_f32_e32 v5, v5
	s_branch .LBB480_1186
.LBB480_1174:
	s_mov_b32 s14, 0
	s_mov_b32 s3, 0
                                        ; implicit-def: $vgpr5
	s_cbranch_execnz .LBB480_1259
	s_branch .LBB480_1291
.LBB480_1175:
                                        ; implicit-def: $vgpr5
	s_branch .LBB480_1204
.LBB480_1176:
	s_mov_b32 s15, -1
	s_mov_b32 s14, 0
	s_mov_b32 s3, 0
                                        ; implicit-def: $vgpr5
	s_branch .LBB480_1240
.LBB480_1177:
	s_mov_b32 s3, -1
                                        ; implicit-def: $vgpr5
	s_branch .LBB480_1192
.LBB480_1178:
	s_mov_b32 s15, -1
	s_mov_b32 s14, 0
	s_mov_b32 s3, 0
                                        ; implicit-def: $vgpr5
	s_branch .LBB480_1235
.LBB480_1179:
	s_mov_b32 s3, -1
                                        ; implicit-def: $vgpr5
	s_branch .LBB480_1189
.LBB480_1180:
	s_cbranch_execnz .LBB480_1224
; %bb.1181:
	s_or_b32 s10, s12, exec_lo
                                        ; implicit-def: $vgpr4
	s_cbranch_execz .LBB480_1158
	s_branch .LBB480_1159
.LBB480_1182:
	s_or_saveexec_b32 s17, s17
                                        ; implicit-def: $sgpr18
	s_delay_alu instid0(SALU_CYCLE_1)
	s_xor_b32 exec_lo, exec_lo, s17
	s_cbranch_execz .LBB480_944
.LBB480_1183:
	v_add_f32_e64 v5, 0x46000000, |v2|
	s_and_not1_b32 s16, s16, exec_lo
	s_mov_b32 s18, 0
	s_delay_alu instid0(VALU_DEP_1) | instskip(NEXT) | instid1(VALU_DEP_1)
	v_and_b32_e32 v5, 0xff, v5
	v_cmp_ne_u32_e32 vcc_lo, 0, v5
	s_and_b32 s19, vcc_lo, exec_lo
	s_delay_alu instid0(SALU_CYCLE_1)
	s_or_b32 s16, s16, s19
	s_or_b32 exec_lo, exec_lo, s17
	v_mov_b32_e32 v6, s18
	s_and_saveexec_b32 s17, s16
	s_cbranch_execnz .LBB480_945
	s_branch .LBB480_946
.LBB480_1184:
	s_mov_b32 s15, -1
	s_mov_b32 s14, 0
	s_mov_b32 s3, 0
	s_branch .LBB480_1229
.LBB480_1185:
	s_mov_b32 s3, -1
                                        ; implicit-def: $vgpr5
.LBB480_1186:
	s_delay_alu instid0(SALU_CYCLE_1)
	s_and_not1_b32 vcc_lo, exec_lo, s3
	s_cbranch_vccnz .LBB480_1188
; %bb.1187:
	global_load_b32 v5, v[0:1], off
	s_waitcnt vmcnt(0)
	v_cvt_f16_f32_e32 v5, v5
.LBB480_1188:
	s_mov_b32 s3, 0
.LBB480_1189:
	s_delay_alu instid0(SALU_CYCLE_1)
	s_and_not1_b32 vcc_lo, exec_lo, s3
	s_cbranch_vccnz .LBB480_1191
; %bb.1190:
	global_load_b32 v5, v[0:1], off
.LBB480_1191:
	s_mov_b32 s3, 0
.LBB480_1192:
	s_delay_alu instid0(SALU_CYCLE_1)
	s_and_not1_b32 vcc_lo, exec_lo, s3
	s_cbranch_vccnz .LBB480_1203
; %bb.1193:
	v_cmp_lt_i16_e64 s3, s9, 6
	s_delay_alu instid0(VALU_DEP_1)
	s_and_b32 vcc_lo, exec_lo, s3
	s_cbranch_vccnz .LBB480_1196
; %bb.1194:
	v_cmp_gt_i16_e64 s3, s9, 6
	s_delay_alu instid0(VALU_DEP_1)
	s_and_b32 vcc_lo, exec_lo, s3
	s_cbranch_vccz .LBB480_1197
; %bb.1195:
	global_load_b64 v[5:6], v[0:1], off
	s_mov_b32 s3, 0
	s_waitcnt vmcnt(0)
	v_cvt_f32_f64_e32 v5, v[5:6]
	s_delay_alu instid0(VALU_DEP_1)
	v_cvt_f16_f32_e32 v5, v5
	s_branch .LBB480_1198
.LBB480_1196:
	s_mov_b32 s3, -1
                                        ; implicit-def: $vgpr5
	s_branch .LBB480_1201
.LBB480_1197:
	s_mov_b32 s3, -1
                                        ; implicit-def: $vgpr5
.LBB480_1198:
	s_delay_alu instid0(SALU_CYCLE_1)
	s_and_not1_b32 vcc_lo, exec_lo, s3
	s_cbranch_vccnz .LBB480_1200
; %bb.1199:
	global_load_b32 v5, v[0:1], off
	s_waitcnt vmcnt(0)
	v_cvt_f16_f32_e32 v5, v5
.LBB480_1200:
	s_mov_b32 s3, 0
.LBB480_1201:
	s_delay_alu instid0(SALU_CYCLE_1)
	s_and_not1_b32 vcc_lo, exec_lo, s3
	s_cbranch_vccnz .LBB480_1203
; %bb.1202:
	global_load_u16 v5, v[0:1], off
.LBB480_1203:
	s_cbranch_execnz .LBB480_1223
.LBB480_1204:
	v_cmp_lt_i16_e64 s3, s9, 2
	s_delay_alu instid0(VALU_DEP_1)
	s_and_b32 vcc_lo, exec_lo, s3
	s_cbranch_vccnz .LBB480_1208
; %bb.1205:
	v_cmp_lt_i16_e64 s3, s9, 3
	s_delay_alu instid0(VALU_DEP_1)
	s_and_b32 vcc_lo, exec_lo, s3
	s_cbranch_vccnz .LBB480_1209
; %bb.1206:
	v_cmp_gt_i16_e64 s3, s9, 3
	s_delay_alu instid0(VALU_DEP_1)
	s_and_b32 vcc_lo, exec_lo, s3
	s_cbranch_vccz .LBB480_1210
; %bb.1207:
	global_load_b64 v[5:6], v[0:1], off
	s_mov_b32 s3, 0
	s_waitcnt vmcnt(0)
	v_xor_b32_e32 v7, v5, v6
	v_cls_i32_e32 v8, v6
	s_delay_alu instid0(VALU_DEP_2) | instskip(NEXT) | instid1(VALU_DEP_2)
	v_ashrrev_i32_e32 v7, 31, v7
	v_add_nc_u32_e32 v8, -1, v8
	s_delay_alu instid0(VALU_DEP_2) | instskip(NEXT) | instid1(VALU_DEP_1)
	v_add_nc_u32_e32 v7, 32, v7
	v_min_u32_e32 v7, v8, v7
	s_delay_alu instid0(VALU_DEP_1) | instskip(NEXT) | instid1(VALU_DEP_1)
	v_lshlrev_b64 v[5:6], v7, v[5:6]
	v_min_u32_e32 v5, 1, v5
	s_delay_alu instid0(VALU_DEP_1) | instskip(SKIP_1) | instid1(VALU_DEP_2)
	v_or_b32_e32 v5, v6, v5
	v_sub_nc_u32_e32 v6, 32, v7
	v_cvt_f32_i32_e32 v5, v5
	s_delay_alu instid0(VALU_DEP_1) | instskip(NEXT) | instid1(VALU_DEP_1)
	v_ldexp_f32 v5, v5, v6
	v_cvt_f16_f32_e32 v5, v5
	s_branch .LBB480_1211
.LBB480_1208:
	s_mov_b32 s3, -1
                                        ; implicit-def: $vgpr5
	s_branch .LBB480_1217
.LBB480_1209:
	s_mov_b32 s3, -1
                                        ; implicit-def: $vgpr5
	s_branch .LBB480_1214
.LBB480_1210:
	s_mov_b32 s3, -1
                                        ; implicit-def: $vgpr5
.LBB480_1211:
	s_delay_alu instid0(SALU_CYCLE_1)
	s_and_not1_b32 vcc_lo, exec_lo, s3
	s_cbranch_vccnz .LBB480_1213
; %bb.1212:
	global_load_b32 v5, v[0:1], off
	s_waitcnt vmcnt(0)
	v_cvt_f32_i32_e32 v5, v5
	s_delay_alu instid0(VALU_DEP_1)
	v_cvt_f16_f32_e32 v5, v5
.LBB480_1213:
	s_mov_b32 s3, 0
.LBB480_1214:
	s_delay_alu instid0(SALU_CYCLE_1)
	s_and_not1_b32 vcc_lo, exec_lo, s3
	s_cbranch_vccnz .LBB480_1216
; %bb.1215:
	global_load_u16 v5, v[0:1], off
	s_waitcnt vmcnt(0)
	v_cvt_f16_i16_e32 v5, v5
.LBB480_1216:
	s_mov_b32 s3, 0
.LBB480_1217:
	s_delay_alu instid0(SALU_CYCLE_1)
	s_and_not1_b32 vcc_lo, exec_lo, s3
	s_cbranch_vccnz .LBB480_1223
; %bb.1218:
	v_cmp_gt_i16_e64 s3, s9, 0
	s_delay_alu instid0(VALU_DEP_1)
	s_and_b32 vcc_lo, exec_lo, s3
	s_mov_b32 s3, 0
	s_cbranch_vccz .LBB480_1220
; %bb.1219:
	global_load_i8 v5, v[0:1], off
	s_waitcnt vmcnt(0)
	v_cvt_f16_i16_e32 v5, v5
	s_branch .LBB480_1221
.LBB480_1220:
	s_mov_b32 s3, -1
                                        ; implicit-def: $vgpr5
.LBB480_1221:
	s_delay_alu instid0(SALU_CYCLE_1)
	s_and_not1_b32 vcc_lo, exec_lo, s3
	s_cbranch_vccnz .LBB480_1223
; %bb.1222:
	global_load_u8 v0, v[0:1], off
	s_waitcnt vmcnt(0)
	v_cvt_f16_u16_e32 v5, v0
.LBB480_1223:
	s_branch .LBB480_1296
.LBB480_1224:
	s_trap 2
	s_sendmsg_rtn_b32 s0, sendmsg(MSG_RTN_GET_DOORBELL)
	s_mov_b32 ttmp2, m0
	s_waitcnt lgkmcnt(0)
	s_and_b32 s0, s0, 0x3ff
	s_delay_alu instid0(SALU_CYCLE_1) | instskip(NEXT) | instid1(SALU_CYCLE_1)
	s_bitset1_b32 s0, 10
	s_mov_b32 m0, s0
	s_sendmsg sendmsg(MSG_INTERRUPT)
	s_mov_b32 m0, ttmp2
.LBB480_1225:                           ; =>This Inner Loop Header: Depth=1
	s_sethalt 5
	s_branch .LBB480_1225
.LBB480_1226:
	s_or_saveexec_b32 s18, s18
                                        ; implicit-def: $sgpr19
	s_delay_alu instid0(SALU_CYCLE_1)
	s_xor_b32 exec_lo, exec_lo, s18
	s_cbranch_execz .LBB480_956
.LBB480_1227:
	v_add_f32_e64 v5, 0x42800000, |v2|
	s_and_not1_b32 s17, s17, exec_lo
	s_mov_b32 s19, 0
	s_delay_alu instid0(VALU_DEP_1) | instskip(NEXT) | instid1(VALU_DEP_1)
	v_and_b32_e32 v5, 0xff, v5
	v_cmp_ne_u32_e32 vcc_lo, 0, v5
	s_and_b32 s20, vcc_lo, exec_lo
	s_delay_alu instid0(SALU_CYCLE_1)
	s_or_b32 s17, s17, s20
	s_or_b32 exec_lo, exec_lo, s18
	v_mov_b32_e32 v6, s19
	s_and_saveexec_b32 s18, s17
	s_cbranch_execnz .LBB480_957
	s_branch .LBB480_958
.LBB480_1228:
	s_mov_b32 s3, -1
	s_mov_b32 s14, 0
.LBB480_1229:
                                        ; implicit-def: $vgpr5
.LBB480_1230:
	s_and_b32 vcc_lo, exec_lo, s15
	s_cbranch_vccz .LBB480_1234
; %bb.1231:
	v_cmp_eq_u16_e64 s3, s9, 44
	s_delay_alu instid0(VALU_DEP_1)
	s_and_b32 vcc_lo, exec_lo, s3
	s_cbranch_vccz .LBB480_1233
; %bb.1232:
	global_load_u8 v5, v[0:1], off
	s_mov_b32 s3, 0
	s_mov_b32 s14, -1
	s_waitcnt vmcnt(0)
	v_lshlrev_b32_e32 v6, 23, v5
	v_cmp_ne_u32_e32 vcc_lo, 0xff, v5
	s_delay_alu instid0(VALU_DEP_2) | instskip(NEXT) | instid1(VALU_DEP_1)
	v_cvt_f16_f32_e32 v6, v6
	v_cndmask_b32_e32 v6, 0x7e00, v6, vcc_lo
	v_cmp_ne_u32_e32 vcc_lo, 0, v5
	s_delay_alu instid0(VALU_DEP_2)
	v_cndmask_b32_e32 v5, 0, v6, vcc_lo
	s_branch .LBB480_1234
.LBB480_1233:
	s_mov_b32 s3, -1
                                        ; implicit-def: $vgpr5
.LBB480_1234:
	s_mov_b32 s15, 0
.LBB480_1235:
	s_delay_alu instid0(SALU_CYCLE_1)
	s_and_b32 vcc_lo, exec_lo, s15
	s_cbranch_vccz .LBB480_1239
; %bb.1236:
	v_cmp_eq_u16_e64 s3, s9, 29
	s_delay_alu instid0(VALU_DEP_1)
	s_and_b32 vcc_lo, exec_lo, s3
	s_cbranch_vccz .LBB480_1238
; %bb.1237:
	global_load_b64 v[5:6], v[0:1], off
	s_mov_b32 s3, 0
	s_mov_b32 s14, -1
	s_mov_b32 s15, 0
	s_waitcnt vmcnt(0)
	v_clz_i32_u32_e32 v7, v6
	s_delay_alu instid0(VALU_DEP_1) | instskip(NEXT) | instid1(VALU_DEP_1)
	v_min_u32_e32 v7, 32, v7
	v_lshlrev_b64 v[5:6], v7, v[5:6]
	s_delay_alu instid0(VALU_DEP_1) | instskip(NEXT) | instid1(VALU_DEP_1)
	v_min_u32_e32 v5, 1, v5
	v_or_b32_e32 v5, v6, v5
	v_sub_nc_u32_e32 v6, 32, v7
	s_delay_alu instid0(VALU_DEP_2) | instskip(NEXT) | instid1(VALU_DEP_1)
	v_cvt_f32_u32_e32 v5, v5
	v_ldexp_f32 v5, v5, v6
	s_delay_alu instid0(VALU_DEP_1)
	v_cvt_f16_f32_e32 v5, v5
	s_branch .LBB480_1240
.LBB480_1238:
	s_mov_b32 s3, -1
                                        ; implicit-def: $vgpr5
.LBB480_1239:
	s_mov_b32 s15, 0
.LBB480_1240:
	s_delay_alu instid0(SALU_CYCLE_1)
	s_and_b32 vcc_lo, exec_lo, s15
	s_cbranch_vccz .LBB480_1258
; %bb.1241:
	v_cmp_lt_i16_e64 s14, s9, 27
	s_delay_alu instid0(VALU_DEP_1)
	s_and_b32 vcc_lo, exec_lo, s14
	s_cbranch_vccnz .LBB480_1244
; %bb.1242:
	v_cmp_gt_i16_e64 s14, s9, 27
	s_delay_alu instid0(VALU_DEP_1)
	s_and_b32 vcc_lo, exec_lo, s14
	s_cbranch_vccz .LBB480_1245
; %bb.1243:
	global_load_b32 v5, v[0:1], off
	s_mov_b32 s14, 0
	s_waitcnt vmcnt(0)
	v_cvt_f32_u32_e32 v5, v5
	s_delay_alu instid0(VALU_DEP_1)
	v_cvt_f16_f32_e32 v5, v5
	s_branch .LBB480_1246
.LBB480_1244:
	s_mov_b32 s14, -1
                                        ; implicit-def: $vgpr5
	s_branch .LBB480_1249
.LBB480_1245:
	s_mov_b32 s14, -1
                                        ; implicit-def: $vgpr5
.LBB480_1246:
	s_delay_alu instid0(SALU_CYCLE_1)
	s_and_not1_b32 vcc_lo, exec_lo, s14
	s_cbranch_vccnz .LBB480_1248
; %bb.1247:
	global_load_u16 v5, v[0:1], off
	s_waitcnt vmcnt(0)
	v_cvt_f16_u16_e32 v5, v5
.LBB480_1248:
	s_mov_b32 s14, 0
.LBB480_1249:
	s_delay_alu instid0(SALU_CYCLE_1)
	s_and_not1_b32 vcc_lo, exec_lo, s14
	s_cbranch_vccnz .LBB480_1257
; %bb.1250:
	global_load_u8 v6, v[0:1], off
	s_mov_b32 s14, 0
	s_mov_b32 s16, exec_lo
                                        ; implicit-def: $sgpr15
	s_waitcnt vmcnt(0)
	v_cmpx_lt_i16_e32 0x7f, v6
	s_xor_b32 s16, exec_lo, s16
	s_cbranch_execz .LBB480_1270
; %bb.1251:
	s_mov_b32 s14, -1
	s_mov_b32 s17, exec_lo
                                        ; implicit-def: $sgpr15
	v_cmpx_eq_u16_e32 0x80, v6
; %bb.1252:
	s_movk_i32 s15, 0x7e00
	s_xor_b32 s14, exec_lo, -1
; %bb.1253:
	s_or_b32 exec_lo, exec_lo, s17
	s_delay_alu instid0(SALU_CYCLE_1)
	s_and_b32 s14, s14, exec_lo
	s_or_saveexec_b32 s16, s16
	v_mov_b32_e32 v5, s15
	s_xor_b32 exec_lo, exec_lo, s16
	s_cbranch_execnz .LBB480_1271
.LBB480_1254:
	s_or_b32 exec_lo, exec_lo, s16
	s_and_saveexec_b32 s15, s14
	s_cbranch_execz .LBB480_1256
.LBB480_1255:
	v_and_b32_e32 v5, 0xffff, v6
	s_delay_alu instid0(VALU_DEP_1) | instskip(NEXT) | instid1(VALU_DEP_1)
	v_and_b32_e32 v7, 7, v5
	v_clz_i32_u32_e32 v8, v7
	s_delay_alu instid0(VALU_DEP_1) | instskip(NEXT) | instid1(VALU_DEP_1)
	v_min_u32_e32 v8, 32, v8
	v_subrev_nc_u32_e32 v9, 28, v8
	v_sub_nc_u32_e32 v8, 29, v8
	s_delay_alu instid0(VALU_DEP_2) | instskip(SKIP_1) | instid1(VALU_DEP_2)
	v_lshlrev_b32_e32 v9, v9, v5
	v_bfe_u32 v5, v5, 3, 4
	v_and_b32_e32 v9, 7, v9
	s_delay_alu instid0(VALU_DEP_2) | instskip(SKIP_1) | instid1(VALU_DEP_1)
	v_cmp_eq_u32_e32 vcc_lo, 0, v5
	v_dual_cndmask_b32 v5, v5, v8 :: v_dual_lshlrev_b32 v6, 24, v6
	v_dual_cndmask_b32 v7, v7, v9 :: v_dual_and_b32 v6, 0x80000000, v6
	s_delay_alu instid0(VALU_DEP_2) | instskip(NEXT) | instid1(VALU_DEP_2)
	v_lshl_add_u32 v5, v5, 23, 0x3b800000
	v_lshlrev_b32_e32 v7, 20, v7
	s_delay_alu instid0(VALU_DEP_1) | instskip(NEXT) | instid1(VALU_DEP_1)
	v_or3_b32 v5, v6, v5, v7
	v_cvt_f16_f32_e32 v5, v5
.LBB480_1256:
	s_or_b32 exec_lo, exec_lo, s15
.LBB480_1257:
	s_mov_b32 s14, -1
.LBB480_1258:
	s_branch .LBB480_1291
.LBB480_1259:
	v_cmp_gt_i16_e64 s13, s9, 22
	s_delay_alu instid0(VALU_DEP_1)
	s_and_b32 vcc_lo, exec_lo, s13
	s_cbranch_vccz .LBB480_1269
; %bb.1260:
	v_cmp_lt_i16_e64 s13, s9, 24
	s_delay_alu instid0(VALU_DEP_1)
	s_and_b32 vcc_lo, exec_lo, s13
	s_cbranch_vccnz .LBB480_1272
; %bb.1261:
	v_cmp_gt_i16_e64 s13, s9, 24
	s_delay_alu instid0(VALU_DEP_1)
	s_and_b32 vcc_lo, exec_lo, s13
	s_cbranch_vccz .LBB480_1273
; %bb.1262:
	global_load_u8 v6, v[0:1], off
	s_mov_b32 s13, 0
	s_mov_b32 s15, exec_lo
                                        ; implicit-def: $sgpr14
	s_waitcnt vmcnt(0)
	v_cmpx_lt_i16_e32 0x7f, v6
	s_xor_b32 s15, exec_lo, s15
	s_cbranch_execz .LBB480_1285
; %bb.1263:
	s_mov_b32 s13, -1
	s_mov_b32 s16, exec_lo
                                        ; implicit-def: $sgpr14
	v_cmpx_eq_u16_e32 0x80, v6
; %bb.1264:
	s_movk_i32 s14, 0x7e00
	s_xor_b32 s13, exec_lo, -1
; %bb.1265:
	s_or_b32 exec_lo, exec_lo, s16
	s_delay_alu instid0(SALU_CYCLE_1)
	s_and_b32 s13, s13, exec_lo
	s_or_saveexec_b32 s15, s15
	v_mov_b32_e32 v5, s14
	s_xor_b32 exec_lo, exec_lo, s15
	s_cbranch_execnz .LBB480_1286
.LBB480_1266:
	s_or_b32 exec_lo, exec_lo, s15
	s_and_saveexec_b32 s14, s13
	s_cbranch_execz .LBB480_1268
.LBB480_1267:
	v_and_b32_e32 v5, 0xffff, v6
	s_delay_alu instid0(VALU_DEP_1) | instskip(NEXT) | instid1(VALU_DEP_1)
	v_and_b32_e32 v7, 3, v5
	v_clz_i32_u32_e32 v8, v7
	s_delay_alu instid0(VALU_DEP_1) | instskip(NEXT) | instid1(VALU_DEP_1)
	v_min_u32_e32 v8, 32, v8
	v_subrev_nc_u32_e32 v9, 29, v8
	v_sub_nc_u32_e32 v8, 30, v8
	s_delay_alu instid0(VALU_DEP_2) | instskip(SKIP_1) | instid1(VALU_DEP_2)
	v_lshlrev_b32_e32 v9, v9, v5
	v_bfe_u32 v5, v5, 2, 5
	v_and_b32_e32 v9, 3, v9
	s_delay_alu instid0(VALU_DEP_2) | instskip(SKIP_1) | instid1(VALU_DEP_1)
	v_cmp_eq_u32_e32 vcc_lo, 0, v5
	v_dual_cndmask_b32 v5, v5, v8 :: v_dual_lshlrev_b32 v6, 24, v6
	v_dual_cndmask_b32 v7, v7, v9 :: v_dual_and_b32 v6, 0x80000000, v6
	s_delay_alu instid0(VALU_DEP_2) | instskip(NEXT) | instid1(VALU_DEP_2)
	v_lshl_add_u32 v5, v5, 23, 0x37800000
	v_lshlrev_b32_e32 v7, 21, v7
	s_delay_alu instid0(VALU_DEP_1) | instskip(NEXT) | instid1(VALU_DEP_1)
	v_or3_b32 v5, v6, v5, v7
	v_cvt_f16_f32_e32 v5, v5
.LBB480_1268:
	s_or_b32 exec_lo, exec_lo, s14
	s_mov_b32 s13, 0
	s_branch .LBB480_1274
.LBB480_1269:
	s_mov_b32 s13, -1
                                        ; implicit-def: $vgpr5
	s_branch .LBB480_1280
.LBB480_1270:
	s_or_saveexec_b32 s16, s16
	v_mov_b32_e32 v5, s15
	s_xor_b32 exec_lo, exec_lo, s16
	s_cbranch_execz .LBB480_1254
.LBB480_1271:
	v_cmp_ne_u16_e32 vcc_lo, 0, v6
	v_mov_b32_e32 v5, v6
	s_and_not1_b32 s14, s14, exec_lo
	s_and_b32 s15, vcc_lo, exec_lo
	s_delay_alu instid0(SALU_CYCLE_1)
	s_or_b32 s14, s14, s15
	s_or_b32 exec_lo, exec_lo, s16
	s_and_saveexec_b32 s15, s14
	s_cbranch_execnz .LBB480_1255
	s_branch .LBB480_1256
.LBB480_1272:
	s_mov_b32 s13, -1
                                        ; implicit-def: $vgpr5
	s_branch .LBB480_1277
.LBB480_1273:
	s_mov_b32 s13, -1
                                        ; implicit-def: $vgpr5
.LBB480_1274:
	s_delay_alu instid0(SALU_CYCLE_1)
	s_and_b32 vcc_lo, exec_lo, s13
	s_cbranch_vccz .LBB480_1276
; %bb.1275:
	global_load_u8 v5, v[0:1], off
	s_waitcnt vmcnt(0)
	v_lshlrev_b32_e32 v5, 24, v5
	s_delay_alu instid0(VALU_DEP_1) | instskip(NEXT) | instid1(VALU_DEP_1)
	v_and_b32_e32 v6, 0x7f000000, v5
	v_clz_i32_u32_e32 v7, v6
	v_add_nc_u32_e32 v9, 0x1000000, v6
	v_cmp_ne_u32_e32 vcc_lo, 0, v6
	s_delay_alu instid0(VALU_DEP_3) | instskip(NEXT) | instid1(VALU_DEP_1)
	v_min_u32_e32 v7, 32, v7
	v_sub_nc_u32_e64 v7, v7, 4 clamp
	s_delay_alu instid0(VALU_DEP_1) | instskip(SKIP_1) | instid1(VALU_DEP_2)
	v_lshlrev_b32_e32 v8, v7, v6
	v_lshlrev_b32_e32 v7, 23, v7
	v_lshrrev_b32_e32 v8, 4, v8
	s_delay_alu instid0(VALU_DEP_1) | instskip(SKIP_1) | instid1(VALU_DEP_2)
	v_sub_nc_u32_e32 v7, v8, v7
	v_ashrrev_i32_e32 v8, 8, v9
	v_add_nc_u32_e32 v7, 0x3c000000, v7
	s_delay_alu instid0(VALU_DEP_1) | instskip(NEXT) | instid1(VALU_DEP_1)
	v_and_or_b32 v7, 0x7f800000, v8, v7
	v_cndmask_b32_e32 v6, 0, v7, vcc_lo
	s_delay_alu instid0(VALU_DEP_1) | instskip(NEXT) | instid1(VALU_DEP_1)
	v_and_or_b32 v5, 0x80000000, v5, v6
	v_cvt_f16_f32_e32 v5, v5
.LBB480_1276:
	s_mov_b32 s13, 0
.LBB480_1277:
	s_delay_alu instid0(SALU_CYCLE_1)
	s_and_not1_b32 vcc_lo, exec_lo, s13
	s_cbranch_vccnz .LBB480_1279
; %bb.1278:
	global_load_u8 v5, v[0:1], off
	s_waitcnt vmcnt(0)
	v_lshlrev_b32_e32 v6, 25, v5
	v_lshlrev_b16 v5, 8, v5
	s_delay_alu instid0(VALU_DEP_2) | instskip(NEXT) | instid1(VALU_DEP_2)
	v_lshrrev_b32_e32 v7, 4, v6
	v_and_or_b32 v8, 0x7f00, v5, 0.5
	v_bfe_i32 v5, v5, 0, 16
	s_delay_alu instid0(VALU_DEP_3) | instskip(NEXT) | instid1(VALU_DEP_1)
	v_or_b32_e32 v7, 0x70000000, v7
	v_dual_add_f32 v8, -0.5, v8 :: v_dual_mul_f32 v7, 0x7800000, v7
	v_cmp_gt_u32_e32 vcc_lo, 0x8000000, v6
	s_delay_alu instid0(VALU_DEP_2) | instskip(NEXT) | instid1(VALU_DEP_1)
	v_cndmask_b32_e32 v6, v7, v8, vcc_lo
	v_and_or_b32 v5, 0x80000000, v5, v6
	s_delay_alu instid0(VALU_DEP_1)
	v_cvt_f16_f32_e32 v5, v5
.LBB480_1279:
	s_mov_b32 s13, 0
	s_mov_b32 s14, -1
.LBB480_1280:
	s_and_not1_b32 vcc_lo, exec_lo, s13
	s_mov_b32 s13, 0
	s_cbranch_vccnz .LBB480_1291
; %bb.1281:
	v_cmp_gt_i16_e64 s13, s9, 14
	s_delay_alu instid0(VALU_DEP_1)
	s_and_b32 vcc_lo, exec_lo, s13
	s_cbranch_vccz .LBB480_1284
; %bb.1282:
	v_cmp_eq_u16_e64 s3, s9, 15
	s_delay_alu instid0(VALU_DEP_1)
	s_and_b32 vcc_lo, exec_lo, s3
	s_cbranch_vccz .LBB480_1287
; %bb.1283:
	global_load_u16 v5, v[0:1], off
	s_mov_b32 s3, 0
	s_mov_b32 s14, -1
	s_waitcnt vmcnt(0)
	v_lshlrev_b32_e32 v5, 16, v5
	s_delay_alu instid0(VALU_DEP_1)
	v_cvt_f16_f32_e32 v5, v5
	s_branch .LBB480_1288
.LBB480_1284:
	s_mov_b32 s13, -1
                                        ; implicit-def: $vgpr5
	s_branch .LBB480_1289
.LBB480_1285:
	s_or_saveexec_b32 s15, s15
	v_mov_b32_e32 v5, s14
	s_xor_b32 exec_lo, exec_lo, s15
	s_cbranch_execz .LBB480_1266
.LBB480_1286:
	v_cmp_ne_u16_e32 vcc_lo, 0, v6
	v_mov_b32_e32 v5, v6
	s_and_not1_b32 s13, s13, exec_lo
	s_and_b32 s14, vcc_lo, exec_lo
	s_delay_alu instid0(SALU_CYCLE_1)
	s_or_b32 s13, s13, s14
	s_or_b32 exec_lo, exec_lo, s15
	s_and_saveexec_b32 s14, s13
	s_cbranch_execnz .LBB480_1267
	s_branch .LBB480_1268
.LBB480_1287:
	s_mov_b32 s3, -1
                                        ; implicit-def: $vgpr5
.LBB480_1288:
	s_mov_b32 s13, 0
.LBB480_1289:
	s_delay_alu instid0(SALU_CYCLE_1)
	s_and_b32 vcc_lo, exec_lo, s13
	s_mov_b32 s13, 0
	s_cbranch_vccz .LBB480_1291
; %bb.1290:
	v_cmp_ne_u16_e64 s3, s9, 11
	s_mov_b32 s13, -1
                                        ; implicit-def: $vgpr5
.LBB480_1291:
	s_delay_alu instid0(VALU_DEP_1)
	s_and_b32 vcc_lo, exec_lo, s3
	s_cbranch_vccnz .LBB480_1315
; %bb.1292:
	s_and_not1_b32 vcc_lo, exec_lo, s13
	s_cbranch_vccnz .LBB480_1294
.LBB480_1293:
	global_load_u8 v5, v[0:1], off
	s_mov_b32 s14, -1
	s_waitcnt vmcnt(0)
	v_cmp_ne_u16_e32 vcc_lo, 0, v5
	v_cndmask_b32_e64 v5, 0, 0x3c00, vcc_lo
.LBB480_1294:
.LBB480_1295:
	s_and_not1_b32 vcc_lo, exec_lo, s14
	s_cbranch_vccnz .LBB480_1996
.LBB480_1296:
	v_add_nc_u32_e32 v3, s0, v3
	v_cmp_lt_i16_e64 s3, s9, 11
	s_delay_alu instid0(VALU_DEP_2) | instskip(SKIP_1) | instid1(VALU_DEP_2)
	v_ashrrev_i32_e32 v1, 31, v3
	v_add_co_u32 v0, vcc_lo, s6, v3
	v_add_co_ci_u32_e32 v1, vcc_lo, s7, v1, vcc_lo
	s_delay_alu instid0(VALU_DEP_4)
	s_and_b32 vcc_lo, exec_lo, s3
	s_cbranch_vccnz .LBB480_1303
; %bb.1297:
	v_cmp_gt_i16_e64 s3, s9, 25
	s_mov_b32 s13, 0
	s_delay_alu instid0(VALU_DEP_1)
	s_and_b32 vcc_lo, exec_lo, s3
	s_cbranch_vccz .LBB480_1309
; %bb.1298:
	v_cmp_gt_i16_e64 s3, s9, 28
	s_delay_alu instid0(VALU_DEP_1)
	s_and_b32 vcc_lo, exec_lo, s3
	s_cbranch_vccz .LBB480_1311
; %bb.1299:
	v_cmp_gt_i16_e64 s3, s9, 43
	;; [unrolled: 5-line block ×3, first 2 shown]
	s_delay_alu instid0(VALU_DEP_1)
	s_and_b32 vcc_lo, exec_lo, s3
	s_cbranch_vccz .LBB480_1317
; %bb.1301:
	v_cmp_eq_u16_e64 s3, s9, 46
	s_mov_b32 s15, 0
	s_delay_alu instid0(VALU_DEP_1)
	s_and_b32 vcc_lo, exec_lo, s3
	s_cbranch_vccz .LBB480_1360
; %bb.1302:
	global_load_b32 v6, v[0:1], off
	s_mov_b32 s3, 0
	s_mov_b32 s14, -1
	s_waitcnt vmcnt(0)
	v_lshlrev_b32_e32 v6, 16, v6
	s_delay_alu instid0(VALU_DEP_1)
	v_cvt_f16_f32_e32 v6, v6
	s_branch .LBB480_1362
.LBB480_1303:
	s_mov_b32 s14, 0
                                        ; implicit-def: $vgpr6
	s_cbranch_execz .LBB480_1428
; %bb.1304:
	v_cmp_lt_i16_e64 s3, s9, 5
	s_delay_alu instid0(VALU_DEP_1)
	s_and_b32 vcc_lo, exec_lo, s3
	s_cbranch_vccnz .LBB480_1310
; %bb.1305:
	v_cmp_lt_i16_e64 s3, s9, 8
	s_delay_alu instid0(VALU_DEP_1)
	s_and_b32 vcc_lo, exec_lo, s3
	s_cbranch_vccnz .LBB480_1312
	;; [unrolled: 5-line block ×3, first 2 shown]
; %bb.1307:
	v_cmp_gt_i16_e64 s3, s9, 9
	s_delay_alu instid0(VALU_DEP_1)
	s_and_b32 vcc_lo, exec_lo, s3
	s_cbranch_vccz .LBB480_1318
; %bb.1308:
	global_load_b64 v[6:7], v[0:1], off
	s_mov_b32 s3, 0
	s_waitcnt vmcnt(0)
	v_cvt_f32_f64_e32 v6, v[6:7]
	s_delay_alu instid0(VALU_DEP_1)
	v_cvt_f16_f32_e32 v6, v6
	s_branch .LBB480_1319
.LBB480_1309:
	s_mov_b32 s15, -1
	s_mov_b32 s14, 0
	s_mov_b32 s3, 0
                                        ; implicit-def: $vgpr6
	s_branch .LBB480_1391
.LBB480_1310:
	s_mov_b32 s3, -1
                                        ; implicit-def: $vgpr6
	s_branch .LBB480_1337
.LBB480_1311:
	s_mov_b32 s15, -1
	s_mov_b32 s14, 0
	s_mov_b32 s3, 0
                                        ; implicit-def: $vgpr6
	s_branch .LBB480_1372
.LBB480_1312:
	s_mov_b32 s3, -1
                                        ; implicit-def: $vgpr6
	s_branch .LBB480_1325
.LBB480_1313:
	s_mov_b32 s15, -1
	s_mov_b32 s14, 0
	s_mov_b32 s3, 0
                                        ; implicit-def: $vgpr6
	s_branch .LBB480_1367
.LBB480_1314:
	s_mov_b32 s3, -1
                                        ; implicit-def: $vgpr6
	s_branch .LBB480_1322
.LBB480_1315:
	s_cbranch_execnz .LBB480_1358
; %bb.1316:
	s_or_b32 s10, s10, exec_lo
                                        ; implicit-def: $vgpr5
	s_cbranch_execz .LBB480_1293
	s_branch .LBB480_1294
.LBB480_1317:
	s_mov_b32 s15, -1
	s_mov_b32 s14, 0
	s_mov_b32 s3, 0
	s_branch .LBB480_1361
.LBB480_1318:
	s_mov_b32 s3, -1
                                        ; implicit-def: $vgpr6
.LBB480_1319:
	s_delay_alu instid0(SALU_CYCLE_1)
	s_and_not1_b32 vcc_lo, exec_lo, s3
	s_cbranch_vccnz .LBB480_1321
; %bb.1320:
	global_load_b32 v6, v[0:1], off
	s_waitcnt vmcnt(0)
	v_cvt_f16_f32_e32 v6, v6
.LBB480_1321:
	s_mov_b32 s3, 0
.LBB480_1322:
	s_delay_alu instid0(SALU_CYCLE_1)
	s_and_not1_b32 vcc_lo, exec_lo, s3
	s_cbranch_vccnz .LBB480_1324
; %bb.1323:
	global_load_b32 v6, v[0:1], off
.LBB480_1324:
	s_mov_b32 s3, 0
.LBB480_1325:
	s_delay_alu instid0(SALU_CYCLE_1)
	s_and_not1_b32 vcc_lo, exec_lo, s3
	s_cbranch_vccnz .LBB480_1336
; %bb.1326:
	v_cmp_lt_i16_e64 s3, s9, 6
	s_delay_alu instid0(VALU_DEP_1)
	s_and_b32 vcc_lo, exec_lo, s3
	s_cbranch_vccnz .LBB480_1329
; %bb.1327:
	v_cmp_gt_i16_e64 s3, s9, 6
	s_delay_alu instid0(VALU_DEP_1)
	s_and_b32 vcc_lo, exec_lo, s3
	s_cbranch_vccz .LBB480_1330
; %bb.1328:
	global_load_b64 v[6:7], v[0:1], off
	s_mov_b32 s3, 0
	s_waitcnt vmcnt(0)
	v_cvt_f32_f64_e32 v6, v[6:7]
	s_delay_alu instid0(VALU_DEP_1)
	v_cvt_f16_f32_e32 v6, v6
	s_branch .LBB480_1331
.LBB480_1329:
	s_mov_b32 s3, -1
                                        ; implicit-def: $vgpr6
	s_branch .LBB480_1334
.LBB480_1330:
	s_mov_b32 s3, -1
                                        ; implicit-def: $vgpr6
.LBB480_1331:
	s_delay_alu instid0(SALU_CYCLE_1)
	s_and_not1_b32 vcc_lo, exec_lo, s3
	s_cbranch_vccnz .LBB480_1333
; %bb.1332:
	global_load_b32 v6, v[0:1], off
	s_waitcnt vmcnt(0)
	v_cvt_f16_f32_e32 v6, v6
.LBB480_1333:
	s_mov_b32 s3, 0
.LBB480_1334:
	s_delay_alu instid0(SALU_CYCLE_1)
	s_and_not1_b32 vcc_lo, exec_lo, s3
	s_cbranch_vccnz .LBB480_1336
; %bb.1335:
	global_load_u16 v6, v[0:1], off
.LBB480_1336:
	s_mov_b32 s3, 0
.LBB480_1337:
	s_delay_alu instid0(SALU_CYCLE_1)
	s_and_not1_b32 vcc_lo, exec_lo, s3
	s_cbranch_vccnz .LBB480_1357
; %bb.1338:
	v_cmp_lt_i16_e64 s3, s9, 2
	s_delay_alu instid0(VALU_DEP_1)
	s_and_b32 vcc_lo, exec_lo, s3
	s_cbranch_vccnz .LBB480_1342
; %bb.1339:
	v_cmp_lt_i16_e64 s3, s9, 3
	s_delay_alu instid0(VALU_DEP_1)
	s_and_b32 vcc_lo, exec_lo, s3
	s_cbranch_vccnz .LBB480_1343
; %bb.1340:
	v_cmp_gt_i16_e64 s3, s9, 3
	s_delay_alu instid0(VALU_DEP_1)
	s_and_b32 vcc_lo, exec_lo, s3
	s_cbranch_vccz .LBB480_1344
; %bb.1341:
	global_load_b64 v[6:7], v[0:1], off
	s_mov_b32 s3, 0
	s_waitcnt vmcnt(0)
	v_xor_b32_e32 v8, v6, v7
	v_cls_i32_e32 v9, v7
	s_delay_alu instid0(VALU_DEP_2) | instskip(NEXT) | instid1(VALU_DEP_2)
	v_ashrrev_i32_e32 v8, 31, v8
	v_add_nc_u32_e32 v9, -1, v9
	s_delay_alu instid0(VALU_DEP_2) | instskip(NEXT) | instid1(VALU_DEP_1)
	v_add_nc_u32_e32 v8, 32, v8
	v_min_u32_e32 v8, v9, v8
	s_delay_alu instid0(VALU_DEP_1) | instskip(NEXT) | instid1(VALU_DEP_1)
	v_lshlrev_b64 v[6:7], v8, v[6:7]
	v_min_u32_e32 v6, 1, v6
	s_delay_alu instid0(VALU_DEP_1) | instskip(SKIP_1) | instid1(VALU_DEP_2)
	v_or_b32_e32 v6, v7, v6
	v_sub_nc_u32_e32 v7, 32, v8
	v_cvt_f32_i32_e32 v6, v6
	s_delay_alu instid0(VALU_DEP_1) | instskip(NEXT) | instid1(VALU_DEP_1)
	v_ldexp_f32 v6, v6, v7
	v_cvt_f16_f32_e32 v6, v6
	s_branch .LBB480_1345
.LBB480_1342:
	s_mov_b32 s3, -1
                                        ; implicit-def: $vgpr6
	s_branch .LBB480_1351
.LBB480_1343:
	s_mov_b32 s3, -1
                                        ; implicit-def: $vgpr6
	s_branch .LBB480_1348
.LBB480_1344:
	s_mov_b32 s3, -1
                                        ; implicit-def: $vgpr6
.LBB480_1345:
	s_delay_alu instid0(SALU_CYCLE_1)
	s_and_not1_b32 vcc_lo, exec_lo, s3
	s_cbranch_vccnz .LBB480_1347
; %bb.1346:
	global_load_b32 v6, v[0:1], off
	s_waitcnt vmcnt(0)
	v_cvt_f32_i32_e32 v6, v6
	s_delay_alu instid0(VALU_DEP_1)
	v_cvt_f16_f32_e32 v6, v6
.LBB480_1347:
	s_mov_b32 s3, 0
.LBB480_1348:
	s_delay_alu instid0(SALU_CYCLE_1)
	s_and_not1_b32 vcc_lo, exec_lo, s3
	s_cbranch_vccnz .LBB480_1350
; %bb.1349:
	global_load_u16 v6, v[0:1], off
	s_waitcnt vmcnt(0)
	v_cvt_f16_i16_e32 v6, v6
.LBB480_1350:
	s_mov_b32 s3, 0
.LBB480_1351:
	s_delay_alu instid0(SALU_CYCLE_1)
	s_and_not1_b32 vcc_lo, exec_lo, s3
	s_cbranch_vccnz .LBB480_1357
; %bb.1352:
	v_cmp_gt_i16_e64 s3, s9, 0
	s_delay_alu instid0(VALU_DEP_1)
	s_and_b32 vcc_lo, exec_lo, s3
	s_mov_b32 s3, 0
	s_cbranch_vccz .LBB480_1354
; %bb.1353:
	global_load_i8 v6, v[0:1], off
	s_waitcnt vmcnt(0)
	v_cvt_f16_i16_e32 v6, v6
	s_branch .LBB480_1355
.LBB480_1354:
	s_mov_b32 s3, -1
                                        ; implicit-def: $vgpr6
.LBB480_1355:
	s_delay_alu instid0(SALU_CYCLE_1)
	s_and_not1_b32 vcc_lo, exec_lo, s3
	s_cbranch_vccnz .LBB480_1357
; %bb.1356:
	global_load_u8 v0, v[0:1], off
	s_waitcnt vmcnt(0)
	v_cvt_f16_u16_e32 v6, v0
.LBB480_1357:
	s_branch .LBB480_1429
.LBB480_1358:
	s_trap 2
	s_sendmsg_rtn_b32 s0, sendmsg(MSG_RTN_GET_DOORBELL)
	s_mov_b32 ttmp2, m0
	s_waitcnt lgkmcnt(0)
	s_and_b32 s0, s0, 0x3ff
	s_delay_alu instid0(SALU_CYCLE_1) | instskip(NEXT) | instid1(SALU_CYCLE_1)
	s_bitset1_b32 s0, 10
	s_mov_b32 m0, s0
	s_sendmsg sendmsg(MSG_INTERRUPT)
	s_mov_b32 m0, ttmp2
.LBB480_1359:                           ; =>This Inner Loop Header: Depth=1
	s_sethalt 5
	s_branch .LBB480_1359
.LBB480_1360:
	s_mov_b32 s3, -1
	s_mov_b32 s14, 0
.LBB480_1361:
                                        ; implicit-def: $vgpr6
.LBB480_1362:
	s_and_b32 vcc_lo, exec_lo, s15
	s_cbranch_vccz .LBB480_1366
; %bb.1363:
	v_cmp_eq_u16_e64 s3, s9, 44
	s_delay_alu instid0(VALU_DEP_1)
	s_and_b32 vcc_lo, exec_lo, s3
	s_cbranch_vccz .LBB480_1365
; %bb.1364:
	global_load_u8 v6, v[0:1], off
	s_mov_b32 s3, 0
	s_mov_b32 s14, -1
	s_waitcnt vmcnt(0)
	v_lshlrev_b32_e32 v7, 23, v6
	v_cmp_ne_u32_e32 vcc_lo, 0xff, v6
	s_delay_alu instid0(VALU_DEP_2) | instskip(NEXT) | instid1(VALU_DEP_1)
	v_cvt_f16_f32_e32 v7, v7
	v_cndmask_b32_e32 v7, 0x7e00, v7, vcc_lo
	v_cmp_ne_u32_e32 vcc_lo, 0, v6
	s_delay_alu instid0(VALU_DEP_2)
	v_cndmask_b32_e32 v6, 0, v7, vcc_lo
	s_branch .LBB480_1366
.LBB480_1365:
	s_mov_b32 s3, -1
                                        ; implicit-def: $vgpr6
.LBB480_1366:
	s_mov_b32 s15, 0
.LBB480_1367:
	s_delay_alu instid0(SALU_CYCLE_1)
	s_and_b32 vcc_lo, exec_lo, s15
	s_cbranch_vccz .LBB480_1371
; %bb.1368:
	v_cmp_eq_u16_e64 s3, s9, 29
	s_delay_alu instid0(VALU_DEP_1)
	s_and_b32 vcc_lo, exec_lo, s3
	s_cbranch_vccz .LBB480_1370
; %bb.1369:
	global_load_b64 v[6:7], v[0:1], off
	s_mov_b32 s3, 0
	s_mov_b32 s14, -1
	s_mov_b32 s15, 0
	s_waitcnt vmcnt(0)
	v_clz_i32_u32_e32 v8, v7
	s_delay_alu instid0(VALU_DEP_1) | instskip(NEXT) | instid1(VALU_DEP_1)
	v_min_u32_e32 v8, 32, v8
	v_lshlrev_b64 v[6:7], v8, v[6:7]
	s_delay_alu instid0(VALU_DEP_1) | instskip(NEXT) | instid1(VALU_DEP_1)
	v_min_u32_e32 v6, 1, v6
	v_or_b32_e32 v6, v7, v6
	v_sub_nc_u32_e32 v7, 32, v8
	s_delay_alu instid0(VALU_DEP_2) | instskip(NEXT) | instid1(VALU_DEP_1)
	v_cvt_f32_u32_e32 v6, v6
	v_ldexp_f32 v6, v6, v7
	s_delay_alu instid0(VALU_DEP_1)
	v_cvt_f16_f32_e32 v6, v6
	s_branch .LBB480_1372
.LBB480_1370:
	s_mov_b32 s3, -1
                                        ; implicit-def: $vgpr6
.LBB480_1371:
	s_mov_b32 s15, 0
.LBB480_1372:
	s_delay_alu instid0(SALU_CYCLE_1)
	s_and_b32 vcc_lo, exec_lo, s15
	s_cbranch_vccz .LBB480_1390
; %bb.1373:
	v_cmp_lt_i16_e64 s14, s9, 27
	s_delay_alu instid0(VALU_DEP_1)
	s_and_b32 vcc_lo, exec_lo, s14
	s_cbranch_vccnz .LBB480_1376
; %bb.1374:
	v_cmp_gt_i16_e64 s14, s9, 27
	s_delay_alu instid0(VALU_DEP_1)
	s_and_b32 vcc_lo, exec_lo, s14
	s_cbranch_vccz .LBB480_1377
; %bb.1375:
	global_load_b32 v6, v[0:1], off
	s_mov_b32 s14, 0
	s_waitcnt vmcnt(0)
	v_cvt_f32_u32_e32 v6, v6
	s_delay_alu instid0(VALU_DEP_1)
	v_cvt_f16_f32_e32 v6, v6
	s_branch .LBB480_1378
.LBB480_1376:
	s_mov_b32 s14, -1
                                        ; implicit-def: $vgpr6
	s_branch .LBB480_1381
.LBB480_1377:
	s_mov_b32 s14, -1
                                        ; implicit-def: $vgpr6
.LBB480_1378:
	s_delay_alu instid0(SALU_CYCLE_1)
	s_and_not1_b32 vcc_lo, exec_lo, s14
	s_cbranch_vccnz .LBB480_1380
; %bb.1379:
	global_load_u16 v6, v[0:1], off
	s_waitcnt vmcnt(0)
	v_cvt_f16_u16_e32 v6, v6
.LBB480_1380:
	s_mov_b32 s14, 0
.LBB480_1381:
	s_delay_alu instid0(SALU_CYCLE_1)
	s_and_not1_b32 vcc_lo, exec_lo, s14
	s_cbranch_vccnz .LBB480_1389
; %bb.1382:
	global_load_u8 v7, v[0:1], off
	s_mov_b32 s14, 0
	s_mov_b32 s16, exec_lo
                                        ; implicit-def: $sgpr15
	s_waitcnt vmcnt(0)
	v_cmpx_lt_i16_e32 0x7f, v7
	s_xor_b32 s16, exec_lo, s16
	s_cbranch_execz .LBB480_1403
; %bb.1383:
	s_mov_b32 s14, -1
	s_mov_b32 s17, exec_lo
                                        ; implicit-def: $sgpr15
	v_cmpx_eq_u16_e32 0x80, v7
; %bb.1384:
	s_movk_i32 s15, 0x7e00
	s_xor_b32 s14, exec_lo, -1
; %bb.1385:
	s_or_b32 exec_lo, exec_lo, s17
	s_delay_alu instid0(SALU_CYCLE_1)
	s_and_b32 s14, s14, exec_lo
	s_or_saveexec_b32 s16, s16
	v_mov_b32_e32 v6, s15
	s_xor_b32 exec_lo, exec_lo, s16
	s_cbranch_execnz .LBB480_1404
.LBB480_1386:
	s_or_b32 exec_lo, exec_lo, s16
	s_and_saveexec_b32 s15, s14
	s_cbranch_execz .LBB480_1388
.LBB480_1387:
	v_and_b32_e32 v6, 0xffff, v7
	s_delay_alu instid0(VALU_DEP_1) | instskip(NEXT) | instid1(VALU_DEP_1)
	v_and_b32_e32 v8, 7, v6
	v_clz_i32_u32_e32 v9, v8
	s_delay_alu instid0(VALU_DEP_1) | instskip(NEXT) | instid1(VALU_DEP_1)
	v_min_u32_e32 v9, 32, v9
	v_subrev_nc_u32_e32 v10, 28, v9
	v_sub_nc_u32_e32 v9, 29, v9
	s_delay_alu instid0(VALU_DEP_2) | instskip(SKIP_1) | instid1(VALU_DEP_2)
	v_lshlrev_b32_e32 v10, v10, v6
	v_bfe_u32 v6, v6, 3, 4
	v_and_b32_e32 v10, 7, v10
	s_delay_alu instid0(VALU_DEP_2) | instskip(SKIP_1) | instid1(VALU_DEP_1)
	v_cmp_eq_u32_e32 vcc_lo, 0, v6
	v_dual_cndmask_b32 v6, v6, v9 :: v_dual_lshlrev_b32 v7, 24, v7
	v_dual_cndmask_b32 v8, v8, v10 :: v_dual_and_b32 v7, 0x80000000, v7
	s_delay_alu instid0(VALU_DEP_2) | instskip(NEXT) | instid1(VALU_DEP_2)
	v_lshl_add_u32 v6, v6, 23, 0x3b800000
	v_lshlrev_b32_e32 v8, 20, v8
	s_delay_alu instid0(VALU_DEP_1) | instskip(NEXT) | instid1(VALU_DEP_1)
	v_or3_b32 v6, v7, v6, v8
	v_cvt_f16_f32_e32 v6, v6
.LBB480_1388:
	s_or_b32 exec_lo, exec_lo, s15
.LBB480_1389:
	s_mov_b32 s14, -1
.LBB480_1390:
	s_mov_b32 s15, 0
.LBB480_1391:
	s_delay_alu instid0(SALU_CYCLE_1)
	s_and_b32 vcc_lo, exec_lo, s15
	s_cbranch_vccz .LBB480_1424
; %bb.1392:
	v_cmp_gt_i16_e64 s13, s9, 22
	s_delay_alu instid0(VALU_DEP_1)
	s_and_b32 vcc_lo, exec_lo, s13
	s_cbranch_vccz .LBB480_1402
; %bb.1393:
	v_cmp_lt_i16_e64 s13, s9, 24
	s_delay_alu instid0(VALU_DEP_1)
	s_and_b32 vcc_lo, exec_lo, s13
	s_cbranch_vccnz .LBB480_1405
; %bb.1394:
	v_cmp_gt_i16_e64 s13, s9, 24
	s_delay_alu instid0(VALU_DEP_1)
	s_and_b32 vcc_lo, exec_lo, s13
	s_cbranch_vccz .LBB480_1406
; %bb.1395:
	global_load_u8 v7, v[0:1], off
	s_mov_b32 s13, 0
	s_mov_b32 s15, exec_lo
                                        ; implicit-def: $sgpr14
	s_waitcnt vmcnt(0)
	v_cmpx_lt_i16_e32 0x7f, v7
	s_xor_b32 s15, exec_lo, s15
	s_cbranch_execz .LBB480_1418
; %bb.1396:
	s_mov_b32 s13, -1
	s_mov_b32 s16, exec_lo
                                        ; implicit-def: $sgpr14
	v_cmpx_eq_u16_e32 0x80, v7
; %bb.1397:
	s_movk_i32 s14, 0x7e00
	s_xor_b32 s13, exec_lo, -1
; %bb.1398:
	s_or_b32 exec_lo, exec_lo, s16
	s_delay_alu instid0(SALU_CYCLE_1)
	s_and_b32 s13, s13, exec_lo
	s_or_saveexec_b32 s15, s15
	v_mov_b32_e32 v6, s14
	s_xor_b32 exec_lo, exec_lo, s15
	s_cbranch_execnz .LBB480_1419
.LBB480_1399:
	s_or_b32 exec_lo, exec_lo, s15
	s_and_saveexec_b32 s14, s13
	s_cbranch_execz .LBB480_1401
.LBB480_1400:
	v_and_b32_e32 v6, 0xffff, v7
	s_delay_alu instid0(VALU_DEP_1) | instskip(NEXT) | instid1(VALU_DEP_1)
	v_and_b32_e32 v8, 3, v6
	v_clz_i32_u32_e32 v9, v8
	s_delay_alu instid0(VALU_DEP_1) | instskip(NEXT) | instid1(VALU_DEP_1)
	v_min_u32_e32 v9, 32, v9
	v_subrev_nc_u32_e32 v10, 29, v9
	v_sub_nc_u32_e32 v9, 30, v9
	s_delay_alu instid0(VALU_DEP_2) | instskip(SKIP_1) | instid1(VALU_DEP_2)
	v_lshlrev_b32_e32 v10, v10, v6
	v_bfe_u32 v6, v6, 2, 5
	v_and_b32_e32 v10, 3, v10
	s_delay_alu instid0(VALU_DEP_2) | instskip(SKIP_1) | instid1(VALU_DEP_1)
	v_cmp_eq_u32_e32 vcc_lo, 0, v6
	v_dual_cndmask_b32 v6, v6, v9 :: v_dual_lshlrev_b32 v7, 24, v7
	v_dual_cndmask_b32 v8, v8, v10 :: v_dual_and_b32 v7, 0x80000000, v7
	s_delay_alu instid0(VALU_DEP_2) | instskip(NEXT) | instid1(VALU_DEP_2)
	v_lshl_add_u32 v6, v6, 23, 0x37800000
	v_lshlrev_b32_e32 v8, 21, v8
	s_delay_alu instid0(VALU_DEP_1) | instskip(NEXT) | instid1(VALU_DEP_1)
	v_or3_b32 v6, v7, v6, v8
	v_cvt_f16_f32_e32 v6, v6
.LBB480_1401:
	s_or_b32 exec_lo, exec_lo, s14
	s_mov_b32 s13, 0
	s_branch .LBB480_1407
.LBB480_1402:
	s_mov_b32 s13, -1
                                        ; implicit-def: $vgpr6
	s_branch .LBB480_1413
.LBB480_1403:
	s_or_saveexec_b32 s16, s16
	v_mov_b32_e32 v6, s15
	s_xor_b32 exec_lo, exec_lo, s16
	s_cbranch_execz .LBB480_1386
.LBB480_1404:
	v_cmp_ne_u16_e32 vcc_lo, 0, v7
	v_mov_b32_e32 v6, v7
	s_and_not1_b32 s14, s14, exec_lo
	s_and_b32 s15, vcc_lo, exec_lo
	s_delay_alu instid0(SALU_CYCLE_1)
	s_or_b32 s14, s14, s15
	s_or_b32 exec_lo, exec_lo, s16
	s_and_saveexec_b32 s15, s14
	s_cbranch_execnz .LBB480_1387
	s_branch .LBB480_1388
.LBB480_1405:
	s_mov_b32 s13, -1
                                        ; implicit-def: $vgpr6
	s_branch .LBB480_1410
.LBB480_1406:
	s_mov_b32 s13, -1
                                        ; implicit-def: $vgpr6
.LBB480_1407:
	s_delay_alu instid0(SALU_CYCLE_1)
	s_and_b32 vcc_lo, exec_lo, s13
	s_cbranch_vccz .LBB480_1409
; %bb.1408:
	global_load_u8 v6, v[0:1], off
	s_waitcnt vmcnt(0)
	v_lshlrev_b32_e32 v6, 24, v6
	s_delay_alu instid0(VALU_DEP_1) | instskip(NEXT) | instid1(VALU_DEP_1)
	v_and_b32_e32 v7, 0x7f000000, v6
	v_clz_i32_u32_e32 v8, v7
	v_add_nc_u32_e32 v10, 0x1000000, v7
	v_cmp_ne_u32_e32 vcc_lo, 0, v7
	s_delay_alu instid0(VALU_DEP_3) | instskip(NEXT) | instid1(VALU_DEP_1)
	v_min_u32_e32 v8, 32, v8
	v_sub_nc_u32_e64 v8, v8, 4 clamp
	s_delay_alu instid0(VALU_DEP_1) | instskip(SKIP_1) | instid1(VALU_DEP_2)
	v_lshlrev_b32_e32 v9, v8, v7
	v_lshlrev_b32_e32 v8, 23, v8
	v_lshrrev_b32_e32 v9, 4, v9
	s_delay_alu instid0(VALU_DEP_1) | instskip(SKIP_1) | instid1(VALU_DEP_2)
	v_sub_nc_u32_e32 v8, v9, v8
	v_ashrrev_i32_e32 v9, 8, v10
	v_add_nc_u32_e32 v8, 0x3c000000, v8
	s_delay_alu instid0(VALU_DEP_1) | instskip(NEXT) | instid1(VALU_DEP_1)
	v_and_or_b32 v8, 0x7f800000, v9, v8
	v_cndmask_b32_e32 v7, 0, v8, vcc_lo
	s_delay_alu instid0(VALU_DEP_1) | instskip(NEXT) | instid1(VALU_DEP_1)
	v_and_or_b32 v6, 0x80000000, v6, v7
	v_cvt_f16_f32_e32 v6, v6
.LBB480_1409:
	s_mov_b32 s13, 0
.LBB480_1410:
	s_delay_alu instid0(SALU_CYCLE_1)
	s_and_not1_b32 vcc_lo, exec_lo, s13
	s_cbranch_vccnz .LBB480_1412
; %bb.1411:
	global_load_u8 v6, v[0:1], off
	s_waitcnt vmcnt(0)
	v_lshlrev_b32_e32 v7, 25, v6
	v_lshlrev_b16 v6, 8, v6
	s_delay_alu instid0(VALU_DEP_2) | instskip(NEXT) | instid1(VALU_DEP_2)
	v_lshrrev_b32_e32 v8, 4, v7
	v_and_or_b32 v9, 0x7f00, v6, 0.5
	v_bfe_i32 v6, v6, 0, 16
	s_delay_alu instid0(VALU_DEP_3) | instskip(NEXT) | instid1(VALU_DEP_1)
	v_or_b32_e32 v8, 0x70000000, v8
	v_dual_add_f32 v9, -0.5, v9 :: v_dual_mul_f32 v8, 0x7800000, v8
	v_cmp_gt_u32_e32 vcc_lo, 0x8000000, v7
	s_delay_alu instid0(VALU_DEP_2) | instskip(NEXT) | instid1(VALU_DEP_1)
	v_cndmask_b32_e32 v7, v8, v9, vcc_lo
	v_and_or_b32 v6, 0x80000000, v6, v7
	s_delay_alu instid0(VALU_DEP_1)
	v_cvt_f16_f32_e32 v6, v6
.LBB480_1412:
	s_mov_b32 s13, 0
	s_mov_b32 s14, -1
.LBB480_1413:
	s_and_not1_b32 vcc_lo, exec_lo, s13
	s_mov_b32 s13, 0
	s_cbranch_vccnz .LBB480_1424
; %bb.1414:
	v_cmp_gt_i16_e64 s13, s9, 14
	s_delay_alu instid0(VALU_DEP_1)
	s_and_b32 vcc_lo, exec_lo, s13
	s_cbranch_vccz .LBB480_1417
; %bb.1415:
	v_cmp_eq_u16_e64 s3, s9, 15
	s_delay_alu instid0(VALU_DEP_1)
	s_and_b32 vcc_lo, exec_lo, s3
	s_cbranch_vccz .LBB480_1420
; %bb.1416:
	global_load_u16 v6, v[0:1], off
	s_mov_b32 s3, 0
	s_mov_b32 s14, -1
	s_waitcnt vmcnt(0)
	v_lshlrev_b32_e32 v6, 16, v6
	s_delay_alu instid0(VALU_DEP_1)
	v_cvt_f16_f32_e32 v6, v6
	s_branch .LBB480_1421
.LBB480_1417:
	s_mov_b32 s13, -1
                                        ; implicit-def: $vgpr6
	s_branch .LBB480_1422
.LBB480_1418:
	s_or_saveexec_b32 s15, s15
	v_mov_b32_e32 v6, s14
	s_xor_b32 exec_lo, exec_lo, s15
	s_cbranch_execz .LBB480_1399
.LBB480_1419:
	v_cmp_ne_u16_e32 vcc_lo, 0, v7
	v_mov_b32_e32 v6, v7
	s_and_not1_b32 s13, s13, exec_lo
	s_and_b32 s14, vcc_lo, exec_lo
	s_delay_alu instid0(SALU_CYCLE_1)
	s_or_b32 s13, s13, s14
	s_or_b32 exec_lo, exec_lo, s15
	s_and_saveexec_b32 s14, s13
	s_cbranch_execnz .LBB480_1400
	s_branch .LBB480_1401
.LBB480_1420:
	s_mov_b32 s3, -1
                                        ; implicit-def: $vgpr6
.LBB480_1421:
	s_mov_b32 s13, 0
.LBB480_1422:
	s_delay_alu instid0(SALU_CYCLE_1)
	s_and_b32 vcc_lo, exec_lo, s13
	s_mov_b32 s13, 0
	s_cbranch_vccz .LBB480_1424
; %bb.1423:
	v_cmp_ne_u16_e64 s3, s9, 11
	s_mov_b32 s13, -1
                                        ; implicit-def: $vgpr6
.LBB480_1424:
	s_delay_alu instid0(VALU_DEP_1)
	s_and_b32 vcc_lo, exec_lo, s3
	s_cbranch_vccnz .LBB480_1440
; %bb.1425:
	s_and_not1_b32 vcc_lo, exec_lo, s13
	s_cbranch_vccnz .LBB480_1427
.LBB480_1426:
	global_load_u8 v6, v[0:1], off
	s_mov_b32 s14, -1
	s_waitcnt vmcnt(0)
	v_cmp_ne_u16_e32 vcc_lo, 0, v6
	v_cndmask_b32_e64 v6, 0, 0x3c00, vcc_lo
.LBB480_1427:
.LBB480_1428:
	s_and_not1_b32 vcc_lo, exec_lo, s14
	s_cbranch_vccnz .LBB480_1996
.LBB480_1429:
	v_add_nc_u32_e32 v0, s0, v3
	v_cmp_lt_i16_e64 s0, s9, 11
	s_delay_alu instid0(VALU_DEP_2) | instskip(SKIP_1) | instid1(VALU_DEP_2)
	v_ashrrev_i32_e32 v1, 31, v0
	v_add_co_u32 v0, vcc_lo, s6, v0
	v_add_co_ci_u32_e32 v1, vcc_lo, s7, v1, vcc_lo
	s_delay_alu instid0(VALU_DEP_4)
	s_and_b32 vcc_lo, exec_lo, s0
	s_cbranch_vccnz .LBB480_1436
; %bb.1430:
	v_cmp_gt_i16_e64 s0, s9, 25
	s_mov_b32 s3, 0
	s_delay_alu instid0(VALU_DEP_1)
	s_and_b32 vcc_lo, exec_lo, s0
	s_cbranch_vccz .LBB480_1437
; %bb.1431:
	v_cmp_gt_i16_e64 s0, s9, 28
	s_delay_alu instid0(VALU_DEP_1)
	s_and_b32 vcc_lo, exec_lo, s0
	s_cbranch_vccz .LBB480_1438
; %bb.1432:
	v_cmp_gt_i16_e64 s0, s9, 43
	;; [unrolled: 5-line block ×3, first 2 shown]
	s_delay_alu instid0(VALU_DEP_1)
	s_and_b32 vcc_lo, exec_lo, s0
	s_cbranch_vccz .LBB480_1442
; %bb.1434:
	v_cmp_eq_u16_e64 s0, s9, 46
	s_mov_b32 s7, 0
	s_delay_alu instid0(VALU_DEP_1)
	s_and_b32 vcc_lo, exec_lo, s0
	s_cbranch_vccz .LBB480_1445
; %bb.1435:
	global_load_b32 v3, v[0:1], off
	s_mov_b32 s0, 0
	s_mov_b32 s6, -1
	s_waitcnt vmcnt(0)
	v_lshlrev_b32_e32 v3, 16, v3
	s_delay_alu instid0(VALU_DEP_1)
	v_cvt_f16_f32_e32 v7, v3
	s_branch .LBB480_1447
.LBB480_1436:
	s_mov_b32 s0, -1
	s_mov_b32 s6, 0
                                        ; implicit-def: $vgpr7
	s_branch .LBB480_1513
.LBB480_1437:
	s_mov_b32 s7, -1
	s_mov_b32 s6, 0
	s_mov_b32 s0, 0
                                        ; implicit-def: $vgpr7
	s_branch .LBB480_1476
.LBB480_1438:
	s_mov_b32 s7, -1
	s_mov_b32 s6, 0
	s_mov_b32 s0, 0
                                        ; implicit-def: $vgpr7
	s_branch .LBB480_1457
.LBB480_1439:
	s_mov_b32 s7, -1
	s_mov_b32 s6, 0
	s_mov_b32 s0, 0
                                        ; implicit-def: $vgpr7
	s_branch .LBB480_1452
.LBB480_1440:
	s_cbranch_execnz .LBB480_1443
; %bb.1441:
	s_or_b32 s10, s10, exec_lo
                                        ; implicit-def: $vgpr6
	s_cbranch_execz .LBB480_1426
	s_branch .LBB480_1427
.LBB480_1442:
	s_mov_b32 s7, -1
	s_mov_b32 s6, 0
	s_mov_b32 s0, 0
	s_branch .LBB480_1446
.LBB480_1443:
	s_trap 2
	s_sendmsg_rtn_b32 s0, sendmsg(MSG_RTN_GET_DOORBELL)
	s_mov_b32 ttmp2, m0
	s_waitcnt lgkmcnt(0)
	s_and_b32 s0, s0, 0x3ff
	s_delay_alu instid0(SALU_CYCLE_1) | instskip(NEXT) | instid1(SALU_CYCLE_1)
	s_bitset1_b32 s0, 10
	s_mov_b32 m0, s0
	s_sendmsg sendmsg(MSG_INTERRUPT)
	s_mov_b32 m0, ttmp2
.LBB480_1444:                           ; =>This Inner Loop Header: Depth=1
	s_sethalt 5
	s_branch .LBB480_1444
.LBB480_1445:
	s_mov_b32 s0, -1
	s_mov_b32 s6, 0
.LBB480_1446:
                                        ; implicit-def: $vgpr7
.LBB480_1447:
	s_and_b32 vcc_lo, exec_lo, s7
	s_cbranch_vccz .LBB480_1451
; %bb.1448:
	v_cmp_eq_u16_e64 s0, s9, 44
	s_delay_alu instid0(VALU_DEP_1)
	s_and_b32 vcc_lo, exec_lo, s0
	s_cbranch_vccz .LBB480_1450
; %bb.1449:
	global_load_u8 v3, v[0:1], off
	s_mov_b32 s0, 0
	s_mov_b32 s6, -1
	s_waitcnt vmcnt(0)
	v_lshlrev_b32_e32 v7, 23, v3
	v_cmp_ne_u32_e32 vcc_lo, 0xff, v3
	s_delay_alu instid0(VALU_DEP_2) | instskip(NEXT) | instid1(VALU_DEP_1)
	v_cvt_f16_f32_e32 v7, v7
	v_cndmask_b32_e32 v7, 0x7e00, v7, vcc_lo
	v_cmp_ne_u32_e32 vcc_lo, 0, v3
	s_delay_alu instid0(VALU_DEP_2)
	v_cndmask_b32_e32 v7, 0, v7, vcc_lo
	s_branch .LBB480_1451
.LBB480_1450:
	s_mov_b32 s0, -1
                                        ; implicit-def: $vgpr7
.LBB480_1451:
	s_mov_b32 s7, 0
.LBB480_1452:
	s_delay_alu instid0(SALU_CYCLE_1)
	s_and_b32 vcc_lo, exec_lo, s7
	s_cbranch_vccz .LBB480_1456
; %bb.1453:
	v_cmp_eq_u16_e64 s0, s9, 29
	s_delay_alu instid0(VALU_DEP_1)
	s_and_b32 vcc_lo, exec_lo, s0
	s_cbranch_vccz .LBB480_1455
; %bb.1454:
	global_load_b64 v[7:8], v[0:1], off
	s_mov_b32 s0, 0
	s_mov_b32 s6, -1
	s_mov_b32 s7, 0
	s_waitcnt vmcnt(0)
	v_clz_i32_u32_e32 v3, v8
	s_delay_alu instid0(VALU_DEP_1) | instskip(NEXT) | instid1(VALU_DEP_1)
	v_min_u32_e32 v3, 32, v3
	v_lshlrev_b64 v[7:8], v3, v[7:8]
	v_sub_nc_u32_e32 v3, 32, v3
	s_delay_alu instid0(VALU_DEP_2) | instskip(NEXT) | instid1(VALU_DEP_1)
	v_min_u32_e32 v7, 1, v7
	v_or_b32_e32 v7, v8, v7
	s_delay_alu instid0(VALU_DEP_1) | instskip(NEXT) | instid1(VALU_DEP_1)
	v_cvt_f32_u32_e32 v7, v7
	v_ldexp_f32 v3, v7, v3
	s_delay_alu instid0(VALU_DEP_1)
	v_cvt_f16_f32_e32 v7, v3
	s_branch .LBB480_1457
.LBB480_1455:
	s_mov_b32 s0, -1
                                        ; implicit-def: $vgpr7
.LBB480_1456:
	s_mov_b32 s7, 0
.LBB480_1457:
	s_delay_alu instid0(SALU_CYCLE_1)
	s_and_b32 vcc_lo, exec_lo, s7
	s_cbranch_vccz .LBB480_1475
; %bb.1458:
	v_cmp_lt_i16_e64 s6, s9, 27
	s_delay_alu instid0(VALU_DEP_1)
	s_and_b32 vcc_lo, exec_lo, s6
	s_cbranch_vccnz .LBB480_1461
; %bb.1459:
	v_cmp_gt_i16_e64 s6, s9, 27
	s_delay_alu instid0(VALU_DEP_1)
	s_and_b32 vcc_lo, exec_lo, s6
	s_cbranch_vccz .LBB480_1462
; %bb.1460:
	global_load_b32 v3, v[0:1], off
	s_mov_b32 s6, 0
	s_waitcnt vmcnt(0)
	v_cvt_f32_u32_e32 v3, v3
	s_delay_alu instid0(VALU_DEP_1)
	v_cvt_f16_f32_e32 v7, v3
	s_branch .LBB480_1463
.LBB480_1461:
	s_mov_b32 s6, -1
                                        ; implicit-def: $vgpr7
	s_branch .LBB480_1466
.LBB480_1462:
	s_mov_b32 s6, -1
                                        ; implicit-def: $vgpr7
.LBB480_1463:
	s_delay_alu instid0(SALU_CYCLE_1)
	s_and_not1_b32 vcc_lo, exec_lo, s6
	s_cbranch_vccnz .LBB480_1465
; %bb.1464:
	global_load_u16 v3, v[0:1], off
	s_waitcnt vmcnt(0)
	v_cvt_f16_u16_e32 v7, v3
.LBB480_1465:
	s_mov_b32 s6, 0
.LBB480_1466:
	s_delay_alu instid0(SALU_CYCLE_1)
	s_and_not1_b32 vcc_lo, exec_lo, s6
	s_cbranch_vccnz .LBB480_1474
; %bb.1467:
	global_load_u8 v3, v[0:1], off
	s_mov_b32 s6, 0
	s_mov_b32 s13, exec_lo
                                        ; implicit-def: $sgpr7
	s_waitcnt vmcnt(0)
	v_cmpx_lt_i16_e32 0x7f, v3
	s_xor_b32 s13, exec_lo, s13
	s_cbranch_execz .LBB480_1488
; %bb.1468:
	s_mov_b32 s6, -1
	s_mov_b32 s14, exec_lo
                                        ; implicit-def: $sgpr7
	v_cmpx_eq_u16_e32 0x80, v3
; %bb.1469:
	s_movk_i32 s7, 0x7e00
	s_xor_b32 s6, exec_lo, -1
; %bb.1470:
	s_or_b32 exec_lo, exec_lo, s14
	s_delay_alu instid0(SALU_CYCLE_1)
	s_and_b32 s6, s6, exec_lo
	s_or_saveexec_b32 s13, s13
	v_mov_b32_e32 v7, s7
	s_xor_b32 exec_lo, exec_lo, s13
	s_cbranch_execnz .LBB480_1489
.LBB480_1471:
	s_or_b32 exec_lo, exec_lo, s13
	s_and_saveexec_b32 s7, s6
	s_cbranch_execz .LBB480_1473
.LBB480_1472:
	v_and_b32_e32 v7, 0xffff, v3
	v_lshlrev_b32_e32 v3, 24, v3
	s_delay_alu instid0(VALU_DEP_2) | instskip(NEXT) | instid1(VALU_DEP_2)
	v_and_b32_e32 v8, 7, v7
	v_and_b32_e32 v3, 0x80000000, v3
	s_delay_alu instid0(VALU_DEP_2) | instskip(NEXT) | instid1(VALU_DEP_1)
	v_clz_i32_u32_e32 v9, v8
	v_min_u32_e32 v9, 32, v9
	s_delay_alu instid0(VALU_DEP_1) | instskip(SKIP_1) | instid1(VALU_DEP_2)
	v_subrev_nc_u32_e32 v10, 28, v9
	v_sub_nc_u32_e32 v9, 29, v9
	v_lshlrev_b32_e32 v10, v10, v7
	v_bfe_u32 v7, v7, 3, 4
	s_delay_alu instid0(VALU_DEP_2) | instskip(NEXT) | instid1(VALU_DEP_2)
	v_and_b32_e32 v10, 7, v10
	v_cmp_eq_u32_e32 vcc_lo, 0, v7
	s_delay_alu instid0(VALU_DEP_2) | instskip(NEXT) | instid1(VALU_DEP_1)
	v_dual_cndmask_b32 v7, v7, v9 :: v_dual_cndmask_b32 v8, v8, v10
	v_lshl_add_u32 v7, v7, 23, 0x3b800000
	s_delay_alu instid0(VALU_DEP_2) | instskip(NEXT) | instid1(VALU_DEP_1)
	v_lshlrev_b32_e32 v8, 20, v8
	v_or3_b32 v3, v3, v7, v8
	s_delay_alu instid0(VALU_DEP_1)
	v_cvt_f16_f32_e32 v7, v3
.LBB480_1473:
	s_or_b32 exec_lo, exec_lo, s7
.LBB480_1474:
	s_mov_b32 s6, -1
.LBB480_1475:
	s_mov_b32 s7, 0
.LBB480_1476:
	s_delay_alu instid0(SALU_CYCLE_1)
	s_and_b32 vcc_lo, exec_lo, s7
	s_cbranch_vccz .LBB480_1509
; %bb.1477:
	v_cmp_gt_i16_e64 s3, s9, 22
	s_delay_alu instid0(VALU_DEP_1)
	s_and_b32 vcc_lo, exec_lo, s3
	s_cbranch_vccz .LBB480_1487
; %bb.1478:
	v_cmp_lt_i16_e64 s3, s9, 24
	s_delay_alu instid0(VALU_DEP_1)
	s_and_b32 vcc_lo, exec_lo, s3
	s_cbranch_vccnz .LBB480_1490
; %bb.1479:
	v_cmp_gt_i16_e64 s3, s9, 24
	s_delay_alu instid0(VALU_DEP_1)
	s_and_b32 vcc_lo, exec_lo, s3
	s_cbranch_vccz .LBB480_1491
; %bb.1480:
	global_load_u8 v3, v[0:1], off
	s_mov_b32 s3, 0
	s_mov_b32 s7, exec_lo
                                        ; implicit-def: $sgpr6
	s_waitcnt vmcnt(0)
	v_cmpx_lt_i16_e32 0x7f, v3
	s_xor_b32 s7, exec_lo, s7
	s_cbranch_execz .LBB480_1503
; %bb.1481:
	s_mov_b32 s3, -1
	s_mov_b32 s13, exec_lo
                                        ; implicit-def: $sgpr6
	v_cmpx_eq_u16_e32 0x80, v3
; %bb.1482:
	s_movk_i32 s6, 0x7e00
	s_xor_b32 s3, exec_lo, -1
; %bb.1483:
	s_or_b32 exec_lo, exec_lo, s13
	s_delay_alu instid0(SALU_CYCLE_1)
	s_and_b32 s3, s3, exec_lo
	s_or_saveexec_b32 s7, s7
	v_mov_b32_e32 v7, s6
	s_xor_b32 exec_lo, exec_lo, s7
	s_cbranch_execnz .LBB480_1504
.LBB480_1484:
	s_or_b32 exec_lo, exec_lo, s7
	s_and_saveexec_b32 s6, s3
	s_cbranch_execz .LBB480_1486
.LBB480_1485:
	v_and_b32_e32 v7, 0xffff, v3
	v_lshlrev_b32_e32 v3, 24, v3
	s_delay_alu instid0(VALU_DEP_2) | instskip(NEXT) | instid1(VALU_DEP_2)
	v_and_b32_e32 v8, 3, v7
	v_and_b32_e32 v3, 0x80000000, v3
	s_delay_alu instid0(VALU_DEP_2) | instskip(NEXT) | instid1(VALU_DEP_1)
	v_clz_i32_u32_e32 v9, v8
	v_min_u32_e32 v9, 32, v9
	s_delay_alu instid0(VALU_DEP_1) | instskip(SKIP_1) | instid1(VALU_DEP_2)
	v_subrev_nc_u32_e32 v10, 29, v9
	v_sub_nc_u32_e32 v9, 30, v9
	v_lshlrev_b32_e32 v10, v10, v7
	v_bfe_u32 v7, v7, 2, 5
	s_delay_alu instid0(VALU_DEP_2) | instskip(NEXT) | instid1(VALU_DEP_2)
	v_and_b32_e32 v10, 3, v10
	v_cmp_eq_u32_e32 vcc_lo, 0, v7
	s_delay_alu instid0(VALU_DEP_2) | instskip(NEXT) | instid1(VALU_DEP_1)
	v_dual_cndmask_b32 v7, v7, v9 :: v_dual_cndmask_b32 v8, v8, v10
	v_lshl_add_u32 v7, v7, 23, 0x37800000
	s_delay_alu instid0(VALU_DEP_2) | instskip(NEXT) | instid1(VALU_DEP_1)
	v_lshlrev_b32_e32 v8, 21, v8
	v_or3_b32 v3, v3, v7, v8
	s_delay_alu instid0(VALU_DEP_1)
	v_cvt_f16_f32_e32 v7, v3
.LBB480_1486:
	s_or_b32 exec_lo, exec_lo, s6
	s_mov_b32 s3, 0
	s_branch .LBB480_1492
.LBB480_1487:
	s_mov_b32 s3, -1
                                        ; implicit-def: $vgpr7
	s_branch .LBB480_1498
.LBB480_1488:
	s_or_saveexec_b32 s13, s13
	v_mov_b32_e32 v7, s7
	s_xor_b32 exec_lo, exec_lo, s13
	s_cbranch_execz .LBB480_1471
.LBB480_1489:
	v_cmp_ne_u16_e32 vcc_lo, 0, v3
	v_mov_b32_e32 v7, v3
	s_and_not1_b32 s6, s6, exec_lo
	s_and_b32 s7, vcc_lo, exec_lo
	s_delay_alu instid0(SALU_CYCLE_1)
	s_or_b32 s6, s6, s7
	s_or_b32 exec_lo, exec_lo, s13
	s_and_saveexec_b32 s7, s6
	s_cbranch_execnz .LBB480_1472
	s_branch .LBB480_1473
.LBB480_1490:
	s_mov_b32 s3, -1
                                        ; implicit-def: $vgpr7
	s_branch .LBB480_1495
.LBB480_1491:
	s_mov_b32 s3, -1
                                        ; implicit-def: $vgpr7
.LBB480_1492:
	s_delay_alu instid0(SALU_CYCLE_1)
	s_and_b32 vcc_lo, exec_lo, s3
	s_cbranch_vccz .LBB480_1494
; %bb.1493:
	global_load_u8 v3, v[0:1], off
	s_waitcnt vmcnt(0)
	v_lshlrev_b32_e32 v3, 24, v3
	s_delay_alu instid0(VALU_DEP_1) | instskip(NEXT) | instid1(VALU_DEP_1)
	v_and_b32_e32 v7, 0x7f000000, v3
	v_clz_i32_u32_e32 v8, v7
	v_cmp_ne_u32_e32 vcc_lo, 0, v7
	v_add_nc_u32_e32 v10, 0x1000000, v7
	s_delay_alu instid0(VALU_DEP_3) | instskip(NEXT) | instid1(VALU_DEP_1)
	v_min_u32_e32 v8, 32, v8
	v_sub_nc_u32_e64 v8, v8, 4 clamp
	s_delay_alu instid0(VALU_DEP_1) | instskip(SKIP_1) | instid1(VALU_DEP_2)
	v_lshlrev_b32_e32 v9, v8, v7
	v_lshlrev_b32_e32 v8, 23, v8
	v_lshrrev_b32_e32 v9, 4, v9
	s_delay_alu instid0(VALU_DEP_1) | instskip(SKIP_1) | instid1(VALU_DEP_2)
	v_sub_nc_u32_e32 v8, v9, v8
	v_ashrrev_i32_e32 v9, 8, v10
	v_add_nc_u32_e32 v8, 0x3c000000, v8
	s_delay_alu instid0(VALU_DEP_1) | instskip(NEXT) | instid1(VALU_DEP_1)
	v_and_or_b32 v8, 0x7f800000, v9, v8
	v_cndmask_b32_e32 v7, 0, v8, vcc_lo
	s_delay_alu instid0(VALU_DEP_1) | instskip(NEXT) | instid1(VALU_DEP_1)
	v_and_or_b32 v3, 0x80000000, v3, v7
	v_cvt_f16_f32_e32 v7, v3
.LBB480_1494:
	s_mov_b32 s3, 0
.LBB480_1495:
	s_delay_alu instid0(SALU_CYCLE_1)
	s_and_not1_b32 vcc_lo, exec_lo, s3
	s_cbranch_vccnz .LBB480_1497
; %bb.1496:
	global_load_u8 v3, v[0:1], off
	s_waitcnt vmcnt(0)
	v_lshlrev_b32_e32 v7, 25, v3
	v_lshlrev_b16 v3, 8, v3
	s_delay_alu instid0(VALU_DEP_2) | instskip(NEXT) | instid1(VALU_DEP_2)
	v_lshrrev_b32_e32 v8, 4, v7
	v_and_or_b32 v9, 0x7f00, v3, 0.5
	v_bfe_i32 v3, v3, 0, 16
	s_delay_alu instid0(VALU_DEP_3) | instskip(NEXT) | instid1(VALU_DEP_1)
	v_or_b32_e32 v8, 0x70000000, v8
	v_dual_add_f32 v9, -0.5, v9 :: v_dual_mul_f32 v8, 0x7800000, v8
	v_cmp_gt_u32_e32 vcc_lo, 0x8000000, v7
	s_delay_alu instid0(VALU_DEP_2) | instskip(NEXT) | instid1(VALU_DEP_1)
	v_cndmask_b32_e32 v7, v8, v9, vcc_lo
	v_and_or_b32 v3, 0x80000000, v3, v7
	s_delay_alu instid0(VALU_DEP_1)
	v_cvt_f16_f32_e32 v7, v3
.LBB480_1497:
	s_mov_b32 s3, 0
	s_mov_b32 s6, -1
.LBB480_1498:
	s_and_not1_b32 vcc_lo, exec_lo, s3
	s_mov_b32 s3, 0
	s_cbranch_vccnz .LBB480_1509
; %bb.1499:
	v_cmp_gt_i16_e64 s3, s9, 14
	s_delay_alu instid0(VALU_DEP_1)
	s_and_b32 vcc_lo, exec_lo, s3
	s_cbranch_vccz .LBB480_1502
; %bb.1500:
	v_cmp_eq_u16_e64 s0, s9, 15
	s_delay_alu instid0(VALU_DEP_1)
	s_and_b32 vcc_lo, exec_lo, s0
	s_cbranch_vccz .LBB480_1505
; %bb.1501:
	global_load_u16 v3, v[0:1], off
	s_mov_b32 s0, 0
	s_mov_b32 s6, -1
	s_waitcnt vmcnt(0)
	v_lshlrev_b32_e32 v3, 16, v3
	s_delay_alu instid0(VALU_DEP_1)
	v_cvt_f16_f32_e32 v7, v3
	s_branch .LBB480_1506
.LBB480_1502:
	s_mov_b32 s3, -1
                                        ; implicit-def: $vgpr7
	s_branch .LBB480_1507
.LBB480_1503:
	s_or_saveexec_b32 s7, s7
	v_mov_b32_e32 v7, s6
	s_xor_b32 exec_lo, exec_lo, s7
	s_cbranch_execz .LBB480_1484
.LBB480_1504:
	v_cmp_ne_u16_e32 vcc_lo, 0, v3
	v_mov_b32_e32 v7, v3
	s_and_not1_b32 s3, s3, exec_lo
	s_and_b32 s6, vcc_lo, exec_lo
	s_delay_alu instid0(SALU_CYCLE_1)
	s_or_b32 s3, s3, s6
	s_or_b32 exec_lo, exec_lo, s7
	s_and_saveexec_b32 s6, s3
	s_cbranch_execnz .LBB480_1485
	s_branch .LBB480_1486
.LBB480_1505:
	s_mov_b32 s0, -1
                                        ; implicit-def: $vgpr7
.LBB480_1506:
	s_mov_b32 s3, 0
.LBB480_1507:
	s_delay_alu instid0(SALU_CYCLE_1)
	s_and_b32 vcc_lo, exec_lo, s3
	s_mov_b32 s3, 0
	s_cbranch_vccz .LBB480_1509
; %bb.1508:
	v_cmp_ne_u16_e64 s0, s9, 11
	s_mov_b32 s3, -1
                                        ; implicit-def: $vgpr7
.LBB480_1509:
	s_delay_alu instid0(VALU_DEP_1)
	s_and_b32 vcc_lo, exec_lo, s0
	s_cbranch_vccnz .LBB480_2042
; %bb.1510:
	s_and_not1_b32 vcc_lo, exec_lo, s3
	s_cbranch_vccnz .LBB480_1512
.LBB480_1511:
	global_load_u8 v3, v[0:1], off
	s_mov_b32 s6, -1
	s_waitcnt vmcnt(0)
	v_cmp_ne_u16_e32 vcc_lo, 0, v3
	v_cndmask_b32_e64 v7, 0, 0x3c00, vcc_lo
.LBB480_1512:
	s_mov_b32 s0, 0
.LBB480_1513:
	s_delay_alu instid0(SALU_CYCLE_1)
	s_and_b32 vcc_lo, exec_lo, s0
	s_cbranch_vccz .LBB480_1562
; %bb.1514:
	v_cmp_lt_i16_e64 s0, s9, 5
	s_delay_alu instid0(VALU_DEP_1)
	s_and_b32 vcc_lo, exec_lo, s0
	s_cbranch_vccnz .LBB480_1519
; %bb.1515:
	v_cmp_lt_i16_e64 s0, s9, 8
	s_delay_alu instid0(VALU_DEP_1)
	s_and_b32 vcc_lo, exec_lo, s0
	s_cbranch_vccnz .LBB480_1520
	;; [unrolled: 5-line block ×3, first 2 shown]
; %bb.1517:
	v_cmp_gt_i16_e64 s0, s9, 9
	s_delay_alu instid0(VALU_DEP_1)
	s_and_b32 vcc_lo, exec_lo, s0
	s_cbranch_vccz .LBB480_1522
; %bb.1518:
	global_load_b64 v[7:8], v[0:1], off
	s_mov_b32 s0, 0
	s_waitcnt vmcnt(0)
	v_cvt_f32_f64_e32 v3, v[7:8]
	s_delay_alu instid0(VALU_DEP_1)
	v_cvt_f16_f32_e32 v7, v3
	s_branch .LBB480_1523
.LBB480_1519:
	s_mov_b32 s0, -1
                                        ; implicit-def: $vgpr7
	s_branch .LBB480_1541
.LBB480_1520:
	s_mov_b32 s0, -1
                                        ; implicit-def: $vgpr7
	s_branch .LBB480_1529
.LBB480_1521:
	s_mov_b32 s0, -1
                                        ; implicit-def: $vgpr7
	s_branch .LBB480_1526
.LBB480_1522:
	s_mov_b32 s0, -1
                                        ; implicit-def: $vgpr7
.LBB480_1523:
	s_delay_alu instid0(SALU_CYCLE_1)
	s_and_not1_b32 vcc_lo, exec_lo, s0
	s_cbranch_vccnz .LBB480_1525
; %bb.1524:
	global_load_b32 v3, v[0:1], off
	s_waitcnt vmcnt(0)
	v_cvt_f16_f32_e32 v7, v3
.LBB480_1525:
	s_mov_b32 s0, 0
.LBB480_1526:
	s_delay_alu instid0(SALU_CYCLE_1)
	s_and_not1_b32 vcc_lo, exec_lo, s0
	s_cbranch_vccnz .LBB480_1528
; %bb.1527:
	global_load_b32 v7, v[0:1], off
.LBB480_1528:
	s_mov_b32 s0, 0
.LBB480_1529:
	s_delay_alu instid0(SALU_CYCLE_1)
	s_and_not1_b32 vcc_lo, exec_lo, s0
	s_cbranch_vccnz .LBB480_1540
; %bb.1530:
	v_cmp_lt_i16_e64 s0, s9, 6
	s_delay_alu instid0(VALU_DEP_1)
	s_and_b32 vcc_lo, exec_lo, s0
	s_cbranch_vccnz .LBB480_1533
; %bb.1531:
	v_cmp_gt_i16_e64 s0, s9, 6
	s_delay_alu instid0(VALU_DEP_1)
	s_and_b32 vcc_lo, exec_lo, s0
	s_cbranch_vccz .LBB480_1534
; %bb.1532:
	global_load_b64 v[7:8], v[0:1], off
	s_mov_b32 s0, 0
	s_waitcnt vmcnt(0)
	v_cvt_f32_f64_e32 v3, v[7:8]
	s_delay_alu instid0(VALU_DEP_1)
	v_cvt_f16_f32_e32 v7, v3
	s_branch .LBB480_1535
.LBB480_1533:
	s_mov_b32 s0, -1
                                        ; implicit-def: $vgpr7
	s_branch .LBB480_1538
.LBB480_1534:
	s_mov_b32 s0, -1
                                        ; implicit-def: $vgpr7
.LBB480_1535:
	s_delay_alu instid0(SALU_CYCLE_1)
	s_and_not1_b32 vcc_lo, exec_lo, s0
	s_cbranch_vccnz .LBB480_1537
; %bb.1536:
	global_load_b32 v3, v[0:1], off
	s_waitcnt vmcnt(0)
	v_cvt_f16_f32_e32 v7, v3
.LBB480_1537:
	s_mov_b32 s0, 0
.LBB480_1538:
	s_delay_alu instid0(SALU_CYCLE_1)
	s_and_not1_b32 vcc_lo, exec_lo, s0
	s_cbranch_vccnz .LBB480_1540
; %bb.1539:
	global_load_u16 v7, v[0:1], off
.LBB480_1540:
	s_mov_b32 s0, 0
.LBB480_1541:
	s_delay_alu instid0(SALU_CYCLE_1)
	s_and_not1_b32 vcc_lo, exec_lo, s0
	s_cbranch_vccnz .LBB480_1561
; %bb.1542:
	v_cmp_lt_i16_e64 s0, s9, 2
	s_delay_alu instid0(VALU_DEP_1)
	s_and_b32 vcc_lo, exec_lo, s0
	s_cbranch_vccnz .LBB480_1546
; %bb.1543:
	v_cmp_lt_i16_e64 s0, s9, 3
	s_delay_alu instid0(VALU_DEP_1)
	s_and_b32 vcc_lo, exec_lo, s0
	s_cbranch_vccnz .LBB480_1547
; %bb.1544:
	v_cmp_gt_i16_e64 s0, s9, 3
	s_delay_alu instid0(VALU_DEP_1)
	s_and_b32 vcc_lo, exec_lo, s0
	s_cbranch_vccz .LBB480_1548
; %bb.1545:
	global_load_b64 v[7:8], v[0:1], off
	s_mov_b32 s0, 0
	s_waitcnt vmcnt(0)
	v_xor_b32_e32 v3, v7, v8
	v_cls_i32_e32 v9, v8
	s_delay_alu instid0(VALU_DEP_2) | instskip(NEXT) | instid1(VALU_DEP_2)
	v_ashrrev_i32_e32 v3, 31, v3
	v_add_nc_u32_e32 v9, -1, v9
	s_delay_alu instid0(VALU_DEP_2) | instskip(NEXT) | instid1(VALU_DEP_1)
	v_add_nc_u32_e32 v3, 32, v3
	v_min_u32_e32 v3, v9, v3
	s_delay_alu instid0(VALU_DEP_1) | instskip(SKIP_1) | instid1(VALU_DEP_2)
	v_lshlrev_b64 v[7:8], v3, v[7:8]
	v_sub_nc_u32_e32 v3, 32, v3
	v_min_u32_e32 v7, 1, v7
	s_delay_alu instid0(VALU_DEP_1) | instskip(NEXT) | instid1(VALU_DEP_1)
	v_or_b32_e32 v7, v8, v7
	v_cvt_f32_i32_e32 v7, v7
	s_delay_alu instid0(VALU_DEP_1) | instskip(NEXT) | instid1(VALU_DEP_1)
	v_ldexp_f32 v3, v7, v3
	v_cvt_f16_f32_e32 v7, v3
	s_branch .LBB480_1549
.LBB480_1546:
	s_mov_b32 s0, -1
                                        ; implicit-def: $vgpr7
	s_branch .LBB480_1555
.LBB480_1547:
	s_mov_b32 s0, -1
                                        ; implicit-def: $vgpr7
	s_branch .LBB480_1552
.LBB480_1548:
	s_mov_b32 s0, -1
                                        ; implicit-def: $vgpr7
.LBB480_1549:
	s_delay_alu instid0(SALU_CYCLE_1)
	s_and_not1_b32 vcc_lo, exec_lo, s0
	s_cbranch_vccnz .LBB480_1551
; %bb.1550:
	global_load_b32 v3, v[0:1], off
	s_waitcnt vmcnt(0)
	v_cvt_f32_i32_e32 v3, v3
	s_delay_alu instid0(VALU_DEP_1)
	v_cvt_f16_f32_e32 v7, v3
.LBB480_1551:
	s_mov_b32 s0, 0
.LBB480_1552:
	s_delay_alu instid0(SALU_CYCLE_1)
	s_and_not1_b32 vcc_lo, exec_lo, s0
	s_cbranch_vccnz .LBB480_1554
; %bb.1553:
	global_load_u16 v3, v[0:1], off
	s_waitcnt vmcnt(0)
	v_cvt_f16_i16_e32 v7, v3
.LBB480_1554:
	s_mov_b32 s0, 0
.LBB480_1555:
	s_delay_alu instid0(SALU_CYCLE_1)
	s_and_not1_b32 vcc_lo, exec_lo, s0
	s_cbranch_vccnz .LBB480_1561
; %bb.1556:
	v_cmp_gt_i16_e64 s0, s9, 0
	s_delay_alu instid0(VALU_DEP_1)
	s_and_b32 vcc_lo, exec_lo, s0
	s_mov_b32 s0, 0
	s_cbranch_vccz .LBB480_1558
; %bb.1557:
	global_load_i8 v3, v[0:1], off
	s_waitcnt vmcnt(0)
	v_cvt_f16_i16_e32 v7, v3
	s_branch .LBB480_1559
.LBB480_1558:
	s_mov_b32 s0, -1
                                        ; implicit-def: $vgpr7
.LBB480_1559:
	s_delay_alu instid0(SALU_CYCLE_1)
	s_and_not1_b32 vcc_lo, exec_lo, s0
	s_cbranch_vccnz .LBB480_1561
; %bb.1560:
	global_load_u8 v0, v[0:1], off
	s_waitcnt vmcnt(0)
	v_cvt_f16_u16_e32 v7, v0
.LBB480_1561:
	s_mov_b32 s6, -1
.LBB480_1562:
	s_delay_alu instid0(SALU_CYCLE_1)
	s_and_not1_b32 vcc_lo, exec_lo, s6
	s_cbranch_vccnz .LBB480_1996
; %bb.1563:
	v_mul_lo_u32 v2, s2, v2
	s_waitcnt vmcnt(0)
	v_cmp_u_f16_e32 vcc_lo, v4, v4
	v_cmp_gt_f16_e64 s0, s8, v4
	v_and_b32_e64 v3, 0xff, s1
	s_delay_alu instid0(VALU_DEP_2) | instskip(NEXT) | instid1(VALU_DEP_4)
	s_or_b32 vcc_lo, vcc_lo, s0
	v_ashrrev_i32_e32 v1, 31, v2
	v_cndmask_b32_e32 v4, s8, v4, vcc_lo
	s_delay_alu instid0(VALU_DEP_3) | instskip(SKIP_1) | instid1(VALU_DEP_1)
	v_cmp_gt_i16_e32 vcc_lo, 11, v3
	v_add_co_u32 v0, s0, s4, v2
	v_add_co_ci_u32_e64 v1, s0, s5, v1, s0
	s_cbranch_vccnz .LBB480_1641
; %bb.1564:
	v_cmp_lt_i16_e32 vcc_lo, 25, v3
	s_mov_b32 s6, -1
	s_mov_b32 s1, 0
	s_mov_b32 s3, 0
	;; [unrolled: 1-line block ×3, first 2 shown]
	s_cbranch_vccz .LBB480_1597
; %bb.1565:
	v_cmp_lt_i16_e32 vcc_lo, 28, v3
	s_cbranch_vccz .LBB480_1580
; %bb.1566:
	v_cmp_lt_i16_e32 vcc_lo, 43, v3
	;; [unrolled: 3-line block ×3, first 2 shown]
	s_cbranch_vccz .LBB480_1570
; %bb.1568:
	v_cmp_eq_u16_e32 vcc_lo, 46, v3
	s_mov_b32 s0, -1
	s_mov_b32 s6, 0
	s_cbranch_vccz .LBB480_1570
; %bb.1569:
	v_cvt_f32_f16_e32 v8, v4
	v_cmp_o_f16_e32 vcc_lo, v4, v4
	s_mov_b32 s0, 0
	s_mov_b32 s3, -1
	s_delay_alu instid0(VALU_DEP_2) | instskip(NEXT) | instid1(VALU_DEP_1)
	v_bfe_u32 v9, v8, 16, 1
	v_add3_u32 v8, v8, v9, 0x7fff
	s_delay_alu instid0(VALU_DEP_1) | instskip(NEXT) | instid1(VALU_DEP_1)
	v_lshrrev_b32_e32 v8, 16, v8
	v_cndmask_b32_e32 v8, 0x7fc0, v8, vcc_lo
	global_store_b32 v[0:1], v8, off
.LBB480_1570:
	s_and_b32 vcc_lo, exec_lo, s6
	s_cbranch_vccz .LBB480_1575
; %bb.1571:
	v_cmp_eq_u16_e32 vcc_lo, 44, v3
	s_mov_b32 s0, -1
	s_cbranch_vccz .LBB480_1575
; %bb.1572:
	v_cvt_f32_f16_e32 v8, v4
	v_mov_b32_e32 v9, 0xff
	s_mov_b32 s3, exec_lo
	s_delay_alu instid0(VALU_DEP_2) | instskip(NEXT) | instid1(VALU_DEP_1)
	v_bfe_u32 v10, v8, 23, 8
	v_cmpx_ne_u32_e32 0xff, v10
; %bb.1573:
	v_and_b32_e32 v9, 0x400000, v8
	v_and_or_b32 v10, 0x3fffff, v8, v10
	v_lshrrev_b32_e32 v8, 23, v8
	s_delay_alu instid0(VALU_DEP_3) | instskip(NEXT) | instid1(VALU_DEP_3)
	v_cmp_ne_u32_e32 vcc_lo, 0, v9
	v_cmp_ne_u32_e64 s0, 0, v10
	s_delay_alu instid0(VALU_DEP_1) | instskip(NEXT) | instid1(SALU_CYCLE_1)
	s_and_b32 s0, vcc_lo, s0
	v_cndmask_b32_e64 v9, 0, 1, s0
	s_delay_alu instid0(VALU_DEP_1)
	v_add_nc_u32_e32 v9, v8, v9
; %bb.1574:
	s_or_b32 exec_lo, exec_lo, s3
	s_mov_b32 s0, 0
	s_mov_b32 s3, -1
	global_store_b8 v[0:1], v9, off
.LBB480_1575:
	s_mov_b32 s6, 0
.LBB480_1576:
	s_delay_alu instid0(SALU_CYCLE_1)
	s_and_b32 vcc_lo, exec_lo, s6
	s_cbranch_vccz .LBB480_1579
; %bb.1577:
	v_cmp_eq_u16_e32 vcc_lo, 29, v3
	s_mov_b32 s0, -1
	s_cbranch_vccz .LBB480_1579
; %bb.1578:
	v_cvt_f32_f16_e32 v8, v4
	v_mov_b32_e32 v9, 0
	s_mov_b32 s0, 0
	s_mov_b32 s3, -1
	s_delay_alu instid0(VALU_DEP_2)
	v_cvt_u32_f32_e32 v8, v8
	global_store_b64 v[0:1], v[8:9], off
.LBB480_1579:
	s_mov_b32 s6, 0
.LBB480_1580:
	s_delay_alu instid0(SALU_CYCLE_1)
	s_and_b32 vcc_lo, exec_lo, s6
	s_cbranch_vccz .LBB480_1596
; %bb.1581:
	v_cmp_gt_i16_e32 vcc_lo, 27, v3
	s_mov_b32 s3, -1
	s_cbranch_vccnz .LBB480_1587
; %bb.1582:
	v_cmp_lt_i16_e32 vcc_lo, 27, v3
	s_cbranch_vccz .LBB480_1584
; %bb.1583:
	v_cvt_f32_f16_e32 v8, v4
	s_mov_b32 s3, 0
	s_delay_alu instid0(VALU_DEP_1)
	v_cvt_u32_f32_e32 v8, v8
	global_store_b32 v[0:1], v8, off
.LBB480_1584:
	s_and_not1_b32 vcc_lo, exec_lo, s3
	s_cbranch_vccnz .LBB480_1586
; %bb.1585:
	v_cvt_u16_f16_e32 v8, v4
	global_store_b16 v[0:1], v8, off
.LBB480_1586:
	s_mov_b32 s3, 0
.LBB480_1587:
	s_delay_alu instid0(SALU_CYCLE_1)
	s_and_not1_b32 vcc_lo, exec_lo, s3
	s_cbranch_vccnz .LBB480_1595
; %bb.1588:
	v_cvt_f32_f16_e32 v8, v4
	v_mov_b32_e32 v10, 0x80
	s_mov_b32 s3, exec_lo
	s_delay_alu instid0(VALU_DEP_2) | instskip(NEXT) | instid1(VALU_DEP_1)
	v_and_b32_e32 v9, 0x7fffffff, v8
	v_cmpx_gt_u32_e32 0x43800000, v9
	s_cbranch_execz .LBB480_1594
; %bb.1589:
	v_cmp_lt_u32_e32 vcc_lo, 0x3bffffff, v9
	s_mov_b32 s6, 0
                                        ; implicit-def: $vgpr9
	s_and_saveexec_b32 s7, vcc_lo
	s_delay_alu instid0(SALU_CYCLE_1)
	s_xor_b32 s7, exec_lo, s7
	s_cbranch_execz .LBB480_2044
; %bb.1590:
	v_bfe_u32 v9, v8, 20, 1
	s_mov_b32 s6, exec_lo
	s_delay_alu instid0(VALU_DEP_1) | instskip(NEXT) | instid1(VALU_DEP_1)
	v_add3_u32 v9, v8, v9, 0x487ffff
	v_lshrrev_b32_e32 v9, 20, v9
	s_or_saveexec_b32 s7, s7
                                        ; implicit-def: $sgpr9
	s_delay_alu instid0(SALU_CYCLE_1)
	s_xor_b32 exec_lo, exec_lo, s7
	s_cbranch_execnz .LBB480_2045
.LBB480_1591:
	s_or_b32 exec_lo, exec_lo, s7
	v_mov_b32_e32 v10, s9
	s_and_saveexec_b32 s7, s6
.LBB480_1592:
	v_lshrrev_b32_e32 v8, 24, v8
	s_delay_alu instid0(VALU_DEP_1)
	v_and_or_b32 v10, 0x80, v8, v9
.LBB480_1593:
	s_or_b32 exec_lo, exec_lo, s7
.LBB480_1594:
	s_delay_alu instid0(SALU_CYCLE_1)
	s_or_b32 exec_lo, exec_lo, s3
	global_store_b8 v[0:1], v10, off
.LBB480_1595:
	s_mov_b32 s3, -1
.LBB480_1596:
	s_mov_b32 s6, 0
.LBB480_1597:
	s_delay_alu instid0(SALU_CYCLE_1)
	s_and_b32 vcc_lo, exec_lo, s6
	s_cbranch_vccz .LBB480_1637
; %bb.1598:
	v_cmp_lt_i16_e32 vcc_lo, 22, v3
	s_mov_b32 s1, -1
	s_cbranch_vccz .LBB480_1630
; %bb.1599:
	v_cmp_gt_i16_e32 vcc_lo, 24, v3
	s_cbranch_vccnz .LBB480_1619
; %bb.1600:
	v_cmp_lt_i16_e32 vcc_lo, 24, v3
	s_cbranch_vccz .LBB480_1608
; %bb.1601:
	v_cvt_f32_f16_e32 v8, v4
	v_mov_b32_e32 v10, 0x80
	s_mov_b32 s1, exec_lo
	s_delay_alu instid0(VALU_DEP_2) | instskip(NEXT) | instid1(VALU_DEP_1)
	v_and_b32_e32 v9, 0x7fffffff, v8
	v_cmpx_gt_u32_e32 0x47800000, v9
	s_cbranch_execz .LBB480_1607
; %bb.1602:
	v_cmp_lt_u32_e32 vcc_lo, 0x37ffffff, v9
	s_mov_b32 s3, 0
                                        ; implicit-def: $vgpr9
	s_and_saveexec_b32 s6, vcc_lo
	s_delay_alu instid0(SALU_CYCLE_1)
	s_xor_b32 s6, exec_lo, s6
	s_cbranch_execz .LBB480_2050
; %bb.1603:
	v_bfe_u32 v9, v8, 21, 1
	s_mov_b32 s3, exec_lo
	s_delay_alu instid0(VALU_DEP_1) | instskip(NEXT) | instid1(VALU_DEP_1)
	v_add3_u32 v9, v8, v9, 0x88fffff
	v_lshrrev_b32_e32 v9, 21, v9
	s_or_saveexec_b32 s6, s6
                                        ; implicit-def: $sgpr7
	s_delay_alu instid0(SALU_CYCLE_1)
	s_xor_b32 exec_lo, exec_lo, s6
	s_cbranch_execnz .LBB480_2051
.LBB480_1604:
	s_or_b32 exec_lo, exec_lo, s6
	v_mov_b32_e32 v10, s7
	s_and_saveexec_b32 s6, s3
.LBB480_1605:
	v_lshrrev_b32_e32 v8, 24, v8
	s_delay_alu instid0(VALU_DEP_1)
	v_and_or_b32 v10, 0x80, v8, v9
.LBB480_1606:
	s_or_b32 exec_lo, exec_lo, s6
.LBB480_1607:
	s_delay_alu instid0(SALU_CYCLE_1)
	s_or_b32 exec_lo, exec_lo, s1
	s_mov_b32 s1, 0
	global_store_b8 v[0:1], v10, off
.LBB480_1608:
	s_and_b32 vcc_lo, exec_lo, s1
	s_cbranch_vccz .LBB480_1618
; %bb.1609:
	v_cvt_f32_f16_e32 v8, v4
	s_mov_b32 s1, exec_lo
                                        ; implicit-def: $vgpr9
	s_delay_alu instid0(VALU_DEP_1) | instskip(NEXT) | instid1(VALU_DEP_1)
	v_and_b32_e32 v10, 0x7fffffff, v8
	v_cmpx_gt_u32_e32 0x43f00000, v10
	s_xor_b32 s1, exec_lo, s1
	s_cbranch_execz .LBB480_1615
; %bb.1610:
	s_mov_b32 s3, exec_lo
                                        ; implicit-def: $vgpr9
	v_cmpx_lt_u32_e32 0x3c7fffff, v10
	s_xor_b32 s3, exec_lo, s3
; %bb.1611:
	v_bfe_u32 v9, v8, 20, 1
	s_delay_alu instid0(VALU_DEP_1) | instskip(NEXT) | instid1(VALU_DEP_1)
	v_add3_u32 v9, v8, v9, 0x407ffff
	v_and_b32_e32 v10, 0xff00000, v9
	v_lshrrev_b32_e32 v9, 20, v9
	s_delay_alu instid0(VALU_DEP_2) | instskip(NEXT) | instid1(VALU_DEP_2)
	v_cmp_ne_u32_e32 vcc_lo, 0x7f00000, v10
	v_cndmask_b32_e32 v9, 0x7e, v9, vcc_lo
; %bb.1612:
	s_and_not1_saveexec_b32 s3, s3
; %bb.1613:
	v_add_f32_e64 v9, 0x46800000, |v8|
; %bb.1614:
	s_or_b32 exec_lo, exec_lo, s3
                                        ; implicit-def: $vgpr10
.LBB480_1615:
	s_and_not1_saveexec_b32 s1, s1
; %bb.1616:
	v_mov_b32_e32 v9, 0x7f
	v_cmp_lt_u32_e32 vcc_lo, 0x7f800000, v10
	s_delay_alu instid0(VALU_DEP_2)
	v_cndmask_b32_e32 v9, 0x7e, v9, vcc_lo
; %bb.1617:
	s_or_b32 exec_lo, exec_lo, s1
	v_lshrrev_b32_e32 v8, 24, v8
	s_delay_alu instid0(VALU_DEP_1)
	v_and_or_b32 v8, 0x80, v8, v9
	global_store_b8 v[0:1], v8, off
.LBB480_1618:
	s_mov_b32 s1, 0
.LBB480_1619:
	s_delay_alu instid0(SALU_CYCLE_1)
	s_and_not1_b32 vcc_lo, exec_lo, s1
	s_cbranch_vccnz .LBB480_1629
; %bb.1620:
	v_cvt_f32_f16_e32 v8, v4
	s_mov_b32 s1, exec_lo
                                        ; implicit-def: $vgpr9
	s_delay_alu instid0(VALU_DEP_1) | instskip(NEXT) | instid1(VALU_DEP_1)
	v_and_b32_e32 v10, 0x7fffffff, v8
	v_cmpx_gt_u32_e32 0x47800000, v10
	s_xor_b32 s1, exec_lo, s1
	s_cbranch_execz .LBB480_1626
; %bb.1621:
	s_mov_b32 s3, exec_lo
                                        ; implicit-def: $vgpr9
	v_cmpx_lt_u32_e32 0x387fffff, v10
	s_xor_b32 s3, exec_lo, s3
; %bb.1622:
	v_bfe_u32 v9, v8, 21, 1
	s_delay_alu instid0(VALU_DEP_1) | instskip(NEXT) | instid1(VALU_DEP_1)
	v_add3_u32 v9, v8, v9, 0x80fffff
	v_lshrrev_b32_e32 v9, 21, v9
; %bb.1623:
	s_and_not1_saveexec_b32 s3, s3
; %bb.1624:
	v_add_f32_e64 v9, 0x43000000, |v8|
; %bb.1625:
	s_or_b32 exec_lo, exec_lo, s3
                                        ; implicit-def: $vgpr10
.LBB480_1626:
	s_and_not1_saveexec_b32 s1, s1
; %bb.1627:
	v_mov_b32_e32 v9, 0x7f
	v_cmp_lt_u32_e32 vcc_lo, 0x7f800000, v10
	s_delay_alu instid0(VALU_DEP_2)
	v_cndmask_b32_e32 v9, 0x7c, v9, vcc_lo
; %bb.1628:
	s_or_b32 exec_lo, exec_lo, s1
	v_lshrrev_b32_e32 v8, 24, v8
	s_delay_alu instid0(VALU_DEP_1)
	v_and_or_b32 v8, 0x80, v8, v9
	global_store_b8 v[0:1], v8, off
.LBB480_1629:
	s_mov_b32 s1, 0
	s_mov_b32 s3, -1
.LBB480_1630:
	s_and_not1_b32 vcc_lo, exec_lo, s1
	s_mov_b32 s1, 0
	s_cbranch_vccnz .LBB480_1637
; %bb.1631:
	v_cmp_lt_i16_e32 vcc_lo, 14, v3
	s_mov_b32 s1, -1
	s_cbranch_vccz .LBB480_1635
; %bb.1632:
	v_cmp_eq_u16_e32 vcc_lo, 15, v3
	s_mov_b32 s0, -1
	s_cbranch_vccz .LBB480_1634
; %bb.1633:
	v_cvt_f32_f16_e32 v8, v4
	v_cmp_o_f16_e32 vcc_lo, v4, v4
	s_mov_b32 s0, 0
	s_mov_b32 s3, -1
	s_delay_alu instid0(VALU_DEP_2) | instskip(NEXT) | instid1(VALU_DEP_1)
	v_bfe_u32 v9, v8, 16, 1
	v_add3_u32 v8, v8, v9, 0x7fff
	s_delay_alu instid0(VALU_DEP_1) | instskip(NEXT) | instid1(VALU_DEP_1)
	v_lshrrev_b32_e32 v8, 16, v8
	v_cndmask_b32_e32 v8, 0x7fc0, v8, vcc_lo
	global_store_b16 v[0:1], v8, off
.LBB480_1634:
	s_mov_b32 s1, 0
.LBB480_1635:
	s_delay_alu instid0(SALU_CYCLE_1)
	s_and_b32 vcc_lo, exec_lo, s1
	s_mov_b32 s1, 0
	s_cbranch_vccz .LBB480_1637
; %bb.1636:
	v_cmp_ne_u16_e64 s0, 11, v3
	s_mov_b32 s1, -1
.LBB480_1637:
	s_delay_alu instid0(VALU_DEP_1)
	s_and_b32 vcc_lo, exec_lo, s0
	s_cbranch_vccnz .LBB480_2048
; %bb.1638:
	s_and_not1_b32 vcc_lo, exec_lo, s1
	s_cbranch_vccnz .LBB480_1640
.LBB480_1639:
	v_and_b32_e32 v8, 0x7fff, v4
	s_mov_b32 s3, -1
	s_delay_alu instid0(VALU_DEP_1)
	v_cmp_ne_u16_e32 vcc_lo, 0, v8
	v_cndmask_b32_e64 v8, 0, 1, vcc_lo
	global_store_b8 v[0:1], v8, off
.LBB480_1640:
	s_mov_b32 s0, 0
	s_branch .LBB480_1642
.LBB480_1641:
	s_mov_b32 s0, -1
	s_mov_b32 s3, 0
.LBB480_1642:
	s_and_b32 vcc_lo, exec_lo, s0
	s_cbranch_vccz .LBB480_1681
; %bb.1643:
	v_cmp_gt_i16_e32 vcc_lo, 5, v3
	s_mov_b32 s0, -1
	s_cbranch_vccnz .LBB480_1664
; %bb.1644:
	v_cmp_gt_i16_e32 vcc_lo, 8, v3
	s_cbranch_vccnz .LBB480_1654
; %bb.1645:
	v_cmp_gt_i16_e32 vcc_lo, 9, v3
	s_cbranch_vccnz .LBB480_1651
; %bb.1646:
	v_cmp_lt_i16_e32 vcc_lo, 9, v3
	s_cbranch_vccz .LBB480_1648
; %bb.1647:
	v_cvt_f32_f16_e32 v8, v4
	v_mov_b32_e32 v10, 0
	s_mov_b32 s0, 0
	s_delay_alu instid0(VALU_DEP_2) | instskip(NEXT) | instid1(VALU_DEP_2)
	v_cvt_f64_f32_e32 v[8:9], v8
	v_mov_b32_e32 v11, v10
	global_store_b128 v[0:1], v[8:11], off
.LBB480_1648:
	s_and_not1_b32 vcc_lo, exec_lo, s0
	s_cbranch_vccnz .LBB480_1650
; %bb.1649:
	v_cvt_f32_f16_e32 v8, v4
	v_mov_b32_e32 v9, 0
	global_store_b64 v[0:1], v[8:9], off
.LBB480_1650:
	s_mov_b32 s0, 0
.LBB480_1651:
	s_delay_alu instid0(SALU_CYCLE_1)
	s_and_not1_b32 vcc_lo, exec_lo, s0
	s_cbranch_vccnz .LBB480_1653
; %bb.1652:
	v_and_b32_e32 v8, 0xffff, v4
	global_store_b32 v[0:1], v8, off
.LBB480_1653:
	s_mov_b32 s0, 0
.LBB480_1654:
	s_delay_alu instid0(SALU_CYCLE_1)
	s_and_not1_b32 vcc_lo, exec_lo, s0
	s_cbranch_vccnz .LBB480_1663
; %bb.1655:
	v_cmp_gt_i16_e32 vcc_lo, 6, v3
	s_mov_b32 s0, -1
	s_cbranch_vccnz .LBB480_1661
; %bb.1656:
	v_cmp_lt_i16_e32 vcc_lo, 6, v3
	s_cbranch_vccz .LBB480_1658
; %bb.1657:
	v_cvt_f32_f16_e32 v8, v4
	s_mov_b32 s0, 0
	s_delay_alu instid0(VALU_DEP_1)
	v_cvt_f64_f32_e32 v[8:9], v8
	global_store_b64 v[0:1], v[8:9], off
.LBB480_1658:
	s_and_not1_b32 vcc_lo, exec_lo, s0
	s_cbranch_vccnz .LBB480_1660
; %bb.1659:
	v_cvt_f32_f16_e32 v8, v4
	global_store_b32 v[0:1], v8, off
.LBB480_1660:
	s_mov_b32 s0, 0
.LBB480_1661:
	s_delay_alu instid0(SALU_CYCLE_1)
	s_and_not1_b32 vcc_lo, exec_lo, s0
	s_cbranch_vccnz .LBB480_1663
; %bb.1662:
	global_store_b16 v[0:1], v4, off
.LBB480_1663:
	s_mov_b32 s0, 0
.LBB480_1664:
	s_delay_alu instid0(SALU_CYCLE_1)
	s_and_not1_b32 vcc_lo, exec_lo, s0
	s_cbranch_vccnz .LBB480_1680
; %bb.1665:
	v_cmp_gt_i16_e32 vcc_lo, 2, v3
	s_mov_b32 s0, -1
	s_cbranch_vccnz .LBB480_1675
; %bb.1666:
	v_cmp_gt_i16_e32 vcc_lo, 3, v3
	s_cbranch_vccnz .LBB480_1672
; %bb.1667:
	v_cmp_lt_i16_e32 vcc_lo, 3, v3
	s_cbranch_vccz .LBB480_1669
; %bb.1668:
	v_cvt_f32_f16_e32 v8, v4
	s_mov_b32 s0, 0
	s_delay_alu instid0(VALU_DEP_1) | instskip(NEXT) | instid1(VALU_DEP_1)
	v_cvt_i32_f32_e32 v8, v8
	v_ashrrev_i32_e32 v9, 31, v8
	global_store_b64 v[0:1], v[8:9], off
.LBB480_1669:
	s_and_not1_b32 vcc_lo, exec_lo, s0
	s_cbranch_vccnz .LBB480_1671
; %bb.1670:
	v_cvt_f32_f16_e32 v8, v4
	s_delay_alu instid0(VALU_DEP_1)
	v_cvt_i32_f32_e32 v8, v8
	global_store_b32 v[0:1], v8, off
.LBB480_1671:
	s_mov_b32 s0, 0
.LBB480_1672:
	s_delay_alu instid0(SALU_CYCLE_1)
	s_and_not1_b32 vcc_lo, exec_lo, s0
	s_cbranch_vccnz .LBB480_1674
; %bb.1673:
	v_cvt_i16_f16_e32 v8, v4
	global_store_b16 v[0:1], v8, off
.LBB480_1674:
	s_mov_b32 s0, 0
.LBB480_1675:
	s_delay_alu instid0(SALU_CYCLE_1)
	s_and_not1_b32 vcc_lo, exec_lo, s0
	s_cbranch_vccnz .LBB480_1680
; %bb.1676:
	v_cmp_lt_i16_e32 vcc_lo, 0, v3
	s_mov_b32 s0, -1
	s_cbranch_vccz .LBB480_1678
; %bb.1677:
	v_cvt_i16_f16_e32 v8, v4
	s_mov_b32 s0, 0
	global_store_b8 v[0:1], v8, off
.LBB480_1678:
	s_and_not1_b32 vcc_lo, exec_lo, s0
	s_cbranch_vccnz .LBB480_1680
; %bb.1679:
	v_cvt_f32_f16_e32 v4, v4
	s_delay_alu instid0(VALU_DEP_1)
	v_cvt_i32_f32_e32 v4, v4
	global_store_b8 v[0:1], v4, off
.LBB480_1680:
	s_mov_b32 s3, -1
.LBB480_1681:
	s_delay_alu instid0(SALU_CYCLE_1)
	s_and_not1_b32 vcc_lo, exec_lo, s3
	s_cbranch_vccnz .LBB480_1996
; %bb.1682:
	s_lshl_b32 s2, s2, 7
	v_cmp_u_f16_e32 vcc_lo, v5, v5
	v_add_nc_u32_e32 v2, s2, v2
	v_cmp_gt_f16_e64 s0, s8, v5
	v_cmp_gt_i16_e64 s1, 11, v3
	s_delay_alu instid0(VALU_DEP_3) | instskip(NEXT) | instid1(VALU_DEP_3)
	v_ashrrev_i32_e32 v1, 31, v2
	s_or_b32 vcc_lo, vcc_lo, s0
	v_cndmask_b32_e32 v4, s8, v5, vcc_lo
	v_add_co_u32 v0, vcc_lo, s4, v2
	s_delay_alu instid0(VALU_DEP_3)
	v_add_co_ci_u32_e32 v1, vcc_lo, s5, v1, vcc_lo
	s_and_b32 vcc_lo, exec_lo, s1
	s_cbranch_vccnz .LBB480_1760
; %bb.1683:
	v_cmp_lt_i16_e32 vcc_lo, 25, v3
	s_mov_b32 s6, -1
	s_mov_b32 s1, 0
	s_mov_b32 s3, 0
	;; [unrolled: 1-line block ×3, first 2 shown]
	s_cbranch_vccz .LBB480_1716
; %bb.1684:
	v_cmp_lt_i16_e32 vcc_lo, 28, v3
	s_cbranch_vccz .LBB480_1699
; %bb.1685:
	v_cmp_lt_i16_e32 vcc_lo, 43, v3
	;; [unrolled: 3-line block ×3, first 2 shown]
	s_cbranch_vccz .LBB480_1689
; %bb.1687:
	v_cmp_eq_u16_e32 vcc_lo, 46, v3
	s_mov_b32 s0, -1
	s_mov_b32 s6, 0
	s_cbranch_vccz .LBB480_1689
; %bb.1688:
	v_cvt_f32_f16_e32 v5, v4
	v_cmp_o_f16_e32 vcc_lo, v4, v4
	s_mov_b32 s0, 0
	s_mov_b32 s3, -1
	s_delay_alu instid0(VALU_DEP_2) | instskip(NEXT) | instid1(VALU_DEP_1)
	v_bfe_u32 v8, v5, 16, 1
	v_add3_u32 v5, v5, v8, 0x7fff
	s_delay_alu instid0(VALU_DEP_1) | instskip(NEXT) | instid1(VALU_DEP_1)
	v_lshrrev_b32_e32 v5, 16, v5
	v_cndmask_b32_e32 v5, 0x7fc0, v5, vcc_lo
	global_store_b32 v[0:1], v5, off
.LBB480_1689:
	s_and_b32 vcc_lo, exec_lo, s6
	s_cbranch_vccz .LBB480_1694
; %bb.1690:
	v_cmp_eq_u16_e32 vcc_lo, 44, v3
	s_mov_b32 s0, -1
	s_cbranch_vccz .LBB480_1694
; %bb.1691:
	v_cvt_f32_f16_e32 v5, v4
	v_mov_b32_e32 v8, 0xff
	s_mov_b32 s3, exec_lo
	s_delay_alu instid0(VALU_DEP_2) | instskip(NEXT) | instid1(VALU_DEP_1)
	v_bfe_u32 v9, v5, 23, 8
	v_cmpx_ne_u32_e32 0xff, v9
; %bb.1692:
	v_and_b32_e32 v8, 0x400000, v5
	v_and_or_b32 v9, 0x3fffff, v5, v9
	v_lshrrev_b32_e32 v5, 23, v5
	s_delay_alu instid0(VALU_DEP_3) | instskip(NEXT) | instid1(VALU_DEP_3)
	v_cmp_ne_u32_e32 vcc_lo, 0, v8
	v_cmp_ne_u32_e64 s0, 0, v9
	s_delay_alu instid0(VALU_DEP_1) | instskip(NEXT) | instid1(SALU_CYCLE_1)
	s_and_b32 s0, vcc_lo, s0
	v_cndmask_b32_e64 v8, 0, 1, s0
	s_delay_alu instid0(VALU_DEP_1)
	v_add_nc_u32_e32 v8, v5, v8
; %bb.1693:
	s_or_b32 exec_lo, exec_lo, s3
	s_mov_b32 s0, 0
	s_mov_b32 s3, -1
	global_store_b8 v[0:1], v8, off
.LBB480_1694:
	s_mov_b32 s6, 0
.LBB480_1695:
	s_delay_alu instid0(SALU_CYCLE_1)
	s_and_b32 vcc_lo, exec_lo, s6
	s_cbranch_vccz .LBB480_1698
; %bb.1696:
	v_cmp_eq_u16_e32 vcc_lo, 29, v3
	s_mov_b32 s0, -1
	s_cbranch_vccz .LBB480_1698
; %bb.1697:
	v_cvt_f32_f16_e32 v5, v4
	v_mov_b32_e32 v9, 0
	s_mov_b32 s0, 0
	s_mov_b32 s3, -1
	s_delay_alu instid0(VALU_DEP_2)
	v_cvt_u32_f32_e32 v8, v5
	global_store_b64 v[0:1], v[8:9], off
.LBB480_1698:
	s_mov_b32 s6, 0
.LBB480_1699:
	s_delay_alu instid0(SALU_CYCLE_1)
	s_and_b32 vcc_lo, exec_lo, s6
	s_cbranch_vccz .LBB480_1715
; %bb.1700:
	v_cmp_gt_i16_e32 vcc_lo, 27, v3
	s_mov_b32 s3, -1
	s_cbranch_vccnz .LBB480_1706
; %bb.1701:
	v_cmp_lt_i16_e32 vcc_lo, 27, v3
	s_cbranch_vccz .LBB480_1703
; %bb.1702:
	v_cvt_f32_f16_e32 v5, v4
	s_mov_b32 s3, 0
	s_delay_alu instid0(VALU_DEP_1)
	v_cvt_u32_f32_e32 v5, v5
	global_store_b32 v[0:1], v5, off
.LBB480_1703:
	s_and_not1_b32 vcc_lo, exec_lo, s3
	s_cbranch_vccnz .LBB480_1705
; %bb.1704:
	v_cvt_u16_f16_e32 v5, v4
	global_store_b16 v[0:1], v5, off
.LBB480_1705:
	s_mov_b32 s3, 0
.LBB480_1706:
	s_delay_alu instid0(SALU_CYCLE_1)
	s_and_not1_b32 vcc_lo, exec_lo, s3
	s_cbranch_vccnz .LBB480_1714
; %bb.1707:
	v_cvt_f32_f16_e32 v5, v4
	v_mov_b32_e32 v9, 0x80
	s_mov_b32 s3, exec_lo
	s_delay_alu instid0(VALU_DEP_2) | instskip(NEXT) | instid1(VALU_DEP_1)
	v_and_b32_e32 v8, 0x7fffffff, v5
	v_cmpx_gt_u32_e32 0x43800000, v8
	s_cbranch_execz .LBB480_1713
; %bb.1708:
	v_cmp_lt_u32_e32 vcc_lo, 0x3bffffff, v8
	s_mov_b32 s6, 0
                                        ; implicit-def: $vgpr8
	s_and_saveexec_b32 s7, vcc_lo
	s_delay_alu instid0(SALU_CYCLE_1)
	s_xor_b32 s7, exec_lo, s7
	s_cbranch_execz .LBB480_2052
; %bb.1709:
	v_bfe_u32 v8, v5, 20, 1
	s_mov_b32 s6, exec_lo
	s_delay_alu instid0(VALU_DEP_1) | instskip(NEXT) | instid1(VALU_DEP_1)
	v_add3_u32 v8, v5, v8, 0x487ffff
	v_lshrrev_b32_e32 v8, 20, v8
	s_or_saveexec_b32 s7, s7
                                        ; implicit-def: $sgpr9
	s_delay_alu instid0(SALU_CYCLE_1)
	s_xor_b32 exec_lo, exec_lo, s7
	s_cbranch_execnz .LBB480_2053
.LBB480_1710:
	s_or_b32 exec_lo, exec_lo, s7
	v_mov_b32_e32 v9, s9
	s_and_saveexec_b32 s7, s6
.LBB480_1711:
	v_lshrrev_b32_e32 v5, 24, v5
	s_delay_alu instid0(VALU_DEP_1)
	v_and_or_b32 v9, 0x80, v5, v8
.LBB480_1712:
	s_or_b32 exec_lo, exec_lo, s7
.LBB480_1713:
	s_delay_alu instid0(SALU_CYCLE_1)
	s_or_b32 exec_lo, exec_lo, s3
	global_store_b8 v[0:1], v9, off
.LBB480_1714:
	s_mov_b32 s3, -1
.LBB480_1715:
	s_mov_b32 s6, 0
.LBB480_1716:
	s_delay_alu instid0(SALU_CYCLE_1)
	s_and_b32 vcc_lo, exec_lo, s6
	s_cbranch_vccz .LBB480_1756
; %bb.1717:
	v_cmp_lt_i16_e32 vcc_lo, 22, v3
	s_mov_b32 s1, -1
	s_cbranch_vccz .LBB480_1749
; %bb.1718:
	v_cmp_gt_i16_e32 vcc_lo, 24, v3
	s_cbranch_vccnz .LBB480_1738
; %bb.1719:
	v_cmp_lt_i16_e32 vcc_lo, 24, v3
	s_cbranch_vccz .LBB480_1727
; %bb.1720:
	v_cvt_f32_f16_e32 v5, v4
	v_mov_b32_e32 v9, 0x80
	s_mov_b32 s1, exec_lo
	s_delay_alu instid0(VALU_DEP_2) | instskip(NEXT) | instid1(VALU_DEP_1)
	v_and_b32_e32 v8, 0x7fffffff, v5
	v_cmpx_gt_u32_e32 0x47800000, v8
	s_cbranch_execz .LBB480_1726
; %bb.1721:
	v_cmp_lt_u32_e32 vcc_lo, 0x37ffffff, v8
	s_mov_b32 s3, 0
                                        ; implicit-def: $vgpr8
	s_and_saveexec_b32 s6, vcc_lo
	s_delay_alu instid0(SALU_CYCLE_1)
	s_xor_b32 s6, exec_lo, s6
	s_cbranch_execz .LBB480_2058
; %bb.1722:
	v_bfe_u32 v8, v5, 21, 1
	s_mov_b32 s3, exec_lo
	s_delay_alu instid0(VALU_DEP_1) | instskip(NEXT) | instid1(VALU_DEP_1)
	v_add3_u32 v8, v5, v8, 0x88fffff
	v_lshrrev_b32_e32 v8, 21, v8
	s_or_saveexec_b32 s6, s6
                                        ; implicit-def: $sgpr7
	s_delay_alu instid0(SALU_CYCLE_1)
	s_xor_b32 exec_lo, exec_lo, s6
	s_cbranch_execnz .LBB480_2059
.LBB480_1723:
	s_or_b32 exec_lo, exec_lo, s6
	v_mov_b32_e32 v9, s7
	s_and_saveexec_b32 s6, s3
.LBB480_1724:
	v_lshrrev_b32_e32 v5, 24, v5
	s_delay_alu instid0(VALU_DEP_1)
	v_and_or_b32 v9, 0x80, v5, v8
.LBB480_1725:
	s_or_b32 exec_lo, exec_lo, s6
.LBB480_1726:
	s_delay_alu instid0(SALU_CYCLE_1)
	s_or_b32 exec_lo, exec_lo, s1
	s_mov_b32 s1, 0
	global_store_b8 v[0:1], v9, off
.LBB480_1727:
	s_and_b32 vcc_lo, exec_lo, s1
	s_cbranch_vccz .LBB480_1737
; %bb.1728:
	v_cvt_f32_f16_e32 v5, v4
	s_mov_b32 s1, exec_lo
                                        ; implicit-def: $vgpr8
	s_delay_alu instid0(VALU_DEP_1) | instskip(NEXT) | instid1(VALU_DEP_1)
	v_and_b32_e32 v9, 0x7fffffff, v5
	v_cmpx_gt_u32_e32 0x43f00000, v9
	s_xor_b32 s1, exec_lo, s1
	s_cbranch_execz .LBB480_1734
; %bb.1729:
	s_mov_b32 s3, exec_lo
                                        ; implicit-def: $vgpr8
	v_cmpx_lt_u32_e32 0x3c7fffff, v9
	s_xor_b32 s3, exec_lo, s3
; %bb.1730:
	v_bfe_u32 v8, v5, 20, 1
	s_delay_alu instid0(VALU_DEP_1) | instskip(NEXT) | instid1(VALU_DEP_1)
	v_add3_u32 v8, v5, v8, 0x407ffff
	v_and_b32_e32 v9, 0xff00000, v8
	v_lshrrev_b32_e32 v8, 20, v8
	s_delay_alu instid0(VALU_DEP_2) | instskip(NEXT) | instid1(VALU_DEP_2)
	v_cmp_ne_u32_e32 vcc_lo, 0x7f00000, v9
	v_cndmask_b32_e32 v8, 0x7e, v8, vcc_lo
; %bb.1731:
	s_and_not1_saveexec_b32 s3, s3
; %bb.1732:
	v_add_f32_e64 v8, 0x46800000, |v5|
; %bb.1733:
	s_or_b32 exec_lo, exec_lo, s3
                                        ; implicit-def: $vgpr9
.LBB480_1734:
	s_and_not1_saveexec_b32 s1, s1
; %bb.1735:
	v_mov_b32_e32 v8, 0x7f
	v_cmp_lt_u32_e32 vcc_lo, 0x7f800000, v9
	s_delay_alu instid0(VALU_DEP_2)
	v_cndmask_b32_e32 v8, 0x7e, v8, vcc_lo
; %bb.1736:
	s_or_b32 exec_lo, exec_lo, s1
	v_lshrrev_b32_e32 v5, 24, v5
	s_delay_alu instid0(VALU_DEP_1)
	v_and_or_b32 v5, 0x80, v5, v8
	global_store_b8 v[0:1], v5, off
.LBB480_1737:
	s_mov_b32 s1, 0
.LBB480_1738:
	s_delay_alu instid0(SALU_CYCLE_1)
	s_and_not1_b32 vcc_lo, exec_lo, s1
	s_cbranch_vccnz .LBB480_1748
; %bb.1739:
	v_cvt_f32_f16_e32 v5, v4
	s_mov_b32 s1, exec_lo
                                        ; implicit-def: $vgpr8
	s_delay_alu instid0(VALU_DEP_1) | instskip(NEXT) | instid1(VALU_DEP_1)
	v_and_b32_e32 v9, 0x7fffffff, v5
	v_cmpx_gt_u32_e32 0x47800000, v9
	s_xor_b32 s1, exec_lo, s1
	s_cbranch_execz .LBB480_1745
; %bb.1740:
	s_mov_b32 s3, exec_lo
                                        ; implicit-def: $vgpr8
	v_cmpx_lt_u32_e32 0x387fffff, v9
	s_xor_b32 s3, exec_lo, s3
; %bb.1741:
	v_bfe_u32 v8, v5, 21, 1
	s_delay_alu instid0(VALU_DEP_1) | instskip(NEXT) | instid1(VALU_DEP_1)
	v_add3_u32 v8, v5, v8, 0x80fffff
	v_lshrrev_b32_e32 v8, 21, v8
; %bb.1742:
	s_and_not1_saveexec_b32 s3, s3
; %bb.1743:
	v_add_f32_e64 v8, 0x43000000, |v5|
; %bb.1744:
	s_or_b32 exec_lo, exec_lo, s3
                                        ; implicit-def: $vgpr9
.LBB480_1745:
	s_and_not1_saveexec_b32 s1, s1
; %bb.1746:
	v_mov_b32_e32 v8, 0x7f
	v_cmp_lt_u32_e32 vcc_lo, 0x7f800000, v9
	s_delay_alu instid0(VALU_DEP_2)
	v_cndmask_b32_e32 v8, 0x7c, v8, vcc_lo
; %bb.1747:
	s_or_b32 exec_lo, exec_lo, s1
	v_lshrrev_b32_e32 v5, 24, v5
	s_delay_alu instid0(VALU_DEP_1)
	v_and_or_b32 v5, 0x80, v5, v8
	global_store_b8 v[0:1], v5, off
.LBB480_1748:
	s_mov_b32 s1, 0
	s_mov_b32 s3, -1
.LBB480_1749:
	s_and_not1_b32 vcc_lo, exec_lo, s1
	s_mov_b32 s1, 0
	s_cbranch_vccnz .LBB480_1756
; %bb.1750:
	v_cmp_lt_i16_e32 vcc_lo, 14, v3
	s_mov_b32 s1, -1
	s_cbranch_vccz .LBB480_1754
; %bb.1751:
	v_cmp_eq_u16_e32 vcc_lo, 15, v3
	s_mov_b32 s0, -1
	s_cbranch_vccz .LBB480_1753
; %bb.1752:
	v_cvt_f32_f16_e32 v5, v4
	v_cmp_o_f16_e32 vcc_lo, v4, v4
	s_mov_b32 s0, 0
	s_mov_b32 s3, -1
	s_delay_alu instid0(VALU_DEP_2) | instskip(NEXT) | instid1(VALU_DEP_1)
	v_bfe_u32 v8, v5, 16, 1
	v_add3_u32 v5, v5, v8, 0x7fff
	s_delay_alu instid0(VALU_DEP_1) | instskip(NEXT) | instid1(VALU_DEP_1)
	v_lshrrev_b32_e32 v5, 16, v5
	v_cndmask_b32_e32 v5, 0x7fc0, v5, vcc_lo
	global_store_b16 v[0:1], v5, off
.LBB480_1753:
	s_mov_b32 s1, 0
.LBB480_1754:
	s_delay_alu instid0(SALU_CYCLE_1)
	s_and_b32 vcc_lo, exec_lo, s1
	s_mov_b32 s1, 0
	s_cbranch_vccz .LBB480_1756
; %bb.1755:
	v_cmp_ne_u16_e64 s0, 11, v3
	s_mov_b32 s1, -1
.LBB480_1756:
	s_delay_alu instid0(VALU_DEP_1)
	s_and_b32 vcc_lo, exec_lo, s0
	s_cbranch_vccnz .LBB480_2056
; %bb.1757:
	s_and_not1_b32 vcc_lo, exec_lo, s1
	s_cbranch_vccnz .LBB480_1759
.LBB480_1758:
	v_and_b32_e32 v5, 0x7fff, v4
	s_mov_b32 s3, -1
	s_delay_alu instid0(VALU_DEP_1)
	v_cmp_ne_u16_e32 vcc_lo, 0, v5
	v_cndmask_b32_e64 v5, 0, 1, vcc_lo
	global_store_b8 v[0:1], v5, off
.LBB480_1759:
	s_mov_b32 s0, 0
	s_branch .LBB480_1761
.LBB480_1760:
	s_mov_b32 s0, -1
	s_mov_b32 s3, 0
.LBB480_1761:
	s_and_b32 vcc_lo, exec_lo, s0
	s_cbranch_vccz .LBB480_1800
; %bb.1762:
	v_cmp_gt_i16_e32 vcc_lo, 5, v3
	s_mov_b32 s0, -1
	s_cbranch_vccnz .LBB480_1783
; %bb.1763:
	v_cmp_gt_i16_e32 vcc_lo, 8, v3
	s_cbranch_vccnz .LBB480_1773
; %bb.1764:
	v_cmp_gt_i16_e32 vcc_lo, 9, v3
	s_cbranch_vccnz .LBB480_1770
; %bb.1765:
	v_cmp_lt_i16_e32 vcc_lo, 9, v3
	s_cbranch_vccz .LBB480_1767
; %bb.1766:
	v_cvt_f32_f16_e32 v5, v4
	v_mov_b32_e32 v10, 0
	s_mov_b32 s0, 0
	s_delay_alu instid0(VALU_DEP_2) | instskip(NEXT) | instid1(VALU_DEP_2)
	v_cvt_f64_f32_e32 v[8:9], v5
	v_mov_b32_e32 v11, v10
	global_store_b128 v[0:1], v[8:11], off
.LBB480_1767:
	s_and_not1_b32 vcc_lo, exec_lo, s0
	s_cbranch_vccnz .LBB480_1769
; %bb.1768:
	v_cvt_f32_f16_e32 v8, v4
	v_mov_b32_e32 v9, 0
	global_store_b64 v[0:1], v[8:9], off
.LBB480_1769:
	s_mov_b32 s0, 0
.LBB480_1770:
	s_delay_alu instid0(SALU_CYCLE_1)
	s_and_not1_b32 vcc_lo, exec_lo, s0
	s_cbranch_vccnz .LBB480_1772
; %bb.1771:
	v_and_b32_e32 v5, 0xffff, v4
	global_store_b32 v[0:1], v5, off
.LBB480_1772:
	s_mov_b32 s0, 0
.LBB480_1773:
	s_delay_alu instid0(SALU_CYCLE_1)
	s_and_not1_b32 vcc_lo, exec_lo, s0
	s_cbranch_vccnz .LBB480_1782
; %bb.1774:
	v_cmp_gt_i16_e32 vcc_lo, 6, v3
	s_mov_b32 s0, -1
	s_cbranch_vccnz .LBB480_1780
; %bb.1775:
	v_cmp_lt_i16_e32 vcc_lo, 6, v3
	s_cbranch_vccz .LBB480_1777
; %bb.1776:
	v_cvt_f32_f16_e32 v5, v4
	s_mov_b32 s0, 0
	s_delay_alu instid0(VALU_DEP_1)
	v_cvt_f64_f32_e32 v[8:9], v5
	global_store_b64 v[0:1], v[8:9], off
.LBB480_1777:
	s_and_not1_b32 vcc_lo, exec_lo, s0
	s_cbranch_vccnz .LBB480_1779
; %bb.1778:
	v_cvt_f32_f16_e32 v5, v4
	global_store_b32 v[0:1], v5, off
.LBB480_1779:
	s_mov_b32 s0, 0
.LBB480_1780:
	s_delay_alu instid0(SALU_CYCLE_1)
	s_and_not1_b32 vcc_lo, exec_lo, s0
	s_cbranch_vccnz .LBB480_1782
; %bb.1781:
	global_store_b16 v[0:1], v4, off
.LBB480_1782:
	s_mov_b32 s0, 0
.LBB480_1783:
	s_delay_alu instid0(SALU_CYCLE_1)
	s_and_not1_b32 vcc_lo, exec_lo, s0
	s_cbranch_vccnz .LBB480_1799
; %bb.1784:
	v_cmp_gt_i16_e32 vcc_lo, 2, v3
	s_mov_b32 s0, -1
	s_cbranch_vccnz .LBB480_1794
; %bb.1785:
	v_cmp_gt_i16_e32 vcc_lo, 3, v3
	s_cbranch_vccnz .LBB480_1791
; %bb.1786:
	v_cmp_lt_i16_e32 vcc_lo, 3, v3
	s_cbranch_vccz .LBB480_1788
; %bb.1787:
	v_cvt_f32_f16_e32 v5, v4
	s_mov_b32 s0, 0
	s_delay_alu instid0(VALU_DEP_1) | instskip(NEXT) | instid1(VALU_DEP_1)
	v_cvt_i32_f32_e32 v8, v5
	v_ashrrev_i32_e32 v9, 31, v8
	global_store_b64 v[0:1], v[8:9], off
.LBB480_1788:
	s_and_not1_b32 vcc_lo, exec_lo, s0
	s_cbranch_vccnz .LBB480_1790
; %bb.1789:
	v_cvt_f32_f16_e32 v5, v4
	s_delay_alu instid0(VALU_DEP_1)
	v_cvt_i32_f32_e32 v5, v5
	global_store_b32 v[0:1], v5, off
.LBB480_1790:
	s_mov_b32 s0, 0
.LBB480_1791:
	s_delay_alu instid0(SALU_CYCLE_1)
	s_and_not1_b32 vcc_lo, exec_lo, s0
	s_cbranch_vccnz .LBB480_1793
; %bb.1792:
	v_cvt_i16_f16_e32 v5, v4
	global_store_b16 v[0:1], v5, off
.LBB480_1793:
	s_mov_b32 s0, 0
.LBB480_1794:
	s_delay_alu instid0(SALU_CYCLE_1)
	s_and_not1_b32 vcc_lo, exec_lo, s0
	s_cbranch_vccnz .LBB480_1799
; %bb.1795:
	v_cmp_lt_i16_e32 vcc_lo, 0, v3
	s_mov_b32 s0, -1
	s_cbranch_vccz .LBB480_1797
; %bb.1796:
	v_cvt_i16_f16_e32 v5, v4
	s_mov_b32 s0, 0
	global_store_b8 v[0:1], v5, off
.LBB480_1797:
	s_and_not1_b32 vcc_lo, exec_lo, s0
	s_cbranch_vccnz .LBB480_1799
; %bb.1798:
	v_cvt_f32_f16_e32 v4, v4
	s_delay_alu instid0(VALU_DEP_1)
	v_cvt_i32_f32_e32 v4, v4
	global_store_b8 v[0:1], v4, off
.LBB480_1799:
	s_mov_b32 s3, -1
.LBB480_1800:
	s_delay_alu instid0(SALU_CYCLE_1)
	s_and_not1_b32 vcc_lo, exec_lo, s3
	s_cbranch_vccnz .LBB480_1996
; %bb.1801:
	v_add_nc_u32_e32 v2, s2, v2
	v_cmp_u_f16_e32 vcc_lo, v6, v6
	v_cmp_gt_f16_e64 s0, s8, v6
	v_cmp_gt_i16_e64 s1, 11, v3
	s_delay_alu instid0(VALU_DEP_4) | instskip(NEXT) | instid1(VALU_DEP_3)
	v_ashrrev_i32_e32 v1, 31, v2
	s_or_b32 vcc_lo, vcc_lo, s0
	v_cndmask_b32_e32 v4, s8, v6, vcc_lo
	v_add_co_u32 v0, vcc_lo, s4, v2
	s_delay_alu instid0(VALU_DEP_3)
	v_add_co_ci_u32_e32 v1, vcc_lo, s5, v1, vcc_lo
	s_and_b32 vcc_lo, exec_lo, s1
	s_cbranch_vccnz .LBB480_1879
; %bb.1802:
	v_cmp_lt_i16_e32 vcc_lo, 25, v3
	s_mov_b32 s6, -1
	s_mov_b32 s1, 0
	s_mov_b32 s3, 0
	;; [unrolled: 1-line block ×3, first 2 shown]
	s_cbranch_vccz .LBB480_1835
; %bb.1803:
	v_cmp_lt_i16_e32 vcc_lo, 28, v3
	s_cbranch_vccz .LBB480_1818
; %bb.1804:
	v_cmp_lt_i16_e32 vcc_lo, 43, v3
	;; [unrolled: 3-line block ×3, first 2 shown]
	s_cbranch_vccz .LBB480_1808
; %bb.1806:
	v_cmp_eq_u16_e32 vcc_lo, 46, v3
	s_mov_b32 s0, -1
	s_mov_b32 s6, 0
	s_cbranch_vccz .LBB480_1808
; %bb.1807:
	v_cvt_f32_f16_e32 v5, v4
	v_cmp_o_f16_e32 vcc_lo, v4, v4
	s_mov_b32 s0, 0
	s_mov_b32 s3, -1
	s_delay_alu instid0(VALU_DEP_2) | instskip(NEXT) | instid1(VALU_DEP_1)
	v_bfe_u32 v6, v5, 16, 1
	v_add3_u32 v5, v5, v6, 0x7fff
	s_delay_alu instid0(VALU_DEP_1) | instskip(NEXT) | instid1(VALU_DEP_1)
	v_lshrrev_b32_e32 v5, 16, v5
	v_cndmask_b32_e32 v5, 0x7fc0, v5, vcc_lo
	global_store_b32 v[0:1], v5, off
.LBB480_1808:
	s_and_b32 vcc_lo, exec_lo, s6
	s_cbranch_vccz .LBB480_1813
; %bb.1809:
	v_cmp_eq_u16_e32 vcc_lo, 44, v3
	s_mov_b32 s0, -1
	s_cbranch_vccz .LBB480_1813
; %bb.1810:
	v_cvt_f32_f16_e32 v5, v4
	v_mov_b32_e32 v6, 0xff
	s_mov_b32 s3, exec_lo
	s_delay_alu instid0(VALU_DEP_2) | instskip(NEXT) | instid1(VALU_DEP_1)
	v_bfe_u32 v8, v5, 23, 8
	v_cmpx_ne_u32_e32 0xff, v8
; %bb.1811:
	v_and_b32_e32 v6, 0x400000, v5
	v_and_or_b32 v8, 0x3fffff, v5, v8
	v_lshrrev_b32_e32 v5, 23, v5
	s_delay_alu instid0(VALU_DEP_3) | instskip(NEXT) | instid1(VALU_DEP_3)
	v_cmp_ne_u32_e32 vcc_lo, 0, v6
	v_cmp_ne_u32_e64 s0, 0, v8
	s_delay_alu instid0(VALU_DEP_1) | instskip(NEXT) | instid1(SALU_CYCLE_1)
	s_and_b32 s0, vcc_lo, s0
	v_cndmask_b32_e64 v6, 0, 1, s0
	s_delay_alu instid0(VALU_DEP_1)
	v_add_nc_u32_e32 v6, v5, v6
; %bb.1812:
	s_or_b32 exec_lo, exec_lo, s3
	s_mov_b32 s0, 0
	s_mov_b32 s3, -1
	global_store_b8 v[0:1], v6, off
.LBB480_1813:
	s_mov_b32 s6, 0
.LBB480_1814:
	s_delay_alu instid0(SALU_CYCLE_1)
	s_and_b32 vcc_lo, exec_lo, s6
	s_cbranch_vccz .LBB480_1817
; %bb.1815:
	v_cmp_eq_u16_e32 vcc_lo, 29, v3
	s_mov_b32 s0, -1
	s_cbranch_vccz .LBB480_1817
; %bb.1816:
	v_cvt_f32_f16_e32 v5, v4
	v_mov_b32_e32 v6, 0
	s_mov_b32 s0, 0
	s_mov_b32 s3, -1
	s_delay_alu instid0(VALU_DEP_2)
	v_cvt_u32_f32_e32 v5, v5
	global_store_b64 v[0:1], v[5:6], off
.LBB480_1817:
	s_mov_b32 s6, 0
.LBB480_1818:
	s_delay_alu instid0(SALU_CYCLE_1)
	s_and_b32 vcc_lo, exec_lo, s6
	s_cbranch_vccz .LBB480_1834
; %bb.1819:
	v_cmp_gt_i16_e32 vcc_lo, 27, v3
	s_mov_b32 s3, -1
	s_cbranch_vccnz .LBB480_1825
; %bb.1820:
	v_cmp_lt_i16_e32 vcc_lo, 27, v3
	s_cbranch_vccz .LBB480_1822
; %bb.1821:
	v_cvt_f32_f16_e32 v5, v4
	s_mov_b32 s3, 0
	s_delay_alu instid0(VALU_DEP_1)
	v_cvt_u32_f32_e32 v5, v5
	global_store_b32 v[0:1], v5, off
.LBB480_1822:
	s_and_not1_b32 vcc_lo, exec_lo, s3
	s_cbranch_vccnz .LBB480_1824
; %bb.1823:
	v_cvt_u16_f16_e32 v5, v4
	global_store_b16 v[0:1], v5, off
.LBB480_1824:
	s_mov_b32 s3, 0
.LBB480_1825:
	s_delay_alu instid0(SALU_CYCLE_1)
	s_and_not1_b32 vcc_lo, exec_lo, s3
	s_cbranch_vccnz .LBB480_1833
; %bb.1826:
	v_cvt_f32_f16_e32 v5, v4
	v_mov_b32_e32 v8, 0x80
	s_mov_b32 s3, exec_lo
	s_delay_alu instid0(VALU_DEP_2) | instskip(NEXT) | instid1(VALU_DEP_1)
	v_and_b32_e32 v6, 0x7fffffff, v5
	v_cmpx_gt_u32_e32 0x43800000, v6
	s_cbranch_execz .LBB480_1832
; %bb.1827:
	v_cmp_lt_u32_e32 vcc_lo, 0x3bffffff, v6
	s_mov_b32 s6, 0
                                        ; implicit-def: $vgpr6
	s_and_saveexec_b32 s7, vcc_lo
	s_delay_alu instid0(SALU_CYCLE_1)
	s_xor_b32 s7, exec_lo, s7
	s_cbranch_execz .LBB480_2060
; %bb.1828:
	v_bfe_u32 v6, v5, 20, 1
	s_mov_b32 s6, exec_lo
	s_delay_alu instid0(VALU_DEP_1) | instskip(NEXT) | instid1(VALU_DEP_1)
	v_add3_u32 v6, v5, v6, 0x487ffff
	v_lshrrev_b32_e32 v6, 20, v6
	s_or_saveexec_b32 s7, s7
                                        ; implicit-def: $sgpr9
	s_delay_alu instid0(SALU_CYCLE_1)
	s_xor_b32 exec_lo, exec_lo, s7
	s_cbranch_execnz .LBB480_2061
.LBB480_1829:
	s_or_b32 exec_lo, exec_lo, s7
	v_mov_b32_e32 v8, s9
	s_and_saveexec_b32 s7, s6
.LBB480_1830:
	v_lshrrev_b32_e32 v5, 24, v5
	s_delay_alu instid0(VALU_DEP_1)
	v_and_or_b32 v8, 0x80, v5, v6
.LBB480_1831:
	s_or_b32 exec_lo, exec_lo, s7
.LBB480_1832:
	s_delay_alu instid0(SALU_CYCLE_1)
	s_or_b32 exec_lo, exec_lo, s3
	global_store_b8 v[0:1], v8, off
.LBB480_1833:
	s_mov_b32 s3, -1
.LBB480_1834:
	s_mov_b32 s6, 0
.LBB480_1835:
	s_delay_alu instid0(SALU_CYCLE_1)
	s_and_b32 vcc_lo, exec_lo, s6
	s_cbranch_vccz .LBB480_1875
; %bb.1836:
	v_cmp_lt_i16_e32 vcc_lo, 22, v3
	s_mov_b32 s1, -1
	s_cbranch_vccz .LBB480_1868
; %bb.1837:
	v_cmp_gt_i16_e32 vcc_lo, 24, v3
	s_cbranch_vccnz .LBB480_1857
; %bb.1838:
	v_cmp_lt_i16_e32 vcc_lo, 24, v3
	s_cbranch_vccz .LBB480_1846
; %bb.1839:
	v_cvt_f32_f16_e32 v5, v4
	v_mov_b32_e32 v8, 0x80
	s_mov_b32 s1, exec_lo
	s_delay_alu instid0(VALU_DEP_2) | instskip(NEXT) | instid1(VALU_DEP_1)
	v_and_b32_e32 v6, 0x7fffffff, v5
	v_cmpx_gt_u32_e32 0x47800000, v6
	s_cbranch_execz .LBB480_1845
; %bb.1840:
	v_cmp_lt_u32_e32 vcc_lo, 0x37ffffff, v6
	s_mov_b32 s3, 0
                                        ; implicit-def: $vgpr6
	s_and_saveexec_b32 s6, vcc_lo
	s_delay_alu instid0(SALU_CYCLE_1)
	s_xor_b32 s6, exec_lo, s6
	s_cbranch_execz .LBB480_2066
; %bb.1841:
	v_bfe_u32 v6, v5, 21, 1
	s_mov_b32 s3, exec_lo
	s_delay_alu instid0(VALU_DEP_1) | instskip(NEXT) | instid1(VALU_DEP_1)
	v_add3_u32 v6, v5, v6, 0x88fffff
	v_lshrrev_b32_e32 v6, 21, v6
	s_or_saveexec_b32 s6, s6
                                        ; implicit-def: $sgpr7
	s_delay_alu instid0(SALU_CYCLE_1)
	s_xor_b32 exec_lo, exec_lo, s6
	s_cbranch_execnz .LBB480_2067
.LBB480_1842:
	s_or_b32 exec_lo, exec_lo, s6
	v_mov_b32_e32 v8, s7
	s_and_saveexec_b32 s6, s3
.LBB480_1843:
	v_lshrrev_b32_e32 v5, 24, v5
	s_delay_alu instid0(VALU_DEP_1)
	v_and_or_b32 v8, 0x80, v5, v6
.LBB480_1844:
	s_or_b32 exec_lo, exec_lo, s6
.LBB480_1845:
	s_delay_alu instid0(SALU_CYCLE_1)
	s_or_b32 exec_lo, exec_lo, s1
	s_mov_b32 s1, 0
	global_store_b8 v[0:1], v8, off
.LBB480_1846:
	s_and_b32 vcc_lo, exec_lo, s1
	s_cbranch_vccz .LBB480_1856
; %bb.1847:
	v_cvt_f32_f16_e32 v5, v4
	s_mov_b32 s1, exec_lo
                                        ; implicit-def: $vgpr6
	s_delay_alu instid0(VALU_DEP_1) | instskip(NEXT) | instid1(VALU_DEP_1)
	v_and_b32_e32 v8, 0x7fffffff, v5
	v_cmpx_gt_u32_e32 0x43f00000, v8
	s_xor_b32 s1, exec_lo, s1
	s_cbranch_execz .LBB480_1853
; %bb.1848:
	s_mov_b32 s3, exec_lo
                                        ; implicit-def: $vgpr6
	v_cmpx_lt_u32_e32 0x3c7fffff, v8
	s_xor_b32 s3, exec_lo, s3
; %bb.1849:
	v_bfe_u32 v6, v5, 20, 1
	s_delay_alu instid0(VALU_DEP_1) | instskip(NEXT) | instid1(VALU_DEP_1)
	v_add3_u32 v6, v5, v6, 0x407ffff
	v_and_b32_e32 v8, 0xff00000, v6
	v_lshrrev_b32_e32 v6, 20, v6
	s_delay_alu instid0(VALU_DEP_2) | instskip(NEXT) | instid1(VALU_DEP_2)
	v_cmp_ne_u32_e32 vcc_lo, 0x7f00000, v8
	v_cndmask_b32_e32 v6, 0x7e, v6, vcc_lo
; %bb.1850:
	s_and_not1_saveexec_b32 s3, s3
; %bb.1851:
	v_add_f32_e64 v6, 0x46800000, |v5|
; %bb.1852:
	s_or_b32 exec_lo, exec_lo, s3
                                        ; implicit-def: $vgpr8
.LBB480_1853:
	s_and_not1_saveexec_b32 s1, s1
; %bb.1854:
	v_mov_b32_e32 v6, 0x7f
	v_cmp_lt_u32_e32 vcc_lo, 0x7f800000, v8
	s_delay_alu instid0(VALU_DEP_2)
	v_cndmask_b32_e32 v6, 0x7e, v6, vcc_lo
; %bb.1855:
	s_or_b32 exec_lo, exec_lo, s1
	v_lshrrev_b32_e32 v5, 24, v5
	s_delay_alu instid0(VALU_DEP_1)
	v_and_or_b32 v5, 0x80, v5, v6
	global_store_b8 v[0:1], v5, off
.LBB480_1856:
	s_mov_b32 s1, 0
.LBB480_1857:
	s_delay_alu instid0(SALU_CYCLE_1)
	s_and_not1_b32 vcc_lo, exec_lo, s1
	s_cbranch_vccnz .LBB480_1867
; %bb.1858:
	v_cvt_f32_f16_e32 v5, v4
	s_mov_b32 s1, exec_lo
                                        ; implicit-def: $vgpr6
	s_delay_alu instid0(VALU_DEP_1) | instskip(NEXT) | instid1(VALU_DEP_1)
	v_and_b32_e32 v8, 0x7fffffff, v5
	v_cmpx_gt_u32_e32 0x47800000, v8
	s_xor_b32 s1, exec_lo, s1
	s_cbranch_execz .LBB480_1864
; %bb.1859:
	s_mov_b32 s3, exec_lo
                                        ; implicit-def: $vgpr6
	v_cmpx_lt_u32_e32 0x387fffff, v8
	s_xor_b32 s3, exec_lo, s3
; %bb.1860:
	v_bfe_u32 v6, v5, 21, 1
	s_delay_alu instid0(VALU_DEP_1) | instskip(NEXT) | instid1(VALU_DEP_1)
	v_add3_u32 v6, v5, v6, 0x80fffff
	v_lshrrev_b32_e32 v6, 21, v6
; %bb.1861:
	s_and_not1_saveexec_b32 s3, s3
; %bb.1862:
	v_add_f32_e64 v6, 0x43000000, |v5|
; %bb.1863:
	s_or_b32 exec_lo, exec_lo, s3
                                        ; implicit-def: $vgpr8
.LBB480_1864:
	s_and_not1_saveexec_b32 s1, s1
; %bb.1865:
	v_mov_b32_e32 v6, 0x7f
	v_cmp_lt_u32_e32 vcc_lo, 0x7f800000, v8
	s_delay_alu instid0(VALU_DEP_2)
	v_cndmask_b32_e32 v6, 0x7c, v6, vcc_lo
; %bb.1866:
	s_or_b32 exec_lo, exec_lo, s1
	v_lshrrev_b32_e32 v5, 24, v5
	s_delay_alu instid0(VALU_DEP_1)
	v_and_or_b32 v5, 0x80, v5, v6
	global_store_b8 v[0:1], v5, off
.LBB480_1867:
	s_mov_b32 s1, 0
	s_mov_b32 s3, -1
.LBB480_1868:
	s_and_not1_b32 vcc_lo, exec_lo, s1
	s_mov_b32 s1, 0
	s_cbranch_vccnz .LBB480_1875
; %bb.1869:
	v_cmp_lt_i16_e32 vcc_lo, 14, v3
	s_mov_b32 s1, -1
	s_cbranch_vccz .LBB480_1873
; %bb.1870:
	v_cmp_eq_u16_e32 vcc_lo, 15, v3
	s_mov_b32 s0, -1
	s_cbranch_vccz .LBB480_1872
; %bb.1871:
	v_cvt_f32_f16_e32 v5, v4
	v_cmp_o_f16_e32 vcc_lo, v4, v4
	s_mov_b32 s0, 0
	s_mov_b32 s3, -1
	s_delay_alu instid0(VALU_DEP_2) | instskip(NEXT) | instid1(VALU_DEP_1)
	v_bfe_u32 v6, v5, 16, 1
	v_add3_u32 v5, v5, v6, 0x7fff
	s_delay_alu instid0(VALU_DEP_1) | instskip(NEXT) | instid1(VALU_DEP_1)
	v_lshrrev_b32_e32 v5, 16, v5
	v_cndmask_b32_e32 v5, 0x7fc0, v5, vcc_lo
	global_store_b16 v[0:1], v5, off
.LBB480_1872:
	s_mov_b32 s1, 0
.LBB480_1873:
	s_delay_alu instid0(SALU_CYCLE_1)
	s_and_b32 vcc_lo, exec_lo, s1
	s_mov_b32 s1, 0
	s_cbranch_vccz .LBB480_1875
; %bb.1874:
	v_cmp_ne_u16_e64 s0, 11, v3
	s_mov_b32 s1, -1
.LBB480_1875:
	s_delay_alu instid0(VALU_DEP_1)
	s_and_b32 vcc_lo, exec_lo, s0
	s_cbranch_vccnz .LBB480_2064
; %bb.1876:
	s_and_not1_b32 vcc_lo, exec_lo, s1
	s_cbranch_vccnz .LBB480_1878
.LBB480_1877:
	v_and_b32_e32 v5, 0x7fff, v4
	s_mov_b32 s3, -1
	s_delay_alu instid0(VALU_DEP_1)
	v_cmp_ne_u16_e32 vcc_lo, 0, v5
	v_cndmask_b32_e64 v5, 0, 1, vcc_lo
	global_store_b8 v[0:1], v5, off
.LBB480_1878:
	s_mov_b32 s0, 0
	s_branch .LBB480_1880
.LBB480_1879:
	s_mov_b32 s0, -1
	s_mov_b32 s3, 0
.LBB480_1880:
	s_and_b32 vcc_lo, exec_lo, s0
	s_cbranch_vccz .LBB480_1919
; %bb.1881:
	v_cmp_gt_i16_e32 vcc_lo, 5, v3
	s_mov_b32 s0, -1
	s_cbranch_vccnz .LBB480_1902
; %bb.1882:
	v_cmp_gt_i16_e32 vcc_lo, 8, v3
	s_cbranch_vccnz .LBB480_1892
; %bb.1883:
	v_cmp_gt_i16_e32 vcc_lo, 9, v3
	s_cbranch_vccnz .LBB480_1889
; %bb.1884:
	v_cmp_lt_i16_e32 vcc_lo, 9, v3
	s_cbranch_vccz .LBB480_1886
; %bb.1885:
	v_cvt_f32_f16_e32 v5, v4
	v_mov_b32_e32 v10, 0
	s_mov_b32 s0, 0
	s_delay_alu instid0(VALU_DEP_2) | instskip(NEXT) | instid1(VALU_DEP_2)
	v_cvt_f64_f32_e32 v[8:9], v5
	v_mov_b32_e32 v11, v10
	global_store_b128 v[0:1], v[8:11], off
.LBB480_1886:
	s_and_not1_b32 vcc_lo, exec_lo, s0
	s_cbranch_vccnz .LBB480_1888
; %bb.1887:
	v_cvt_f32_f16_e32 v5, v4
	v_mov_b32_e32 v6, 0
	global_store_b64 v[0:1], v[5:6], off
.LBB480_1888:
	s_mov_b32 s0, 0
.LBB480_1889:
	s_delay_alu instid0(SALU_CYCLE_1)
	s_and_not1_b32 vcc_lo, exec_lo, s0
	s_cbranch_vccnz .LBB480_1891
; %bb.1890:
	v_and_b32_e32 v5, 0xffff, v4
	global_store_b32 v[0:1], v5, off
.LBB480_1891:
	s_mov_b32 s0, 0
.LBB480_1892:
	s_delay_alu instid0(SALU_CYCLE_1)
	s_and_not1_b32 vcc_lo, exec_lo, s0
	s_cbranch_vccnz .LBB480_1901
; %bb.1893:
	v_cmp_gt_i16_e32 vcc_lo, 6, v3
	s_mov_b32 s0, -1
	s_cbranch_vccnz .LBB480_1899
; %bb.1894:
	v_cmp_lt_i16_e32 vcc_lo, 6, v3
	s_cbranch_vccz .LBB480_1896
; %bb.1895:
	v_cvt_f32_f16_e32 v5, v4
	s_mov_b32 s0, 0
	s_delay_alu instid0(VALU_DEP_1)
	v_cvt_f64_f32_e32 v[5:6], v5
	global_store_b64 v[0:1], v[5:6], off
.LBB480_1896:
	s_and_not1_b32 vcc_lo, exec_lo, s0
	s_cbranch_vccnz .LBB480_1898
; %bb.1897:
	v_cvt_f32_f16_e32 v5, v4
	global_store_b32 v[0:1], v5, off
.LBB480_1898:
	s_mov_b32 s0, 0
.LBB480_1899:
	s_delay_alu instid0(SALU_CYCLE_1)
	s_and_not1_b32 vcc_lo, exec_lo, s0
	s_cbranch_vccnz .LBB480_1901
; %bb.1900:
	global_store_b16 v[0:1], v4, off
.LBB480_1901:
	s_mov_b32 s0, 0
.LBB480_1902:
	s_delay_alu instid0(SALU_CYCLE_1)
	s_and_not1_b32 vcc_lo, exec_lo, s0
	s_cbranch_vccnz .LBB480_1918
; %bb.1903:
	v_cmp_gt_i16_e32 vcc_lo, 2, v3
	s_mov_b32 s0, -1
	s_cbranch_vccnz .LBB480_1913
; %bb.1904:
	v_cmp_gt_i16_e32 vcc_lo, 3, v3
	s_cbranch_vccnz .LBB480_1910
; %bb.1905:
	v_cmp_lt_i16_e32 vcc_lo, 3, v3
	s_cbranch_vccz .LBB480_1907
; %bb.1906:
	v_cvt_f32_f16_e32 v5, v4
	s_mov_b32 s0, 0
	s_delay_alu instid0(VALU_DEP_1) | instskip(NEXT) | instid1(VALU_DEP_1)
	v_cvt_i32_f32_e32 v5, v5
	v_ashrrev_i32_e32 v6, 31, v5
	global_store_b64 v[0:1], v[5:6], off
.LBB480_1907:
	s_and_not1_b32 vcc_lo, exec_lo, s0
	s_cbranch_vccnz .LBB480_1909
; %bb.1908:
	v_cvt_f32_f16_e32 v5, v4
	s_delay_alu instid0(VALU_DEP_1)
	v_cvt_i32_f32_e32 v5, v5
	global_store_b32 v[0:1], v5, off
.LBB480_1909:
	s_mov_b32 s0, 0
.LBB480_1910:
	s_delay_alu instid0(SALU_CYCLE_1)
	s_and_not1_b32 vcc_lo, exec_lo, s0
	s_cbranch_vccnz .LBB480_1912
; %bb.1911:
	v_cvt_i16_f16_e32 v5, v4
	global_store_b16 v[0:1], v5, off
.LBB480_1912:
	s_mov_b32 s0, 0
.LBB480_1913:
	s_delay_alu instid0(SALU_CYCLE_1)
	s_and_not1_b32 vcc_lo, exec_lo, s0
	s_cbranch_vccnz .LBB480_1918
; %bb.1914:
	v_cmp_lt_i16_e32 vcc_lo, 0, v3
	s_mov_b32 s0, -1
	s_cbranch_vccz .LBB480_1916
; %bb.1915:
	v_cvt_i16_f16_e32 v5, v4
	s_mov_b32 s0, 0
	global_store_b8 v[0:1], v5, off
.LBB480_1916:
	s_and_not1_b32 vcc_lo, exec_lo, s0
	s_cbranch_vccnz .LBB480_1918
; %bb.1917:
	v_cvt_f32_f16_e32 v4, v4
	s_delay_alu instid0(VALU_DEP_1)
	v_cvt_i32_f32_e32 v4, v4
	global_store_b8 v[0:1], v4, off
.LBB480_1918:
	s_mov_b32 s3, -1
.LBB480_1919:
	s_delay_alu instid0(SALU_CYCLE_1)
	s_and_not1_b32 vcc_lo, exec_lo, s3
	s_cbranch_vccnz .LBB480_1996
; %bb.1920:
	v_add_nc_u32_e32 v0, s2, v2
	v_cmp_u_f16_e32 vcc_lo, v7, v7
	v_cmp_gt_f16_e64 s0, s8, v7
	v_cmp_gt_i16_e64 s1, 11, v3
	s_delay_alu instid0(VALU_DEP_4) | instskip(NEXT) | instid1(VALU_DEP_3)
	v_ashrrev_i32_e32 v1, 31, v0
	s_or_b32 vcc_lo, vcc_lo, s0
	v_cndmask_b32_e32 v4, s8, v7, vcc_lo
	v_add_co_u32 v0, vcc_lo, s4, v0
	s_delay_alu instid0(VALU_DEP_3)
	v_add_co_ci_u32_e32 v1, vcc_lo, s5, v1, vcc_lo
	s_and_b32 vcc_lo, exec_lo, s1
	s_cbranch_vccnz .LBB480_2041
; %bb.1921:
	v_cmp_lt_i16_e32 vcc_lo, 25, v3
	s_mov_b32 s2, -1
	s_mov_b32 s1, 0
	s_mov_b32 s0, 0
	s_cbranch_vccz .LBB480_1954
; %bb.1922:
	v_cmp_lt_i16_e32 vcc_lo, 28, v3
	s_cbranch_vccz .LBB480_1938
; %bb.1923:
	v_cmp_lt_i16_e32 vcc_lo, 43, v3
	;; [unrolled: 3-line block ×3, first 2 shown]
	s_cbranch_vccz .LBB480_1928
; %bb.1925:
	v_cmp_eq_u16_e32 vcc_lo, 46, v3
	s_mov_b32 s0, -1
	s_cbranch_vccz .LBB480_1927
; %bb.1926:
	v_cvt_f32_f16_e32 v2, v4
	v_cmp_o_f16_e32 vcc_lo, v4, v4
	s_mov_b32 s0, 0
	s_delay_alu instid0(VALU_DEP_2) | instskip(NEXT) | instid1(VALU_DEP_1)
	v_bfe_u32 v5, v2, 16, 1
	v_add3_u32 v2, v2, v5, 0x7fff
	s_delay_alu instid0(VALU_DEP_1) | instskip(NEXT) | instid1(VALU_DEP_1)
	v_lshrrev_b32_e32 v2, 16, v2
	v_cndmask_b32_e32 v2, 0x7fc0, v2, vcc_lo
	global_store_b32 v[0:1], v2, off
.LBB480_1927:
	s_mov_b32 s2, 0
.LBB480_1928:
	s_delay_alu instid0(SALU_CYCLE_1)
	s_and_b32 vcc_lo, exec_lo, s2
	s_cbranch_vccz .LBB480_1933
; %bb.1929:
	v_cmp_eq_u16_e32 vcc_lo, 44, v3
	s_mov_b32 s0, -1
	s_cbranch_vccz .LBB480_1933
; %bb.1930:
	v_cvt_f32_f16_e32 v2, v4
	v_mov_b32_e32 v5, 0xff
	s_mov_b32 s2, exec_lo
	s_delay_alu instid0(VALU_DEP_2) | instskip(NEXT) | instid1(VALU_DEP_1)
	v_bfe_u32 v6, v2, 23, 8
	v_cmpx_ne_u32_e32 0xff, v6
; %bb.1931:
	v_and_b32_e32 v5, 0x400000, v2
	v_and_or_b32 v6, 0x3fffff, v2, v6
	v_lshrrev_b32_e32 v2, 23, v2
	s_delay_alu instid0(VALU_DEP_3) | instskip(NEXT) | instid1(VALU_DEP_3)
	v_cmp_ne_u32_e32 vcc_lo, 0, v5
	v_cmp_ne_u32_e64 s0, 0, v6
	s_delay_alu instid0(VALU_DEP_1) | instskip(NEXT) | instid1(SALU_CYCLE_1)
	s_and_b32 s0, vcc_lo, s0
	v_cndmask_b32_e64 v5, 0, 1, s0
	s_delay_alu instid0(VALU_DEP_1)
	v_add_nc_u32_e32 v5, v2, v5
; %bb.1932:
	s_or_b32 exec_lo, exec_lo, s2
	s_mov_b32 s0, 0
	global_store_b8 v[0:1], v5, off
.LBB480_1933:
	s_mov_b32 s2, 0
.LBB480_1934:
	s_delay_alu instid0(SALU_CYCLE_1)
	s_and_b32 vcc_lo, exec_lo, s2
	s_cbranch_vccz .LBB480_1937
; %bb.1935:
	v_cmp_eq_u16_e32 vcc_lo, 29, v3
	s_mov_b32 s0, -1
	s_cbranch_vccz .LBB480_1937
; %bb.1936:
	v_cvt_f32_f16_e32 v2, v4
	v_mov_b32_e32 v6, 0
	s_mov_b32 s0, 0
	s_delay_alu instid0(VALU_DEP_2)
	v_cvt_u32_f32_e32 v5, v2
	global_store_b64 v[0:1], v[5:6], off
.LBB480_1937:
	s_mov_b32 s2, 0
.LBB480_1938:
	s_delay_alu instid0(SALU_CYCLE_1)
	s_and_b32 vcc_lo, exec_lo, s2
	s_cbranch_vccz .LBB480_1953
; %bb.1939:
	v_cmp_gt_i16_e32 vcc_lo, 27, v3
	s_mov_b32 s2, -1
	s_cbranch_vccnz .LBB480_1945
; %bb.1940:
	v_cmp_lt_i16_e32 vcc_lo, 27, v3
	s_cbranch_vccz .LBB480_1942
; %bb.1941:
	v_cvt_f32_f16_e32 v2, v4
	s_mov_b32 s2, 0
	s_delay_alu instid0(VALU_DEP_1)
	v_cvt_u32_f32_e32 v2, v2
	global_store_b32 v[0:1], v2, off
.LBB480_1942:
	s_and_not1_b32 vcc_lo, exec_lo, s2
	s_cbranch_vccnz .LBB480_1944
; %bb.1943:
	v_cvt_u16_f16_e32 v2, v4
	global_store_b16 v[0:1], v2, off
.LBB480_1944:
	s_mov_b32 s2, 0
.LBB480_1945:
	s_delay_alu instid0(SALU_CYCLE_1)
	s_and_not1_b32 vcc_lo, exec_lo, s2
	s_cbranch_vccnz .LBB480_1953
; %bb.1946:
	v_cvt_f32_f16_e32 v2, v4
	v_mov_b32_e32 v6, 0x80
	s_mov_b32 s2, exec_lo
	s_delay_alu instid0(VALU_DEP_2) | instskip(NEXT) | instid1(VALU_DEP_1)
	v_and_b32_e32 v5, 0x7fffffff, v2
	v_cmpx_gt_u32_e32 0x43800000, v5
	s_cbranch_execz .LBB480_1952
; %bb.1947:
	v_cmp_lt_u32_e32 vcc_lo, 0x3bffffff, v5
	s_mov_b32 s3, 0
                                        ; implicit-def: $vgpr5
	s_and_saveexec_b32 s4, vcc_lo
	s_delay_alu instid0(SALU_CYCLE_1)
	s_xor_b32 s4, exec_lo, s4
	s_cbranch_execz .LBB480_2068
; %bb.1948:
	v_bfe_u32 v5, v2, 20, 1
	s_mov_b32 s3, exec_lo
	s_delay_alu instid0(VALU_DEP_1) | instskip(NEXT) | instid1(VALU_DEP_1)
	v_add3_u32 v5, v2, v5, 0x487ffff
	v_lshrrev_b32_e32 v5, 20, v5
	s_or_saveexec_b32 s4, s4
                                        ; implicit-def: $sgpr5
	s_delay_alu instid0(SALU_CYCLE_1)
	s_xor_b32 exec_lo, exec_lo, s4
	s_cbranch_execnz .LBB480_2069
.LBB480_1949:
	s_or_b32 exec_lo, exec_lo, s4
	v_mov_b32_e32 v6, s5
	s_and_saveexec_b32 s4, s3
.LBB480_1950:
	v_lshrrev_b32_e32 v2, 24, v2
	s_delay_alu instid0(VALU_DEP_1)
	v_and_or_b32 v6, 0x80, v2, v5
.LBB480_1951:
	s_or_b32 exec_lo, exec_lo, s4
.LBB480_1952:
	s_delay_alu instid0(SALU_CYCLE_1)
	s_or_b32 exec_lo, exec_lo, s2
	global_store_b8 v[0:1], v6, off
.LBB480_1953:
	s_mov_b32 s2, 0
.LBB480_1954:
	s_delay_alu instid0(SALU_CYCLE_1)
	s_and_b32 vcc_lo, exec_lo, s2
	s_cbranch_vccz .LBB480_1994
; %bb.1955:
	v_cmp_lt_i16_e32 vcc_lo, 22, v3
	s_mov_b32 s1, -1
	s_cbranch_vccz .LBB480_1987
; %bb.1956:
	v_cmp_gt_i16_e32 vcc_lo, 24, v3
	s_cbranch_vccnz .LBB480_1976
; %bb.1957:
	v_cmp_lt_i16_e32 vcc_lo, 24, v3
	s_cbranch_vccz .LBB480_1965
; %bb.1958:
	v_cvt_f32_f16_e32 v2, v4
	v_mov_b32_e32 v6, 0x80
	s_mov_b32 s1, exec_lo
	s_delay_alu instid0(VALU_DEP_2) | instskip(NEXT) | instid1(VALU_DEP_1)
	v_and_b32_e32 v5, 0x7fffffff, v2
	v_cmpx_gt_u32_e32 0x47800000, v5
	s_cbranch_execz .LBB480_1964
; %bb.1959:
	v_cmp_lt_u32_e32 vcc_lo, 0x37ffffff, v5
	s_mov_b32 s2, 0
                                        ; implicit-def: $vgpr5
	s_and_saveexec_b32 s3, vcc_lo
	s_delay_alu instid0(SALU_CYCLE_1)
	s_xor_b32 s3, exec_lo, s3
	s_cbranch_execz .LBB480_2074
; %bb.1960:
	v_bfe_u32 v5, v2, 21, 1
	s_mov_b32 s2, exec_lo
	s_delay_alu instid0(VALU_DEP_1) | instskip(NEXT) | instid1(VALU_DEP_1)
	v_add3_u32 v5, v2, v5, 0x88fffff
	v_lshrrev_b32_e32 v5, 21, v5
	s_or_saveexec_b32 s3, s3
                                        ; implicit-def: $sgpr4
	s_delay_alu instid0(SALU_CYCLE_1)
	s_xor_b32 exec_lo, exec_lo, s3
	s_cbranch_execnz .LBB480_2075
.LBB480_1961:
	s_or_b32 exec_lo, exec_lo, s3
	v_mov_b32_e32 v6, s4
	s_and_saveexec_b32 s3, s2
.LBB480_1962:
	v_lshrrev_b32_e32 v2, 24, v2
	s_delay_alu instid0(VALU_DEP_1)
	v_and_or_b32 v6, 0x80, v2, v5
.LBB480_1963:
	s_or_b32 exec_lo, exec_lo, s3
.LBB480_1964:
	s_delay_alu instid0(SALU_CYCLE_1)
	s_or_b32 exec_lo, exec_lo, s1
	s_mov_b32 s1, 0
	global_store_b8 v[0:1], v6, off
.LBB480_1965:
	s_and_b32 vcc_lo, exec_lo, s1
	s_cbranch_vccz .LBB480_1975
; %bb.1966:
	v_cvt_f32_f16_e32 v2, v4
	s_mov_b32 s1, exec_lo
                                        ; implicit-def: $vgpr5
	s_delay_alu instid0(VALU_DEP_1) | instskip(NEXT) | instid1(VALU_DEP_1)
	v_and_b32_e32 v6, 0x7fffffff, v2
	v_cmpx_gt_u32_e32 0x43f00000, v6
	s_xor_b32 s1, exec_lo, s1
	s_cbranch_execz .LBB480_1972
; %bb.1967:
	s_mov_b32 s2, exec_lo
                                        ; implicit-def: $vgpr5
	v_cmpx_lt_u32_e32 0x3c7fffff, v6
	s_xor_b32 s2, exec_lo, s2
; %bb.1968:
	v_bfe_u32 v5, v2, 20, 1
	s_delay_alu instid0(VALU_DEP_1) | instskip(NEXT) | instid1(VALU_DEP_1)
	v_add3_u32 v5, v2, v5, 0x407ffff
	v_and_b32_e32 v6, 0xff00000, v5
	v_lshrrev_b32_e32 v5, 20, v5
	s_delay_alu instid0(VALU_DEP_2) | instskip(NEXT) | instid1(VALU_DEP_2)
	v_cmp_ne_u32_e32 vcc_lo, 0x7f00000, v6
	v_cndmask_b32_e32 v5, 0x7e, v5, vcc_lo
; %bb.1969:
	s_and_not1_saveexec_b32 s2, s2
; %bb.1970:
	v_add_f32_e64 v5, 0x46800000, |v2|
; %bb.1971:
	s_or_b32 exec_lo, exec_lo, s2
                                        ; implicit-def: $vgpr6
.LBB480_1972:
	s_and_not1_saveexec_b32 s1, s1
; %bb.1973:
	v_mov_b32_e32 v5, 0x7f
	v_cmp_lt_u32_e32 vcc_lo, 0x7f800000, v6
	s_delay_alu instid0(VALU_DEP_2)
	v_cndmask_b32_e32 v5, 0x7e, v5, vcc_lo
; %bb.1974:
	s_or_b32 exec_lo, exec_lo, s1
	v_lshrrev_b32_e32 v2, 24, v2
	s_delay_alu instid0(VALU_DEP_1)
	v_and_or_b32 v2, 0x80, v2, v5
	global_store_b8 v[0:1], v2, off
.LBB480_1975:
	s_mov_b32 s1, 0
.LBB480_1976:
	s_delay_alu instid0(SALU_CYCLE_1)
	s_and_not1_b32 vcc_lo, exec_lo, s1
	s_cbranch_vccnz .LBB480_1986
; %bb.1977:
	v_cvt_f32_f16_e32 v2, v4
	s_mov_b32 s1, exec_lo
                                        ; implicit-def: $vgpr5
	s_delay_alu instid0(VALU_DEP_1) | instskip(NEXT) | instid1(VALU_DEP_1)
	v_and_b32_e32 v6, 0x7fffffff, v2
	v_cmpx_gt_u32_e32 0x47800000, v6
	s_xor_b32 s1, exec_lo, s1
	s_cbranch_execz .LBB480_1983
; %bb.1978:
	s_mov_b32 s2, exec_lo
                                        ; implicit-def: $vgpr5
	v_cmpx_lt_u32_e32 0x387fffff, v6
	s_xor_b32 s2, exec_lo, s2
; %bb.1979:
	v_bfe_u32 v5, v2, 21, 1
	s_delay_alu instid0(VALU_DEP_1) | instskip(NEXT) | instid1(VALU_DEP_1)
	v_add3_u32 v5, v2, v5, 0x80fffff
	v_lshrrev_b32_e32 v5, 21, v5
; %bb.1980:
	s_and_not1_saveexec_b32 s2, s2
; %bb.1981:
	v_add_f32_e64 v5, 0x43000000, |v2|
; %bb.1982:
	s_or_b32 exec_lo, exec_lo, s2
                                        ; implicit-def: $vgpr6
.LBB480_1983:
	s_and_not1_saveexec_b32 s1, s1
; %bb.1984:
	v_mov_b32_e32 v5, 0x7f
	v_cmp_lt_u32_e32 vcc_lo, 0x7f800000, v6
	s_delay_alu instid0(VALU_DEP_2)
	v_cndmask_b32_e32 v5, 0x7c, v5, vcc_lo
; %bb.1985:
	s_or_b32 exec_lo, exec_lo, s1
	v_lshrrev_b32_e32 v2, 24, v2
	s_delay_alu instid0(VALU_DEP_1)
	v_and_or_b32 v2, 0x80, v2, v5
	global_store_b8 v[0:1], v2, off
.LBB480_1986:
	s_mov_b32 s1, 0
.LBB480_1987:
	s_delay_alu instid0(SALU_CYCLE_1)
	s_and_not1_b32 vcc_lo, exec_lo, s1
	s_mov_b32 s1, 0
	s_cbranch_vccnz .LBB480_1994
; %bb.1988:
	v_cmp_lt_i16_e32 vcc_lo, 14, v3
	s_mov_b32 s1, -1
	s_cbranch_vccz .LBB480_1992
; %bb.1989:
	v_cmp_eq_u16_e32 vcc_lo, 15, v3
	s_mov_b32 s0, -1
	s_cbranch_vccz .LBB480_1991
; %bb.1990:
	v_cvt_f32_f16_e32 v2, v4
	v_cmp_o_f16_e32 vcc_lo, v4, v4
	s_mov_b32 s0, 0
	s_delay_alu instid0(VALU_DEP_2) | instskip(NEXT) | instid1(VALU_DEP_1)
	v_bfe_u32 v5, v2, 16, 1
	v_add3_u32 v2, v2, v5, 0x7fff
	s_delay_alu instid0(VALU_DEP_1) | instskip(NEXT) | instid1(VALU_DEP_1)
	v_lshrrev_b32_e32 v2, 16, v2
	v_cndmask_b32_e32 v2, 0x7fc0, v2, vcc_lo
	global_store_b16 v[0:1], v2, off
.LBB480_1991:
	s_mov_b32 s1, 0
.LBB480_1992:
	s_delay_alu instid0(SALU_CYCLE_1)
	s_and_b32 vcc_lo, exec_lo, s1
	s_mov_b32 s1, 0
	s_cbranch_vccz .LBB480_1994
; %bb.1993:
	v_cmp_ne_u16_e64 s0, 11, v3
	s_mov_b32 s1, -1
.LBB480_1994:
	s_delay_alu instid0(VALU_DEP_1)
	s_and_b32 vcc_lo, exec_lo, s0
	s_cbranch_vccnz .LBB480_2072
.LBB480_1995:
	s_mov_b32 s0, 0
	s_branch .LBB480_1997
.LBB480_1996:
	s_mov_b32 s0, 0
	s_mov_b32 s1, 0
                                        ; implicit-def: $vgpr3
                                        ; implicit-def: $vgpr0_vgpr1
                                        ; implicit-def: $vgpr4
.LBB480_1997:
	s_and_not1_b32 s2, s12, exec_lo
	s_and_b32 s3, s10, exec_lo
	s_and_b32 s0, s0, exec_lo
	;; [unrolled: 1-line block ×3, first 2 shown]
	s_or_b32 s12, s2, s3
.LBB480_1998:
	s_or_b32 exec_lo, exec_lo, s11
	s_and_saveexec_b32 s1, s12
	s_cbranch_execz .LBB480_2001
; %bb.1999:
	; divergent unreachable
	s_or_b32 exec_lo, exec_lo, s1
	s_and_saveexec_b32 s1, s10
	s_delay_alu instid0(SALU_CYCLE_1)
	s_xor_b32 s1, exec_lo, s1
	s_cbranch_execnz .LBB480_2002
.LBB480_2000:
	s_or_b32 exec_lo, exec_lo, s1
	s_and_saveexec_b32 s1, s0
	s_cbranch_execnz .LBB480_2003
	s_branch .LBB480_2040
.LBB480_2001:
	s_or_b32 exec_lo, exec_lo, s1
	s_and_saveexec_b32 s1, s10
	s_delay_alu instid0(SALU_CYCLE_1)
	s_xor_b32 s1, exec_lo, s1
	s_cbranch_execz .LBB480_2000
.LBB480_2002:
	s_waitcnt vmcnt(0)
	v_and_b32_e32 v2, 0x7fff, v4
	s_delay_alu instid0(VALU_DEP_1)
	v_cmp_ne_u16_e32 vcc_lo, 0, v2
	v_cndmask_b32_e64 v2, 0, 1, vcc_lo
	global_store_b8 v[0:1], v2, off
	s_or_b32 exec_lo, exec_lo, s1
	s_and_saveexec_b32 s1, s0
	s_cbranch_execz .LBB480_2040
.LBB480_2003:
	s_waitcnt vmcnt(0)
	v_cmp_gt_i16_e32 vcc_lo, 5, v3
	s_mov_b32 s0, -1
	s_cbranch_vccnz .LBB480_2024
; %bb.2004:
	v_cmp_gt_i16_e32 vcc_lo, 8, v3
	s_cbranch_vccnz .LBB480_2014
; %bb.2005:
	v_cmp_gt_i16_e32 vcc_lo, 9, v3
	s_cbranch_vccnz .LBB480_2011
; %bb.2006:
	v_cmp_lt_i16_e32 vcc_lo, 9, v3
	s_cbranch_vccz .LBB480_2008
; %bb.2007:
	v_cvt_f32_f16_e32 v2, v4
	v_mov_b32_e32 v7, 0
	s_mov_b32 s0, 0
	s_delay_alu instid0(VALU_DEP_2) | instskip(NEXT) | instid1(VALU_DEP_2)
	v_cvt_f64_f32_e32 v[5:6], v2
	v_mov_b32_e32 v8, v7
	global_store_b128 v[0:1], v[5:8], off
.LBB480_2008:
	s_and_not1_b32 vcc_lo, exec_lo, s0
	s_cbranch_vccnz .LBB480_2010
; %bb.2009:
	v_cvt_f32_f16_e32 v5, v4
	v_mov_b32_e32 v6, 0
	global_store_b64 v[0:1], v[5:6], off
.LBB480_2010:
	s_mov_b32 s0, 0
.LBB480_2011:
	s_delay_alu instid0(SALU_CYCLE_1)
	s_and_not1_b32 vcc_lo, exec_lo, s0
	s_cbranch_vccnz .LBB480_2013
; %bb.2012:
	v_and_b32_e32 v2, 0xffff, v4
	global_store_b32 v[0:1], v2, off
.LBB480_2013:
	s_mov_b32 s0, 0
.LBB480_2014:
	s_delay_alu instid0(SALU_CYCLE_1)
	s_and_not1_b32 vcc_lo, exec_lo, s0
	s_cbranch_vccnz .LBB480_2023
; %bb.2015:
	v_cmp_gt_i16_e32 vcc_lo, 6, v3
	s_mov_b32 s0, -1
	s_cbranch_vccnz .LBB480_2021
; %bb.2016:
	v_cmp_lt_i16_e32 vcc_lo, 6, v3
	s_cbranch_vccz .LBB480_2018
; %bb.2017:
	v_cvt_f32_f16_e32 v2, v4
	s_mov_b32 s0, 0
	s_delay_alu instid0(VALU_DEP_1)
	v_cvt_f64_f32_e32 v[5:6], v2
	global_store_b64 v[0:1], v[5:6], off
.LBB480_2018:
	s_and_not1_b32 vcc_lo, exec_lo, s0
	s_cbranch_vccnz .LBB480_2020
; %bb.2019:
	v_cvt_f32_f16_e32 v2, v4
	global_store_b32 v[0:1], v2, off
.LBB480_2020:
	s_mov_b32 s0, 0
.LBB480_2021:
	s_delay_alu instid0(SALU_CYCLE_1)
	s_and_not1_b32 vcc_lo, exec_lo, s0
	s_cbranch_vccnz .LBB480_2023
; %bb.2022:
	global_store_b16 v[0:1], v4, off
.LBB480_2023:
	s_mov_b32 s0, 0
.LBB480_2024:
	s_delay_alu instid0(SALU_CYCLE_1)
	s_and_not1_b32 vcc_lo, exec_lo, s0
	s_cbranch_vccnz .LBB480_2040
; %bb.2025:
	v_cmp_gt_i16_e32 vcc_lo, 2, v3
	s_mov_b32 s0, -1
	s_cbranch_vccnz .LBB480_2035
; %bb.2026:
	v_cmp_gt_i16_e32 vcc_lo, 3, v3
	s_cbranch_vccnz .LBB480_2032
; %bb.2027:
	v_cmp_lt_i16_e32 vcc_lo, 3, v3
	s_cbranch_vccz .LBB480_2029
; %bb.2028:
	v_cvt_f32_f16_e32 v2, v4
	s_mov_b32 s0, 0
	s_delay_alu instid0(VALU_DEP_1) | instskip(NEXT) | instid1(VALU_DEP_1)
	v_cvt_i32_f32_e32 v5, v2
	v_ashrrev_i32_e32 v6, 31, v5
	global_store_b64 v[0:1], v[5:6], off
.LBB480_2029:
	s_and_not1_b32 vcc_lo, exec_lo, s0
	s_cbranch_vccnz .LBB480_2031
; %bb.2030:
	v_cvt_f32_f16_e32 v2, v4
	s_delay_alu instid0(VALU_DEP_1)
	v_cvt_i32_f32_e32 v2, v2
	global_store_b32 v[0:1], v2, off
.LBB480_2031:
	s_mov_b32 s0, 0
.LBB480_2032:
	s_delay_alu instid0(SALU_CYCLE_1)
	s_and_not1_b32 vcc_lo, exec_lo, s0
	s_cbranch_vccnz .LBB480_2034
; %bb.2033:
	v_cvt_i16_f16_e32 v2, v4
	global_store_b16 v[0:1], v2, off
.LBB480_2034:
	s_mov_b32 s0, 0
.LBB480_2035:
	s_delay_alu instid0(SALU_CYCLE_1)
	s_and_not1_b32 vcc_lo, exec_lo, s0
	s_cbranch_vccnz .LBB480_2040
; %bb.2036:
	v_cmp_lt_i16_e32 vcc_lo, 0, v3
	s_mov_b32 s0, -1
	s_cbranch_vccz .LBB480_2038
; %bb.2037:
	v_cvt_i16_f16_e32 v2, v4
	s_mov_b32 s0, 0
	global_store_b8 v[0:1], v2, off
.LBB480_2038:
	s_and_not1_b32 vcc_lo, exec_lo, s0
	s_cbranch_vccnz .LBB480_2040
; %bb.2039:
	v_cvt_f32_f16_e32 v2, v4
	s_delay_alu instid0(VALU_DEP_1)
	v_cvt_i32_f32_e32 v2, v2
	global_store_b8 v[0:1], v2, off
	s_nop 0
	s_sendmsg sendmsg(MSG_DEALLOC_VGPRS)
	s_endpgm
.LBB480_2040:
	s_nop 0
	s_sendmsg sendmsg(MSG_DEALLOC_VGPRS)
	s_endpgm
.LBB480_2041:
	s_mov_b32 s1, 0
	s_mov_b32 s0, -1
	s_branch .LBB480_1997
.LBB480_2042:
	s_cbranch_execnz .LBB480_2046
; %bb.2043:
	s_or_b32 s10, s10, exec_lo
                                        ; implicit-def: $vgpr7
	s_cbranch_execz .LBB480_1511
	s_branch .LBB480_1512
.LBB480_2044:
	s_or_saveexec_b32 s7, s7
                                        ; implicit-def: $sgpr9
	s_delay_alu instid0(SALU_CYCLE_1)
	s_xor_b32 exec_lo, exec_lo, s7
	s_cbranch_execz .LBB480_1591
.LBB480_2045:
	v_add_f32_e64 v9, 0x46000000, |v8|
	s_and_not1_b32 s6, s6, exec_lo
	s_mov_b32 s9, 0
	s_delay_alu instid0(VALU_DEP_1) | instskip(NEXT) | instid1(VALU_DEP_1)
	v_and_b32_e32 v9, 0xff, v9
	v_cmp_ne_u32_e32 vcc_lo, 0, v9
	s_and_b32 s13, vcc_lo, exec_lo
	s_delay_alu instid0(SALU_CYCLE_1)
	s_or_b32 s6, s6, s13
	s_or_b32 exec_lo, exec_lo, s7
	v_mov_b32_e32 v10, s9
	s_and_saveexec_b32 s7, s6
	s_cbranch_execnz .LBB480_1592
	s_branch .LBB480_1593
.LBB480_2046:
	s_trap 2
	s_sendmsg_rtn_b32 s0, sendmsg(MSG_RTN_GET_DOORBELL)
	s_mov_b32 ttmp2, m0
	s_waitcnt lgkmcnt(0)
	s_and_b32 s0, s0, 0x3ff
	s_delay_alu instid0(SALU_CYCLE_1) | instskip(NEXT) | instid1(SALU_CYCLE_1)
	s_bitset1_b32 s0, 10
	s_mov_b32 m0, s0
	s_sendmsg sendmsg(MSG_INTERRUPT)
	s_mov_b32 m0, ttmp2
.LBB480_2047:                           ; =>This Inner Loop Header: Depth=1
	s_sethalt 5
	s_branch .LBB480_2047
.LBB480_2048:
	s_cbranch_execnz .LBB480_2054
; %bb.2049:
	s_or_b32 s10, s10, exec_lo
	s_cbranch_execz .LBB480_1639
	s_branch .LBB480_1640
.LBB480_2050:
	s_or_saveexec_b32 s6, s6
                                        ; implicit-def: $sgpr7
	s_delay_alu instid0(SALU_CYCLE_1)
	s_xor_b32 exec_lo, exec_lo, s6
	s_cbranch_execz .LBB480_1604
.LBB480_2051:
	v_add_f32_e64 v9, 0x42800000, |v8|
	s_and_not1_b32 s3, s3, exec_lo
	s_mov_b32 s7, 0
	s_delay_alu instid0(VALU_DEP_1) | instskip(NEXT) | instid1(VALU_DEP_1)
	v_and_b32_e32 v9, 0xff, v9
	v_cmp_ne_u32_e32 vcc_lo, 0, v9
	s_and_b32 s9, vcc_lo, exec_lo
	s_delay_alu instid0(SALU_CYCLE_1)
	s_or_b32 s3, s3, s9
	s_or_b32 exec_lo, exec_lo, s6
	v_mov_b32_e32 v10, s7
	s_and_saveexec_b32 s6, s3
	s_cbranch_execnz .LBB480_1605
	s_branch .LBB480_1606
.LBB480_2052:
	s_or_saveexec_b32 s7, s7
                                        ; implicit-def: $sgpr9
	s_delay_alu instid0(SALU_CYCLE_1)
	s_xor_b32 exec_lo, exec_lo, s7
	s_cbranch_execz .LBB480_1710
.LBB480_2053:
	v_add_f32_e64 v8, 0x46000000, |v5|
	s_and_not1_b32 s6, s6, exec_lo
	s_mov_b32 s9, 0
	s_delay_alu instid0(VALU_DEP_1) | instskip(NEXT) | instid1(VALU_DEP_1)
	v_and_b32_e32 v8, 0xff, v8
	v_cmp_ne_u32_e32 vcc_lo, 0, v8
	s_and_b32 s13, vcc_lo, exec_lo
	s_delay_alu instid0(SALU_CYCLE_1)
	s_or_b32 s6, s6, s13
	s_or_b32 exec_lo, exec_lo, s7
	v_mov_b32_e32 v9, s9
	s_and_saveexec_b32 s7, s6
	s_cbranch_execnz .LBB480_1711
	s_branch .LBB480_1712
.LBB480_2054:
	s_trap 2
	s_sendmsg_rtn_b32 s0, sendmsg(MSG_RTN_GET_DOORBELL)
	s_mov_b32 ttmp2, m0
	s_waitcnt lgkmcnt(0)
	s_and_b32 s0, s0, 0x3ff
	s_delay_alu instid0(SALU_CYCLE_1) | instskip(NEXT) | instid1(SALU_CYCLE_1)
	s_bitset1_b32 s0, 10
	s_mov_b32 m0, s0
	s_sendmsg sendmsg(MSG_INTERRUPT)
	s_mov_b32 m0, ttmp2
.LBB480_2055:                           ; =>This Inner Loop Header: Depth=1
	s_sethalt 5
	s_branch .LBB480_2055
.LBB480_2056:
	s_cbranch_execnz .LBB480_2062
; %bb.2057:
	s_or_b32 s10, s10, exec_lo
	s_cbranch_execz .LBB480_1758
	s_branch .LBB480_1759
.LBB480_2058:
	s_or_saveexec_b32 s6, s6
                                        ; implicit-def: $sgpr7
	s_delay_alu instid0(SALU_CYCLE_1)
	s_xor_b32 exec_lo, exec_lo, s6
	s_cbranch_execz .LBB480_1723
.LBB480_2059:
	v_add_f32_e64 v8, 0x42800000, |v5|
	s_and_not1_b32 s3, s3, exec_lo
	s_mov_b32 s7, 0
	s_delay_alu instid0(VALU_DEP_1) | instskip(NEXT) | instid1(VALU_DEP_1)
	v_and_b32_e32 v8, 0xff, v8
	v_cmp_ne_u32_e32 vcc_lo, 0, v8
	s_and_b32 s9, vcc_lo, exec_lo
	s_delay_alu instid0(SALU_CYCLE_1)
	s_or_b32 s3, s3, s9
	s_or_b32 exec_lo, exec_lo, s6
	v_mov_b32_e32 v9, s7
	s_and_saveexec_b32 s6, s3
	s_cbranch_execnz .LBB480_1724
	s_branch .LBB480_1725
.LBB480_2060:
	s_or_saveexec_b32 s7, s7
                                        ; implicit-def: $sgpr9
	s_delay_alu instid0(SALU_CYCLE_1)
	s_xor_b32 exec_lo, exec_lo, s7
	s_cbranch_execz .LBB480_1829
.LBB480_2061:
	v_add_f32_e64 v6, 0x46000000, |v5|
	s_and_not1_b32 s6, s6, exec_lo
	s_mov_b32 s9, 0
	s_delay_alu instid0(VALU_DEP_1) | instskip(NEXT) | instid1(VALU_DEP_1)
	v_and_b32_e32 v6, 0xff, v6
	v_cmp_ne_u32_e32 vcc_lo, 0, v6
	s_and_b32 s13, vcc_lo, exec_lo
	s_delay_alu instid0(SALU_CYCLE_1)
	s_or_b32 s6, s6, s13
	s_or_b32 exec_lo, exec_lo, s7
	v_mov_b32_e32 v8, s9
	s_and_saveexec_b32 s7, s6
	s_cbranch_execnz .LBB480_1830
	s_branch .LBB480_1831
.LBB480_2062:
	s_trap 2
	s_sendmsg_rtn_b32 s0, sendmsg(MSG_RTN_GET_DOORBELL)
	s_mov_b32 ttmp2, m0
	s_waitcnt lgkmcnt(0)
	s_and_b32 s0, s0, 0x3ff
	s_delay_alu instid0(SALU_CYCLE_1) | instskip(NEXT) | instid1(SALU_CYCLE_1)
	s_bitset1_b32 s0, 10
	s_mov_b32 m0, s0
	s_sendmsg sendmsg(MSG_INTERRUPT)
	s_mov_b32 m0, ttmp2
.LBB480_2063:                           ; =>This Inner Loop Header: Depth=1
	s_sethalt 5
	s_branch .LBB480_2063
.LBB480_2064:
	s_cbranch_execnz .LBB480_2070
; %bb.2065:
	s_or_b32 s10, s10, exec_lo
	s_cbranch_execz .LBB480_1877
	s_branch .LBB480_1878
.LBB480_2066:
	s_or_saveexec_b32 s6, s6
                                        ; implicit-def: $sgpr7
	s_delay_alu instid0(SALU_CYCLE_1)
	s_xor_b32 exec_lo, exec_lo, s6
	s_cbranch_execz .LBB480_1842
.LBB480_2067:
	v_add_f32_e64 v6, 0x42800000, |v5|
	s_and_not1_b32 s3, s3, exec_lo
	s_mov_b32 s7, 0
	s_delay_alu instid0(VALU_DEP_1) | instskip(NEXT) | instid1(VALU_DEP_1)
	v_and_b32_e32 v6, 0xff, v6
	v_cmp_ne_u32_e32 vcc_lo, 0, v6
	s_and_b32 s9, vcc_lo, exec_lo
	s_delay_alu instid0(SALU_CYCLE_1)
	s_or_b32 s3, s3, s9
	s_or_b32 exec_lo, exec_lo, s6
	v_mov_b32_e32 v8, s7
	s_and_saveexec_b32 s6, s3
	s_cbranch_execnz .LBB480_1843
	s_branch .LBB480_1844
.LBB480_2068:
	s_or_saveexec_b32 s4, s4
                                        ; implicit-def: $sgpr5
	s_delay_alu instid0(SALU_CYCLE_1)
	s_xor_b32 exec_lo, exec_lo, s4
	s_cbranch_execz .LBB480_1949
.LBB480_2069:
	v_add_f32_e64 v5, 0x46000000, |v2|
	s_and_not1_b32 s3, s3, exec_lo
	s_mov_b32 s5, 0
	s_delay_alu instid0(VALU_DEP_1) | instskip(NEXT) | instid1(VALU_DEP_1)
	v_and_b32_e32 v5, 0xff, v5
	v_cmp_ne_u32_e32 vcc_lo, 0, v5
	s_and_b32 s6, vcc_lo, exec_lo
	s_delay_alu instid0(SALU_CYCLE_1)
	s_or_b32 s3, s3, s6
	s_or_b32 exec_lo, exec_lo, s4
	v_mov_b32_e32 v6, s5
	s_and_saveexec_b32 s4, s3
	s_cbranch_execnz .LBB480_1950
	s_branch .LBB480_1951
.LBB480_2070:
	s_trap 2
	s_sendmsg_rtn_b32 s0, sendmsg(MSG_RTN_GET_DOORBELL)
	s_mov_b32 ttmp2, m0
	s_waitcnt lgkmcnt(0)
	s_and_b32 s0, s0, 0x3ff
	s_delay_alu instid0(SALU_CYCLE_1) | instskip(NEXT) | instid1(SALU_CYCLE_1)
	s_bitset1_b32 s0, 10
	s_mov_b32 m0, s0
	s_sendmsg sendmsg(MSG_INTERRUPT)
	s_mov_b32 m0, ttmp2
.LBB480_2071:                           ; =>This Inner Loop Header: Depth=1
	s_sethalt 5
	s_branch .LBB480_2071
.LBB480_2072:
	s_cbranch_execnz .LBB480_2076
; %bb.2073:
	s_mov_b32 s1, 0
	s_or_b32 s10, s10, exec_lo
	s_branch .LBB480_1995
.LBB480_2074:
	s_or_saveexec_b32 s3, s3
                                        ; implicit-def: $sgpr4
	s_delay_alu instid0(SALU_CYCLE_1)
	s_xor_b32 exec_lo, exec_lo, s3
	s_cbranch_execz .LBB480_1961
.LBB480_2075:
	v_add_f32_e64 v5, 0x42800000, |v2|
	s_and_not1_b32 s2, s2, exec_lo
	s_mov_b32 s4, 0
	s_delay_alu instid0(VALU_DEP_1) | instskip(NEXT) | instid1(VALU_DEP_1)
	v_and_b32_e32 v5, 0xff, v5
	v_cmp_ne_u32_e32 vcc_lo, 0, v5
	s_and_b32 s5, vcc_lo, exec_lo
	s_delay_alu instid0(SALU_CYCLE_1)
	s_or_b32 s2, s2, s5
	s_or_b32 exec_lo, exec_lo, s3
	v_mov_b32_e32 v6, s4
	s_and_saveexec_b32 s3, s2
	s_cbranch_execnz .LBB480_1962
	s_branch .LBB480_1963
.LBB480_2076:
	s_trap 2
	s_sendmsg_rtn_b32 s0, sendmsg(MSG_RTN_GET_DOORBELL)
	s_mov_b32 ttmp2, m0
	s_waitcnt lgkmcnt(0)
	s_and_b32 s0, s0, 0x3ff
	s_delay_alu instid0(SALU_CYCLE_1) | instskip(NEXT) | instid1(SALU_CYCLE_1)
	s_bitset1_b32 s0, 10
	s_mov_b32 m0, s0
	s_sendmsg sendmsg(MSG_INTERRUPT)
	s_mov_b32 m0, ttmp2
.LBB480_2077:                           ; =>This Inner Loop Header: Depth=1
	s_sethalt 5
	s_branch .LBB480_2077
	.section	.rodata,"a",@progbits
	.p2align	6, 0x0
	.amdhsa_kernel _ZN2at6native32elementwise_kernel_manual_unrollILi128ELi4EZNS0_15gpu_kernel_implIZZZNS0_21clamp_max_kernel_cudaERNS_18TensorIteratorBaseERKN3c106ScalarEENKUlvE_clEvENKUlvE6_clEvEUlNS5_4HalfEE_EEvS4_RKT_EUlibE_EEviT1_
		.amdhsa_group_segment_fixed_size 0
		.amdhsa_private_segment_fixed_size 0
		.amdhsa_kernarg_size 40
		.amdhsa_user_sgpr_count 15
		.amdhsa_user_sgpr_dispatch_ptr 0
		.amdhsa_user_sgpr_queue_ptr 0
		.amdhsa_user_sgpr_kernarg_segment_ptr 1
		.amdhsa_user_sgpr_dispatch_id 0
		.amdhsa_user_sgpr_private_segment_size 0
		.amdhsa_wavefront_size32 1
		.amdhsa_uses_dynamic_stack 0
		.amdhsa_enable_private_segment 0
		.amdhsa_system_sgpr_workgroup_id_x 1
		.amdhsa_system_sgpr_workgroup_id_y 0
		.amdhsa_system_sgpr_workgroup_id_z 0
		.amdhsa_system_sgpr_workgroup_info 0
		.amdhsa_system_vgpr_workitem_id 0
		.amdhsa_next_free_vgpr 12
		.amdhsa_next_free_sgpr 27
		.amdhsa_reserve_vcc 1
		.amdhsa_float_round_mode_32 0
		.amdhsa_float_round_mode_16_64 0
		.amdhsa_float_denorm_mode_32 3
		.amdhsa_float_denorm_mode_16_64 3
		.amdhsa_dx10_clamp 1
		.amdhsa_ieee_mode 1
		.amdhsa_fp16_overflow 0
		.amdhsa_workgroup_processor_mode 1
		.amdhsa_memory_ordered 1
		.amdhsa_forward_progress 0
		.amdhsa_shared_vgpr_count 0
		.amdhsa_exception_fp_ieee_invalid_op 0
		.amdhsa_exception_fp_denorm_src 0
		.amdhsa_exception_fp_ieee_div_zero 0
		.amdhsa_exception_fp_ieee_overflow 0
		.amdhsa_exception_fp_ieee_underflow 0
		.amdhsa_exception_fp_ieee_inexact 0
		.amdhsa_exception_int_div_zero 0
	.end_amdhsa_kernel
	.section	.text._ZN2at6native32elementwise_kernel_manual_unrollILi128ELi4EZNS0_15gpu_kernel_implIZZZNS0_21clamp_max_kernel_cudaERNS_18TensorIteratorBaseERKN3c106ScalarEENKUlvE_clEvENKUlvE6_clEvEUlNS5_4HalfEE_EEvS4_RKT_EUlibE_EEviT1_,"axG",@progbits,_ZN2at6native32elementwise_kernel_manual_unrollILi128ELi4EZNS0_15gpu_kernel_implIZZZNS0_21clamp_max_kernel_cudaERNS_18TensorIteratorBaseERKN3c106ScalarEENKUlvE_clEvENKUlvE6_clEvEUlNS5_4HalfEE_EEvS4_RKT_EUlibE_EEviT1_,comdat
.Lfunc_end480:
	.size	_ZN2at6native32elementwise_kernel_manual_unrollILi128ELi4EZNS0_15gpu_kernel_implIZZZNS0_21clamp_max_kernel_cudaERNS_18TensorIteratorBaseERKN3c106ScalarEENKUlvE_clEvENKUlvE6_clEvEUlNS5_4HalfEE_EEvS4_RKT_EUlibE_EEviT1_, .Lfunc_end480-_ZN2at6native32elementwise_kernel_manual_unrollILi128ELi4EZNS0_15gpu_kernel_implIZZZNS0_21clamp_max_kernel_cudaERNS_18TensorIteratorBaseERKN3c106ScalarEENKUlvE_clEvENKUlvE6_clEvEUlNS5_4HalfEE_EEvS4_RKT_EUlibE_EEviT1_
                                        ; -- End function
	.section	.AMDGPU.csdata,"",@progbits
; Kernel info:
; codeLenInByte = 38156
; NumSgprs: 29
; NumVgprs: 12
; ScratchSize: 0
; MemoryBound: 0
; FloatMode: 240
; IeeeMode: 1
; LDSByteSize: 0 bytes/workgroup (compile time only)
; SGPRBlocks: 3
; VGPRBlocks: 1
; NumSGPRsForWavesPerEU: 29
; NumVGPRsForWavesPerEU: 12
; Occupancy: 16
; WaveLimiterHint : 0
; COMPUTE_PGM_RSRC2:SCRATCH_EN: 0
; COMPUTE_PGM_RSRC2:USER_SGPR: 15
; COMPUTE_PGM_RSRC2:TRAP_HANDLER: 0
; COMPUTE_PGM_RSRC2:TGID_X_EN: 1
; COMPUTE_PGM_RSRC2:TGID_Y_EN: 0
; COMPUTE_PGM_RSRC2:TGID_Z_EN: 0
; COMPUTE_PGM_RSRC2:TIDIG_COMP_CNT: 0
	.section	.text._ZN2at6native32elementwise_kernel_manual_unrollILi128ELi4EZNS0_15gpu_kernel_implIZZZNS0_21clamp_max_kernel_cudaERNS_18TensorIteratorBaseERKN3c106ScalarEENKUlvE_clEvENKUlvE6_clEvEUlNS5_4HalfEE_EEvS4_RKT_EUlibE0_EEviT1_,"axG",@progbits,_ZN2at6native32elementwise_kernel_manual_unrollILi128ELi4EZNS0_15gpu_kernel_implIZZZNS0_21clamp_max_kernel_cudaERNS_18TensorIteratorBaseERKN3c106ScalarEENKUlvE_clEvENKUlvE6_clEvEUlNS5_4HalfEE_EEvS4_RKT_EUlibE0_EEviT1_,comdat
	.globl	_ZN2at6native32elementwise_kernel_manual_unrollILi128ELi4EZNS0_15gpu_kernel_implIZZZNS0_21clamp_max_kernel_cudaERNS_18TensorIteratorBaseERKN3c106ScalarEENKUlvE_clEvENKUlvE6_clEvEUlNS5_4HalfEE_EEvS4_RKT_EUlibE0_EEviT1_ ; -- Begin function _ZN2at6native32elementwise_kernel_manual_unrollILi128ELi4EZNS0_15gpu_kernel_implIZZZNS0_21clamp_max_kernel_cudaERNS_18TensorIteratorBaseERKN3c106ScalarEENKUlvE_clEvENKUlvE6_clEvEUlNS5_4HalfEE_EEvS4_RKT_EUlibE0_EEviT1_
	.p2align	8
	.type	_ZN2at6native32elementwise_kernel_manual_unrollILi128ELi4EZNS0_15gpu_kernel_implIZZZNS0_21clamp_max_kernel_cudaERNS_18TensorIteratorBaseERKN3c106ScalarEENKUlvE_clEvENKUlvE6_clEvEUlNS5_4HalfEE_EEvS4_RKT_EUlibE0_EEviT1_,@function
_ZN2at6native32elementwise_kernel_manual_unrollILi128ELi4EZNS0_15gpu_kernel_implIZZZNS0_21clamp_max_kernel_cudaERNS_18TensorIteratorBaseERKN3c106ScalarEENKUlvE_clEvENKUlvE6_clEvEUlNS5_4HalfEE_EEvS4_RKT_EUlibE0_EEviT1_: ; @_ZN2at6native32elementwise_kernel_manual_unrollILi128ELi4EZNS0_15gpu_kernel_implIZZZNS0_21clamp_max_kernel_cudaERNS_18TensorIteratorBaseERKN3c106ScalarEENKUlvE_clEvENKUlvE6_clEvEUlNS5_4HalfEE_EEvS4_RKT_EUlibE0_EEviT1_
; %bb.0:
	s_clause 0x1
	s_load_b32 s24, s[0:1], 0x8
	s_load_b32 s34, s[0:1], 0x0
	v_lshl_or_b32 v4, s15, 9, v0
	s_or_b32 s16, s0, 8
	s_mov_b32 s3, -1
	s_mov_b32 s26, 0
	s_mov_b32 s17, s1
	v_or_b32_e32 v8, 0x180, v4
	s_mov_b32 s8, 0
	s_mov_b32 s2, exec_lo
	s_waitcnt lgkmcnt(0)
	s_add_i32 s25, s24, -1
	s_delay_alu instid0(SALU_CYCLE_1)
	s_cmp_gt_u32 s25, 1
	s_cselect_b32 s27, -1, 0
	v_cmpx_le_i32_e64 s34, v8
	s_xor_b32 s28, exec_lo, s2
	s_cbranch_execz .LBB481_1076
; %bb.1:
	s_clause 0x5
	s_load_b128 s[8:11], s[16:17], 0x4
	s_load_b32 s2, s[0:1], 0x160
	s_load_b64 s[18:19], s[16:17], 0x14
	s_load_b128 s[12:15], s[16:17], 0xc4
	s_load_b128 s[4:7], s[16:17], 0x148
	s_load_b32 s29, s[16:17], 0x158
	s_cmp_lg_u32 s24, 0
	s_mov_b32 s40, 0
	s_cselect_b32 s36, -1, 0
	s_add_u32 s20, s16, 0xc4
	s_addc_u32 s21, s17, 0
	s_min_u32 s35, s25, 15
	s_cmp_gt_u32 s24, 1
	s_mov_b32 s38, 0
	s_cselect_b32 s33, -1, 0
	s_mov_b32 s37, 0
	s_mov_b32 s39, exec_lo
	s_waitcnt lgkmcnt(0)
	s_lshr_b32 s30, s2, 16
	s_lshr_b32 s31, s2, 24
	v_cmpx_gt_i32_e64 s34, v4
	s_cbranch_execz .LBB481_263
; %bb.2:
	s_and_not1_b32 vcc_lo, exec_lo, s27
	s_cbranch_vccnz .LBB481_7
; %bb.3:
	v_dual_mov_b32 v0, 0 :: v_dual_mov_b32 v1, 0
	s_and_not1_b32 vcc_lo, exec_lo, s36
	s_cbranch_vccnz .LBB481_12
; %bb.4:
	v_mov_b32_e32 v0, 0
	s_add_i32 s41, s35, 1
	s_cmp_eq_u32 s25, 2
	s_cbranch_scc1 .LBB481_8
; %bb.5:
	v_dual_mov_b32 v1, 0 :: v_dual_mov_b32 v0, 0
	v_mov_b32_e32 v2, v4
	s_and_b32 s38, s41, 28
	s_mov_b32 s42, 0
	s_mov_b64 s[2:3], s[20:21]
	s_mov_b64 s[22:23], s[16:17]
.LBB481_6:                              ; =>This Inner Loop Header: Depth=1
	s_clause 0x1
	s_load_b256 s[44:51], s[22:23], 0x4
	s_load_b128 s[60:63], s[22:23], 0x24
	s_load_b256 s[52:59], s[2:3], 0x0
	s_add_u32 s22, s22, 48
	s_addc_u32 s23, s23, 0
	s_add_i32 s42, s42, 4
	s_add_u32 s2, s2, 32
	s_addc_u32 s3, s3, 0
	s_cmp_lg_u32 s38, s42
	s_waitcnt lgkmcnt(0)
	v_mul_hi_u32 v3, s45, v2
	s_delay_alu instid0(VALU_DEP_1) | instskip(NEXT) | instid1(VALU_DEP_1)
	v_add_nc_u32_e32 v3, v2, v3
	v_lshrrev_b32_e32 v3, s46, v3
	s_delay_alu instid0(VALU_DEP_1) | instskip(SKIP_1) | instid1(VALU_DEP_2)
	v_mul_hi_u32 v5, s48, v3
	v_mul_lo_u32 v7, v3, s44
	v_add_nc_u32_e32 v5, v3, v5
	s_delay_alu instid0(VALU_DEP_2) | instskip(NEXT) | instid1(VALU_DEP_2)
	v_sub_nc_u32_e32 v2, v2, v7
	v_lshrrev_b32_e32 v5, s49, v5
	s_delay_alu instid0(VALU_DEP_2) | instskip(SKIP_1) | instid1(VALU_DEP_3)
	v_mul_lo_u32 v7, v2, s52
	v_mul_lo_u32 v9, v2, s53
	v_mul_hi_u32 v6, s51, v5
	s_delay_alu instid0(VALU_DEP_1) | instskip(NEXT) | instid1(VALU_DEP_1)
	v_add_nc_u32_e32 v6, v5, v6
	v_lshrrev_b32_e32 v6, s60, v6
	s_delay_alu instid0(VALU_DEP_1) | instskip(SKIP_1) | instid1(VALU_DEP_2)
	v_mul_hi_u32 v8, s62, v6
	v_mul_lo_u32 v10, v6, s50
	v_add_nc_u32_e32 v2, v6, v8
	v_mul_lo_u32 v8, v5, s47
	s_delay_alu instid0(VALU_DEP_3) | instskip(NEXT) | instid1(VALU_DEP_3)
	v_sub_nc_u32_e32 v5, v5, v10
	v_lshrrev_b32_e32 v2, s63, v2
	s_delay_alu instid0(VALU_DEP_2) | instskip(SKIP_2) | instid1(VALU_DEP_4)
	v_mul_lo_u32 v10, v5, s56
	v_mul_lo_u32 v5, v5, s57
	v_sub_nc_u32_e32 v3, v3, v8
	v_mul_lo_u32 v11, v2, s61
	s_delay_alu instid0(VALU_DEP_2) | instskip(SKIP_1) | instid1(VALU_DEP_3)
	v_mul_lo_u32 v8, v3, s54
	v_mul_lo_u32 v3, v3, s55
	v_sub_nc_u32_e32 v6, v6, v11
	s_delay_alu instid0(VALU_DEP_3) | instskip(NEXT) | instid1(VALU_DEP_2)
	v_add3_u32 v0, v7, v0, v8
	v_mul_lo_u32 v11, v6, s58
	v_mul_lo_u32 v6, v6, s59
	v_add3_u32 v1, v9, v1, v3
	s_delay_alu instid0(VALU_DEP_3) | instskip(NEXT) | instid1(VALU_DEP_2)
	v_add3_u32 v0, v10, v0, v11
	v_add3_u32 v1, v5, v1, v6
	s_cbranch_scc1 .LBB481_6
	s_branch .LBB481_9
.LBB481_7:
	s_mov_b32 s37, -1
                                        ; implicit-def: $vgpr0
                                        ; implicit-def: $vgpr1
	s_branch .LBB481_12
.LBB481_8:
	v_dual_mov_b32 v2, v4 :: v_dual_mov_b32 v1, 0
.LBB481_9:
	s_and_b32 s41, s41, 3
	s_delay_alu instid0(SALU_CYCLE_1)
	s_cmp_eq_u32 s41, 0
	s_cbranch_scc1 .LBB481_12
; %bb.10:
	s_lshl_b32 s2, s38, 3
	s_mul_i32 s22, s38, 12
	s_add_u32 s2, s2, s16
	s_addc_u32 s3, s17, 0
	s_add_u32 s2, s2, 0xc4
	s_addc_u32 s3, s3, 0
	;; [unrolled: 2-line block ×3, first 2 shown]
	.p2align	6
.LBB481_11:                             ; =>This Inner Loop Header: Depth=1
	s_clause 0x1
	s_load_b64 s[42:43], s[22:23], 0x4
	s_load_b32 s38, s[22:23], 0xc
	s_load_b64 s[44:45], s[2:3], 0x0
	s_add_u32 s22, s22, 12
	s_addc_u32 s23, s23, 0
	s_add_u32 s2, s2, 8
	s_addc_u32 s3, s3, 0
	s_add_i32 s41, s41, -1
	s_delay_alu instid0(SALU_CYCLE_1) | instskip(SKIP_2) | instid1(VALU_DEP_1)
	s_cmp_lg_u32 s41, 0
	s_waitcnt lgkmcnt(0)
	v_mul_hi_u32 v3, s43, v2
	v_add_nc_u32_e32 v3, v2, v3
	s_delay_alu instid0(VALU_DEP_1) | instskip(NEXT) | instid1(VALU_DEP_1)
	v_lshrrev_b32_e32 v3, s38, v3
	v_mul_lo_u32 v5, v3, s42
	s_delay_alu instid0(VALU_DEP_1) | instskip(NEXT) | instid1(VALU_DEP_1)
	v_sub_nc_u32_e32 v2, v2, v5
	v_mad_u64_u32 v[5:6], null, v2, s44, v[0:1]
	v_mad_u64_u32 v[6:7], null, v2, s45, v[1:2]
	v_mov_b32_e32 v2, v3
	s_delay_alu instid0(VALU_DEP_2)
	v_dual_mov_b32 v0, v5 :: v_dual_mov_b32 v1, v6
	s_cbranch_scc1 .LBB481_11
.LBB481_12:
	s_and_not1_b32 vcc_lo, exec_lo, s37
	s_cbranch_vccnz .LBB481_15
; %bb.13:
	v_mul_hi_u32 v0, s9, v4
	s_and_not1_b32 vcc_lo, exec_lo, s33
	s_delay_alu instid0(VALU_DEP_1) | instskip(NEXT) | instid1(VALU_DEP_1)
	v_add_nc_u32_e32 v0, v4, v0
	v_lshrrev_b32_e32 v2, s10, v0
	s_delay_alu instid0(VALU_DEP_1) | instskip(NEXT) | instid1(VALU_DEP_1)
	v_mul_lo_u32 v0, v2, s8
	v_sub_nc_u32_e32 v1, v4, v0
	s_delay_alu instid0(VALU_DEP_1)
	v_mul_lo_u32 v0, v1, s12
	v_mul_lo_u32 v1, v1, s13
	s_cbranch_vccnz .LBB481_15
; %bb.14:
	v_mul_hi_u32 v3, s18, v2
	s_delay_alu instid0(VALU_DEP_1) | instskip(NEXT) | instid1(VALU_DEP_1)
	v_add_nc_u32_e32 v3, v2, v3
	v_lshrrev_b32_e32 v3, s19, v3
	s_delay_alu instid0(VALU_DEP_1) | instskip(NEXT) | instid1(VALU_DEP_1)
	v_mul_lo_u32 v3, v3, s11
	v_sub_nc_u32_e32 v7, v2, v3
	s_delay_alu instid0(VALU_DEP_1) | instskip(NEXT) | instid1(VALU_DEP_1)
	v_mad_u64_u32 v[2:3], null, v7, s14, v[0:1]
	v_mad_u64_u32 v[5:6], null, v7, s15, v[1:2]
	s_delay_alu instid0(VALU_DEP_1)
	v_dual_mov_b32 v0, v2 :: v_dual_mov_b32 v1, v5
.LBB481_15:
	v_cmp_lt_i16_e64 s2, s31, 11
	s_delay_alu instid0(VALU_DEP_2) | instskip(NEXT) | instid1(VALU_DEP_1)
	v_add_co_u32 v1, s3, s6, v1
	v_add_co_ci_u32_e64 v2, null, s7, 0, s3
	s_delay_alu instid0(VALU_DEP_3)
	s_and_b32 vcc_lo, exec_lo, s2
	s_mov_b32 s3, 0
	s_cbranch_vccnz .LBB481_22
; %bb.16:
	v_cmp_gt_i16_e64 s2, s31, 25
	s_delay_alu instid0(VALU_DEP_1)
	s_and_b32 vcc_lo, exec_lo, s2
	s_cbranch_vccz .LBB481_141
; %bb.17:
	v_cmp_gt_i16_e64 s2, s31, 28
	s_delay_alu instid0(VALU_DEP_1)
	s_and_b32 vcc_lo, exec_lo, s2
	s_cbranch_vccz .LBB481_142
	;; [unrolled: 5-line block ×4, first 2 shown]
; %bb.20:
	v_cmp_eq_u16_e64 s2, s31, 46
	s_mov_b32 s22, 0
	s_delay_alu instid0(VALU_DEP_1)
	s_and_b32 vcc_lo, exec_lo, s2
	s_cbranch_vccz .LBB481_145
; %bb.21:
	global_load_b32 v3, v[1:2], off
	s_mov_b32 s2, -1
	s_waitcnt vmcnt(0)
	v_lshlrev_b32_e32 v3, 16, v3
	s_delay_alu instid0(VALU_DEP_1)
	v_cvt_f16_f32_e32 v5, v3
	s_branch .LBB481_147
.LBB481_22:
	s_mov_b32 s2, 0
                                        ; implicit-def: $vgpr5
	s_cbranch_execnz .LBB481_213
.LBB481_23:
	s_and_not1_b32 vcc_lo, exec_lo, s2
	s_cbranch_vccnz .LBB481_260
.LBB481_24:
	s_waitcnt vmcnt(0)
	s_delay_alu instid0(VALU_DEP_1) | instskip(SKIP_4) | instid1(VALU_DEP_2)
	v_cmp_u_f16_e32 vcc_lo, v5, v5
	v_cmp_gt_f16_e64 s2, s29, v5
	v_and_b32_e64 v3, 0xff, s30
	s_mov_b32 s22, 0
	s_mov_b32 s23, -1
	s_or_b32 vcc_lo, vcc_lo, s2
	v_add_co_u32 v0, s2, s4, v0
	v_cndmask_b32_e32 v2, s29, v5, vcc_lo
	v_cmp_gt_i16_e32 vcc_lo, 11, v3
	v_add_co_ci_u32_e64 v1, null, s5, 0, s2
	s_mov_b32 s2, 0
	s_cbranch_vccnz .LBB481_101
; %bb.25:
	v_cmp_lt_i16_e32 vcc_lo, 25, v3
	s_cbranch_vccz .LBB481_58
; %bb.26:
	v_cmp_lt_i16_e32 vcc_lo, 28, v3
	s_cbranch_vccz .LBB481_41
; %bb.27:
	v_cmp_lt_i16_e32 vcc_lo, 43, v3
	s_cbranch_vccz .LBB481_37
; %bb.28:
	v_cmp_lt_i16_e32 vcc_lo, 45, v3
	s_cbranch_vccz .LBB481_31
; %bb.29:
	v_cmp_eq_u16_e32 vcc_lo, 46, v3
	s_mov_b32 s23, 0
	s_mov_b32 s22, -1
	s_cbranch_vccz .LBB481_31
; %bb.30:
	v_cvt_f32_f16_e32 v5, v2
	v_cmp_o_f16_e32 vcc_lo, v2, v2
	s_mov_b32 s2, -1
	s_mov_b32 s22, 0
	s_delay_alu instid0(VALU_DEP_2) | instskip(NEXT) | instid1(VALU_DEP_1)
	v_bfe_u32 v6, v5, 16, 1
	v_add3_u32 v5, v5, v6, 0x7fff
	s_delay_alu instid0(VALU_DEP_1) | instskip(NEXT) | instid1(VALU_DEP_1)
	v_lshrrev_b32_e32 v5, 16, v5
	v_cndmask_b32_e32 v5, 0x7fc0, v5, vcc_lo
	global_store_b32 v[0:1], v5, off
.LBB481_31:
	s_and_b32 vcc_lo, exec_lo, s23
	s_cbranch_vccz .LBB481_36
; %bb.32:
	v_cmp_eq_u16_e32 vcc_lo, 44, v3
	s_mov_b32 s22, -1
	s_cbranch_vccz .LBB481_36
; %bb.33:
	v_cvt_f32_f16_e32 v5, v2
	v_mov_b32_e32 v6, 0xff
	s_mov_b32 s22, exec_lo
	s_delay_alu instid0(VALU_DEP_2) | instskip(NEXT) | instid1(VALU_DEP_1)
	v_bfe_u32 v7, v5, 23, 8
	v_cmpx_ne_u32_e32 0xff, v7
; %bb.34:
	v_and_b32_e32 v6, 0x400000, v5
	v_and_or_b32 v7, 0x3fffff, v5, v7
	v_lshrrev_b32_e32 v5, 23, v5
	s_delay_alu instid0(VALU_DEP_3) | instskip(NEXT) | instid1(VALU_DEP_3)
	v_cmp_ne_u32_e32 vcc_lo, 0, v6
	v_cmp_ne_u32_e64 s2, 0, v7
	s_delay_alu instid0(VALU_DEP_1) | instskip(NEXT) | instid1(SALU_CYCLE_1)
	s_and_b32 s2, vcc_lo, s2
	v_cndmask_b32_e64 v6, 0, 1, s2
	s_delay_alu instid0(VALU_DEP_1)
	v_add_nc_u32_e32 v6, v5, v6
; %bb.35:
	s_or_b32 exec_lo, exec_lo, s22
	s_mov_b32 s2, -1
	s_mov_b32 s22, 0
	global_store_b8 v[0:1], v6, off
.LBB481_36:
	s_mov_b32 s23, 0
.LBB481_37:
	s_delay_alu instid0(SALU_CYCLE_1)
	s_and_b32 vcc_lo, exec_lo, s23
	s_cbranch_vccz .LBB481_40
; %bb.38:
	v_cmp_eq_u16_e32 vcc_lo, 29, v3
	s_mov_b32 s22, -1
	s_cbranch_vccz .LBB481_40
; %bb.39:
	v_cvt_f32_f16_e32 v5, v2
	v_mov_b32_e32 v6, 0
	s_mov_b32 s22, 0
	s_mov_b32 s2, -1
	s_delay_alu instid0(VALU_DEP_2)
	v_cvt_u32_f32_e32 v5, v5
	global_store_b64 v[0:1], v[5:6], off
.LBB481_40:
	s_mov_b32 s23, 0
.LBB481_41:
	s_delay_alu instid0(SALU_CYCLE_1)
	s_and_b32 vcc_lo, exec_lo, s23
	s_cbranch_vccz .LBB481_57
; %bb.42:
	v_cmp_gt_i16_e32 vcc_lo, 27, v3
	s_mov_b32 s2, -1
	s_cbranch_vccnz .LBB481_48
; %bb.43:
	v_cmp_lt_i16_e32 vcc_lo, 27, v3
	s_cbranch_vccz .LBB481_45
; %bb.44:
	v_cvt_f32_f16_e32 v5, v2
	s_mov_b32 s2, 0
	s_delay_alu instid0(VALU_DEP_1)
	v_cvt_u32_f32_e32 v5, v5
	global_store_b32 v[0:1], v5, off
.LBB481_45:
	s_and_not1_b32 vcc_lo, exec_lo, s2
	s_cbranch_vccnz .LBB481_47
; %bb.46:
	v_cvt_u16_f16_e32 v5, v2
	global_store_b16 v[0:1], v5, off
.LBB481_47:
	s_mov_b32 s2, 0
.LBB481_48:
	s_delay_alu instid0(SALU_CYCLE_1)
	s_and_not1_b32 vcc_lo, exec_lo, s2
	s_cbranch_vccnz .LBB481_56
; %bb.49:
	v_cvt_f32_f16_e32 v5, v2
	v_mov_b32_e32 v7, 0x80
	s_mov_b32 s2, exec_lo
	s_delay_alu instid0(VALU_DEP_2) | instskip(NEXT) | instid1(VALU_DEP_1)
	v_and_b32_e32 v6, 0x7fffffff, v5
	v_cmpx_gt_u32_e32 0x43800000, v6
	s_cbranch_execz .LBB481_55
; %bb.50:
	v_cmp_lt_u32_e32 vcc_lo, 0x3bffffff, v6
	s_mov_b32 s23, 0
                                        ; implicit-def: $vgpr6
	s_and_saveexec_b32 s37, vcc_lo
	s_delay_alu instid0(SALU_CYCLE_1)
	s_xor_b32 s37, exec_lo, s37
	s_cbranch_execz .LBB481_150
; %bb.51:
	v_bfe_u32 v6, v5, 20, 1
	s_mov_b32 s23, exec_lo
	s_delay_alu instid0(VALU_DEP_1) | instskip(NEXT) | instid1(VALU_DEP_1)
	v_add3_u32 v6, v5, v6, 0x487ffff
	v_lshrrev_b32_e32 v6, 20, v6
	s_or_saveexec_b32 s37, s37
                                        ; implicit-def: $sgpr38
	s_delay_alu instid0(SALU_CYCLE_1)
	s_xor_b32 exec_lo, exec_lo, s37
	s_cbranch_execnz .LBB481_151
.LBB481_52:
	s_or_b32 exec_lo, exec_lo, s37
	v_mov_b32_e32 v7, s38
	s_and_saveexec_b32 s37, s23
.LBB481_53:
	v_lshrrev_b32_e32 v5, 24, v5
	s_delay_alu instid0(VALU_DEP_1)
	v_and_or_b32 v7, 0x80, v5, v6
.LBB481_54:
	s_or_b32 exec_lo, exec_lo, s37
.LBB481_55:
	s_delay_alu instid0(SALU_CYCLE_1)
	s_or_b32 exec_lo, exec_lo, s2
	global_store_b8 v[0:1], v7, off
.LBB481_56:
	s_mov_b32 s2, -1
.LBB481_57:
	s_mov_b32 s23, 0
.LBB481_58:
	s_delay_alu instid0(SALU_CYCLE_1)
	s_and_b32 vcc_lo, exec_lo, s23
	s_cbranch_vccz .LBB481_99
; %bb.59:
	v_cmp_lt_i16_e32 vcc_lo, 22, v3
	s_mov_b32 s23, -1
	s_cbranch_vccz .LBB481_91
; %bb.60:
	v_cmp_gt_i16_e32 vcc_lo, 24, v3
	s_mov_b32 s2, -1
	s_cbranch_vccnz .LBB481_80
; %bb.61:
	v_cmp_lt_i16_e32 vcc_lo, 24, v3
	s_cbranch_vccz .LBB481_69
; %bb.62:
	v_cvt_f32_f16_e32 v5, v2
	v_mov_b32_e32 v7, 0x80
	s_mov_b32 s2, exec_lo
	s_delay_alu instid0(VALU_DEP_2) | instskip(NEXT) | instid1(VALU_DEP_1)
	v_and_b32_e32 v6, 0x7fffffff, v5
	v_cmpx_gt_u32_e32 0x47800000, v6
	s_cbranch_execz .LBB481_68
; %bb.63:
	v_cmp_lt_u32_e32 vcc_lo, 0x37ffffff, v6
	s_mov_b32 s23, 0
                                        ; implicit-def: $vgpr6
	s_and_saveexec_b32 s37, vcc_lo
	s_delay_alu instid0(SALU_CYCLE_1)
	s_xor_b32 s37, exec_lo, s37
	s_cbranch_execz .LBB481_341
; %bb.64:
	v_bfe_u32 v6, v5, 21, 1
	s_mov_b32 s23, exec_lo
	s_delay_alu instid0(VALU_DEP_1) | instskip(NEXT) | instid1(VALU_DEP_1)
	v_add3_u32 v6, v5, v6, 0x88fffff
	v_lshrrev_b32_e32 v6, 21, v6
	s_or_saveexec_b32 s37, s37
                                        ; implicit-def: $sgpr38
	s_delay_alu instid0(SALU_CYCLE_1)
	s_xor_b32 exec_lo, exec_lo, s37
	s_cbranch_execnz .LBB481_342
.LBB481_65:
	s_or_b32 exec_lo, exec_lo, s37
	v_mov_b32_e32 v7, s38
	s_and_saveexec_b32 s37, s23
.LBB481_66:
	v_lshrrev_b32_e32 v5, 24, v5
	s_delay_alu instid0(VALU_DEP_1)
	v_and_or_b32 v7, 0x80, v5, v6
.LBB481_67:
	s_or_b32 exec_lo, exec_lo, s37
.LBB481_68:
	s_delay_alu instid0(SALU_CYCLE_1)
	s_or_b32 exec_lo, exec_lo, s2
	s_mov_b32 s2, 0
	global_store_b8 v[0:1], v7, off
.LBB481_69:
	s_and_b32 vcc_lo, exec_lo, s2
	s_cbranch_vccz .LBB481_79
; %bb.70:
	v_cvt_f32_f16_e32 v5, v2
	s_mov_b32 s2, exec_lo
                                        ; implicit-def: $vgpr6
	s_delay_alu instid0(VALU_DEP_1) | instskip(NEXT) | instid1(VALU_DEP_1)
	v_and_b32_e32 v7, 0x7fffffff, v5
	v_cmpx_gt_u32_e32 0x43f00000, v7
	s_xor_b32 s2, exec_lo, s2
	s_cbranch_execz .LBB481_76
; %bb.71:
	s_mov_b32 s23, exec_lo
                                        ; implicit-def: $vgpr6
	v_cmpx_lt_u32_e32 0x3c7fffff, v7
	s_xor_b32 s23, exec_lo, s23
; %bb.72:
	v_bfe_u32 v6, v5, 20, 1
	s_delay_alu instid0(VALU_DEP_1) | instskip(NEXT) | instid1(VALU_DEP_1)
	v_add3_u32 v6, v5, v6, 0x407ffff
	v_and_b32_e32 v7, 0xff00000, v6
	v_lshrrev_b32_e32 v6, 20, v6
	s_delay_alu instid0(VALU_DEP_2) | instskip(NEXT) | instid1(VALU_DEP_2)
	v_cmp_ne_u32_e32 vcc_lo, 0x7f00000, v7
	v_cndmask_b32_e32 v6, 0x7e, v6, vcc_lo
; %bb.73:
	s_and_not1_saveexec_b32 s23, s23
; %bb.74:
	v_add_f32_e64 v6, 0x46800000, |v5|
; %bb.75:
	s_or_b32 exec_lo, exec_lo, s23
                                        ; implicit-def: $vgpr7
.LBB481_76:
	s_and_not1_saveexec_b32 s2, s2
; %bb.77:
	v_mov_b32_e32 v6, 0x7f
	v_cmp_lt_u32_e32 vcc_lo, 0x7f800000, v7
	s_delay_alu instid0(VALU_DEP_2)
	v_cndmask_b32_e32 v6, 0x7e, v6, vcc_lo
; %bb.78:
	s_or_b32 exec_lo, exec_lo, s2
	v_lshrrev_b32_e32 v5, 24, v5
	s_delay_alu instid0(VALU_DEP_1)
	v_and_or_b32 v5, 0x80, v5, v6
	global_store_b8 v[0:1], v5, off
.LBB481_79:
	s_mov_b32 s2, 0
.LBB481_80:
	s_delay_alu instid0(SALU_CYCLE_1)
	s_and_not1_b32 vcc_lo, exec_lo, s2
	s_cbranch_vccnz .LBB481_90
; %bb.81:
	v_cvt_f32_f16_e32 v5, v2
	s_mov_b32 s2, exec_lo
                                        ; implicit-def: $vgpr6
	s_delay_alu instid0(VALU_DEP_1) | instskip(NEXT) | instid1(VALU_DEP_1)
	v_and_b32_e32 v7, 0x7fffffff, v5
	v_cmpx_gt_u32_e32 0x47800000, v7
	s_xor_b32 s2, exec_lo, s2
	s_cbranch_execz .LBB481_87
; %bb.82:
	s_mov_b32 s23, exec_lo
                                        ; implicit-def: $vgpr6
	v_cmpx_lt_u32_e32 0x387fffff, v7
	s_xor_b32 s23, exec_lo, s23
; %bb.83:
	v_bfe_u32 v6, v5, 21, 1
	s_delay_alu instid0(VALU_DEP_1) | instskip(NEXT) | instid1(VALU_DEP_1)
	v_add3_u32 v6, v5, v6, 0x80fffff
	v_lshrrev_b32_e32 v6, 21, v6
; %bb.84:
	s_and_not1_saveexec_b32 s23, s23
; %bb.85:
	v_add_f32_e64 v6, 0x43000000, |v5|
; %bb.86:
	s_or_b32 exec_lo, exec_lo, s23
                                        ; implicit-def: $vgpr7
.LBB481_87:
	s_and_not1_saveexec_b32 s2, s2
; %bb.88:
	v_mov_b32_e32 v6, 0x7f
	v_cmp_lt_u32_e32 vcc_lo, 0x7f800000, v7
	s_delay_alu instid0(VALU_DEP_2)
	v_cndmask_b32_e32 v6, 0x7c, v6, vcc_lo
; %bb.89:
	s_or_b32 exec_lo, exec_lo, s2
	v_lshrrev_b32_e32 v5, 24, v5
	s_delay_alu instid0(VALU_DEP_1)
	v_and_or_b32 v5, 0x80, v5, v6
	global_store_b8 v[0:1], v5, off
.LBB481_90:
	s_mov_b32 s23, 0
	s_mov_b32 s2, -1
.LBB481_91:
	s_and_not1_b32 vcc_lo, exec_lo, s23
	s_cbranch_vccnz .LBB481_99
; %bb.92:
	v_cmp_lt_i16_e32 vcc_lo, 14, v3
	s_mov_b32 s23, -1
	s_cbranch_vccz .LBB481_96
; %bb.93:
	v_cmp_eq_u16_e32 vcc_lo, 15, v3
	s_mov_b32 s22, -1
	s_cbranch_vccz .LBB481_95
; %bb.94:
	v_cvt_f32_f16_e32 v5, v2
	v_cmp_o_f16_e32 vcc_lo, v2, v2
	s_mov_b32 s2, -1
	s_mov_b32 s22, 0
	s_delay_alu instid0(VALU_DEP_2) | instskip(NEXT) | instid1(VALU_DEP_1)
	v_bfe_u32 v6, v5, 16, 1
	v_add3_u32 v5, v5, v6, 0x7fff
	s_delay_alu instid0(VALU_DEP_1) | instskip(NEXT) | instid1(VALU_DEP_1)
	v_lshrrev_b32_e32 v5, 16, v5
	v_cndmask_b32_e32 v5, 0x7fc0, v5, vcc_lo
	global_store_b16 v[0:1], v5, off
.LBB481_95:
	s_mov_b32 s23, 0
.LBB481_96:
	s_delay_alu instid0(SALU_CYCLE_1)
	s_and_b32 vcc_lo, exec_lo, s23
	s_cbranch_vccz .LBB481_99
; %bb.97:
	v_cmp_eq_u16_e32 vcc_lo, 11, v3
	s_mov_b32 s22, -1
	s_cbranch_vccz .LBB481_99
; %bb.98:
	v_and_b32_e32 v5, 0x7fff, v2
	s_mov_b32 s22, 0
	s_mov_b32 s2, -1
	s_delay_alu instid0(VALU_DEP_1)
	v_cmp_ne_u16_e32 vcc_lo, 0, v5
	v_cndmask_b32_e64 v5, 0, 1, vcc_lo
	global_store_b8 v[0:1], v5, off
.LBB481_99:
.LBB481_100:
	s_and_not1_b32 vcc_lo, exec_lo, s2
	s_cbranch_vccz .LBB481_140
	s_branch .LBB481_261
.LBB481_101:
	s_and_b32 vcc_lo, exec_lo, s23
	s_cbranch_vccz .LBB481_100
; %bb.102:
	v_cmp_gt_i16_e32 vcc_lo, 5, v3
	s_mov_b32 s2, -1
	s_cbranch_vccnz .LBB481_123
; %bb.103:
	v_cmp_gt_i16_e32 vcc_lo, 8, v3
	s_cbranch_vccnz .LBB481_113
; %bb.104:
	v_cmp_gt_i16_e32 vcc_lo, 9, v3
	s_cbranch_vccnz .LBB481_110
; %bb.105:
	v_cmp_lt_i16_e32 vcc_lo, 9, v3
	s_cbranch_vccz .LBB481_107
; %bb.106:
	v_cvt_f32_f16_e32 v5, v2
	v_mov_b32_e32 v7, 0
	s_mov_b32 s2, 0
	s_delay_alu instid0(VALU_DEP_2) | instskip(NEXT) | instid1(VALU_DEP_2)
	v_cvt_f64_f32_e32 v[5:6], v5
	v_mov_b32_e32 v8, v7
	global_store_b128 v[0:1], v[5:8], off
.LBB481_107:
	s_and_not1_b32 vcc_lo, exec_lo, s2
	s_cbranch_vccnz .LBB481_109
; %bb.108:
	v_cvt_f32_f16_e32 v5, v2
	v_mov_b32_e32 v6, 0
	global_store_b64 v[0:1], v[5:6], off
.LBB481_109:
	s_mov_b32 s2, 0
.LBB481_110:
	s_delay_alu instid0(SALU_CYCLE_1)
	s_and_not1_b32 vcc_lo, exec_lo, s2
	s_cbranch_vccnz .LBB481_112
; %bb.111:
	v_and_b32_e32 v5, 0xffff, v2
	global_store_b32 v[0:1], v5, off
.LBB481_112:
	s_mov_b32 s2, 0
.LBB481_113:
	s_delay_alu instid0(SALU_CYCLE_1)
	s_and_not1_b32 vcc_lo, exec_lo, s2
	s_cbranch_vccnz .LBB481_122
; %bb.114:
	v_cmp_gt_i16_e32 vcc_lo, 6, v3
	s_mov_b32 s2, -1
	s_cbranch_vccnz .LBB481_120
; %bb.115:
	v_cmp_lt_i16_e32 vcc_lo, 6, v3
	s_cbranch_vccz .LBB481_117
; %bb.116:
	v_cvt_f32_f16_e32 v5, v2
	s_mov_b32 s2, 0
	s_delay_alu instid0(VALU_DEP_1)
	v_cvt_f64_f32_e32 v[5:6], v5
	global_store_b64 v[0:1], v[5:6], off
.LBB481_117:
	s_and_not1_b32 vcc_lo, exec_lo, s2
	s_cbranch_vccnz .LBB481_119
; %bb.118:
	v_cvt_f32_f16_e32 v5, v2
	global_store_b32 v[0:1], v5, off
.LBB481_119:
	s_mov_b32 s2, 0
.LBB481_120:
	s_delay_alu instid0(SALU_CYCLE_1)
	s_and_not1_b32 vcc_lo, exec_lo, s2
	s_cbranch_vccnz .LBB481_122
; %bb.121:
	global_store_b16 v[0:1], v2, off
.LBB481_122:
	s_mov_b32 s2, 0
.LBB481_123:
	s_delay_alu instid0(SALU_CYCLE_1)
	s_and_not1_b32 vcc_lo, exec_lo, s2
	s_cbranch_vccnz .LBB481_139
; %bb.124:
	v_cmp_gt_i16_e32 vcc_lo, 2, v3
	s_mov_b32 s2, -1
	s_cbranch_vccnz .LBB481_134
; %bb.125:
	v_cmp_gt_i16_e32 vcc_lo, 3, v3
	s_cbranch_vccnz .LBB481_131
; %bb.126:
	v_cmp_lt_i16_e32 vcc_lo, 3, v3
	s_cbranch_vccz .LBB481_128
; %bb.127:
	v_cvt_f32_f16_e32 v5, v2
	s_mov_b32 s2, 0
	s_delay_alu instid0(VALU_DEP_1) | instskip(NEXT) | instid1(VALU_DEP_1)
	v_cvt_i32_f32_e32 v5, v5
	v_ashrrev_i32_e32 v6, 31, v5
	global_store_b64 v[0:1], v[5:6], off
.LBB481_128:
	s_and_not1_b32 vcc_lo, exec_lo, s2
	s_cbranch_vccnz .LBB481_130
; %bb.129:
	v_cvt_f32_f16_e32 v5, v2
	s_delay_alu instid0(VALU_DEP_1)
	v_cvt_i32_f32_e32 v5, v5
	global_store_b32 v[0:1], v5, off
.LBB481_130:
	s_mov_b32 s2, 0
.LBB481_131:
	s_delay_alu instid0(SALU_CYCLE_1)
	s_and_not1_b32 vcc_lo, exec_lo, s2
	s_cbranch_vccnz .LBB481_133
; %bb.132:
	v_cvt_i16_f16_e32 v5, v2
	global_store_b16 v[0:1], v5, off
.LBB481_133:
	s_mov_b32 s2, 0
.LBB481_134:
	s_delay_alu instid0(SALU_CYCLE_1)
	s_and_not1_b32 vcc_lo, exec_lo, s2
	s_cbranch_vccnz .LBB481_139
; %bb.135:
	v_cmp_lt_i16_e32 vcc_lo, 0, v3
	s_mov_b32 s2, -1
	s_cbranch_vccz .LBB481_137
; %bb.136:
	v_cvt_i16_f16_e32 v3, v2
	s_mov_b32 s2, 0
	global_store_b8 v[0:1], v3, off
.LBB481_137:
	s_and_not1_b32 vcc_lo, exec_lo, s2
	s_cbranch_vccnz .LBB481_139
; %bb.138:
	v_cvt_f32_f16_e32 v2, v2
	s_delay_alu instid0(VALU_DEP_1)
	v_cvt_i32_f32_e32 v2, v2
	global_store_b8 v[0:1], v2, off
.LBB481_139:
.LBB481_140:
	v_add_nc_u32_e32 v4, 0x80, v4
	s_mov_b32 s2, -1
	s_branch .LBB481_262
.LBB481_141:
	s_mov_b32 s2, 0
                                        ; implicit-def: $vgpr5
	s_cbranch_execnz .LBB481_178
	s_branch .LBB481_212
.LBB481_142:
	s_mov_b32 s22, -1
	s_mov_b32 s2, 0
                                        ; implicit-def: $vgpr5
	s_branch .LBB481_159
.LBB481_143:
	s_mov_b32 s22, -1
	s_mov_b32 s2, 0
                                        ; implicit-def: $vgpr5
	s_branch .LBB481_154
.LBB481_144:
	s_mov_b32 s22, -1
	s_branch .LBB481_146
.LBB481_145:
	s_mov_b32 s3, -1
.LBB481_146:
	s_mov_b32 s2, 0
                                        ; implicit-def: $vgpr5
.LBB481_147:
	s_and_b32 vcc_lo, exec_lo, s22
	s_cbranch_vccz .LBB481_153
; %bb.148:
	v_cmp_eq_u16_e64 s3, s31, 44
	s_delay_alu instid0(VALU_DEP_1)
	s_and_b32 vcc_lo, exec_lo, s3
	s_cbranch_vccz .LBB481_152
; %bb.149:
	global_load_u8 v3, v[1:2], off
	s_mov_b32 s3, 0
	s_mov_b32 s2, -1
	s_waitcnt vmcnt(0)
	v_lshlrev_b32_e32 v5, 23, v3
	v_cmp_ne_u32_e32 vcc_lo, 0xff, v3
	s_delay_alu instid0(VALU_DEP_2) | instskip(NEXT) | instid1(VALU_DEP_1)
	v_cvt_f16_f32_e32 v5, v5
	v_cndmask_b32_e32 v5, 0x7e00, v5, vcc_lo
	v_cmp_ne_u32_e32 vcc_lo, 0, v3
	s_delay_alu instid0(VALU_DEP_2)
	v_cndmask_b32_e32 v5, 0, v5, vcc_lo
	s_branch .LBB481_153
.LBB481_150:
	s_or_saveexec_b32 s37, s37
                                        ; implicit-def: $sgpr38
	s_delay_alu instid0(SALU_CYCLE_1)
	s_xor_b32 exec_lo, exec_lo, s37
	s_cbranch_execz .LBB481_52
.LBB481_151:
	v_add_f32_e64 v6, 0x46000000, |v5|
	s_and_not1_b32 s23, s23, exec_lo
	s_mov_b32 s38, 0
	s_delay_alu instid0(VALU_DEP_1) | instskip(NEXT) | instid1(VALU_DEP_1)
	v_and_b32_e32 v6, 0xff, v6
	v_cmp_ne_u32_e32 vcc_lo, 0, v6
	s_and_b32 s41, vcc_lo, exec_lo
	s_delay_alu instid0(SALU_CYCLE_1)
	s_or_b32 s23, s23, s41
	s_or_b32 exec_lo, exec_lo, s37
	v_mov_b32_e32 v7, s38
	s_and_saveexec_b32 s37, s23
	s_cbranch_execnz .LBB481_53
	s_branch .LBB481_54
.LBB481_152:
	s_mov_b32 s3, -1
                                        ; implicit-def: $vgpr5
.LBB481_153:
	s_mov_b32 s22, 0
.LBB481_154:
	s_delay_alu instid0(SALU_CYCLE_1)
	s_and_b32 vcc_lo, exec_lo, s22
	s_cbranch_vccz .LBB481_158
; %bb.155:
	v_cmp_eq_u16_e64 s3, s31, 29
	s_delay_alu instid0(VALU_DEP_1)
	s_and_b32 vcc_lo, exec_lo, s3
	s_cbranch_vccz .LBB481_157
; %bb.156:
	global_load_b64 v[5:6], v[1:2], off
	s_mov_b32 s2, -1
	s_mov_b32 s3, 0
	s_mov_b32 s22, 0
	s_waitcnt vmcnt(0)
	v_clz_i32_u32_e32 v3, v6
	s_delay_alu instid0(VALU_DEP_1) | instskip(NEXT) | instid1(VALU_DEP_1)
	v_min_u32_e32 v3, 32, v3
	v_lshlrev_b64 v[5:6], v3, v[5:6]
	v_sub_nc_u32_e32 v3, 32, v3
	s_delay_alu instid0(VALU_DEP_2) | instskip(NEXT) | instid1(VALU_DEP_1)
	v_min_u32_e32 v5, 1, v5
	v_or_b32_e32 v5, v6, v5
	s_delay_alu instid0(VALU_DEP_1) | instskip(NEXT) | instid1(VALU_DEP_1)
	v_cvt_f32_u32_e32 v5, v5
	v_ldexp_f32 v3, v5, v3
	s_delay_alu instid0(VALU_DEP_1)
	v_cvt_f16_f32_e32 v5, v3
	s_branch .LBB481_159
.LBB481_157:
	s_mov_b32 s3, -1
                                        ; implicit-def: $vgpr5
.LBB481_158:
	s_mov_b32 s22, 0
.LBB481_159:
	s_delay_alu instid0(SALU_CYCLE_1)
	s_and_b32 vcc_lo, exec_lo, s22
	s_cbranch_vccz .LBB481_177
; %bb.160:
	v_cmp_lt_i16_e64 s2, s31, 27
	s_delay_alu instid0(VALU_DEP_1)
	s_and_b32 vcc_lo, exec_lo, s2
	s_cbranch_vccnz .LBB481_163
; %bb.161:
	v_cmp_gt_i16_e64 s2, s31, 27
	s_delay_alu instid0(VALU_DEP_1)
	s_and_b32 vcc_lo, exec_lo, s2
	s_cbranch_vccz .LBB481_164
; %bb.162:
	global_load_b32 v3, v[1:2], off
	s_mov_b32 s2, 0
	s_waitcnt vmcnt(0)
	v_cvt_f32_u32_e32 v3, v3
	s_delay_alu instid0(VALU_DEP_1)
	v_cvt_f16_f32_e32 v5, v3
	s_branch .LBB481_165
.LBB481_163:
	s_mov_b32 s2, -1
                                        ; implicit-def: $vgpr5
	s_branch .LBB481_168
.LBB481_164:
	s_mov_b32 s2, -1
                                        ; implicit-def: $vgpr5
.LBB481_165:
	s_delay_alu instid0(SALU_CYCLE_1)
	s_and_not1_b32 vcc_lo, exec_lo, s2
	s_cbranch_vccnz .LBB481_167
; %bb.166:
	global_load_u16 v3, v[1:2], off
	s_waitcnt vmcnt(0)
	v_cvt_f16_u16_e32 v5, v3
.LBB481_167:
	s_mov_b32 s2, 0
.LBB481_168:
	s_delay_alu instid0(SALU_CYCLE_1)
	s_and_not1_b32 vcc_lo, exec_lo, s2
	s_cbranch_vccnz .LBB481_176
; %bb.169:
	global_load_u8 v3, v[1:2], off
	s_mov_b32 s2, 0
	s_mov_b32 s23, exec_lo
                                        ; implicit-def: $sgpr22
	s_waitcnt vmcnt(0)
	v_cmpx_lt_i16_e32 0x7f, v3
	s_xor_b32 s23, exec_lo, s23
	s_cbranch_execz .LBB481_189
; %bb.170:
	s_mov_b32 s2, -1
	s_mov_b32 s37, exec_lo
                                        ; implicit-def: $sgpr22
	v_cmpx_eq_u16_e32 0x80, v3
; %bb.171:
	s_movk_i32 s22, 0x7e00
	s_xor_b32 s2, exec_lo, -1
; %bb.172:
	s_or_b32 exec_lo, exec_lo, s37
	s_delay_alu instid0(SALU_CYCLE_1)
	s_and_b32 s2, s2, exec_lo
	s_or_saveexec_b32 s23, s23
	v_mov_b32_e32 v5, s22
	s_xor_b32 exec_lo, exec_lo, s23
	s_cbranch_execnz .LBB481_190
.LBB481_173:
	s_or_b32 exec_lo, exec_lo, s23
	s_and_saveexec_b32 s22, s2
	s_cbranch_execz .LBB481_175
.LBB481_174:
	v_and_b32_e32 v5, 0xffff, v3
	v_lshlrev_b32_e32 v3, 24, v3
	s_delay_alu instid0(VALU_DEP_2) | instskip(NEXT) | instid1(VALU_DEP_2)
	v_and_b32_e32 v6, 7, v5
	v_and_b32_e32 v3, 0x80000000, v3
	s_delay_alu instid0(VALU_DEP_2) | instskip(NEXT) | instid1(VALU_DEP_1)
	v_clz_i32_u32_e32 v7, v6
	v_min_u32_e32 v7, 32, v7
	s_delay_alu instid0(VALU_DEP_1) | instskip(SKIP_1) | instid1(VALU_DEP_2)
	v_subrev_nc_u32_e32 v8, 28, v7
	v_sub_nc_u32_e32 v7, 29, v7
	v_lshlrev_b32_e32 v8, v8, v5
	v_bfe_u32 v5, v5, 3, 4
	s_delay_alu instid0(VALU_DEP_2) | instskip(NEXT) | instid1(VALU_DEP_2)
	v_and_b32_e32 v8, 7, v8
	v_cmp_eq_u32_e32 vcc_lo, 0, v5
	s_delay_alu instid0(VALU_DEP_2) | instskip(NEXT) | instid1(VALU_DEP_1)
	v_dual_cndmask_b32 v5, v5, v7 :: v_dual_cndmask_b32 v6, v6, v8
	v_lshl_add_u32 v5, v5, 23, 0x3b800000
	s_delay_alu instid0(VALU_DEP_2) | instskip(NEXT) | instid1(VALU_DEP_1)
	v_lshlrev_b32_e32 v6, 20, v6
	v_or3_b32 v3, v3, v5, v6
	s_delay_alu instid0(VALU_DEP_1)
	v_cvt_f16_f32_e32 v5, v3
.LBB481_175:
	s_or_b32 exec_lo, exec_lo, s22
.LBB481_176:
	s_mov_b32 s2, -1
.LBB481_177:
	s_branch .LBB481_212
.LBB481_178:
	v_cmp_gt_i16_e64 s22, s31, 22
	s_delay_alu instid0(VALU_DEP_1)
	s_and_b32 vcc_lo, exec_lo, s22
	s_cbranch_vccz .LBB481_188
; %bb.179:
	v_cmp_lt_i16_e64 s2, s31, 24
	s_delay_alu instid0(VALU_DEP_1)
	s_and_b32 vcc_lo, exec_lo, s2
	s_cbranch_vccnz .LBB481_191
; %bb.180:
	v_cmp_gt_i16_e64 s2, s31, 24
	s_delay_alu instid0(VALU_DEP_1)
	s_and_b32 vcc_lo, exec_lo, s2
	s_cbranch_vccz .LBB481_192
; %bb.181:
	global_load_u8 v3, v[1:2], off
	s_mov_b32 s2, 0
	s_mov_b32 s23, exec_lo
                                        ; implicit-def: $sgpr22
	s_waitcnt vmcnt(0)
	v_cmpx_lt_i16_e32 0x7f, v3
	s_xor_b32 s23, exec_lo, s23
	s_cbranch_execz .LBB481_204
; %bb.182:
	s_mov_b32 s2, -1
	s_mov_b32 s37, exec_lo
                                        ; implicit-def: $sgpr22
	v_cmpx_eq_u16_e32 0x80, v3
; %bb.183:
	s_movk_i32 s22, 0x7e00
	s_xor_b32 s2, exec_lo, -1
; %bb.184:
	s_or_b32 exec_lo, exec_lo, s37
	s_delay_alu instid0(SALU_CYCLE_1)
	s_and_b32 s2, s2, exec_lo
	s_or_saveexec_b32 s23, s23
	v_mov_b32_e32 v5, s22
	s_xor_b32 exec_lo, exec_lo, s23
	s_cbranch_execnz .LBB481_205
.LBB481_185:
	s_or_b32 exec_lo, exec_lo, s23
	s_and_saveexec_b32 s22, s2
	s_cbranch_execz .LBB481_187
.LBB481_186:
	v_and_b32_e32 v5, 0xffff, v3
	v_lshlrev_b32_e32 v3, 24, v3
	s_delay_alu instid0(VALU_DEP_2) | instskip(NEXT) | instid1(VALU_DEP_2)
	v_and_b32_e32 v6, 3, v5
	v_and_b32_e32 v3, 0x80000000, v3
	s_delay_alu instid0(VALU_DEP_2) | instskip(NEXT) | instid1(VALU_DEP_1)
	v_clz_i32_u32_e32 v7, v6
	v_min_u32_e32 v7, 32, v7
	s_delay_alu instid0(VALU_DEP_1) | instskip(SKIP_1) | instid1(VALU_DEP_2)
	v_subrev_nc_u32_e32 v8, 29, v7
	v_sub_nc_u32_e32 v7, 30, v7
	v_lshlrev_b32_e32 v8, v8, v5
	v_bfe_u32 v5, v5, 2, 5
	s_delay_alu instid0(VALU_DEP_2) | instskip(NEXT) | instid1(VALU_DEP_2)
	v_and_b32_e32 v8, 3, v8
	v_cmp_eq_u32_e32 vcc_lo, 0, v5
	s_delay_alu instid0(VALU_DEP_2) | instskip(NEXT) | instid1(VALU_DEP_1)
	v_dual_cndmask_b32 v5, v5, v7 :: v_dual_cndmask_b32 v6, v6, v8
	v_lshl_add_u32 v5, v5, 23, 0x37800000
	s_delay_alu instid0(VALU_DEP_2) | instskip(NEXT) | instid1(VALU_DEP_1)
	v_lshlrev_b32_e32 v6, 21, v6
	v_or3_b32 v3, v3, v5, v6
	s_delay_alu instid0(VALU_DEP_1)
	v_cvt_f16_f32_e32 v5, v3
.LBB481_187:
	s_or_b32 exec_lo, exec_lo, s22
	s_mov_b32 s2, 0
	s_branch .LBB481_193
.LBB481_188:
	s_mov_b32 s22, -1
                                        ; implicit-def: $vgpr5
	s_branch .LBB481_199
.LBB481_189:
	s_or_saveexec_b32 s23, s23
	v_mov_b32_e32 v5, s22
	s_xor_b32 exec_lo, exec_lo, s23
	s_cbranch_execz .LBB481_173
.LBB481_190:
	v_cmp_ne_u16_e32 vcc_lo, 0, v3
	v_mov_b32_e32 v5, v3
	s_and_not1_b32 s2, s2, exec_lo
	s_and_b32 s22, vcc_lo, exec_lo
	s_delay_alu instid0(SALU_CYCLE_1)
	s_or_b32 s2, s2, s22
	s_or_b32 exec_lo, exec_lo, s23
	s_and_saveexec_b32 s22, s2
	s_cbranch_execnz .LBB481_174
	s_branch .LBB481_175
.LBB481_191:
	s_mov_b32 s2, -1
                                        ; implicit-def: $vgpr5
	s_branch .LBB481_196
.LBB481_192:
	s_mov_b32 s2, -1
                                        ; implicit-def: $vgpr5
.LBB481_193:
	s_delay_alu instid0(SALU_CYCLE_1)
	s_and_b32 vcc_lo, exec_lo, s2
	s_cbranch_vccz .LBB481_195
; %bb.194:
	global_load_u8 v3, v[1:2], off
	s_waitcnt vmcnt(0)
	v_lshlrev_b32_e32 v3, 24, v3
	s_delay_alu instid0(VALU_DEP_1) | instskip(NEXT) | instid1(VALU_DEP_1)
	v_and_b32_e32 v5, 0x7f000000, v3
	v_clz_i32_u32_e32 v6, v5
	v_cmp_ne_u32_e32 vcc_lo, 0, v5
	v_add_nc_u32_e32 v8, 0x1000000, v5
	s_delay_alu instid0(VALU_DEP_3) | instskip(NEXT) | instid1(VALU_DEP_1)
	v_min_u32_e32 v6, 32, v6
	v_sub_nc_u32_e64 v6, v6, 4 clamp
	s_delay_alu instid0(VALU_DEP_1) | instskip(SKIP_1) | instid1(VALU_DEP_2)
	v_lshlrev_b32_e32 v7, v6, v5
	v_lshlrev_b32_e32 v6, 23, v6
	v_lshrrev_b32_e32 v7, 4, v7
	s_delay_alu instid0(VALU_DEP_1) | instskip(SKIP_1) | instid1(VALU_DEP_2)
	v_sub_nc_u32_e32 v6, v7, v6
	v_ashrrev_i32_e32 v7, 8, v8
	v_add_nc_u32_e32 v6, 0x3c000000, v6
	s_delay_alu instid0(VALU_DEP_1) | instskip(NEXT) | instid1(VALU_DEP_1)
	v_and_or_b32 v6, 0x7f800000, v7, v6
	v_cndmask_b32_e32 v5, 0, v6, vcc_lo
	s_delay_alu instid0(VALU_DEP_1) | instskip(NEXT) | instid1(VALU_DEP_1)
	v_and_or_b32 v3, 0x80000000, v3, v5
	v_cvt_f16_f32_e32 v5, v3
.LBB481_195:
	s_mov_b32 s2, 0
.LBB481_196:
	s_delay_alu instid0(SALU_CYCLE_1)
	s_and_not1_b32 vcc_lo, exec_lo, s2
	s_cbranch_vccnz .LBB481_198
; %bb.197:
	global_load_u8 v3, v[1:2], off
	s_waitcnt vmcnt(0)
	v_lshlrev_b32_e32 v5, 25, v3
	v_lshlrev_b16 v3, 8, v3
	s_delay_alu instid0(VALU_DEP_2) | instskip(NEXT) | instid1(VALU_DEP_2)
	v_lshrrev_b32_e32 v6, 4, v5
	v_and_or_b32 v7, 0x7f00, v3, 0.5
	v_bfe_i32 v3, v3, 0, 16
	s_delay_alu instid0(VALU_DEP_3) | instskip(NEXT) | instid1(VALU_DEP_1)
	v_or_b32_e32 v6, 0x70000000, v6
	v_dual_add_f32 v7, -0.5, v7 :: v_dual_mul_f32 v6, 0x7800000, v6
	v_cmp_gt_u32_e32 vcc_lo, 0x8000000, v5
	s_delay_alu instid0(VALU_DEP_2) | instskip(NEXT) | instid1(VALU_DEP_1)
	v_cndmask_b32_e32 v5, v6, v7, vcc_lo
	v_and_or_b32 v3, 0x80000000, v3, v5
	s_delay_alu instid0(VALU_DEP_1)
	v_cvt_f16_f32_e32 v5, v3
.LBB481_198:
	s_mov_b32 s22, 0
	s_mov_b32 s2, -1
.LBB481_199:
	s_and_not1_b32 vcc_lo, exec_lo, s22
	s_cbranch_vccnz .LBB481_212
; %bb.200:
	v_cmp_gt_i16_e64 s22, s31, 14
	s_delay_alu instid0(VALU_DEP_1)
	s_and_b32 vcc_lo, exec_lo, s22
	s_cbranch_vccz .LBB481_203
; %bb.201:
	v_cmp_eq_u16_e64 s3, s31, 15
	s_delay_alu instid0(VALU_DEP_1)
	s_and_b32 vcc_lo, exec_lo, s3
	s_cbranch_vccz .LBB481_206
; %bb.202:
	global_load_u16 v3, v[1:2], off
	s_mov_b32 s2, -1
	s_mov_b32 s3, 0
	s_waitcnt vmcnt(0)
	v_lshlrev_b32_e32 v3, 16, v3
	s_delay_alu instid0(VALU_DEP_1)
	v_cvt_f16_f32_e32 v5, v3
	s_branch .LBB481_207
.LBB481_203:
	s_mov_b32 s22, -1
                                        ; implicit-def: $vgpr5
	s_branch .LBB481_208
.LBB481_204:
	s_or_saveexec_b32 s23, s23
	v_mov_b32_e32 v5, s22
	s_xor_b32 exec_lo, exec_lo, s23
	s_cbranch_execz .LBB481_185
.LBB481_205:
	v_cmp_ne_u16_e32 vcc_lo, 0, v3
	v_mov_b32_e32 v5, v3
	s_and_not1_b32 s2, s2, exec_lo
	s_and_b32 s22, vcc_lo, exec_lo
	s_delay_alu instid0(SALU_CYCLE_1)
	s_or_b32 s2, s2, s22
	s_or_b32 exec_lo, exec_lo, s23
	s_and_saveexec_b32 s22, s2
	s_cbranch_execnz .LBB481_186
	s_branch .LBB481_187
.LBB481_206:
	s_mov_b32 s3, -1
                                        ; implicit-def: $vgpr5
.LBB481_207:
	s_mov_b32 s22, 0
.LBB481_208:
	s_delay_alu instid0(SALU_CYCLE_1)
	s_and_b32 vcc_lo, exec_lo, s22
	s_cbranch_vccz .LBB481_212
; %bb.209:
	v_cmp_eq_u16_e64 s3, s31, 11
	s_delay_alu instid0(VALU_DEP_1)
	s_and_b32 vcc_lo, exec_lo, s3
	s_cbranch_vccz .LBB481_211
; %bb.210:
	global_load_u8 v3, v[1:2], off
	s_mov_b32 s3, 0
	s_mov_b32 s2, -1
	s_waitcnt vmcnt(0)
	v_cmp_ne_u16_e32 vcc_lo, 0, v3
	v_cndmask_b32_e64 v5, 0, 0x3c00, vcc_lo
	s_branch .LBB481_212
.LBB481_211:
	s_mov_b32 s3, -1
                                        ; implicit-def: $vgpr5
.LBB481_212:
	s_branch .LBB481_23
.LBB481_213:
	v_cmp_lt_i16_e64 s2, s31, 5
	s_delay_alu instid0(VALU_DEP_1)
	s_and_b32 vcc_lo, exec_lo, s2
	s_cbranch_vccnz .LBB481_218
; %bb.214:
	v_cmp_lt_i16_e64 s2, s31, 8
	s_delay_alu instid0(VALU_DEP_1)
	s_and_b32 vcc_lo, exec_lo, s2
	s_cbranch_vccnz .LBB481_219
; %bb.215:
	;; [unrolled: 5-line block ×3, first 2 shown]
	v_cmp_gt_i16_e64 s2, s31, 9
	s_delay_alu instid0(VALU_DEP_1)
	s_and_b32 vcc_lo, exec_lo, s2
	s_cbranch_vccz .LBB481_221
; %bb.217:
	global_load_b64 v[5:6], v[1:2], off
	s_mov_b32 s2, 0
	s_waitcnt vmcnt(0)
	v_cvt_f32_f64_e32 v3, v[5:6]
	s_delay_alu instid0(VALU_DEP_1)
	v_cvt_f16_f32_e32 v5, v3
	s_branch .LBB481_222
.LBB481_218:
                                        ; implicit-def: $vgpr5
	s_branch .LBB481_240
.LBB481_219:
	s_mov_b32 s2, -1
                                        ; implicit-def: $vgpr5
	s_branch .LBB481_228
.LBB481_220:
	s_mov_b32 s2, -1
                                        ; implicit-def: $vgpr5
	s_branch .LBB481_225
.LBB481_221:
	s_mov_b32 s2, -1
                                        ; implicit-def: $vgpr5
.LBB481_222:
	s_delay_alu instid0(SALU_CYCLE_1)
	s_and_not1_b32 vcc_lo, exec_lo, s2
	s_cbranch_vccnz .LBB481_224
; %bb.223:
	global_load_b32 v3, v[1:2], off
	s_waitcnt vmcnt(0)
	v_cvt_f16_f32_e32 v5, v3
.LBB481_224:
	s_mov_b32 s2, 0
.LBB481_225:
	s_delay_alu instid0(SALU_CYCLE_1)
	s_and_not1_b32 vcc_lo, exec_lo, s2
	s_cbranch_vccnz .LBB481_227
; %bb.226:
	global_load_b32 v5, v[1:2], off
.LBB481_227:
	s_mov_b32 s2, 0
.LBB481_228:
	s_delay_alu instid0(SALU_CYCLE_1)
	s_and_not1_b32 vcc_lo, exec_lo, s2
	s_cbranch_vccnz .LBB481_239
; %bb.229:
	v_cmp_lt_i16_e64 s2, s31, 6
	s_delay_alu instid0(VALU_DEP_1)
	s_and_b32 vcc_lo, exec_lo, s2
	s_cbranch_vccnz .LBB481_232
; %bb.230:
	v_cmp_gt_i16_e64 s2, s31, 6
	s_delay_alu instid0(VALU_DEP_1)
	s_and_b32 vcc_lo, exec_lo, s2
	s_cbranch_vccz .LBB481_233
; %bb.231:
	global_load_b64 v[5:6], v[1:2], off
	s_mov_b32 s2, 0
	s_waitcnt vmcnt(0)
	v_cvt_f32_f64_e32 v3, v[5:6]
	s_delay_alu instid0(VALU_DEP_1)
	v_cvt_f16_f32_e32 v5, v3
	s_branch .LBB481_234
.LBB481_232:
	s_mov_b32 s2, -1
                                        ; implicit-def: $vgpr5
	s_branch .LBB481_237
.LBB481_233:
	s_mov_b32 s2, -1
                                        ; implicit-def: $vgpr5
.LBB481_234:
	s_delay_alu instid0(SALU_CYCLE_1)
	s_and_not1_b32 vcc_lo, exec_lo, s2
	s_cbranch_vccnz .LBB481_236
; %bb.235:
	global_load_b32 v3, v[1:2], off
	s_waitcnt vmcnt(0)
	v_cvt_f16_f32_e32 v5, v3
.LBB481_236:
	s_mov_b32 s2, 0
.LBB481_237:
	s_delay_alu instid0(SALU_CYCLE_1)
	s_and_not1_b32 vcc_lo, exec_lo, s2
	s_cbranch_vccnz .LBB481_239
; %bb.238:
	global_load_u16 v5, v[1:2], off
.LBB481_239:
	s_cbranch_execnz .LBB481_259
.LBB481_240:
	v_cmp_lt_i16_e64 s2, s31, 2
	s_delay_alu instid0(VALU_DEP_1)
	s_and_b32 vcc_lo, exec_lo, s2
	s_cbranch_vccnz .LBB481_244
; %bb.241:
	v_cmp_lt_i16_e64 s2, s31, 3
	s_delay_alu instid0(VALU_DEP_1)
	s_and_b32 vcc_lo, exec_lo, s2
	s_cbranch_vccnz .LBB481_245
; %bb.242:
	v_cmp_gt_i16_e64 s2, s31, 3
	s_delay_alu instid0(VALU_DEP_1)
	s_and_b32 vcc_lo, exec_lo, s2
	s_cbranch_vccz .LBB481_246
; %bb.243:
	global_load_b64 v[5:6], v[1:2], off
	s_mov_b32 s2, 0
	s_waitcnt vmcnt(0)
	v_xor_b32_e32 v3, v5, v6
	v_cls_i32_e32 v7, v6
	s_delay_alu instid0(VALU_DEP_2) | instskip(NEXT) | instid1(VALU_DEP_2)
	v_ashrrev_i32_e32 v3, 31, v3
	v_add_nc_u32_e32 v7, -1, v7
	s_delay_alu instid0(VALU_DEP_2) | instskip(NEXT) | instid1(VALU_DEP_1)
	v_add_nc_u32_e32 v3, 32, v3
	v_min_u32_e32 v3, v7, v3
	s_delay_alu instid0(VALU_DEP_1) | instskip(SKIP_1) | instid1(VALU_DEP_2)
	v_lshlrev_b64 v[5:6], v3, v[5:6]
	v_sub_nc_u32_e32 v3, 32, v3
	v_min_u32_e32 v5, 1, v5
	s_delay_alu instid0(VALU_DEP_1) | instskip(NEXT) | instid1(VALU_DEP_1)
	v_or_b32_e32 v5, v6, v5
	v_cvt_f32_i32_e32 v5, v5
	s_delay_alu instid0(VALU_DEP_1) | instskip(NEXT) | instid1(VALU_DEP_1)
	v_ldexp_f32 v3, v5, v3
	v_cvt_f16_f32_e32 v5, v3
	s_branch .LBB481_247
.LBB481_244:
	s_mov_b32 s2, -1
                                        ; implicit-def: $vgpr5
	s_branch .LBB481_253
.LBB481_245:
	s_mov_b32 s2, -1
                                        ; implicit-def: $vgpr5
	s_branch .LBB481_250
.LBB481_246:
	s_mov_b32 s2, -1
                                        ; implicit-def: $vgpr5
.LBB481_247:
	s_delay_alu instid0(SALU_CYCLE_1)
	s_and_not1_b32 vcc_lo, exec_lo, s2
	s_cbranch_vccnz .LBB481_249
; %bb.248:
	global_load_b32 v3, v[1:2], off
	s_waitcnt vmcnt(0)
	v_cvt_f32_i32_e32 v3, v3
	s_delay_alu instid0(VALU_DEP_1)
	v_cvt_f16_f32_e32 v5, v3
.LBB481_249:
	s_mov_b32 s2, 0
.LBB481_250:
	s_delay_alu instid0(SALU_CYCLE_1)
	s_and_not1_b32 vcc_lo, exec_lo, s2
	s_cbranch_vccnz .LBB481_252
; %bb.251:
	global_load_u16 v3, v[1:2], off
	s_waitcnt vmcnt(0)
	v_cvt_f16_i16_e32 v5, v3
.LBB481_252:
	s_mov_b32 s2, 0
.LBB481_253:
	s_delay_alu instid0(SALU_CYCLE_1)
	s_and_not1_b32 vcc_lo, exec_lo, s2
	s_cbranch_vccnz .LBB481_259
; %bb.254:
	v_cmp_gt_i16_e64 s2, s31, 0
	s_delay_alu instid0(VALU_DEP_1)
	s_and_b32 vcc_lo, exec_lo, s2
	s_mov_b32 s2, 0
	s_cbranch_vccz .LBB481_256
; %bb.255:
	global_load_i8 v3, v[1:2], off
	s_waitcnt vmcnt(0)
	v_cvt_f16_i16_e32 v5, v3
	s_branch .LBB481_257
.LBB481_256:
	s_mov_b32 s2, -1
                                        ; implicit-def: $vgpr5
.LBB481_257:
	s_delay_alu instid0(SALU_CYCLE_1)
	s_and_not1_b32 vcc_lo, exec_lo, s2
	s_cbranch_vccnz .LBB481_259
; %bb.258:
	global_load_u8 v1, v[1:2], off
	s_waitcnt vmcnt(0)
	v_cvt_f16_u16_e32 v5, v1
.LBB481_259:
	s_branch .LBB481_24
.LBB481_260:
	s_mov_b32 s22, 0
.LBB481_261:
	s_mov_b32 s2, 0
                                        ; implicit-def: $vgpr4
.LBB481_262:
	s_and_b32 s37, s22, exec_lo
	s_and_b32 s38, s3, exec_lo
	s_or_not1_b32 s3, s2, exec_lo
.LBB481_263:
	s_or_b32 exec_lo, exec_lo, s39
	s_mov_b32 s22, 0
	s_mov_b32 s2, 0
                                        ; implicit-def: $vgpr1_vgpr2
                                        ; implicit-def: $vgpr0
                                        ; implicit-def: $vgpr5
	s_and_saveexec_b32 s39, s3
	s_cbranch_execz .LBB481_906
; %bb.264:
	s_mov_b32 s2, -1
	s_mov_b32 s40, s38
	s_mov_b32 s41, s37
	s_mov_b32 s42, exec_lo
	v_cmpx_gt_i32_e64 s34, v4
	s_cbranch_execz .LBB481_533
; %bb.265:
	s_and_not1_b32 vcc_lo, exec_lo, s27
	s_cbranch_vccnz .LBB481_270
; %bb.266:
	v_dual_mov_b32 v0, 0 :: v_dual_mov_b32 v1, 0
	s_and_not1_b32 vcc_lo, exec_lo, s36
	s_mov_b32 s40, 0
	s_cbranch_vccnz .LBB481_275
; %bb.267:
	v_mov_b32_e32 v0, 0
	s_add_i32 s43, s35, 1
	s_cmp_eq_u32 s25, 2
	s_mov_b32 s41, 0
	s_cbranch_scc1 .LBB481_271
; %bb.268:
	v_dual_mov_b32 v1, 0 :: v_dual_mov_b32 v0, 0
	v_mov_b32_e32 v2, v4
	s_and_b32 s41, s43, 28
	s_mov_b32 s44, 0
	s_mov_b64 s[2:3], s[20:21]
	s_mov_b64 s[22:23], s[16:17]
.LBB481_269:                            ; =>This Inner Loop Header: Depth=1
	s_clause 0x1
	s_load_b256 s[48:55], s[22:23], 0x4
	s_load_b128 s[64:67], s[22:23], 0x24
	s_load_b256 s[56:63], s[2:3], 0x0
	s_add_u32 s22, s22, 48
	s_addc_u32 s23, s23, 0
	s_add_i32 s44, s44, 4
	s_add_u32 s2, s2, 32
	s_addc_u32 s3, s3, 0
	s_cmp_eq_u32 s41, s44
	s_waitcnt lgkmcnt(0)
	v_mul_hi_u32 v3, s49, v2
	s_delay_alu instid0(VALU_DEP_1) | instskip(NEXT) | instid1(VALU_DEP_1)
	v_add_nc_u32_e32 v3, v2, v3
	v_lshrrev_b32_e32 v3, s50, v3
	s_waitcnt vmcnt(0)
	s_delay_alu instid0(VALU_DEP_1) | instskip(SKIP_1) | instid1(VALU_DEP_2)
	v_mul_hi_u32 v5, s52, v3
	v_mul_lo_u32 v7, v3, s48
	v_add_nc_u32_e32 v5, v3, v5
	s_delay_alu instid0(VALU_DEP_2) | instskip(NEXT) | instid1(VALU_DEP_2)
	v_sub_nc_u32_e32 v2, v2, v7
	v_lshrrev_b32_e32 v5, s53, v5
	s_delay_alu instid0(VALU_DEP_2) | instskip(SKIP_1) | instid1(VALU_DEP_3)
	v_mul_lo_u32 v7, v2, s56
	v_mul_lo_u32 v9, v2, s57
	v_mul_hi_u32 v6, s55, v5
	s_delay_alu instid0(VALU_DEP_1) | instskip(NEXT) | instid1(VALU_DEP_1)
	v_add_nc_u32_e32 v6, v5, v6
	v_lshrrev_b32_e32 v6, s64, v6
	s_delay_alu instid0(VALU_DEP_1) | instskip(SKIP_1) | instid1(VALU_DEP_2)
	v_mul_hi_u32 v8, s66, v6
	v_mul_lo_u32 v10, v6, s54
	v_add_nc_u32_e32 v2, v6, v8
	v_mul_lo_u32 v8, v5, s51
	s_delay_alu instid0(VALU_DEP_3) | instskip(NEXT) | instid1(VALU_DEP_3)
	v_sub_nc_u32_e32 v5, v5, v10
	v_lshrrev_b32_e32 v2, s67, v2
	s_delay_alu instid0(VALU_DEP_2) | instskip(SKIP_2) | instid1(VALU_DEP_4)
	v_mul_lo_u32 v10, v5, s60
	v_mul_lo_u32 v5, v5, s61
	v_sub_nc_u32_e32 v3, v3, v8
	v_mul_lo_u32 v11, v2, s65
	s_delay_alu instid0(VALU_DEP_2) | instskip(SKIP_1) | instid1(VALU_DEP_3)
	v_mul_lo_u32 v8, v3, s58
	v_mul_lo_u32 v3, v3, s59
	v_sub_nc_u32_e32 v6, v6, v11
	s_delay_alu instid0(VALU_DEP_3) | instskip(NEXT) | instid1(VALU_DEP_2)
	v_add3_u32 v0, v7, v0, v8
	v_mul_lo_u32 v11, v6, s62
	v_mul_lo_u32 v6, v6, s63
	v_add3_u32 v1, v9, v1, v3
	s_delay_alu instid0(VALU_DEP_3) | instskip(NEXT) | instid1(VALU_DEP_2)
	v_add3_u32 v0, v10, v0, v11
	v_add3_u32 v1, v5, v1, v6
	s_cbranch_scc0 .LBB481_269
	s_branch .LBB481_272
.LBB481_270:
	s_mov_b32 s40, -1
                                        ; implicit-def: $vgpr0
                                        ; implicit-def: $vgpr1
	s_branch .LBB481_275
.LBB481_271:
	v_dual_mov_b32 v2, v4 :: v_dual_mov_b32 v1, 0
.LBB481_272:
	s_and_b32 s43, s43, 3
	s_delay_alu instid0(SALU_CYCLE_1)
	s_cmp_eq_u32 s43, 0
	s_cbranch_scc1 .LBB481_275
; %bb.273:
	s_lshl_b32 s2, s41, 3
	s_mul_i32 s22, s41, 12
	s_add_u32 s2, s2, s16
	s_addc_u32 s3, s17, 0
	s_add_u32 s2, s2, 0xc4
	s_addc_u32 s3, s3, 0
	;; [unrolled: 2-line block ×3, first 2 shown]
	.p2align	6
.LBB481_274:                            ; =>This Inner Loop Header: Depth=1
	s_clause 0x1
	s_load_b64 s[44:45], s[22:23], 0x4
	s_load_b32 s41, s[22:23], 0xc
	s_load_b64 s[46:47], s[2:3], 0x0
	s_add_u32 s22, s22, 12
	s_addc_u32 s23, s23, 0
	s_add_u32 s2, s2, 8
	s_addc_u32 s3, s3, 0
	s_add_i32 s43, s43, -1
	s_delay_alu instid0(SALU_CYCLE_1) | instskip(SKIP_2) | instid1(VALU_DEP_1)
	s_cmp_lg_u32 s43, 0
	s_waitcnt lgkmcnt(0)
	v_mul_hi_u32 v3, s45, v2
	v_add_nc_u32_e32 v3, v2, v3
	s_delay_alu instid0(VALU_DEP_1) | instskip(SKIP_1) | instid1(VALU_DEP_1)
	v_lshrrev_b32_e32 v3, s41, v3
	s_waitcnt vmcnt(0)
	v_mul_lo_u32 v5, v3, s44
	s_delay_alu instid0(VALU_DEP_1) | instskip(NEXT) | instid1(VALU_DEP_1)
	v_sub_nc_u32_e32 v2, v2, v5
	v_mad_u64_u32 v[5:6], null, v2, s46, v[0:1]
	v_mad_u64_u32 v[6:7], null, v2, s47, v[1:2]
	v_mov_b32_e32 v2, v3
	s_delay_alu instid0(VALU_DEP_2)
	v_dual_mov_b32 v0, v5 :: v_dual_mov_b32 v1, v6
	s_cbranch_scc1 .LBB481_274
.LBB481_275:
	s_and_not1_b32 vcc_lo, exec_lo, s40
	s_cbranch_vccnz .LBB481_278
; %bb.276:
	v_mul_hi_u32 v0, s9, v4
	s_and_not1_b32 vcc_lo, exec_lo, s33
	s_delay_alu instid0(VALU_DEP_1) | instskip(NEXT) | instid1(VALU_DEP_1)
	v_add_nc_u32_e32 v0, v4, v0
	v_lshrrev_b32_e32 v2, s10, v0
	s_delay_alu instid0(VALU_DEP_1) | instskip(NEXT) | instid1(VALU_DEP_1)
	v_mul_lo_u32 v0, v2, s8
	v_sub_nc_u32_e32 v1, v4, v0
	s_delay_alu instid0(VALU_DEP_1)
	v_mul_lo_u32 v0, v1, s12
	v_mul_lo_u32 v1, v1, s13
	s_cbranch_vccnz .LBB481_278
; %bb.277:
	v_mul_hi_u32 v3, s18, v2
	s_delay_alu instid0(VALU_DEP_1) | instskip(NEXT) | instid1(VALU_DEP_1)
	v_add_nc_u32_e32 v3, v2, v3
	v_lshrrev_b32_e32 v3, s19, v3
	s_delay_alu instid0(VALU_DEP_1) | instskip(NEXT) | instid1(VALU_DEP_1)
	v_mul_lo_u32 v3, v3, s11
	v_sub_nc_u32_e32 v7, v2, v3
	s_delay_alu instid0(VALU_DEP_1) | instskip(SKIP_1) | instid1(VALU_DEP_1)
	v_mad_u64_u32 v[2:3], null, v7, s14, v[0:1]
	s_waitcnt vmcnt(0)
	v_mad_u64_u32 v[5:6], null, v7, s15, v[1:2]
	s_delay_alu instid0(VALU_DEP_1)
	v_dual_mov_b32 v0, v2 :: v_dual_mov_b32 v1, v5
.LBB481_278:
	v_cmp_lt_i16_e64 s2, s31, 11
	s_delay_alu instid0(VALU_DEP_2) | instskip(NEXT) | instid1(VALU_DEP_1)
	v_add_co_u32 v1, s3, s6, v1
	v_add_co_ci_u32_e64 v2, null, s7, 0, s3
	s_delay_alu instid0(VALU_DEP_3)
	s_and_b32 vcc_lo, exec_lo, s2
	s_mov_b32 s2, 0
	s_cbranch_vccnz .LBB481_285
; %bb.279:
	v_cmp_gt_i16_e64 s2, s31, 25
	s_delay_alu instid0(VALU_DEP_1)
	s_and_b32 vcc_lo, exec_lo, s2
	s_cbranch_vccz .LBB481_334
; %bb.280:
	v_cmp_gt_i16_e64 s2, s31, 28
	s_delay_alu instid0(VALU_DEP_1)
	s_and_b32 vcc_lo, exec_lo, s2
	s_cbranch_vccz .LBB481_335
	;; [unrolled: 5-line block ×4, first 2 shown]
; %bb.283:
	v_cmp_eq_u16_e64 s2, s31, 46
	s_mov_b32 s22, 0
	s_delay_alu instid0(VALU_DEP_1)
	s_and_b32 vcc_lo, exec_lo, s2
	s_cbranch_vccz .LBB481_343
; %bb.284:
	global_load_b32 v3, v[1:2], off
	s_mov_b32 s2, -1
	s_mov_b32 s3, 0
	s_waitcnt vmcnt(0)
	v_lshlrev_b32_e32 v3, 16, v3
	s_delay_alu instid0(VALU_DEP_1)
	v_cvt_f16_f32_e32 v5, v3
	s_branch .LBB481_345
.LBB481_285:
	s_mov_b32 s3, s38
                                        ; implicit-def: $vgpr5
	s_cbranch_execnz .LBB481_482
.LBB481_286:
	s_and_not1_b32 vcc_lo, exec_lo, s2
	s_cbranch_vccnz .LBB481_530
.LBB481_287:
	s_waitcnt vmcnt(0)
	s_delay_alu instid0(VALU_DEP_1) | instskip(SKIP_4) | instid1(VALU_DEP_2)
	v_cmp_u_f16_e32 vcc_lo, v5, v5
	v_cmp_gt_f16_e64 s2, s29, v5
	v_and_b32_e64 v3, 0xff, s30
	s_mov_b32 s22, 0
	s_mov_b32 s23, -1
	s_or_b32 vcc_lo, vcc_lo, s2
	v_add_co_u32 v0, s2, s4, v0
	v_cndmask_b32_e32 v2, s29, v5, vcc_lo
	v_cmp_gt_i16_e32 vcc_lo, 11, v3
	v_add_co_ci_u32_e64 v1, null, s5, 0, s2
	s_mov_b32 s2, s37
	s_cbranch_vccnz .LBB481_294
; %bb.288:
	v_cmp_lt_i16_e32 vcc_lo, 25, v3
	s_cbranch_vccz .LBB481_336
; %bb.289:
	v_cmp_lt_i16_e32 vcc_lo, 28, v3
	s_cbranch_vccz .LBB481_338
	;; [unrolled: 3-line block ×4, first 2 shown]
; %bb.292:
	v_cmp_eq_u16_e32 vcc_lo, 46, v3
	s_mov_b32 s23, 0
	s_mov_b32 s2, -1
	s_cbranch_vccz .LBB481_349
; %bb.293:
	v_cvt_f32_f16_e32 v5, v2
	v_cmp_o_f16_e32 vcc_lo, v2, v2
	s_mov_b32 s22, -1
	s_mov_b32 s2, 0
	s_delay_alu instid0(VALU_DEP_2) | instskip(NEXT) | instid1(VALU_DEP_1)
	v_bfe_u32 v6, v5, 16, 1
	v_add3_u32 v5, v5, v6, 0x7fff
	s_delay_alu instid0(VALU_DEP_1) | instskip(NEXT) | instid1(VALU_DEP_1)
	v_lshrrev_b32_e32 v5, 16, v5
	v_cndmask_b32_e32 v5, 0x7fc0, v5, vcc_lo
	global_store_b32 v[0:1], v5, off
	s_branch .LBB481_349
.LBB481_294:
	s_and_b32 vcc_lo, exec_lo, s23
	s_cbranch_vccz .LBB481_418
; %bb.295:
	v_cmp_gt_i16_e32 vcc_lo, 5, v3
	s_mov_b32 s22, -1
	s_cbranch_vccnz .LBB481_316
; %bb.296:
	v_cmp_gt_i16_e32 vcc_lo, 8, v3
	s_cbranch_vccnz .LBB481_306
; %bb.297:
	v_cmp_gt_i16_e32 vcc_lo, 9, v3
	s_cbranch_vccnz .LBB481_303
; %bb.298:
	v_cmp_lt_i16_e32 vcc_lo, 9, v3
	s_cbranch_vccz .LBB481_300
; %bb.299:
	v_cvt_f32_f16_e32 v5, v2
	v_mov_b32_e32 v7, 0
	s_mov_b32 s22, 0
	s_delay_alu instid0(VALU_DEP_2) | instskip(NEXT) | instid1(VALU_DEP_2)
	v_cvt_f64_f32_e32 v[5:6], v5
	v_mov_b32_e32 v8, v7
	global_store_b128 v[0:1], v[5:8], off
.LBB481_300:
	s_and_not1_b32 vcc_lo, exec_lo, s22
	s_cbranch_vccnz .LBB481_302
; %bb.301:
	v_cvt_f32_f16_e32 v5, v2
	v_mov_b32_e32 v6, 0
	global_store_b64 v[0:1], v[5:6], off
.LBB481_302:
	s_mov_b32 s22, 0
.LBB481_303:
	s_delay_alu instid0(SALU_CYCLE_1)
	s_and_not1_b32 vcc_lo, exec_lo, s22
	s_cbranch_vccnz .LBB481_305
; %bb.304:
	v_and_b32_e32 v5, 0xffff, v2
	global_store_b32 v[0:1], v5, off
.LBB481_305:
	s_mov_b32 s22, 0
.LBB481_306:
	s_delay_alu instid0(SALU_CYCLE_1)
	s_and_not1_b32 vcc_lo, exec_lo, s22
	s_cbranch_vccnz .LBB481_315
; %bb.307:
	v_cmp_gt_i16_e32 vcc_lo, 6, v3
	s_mov_b32 s22, -1
	s_cbranch_vccnz .LBB481_313
; %bb.308:
	v_cmp_lt_i16_e32 vcc_lo, 6, v3
	s_cbranch_vccz .LBB481_310
; %bb.309:
	v_cvt_f32_f16_e32 v5, v2
	s_mov_b32 s22, 0
	s_delay_alu instid0(VALU_DEP_1)
	v_cvt_f64_f32_e32 v[5:6], v5
	global_store_b64 v[0:1], v[5:6], off
.LBB481_310:
	s_and_not1_b32 vcc_lo, exec_lo, s22
	s_cbranch_vccnz .LBB481_312
; %bb.311:
	v_cvt_f32_f16_e32 v5, v2
	global_store_b32 v[0:1], v5, off
.LBB481_312:
	s_mov_b32 s22, 0
.LBB481_313:
	s_delay_alu instid0(SALU_CYCLE_1)
	s_and_not1_b32 vcc_lo, exec_lo, s22
	s_cbranch_vccnz .LBB481_315
; %bb.314:
	global_store_b16 v[0:1], v2, off
.LBB481_315:
	s_mov_b32 s22, 0
.LBB481_316:
	s_delay_alu instid0(SALU_CYCLE_1)
	s_and_not1_b32 vcc_lo, exec_lo, s22
	s_cbranch_vccnz .LBB481_332
; %bb.317:
	v_cmp_gt_i16_e32 vcc_lo, 2, v3
	s_mov_b32 s22, -1
	s_cbranch_vccnz .LBB481_327
; %bb.318:
	v_cmp_gt_i16_e32 vcc_lo, 3, v3
	s_cbranch_vccnz .LBB481_324
; %bb.319:
	v_cmp_lt_i16_e32 vcc_lo, 3, v3
	s_cbranch_vccz .LBB481_321
; %bb.320:
	v_cvt_f32_f16_e32 v5, v2
	s_mov_b32 s22, 0
	s_delay_alu instid0(VALU_DEP_1) | instskip(NEXT) | instid1(VALU_DEP_1)
	v_cvt_i32_f32_e32 v5, v5
	v_ashrrev_i32_e32 v6, 31, v5
	global_store_b64 v[0:1], v[5:6], off
.LBB481_321:
	s_and_not1_b32 vcc_lo, exec_lo, s22
	s_cbranch_vccnz .LBB481_323
; %bb.322:
	v_cvt_f32_f16_e32 v5, v2
	s_delay_alu instid0(VALU_DEP_1)
	v_cvt_i32_f32_e32 v5, v5
	global_store_b32 v[0:1], v5, off
.LBB481_323:
	s_mov_b32 s22, 0
.LBB481_324:
	s_delay_alu instid0(SALU_CYCLE_1)
	s_and_not1_b32 vcc_lo, exec_lo, s22
	s_cbranch_vccnz .LBB481_326
; %bb.325:
	v_cvt_i16_f16_e32 v5, v2
	global_store_b16 v[0:1], v5, off
.LBB481_326:
	s_mov_b32 s22, 0
.LBB481_327:
	s_delay_alu instid0(SALU_CYCLE_1)
	s_and_not1_b32 vcc_lo, exec_lo, s22
	s_cbranch_vccnz .LBB481_332
; %bb.328:
	v_cmp_lt_i16_e32 vcc_lo, 0, v3
	s_mov_b32 s22, -1
	s_cbranch_vccz .LBB481_330
; %bb.329:
	v_cvt_i16_f16_e32 v3, v2
	s_mov_b32 s22, 0
	global_store_b8 v[0:1], v3, off
.LBB481_330:
	s_and_not1_b32 vcc_lo, exec_lo, s22
	s_cbranch_vccnz .LBB481_332
; %bb.331:
	v_cvt_f32_f16_e32 v2, v2
	s_delay_alu instid0(VALU_DEP_1)
	v_cvt_i32_f32_e32 v2, v2
	global_store_b8 v[0:1], v2, off
.LBB481_332:
	s_branch .LBB481_419
.LBB481_333:
	s_mov_b32 s22, 0
	s_branch .LBB481_531
.LBB481_334:
	s_mov_b32 s22, -1
	s_mov_b32 s2, 0
	s_mov_b32 s3, s38
                                        ; implicit-def: $vgpr5
	s_branch .LBB481_446
.LBB481_335:
	s_mov_b32 s22, -1
	s_mov_b32 s2, 0
	s_mov_b32 s3, s38
                                        ; implicit-def: $vgpr5
	s_branch .LBB481_427
.LBB481_336:
	s_mov_b32 s2, s37
	s_branch .LBB481_376
.LBB481_337:
	s_mov_b32 s22, -1
	s_mov_b32 s2, 0
	s_mov_b32 s3, s38
                                        ; implicit-def: $vgpr5
	s_branch .LBB481_422
.LBB481_338:
	s_mov_b32 s2, s37
	s_branch .LBB481_359
.LBB481_339:
	s_mov_b32 s22, -1
	s_mov_b32 s2, 0
	s_mov_b32 s3, s38
	s_branch .LBB481_344
.LBB481_340:
	s_mov_b32 s2, s37
	s_branch .LBB481_355
.LBB481_341:
	s_or_saveexec_b32 s37, s37
                                        ; implicit-def: $sgpr38
	s_delay_alu instid0(SALU_CYCLE_1)
	s_xor_b32 exec_lo, exec_lo, s37
	s_cbranch_execz .LBB481_65
.LBB481_342:
	v_add_f32_e64 v6, 0x42800000, |v5|
	s_and_not1_b32 s23, s23, exec_lo
	s_mov_b32 s38, 0
	s_delay_alu instid0(VALU_DEP_1) | instskip(NEXT) | instid1(VALU_DEP_1)
	v_and_b32_e32 v6, 0xff, v6
	v_cmp_ne_u32_e32 vcc_lo, 0, v6
	s_and_b32 s41, vcc_lo, exec_lo
	s_delay_alu instid0(SALU_CYCLE_1)
	s_or_b32 s23, s23, s41
	s_or_b32 exec_lo, exec_lo, s37
	v_mov_b32_e32 v7, s38
	s_and_saveexec_b32 s37, s23
	s_cbranch_execnz .LBB481_66
	s_branch .LBB481_67
.LBB481_343:
	s_mov_b32 s3, -1
	s_mov_b32 s2, 0
.LBB481_344:
                                        ; implicit-def: $vgpr5
.LBB481_345:
	s_and_b32 vcc_lo, exec_lo, s22
	s_cbranch_vccz .LBB481_421
; %bb.346:
	v_cmp_eq_u16_e64 s3, s31, 44
	s_delay_alu instid0(VALU_DEP_1)
	s_and_b32 vcc_lo, exec_lo, s3
	s_cbranch_vccz .LBB481_420
; %bb.347:
	global_load_u8 v3, v[1:2], off
	s_mov_b32 s3, 0
	s_mov_b32 s2, -1
	s_waitcnt vmcnt(0)
	v_lshlrev_b32_e32 v5, 23, v3
	v_cmp_ne_u32_e32 vcc_lo, 0xff, v3
	s_delay_alu instid0(VALU_DEP_2) | instskip(NEXT) | instid1(VALU_DEP_1)
	v_cvt_f16_f32_e32 v5, v5
	v_cndmask_b32_e32 v5, 0x7e00, v5, vcc_lo
	v_cmp_ne_u32_e32 vcc_lo, 0, v3
	s_delay_alu instid0(VALU_DEP_2)
	v_cndmask_b32_e32 v5, 0, v5, vcc_lo
	s_branch .LBB481_421
.LBB481_348:
	s_mov_b32 s2, s37
.LBB481_349:
	s_and_b32 vcc_lo, exec_lo, s23
	s_cbranch_vccz .LBB481_354
; %bb.350:
	v_cmp_eq_u16_e32 vcc_lo, 44, v3
	s_mov_b32 s2, -1
	s_cbranch_vccz .LBB481_354
; %bb.351:
	v_cvt_f32_f16_e32 v5, v2
	v_mov_b32_e32 v6, 0xff
	s_mov_b32 s22, exec_lo
	s_delay_alu instid0(VALU_DEP_2) | instskip(NEXT) | instid1(VALU_DEP_1)
	v_bfe_u32 v7, v5, 23, 8
	v_cmpx_ne_u32_e32 0xff, v7
; %bb.352:
	v_and_b32_e32 v6, 0x400000, v5
	v_and_or_b32 v7, 0x3fffff, v5, v7
	v_lshrrev_b32_e32 v5, 23, v5
	s_delay_alu instid0(VALU_DEP_3) | instskip(NEXT) | instid1(VALU_DEP_3)
	v_cmp_ne_u32_e32 vcc_lo, 0, v6
	v_cmp_ne_u32_e64 s2, 0, v7
	s_delay_alu instid0(VALU_DEP_1) | instskip(NEXT) | instid1(SALU_CYCLE_1)
	s_and_b32 s2, vcc_lo, s2
	v_cndmask_b32_e64 v6, 0, 1, s2
	s_delay_alu instid0(VALU_DEP_1)
	v_add_nc_u32_e32 v6, v5, v6
; %bb.353:
	s_or_b32 exec_lo, exec_lo, s22
	s_mov_b32 s22, -1
	s_mov_b32 s2, 0
	global_store_b8 v[0:1], v6, off
.LBB481_354:
	s_mov_b32 s23, 0
.LBB481_355:
	s_delay_alu instid0(SALU_CYCLE_1)
	s_and_b32 vcc_lo, exec_lo, s23
	s_cbranch_vccz .LBB481_358
; %bb.356:
	v_cmp_eq_u16_e32 vcc_lo, 29, v3
	s_mov_b32 s2, -1
	s_cbranch_vccz .LBB481_358
; %bb.357:
	v_cvt_f32_f16_e32 v5, v2
	v_mov_b32_e32 v6, 0
	s_mov_b32 s2, 0
	s_mov_b32 s22, -1
	s_mov_b32 s23, 0
	v_cvt_u32_f32_e32 v5, v5
	global_store_b64 v[0:1], v[5:6], off
	s_branch .LBB481_359
.LBB481_358:
	s_mov_b32 s23, 0
.LBB481_359:
	s_delay_alu instid0(SALU_CYCLE_1)
	s_and_b32 vcc_lo, exec_lo, s23
	s_cbranch_vccz .LBB481_375
; %bb.360:
	v_cmp_gt_i16_e32 vcc_lo, 27, v3
	s_mov_b32 s22, -1
	s_cbranch_vccnz .LBB481_366
; %bb.361:
	v_cmp_lt_i16_e32 vcc_lo, 27, v3
	s_cbranch_vccz .LBB481_363
; %bb.362:
	v_cvt_f32_f16_e32 v5, v2
	s_mov_b32 s22, 0
	s_delay_alu instid0(VALU_DEP_1)
	v_cvt_u32_f32_e32 v5, v5
	global_store_b32 v[0:1], v5, off
.LBB481_363:
	s_and_not1_b32 vcc_lo, exec_lo, s22
	s_cbranch_vccnz .LBB481_365
; %bb.364:
	v_cvt_u16_f16_e32 v5, v2
	global_store_b16 v[0:1], v5, off
.LBB481_365:
	s_mov_b32 s22, 0
.LBB481_366:
	s_delay_alu instid0(SALU_CYCLE_1)
	s_and_not1_b32 vcc_lo, exec_lo, s22
	s_cbranch_vccnz .LBB481_374
; %bb.367:
	v_cvt_f32_f16_e32 v5, v2
	v_mov_b32_e32 v7, 0x80
	s_mov_b32 s22, exec_lo
	s_delay_alu instid0(VALU_DEP_2) | instskip(NEXT) | instid1(VALU_DEP_1)
	v_and_b32_e32 v6, 0x7fffffff, v5
	v_cmpx_gt_u32_e32 0x43800000, v6
	s_cbranch_execz .LBB481_373
; %bb.368:
	v_cmp_lt_u32_e32 vcc_lo, 0x3bffffff, v6
	s_mov_b32 s23, 0
                                        ; implicit-def: $vgpr6
	s_and_saveexec_b32 s40, vcc_lo
	s_delay_alu instid0(SALU_CYCLE_1)
	s_xor_b32 s40, exec_lo, s40
	s_cbranch_execz .LBB481_559
; %bb.369:
	v_bfe_u32 v6, v5, 20, 1
	s_mov_b32 s23, exec_lo
	s_delay_alu instid0(VALU_DEP_1) | instskip(NEXT) | instid1(VALU_DEP_1)
	v_add3_u32 v6, v5, v6, 0x487ffff
	v_lshrrev_b32_e32 v6, 20, v6
	s_or_saveexec_b32 s40, s40
                                        ; implicit-def: $sgpr41
	s_delay_alu instid0(SALU_CYCLE_1)
	s_xor_b32 exec_lo, exec_lo, s40
	s_cbranch_execnz .LBB481_560
.LBB481_370:
	s_or_b32 exec_lo, exec_lo, s40
	v_mov_b32_e32 v7, s41
	s_and_saveexec_b32 s40, s23
.LBB481_371:
	v_lshrrev_b32_e32 v5, 24, v5
	s_delay_alu instid0(VALU_DEP_1)
	v_and_or_b32 v7, 0x80, v5, v6
.LBB481_372:
	s_or_b32 exec_lo, exec_lo, s40
.LBB481_373:
	s_delay_alu instid0(SALU_CYCLE_1)
	s_or_b32 exec_lo, exec_lo, s22
	global_store_b8 v[0:1], v7, off
.LBB481_374:
	s_mov_b32 s22, -1
.LBB481_375:
	s_mov_b32 s23, 0
.LBB481_376:
	s_delay_alu instid0(SALU_CYCLE_1)
	s_and_b32 vcc_lo, exec_lo, s23
	s_cbranch_vccz .LBB481_417
; %bb.377:
	v_cmp_lt_i16_e32 vcc_lo, 22, v3
	s_mov_b32 s23, -1
	s_cbranch_vccz .LBB481_409
; %bb.378:
	v_cmp_gt_i16_e32 vcc_lo, 24, v3
	s_mov_b32 s22, -1
	s_cbranch_vccnz .LBB481_398
; %bb.379:
	v_cmp_lt_i16_e32 vcc_lo, 24, v3
	s_cbranch_vccz .LBB481_387
; %bb.380:
	v_cvt_f32_f16_e32 v5, v2
	v_mov_b32_e32 v7, 0x80
	s_mov_b32 s22, exec_lo
	s_delay_alu instid0(VALU_DEP_2) | instskip(NEXT) | instid1(VALU_DEP_1)
	v_and_b32_e32 v6, 0x7fffffff, v5
	v_cmpx_gt_u32_e32 0x47800000, v6
	s_cbranch_execz .LBB481_386
; %bb.381:
	v_cmp_lt_u32_e32 vcc_lo, 0x37ffffff, v6
	s_mov_b32 s23, 0
                                        ; implicit-def: $vgpr6
	s_and_saveexec_b32 s40, vcc_lo
	s_delay_alu instid0(SALU_CYCLE_1)
	s_xor_b32 s40, exec_lo, s40
	s_cbranch_execz .LBB481_562
; %bb.382:
	v_bfe_u32 v6, v5, 21, 1
	s_mov_b32 s23, exec_lo
	s_delay_alu instid0(VALU_DEP_1) | instskip(NEXT) | instid1(VALU_DEP_1)
	v_add3_u32 v6, v5, v6, 0x88fffff
	v_lshrrev_b32_e32 v6, 21, v6
	s_or_saveexec_b32 s40, s40
                                        ; implicit-def: $sgpr41
	s_delay_alu instid0(SALU_CYCLE_1)
	s_xor_b32 exec_lo, exec_lo, s40
	s_cbranch_execnz .LBB481_563
.LBB481_383:
	s_or_b32 exec_lo, exec_lo, s40
	v_mov_b32_e32 v7, s41
	s_and_saveexec_b32 s40, s23
.LBB481_384:
	v_lshrrev_b32_e32 v5, 24, v5
	s_delay_alu instid0(VALU_DEP_1)
	v_and_or_b32 v7, 0x80, v5, v6
.LBB481_385:
	s_or_b32 exec_lo, exec_lo, s40
.LBB481_386:
	s_delay_alu instid0(SALU_CYCLE_1)
	s_or_b32 exec_lo, exec_lo, s22
	s_mov_b32 s22, 0
	global_store_b8 v[0:1], v7, off
.LBB481_387:
	s_and_b32 vcc_lo, exec_lo, s22
	s_cbranch_vccz .LBB481_397
; %bb.388:
	v_cvt_f32_f16_e32 v5, v2
	s_mov_b32 s22, exec_lo
                                        ; implicit-def: $vgpr6
	s_delay_alu instid0(VALU_DEP_1) | instskip(NEXT) | instid1(VALU_DEP_1)
	v_and_b32_e32 v7, 0x7fffffff, v5
	v_cmpx_gt_u32_e32 0x43f00000, v7
	s_xor_b32 s22, exec_lo, s22
	s_cbranch_execz .LBB481_394
; %bb.389:
	s_mov_b32 s23, exec_lo
                                        ; implicit-def: $vgpr6
	v_cmpx_lt_u32_e32 0x3c7fffff, v7
	s_xor_b32 s23, exec_lo, s23
; %bb.390:
	v_bfe_u32 v6, v5, 20, 1
	s_delay_alu instid0(VALU_DEP_1) | instskip(NEXT) | instid1(VALU_DEP_1)
	v_add3_u32 v6, v5, v6, 0x407ffff
	v_and_b32_e32 v7, 0xff00000, v6
	v_lshrrev_b32_e32 v6, 20, v6
	s_delay_alu instid0(VALU_DEP_2) | instskip(NEXT) | instid1(VALU_DEP_2)
	v_cmp_ne_u32_e32 vcc_lo, 0x7f00000, v7
	v_cndmask_b32_e32 v6, 0x7e, v6, vcc_lo
; %bb.391:
	s_and_not1_saveexec_b32 s23, s23
; %bb.392:
	v_add_f32_e64 v6, 0x46800000, |v5|
; %bb.393:
	s_or_b32 exec_lo, exec_lo, s23
                                        ; implicit-def: $vgpr7
.LBB481_394:
	s_and_not1_saveexec_b32 s22, s22
; %bb.395:
	v_mov_b32_e32 v6, 0x7f
	v_cmp_lt_u32_e32 vcc_lo, 0x7f800000, v7
	s_delay_alu instid0(VALU_DEP_2)
	v_cndmask_b32_e32 v6, 0x7e, v6, vcc_lo
; %bb.396:
	s_or_b32 exec_lo, exec_lo, s22
	v_lshrrev_b32_e32 v5, 24, v5
	s_delay_alu instid0(VALU_DEP_1)
	v_and_or_b32 v5, 0x80, v5, v6
	global_store_b8 v[0:1], v5, off
.LBB481_397:
	s_mov_b32 s22, 0
.LBB481_398:
	s_delay_alu instid0(SALU_CYCLE_1)
	s_and_not1_b32 vcc_lo, exec_lo, s22
	s_cbranch_vccnz .LBB481_408
; %bb.399:
	v_cvt_f32_f16_e32 v5, v2
	s_mov_b32 s22, exec_lo
                                        ; implicit-def: $vgpr6
	s_delay_alu instid0(VALU_DEP_1) | instskip(NEXT) | instid1(VALU_DEP_1)
	v_and_b32_e32 v7, 0x7fffffff, v5
	v_cmpx_gt_u32_e32 0x47800000, v7
	s_xor_b32 s22, exec_lo, s22
	s_cbranch_execz .LBB481_405
; %bb.400:
	s_mov_b32 s23, exec_lo
                                        ; implicit-def: $vgpr6
	v_cmpx_lt_u32_e32 0x387fffff, v7
	s_xor_b32 s23, exec_lo, s23
; %bb.401:
	v_bfe_u32 v6, v5, 21, 1
	s_delay_alu instid0(VALU_DEP_1) | instskip(NEXT) | instid1(VALU_DEP_1)
	v_add3_u32 v6, v5, v6, 0x80fffff
	v_lshrrev_b32_e32 v6, 21, v6
; %bb.402:
	s_and_not1_saveexec_b32 s23, s23
; %bb.403:
	v_add_f32_e64 v6, 0x43000000, |v5|
; %bb.404:
	s_or_b32 exec_lo, exec_lo, s23
                                        ; implicit-def: $vgpr7
.LBB481_405:
	s_and_not1_saveexec_b32 s22, s22
; %bb.406:
	v_mov_b32_e32 v6, 0x7f
	v_cmp_lt_u32_e32 vcc_lo, 0x7f800000, v7
	s_delay_alu instid0(VALU_DEP_2)
	v_cndmask_b32_e32 v6, 0x7c, v6, vcc_lo
; %bb.407:
	s_or_b32 exec_lo, exec_lo, s22
	v_lshrrev_b32_e32 v5, 24, v5
	s_delay_alu instid0(VALU_DEP_1)
	v_and_or_b32 v5, 0x80, v5, v6
	global_store_b8 v[0:1], v5, off
.LBB481_408:
	s_mov_b32 s23, 0
	s_mov_b32 s22, -1
.LBB481_409:
	s_and_not1_b32 vcc_lo, exec_lo, s23
	s_cbranch_vccnz .LBB481_417
; %bb.410:
	v_cmp_lt_i16_e32 vcc_lo, 14, v3
	s_mov_b32 s23, -1
	s_cbranch_vccz .LBB481_414
; %bb.411:
	v_cmp_eq_u16_e32 vcc_lo, 15, v3
	s_mov_b32 s2, -1
	s_cbranch_vccz .LBB481_413
; %bb.412:
	v_cvt_f32_f16_e32 v5, v2
	v_cmp_o_f16_e32 vcc_lo, v2, v2
	s_mov_b32 s22, -1
	s_mov_b32 s2, 0
	s_delay_alu instid0(VALU_DEP_2) | instskip(NEXT) | instid1(VALU_DEP_1)
	v_bfe_u32 v6, v5, 16, 1
	v_add3_u32 v5, v5, v6, 0x7fff
	s_delay_alu instid0(VALU_DEP_1) | instskip(NEXT) | instid1(VALU_DEP_1)
	v_lshrrev_b32_e32 v5, 16, v5
	v_cndmask_b32_e32 v5, 0x7fc0, v5, vcc_lo
	global_store_b16 v[0:1], v5, off
.LBB481_413:
	s_mov_b32 s23, 0
.LBB481_414:
	s_delay_alu instid0(SALU_CYCLE_1)
	s_and_b32 vcc_lo, exec_lo, s23
	s_cbranch_vccz .LBB481_417
; %bb.415:
	v_cmp_eq_u16_e32 vcc_lo, 11, v3
	s_mov_b32 s2, -1
	s_cbranch_vccz .LBB481_417
; %bb.416:
	v_and_b32_e32 v5, 0x7fff, v2
	s_mov_b32 s2, 0
	s_mov_b32 s22, -1
	s_delay_alu instid0(VALU_DEP_1)
	v_cmp_ne_u16_e32 vcc_lo, 0, v5
	v_cndmask_b32_e64 v5, 0, 1, vcc_lo
	global_store_b8 v[0:1], v5, off
.LBB481_417:
.LBB481_418:
	s_and_not1_b32 vcc_lo, exec_lo, s22
	s_cbranch_vccnz .LBB481_333
.LBB481_419:
	v_add_nc_u32_e32 v4, 0x80, v4
	s_mov_b32 s22, -1
	s_branch .LBB481_532
.LBB481_420:
	s_mov_b32 s3, -1
                                        ; implicit-def: $vgpr5
.LBB481_421:
	s_mov_b32 s22, 0
.LBB481_422:
	s_delay_alu instid0(SALU_CYCLE_1)
	s_and_b32 vcc_lo, exec_lo, s22
	s_cbranch_vccz .LBB481_426
; %bb.423:
	v_cmp_eq_u16_e64 s3, s31, 29
	s_delay_alu instid0(VALU_DEP_1)
	s_and_b32 vcc_lo, exec_lo, s3
	s_cbranch_vccz .LBB481_425
; %bb.424:
	global_load_b64 v[5:6], v[1:2], off
	s_mov_b32 s2, -1
	s_mov_b32 s3, 0
	s_mov_b32 s22, 0
	s_waitcnt vmcnt(0)
	v_clz_i32_u32_e32 v3, v6
	s_delay_alu instid0(VALU_DEP_1) | instskip(NEXT) | instid1(VALU_DEP_1)
	v_min_u32_e32 v3, 32, v3
	v_lshlrev_b64 v[5:6], v3, v[5:6]
	v_sub_nc_u32_e32 v3, 32, v3
	s_delay_alu instid0(VALU_DEP_2) | instskip(NEXT) | instid1(VALU_DEP_1)
	v_min_u32_e32 v5, 1, v5
	v_or_b32_e32 v5, v6, v5
	s_delay_alu instid0(VALU_DEP_1) | instskip(NEXT) | instid1(VALU_DEP_1)
	v_cvt_f32_u32_e32 v5, v5
	v_ldexp_f32 v3, v5, v3
	s_delay_alu instid0(VALU_DEP_1)
	v_cvt_f16_f32_e32 v5, v3
	s_branch .LBB481_427
.LBB481_425:
	s_mov_b32 s3, -1
                                        ; implicit-def: $vgpr5
.LBB481_426:
	s_mov_b32 s22, 0
.LBB481_427:
	s_delay_alu instid0(SALU_CYCLE_1)
	s_and_b32 vcc_lo, exec_lo, s22
	s_cbranch_vccz .LBB481_445
; %bb.428:
	v_cmp_lt_i16_e64 s2, s31, 27
	s_delay_alu instid0(VALU_DEP_1)
	s_and_b32 vcc_lo, exec_lo, s2
	s_cbranch_vccnz .LBB481_431
; %bb.429:
	v_cmp_gt_i16_e64 s2, s31, 27
	s_delay_alu instid0(VALU_DEP_1)
	s_and_b32 vcc_lo, exec_lo, s2
	s_cbranch_vccz .LBB481_432
; %bb.430:
	global_load_b32 v3, v[1:2], off
	s_mov_b32 s2, 0
	s_waitcnt vmcnt(0)
	v_cvt_f32_u32_e32 v3, v3
	s_delay_alu instid0(VALU_DEP_1)
	v_cvt_f16_f32_e32 v5, v3
	s_branch .LBB481_433
.LBB481_431:
	s_mov_b32 s2, -1
                                        ; implicit-def: $vgpr5
	s_branch .LBB481_436
.LBB481_432:
	s_mov_b32 s2, -1
                                        ; implicit-def: $vgpr5
.LBB481_433:
	s_delay_alu instid0(SALU_CYCLE_1)
	s_and_not1_b32 vcc_lo, exec_lo, s2
	s_cbranch_vccnz .LBB481_435
; %bb.434:
	global_load_u16 v3, v[1:2], off
	s_waitcnt vmcnt(0)
	v_cvt_f16_u16_e32 v5, v3
.LBB481_435:
	s_mov_b32 s2, 0
.LBB481_436:
	s_delay_alu instid0(SALU_CYCLE_1)
	s_and_not1_b32 vcc_lo, exec_lo, s2
	s_cbranch_vccnz .LBB481_444
; %bb.437:
	global_load_u8 v3, v[1:2], off
	s_mov_b32 s2, 0
	s_mov_b32 s23, exec_lo
                                        ; implicit-def: $sgpr22
	s_waitcnt vmcnt(0)
	v_cmpx_lt_i16_e32 0x7f, v3
	s_xor_b32 s23, exec_lo, s23
	s_cbranch_execz .LBB481_458
; %bb.438:
	s_mov_b32 s2, -1
	s_mov_b32 s40, exec_lo
                                        ; implicit-def: $sgpr22
	v_cmpx_eq_u16_e32 0x80, v3
; %bb.439:
	s_movk_i32 s22, 0x7e00
	s_xor_b32 s2, exec_lo, -1
; %bb.440:
	s_or_b32 exec_lo, exec_lo, s40
	s_delay_alu instid0(SALU_CYCLE_1)
	s_and_b32 s2, s2, exec_lo
	s_or_saveexec_b32 s23, s23
	v_mov_b32_e32 v5, s22
	s_xor_b32 exec_lo, exec_lo, s23
	s_cbranch_execnz .LBB481_459
.LBB481_441:
	s_or_b32 exec_lo, exec_lo, s23
	s_and_saveexec_b32 s22, s2
	s_cbranch_execz .LBB481_443
.LBB481_442:
	v_and_b32_e32 v5, 0xffff, v3
	v_lshlrev_b32_e32 v3, 24, v3
	s_delay_alu instid0(VALU_DEP_2) | instskip(NEXT) | instid1(VALU_DEP_2)
	v_and_b32_e32 v6, 7, v5
	v_and_b32_e32 v3, 0x80000000, v3
	s_delay_alu instid0(VALU_DEP_2) | instskip(NEXT) | instid1(VALU_DEP_1)
	v_clz_i32_u32_e32 v7, v6
	v_min_u32_e32 v7, 32, v7
	s_delay_alu instid0(VALU_DEP_1) | instskip(SKIP_1) | instid1(VALU_DEP_2)
	v_subrev_nc_u32_e32 v8, 28, v7
	v_sub_nc_u32_e32 v7, 29, v7
	v_lshlrev_b32_e32 v8, v8, v5
	v_bfe_u32 v5, v5, 3, 4
	s_delay_alu instid0(VALU_DEP_2) | instskip(NEXT) | instid1(VALU_DEP_2)
	v_and_b32_e32 v8, 7, v8
	v_cmp_eq_u32_e32 vcc_lo, 0, v5
	s_delay_alu instid0(VALU_DEP_2) | instskip(NEXT) | instid1(VALU_DEP_1)
	v_dual_cndmask_b32 v5, v5, v7 :: v_dual_cndmask_b32 v6, v6, v8
	v_lshl_add_u32 v5, v5, 23, 0x3b800000
	s_delay_alu instid0(VALU_DEP_2) | instskip(NEXT) | instid1(VALU_DEP_1)
	v_lshlrev_b32_e32 v6, 20, v6
	v_or3_b32 v3, v3, v5, v6
	s_delay_alu instid0(VALU_DEP_1)
	v_cvt_f16_f32_e32 v5, v3
.LBB481_443:
	s_or_b32 exec_lo, exec_lo, s22
.LBB481_444:
	s_mov_b32 s2, -1
.LBB481_445:
	s_mov_b32 s22, 0
.LBB481_446:
	s_delay_alu instid0(SALU_CYCLE_1)
	s_and_b32 vcc_lo, exec_lo, s22
	s_cbranch_vccz .LBB481_481
; %bb.447:
	v_cmp_gt_i16_e64 s22, s31, 22
	s_delay_alu instid0(VALU_DEP_1)
	s_and_b32 vcc_lo, exec_lo, s22
	s_cbranch_vccz .LBB481_457
; %bb.448:
	v_cmp_lt_i16_e64 s2, s31, 24
	s_delay_alu instid0(VALU_DEP_1)
	s_and_b32 vcc_lo, exec_lo, s2
	s_cbranch_vccnz .LBB481_460
; %bb.449:
	v_cmp_gt_i16_e64 s2, s31, 24
	s_delay_alu instid0(VALU_DEP_1)
	s_and_b32 vcc_lo, exec_lo, s2
	s_cbranch_vccz .LBB481_461
; %bb.450:
	global_load_u8 v3, v[1:2], off
	s_mov_b32 s2, 0
	s_mov_b32 s23, exec_lo
                                        ; implicit-def: $sgpr22
	s_waitcnt vmcnt(0)
	v_cmpx_lt_i16_e32 0x7f, v3
	s_xor_b32 s23, exec_lo, s23
	s_cbranch_execz .LBB481_473
; %bb.451:
	s_mov_b32 s2, -1
	s_mov_b32 s40, exec_lo
                                        ; implicit-def: $sgpr22
	v_cmpx_eq_u16_e32 0x80, v3
; %bb.452:
	s_movk_i32 s22, 0x7e00
	s_xor_b32 s2, exec_lo, -1
; %bb.453:
	s_or_b32 exec_lo, exec_lo, s40
	s_delay_alu instid0(SALU_CYCLE_1)
	s_and_b32 s2, s2, exec_lo
	s_or_saveexec_b32 s23, s23
	v_mov_b32_e32 v5, s22
	s_xor_b32 exec_lo, exec_lo, s23
	s_cbranch_execnz .LBB481_474
.LBB481_454:
	s_or_b32 exec_lo, exec_lo, s23
	s_and_saveexec_b32 s22, s2
	s_cbranch_execz .LBB481_456
.LBB481_455:
	v_and_b32_e32 v5, 0xffff, v3
	v_lshlrev_b32_e32 v3, 24, v3
	s_delay_alu instid0(VALU_DEP_2) | instskip(NEXT) | instid1(VALU_DEP_2)
	v_and_b32_e32 v6, 3, v5
	v_and_b32_e32 v3, 0x80000000, v3
	s_delay_alu instid0(VALU_DEP_2) | instskip(NEXT) | instid1(VALU_DEP_1)
	v_clz_i32_u32_e32 v7, v6
	v_min_u32_e32 v7, 32, v7
	s_delay_alu instid0(VALU_DEP_1) | instskip(SKIP_1) | instid1(VALU_DEP_2)
	v_subrev_nc_u32_e32 v8, 29, v7
	v_sub_nc_u32_e32 v7, 30, v7
	v_lshlrev_b32_e32 v8, v8, v5
	v_bfe_u32 v5, v5, 2, 5
	s_delay_alu instid0(VALU_DEP_2) | instskip(NEXT) | instid1(VALU_DEP_2)
	v_and_b32_e32 v8, 3, v8
	v_cmp_eq_u32_e32 vcc_lo, 0, v5
	s_delay_alu instid0(VALU_DEP_2) | instskip(NEXT) | instid1(VALU_DEP_1)
	v_dual_cndmask_b32 v5, v5, v7 :: v_dual_cndmask_b32 v6, v6, v8
	v_lshl_add_u32 v5, v5, 23, 0x37800000
	s_delay_alu instid0(VALU_DEP_2) | instskip(NEXT) | instid1(VALU_DEP_1)
	v_lshlrev_b32_e32 v6, 21, v6
	v_or3_b32 v3, v3, v5, v6
	s_delay_alu instid0(VALU_DEP_1)
	v_cvt_f16_f32_e32 v5, v3
.LBB481_456:
	s_or_b32 exec_lo, exec_lo, s22
	s_mov_b32 s2, 0
	s_branch .LBB481_462
.LBB481_457:
	s_mov_b32 s22, -1
                                        ; implicit-def: $vgpr5
	s_branch .LBB481_468
.LBB481_458:
	s_or_saveexec_b32 s23, s23
	v_mov_b32_e32 v5, s22
	s_xor_b32 exec_lo, exec_lo, s23
	s_cbranch_execz .LBB481_441
.LBB481_459:
	v_cmp_ne_u16_e32 vcc_lo, 0, v3
	v_mov_b32_e32 v5, v3
	s_and_not1_b32 s2, s2, exec_lo
	s_and_b32 s22, vcc_lo, exec_lo
	s_delay_alu instid0(SALU_CYCLE_1)
	s_or_b32 s2, s2, s22
	s_or_b32 exec_lo, exec_lo, s23
	s_and_saveexec_b32 s22, s2
	s_cbranch_execnz .LBB481_442
	s_branch .LBB481_443
.LBB481_460:
	s_mov_b32 s2, -1
                                        ; implicit-def: $vgpr5
	s_branch .LBB481_465
.LBB481_461:
	s_mov_b32 s2, -1
                                        ; implicit-def: $vgpr5
.LBB481_462:
	s_delay_alu instid0(SALU_CYCLE_1)
	s_and_b32 vcc_lo, exec_lo, s2
	s_cbranch_vccz .LBB481_464
; %bb.463:
	global_load_u8 v3, v[1:2], off
	s_waitcnt vmcnt(0)
	v_lshlrev_b32_e32 v3, 24, v3
	s_delay_alu instid0(VALU_DEP_1) | instskip(NEXT) | instid1(VALU_DEP_1)
	v_and_b32_e32 v5, 0x7f000000, v3
	v_clz_i32_u32_e32 v6, v5
	v_cmp_ne_u32_e32 vcc_lo, 0, v5
	v_add_nc_u32_e32 v8, 0x1000000, v5
	s_delay_alu instid0(VALU_DEP_3) | instskip(NEXT) | instid1(VALU_DEP_1)
	v_min_u32_e32 v6, 32, v6
	v_sub_nc_u32_e64 v6, v6, 4 clamp
	s_delay_alu instid0(VALU_DEP_1) | instskip(SKIP_1) | instid1(VALU_DEP_2)
	v_lshlrev_b32_e32 v7, v6, v5
	v_lshlrev_b32_e32 v6, 23, v6
	v_lshrrev_b32_e32 v7, 4, v7
	s_delay_alu instid0(VALU_DEP_1) | instskip(SKIP_1) | instid1(VALU_DEP_2)
	v_sub_nc_u32_e32 v6, v7, v6
	v_ashrrev_i32_e32 v7, 8, v8
	v_add_nc_u32_e32 v6, 0x3c000000, v6
	s_delay_alu instid0(VALU_DEP_1) | instskip(NEXT) | instid1(VALU_DEP_1)
	v_and_or_b32 v6, 0x7f800000, v7, v6
	v_cndmask_b32_e32 v5, 0, v6, vcc_lo
	s_delay_alu instid0(VALU_DEP_1) | instskip(NEXT) | instid1(VALU_DEP_1)
	v_and_or_b32 v3, 0x80000000, v3, v5
	v_cvt_f16_f32_e32 v5, v3
.LBB481_464:
	s_mov_b32 s2, 0
.LBB481_465:
	s_delay_alu instid0(SALU_CYCLE_1)
	s_and_not1_b32 vcc_lo, exec_lo, s2
	s_cbranch_vccnz .LBB481_467
; %bb.466:
	global_load_u8 v3, v[1:2], off
	s_waitcnt vmcnt(0)
	v_lshlrev_b32_e32 v5, 25, v3
	v_lshlrev_b16 v3, 8, v3
	s_delay_alu instid0(VALU_DEP_2) | instskip(NEXT) | instid1(VALU_DEP_2)
	v_lshrrev_b32_e32 v6, 4, v5
	v_and_or_b32 v7, 0x7f00, v3, 0.5
	v_bfe_i32 v3, v3, 0, 16
	s_delay_alu instid0(VALU_DEP_3) | instskip(NEXT) | instid1(VALU_DEP_1)
	v_or_b32_e32 v6, 0x70000000, v6
	v_dual_add_f32 v7, -0.5, v7 :: v_dual_mul_f32 v6, 0x7800000, v6
	v_cmp_gt_u32_e32 vcc_lo, 0x8000000, v5
	s_delay_alu instid0(VALU_DEP_2) | instskip(NEXT) | instid1(VALU_DEP_1)
	v_cndmask_b32_e32 v5, v6, v7, vcc_lo
	v_and_or_b32 v3, 0x80000000, v3, v5
	s_delay_alu instid0(VALU_DEP_1)
	v_cvt_f16_f32_e32 v5, v3
.LBB481_467:
	s_mov_b32 s22, 0
	s_mov_b32 s2, -1
.LBB481_468:
	s_and_not1_b32 vcc_lo, exec_lo, s22
	s_cbranch_vccnz .LBB481_481
; %bb.469:
	v_cmp_gt_i16_e64 s22, s31, 14
	s_delay_alu instid0(VALU_DEP_1)
	s_and_b32 vcc_lo, exec_lo, s22
	s_cbranch_vccz .LBB481_472
; %bb.470:
	v_cmp_eq_u16_e64 s3, s31, 15
	s_delay_alu instid0(VALU_DEP_1)
	s_and_b32 vcc_lo, exec_lo, s3
	s_cbranch_vccz .LBB481_475
; %bb.471:
	global_load_u16 v3, v[1:2], off
	s_mov_b32 s2, -1
	s_mov_b32 s3, 0
	s_waitcnt vmcnt(0)
	v_lshlrev_b32_e32 v3, 16, v3
	s_delay_alu instid0(VALU_DEP_1)
	v_cvt_f16_f32_e32 v5, v3
	s_branch .LBB481_476
.LBB481_472:
	s_mov_b32 s22, -1
                                        ; implicit-def: $vgpr5
	s_branch .LBB481_477
.LBB481_473:
	s_or_saveexec_b32 s23, s23
	v_mov_b32_e32 v5, s22
	s_xor_b32 exec_lo, exec_lo, s23
	s_cbranch_execz .LBB481_454
.LBB481_474:
	v_cmp_ne_u16_e32 vcc_lo, 0, v3
	v_mov_b32_e32 v5, v3
	s_and_not1_b32 s2, s2, exec_lo
	s_and_b32 s22, vcc_lo, exec_lo
	s_delay_alu instid0(SALU_CYCLE_1)
	s_or_b32 s2, s2, s22
	s_or_b32 exec_lo, exec_lo, s23
	s_and_saveexec_b32 s22, s2
	s_cbranch_execnz .LBB481_455
	s_branch .LBB481_456
.LBB481_475:
	s_mov_b32 s3, -1
                                        ; implicit-def: $vgpr5
.LBB481_476:
	s_mov_b32 s22, 0
.LBB481_477:
	s_delay_alu instid0(SALU_CYCLE_1)
	s_and_b32 vcc_lo, exec_lo, s22
	s_cbranch_vccz .LBB481_481
; %bb.478:
	v_cmp_eq_u16_e64 s3, s31, 11
	s_delay_alu instid0(VALU_DEP_1)
	s_and_b32 vcc_lo, exec_lo, s3
	s_cbranch_vccz .LBB481_480
; %bb.479:
	global_load_u8 v3, v[1:2], off
	s_mov_b32 s3, 0
	s_mov_b32 s2, -1
	s_waitcnt vmcnt(0)
	v_cmp_ne_u16_e32 vcc_lo, 0, v3
	v_cndmask_b32_e64 v5, 0, 0x3c00, vcc_lo
	s_branch .LBB481_481
.LBB481_480:
	s_mov_b32 s3, -1
                                        ; implicit-def: $vgpr5
.LBB481_481:
	s_branch .LBB481_286
.LBB481_482:
	v_cmp_lt_i16_e64 s2, s31, 5
	s_delay_alu instid0(VALU_DEP_1)
	s_and_b32 vcc_lo, exec_lo, s2
	s_cbranch_vccnz .LBB481_487
; %bb.483:
	v_cmp_lt_i16_e64 s2, s31, 8
	s_delay_alu instid0(VALU_DEP_1)
	s_and_b32 vcc_lo, exec_lo, s2
	s_cbranch_vccnz .LBB481_488
; %bb.484:
	;; [unrolled: 5-line block ×3, first 2 shown]
	v_cmp_gt_i16_e64 s2, s31, 9
	s_delay_alu instid0(VALU_DEP_1)
	s_and_b32 vcc_lo, exec_lo, s2
	s_cbranch_vccz .LBB481_490
; %bb.486:
	global_load_b64 v[5:6], v[1:2], off
	s_mov_b32 s2, 0
	s_waitcnt vmcnt(0)
	v_cvt_f32_f64_e32 v3, v[5:6]
	s_delay_alu instid0(VALU_DEP_1)
	v_cvt_f16_f32_e32 v5, v3
	s_branch .LBB481_491
.LBB481_487:
	s_mov_b32 s2, -1
                                        ; implicit-def: $vgpr5
	s_branch .LBB481_509
.LBB481_488:
	s_mov_b32 s2, -1
                                        ; implicit-def: $vgpr5
	s_branch .LBB481_497
.LBB481_489:
	s_mov_b32 s2, -1
                                        ; implicit-def: $vgpr5
	s_branch .LBB481_494
.LBB481_490:
	s_mov_b32 s2, -1
                                        ; implicit-def: $vgpr5
.LBB481_491:
	s_delay_alu instid0(SALU_CYCLE_1)
	s_and_not1_b32 vcc_lo, exec_lo, s2
	s_cbranch_vccnz .LBB481_493
; %bb.492:
	global_load_b32 v3, v[1:2], off
	s_waitcnt vmcnt(0)
	v_cvt_f16_f32_e32 v5, v3
.LBB481_493:
	s_mov_b32 s2, 0
.LBB481_494:
	s_delay_alu instid0(SALU_CYCLE_1)
	s_and_not1_b32 vcc_lo, exec_lo, s2
	s_cbranch_vccnz .LBB481_496
; %bb.495:
	global_load_b32 v5, v[1:2], off
.LBB481_496:
	s_mov_b32 s2, 0
.LBB481_497:
	s_delay_alu instid0(SALU_CYCLE_1)
	s_and_not1_b32 vcc_lo, exec_lo, s2
	s_cbranch_vccnz .LBB481_508
; %bb.498:
	v_cmp_lt_i16_e64 s2, s31, 6
	s_delay_alu instid0(VALU_DEP_1)
	s_and_b32 vcc_lo, exec_lo, s2
	s_cbranch_vccnz .LBB481_501
; %bb.499:
	v_cmp_gt_i16_e64 s2, s31, 6
	s_delay_alu instid0(VALU_DEP_1)
	s_and_b32 vcc_lo, exec_lo, s2
	s_cbranch_vccz .LBB481_502
; %bb.500:
	global_load_b64 v[5:6], v[1:2], off
	s_mov_b32 s2, 0
	s_waitcnt vmcnt(0)
	v_cvt_f32_f64_e32 v3, v[5:6]
	s_delay_alu instid0(VALU_DEP_1)
	v_cvt_f16_f32_e32 v5, v3
	s_branch .LBB481_503
.LBB481_501:
	s_mov_b32 s2, -1
                                        ; implicit-def: $vgpr5
	s_branch .LBB481_506
.LBB481_502:
	s_mov_b32 s2, -1
                                        ; implicit-def: $vgpr5
.LBB481_503:
	s_delay_alu instid0(SALU_CYCLE_1)
	s_and_not1_b32 vcc_lo, exec_lo, s2
	s_cbranch_vccnz .LBB481_505
; %bb.504:
	global_load_b32 v3, v[1:2], off
	s_waitcnt vmcnt(0)
	v_cvt_f16_f32_e32 v5, v3
.LBB481_505:
	s_mov_b32 s2, 0
.LBB481_506:
	s_delay_alu instid0(SALU_CYCLE_1)
	s_and_not1_b32 vcc_lo, exec_lo, s2
	s_cbranch_vccnz .LBB481_508
; %bb.507:
	global_load_u16 v5, v[1:2], off
.LBB481_508:
	s_mov_b32 s2, 0
.LBB481_509:
	s_delay_alu instid0(SALU_CYCLE_1)
	s_and_not1_b32 vcc_lo, exec_lo, s2
	s_cbranch_vccnz .LBB481_529
; %bb.510:
	v_cmp_lt_i16_e64 s2, s31, 2
	s_delay_alu instid0(VALU_DEP_1)
	s_and_b32 vcc_lo, exec_lo, s2
	s_cbranch_vccnz .LBB481_514
; %bb.511:
	v_cmp_lt_i16_e64 s2, s31, 3
	s_delay_alu instid0(VALU_DEP_1)
	s_and_b32 vcc_lo, exec_lo, s2
	s_cbranch_vccnz .LBB481_515
; %bb.512:
	v_cmp_gt_i16_e64 s2, s31, 3
	s_delay_alu instid0(VALU_DEP_1)
	s_and_b32 vcc_lo, exec_lo, s2
	s_cbranch_vccz .LBB481_516
; %bb.513:
	global_load_b64 v[5:6], v[1:2], off
	s_mov_b32 s2, 0
	s_waitcnt vmcnt(0)
	v_xor_b32_e32 v3, v5, v6
	v_cls_i32_e32 v7, v6
	s_delay_alu instid0(VALU_DEP_2) | instskip(NEXT) | instid1(VALU_DEP_2)
	v_ashrrev_i32_e32 v3, 31, v3
	v_add_nc_u32_e32 v7, -1, v7
	s_delay_alu instid0(VALU_DEP_2) | instskip(NEXT) | instid1(VALU_DEP_1)
	v_add_nc_u32_e32 v3, 32, v3
	v_min_u32_e32 v3, v7, v3
	s_delay_alu instid0(VALU_DEP_1) | instskip(SKIP_1) | instid1(VALU_DEP_2)
	v_lshlrev_b64 v[5:6], v3, v[5:6]
	v_sub_nc_u32_e32 v3, 32, v3
	v_min_u32_e32 v5, 1, v5
	s_delay_alu instid0(VALU_DEP_1) | instskip(NEXT) | instid1(VALU_DEP_1)
	v_or_b32_e32 v5, v6, v5
	v_cvt_f32_i32_e32 v5, v5
	s_delay_alu instid0(VALU_DEP_1) | instskip(NEXT) | instid1(VALU_DEP_1)
	v_ldexp_f32 v3, v5, v3
	v_cvt_f16_f32_e32 v5, v3
	s_branch .LBB481_517
.LBB481_514:
	s_mov_b32 s2, -1
                                        ; implicit-def: $vgpr5
	s_branch .LBB481_523
.LBB481_515:
	s_mov_b32 s2, -1
                                        ; implicit-def: $vgpr5
	s_branch .LBB481_520
.LBB481_516:
	s_mov_b32 s2, -1
                                        ; implicit-def: $vgpr5
.LBB481_517:
	s_delay_alu instid0(SALU_CYCLE_1)
	s_and_not1_b32 vcc_lo, exec_lo, s2
	s_cbranch_vccnz .LBB481_519
; %bb.518:
	global_load_b32 v3, v[1:2], off
	s_waitcnt vmcnt(0)
	v_cvt_f32_i32_e32 v3, v3
	s_delay_alu instid0(VALU_DEP_1)
	v_cvt_f16_f32_e32 v5, v3
.LBB481_519:
	s_mov_b32 s2, 0
.LBB481_520:
	s_delay_alu instid0(SALU_CYCLE_1)
	s_and_not1_b32 vcc_lo, exec_lo, s2
	s_cbranch_vccnz .LBB481_522
; %bb.521:
	global_load_u16 v3, v[1:2], off
	s_waitcnt vmcnt(0)
	v_cvt_f16_i16_e32 v5, v3
.LBB481_522:
	s_mov_b32 s2, 0
.LBB481_523:
	s_delay_alu instid0(SALU_CYCLE_1)
	s_and_not1_b32 vcc_lo, exec_lo, s2
	s_cbranch_vccnz .LBB481_529
; %bb.524:
	v_cmp_gt_i16_e64 s2, s31, 0
	s_delay_alu instid0(VALU_DEP_1)
	s_and_b32 vcc_lo, exec_lo, s2
	s_mov_b32 s2, 0
	s_cbranch_vccz .LBB481_526
; %bb.525:
	global_load_i8 v3, v[1:2], off
	s_waitcnt vmcnt(0)
	v_cvt_f16_i16_e32 v5, v3
	s_branch .LBB481_527
.LBB481_526:
	s_mov_b32 s2, -1
                                        ; implicit-def: $vgpr5
.LBB481_527:
	s_delay_alu instid0(SALU_CYCLE_1)
	s_and_not1_b32 vcc_lo, exec_lo, s2
	s_cbranch_vccnz .LBB481_529
; %bb.528:
	global_load_u8 v1, v[1:2], off
	s_waitcnt vmcnt(0)
	v_cvt_f16_u16_e32 v5, v1
.LBB481_529:
	s_branch .LBB481_287
.LBB481_530:
	s_mov_b32 s22, 0
	s_mov_b32 s2, s37
.LBB481_531:
                                        ; implicit-def: $vgpr4
.LBB481_532:
	s_and_not1_b32 s23, s37, exec_lo
	s_and_b32 s2, s2, exec_lo
	s_and_not1_b32 s40, s38, exec_lo
	s_and_b32 s3, s3, exec_lo
	s_or_b32 s41, s23, s2
	s_or_b32 s40, s40, s3
	s_or_not1_b32 s2, s22, exec_lo
.LBB481_533:
	s_or_b32 exec_lo, exec_lo, s42
	s_mov_b32 s3, 0
	s_mov_b32 s23, 0
	;; [unrolled: 1-line block ×3, first 2 shown]
                                        ; implicit-def: $vgpr1_vgpr2
                                        ; implicit-def: $vgpr0
                                        ; implicit-def: $vgpr5
	s_and_saveexec_b32 s42, s2
	s_cbranch_execz .LBB481_905
; %bb.534:
	s_mov_b32 s45, -1
	s_mov_b32 s22, s40
	s_mov_b32 s23, s41
	s_mov_b32 s43, exec_lo
	v_cmpx_gt_i32_e64 s34, v4
	s_cbranch_execz .LBB481_806
; %bb.535:
	s_and_not1_b32 vcc_lo, exec_lo, s27
	s_cbranch_vccnz .LBB481_540
; %bb.536:
	v_dual_mov_b32 v0, 0 :: v_dual_mov_b32 v1, 0
	s_and_not1_b32 vcc_lo, exec_lo, s36
	s_mov_b32 s44, 0
	s_cbranch_vccnz .LBB481_545
; %bb.537:
	v_mov_b32_e32 v0, 0
	s_add_i32 s46, s35, 1
	s_cmp_eq_u32 s25, 2
	s_mov_b32 s45, 0
	s_cbranch_scc1 .LBB481_541
; %bb.538:
	v_dual_mov_b32 v1, 0 :: v_dual_mov_b32 v0, 0
	v_mov_b32_e32 v2, v4
	s_and_b32 s45, s46, 28
	s_mov_b32 s47, 0
	s_mov_b64 s[2:3], s[20:21]
	s_mov_b64 s[22:23], s[16:17]
.LBB481_539:                            ; =>This Inner Loop Header: Depth=1
	s_clause 0x1
	s_load_b256 s[48:55], s[22:23], 0x4
	s_load_b128 s[64:67], s[22:23], 0x24
	s_load_b256 s[56:63], s[2:3], 0x0
	s_add_u32 s22, s22, 48
	s_addc_u32 s23, s23, 0
	s_add_i32 s47, s47, 4
	s_add_u32 s2, s2, 32
	s_addc_u32 s3, s3, 0
	s_cmp_eq_u32 s45, s47
	s_waitcnt lgkmcnt(0)
	v_mul_hi_u32 v3, s49, v2
	s_delay_alu instid0(VALU_DEP_1) | instskip(NEXT) | instid1(VALU_DEP_1)
	v_add_nc_u32_e32 v3, v2, v3
	v_lshrrev_b32_e32 v3, s50, v3
	s_waitcnt vmcnt(0)
	s_delay_alu instid0(VALU_DEP_1) | instskip(SKIP_1) | instid1(VALU_DEP_2)
	v_mul_hi_u32 v5, s52, v3
	v_mul_lo_u32 v7, v3, s48
	v_add_nc_u32_e32 v5, v3, v5
	s_delay_alu instid0(VALU_DEP_2) | instskip(NEXT) | instid1(VALU_DEP_2)
	v_sub_nc_u32_e32 v2, v2, v7
	v_lshrrev_b32_e32 v5, s53, v5
	s_delay_alu instid0(VALU_DEP_2) | instskip(SKIP_1) | instid1(VALU_DEP_3)
	v_mul_lo_u32 v7, v2, s56
	v_mul_lo_u32 v9, v2, s57
	v_mul_hi_u32 v6, s55, v5
	s_delay_alu instid0(VALU_DEP_1) | instskip(NEXT) | instid1(VALU_DEP_1)
	v_add_nc_u32_e32 v6, v5, v6
	v_lshrrev_b32_e32 v6, s64, v6
	s_delay_alu instid0(VALU_DEP_1) | instskip(SKIP_1) | instid1(VALU_DEP_2)
	v_mul_hi_u32 v8, s66, v6
	v_mul_lo_u32 v10, v6, s54
	v_add_nc_u32_e32 v2, v6, v8
	v_mul_lo_u32 v8, v5, s51
	s_delay_alu instid0(VALU_DEP_3) | instskip(NEXT) | instid1(VALU_DEP_3)
	v_sub_nc_u32_e32 v5, v5, v10
	v_lshrrev_b32_e32 v2, s67, v2
	s_delay_alu instid0(VALU_DEP_2) | instskip(SKIP_2) | instid1(VALU_DEP_4)
	v_mul_lo_u32 v10, v5, s60
	v_mul_lo_u32 v5, v5, s61
	v_sub_nc_u32_e32 v3, v3, v8
	v_mul_lo_u32 v11, v2, s65
	s_delay_alu instid0(VALU_DEP_2) | instskip(SKIP_1) | instid1(VALU_DEP_3)
	v_mul_lo_u32 v8, v3, s58
	v_mul_lo_u32 v3, v3, s59
	v_sub_nc_u32_e32 v6, v6, v11
	s_delay_alu instid0(VALU_DEP_3) | instskip(NEXT) | instid1(VALU_DEP_2)
	v_add3_u32 v0, v7, v0, v8
	v_mul_lo_u32 v11, v6, s62
	v_mul_lo_u32 v6, v6, s63
	v_add3_u32 v1, v9, v1, v3
	s_delay_alu instid0(VALU_DEP_3) | instskip(NEXT) | instid1(VALU_DEP_2)
	v_add3_u32 v0, v10, v0, v11
	v_add3_u32 v1, v5, v1, v6
	s_cbranch_scc0 .LBB481_539
	s_branch .LBB481_542
.LBB481_540:
	s_mov_b32 s44, -1
                                        ; implicit-def: $vgpr0
                                        ; implicit-def: $vgpr1
	s_branch .LBB481_545
.LBB481_541:
	v_dual_mov_b32 v2, v4 :: v_dual_mov_b32 v1, 0
.LBB481_542:
	s_and_b32 s46, s46, 3
	s_delay_alu instid0(SALU_CYCLE_1)
	s_cmp_eq_u32 s46, 0
	s_cbranch_scc1 .LBB481_545
; %bb.543:
	s_lshl_b32 s2, s45, 3
	s_mul_i32 s22, s45, 12
	s_add_u32 s2, s2, s16
	s_addc_u32 s3, s17, 0
	s_add_u32 s2, s2, 0xc4
	s_addc_u32 s3, s3, 0
	;; [unrolled: 2-line block ×3, first 2 shown]
	.p2align	6
.LBB481_544:                            ; =>This Inner Loop Header: Depth=1
	s_clause 0x1
	s_load_b64 s[48:49], s[22:23], 0x4
	s_load_b32 s45, s[22:23], 0xc
	s_load_b64 s[50:51], s[2:3], 0x0
	s_add_u32 s22, s22, 12
	s_addc_u32 s23, s23, 0
	s_add_u32 s2, s2, 8
	s_addc_u32 s3, s3, 0
	s_add_i32 s46, s46, -1
	s_delay_alu instid0(SALU_CYCLE_1) | instskip(SKIP_2) | instid1(VALU_DEP_1)
	s_cmp_lg_u32 s46, 0
	s_waitcnt lgkmcnt(0)
	v_mul_hi_u32 v3, s49, v2
	v_add_nc_u32_e32 v3, v2, v3
	s_delay_alu instid0(VALU_DEP_1) | instskip(SKIP_1) | instid1(VALU_DEP_1)
	v_lshrrev_b32_e32 v3, s45, v3
	s_waitcnt vmcnt(0)
	v_mul_lo_u32 v5, v3, s48
	s_delay_alu instid0(VALU_DEP_1) | instskip(NEXT) | instid1(VALU_DEP_1)
	v_sub_nc_u32_e32 v2, v2, v5
	v_mad_u64_u32 v[5:6], null, v2, s50, v[0:1]
	v_mad_u64_u32 v[6:7], null, v2, s51, v[1:2]
	v_mov_b32_e32 v2, v3
	s_delay_alu instid0(VALU_DEP_2)
	v_dual_mov_b32 v0, v5 :: v_dual_mov_b32 v1, v6
	s_cbranch_scc1 .LBB481_544
.LBB481_545:
	s_and_not1_b32 vcc_lo, exec_lo, s44
	s_cbranch_vccnz .LBB481_548
; %bb.546:
	v_mul_hi_u32 v0, s9, v4
	s_and_not1_b32 vcc_lo, exec_lo, s33
	s_delay_alu instid0(VALU_DEP_1) | instskip(NEXT) | instid1(VALU_DEP_1)
	v_add_nc_u32_e32 v0, v4, v0
	v_lshrrev_b32_e32 v2, s10, v0
	s_delay_alu instid0(VALU_DEP_1) | instskip(NEXT) | instid1(VALU_DEP_1)
	v_mul_lo_u32 v0, v2, s8
	v_sub_nc_u32_e32 v1, v4, v0
	s_delay_alu instid0(VALU_DEP_1)
	v_mul_lo_u32 v0, v1, s12
	v_mul_lo_u32 v1, v1, s13
	s_cbranch_vccnz .LBB481_548
; %bb.547:
	v_mul_hi_u32 v3, s18, v2
	s_delay_alu instid0(VALU_DEP_1) | instskip(NEXT) | instid1(VALU_DEP_1)
	v_add_nc_u32_e32 v3, v2, v3
	v_lshrrev_b32_e32 v3, s19, v3
	s_delay_alu instid0(VALU_DEP_1) | instskip(NEXT) | instid1(VALU_DEP_1)
	v_mul_lo_u32 v3, v3, s11
	v_sub_nc_u32_e32 v7, v2, v3
	s_delay_alu instid0(VALU_DEP_1) | instskip(SKIP_1) | instid1(VALU_DEP_1)
	v_mad_u64_u32 v[2:3], null, v7, s14, v[0:1]
	s_waitcnt vmcnt(0)
	v_mad_u64_u32 v[5:6], null, v7, s15, v[1:2]
	s_delay_alu instid0(VALU_DEP_1)
	v_dual_mov_b32 v0, v2 :: v_dual_mov_b32 v1, v5
.LBB481_548:
	v_cmp_lt_i16_e64 s2, s31, 11
	s_delay_alu instid0(VALU_DEP_2) | instskip(NEXT) | instid1(VALU_DEP_1)
	v_add_co_u32 v1, s3, s6, v1
	v_add_co_ci_u32_e64 v2, null, s7, 0, s3
	s_delay_alu instid0(VALU_DEP_3)
	s_and_b32 vcc_lo, exec_lo, s2
	s_mov_b32 s2, 0
	s_cbranch_vccnz .LBB481_555
; %bb.549:
	v_cmp_gt_i16_e64 s2, s31, 25
	s_delay_alu instid0(VALU_DEP_1)
	s_and_b32 vcc_lo, exec_lo, s2
	s_cbranch_vccz .LBB481_556
; %bb.550:
	v_cmp_gt_i16_e64 s2, s31, 28
	s_delay_alu instid0(VALU_DEP_1)
	s_and_b32 vcc_lo, exec_lo, s2
	s_cbranch_vccz .LBB481_557
; %bb.551:
	v_cmp_gt_i16_e64 s2, s31, 43
	s_delay_alu instid0(VALU_DEP_1)
	s_and_b32 vcc_lo, exec_lo, s2
	s_cbranch_vccz .LBB481_558
; %bb.552:
	v_cmp_gt_i16_e64 s2, s31, 45
	s_delay_alu instid0(VALU_DEP_1)
	s_and_b32 vcc_lo, exec_lo, s2
	s_cbranch_vccz .LBB481_561
; %bb.553:
	v_cmp_eq_u16_e64 s2, s31, 46
	s_mov_b32 s22, 0
	s_delay_alu instid0(VALU_DEP_1)
	s_and_b32 vcc_lo, exec_lo, s2
	s_cbranch_vccz .LBB481_564
; %bb.554:
	global_load_b32 v3, v[1:2], off
	s_mov_b32 s2, -1
	s_mov_b32 s3, 0
	s_waitcnt vmcnt(0)
	v_lshlrev_b32_e32 v3, 16, v3
	s_delay_alu instid0(VALU_DEP_1)
	v_cvt_f16_f32_e32 v5, v3
	s_branch .LBB481_566
.LBB481_555:
	s_mov_b32 s22, -1
	s_mov_b32 s3, s40
                                        ; implicit-def: $vgpr5
	s_branch .LBB481_631
.LBB481_556:
	s_mov_b32 s22, -1
	s_mov_b32 s2, 0
	s_mov_b32 s3, s40
                                        ; implicit-def: $vgpr5
	s_branch .LBB481_595
.LBB481_557:
	s_mov_b32 s22, -1
	s_mov_b32 s2, 0
	s_mov_b32 s3, s40
                                        ; implicit-def: $vgpr5
	s_branch .LBB481_576
.LBB481_558:
	s_mov_b32 s22, -1
	s_mov_b32 s2, 0
	s_mov_b32 s3, s40
                                        ; implicit-def: $vgpr5
	s_branch .LBB481_571
.LBB481_559:
	s_or_saveexec_b32 s40, s40
                                        ; implicit-def: $sgpr41
	s_delay_alu instid0(SALU_CYCLE_1)
	s_xor_b32 exec_lo, exec_lo, s40
	s_cbranch_execz .LBB481_370
.LBB481_560:
	v_add_f32_e64 v6, 0x46000000, |v5|
	s_and_not1_b32 s23, s23, exec_lo
	s_mov_b32 s41, 0
	s_delay_alu instid0(VALU_DEP_1) | instskip(NEXT) | instid1(VALU_DEP_1)
	v_and_b32_e32 v6, 0xff, v6
	v_cmp_ne_u32_e32 vcc_lo, 0, v6
	s_and_b32 s43, vcc_lo, exec_lo
	s_delay_alu instid0(SALU_CYCLE_1)
	s_or_b32 s23, s23, s43
	s_or_b32 exec_lo, exec_lo, s40
	v_mov_b32_e32 v7, s41
	s_and_saveexec_b32 s40, s23
	s_cbranch_execnz .LBB481_371
	s_branch .LBB481_372
.LBB481_561:
	s_mov_b32 s22, -1
	s_mov_b32 s2, 0
	s_mov_b32 s3, s40
	s_branch .LBB481_565
.LBB481_562:
	s_or_saveexec_b32 s40, s40
                                        ; implicit-def: $sgpr41
	s_delay_alu instid0(SALU_CYCLE_1)
	s_xor_b32 exec_lo, exec_lo, s40
	s_cbranch_execz .LBB481_383
.LBB481_563:
	v_add_f32_e64 v6, 0x42800000, |v5|
	s_and_not1_b32 s23, s23, exec_lo
	s_mov_b32 s41, 0
	s_delay_alu instid0(VALU_DEP_1) | instskip(NEXT) | instid1(VALU_DEP_1)
	v_and_b32_e32 v6, 0xff, v6
	v_cmp_ne_u32_e32 vcc_lo, 0, v6
	s_and_b32 s43, vcc_lo, exec_lo
	s_delay_alu instid0(SALU_CYCLE_1)
	s_or_b32 s23, s23, s43
	s_or_b32 exec_lo, exec_lo, s40
	v_mov_b32_e32 v7, s41
	s_and_saveexec_b32 s40, s23
	s_cbranch_execnz .LBB481_384
	s_branch .LBB481_385
.LBB481_564:
	s_mov_b32 s3, -1
	s_mov_b32 s2, 0
.LBB481_565:
                                        ; implicit-def: $vgpr5
.LBB481_566:
	s_and_b32 vcc_lo, exec_lo, s22
	s_cbranch_vccz .LBB481_570
; %bb.567:
	v_cmp_eq_u16_e64 s3, s31, 44
	s_delay_alu instid0(VALU_DEP_1)
	s_and_b32 vcc_lo, exec_lo, s3
	s_cbranch_vccz .LBB481_569
; %bb.568:
	global_load_u8 v3, v[1:2], off
	s_mov_b32 s3, 0
	s_mov_b32 s2, -1
	s_waitcnt vmcnt(0)
	v_lshlrev_b32_e32 v5, 23, v3
	v_cmp_ne_u32_e32 vcc_lo, 0xff, v3
	s_delay_alu instid0(VALU_DEP_2) | instskip(NEXT) | instid1(VALU_DEP_1)
	v_cvt_f16_f32_e32 v5, v5
	v_cndmask_b32_e32 v5, 0x7e00, v5, vcc_lo
	v_cmp_ne_u32_e32 vcc_lo, 0, v3
	s_delay_alu instid0(VALU_DEP_2)
	v_cndmask_b32_e32 v5, 0, v5, vcc_lo
	s_branch .LBB481_570
.LBB481_569:
	s_mov_b32 s3, -1
                                        ; implicit-def: $vgpr5
.LBB481_570:
	s_mov_b32 s22, 0
.LBB481_571:
	s_delay_alu instid0(SALU_CYCLE_1)
	s_and_b32 vcc_lo, exec_lo, s22
	s_cbranch_vccz .LBB481_575
; %bb.572:
	v_cmp_eq_u16_e64 s3, s31, 29
	s_delay_alu instid0(VALU_DEP_1)
	s_and_b32 vcc_lo, exec_lo, s3
	s_cbranch_vccz .LBB481_574
; %bb.573:
	global_load_b64 v[5:6], v[1:2], off
	s_mov_b32 s2, -1
	s_mov_b32 s3, 0
	s_mov_b32 s22, 0
	s_waitcnt vmcnt(0)
	v_clz_i32_u32_e32 v3, v6
	s_delay_alu instid0(VALU_DEP_1) | instskip(NEXT) | instid1(VALU_DEP_1)
	v_min_u32_e32 v3, 32, v3
	v_lshlrev_b64 v[5:6], v3, v[5:6]
	v_sub_nc_u32_e32 v3, 32, v3
	s_delay_alu instid0(VALU_DEP_2) | instskip(NEXT) | instid1(VALU_DEP_1)
	v_min_u32_e32 v5, 1, v5
	v_or_b32_e32 v5, v6, v5
	s_delay_alu instid0(VALU_DEP_1) | instskip(NEXT) | instid1(VALU_DEP_1)
	v_cvt_f32_u32_e32 v5, v5
	v_ldexp_f32 v3, v5, v3
	s_delay_alu instid0(VALU_DEP_1)
	v_cvt_f16_f32_e32 v5, v3
	s_branch .LBB481_576
.LBB481_574:
	s_mov_b32 s3, -1
                                        ; implicit-def: $vgpr5
.LBB481_575:
	s_mov_b32 s22, 0
.LBB481_576:
	s_delay_alu instid0(SALU_CYCLE_1)
	s_and_b32 vcc_lo, exec_lo, s22
	s_cbranch_vccz .LBB481_594
; %bb.577:
	v_cmp_lt_i16_e64 s2, s31, 27
	s_delay_alu instid0(VALU_DEP_1)
	s_and_b32 vcc_lo, exec_lo, s2
	s_cbranch_vccnz .LBB481_580
; %bb.578:
	v_cmp_gt_i16_e64 s2, s31, 27
	s_delay_alu instid0(VALU_DEP_1)
	s_and_b32 vcc_lo, exec_lo, s2
	s_cbranch_vccz .LBB481_581
; %bb.579:
	global_load_b32 v3, v[1:2], off
	s_mov_b32 s2, 0
	s_waitcnt vmcnt(0)
	v_cvt_f32_u32_e32 v3, v3
	s_delay_alu instid0(VALU_DEP_1)
	v_cvt_f16_f32_e32 v5, v3
	s_branch .LBB481_582
.LBB481_580:
	s_mov_b32 s2, -1
                                        ; implicit-def: $vgpr5
	s_branch .LBB481_585
.LBB481_581:
	s_mov_b32 s2, -1
                                        ; implicit-def: $vgpr5
.LBB481_582:
	s_delay_alu instid0(SALU_CYCLE_1)
	s_and_not1_b32 vcc_lo, exec_lo, s2
	s_cbranch_vccnz .LBB481_584
; %bb.583:
	global_load_u16 v3, v[1:2], off
	s_waitcnt vmcnt(0)
	v_cvt_f16_u16_e32 v5, v3
.LBB481_584:
	s_mov_b32 s2, 0
.LBB481_585:
	s_delay_alu instid0(SALU_CYCLE_1)
	s_and_not1_b32 vcc_lo, exec_lo, s2
	s_cbranch_vccnz .LBB481_593
; %bb.586:
	global_load_u8 v3, v[1:2], off
	s_mov_b32 s2, 0
	s_mov_b32 s23, exec_lo
                                        ; implicit-def: $sgpr22
	s_waitcnt vmcnt(0)
	v_cmpx_lt_i16_e32 0x7f, v3
	s_xor_b32 s23, exec_lo, s23
	s_cbranch_execz .LBB481_607
; %bb.587:
	s_mov_b32 s2, -1
	s_mov_b32 s44, exec_lo
                                        ; implicit-def: $sgpr22
	v_cmpx_eq_u16_e32 0x80, v3
; %bb.588:
	s_movk_i32 s22, 0x7e00
	s_xor_b32 s2, exec_lo, -1
; %bb.589:
	s_or_b32 exec_lo, exec_lo, s44
	s_delay_alu instid0(SALU_CYCLE_1)
	s_and_b32 s2, s2, exec_lo
	s_or_saveexec_b32 s23, s23
	v_mov_b32_e32 v5, s22
	s_xor_b32 exec_lo, exec_lo, s23
	s_cbranch_execnz .LBB481_608
.LBB481_590:
	s_or_b32 exec_lo, exec_lo, s23
	s_and_saveexec_b32 s22, s2
	s_cbranch_execz .LBB481_592
.LBB481_591:
	v_and_b32_e32 v5, 0xffff, v3
	v_lshlrev_b32_e32 v3, 24, v3
	s_delay_alu instid0(VALU_DEP_2) | instskip(NEXT) | instid1(VALU_DEP_2)
	v_and_b32_e32 v6, 7, v5
	v_and_b32_e32 v3, 0x80000000, v3
	s_delay_alu instid0(VALU_DEP_2) | instskip(NEXT) | instid1(VALU_DEP_1)
	v_clz_i32_u32_e32 v7, v6
	v_min_u32_e32 v7, 32, v7
	s_delay_alu instid0(VALU_DEP_1) | instskip(SKIP_1) | instid1(VALU_DEP_2)
	v_subrev_nc_u32_e32 v8, 28, v7
	v_sub_nc_u32_e32 v7, 29, v7
	v_lshlrev_b32_e32 v8, v8, v5
	v_bfe_u32 v5, v5, 3, 4
	s_delay_alu instid0(VALU_DEP_2) | instskip(NEXT) | instid1(VALU_DEP_2)
	v_and_b32_e32 v8, 7, v8
	v_cmp_eq_u32_e32 vcc_lo, 0, v5
	s_delay_alu instid0(VALU_DEP_2) | instskip(NEXT) | instid1(VALU_DEP_1)
	v_dual_cndmask_b32 v5, v5, v7 :: v_dual_cndmask_b32 v6, v6, v8
	v_lshl_add_u32 v5, v5, 23, 0x3b800000
	s_delay_alu instid0(VALU_DEP_2) | instskip(NEXT) | instid1(VALU_DEP_1)
	v_lshlrev_b32_e32 v6, 20, v6
	v_or3_b32 v3, v3, v5, v6
	s_delay_alu instid0(VALU_DEP_1)
	v_cvt_f16_f32_e32 v5, v3
.LBB481_592:
	s_or_b32 exec_lo, exec_lo, s22
.LBB481_593:
	s_mov_b32 s2, -1
.LBB481_594:
	s_mov_b32 s22, 0
.LBB481_595:
	s_delay_alu instid0(SALU_CYCLE_1)
	s_and_b32 vcc_lo, exec_lo, s22
	s_cbranch_vccz .LBB481_630
; %bb.596:
	v_cmp_gt_i16_e64 s22, s31, 22
	s_delay_alu instid0(VALU_DEP_1)
	s_and_b32 vcc_lo, exec_lo, s22
	s_cbranch_vccz .LBB481_606
; %bb.597:
	v_cmp_lt_i16_e64 s2, s31, 24
	s_delay_alu instid0(VALU_DEP_1)
	s_and_b32 vcc_lo, exec_lo, s2
	s_cbranch_vccnz .LBB481_609
; %bb.598:
	v_cmp_gt_i16_e64 s2, s31, 24
	s_delay_alu instid0(VALU_DEP_1)
	s_and_b32 vcc_lo, exec_lo, s2
	s_cbranch_vccz .LBB481_610
; %bb.599:
	global_load_u8 v3, v[1:2], off
	s_mov_b32 s2, 0
	s_mov_b32 s23, exec_lo
                                        ; implicit-def: $sgpr22
	s_waitcnt vmcnt(0)
	v_cmpx_lt_i16_e32 0x7f, v3
	s_xor_b32 s23, exec_lo, s23
	s_cbranch_execz .LBB481_622
; %bb.600:
	s_mov_b32 s2, -1
	s_mov_b32 s44, exec_lo
                                        ; implicit-def: $sgpr22
	v_cmpx_eq_u16_e32 0x80, v3
; %bb.601:
	s_movk_i32 s22, 0x7e00
	s_xor_b32 s2, exec_lo, -1
; %bb.602:
	s_or_b32 exec_lo, exec_lo, s44
	s_delay_alu instid0(SALU_CYCLE_1)
	s_and_b32 s2, s2, exec_lo
	s_or_saveexec_b32 s23, s23
	v_mov_b32_e32 v5, s22
	s_xor_b32 exec_lo, exec_lo, s23
	s_cbranch_execnz .LBB481_623
.LBB481_603:
	s_or_b32 exec_lo, exec_lo, s23
	s_and_saveexec_b32 s22, s2
	s_cbranch_execz .LBB481_605
.LBB481_604:
	v_and_b32_e32 v5, 0xffff, v3
	v_lshlrev_b32_e32 v3, 24, v3
	s_delay_alu instid0(VALU_DEP_2) | instskip(NEXT) | instid1(VALU_DEP_2)
	v_and_b32_e32 v6, 3, v5
	v_and_b32_e32 v3, 0x80000000, v3
	s_delay_alu instid0(VALU_DEP_2) | instskip(NEXT) | instid1(VALU_DEP_1)
	v_clz_i32_u32_e32 v7, v6
	v_min_u32_e32 v7, 32, v7
	s_delay_alu instid0(VALU_DEP_1) | instskip(SKIP_1) | instid1(VALU_DEP_2)
	v_subrev_nc_u32_e32 v8, 29, v7
	v_sub_nc_u32_e32 v7, 30, v7
	v_lshlrev_b32_e32 v8, v8, v5
	v_bfe_u32 v5, v5, 2, 5
	s_delay_alu instid0(VALU_DEP_2) | instskip(NEXT) | instid1(VALU_DEP_2)
	v_and_b32_e32 v8, 3, v8
	v_cmp_eq_u32_e32 vcc_lo, 0, v5
	s_delay_alu instid0(VALU_DEP_2) | instskip(NEXT) | instid1(VALU_DEP_1)
	v_dual_cndmask_b32 v5, v5, v7 :: v_dual_cndmask_b32 v6, v6, v8
	v_lshl_add_u32 v5, v5, 23, 0x37800000
	s_delay_alu instid0(VALU_DEP_2) | instskip(NEXT) | instid1(VALU_DEP_1)
	v_lshlrev_b32_e32 v6, 21, v6
	v_or3_b32 v3, v3, v5, v6
	s_delay_alu instid0(VALU_DEP_1)
	v_cvt_f16_f32_e32 v5, v3
.LBB481_605:
	s_or_b32 exec_lo, exec_lo, s22
	s_mov_b32 s2, 0
	s_branch .LBB481_611
.LBB481_606:
	s_mov_b32 s22, -1
                                        ; implicit-def: $vgpr5
	s_branch .LBB481_617
.LBB481_607:
	s_or_saveexec_b32 s23, s23
	v_mov_b32_e32 v5, s22
	s_xor_b32 exec_lo, exec_lo, s23
	s_cbranch_execz .LBB481_590
.LBB481_608:
	v_cmp_ne_u16_e32 vcc_lo, 0, v3
	v_mov_b32_e32 v5, v3
	s_and_not1_b32 s2, s2, exec_lo
	s_and_b32 s22, vcc_lo, exec_lo
	s_delay_alu instid0(SALU_CYCLE_1)
	s_or_b32 s2, s2, s22
	s_or_b32 exec_lo, exec_lo, s23
	s_and_saveexec_b32 s22, s2
	s_cbranch_execnz .LBB481_591
	s_branch .LBB481_592
.LBB481_609:
	s_mov_b32 s2, -1
                                        ; implicit-def: $vgpr5
	s_branch .LBB481_614
.LBB481_610:
	s_mov_b32 s2, -1
                                        ; implicit-def: $vgpr5
.LBB481_611:
	s_delay_alu instid0(SALU_CYCLE_1)
	s_and_b32 vcc_lo, exec_lo, s2
	s_cbranch_vccz .LBB481_613
; %bb.612:
	global_load_u8 v3, v[1:2], off
	s_waitcnt vmcnt(0)
	v_lshlrev_b32_e32 v3, 24, v3
	s_delay_alu instid0(VALU_DEP_1) | instskip(NEXT) | instid1(VALU_DEP_1)
	v_and_b32_e32 v5, 0x7f000000, v3
	v_clz_i32_u32_e32 v6, v5
	v_cmp_ne_u32_e32 vcc_lo, 0, v5
	v_add_nc_u32_e32 v8, 0x1000000, v5
	s_delay_alu instid0(VALU_DEP_3) | instskip(NEXT) | instid1(VALU_DEP_1)
	v_min_u32_e32 v6, 32, v6
	v_sub_nc_u32_e64 v6, v6, 4 clamp
	s_delay_alu instid0(VALU_DEP_1) | instskip(SKIP_1) | instid1(VALU_DEP_2)
	v_lshlrev_b32_e32 v7, v6, v5
	v_lshlrev_b32_e32 v6, 23, v6
	v_lshrrev_b32_e32 v7, 4, v7
	s_delay_alu instid0(VALU_DEP_1) | instskip(SKIP_1) | instid1(VALU_DEP_2)
	v_sub_nc_u32_e32 v6, v7, v6
	v_ashrrev_i32_e32 v7, 8, v8
	v_add_nc_u32_e32 v6, 0x3c000000, v6
	s_delay_alu instid0(VALU_DEP_1) | instskip(NEXT) | instid1(VALU_DEP_1)
	v_and_or_b32 v6, 0x7f800000, v7, v6
	v_cndmask_b32_e32 v5, 0, v6, vcc_lo
	s_delay_alu instid0(VALU_DEP_1) | instskip(NEXT) | instid1(VALU_DEP_1)
	v_and_or_b32 v3, 0x80000000, v3, v5
	v_cvt_f16_f32_e32 v5, v3
.LBB481_613:
	s_mov_b32 s2, 0
.LBB481_614:
	s_delay_alu instid0(SALU_CYCLE_1)
	s_and_not1_b32 vcc_lo, exec_lo, s2
	s_cbranch_vccnz .LBB481_616
; %bb.615:
	global_load_u8 v3, v[1:2], off
	s_waitcnt vmcnt(0)
	v_lshlrev_b32_e32 v5, 25, v3
	v_lshlrev_b16 v3, 8, v3
	s_delay_alu instid0(VALU_DEP_2) | instskip(NEXT) | instid1(VALU_DEP_2)
	v_lshrrev_b32_e32 v6, 4, v5
	v_and_or_b32 v7, 0x7f00, v3, 0.5
	v_bfe_i32 v3, v3, 0, 16
	s_delay_alu instid0(VALU_DEP_3) | instskip(NEXT) | instid1(VALU_DEP_1)
	v_or_b32_e32 v6, 0x70000000, v6
	v_dual_add_f32 v7, -0.5, v7 :: v_dual_mul_f32 v6, 0x7800000, v6
	v_cmp_gt_u32_e32 vcc_lo, 0x8000000, v5
	s_delay_alu instid0(VALU_DEP_2) | instskip(NEXT) | instid1(VALU_DEP_1)
	v_cndmask_b32_e32 v5, v6, v7, vcc_lo
	v_and_or_b32 v3, 0x80000000, v3, v5
	s_delay_alu instid0(VALU_DEP_1)
	v_cvt_f16_f32_e32 v5, v3
.LBB481_616:
	s_mov_b32 s22, 0
	s_mov_b32 s2, -1
.LBB481_617:
	s_and_not1_b32 vcc_lo, exec_lo, s22
	s_cbranch_vccnz .LBB481_630
; %bb.618:
	v_cmp_gt_i16_e64 s22, s31, 14
	s_delay_alu instid0(VALU_DEP_1)
	s_and_b32 vcc_lo, exec_lo, s22
	s_cbranch_vccz .LBB481_621
; %bb.619:
	v_cmp_eq_u16_e64 s3, s31, 15
	s_delay_alu instid0(VALU_DEP_1)
	s_and_b32 vcc_lo, exec_lo, s3
	s_cbranch_vccz .LBB481_624
; %bb.620:
	global_load_u16 v3, v[1:2], off
	s_mov_b32 s2, -1
	s_mov_b32 s3, 0
	s_waitcnt vmcnt(0)
	v_lshlrev_b32_e32 v3, 16, v3
	s_delay_alu instid0(VALU_DEP_1)
	v_cvt_f16_f32_e32 v5, v3
	s_branch .LBB481_625
.LBB481_621:
	s_mov_b32 s22, -1
                                        ; implicit-def: $vgpr5
	s_branch .LBB481_626
.LBB481_622:
	s_or_saveexec_b32 s23, s23
	v_mov_b32_e32 v5, s22
	s_xor_b32 exec_lo, exec_lo, s23
	s_cbranch_execz .LBB481_603
.LBB481_623:
	v_cmp_ne_u16_e32 vcc_lo, 0, v3
	v_mov_b32_e32 v5, v3
	s_and_not1_b32 s2, s2, exec_lo
	s_and_b32 s22, vcc_lo, exec_lo
	s_delay_alu instid0(SALU_CYCLE_1)
	s_or_b32 s2, s2, s22
	s_or_b32 exec_lo, exec_lo, s23
	s_and_saveexec_b32 s22, s2
	s_cbranch_execnz .LBB481_604
	s_branch .LBB481_605
.LBB481_624:
	s_mov_b32 s3, -1
                                        ; implicit-def: $vgpr5
.LBB481_625:
	s_mov_b32 s22, 0
.LBB481_626:
	s_delay_alu instid0(SALU_CYCLE_1)
	s_and_b32 vcc_lo, exec_lo, s22
	s_cbranch_vccz .LBB481_630
; %bb.627:
	v_cmp_eq_u16_e64 s3, s31, 11
	s_delay_alu instid0(VALU_DEP_1)
	s_and_b32 vcc_lo, exec_lo, s3
	s_cbranch_vccz .LBB481_629
; %bb.628:
	global_load_u8 v3, v[1:2], off
	s_mov_b32 s3, 0
	s_mov_b32 s2, -1
	s_waitcnt vmcnt(0)
	v_cmp_ne_u16_e32 vcc_lo, 0, v3
	v_cndmask_b32_e64 v5, 0, 0x3c00, vcc_lo
	s_branch .LBB481_630
.LBB481_629:
	s_mov_b32 s3, -1
                                        ; implicit-def: $vgpr5
.LBB481_630:
	s_mov_b32 s22, 0
.LBB481_631:
	s_delay_alu instid0(SALU_CYCLE_1)
	s_and_b32 vcc_lo, exec_lo, s22
	s_cbranch_vccz .LBB481_680
; %bb.632:
	v_cmp_lt_i16_e64 s2, s31, 5
	s_delay_alu instid0(VALU_DEP_1)
	s_and_b32 vcc_lo, exec_lo, s2
	s_cbranch_vccnz .LBB481_637
; %bb.633:
	v_cmp_lt_i16_e64 s2, s31, 8
	s_delay_alu instid0(VALU_DEP_1)
	s_and_b32 vcc_lo, exec_lo, s2
	s_cbranch_vccnz .LBB481_638
	;; [unrolled: 5-line block ×3, first 2 shown]
; %bb.635:
	v_cmp_gt_i16_e64 s2, s31, 9
	s_delay_alu instid0(VALU_DEP_1)
	s_and_b32 vcc_lo, exec_lo, s2
	s_cbranch_vccz .LBB481_640
; %bb.636:
	global_load_b64 v[5:6], v[1:2], off
	s_mov_b32 s2, 0
	s_waitcnt vmcnt(0)
	v_cvt_f32_f64_e32 v3, v[5:6]
	s_delay_alu instid0(VALU_DEP_1)
	v_cvt_f16_f32_e32 v5, v3
	s_branch .LBB481_641
.LBB481_637:
	s_mov_b32 s2, -1
                                        ; implicit-def: $vgpr5
	s_branch .LBB481_659
.LBB481_638:
	s_mov_b32 s2, -1
                                        ; implicit-def: $vgpr5
	s_branch .LBB481_647
.LBB481_639:
	s_mov_b32 s2, -1
                                        ; implicit-def: $vgpr5
	s_branch .LBB481_644
.LBB481_640:
	s_mov_b32 s2, -1
                                        ; implicit-def: $vgpr5
.LBB481_641:
	s_delay_alu instid0(SALU_CYCLE_1)
	s_and_not1_b32 vcc_lo, exec_lo, s2
	s_cbranch_vccnz .LBB481_643
; %bb.642:
	global_load_b32 v3, v[1:2], off
	s_waitcnt vmcnt(0)
	v_cvt_f16_f32_e32 v5, v3
.LBB481_643:
	s_mov_b32 s2, 0
.LBB481_644:
	s_delay_alu instid0(SALU_CYCLE_1)
	s_and_not1_b32 vcc_lo, exec_lo, s2
	s_cbranch_vccnz .LBB481_646
; %bb.645:
	global_load_b32 v5, v[1:2], off
.LBB481_646:
	s_mov_b32 s2, 0
.LBB481_647:
	s_delay_alu instid0(SALU_CYCLE_1)
	s_and_not1_b32 vcc_lo, exec_lo, s2
	s_cbranch_vccnz .LBB481_658
; %bb.648:
	v_cmp_lt_i16_e64 s2, s31, 6
	s_delay_alu instid0(VALU_DEP_1)
	s_and_b32 vcc_lo, exec_lo, s2
	s_cbranch_vccnz .LBB481_651
; %bb.649:
	v_cmp_gt_i16_e64 s2, s31, 6
	s_delay_alu instid0(VALU_DEP_1)
	s_and_b32 vcc_lo, exec_lo, s2
	s_cbranch_vccz .LBB481_652
; %bb.650:
	global_load_b64 v[5:6], v[1:2], off
	s_mov_b32 s2, 0
	s_waitcnt vmcnt(0)
	v_cvt_f32_f64_e32 v3, v[5:6]
	s_delay_alu instid0(VALU_DEP_1)
	v_cvt_f16_f32_e32 v5, v3
	s_branch .LBB481_653
.LBB481_651:
	s_mov_b32 s2, -1
                                        ; implicit-def: $vgpr5
	s_branch .LBB481_656
.LBB481_652:
	s_mov_b32 s2, -1
                                        ; implicit-def: $vgpr5
.LBB481_653:
	s_delay_alu instid0(SALU_CYCLE_1)
	s_and_not1_b32 vcc_lo, exec_lo, s2
	s_cbranch_vccnz .LBB481_655
; %bb.654:
	global_load_b32 v3, v[1:2], off
	s_waitcnt vmcnt(0)
	v_cvt_f16_f32_e32 v5, v3
.LBB481_655:
	s_mov_b32 s2, 0
.LBB481_656:
	s_delay_alu instid0(SALU_CYCLE_1)
	s_and_not1_b32 vcc_lo, exec_lo, s2
	s_cbranch_vccnz .LBB481_658
; %bb.657:
	global_load_u16 v5, v[1:2], off
.LBB481_658:
	s_mov_b32 s2, 0
.LBB481_659:
	s_delay_alu instid0(SALU_CYCLE_1)
	s_and_not1_b32 vcc_lo, exec_lo, s2
	s_cbranch_vccnz .LBB481_679
; %bb.660:
	v_cmp_lt_i16_e64 s2, s31, 2
	s_delay_alu instid0(VALU_DEP_1)
	s_and_b32 vcc_lo, exec_lo, s2
	s_cbranch_vccnz .LBB481_664
; %bb.661:
	v_cmp_lt_i16_e64 s2, s31, 3
	s_delay_alu instid0(VALU_DEP_1)
	s_and_b32 vcc_lo, exec_lo, s2
	s_cbranch_vccnz .LBB481_665
; %bb.662:
	v_cmp_gt_i16_e64 s2, s31, 3
	s_delay_alu instid0(VALU_DEP_1)
	s_and_b32 vcc_lo, exec_lo, s2
	s_cbranch_vccz .LBB481_666
; %bb.663:
	global_load_b64 v[5:6], v[1:2], off
	s_mov_b32 s2, 0
	s_waitcnt vmcnt(0)
	v_xor_b32_e32 v3, v5, v6
	v_cls_i32_e32 v7, v6
	s_delay_alu instid0(VALU_DEP_2) | instskip(NEXT) | instid1(VALU_DEP_2)
	v_ashrrev_i32_e32 v3, 31, v3
	v_add_nc_u32_e32 v7, -1, v7
	s_delay_alu instid0(VALU_DEP_2) | instskip(NEXT) | instid1(VALU_DEP_1)
	v_add_nc_u32_e32 v3, 32, v3
	v_min_u32_e32 v3, v7, v3
	s_delay_alu instid0(VALU_DEP_1) | instskip(SKIP_1) | instid1(VALU_DEP_2)
	v_lshlrev_b64 v[5:6], v3, v[5:6]
	v_sub_nc_u32_e32 v3, 32, v3
	v_min_u32_e32 v5, 1, v5
	s_delay_alu instid0(VALU_DEP_1) | instskip(NEXT) | instid1(VALU_DEP_1)
	v_or_b32_e32 v5, v6, v5
	v_cvt_f32_i32_e32 v5, v5
	s_delay_alu instid0(VALU_DEP_1) | instskip(NEXT) | instid1(VALU_DEP_1)
	v_ldexp_f32 v3, v5, v3
	v_cvt_f16_f32_e32 v5, v3
	s_branch .LBB481_667
.LBB481_664:
	s_mov_b32 s2, -1
                                        ; implicit-def: $vgpr5
	s_branch .LBB481_673
.LBB481_665:
	s_mov_b32 s2, -1
                                        ; implicit-def: $vgpr5
	s_branch .LBB481_670
.LBB481_666:
	s_mov_b32 s2, -1
                                        ; implicit-def: $vgpr5
.LBB481_667:
	s_delay_alu instid0(SALU_CYCLE_1)
	s_and_not1_b32 vcc_lo, exec_lo, s2
	s_cbranch_vccnz .LBB481_669
; %bb.668:
	global_load_b32 v3, v[1:2], off
	s_waitcnt vmcnt(0)
	v_cvt_f32_i32_e32 v3, v3
	s_delay_alu instid0(VALU_DEP_1)
	v_cvt_f16_f32_e32 v5, v3
.LBB481_669:
	s_mov_b32 s2, 0
.LBB481_670:
	s_delay_alu instid0(SALU_CYCLE_1)
	s_and_not1_b32 vcc_lo, exec_lo, s2
	s_cbranch_vccnz .LBB481_672
; %bb.671:
	global_load_u16 v3, v[1:2], off
	s_waitcnt vmcnt(0)
	v_cvt_f16_i16_e32 v5, v3
.LBB481_672:
	s_mov_b32 s2, 0
.LBB481_673:
	s_delay_alu instid0(SALU_CYCLE_1)
	s_and_not1_b32 vcc_lo, exec_lo, s2
	s_cbranch_vccnz .LBB481_679
; %bb.674:
	v_cmp_gt_i16_e64 s2, s31, 0
	s_delay_alu instid0(VALU_DEP_1)
	s_and_b32 vcc_lo, exec_lo, s2
	s_mov_b32 s2, 0
	s_cbranch_vccz .LBB481_676
; %bb.675:
	global_load_i8 v3, v[1:2], off
	s_waitcnt vmcnt(0)
	v_cvt_f16_i16_e32 v5, v3
	s_branch .LBB481_677
.LBB481_676:
	s_mov_b32 s2, -1
                                        ; implicit-def: $vgpr5
.LBB481_677:
	s_delay_alu instid0(SALU_CYCLE_1)
	s_and_not1_b32 vcc_lo, exec_lo, s2
	s_cbranch_vccnz .LBB481_679
; %bb.678:
	global_load_u8 v1, v[1:2], off
	s_waitcnt vmcnt(0)
	v_cvt_f16_u16_e32 v5, v1
.LBB481_679:
	s_mov_b32 s2, -1
.LBB481_680:
	s_delay_alu instid0(SALU_CYCLE_1)
	s_and_not1_b32 vcc_lo, exec_lo, s2
	s_cbranch_vccnz .LBB481_688
; %bb.681:
	s_waitcnt vmcnt(0)
	v_cmp_u_f16_e32 vcc_lo, v5, v5
	v_cmp_gt_f16_e64 s2, s29, v5
	v_and_b32_e64 v3, 0xff, s30
	s_mov_b32 s22, 0
	s_mov_b32 s23, -1
	s_delay_alu instid0(VALU_DEP_2)
	s_or_b32 vcc_lo, vcc_lo, s2
	v_add_co_u32 v0, s2, s4, v0
	v_cndmask_b32_e32 v2, s29, v5, vcc_lo
	v_cmp_gt_i16_e32 vcc_lo, 11, v3
	v_add_co_ci_u32_e64 v1, null, s5, 0, s2
	s_mov_b32 s2, s41
	s_cbranch_vccnz .LBB481_689
; %bb.682:
	v_cmp_lt_i16_e32 vcc_lo, 25, v3
	s_cbranch_vccz .LBB481_730
; %bb.683:
	v_cmp_lt_i16_e32 vcc_lo, 28, v3
	s_cbranch_vccz .LBB481_731
	;; [unrolled: 3-line block ×4, first 2 shown]
; %bb.686:
	v_cmp_eq_u16_e32 vcc_lo, 46, v3
	s_mov_b32 s23, 0
	s_mov_b32 s2, -1
	s_cbranch_vccz .LBB481_734
; %bb.687:
	v_cvt_f32_f16_e32 v5, v2
	v_cmp_o_f16_e32 vcc_lo, v2, v2
	s_mov_b32 s22, -1
	s_mov_b32 s2, 0
	s_delay_alu instid0(VALU_DEP_2) | instskip(NEXT) | instid1(VALU_DEP_1)
	v_bfe_u32 v6, v5, 16, 1
	v_add3_u32 v5, v5, v6, 0x7fff
	s_delay_alu instid0(VALU_DEP_1) | instskip(NEXT) | instid1(VALU_DEP_1)
	v_lshrrev_b32_e32 v5, 16, v5
	v_cndmask_b32_e32 v5, 0x7fc0, v5, vcc_lo
	global_store_b32 v[0:1], v5, off
	s_branch .LBB481_734
.LBB481_688:
	s_mov_b32 s44, 0
	s_mov_b32 s2, s41
	s_branch .LBB481_729
.LBB481_689:
	s_and_b32 vcc_lo, exec_lo, s23
	s_cbranch_vccz .LBB481_803
; %bb.690:
	v_cmp_gt_i16_e32 vcc_lo, 5, v3
	s_mov_b32 s22, -1
	s_cbranch_vccnz .LBB481_711
; %bb.691:
	v_cmp_gt_i16_e32 vcc_lo, 8, v3
	s_cbranch_vccnz .LBB481_701
; %bb.692:
	v_cmp_gt_i16_e32 vcc_lo, 9, v3
	s_cbranch_vccnz .LBB481_698
; %bb.693:
	v_cmp_lt_i16_e32 vcc_lo, 9, v3
	s_cbranch_vccz .LBB481_695
; %bb.694:
	v_cvt_f32_f16_e32 v5, v2
	v_mov_b32_e32 v7, 0
	s_mov_b32 s22, 0
	s_delay_alu instid0(VALU_DEP_2) | instskip(NEXT) | instid1(VALU_DEP_2)
	v_cvt_f64_f32_e32 v[5:6], v5
	v_mov_b32_e32 v8, v7
	global_store_b128 v[0:1], v[5:8], off
.LBB481_695:
	s_and_not1_b32 vcc_lo, exec_lo, s22
	s_cbranch_vccnz .LBB481_697
; %bb.696:
	v_cvt_f32_f16_e32 v5, v2
	v_mov_b32_e32 v6, 0
	global_store_b64 v[0:1], v[5:6], off
.LBB481_697:
	s_mov_b32 s22, 0
.LBB481_698:
	s_delay_alu instid0(SALU_CYCLE_1)
	s_and_not1_b32 vcc_lo, exec_lo, s22
	s_cbranch_vccnz .LBB481_700
; %bb.699:
	v_and_b32_e32 v5, 0xffff, v2
	global_store_b32 v[0:1], v5, off
.LBB481_700:
	s_mov_b32 s22, 0
.LBB481_701:
	s_delay_alu instid0(SALU_CYCLE_1)
	s_and_not1_b32 vcc_lo, exec_lo, s22
	s_cbranch_vccnz .LBB481_710
; %bb.702:
	v_cmp_gt_i16_e32 vcc_lo, 6, v3
	s_mov_b32 s22, -1
	s_cbranch_vccnz .LBB481_708
; %bb.703:
	v_cmp_lt_i16_e32 vcc_lo, 6, v3
	s_cbranch_vccz .LBB481_705
; %bb.704:
	v_cvt_f32_f16_e32 v5, v2
	s_mov_b32 s22, 0
	s_delay_alu instid0(VALU_DEP_1)
	v_cvt_f64_f32_e32 v[5:6], v5
	global_store_b64 v[0:1], v[5:6], off
.LBB481_705:
	s_and_not1_b32 vcc_lo, exec_lo, s22
	s_cbranch_vccnz .LBB481_707
; %bb.706:
	v_cvt_f32_f16_e32 v5, v2
	global_store_b32 v[0:1], v5, off
.LBB481_707:
	s_mov_b32 s22, 0
.LBB481_708:
	s_delay_alu instid0(SALU_CYCLE_1)
	s_and_not1_b32 vcc_lo, exec_lo, s22
	s_cbranch_vccnz .LBB481_710
; %bb.709:
	global_store_b16 v[0:1], v2, off
.LBB481_710:
	s_mov_b32 s22, 0
.LBB481_711:
	s_delay_alu instid0(SALU_CYCLE_1)
	s_and_not1_b32 vcc_lo, exec_lo, s22
	s_cbranch_vccnz .LBB481_727
; %bb.712:
	v_cmp_gt_i16_e32 vcc_lo, 2, v3
	s_mov_b32 s22, -1
	s_cbranch_vccnz .LBB481_722
; %bb.713:
	v_cmp_gt_i16_e32 vcc_lo, 3, v3
	s_cbranch_vccnz .LBB481_719
; %bb.714:
	v_cmp_lt_i16_e32 vcc_lo, 3, v3
	s_cbranch_vccz .LBB481_716
; %bb.715:
	v_cvt_f32_f16_e32 v5, v2
	s_mov_b32 s22, 0
	s_delay_alu instid0(VALU_DEP_1) | instskip(NEXT) | instid1(VALU_DEP_1)
	v_cvt_i32_f32_e32 v5, v5
	v_ashrrev_i32_e32 v6, 31, v5
	global_store_b64 v[0:1], v[5:6], off
.LBB481_716:
	s_and_not1_b32 vcc_lo, exec_lo, s22
	s_cbranch_vccnz .LBB481_718
; %bb.717:
	v_cvt_f32_f16_e32 v5, v2
	s_delay_alu instid0(VALU_DEP_1)
	v_cvt_i32_f32_e32 v5, v5
	global_store_b32 v[0:1], v5, off
.LBB481_718:
	s_mov_b32 s22, 0
.LBB481_719:
	s_delay_alu instid0(SALU_CYCLE_1)
	s_and_not1_b32 vcc_lo, exec_lo, s22
	s_cbranch_vccnz .LBB481_721
; %bb.720:
	v_cvt_i16_f16_e32 v5, v2
	global_store_b16 v[0:1], v5, off
.LBB481_721:
	s_mov_b32 s22, 0
.LBB481_722:
	s_delay_alu instid0(SALU_CYCLE_1)
	s_and_not1_b32 vcc_lo, exec_lo, s22
	s_cbranch_vccnz .LBB481_727
; %bb.723:
	v_cmp_lt_i16_e32 vcc_lo, 0, v3
	s_mov_b32 s22, -1
	s_cbranch_vccz .LBB481_725
; %bb.724:
	v_cvt_i16_f16_e32 v3, v2
	s_mov_b32 s22, 0
	global_store_b8 v[0:1], v3, off
.LBB481_725:
	s_and_not1_b32 vcc_lo, exec_lo, s22
	s_cbranch_vccnz .LBB481_727
; %bb.726:
	v_cvt_f32_f16_e32 v2, v2
	s_delay_alu instid0(VALU_DEP_1)
	v_cvt_i32_f32_e32 v2, v2
	global_store_b8 v[0:1], v2, off
.LBB481_727:
	s_branch .LBB481_804
.LBB481_728:
	s_mov_b32 s44, 0
.LBB481_729:
                                        ; implicit-def: $vgpr4
	s_branch .LBB481_805
.LBB481_730:
	s_mov_b32 s2, s41
	s_branch .LBB481_761
.LBB481_731:
	s_mov_b32 s2, s41
	s_branch .LBB481_744
.LBB481_732:
	s_mov_b32 s2, s41
	s_branch .LBB481_740
.LBB481_733:
	s_mov_b32 s2, s41
.LBB481_734:
	s_and_b32 vcc_lo, exec_lo, s23
	s_cbranch_vccz .LBB481_739
; %bb.735:
	v_cmp_eq_u16_e32 vcc_lo, 44, v3
	s_mov_b32 s2, -1
	s_cbranch_vccz .LBB481_739
; %bb.736:
	v_cvt_f32_f16_e32 v5, v2
	v_mov_b32_e32 v6, 0xff
	s_mov_b32 s22, exec_lo
	s_delay_alu instid0(VALU_DEP_2) | instskip(NEXT) | instid1(VALU_DEP_1)
	v_bfe_u32 v7, v5, 23, 8
	v_cmpx_ne_u32_e32 0xff, v7
; %bb.737:
	v_and_b32_e32 v6, 0x400000, v5
	v_and_or_b32 v7, 0x3fffff, v5, v7
	v_lshrrev_b32_e32 v5, 23, v5
	s_delay_alu instid0(VALU_DEP_3) | instskip(NEXT) | instid1(VALU_DEP_3)
	v_cmp_ne_u32_e32 vcc_lo, 0, v6
	v_cmp_ne_u32_e64 s2, 0, v7
	s_delay_alu instid0(VALU_DEP_1) | instskip(NEXT) | instid1(SALU_CYCLE_1)
	s_and_b32 s2, vcc_lo, s2
	v_cndmask_b32_e64 v6, 0, 1, s2
	s_delay_alu instid0(VALU_DEP_1)
	v_add_nc_u32_e32 v6, v5, v6
; %bb.738:
	s_or_b32 exec_lo, exec_lo, s22
	s_mov_b32 s22, -1
	s_mov_b32 s2, 0
	global_store_b8 v[0:1], v6, off
.LBB481_739:
	s_mov_b32 s23, 0
.LBB481_740:
	s_delay_alu instid0(SALU_CYCLE_1)
	s_and_b32 vcc_lo, exec_lo, s23
	s_cbranch_vccz .LBB481_743
; %bb.741:
	v_cmp_eq_u16_e32 vcc_lo, 29, v3
	s_mov_b32 s2, -1
	s_cbranch_vccz .LBB481_743
; %bb.742:
	v_cvt_f32_f16_e32 v5, v2
	v_mov_b32_e32 v6, 0
	s_mov_b32 s2, 0
	s_mov_b32 s22, -1
	s_mov_b32 s23, 0
	v_cvt_u32_f32_e32 v5, v5
	global_store_b64 v[0:1], v[5:6], off
	s_branch .LBB481_744
.LBB481_743:
	s_mov_b32 s23, 0
.LBB481_744:
	s_delay_alu instid0(SALU_CYCLE_1)
	s_and_b32 vcc_lo, exec_lo, s23
	s_cbranch_vccz .LBB481_760
; %bb.745:
	v_cmp_gt_i16_e32 vcc_lo, 27, v3
	s_mov_b32 s22, -1
	s_cbranch_vccnz .LBB481_751
; %bb.746:
	v_cmp_lt_i16_e32 vcc_lo, 27, v3
	s_cbranch_vccz .LBB481_748
; %bb.747:
	v_cvt_f32_f16_e32 v5, v2
	s_mov_b32 s22, 0
	s_delay_alu instid0(VALU_DEP_1)
	v_cvt_u32_f32_e32 v5, v5
	global_store_b32 v[0:1], v5, off
.LBB481_748:
	s_and_not1_b32 vcc_lo, exec_lo, s22
	s_cbranch_vccnz .LBB481_750
; %bb.749:
	v_cvt_u16_f16_e32 v5, v2
	global_store_b16 v[0:1], v5, off
.LBB481_750:
	s_mov_b32 s22, 0
.LBB481_751:
	s_delay_alu instid0(SALU_CYCLE_1)
	s_and_not1_b32 vcc_lo, exec_lo, s22
	s_cbranch_vccnz .LBB481_759
; %bb.752:
	v_cvt_f32_f16_e32 v5, v2
	v_mov_b32_e32 v7, 0x80
	s_mov_b32 s22, exec_lo
	s_delay_alu instid0(VALU_DEP_2) | instskip(NEXT) | instid1(VALU_DEP_1)
	v_and_b32_e32 v6, 0x7fffffff, v5
	v_cmpx_gt_u32_e32 0x43800000, v6
	s_cbranch_execz .LBB481_758
; %bb.753:
	v_cmp_lt_u32_e32 vcc_lo, 0x3bffffff, v6
	s_mov_b32 s23, 0
                                        ; implicit-def: $vgpr6
	s_and_saveexec_b32 s44, vcc_lo
	s_delay_alu instid0(SALU_CYCLE_1)
	s_xor_b32 s44, exec_lo, s44
	s_cbranch_execz .LBB481_832
; %bb.754:
	v_bfe_u32 v6, v5, 20, 1
	s_mov_b32 s23, exec_lo
	s_delay_alu instid0(VALU_DEP_1) | instskip(NEXT) | instid1(VALU_DEP_1)
	v_add3_u32 v6, v5, v6, 0x487ffff
	v_lshrrev_b32_e32 v6, 20, v6
	s_or_saveexec_b32 s44, s44
                                        ; implicit-def: $sgpr45
	s_delay_alu instid0(SALU_CYCLE_1)
	s_xor_b32 exec_lo, exec_lo, s44
	s_cbranch_execnz .LBB481_833
.LBB481_755:
	s_or_b32 exec_lo, exec_lo, s44
	v_mov_b32_e32 v7, s45
	s_and_saveexec_b32 s44, s23
.LBB481_756:
	v_lshrrev_b32_e32 v5, 24, v5
	s_delay_alu instid0(VALU_DEP_1)
	v_and_or_b32 v7, 0x80, v5, v6
.LBB481_757:
	s_or_b32 exec_lo, exec_lo, s44
.LBB481_758:
	s_delay_alu instid0(SALU_CYCLE_1)
	s_or_b32 exec_lo, exec_lo, s22
	global_store_b8 v[0:1], v7, off
.LBB481_759:
	s_mov_b32 s22, -1
.LBB481_760:
	s_mov_b32 s23, 0
.LBB481_761:
	s_delay_alu instid0(SALU_CYCLE_1)
	s_and_b32 vcc_lo, exec_lo, s23
	s_cbranch_vccz .LBB481_802
; %bb.762:
	v_cmp_lt_i16_e32 vcc_lo, 22, v3
	s_mov_b32 s23, -1
	s_cbranch_vccz .LBB481_794
; %bb.763:
	v_cmp_gt_i16_e32 vcc_lo, 24, v3
	s_mov_b32 s22, -1
	s_cbranch_vccnz .LBB481_783
; %bb.764:
	v_cmp_lt_i16_e32 vcc_lo, 24, v3
	s_cbranch_vccz .LBB481_772
; %bb.765:
	v_cvt_f32_f16_e32 v5, v2
	v_mov_b32_e32 v7, 0x80
	s_mov_b32 s22, exec_lo
	s_delay_alu instid0(VALU_DEP_2) | instskip(NEXT) | instid1(VALU_DEP_1)
	v_and_b32_e32 v6, 0x7fffffff, v5
	v_cmpx_gt_u32_e32 0x47800000, v6
	s_cbranch_execz .LBB481_771
; %bb.766:
	v_cmp_lt_u32_e32 vcc_lo, 0x37ffffff, v6
	s_mov_b32 s23, 0
                                        ; implicit-def: $vgpr6
	s_and_saveexec_b32 s44, vcc_lo
	s_delay_alu instid0(SALU_CYCLE_1)
	s_xor_b32 s44, exec_lo, s44
	s_cbranch_execz .LBB481_835
; %bb.767:
	v_bfe_u32 v6, v5, 21, 1
	s_mov_b32 s23, exec_lo
	s_delay_alu instid0(VALU_DEP_1) | instskip(NEXT) | instid1(VALU_DEP_1)
	v_add3_u32 v6, v5, v6, 0x88fffff
	v_lshrrev_b32_e32 v6, 21, v6
	s_or_saveexec_b32 s44, s44
                                        ; implicit-def: $sgpr45
	s_delay_alu instid0(SALU_CYCLE_1)
	s_xor_b32 exec_lo, exec_lo, s44
	s_cbranch_execnz .LBB481_836
.LBB481_768:
	s_or_b32 exec_lo, exec_lo, s44
	v_mov_b32_e32 v7, s45
	s_and_saveexec_b32 s44, s23
.LBB481_769:
	v_lshrrev_b32_e32 v5, 24, v5
	s_delay_alu instid0(VALU_DEP_1)
	v_and_or_b32 v7, 0x80, v5, v6
.LBB481_770:
	s_or_b32 exec_lo, exec_lo, s44
.LBB481_771:
	s_delay_alu instid0(SALU_CYCLE_1)
	s_or_b32 exec_lo, exec_lo, s22
	s_mov_b32 s22, 0
	global_store_b8 v[0:1], v7, off
.LBB481_772:
	s_and_b32 vcc_lo, exec_lo, s22
	s_cbranch_vccz .LBB481_782
; %bb.773:
	v_cvt_f32_f16_e32 v5, v2
	s_mov_b32 s22, exec_lo
                                        ; implicit-def: $vgpr6
	s_delay_alu instid0(VALU_DEP_1) | instskip(NEXT) | instid1(VALU_DEP_1)
	v_and_b32_e32 v7, 0x7fffffff, v5
	v_cmpx_gt_u32_e32 0x43f00000, v7
	s_xor_b32 s22, exec_lo, s22
	s_cbranch_execz .LBB481_779
; %bb.774:
	s_mov_b32 s23, exec_lo
                                        ; implicit-def: $vgpr6
	v_cmpx_lt_u32_e32 0x3c7fffff, v7
	s_xor_b32 s23, exec_lo, s23
; %bb.775:
	v_bfe_u32 v6, v5, 20, 1
	s_delay_alu instid0(VALU_DEP_1) | instskip(NEXT) | instid1(VALU_DEP_1)
	v_add3_u32 v6, v5, v6, 0x407ffff
	v_and_b32_e32 v7, 0xff00000, v6
	v_lshrrev_b32_e32 v6, 20, v6
	s_delay_alu instid0(VALU_DEP_2) | instskip(NEXT) | instid1(VALU_DEP_2)
	v_cmp_ne_u32_e32 vcc_lo, 0x7f00000, v7
	v_cndmask_b32_e32 v6, 0x7e, v6, vcc_lo
; %bb.776:
	s_and_not1_saveexec_b32 s23, s23
; %bb.777:
	v_add_f32_e64 v6, 0x46800000, |v5|
; %bb.778:
	s_or_b32 exec_lo, exec_lo, s23
                                        ; implicit-def: $vgpr7
.LBB481_779:
	s_and_not1_saveexec_b32 s22, s22
; %bb.780:
	v_mov_b32_e32 v6, 0x7f
	v_cmp_lt_u32_e32 vcc_lo, 0x7f800000, v7
	s_delay_alu instid0(VALU_DEP_2)
	v_cndmask_b32_e32 v6, 0x7e, v6, vcc_lo
; %bb.781:
	s_or_b32 exec_lo, exec_lo, s22
	v_lshrrev_b32_e32 v5, 24, v5
	s_delay_alu instid0(VALU_DEP_1)
	v_and_or_b32 v5, 0x80, v5, v6
	global_store_b8 v[0:1], v5, off
.LBB481_782:
	s_mov_b32 s22, 0
.LBB481_783:
	s_delay_alu instid0(SALU_CYCLE_1)
	s_and_not1_b32 vcc_lo, exec_lo, s22
	s_cbranch_vccnz .LBB481_793
; %bb.784:
	v_cvt_f32_f16_e32 v5, v2
	s_mov_b32 s22, exec_lo
                                        ; implicit-def: $vgpr6
	s_delay_alu instid0(VALU_DEP_1) | instskip(NEXT) | instid1(VALU_DEP_1)
	v_and_b32_e32 v7, 0x7fffffff, v5
	v_cmpx_gt_u32_e32 0x47800000, v7
	s_xor_b32 s22, exec_lo, s22
	s_cbranch_execz .LBB481_790
; %bb.785:
	s_mov_b32 s23, exec_lo
                                        ; implicit-def: $vgpr6
	v_cmpx_lt_u32_e32 0x387fffff, v7
	s_xor_b32 s23, exec_lo, s23
; %bb.786:
	v_bfe_u32 v6, v5, 21, 1
	s_delay_alu instid0(VALU_DEP_1) | instskip(NEXT) | instid1(VALU_DEP_1)
	v_add3_u32 v6, v5, v6, 0x80fffff
	v_lshrrev_b32_e32 v6, 21, v6
; %bb.787:
	s_and_not1_saveexec_b32 s23, s23
; %bb.788:
	v_add_f32_e64 v6, 0x43000000, |v5|
; %bb.789:
	s_or_b32 exec_lo, exec_lo, s23
                                        ; implicit-def: $vgpr7
.LBB481_790:
	s_and_not1_saveexec_b32 s22, s22
; %bb.791:
	v_mov_b32_e32 v6, 0x7f
	v_cmp_lt_u32_e32 vcc_lo, 0x7f800000, v7
	s_delay_alu instid0(VALU_DEP_2)
	v_cndmask_b32_e32 v6, 0x7c, v6, vcc_lo
; %bb.792:
	s_or_b32 exec_lo, exec_lo, s22
	v_lshrrev_b32_e32 v5, 24, v5
	s_delay_alu instid0(VALU_DEP_1)
	v_and_or_b32 v5, 0x80, v5, v6
	global_store_b8 v[0:1], v5, off
.LBB481_793:
	s_mov_b32 s23, 0
	s_mov_b32 s22, -1
.LBB481_794:
	s_and_not1_b32 vcc_lo, exec_lo, s23
	s_cbranch_vccnz .LBB481_802
; %bb.795:
	v_cmp_lt_i16_e32 vcc_lo, 14, v3
	s_mov_b32 s23, -1
	s_cbranch_vccz .LBB481_799
; %bb.796:
	v_cmp_eq_u16_e32 vcc_lo, 15, v3
	s_mov_b32 s2, -1
	s_cbranch_vccz .LBB481_798
; %bb.797:
	v_cvt_f32_f16_e32 v5, v2
	v_cmp_o_f16_e32 vcc_lo, v2, v2
	s_mov_b32 s22, -1
	s_mov_b32 s2, 0
	s_delay_alu instid0(VALU_DEP_2) | instskip(NEXT) | instid1(VALU_DEP_1)
	v_bfe_u32 v6, v5, 16, 1
	v_add3_u32 v5, v5, v6, 0x7fff
	s_delay_alu instid0(VALU_DEP_1) | instskip(NEXT) | instid1(VALU_DEP_1)
	v_lshrrev_b32_e32 v5, 16, v5
	v_cndmask_b32_e32 v5, 0x7fc0, v5, vcc_lo
	global_store_b16 v[0:1], v5, off
.LBB481_798:
	s_mov_b32 s23, 0
.LBB481_799:
	s_delay_alu instid0(SALU_CYCLE_1)
	s_and_b32 vcc_lo, exec_lo, s23
	s_cbranch_vccz .LBB481_802
; %bb.800:
	v_cmp_eq_u16_e32 vcc_lo, 11, v3
	s_mov_b32 s2, -1
	s_cbranch_vccz .LBB481_802
; %bb.801:
	v_and_b32_e32 v5, 0x7fff, v2
	s_mov_b32 s2, 0
	s_mov_b32 s22, -1
	s_delay_alu instid0(VALU_DEP_1)
	v_cmp_ne_u16_e32 vcc_lo, 0, v5
	v_cndmask_b32_e64 v5, 0, 1, vcc_lo
	global_store_b8 v[0:1], v5, off
.LBB481_802:
.LBB481_803:
	s_and_not1_b32 vcc_lo, exec_lo, s22
	s_cbranch_vccnz .LBB481_728
.LBB481_804:
	v_add_nc_u32_e32 v4, 0x80, v4
	s_mov_b32 s44, -1
.LBB481_805:
	s_and_not1_b32 s22, s41, exec_lo
	s_and_b32 s2, s2, exec_lo
	s_and_not1_b32 s45, s40, exec_lo
	s_and_b32 s3, s3, exec_lo
	s_or_b32 s23, s22, s2
	s_or_b32 s22, s45, s3
	s_or_not1_b32 s45, s44, exec_lo
.LBB481_806:
	s_or_b32 exec_lo, exec_lo, s43
	s_mov_b32 s2, 0
	s_mov_b32 s3, 0
	;; [unrolled: 1-line block ×3, first 2 shown]
                                        ; implicit-def: $vgpr1_vgpr2
                                        ; implicit-def: $vgpr0
                                        ; implicit-def: $vgpr5
	s_and_saveexec_b32 s43, s45
	s_cbranch_execz .LBB481_904
; %bb.807:
	v_cmp_gt_i32_e32 vcc_lo, s34, v4
	s_mov_b32 s46, s22
	s_mov_b32 s45, 0
                                        ; implicit-def: $vgpr1_vgpr2
                                        ; implicit-def: $vgpr0
                                        ; implicit-def: $vgpr5
	s_and_saveexec_b32 s34, vcc_lo
	s_cbranch_execz .LBB481_903
; %bb.808:
	s_and_not1_b32 vcc_lo, exec_lo, s27
	s_cbranch_vccnz .LBB481_813
; %bb.809:
	v_dual_mov_b32 v0, 0 :: v_dual_mov_b32 v1, 0
	s_and_not1_b32 vcc_lo, exec_lo, s36
	s_mov_b32 s36, 0
	s_cbranch_vccnz .LBB481_818
; %bb.810:
	v_mov_b32_e32 v0, 0
	s_add_i32 s44, s35, 1
	s_cmp_eq_u32 s25, 2
	s_mov_b32 s35, 0
	s_cbranch_scc1 .LBB481_814
; %bb.811:
	v_dual_mov_b32 v1, 0 :: v_dual_mov_b32 v0, 0
	v_mov_b32_e32 v2, v4
	s_and_b32 s35, s44, 28
	s_mov_b64 s[2:3], s[16:17]
.LBB481_812:                            ; =>This Inner Loop Header: Depth=1
	s_clause 0x1
	s_load_b256 s[48:55], s[2:3], 0x4
	s_load_b128 s[64:67], s[2:3], 0x24
	s_load_b256 s[56:63], s[20:21], 0x0
	s_add_u32 s2, s2, 48
	s_addc_u32 s3, s3, 0
	s_add_i32 s45, s45, 4
	s_add_u32 s20, s20, 32
	s_addc_u32 s21, s21, 0
	s_cmp_eq_u32 s35, s45
	s_waitcnt lgkmcnt(0)
	v_mul_hi_u32 v3, s49, v2
	s_delay_alu instid0(VALU_DEP_1) | instskip(NEXT) | instid1(VALU_DEP_1)
	v_add_nc_u32_e32 v3, v2, v3
	v_lshrrev_b32_e32 v3, s50, v3
	s_waitcnt vmcnt(0)
	s_delay_alu instid0(VALU_DEP_1) | instskip(SKIP_1) | instid1(VALU_DEP_2)
	v_mul_hi_u32 v5, s52, v3
	v_mul_lo_u32 v7, v3, s48
	v_add_nc_u32_e32 v5, v3, v5
	s_delay_alu instid0(VALU_DEP_2) | instskip(NEXT) | instid1(VALU_DEP_2)
	v_sub_nc_u32_e32 v2, v2, v7
	v_lshrrev_b32_e32 v5, s53, v5
	s_delay_alu instid0(VALU_DEP_2) | instskip(SKIP_1) | instid1(VALU_DEP_3)
	v_mul_lo_u32 v7, v2, s56
	v_mul_lo_u32 v9, v2, s57
	v_mul_hi_u32 v6, s55, v5
	s_delay_alu instid0(VALU_DEP_1) | instskip(NEXT) | instid1(VALU_DEP_1)
	v_add_nc_u32_e32 v6, v5, v6
	v_lshrrev_b32_e32 v6, s64, v6
	s_delay_alu instid0(VALU_DEP_1) | instskip(SKIP_1) | instid1(VALU_DEP_2)
	v_mul_hi_u32 v8, s66, v6
	v_mul_lo_u32 v10, v6, s54
	v_add_nc_u32_e32 v2, v6, v8
	v_mul_lo_u32 v8, v5, s51
	s_delay_alu instid0(VALU_DEP_3) | instskip(NEXT) | instid1(VALU_DEP_3)
	v_sub_nc_u32_e32 v5, v5, v10
	v_lshrrev_b32_e32 v2, s67, v2
	s_delay_alu instid0(VALU_DEP_2) | instskip(SKIP_2) | instid1(VALU_DEP_4)
	v_mul_lo_u32 v10, v5, s60
	v_mul_lo_u32 v5, v5, s61
	v_sub_nc_u32_e32 v3, v3, v8
	v_mul_lo_u32 v11, v2, s65
	s_delay_alu instid0(VALU_DEP_2) | instskip(SKIP_1) | instid1(VALU_DEP_3)
	v_mul_lo_u32 v8, v3, s58
	v_mul_lo_u32 v3, v3, s59
	v_sub_nc_u32_e32 v6, v6, v11
	s_delay_alu instid0(VALU_DEP_3) | instskip(NEXT) | instid1(VALU_DEP_2)
	v_add3_u32 v0, v7, v0, v8
	v_mul_lo_u32 v11, v6, s62
	v_mul_lo_u32 v6, v6, s63
	v_add3_u32 v1, v9, v1, v3
	s_delay_alu instid0(VALU_DEP_3) | instskip(NEXT) | instid1(VALU_DEP_2)
	v_add3_u32 v0, v10, v0, v11
	v_add3_u32 v1, v5, v1, v6
	s_cbranch_scc0 .LBB481_812
	s_branch .LBB481_815
.LBB481_813:
	s_mov_b32 s36, -1
                                        ; implicit-def: $vgpr0
                                        ; implicit-def: $vgpr1
	s_branch .LBB481_818
.LBB481_814:
	v_dual_mov_b32 v2, v4 :: v_dual_mov_b32 v1, 0
.LBB481_815:
	s_and_b32 s44, s44, 3
	s_delay_alu instid0(SALU_CYCLE_1)
	s_cmp_eq_u32 s44, 0
	s_cbranch_scc1 .LBB481_818
; %bb.816:
	s_lshl_b32 s2, s35, 3
	s_mul_i32 s20, s35, 12
	s_add_u32 s2, s2, s16
	s_addc_u32 s3, s17, 0
	s_add_u32 s2, s2, 0xc4
	s_addc_u32 s3, s3, 0
	;; [unrolled: 2-line block ×3, first 2 shown]
.LBB481_817:                            ; =>This Inner Loop Header: Depth=1
	s_clause 0x1
	s_load_b64 s[46:47], s[20:21], 0x4
	s_load_b32 s35, s[20:21], 0xc
	s_load_b64 s[48:49], s[2:3], 0x0
	s_add_u32 s20, s20, 12
	s_addc_u32 s21, s21, 0
	s_add_u32 s2, s2, 8
	s_addc_u32 s3, s3, 0
	s_add_i32 s44, s44, -1
	s_delay_alu instid0(SALU_CYCLE_1) | instskip(SKIP_2) | instid1(VALU_DEP_1)
	s_cmp_lg_u32 s44, 0
	s_waitcnt lgkmcnt(0)
	v_mul_hi_u32 v3, s47, v2
	v_add_nc_u32_e32 v3, v2, v3
	s_delay_alu instid0(VALU_DEP_1) | instskip(SKIP_1) | instid1(VALU_DEP_1)
	v_lshrrev_b32_e32 v3, s35, v3
	s_waitcnt vmcnt(0)
	v_mul_lo_u32 v5, v3, s46
	s_delay_alu instid0(VALU_DEP_1) | instskip(NEXT) | instid1(VALU_DEP_1)
	v_sub_nc_u32_e32 v2, v2, v5
	v_mad_u64_u32 v[5:6], null, v2, s48, v[0:1]
	v_mad_u64_u32 v[6:7], null, v2, s49, v[1:2]
	v_mov_b32_e32 v2, v3
	s_delay_alu instid0(VALU_DEP_2)
	v_dual_mov_b32 v0, v5 :: v_dual_mov_b32 v1, v6
	s_cbranch_scc1 .LBB481_817
.LBB481_818:
	s_and_not1_b32 vcc_lo, exec_lo, s36
	s_cbranch_vccnz .LBB481_821
; %bb.819:
	v_mul_hi_u32 v0, s9, v4
	s_and_not1_b32 vcc_lo, exec_lo, s33
	s_delay_alu instid0(VALU_DEP_1) | instskip(NEXT) | instid1(VALU_DEP_1)
	v_add_nc_u32_e32 v0, v4, v0
	v_lshrrev_b32_e32 v2, s10, v0
	s_delay_alu instid0(VALU_DEP_1) | instskip(NEXT) | instid1(VALU_DEP_1)
	v_mul_lo_u32 v0, v2, s8
	v_sub_nc_u32_e32 v1, v4, v0
	s_delay_alu instid0(VALU_DEP_1)
	v_mul_lo_u32 v0, v1, s12
	v_mul_lo_u32 v1, v1, s13
	s_cbranch_vccnz .LBB481_821
; %bb.820:
	v_mul_hi_u32 v3, s18, v2
	s_delay_alu instid0(VALU_DEP_1) | instskip(NEXT) | instid1(VALU_DEP_1)
	v_add_nc_u32_e32 v3, v2, v3
	v_lshrrev_b32_e32 v3, s19, v3
	s_delay_alu instid0(VALU_DEP_1) | instskip(SKIP_1) | instid1(VALU_DEP_1)
	v_mul_lo_u32 v3, v3, s11
	s_waitcnt vmcnt(0)
	v_sub_nc_u32_e32 v5, v2, v3
	s_delay_alu instid0(VALU_DEP_1) | instskip(NEXT) | instid1(VALU_DEP_1)
	v_mad_u64_u32 v[2:3], null, v5, s14, v[0:1]
	v_mad_u64_u32 v[3:4], null, v5, s15, v[1:2]
	s_delay_alu instid0(VALU_DEP_1)
	v_dual_mov_b32 v0, v2 :: v_dual_mov_b32 v1, v3
.LBB481_821:
	v_cmp_lt_i16_e64 s2, s31, 11
	s_delay_alu instid0(VALU_DEP_2) | instskip(NEXT) | instid1(VALU_DEP_1)
	v_add_co_u32 v1, s3, s6, v1
	v_add_co_ci_u32_e64 v2, null, s7, 0, s3
	s_delay_alu instid0(VALU_DEP_3)
	s_and_b32 vcc_lo, exec_lo, s2
	s_mov_b32 s6, 0
	s_cbranch_vccnz .LBB481_828
; %bb.822:
	v_cmp_gt_i16_e64 s2, s31, 25
	s_mov_b32 s3, 0
	s_delay_alu instid0(VALU_DEP_1)
	s_and_b32 vcc_lo, exec_lo, s2
	s_cbranch_vccz .LBB481_829
; %bb.823:
	v_cmp_gt_i16_e64 s2, s31, 28
	s_delay_alu instid0(VALU_DEP_1)
	s_and_b32 vcc_lo, exec_lo, s2
	s_cbranch_vccz .LBB481_830
; %bb.824:
	v_cmp_gt_i16_e64 s2, s31, 43
	;; [unrolled: 5-line block ×3, first 2 shown]
	s_delay_alu instid0(VALU_DEP_1)
	s_and_b32 vcc_lo, exec_lo, s2
	s_cbranch_vccz .LBB481_834
; %bb.826:
	v_cmp_eq_u16_e64 s2, s31, 46
	s_mov_b32 s7, 0
	s_delay_alu instid0(VALU_DEP_1)
	s_and_b32 vcc_lo, exec_lo, s2
	s_cbranch_vccz .LBB481_837
; %bb.827:
	global_load_b32 v3, v[1:2], off
	s_mov_b32 s2, 0
	s_mov_b32 s6, -1
	s_waitcnt vmcnt(0)
	v_lshlrev_b32_e32 v3, 16, v3
	s_delay_alu instid0(VALU_DEP_1)
	v_cvt_f16_f32_e32 v5, v3
	s_branch .LBB481_839
.LBB481_828:
	s_mov_b32 s7, -1
	s_mov_b32 s3, 0
	s_mov_b32 s2, s22
                                        ; implicit-def: $vgpr5
	s_branch .LBB481_902
.LBB481_829:
	s_mov_b32 s7, -1
	s_mov_b32 s2, s22
                                        ; implicit-def: $vgpr5
	s_branch .LBB481_868
.LBB481_830:
	s_mov_b32 s7, -1
	s_mov_b32 s2, s22
                                        ; implicit-def: $vgpr5
	s_branch .LBB481_849
.LBB481_831:
	s_mov_b32 s7, -1
	s_mov_b32 s2, s22
                                        ; implicit-def: $vgpr5
	s_branch .LBB481_844
.LBB481_832:
	s_or_saveexec_b32 s44, s44
                                        ; implicit-def: $sgpr45
	s_delay_alu instid0(SALU_CYCLE_1)
	s_xor_b32 exec_lo, exec_lo, s44
	s_cbranch_execz .LBB481_755
.LBB481_833:
	v_add_f32_e64 v6, 0x46000000, |v5|
	s_and_not1_b32 s23, s23, exec_lo
	s_mov_b32 s45, 0
	s_delay_alu instid0(VALU_DEP_1) | instskip(NEXT) | instid1(VALU_DEP_1)
	v_and_b32_e32 v6, 0xff, v6
	v_cmp_ne_u32_e32 vcc_lo, 0, v6
	s_and_b32 s46, vcc_lo, exec_lo
	s_delay_alu instid0(SALU_CYCLE_1)
	s_or_b32 s23, s23, s46
	s_or_b32 exec_lo, exec_lo, s44
	v_mov_b32_e32 v7, s45
	s_and_saveexec_b32 s44, s23
	s_cbranch_execnz .LBB481_756
	s_branch .LBB481_757
.LBB481_834:
	s_mov_b32 s7, -1
	s_mov_b32 s2, s22
	s_branch .LBB481_838
.LBB481_835:
	s_or_saveexec_b32 s44, s44
                                        ; implicit-def: $sgpr45
	s_delay_alu instid0(SALU_CYCLE_1)
	s_xor_b32 exec_lo, exec_lo, s44
	s_cbranch_execz .LBB481_768
.LBB481_836:
	v_add_f32_e64 v6, 0x42800000, |v5|
	s_and_not1_b32 s23, s23, exec_lo
	s_mov_b32 s45, 0
	s_delay_alu instid0(VALU_DEP_1) | instskip(NEXT) | instid1(VALU_DEP_1)
	v_and_b32_e32 v6, 0xff, v6
	v_cmp_ne_u32_e32 vcc_lo, 0, v6
	s_and_b32 s46, vcc_lo, exec_lo
	s_delay_alu instid0(SALU_CYCLE_1)
	s_or_b32 s23, s23, s46
	s_or_b32 exec_lo, exec_lo, s44
	v_mov_b32_e32 v7, s45
	s_and_saveexec_b32 s44, s23
	s_cbranch_execnz .LBB481_769
	s_branch .LBB481_770
.LBB481_837:
	s_mov_b32 s2, -1
.LBB481_838:
                                        ; implicit-def: $vgpr5
.LBB481_839:
	s_and_b32 vcc_lo, exec_lo, s7
	s_cbranch_vccz .LBB481_843
; %bb.840:
	v_cmp_eq_u16_e64 s2, s31, 44
	s_delay_alu instid0(VALU_DEP_1)
	s_and_b32 vcc_lo, exec_lo, s2
	s_cbranch_vccz .LBB481_842
; %bb.841:
	global_load_u8 v3, v[1:2], off
	s_mov_b32 s2, 0
	s_mov_b32 s6, -1
	s_waitcnt vmcnt(0)
	v_lshlrev_b32_e32 v4, 23, v3
	v_cmp_ne_u32_e32 vcc_lo, 0xff, v3
	s_delay_alu instid0(VALU_DEP_2) | instskip(NEXT) | instid1(VALU_DEP_1)
	v_cvt_f16_f32_e32 v4, v4
	v_cndmask_b32_e32 v4, 0x7e00, v4, vcc_lo
	v_cmp_ne_u32_e32 vcc_lo, 0, v3
	s_delay_alu instid0(VALU_DEP_2)
	v_cndmask_b32_e32 v5, 0, v4, vcc_lo
	s_branch .LBB481_843
.LBB481_842:
	s_mov_b32 s2, -1
                                        ; implicit-def: $vgpr5
.LBB481_843:
	s_mov_b32 s7, 0
.LBB481_844:
	s_delay_alu instid0(SALU_CYCLE_1)
	s_and_b32 vcc_lo, exec_lo, s7
	s_cbranch_vccz .LBB481_848
; %bb.845:
	v_cmp_eq_u16_e64 s2, s31, 29
	s_delay_alu instid0(VALU_DEP_1)
	s_and_b32 vcc_lo, exec_lo, s2
	s_cbranch_vccz .LBB481_847
; %bb.846:
	global_load_b64 v[3:4], v[1:2], off
	s_mov_b32 s2, 0
	s_mov_b32 s6, -1
	s_mov_b32 s7, 0
	s_waitcnt vmcnt(0)
	v_clz_i32_u32_e32 v5, v4
	s_delay_alu instid0(VALU_DEP_1) | instskip(NEXT) | instid1(VALU_DEP_1)
	v_min_u32_e32 v5, 32, v5
	v_lshlrev_b64 v[3:4], v5, v[3:4]
	s_delay_alu instid0(VALU_DEP_1) | instskip(NEXT) | instid1(VALU_DEP_1)
	v_min_u32_e32 v3, 1, v3
	v_or_b32_e32 v3, v4, v3
	v_sub_nc_u32_e32 v4, 32, v5
	s_delay_alu instid0(VALU_DEP_2) | instskip(NEXT) | instid1(VALU_DEP_1)
	v_cvt_f32_u32_e32 v3, v3
	v_ldexp_f32 v3, v3, v4
	s_delay_alu instid0(VALU_DEP_1)
	v_cvt_f16_f32_e32 v5, v3
	s_branch .LBB481_849
.LBB481_847:
	s_mov_b32 s2, -1
                                        ; implicit-def: $vgpr5
.LBB481_848:
	s_mov_b32 s7, 0
.LBB481_849:
	s_delay_alu instid0(SALU_CYCLE_1)
	s_and_b32 vcc_lo, exec_lo, s7
	s_cbranch_vccz .LBB481_867
; %bb.850:
	v_cmp_lt_i16_e64 s6, s31, 27
	s_delay_alu instid0(VALU_DEP_1)
	s_and_b32 vcc_lo, exec_lo, s6
	s_cbranch_vccnz .LBB481_853
; %bb.851:
	v_cmp_gt_i16_e64 s6, s31, 27
	s_delay_alu instid0(VALU_DEP_1)
	s_and_b32 vcc_lo, exec_lo, s6
	s_cbranch_vccz .LBB481_854
; %bb.852:
	global_load_b32 v3, v[1:2], off
	s_mov_b32 s6, 0
	s_waitcnt vmcnt(0)
	v_cvt_f32_u32_e32 v3, v3
	s_delay_alu instid0(VALU_DEP_1)
	v_cvt_f16_f32_e32 v5, v3
	s_branch .LBB481_855
.LBB481_853:
	s_mov_b32 s6, -1
                                        ; implicit-def: $vgpr5
	s_branch .LBB481_858
.LBB481_854:
	s_mov_b32 s6, -1
                                        ; implicit-def: $vgpr5
.LBB481_855:
	s_delay_alu instid0(SALU_CYCLE_1)
	s_and_not1_b32 vcc_lo, exec_lo, s6
	s_cbranch_vccnz .LBB481_857
; %bb.856:
	global_load_u16 v3, v[1:2], off
	s_waitcnt vmcnt(0)
	v_cvt_f16_u16_e32 v5, v3
.LBB481_857:
	s_mov_b32 s6, 0
.LBB481_858:
	s_delay_alu instid0(SALU_CYCLE_1)
	s_and_not1_b32 vcc_lo, exec_lo, s6
	s_cbranch_vccnz .LBB481_866
; %bb.859:
	global_load_u8 v3, v[1:2], off
	s_mov_b32 s6, 0
	s_mov_b32 s8, exec_lo
                                        ; implicit-def: $sgpr7
	s_waitcnt vmcnt(0)
	v_cmpx_lt_i16_e32 0x7f, v3
	s_xor_b32 s8, exec_lo, s8
	s_cbranch_execz .LBB481_880
; %bb.860:
	s_mov_b32 s6, -1
	s_mov_b32 s9, exec_lo
                                        ; implicit-def: $sgpr7
	v_cmpx_eq_u16_e32 0x80, v3
; %bb.861:
	s_movk_i32 s7, 0x7e00
	s_xor_b32 s6, exec_lo, -1
; %bb.862:
	s_or_b32 exec_lo, exec_lo, s9
	s_delay_alu instid0(SALU_CYCLE_1)
	s_and_b32 s6, s6, exec_lo
	s_or_saveexec_b32 s8, s8
	v_mov_b32_e32 v5, s7
	s_xor_b32 exec_lo, exec_lo, s8
	s_cbranch_execnz .LBB481_881
.LBB481_863:
	s_or_b32 exec_lo, exec_lo, s8
	s_and_saveexec_b32 s7, s6
	s_cbranch_execz .LBB481_865
.LBB481_864:
	v_and_b32_e32 v4, 0xffff, v3
	v_lshlrev_b32_e32 v3, 24, v3
	s_delay_alu instid0(VALU_DEP_2) | instskip(NEXT) | instid1(VALU_DEP_2)
	v_and_b32_e32 v5, 7, v4
	v_and_b32_e32 v3, 0x80000000, v3
	s_delay_alu instid0(VALU_DEP_2) | instskip(NEXT) | instid1(VALU_DEP_1)
	v_clz_i32_u32_e32 v6, v5
	v_min_u32_e32 v6, 32, v6
	s_delay_alu instid0(VALU_DEP_1) | instskip(SKIP_1) | instid1(VALU_DEP_2)
	v_subrev_nc_u32_e32 v7, 28, v6
	v_sub_nc_u32_e32 v6, 29, v6
	v_lshlrev_b32_e32 v7, v7, v4
	v_bfe_u32 v4, v4, 3, 4
	s_delay_alu instid0(VALU_DEP_2) | instskip(NEXT) | instid1(VALU_DEP_2)
	v_and_b32_e32 v7, 7, v7
	v_cmp_eq_u32_e32 vcc_lo, 0, v4
	s_delay_alu instid0(VALU_DEP_2) | instskip(NEXT) | instid1(VALU_DEP_1)
	v_dual_cndmask_b32 v4, v4, v6 :: v_dual_cndmask_b32 v5, v5, v7
	v_lshl_add_u32 v4, v4, 23, 0x3b800000
	s_delay_alu instid0(VALU_DEP_2) | instskip(NEXT) | instid1(VALU_DEP_1)
	v_lshlrev_b32_e32 v5, 20, v5
	v_or3_b32 v3, v3, v4, v5
	s_delay_alu instid0(VALU_DEP_1)
	v_cvt_f16_f32_e32 v5, v3
.LBB481_865:
	s_or_b32 exec_lo, exec_lo, s7
.LBB481_866:
	s_mov_b32 s6, -1
.LBB481_867:
	s_mov_b32 s7, 0
.LBB481_868:
	s_delay_alu instid0(SALU_CYCLE_1)
	s_and_b32 vcc_lo, exec_lo, s7
	s_cbranch_vccz .LBB481_901
; %bb.869:
	v_cmp_gt_i16_e64 s3, s31, 22
	s_delay_alu instid0(VALU_DEP_1)
	s_and_b32 vcc_lo, exec_lo, s3
	s_cbranch_vccz .LBB481_879
; %bb.870:
	v_cmp_lt_i16_e64 s3, s31, 24
	s_delay_alu instid0(VALU_DEP_1)
	s_and_b32 vcc_lo, exec_lo, s3
	s_cbranch_vccnz .LBB481_882
; %bb.871:
	v_cmp_gt_i16_e64 s3, s31, 24
	s_delay_alu instid0(VALU_DEP_1)
	s_and_b32 vcc_lo, exec_lo, s3
	s_cbranch_vccz .LBB481_883
; %bb.872:
	global_load_u8 v3, v[1:2], off
	s_mov_b32 s3, 0
	s_mov_b32 s7, exec_lo
                                        ; implicit-def: $sgpr6
	s_waitcnt vmcnt(0)
	v_cmpx_lt_i16_e32 0x7f, v3
	s_xor_b32 s7, exec_lo, s7
	s_cbranch_execz .LBB481_895
; %bb.873:
	s_mov_b32 s3, -1
	s_mov_b32 s8, exec_lo
                                        ; implicit-def: $sgpr6
	v_cmpx_eq_u16_e32 0x80, v3
; %bb.874:
	s_movk_i32 s6, 0x7e00
	s_xor_b32 s3, exec_lo, -1
; %bb.875:
	s_or_b32 exec_lo, exec_lo, s8
	s_delay_alu instid0(SALU_CYCLE_1)
	s_and_b32 s3, s3, exec_lo
	s_or_saveexec_b32 s7, s7
	v_mov_b32_e32 v5, s6
	s_xor_b32 exec_lo, exec_lo, s7
	s_cbranch_execnz .LBB481_896
.LBB481_876:
	s_or_b32 exec_lo, exec_lo, s7
	s_and_saveexec_b32 s6, s3
	s_cbranch_execz .LBB481_878
.LBB481_877:
	v_and_b32_e32 v4, 0xffff, v3
	v_lshlrev_b32_e32 v3, 24, v3
	s_delay_alu instid0(VALU_DEP_2) | instskip(NEXT) | instid1(VALU_DEP_2)
	v_and_b32_e32 v5, 3, v4
	v_and_b32_e32 v3, 0x80000000, v3
	s_delay_alu instid0(VALU_DEP_2) | instskip(NEXT) | instid1(VALU_DEP_1)
	v_clz_i32_u32_e32 v6, v5
	v_min_u32_e32 v6, 32, v6
	s_delay_alu instid0(VALU_DEP_1) | instskip(SKIP_1) | instid1(VALU_DEP_2)
	v_subrev_nc_u32_e32 v7, 29, v6
	v_sub_nc_u32_e32 v6, 30, v6
	v_lshlrev_b32_e32 v7, v7, v4
	v_bfe_u32 v4, v4, 2, 5
	s_delay_alu instid0(VALU_DEP_2) | instskip(NEXT) | instid1(VALU_DEP_2)
	v_and_b32_e32 v7, 3, v7
	v_cmp_eq_u32_e32 vcc_lo, 0, v4
	s_delay_alu instid0(VALU_DEP_2) | instskip(NEXT) | instid1(VALU_DEP_1)
	v_dual_cndmask_b32 v4, v4, v6 :: v_dual_cndmask_b32 v5, v5, v7
	v_lshl_add_u32 v4, v4, 23, 0x37800000
	s_delay_alu instid0(VALU_DEP_2) | instskip(NEXT) | instid1(VALU_DEP_1)
	v_lshlrev_b32_e32 v5, 21, v5
	v_or3_b32 v3, v3, v4, v5
	s_delay_alu instid0(VALU_DEP_1)
	v_cvt_f16_f32_e32 v5, v3
.LBB481_878:
	s_or_b32 exec_lo, exec_lo, s6
	s_mov_b32 s3, 0
	s_branch .LBB481_884
.LBB481_879:
	s_mov_b32 s3, -1
                                        ; implicit-def: $vgpr5
	s_branch .LBB481_890
.LBB481_880:
	s_or_saveexec_b32 s8, s8
	v_mov_b32_e32 v5, s7
	s_xor_b32 exec_lo, exec_lo, s8
	s_cbranch_execz .LBB481_863
.LBB481_881:
	v_cmp_ne_u16_e32 vcc_lo, 0, v3
	v_mov_b32_e32 v5, v3
	s_and_not1_b32 s6, s6, exec_lo
	s_and_b32 s7, vcc_lo, exec_lo
	s_delay_alu instid0(SALU_CYCLE_1)
	s_or_b32 s6, s6, s7
	s_or_b32 exec_lo, exec_lo, s8
	s_and_saveexec_b32 s7, s6
	s_cbranch_execnz .LBB481_864
	s_branch .LBB481_865
.LBB481_882:
	s_mov_b32 s3, -1
                                        ; implicit-def: $vgpr5
	s_branch .LBB481_887
.LBB481_883:
	s_mov_b32 s3, -1
                                        ; implicit-def: $vgpr5
.LBB481_884:
	s_delay_alu instid0(SALU_CYCLE_1)
	s_and_b32 vcc_lo, exec_lo, s3
	s_cbranch_vccz .LBB481_886
; %bb.885:
	global_load_u8 v3, v[1:2], off
	s_waitcnt vmcnt(0)
	v_lshlrev_b32_e32 v3, 24, v3
	s_delay_alu instid0(VALU_DEP_1) | instskip(NEXT) | instid1(VALU_DEP_1)
	v_and_b32_e32 v4, 0x7f000000, v3
	v_clz_i32_u32_e32 v5, v4
	v_add_nc_u32_e32 v7, 0x1000000, v4
	v_cmp_ne_u32_e32 vcc_lo, 0, v4
	s_delay_alu instid0(VALU_DEP_3) | instskip(NEXT) | instid1(VALU_DEP_1)
	v_min_u32_e32 v5, 32, v5
	v_sub_nc_u32_e64 v5, v5, 4 clamp
	s_delay_alu instid0(VALU_DEP_1) | instskip(SKIP_1) | instid1(VALU_DEP_2)
	v_lshlrev_b32_e32 v6, v5, v4
	v_lshlrev_b32_e32 v5, 23, v5
	v_lshrrev_b32_e32 v6, 4, v6
	s_delay_alu instid0(VALU_DEP_1) | instskip(SKIP_1) | instid1(VALU_DEP_2)
	v_sub_nc_u32_e32 v5, v6, v5
	v_ashrrev_i32_e32 v6, 8, v7
	v_add_nc_u32_e32 v5, 0x3c000000, v5
	s_delay_alu instid0(VALU_DEP_1) | instskip(NEXT) | instid1(VALU_DEP_1)
	v_and_or_b32 v5, 0x7f800000, v6, v5
	v_cndmask_b32_e32 v4, 0, v5, vcc_lo
	s_delay_alu instid0(VALU_DEP_1) | instskip(NEXT) | instid1(VALU_DEP_1)
	v_and_or_b32 v3, 0x80000000, v3, v4
	v_cvt_f16_f32_e32 v5, v3
.LBB481_886:
	s_mov_b32 s3, 0
.LBB481_887:
	s_delay_alu instid0(SALU_CYCLE_1)
	s_and_not1_b32 vcc_lo, exec_lo, s3
	s_cbranch_vccnz .LBB481_889
; %bb.888:
	global_load_u8 v3, v[1:2], off
	s_waitcnt vmcnt(0)
	v_lshlrev_b32_e32 v4, 25, v3
	v_lshlrev_b16 v3, 8, v3
	s_delay_alu instid0(VALU_DEP_2) | instskip(NEXT) | instid1(VALU_DEP_2)
	v_lshrrev_b32_e32 v5, 4, v4
	v_and_or_b32 v6, 0x7f00, v3, 0.5
	v_bfe_i32 v3, v3, 0, 16
	s_delay_alu instid0(VALU_DEP_3) | instskip(NEXT) | instid1(VALU_DEP_1)
	v_or_b32_e32 v5, 0x70000000, v5
	v_dual_add_f32 v6, -0.5, v6 :: v_dual_mul_f32 v5, 0x7800000, v5
	v_cmp_gt_u32_e32 vcc_lo, 0x8000000, v4
	s_delay_alu instid0(VALU_DEP_2) | instskip(NEXT) | instid1(VALU_DEP_1)
	v_cndmask_b32_e32 v4, v5, v6, vcc_lo
	v_and_or_b32 v3, 0x80000000, v3, v4
	s_delay_alu instid0(VALU_DEP_1)
	v_cvt_f16_f32_e32 v5, v3
.LBB481_889:
	s_mov_b32 s3, 0
	s_mov_b32 s6, -1
.LBB481_890:
	s_and_not1_b32 vcc_lo, exec_lo, s3
	s_mov_b32 s3, 0
	s_cbranch_vccnz .LBB481_901
; %bb.891:
	v_cmp_gt_i16_e64 s3, s31, 14
	s_delay_alu instid0(VALU_DEP_1)
	s_and_b32 vcc_lo, exec_lo, s3
	s_cbranch_vccz .LBB481_894
; %bb.892:
	v_cmp_eq_u16_e64 s2, s31, 15
	s_delay_alu instid0(VALU_DEP_1)
	s_and_b32 vcc_lo, exec_lo, s2
	s_cbranch_vccz .LBB481_897
; %bb.893:
	global_load_u16 v3, v[1:2], off
	s_mov_b32 s2, 0
	s_mov_b32 s6, -1
	s_waitcnt vmcnt(0)
	v_lshlrev_b32_e32 v3, 16, v3
	s_delay_alu instid0(VALU_DEP_1)
	v_cvt_f16_f32_e32 v5, v3
	s_branch .LBB481_898
.LBB481_894:
	s_mov_b32 s3, -1
                                        ; implicit-def: $vgpr5
	s_branch .LBB481_899
.LBB481_895:
	s_or_saveexec_b32 s7, s7
	v_mov_b32_e32 v5, s6
	s_xor_b32 exec_lo, exec_lo, s7
	s_cbranch_execz .LBB481_876
.LBB481_896:
	v_cmp_ne_u16_e32 vcc_lo, 0, v3
	v_mov_b32_e32 v5, v3
	s_and_not1_b32 s3, s3, exec_lo
	s_and_b32 s6, vcc_lo, exec_lo
	s_delay_alu instid0(SALU_CYCLE_1)
	s_or_b32 s3, s3, s6
	s_or_b32 exec_lo, exec_lo, s7
	s_and_saveexec_b32 s6, s3
	s_cbranch_execnz .LBB481_877
	s_branch .LBB481_878
.LBB481_897:
	s_mov_b32 s2, -1
                                        ; implicit-def: $vgpr5
.LBB481_898:
	s_mov_b32 s3, 0
.LBB481_899:
	s_delay_alu instid0(SALU_CYCLE_1)
	s_and_b32 vcc_lo, exec_lo, s3
	s_mov_b32 s3, 0
	s_cbranch_vccz .LBB481_901
; %bb.900:
	v_cmp_ne_u16_e64 s3, s31, 11
	s_and_not1_b32 s2, s2, exec_lo
                                        ; implicit-def: $vgpr5
	s_delay_alu instid0(VALU_DEP_1)
	s_and_b32 s7, s3, exec_lo
	s_mov_b32 s3, -1
	s_or_b32 s2, s2, s7
.LBB481_901:
	s_mov_b32 s7, 0
.LBB481_902:
	s_and_b32 s44, s6, exec_lo
	s_and_b32 s45, s7, exec_lo
	s_and_not1_b32 s6, s22, exec_lo
	s_and_b32 s7, s2, exec_lo
	s_and_b32 s2, s3, exec_lo
	s_or_b32 s46, s6, s7
.LBB481_903:
	s_or_b32 exec_lo, exec_lo, s34
	s_delay_alu instid0(SALU_CYCLE_1)
	s_and_not1_b32 s6, s22, exec_lo
	s_and_b32 s7, s46, exec_lo
	s_and_b32 s44, s44, exec_lo
	;; [unrolled: 1-line block ×4, first 2 shown]
	s_or_b32 s22, s6, s7
.LBB481_904:
	s_or_b32 exec_lo, exec_lo, s43
	s_delay_alu instid0(SALU_CYCLE_1)
	s_and_not1_b32 s6, s41, exec_lo
	s_and_b32 s7, s23, exec_lo
	s_and_b32 s43, s44, exec_lo
	s_or_b32 s41, s6, s7
	s_and_not1_b32 s6, s40, exec_lo
	s_and_b32 s7, s22, exec_lo
	s_and_b32 s23, s3, exec_lo
	;; [unrolled: 1-line block ×3, first 2 shown]
	s_or_b32 s40, s6, s7
.LBB481_905:
	s_or_b32 exec_lo, exec_lo, s42
	s_delay_alu instid0(SALU_CYCLE_1)
	s_and_not1_b32 s2, s37, exec_lo
	s_and_b32 s6, s41, exec_lo
	s_and_b32 s7, s40, exec_lo
	s_or_b32 s37, s2, s6
	s_and_not1_b32 s6, s38, exec_lo
	s_and_b32 s2, s43, exec_lo
	s_and_b32 s22, s23, exec_lo
	;; [unrolled: 1-line block ×3, first 2 shown]
	s_or_b32 s38, s6, s7
.LBB481_906:
	s_or_b32 exec_lo, exec_lo, s39
	s_mov_b32 s3, 0
	s_and_saveexec_b32 s6, s38
	s_cbranch_execnz .LBB481_918
; %bb.907:
	s_or_b32 exec_lo, exec_lo, s6
	s_and_saveexec_b32 s6, s40
	s_delay_alu instid0(SALU_CYCLE_1)
	s_xor_b32 s6, exec_lo, s6
	s_cbranch_execz .LBB481_909
.LBB481_908:
	global_load_u8 v3, v[1:2], off
	s_or_b32 s2, s2, exec_lo
	s_waitcnt vmcnt(0)
	v_cmp_ne_u16_e32 vcc_lo, 0, v3
	v_cndmask_b32_e64 v5, 0, 0x3c00, vcc_lo
.LBB481_909:
	s_or_b32 exec_lo, exec_lo, s6
	s_and_saveexec_b32 s6, s22
	s_cbranch_execz .LBB481_957
; %bb.910:
	v_cmp_lt_i16_e64 s7, s31, 5
	s_delay_alu instid0(VALU_DEP_1)
	s_and_b32 vcc_lo, exec_lo, s7
	s_cbranch_vccnz .LBB481_915
; %bb.911:
	v_cmp_lt_i16_e64 s7, s31, 8
	s_delay_alu instid0(VALU_DEP_1)
	s_and_b32 vcc_lo, exec_lo, s7
	s_cbranch_vccnz .LBB481_916
	;; [unrolled: 5-line block ×3, first 2 shown]
; %bb.913:
	v_cmp_gt_i16_e64 s7, s31, 9
	s_delay_alu instid0(VALU_DEP_1)
	s_and_b32 vcc_lo, exec_lo, s7
	s_cbranch_vccz .LBB481_920
; %bb.914:
	global_load_b64 v[3:4], v[1:2], off
	s_mov_b32 s7, 0
	s_waitcnt vmcnt(0)
	v_cvt_f32_f64_e32 v3, v[3:4]
	s_delay_alu instid0(VALU_DEP_1)
	v_cvt_f16_f32_e32 v5, v3
	s_branch .LBB481_921
.LBB481_915:
                                        ; implicit-def: $vgpr5
	s_branch .LBB481_938
.LBB481_916:
                                        ; implicit-def: $vgpr5
	s_branch .LBB481_927
.LBB481_917:
	s_mov_b32 s7, -1
                                        ; implicit-def: $vgpr5
	s_branch .LBB481_924
.LBB481_918:
	s_cbranch_execnz .LBB481_1188
; %bb.919:
	s_mov_b32 s3, exec_lo
	s_and_not1_b32 s40, s40, exec_lo
                                        ; implicit-def: $vgpr5
	s_or_b32 exec_lo, exec_lo, s6
	s_and_saveexec_b32 s6, s40
	s_delay_alu instid0(SALU_CYCLE_1)
	s_xor_b32 s6, exec_lo, s6
	s_cbranch_execnz .LBB481_908
	s_branch .LBB481_909
.LBB481_920:
	s_mov_b32 s7, -1
                                        ; implicit-def: $vgpr5
.LBB481_921:
	s_delay_alu instid0(SALU_CYCLE_1)
	s_and_not1_b32 vcc_lo, exec_lo, s7
	s_cbranch_vccnz .LBB481_923
; %bb.922:
	global_load_b32 v3, v[1:2], off
	s_waitcnt vmcnt(0)
	v_cvt_f16_f32_e32 v5, v3
.LBB481_923:
	s_mov_b32 s7, 0
.LBB481_924:
	s_delay_alu instid0(SALU_CYCLE_1)
	s_and_not1_b32 vcc_lo, exec_lo, s7
	s_cbranch_vccnz .LBB481_926
; %bb.925:
	global_load_b32 v5, v[1:2], off
.LBB481_926:
	s_cbranch_execnz .LBB481_937
.LBB481_927:
	v_cmp_lt_i16_e64 s7, s31, 6
	s_delay_alu instid0(VALU_DEP_1)
	s_and_b32 vcc_lo, exec_lo, s7
	s_cbranch_vccnz .LBB481_930
; %bb.928:
	v_cmp_gt_i16_e64 s7, s31, 6
	s_delay_alu instid0(VALU_DEP_1)
	s_and_b32 vcc_lo, exec_lo, s7
	s_cbranch_vccz .LBB481_931
; %bb.929:
	global_load_b64 v[3:4], v[1:2], off
	s_mov_b32 s7, 0
	s_waitcnt vmcnt(0)
	v_cvt_f32_f64_e32 v3, v[3:4]
	s_delay_alu instid0(VALU_DEP_1)
	v_cvt_f16_f32_e32 v5, v3
	s_branch .LBB481_932
.LBB481_930:
	s_mov_b32 s7, -1
                                        ; implicit-def: $vgpr5
	s_branch .LBB481_935
.LBB481_931:
	s_mov_b32 s7, -1
                                        ; implicit-def: $vgpr5
.LBB481_932:
	s_delay_alu instid0(SALU_CYCLE_1)
	s_and_not1_b32 vcc_lo, exec_lo, s7
	s_cbranch_vccnz .LBB481_934
; %bb.933:
	global_load_b32 v3, v[1:2], off
	s_waitcnt vmcnt(0)
	v_cvt_f16_f32_e32 v5, v3
.LBB481_934:
	s_mov_b32 s7, 0
.LBB481_935:
	s_delay_alu instid0(SALU_CYCLE_1)
	s_and_not1_b32 vcc_lo, exec_lo, s7
	s_cbranch_vccnz .LBB481_937
; %bb.936:
	global_load_u16 v5, v[1:2], off
.LBB481_937:
	s_cbranch_execnz .LBB481_956
.LBB481_938:
	v_cmp_lt_i16_e64 s7, s31, 2
	s_delay_alu instid0(VALU_DEP_1)
	s_and_b32 vcc_lo, exec_lo, s7
	s_cbranch_vccnz .LBB481_942
; %bb.939:
	v_cmp_lt_i16_e64 s7, s31, 3
	s_delay_alu instid0(VALU_DEP_1)
	s_and_b32 vcc_lo, exec_lo, s7
	s_cbranch_vccnz .LBB481_943
; %bb.940:
	v_cmp_gt_i16_e64 s7, s31, 3
	s_delay_alu instid0(VALU_DEP_1)
	s_and_b32 vcc_lo, exec_lo, s7
	s_cbranch_vccz .LBB481_944
; %bb.941:
	global_load_b64 v[3:4], v[1:2], off
	s_mov_b32 s7, 0
	s_waitcnt vmcnt(0)
	v_xor_b32_e32 v5, v3, v4
	v_cls_i32_e32 v6, v4
	s_delay_alu instid0(VALU_DEP_2) | instskip(NEXT) | instid1(VALU_DEP_2)
	v_ashrrev_i32_e32 v5, 31, v5
	v_add_nc_u32_e32 v6, -1, v6
	s_delay_alu instid0(VALU_DEP_2) | instskip(NEXT) | instid1(VALU_DEP_1)
	v_add_nc_u32_e32 v5, 32, v5
	v_min_u32_e32 v5, v6, v5
	s_delay_alu instid0(VALU_DEP_1) | instskip(NEXT) | instid1(VALU_DEP_1)
	v_lshlrev_b64 v[3:4], v5, v[3:4]
	v_min_u32_e32 v3, 1, v3
	s_delay_alu instid0(VALU_DEP_1) | instskip(SKIP_1) | instid1(VALU_DEP_2)
	v_or_b32_e32 v3, v4, v3
	v_sub_nc_u32_e32 v4, 32, v5
	v_cvt_f32_i32_e32 v3, v3
	s_delay_alu instid0(VALU_DEP_1) | instskip(NEXT) | instid1(VALU_DEP_1)
	v_ldexp_f32 v3, v3, v4
	v_cvt_f16_f32_e32 v5, v3
	s_branch .LBB481_945
.LBB481_942:
                                        ; implicit-def: $vgpr5
	s_branch .LBB481_951
.LBB481_943:
	s_mov_b32 s7, -1
                                        ; implicit-def: $vgpr5
	s_branch .LBB481_948
.LBB481_944:
	s_mov_b32 s7, -1
                                        ; implicit-def: $vgpr5
.LBB481_945:
	s_delay_alu instid0(SALU_CYCLE_1)
	s_and_not1_b32 vcc_lo, exec_lo, s7
	s_cbranch_vccnz .LBB481_947
; %bb.946:
	global_load_b32 v3, v[1:2], off
	s_waitcnt vmcnt(0)
	v_cvt_f32_i32_e32 v3, v3
	s_delay_alu instid0(VALU_DEP_1)
	v_cvt_f16_f32_e32 v5, v3
.LBB481_947:
	s_mov_b32 s7, 0
.LBB481_948:
	s_delay_alu instid0(SALU_CYCLE_1)
	s_and_not1_b32 vcc_lo, exec_lo, s7
	s_cbranch_vccnz .LBB481_950
; %bb.949:
	global_load_u16 v3, v[1:2], off
	s_waitcnt vmcnt(0)
	v_cvt_f16_i16_e32 v5, v3
.LBB481_950:
	s_cbranch_execnz .LBB481_956
.LBB481_951:
	v_cmp_gt_i16_e64 s7, s31, 0
	s_delay_alu instid0(VALU_DEP_1)
	s_and_b32 vcc_lo, exec_lo, s7
	s_mov_b32 s7, 0
	s_cbranch_vccz .LBB481_953
; %bb.952:
	global_load_i8 v3, v[1:2], off
	s_waitcnt vmcnt(0)
	v_cvt_f16_i16_e32 v5, v3
	s_branch .LBB481_954
.LBB481_953:
	s_mov_b32 s7, -1
                                        ; implicit-def: $vgpr5
.LBB481_954:
	s_delay_alu instid0(SALU_CYCLE_1)
	s_and_not1_b32 vcc_lo, exec_lo, s7
	s_cbranch_vccnz .LBB481_956
; %bb.955:
	global_load_u8 v1, v[1:2], off
	s_waitcnt vmcnt(0)
	v_cvt_f16_u16_e32 v5, v1
.LBB481_956:
	s_or_b32 s2, s2, exec_lo
.LBB481_957:
	s_or_b32 exec_lo, exec_lo, s6
	s_mov_b32 s8, 0
	s_mov_b32 s7, 0
                                        ; implicit-def: $vgpr4
                                        ; implicit-def: $vgpr1_vgpr2
                                        ; implicit-def: $vgpr3
	s_and_saveexec_b32 s6, s2
	s_cbranch_execz .LBB481_1034
; %bb.958:
	s_waitcnt vmcnt(0)
	v_cmp_u_f16_e32 vcc_lo, v5, v5
	v_cmp_gt_f16_e64 s2, s29, v5
	v_and_b32_e64 v4, 0xff, s30
	s_delay_alu instid0(VALU_DEP_2) | instskip(SKIP_2) | instid1(VALU_DEP_3)
	s_or_b32 vcc_lo, vcc_lo, s2
	v_add_co_u32 v1, s2, s4, v0
	v_cndmask_b32_e32 v3, s29, v5, vcc_lo
	v_cmp_gt_i16_e32 vcc_lo, 11, v4
	v_add_co_ci_u32_e64 v2, null, s5, 0, s2
	s_mov_b32 s4, -1
	s_mov_b32 s2, s37
	s_cbranch_vccnz .LBB481_1033
; %bb.959:
	v_cmp_lt_i16_e32 vcc_lo, 25, v4
	s_mov_b32 s2, s37
	s_cbranch_vccz .LBB481_992
; %bb.960:
	v_cmp_lt_i16_e32 vcc_lo, 28, v4
	s_mov_b32 s2, s37
	s_cbranch_vccz .LBB481_976
	;; [unrolled: 4-line block ×4, first 2 shown]
; %bb.963:
	v_cmp_eq_u16_e32 vcc_lo, 46, v4
	s_mov_b32 s2, -1
	s_cbranch_vccz .LBB481_965
; %bb.964:
	v_cvt_f32_f16_e32 v0, v3
	v_cmp_o_f16_e32 vcc_lo, v3, v3
	s_mov_b32 s2, 0
	s_delay_alu instid0(VALU_DEP_2) | instskip(NEXT) | instid1(VALU_DEP_1)
	v_bfe_u32 v5, v0, 16, 1
	v_add3_u32 v0, v0, v5, 0x7fff
	s_delay_alu instid0(VALU_DEP_1) | instskip(NEXT) | instid1(VALU_DEP_1)
	v_lshrrev_b32_e32 v0, 16, v0
	v_cndmask_b32_e32 v0, 0x7fc0, v0, vcc_lo
	global_store_b32 v[1:2], v0, off
.LBB481_965:
	s_mov_b32 s4, 0
.LBB481_966:
	s_delay_alu instid0(SALU_CYCLE_1)
	s_and_b32 vcc_lo, exec_lo, s4
	s_cbranch_vccz .LBB481_971
; %bb.967:
	v_cmp_eq_u16_e32 vcc_lo, 44, v4
	s_mov_b32 s2, -1
	s_cbranch_vccz .LBB481_971
; %bb.968:
	v_cvt_f32_f16_e32 v0, v3
	v_mov_b32_e32 v5, 0xff
	s_mov_b32 s4, exec_lo
	s_delay_alu instid0(VALU_DEP_2) | instskip(NEXT) | instid1(VALU_DEP_1)
	v_bfe_u32 v6, v0, 23, 8
	v_cmpx_ne_u32_e32 0xff, v6
; %bb.969:
	v_and_b32_e32 v5, 0x400000, v0
	v_and_or_b32 v6, 0x3fffff, v0, v6
	v_lshrrev_b32_e32 v0, 23, v0
	s_delay_alu instid0(VALU_DEP_3) | instskip(NEXT) | instid1(VALU_DEP_3)
	v_cmp_ne_u32_e32 vcc_lo, 0, v5
	v_cmp_ne_u32_e64 s2, 0, v6
	s_delay_alu instid0(VALU_DEP_1) | instskip(NEXT) | instid1(SALU_CYCLE_1)
	s_and_b32 s2, vcc_lo, s2
	v_cndmask_b32_e64 v5, 0, 1, s2
	s_delay_alu instid0(VALU_DEP_1)
	v_add_nc_u32_e32 v5, v0, v5
; %bb.970:
	s_or_b32 exec_lo, exec_lo, s4
	s_mov_b32 s2, 0
	global_store_b8 v[1:2], v5, off
.LBB481_971:
	s_mov_b32 s4, 0
.LBB481_972:
	s_delay_alu instid0(SALU_CYCLE_1)
	s_and_b32 vcc_lo, exec_lo, s4
	s_cbranch_vccz .LBB481_975
; %bb.973:
	v_cmp_eq_u16_e32 vcc_lo, 29, v4
	s_mov_b32 s2, -1
	s_cbranch_vccz .LBB481_975
; %bb.974:
	v_cvt_f32_f16_e32 v0, v3
	v_mov_b32_e32 v6, 0
	s_mov_b32 s2, 0
	s_delay_alu instid0(VALU_DEP_2)
	v_cvt_u32_f32_e32 v5, v0
	global_store_b64 v[1:2], v[5:6], off
.LBB481_975:
	s_mov_b32 s4, 0
.LBB481_976:
	s_delay_alu instid0(SALU_CYCLE_1)
	s_and_b32 vcc_lo, exec_lo, s4
	s_cbranch_vccz .LBB481_991
; %bb.977:
	v_cmp_gt_i16_e32 vcc_lo, 27, v4
	s_mov_b32 s4, -1
	s_cbranch_vccnz .LBB481_983
; %bb.978:
	v_cmp_lt_i16_e32 vcc_lo, 27, v4
	s_cbranch_vccz .LBB481_980
; %bb.979:
	v_cvt_f32_f16_e32 v0, v3
	s_mov_b32 s4, 0
	s_delay_alu instid0(VALU_DEP_1)
	v_cvt_u32_f32_e32 v0, v0
	global_store_b32 v[1:2], v0, off
.LBB481_980:
	s_and_not1_b32 vcc_lo, exec_lo, s4
	s_cbranch_vccnz .LBB481_982
; %bb.981:
	v_cvt_u16_f16_e32 v0, v3
	global_store_b16 v[1:2], v0, off
.LBB481_982:
	s_mov_b32 s4, 0
.LBB481_983:
	s_delay_alu instid0(SALU_CYCLE_1)
	s_and_not1_b32 vcc_lo, exec_lo, s4
	s_cbranch_vccnz .LBB481_991
; %bb.984:
	v_cvt_f32_f16_e32 v0, v3
	v_mov_b32_e32 v6, 0x80
	s_mov_b32 s4, exec_lo
	s_delay_alu instid0(VALU_DEP_2) | instskip(NEXT) | instid1(VALU_DEP_1)
	v_and_b32_e32 v5, 0x7fffffff, v0
	v_cmpx_gt_u32_e32 0x43800000, v5
	s_cbranch_execz .LBB481_990
; %bb.985:
	v_cmp_lt_u32_e32 vcc_lo, 0x3bffffff, v5
	s_mov_b32 s5, 0
                                        ; implicit-def: $vgpr5
	s_and_saveexec_b32 s7, vcc_lo
	s_delay_alu instid0(SALU_CYCLE_1)
	s_xor_b32 s7, exec_lo, s7
	s_cbranch_execz .LBB481_1279
; %bb.986:
	v_bfe_u32 v5, v0, 20, 1
	s_mov_b32 s5, exec_lo
	s_delay_alu instid0(VALU_DEP_1) | instskip(NEXT) | instid1(VALU_DEP_1)
	v_add3_u32 v5, v0, v5, 0x487ffff
	v_lshrrev_b32_e32 v5, 20, v5
	s_or_saveexec_b32 s7, s7
                                        ; implicit-def: $sgpr8
	s_delay_alu instid0(SALU_CYCLE_1)
	s_xor_b32 exec_lo, exec_lo, s7
	s_cbranch_execnz .LBB481_1280
.LBB481_987:
	s_or_b32 exec_lo, exec_lo, s7
	v_mov_b32_e32 v6, s8
	s_and_saveexec_b32 s7, s5
.LBB481_988:
	v_lshrrev_b32_e32 v0, 24, v0
	s_delay_alu instid0(VALU_DEP_1)
	v_and_or_b32 v6, 0x80, v0, v5
.LBB481_989:
	s_or_b32 exec_lo, exec_lo, s7
.LBB481_990:
	s_delay_alu instid0(SALU_CYCLE_1)
	s_or_b32 exec_lo, exec_lo, s4
	global_store_b8 v[1:2], v6, off
.LBB481_991:
	s_mov_b32 s4, 0
.LBB481_992:
	s_delay_alu instid0(SALU_CYCLE_1)
	s_and_b32 vcc_lo, exec_lo, s4
	s_mov_b32 s4, 0
	s_cbranch_vccz .LBB481_1032
; %bb.993:
	v_cmp_lt_i16_e32 vcc_lo, 22, v4
	s_mov_b32 s5, -1
	s_cbranch_vccz .LBB481_1025
; %bb.994:
	v_cmp_gt_i16_e32 vcc_lo, 24, v4
	s_cbranch_vccnz .LBB481_1014
; %bb.995:
	v_cmp_lt_i16_e32 vcc_lo, 24, v4
	s_cbranch_vccz .LBB481_1003
; %bb.996:
	v_cvt_f32_f16_e32 v0, v3
	v_mov_b32_e32 v6, 0x80
	s_mov_b32 s5, exec_lo
	s_delay_alu instid0(VALU_DEP_2) | instskip(NEXT) | instid1(VALU_DEP_1)
	v_and_b32_e32 v5, 0x7fffffff, v0
	v_cmpx_gt_u32_e32 0x47800000, v5
	s_cbranch_execz .LBB481_1002
; %bb.997:
	v_cmp_lt_u32_e32 vcc_lo, 0x37ffffff, v5
	s_mov_b32 s7, 0
                                        ; implicit-def: $vgpr5
	s_and_saveexec_b32 s8, vcc_lo
	s_delay_alu instid0(SALU_CYCLE_1)
	s_xor_b32 s8, exec_lo, s8
	s_cbranch_execz .LBB481_1323
; %bb.998:
	v_bfe_u32 v5, v0, 21, 1
	s_mov_b32 s7, exec_lo
	s_delay_alu instid0(VALU_DEP_1) | instskip(NEXT) | instid1(VALU_DEP_1)
	v_add3_u32 v5, v0, v5, 0x88fffff
	v_lshrrev_b32_e32 v5, 21, v5
	s_or_saveexec_b32 s8, s8
                                        ; implicit-def: $sgpr9
	s_delay_alu instid0(SALU_CYCLE_1)
	s_xor_b32 exec_lo, exec_lo, s8
	s_cbranch_execnz .LBB481_1324
.LBB481_999:
	s_or_b32 exec_lo, exec_lo, s8
	v_mov_b32_e32 v6, s9
	s_and_saveexec_b32 s8, s7
.LBB481_1000:
	v_lshrrev_b32_e32 v0, 24, v0
	s_delay_alu instid0(VALU_DEP_1)
	v_and_or_b32 v6, 0x80, v0, v5
.LBB481_1001:
	s_or_b32 exec_lo, exec_lo, s8
.LBB481_1002:
	s_delay_alu instid0(SALU_CYCLE_1)
	s_or_b32 exec_lo, exec_lo, s5
	s_mov_b32 s5, 0
	global_store_b8 v[1:2], v6, off
.LBB481_1003:
	s_and_b32 vcc_lo, exec_lo, s5
	s_cbranch_vccz .LBB481_1013
; %bb.1004:
	v_cvt_f32_f16_e32 v0, v3
	s_mov_b32 s5, exec_lo
                                        ; implicit-def: $vgpr5
	s_delay_alu instid0(VALU_DEP_1) | instskip(NEXT) | instid1(VALU_DEP_1)
	v_and_b32_e32 v6, 0x7fffffff, v0
	v_cmpx_gt_u32_e32 0x43f00000, v6
	s_xor_b32 s5, exec_lo, s5
	s_cbranch_execz .LBB481_1010
; %bb.1005:
	s_mov_b32 s7, exec_lo
                                        ; implicit-def: $vgpr5
	v_cmpx_lt_u32_e32 0x3c7fffff, v6
	s_xor_b32 s7, exec_lo, s7
; %bb.1006:
	v_bfe_u32 v5, v0, 20, 1
	s_delay_alu instid0(VALU_DEP_1) | instskip(NEXT) | instid1(VALU_DEP_1)
	v_add3_u32 v5, v0, v5, 0x407ffff
	v_and_b32_e32 v6, 0xff00000, v5
	v_lshrrev_b32_e32 v5, 20, v5
	s_delay_alu instid0(VALU_DEP_2) | instskip(NEXT) | instid1(VALU_DEP_2)
	v_cmp_ne_u32_e32 vcc_lo, 0x7f00000, v6
	v_cndmask_b32_e32 v5, 0x7e, v5, vcc_lo
; %bb.1007:
	s_and_not1_saveexec_b32 s7, s7
; %bb.1008:
	v_add_f32_e64 v5, 0x46800000, |v0|
; %bb.1009:
	s_or_b32 exec_lo, exec_lo, s7
                                        ; implicit-def: $vgpr6
.LBB481_1010:
	s_and_not1_saveexec_b32 s5, s5
; %bb.1011:
	v_mov_b32_e32 v5, 0x7f
	v_cmp_lt_u32_e32 vcc_lo, 0x7f800000, v6
	s_delay_alu instid0(VALU_DEP_2)
	v_cndmask_b32_e32 v5, 0x7e, v5, vcc_lo
; %bb.1012:
	s_or_b32 exec_lo, exec_lo, s5
	v_lshrrev_b32_e32 v0, 24, v0
	s_delay_alu instid0(VALU_DEP_1)
	v_and_or_b32 v0, 0x80, v0, v5
	global_store_b8 v[1:2], v0, off
.LBB481_1013:
	s_mov_b32 s5, 0
.LBB481_1014:
	s_delay_alu instid0(SALU_CYCLE_1)
	s_and_not1_b32 vcc_lo, exec_lo, s5
	s_cbranch_vccnz .LBB481_1024
; %bb.1015:
	v_cvt_f32_f16_e32 v0, v3
	s_mov_b32 s5, exec_lo
                                        ; implicit-def: $vgpr5
	s_delay_alu instid0(VALU_DEP_1) | instskip(NEXT) | instid1(VALU_DEP_1)
	v_and_b32_e32 v6, 0x7fffffff, v0
	v_cmpx_gt_u32_e32 0x47800000, v6
	s_xor_b32 s5, exec_lo, s5
	s_cbranch_execz .LBB481_1021
; %bb.1016:
	s_mov_b32 s7, exec_lo
                                        ; implicit-def: $vgpr5
	v_cmpx_lt_u32_e32 0x387fffff, v6
	s_xor_b32 s7, exec_lo, s7
; %bb.1017:
	v_bfe_u32 v5, v0, 21, 1
	s_delay_alu instid0(VALU_DEP_1) | instskip(NEXT) | instid1(VALU_DEP_1)
	v_add3_u32 v5, v0, v5, 0x80fffff
	v_lshrrev_b32_e32 v5, 21, v5
; %bb.1018:
	s_and_not1_saveexec_b32 s7, s7
; %bb.1019:
	v_add_f32_e64 v5, 0x43000000, |v0|
; %bb.1020:
	s_or_b32 exec_lo, exec_lo, s7
                                        ; implicit-def: $vgpr6
.LBB481_1021:
	s_and_not1_saveexec_b32 s5, s5
; %bb.1022:
	v_mov_b32_e32 v5, 0x7f
	v_cmp_lt_u32_e32 vcc_lo, 0x7f800000, v6
	s_delay_alu instid0(VALU_DEP_2)
	v_cndmask_b32_e32 v5, 0x7c, v5, vcc_lo
; %bb.1023:
	s_or_b32 exec_lo, exec_lo, s5
	v_lshrrev_b32_e32 v0, 24, v0
	s_delay_alu instid0(VALU_DEP_1)
	v_and_or_b32 v0, 0x80, v0, v5
	global_store_b8 v[1:2], v0, off
.LBB481_1024:
	s_mov_b32 s5, 0
.LBB481_1025:
	s_delay_alu instid0(SALU_CYCLE_1)
	s_and_not1_b32 vcc_lo, exec_lo, s5
	s_mov_b32 s8, 0
	s_cbranch_vccnz .LBB481_1033
; %bb.1026:
	v_cmp_lt_i16_e32 vcc_lo, 14, v4
	s_mov_b32 s5, -1
	s_cbranch_vccz .LBB481_1030
; %bb.1027:
	v_cmp_eq_u16_e32 vcc_lo, 15, v4
	s_mov_b32 s2, -1
	s_cbranch_vccz .LBB481_1029
; %bb.1028:
	v_cvt_f32_f16_e32 v0, v3
	v_cmp_o_f16_e32 vcc_lo, v3, v3
	s_mov_b32 s2, 0
	s_delay_alu instid0(VALU_DEP_2) | instskip(NEXT) | instid1(VALU_DEP_1)
	v_bfe_u32 v5, v0, 16, 1
	v_add3_u32 v0, v0, v5, 0x7fff
	s_delay_alu instid0(VALU_DEP_1) | instskip(NEXT) | instid1(VALU_DEP_1)
	v_lshrrev_b32_e32 v0, 16, v0
	v_cndmask_b32_e32 v0, 0x7fc0, v0, vcc_lo
	global_store_b16 v[1:2], v0, off
.LBB481_1029:
	s_mov_b32 s5, 0
.LBB481_1030:
	s_delay_alu instid0(SALU_CYCLE_1)
	s_and_b32 vcc_lo, exec_lo, s5
	s_cbranch_vccz .LBB481_1033
; %bb.1031:
	v_cmp_ne_u16_e32 vcc_lo, 11, v4
	s_and_not1_b32 s2, s2, exec_lo
	s_mov_b32 s8, -1
	s_and_b32 s5, vcc_lo, exec_lo
	s_delay_alu instid0(SALU_CYCLE_1)
	s_or_b32 s2, s2, s5
	s_branch .LBB481_1033
.LBB481_1032:
	s_mov_b32 s8, 0
.LBB481_1033:
	s_and_b32 s7, s4, exec_lo
	s_and_not1_b32 s4, s37, exec_lo
	s_and_b32 s2, s2, exec_lo
	s_and_b32 s8, s8, exec_lo
	s_or_b32 s37, s4, s2
.LBB481_1034:
	s_or_b32 exec_lo, exec_lo, s6
	s_and_saveexec_b32 s2, s37
	s_cbranch_execnz .LBB481_1148
; %bb.1035:
	s_or_b32 exec_lo, exec_lo, s2
	s_and_saveexec_b32 s2, s8
	s_delay_alu instid0(SALU_CYCLE_1)
	s_xor_b32 s2, exec_lo, s2
	s_cbranch_execz .LBB481_1037
.LBB481_1036:
	v_and_b32_e32 v0, 0x7fff, v3
	s_delay_alu instid0(VALU_DEP_1)
	v_cmp_ne_u16_e32 vcc_lo, 0, v0
	v_cndmask_b32_e64 v0, 0, 1, vcc_lo
	global_store_b8 v[1:2], v0, off
.LBB481_1037:
	s_or_b32 exec_lo, exec_lo, s2
	s_and_saveexec_b32 s2, s7
	s_delay_alu instid0(SALU_CYCLE_1)
	s_xor_b32 s2, exec_lo, s2
	s_cbranch_execz .LBB481_1075
; %bb.1038:
	v_cmp_gt_i16_e32 vcc_lo, 5, v4
	s_mov_b32 s4, -1
	s_cbranch_vccnz .LBB481_1059
; %bb.1039:
	v_cmp_gt_i16_e32 vcc_lo, 8, v4
	s_cbranch_vccnz .LBB481_1049
; %bb.1040:
	v_cmp_gt_i16_e32 vcc_lo, 9, v4
	s_cbranch_vccnz .LBB481_1046
; %bb.1041:
	v_cmp_lt_i16_e32 vcc_lo, 9, v4
	s_cbranch_vccz .LBB481_1043
; %bb.1042:
	v_cvt_f32_f16_e32 v0, v3
	v_mov_b32_e32 v7, 0
	s_mov_b32 s4, 0
	s_waitcnt vmcnt(0)
	s_delay_alu instid0(VALU_DEP_2) | instskip(NEXT) | instid1(VALU_DEP_2)
	v_cvt_f64_f32_e32 v[5:6], v0
	v_mov_b32_e32 v8, v7
	global_store_b128 v[1:2], v[5:8], off
.LBB481_1043:
	s_and_not1_b32 vcc_lo, exec_lo, s4
	s_cbranch_vccnz .LBB481_1045
; %bb.1044:
	s_waitcnt vmcnt(0)
	v_cvt_f32_f16_e32 v5, v3
	v_mov_b32_e32 v6, 0
	global_store_b64 v[1:2], v[5:6], off
.LBB481_1045:
	s_mov_b32 s4, 0
.LBB481_1046:
	s_delay_alu instid0(SALU_CYCLE_1)
	s_and_not1_b32 vcc_lo, exec_lo, s4
	s_cbranch_vccnz .LBB481_1048
; %bb.1047:
	v_and_b32_e32 v0, 0xffff, v3
	global_store_b32 v[1:2], v0, off
.LBB481_1048:
	s_mov_b32 s4, 0
.LBB481_1049:
	s_delay_alu instid0(SALU_CYCLE_1)
	s_and_not1_b32 vcc_lo, exec_lo, s4
	s_cbranch_vccnz .LBB481_1058
; %bb.1050:
	v_cmp_gt_i16_e32 vcc_lo, 6, v4
	s_mov_b32 s4, -1
	s_cbranch_vccnz .LBB481_1056
; %bb.1051:
	v_cmp_lt_i16_e32 vcc_lo, 6, v4
	s_cbranch_vccz .LBB481_1053
; %bb.1052:
	v_cvt_f32_f16_e32 v0, v3
	s_mov_b32 s4, 0
	s_waitcnt vmcnt(0)
	s_delay_alu instid0(VALU_DEP_1)
	v_cvt_f64_f32_e32 v[5:6], v0
	global_store_b64 v[1:2], v[5:6], off
.LBB481_1053:
	s_and_not1_b32 vcc_lo, exec_lo, s4
	s_cbranch_vccnz .LBB481_1055
; %bb.1054:
	v_cvt_f32_f16_e32 v0, v3
	global_store_b32 v[1:2], v0, off
.LBB481_1055:
	s_mov_b32 s4, 0
.LBB481_1056:
	s_delay_alu instid0(SALU_CYCLE_1)
	s_and_not1_b32 vcc_lo, exec_lo, s4
	s_cbranch_vccnz .LBB481_1058
; %bb.1057:
	global_store_b16 v[1:2], v3, off
.LBB481_1058:
	s_mov_b32 s4, 0
.LBB481_1059:
	s_delay_alu instid0(SALU_CYCLE_1)
	s_and_not1_b32 vcc_lo, exec_lo, s4
	s_cbranch_vccnz .LBB481_1075
; %bb.1060:
	v_cmp_gt_i16_e32 vcc_lo, 2, v4
	s_mov_b32 s4, -1
	s_cbranch_vccnz .LBB481_1070
; %bb.1061:
	v_cmp_gt_i16_e32 vcc_lo, 3, v4
	s_cbranch_vccnz .LBB481_1067
; %bb.1062:
	v_cmp_lt_i16_e32 vcc_lo, 3, v4
	s_cbranch_vccz .LBB481_1064
; %bb.1063:
	v_cvt_f32_f16_e32 v0, v3
	s_mov_b32 s4, 0
	s_waitcnt vmcnt(0)
	s_delay_alu instid0(VALU_DEP_1) | instskip(NEXT) | instid1(VALU_DEP_1)
	v_cvt_i32_f32_e32 v5, v0
	v_ashrrev_i32_e32 v6, 31, v5
	global_store_b64 v[1:2], v[5:6], off
.LBB481_1064:
	s_and_not1_b32 vcc_lo, exec_lo, s4
	s_cbranch_vccnz .LBB481_1066
; %bb.1065:
	v_cvt_f32_f16_e32 v0, v3
	s_delay_alu instid0(VALU_DEP_1)
	v_cvt_i32_f32_e32 v0, v0
	global_store_b32 v[1:2], v0, off
.LBB481_1066:
	s_mov_b32 s4, 0
.LBB481_1067:
	s_delay_alu instid0(SALU_CYCLE_1)
	s_and_not1_b32 vcc_lo, exec_lo, s4
	s_cbranch_vccnz .LBB481_1069
; %bb.1068:
	v_cvt_i16_f16_e32 v0, v3
	global_store_b16 v[1:2], v0, off
.LBB481_1069:
	s_mov_b32 s4, 0
.LBB481_1070:
	s_delay_alu instid0(SALU_CYCLE_1)
	s_and_not1_b32 vcc_lo, exec_lo, s4
	s_cbranch_vccnz .LBB481_1075
; %bb.1071:
	v_cmp_lt_i16_e32 vcc_lo, 0, v4
	s_mov_b32 s4, -1
	s_cbranch_vccz .LBB481_1073
; %bb.1072:
	v_cvt_i16_f16_e32 v0, v3
	s_mov_b32 s4, 0
	global_store_b8 v[1:2], v0, off
.LBB481_1073:
	s_and_not1_b32 vcc_lo, exec_lo, s4
	s_cbranch_vccnz .LBB481_1075
; %bb.1074:
	v_cvt_f32_f16_e32 v0, v3
	s_delay_alu instid0(VALU_DEP_1)
	v_cvt_i32_f32_e32 v0, v0
	global_store_b8 v[1:2], v0, off
.LBB481_1075:
	s_or_b32 exec_lo, exec_lo, s2
	s_delay_alu instid0(SALU_CYCLE_1)
	s_and_b32 s8, s3, exec_lo
                                        ; implicit-def: $vgpr8
                                        ; implicit-def: $vgpr4
.LBB481_1076:
	s_or_saveexec_b32 s9, s28
	s_mov_b32 s3, 0
                                        ; implicit-def: $vgpr0_vgpr1
                                        ; implicit-def: $vgpr5
                                        ; implicit-def: $vgpr2
	s_xor_b32 exec_lo, exec_lo, s9
	s_cbranch_execz .LBB481_2092
; %bb.1077:
	v_cndmask_b32_e64 v0, 0, 1, s27
	s_and_not1_b32 vcc_lo, exec_lo, s27
	s_cbranch_vccnz .LBB481_1083
; %bb.1078:
	v_mov_b32_e32 v3, 0
	v_mov_b32_e32 v7, 0
	s_cmp_lg_u32 s24, 0
	s_mov_b32 s6, 0
	s_cbranch_scc0 .LBB481_1087
; %bb.1079:
	s_min_u32 s7, s25, 15
	v_mov_b32_e32 v3, 0
	s_add_i32 s7, s7, 1
	s_cmp_eq_u32 s25, 2
	s_mov_b32 s10, 0
	s_cbranch_scc1 .LBB481_1084
; %bb.1080:
	v_mov_b32_e32 v7, 0
	v_mov_b32_e32 v3, 0
	;; [unrolled: 1-line block ×3, first 2 shown]
	s_add_u32 s2, s16, 0xc4
	s_addc_u32 s3, s17, 0
	s_and_b32 s10, s7, 28
	s_mov_b32 s11, 0
	s_mov_b64 s[4:5], s[16:17]
.LBB481_1081:                           ; =>This Inner Loop Header: Depth=1
	s_clause 0x1
	s_load_b256 s[36:43], s[4:5], 0x4
	s_load_b128 s[12:15], s[4:5], 0x24
	s_load_b256 s[44:51], s[2:3], 0x0
	s_add_u32 s4, s4, 48
	s_addc_u32 s5, s5, 0
	s_add_i32 s11, s11, 4
	s_add_u32 s2, s2, 32
	s_addc_u32 s3, s3, 0
	s_cmp_lg_u32 s10, s11
	s_waitcnt lgkmcnt(0)
	v_mul_hi_u32 v2, s37, v1
	s_delay_alu instid0(VALU_DEP_1) | instskip(NEXT) | instid1(VALU_DEP_1)
	v_add_nc_u32_e32 v2, v1, v2
	v_lshrrev_b32_e32 v2, s38, v2
	s_waitcnt vmcnt(0)
	s_delay_alu instid0(VALU_DEP_1) | instskip(SKIP_1) | instid1(VALU_DEP_2)
	v_mul_hi_u32 v5, s40, v2
	v_mul_lo_u32 v9, v2, s36
	v_add_nc_u32_e32 v5, v2, v5
	s_delay_alu instid0(VALU_DEP_2) | instskip(NEXT) | instid1(VALU_DEP_2)
	v_sub_nc_u32_e32 v1, v1, v9
	v_lshrrev_b32_e32 v5, s41, v5
	s_delay_alu instid0(VALU_DEP_2) | instskip(SKIP_1) | instid1(VALU_DEP_3)
	v_mul_lo_u32 v9, v1, s44
	v_mul_lo_u32 v11, v1, s45
	v_mul_hi_u32 v6, s43, v5
	s_delay_alu instid0(VALU_DEP_1) | instskip(NEXT) | instid1(VALU_DEP_1)
	v_add_nc_u32_e32 v6, v5, v6
	v_lshrrev_b32_e32 v6, s12, v6
	s_delay_alu instid0(VALU_DEP_1) | instskip(SKIP_1) | instid1(VALU_DEP_2)
	v_mul_hi_u32 v10, s14, v6
	v_mul_lo_u32 v12, v6, s42
	v_add_nc_u32_e32 v1, v6, v10
	v_mul_lo_u32 v10, v5, s39
	s_delay_alu instid0(VALU_DEP_3) | instskip(NEXT) | instid1(VALU_DEP_3)
	v_sub_nc_u32_e32 v5, v5, v12
	v_lshrrev_b32_e32 v1, s15, v1
	s_delay_alu instid0(VALU_DEP_2) | instskip(SKIP_2) | instid1(VALU_DEP_4)
	v_mul_lo_u32 v12, v5, s48
	v_mul_lo_u32 v5, v5, s49
	v_sub_nc_u32_e32 v2, v2, v10
	v_mul_lo_u32 v13, v1, s13
	s_delay_alu instid0(VALU_DEP_2) | instskip(SKIP_1) | instid1(VALU_DEP_3)
	v_mul_lo_u32 v10, v2, s46
	v_mul_lo_u32 v2, v2, s47
	v_sub_nc_u32_e32 v6, v6, v13
	s_delay_alu instid0(VALU_DEP_3) | instskip(NEXT) | instid1(VALU_DEP_2)
	v_add3_u32 v3, v9, v3, v10
	v_mul_lo_u32 v13, v6, s50
	v_mul_lo_u32 v6, v6, s51
	v_add3_u32 v2, v11, v7, v2
	s_delay_alu instid0(VALU_DEP_3) | instskip(NEXT) | instid1(VALU_DEP_2)
	v_add3_u32 v3, v12, v3, v13
	v_add3_u32 v7, v5, v2, v6
	s_cbranch_scc1 .LBB481_1081
; %bb.1082:
	s_and_b32 s7, s7, 3
	s_delay_alu instid0(SALU_CYCLE_1)
	s_cmp_eq_u32 s7, 0
	s_cbranch_scc0 .LBB481_1085
	s_branch .LBB481_1087
.LBB481_1083:
	s_mov_b32 s6, -1
                                        ; implicit-def: $vgpr3
                                        ; implicit-def: $vgpr7
	s_branch .LBB481_1087
.LBB481_1084:
	v_mov_b32_e32 v1, v4
	v_mov_b32_e32 v7, 0
	s_and_b32 s7, s7, 3
	s_delay_alu instid0(SALU_CYCLE_1)
	s_cmp_eq_u32 s7, 0
	s_cbranch_scc1 .LBB481_1087
.LBB481_1085:
	s_lshl_b32 s2, s10, 3
	s_mul_i32 s4, s10, 12
	s_add_u32 s2, s2, s16
	s_addc_u32 s3, 0, s17
	s_add_u32 s2, s2, 0xc4
	s_addc_u32 s3, s3, 0
	;; [unrolled: 2-line block ×3, first 2 shown]
	.p2align	6
.LBB481_1086:                           ; =>This Inner Loop Header: Depth=1
	s_clause 0x1
	s_load_b64 s[10:11], s[4:5], 0x4
	s_load_b32 s14, s[4:5], 0xc
	s_load_b64 s[12:13], s[2:3], 0x0
	s_add_u32 s4, s4, 12
	s_addc_u32 s5, s5, 0
	s_add_u32 s2, s2, 8
	s_addc_u32 s3, s3, 0
	s_add_i32 s7, s7, -1
	s_delay_alu instid0(SALU_CYCLE_1) | instskip(SKIP_2) | instid1(VALU_DEP_1)
	s_cmp_lg_u32 s7, 0
	s_waitcnt lgkmcnt(0)
	v_mul_hi_u32 v2, s11, v1
	v_add_nc_u32_e32 v2, v1, v2
	s_delay_alu instid0(VALU_DEP_1) | instskip(NEXT) | instid1(VALU_DEP_1)
	v_lshrrev_b32_e32 v9, s14, v2
	v_mul_lo_u32 v2, v9, s10
	s_delay_alu instid0(VALU_DEP_1) | instskip(SKIP_1) | instid1(VALU_DEP_1)
	v_sub_nc_u32_e32 v1, v1, v2
	s_waitcnt vmcnt(0)
	v_mad_u64_u32 v[5:6], null, v1, s12, v[3:4]
	v_mad_u64_u32 v[2:3], null, v1, s13, v[7:8]
	v_mov_b32_e32 v1, v9
	s_delay_alu instid0(VALU_DEP_3) | instskip(NEXT) | instid1(VALU_DEP_3)
	v_mov_b32_e32 v3, v5
	v_mov_b32_e32 v7, v2
	s_cbranch_scc1 .LBB481_1086
.LBB481_1087:
	s_and_not1_b32 vcc_lo, exec_lo, s6
	s_cbranch_vccnz .LBB481_1090
; %bb.1088:
	s_clause 0x1
	s_load_b128 s[4:7], s[16:17], 0x4
	s_load_b64 s[2:3], s[16:17], 0xc4
	s_cmp_lt_u32 s24, 2
	s_waitcnt lgkmcnt(0)
	v_mul_hi_u32 v1, s5, v4
	s_delay_alu instid0(VALU_DEP_1) | instskip(NEXT) | instid1(VALU_DEP_1)
	v_add_nc_u32_e32 v1, v4, v1
	v_lshrrev_b32_e32 v1, s6, v1
	s_delay_alu instid0(VALU_DEP_1) | instskip(NEXT) | instid1(VALU_DEP_1)
	v_mul_lo_u32 v2, v1, s4
	v_sub_nc_u32_e32 v2, v4, v2
	s_delay_alu instid0(VALU_DEP_1)
	v_mul_lo_u32 v3, v2, s2
	v_mul_lo_u32 v7, v2, s3
	s_cbranch_scc1 .LBB481_1090
; %bb.1089:
	s_clause 0x1
	s_load_b128 s[4:7], s[16:17], 0x10
	s_load_b64 s[2:3], s[16:17], 0xcc
	s_waitcnt lgkmcnt(0)
	v_mul_hi_u32 v2, s5, v1
	s_delay_alu instid0(VALU_DEP_1) | instskip(NEXT) | instid1(VALU_DEP_1)
	v_add_nc_u32_e32 v2, v1, v2
	v_lshrrev_b32_e32 v2, s6, v2
	s_delay_alu instid0(VALU_DEP_1) | instskip(SKIP_1) | instid1(VALU_DEP_1)
	v_mul_lo_u32 v2, v2, s4
	s_waitcnt vmcnt(0)
	v_sub_nc_u32_e32 v5, v1, v2
	s_delay_alu instid0(VALU_DEP_1) | instskip(SKIP_1) | instid1(VALU_DEP_2)
	v_mad_u64_u32 v[1:2], null, v5, s2, v[3:4]
	v_mad_u64_u32 v[2:3], null, v5, s3, v[7:8]
	v_mov_b32_e32 v3, v1
	s_delay_alu instid0(VALU_DEP_2)
	v_mov_b32_e32 v7, v2
.LBB481_1090:
	v_cmp_ne_u32_e32 vcc_lo, 1, v0
	v_add_nc_u32_e32 v1, 0x80, v4
	s_cbranch_vccnz .LBB481_1096
; %bb.1091:
	v_mov_b32_e32 v2, 0
	v_mov_b32_e32 v6, 0
	s_cmp_lg_u32 s24, 0
	s_mov_b32 s6, 0
	s_cbranch_scc0 .LBB481_1100
; %bb.1092:
	s_min_u32 s7, s25, 15
	v_mov_b32_e32 v2, 0
	s_add_i32 s7, s7, 1
	s_cmp_eq_u32 s25, 2
	s_mov_b32 s10, 0
	s_cbranch_scc1 .LBB481_1097
; %bb.1093:
	s_waitcnt vmcnt(0)
	v_dual_mov_b32 v6, 0 :: v_dual_mov_b32 v5, v1
	v_mov_b32_e32 v2, 0
	s_add_u32 s2, s16, 0xc4
	s_addc_u32 s3, s17, 0
	s_and_b32 s10, s7, 28
	s_mov_b32 s11, 0
	s_mov_b64 s[4:5], s[16:17]
.LBB481_1094:                           ; =>This Inner Loop Header: Depth=1
	s_clause 0x1
	s_load_b256 s[36:43], s[4:5], 0x4
	s_load_b128 s[12:15], s[4:5], 0x24
	s_load_b256 s[44:51], s[2:3], 0x0
	s_add_u32 s4, s4, 48
	s_addc_u32 s5, s5, 0
	s_add_i32 s11, s11, 4
	s_add_u32 s2, s2, 32
	s_addc_u32 s3, s3, 0
	s_cmp_lg_u32 s10, s11
	s_waitcnt lgkmcnt(0)
	v_mul_hi_u32 v9, s37, v5
	s_delay_alu instid0(VALU_DEP_1) | instskip(NEXT) | instid1(VALU_DEP_1)
	v_add_nc_u32_e32 v9, v5, v9
	v_lshrrev_b32_e32 v9, s38, v9
	s_delay_alu instid0(VALU_DEP_1) | instskip(SKIP_1) | instid1(VALU_DEP_2)
	v_mul_hi_u32 v10, s40, v9
	v_mul_lo_u32 v12, v9, s36
	v_add_nc_u32_e32 v10, v9, v10
	s_delay_alu instid0(VALU_DEP_2) | instskip(NEXT) | instid1(VALU_DEP_2)
	v_sub_nc_u32_e32 v5, v5, v12
	v_lshrrev_b32_e32 v10, s41, v10
	s_delay_alu instid0(VALU_DEP_2) | instskip(SKIP_1) | instid1(VALU_DEP_3)
	v_mul_lo_u32 v12, v5, s44
	v_mul_lo_u32 v14, v5, s45
	v_mul_hi_u32 v11, s43, v10
	s_delay_alu instid0(VALU_DEP_1) | instskip(NEXT) | instid1(VALU_DEP_1)
	v_add_nc_u32_e32 v11, v10, v11
	v_lshrrev_b32_e32 v11, s12, v11
	s_delay_alu instid0(VALU_DEP_1) | instskip(SKIP_1) | instid1(VALU_DEP_2)
	v_mul_hi_u32 v13, s14, v11
	v_mul_lo_u32 v15, v11, s42
	v_add_nc_u32_e32 v5, v11, v13
	v_mul_lo_u32 v13, v10, s39
	s_delay_alu instid0(VALU_DEP_3) | instskip(NEXT) | instid1(VALU_DEP_3)
	v_sub_nc_u32_e32 v10, v10, v15
	v_lshrrev_b32_e32 v5, s15, v5
	s_delay_alu instid0(VALU_DEP_2) | instskip(SKIP_2) | instid1(VALU_DEP_4)
	v_mul_lo_u32 v15, v10, s48
	v_mul_lo_u32 v10, v10, s49
	v_sub_nc_u32_e32 v9, v9, v13
	v_mul_lo_u32 v16, v5, s13
	s_delay_alu instid0(VALU_DEP_2) | instskip(SKIP_1) | instid1(VALU_DEP_3)
	v_mul_lo_u32 v13, v9, s46
	v_mul_lo_u32 v9, v9, s47
	v_sub_nc_u32_e32 v11, v11, v16
	s_delay_alu instid0(VALU_DEP_3) | instskip(NEXT) | instid1(VALU_DEP_2)
	v_add3_u32 v2, v12, v2, v13
	v_mul_lo_u32 v16, v11, s50
	v_mul_lo_u32 v11, v11, s51
	v_add3_u32 v6, v14, v6, v9
	s_delay_alu instid0(VALU_DEP_3) | instskip(NEXT) | instid1(VALU_DEP_2)
	v_add3_u32 v2, v15, v2, v16
	v_add3_u32 v6, v10, v6, v11
	s_cbranch_scc1 .LBB481_1094
; %bb.1095:
	s_and_b32 s7, s7, 3
	s_delay_alu instid0(SALU_CYCLE_1)
	s_cmp_eq_u32 s7, 0
	s_cbranch_scc0 .LBB481_1098
	s_branch .LBB481_1100
.LBB481_1096:
	s_mov_b32 s6, -1
                                        ; implicit-def: $vgpr2
                                        ; implicit-def: $vgpr6
	s_branch .LBB481_1100
.LBB481_1097:
	s_waitcnt vmcnt(0)
	v_dual_mov_b32 v5, v1 :: v_dual_mov_b32 v6, 0
	s_and_b32 s7, s7, 3
	s_delay_alu instid0(SALU_CYCLE_1)
	s_cmp_eq_u32 s7, 0
	s_cbranch_scc1 .LBB481_1100
.LBB481_1098:
	s_lshl_b32 s2, s10, 3
	s_mul_i32 s4, s10, 12
	s_add_u32 s2, s2, s16
	s_addc_u32 s3, 0, s17
	s_add_u32 s2, s2, 0xc4
	s_addc_u32 s3, s3, 0
	;; [unrolled: 2-line block ×3, first 2 shown]
	.p2align	6
.LBB481_1099:                           ; =>This Inner Loop Header: Depth=1
	s_clause 0x1
	s_load_b64 s[10:11], s[4:5], 0x4
	s_load_b32 s14, s[4:5], 0xc
	s_load_b64 s[12:13], s[2:3], 0x0
	s_add_u32 s4, s4, 12
	s_addc_u32 s5, s5, 0
	s_add_u32 s2, s2, 8
	s_addc_u32 s3, s3, 0
	s_add_i32 s7, s7, -1
	s_delay_alu instid0(SALU_CYCLE_1) | instskip(SKIP_2) | instid1(VALU_DEP_1)
	s_cmp_lg_u32 s7, 0
	s_waitcnt lgkmcnt(0)
	v_mul_hi_u32 v9, s11, v5
	v_add_nc_u32_e32 v9, v5, v9
	s_delay_alu instid0(VALU_DEP_1) | instskip(NEXT) | instid1(VALU_DEP_1)
	v_lshrrev_b32_e32 v12, s14, v9
	v_mul_lo_u32 v9, v12, s10
	s_delay_alu instid0(VALU_DEP_1) | instskip(NEXT) | instid1(VALU_DEP_1)
	v_sub_nc_u32_e32 v5, v5, v9
	v_mad_u64_u32 v[9:10], null, v5, s12, v[2:3]
	v_mad_u64_u32 v[10:11], null, v5, s13, v[6:7]
	s_delay_alu instid0(VALU_DEP_2) | instskip(NEXT) | instid1(VALU_DEP_2)
	v_dual_mov_b32 v5, v12 :: v_dual_mov_b32 v2, v9
	v_mov_b32_e32 v6, v10
	s_cbranch_scc1 .LBB481_1099
.LBB481_1100:
	s_and_not1_b32 vcc_lo, exec_lo, s6
	s_cbranch_vccnz .LBB481_1103
; %bb.1101:
	s_clause 0x1
	s_load_b128 s[4:7], s[16:17], 0x4
	s_load_b64 s[2:3], s[16:17], 0xc4
	s_cmp_lt_u32 s24, 2
	s_waitcnt lgkmcnt(0)
	v_mul_hi_u32 v2, s5, v1
	s_delay_alu instid0(VALU_DEP_1) | instskip(SKIP_1) | instid1(VALU_DEP_1)
	v_add_nc_u32_e32 v2, v1, v2
	s_waitcnt vmcnt(0)
	v_lshrrev_b32_e32 v5, s6, v2
	s_delay_alu instid0(VALU_DEP_1) | instskip(NEXT) | instid1(VALU_DEP_1)
	v_mul_lo_u32 v2, v5, s4
	v_sub_nc_u32_e32 v1, v1, v2
	s_delay_alu instid0(VALU_DEP_1)
	v_mul_lo_u32 v2, v1, s2
	v_mul_lo_u32 v6, v1, s3
	s_cbranch_scc1 .LBB481_1103
; %bb.1102:
	s_clause 0x1
	s_load_b128 s[4:7], s[16:17], 0x10
	s_load_b64 s[2:3], s[16:17], 0xcc
	s_waitcnt lgkmcnt(0)
	v_mul_hi_u32 v1, s5, v5
	s_delay_alu instid0(VALU_DEP_1) | instskip(NEXT) | instid1(VALU_DEP_1)
	v_add_nc_u32_e32 v1, v5, v1
	v_lshrrev_b32_e32 v1, s6, v1
	s_delay_alu instid0(VALU_DEP_1) | instskip(NEXT) | instid1(VALU_DEP_1)
	v_mul_lo_u32 v1, v1, s4
	v_sub_nc_u32_e32 v5, v5, v1
	s_delay_alu instid0(VALU_DEP_1) | instskip(SKIP_1) | instid1(VALU_DEP_2)
	v_mad_u64_u32 v[9:10], null, v5, s2, v[2:3]
	v_mad_u64_u32 v[1:2], null, v5, s3, v[6:7]
	v_mov_b32_e32 v2, v9
	s_delay_alu instid0(VALU_DEP_2)
	v_mov_b32_e32 v6, v1
.LBB481_1103:
	v_cmp_ne_u32_e32 vcc_lo, 1, v0
	v_add_nc_u32_e32 v4, 0x100, v4
	s_cbranch_vccnz .LBB481_1109
; %bb.1104:
	v_mov_b32_e32 v1, 0
	s_waitcnt vmcnt(0)
	v_mov_b32_e32 v5, 0
	s_cmp_lg_u32 s24, 0
	s_mov_b32 s6, 0
	s_cbranch_scc0 .LBB481_1113
; %bb.1105:
	s_min_u32 s7, s25, 15
	v_mov_b32_e32 v1, 0
	s_add_i32 s7, s7, 1
	s_cmp_eq_u32 s25, 2
	s_mov_b32 s10, 0
	s_cbranch_scc1 .LBB481_1110
; %bb.1106:
	v_mov_b32_e32 v5, 0
	v_mov_b32_e32 v1, 0
	;; [unrolled: 1-line block ×3, first 2 shown]
	s_add_u32 s2, s16, 0xc4
	s_addc_u32 s3, s17, 0
	s_and_b32 s10, s7, 28
	s_mov_b32 s11, 0
	s_mov_b64 s[4:5], s[16:17]
.LBB481_1107:                           ; =>This Inner Loop Header: Depth=1
	s_clause 0x1
	s_load_b256 s[36:43], s[4:5], 0x4
	s_load_b128 s[12:15], s[4:5], 0x24
	s_load_b256 s[44:51], s[2:3], 0x0
	s_add_u32 s4, s4, 48
	s_addc_u32 s5, s5, 0
	s_add_i32 s11, s11, 4
	s_add_u32 s2, s2, 32
	s_addc_u32 s3, s3, 0
	s_cmp_lg_u32 s10, s11
	s_waitcnt lgkmcnt(0)
	v_mul_hi_u32 v10, s37, v9
	s_delay_alu instid0(VALU_DEP_1) | instskip(NEXT) | instid1(VALU_DEP_1)
	v_add_nc_u32_e32 v10, v9, v10
	v_lshrrev_b32_e32 v10, s38, v10
	s_delay_alu instid0(VALU_DEP_1) | instskip(SKIP_1) | instid1(VALU_DEP_2)
	v_mul_hi_u32 v11, s40, v10
	v_mul_lo_u32 v13, v10, s36
	v_add_nc_u32_e32 v11, v10, v11
	s_delay_alu instid0(VALU_DEP_2) | instskip(NEXT) | instid1(VALU_DEP_2)
	v_sub_nc_u32_e32 v9, v9, v13
	v_lshrrev_b32_e32 v11, s41, v11
	s_delay_alu instid0(VALU_DEP_2) | instskip(SKIP_1) | instid1(VALU_DEP_3)
	v_mul_lo_u32 v13, v9, s44
	v_mul_lo_u32 v15, v9, s45
	v_mul_hi_u32 v12, s43, v11
	s_delay_alu instid0(VALU_DEP_1) | instskip(NEXT) | instid1(VALU_DEP_1)
	v_add_nc_u32_e32 v12, v11, v12
	v_lshrrev_b32_e32 v12, s12, v12
	s_delay_alu instid0(VALU_DEP_1) | instskip(SKIP_1) | instid1(VALU_DEP_2)
	v_mul_hi_u32 v14, s14, v12
	v_mul_lo_u32 v16, v12, s42
	v_add_nc_u32_e32 v9, v12, v14
	v_mul_lo_u32 v14, v11, s39
	s_delay_alu instid0(VALU_DEP_3) | instskip(NEXT) | instid1(VALU_DEP_3)
	v_sub_nc_u32_e32 v11, v11, v16
	v_lshrrev_b32_e32 v9, s15, v9
	s_delay_alu instid0(VALU_DEP_2) | instskip(SKIP_2) | instid1(VALU_DEP_4)
	v_mul_lo_u32 v16, v11, s48
	v_mul_lo_u32 v11, v11, s49
	v_sub_nc_u32_e32 v10, v10, v14
	v_mul_lo_u32 v17, v9, s13
	s_delay_alu instid0(VALU_DEP_2) | instskip(SKIP_1) | instid1(VALU_DEP_3)
	v_mul_lo_u32 v14, v10, s46
	v_mul_lo_u32 v10, v10, s47
	v_sub_nc_u32_e32 v12, v12, v17
	s_delay_alu instid0(VALU_DEP_3) | instskip(NEXT) | instid1(VALU_DEP_2)
	v_add3_u32 v1, v13, v1, v14
	v_mul_lo_u32 v17, v12, s50
	v_mul_lo_u32 v12, v12, s51
	v_add3_u32 v5, v15, v5, v10
	s_delay_alu instid0(VALU_DEP_3) | instskip(NEXT) | instid1(VALU_DEP_2)
	v_add3_u32 v1, v16, v1, v17
	v_add3_u32 v5, v11, v5, v12
	s_cbranch_scc1 .LBB481_1107
; %bb.1108:
	s_and_b32 s7, s7, 3
	s_delay_alu instid0(SALU_CYCLE_1)
	s_cmp_eq_u32 s7, 0
	s_cbranch_scc0 .LBB481_1111
	s_branch .LBB481_1113
.LBB481_1109:
	s_mov_b32 s6, -1
                                        ; implicit-def: $vgpr1
                                        ; implicit-def: $vgpr5
	s_branch .LBB481_1113
.LBB481_1110:
	v_mov_b32_e32 v9, v4
	v_mov_b32_e32 v5, 0
	s_and_b32 s7, s7, 3
	s_delay_alu instid0(SALU_CYCLE_1)
	s_cmp_eq_u32 s7, 0
	s_cbranch_scc1 .LBB481_1113
.LBB481_1111:
	s_lshl_b32 s2, s10, 3
	s_mul_i32 s4, s10, 12
	s_add_u32 s2, s2, s16
	s_addc_u32 s3, 0, s17
	s_add_u32 s2, s2, 0xc4
	s_addc_u32 s3, s3, 0
	;; [unrolled: 2-line block ×3, first 2 shown]
	.p2align	6
.LBB481_1112:                           ; =>This Inner Loop Header: Depth=1
	s_clause 0x1
	s_load_b64 s[10:11], s[4:5], 0x4
	s_load_b32 s14, s[4:5], 0xc
	s_load_b64 s[12:13], s[2:3], 0x0
	s_add_u32 s4, s4, 12
	s_addc_u32 s5, s5, 0
	s_add_u32 s2, s2, 8
	s_addc_u32 s3, s3, 0
	s_add_i32 s7, s7, -1
	s_delay_alu instid0(SALU_CYCLE_1) | instskip(SKIP_2) | instid1(VALU_DEP_1)
	s_cmp_lg_u32 s7, 0
	s_waitcnt lgkmcnt(0)
	v_mul_hi_u32 v10, s11, v9
	v_add_nc_u32_e32 v10, v9, v10
	s_delay_alu instid0(VALU_DEP_1) | instskip(NEXT) | instid1(VALU_DEP_1)
	v_lshrrev_b32_e32 v13, s14, v10
	v_mul_lo_u32 v10, v13, s10
	s_delay_alu instid0(VALU_DEP_1) | instskip(NEXT) | instid1(VALU_DEP_1)
	v_sub_nc_u32_e32 v9, v9, v10
	v_mad_u64_u32 v[10:11], null, v9, s12, v[1:2]
	v_mad_u64_u32 v[11:12], null, v9, s13, v[5:6]
	v_mov_b32_e32 v9, v13
	s_delay_alu instid0(VALU_DEP_3) | instskip(NEXT) | instid1(VALU_DEP_3)
	v_mov_b32_e32 v1, v10
	v_mov_b32_e32 v5, v11
	s_cbranch_scc1 .LBB481_1112
.LBB481_1113:
	s_and_not1_b32 vcc_lo, exec_lo, s6
	s_cbranch_vccnz .LBB481_1116
; %bb.1114:
	s_clause 0x1
	s_load_b128 s[4:7], s[16:17], 0x4
	s_load_b64 s[2:3], s[16:17], 0xc4
	s_cmp_lt_u32 s24, 2
	s_waitcnt lgkmcnt(0)
	v_mul_hi_u32 v1, s5, v4
	s_delay_alu instid0(VALU_DEP_1) | instskip(NEXT) | instid1(VALU_DEP_1)
	v_add_nc_u32_e32 v1, v4, v1
	v_lshrrev_b32_e32 v9, s6, v1
	s_delay_alu instid0(VALU_DEP_1) | instskip(NEXT) | instid1(VALU_DEP_1)
	v_mul_lo_u32 v1, v9, s4
	v_sub_nc_u32_e32 v4, v4, v1
	s_delay_alu instid0(VALU_DEP_1)
	v_mul_lo_u32 v1, v4, s2
	s_waitcnt vmcnt(0)
	v_mul_lo_u32 v5, v4, s3
	s_cbranch_scc1 .LBB481_1116
; %bb.1115:
	s_clause 0x1
	s_load_b128 s[4:7], s[16:17], 0x10
	s_load_b64 s[2:3], s[16:17], 0xcc
	s_waitcnt lgkmcnt(0)
	v_mul_hi_u32 v4, s5, v9
	s_delay_alu instid0(VALU_DEP_1) | instskip(NEXT) | instid1(VALU_DEP_1)
	v_add_nc_u32_e32 v4, v9, v4
	v_lshrrev_b32_e32 v4, s6, v4
	s_delay_alu instid0(VALU_DEP_1) | instskip(NEXT) | instid1(VALU_DEP_1)
	v_mul_lo_u32 v4, v4, s4
	v_sub_nc_u32_e32 v4, v9, v4
	s_delay_alu instid0(VALU_DEP_1) | instskip(SKIP_1) | instid1(VALU_DEP_2)
	v_mad_u64_u32 v[9:10], null, v4, s2, v[1:2]
	v_mad_u64_u32 v[10:11], null, v4, s3, v[5:6]
	v_mov_b32_e32 v1, v9
	s_delay_alu instid0(VALU_DEP_2)
	v_mov_b32_e32 v5, v10
.LBB481_1116:
	v_cmp_ne_u32_e32 vcc_lo, 1, v0
	s_cbranch_vccnz .LBB481_1122
; %bb.1117:
	v_mov_b32_e32 v0, 0
	v_mov_b32_e32 v4, 0
	s_cmp_lg_u32 s24, 0
	s_mov_b32 s6, 0
	s_cbranch_scc0 .LBB481_1126
; %bb.1118:
	s_min_u32 s7, s25, 15
	v_mov_b32_e32 v0, 0
	s_add_i32 s7, s7, 1
	s_cmp_eq_u32 s25, 2
	s_mov_b32 s10, 0
	s_cbranch_scc1 .LBB481_1123
; %bb.1119:
	v_dual_mov_b32 v4, 0 :: v_dual_mov_b32 v9, v8
	v_mov_b32_e32 v0, 0
	s_add_u32 s2, s16, 0xc4
	s_addc_u32 s3, s17, 0
	s_and_b32 s10, s7, 28
	s_mov_b32 s11, 0
	s_mov_b64 s[4:5], s[16:17]
.LBB481_1120:                           ; =>This Inner Loop Header: Depth=1
	s_clause 0x1
	s_load_b256 s[36:43], s[4:5], 0x4
	s_load_b128 s[12:15], s[4:5], 0x24
	s_load_b256 s[44:51], s[2:3], 0x0
	s_add_u32 s4, s4, 48
	s_addc_u32 s5, s5, 0
	s_add_i32 s11, s11, 4
	s_add_u32 s2, s2, 32
	s_addc_u32 s3, s3, 0
	s_cmp_lg_u32 s10, s11
	s_waitcnt lgkmcnt(0)
	v_mul_hi_u32 v10, s37, v9
	s_delay_alu instid0(VALU_DEP_1) | instskip(NEXT) | instid1(VALU_DEP_1)
	v_add_nc_u32_e32 v10, v9, v10
	v_lshrrev_b32_e32 v10, s38, v10
	s_delay_alu instid0(VALU_DEP_1) | instskip(SKIP_1) | instid1(VALU_DEP_2)
	v_mul_hi_u32 v11, s40, v10
	v_mul_lo_u32 v13, v10, s36
	v_add_nc_u32_e32 v11, v10, v11
	s_delay_alu instid0(VALU_DEP_2) | instskip(NEXT) | instid1(VALU_DEP_2)
	v_sub_nc_u32_e32 v9, v9, v13
	v_lshrrev_b32_e32 v11, s41, v11
	s_delay_alu instid0(VALU_DEP_2) | instskip(SKIP_1) | instid1(VALU_DEP_3)
	v_mul_lo_u32 v13, v9, s44
	v_mul_lo_u32 v15, v9, s45
	v_mul_hi_u32 v12, s43, v11
	s_delay_alu instid0(VALU_DEP_1) | instskip(NEXT) | instid1(VALU_DEP_1)
	v_add_nc_u32_e32 v12, v11, v12
	v_lshrrev_b32_e32 v12, s12, v12
	s_delay_alu instid0(VALU_DEP_1) | instskip(SKIP_1) | instid1(VALU_DEP_2)
	v_mul_hi_u32 v14, s14, v12
	v_mul_lo_u32 v16, v12, s42
	v_add_nc_u32_e32 v9, v12, v14
	v_mul_lo_u32 v14, v11, s39
	s_delay_alu instid0(VALU_DEP_3) | instskip(NEXT) | instid1(VALU_DEP_3)
	v_sub_nc_u32_e32 v11, v11, v16
	v_lshrrev_b32_e32 v9, s15, v9
	s_delay_alu instid0(VALU_DEP_2) | instskip(SKIP_2) | instid1(VALU_DEP_4)
	v_mul_lo_u32 v16, v11, s48
	v_mul_lo_u32 v11, v11, s49
	v_sub_nc_u32_e32 v10, v10, v14
	v_mul_lo_u32 v17, v9, s13
	s_delay_alu instid0(VALU_DEP_2) | instskip(SKIP_1) | instid1(VALU_DEP_3)
	v_mul_lo_u32 v14, v10, s46
	v_mul_lo_u32 v10, v10, s47
	v_sub_nc_u32_e32 v12, v12, v17
	s_delay_alu instid0(VALU_DEP_3) | instskip(NEXT) | instid1(VALU_DEP_2)
	v_add3_u32 v0, v13, v0, v14
	v_mul_lo_u32 v17, v12, s50
	v_mul_lo_u32 v12, v12, s51
	v_add3_u32 v4, v15, v4, v10
	s_delay_alu instid0(VALU_DEP_3) | instskip(NEXT) | instid1(VALU_DEP_2)
	v_add3_u32 v0, v16, v0, v17
	v_add3_u32 v4, v11, v4, v12
	s_cbranch_scc1 .LBB481_1120
; %bb.1121:
	s_and_b32 s7, s7, 3
	s_delay_alu instid0(SALU_CYCLE_1)
	s_cmp_eq_u32 s7, 0
	s_cbranch_scc0 .LBB481_1124
	s_branch .LBB481_1126
.LBB481_1122:
	s_mov_b32 s6, -1
                                        ; implicit-def: $vgpr0
                                        ; implicit-def: $vgpr4
	s_branch .LBB481_1126
.LBB481_1123:
	v_dual_mov_b32 v9, v8 :: v_dual_mov_b32 v4, 0
	s_and_b32 s7, s7, 3
	s_delay_alu instid0(SALU_CYCLE_1)
	s_cmp_eq_u32 s7, 0
	s_cbranch_scc1 .LBB481_1126
.LBB481_1124:
	s_lshl_b32 s2, s10, 3
	s_mul_i32 s4, s10, 12
	s_add_u32 s2, s2, s16
	s_addc_u32 s3, 0, s17
	s_add_u32 s2, s2, 0xc4
	s_addc_u32 s3, s3, 0
	;; [unrolled: 2-line block ×3, first 2 shown]
	.p2align	6
.LBB481_1125:                           ; =>This Inner Loop Header: Depth=1
	s_clause 0x1
	s_load_b64 s[10:11], s[4:5], 0x4
	s_load_b32 s14, s[4:5], 0xc
	s_load_b64 s[12:13], s[2:3], 0x0
	s_add_u32 s4, s4, 12
	s_addc_u32 s5, s5, 0
	s_add_u32 s2, s2, 8
	s_addc_u32 s3, s3, 0
	s_add_i32 s7, s7, -1
	s_delay_alu instid0(SALU_CYCLE_1) | instskip(SKIP_2) | instid1(VALU_DEP_1)
	s_cmp_lg_u32 s7, 0
	s_waitcnt lgkmcnt(0)
	v_mul_hi_u32 v10, s11, v9
	v_add_nc_u32_e32 v10, v9, v10
	s_delay_alu instid0(VALU_DEP_1) | instskip(NEXT) | instid1(VALU_DEP_1)
	v_lshrrev_b32_e32 v13, s14, v10
	v_mul_lo_u32 v10, v13, s10
	s_delay_alu instid0(VALU_DEP_1) | instskip(NEXT) | instid1(VALU_DEP_1)
	v_sub_nc_u32_e32 v9, v9, v10
	v_mad_u64_u32 v[10:11], null, v9, s12, v[0:1]
	s_waitcnt vmcnt(0)
	v_mad_u64_u32 v[11:12], null, v9, s13, v[4:5]
	s_delay_alu instid0(VALU_DEP_2) | instskip(NEXT) | instid1(VALU_DEP_2)
	v_dual_mov_b32 v9, v13 :: v_dual_mov_b32 v0, v10
	v_mov_b32_e32 v4, v11
	s_cbranch_scc1 .LBB481_1125
.LBB481_1126:
	s_and_not1_b32 vcc_lo, exec_lo, s6
	s_cbranch_vccnz .LBB481_1129
; %bb.1127:
	s_clause 0x1
	s_load_b128 s[4:7], s[16:17], 0x4
	s_load_b64 s[2:3], s[16:17], 0xc4
	s_cmp_lt_u32 s24, 2
	s_waitcnt lgkmcnt(0)
	v_mul_hi_u32 v0, s5, v8
	s_delay_alu instid0(VALU_DEP_1) | instskip(NEXT) | instid1(VALU_DEP_1)
	v_add_nc_u32_e32 v0, v8, v0
	v_lshrrev_b32_e32 v9, s6, v0
	s_delay_alu instid0(VALU_DEP_1) | instskip(NEXT) | instid1(VALU_DEP_1)
	v_mul_lo_u32 v0, v9, s4
	v_sub_nc_u32_e32 v4, v8, v0
	s_delay_alu instid0(VALU_DEP_1)
	v_mul_lo_u32 v0, v4, s2
	v_mul_lo_u32 v4, v4, s3
	s_cbranch_scc1 .LBB481_1129
; %bb.1128:
	s_clause 0x1
	s_load_b128 s[4:7], s[16:17], 0x10
	s_load_b64 s[2:3], s[16:17], 0xcc
	s_waitcnt lgkmcnt(0)
	v_mul_hi_u32 v8, s5, v9
	s_delay_alu instid0(VALU_DEP_1) | instskip(NEXT) | instid1(VALU_DEP_1)
	v_add_nc_u32_e32 v8, v9, v8
	v_lshrrev_b32_e32 v8, s6, v8
	s_delay_alu instid0(VALU_DEP_1) | instskip(NEXT) | instid1(VALU_DEP_1)
	v_mul_lo_u32 v8, v8, s4
	v_sub_nc_u32_e32 v11, v9, v8
	s_delay_alu instid0(VALU_DEP_1) | instskip(SKIP_2) | instid1(VALU_DEP_2)
	v_mad_u64_u32 v[8:9], null, v11, s2, v[0:1]
	s_waitcnt vmcnt(0)
	v_mad_u64_u32 v[9:10], null, v11, s3, v[4:5]
	v_mov_b32_e32 v0, v8
	s_delay_alu instid0(VALU_DEP_2)
	v_mov_b32_e32 v4, v9
.LBB481_1129:
	s_clause 0x1
	s_load_b32 s0, s[0:1], 0x160
	s_load_b128 s[4:7], s[16:17], 0x148
	s_mov_b32 s10, 0
	s_waitcnt lgkmcnt(0)
	s_lshr_b32 s1, s0, 24
	v_add_co_u32 v7, s3, s6, v7
	v_cmp_lt_i16_e64 s2, s1, 11
	v_add_co_ci_u32_e64 v8, null, s7, 0, s3
	s_delay_alu instid0(VALU_DEP_2)
	s_and_b32 vcc_lo, exec_lo, s2
	s_cbranch_vccnz .LBB481_1136
; %bb.1130:
	v_cmp_gt_i16_e64 s2, s1, 25
	s_mov_b32 s3, 0
	s_delay_alu instid0(VALU_DEP_1)
	s_and_b32 vcc_lo, exec_lo, s2
	s_cbranch_vccz .LBB481_1142
; %bb.1131:
	v_cmp_gt_i16_e64 s2, s1, 28
	s_delay_alu instid0(VALU_DEP_1)
	s_and_b32 vcc_lo, exec_lo, s2
	s_cbranch_vccz .LBB481_1144
; %bb.1132:
	v_cmp_gt_i16_e64 s2, s1, 43
	;; [unrolled: 5-line block ×3, first 2 shown]
	s_delay_alu instid0(VALU_DEP_1)
	s_and_b32 vcc_lo, exec_lo, s2
	s_cbranch_vccz .LBB481_1150
; %bb.1134:
	v_cmp_eq_u16_e64 s2, s1, 46
	s_mov_b32 s11, 0
	s_delay_alu instid0(VALU_DEP_1)
	s_and_b32 vcc_lo, exec_lo, s2
	s_cbranch_vccz .LBB481_1192
; %bb.1135:
	global_load_b32 v9, v[7:8], off
	s_mov_b32 s2, 0
	s_mov_b32 s10, -1
	s_waitcnt vmcnt(0)
	v_lshlrev_b32_e32 v9, 16, v9
	s_delay_alu instid0(VALU_DEP_1)
	v_cvt_f16_f32_e32 v9, v9
	s_branch .LBB481_1194
.LBB481_1136:
	s_mov_b32 s2, s8
                                        ; implicit-def: $vgpr9
	s_cbranch_execz .LBB481_1257
; %bb.1137:
	v_cmp_lt_i16_e64 s3, s1, 5
	s_delay_alu instid0(VALU_DEP_1)
	s_and_b32 vcc_lo, exec_lo, s3
	s_cbranch_vccnz .LBB481_1143
; %bb.1138:
	v_cmp_lt_i16_e64 s3, s1, 8
	s_delay_alu instid0(VALU_DEP_1)
	s_and_b32 vcc_lo, exec_lo, s3
	s_cbranch_vccnz .LBB481_1145
	;; [unrolled: 5-line block ×3, first 2 shown]
; %bb.1140:
	v_cmp_gt_i16_e64 s3, s1, 9
	s_delay_alu instid0(VALU_DEP_1)
	s_and_b32 vcc_lo, exec_lo, s3
	s_cbranch_vccz .LBB481_1151
; %bb.1141:
	global_load_b64 v[9:10], v[7:8], off
	s_mov_b32 s3, 0
	s_waitcnt vmcnt(0)
	v_cvt_f32_f64_e32 v9, v[9:10]
	s_delay_alu instid0(VALU_DEP_1)
	v_cvt_f16_f32_e32 v9, v9
	s_branch .LBB481_1152
.LBB481_1142:
	s_mov_b32 s2, 0
                                        ; implicit-def: $vgpr9
	s_cbranch_execnz .LBB481_1222
	s_branch .LBB481_1253
.LBB481_1143:
                                        ; implicit-def: $vgpr9
	s_branch .LBB481_1169
.LBB481_1144:
	s_mov_b32 s11, -1
	s_mov_b32 s2, 0
                                        ; implicit-def: $vgpr9
	s_branch .LBB481_1203
.LBB481_1145:
                                        ; implicit-def: $vgpr9
	s_branch .LBB481_1158
.LBB481_1146:
	s_mov_b32 s2, 0
                                        ; implicit-def: $vgpr9
	s_cbranch_execnz .LBB481_1199
	s_branch .LBB481_1202
.LBB481_1147:
	s_mov_b32 s3, -1
                                        ; implicit-def: $vgpr9
	s_branch .LBB481_1155
.LBB481_1148:
	s_cbranch_execnz .LBB481_1190
; %bb.1149:
	s_or_b32 s3, s3, exec_lo
	s_and_not1_b32 s8, s8, exec_lo
	s_or_b32 exec_lo, exec_lo, s2
	s_and_saveexec_b32 s2, s8
	s_delay_alu instid0(SALU_CYCLE_1)
	s_xor_b32 s2, exec_lo, s2
	s_cbranch_execnz .LBB481_1036
	s_branch .LBB481_1037
.LBB481_1150:
	s_mov_b32 s11, -1
	s_mov_b32 s2, 0
	s_branch .LBB481_1193
.LBB481_1151:
	s_mov_b32 s3, -1
                                        ; implicit-def: $vgpr9
.LBB481_1152:
	s_delay_alu instid0(SALU_CYCLE_1)
	s_and_not1_b32 vcc_lo, exec_lo, s3
	s_cbranch_vccnz .LBB481_1154
; %bb.1153:
	global_load_b32 v9, v[7:8], off
	s_waitcnt vmcnt(0)
	v_cvt_f16_f32_e32 v9, v9
.LBB481_1154:
	s_mov_b32 s3, 0
.LBB481_1155:
	s_delay_alu instid0(SALU_CYCLE_1)
	s_and_not1_b32 vcc_lo, exec_lo, s3
	s_cbranch_vccnz .LBB481_1157
; %bb.1156:
	global_load_b32 v9, v[7:8], off
.LBB481_1157:
	s_cbranch_execnz .LBB481_1168
.LBB481_1158:
	v_cmp_lt_i16_e64 s3, s1, 6
	s_delay_alu instid0(VALU_DEP_1)
	s_and_b32 vcc_lo, exec_lo, s3
	s_cbranch_vccnz .LBB481_1161
; %bb.1159:
	v_cmp_gt_i16_e64 s3, s1, 6
	s_delay_alu instid0(VALU_DEP_1)
	s_and_b32 vcc_lo, exec_lo, s3
	s_cbranch_vccz .LBB481_1162
; %bb.1160:
	global_load_b64 v[9:10], v[7:8], off
	s_mov_b32 s3, 0
	s_waitcnt vmcnt(0)
	v_cvt_f32_f64_e32 v9, v[9:10]
	s_delay_alu instid0(VALU_DEP_1)
	v_cvt_f16_f32_e32 v9, v9
	s_branch .LBB481_1163
.LBB481_1161:
	s_mov_b32 s3, -1
                                        ; implicit-def: $vgpr9
	s_branch .LBB481_1166
.LBB481_1162:
	s_mov_b32 s3, -1
                                        ; implicit-def: $vgpr9
.LBB481_1163:
	s_delay_alu instid0(SALU_CYCLE_1)
	s_and_not1_b32 vcc_lo, exec_lo, s3
	s_cbranch_vccnz .LBB481_1165
; %bb.1164:
	global_load_b32 v9, v[7:8], off
	s_waitcnt vmcnt(0)
	v_cvt_f16_f32_e32 v9, v9
.LBB481_1165:
	s_mov_b32 s3, 0
.LBB481_1166:
	s_delay_alu instid0(SALU_CYCLE_1)
	s_and_not1_b32 vcc_lo, exec_lo, s3
	s_cbranch_vccnz .LBB481_1168
; %bb.1167:
	global_load_u16 v9, v[7:8], off
.LBB481_1168:
	s_cbranch_execnz .LBB481_1187
.LBB481_1169:
	v_cmp_lt_i16_e64 s3, s1, 2
	s_delay_alu instid0(VALU_DEP_1)
	s_and_b32 vcc_lo, exec_lo, s3
	s_cbranch_vccnz .LBB481_1173
; %bb.1170:
	v_cmp_lt_i16_e64 s3, s1, 3
	s_delay_alu instid0(VALU_DEP_1)
	s_and_b32 vcc_lo, exec_lo, s3
	s_cbranch_vccnz .LBB481_1174
; %bb.1171:
	v_cmp_gt_i16_e64 s3, s1, 3
	s_delay_alu instid0(VALU_DEP_1)
	s_and_b32 vcc_lo, exec_lo, s3
	s_cbranch_vccz .LBB481_1175
; %bb.1172:
	global_load_b64 v[9:10], v[7:8], off
	s_mov_b32 s3, 0
	s_waitcnt vmcnt(0)
	v_xor_b32_e32 v11, v9, v10
	v_cls_i32_e32 v12, v10
	s_delay_alu instid0(VALU_DEP_2) | instskip(NEXT) | instid1(VALU_DEP_2)
	v_ashrrev_i32_e32 v11, 31, v11
	v_add_nc_u32_e32 v12, -1, v12
	s_delay_alu instid0(VALU_DEP_2) | instskip(NEXT) | instid1(VALU_DEP_1)
	v_add_nc_u32_e32 v11, 32, v11
	v_min_u32_e32 v11, v12, v11
	s_delay_alu instid0(VALU_DEP_1) | instskip(NEXT) | instid1(VALU_DEP_1)
	v_lshlrev_b64 v[9:10], v11, v[9:10]
	v_min_u32_e32 v9, 1, v9
	s_delay_alu instid0(VALU_DEP_1) | instskip(SKIP_1) | instid1(VALU_DEP_2)
	v_or_b32_e32 v9, v10, v9
	v_sub_nc_u32_e32 v10, 32, v11
	v_cvt_f32_i32_e32 v9, v9
	s_delay_alu instid0(VALU_DEP_1) | instskip(NEXT) | instid1(VALU_DEP_1)
	v_ldexp_f32 v9, v9, v10
	v_cvt_f16_f32_e32 v9, v9
	s_branch .LBB481_1176
.LBB481_1173:
                                        ; implicit-def: $vgpr9
	s_branch .LBB481_1182
.LBB481_1174:
	s_mov_b32 s3, -1
                                        ; implicit-def: $vgpr9
	s_branch .LBB481_1179
.LBB481_1175:
	s_mov_b32 s3, -1
                                        ; implicit-def: $vgpr9
.LBB481_1176:
	s_delay_alu instid0(SALU_CYCLE_1)
	s_and_not1_b32 vcc_lo, exec_lo, s3
	s_cbranch_vccnz .LBB481_1178
; %bb.1177:
	global_load_b32 v9, v[7:8], off
	s_waitcnt vmcnt(0)
	v_cvt_f32_i32_e32 v9, v9
	s_delay_alu instid0(VALU_DEP_1)
	v_cvt_f16_f32_e32 v9, v9
.LBB481_1178:
	s_mov_b32 s3, 0
.LBB481_1179:
	s_delay_alu instid0(SALU_CYCLE_1)
	s_and_not1_b32 vcc_lo, exec_lo, s3
	s_cbranch_vccnz .LBB481_1181
; %bb.1180:
	global_load_u16 v9, v[7:8], off
	s_waitcnt vmcnt(0)
	v_cvt_f16_i16_e32 v9, v9
.LBB481_1181:
	s_cbranch_execnz .LBB481_1187
.LBB481_1182:
	v_cmp_gt_i16_e64 s3, s1, 0
	s_delay_alu instid0(VALU_DEP_1)
	s_and_b32 vcc_lo, exec_lo, s3
	s_mov_b32 s3, 0
	s_cbranch_vccz .LBB481_1184
; %bb.1183:
	global_load_i8 v9, v[7:8], off
	s_waitcnt vmcnt(0)
	v_cvt_f16_i16_e32 v9, v9
	s_branch .LBB481_1185
.LBB481_1184:
	s_mov_b32 s3, -1
                                        ; implicit-def: $vgpr9
.LBB481_1185:
	s_delay_alu instid0(SALU_CYCLE_1)
	s_and_not1_b32 vcc_lo, exec_lo, s3
	s_cbranch_vccnz .LBB481_1187
; %bb.1186:
	global_load_u8 v7, v[7:8], off
	s_waitcnt vmcnt(0)
	v_cvt_f16_u16_e32 v9, v7
.LBB481_1187:
	s_branch .LBB481_1258
.LBB481_1188:
	s_trap 2
	s_sendmsg_rtn_b32 s0, sendmsg(MSG_RTN_GET_DOORBELL)
	s_mov_b32 ttmp2, m0
	s_waitcnt lgkmcnt(0)
	s_and_b32 s0, s0, 0x3ff
	s_delay_alu instid0(SALU_CYCLE_1) | instskip(NEXT) | instid1(SALU_CYCLE_1)
	s_bitset1_b32 s0, 10
	s_mov_b32 m0, s0
	s_sendmsg sendmsg(MSG_INTERRUPT)
	s_mov_b32 m0, ttmp2
.LBB481_1189:                           ; =>This Inner Loop Header: Depth=1
	s_sethalt 5
	s_branch .LBB481_1189
.LBB481_1190:
	s_trap 2
	s_sendmsg_rtn_b32 s0, sendmsg(MSG_RTN_GET_DOORBELL)
	s_mov_b32 ttmp2, m0
	s_waitcnt lgkmcnt(0)
	s_and_b32 s0, s0, 0x3ff
	s_delay_alu instid0(SALU_CYCLE_1) | instskip(NEXT) | instid1(SALU_CYCLE_1)
	s_bitset1_b32 s0, 10
	s_mov_b32 m0, s0
	s_sendmsg sendmsg(MSG_INTERRUPT)
	s_mov_b32 m0, ttmp2
.LBB481_1191:                           ; =>This Inner Loop Header: Depth=1
	s_sethalt 5
	s_branch .LBB481_1191
.LBB481_1192:
	s_mov_b32 s2, -1
.LBB481_1193:
                                        ; implicit-def: $vgpr9
.LBB481_1194:
	s_and_b32 vcc_lo, exec_lo, s11
	s_cbranch_vccz .LBB481_1197
; %bb.1195:
	v_cmp_eq_u16_e64 s2, s1, 44
	s_delay_alu instid0(VALU_DEP_1)
	s_and_b32 vcc_lo, exec_lo, s2
	s_cbranch_vccz .LBB481_1198
; %bb.1196:
	global_load_u8 v9, v[7:8], off
	s_mov_b32 s2, 0
	s_mov_b32 s10, -1
	s_waitcnt vmcnt(0)
	v_lshlrev_b32_e32 v10, 23, v9
	v_cmp_ne_u32_e32 vcc_lo, 0xff, v9
	s_delay_alu instid0(VALU_DEP_2) | instskip(NEXT) | instid1(VALU_DEP_1)
	v_cvt_f16_f32_e32 v10, v10
	v_cndmask_b32_e32 v10, 0x7e00, v10, vcc_lo
	v_cmp_ne_u32_e32 vcc_lo, 0, v9
	s_delay_alu instid0(VALU_DEP_2)
	v_cndmask_b32_e32 v9, 0, v10, vcc_lo
.LBB481_1197:
	s_branch .LBB481_1202
.LBB481_1198:
	s_mov_b32 s2, -1
                                        ; implicit-def: $vgpr9
	s_branch .LBB481_1202
.LBB481_1199:
	v_cmp_eq_u16_e64 s2, s1, 29
	s_delay_alu instid0(VALU_DEP_1)
	s_and_b32 vcc_lo, exec_lo, s2
	s_cbranch_vccz .LBB481_1201
; %bb.1200:
	global_load_b64 v[9:10], v[7:8], off
	s_mov_b32 s2, 0
	s_mov_b32 s10, -1
	s_mov_b32 s11, 0
	s_waitcnt vmcnt(0)
	v_clz_i32_u32_e32 v11, v10
	s_delay_alu instid0(VALU_DEP_1) | instskip(NEXT) | instid1(VALU_DEP_1)
	v_min_u32_e32 v11, 32, v11
	v_lshlrev_b64 v[9:10], v11, v[9:10]
	s_delay_alu instid0(VALU_DEP_1) | instskip(NEXT) | instid1(VALU_DEP_1)
	v_min_u32_e32 v9, 1, v9
	v_or_b32_e32 v9, v10, v9
	v_sub_nc_u32_e32 v10, 32, v11
	s_delay_alu instid0(VALU_DEP_2) | instskip(NEXT) | instid1(VALU_DEP_1)
	v_cvt_f32_u32_e32 v9, v9
	v_ldexp_f32 v9, v9, v10
	s_delay_alu instid0(VALU_DEP_1)
	v_cvt_f16_f32_e32 v9, v9
	s_branch .LBB481_1203
.LBB481_1201:
	s_mov_b32 s2, -1
                                        ; implicit-def: $vgpr9
.LBB481_1202:
	s_mov_b32 s11, 0
.LBB481_1203:
	s_delay_alu instid0(SALU_CYCLE_1)
	s_and_b32 vcc_lo, exec_lo, s11
	s_cbranch_vccz .LBB481_1221
; %bb.1204:
	v_cmp_lt_i16_e64 s10, s1, 27
	s_delay_alu instid0(VALU_DEP_1)
	s_and_b32 vcc_lo, exec_lo, s10
	s_cbranch_vccnz .LBB481_1207
; %bb.1205:
	v_cmp_gt_i16_e64 s10, s1, 27
	s_delay_alu instid0(VALU_DEP_1)
	s_and_b32 vcc_lo, exec_lo, s10
	s_cbranch_vccz .LBB481_1208
; %bb.1206:
	global_load_b32 v9, v[7:8], off
	s_mov_b32 s10, 0
	s_waitcnt vmcnt(0)
	v_cvt_f32_u32_e32 v9, v9
	s_delay_alu instid0(VALU_DEP_1)
	v_cvt_f16_f32_e32 v9, v9
	s_branch .LBB481_1209
.LBB481_1207:
	s_mov_b32 s10, -1
                                        ; implicit-def: $vgpr9
	s_branch .LBB481_1212
.LBB481_1208:
	s_mov_b32 s10, -1
                                        ; implicit-def: $vgpr9
.LBB481_1209:
	s_delay_alu instid0(SALU_CYCLE_1)
	s_and_not1_b32 vcc_lo, exec_lo, s10
	s_cbranch_vccnz .LBB481_1211
; %bb.1210:
	global_load_u16 v9, v[7:8], off
	s_waitcnt vmcnt(0)
	v_cvt_f16_u16_e32 v9, v9
.LBB481_1211:
	s_mov_b32 s10, 0
.LBB481_1212:
	s_delay_alu instid0(SALU_CYCLE_1)
	s_and_not1_b32 vcc_lo, exec_lo, s10
	s_cbranch_vccnz .LBB481_1220
; %bb.1213:
	global_load_u8 v10, v[7:8], off
	s_mov_b32 s10, 0
	s_mov_b32 s12, exec_lo
                                        ; implicit-def: $sgpr11
	s_waitcnt vmcnt(0)
	v_cmpx_lt_i16_e32 0x7f, v10
	s_xor_b32 s12, exec_lo, s12
	s_cbranch_execz .LBB481_1233
; %bb.1214:
	s_mov_b32 s10, -1
	s_mov_b32 s13, exec_lo
                                        ; implicit-def: $sgpr11
	v_cmpx_eq_u16_e32 0x80, v10
; %bb.1215:
	s_movk_i32 s11, 0x7e00
	s_xor_b32 s10, exec_lo, -1
; %bb.1216:
	s_or_b32 exec_lo, exec_lo, s13
	s_delay_alu instid0(SALU_CYCLE_1)
	s_and_b32 s10, s10, exec_lo
	s_or_saveexec_b32 s12, s12
	v_mov_b32_e32 v9, s11
	s_xor_b32 exec_lo, exec_lo, s12
	s_cbranch_execnz .LBB481_1234
.LBB481_1217:
	s_or_b32 exec_lo, exec_lo, s12
	s_and_saveexec_b32 s11, s10
	s_cbranch_execz .LBB481_1219
.LBB481_1218:
	v_and_b32_e32 v9, 0xffff, v10
	s_delay_alu instid0(VALU_DEP_1) | instskip(NEXT) | instid1(VALU_DEP_1)
	v_and_b32_e32 v11, 7, v9
	v_clz_i32_u32_e32 v12, v11
	s_delay_alu instid0(VALU_DEP_1) | instskip(NEXT) | instid1(VALU_DEP_1)
	v_min_u32_e32 v12, 32, v12
	v_subrev_nc_u32_e32 v13, 28, v12
	v_sub_nc_u32_e32 v12, 29, v12
	s_delay_alu instid0(VALU_DEP_2) | instskip(SKIP_1) | instid1(VALU_DEP_2)
	v_lshlrev_b32_e32 v13, v13, v9
	v_bfe_u32 v9, v9, 3, 4
	v_and_b32_e32 v13, 7, v13
	s_delay_alu instid0(VALU_DEP_2) | instskip(SKIP_1) | instid1(VALU_DEP_1)
	v_cmp_eq_u32_e32 vcc_lo, 0, v9
	v_dual_cndmask_b32 v9, v9, v12 :: v_dual_lshlrev_b32 v10, 24, v10
	v_dual_cndmask_b32 v11, v11, v13 :: v_dual_and_b32 v10, 0x80000000, v10
	s_delay_alu instid0(VALU_DEP_2) | instskip(NEXT) | instid1(VALU_DEP_2)
	v_lshl_add_u32 v9, v9, 23, 0x3b800000
	v_lshlrev_b32_e32 v11, 20, v11
	s_delay_alu instid0(VALU_DEP_1) | instskip(NEXT) | instid1(VALU_DEP_1)
	v_or3_b32 v9, v10, v9, v11
	v_cvt_f16_f32_e32 v9, v9
.LBB481_1219:
	s_or_b32 exec_lo, exec_lo, s11
.LBB481_1220:
	s_mov_b32 s10, -1
.LBB481_1221:
	s_branch .LBB481_1253
.LBB481_1222:
	v_cmp_gt_i16_e64 s3, s1, 22
	s_delay_alu instid0(VALU_DEP_1)
	s_and_b32 vcc_lo, exec_lo, s3
	s_cbranch_vccz .LBB481_1232
; %bb.1223:
	v_cmp_lt_i16_e64 s3, s1, 24
	s_delay_alu instid0(VALU_DEP_1)
	s_and_b32 vcc_lo, exec_lo, s3
	s_cbranch_vccnz .LBB481_1235
; %bb.1224:
	v_cmp_gt_i16_e64 s3, s1, 24
	s_delay_alu instid0(VALU_DEP_1)
	s_and_b32 vcc_lo, exec_lo, s3
	s_cbranch_vccz .LBB481_1236
; %bb.1225:
	global_load_u8 v10, v[7:8], off
	s_mov_b32 s3, 0
	s_mov_b32 s11, exec_lo
                                        ; implicit-def: $sgpr10
	s_waitcnt vmcnt(0)
	v_cmpx_lt_i16_e32 0x7f, v10
	s_xor_b32 s11, exec_lo, s11
	s_cbranch_execz .LBB481_1247
; %bb.1226:
	s_mov_b32 s3, -1
	s_mov_b32 s12, exec_lo
                                        ; implicit-def: $sgpr10
	v_cmpx_eq_u16_e32 0x80, v10
; %bb.1227:
	s_movk_i32 s10, 0x7e00
	s_xor_b32 s3, exec_lo, -1
; %bb.1228:
	s_or_b32 exec_lo, exec_lo, s12
	s_delay_alu instid0(SALU_CYCLE_1)
	s_and_b32 s3, s3, exec_lo
	s_or_saveexec_b32 s11, s11
	v_mov_b32_e32 v9, s10
	s_xor_b32 exec_lo, exec_lo, s11
	s_cbranch_execnz .LBB481_1248
.LBB481_1229:
	s_or_b32 exec_lo, exec_lo, s11
	s_and_saveexec_b32 s10, s3
	s_cbranch_execz .LBB481_1231
.LBB481_1230:
	v_and_b32_e32 v9, 0xffff, v10
	s_delay_alu instid0(VALU_DEP_1) | instskip(NEXT) | instid1(VALU_DEP_1)
	v_and_b32_e32 v11, 3, v9
	v_clz_i32_u32_e32 v12, v11
	s_delay_alu instid0(VALU_DEP_1) | instskip(NEXT) | instid1(VALU_DEP_1)
	v_min_u32_e32 v12, 32, v12
	v_subrev_nc_u32_e32 v13, 29, v12
	v_sub_nc_u32_e32 v12, 30, v12
	s_delay_alu instid0(VALU_DEP_2) | instskip(SKIP_1) | instid1(VALU_DEP_2)
	v_lshlrev_b32_e32 v13, v13, v9
	v_bfe_u32 v9, v9, 2, 5
	v_and_b32_e32 v13, 3, v13
	s_delay_alu instid0(VALU_DEP_2) | instskip(SKIP_1) | instid1(VALU_DEP_1)
	v_cmp_eq_u32_e32 vcc_lo, 0, v9
	v_dual_cndmask_b32 v9, v9, v12 :: v_dual_lshlrev_b32 v10, 24, v10
	v_dual_cndmask_b32 v11, v11, v13 :: v_dual_and_b32 v10, 0x80000000, v10
	s_delay_alu instid0(VALU_DEP_2) | instskip(NEXT) | instid1(VALU_DEP_2)
	v_lshl_add_u32 v9, v9, 23, 0x37800000
	v_lshlrev_b32_e32 v11, 21, v11
	s_delay_alu instid0(VALU_DEP_1) | instskip(NEXT) | instid1(VALU_DEP_1)
	v_or3_b32 v9, v10, v9, v11
	v_cvt_f16_f32_e32 v9, v9
.LBB481_1231:
	s_or_b32 exec_lo, exec_lo, s10
	s_mov_b32 s3, 0
	s_branch .LBB481_1237
.LBB481_1232:
                                        ; implicit-def: $vgpr9
	s_mov_b32 s3, 0
	s_branch .LBB481_1243
.LBB481_1233:
	s_or_saveexec_b32 s12, s12
	v_mov_b32_e32 v9, s11
	s_xor_b32 exec_lo, exec_lo, s12
	s_cbranch_execz .LBB481_1217
.LBB481_1234:
	v_cmp_ne_u16_e32 vcc_lo, 0, v10
	v_mov_b32_e32 v9, v10
	s_and_not1_b32 s10, s10, exec_lo
	s_and_b32 s11, vcc_lo, exec_lo
	s_delay_alu instid0(SALU_CYCLE_1)
	s_or_b32 s10, s10, s11
	s_or_b32 exec_lo, exec_lo, s12
	s_and_saveexec_b32 s11, s10
	s_cbranch_execnz .LBB481_1218
	s_branch .LBB481_1219
.LBB481_1235:
	s_mov_b32 s3, -1
                                        ; implicit-def: $vgpr9
	s_branch .LBB481_1240
.LBB481_1236:
	s_mov_b32 s3, -1
                                        ; implicit-def: $vgpr9
.LBB481_1237:
	s_delay_alu instid0(SALU_CYCLE_1)
	s_and_b32 vcc_lo, exec_lo, s3
	s_cbranch_vccz .LBB481_1239
; %bb.1238:
	global_load_u8 v9, v[7:8], off
	s_waitcnt vmcnt(0)
	v_lshlrev_b32_e32 v9, 24, v9
	s_delay_alu instid0(VALU_DEP_1) | instskip(NEXT) | instid1(VALU_DEP_1)
	v_and_b32_e32 v10, 0x7f000000, v9
	v_clz_i32_u32_e32 v11, v10
	v_add_nc_u32_e32 v13, 0x1000000, v10
	v_cmp_ne_u32_e32 vcc_lo, 0, v10
	s_delay_alu instid0(VALU_DEP_3) | instskip(NEXT) | instid1(VALU_DEP_1)
	v_min_u32_e32 v11, 32, v11
	v_sub_nc_u32_e64 v11, v11, 4 clamp
	s_delay_alu instid0(VALU_DEP_1) | instskip(SKIP_1) | instid1(VALU_DEP_2)
	v_lshlrev_b32_e32 v12, v11, v10
	v_lshlrev_b32_e32 v11, 23, v11
	v_lshrrev_b32_e32 v12, 4, v12
	s_delay_alu instid0(VALU_DEP_1) | instskip(SKIP_1) | instid1(VALU_DEP_2)
	v_sub_nc_u32_e32 v11, v12, v11
	v_ashrrev_i32_e32 v12, 8, v13
	v_add_nc_u32_e32 v11, 0x3c000000, v11
	s_delay_alu instid0(VALU_DEP_1) | instskip(NEXT) | instid1(VALU_DEP_1)
	v_and_or_b32 v11, 0x7f800000, v12, v11
	v_cndmask_b32_e32 v10, 0, v11, vcc_lo
	s_delay_alu instid0(VALU_DEP_1) | instskip(NEXT) | instid1(VALU_DEP_1)
	v_and_or_b32 v9, 0x80000000, v9, v10
	v_cvt_f16_f32_e32 v9, v9
.LBB481_1239:
	s_mov_b32 s3, 0
.LBB481_1240:
	s_delay_alu instid0(SALU_CYCLE_1)
	s_and_not1_b32 vcc_lo, exec_lo, s3
	s_cbranch_vccnz .LBB481_1242
; %bb.1241:
	global_load_u8 v9, v[7:8], off
	s_waitcnt vmcnt(0)
	v_lshlrev_b32_e32 v10, 25, v9
	v_lshlrev_b16 v9, 8, v9
	s_delay_alu instid0(VALU_DEP_2) | instskip(NEXT) | instid1(VALU_DEP_2)
	v_lshrrev_b32_e32 v11, 4, v10
	v_and_or_b32 v12, 0x7f00, v9, 0.5
	v_bfe_i32 v9, v9, 0, 16
	s_delay_alu instid0(VALU_DEP_3) | instskip(NEXT) | instid1(VALU_DEP_1)
	v_or_b32_e32 v11, 0x70000000, v11
	v_dual_add_f32 v12, -0.5, v12 :: v_dual_mul_f32 v11, 0x7800000, v11
	v_cmp_gt_u32_e32 vcc_lo, 0x8000000, v10
	s_delay_alu instid0(VALU_DEP_2) | instskip(NEXT) | instid1(VALU_DEP_1)
	v_cndmask_b32_e32 v10, v11, v12, vcc_lo
	v_and_or_b32 v9, 0x80000000, v9, v10
	s_delay_alu instid0(VALU_DEP_1)
	v_cvt_f16_f32_e32 v9, v9
.LBB481_1242:
	s_mov_b32 s10, -1
	s_mov_b32 s3, 0
	s_cbranch_execnz .LBB481_1253
.LBB481_1243:
	v_cmp_gt_i16_e64 s3, s1, 14
	s_delay_alu instid0(VALU_DEP_1)
	s_and_b32 vcc_lo, exec_lo, s3
	s_cbranch_vccz .LBB481_1246
; %bb.1244:
	v_cmp_eq_u16_e64 s2, s1, 15
	s_delay_alu instid0(VALU_DEP_1)
	s_and_b32 vcc_lo, exec_lo, s2
	s_cbranch_vccz .LBB481_1249
; %bb.1245:
	global_load_u16 v9, v[7:8], off
	s_mov_b32 s2, 0
	s_mov_b32 s10, -1
	s_waitcnt vmcnt(0)
	v_lshlrev_b32_e32 v9, 16, v9
	s_delay_alu instid0(VALU_DEP_1)
	v_cvt_f16_f32_e32 v9, v9
	s_branch .LBB481_1250
.LBB481_1246:
	s_mov_b32 s3, -1
                                        ; implicit-def: $vgpr9
	s_branch .LBB481_1251
.LBB481_1247:
	s_or_saveexec_b32 s11, s11
	v_mov_b32_e32 v9, s10
	s_xor_b32 exec_lo, exec_lo, s11
	s_cbranch_execz .LBB481_1229
.LBB481_1248:
	v_cmp_ne_u16_e32 vcc_lo, 0, v10
	v_mov_b32_e32 v9, v10
	s_and_not1_b32 s3, s3, exec_lo
	s_and_b32 s10, vcc_lo, exec_lo
	s_delay_alu instid0(SALU_CYCLE_1)
	s_or_b32 s3, s3, s10
	s_or_b32 exec_lo, exec_lo, s11
	s_and_saveexec_b32 s10, s3
	s_cbranch_execnz .LBB481_1230
	s_branch .LBB481_1231
.LBB481_1249:
	s_mov_b32 s2, -1
                                        ; implicit-def: $vgpr9
.LBB481_1250:
	s_mov_b32 s3, 0
.LBB481_1251:
	s_delay_alu instid0(SALU_CYCLE_1)
	s_and_b32 vcc_lo, exec_lo, s3
	s_mov_b32 s3, 0
	s_cbranch_vccz .LBB481_1253
; %bb.1252:
	v_cmp_ne_u16_e64 s2, s1, 11
	s_mov_b32 s3, -1
                                        ; implicit-def: $vgpr9
.LBB481_1253:
	s_delay_alu instid0(VALU_DEP_1)
	s_and_b32 vcc_lo, exec_lo, s2
	s_mov_b32 s2, s8
	s_cbranch_vccnz .LBB481_1277
; %bb.1254:
	s_and_not1_b32 vcc_lo, exec_lo, s3
	s_cbranch_vccnz .LBB481_1256
.LBB481_1255:
	global_load_u8 v9, v[7:8], off
	s_mov_b32 s10, -1
	s_waitcnt vmcnt(0)
	v_cmp_ne_u16_e32 vcc_lo, 0, v9
	v_cndmask_b32_e64 v9, 0, 0x3c00, vcc_lo
.LBB481_1256:
.LBB481_1257:
	s_and_not1_b32 vcc_lo, exec_lo, s10
	s_cbranch_vccnz .LBB481_2090
.LBB481_1258:
	v_cmp_lt_i16_e64 s3, s1, 11
	v_add_co_u32 v6, s10, s6, v6
	s_delay_alu instid0(VALU_DEP_1) | instskip(NEXT) | instid1(VALU_DEP_3)
	v_add_co_ci_u32_e64 v7, null, s7, 0, s10
	s_and_b32 vcc_lo, exec_lo, s3
	s_mov_b32 s11, 0
	s_cbranch_vccnz .LBB481_1265
; %bb.1259:
	v_cmp_gt_i16_e64 s3, s1, 25
	s_mov_b32 s10, 0
	s_delay_alu instid0(VALU_DEP_1)
	s_and_b32 vcc_lo, exec_lo, s3
	s_cbranch_vccz .LBB481_1271
; %bb.1260:
	v_cmp_gt_i16_e64 s3, s1, 28
	s_delay_alu instid0(VALU_DEP_1)
	s_and_b32 vcc_lo, exec_lo, s3
	s_cbranch_vccz .LBB481_1273
; %bb.1261:
	v_cmp_gt_i16_e64 s3, s1, 43
	;; [unrolled: 5-line block ×3, first 2 shown]
	s_delay_alu instid0(VALU_DEP_1)
	s_and_b32 vcc_lo, exec_lo, s3
	s_cbranch_vccz .LBB481_1281
; %bb.1263:
	v_cmp_eq_u16_e64 s3, s1, 46
	s_mov_b32 s12, 0
	s_delay_alu instid0(VALU_DEP_1)
	s_and_b32 vcc_lo, exec_lo, s3
	s_cbranch_vccz .LBB481_1325
; %bb.1264:
	global_load_b32 v8, v[6:7], off
	s_mov_b32 s3, 0
	s_mov_b32 s11, -1
	s_waitcnt vmcnt(0)
	v_lshlrev_b32_e32 v8, 16, v8
	s_delay_alu instid0(VALU_DEP_1)
	v_cvt_f16_f32_e32 v8, v8
	s_branch .LBB481_1327
.LBB481_1265:
                                        ; implicit-def: $vgpr8
	s_cbranch_execz .LBB481_1392
; %bb.1266:
	v_cmp_lt_i16_e64 s3, s1, 5
	s_delay_alu instid0(VALU_DEP_1)
	s_and_b32 vcc_lo, exec_lo, s3
	s_cbranch_vccnz .LBB481_1272
; %bb.1267:
	v_cmp_lt_i16_e64 s3, s1, 8
	s_delay_alu instid0(VALU_DEP_1)
	s_and_b32 vcc_lo, exec_lo, s3
	s_cbranch_vccnz .LBB481_1274
	;; [unrolled: 5-line block ×3, first 2 shown]
; %bb.1269:
	v_cmp_gt_i16_e64 s3, s1, 9
	s_delay_alu instid0(VALU_DEP_1)
	s_and_b32 vcc_lo, exec_lo, s3
	s_cbranch_vccz .LBB481_1282
; %bb.1270:
	global_load_b64 v[10:11], v[6:7], off
	s_mov_b32 s3, 0
	s_waitcnt vmcnt(0)
	v_cvt_f32_f64_e32 v8, v[10:11]
	s_delay_alu instid0(VALU_DEP_1)
	v_cvt_f16_f32_e32 v8, v8
	s_branch .LBB481_1283
.LBB481_1271:
	s_mov_b32 s3, 0
                                        ; implicit-def: $vgpr8
	s_cbranch_execnz .LBB481_1356
	s_branch .LBB481_1388
.LBB481_1272:
                                        ; implicit-def: $vgpr8
	s_branch .LBB481_1301
.LBB481_1273:
	s_mov_b32 s12, -1
	s_mov_b32 s3, 0
                                        ; implicit-def: $vgpr8
	s_branch .LBB481_1337
.LBB481_1274:
	s_mov_b32 s3, -1
                                        ; implicit-def: $vgpr8
	s_branch .LBB481_1289
.LBB481_1275:
	s_mov_b32 s12, -1
	s_mov_b32 s3, 0
                                        ; implicit-def: $vgpr8
	s_branch .LBB481_1332
.LBB481_1276:
	s_mov_b32 s3, -1
                                        ; implicit-def: $vgpr8
	s_branch .LBB481_1286
.LBB481_1277:
	s_cbranch_execnz .LBB481_1321
; %bb.1278:
	s_or_b32 s2, s8, exec_lo
                                        ; implicit-def: $vgpr9
	s_cbranch_execz .LBB481_1255
	s_branch .LBB481_1256
.LBB481_1279:
	s_or_saveexec_b32 s7, s7
                                        ; implicit-def: $sgpr8
	s_delay_alu instid0(SALU_CYCLE_1)
	s_xor_b32 exec_lo, exec_lo, s7
	s_cbranch_execz .LBB481_987
.LBB481_1280:
	v_add_f32_e64 v5, 0x46000000, |v0|
	s_and_not1_b32 s5, s5, exec_lo
	s_mov_b32 s8, 0
	s_delay_alu instid0(VALU_DEP_1) | instskip(NEXT) | instid1(VALU_DEP_1)
	v_and_b32_e32 v5, 0xff, v5
	v_cmp_ne_u32_e32 vcc_lo, 0, v5
	s_and_b32 s9, vcc_lo, exec_lo
	s_delay_alu instid0(SALU_CYCLE_1)
	s_or_b32 s5, s5, s9
	s_or_b32 exec_lo, exec_lo, s7
	v_mov_b32_e32 v6, s8
	s_and_saveexec_b32 s7, s5
	s_cbranch_execnz .LBB481_988
	s_branch .LBB481_989
.LBB481_1281:
	s_mov_b32 s12, -1
	s_mov_b32 s3, 0
	s_branch .LBB481_1326
.LBB481_1282:
	s_mov_b32 s3, -1
                                        ; implicit-def: $vgpr8
.LBB481_1283:
	s_delay_alu instid0(SALU_CYCLE_1)
	s_and_not1_b32 vcc_lo, exec_lo, s3
	s_cbranch_vccnz .LBB481_1285
; %bb.1284:
	global_load_b32 v8, v[6:7], off
	s_waitcnt vmcnt(0)
	v_cvt_f16_f32_e32 v8, v8
.LBB481_1285:
	s_mov_b32 s3, 0
.LBB481_1286:
	s_delay_alu instid0(SALU_CYCLE_1)
	s_and_not1_b32 vcc_lo, exec_lo, s3
	s_cbranch_vccnz .LBB481_1288
; %bb.1287:
	global_load_b32 v8, v[6:7], off
.LBB481_1288:
	s_mov_b32 s3, 0
.LBB481_1289:
	s_delay_alu instid0(SALU_CYCLE_1)
	s_and_not1_b32 vcc_lo, exec_lo, s3
	s_cbranch_vccnz .LBB481_1300
; %bb.1290:
	v_cmp_lt_i16_e64 s3, s1, 6
	s_delay_alu instid0(VALU_DEP_1)
	s_and_b32 vcc_lo, exec_lo, s3
	s_cbranch_vccnz .LBB481_1293
; %bb.1291:
	v_cmp_gt_i16_e64 s3, s1, 6
	s_delay_alu instid0(VALU_DEP_1)
	s_and_b32 vcc_lo, exec_lo, s3
	s_cbranch_vccz .LBB481_1294
; %bb.1292:
	global_load_b64 v[10:11], v[6:7], off
	s_mov_b32 s3, 0
	s_waitcnt vmcnt(0)
	v_cvt_f32_f64_e32 v8, v[10:11]
	s_delay_alu instid0(VALU_DEP_1)
	v_cvt_f16_f32_e32 v8, v8
	s_branch .LBB481_1295
.LBB481_1293:
	s_mov_b32 s3, -1
                                        ; implicit-def: $vgpr8
	s_branch .LBB481_1298
.LBB481_1294:
	s_mov_b32 s3, -1
                                        ; implicit-def: $vgpr8
.LBB481_1295:
	s_delay_alu instid0(SALU_CYCLE_1)
	s_and_not1_b32 vcc_lo, exec_lo, s3
	s_cbranch_vccnz .LBB481_1297
; %bb.1296:
	global_load_b32 v8, v[6:7], off
	s_waitcnt vmcnt(0)
	v_cvt_f16_f32_e32 v8, v8
.LBB481_1297:
	s_mov_b32 s3, 0
.LBB481_1298:
	s_delay_alu instid0(SALU_CYCLE_1)
	s_and_not1_b32 vcc_lo, exec_lo, s3
	s_cbranch_vccnz .LBB481_1300
; %bb.1299:
	global_load_u16 v8, v[6:7], off
.LBB481_1300:
	s_cbranch_execnz .LBB481_1320
.LBB481_1301:
	v_cmp_lt_i16_e64 s3, s1, 2
	s_delay_alu instid0(VALU_DEP_1)
	s_and_b32 vcc_lo, exec_lo, s3
	s_cbranch_vccnz .LBB481_1305
; %bb.1302:
	v_cmp_lt_i16_e64 s3, s1, 3
	s_delay_alu instid0(VALU_DEP_1)
	s_and_b32 vcc_lo, exec_lo, s3
	s_cbranch_vccnz .LBB481_1306
; %bb.1303:
	v_cmp_gt_i16_e64 s3, s1, 3
	s_delay_alu instid0(VALU_DEP_1)
	s_and_b32 vcc_lo, exec_lo, s3
	s_cbranch_vccz .LBB481_1307
; %bb.1304:
	global_load_b64 v[10:11], v[6:7], off
	s_mov_b32 s3, 0
	s_waitcnt vmcnt(0)
	v_xor_b32_e32 v8, v10, v11
	v_cls_i32_e32 v12, v11
	s_delay_alu instid0(VALU_DEP_2) | instskip(NEXT) | instid1(VALU_DEP_2)
	v_ashrrev_i32_e32 v8, 31, v8
	v_add_nc_u32_e32 v12, -1, v12
	s_delay_alu instid0(VALU_DEP_2) | instskip(NEXT) | instid1(VALU_DEP_1)
	v_add_nc_u32_e32 v8, 32, v8
	v_min_u32_e32 v8, v12, v8
	s_delay_alu instid0(VALU_DEP_1) | instskip(SKIP_1) | instid1(VALU_DEP_2)
	v_lshlrev_b64 v[10:11], v8, v[10:11]
	v_sub_nc_u32_e32 v8, 32, v8
	v_min_u32_e32 v10, 1, v10
	s_delay_alu instid0(VALU_DEP_1) | instskip(NEXT) | instid1(VALU_DEP_1)
	v_or_b32_e32 v10, v11, v10
	v_cvt_f32_i32_e32 v10, v10
	s_delay_alu instid0(VALU_DEP_1) | instskip(NEXT) | instid1(VALU_DEP_1)
	v_ldexp_f32 v8, v10, v8
	v_cvt_f16_f32_e32 v8, v8
	s_branch .LBB481_1308
.LBB481_1305:
	s_mov_b32 s3, -1
                                        ; implicit-def: $vgpr8
	s_branch .LBB481_1314
.LBB481_1306:
	s_mov_b32 s3, -1
                                        ; implicit-def: $vgpr8
	s_branch .LBB481_1311
.LBB481_1307:
	s_mov_b32 s3, -1
                                        ; implicit-def: $vgpr8
.LBB481_1308:
	s_delay_alu instid0(SALU_CYCLE_1)
	s_and_not1_b32 vcc_lo, exec_lo, s3
	s_cbranch_vccnz .LBB481_1310
; %bb.1309:
	global_load_b32 v8, v[6:7], off
	s_waitcnt vmcnt(0)
	v_cvt_f32_i32_e32 v8, v8
	s_delay_alu instid0(VALU_DEP_1)
	v_cvt_f16_f32_e32 v8, v8
.LBB481_1310:
	s_mov_b32 s3, 0
.LBB481_1311:
	s_delay_alu instid0(SALU_CYCLE_1)
	s_and_not1_b32 vcc_lo, exec_lo, s3
	s_cbranch_vccnz .LBB481_1313
; %bb.1312:
	global_load_u16 v8, v[6:7], off
	s_waitcnt vmcnt(0)
	v_cvt_f16_i16_e32 v8, v8
.LBB481_1313:
	s_mov_b32 s3, 0
.LBB481_1314:
	s_delay_alu instid0(SALU_CYCLE_1)
	s_and_not1_b32 vcc_lo, exec_lo, s3
	s_cbranch_vccnz .LBB481_1320
; %bb.1315:
	v_cmp_gt_i16_e64 s3, s1, 0
	s_delay_alu instid0(VALU_DEP_1)
	s_and_b32 vcc_lo, exec_lo, s3
	s_mov_b32 s3, 0
	s_cbranch_vccz .LBB481_1317
; %bb.1316:
	global_load_i8 v8, v[6:7], off
	s_waitcnt vmcnt(0)
	v_cvt_f16_i16_e32 v8, v8
	s_branch .LBB481_1318
.LBB481_1317:
	s_mov_b32 s3, -1
                                        ; implicit-def: $vgpr8
.LBB481_1318:
	s_delay_alu instid0(SALU_CYCLE_1)
	s_and_not1_b32 vcc_lo, exec_lo, s3
	s_cbranch_vccnz .LBB481_1320
; %bb.1319:
	global_load_u8 v6, v[6:7], off
	s_waitcnt vmcnt(0)
	v_cvt_f16_u16_e32 v8, v6
.LBB481_1320:
	s_branch .LBB481_1393
.LBB481_1321:
	s_trap 2
	s_sendmsg_rtn_b32 s0, sendmsg(MSG_RTN_GET_DOORBELL)
	s_mov_b32 ttmp2, m0
	s_waitcnt lgkmcnt(0)
	s_and_b32 s0, s0, 0x3ff
	s_delay_alu instid0(SALU_CYCLE_1) | instskip(NEXT) | instid1(SALU_CYCLE_1)
	s_bitset1_b32 s0, 10
	s_mov_b32 m0, s0
	s_sendmsg sendmsg(MSG_INTERRUPT)
	s_mov_b32 m0, ttmp2
.LBB481_1322:                           ; =>This Inner Loop Header: Depth=1
	s_sethalt 5
	s_branch .LBB481_1322
.LBB481_1323:
	s_or_saveexec_b32 s8, s8
                                        ; implicit-def: $sgpr9
	s_delay_alu instid0(SALU_CYCLE_1)
	s_xor_b32 exec_lo, exec_lo, s8
	s_cbranch_execz .LBB481_999
.LBB481_1324:
	v_add_f32_e64 v5, 0x42800000, |v0|
	s_and_not1_b32 s7, s7, exec_lo
	s_mov_b32 s9, 0
	s_delay_alu instid0(VALU_DEP_1) | instskip(NEXT) | instid1(VALU_DEP_1)
	v_and_b32_e32 v5, 0xff, v5
	v_cmp_ne_u32_e32 vcc_lo, 0, v5
	s_and_b32 s10, vcc_lo, exec_lo
	s_delay_alu instid0(SALU_CYCLE_1)
	s_or_b32 s7, s7, s10
	s_or_b32 exec_lo, exec_lo, s8
	v_mov_b32_e32 v6, s9
	s_and_saveexec_b32 s8, s7
	s_cbranch_execnz .LBB481_1000
	s_branch .LBB481_1001
.LBB481_1325:
	s_mov_b32 s3, -1
.LBB481_1326:
                                        ; implicit-def: $vgpr8
.LBB481_1327:
	s_and_b32 vcc_lo, exec_lo, s12
	s_cbranch_vccz .LBB481_1331
; %bb.1328:
	v_cmp_eq_u16_e64 s3, s1, 44
	s_delay_alu instid0(VALU_DEP_1)
	s_and_b32 vcc_lo, exec_lo, s3
	s_cbranch_vccz .LBB481_1330
; %bb.1329:
	global_load_u8 v8, v[6:7], off
	s_mov_b32 s3, 0
	s_mov_b32 s11, -1
	s_waitcnt vmcnt(0)
	v_lshlrev_b32_e32 v10, 23, v8
	v_cmp_ne_u32_e32 vcc_lo, 0xff, v8
	s_delay_alu instid0(VALU_DEP_2) | instskip(NEXT) | instid1(VALU_DEP_1)
	v_cvt_f16_f32_e32 v10, v10
	v_cndmask_b32_e32 v10, 0x7e00, v10, vcc_lo
	v_cmp_ne_u32_e32 vcc_lo, 0, v8
	s_delay_alu instid0(VALU_DEP_2)
	v_cndmask_b32_e32 v8, 0, v10, vcc_lo
	s_branch .LBB481_1331
.LBB481_1330:
	s_mov_b32 s3, -1
                                        ; implicit-def: $vgpr8
.LBB481_1331:
	s_mov_b32 s12, 0
.LBB481_1332:
	s_delay_alu instid0(SALU_CYCLE_1)
	s_and_b32 vcc_lo, exec_lo, s12
	s_cbranch_vccz .LBB481_1336
; %bb.1333:
	v_cmp_eq_u16_e64 s3, s1, 29
	s_delay_alu instid0(VALU_DEP_1)
	s_and_b32 vcc_lo, exec_lo, s3
	s_cbranch_vccz .LBB481_1335
; %bb.1334:
	global_load_b64 v[10:11], v[6:7], off
	s_mov_b32 s3, 0
	s_mov_b32 s11, -1
	s_mov_b32 s12, 0
	s_waitcnt vmcnt(0)
	v_clz_i32_u32_e32 v8, v11
	s_delay_alu instid0(VALU_DEP_1) | instskip(NEXT) | instid1(VALU_DEP_1)
	v_min_u32_e32 v8, 32, v8
	v_lshlrev_b64 v[10:11], v8, v[10:11]
	v_sub_nc_u32_e32 v8, 32, v8
	s_delay_alu instid0(VALU_DEP_2) | instskip(NEXT) | instid1(VALU_DEP_1)
	v_min_u32_e32 v10, 1, v10
	v_or_b32_e32 v10, v11, v10
	s_delay_alu instid0(VALU_DEP_1) | instskip(NEXT) | instid1(VALU_DEP_1)
	v_cvt_f32_u32_e32 v10, v10
	v_ldexp_f32 v8, v10, v8
	s_delay_alu instid0(VALU_DEP_1)
	v_cvt_f16_f32_e32 v8, v8
	s_branch .LBB481_1337
.LBB481_1335:
	s_mov_b32 s3, -1
                                        ; implicit-def: $vgpr8
.LBB481_1336:
	s_mov_b32 s12, 0
.LBB481_1337:
	s_delay_alu instid0(SALU_CYCLE_1)
	s_and_b32 vcc_lo, exec_lo, s12
	s_cbranch_vccz .LBB481_1355
; %bb.1338:
	v_cmp_lt_i16_e64 s11, s1, 27
	s_delay_alu instid0(VALU_DEP_1)
	s_and_b32 vcc_lo, exec_lo, s11
	s_cbranch_vccnz .LBB481_1341
; %bb.1339:
	v_cmp_gt_i16_e64 s11, s1, 27
	s_delay_alu instid0(VALU_DEP_1)
	s_and_b32 vcc_lo, exec_lo, s11
	s_cbranch_vccz .LBB481_1342
; %bb.1340:
	global_load_b32 v8, v[6:7], off
	s_mov_b32 s11, 0
	s_waitcnt vmcnt(0)
	v_cvt_f32_u32_e32 v8, v8
	s_delay_alu instid0(VALU_DEP_1)
	v_cvt_f16_f32_e32 v8, v8
	s_branch .LBB481_1343
.LBB481_1341:
	s_mov_b32 s11, -1
                                        ; implicit-def: $vgpr8
	s_branch .LBB481_1346
.LBB481_1342:
	s_mov_b32 s11, -1
                                        ; implicit-def: $vgpr8
.LBB481_1343:
	s_delay_alu instid0(SALU_CYCLE_1)
	s_and_not1_b32 vcc_lo, exec_lo, s11
	s_cbranch_vccnz .LBB481_1345
; %bb.1344:
	global_load_u16 v8, v[6:7], off
	s_waitcnt vmcnt(0)
	v_cvt_f16_u16_e32 v8, v8
.LBB481_1345:
	s_mov_b32 s11, 0
.LBB481_1346:
	s_delay_alu instid0(SALU_CYCLE_1)
	s_and_not1_b32 vcc_lo, exec_lo, s11
	s_cbranch_vccnz .LBB481_1354
; %bb.1347:
	global_load_u8 v10, v[6:7], off
	s_mov_b32 s11, 0
	s_mov_b32 s13, exec_lo
                                        ; implicit-def: $sgpr12
	s_waitcnt vmcnt(0)
	v_cmpx_lt_i16_e32 0x7f, v10
	s_xor_b32 s13, exec_lo, s13
	s_cbranch_execz .LBB481_1367
; %bb.1348:
	s_mov_b32 s11, -1
	s_mov_b32 s14, exec_lo
                                        ; implicit-def: $sgpr12
	v_cmpx_eq_u16_e32 0x80, v10
; %bb.1349:
	s_movk_i32 s12, 0x7e00
	s_xor_b32 s11, exec_lo, -1
; %bb.1350:
	s_or_b32 exec_lo, exec_lo, s14
	s_delay_alu instid0(SALU_CYCLE_1)
	s_and_b32 s11, s11, exec_lo
	s_or_saveexec_b32 s13, s13
	v_mov_b32_e32 v8, s12
	s_xor_b32 exec_lo, exec_lo, s13
	s_cbranch_execnz .LBB481_1368
.LBB481_1351:
	s_or_b32 exec_lo, exec_lo, s13
	s_and_saveexec_b32 s12, s11
	s_cbranch_execz .LBB481_1353
.LBB481_1352:
	v_and_b32_e32 v8, 0xffff, v10
	v_lshlrev_b32_e32 v10, 24, v10
	s_delay_alu instid0(VALU_DEP_2) | instskip(NEXT) | instid1(VALU_DEP_2)
	v_and_b32_e32 v11, 7, v8
	v_and_b32_e32 v10, 0x80000000, v10
	s_delay_alu instid0(VALU_DEP_2) | instskip(NEXT) | instid1(VALU_DEP_1)
	v_clz_i32_u32_e32 v12, v11
	v_min_u32_e32 v12, 32, v12
	s_delay_alu instid0(VALU_DEP_1) | instskip(SKIP_1) | instid1(VALU_DEP_2)
	v_subrev_nc_u32_e32 v13, 28, v12
	v_sub_nc_u32_e32 v12, 29, v12
	v_lshlrev_b32_e32 v13, v13, v8
	v_bfe_u32 v8, v8, 3, 4
	s_delay_alu instid0(VALU_DEP_1) | instskip(NEXT) | instid1(VALU_DEP_3)
	v_cmp_eq_u32_e32 vcc_lo, 0, v8
	v_dual_cndmask_b32 v8, v8, v12 :: v_dual_and_b32 v13, 7, v13
	s_delay_alu instid0(VALU_DEP_1) | instskip(NEXT) | instid1(VALU_DEP_2)
	v_cndmask_b32_e32 v11, v11, v13, vcc_lo
	v_lshl_add_u32 v8, v8, 23, 0x3b800000
	s_delay_alu instid0(VALU_DEP_2) | instskip(NEXT) | instid1(VALU_DEP_1)
	v_lshlrev_b32_e32 v11, 20, v11
	v_or3_b32 v8, v10, v8, v11
	s_delay_alu instid0(VALU_DEP_1)
	v_cvt_f16_f32_e32 v8, v8
.LBB481_1353:
	s_or_b32 exec_lo, exec_lo, s12
.LBB481_1354:
	s_mov_b32 s11, -1
.LBB481_1355:
	s_branch .LBB481_1388
.LBB481_1356:
	v_cmp_gt_i16_e64 s10, s1, 22
	s_delay_alu instid0(VALU_DEP_1)
	s_and_b32 vcc_lo, exec_lo, s10
	s_cbranch_vccz .LBB481_1366
; %bb.1357:
	v_cmp_lt_i16_e64 s10, s1, 24
	s_delay_alu instid0(VALU_DEP_1)
	s_and_b32 vcc_lo, exec_lo, s10
	s_cbranch_vccnz .LBB481_1369
; %bb.1358:
	v_cmp_gt_i16_e64 s10, s1, 24
	s_delay_alu instid0(VALU_DEP_1)
	s_and_b32 vcc_lo, exec_lo, s10
	s_cbranch_vccz .LBB481_1370
; %bb.1359:
	global_load_u8 v10, v[6:7], off
	s_mov_b32 s10, 0
	s_mov_b32 s12, exec_lo
                                        ; implicit-def: $sgpr11
	s_waitcnt vmcnt(0)
	v_cmpx_lt_i16_e32 0x7f, v10
	s_xor_b32 s12, exec_lo, s12
	s_cbranch_execz .LBB481_1382
; %bb.1360:
	s_mov_b32 s10, -1
	s_mov_b32 s13, exec_lo
                                        ; implicit-def: $sgpr11
	v_cmpx_eq_u16_e32 0x80, v10
; %bb.1361:
	s_movk_i32 s11, 0x7e00
	s_xor_b32 s10, exec_lo, -1
; %bb.1362:
	s_or_b32 exec_lo, exec_lo, s13
	s_delay_alu instid0(SALU_CYCLE_1)
	s_and_b32 s10, s10, exec_lo
	s_or_saveexec_b32 s12, s12
	v_mov_b32_e32 v8, s11
	s_xor_b32 exec_lo, exec_lo, s12
	s_cbranch_execnz .LBB481_1383
.LBB481_1363:
	s_or_b32 exec_lo, exec_lo, s12
	s_and_saveexec_b32 s11, s10
	s_cbranch_execz .LBB481_1365
.LBB481_1364:
	v_and_b32_e32 v8, 0xffff, v10
	v_lshlrev_b32_e32 v10, 24, v10
	s_delay_alu instid0(VALU_DEP_2) | instskip(NEXT) | instid1(VALU_DEP_2)
	v_and_b32_e32 v11, 3, v8
	v_and_b32_e32 v10, 0x80000000, v10
	s_delay_alu instid0(VALU_DEP_2) | instskip(NEXT) | instid1(VALU_DEP_1)
	v_clz_i32_u32_e32 v12, v11
	v_min_u32_e32 v12, 32, v12
	s_delay_alu instid0(VALU_DEP_1) | instskip(SKIP_1) | instid1(VALU_DEP_2)
	v_subrev_nc_u32_e32 v13, 29, v12
	v_sub_nc_u32_e32 v12, 30, v12
	v_lshlrev_b32_e32 v13, v13, v8
	v_bfe_u32 v8, v8, 2, 5
	s_delay_alu instid0(VALU_DEP_1) | instskip(NEXT) | instid1(VALU_DEP_3)
	v_cmp_eq_u32_e32 vcc_lo, 0, v8
	v_dual_cndmask_b32 v8, v8, v12 :: v_dual_and_b32 v13, 3, v13
	s_delay_alu instid0(VALU_DEP_1) | instskip(NEXT) | instid1(VALU_DEP_2)
	v_cndmask_b32_e32 v11, v11, v13, vcc_lo
	v_lshl_add_u32 v8, v8, 23, 0x37800000
	s_delay_alu instid0(VALU_DEP_2) | instskip(NEXT) | instid1(VALU_DEP_1)
	v_lshlrev_b32_e32 v11, 21, v11
	v_or3_b32 v8, v10, v8, v11
	s_delay_alu instid0(VALU_DEP_1)
	v_cvt_f16_f32_e32 v8, v8
.LBB481_1365:
	s_or_b32 exec_lo, exec_lo, s11
	s_mov_b32 s10, 0
	s_branch .LBB481_1371
.LBB481_1366:
	s_mov_b32 s10, -1
                                        ; implicit-def: $vgpr8
	s_branch .LBB481_1377
.LBB481_1367:
	s_or_saveexec_b32 s13, s13
	v_mov_b32_e32 v8, s12
	s_xor_b32 exec_lo, exec_lo, s13
	s_cbranch_execz .LBB481_1351
.LBB481_1368:
	v_cmp_ne_u16_e32 vcc_lo, 0, v10
	v_mov_b32_e32 v8, v10
	s_and_not1_b32 s11, s11, exec_lo
	s_and_b32 s12, vcc_lo, exec_lo
	s_delay_alu instid0(SALU_CYCLE_1)
	s_or_b32 s11, s11, s12
	s_or_b32 exec_lo, exec_lo, s13
	s_and_saveexec_b32 s12, s11
	s_cbranch_execnz .LBB481_1352
	s_branch .LBB481_1353
.LBB481_1369:
	s_mov_b32 s10, -1
                                        ; implicit-def: $vgpr8
	s_branch .LBB481_1374
.LBB481_1370:
	s_mov_b32 s10, -1
                                        ; implicit-def: $vgpr8
.LBB481_1371:
	s_delay_alu instid0(SALU_CYCLE_1)
	s_and_b32 vcc_lo, exec_lo, s10
	s_cbranch_vccz .LBB481_1373
; %bb.1372:
	global_load_u8 v8, v[6:7], off
	s_waitcnt vmcnt(0)
	v_lshlrev_b32_e32 v8, 24, v8
	s_delay_alu instid0(VALU_DEP_1) | instskip(NEXT) | instid1(VALU_DEP_1)
	v_and_b32_e32 v10, 0x7f000000, v8
	v_clz_i32_u32_e32 v11, v10
	v_cmp_ne_u32_e32 vcc_lo, 0, v10
	v_add_nc_u32_e32 v13, 0x1000000, v10
	s_delay_alu instid0(VALU_DEP_3) | instskip(NEXT) | instid1(VALU_DEP_1)
	v_min_u32_e32 v11, 32, v11
	v_sub_nc_u32_e64 v11, v11, 4 clamp
	s_delay_alu instid0(VALU_DEP_1) | instskip(SKIP_1) | instid1(VALU_DEP_2)
	v_lshlrev_b32_e32 v12, v11, v10
	v_lshlrev_b32_e32 v11, 23, v11
	v_lshrrev_b32_e32 v12, 4, v12
	s_delay_alu instid0(VALU_DEP_1) | instskip(SKIP_1) | instid1(VALU_DEP_2)
	v_sub_nc_u32_e32 v11, v12, v11
	v_ashrrev_i32_e32 v12, 8, v13
	v_add_nc_u32_e32 v11, 0x3c000000, v11
	s_delay_alu instid0(VALU_DEP_1) | instskip(NEXT) | instid1(VALU_DEP_1)
	v_and_or_b32 v11, 0x7f800000, v12, v11
	v_cndmask_b32_e32 v10, 0, v11, vcc_lo
	s_delay_alu instid0(VALU_DEP_1) | instskip(NEXT) | instid1(VALU_DEP_1)
	v_and_or_b32 v8, 0x80000000, v8, v10
	v_cvt_f16_f32_e32 v8, v8
.LBB481_1373:
	s_mov_b32 s10, 0
.LBB481_1374:
	s_delay_alu instid0(SALU_CYCLE_1)
	s_and_not1_b32 vcc_lo, exec_lo, s10
	s_cbranch_vccnz .LBB481_1376
; %bb.1375:
	global_load_u8 v8, v[6:7], off
	s_waitcnt vmcnt(0)
	v_lshlrev_b32_e32 v10, 25, v8
	v_lshlrev_b16 v8, 8, v8
	s_delay_alu instid0(VALU_DEP_2) | instskip(NEXT) | instid1(VALU_DEP_2)
	v_lshrrev_b32_e32 v11, 4, v10
	v_and_or_b32 v12, 0x7f00, v8, 0.5
	v_bfe_i32 v8, v8, 0, 16
	s_delay_alu instid0(VALU_DEP_3) | instskip(NEXT) | instid1(VALU_DEP_1)
	v_or_b32_e32 v11, 0x70000000, v11
	v_dual_add_f32 v12, -0.5, v12 :: v_dual_mul_f32 v11, 0x7800000, v11
	v_cmp_gt_u32_e32 vcc_lo, 0x8000000, v10
	s_delay_alu instid0(VALU_DEP_2) | instskip(NEXT) | instid1(VALU_DEP_1)
	v_cndmask_b32_e32 v10, v11, v12, vcc_lo
	v_and_or_b32 v8, 0x80000000, v8, v10
	s_delay_alu instid0(VALU_DEP_1)
	v_cvt_f16_f32_e32 v8, v8
.LBB481_1376:
	s_mov_b32 s10, 0
	s_mov_b32 s11, -1
.LBB481_1377:
	s_and_not1_b32 vcc_lo, exec_lo, s10
	s_mov_b32 s10, 0
	s_cbranch_vccnz .LBB481_1388
; %bb.1378:
	v_cmp_gt_i16_e64 s10, s1, 14
	s_delay_alu instid0(VALU_DEP_1)
	s_and_b32 vcc_lo, exec_lo, s10
	s_cbranch_vccz .LBB481_1381
; %bb.1379:
	v_cmp_eq_u16_e64 s3, s1, 15
	s_delay_alu instid0(VALU_DEP_1)
	s_and_b32 vcc_lo, exec_lo, s3
	s_cbranch_vccz .LBB481_1384
; %bb.1380:
	global_load_u16 v8, v[6:7], off
	s_mov_b32 s3, 0
	s_mov_b32 s11, -1
	s_waitcnt vmcnt(0)
	v_lshlrev_b32_e32 v8, 16, v8
	s_delay_alu instid0(VALU_DEP_1)
	v_cvt_f16_f32_e32 v8, v8
	s_branch .LBB481_1385
.LBB481_1381:
	s_mov_b32 s10, -1
                                        ; implicit-def: $vgpr8
	s_branch .LBB481_1386
.LBB481_1382:
	s_or_saveexec_b32 s12, s12
	v_mov_b32_e32 v8, s11
	s_xor_b32 exec_lo, exec_lo, s12
	s_cbranch_execz .LBB481_1363
.LBB481_1383:
	v_cmp_ne_u16_e32 vcc_lo, 0, v10
	v_mov_b32_e32 v8, v10
	s_and_not1_b32 s10, s10, exec_lo
	s_and_b32 s11, vcc_lo, exec_lo
	s_delay_alu instid0(SALU_CYCLE_1)
	s_or_b32 s10, s10, s11
	s_or_b32 exec_lo, exec_lo, s12
	s_and_saveexec_b32 s11, s10
	s_cbranch_execnz .LBB481_1364
	s_branch .LBB481_1365
.LBB481_1384:
	s_mov_b32 s3, -1
                                        ; implicit-def: $vgpr8
.LBB481_1385:
	s_mov_b32 s10, 0
.LBB481_1386:
	s_delay_alu instid0(SALU_CYCLE_1)
	s_and_b32 vcc_lo, exec_lo, s10
	s_mov_b32 s10, 0
	s_cbranch_vccz .LBB481_1388
; %bb.1387:
	v_cmp_ne_u16_e64 s3, s1, 11
	s_mov_b32 s10, -1
                                        ; implicit-def: $vgpr8
.LBB481_1388:
	s_delay_alu instid0(VALU_DEP_1)
	s_and_b32 vcc_lo, exec_lo, s3
	s_cbranch_vccnz .LBB481_1412
; %bb.1389:
	s_and_not1_b32 vcc_lo, exec_lo, s10
	s_cbranch_vccnz .LBB481_1391
.LBB481_1390:
	global_load_u8 v8, v[6:7], off
	s_mov_b32 s11, -1
	s_waitcnt vmcnt(0)
	v_cmp_ne_u16_e32 vcc_lo, 0, v8
	v_cndmask_b32_e64 v8, 0, 0x3c00, vcc_lo
.LBB481_1391:
.LBB481_1392:
	s_and_not1_b32 vcc_lo, exec_lo, s11
	s_cbranch_vccnz .LBB481_2090
.LBB481_1393:
	v_cmp_lt_i16_e64 s3, s1, 11
	s_waitcnt vmcnt(0)
	v_add_co_u32 v5, s10, s6, v5
	s_delay_alu instid0(VALU_DEP_1) | instskip(NEXT) | instid1(VALU_DEP_3)
	v_add_co_ci_u32_e64 v6, null, s7, 0, s10
	s_and_b32 vcc_lo, exec_lo, s3
	s_mov_b32 s11, 0
	s_cbranch_vccnz .LBB481_1400
; %bb.1394:
	v_cmp_gt_i16_e64 s3, s1, 25
	s_mov_b32 s10, 0
	s_delay_alu instid0(VALU_DEP_1)
	s_and_b32 vcc_lo, exec_lo, s3
	s_cbranch_vccz .LBB481_1406
; %bb.1395:
	v_cmp_gt_i16_e64 s3, s1, 28
	s_delay_alu instid0(VALU_DEP_1)
	s_and_b32 vcc_lo, exec_lo, s3
	s_cbranch_vccz .LBB481_1408
; %bb.1396:
	v_cmp_gt_i16_e64 s3, s1, 43
	;; [unrolled: 5-line block ×3, first 2 shown]
	s_delay_alu instid0(VALU_DEP_1)
	s_and_b32 vcc_lo, exec_lo, s3
	s_cbranch_vccz .LBB481_1414
; %bb.1398:
	v_cmp_eq_u16_e64 s3, s1, 46
	s_mov_b32 s12, 0
	s_delay_alu instid0(VALU_DEP_1)
	s_and_b32 vcc_lo, exec_lo, s3
	s_cbranch_vccz .LBB481_1457
; %bb.1399:
	global_load_b32 v7, v[5:6], off
	s_mov_b32 s3, 0
	s_mov_b32 s11, -1
	s_waitcnt vmcnt(0)
	v_lshlrev_b32_e32 v7, 16, v7
	s_delay_alu instid0(VALU_DEP_1)
	v_cvt_f16_f32_e32 v7, v7
	s_branch .LBB481_1459
.LBB481_1400:
                                        ; implicit-def: $vgpr7
	s_cbranch_execz .LBB481_1525
; %bb.1401:
	v_cmp_lt_i16_e64 s3, s1, 5
	s_delay_alu instid0(VALU_DEP_1)
	s_and_b32 vcc_lo, exec_lo, s3
	s_cbranch_vccnz .LBB481_1407
; %bb.1402:
	v_cmp_lt_i16_e64 s3, s1, 8
	s_delay_alu instid0(VALU_DEP_1)
	s_and_b32 vcc_lo, exec_lo, s3
	s_cbranch_vccnz .LBB481_1409
	;; [unrolled: 5-line block ×3, first 2 shown]
; %bb.1404:
	v_cmp_gt_i16_e64 s3, s1, 9
	s_delay_alu instid0(VALU_DEP_1)
	s_and_b32 vcc_lo, exec_lo, s3
	s_cbranch_vccz .LBB481_1415
; %bb.1405:
	global_load_b64 v[10:11], v[5:6], off
	s_mov_b32 s3, 0
	s_waitcnt vmcnt(0)
	v_cvt_f32_f64_e32 v7, v[10:11]
	s_delay_alu instid0(VALU_DEP_1)
	v_cvt_f16_f32_e32 v7, v7
	s_branch .LBB481_1416
.LBB481_1406:
	s_mov_b32 s12, -1
	s_mov_b32 s3, 0
                                        ; implicit-def: $vgpr7
	s_branch .LBB481_1488
.LBB481_1407:
	s_mov_b32 s3, -1
                                        ; implicit-def: $vgpr7
	s_branch .LBB481_1434
.LBB481_1408:
	s_mov_b32 s12, -1
	s_mov_b32 s3, 0
                                        ; implicit-def: $vgpr7
	s_branch .LBB481_1469
.LBB481_1409:
	s_mov_b32 s3, -1
                                        ; implicit-def: $vgpr7
	s_branch .LBB481_1422
.LBB481_1410:
	s_mov_b32 s12, -1
	s_mov_b32 s3, 0
                                        ; implicit-def: $vgpr7
	s_branch .LBB481_1464
.LBB481_1411:
	s_mov_b32 s3, -1
                                        ; implicit-def: $vgpr7
	s_branch .LBB481_1419
.LBB481_1412:
	s_cbranch_execnz .LBB481_1455
; %bb.1413:
	s_or_b32 s2, s2, exec_lo
                                        ; implicit-def: $vgpr8
	s_cbranch_execz .LBB481_1390
	s_branch .LBB481_1391
.LBB481_1414:
	s_mov_b32 s12, -1
	s_mov_b32 s3, 0
	s_branch .LBB481_1458
.LBB481_1415:
	s_mov_b32 s3, -1
                                        ; implicit-def: $vgpr7
.LBB481_1416:
	s_delay_alu instid0(SALU_CYCLE_1)
	s_and_not1_b32 vcc_lo, exec_lo, s3
	s_cbranch_vccnz .LBB481_1418
; %bb.1417:
	global_load_b32 v7, v[5:6], off
	s_waitcnt vmcnt(0)
	v_cvt_f16_f32_e32 v7, v7
.LBB481_1418:
	s_mov_b32 s3, 0
.LBB481_1419:
	s_delay_alu instid0(SALU_CYCLE_1)
	s_and_not1_b32 vcc_lo, exec_lo, s3
	s_cbranch_vccnz .LBB481_1421
; %bb.1420:
	global_load_b32 v7, v[5:6], off
.LBB481_1421:
	s_mov_b32 s3, 0
.LBB481_1422:
	s_delay_alu instid0(SALU_CYCLE_1)
	s_and_not1_b32 vcc_lo, exec_lo, s3
	s_cbranch_vccnz .LBB481_1433
; %bb.1423:
	v_cmp_lt_i16_e64 s3, s1, 6
	s_delay_alu instid0(VALU_DEP_1)
	s_and_b32 vcc_lo, exec_lo, s3
	s_cbranch_vccnz .LBB481_1426
; %bb.1424:
	v_cmp_gt_i16_e64 s3, s1, 6
	s_delay_alu instid0(VALU_DEP_1)
	s_and_b32 vcc_lo, exec_lo, s3
	s_cbranch_vccz .LBB481_1427
; %bb.1425:
	global_load_b64 v[10:11], v[5:6], off
	s_mov_b32 s3, 0
	s_waitcnt vmcnt(0)
	v_cvt_f32_f64_e32 v7, v[10:11]
	s_delay_alu instid0(VALU_DEP_1)
	v_cvt_f16_f32_e32 v7, v7
	s_branch .LBB481_1428
.LBB481_1426:
	s_mov_b32 s3, -1
                                        ; implicit-def: $vgpr7
	s_branch .LBB481_1431
.LBB481_1427:
	s_mov_b32 s3, -1
                                        ; implicit-def: $vgpr7
.LBB481_1428:
	s_delay_alu instid0(SALU_CYCLE_1)
	s_and_not1_b32 vcc_lo, exec_lo, s3
	s_cbranch_vccnz .LBB481_1430
; %bb.1429:
	global_load_b32 v7, v[5:6], off
	s_waitcnt vmcnt(0)
	v_cvt_f16_f32_e32 v7, v7
.LBB481_1430:
	s_mov_b32 s3, 0
.LBB481_1431:
	s_delay_alu instid0(SALU_CYCLE_1)
	s_and_not1_b32 vcc_lo, exec_lo, s3
	s_cbranch_vccnz .LBB481_1433
; %bb.1432:
	global_load_u16 v7, v[5:6], off
.LBB481_1433:
	s_mov_b32 s3, 0
.LBB481_1434:
	s_delay_alu instid0(SALU_CYCLE_1)
	s_and_not1_b32 vcc_lo, exec_lo, s3
	s_cbranch_vccnz .LBB481_1454
; %bb.1435:
	v_cmp_lt_i16_e64 s3, s1, 2
	s_delay_alu instid0(VALU_DEP_1)
	s_and_b32 vcc_lo, exec_lo, s3
	s_cbranch_vccnz .LBB481_1439
; %bb.1436:
	v_cmp_lt_i16_e64 s3, s1, 3
	s_delay_alu instid0(VALU_DEP_1)
	s_and_b32 vcc_lo, exec_lo, s3
	s_cbranch_vccnz .LBB481_1440
; %bb.1437:
	v_cmp_gt_i16_e64 s3, s1, 3
	s_delay_alu instid0(VALU_DEP_1)
	s_and_b32 vcc_lo, exec_lo, s3
	s_cbranch_vccz .LBB481_1441
; %bb.1438:
	global_load_b64 v[10:11], v[5:6], off
	s_mov_b32 s3, 0
	s_waitcnt vmcnt(0)
	v_xor_b32_e32 v7, v10, v11
	v_cls_i32_e32 v12, v11
	s_delay_alu instid0(VALU_DEP_2) | instskip(NEXT) | instid1(VALU_DEP_2)
	v_ashrrev_i32_e32 v7, 31, v7
	v_add_nc_u32_e32 v12, -1, v12
	s_delay_alu instid0(VALU_DEP_2) | instskip(NEXT) | instid1(VALU_DEP_1)
	v_add_nc_u32_e32 v7, 32, v7
	v_min_u32_e32 v7, v12, v7
	s_delay_alu instid0(VALU_DEP_1) | instskip(SKIP_1) | instid1(VALU_DEP_2)
	v_lshlrev_b64 v[10:11], v7, v[10:11]
	v_sub_nc_u32_e32 v7, 32, v7
	v_min_u32_e32 v10, 1, v10
	s_delay_alu instid0(VALU_DEP_1) | instskip(NEXT) | instid1(VALU_DEP_1)
	v_or_b32_e32 v10, v11, v10
	v_cvt_f32_i32_e32 v10, v10
	s_delay_alu instid0(VALU_DEP_1) | instskip(NEXT) | instid1(VALU_DEP_1)
	v_ldexp_f32 v7, v10, v7
	v_cvt_f16_f32_e32 v7, v7
	s_branch .LBB481_1442
.LBB481_1439:
	s_mov_b32 s3, -1
                                        ; implicit-def: $vgpr7
	s_branch .LBB481_1448
.LBB481_1440:
	s_mov_b32 s3, -1
                                        ; implicit-def: $vgpr7
	s_branch .LBB481_1445
.LBB481_1441:
	s_mov_b32 s3, -1
                                        ; implicit-def: $vgpr7
.LBB481_1442:
	s_delay_alu instid0(SALU_CYCLE_1)
	s_and_not1_b32 vcc_lo, exec_lo, s3
	s_cbranch_vccnz .LBB481_1444
; %bb.1443:
	global_load_b32 v7, v[5:6], off
	s_waitcnt vmcnt(0)
	v_cvt_f32_i32_e32 v7, v7
	s_delay_alu instid0(VALU_DEP_1)
	v_cvt_f16_f32_e32 v7, v7
.LBB481_1444:
	s_mov_b32 s3, 0
.LBB481_1445:
	s_delay_alu instid0(SALU_CYCLE_1)
	s_and_not1_b32 vcc_lo, exec_lo, s3
	s_cbranch_vccnz .LBB481_1447
; %bb.1446:
	global_load_u16 v7, v[5:6], off
	s_waitcnt vmcnt(0)
	v_cvt_f16_i16_e32 v7, v7
.LBB481_1447:
	s_mov_b32 s3, 0
.LBB481_1448:
	s_delay_alu instid0(SALU_CYCLE_1)
	s_and_not1_b32 vcc_lo, exec_lo, s3
	s_cbranch_vccnz .LBB481_1454
; %bb.1449:
	v_cmp_gt_i16_e64 s3, s1, 0
	s_delay_alu instid0(VALU_DEP_1)
	s_and_b32 vcc_lo, exec_lo, s3
	s_mov_b32 s3, 0
	s_cbranch_vccz .LBB481_1451
; %bb.1450:
	global_load_i8 v7, v[5:6], off
	s_waitcnt vmcnt(0)
	v_cvt_f16_i16_e32 v7, v7
	s_branch .LBB481_1452
.LBB481_1451:
	s_mov_b32 s3, -1
                                        ; implicit-def: $vgpr7
.LBB481_1452:
	s_delay_alu instid0(SALU_CYCLE_1)
	s_and_not1_b32 vcc_lo, exec_lo, s3
	s_cbranch_vccnz .LBB481_1454
; %bb.1453:
	global_load_u8 v5, v[5:6], off
	s_waitcnt vmcnt(0)
	v_cvt_f16_u16_e32 v7, v5
.LBB481_1454:
	s_branch .LBB481_1526
.LBB481_1455:
	s_trap 2
	s_sendmsg_rtn_b32 s0, sendmsg(MSG_RTN_GET_DOORBELL)
	s_mov_b32 ttmp2, m0
	s_waitcnt lgkmcnt(0)
	s_and_b32 s0, s0, 0x3ff
	s_delay_alu instid0(SALU_CYCLE_1) | instskip(NEXT) | instid1(SALU_CYCLE_1)
	s_bitset1_b32 s0, 10
	s_mov_b32 m0, s0
	s_sendmsg sendmsg(MSG_INTERRUPT)
	s_mov_b32 m0, ttmp2
.LBB481_1456:                           ; =>This Inner Loop Header: Depth=1
	s_sethalt 5
	s_branch .LBB481_1456
.LBB481_1457:
	s_mov_b32 s3, -1
.LBB481_1458:
                                        ; implicit-def: $vgpr7
.LBB481_1459:
	s_and_b32 vcc_lo, exec_lo, s12
	s_cbranch_vccz .LBB481_1463
; %bb.1460:
	v_cmp_eq_u16_e64 s3, s1, 44
	s_delay_alu instid0(VALU_DEP_1)
	s_and_b32 vcc_lo, exec_lo, s3
	s_cbranch_vccz .LBB481_1462
; %bb.1461:
	global_load_u8 v7, v[5:6], off
	s_mov_b32 s3, 0
	s_mov_b32 s11, -1
	s_waitcnt vmcnt(0)
	v_lshlrev_b32_e32 v10, 23, v7
	v_cmp_ne_u32_e32 vcc_lo, 0xff, v7
	s_delay_alu instid0(VALU_DEP_2) | instskip(NEXT) | instid1(VALU_DEP_1)
	v_cvt_f16_f32_e32 v10, v10
	v_cndmask_b32_e32 v10, 0x7e00, v10, vcc_lo
	v_cmp_ne_u32_e32 vcc_lo, 0, v7
	s_delay_alu instid0(VALU_DEP_2)
	v_cndmask_b32_e32 v7, 0, v10, vcc_lo
	s_branch .LBB481_1463
.LBB481_1462:
	s_mov_b32 s3, -1
                                        ; implicit-def: $vgpr7
.LBB481_1463:
	s_mov_b32 s12, 0
.LBB481_1464:
	s_delay_alu instid0(SALU_CYCLE_1)
	s_and_b32 vcc_lo, exec_lo, s12
	s_cbranch_vccz .LBB481_1468
; %bb.1465:
	v_cmp_eq_u16_e64 s3, s1, 29
	s_delay_alu instid0(VALU_DEP_1)
	s_and_b32 vcc_lo, exec_lo, s3
	s_cbranch_vccz .LBB481_1467
; %bb.1466:
	global_load_b64 v[10:11], v[5:6], off
	s_mov_b32 s3, 0
	s_mov_b32 s11, -1
	s_mov_b32 s12, 0
	s_waitcnt vmcnt(0)
	v_clz_i32_u32_e32 v7, v11
	s_delay_alu instid0(VALU_DEP_1) | instskip(NEXT) | instid1(VALU_DEP_1)
	v_min_u32_e32 v7, 32, v7
	v_lshlrev_b64 v[10:11], v7, v[10:11]
	v_sub_nc_u32_e32 v7, 32, v7
	s_delay_alu instid0(VALU_DEP_2) | instskip(NEXT) | instid1(VALU_DEP_1)
	v_min_u32_e32 v10, 1, v10
	v_or_b32_e32 v10, v11, v10
	s_delay_alu instid0(VALU_DEP_1) | instskip(NEXT) | instid1(VALU_DEP_1)
	v_cvt_f32_u32_e32 v10, v10
	v_ldexp_f32 v7, v10, v7
	s_delay_alu instid0(VALU_DEP_1)
	v_cvt_f16_f32_e32 v7, v7
	s_branch .LBB481_1469
.LBB481_1467:
	s_mov_b32 s3, -1
                                        ; implicit-def: $vgpr7
.LBB481_1468:
	s_mov_b32 s12, 0
.LBB481_1469:
	s_delay_alu instid0(SALU_CYCLE_1)
	s_and_b32 vcc_lo, exec_lo, s12
	s_cbranch_vccz .LBB481_1487
; %bb.1470:
	v_cmp_lt_i16_e64 s11, s1, 27
	s_delay_alu instid0(VALU_DEP_1)
	s_and_b32 vcc_lo, exec_lo, s11
	s_cbranch_vccnz .LBB481_1473
; %bb.1471:
	v_cmp_gt_i16_e64 s11, s1, 27
	s_delay_alu instid0(VALU_DEP_1)
	s_and_b32 vcc_lo, exec_lo, s11
	s_cbranch_vccz .LBB481_1474
; %bb.1472:
	global_load_b32 v7, v[5:6], off
	s_mov_b32 s11, 0
	s_waitcnt vmcnt(0)
	v_cvt_f32_u32_e32 v7, v7
	s_delay_alu instid0(VALU_DEP_1)
	v_cvt_f16_f32_e32 v7, v7
	s_branch .LBB481_1475
.LBB481_1473:
	s_mov_b32 s11, -1
                                        ; implicit-def: $vgpr7
	s_branch .LBB481_1478
.LBB481_1474:
	s_mov_b32 s11, -1
                                        ; implicit-def: $vgpr7
.LBB481_1475:
	s_delay_alu instid0(SALU_CYCLE_1)
	s_and_not1_b32 vcc_lo, exec_lo, s11
	s_cbranch_vccnz .LBB481_1477
; %bb.1476:
	global_load_u16 v7, v[5:6], off
	s_waitcnt vmcnt(0)
	v_cvt_f16_u16_e32 v7, v7
.LBB481_1477:
	s_mov_b32 s11, 0
.LBB481_1478:
	s_delay_alu instid0(SALU_CYCLE_1)
	s_and_not1_b32 vcc_lo, exec_lo, s11
	s_cbranch_vccnz .LBB481_1486
; %bb.1479:
	global_load_u8 v10, v[5:6], off
	s_mov_b32 s11, 0
	s_mov_b32 s13, exec_lo
                                        ; implicit-def: $sgpr12
	s_waitcnt vmcnt(0)
	v_cmpx_lt_i16_e32 0x7f, v10
	s_xor_b32 s13, exec_lo, s13
	s_cbranch_execz .LBB481_1500
; %bb.1480:
	s_mov_b32 s11, -1
	s_mov_b32 s14, exec_lo
                                        ; implicit-def: $sgpr12
	v_cmpx_eq_u16_e32 0x80, v10
; %bb.1481:
	s_movk_i32 s12, 0x7e00
	s_xor_b32 s11, exec_lo, -1
; %bb.1482:
	s_or_b32 exec_lo, exec_lo, s14
	s_delay_alu instid0(SALU_CYCLE_1)
	s_and_b32 s11, s11, exec_lo
	s_or_saveexec_b32 s13, s13
	v_mov_b32_e32 v7, s12
	s_xor_b32 exec_lo, exec_lo, s13
	s_cbranch_execnz .LBB481_1501
.LBB481_1483:
	s_or_b32 exec_lo, exec_lo, s13
	s_and_saveexec_b32 s12, s11
	s_cbranch_execz .LBB481_1485
.LBB481_1484:
	v_and_b32_e32 v7, 0xffff, v10
	s_delay_alu instid0(VALU_DEP_1) | instskip(NEXT) | instid1(VALU_DEP_1)
	v_and_b32_e32 v11, 7, v7
	v_clz_i32_u32_e32 v12, v11
	s_delay_alu instid0(VALU_DEP_1) | instskip(NEXT) | instid1(VALU_DEP_1)
	v_min_u32_e32 v12, 32, v12
	v_subrev_nc_u32_e32 v13, 28, v12
	v_sub_nc_u32_e32 v12, 29, v12
	s_delay_alu instid0(VALU_DEP_2) | instskip(SKIP_1) | instid1(VALU_DEP_2)
	v_lshlrev_b32_e32 v13, v13, v7
	v_bfe_u32 v7, v7, 3, 4
	v_and_b32_e32 v13, 7, v13
	s_delay_alu instid0(VALU_DEP_2) | instskip(SKIP_1) | instid1(VALU_DEP_1)
	v_cmp_eq_u32_e32 vcc_lo, 0, v7
	v_dual_cndmask_b32 v7, v7, v12 :: v_dual_lshlrev_b32 v10, 24, v10
	v_dual_cndmask_b32 v11, v11, v13 :: v_dual_and_b32 v10, 0x80000000, v10
	s_delay_alu instid0(VALU_DEP_2) | instskip(NEXT) | instid1(VALU_DEP_2)
	v_lshl_add_u32 v7, v7, 23, 0x3b800000
	v_lshlrev_b32_e32 v11, 20, v11
	s_delay_alu instid0(VALU_DEP_1) | instskip(NEXT) | instid1(VALU_DEP_1)
	v_or3_b32 v7, v10, v7, v11
	v_cvt_f16_f32_e32 v7, v7
.LBB481_1485:
	s_or_b32 exec_lo, exec_lo, s12
.LBB481_1486:
	s_mov_b32 s11, -1
.LBB481_1487:
	s_mov_b32 s12, 0
.LBB481_1488:
	s_delay_alu instid0(SALU_CYCLE_1)
	s_and_b32 vcc_lo, exec_lo, s12
	s_cbranch_vccz .LBB481_1521
; %bb.1489:
	v_cmp_gt_i16_e64 s10, s1, 22
	s_delay_alu instid0(VALU_DEP_1)
	s_and_b32 vcc_lo, exec_lo, s10
	s_cbranch_vccz .LBB481_1499
; %bb.1490:
	v_cmp_lt_i16_e64 s10, s1, 24
	s_delay_alu instid0(VALU_DEP_1)
	s_and_b32 vcc_lo, exec_lo, s10
	s_cbranch_vccnz .LBB481_1502
; %bb.1491:
	v_cmp_gt_i16_e64 s10, s1, 24
	s_delay_alu instid0(VALU_DEP_1)
	s_and_b32 vcc_lo, exec_lo, s10
	s_cbranch_vccz .LBB481_1503
; %bb.1492:
	global_load_u8 v10, v[5:6], off
	s_mov_b32 s10, 0
	s_mov_b32 s12, exec_lo
                                        ; implicit-def: $sgpr11
	s_waitcnt vmcnt(0)
	v_cmpx_lt_i16_e32 0x7f, v10
	s_xor_b32 s12, exec_lo, s12
	s_cbranch_execz .LBB481_1515
; %bb.1493:
	s_mov_b32 s10, -1
	s_mov_b32 s13, exec_lo
                                        ; implicit-def: $sgpr11
	v_cmpx_eq_u16_e32 0x80, v10
; %bb.1494:
	s_movk_i32 s11, 0x7e00
	s_xor_b32 s10, exec_lo, -1
; %bb.1495:
	s_or_b32 exec_lo, exec_lo, s13
	s_delay_alu instid0(SALU_CYCLE_1)
	s_and_b32 s10, s10, exec_lo
	s_or_saveexec_b32 s12, s12
	v_mov_b32_e32 v7, s11
	s_xor_b32 exec_lo, exec_lo, s12
	s_cbranch_execnz .LBB481_1516
.LBB481_1496:
	s_or_b32 exec_lo, exec_lo, s12
	s_and_saveexec_b32 s11, s10
	s_cbranch_execz .LBB481_1498
.LBB481_1497:
	v_and_b32_e32 v7, 0xffff, v10
	s_delay_alu instid0(VALU_DEP_1) | instskip(NEXT) | instid1(VALU_DEP_1)
	v_and_b32_e32 v11, 3, v7
	v_clz_i32_u32_e32 v12, v11
	s_delay_alu instid0(VALU_DEP_1) | instskip(NEXT) | instid1(VALU_DEP_1)
	v_min_u32_e32 v12, 32, v12
	v_subrev_nc_u32_e32 v13, 29, v12
	v_sub_nc_u32_e32 v12, 30, v12
	s_delay_alu instid0(VALU_DEP_2) | instskip(SKIP_1) | instid1(VALU_DEP_2)
	v_lshlrev_b32_e32 v13, v13, v7
	v_bfe_u32 v7, v7, 2, 5
	v_and_b32_e32 v13, 3, v13
	s_delay_alu instid0(VALU_DEP_2) | instskip(SKIP_1) | instid1(VALU_DEP_1)
	v_cmp_eq_u32_e32 vcc_lo, 0, v7
	v_dual_cndmask_b32 v7, v7, v12 :: v_dual_lshlrev_b32 v10, 24, v10
	v_dual_cndmask_b32 v11, v11, v13 :: v_dual_and_b32 v10, 0x80000000, v10
	s_delay_alu instid0(VALU_DEP_2) | instskip(NEXT) | instid1(VALU_DEP_2)
	v_lshl_add_u32 v7, v7, 23, 0x37800000
	v_lshlrev_b32_e32 v11, 21, v11
	s_delay_alu instid0(VALU_DEP_1) | instskip(NEXT) | instid1(VALU_DEP_1)
	v_or3_b32 v7, v10, v7, v11
	v_cvt_f16_f32_e32 v7, v7
.LBB481_1498:
	s_or_b32 exec_lo, exec_lo, s11
	s_mov_b32 s10, 0
	s_branch .LBB481_1504
.LBB481_1499:
	s_mov_b32 s10, -1
                                        ; implicit-def: $vgpr7
	s_branch .LBB481_1510
.LBB481_1500:
	s_or_saveexec_b32 s13, s13
	v_mov_b32_e32 v7, s12
	s_xor_b32 exec_lo, exec_lo, s13
	s_cbranch_execz .LBB481_1483
.LBB481_1501:
	v_cmp_ne_u16_e32 vcc_lo, 0, v10
	v_mov_b32_e32 v7, v10
	s_and_not1_b32 s11, s11, exec_lo
	s_and_b32 s12, vcc_lo, exec_lo
	s_delay_alu instid0(SALU_CYCLE_1)
	s_or_b32 s11, s11, s12
	s_or_b32 exec_lo, exec_lo, s13
	s_and_saveexec_b32 s12, s11
	s_cbranch_execnz .LBB481_1484
	s_branch .LBB481_1485
.LBB481_1502:
	s_mov_b32 s10, -1
                                        ; implicit-def: $vgpr7
	s_branch .LBB481_1507
.LBB481_1503:
	s_mov_b32 s10, -1
                                        ; implicit-def: $vgpr7
.LBB481_1504:
	s_delay_alu instid0(SALU_CYCLE_1)
	s_and_b32 vcc_lo, exec_lo, s10
	s_cbranch_vccz .LBB481_1506
; %bb.1505:
	global_load_u8 v7, v[5:6], off
	s_waitcnt vmcnt(0)
	v_lshlrev_b32_e32 v7, 24, v7
	s_delay_alu instid0(VALU_DEP_1) | instskip(NEXT) | instid1(VALU_DEP_1)
	v_and_b32_e32 v10, 0x7f000000, v7
	v_clz_i32_u32_e32 v11, v10
	v_cmp_ne_u32_e32 vcc_lo, 0, v10
	v_add_nc_u32_e32 v13, 0x1000000, v10
	s_delay_alu instid0(VALU_DEP_3) | instskip(NEXT) | instid1(VALU_DEP_1)
	v_min_u32_e32 v11, 32, v11
	v_sub_nc_u32_e64 v11, v11, 4 clamp
	s_delay_alu instid0(VALU_DEP_1) | instskip(SKIP_1) | instid1(VALU_DEP_2)
	v_lshlrev_b32_e32 v12, v11, v10
	v_lshlrev_b32_e32 v11, 23, v11
	v_lshrrev_b32_e32 v12, 4, v12
	s_delay_alu instid0(VALU_DEP_1) | instskip(SKIP_1) | instid1(VALU_DEP_2)
	v_sub_nc_u32_e32 v11, v12, v11
	v_ashrrev_i32_e32 v12, 8, v13
	v_add_nc_u32_e32 v11, 0x3c000000, v11
	s_delay_alu instid0(VALU_DEP_1) | instskip(NEXT) | instid1(VALU_DEP_1)
	v_and_or_b32 v11, 0x7f800000, v12, v11
	v_cndmask_b32_e32 v10, 0, v11, vcc_lo
	s_delay_alu instid0(VALU_DEP_1) | instskip(NEXT) | instid1(VALU_DEP_1)
	v_and_or_b32 v7, 0x80000000, v7, v10
	v_cvt_f16_f32_e32 v7, v7
.LBB481_1506:
	s_mov_b32 s10, 0
.LBB481_1507:
	s_delay_alu instid0(SALU_CYCLE_1)
	s_and_not1_b32 vcc_lo, exec_lo, s10
	s_cbranch_vccnz .LBB481_1509
; %bb.1508:
	global_load_u8 v7, v[5:6], off
	s_waitcnt vmcnt(0)
	v_lshlrev_b32_e32 v10, 25, v7
	v_lshlrev_b16 v7, 8, v7
	s_delay_alu instid0(VALU_DEP_2) | instskip(NEXT) | instid1(VALU_DEP_2)
	v_lshrrev_b32_e32 v11, 4, v10
	v_and_or_b32 v12, 0x7f00, v7, 0.5
	v_cmp_gt_u32_e32 vcc_lo, 0x8000000, v10
	v_bfe_i32 v7, v7, 0, 16
	s_delay_alu instid0(VALU_DEP_4) | instskip(NEXT) | instid1(VALU_DEP_1)
	v_or_b32_e32 v11, 0x70000000, v11
	v_dual_add_f32 v12, -0.5, v12 :: v_dual_mul_f32 v11, 0x7800000, v11
	s_delay_alu instid0(VALU_DEP_1) | instskip(NEXT) | instid1(VALU_DEP_1)
	v_cndmask_b32_e32 v10, v11, v12, vcc_lo
	v_and_or_b32 v7, 0x80000000, v7, v10
	s_delay_alu instid0(VALU_DEP_1)
	v_cvt_f16_f32_e32 v7, v7
.LBB481_1509:
	s_mov_b32 s10, 0
	s_mov_b32 s11, -1
.LBB481_1510:
	s_and_not1_b32 vcc_lo, exec_lo, s10
	s_mov_b32 s10, 0
	s_cbranch_vccnz .LBB481_1521
; %bb.1511:
	v_cmp_gt_i16_e64 s10, s1, 14
	s_delay_alu instid0(VALU_DEP_1)
	s_and_b32 vcc_lo, exec_lo, s10
	s_cbranch_vccz .LBB481_1514
; %bb.1512:
	v_cmp_eq_u16_e64 s3, s1, 15
	s_delay_alu instid0(VALU_DEP_1)
	s_and_b32 vcc_lo, exec_lo, s3
	s_cbranch_vccz .LBB481_1517
; %bb.1513:
	global_load_u16 v7, v[5:6], off
	s_mov_b32 s3, 0
	s_mov_b32 s11, -1
	s_waitcnt vmcnt(0)
	v_lshlrev_b32_e32 v7, 16, v7
	s_delay_alu instid0(VALU_DEP_1)
	v_cvt_f16_f32_e32 v7, v7
	s_branch .LBB481_1518
.LBB481_1514:
	s_mov_b32 s10, -1
                                        ; implicit-def: $vgpr7
	s_branch .LBB481_1519
.LBB481_1515:
	s_or_saveexec_b32 s12, s12
	v_mov_b32_e32 v7, s11
	s_xor_b32 exec_lo, exec_lo, s12
	s_cbranch_execz .LBB481_1496
.LBB481_1516:
	v_cmp_ne_u16_e32 vcc_lo, 0, v10
	v_mov_b32_e32 v7, v10
	s_and_not1_b32 s10, s10, exec_lo
	s_and_b32 s11, vcc_lo, exec_lo
	s_delay_alu instid0(SALU_CYCLE_1)
	s_or_b32 s10, s10, s11
	s_or_b32 exec_lo, exec_lo, s12
	s_and_saveexec_b32 s11, s10
	s_cbranch_execnz .LBB481_1497
	s_branch .LBB481_1498
.LBB481_1517:
	s_mov_b32 s3, -1
                                        ; implicit-def: $vgpr7
.LBB481_1518:
	s_mov_b32 s10, 0
.LBB481_1519:
	s_delay_alu instid0(SALU_CYCLE_1)
	s_and_b32 vcc_lo, exec_lo, s10
	s_mov_b32 s10, 0
	s_cbranch_vccz .LBB481_1521
; %bb.1520:
	v_cmp_ne_u16_e64 s3, s1, 11
	s_mov_b32 s10, -1
                                        ; implicit-def: $vgpr7
.LBB481_1521:
	s_delay_alu instid0(VALU_DEP_1)
	s_and_b32 vcc_lo, exec_lo, s3
	s_cbranch_vccnz .LBB481_1537
; %bb.1522:
	s_and_not1_b32 vcc_lo, exec_lo, s10
	s_cbranch_vccnz .LBB481_1524
.LBB481_1523:
	global_load_u8 v7, v[5:6], off
	s_mov_b32 s11, -1
	s_waitcnt vmcnt(0)
	v_cmp_ne_u16_e32 vcc_lo, 0, v7
	v_cndmask_b32_e64 v7, 0, 0x3c00, vcc_lo
.LBB481_1524:
.LBB481_1525:
	s_and_not1_b32 vcc_lo, exec_lo, s11
	s_cbranch_vccnz .LBB481_2090
.LBB481_1526:
	v_cmp_lt_i16_e64 s3, s1, 11
	v_add_co_u32 v4, s6, s6, v4
	s_delay_alu instid0(VALU_DEP_1) | instskip(NEXT) | instid1(VALU_DEP_3)
	v_add_co_ci_u32_e64 v5, null, s7, 0, s6
	s_and_b32 vcc_lo, exec_lo, s3
	s_mov_b32 s7, 0
	s_cbranch_vccnz .LBB481_1533
; %bb.1527:
	v_cmp_gt_i16_e64 s3, s1, 25
	s_mov_b32 s6, 0
	s_delay_alu instid0(VALU_DEP_1)
	s_and_b32 vcc_lo, exec_lo, s3
	s_cbranch_vccz .LBB481_1534
; %bb.1528:
	v_cmp_gt_i16_e64 s3, s1, 28
	s_delay_alu instid0(VALU_DEP_1)
	s_and_b32 vcc_lo, exec_lo, s3
	s_cbranch_vccz .LBB481_1535
; %bb.1529:
	v_cmp_gt_i16_e64 s3, s1, 43
	;; [unrolled: 5-line block ×3, first 2 shown]
	s_delay_alu instid0(VALU_DEP_1)
	s_and_b32 vcc_lo, exec_lo, s3
	s_cbranch_vccz .LBB481_1539
; %bb.1531:
	v_cmp_eq_u16_e64 s3, s1, 46
	s_mov_b32 s10, 0
	s_delay_alu instid0(VALU_DEP_1)
	s_and_b32 vcc_lo, exec_lo, s3
	s_cbranch_vccz .LBB481_1542
; %bb.1532:
	global_load_b32 v6, v[4:5], off
	s_mov_b32 s3, 0
	s_mov_b32 s7, -1
	s_waitcnt vmcnt(0)
	v_lshlrev_b32_e32 v6, 16, v6
	s_delay_alu instid0(VALU_DEP_1)
	v_cvt_f16_f32_e32 v6, v6
	s_branch .LBB481_1544
.LBB481_1533:
	s_mov_b32 s3, -1
                                        ; implicit-def: $vgpr6
	s_branch .LBB481_1610
.LBB481_1534:
	s_mov_b32 s10, -1
	s_mov_b32 s3, 0
                                        ; implicit-def: $vgpr6
	s_branch .LBB481_1573
.LBB481_1535:
	s_mov_b32 s10, -1
	s_mov_b32 s3, 0
                                        ; implicit-def: $vgpr6
	s_branch .LBB481_1554
.LBB481_1536:
	s_mov_b32 s10, -1
	s_mov_b32 s3, 0
                                        ; implicit-def: $vgpr6
	s_branch .LBB481_1549
.LBB481_1537:
	s_cbranch_execnz .LBB481_1540
; %bb.1538:
	s_or_b32 s2, s2, exec_lo
                                        ; implicit-def: $vgpr7
	s_cbranch_execz .LBB481_1523
	s_branch .LBB481_1524
.LBB481_1539:
	s_mov_b32 s10, -1
	s_mov_b32 s3, 0
	s_branch .LBB481_1543
.LBB481_1540:
	s_trap 2
	s_sendmsg_rtn_b32 s0, sendmsg(MSG_RTN_GET_DOORBELL)
	s_mov_b32 ttmp2, m0
	s_waitcnt lgkmcnt(0)
	s_and_b32 s0, s0, 0x3ff
	s_delay_alu instid0(SALU_CYCLE_1) | instskip(NEXT) | instid1(SALU_CYCLE_1)
	s_bitset1_b32 s0, 10
	s_mov_b32 m0, s0
	s_sendmsg sendmsg(MSG_INTERRUPT)
	s_mov_b32 m0, ttmp2
.LBB481_1541:                           ; =>This Inner Loop Header: Depth=1
	s_sethalt 5
	s_branch .LBB481_1541
.LBB481_1542:
	s_mov_b32 s3, -1
.LBB481_1543:
                                        ; implicit-def: $vgpr6
.LBB481_1544:
	s_and_b32 vcc_lo, exec_lo, s10
	s_cbranch_vccz .LBB481_1548
; %bb.1545:
	v_cmp_eq_u16_e64 s3, s1, 44
	s_delay_alu instid0(VALU_DEP_1)
	s_and_b32 vcc_lo, exec_lo, s3
	s_cbranch_vccz .LBB481_1547
; %bb.1546:
	global_load_u8 v6, v[4:5], off
	s_mov_b32 s3, 0
	s_mov_b32 s7, -1
	s_waitcnt vmcnt(0)
	v_lshlrev_b32_e32 v10, 23, v6
	v_cmp_ne_u32_e32 vcc_lo, 0xff, v6
	s_delay_alu instid0(VALU_DEP_2) | instskip(NEXT) | instid1(VALU_DEP_1)
	v_cvt_f16_f32_e32 v10, v10
	v_cndmask_b32_e32 v10, 0x7e00, v10, vcc_lo
	v_cmp_ne_u32_e32 vcc_lo, 0, v6
	s_delay_alu instid0(VALU_DEP_2)
	v_cndmask_b32_e32 v6, 0, v10, vcc_lo
	s_branch .LBB481_1548
.LBB481_1547:
	s_mov_b32 s3, -1
                                        ; implicit-def: $vgpr6
.LBB481_1548:
	s_mov_b32 s10, 0
.LBB481_1549:
	s_delay_alu instid0(SALU_CYCLE_1)
	s_and_b32 vcc_lo, exec_lo, s10
	s_cbranch_vccz .LBB481_1553
; %bb.1550:
	v_cmp_eq_u16_e64 s3, s1, 29
	s_delay_alu instid0(VALU_DEP_1)
	s_and_b32 vcc_lo, exec_lo, s3
	s_cbranch_vccz .LBB481_1552
; %bb.1551:
	global_load_b64 v[10:11], v[4:5], off
	s_mov_b32 s3, 0
	s_mov_b32 s7, -1
	s_mov_b32 s10, 0
	s_waitcnt vmcnt(0)
	v_clz_i32_u32_e32 v6, v11
	s_delay_alu instid0(VALU_DEP_1) | instskip(NEXT) | instid1(VALU_DEP_1)
	v_min_u32_e32 v6, 32, v6
	v_lshlrev_b64 v[10:11], v6, v[10:11]
	v_sub_nc_u32_e32 v6, 32, v6
	s_delay_alu instid0(VALU_DEP_2) | instskip(NEXT) | instid1(VALU_DEP_1)
	v_min_u32_e32 v10, 1, v10
	v_or_b32_e32 v10, v11, v10
	s_delay_alu instid0(VALU_DEP_1) | instskip(NEXT) | instid1(VALU_DEP_1)
	v_cvt_f32_u32_e32 v10, v10
	v_ldexp_f32 v6, v10, v6
	s_delay_alu instid0(VALU_DEP_1)
	v_cvt_f16_f32_e32 v6, v6
	s_branch .LBB481_1554
.LBB481_1552:
	s_mov_b32 s3, -1
                                        ; implicit-def: $vgpr6
.LBB481_1553:
	s_mov_b32 s10, 0
.LBB481_1554:
	s_delay_alu instid0(SALU_CYCLE_1)
	s_and_b32 vcc_lo, exec_lo, s10
	s_cbranch_vccz .LBB481_1572
; %bb.1555:
	v_cmp_lt_i16_e64 s7, s1, 27
	s_delay_alu instid0(VALU_DEP_1)
	s_and_b32 vcc_lo, exec_lo, s7
	s_cbranch_vccnz .LBB481_1558
; %bb.1556:
	v_cmp_gt_i16_e64 s7, s1, 27
	s_delay_alu instid0(VALU_DEP_1)
	s_and_b32 vcc_lo, exec_lo, s7
	s_cbranch_vccz .LBB481_1559
; %bb.1557:
	global_load_b32 v6, v[4:5], off
	s_mov_b32 s7, 0
	s_waitcnt vmcnt(0)
	v_cvt_f32_u32_e32 v6, v6
	s_delay_alu instid0(VALU_DEP_1)
	v_cvt_f16_f32_e32 v6, v6
	s_branch .LBB481_1560
.LBB481_1558:
	s_mov_b32 s7, -1
                                        ; implicit-def: $vgpr6
	s_branch .LBB481_1563
.LBB481_1559:
	s_mov_b32 s7, -1
                                        ; implicit-def: $vgpr6
.LBB481_1560:
	s_delay_alu instid0(SALU_CYCLE_1)
	s_and_not1_b32 vcc_lo, exec_lo, s7
	s_cbranch_vccnz .LBB481_1562
; %bb.1561:
	global_load_u16 v6, v[4:5], off
	s_waitcnt vmcnt(0)
	v_cvt_f16_u16_e32 v6, v6
.LBB481_1562:
	s_mov_b32 s7, 0
.LBB481_1563:
	s_delay_alu instid0(SALU_CYCLE_1)
	s_and_not1_b32 vcc_lo, exec_lo, s7
	s_cbranch_vccnz .LBB481_1571
; %bb.1564:
	global_load_u8 v10, v[4:5], off
	s_mov_b32 s7, 0
	s_mov_b32 s11, exec_lo
                                        ; implicit-def: $sgpr10
	s_waitcnt vmcnt(0)
	v_cmpx_lt_i16_e32 0x7f, v10
	s_xor_b32 s11, exec_lo, s11
	s_cbranch_execz .LBB481_1585
; %bb.1565:
	s_mov_b32 s7, -1
	s_mov_b32 s12, exec_lo
                                        ; implicit-def: $sgpr10
	v_cmpx_eq_u16_e32 0x80, v10
; %bb.1566:
	s_movk_i32 s10, 0x7e00
	s_xor_b32 s7, exec_lo, -1
; %bb.1567:
	s_or_b32 exec_lo, exec_lo, s12
	s_delay_alu instid0(SALU_CYCLE_1)
	s_and_b32 s7, s7, exec_lo
	s_or_saveexec_b32 s11, s11
	v_mov_b32_e32 v6, s10
	s_xor_b32 exec_lo, exec_lo, s11
	s_cbranch_execnz .LBB481_1586
.LBB481_1568:
	s_or_b32 exec_lo, exec_lo, s11
	s_and_saveexec_b32 s10, s7
	s_cbranch_execz .LBB481_1570
.LBB481_1569:
	v_and_b32_e32 v6, 0xffff, v10
	v_lshlrev_b32_e32 v10, 24, v10
	s_delay_alu instid0(VALU_DEP_2) | instskip(NEXT) | instid1(VALU_DEP_2)
	v_and_b32_e32 v11, 7, v6
	v_and_b32_e32 v10, 0x80000000, v10
	s_delay_alu instid0(VALU_DEP_2) | instskip(NEXT) | instid1(VALU_DEP_1)
	v_clz_i32_u32_e32 v12, v11
	v_min_u32_e32 v12, 32, v12
	s_delay_alu instid0(VALU_DEP_1) | instskip(SKIP_1) | instid1(VALU_DEP_2)
	v_subrev_nc_u32_e32 v13, 28, v12
	v_sub_nc_u32_e32 v12, 29, v12
	v_lshlrev_b32_e32 v13, v13, v6
	v_bfe_u32 v6, v6, 3, 4
	s_delay_alu instid0(VALU_DEP_2) | instskip(NEXT) | instid1(VALU_DEP_2)
	v_and_b32_e32 v13, 7, v13
	v_cmp_eq_u32_e32 vcc_lo, 0, v6
	s_delay_alu instid0(VALU_DEP_2) | instskip(NEXT) | instid1(VALU_DEP_1)
	v_dual_cndmask_b32 v6, v6, v12 :: v_dual_cndmask_b32 v11, v11, v13
	v_lshl_add_u32 v6, v6, 23, 0x3b800000
	s_delay_alu instid0(VALU_DEP_2) | instskip(NEXT) | instid1(VALU_DEP_1)
	v_lshlrev_b32_e32 v11, 20, v11
	v_or3_b32 v6, v10, v6, v11
	s_delay_alu instid0(VALU_DEP_1)
	v_cvt_f16_f32_e32 v6, v6
.LBB481_1570:
	s_or_b32 exec_lo, exec_lo, s10
.LBB481_1571:
	s_mov_b32 s7, -1
.LBB481_1572:
	s_mov_b32 s10, 0
.LBB481_1573:
	s_delay_alu instid0(SALU_CYCLE_1)
	s_and_b32 vcc_lo, exec_lo, s10
	s_cbranch_vccz .LBB481_1606
; %bb.1574:
	v_cmp_gt_i16_e64 s6, s1, 22
	s_delay_alu instid0(VALU_DEP_1)
	s_and_b32 vcc_lo, exec_lo, s6
	s_cbranch_vccz .LBB481_1584
; %bb.1575:
	v_cmp_lt_i16_e64 s6, s1, 24
	s_delay_alu instid0(VALU_DEP_1)
	s_and_b32 vcc_lo, exec_lo, s6
	s_cbranch_vccnz .LBB481_1587
; %bb.1576:
	v_cmp_gt_i16_e64 s6, s1, 24
	s_delay_alu instid0(VALU_DEP_1)
	s_and_b32 vcc_lo, exec_lo, s6
	s_cbranch_vccz .LBB481_1588
; %bb.1577:
	global_load_u8 v10, v[4:5], off
	s_mov_b32 s6, 0
	s_mov_b32 s10, exec_lo
                                        ; implicit-def: $sgpr7
	s_waitcnt vmcnt(0)
	v_cmpx_lt_i16_e32 0x7f, v10
	s_xor_b32 s10, exec_lo, s10
	s_cbranch_execz .LBB481_1600
; %bb.1578:
	s_mov_b32 s6, -1
	s_mov_b32 s11, exec_lo
                                        ; implicit-def: $sgpr7
	v_cmpx_eq_u16_e32 0x80, v10
; %bb.1579:
	s_movk_i32 s7, 0x7e00
	s_xor_b32 s6, exec_lo, -1
; %bb.1580:
	s_or_b32 exec_lo, exec_lo, s11
	s_delay_alu instid0(SALU_CYCLE_1)
	s_and_b32 s6, s6, exec_lo
	s_or_saveexec_b32 s10, s10
	v_mov_b32_e32 v6, s7
	s_xor_b32 exec_lo, exec_lo, s10
	s_cbranch_execnz .LBB481_1601
.LBB481_1581:
	s_or_b32 exec_lo, exec_lo, s10
	s_and_saveexec_b32 s7, s6
	s_cbranch_execz .LBB481_1583
.LBB481_1582:
	v_and_b32_e32 v6, 0xffff, v10
	v_lshlrev_b32_e32 v10, 24, v10
	s_delay_alu instid0(VALU_DEP_2) | instskip(NEXT) | instid1(VALU_DEP_2)
	v_and_b32_e32 v11, 3, v6
	v_and_b32_e32 v10, 0x80000000, v10
	s_delay_alu instid0(VALU_DEP_2) | instskip(NEXT) | instid1(VALU_DEP_1)
	v_clz_i32_u32_e32 v12, v11
	v_min_u32_e32 v12, 32, v12
	s_delay_alu instid0(VALU_DEP_1) | instskip(SKIP_1) | instid1(VALU_DEP_2)
	v_subrev_nc_u32_e32 v13, 29, v12
	v_sub_nc_u32_e32 v12, 30, v12
	v_lshlrev_b32_e32 v13, v13, v6
	v_bfe_u32 v6, v6, 2, 5
	s_delay_alu instid0(VALU_DEP_2) | instskip(NEXT) | instid1(VALU_DEP_2)
	v_and_b32_e32 v13, 3, v13
	v_cmp_eq_u32_e32 vcc_lo, 0, v6
	s_delay_alu instid0(VALU_DEP_2) | instskip(NEXT) | instid1(VALU_DEP_1)
	v_dual_cndmask_b32 v6, v6, v12 :: v_dual_cndmask_b32 v11, v11, v13
	v_lshl_add_u32 v6, v6, 23, 0x37800000
	s_delay_alu instid0(VALU_DEP_2) | instskip(NEXT) | instid1(VALU_DEP_1)
	v_lshlrev_b32_e32 v11, 21, v11
	v_or3_b32 v6, v10, v6, v11
	s_delay_alu instid0(VALU_DEP_1)
	v_cvt_f16_f32_e32 v6, v6
.LBB481_1583:
	s_or_b32 exec_lo, exec_lo, s7
	s_mov_b32 s6, 0
	s_branch .LBB481_1589
.LBB481_1584:
	s_mov_b32 s6, -1
                                        ; implicit-def: $vgpr6
	s_branch .LBB481_1595
.LBB481_1585:
	s_or_saveexec_b32 s11, s11
	v_mov_b32_e32 v6, s10
	s_xor_b32 exec_lo, exec_lo, s11
	s_cbranch_execz .LBB481_1568
.LBB481_1586:
	v_cmp_ne_u16_e32 vcc_lo, 0, v10
	v_mov_b32_e32 v6, v10
	s_and_not1_b32 s7, s7, exec_lo
	s_and_b32 s10, vcc_lo, exec_lo
	s_delay_alu instid0(SALU_CYCLE_1)
	s_or_b32 s7, s7, s10
	s_or_b32 exec_lo, exec_lo, s11
	s_and_saveexec_b32 s10, s7
	s_cbranch_execnz .LBB481_1569
	s_branch .LBB481_1570
.LBB481_1587:
	s_mov_b32 s6, -1
                                        ; implicit-def: $vgpr6
	s_branch .LBB481_1592
.LBB481_1588:
	s_mov_b32 s6, -1
                                        ; implicit-def: $vgpr6
.LBB481_1589:
	s_delay_alu instid0(SALU_CYCLE_1)
	s_and_b32 vcc_lo, exec_lo, s6
	s_cbranch_vccz .LBB481_1591
; %bb.1590:
	global_load_u8 v6, v[4:5], off
	s_waitcnt vmcnt(0)
	v_lshlrev_b32_e32 v6, 24, v6
	s_delay_alu instid0(VALU_DEP_1) | instskip(NEXT) | instid1(VALU_DEP_1)
	v_and_b32_e32 v10, 0x7f000000, v6
	v_clz_i32_u32_e32 v11, v10
	v_cmp_ne_u32_e32 vcc_lo, 0, v10
	v_add_nc_u32_e32 v13, 0x1000000, v10
	s_delay_alu instid0(VALU_DEP_3) | instskip(NEXT) | instid1(VALU_DEP_1)
	v_min_u32_e32 v11, 32, v11
	v_sub_nc_u32_e64 v11, v11, 4 clamp
	s_delay_alu instid0(VALU_DEP_1) | instskip(SKIP_1) | instid1(VALU_DEP_2)
	v_lshlrev_b32_e32 v12, v11, v10
	v_lshlrev_b32_e32 v11, 23, v11
	v_lshrrev_b32_e32 v12, 4, v12
	s_delay_alu instid0(VALU_DEP_1) | instskip(SKIP_1) | instid1(VALU_DEP_2)
	v_sub_nc_u32_e32 v11, v12, v11
	v_ashrrev_i32_e32 v12, 8, v13
	v_add_nc_u32_e32 v11, 0x3c000000, v11
	s_delay_alu instid0(VALU_DEP_1) | instskip(NEXT) | instid1(VALU_DEP_1)
	v_and_or_b32 v11, 0x7f800000, v12, v11
	v_cndmask_b32_e32 v10, 0, v11, vcc_lo
	s_delay_alu instid0(VALU_DEP_1) | instskip(NEXT) | instid1(VALU_DEP_1)
	v_and_or_b32 v6, 0x80000000, v6, v10
	v_cvt_f16_f32_e32 v6, v6
.LBB481_1591:
	s_mov_b32 s6, 0
.LBB481_1592:
	s_delay_alu instid0(SALU_CYCLE_1)
	s_and_not1_b32 vcc_lo, exec_lo, s6
	s_cbranch_vccnz .LBB481_1594
; %bb.1593:
	global_load_u8 v6, v[4:5], off
	s_waitcnt vmcnt(0)
	v_lshlrev_b32_e32 v10, 25, v6
	v_lshlrev_b16 v6, 8, v6
	s_delay_alu instid0(VALU_DEP_2) | instskip(NEXT) | instid1(VALU_DEP_2)
	v_lshrrev_b32_e32 v11, 4, v10
	v_and_or_b32 v12, 0x7f00, v6, 0.5
	v_bfe_i32 v6, v6, 0, 16
	s_delay_alu instid0(VALU_DEP_3) | instskip(NEXT) | instid1(VALU_DEP_1)
	v_or_b32_e32 v11, 0x70000000, v11
	v_dual_add_f32 v12, -0.5, v12 :: v_dual_mul_f32 v11, 0x7800000, v11
	v_cmp_gt_u32_e32 vcc_lo, 0x8000000, v10
	s_delay_alu instid0(VALU_DEP_2) | instskip(NEXT) | instid1(VALU_DEP_1)
	v_cndmask_b32_e32 v10, v11, v12, vcc_lo
	v_and_or_b32 v6, 0x80000000, v6, v10
	s_delay_alu instid0(VALU_DEP_1)
	v_cvt_f16_f32_e32 v6, v6
.LBB481_1594:
	s_mov_b32 s6, 0
	s_mov_b32 s7, -1
.LBB481_1595:
	s_and_not1_b32 vcc_lo, exec_lo, s6
	s_mov_b32 s6, 0
	s_cbranch_vccnz .LBB481_1606
; %bb.1596:
	v_cmp_gt_i16_e64 s6, s1, 14
	s_delay_alu instid0(VALU_DEP_1)
	s_and_b32 vcc_lo, exec_lo, s6
	s_cbranch_vccz .LBB481_1599
; %bb.1597:
	v_cmp_eq_u16_e64 s3, s1, 15
	s_delay_alu instid0(VALU_DEP_1)
	s_and_b32 vcc_lo, exec_lo, s3
	s_cbranch_vccz .LBB481_1602
; %bb.1598:
	global_load_u16 v6, v[4:5], off
	s_mov_b32 s3, 0
	s_mov_b32 s7, -1
	s_waitcnt vmcnt(0)
	v_lshlrev_b32_e32 v6, 16, v6
	s_delay_alu instid0(VALU_DEP_1)
	v_cvt_f16_f32_e32 v6, v6
	s_branch .LBB481_1603
.LBB481_1599:
	s_mov_b32 s6, -1
                                        ; implicit-def: $vgpr6
	s_branch .LBB481_1604
.LBB481_1600:
	s_or_saveexec_b32 s10, s10
	v_mov_b32_e32 v6, s7
	s_xor_b32 exec_lo, exec_lo, s10
	s_cbranch_execz .LBB481_1581
.LBB481_1601:
	v_cmp_ne_u16_e32 vcc_lo, 0, v10
	v_mov_b32_e32 v6, v10
	s_and_not1_b32 s6, s6, exec_lo
	s_and_b32 s7, vcc_lo, exec_lo
	s_delay_alu instid0(SALU_CYCLE_1)
	s_or_b32 s6, s6, s7
	s_or_b32 exec_lo, exec_lo, s10
	s_and_saveexec_b32 s7, s6
	s_cbranch_execnz .LBB481_1582
	s_branch .LBB481_1583
.LBB481_1602:
	s_mov_b32 s3, -1
                                        ; implicit-def: $vgpr6
.LBB481_1603:
	s_mov_b32 s6, 0
.LBB481_1604:
	s_delay_alu instid0(SALU_CYCLE_1)
	s_and_b32 vcc_lo, exec_lo, s6
	s_mov_b32 s6, 0
	s_cbranch_vccz .LBB481_1606
; %bb.1605:
	v_cmp_ne_u16_e64 s3, s1, 11
	s_mov_b32 s6, -1
                                        ; implicit-def: $vgpr6
.LBB481_1606:
	s_delay_alu instid0(VALU_DEP_1)
	s_and_b32 vcc_lo, exec_lo, s3
	s_cbranch_vccnz .LBB481_2135
; %bb.1607:
	s_and_not1_b32 vcc_lo, exec_lo, s6
	s_cbranch_vccnz .LBB481_1609
.LBB481_1608:
	global_load_u8 v6, v[4:5], off
	s_mov_b32 s7, -1
	s_waitcnt vmcnt(0)
	v_cmp_ne_u16_e32 vcc_lo, 0, v6
	v_cndmask_b32_e64 v6, 0, 0x3c00, vcc_lo
.LBB481_1609:
	s_mov_b32 s3, 0
.LBB481_1610:
	s_delay_alu instid0(SALU_CYCLE_1)
	s_and_b32 vcc_lo, exec_lo, s3
	s_cbranch_vccz .LBB481_1659
; %bb.1611:
	v_cmp_lt_i16_e64 s3, s1, 5
	s_delay_alu instid0(VALU_DEP_1)
	s_and_b32 vcc_lo, exec_lo, s3
	s_cbranch_vccnz .LBB481_1616
; %bb.1612:
	v_cmp_lt_i16_e64 s3, s1, 8
	s_delay_alu instid0(VALU_DEP_1)
	s_and_b32 vcc_lo, exec_lo, s3
	s_cbranch_vccnz .LBB481_1617
	;; [unrolled: 5-line block ×3, first 2 shown]
; %bb.1614:
	v_cmp_gt_i16_e64 s3, s1, 9
	s_delay_alu instid0(VALU_DEP_1)
	s_and_b32 vcc_lo, exec_lo, s3
	s_cbranch_vccz .LBB481_1619
; %bb.1615:
	global_load_b64 v[10:11], v[4:5], off
	s_mov_b32 s3, 0
	s_waitcnt vmcnt(0)
	v_cvt_f32_f64_e32 v6, v[10:11]
	s_delay_alu instid0(VALU_DEP_1)
	v_cvt_f16_f32_e32 v6, v6
	s_branch .LBB481_1620
.LBB481_1616:
	s_mov_b32 s3, -1
                                        ; implicit-def: $vgpr6
	s_branch .LBB481_1638
.LBB481_1617:
	s_mov_b32 s3, -1
                                        ; implicit-def: $vgpr6
	s_branch .LBB481_1626
.LBB481_1618:
	s_mov_b32 s3, -1
                                        ; implicit-def: $vgpr6
	s_branch .LBB481_1623
.LBB481_1619:
	s_mov_b32 s3, -1
                                        ; implicit-def: $vgpr6
.LBB481_1620:
	s_delay_alu instid0(SALU_CYCLE_1)
	s_and_not1_b32 vcc_lo, exec_lo, s3
	s_cbranch_vccnz .LBB481_1622
; %bb.1621:
	global_load_b32 v6, v[4:5], off
	s_waitcnt vmcnt(0)
	v_cvt_f16_f32_e32 v6, v6
.LBB481_1622:
	s_mov_b32 s3, 0
.LBB481_1623:
	s_delay_alu instid0(SALU_CYCLE_1)
	s_and_not1_b32 vcc_lo, exec_lo, s3
	s_cbranch_vccnz .LBB481_1625
; %bb.1624:
	global_load_b32 v6, v[4:5], off
.LBB481_1625:
	s_mov_b32 s3, 0
.LBB481_1626:
	s_delay_alu instid0(SALU_CYCLE_1)
	s_and_not1_b32 vcc_lo, exec_lo, s3
	s_cbranch_vccnz .LBB481_1637
; %bb.1627:
	v_cmp_lt_i16_e64 s3, s1, 6
	s_delay_alu instid0(VALU_DEP_1)
	s_and_b32 vcc_lo, exec_lo, s3
	s_cbranch_vccnz .LBB481_1630
; %bb.1628:
	v_cmp_gt_i16_e64 s3, s1, 6
	s_delay_alu instid0(VALU_DEP_1)
	s_and_b32 vcc_lo, exec_lo, s3
	s_cbranch_vccz .LBB481_1631
; %bb.1629:
	global_load_b64 v[10:11], v[4:5], off
	s_mov_b32 s3, 0
	s_waitcnt vmcnt(0)
	v_cvt_f32_f64_e32 v6, v[10:11]
	s_delay_alu instid0(VALU_DEP_1)
	v_cvt_f16_f32_e32 v6, v6
	s_branch .LBB481_1632
.LBB481_1630:
	s_mov_b32 s3, -1
                                        ; implicit-def: $vgpr6
	s_branch .LBB481_1635
.LBB481_1631:
	s_mov_b32 s3, -1
                                        ; implicit-def: $vgpr6
.LBB481_1632:
	s_delay_alu instid0(SALU_CYCLE_1)
	s_and_not1_b32 vcc_lo, exec_lo, s3
	s_cbranch_vccnz .LBB481_1634
; %bb.1633:
	global_load_b32 v6, v[4:5], off
	s_waitcnt vmcnt(0)
	v_cvt_f16_f32_e32 v6, v6
.LBB481_1634:
	s_mov_b32 s3, 0
.LBB481_1635:
	s_delay_alu instid0(SALU_CYCLE_1)
	s_and_not1_b32 vcc_lo, exec_lo, s3
	s_cbranch_vccnz .LBB481_1637
; %bb.1636:
	global_load_u16 v6, v[4:5], off
.LBB481_1637:
	s_mov_b32 s3, 0
.LBB481_1638:
	s_delay_alu instid0(SALU_CYCLE_1)
	s_and_not1_b32 vcc_lo, exec_lo, s3
	s_cbranch_vccnz .LBB481_1658
; %bb.1639:
	v_cmp_lt_i16_e64 s3, s1, 2
	s_delay_alu instid0(VALU_DEP_1)
	s_and_b32 vcc_lo, exec_lo, s3
	s_cbranch_vccnz .LBB481_1643
; %bb.1640:
	v_cmp_lt_i16_e64 s3, s1, 3
	s_delay_alu instid0(VALU_DEP_1)
	s_and_b32 vcc_lo, exec_lo, s3
	s_cbranch_vccnz .LBB481_1644
; %bb.1641:
	v_cmp_gt_i16_e64 s3, s1, 3
	s_delay_alu instid0(VALU_DEP_1)
	s_and_b32 vcc_lo, exec_lo, s3
	s_cbranch_vccz .LBB481_1645
; %bb.1642:
	global_load_b64 v[10:11], v[4:5], off
	s_mov_b32 s3, 0
	s_waitcnt vmcnt(0)
	v_xor_b32_e32 v6, v10, v11
	v_cls_i32_e32 v12, v11
	s_delay_alu instid0(VALU_DEP_2) | instskip(NEXT) | instid1(VALU_DEP_2)
	v_ashrrev_i32_e32 v6, 31, v6
	v_add_nc_u32_e32 v12, -1, v12
	s_delay_alu instid0(VALU_DEP_2) | instskip(NEXT) | instid1(VALU_DEP_1)
	v_add_nc_u32_e32 v6, 32, v6
	v_min_u32_e32 v6, v12, v6
	s_delay_alu instid0(VALU_DEP_1) | instskip(SKIP_1) | instid1(VALU_DEP_2)
	v_lshlrev_b64 v[10:11], v6, v[10:11]
	v_sub_nc_u32_e32 v6, 32, v6
	v_min_u32_e32 v10, 1, v10
	s_delay_alu instid0(VALU_DEP_1) | instskip(NEXT) | instid1(VALU_DEP_1)
	v_or_b32_e32 v10, v11, v10
	v_cvt_f32_i32_e32 v10, v10
	s_delay_alu instid0(VALU_DEP_1) | instskip(NEXT) | instid1(VALU_DEP_1)
	v_ldexp_f32 v6, v10, v6
	v_cvt_f16_f32_e32 v6, v6
	s_branch .LBB481_1646
.LBB481_1643:
	s_mov_b32 s3, -1
                                        ; implicit-def: $vgpr6
	s_branch .LBB481_1652
.LBB481_1644:
	s_mov_b32 s3, -1
                                        ; implicit-def: $vgpr6
	s_branch .LBB481_1649
.LBB481_1645:
	s_mov_b32 s3, -1
                                        ; implicit-def: $vgpr6
.LBB481_1646:
	s_delay_alu instid0(SALU_CYCLE_1)
	s_and_not1_b32 vcc_lo, exec_lo, s3
	s_cbranch_vccnz .LBB481_1648
; %bb.1647:
	global_load_b32 v6, v[4:5], off
	s_waitcnt vmcnt(0)
	v_cvt_f32_i32_e32 v6, v6
	s_delay_alu instid0(VALU_DEP_1)
	v_cvt_f16_f32_e32 v6, v6
.LBB481_1648:
	s_mov_b32 s3, 0
.LBB481_1649:
	s_delay_alu instid0(SALU_CYCLE_1)
	s_and_not1_b32 vcc_lo, exec_lo, s3
	s_cbranch_vccnz .LBB481_1651
; %bb.1650:
	global_load_u16 v6, v[4:5], off
	s_waitcnt vmcnt(0)
	v_cvt_f16_i16_e32 v6, v6
.LBB481_1651:
	s_mov_b32 s3, 0
.LBB481_1652:
	s_delay_alu instid0(SALU_CYCLE_1)
	s_and_not1_b32 vcc_lo, exec_lo, s3
	s_cbranch_vccnz .LBB481_1658
; %bb.1653:
	v_cmp_gt_i16_e64 s1, s1, 0
	s_delay_alu instid0(VALU_DEP_1)
	s_and_b32 vcc_lo, exec_lo, s1
	s_mov_b32 s1, 0
	s_cbranch_vccz .LBB481_1655
; %bb.1654:
	global_load_i8 v6, v[4:5], off
	s_waitcnt vmcnt(0)
	v_cvt_f16_i16_e32 v6, v6
	s_branch .LBB481_1656
.LBB481_1655:
	s_mov_b32 s1, -1
                                        ; implicit-def: $vgpr6
.LBB481_1656:
	s_delay_alu instid0(SALU_CYCLE_1)
	s_and_not1_b32 vcc_lo, exec_lo, s1
	s_cbranch_vccnz .LBB481_1658
; %bb.1657:
	global_load_u8 v4, v[4:5], off
	s_waitcnt vmcnt(0)
	v_cvt_f16_u16_e32 v6, v4
.LBB481_1658:
	s_mov_b32 s7, -1
.LBB481_1659:
	s_delay_alu instid0(SALU_CYCLE_1)
	s_and_not1_b32 vcc_lo, exec_lo, s7
	s_cbranch_vccnz .LBB481_2090
; %bb.1660:
	s_load_b32 s3, s[16:17], 0x158
	s_lshr_b32 s0, s0, 16
	v_cmp_u_f16_e32 vcc_lo, v9, v9
	v_and_b32_e64 v5, 0xff, s0
	v_add_co_u32 v3, s7, s4, v3
	s_delay_alu instid0(VALU_DEP_1) | instskip(NEXT) | instid1(VALU_DEP_3)
	v_add_co_ci_u32_e64 v4, null, s5, 0, s7
	v_cmp_gt_i16_e64 s0, 11, v5
	s_mov_b32 s6, 0
	s_waitcnt lgkmcnt(0)
	v_cmp_gt_f16_e64 s1, s3, v9
	s_delay_alu instid0(VALU_DEP_1)
	s_or_b32 vcc_lo, vcc_lo, s1
	v_cndmask_b32_e32 v9, s3, v9, vcc_lo
	s_and_b32 vcc_lo, exec_lo, s0
	s_mov_b32 s0, -1
	s_cbranch_vccnz .LBB481_1738
; %bb.1661:
	v_cmp_lt_i16_e32 vcc_lo, 25, v5
	s_mov_b32 s7, -1
	s_mov_b32 s1, 0
	s_mov_b32 s0, 0
	s_cbranch_vccz .LBB481_1694
; %bb.1662:
	v_cmp_lt_i16_e32 vcc_lo, 28, v5
	s_cbranch_vccz .LBB481_1677
; %bb.1663:
	v_cmp_lt_i16_e32 vcc_lo, 43, v5
	;; [unrolled: 3-line block ×3, first 2 shown]
	s_cbranch_vccz .LBB481_1667
; %bb.1665:
	v_cmp_eq_u16_e32 vcc_lo, 46, v5
	s_mov_b32 s0, -1
	s_mov_b32 s7, 0
	s_cbranch_vccz .LBB481_1667
; %bb.1666:
	v_cvt_f32_f16_e32 v10, v9
	v_cmp_o_f16_e32 vcc_lo, v9, v9
	s_mov_b32 s0, 0
	s_mov_b32 s6, -1
	s_delay_alu instid0(VALU_DEP_2) | instskip(NEXT) | instid1(VALU_DEP_1)
	v_bfe_u32 v11, v10, 16, 1
	v_add3_u32 v10, v10, v11, 0x7fff
	s_delay_alu instid0(VALU_DEP_1) | instskip(NEXT) | instid1(VALU_DEP_1)
	v_lshrrev_b32_e32 v10, 16, v10
	v_cndmask_b32_e32 v10, 0x7fc0, v10, vcc_lo
	global_store_b32 v[3:4], v10, off
.LBB481_1667:
	s_and_b32 vcc_lo, exec_lo, s7
	s_cbranch_vccz .LBB481_1672
; %bb.1668:
	v_cmp_eq_u16_e32 vcc_lo, 44, v5
	s_mov_b32 s0, -1
	s_cbranch_vccz .LBB481_1672
; %bb.1669:
	v_cvt_f32_f16_e32 v10, v9
	v_mov_b32_e32 v11, 0xff
	s_mov_b32 s6, exec_lo
	s_delay_alu instid0(VALU_DEP_2) | instskip(NEXT) | instid1(VALU_DEP_1)
	v_bfe_u32 v12, v10, 23, 8
	v_cmpx_ne_u32_e32 0xff, v12
; %bb.1670:
	v_and_b32_e32 v11, 0x400000, v10
	v_and_or_b32 v12, 0x3fffff, v10, v12
	v_lshrrev_b32_e32 v10, 23, v10
	s_delay_alu instid0(VALU_DEP_3) | instskip(NEXT) | instid1(VALU_DEP_3)
	v_cmp_ne_u32_e32 vcc_lo, 0, v11
	v_cmp_ne_u32_e64 s0, 0, v12
	s_delay_alu instid0(VALU_DEP_1) | instskip(NEXT) | instid1(SALU_CYCLE_1)
	s_and_b32 s0, vcc_lo, s0
	v_cndmask_b32_e64 v11, 0, 1, s0
	s_delay_alu instid0(VALU_DEP_1)
	v_add_nc_u32_e32 v11, v10, v11
; %bb.1671:
	s_or_b32 exec_lo, exec_lo, s6
	s_mov_b32 s0, 0
	s_mov_b32 s6, -1
	global_store_b8 v[3:4], v11, off
.LBB481_1672:
	s_mov_b32 s7, 0
.LBB481_1673:
	s_delay_alu instid0(SALU_CYCLE_1)
	s_and_b32 vcc_lo, exec_lo, s7
	s_cbranch_vccz .LBB481_1676
; %bb.1674:
	v_cmp_eq_u16_e32 vcc_lo, 29, v5
	s_mov_b32 s0, -1
	s_cbranch_vccz .LBB481_1676
; %bb.1675:
	v_cvt_f32_f16_e32 v10, v9
	v_mov_b32_e32 v11, 0
	s_mov_b32 s0, 0
	s_mov_b32 s6, -1
	s_delay_alu instid0(VALU_DEP_2)
	v_cvt_u32_f32_e32 v10, v10
	global_store_b64 v[3:4], v[10:11], off
.LBB481_1676:
	s_mov_b32 s7, 0
.LBB481_1677:
	s_delay_alu instid0(SALU_CYCLE_1)
	s_and_b32 vcc_lo, exec_lo, s7
	s_cbranch_vccz .LBB481_1693
; %bb.1678:
	v_cmp_gt_i16_e32 vcc_lo, 27, v5
	s_mov_b32 s6, -1
	s_cbranch_vccnz .LBB481_1684
; %bb.1679:
	v_cmp_lt_i16_e32 vcc_lo, 27, v5
	s_cbranch_vccz .LBB481_1681
; %bb.1680:
	v_cvt_f32_f16_e32 v10, v9
	s_mov_b32 s6, 0
	s_delay_alu instid0(VALU_DEP_1)
	v_cvt_u32_f32_e32 v10, v10
	global_store_b32 v[3:4], v10, off
.LBB481_1681:
	s_and_not1_b32 vcc_lo, exec_lo, s6
	s_cbranch_vccnz .LBB481_1683
; %bb.1682:
	v_cvt_u16_f16_e32 v10, v9
	global_store_b16 v[3:4], v10, off
.LBB481_1683:
	s_mov_b32 s6, 0
.LBB481_1684:
	s_delay_alu instid0(SALU_CYCLE_1)
	s_and_not1_b32 vcc_lo, exec_lo, s6
	s_cbranch_vccnz .LBB481_1692
; %bb.1685:
	v_cvt_f32_f16_e32 v10, v9
	v_mov_b32_e32 v12, 0x80
	s_mov_b32 s6, exec_lo
	s_delay_alu instid0(VALU_DEP_2) | instskip(NEXT) | instid1(VALU_DEP_1)
	v_and_b32_e32 v11, 0x7fffffff, v10
	v_cmpx_gt_u32_e32 0x43800000, v11
	s_cbranch_execz .LBB481_1691
; %bb.1686:
	v_cmp_lt_u32_e32 vcc_lo, 0x3bffffff, v11
	s_mov_b32 s7, 0
                                        ; implicit-def: $vgpr11
	s_and_saveexec_b32 s10, vcc_lo
	s_delay_alu instid0(SALU_CYCLE_1)
	s_xor_b32 s10, exec_lo, s10
	s_cbranch_execz .LBB481_2137
; %bb.1687:
	v_bfe_u32 v11, v10, 20, 1
	s_mov_b32 s7, exec_lo
	s_delay_alu instid0(VALU_DEP_1) | instskip(NEXT) | instid1(VALU_DEP_1)
	v_add3_u32 v11, v10, v11, 0x487ffff
	v_lshrrev_b32_e32 v11, 20, v11
	s_or_saveexec_b32 s10, s10
                                        ; implicit-def: $sgpr11
	s_delay_alu instid0(SALU_CYCLE_1)
	s_xor_b32 exec_lo, exec_lo, s10
	s_cbranch_execnz .LBB481_2138
.LBB481_1688:
	s_or_b32 exec_lo, exec_lo, s10
	v_mov_b32_e32 v12, s11
	s_and_saveexec_b32 s10, s7
.LBB481_1689:
	v_lshrrev_b32_e32 v10, 24, v10
	s_delay_alu instid0(VALU_DEP_1)
	v_and_or_b32 v12, 0x80, v10, v11
.LBB481_1690:
	s_or_b32 exec_lo, exec_lo, s10
.LBB481_1691:
	s_delay_alu instid0(SALU_CYCLE_1)
	s_or_b32 exec_lo, exec_lo, s6
	global_store_b8 v[3:4], v12, off
.LBB481_1692:
	s_mov_b32 s6, -1
.LBB481_1693:
	s_mov_b32 s7, 0
.LBB481_1694:
	s_delay_alu instid0(SALU_CYCLE_1)
	s_and_b32 vcc_lo, exec_lo, s7
	s_cbranch_vccz .LBB481_1734
; %bb.1695:
	v_cmp_lt_i16_e32 vcc_lo, 22, v5
	s_mov_b32 s1, -1
	s_cbranch_vccz .LBB481_1727
; %bb.1696:
	v_cmp_gt_i16_e32 vcc_lo, 24, v5
	s_cbranch_vccnz .LBB481_1716
; %bb.1697:
	v_cmp_lt_i16_e32 vcc_lo, 24, v5
	s_cbranch_vccz .LBB481_1705
; %bb.1698:
	v_cvt_f32_f16_e32 v10, v9
	v_mov_b32_e32 v12, 0x80
	s_mov_b32 s1, exec_lo
	s_delay_alu instid0(VALU_DEP_2) | instskip(NEXT) | instid1(VALU_DEP_1)
	v_and_b32_e32 v11, 0x7fffffff, v10
	v_cmpx_gt_u32_e32 0x47800000, v11
	s_cbranch_execz .LBB481_1704
; %bb.1699:
	v_cmp_lt_u32_e32 vcc_lo, 0x37ffffff, v11
	s_mov_b32 s6, 0
                                        ; implicit-def: $vgpr11
	s_and_saveexec_b32 s7, vcc_lo
	s_delay_alu instid0(SALU_CYCLE_1)
	s_xor_b32 s7, exec_lo, s7
	s_cbranch_execz .LBB481_2143
; %bb.1700:
	v_bfe_u32 v11, v10, 21, 1
	s_mov_b32 s6, exec_lo
	s_delay_alu instid0(VALU_DEP_1) | instskip(NEXT) | instid1(VALU_DEP_1)
	v_add3_u32 v11, v10, v11, 0x88fffff
	v_lshrrev_b32_e32 v11, 21, v11
	s_or_saveexec_b32 s7, s7
                                        ; implicit-def: $sgpr10
	s_delay_alu instid0(SALU_CYCLE_1)
	s_xor_b32 exec_lo, exec_lo, s7
	s_cbranch_execnz .LBB481_2144
.LBB481_1701:
	s_or_b32 exec_lo, exec_lo, s7
	v_mov_b32_e32 v12, s10
	s_and_saveexec_b32 s7, s6
.LBB481_1702:
	v_lshrrev_b32_e32 v10, 24, v10
	s_delay_alu instid0(VALU_DEP_1)
	v_and_or_b32 v12, 0x80, v10, v11
.LBB481_1703:
	s_or_b32 exec_lo, exec_lo, s7
.LBB481_1704:
	s_delay_alu instid0(SALU_CYCLE_1)
	s_or_b32 exec_lo, exec_lo, s1
	s_mov_b32 s1, 0
	global_store_b8 v[3:4], v12, off
.LBB481_1705:
	s_and_b32 vcc_lo, exec_lo, s1
	s_cbranch_vccz .LBB481_1715
; %bb.1706:
	v_cvt_f32_f16_e32 v10, v9
	s_mov_b32 s1, exec_lo
                                        ; implicit-def: $vgpr11
	s_delay_alu instid0(VALU_DEP_1) | instskip(NEXT) | instid1(VALU_DEP_1)
	v_and_b32_e32 v12, 0x7fffffff, v10
	v_cmpx_gt_u32_e32 0x43f00000, v12
	s_xor_b32 s1, exec_lo, s1
	s_cbranch_execz .LBB481_1712
; %bb.1707:
	s_mov_b32 s6, exec_lo
                                        ; implicit-def: $vgpr11
	v_cmpx_lt_u32_e32 0x3c7fffff, v12
	s_xor_b32 s6, exec_lo, s6
; %bb.1708:
	v_bfe_u32 v11, v10, 20, 1
	s_delay_alu instid0(VALU_DEP_1) | instskip(NEXT) | instid1(VALU_DEP_1)
	v_add3_u32 v11, v10, v11, 0x407ffff
	v_and_b32_e32 v12, 0xff00000, v11
	v_lshrrev_b32_e32 v11, 20, v11
	s_delay_alu instid0(VALU_DEP_2) | instskip(NEXT) | instid1(VALU_DEP_2)
	v_cmp_ne_u32_e32 vcc_lo, 0x7f00000, v12
	v_cndmask_b32_e32 v11, 0x7e, v11, vcc_lo
; %bb.1709:
	s_and_not1_saveexec_b32 s6, s6
; %bb.1710:
	v_add_f32_e64 v11, 0x46800000, |v10|
; %bb.1711:
	s_or_b32 exec_lo, exec_lo, s6
                                        ; implicit-def: $vgpr12
.LBB481_1712:
	s_and_not1_saveexec_b32 s1, s1
; %bb.1713:
	v_mov_b32_e32 v11, 0x7f
	v_cmp_lt_u32_e32 vcc_lo, 0x7f800000, v12
	s_delay_alu instid0(VALU_DEP_2)
	v_cndmask_b32_e32 v11, 0x7e, v11, vcc_lo
; %bb.1714:
	s_or_b32 exec_lo, exec_lo, s1
	v_lshrrev_b32_e32 v10, 24, v10
	s_delay_alu instid0(VALU_DEP_1)
	v_and_or_b32 v10, 0x80, v10, v11
	global_store_b8 v[3:4], v10, off
.LBB481_1715:
	s_mov_b32 s1, 0
.LBB481_1716:
	s_delay_alu instid0(SALU_CYCLE_1)
	s_and_not1_b32 vcc_lo, exec_lo, s1
	s_cbranch_vccnz .LBB481_1726
; %bb.1717:
	v_cvt_f32_f16_e32 v10, v9
	s_mov_b32 s1, exec_lo
                                        ; implicit-def: $vgpr11
	s_delay_alu instid0(VALU_DEP_1) | instskip(NEXT) | instid1(VALU_DEP_1)
	v_and_b32_e32 v12, 0x7fffffff, v10
	v_cmpx_gt_u32_e32 0x47800000, v12
	s_xor_b32 s1, exec_lo, s1
	s_cbranch_execz .LBB481_1723
; %bb.1718:
	s_mov_b32 s6, exec_lo
                                        ; implicit-def: $vgpr11
	v_cmpx_lt_u32_e32 0x387fffff, v12
	s_xor_b32 s6, exec_lo, s6
; %bb.1719:
	v_bfe_u32 v11, v10, 21, 1
	s_delay_alu instid0(VALU_DEP_1) | instskip(NEXT) | instid1(VALU_DEP_1)
	v_add3_u32 v11, v10, v11, 0x80fffff
	v_lshrrev_b32_e32 v11, 21, v11
; %bb.1720:
	s_and_not1_saveexec_b32 s6, s6
; %bb.1721:
	v_add_f32_e64 v11, 0x43000000, |v10|
; %bb.1722:
	s_or_b32 exec_lo, exec_lo, s6
                                        ; implicit-def: $vgpr12
.LBB481_1723:
	s_and_not1_saveexec_b32 s1, s1
; %bb.1724:
	v_mov_b32_e32 v11, 0x7f
	v_cmp_lt_u32_e32 vcc_lo, 0x7f800000, v12
	s_delay_alu instid0(VALU_DEP_2)
	v_cndmask_b32_e32 v11, 0x7c, v11, vcc_lo
; %bb.1725:
	s_or_b32 exec_lo, exec_lo, s1
	v_lshrrev_b32_e32 v10, 24, v10
	s_delay_alu instid0(VALU_DEP_1)
	v_and_or_b32 v10, 0x80, v10, v11
	global_store_b8 v[3:4], v10, off
.LBB481_1726:
	s_mov_b32 s1, 0
	s_mov_b32 s6, -1
.LBB481_1727:
	s_and_not1_b32 vcc_lo, exec_lo, s1
	s_mov_b32 s1, 0
	s_cbranch_vccnz .LBB481_1734
; %bb.1728:
	v_cmp_lt_i16_e32 vcc_lo, 14, v5
	s_mov_b32 s1, -1
	s_cbranch_vccz .LBB481_1732
; %bb.1729:
	v_cmp_eq_u16_e32 vcc_lo, 15, v5
	s_mov_b32 s0, -1
	s_cbranch_vccz .LBB481_1731
; %bb.1730:
	v_cvt_f32_f16_e32 v10, v9
	v_cmp_o_f16_e32 vcc_lo, v9, v9
	s_mov_b32 s0, 0
	s_mov_b32 s6, -1
	s_delay_alu instid0(VALU_DEP_2) | instskip(NEXT) | instid1(VALU_DEP_1)
	v_bfe_u32 v11, v10, 16, 1
	v_add3_u32 v10, v10, v11, 0x7fff
	s_delay_alu instid0(VALU_DEP_1) | instskip(NEXT) | instid1(VALU_DEP_1)
	v_lshrrev_b32_e32 v10, 16, v10
	v_cndmask_b32_e32 v10, 0x7fc0, v10, vcc_lo
	global_store_b16 v[3:4], v10, off
.LBB481_1731:
	s_mov_b32 s1, 0
.LBB481_1732:
	s_delay_alu instid0(SALU_CYCLE_1)
	s_and_b32 vcc_lo, exec_lo, s1
	s_mov_b32 s1, 0
	s_cbranch_vccz .LBB481_1734
; %bb.1733:
	v_cmp_ne_u16_e64 s0, 11, v5
	s_mov_b32 s1, -1
.LBB481_1734:
	s_delay_alu instid0(VALU_DEP_1)
	s_and_b32 vcc_lo, exec_lo, s0
	s_cbranch_vccnz .LBB481_2141
; %bb.1735:
	s_and_not1_b32 vcc_lo, exec_lo, s1
	s_cbranch_vccnz .LBB481_1737
.LBB481_1736:
	v_and_b32_e32 v10, 0x7fff, v9
	s_mov_b32 s6, -1
	s_delay_alu instid0(VALU_DEP_1)
	v_cmp_ne_u16_e32 vcc_lo, 0, v10
	v_cndmask_b32_e64 v10, 0, 1, vcc_lo
	global_store_b8 v[3:4], v10, off
.LBB481_1737:
	s_mov_b32 s0, 0
.LBB481_1738:
	s_delay_alu instid0(SALU_CYCLE_1)
	s_and_b32 vcc_lo, exec_lo, s0
	s_cbranch_vccz .LBB481_1777
; %bb.1739:
	v_cmp_gt_i16_e32 vcc_lo, 5, v5
	s_mov_b32 s0, -1
	s_cbranch_vccnz .LBB481_1760
; %bb.1740:
	v_cmp_gt_i16_e32 vcc_lo, 8, v5
	s_cbranch_vccnz .LBB481_1750
; %bb.1741:
	v_cmp_gt_i16_e32 vcc_lo, 9, v5
	s_cbranch_vccnz .LBB481_1747
; %bb.1742:
	v_cmp_lt_i16_e32 vcc_lo, 9, v5
	s_cbranch_vccz .LBB481_1744
; %bb.1743:
	v_cvt_f32_f16_e32 v10, v9
	v_mov_b32_e32 v12, 0
	s_mov_b32 s0, 0
	s_delay_alu instid0(VALU_DEP_2) | instskip(NEXT) | instid1(VALU_DEP_2)
	v_cvt_f64_f32_e32 v[10:11], v10
	v_mov_b32_e32 v13, v12
	global_store_b128 v[3:4], v[10:13], off
.LBB481_1744:
	s_and_not1_b32 vcc_lo, exec_lo, s0
	s_cbranch_vccnz .LBB481_1746
; %bb.1745:
	v_cvt_f32_f16_e32 v10, v9
	v_mov_b32_e32 v11, 0
	global_store_b64 v[3:4], v[10:11], off
.LBB481_1746:
	s_mov_b32 s0, 0
.LBB481_1747:
	s_delay_alu instid0(SALU_CYCLE_1)
	s_and_not1_b32 vcc_lo, exec_lo, s0
	s_cbranch_vccnz .LBB481_1749
; %bb.1748:
	v_and_b32_e32 v10, 0xffff, v9
	global_store_b32 v[3:4], v10, off
.LBB481_1749:
	s_mov_b32 s0, 0
.LBB481_1750:
	s_delay_alu instid0(SALU_CYCLE_1)
	s_and_not1_b32 vcc_lo, exec_lo, s0
	s_cbranch_vccnz .LBB481_1759
; %bb.1751:
	v_cmp_gt_i16_e32 vcc_lo, 6, v5
	s_mov_b32 s0, -1
	s_cbranch_vccnz .LBB481_1757
; %bb.1752:
	v_cmp_lt_i16_e32 vcc_lo, 6, v5
	s_cbranch_vccz .LBB481_1754
; %bb.1753:
	v_cvt_f32_f16_e32 v10, v9
	s_mov_b32 s0, 0
	s_delay_alu instid0(VALU_DEP_1)
	v_cvt_f64_f32_e32 v[10:11], v10
	global_store_b64 v[3:4], v[10:11], off
.LBB481_1754:
	s_and_not1_b32 vcc_lo, exec_lo, s0
	s_cbranch_vccnz .LBB481_1756
; %bb.1755:
	v_cvt_f32_f16_e32 v10, v9
	global_store_b32 v[3:4], v10, off
.LBB481_1756:
	s_mov_b32 s0, 0
.LBB481_1757:
	s_delay_alu instid0(SALU_CYCLE_1)
	s_and_not1_b32 vcc_lo, exec_lo, s0
	s_cbranch_vccnz .LBB481_1759
; %bb.1758:
	global_store_b16 v[3:4], v9, off
.LBB481_1759:
	s_mov_b32 s0, 0
.LBB481_1760:
	s_delay_alu instid0(SALU_CYCLE_1)
	s_and_not1_b32 vcc_lo, exec_lo, s0
	s_cbranch_vccnz .LBB481_1776
; %bb.1761:
	v_cmp_gt_i16_e32 vcc_lo, 2, v5
	s_mov_b32 s0, -1
	s_cbranch_vccnz .LBB481_1771
; %bb.1762:
	v_cmp_gt_i16_e32 vcc_lo, 3, v5
	s_cbranch_vccnz .LBB481_1768
; %bb.1763:
	v_cmp_lt_i16_e32 vcc_lo, 3, v5
	s_cbranch_vccz .LBB481_1765
; %bb.1764:
	v_cvt_f32_f16_e32 v10, v9
	s_mov_b32 s0, 0
	s_delay_alu instid0(VALU_DEP_1) | instskip(NEXT) | instid1(VALU_DEP_1)
	v_cvt_i32_f32_e32 v10, v10
	v_ashrrev_i32_e32 v11, 31, v10
	global_store_b64 v[3:4], v[10:11], off
.LBB481_1765:
	s_and_not1_b32 vcc_lo, exec_lo, s0
	s_cbranch_vccnz .LBB481_1767
; %bb.1766:
	v_cvt_f32_f16_e32 v10, v9
	s_delay_alu instid0(VALU_DEP_1)
	v_cvt_i32_f32_e32 v10, v10
	global_store_b32 v[3:4], v10, off
.LBB481_1767:
	s_mov_b32 s0, 0
.LBB481_1768:
	s_delay_alu instid0(SALU_CYCLE_1)
	s_and_not1_b32 vcc_lo, exec_lo, s0
	s_cbranch_vccnz .LBB481_1770
; %bb.1769:
	v_cvt_i16_f16_e32 v10, v9
	global_store_b16 v[3:4], v10, off
.LBB481_1770:
	s_mov_b32 s0, 0
.LBB481_1771:
	s_delay_alu instid0(SALU_CYCLE_1)
	s_and_not1_b32 vcc_lo, exec_lo, s0
	s_cbranch_vccnz .LBB481_1776
; %bb.1772:
	v_cmp_lt_i16_e32 vcc_lo, 0, v5
	s_mov_b32 s0, -1
	s_cbranch_vccz .LBB481_1774
; %bb.1773:
	v_cvt_i16_f16_e32 v10, v9
	s_mov_b32 s0, 0
	global_store_b8 v[3:4], v10, off
.LBB481_1774:
	s_and_not1_b32 vcc_lo, exec_lo, s0
	s_cbranch_vccnz .LBB481_1776
; %bb.1775:
	v_cvt_f32_f16_e32 v9, v9
	s_delay_alu instid0(VALU_DEP_1)
	v_cvt_i32_f32_e32 v9, v9
	global_store_b8 v[3:4], v9, off
.LBB481_1776:
	s_mov_b32 s6, -1
.LBB481_1777:
	s_delay_alu instid0(SALU_CYCLE_1)
	s_and_not1_b32 vcc_lo, exec_lo, s6
	s_cbranch_vccnz .LBB481_2090
; %bb.1778:
	v_cmp_u_f16_e32 vcc_lo, v8, v8
	v_cmp_gt_f16_e64 s0, s3, v8
	v_cmp_gt_i16_e64 s1, 11, v5
	s_mov_b32 s6, 0
	s_delay_alu instid0(VALU_DEP_2)
	s_or_b32 vcc_lo, vcc_lo, s0
	v_add_co_u32 v2, s0, s4, v2
	v_cndmask_b32_e32 v4, s3, v8, vcc_lo
	v_add_co_ci_u32_e64 v3, null, s5, 0, s0
	s_and_b32 vcc_lo, exec_lo, s1
	s_mov_b32 s0, -1
	s_cbranch_vccnz .LBB481_1856
; %bb.1779:
	v_cmp_lt_i16_e32 vcc_lo, 25, v5
	s_mov_b32 s7, -1
	s_mov_b32 s1, 0
	s_mov_b32 s0, 0
	s_cbranch_vccz .LBB481_1812
; %bb.1780:
	v_cmp_lt_i16_e32 vcc_lo, 28, v5
	s_cbranch_vccz .LBB481_1795
; %bb.1781:
	v_cmp_lt_i16_e32 vcc_lo, 43, v5
	;; [unrolled: 3-line block ×3, first 2 shown]
	s_cbranch_vccz .LBB481_1785
; %bb.1783:
	v_cmp_eq_u16_e32 vcc_lo, 46, v5
	s_mov_b32 s0, -1
	s_mov_b32 s7, 0
	s_cbranch_vccz .LBB481_1785
; %bb.1784:
	v_cvt_f32_f16_e32 v8, v4
	v_cmp_o_f16_e32 vcc_lo, v4, v4
	s_mov_b32 s0, 0
	s_mov_b32 s6, -1
	s_delay_alu instid0(VALU_DEP_2) | instskip(NEXT) | instid1(VALU_DEP_1)
	v_bfe_u32 v9, v8, 16, 1
	v_add3_u32 v8, v8, v9, 0x7fff
	s_delay_alu instid0(VALU_DEP_1) | instskip(NEXT) | instid1(VALU_DEP_1)
	v_lshrrev_b32_e32 v8, 16, v8
	v_cndmask_b32_e32 v8, 0x7fc0, v8, vcc_lo
	global_store_b32 v[2:3], v8, off
.LBB481_1785:
	s_and_b32 vcc_lo, exec_lo, s7
	s_cbranch_vccz .LBB481_1790
; %bb.1786:
	v_cmp_eq_u16_e32 vcc_lo, 44, v5
	s_mov_b32 s0, -1
	s_cbranch_vccz .LBB481_1790
; %bb.1787:
	v_cvt_f32_f16_e32 v8, v4
	v_mov_b32_e32 v9, 0xff
	s_mov_b32 s6, exec_lo
	s_delay_alu instid0(VALU_DEP_2) | instskip(NEXT) | instid1(VALU_DEP_1)
	v_bfe_u32 v10, v8, 23, 8
	v_cmpx_ne_u32_e32 0xff, v10
; %bb.1788:
	v_and_b32_e32 v9, 0x400000, v8
	v_and_or_b32 v10, 0x3fffff, v8, v10
	v_lshrrev_b32_e32 v8, 23, v8
	s_delay_alu instid0(VALU_DEP_3) | instskip(NEXT) | instid1(VALU_DEP_3)
	v_cmp_ne_u32_e32 vcc_lo, 0, v9
	v_cmp_ne_u32_e64 s0, 0, v10
	s_delay_alu instid0(VALU_DEP_1) | instskip(NEXT) | instid1(SALU_CYCLE_1)
	s_and_b32 s0, vcc_lo, s0
	v_cndmask_b32_e64 v9, 0, 1, s0
	s_delay_alu instid0(VALU_DEP_1)
	v_add_nc_u32_e32 v9, v8, v9
; %bb.1789:
	s_or_b32 exec_lo, exec_lo, s6
	s_mov_b32 s0, 0
	s_mov_b32 s6, -1
	global_store_b8 v[2:3], v9, off
.LBB481_1790:
	s_mov_b32 s7, 0
.LBB481_1791:
	s_delay_alu instid0(SALU_CYCLE_1)
	s_and_b32 vcc_lo, exec_lo, s7
	s_cbranch_vccz .LBB481_1794
; %bb.1792:
	v_cmp_eq_u16_e32 vcc_lo, 29, v5
	s_mov_b32 s0, -1
	s_cbranch_vccz .LBB481_1794
; %bb.1793:
	v_cvt_f32_f16_e32 v8, v4
	v_mov_b32_e32 v9, 0
	s_mov_b32 s0, 0
	s_mov_b32 s6, -1
	s_delay_alu instid0(VALU_DEP_2)
	v_cvt_u32_f32_e32 v8, v8
	global_store_b64 v[2:3], v[8:9], off
.LBB481_1794:
	s_mov_b32 s7, 0
.LBB481_1795:
	s_delay_alu instid0(SALU_CYCLE_1)
	s_and_b32 vcc_lo, exec_lo, s7
	s_cbranch_vccz .LBB481_1811
; %bb.1796:
	v_cmp_gt_i16_e32 vcc_lo, 27, v5
	s_mov_b32 s6, -1
	s_cbranch_vccnz .LBB481_1802
; %bb.1797:
	v_cmp_lt_i16_e32 vcc_lo, 27, v5
	s_cbranch_vccz .LBB481_1799
; %bb.1798:
	v_cvt_f32_f16_e32 v8, v4
	s_mov_b32 s6, 0
	s_delay_alu instid0(VALU_DEP_1)
	v_cvt_u32_f32_e32 v8, v8
	global_store_b32 v[2:3], v8, off
.LBB481_1799:
	s_and_not1_b32 vcc_lo, exec_lo, s6
	s_cbranch_vccnz .LBB481_1801
; %bb.1800:
	v_cvt_u16_f16_e32 v8, v4
	global_store_b16 v[2:3], v8, off
.LBB481_1801:
	s_mov_b32 s6, 0
.LBB481_1802:
	s_delay_alu instid0(SALU_CYCLE_1)
	s_and_not1_b32 vcc_lo, exec_lo, s6
	s_cbranch_vccnz .LBB481_1810
; %bb.1803:
	v_cvt_f32_f16_e32 v8, v4
	v_mov_b32_e32 v10, 0x80
	s_mov_b32 s6, exec_lo
	s_delay_alu instid0(VALU_DEP_2) | instskip(NEXT) | instid1(VALU_DEP_1)
	v_and_b32_e32 v9, 0x7fffffff, v8
	v_cmpx_gt_u32_e32 0x43800000, v9
	s_cbranch_execz .LBB481_1809
; %bb.1804:
	v_cmp_lt_u32_e32 vcc_lo, 0x3bffffff, v9
	s_mov_b32 s7, 0
                                        ; implicit-def: $vgpr9
	s_and_saveexec_b32 s10, vcc_lo
	s_delay_alu instid0(SALU_CYCLE_1)
	s_xor_b32 s10, exec_lo, s10
	s_cbranch_execz .LBB481_2145
; %bb.1805:
	v_bfe_u32 v9, v8, 20, 1
	s_mov_b32 s7, exec_lo
	s_delay_alu instid0(VALU_DEP_1) | instskip(NEXT) | instid1(VALU_DEP_1)
	v_add3_u32 v9, v8, v9, 0x487ffff
	v_lshrrev_b32_e32 v9, 20, v9
	s_or_saveexec_b32 s10, s10
                                        ; implicit-def: $sgpr11
	s_delay_alu instid0(SALU_CYCLE_1)
	s_xor_b32 exec_lo, exec_lo, s10
	s_cbranch_execnz .LBB481_2146
.LBB481_1806:
	s_or_b32 exec_lo, exec_lo, s10
	v_mov_b32_e32 v10, s11
	s_and_saveexec_b32 s10, s7
.LBB481_1807:
	v_lshrrev_b32_e32 v8, 24, v8
	s_delay_alu instid0(VALU_DEP_1)
	v_and_or_b32 v10, 0x80, v8, v9
.LBB481_1808:
	s_or_b32 exec_lo, exec_lo, s10
.LBB481_1809:
	s_delay_alu instid0(SALU_CYCLE_1)
	s_or_b32 exec_lo, exec_lo, s6
	global_store_b8 v[2:3], v10, off
.LBB481_1810:
	s_mov_b32 s6, -1
.LBB481_1811:
	s_mov_b32 s7, 0
.LBB481_1812:
	s_delay_alu instid0(SALU_CYCLE_1)
	s_and_b32 vcc_lo, exec_lo, s7
	s_cbranch_vccz .LBB481_1852
; %bb.1813:
	v_cmp_lt_i16_e32 vcc_lo, 22, v5
	s_mov_b32 s1, -1
	s_cbranch_vccz .LBB481_1845
; %bb.1814:
	v_cmp_gt_i16_e32 vcc_lo, 24, v5
	s_cbranch_vccnz .LBB481_1834
; %bb.1815:
	v_cmp_lt_i16_e32 vcc_lo, 24, v5
	s_cbranch_vccz .LBB481_1823
; %bb.1816:
	v_cvt_f32_f16_e32 v8, v4
	v_mov_b32_e32 v10, 0x80
	s_mov_b32 s1, exec_lo
	s_delay_alu instid0(VALU_DEP_2) | instskip(NEXT) | instid1(VALU_DEP_1)
	v_and_b32_e32 v9, 0x7fffffff, v8
	v_cmpx_gt_u32_e32 0x47800000, v9
	s_cbranch_execz .LBB481_1822
; %bb.1817:
	v_cmp_lt_u32_e32 vcc_lo, 0x37ffffff, v9
	s_mov_b32 s6, 0
                                        ; implicit-def: $vgpr9
	s_and_saveexec_b32 s7, vcc_lo
	s_delay_alu instid0(SALU_CYCLE_1)
	s_xor_b32 s7, exec_lo, s7
	s_cbranch_execz .LBB481_2151
; %bb.1818:
	v_bfe_u32 v9, v8, 21, 1
	s_mov_b32 s6, exec_lo
	s_delay_alu instid0(VALU_DEP_1) | instskip(NEXT) | instid1(VALU_DEP_1)
	v_add3_u32 v9, v8, v9, 0x88fffff
	v_lshrrev_b32_e32 v9, 21, v9
	s_or_saveexec_b32 s7, s7
                                        ; implicit-def: $sgpr10
	s_delay_alu instid0(SALU_CYCLE_1)
	s_xor_b32 exec_lo, exec_lo, s7
	s_cbranch_execnz .LBB481_2152
.LBB481_1819:
	s_or_b32 exec_lo, exec_lo, s7
	v_mov_b32_e32 v10, s10
	s_and_saveexec_b32 s7, s6
.LBB481_1820:
	v_lshrrev_b32_e32 v8, 24, v8
	s_delay_alu instid0(VALU_DEP_1)
	v_and_or_b32 v10, 0x80, v8, v9
.LBB481_1821:
	s_or_b32 exec_lo, exec_lo, s7
.LBB481_1822:
	s_delay_alu instid0(SALU_CYCLE_1)
	s_or_b32 exec_lo, exec_lo, s1
	s_mov_b32 s1, 0
	global_store_b8 v[2:3], v10, off
.LBB481_1823:
	s_and_b32 vcc_lo, exec_lo, s1
	s_cbranch_vccz .LBB481_1833
; %bb.1824:
	v_cvt_f32_f16_e32 v8, v4
	s_mov_b32 s1, exec_lo
                                        ; implicit-def: $vgpr9
	s_delay_alu instid0(VALU_DEP_1) | instskip(NEXT) | instid1(VALU_DEP_1)
	v_and_b32_e32 v10, 0x7fffffff, v8
	v_cmpx_gt_u32_e32 0x43f00000, v10
	s_xor_b32 s1, exec_lo, s1
	s_cbranch_execz .LBB481_1830
; %bb.1825:
	s_mov_b32 s6, exec_lo
                                        ; implicit-def: $vgpr9
	v_cmpx_lt_u32_e32 0x3c7fffff, v10
	s_xor_b32 s6, exec_lo, s6
; %bb.1826:
	v_bfe_u32 v9, v8, 20, 1
	s_delay_alu instid0(VALU_DEP_1) | instskip(NEXT) | instid1(VALU_DEP_1)
	v_add3_u32 v9, v8, v9, 0x407ffff
	v_and_b32_e32 v10, 0xff00000, v9
	v_lshrrev_b32_e32 v9, 20, v9
	s_delay_alu instid0(VALU_DEP_2) | instskip(NEXT) | instid1(VALU_DEP_2)
	v_cmp_ne_u32_e32 vcc_lo, 0x7f00000, v10
	v_cndmask_b32_e32 v9, 0x7e, v9, vcc_lo
; %bb.1827:
	s_and_not1_saveexec_b32 s6, s6
; %bb.1828:
	v_add_f32_e64 v9, 0x46800000, |v8|
; %bb.1829:
	s_or_b32 exec_lo, exec_lo, s6
                                        ; implicit-def: $vgpr10
.LBB481_1830:
	s_and_not1_saveexec_b32 s1, s1
; %bb.1831:
	v_mov_b32_e32 v9, 0x7f
	v_cmp_lt_u32_e32 vcc_lo, 0x7f800000, v10
	s_delay_alu instid0(VALU_DEP_2)
	v_cndmask_b32_e32 v9, 0x7e, v9, vcc_lo
; %bb.1832:
	s_or_b32 exec_lo, exec_lo, s1
	v_lshrrev_b32_e32 v8, 24, v8
	s_delay_alu instid0(VALU_DEP_1)
	v_and_or_b32 v8, 0x80, v8, v9
	global_store_b8 v[2:3], v8, off
.LBB481_1833:
	s_mov_b32 s1, 0
.LBB481_1834:
	s_delay_alu instid0(SALU_CYCLE_1)
	s_and_not1_b32 vcc_lo, exec_lo, s1
	s_cbranch_vccnz .LBB481_1844
; %bb.1835:
	v_cvt_f32_f16_e32 v8, v4
	s_mov_b32 s1, exec_lo
                                        ; implicit-def: $vgpr9
	s_delay_alu instid0(VALU_DEP_1) | instskip(NEXT) | instid1(VALU_DEP_1)
	v_and_b32_e32 v10, 0x7fffffff, v8
	v_cmpx_gt_u32_e32 0x47800000, v10
	s_xor_b32 s1, exec_lo, s1
	s_cbranch_execz .LBB481_1841
; %bb.1836:
	s_mov_b32 s6, exec_lo
                                        ; implicit-def: $vgpr9
	v_cmpx_lt_u32_e32 0x387fffff, v10
	s_xor_b32 s6, exec_lo, s6
; %bb.1837:
	v_bfe_u32 v9, v8, 21, 1
	s_delay_alu instid0(VALU_DEP_1) | instskip(NEXT) | instid1(VALU_DEP_1)
	v_add3_u32 v9, v8, v9, 0x80fffff
	v_lshrrev_b32_e32 v9, 21, v9
; %bb.1838:
	s_and_not1_saveexec_b32 s6, s6
; %bb.1839:
	v_add_f32_e64 v9, 0x43000000, |v8|
; %bb.1840:
	s_or_b32 exec_lo, exec_lo, s6
                                        ; implicit-def: $vgpr10
.LBB481_1841:
	s_and_not1_saveexec_b32 s1, s1
; %bb.1842:
	v_mov_b32_e32 v9, 0x7f
	v_cmp_lt_u32_e32 vcc_lo, 0x7f800000, v10
	s_delay_alu instid0(VALU_DEP_2)
	v_cndmask_b32_e32 v9, 0x7c, v9, vcc_lo
; %bb.1843:
	s_or_b32 exec_lo, exec_lo, s1
	v_lshrrev_b32_e32 v8, 24, v8
	s_delay_alu instid0(VALU_DEP_1)
	v_and_or_b32 v8, 0x80, v8, v9
	global_store_b8 v[2:3], v8, off
.LBB481_1844:
	s_mov_b32 s1, 0
	s_mov_b32 s6, -1
.LBB481_1845:
	s_and_not1_b32 vcc_lo, exec_lo, s1
	s_mov_b32 s1, 0
	s_cbranch_vccnz .LBB481_1852
; %bb.1846:
	v_cmp_lt_i16_e32 vcc_lo, 14, v5
	s_mov_b32 s1, -1
	s_cbranch_vccz .LBB481_1850
; %bb.1847:
	v_cmp_eq_u16_e32 vcc_lo, 15, v5
	s_mov_b32 s0, -1
	s_cbranch_vccz .LBB481_1849
; %bb.1848:
	v_cvt_f32_f16_e32 v8, v4
	v_cmp_o_f16_e32 vcc_lo, v4, v4
	s_mov_b32 s0, 0
	s_mov_b32 s6, -1
	s_delay_alu instid0(VALU_DEP_2) | instskip(NEXT) | instid1(VALU_DEP_1)
	v_bfe_u32 v9, v8, 16, 1
	v_add3_u32 v8, v8, v9, 0x7fff
	s_delay_alu instid0(VALU_DEP_1) | instskip(NEXT) | instid1(VALU_DEP_1)
	v_lshrrev_b32_e32 v8, 16, v8
	v_cndmask_b32_e32 v8, 0x7fc0, v8, vcc_lo
	global_store_b16 v[2:3], v8, off
.LBB481_1849:
	s_mov_b32 s1, 0
.LBB481_1850:
	s_delay_alu instid0(SALU_CYCLE_1)
	s_and_b32 vcc_lo, exec_lo, s1
	s_mov_b32 s1, 0
	s_cbranch_vccz .LBB481_1852
; %bb.1851:
	v_cmp_ne_u16_e64 s0, 11, v5
	s_mov_b32 s1, -1
.LBB481_1852:
	s_delay_alu instid0(VALU_DEP_1)
	s_and_b32 vcc_lo, exec_lo, s0
	s_cbranch_vccnz .LBB481_2149
; %bb.1853:
	s_and_not1_b32 vcc_lo, exec_lo, s1
	s_cbranch_vccnz .LBB481_1855
.LBB481_1854:
	v_and_b32_e32 v8, 0x7fff, v4
	s_mov_b32 s6, -1
	s_delay_alu instid0(VALU_DEP_1)
	v_cmp_ne_u16_e32 vcc_lo, 0, v8
	v_cndmask_b32_e64 v8, 0, 1, vcc_lo
	global_store_b8 v[2:3], v8, off
.LBB481_1855:
	s_mov_b32 s0, 0
.LBB481_1856:
	s_delay_alu instid0(SALU_CYCLE_1)
	s_and_b32 vcc_lo, exec_lo, s0
	s_cbranch_vccz .LBB481_1895
; %bb.1857:
	v_cmp_gt_i16_e32 vcc_lo, 5, v5
	s_mov_b32 s0, -1
	s_cbranch_vccnz .LBB481_1878
; %bb.1858:
	v_cmp_gt_i16_e32 vcc_lo, 8, v5
	s_cbranch_vccnz .LBB481_1868
; %bb.1859:
	v_cmp_gt_i16_e32 vcc_lo, 9, v5
	s_cbranch_vccnz .LBB481_1865
; %bb.1860:
	v_cmp_lt_i16_e32 vcc_lo, 9, v5
	s_cbranch_vccz .LBB481_1862
; %bb.1861:
	v_cvt_f32_f16_e32 v8, v4
	v_mov_b32_e32 v10, 0
	s_mov_b32 s0, 0
	s_delay_alu instid0(VALU_DEP_2) | instskip(NEXT) | instid1(VALU_DEP_2)
	v_cvt_f64_f32_e32 v[8:9], v8
	v_mov_b32_e32 v11, v10
	global_store_b128 v[2:3], v[8:11], off
.LBB481_1862:
	s_and_not1_b32 vcc_lo, exec_lo, s0
	s_cbranch_vccnz .LBB481_1864
; %bb.1863:
	v_cvt_f32_f16_e32 v8, v4
	v_mov_b32_e32 v9, 0
	global_store_b64 v[2:3], v[8:9], off
.LBB481_1864:
	s_mov_b32 s0, 0
.LBB481_1865:
	s_delay_alu instid0(SALU_CYCLE_1)
	s_and_not1_b32 vcc_lo, exec_lo, s0
	s_cbranch_vccnz .LBB481_1867
; %bb.1866:
	v_and_b32_e32 v8, 0xffff, v4
	global_store_b32 v[2:3], v8, off
.LBB481_1867:
	s_mov_b32 s0, 0
.LBB481_1868:
	s_delay_alu instid0(SALU_CYCLE_1)
	s_and_not1_b32 vcc_lo, exec_lo, s0
	s_cbranch_vccnz .LBB481_1877
; %bb.1869:
	v_cmp_gt_i16_e32 vcc_lo, 6, v5
	s_mov_b32 s0, -1
	s_cbranch_vccnz .LBB481_1875
; %bb.1870:
	v_cmp_lt_i16_e32 vcc_lo, 6, v5
	s_cbranch_vccz .LBB481_1872
; %bb.1871:
	v_cvt_f32_f16_e32 v8, v4
	s_mov_b32 s0, 0
	s_delay_alu instid0(VALU_DEP_1)
	v_cvt_f64_f32_e32 v[8:9], v8
	global_store_b64 v[2:3], v[8:9], off
.LBB481_1872:
	s_and_not1_b32 vcc_lo, exec_lo, s0
	s_cbranch_vccnz .LBB481_1874
; %bb.1873:
	v_cvt_f32_f16_e32 v8, v4
	global_store_b32 v[2:3], v8, off
.LBB481_1874:
	s_mov_b32 s0, 0
.LBB481_1875:
	s_delay_alu instid0(SALU_CYCLE_1)
	s_and_not1_b32 vcc_lo, exec_lo, s0
	s_cbranch_vccnz .LBB481_1877
; %bb.1876:
	global_store_b16 v[2:3], v4, off
.LBB481_1877:
	s_mov_b32 s0, 0
.LBB481_1878:
	s_delay_alu instid0(SALU_CYCLE_1)
	s_and_not1_b32 vcc_lo, exec_lo, s0
	s_cbranch_vccnz .LBB481_1894
; %bb.1879:
	v_cmp_gt_i16_e32 vcc_lo, 2, v5
	s_mov_b32 s0, -1
	s_cbranch_vccnz .LBB481_1889
; %bb.1880:
	v_cmp_gt_i16_e32 vcc_lo, 3, v5
	s_cbranch_vccnz .LBB481_1886
; %bb.1881:
	v_cmp_lt_i16_e32 vcc_lo, 3, v5
	s_cbranch_vccz .LBB481_1883
; %bb.1882:
	v_cvt_f32_f16_e32 v8, v4
	s_mov_b32 s0, 0
	s_delay_alu instid0(VALU_DEP_1) | instskip(NEXT) | instid1(VALU_DEP_1)
	v_cvt_i32_f32_e32 v8, v8
	v_ashrrev_i32_e32 v9, 31, v8
	global_store_b64 v[2:3], v[8:9], off
.LBB481_1883:
	s_and_not1_b32 vcc_lo, exec_lo, s0
	s_cbranch_vccnz .LBB481_1885
; %bb.1884:
	v_cvt_f32_f16_e32 v8, v4
	s_delay_alu instid0(VALU_DEP_1)
	v_cvt_i32_f32_e32 v8, v8
	global_store_b32 v[2:3], v8, off
.LBB481_1885:
	s_mov_b32 s0, 0
.LBB481_1886:
	s_delay_alu instid0(SALU_CYCLE_1)
	s_and_not1_b32 vcc_lo, exec_lo, s0
	s_cbranch_vccnz .LBB481_1888
; %bb.1887:
	v_cvt_i16_f16_e32 v8, v4
	global_store_b16 v[2:3], v8, off
.LBB481_1888:
	s_mov_b32 s0, 0
.LBB481_1889:
	s_delay_alu instid0(SALU_CYCLE_1)
	s_and_not1_b32 vcc_lo, exec_lo, s0
	s_cbranch_vccnz .LBB481_1894
; %bb.1890:
	v_cmp_lt_i16_e32 vcc_lo, 0, v5
	s_mov_b32 s0, -1
	s_cbranch_vccz .LBB481_1892
; %bb.1891:
	v_cvt_i16_f16_e32 v8, v4
	s_mov_b32 s0, 0
	global_store_b8 v[2:3], v8, off
.LBB481_1892:
	s_and_not1_b32 vcc_lo, exec_lo, s0
	s_cbranch_vccnz .LBB481_1894
; %bb.1893:
	v_cvt_f32_f16_e32 v4, v4
	s_delay_alu instid0(VALU_DEP_1)
	v_cvt_i32_f32_e32 v4, v4
	global_store_b8 v[2:3], v4, off
.LBB481_1894:
	s_mov_b32 s6, -1
.LBB481_1895:
	s_delay_alu instid0(SALU_CYCLE_1)
	s_and_not1_b32 vcc_lo, exec_lo, s6
	s_cbranch_vccnz .LBB481_2090
; %bb.1896:
	s_waitcnt vmcnt(0)
	v_cmp_u_f16_e32 vcc_lo, v7, v7
	v_cmp_gt_f16_e64 s0, s3, v7
	v_cmp_gt_i16_e64 s1, 11, v5
	s_mov_b32 s6, 0
	s_delay_alu instid0(VALU_DEP_2)
	s_or_b32 vcc_lo, vcc_lo, s0
	v_add_co_u32 v1, s0, s4, v1
	v_cndmask_b32_e32 v3, s3, v7, vcc_lo
	v_add_co_ci_u32_e64 v2, null, s5, 0, s0
	s_and_b32 vcc_lo, exec_lo, s1
	s_mov_b32 s0, -1
	s_cbranch_vccnz .LBB481_1974
; %bb.1897:
	v_cmp_lt_i16_e32 vcc_lo, 25, v5
	s_mov_b32 s7, -1
	s_mov_b32 s1, 0
	s_mov_b32 s0, 0
	s_cbranch_vccz .LBB481_1930
; %bb.1898:
	v_cmp_lt_i16_e32 vcc_lo, 28, v5
	s_cbranch_vccz .LBB481_1913
; %bb.1899:
	v_cmp_lt_i16_e32 vcc_lo, 43, v5
	;; [unrolled: 3-line block ×3, first 2 shown]
	s_cbranch_vccz .LBB481_1903
; %bb.1901:
	v_cmp_eq_u16_e32 vcc_lo, 46, v5
	s_mov_b32 s0, -1
	s_mov_b32 s7, 0
	s_cbranch_vccz .LBB481_1903
; %bb.1902:
	v_cvt_f32_f16_e32 v4, v3
	v_cmp_o_f16_e32 vcc_lo, v3, v3
	s_mov_b32 s0, 0
	s_mov_b32 s6, -1
	s_delay_alu instid0(VALU_DEP_2) | instskip(NEXT) | instid1(VALU_DEP_1)
	v_bfe_u32 v7, v4, 16, 1
	v_add3_u32 v4, v4, v7, 0x7fff
	s_delay_alu instid0(VALU_DEP_1) | instskip(NEXT) | instid1(VALU_DEP_1)
	v_lshrrev_b32_e32 v4, 16, v4
	v_cndmask_b32_e32 v4, 0x7fc0, v4, vcc_lo
	global_store_b32 v[1:2], v4, off
.LBB481_1903:
	s_and_b32 vcc_lo, exec_lo, s7
	s_cbranch_vccz .LBB481_1908
; %bb.1904:
	v_cmp_eq_u16_e32 vcc_lo, 44, v5
	s_mov_b32 s0, -1
	s_cbranch_vccz .LBB481_1908
; %bb.1905:
	v_cvt_f32_f16_e32 v4, v3
	v_mov_b32_e32 v7, 0xff
	s_mov_b32 s6, exec_lo
	s_delay_alu instid0(VALU_DEP_2) | instskip(NEXT) | instid1(VALU_DEP_1)
	v_bfe_u32 v8, v4, 23, 8
	v_cmpx_ne_u32_e32 0xff, v8
; %bb.1906:
	v_and_b32_e32 v7, 0x400000, v4
	v_and_or_b32 v8, 0x3fffff, v4, v8
	v_lshrrev_b32_e32 v4, 23, v4
	s_delay_alu instid0(VALU_DEP_3) | instskip(NEXT) | instid1(VALU_DEP_3)
	v_cmp_ne_u32_e32 vcc_lo, 0, v7
	v_cmp_ne_u32_e64 s0, 0, v8
	s_delay_alu instid0(VALU_DEP_1) | instskip(NEXT) | instid1(SALU_CYCLE_1)
	s_and_b32 s0, vcc_lo, s0
	v_cndmask_b32_e64 v7, 0, 1, s0
	s_delay_alu instid0(VALU_DEP_1)
	v_add_nc_u32_e32 v7, v4, v7
; %bb.1907:
	s_or_b32 exec_lo, exec_lo, s6
	s_mov_b32 s0, 0
	s_mov_b32 s6, -1
	global_store_b8 v[1:2], v7, off
.LBB481_1908:
	s_mov_b32 s7, 0
.LBB481_1909:
	s_delay_alu instid0(SALU_CYCLE_1)
	s_and_b32 vcc_lo, exec_lo, s7
	s_cbranch_vccz .LBB481_1912
; %bb.1910:
	v_cmp_eq_u16_e32 vcc_lo, 29, v5
	s_mov_b32 s0, -1
	s_cbranch_vccz .LBB481_1912
; %bb.1911:
	v_cvt_f32_f16_e32 v4, v3
	v_mov_b32_e32 v8, 0
	s_mov_b32 s0, 0
	s_mov_b32 s6, -1
	s_delay_alu instid0(VALU_DEP_2)
	v_cvt_u32_f32_e32 v7, v4
	global_store_b64 v[1:2], v[7:8], off
.LBB481_1912:
	s_mov_b32 s7, 0
.LBB481_1913:
	s_delay_alu instid0(SALU_CYCLE_1)
	s_and_b32 vcc_lo, exec_lo, s7
	s_cbranch_vccz .LBB481_1929
; %bb.1914:
	v_cmp_gt_i16_e32 vcc_lo, 27, v5
	s_mov_b32 s6, -1
	s_cbranch_vccnz .LBB481_1920
; %bb.1915:
	v_cmp_lt_i16_e32 vcc_lo, 27, v5
	s_cbranch_vccz .LBB481_1917
; %bb.1916:
	v_cvt_f32_f16_e32 v4, v3
	s_mov_b32 s6, 0
	s_delay_alu instid0(VALU_DEP_1)
	v_cvt_u32_f32_e32 v4, v4
	global_store_b32 v[1:2], v4, off
.LBB481_1917:
	s_and_not1_b32 vcc_lo, exec_lo, s6
	s_cbranch_vccnz .LBB481_1919
; %bb.1918:
	v_cvt_u16_f16_e32 v4, v3
	global_store_b16 v[1:2], v4, off
.LBB481_1919:
	s_mov_b32 s6, 0
.LBB481_1920:
	s_delay_alu instid0(SALU_CYCLE_1)
	s_and_not1_b32 vcc_lo, exec_lo, s6
	s_cbranch_vccnz .LBB481_1928
; %bb.1921:
	v_cvt_f32_f16_e32 v4, v3
	v_mov_b32_e32 v8, 0x80
	s_mov_b32 s6, exec_lo
	s_delay_alu instid0(VALU_DEP_2) | instskip(NEXT) | instid1(VALU_DEP_1)
	v_and_b32_e32 v7, 0x7fffffff, v4
	v_cmpx_gt_u32_e32 0x43800000, v7
	s_cbranch_execz .LBB481_1927
; %bb.1922:
	v_cmp_lt_u32_e32 vcc_lo, 0x3bffffff, v7
	s_mov_b32 s7, 0
                                        ; implicit-def: $vgpr7
	s_and_saveexec_b32 s10, vcc_lo
	s_delay_alu instid0(SALU_CYCLE_1)
	s_xor_b32 s10, exec_lo, s10
	s_cbranch_execz .LBB481_2153
; %bb.1923:
	v_bfe_u32 v7, v4, 20, 1
	s_mov_b32 s7, exec_lo
	s_delay_alu instid0(VALU_DEP_1) | instskip(NEXT) | instid1(VALU_DEP_1)
	v_add3_u32 v7, v4, v7, 0x487ffff
	v_lshrrev_b32_e32 v7, 20, v7
	s_or_saveexec_b32 s10, s10
                                        ; implicit-def: $sgpr11
	s_delay_alu instid0(SALU_CYCLE_1)
	s_xor_b32 exec_lo, exec_lo, s10
	s_cbranch_execnz .LBB481_2154
.LBB481_1924:
	s_or_b32 exec_lo, exec_lo, s10
	v_mov_b32_e32 v8, s11
	s_and_saveexec_b32 s10, s7
.LBB481_1925:
	v_lshrrev_b32_e32 v4, 24, v4
	s_delay_alu instid0(VALU_DEP_1)
	v_and_or_b32 v8, 0x80, v4, v7
.LBB481_1926:
	s_or_b32 exec_lo, exec_lo, s10
.LBB481_1927:
	s_delay_alu instid0(SALU_CYCLE_1)
	s_or_b32 exec_lo, exec_lo, s6
	global_store_b8 v[1:2], v8, off
.LBB481_1928:
	s_mov_b32 s6, -1
.LBB481_1929:
	s_mov_b32 s7, 0
.LBB481_1930:
	s_delay_alu instid0(SALU_CYCLE_1)
	s_and_b32 vcc_lo, exec_lo, s7
	s_cbranch_vccz .LBB481_1970
; %bb.1931:
	v_cmp_lt_i16_e32 vcc_lo, 22, v5
	s_mov_b32 s1, -1
	s_cbranch_vccz .LBB481_1963
; %bb.1932:
	v_cmp_gt_i16_e32 vcc_lo, 24, v5
	s_cbranch_vccnz .LBB481_1952
; %bb.1933:
	v_cmp_lt_i16_e32 vcc_lo, 24, v5
	s_cbranch_vccz .LBB481_1941
; %bb.1934:
	v_cvt_f32_f16_e32 v4, v3
	v_mov_b32_e32 v8, 0x80
	s_mov_b32 s1, exec_lo
	s_delay_alu instid0(VALU_DEP_2) | instskip(NEXT) | instid1(VALU_DEP_1)
	v_and_b32_e32 v7, 0x7fffffff, v4
	v_cmpx_gt_u32_e32 0x47800000, v7
	s_cbranch_execz .LBB481_1940
; %bb.1935:
	v_cmp_lt_u32_e32 vcc_lo, 0x37ffffff, v7
	s_mov_b32 s6, 0
                                        ; implicit-def: $vgpr7
	s_and_saveexec_b32 s7, vcc_lo
	s_delay_alu instid0(SALU_CYCLE_1)
	s_xor_b32 s7, exec_lo, s7
	s_cbranch_execz .LBB481_2159
; %bb.1936:
	v_bfe_u32 v7, v4, 21, 1
	s_mov_b32 s6, exec_lo
	s_delay_alu instid0(VALU_DEP_1) | instskip(NEXT) | instid1(VALU_DEP_1)
	v_add3_u32 v7, v4, v7, 0x88fffff
	v_lshrrev_b32_e32 v7, 21, v7
	s_or_saveexec_b32 s7, s7
                                        ; implicit-def: $sgpr10
	s_delay_alu instid0(SALU_CYCLE_1)
	s_xor_b32 exec_lo, exec_lo, s7
	s_cbranch_execnz .LBB481_2160
.LBB481_1937:
	s_or_b32 exec_lo, exec_lo, s7
	v_mov_b32_e32 v8, s10
	s_and_saveexec_b32 s7, s6
.LBB481_1938:
	v_lshrrev_b32_e32 v4, 24, v4
	s_delay_alu instid0(VALU_DEP_1)
	v_and_or_b32 v8, 0x80, v4, v7
.LBB481_1939:
	s_or_b32 exec_lo, exec_lo, s7
.LBB481_1940:
	s_delay_alu instid0(SALU_CYCLE_1)
	s_or_b32 exec_lo, exec_lo, s1
	s_mov_b32 s1, 0
	global_store_b8 v[1:2], v8, off
.LBB481_1941:
	s_and_b32 vcc_lo, exec_lo, s1
	s_cbranch_vccz .LBB481_1951
; %bb.1942:
	v_cvt_f32_f16_e32 v4, v3
	s_mov_b32 s1, exec_lo
                                        ; implicit-def: $vgpr7
	s_delay_alu instid0(VALU_DEP_1) | instskip(NEXT) | instid1(VALU_DEP_1)
	v_and_b32_e32 v8, 0x7fffffff, v4
	v_cmpx_gt_u32_e32 0x43f00000, v8
	s_xor_b32 s1, exec_lo, s1
	s_cbranch_execz .LBB481_1948
; %bb.1943:
	s_mov_b32 s6, exec_lo
                                        ; implicit-def: $vgpr7
	v_cmpx_lt_u32_e32 0x3c7fffff, v8
	s_xor_b32 s6, exec_lo, s6
; %bb.1944:
	v_bfe_u32 v7, v4, 20, 1
	s_delay_alu instid0(VALU_DEP_1) | instskip(NEXT) | instid1(VALU_DEP_1)
	v_add3_u32 v7, v4, v7, 0x407ffff
	v_and_b32_e32 v8, 0xff00000, v7
	v_lshrrev_b32_e32 v7, 20, v7
	s_delay_alu instid0(VALU_DEP_2) | instskip(NEXT) | instid1(VALU_DEP_2)
	v_cmp_ne_u32_e32 vcc_lo, 0x7f00000, v8
	v_cndmask_b32_e32 v7, 0x7e, v7, vcc_lo
; %bb.1945:
	s_and_not1_saveexec_b32 s6, s6
; %bb.1946:
	v_add_f32_e64 v7, 0x46800000, |v4|
; %bb.1947:
	s_or_b32 exec_lo, exec_lo, s6
                                        ; implicit-def: $vgpr8
.LBB481_1948:
	s_and_not1_saveexec_b32 s1, s1
; %bb.1949:
	v_mov_b32_e32 v7, 0x7f
	v_cmp_lt_u32_e32 vcc_lo, 0x7f800000, v8
	s_delay_alu instid0(VALU_DEP_2)
	v_cndmask_b32_e32 v7, 0x7e, v7, vcc_lo
; %bb.1950:
	s_or_b32 exec_lo, exec_lo, s1
	v_lshrrev_b32_e32 v4, 24, v4
	s_delay_alu instid0(VALU_DEP_1)
	v_and_or_b32 v4, 0x80, v4, v7
	global_store_b8 v[1:2], v4, off
.LBB481_1951:
	s_mov_b32 s1, 0
.LBB481_1952:
	s_delay_alu instid0(SALU_CYCLE_1)
	s_and_not1_b32 vcc_lo, exec_lo, s1
	s_cbranch_vccnz .LBB481_1962
; %bb.1953:
	v_cvt_f32_f16_e32 v4, v3
	s_mov_b32 s1, exec_lo
                                        ; implicit-def: $vgpr7
	s_delay_alu instid0(VALU_DEP_1) | instskip(NEXT) | instid1(VALU_DEP_1)
	v_and_b32_e32 v8, 0x7fffffff, v4
	v_cmpx_gt_u32_e32 0x47800000, v8
	s_xor_b32 s1, exec_lo, s1
	s_cbranch_execz .LBB481_1959
; %bb.1954:
	s_mov_b32 s6, exec_lo
                                        ; implicit-def: $vgpr7
	v_cmpx_lt_u32_e32 0x387fffff, v8
	s_xor_b32 s6, exec_lo, s6
; %bb.1955:
	v_bfe_u32 v7, v4, 21, 1
	s_delay_alu instid0(VALU_DEP_1) | instskip(NEXT) | instid1(VALU_DEP_1)
	v_add3_u32 v7, v4, v7, 0x80fffff
	v_lshrrev_b32_e32 v7, 21, v7
; %bb.1956:
	s_and_not1_saveexec_b32 s6, s6
; %bb.1957:
	v_add_f32_e64 v7, 0x43000000, |v4|
; %bb.1958:
	s_or_b32 exec_lo, exec_lo, s6
                                        ; implicit-def: $vgpr8
.LBB481_1959:
	s_and_not1_saveexec_b32 s1, s1
; %bb.1960:
	v_mov_b32_e32 v7, 0x7f
	v_cmp_lt_u32_e32 vcc_lo, 0x7f800000, v8
	s_delay_alu instid0(VALU_DEP_2)
	v_cndmask_b32_e32 v7, 0x7c, v7, vcc_lo
; %bb.1961:
	s_or_b32 exec_lo, exec_lo, s1
	v_lshrrev_b32_e32 v4, 24, v4
	s_delay_alu instid0(VALU_DEP_1)
	v_and_or_b32 v4, 0x80, v4, v7
	global_store_b8 v[1:2], v4, off
.LBB481_1962:
	s_mov_b32 s1, 0
	s_mov_b32 s6, -1
.LBB481_1963:
	s_and_not1_b32 vcc_lo, exec_lo, s1
	s_mov_b32 s1, 0
	s_cbranch_vccnz .LBB481_1970
; %bb.1964:
	v_cmp_lt_i16_e32 vcc_lo, 14, v5
	s_mov_b32 s1, -1
	s_cbranch_vccz .LBB481_1968
; %bb.1965:
	v_cmp_eq_u16_e32 vcc_lo, 15, v5
	s_mov_b32 s0, -1
	s_cbranch_vccz .LBB481_1967
; %bb.1966:
	v_cvt_f32_f16_e32 v4, v3
	v_cmp_o_f16_e32 vcc_lo, v3, v3
	s_mov_b32 s0, 0
	s_mov_b32 s6, -1
	s_delay_alu instid0(VALU_DEP_2) | instskip(NEXT) | instid1(VALU_DEP_1)
	v_bfe_u32 v7, v4, 16, 1
	v_add3_u32 v4, v4, v7, 0x7fff
	s_delay_alu instid0(VALU_DEP_1) | instskip(NEXT) | instid1(VALU_DEP_1)
	v_lshrrev_b32_e32 v4, 16, v4
	v_cndmask_b32_e32 v4, 0x7fc0, v4, vcc_lo
	global_store_b16 v[1:2], v4, off
.LBB481_1967:
	s_mov_b32 s1, 0
.LBB481_1968:
	s_delay_alu instid0(SALU_CYCLE_1)
	s_and_b32 vcc_lo, exec_lo, s1
	s_mov_b32 s1, 0
	s_cbranch_vccz .LBB481_1970
; %bb.1969:
	v_cmp_ne_u16_e64 s0, 11, v5
	s_mov_b32 s1, -1
.LBB481_1970:
	s_delay_alu instid0(VALU_DEP_1)
	s_and_b32 vcc_lo, exec_lo, s0
	s_cbranch_vccnz .LBB481_2157
; %bb.1971:
	s_and_not1_b32 vcc_lo, exec_lo, s1
	s_cbranch_vccnz .LBB481_1973
.LBB481_1972:
	v_and_b32_e32 v4, 0x7fff, v3
	s_mov_b32 s6, -1
	s_delay_alu instid0(VALU_DEP_1)
	v_cmp_ne_u16_e32 vcc_lo, 0, v4
	v_cndmask_b32_e64 v4, 0, 1, vcc_lo
	global_store_b8 v[1:2], v4, off
.LBB481_1973:
	s_mov_b32 s0, 0
.LBB481_1974:
	s_delay_alu instid0(SALU_CYCLE_1)
	s_and_b32 vcc_lo, exec_lo, s0
	s_cbranch_vccz .LBB481_2013
; %bb.1975:
	v_cmp_gt_i16_e32 vcc_lo, 5, v5
	s_mov_b32 s0, -1
	s_cbranch_vccnz .LBB481_1996
; %bb.1976:
	v_cmp_gt_i16_e32 vcc_lo, 8, v5
	s_cbranch_vccnz .LBB481_1986
; %bb.1977:
	v_cmp_gt_i16_e32 vcc_lo, 9, v5
	s_cbranch_vccnz .LBB481_1983
; %bb.1978:
	v_cmp_lt_i16_e32 vcc_lo, 9, v5
	s_cbranch_vccz .LBB481_1980
; %bb.1979:
	v_cvt_f32_f16_e32 v4, v3
	v_mov_b32_e32 v9, 0
	s_mov_b32 s0, 0
	s_delay_alu instid0(VALU_DEP_2) | instskip(NEXT) | instid1(VALU_DEP_2)
	v_cvt_f64_f32_e32 v[7:8], v4
	v_mov_b32_e32 v10, v9
	global_store_b128 v[1:2], v[7:10], off
.LBB481_1980:
	s_and_not1_b32 vcc_lo, exec_lo, s0
	s_cbranch_vccnz .LBB481_1982
; %bb.1981:
	v_cvt_f32_f16_e32 v7, v3
	v_mov_b32_e32 v8, 0
	global_store_b64 v[1:2], v[7:8], off
.LBB481_1982:
	s_mov_b32 s0, 0
.LBB481_1983:
	s_delay_alu instid0(SALU_CYCLE_1)
	s_and_not1_b32 vcc_lo, exec_lo, s0
	s_cbranch_vccnz .LBB481_1985
; %bb.1984:
	v_and_b32_e32 v4, 0xffff, v3
	global_store_b32 v[1:2], v4, off
.LBB481_1985:
	s_mov_b32 s0, 0
.LBB481_1986:
	s_delay_alu instid0(SALU_CYCLE_1)
	s_and_not1_b32 vcc_lo, exec_lo, s0
	s_cbranch_vccnz .LBB481_1995
; %bb.1987:
	v_cmp_gt_i16_e32 vcc_lo, 6, v5
	s_mov_b32 s0, -1
	s_cbranch_vccnz .LBB481_1993
; %bb.1988:
	v_cmp_lt_i16_e32 vcc_lo, 6, v5
	s_cbranch_vccz .LBB481_1990
; %bb.1989:
	v_cvt_f32_f16_e32 v4, v3
	s_mov_b32 s0, 0
	s_delay_alu instid0(VALU_DEP_1)
	v_cvt_f64_f32_e32 v[7:8], v4
	global_store_b64 v[1:2], v[7:8], off
.LBB481_1990:
	s_and_not1_b32 vcc_lo, exec_lo, s0
	s_cbranch_vccnz .LBB481_1992
; %bb.1991:
	v_cvt_f32_f16_e32 v4, v3
	global_store_b32 v[1:2], v4, off
.LBB481_1992:
	s_mov_b32 s0, 0
.LBB481_1993:
	s_delay_alu instid0(SALU_CYCLE_1)
	s_and_not1_b32 vcc_lo, exec_lo, s0
	s_cbranch_vccnz .LBB481_1995
; %bb.1994:
	global_store_b16 v[1:2], v3, off
.LBB481_1995:
	s_mov_b32 s0, 0
.LBB481_1996:
	s_delay_alu instid0(SALU_CYCLE_1)
	s_and_not1_b32 vcc_lo, exec_lo, s0
	s_cbranch_vccnz .LBB481_2012
; %bb.1997:
	v_cmp_gt_i16_e32 vcc_lo, 2, v5
	s_mov_b32 s0, -1
	s_cbranch_vccnz .LBB481_2007
; %bb.1998:
	v_cmp_gt_i16_e32 vcc_lo, 3, v5
	s_cbranch_vccnz .LBB481_2004
; %bb.1999:
	v_cmp_lt_i16_e32 vcc_lo, 3, v5
	s_cbranch_vccz .LBB481_2001
; %bb.2000:
	v_cvt_f32_f16_e32 v4, v3
	s_mov_b32 s0, 0
	s_delay_alu instid0(VALU_DEP_1) | instskip(NEXT) | instid1(VALU_DEP_1)
	v_cvt_i32_f32_e32 v7, v4
	v_ashrrev_i32_e32 v8, 31, v7
	global_store_b64 v[1:2], v[7:8], off
.LBB481_2001:
	s_and_not1_b32 vcc_lo, exec_lo, s0
	s_cbranch_vccnz .LBB481_2003
; %bb.2002:
	v_cvt_f32_f16_e32 v4, v3
	s_delay_alu instid0(VALU_DEP_1)
	v_cvt_i32_f32_e32 v4, v4
	global_store_b32 v[1:2], v4, off
.LBB481_2003:
	s_mov_b32 s0, 0
.LBB481_2004:
	s_delay_alu instid0(SALU_CYCLE_1)
	s_and_not1_b32 vcc_lo, exec_lo, s0
	s_cbranch_vccnz .LBB481_2006
; %bb.2005:
	v_cvt_i16_f16_e32 v4, v3
	global_store_b16 v[1:2], v4, off
.LBB481_2006:
	s_mov_b32 s0, 0
.LBB481_2007:
	s_delay_alu instid0(SALU_CYCLE_1)
	s_and_not1_b32 vcc_lo, exec_lo, s0
	s_cbranch_vccnz .LBB481_2012
; %bb.2008:
	v_cmp_lt_i16_e32 vcc_lo, 0, v5
	s_mov_b32 s0, -1
	s_cbranch_vccz .LBB481_2010
; %bb.2009:
	v_cvt_i16_f16_e32 v4, v3
	s_mov_b32 s0, 0
	global_store_b8 v[1:2], v4, off
.LBB481_2010:
	s_and_not1_b32 vcc_lo, exec_lo, s0
	s_cbranch_vccnz .LBB481_2012
; %bb.2011:
	v_cvt_f32_f16_e32 v3, v3
	s_delay_alu instid0(VALU_DEP_1)
	v_cvt_i32_f32_e32 v3, v3
	global_store_b8 v[1:2], v3, off
.LBB481_2012:
	s_mov_b32 s6, -1
.LBB481_2013:
	s_delay_alu instid0(SALU_CYCLE_1)
	s_and_not1_b32 vcc_lo, exec_lo, s6
	s_cbranch_vccnz .LBB481_2090
; %bb.2014:
	v_cmp_u_f16_e32 vcc_lo, v6, v6
	v_cmp_gt_f16_e64 s0, s3, v6
	v_cmp_gt_i16_e64 s1, 11, v5
	s_mov_b32 s6, 0
	s_delay_alu instid0(VALU_DEP_2)
	s_or_b32 vcc_lo, vcc_lo, s0
	v_add_co_u32 v0, s0, s4, v0
	v_cndmask_b32_e32 v2, s3, v6, vcc_lo
	v_add_co_ci_u32_e64 v1, null, s5, 0, s0
	s_and_b32 vcc_lo, exec_lo, s1
	s_mov_b32 s0, -1
	s_cbranch_vccnz .LBB481_2091
; %bb.2015:
	v_cmp_lt_i16_e32 vcc_lo, 25, v5
	s_mov_b32 s1, -1
	s_mov_b32 s0, 0
	s_cbranch_vccz .LBB481_2048
; %bb.2016:
	v_cmp_lt_i16_e32 vcc_lo, 28, v5
	s_cbranch_vccz .LBB481_2032
; %bb.2017:
	v_cmp_lt_i16_e32 vcc_lo, 43, v5
	;; [unrolled: 3-line block ×3, first 2 shown]
	s_cbranch_vccz .LBB481_2022
; %bb.2019:
	v_cmp_eq_u16_e32 vcc_lo, 46, v5
	s_mov_b32 s0, -1
	s_cbranch_vccz .LBB481_2021
; %bb.2020:
	v_cvt_f32_f16_e32 v3, v2
	v_cmp_o_f16_e32 vcc_lo, v2, v2
	s_mov_b32 s0, 0
	s_delay_alu instid0(VALU_DEP_2) | instskip(NEXT) | instid1(VALU_DEP_1)
	v_bfe_u32 v4, v3, 16, 1
	v_add3_u32 v3, v3, v4, 0x7fff
	s_delay_alu instid0(VALU_DEP_1) | instskip(NEXT) | instid1(VALU_DEP_1)
	v_lshrrev_b32_e32 v3, 16, v3
	v_cndmask_b32_e32 v3, 0x7fc0, v3, vcc_lo
	global_store_b32 v[0:1], v3, off
.LBB481_2021:
	s_mov_b32 s1, 0
.LBB481_2022:
	s_delay_alu instid0(SALU_CYCLE_1)
	s_and_b32 vcc_lo, exec_lo, s1
	s_cbranch_vccz .LBB481_2027
; %bb.2023:
	v_cmp_eq_u16_e32 vcc_lo, 44, v5
	s_mov_b32 s0, -1
	s_cbranch_vccz .LBB481_2027
; %bb.2024:
	v_cvt_f32_f16_e32 v3, v2
	v_mov_b32_e32 v4, 0xff
	s_mov_b32 s1, exec_lo
	s_delay_alu instid0(VALU_DEP_2) | instskip(NEXT) | instid1(VALU_DEP_1)
	v_bfe_u32 v6, v3, 23, 8
	v_cmpx_ne_u32_e32 0xff, v6
; %bb.2025:
	v_and_b32_e32 v4, 0x400000, v3
	v_and_or_b32 v6, 0x3fffff, v3, v6
	v_lshrrev_b32_e32 v3, 23, v3
	s_delay_alu instid0(VALU_DEP_3) | instskip(NEXT) | instid1(VALU_DEP_3)
	v_cmp_ne_u32_e32 vcc_lo, 0, v4
	v_cmp_ne_u32_e64 s0, 0, v6
	s_delay_alu instid0(VALU_DEP_1) | instskip(NEXT) | instid1(SALU_CYCLE_1)
	s_and_b32 s0, vcc_lo, s0
	v_cndmask_b32_e64 v4, 0, 1, s0
	s_delay_alu instid0(VALU_DEP_1)
	v_add_nc_u32_e32 v4, v3, v4
; %bb.2026:
	s_or_b32 exec_lo, exec_lo, s1
	s_mov_b32 s0, 0
	global_store_b8 v[0:1], v4, off
.LBB481_2027:
	s_mov_b32 s1, 0
.LBB481_2028:
	s_delay_alu instid0(SALU_CYCLE_1)
	s_and_b32 vcc_lo, exec_lo, s1
	s_cbranch_vccz .LBB481_2031
; %bb.2029:
	v_cmp_eq_u16_e32 vcc_lo, 29, v5
	s_mov_b32 s0, -1
	s_cbranch_vccz .LBB481_2031
; %bb.2030:
	v_cvt_f32_f16_e32 v3, v2
	v_mov_b32_e32 v4, 0
	s_mov_b32 s0, 0
	s_delay_alu instid0(VALU_DEP_2)
	v_cvt_u32_f32_e32 v3, v3
	global_store_b64 v[0:1], v[3:4], off
.LBB481_2031:
	s_mov_b32 s1, 0
.LBB481_2032:
	s_delay_alu instid0(SALU_CYCLE_1)
	s_and_b32 vcc_lo, exec_lo, s1
	s_cbranch_vccz .LBB481_2047
; %bb.2033:
	v_cmp_gt_i16_e32 vcc_lo, 27, v5
	s_mov_b32 s1, -1
	s_cbranch_vccnz .LBB481_2039
; %bb.2034:
	v_cmp_lt_i16_e32 vcc_lo, 27, v5
	s_cbranch_vccz .LBB481_2036
; %bb.2035:
	v_cvt_f32_f16_e32 v3, v2
	s_mov_b32 s1, 0
	s_delay_alu instid0(VALU_DEP_1)
	v_cvt_u32_f32_e32 v3, v3
	global_store_b32 v[0:1], v3, off
.LBB481_2036:
	s_and_not1_b32 vcc_lo, exec_lo, s1
	s_cbranch_vccnz .LBB481_2038
; %bb.2037:
	v_cvt_u16_f16_e32 v3, v2
	global_store_b16 v[0:1], v3, off
.LBB481_2038:
	s_mov_b32 s1, 0
.LBB481_2039:
	s_delay_alu instid0(SALU_CYCLE_1)
	s_and_not1_b32 vcc_lo, exec_lo, s1
	s_cbranch_vccnz .LBB481_2047
; %bb.2040:
	v_cvt_f32_f16_e32 v3, v2
	v_mov_b32_e32 v6, 0x80
	s_mov_b32 s1, exec_lo
	s_delay_alu instid0(VALU_DEP_2) | instskip(NEXT) | instid1(VALU_DEP_1)
	v_and_b32_e32 v4, 0x7fffffff, v3
	v_cmpx_gt_u32_e32 0x43800000, v4
	s_cbranch_execz .LBB481_2046
; %bb.2041:
	v_cmp_lt_u32_e32 vcc_lo, 0x3bffffff, v4
	s_mov_b32 s3, 0
                                        ; implicit-def: $vgpr4
	s_and_saveexec_b32 s4, vcc_lo
	s_delay_alu instid0(SALU_CYCLE_1)
	s_xor_b32 s4, exec_lo, s4
	s_cbranch_execz .LBB481_2161
; %bb.2042:
	v_bfe_u32 v4, v3, 20, 1
	s_mov_b32 s3, exec_lo
	s_delay_alu instid0(VALU_DEP_1) | instskip(NEXT) | instid1(VALU_DEP_1)
	v_add3_u32 v4, v3, v4, 0x487ffff
	v_lshrrev_b32_e32 v4, 20, v4
	s_or_saveexec_b32 s4, s4
                                        ; implicit-def: $sgpr5
	s_delay_alu instid0(SALU_CYCLE_1)
	s_xor_b32 exec_lo, exec_lo, s4
	s_cbranch_execnz .LBB481_2162
.LBB481_2043:
	s_or_b32 exec_lo, exec_lo, s4
	v_mov_b32_e32 v6, s5
	s_and_saveexec_b32 s4, s3
.LBB481_2044:
	v_lshrrev_b32_e32 v3, 24, v3
	s_delay_alu instid0(VALU_DEP_1)
	v_and_or_b32 v6, 0x80, v3, v4
.LBB481_2045:
	s_or_b32 exec_lo, exec_lo, s4
.LBB481_2046:
	s_delay_alu instid0(SALU_CYCLE_1)
	s_or_b32 exec_lo, exec_lo, s1
	global_store_b8 v[0:1], v6, off
.LBB481_2047:
	s_mov_b32 s1, 0
.LBB481_2048:
	s_delay_alu instid0(SALU_CYCLE_1)
	s_and_b32 vcc_lo, exec_lo, s1
	s_cbranch_vccz .LBB481_2088
; %bb.2049:
	v_cmp_lt_i16_e32 vcc_lo, 22, v5
	s_mov_b32 s1, -1
	s_cbranch_vccz .LBB481_2081
; %bb.2050:
	v_cmp_gt_i16_e32 vcc_lo, 24, v5
	s_cbranch_vccnz .LBB481_2070
; %bb.2051:
	v_cmp_lt_i16_e32 vcc_lo, 24, v5
	s_cbranch_vccz .LBB481_2059
; %bb.2052:
	v_cvt_f32_f16_e32 v3, v2
	v_mov_b32_e32 v6, 0x80
	s_mov_b32 s1, exec_lo
	s_delay_alu instid0(VALU_DEP_2) | instskip(NEXT) | instid1(VALU_DEP_1)
	v_and_b32_e32 v4, 0x7fffffff, v3
	v_cmpx_gt_u32_e32 0x47800000, v4
	s_cbranch_execz .LBB481_2058
; %bb.2053:
	v_cmp_lt_u32_e32 vcc_lo, 0x37ffffff, v4
	s_mov_b32 s3, 0
                                        ; implicit-def: $vgpr4
	s_and_saveexec_b32 s4, vcc_lo
	s_delay_alu instid0(SALU_CYCLE_1)
	s_xor_b32 s4, exec_lo, s4
	s_cbranch_execz .LBB481_2167
; %bb.2054:
	v_bfe_u32 v4, v3, 21, 1
	s_mov_b32 s3, exec_lo
	s_delay_alu instid0(VALU_DEP_1) | instskip(NEXT) | instid1(VALU_DEP_1)
	v_add3_u32 v4, v3, v4, 0x88fffff
	v_lshrrev_b32_e32 v4, 21, v4
	s_or_saveexec_b32 s4, s4
                                        ; implicit-def: $sgpr5
	s_delay_alu instid0(SALU_CYCLE_1)
	s_xor_b32 exec_lo, exec_lo, s4
	s_cbranch_execnz .LBB481_2168
.LBB481_2055:
	s_or_b32 exec_lo, exec_lo, s4
	v_mov_b32_e32 v6, s5
	s_and_saveexec_b32 s4, s3
.LBB481_2056:
	v_lshrrev_b32_e32 v3, 24, v3
	s_delay_alu instid0(VALU_DEP_1)
	v_and_or_b32 v6, 0x80, v3, v4
.LBB481_2057:
	s_or_b32 exec_lo, exec_lo, s4
.LBB481_2058:
	s_delay_alu instid0(SALU_CYCLE_1)
	s_or_b32 exec_lo, exec_lo, s1
	s_mov_b32 s1, 0
	global_store_b8 v[0:1], v6, off
.LBB481_2059:
	s_and_b32 vcc_lo, exec_lo, s1
	s_cbranch_vccz .LBB481_2069
; %bb.2060:
	v_cvt_f32_f16_e32 v3, v2
	s_mov_b32 s1, exec_lo
                                        ; implicit-def: $vgpr4
	s_delay_alu instid0(VALU_DEP_1) | instskip(NEXT) | instid1(VALU_DEP_1)
	v_and_b32_e32 v6, 0x7fffffff, v3
	v_cmpx_gt_u32_e32 0x43f00000, v6
	s_xor_b32 s1, exec_lo, s1
	s_cbranch_execz .LBB481_2066
; %bb.2061:
	s_mov_b32 s3, exec_lo
                                        ; implicit-def: $vgpr4
	v_cmpx_lt_u32_e32 0x3c7fffff, v6
	s_xor_b32 s3, exec_lo, s3
; %bb.2062:
	v_bfe_u32 v4, v3, 20, 1
	s_delay_alu instid0(VALU_DEP_1) | instskip(NEXT) | instid1(VALU_DEP_1)
	v_add3_u32 v4, v3, v4, 0x407ffff
	v_and_b32_e32 v6, 0xff00000, v4
	v_lshrrev_b32_e32 v4, 20, v4
	s_delay_alu instid0(VALU_DEP_2) | instskip(NEXT) | instid1(VALU_DEP_2)
	v_cmp_ne_u32_e32 vcc_lo, 0x7f00000, v6
	v_cndmask_b32_e32 v4, 0x7e, v4, vcc_lo
; %bb.2063:
	s_and_not1_saveexec_b32 s3, s3
; %bb.2064:
	v_add_f32_e64 v4, 0x46800000, |v3|
; %bb.2065:
	s_or_b32 exec_lo, exec_lo, s3
                                        ; implicit-def: $vgpr6
.LBB481_2066:
	s_and_not1_saveexec_b32 s1, s1
; %bb.2067:
	v_mov_b32_e32 v4, 0x7f
	v_cmp_lt_u32_e32 vcc_lo, 0x7f800000, v6
	s_delay_alu instid0(VALU_DEP_2)
	v_cndmask_b32_e32 v4, 0x7e, v4, vcc_lo
; %bb.2068:
	s_or_b32 exec_lo, exec_lo, s1
	v_lshrrev_b32_e32 v3, 24, v3
	s_delay_alu instid0(VALU_DEP_1)
	v_and_or_b32 v3, 0x80, v3, v4
	global_store_b8 v[0:1], v3, off
.LBB481_2069:
	s_mov_b32 s1, 0
.LBB481_2070:
	s_delay_alu instid0(SALU_CYCLE_1)
	s_and_not1_b32 vcc_lo, exec_lo, s1
	s_cbranch_vccnz .LBB481_2080
; %bb.2071:
	v_cvt_f32_f16_e32 v3, v2
	s_mov_b32 s1, exec_lo
                                        ; implicit-def: $vgpr4
	s_delay_alu instid0(VALU_DEP_1) | instskip(NEXT) | instid1(VALU_DEP_1)
	v_and_b32_e32 v6, 0x7fffffff, v3
	v_cmpx_gt_u32_e32 0x47800000, v6
	s_xor_b32 s1, exec_lo, s1
	s_cbranch_execz .LBB481_2077
; %bb.2072:
	s_mov_b32 s3, exec_lo
                                        ; implicit-def: $vgpr4
	v_cmpx_lt_u32_e32 0x387fffff, v6
	s_xor_b32 s3, exec_lo, s3
; %bb.2073:
	v_bfe_u32 v4, v3, 21, 1
	s_delay_alu instid0(VALU_DEP_1) | instskip(NEXT) | instid1(VALU_DEP_1)
	v_add3_u32 v4, v3, v4, 0x80fffff
	v_lshrrev_b32_e32 v4, 21, v4
; %bb.2074:
	s_and_not1_saveexec_b32 s3, s3
; %bb.2075:
	v_add_f32_e64 v4, 0x43000000, |v3|
; %bb.2076:
	s_or_b32 exec_lo, exec_lo, s3
                                        ; implicit-def: $vgpr6
.LBB481_2077:
	s_and_not1_saveexec_b32 s1, s1
; %bb.2078:
	v_mov_b32_e32 v4, 0x7f
	v_cmp_lt_u32_e32 vcc_lo, 0x7f800000, v6
	s_delay_alu instid0(VALU_DEP_2)
	v_cndmask_b32_e32 v4, 0x7c, v4, vcc_lo
; %bb.2079:
	s_or_b32 exec_lo, exec_lo, s1
	v_lshrrev_b32_e32 v3, 24, v3
	s_delay_alu instid0(VALU_DEP_1)
	v_and_or_b32 v3, 0x80, v3, v4
	global_store_b8 v[0:1], v3, off
.LBB481_2080:
	s_mov_b32 s1, 0
.LBB481_2081:
	s_delay_alu instid0(SALU_CYCLE_1)
	s_and_not1_b32 vcc_lo, exec_lo, s1
	s_mov_b32 s6, 0
	s_cbranch_vccnz .LBB481_2088
; %bb.2082:
	v_cmp_lt_i16_e32 vcc_lo, 14, v5
	s_mov_b32 s1, -1
	s_cbranch_vccz .LBB481_2086
; %bb.2083:
	v_cmp_eq_u16_e32 vcc_lo, 15, v5
	s_mov_b32 s0, -1
	s_cbranch_vccz .LBB481_2085
; %bb.2084:
	v_cvt_f32_f16_e32 v3, v2
	v_cmp_o_f16_e32 vcc_lo, v2, v2
	s_mov_b32 s0, 0
	s_delay_alu instid0(VALU_DEP_2) | instskip(NEXT) | instid1(VALU_DEP_1)
	v_bfe_u32 v4, v3, 16, 1
	v_add3_u32 v3, v3, v4, 0x7fff
	s_delay_alu instid0(VALU_DEP_1) | instskip(NEXT) | instid1(VALU_DEP_1)
	v_lshrrev_b32_e32 v3, 16, v3
	v_cndmask_b32_e32 v3, 0x7fc0, v3, vcc_lo
	global_store_b16 v[0:1], v3, off
.LBB481_2085:
	s_mov_b32 s1, 0
.LBB481_2086:
	s_delay_alu instid0(SALU_CYCLE_1)
	s_and_b32 vcc_lo, exec_lo, s1
	s_cbranch_vccz .LBB481_2088
; %bb.2087:
	v_cmp_ne_u16_e64 s0, 11, v5
	s_mov_b32 s6, -1
.LBB481_2088:
	s_delay_alu instid0(VALU_DEP_1)
	s_and_b32 vcc_lo, exec_lo, s0
	s_cbranch_vccnz .LBB481_2165
.LBB481_2089:
	s_mov_b32 s0, 0
	s_branch .LBB481_2091
.LBB481_2090:
	s_mov_b32 s0, 0
	s_mov_b32 s6, 0
                                        ; implicit-def: $vgpr0_vgpr1
                                        ; implicit-def: $vgpr5
                                        ; implicit-def: $vgpr2
.LBB481_2091:
	s_and_b32 s3, s0, exec_lo
	s_and_not1_b32 s0, s8, exec_lo
	s_and_b32 s1, s2, exec_lo
	s_and_b32 s26, s6, exec_lo
	s_or_b32 s8, s0, s1
.LBB481_2092:
	s_or_b32 exec_lo, exec_lo, s9
	s_and_saveexec_b32 s0, s8
	s_cbranch_execz .LBB481_2095
; %bb.2093:
	; divergent unreachable
	s_or_b32 exec_lo, exec_lo, s0
	s_and_saveexec_b32 s0, s26
	s_delay_alu instid0(SALU_CYCLE_1)
	s_xor_b32 s0, exec_lo, s0
	s_cbranch_execnz .LBB481_2096
.LBB481_2094:
	s_or_b32 exec_lo, exec_lo, s0
	s_and_saveexec_b32 s0, s3
	s_cbranch_execnz .LBB481_2097
	s_branch .LBB481_2134
.LBB481_2095:
	s_or_b32 exec_lo, exec_lo, s0
	s_and_saveexec_b32 s0, s26
	s_delay_alu instid0(SALU_CYCLE_1)
	s_xor_b32 s0, exec_lo, s0
	s_cbranch_execz .LBB481_2094
.LBB481_2096:
	v_and_b32_e32 v3, 0x7fff, v2
	s_delay_alu instid0(VALU_DEP_1)
	v_cmp_ne_u16_e32 vcc_lo, 0, v3
	v_cndmask_b32_e64 v3, 0, 1, vcc_lo
	global_store_b8 v[0:1], v3, off
	s_or_b32 exec_lo, exec_lo, s0
	s_and_saveexec_b32 s0, s3
	s_cbranch_execz .LBB481_2134
.LBB481_2097:
	s_waitcnt vmcnt(0)
	v_cmp_gt_i16_e32 vcc_lo, 5, v5
	s_mov_b32 s0, -1
	s_cbranch_vccnz .LBB481_2118
; %bb.2098:
	v_cmp_gt_i16_e32 vcc_lo, 8, v5
	s_cbranch_vccnz .LBB481_2108
; %bb.2099:
	v_cmp_gt_i16_e32 vcc_lo, 9, v5
	s_cbranch_vccnz .LBB481_2105
; %bb.2100:
	v_cmp_lt_i16_e32 vcc_lo, 9, v5
	s_cbranch_vccz .LBB481_2102
; %bb.2101:
	v_cvt_f32_f16_e32 v3, v2
	v_mov_b32_e32 v8, 0
	s_mov_b32 s0, 0
	s_delay_alu instid0(VALU_DEP_2) | instskip(NEXT) | instid1(VALU_DEP_2)
	v_cvt_f64_f32_e32 v[6:7], v3
	v_mov_b32_e32 v9, v8
	global_store_b128 v[0:1], v[6:9], off
.LBB481_2102:
	s_and_not1_b32 vcc_lo, exec_lo, s0
	s_cbranch_vccnz .LBB481_2104
; %bb.2103:
	v_cvt_f32_f16_e32 v3, v2
	v_mov_b32_e32 v4, 0
	global_store_b64 v[0:1], v[3:4], off
.LBB481_2104:
	s_mov_b32 s0, 0
.LBB481_2105:
	s_delay_alu instid0(SALU_CYCLE_1)
	s_and_not1_b32 vcc_lo, exec_lo, s0
	s_cbranch_vccnz .LBB481_2107
; %bb.2106:
	v_and_b32_e32 v3, 0xffff, v2
	global_store_b32 v[0:1], v3, off
.LBB481_2107:
	s_mov_b32 s0, 0
.LBB481_2108:
	s_delay_alu instid0(SALU_CYCLE_1)
	s_and_not1_b32 vcc_lo, exec_lo, s0
	s_cbranch_vccnz .LBB481_2117
; %bb.2109:
	v_cmp_gt_i16_e32 vcc_lo, 6, v5
	s_mov_b32 s0, -1
	s_cbranch_vccnz .LBB481_2115
; %bb.2110:
	v_cmp_lt_i16_e32 vcc_lo, 6, v5
	s_cbranch_vccz .LBB481_2112
; %bb.2111:
	v_cvt_f32_f16_e32 v3, v2
	s_mov_b32 s0, 0
	s_delay_alu instid0(VALU_DEP_1)
	v_cvt_f64_f32_e32 v[3:4], v3
	global_store_b64 v[0:1], v[3:4], off
.LBB481_2112:
	s_and_not1_b32 vcc_lo, exec_lo, s0
	s_cbranch_vccnz .LBB481_2114
; %bb.2113:
	v_cvt_f32_f16_e32 v3, v2
	global_store_b32 v[0:1], v3, off
.LBB481_2114:
	s_mov_b32 s0, 0
.LBB481_2115:
	s_delay_alu instid0(SALU_CYCLE_1)
	s_and_not1_b32 vcc_lo, exec_lo, s0
	s_cbranch_vccnz .LBB481_2117
; %bb.2116:
	global_store_b16 v[0:1], v2, off
.LBB481_2117:
	s_mov_b32 s0, 0
.LBB481_2118:
	s_delay_alu instid0(SALU_CYCLE_1)
	s_and_not1_b32 vcc_lo, exec_lo, s0
	s_cbranch_vccnz .LBB481_2134
; %bb.2119:
	v_cmp_gt_i16_e32 vcc_lo, 2, v5
	s_mov_b32 s0, -1
	s_cbranch_vccnz .LBB481_2129
; %bb.2120:
	v_cmp_gt_i16_e32 vcc_lo, 3, v5
	s_cbranch_vccnz .LBB481_2126
; %bb.2121:
	v_cmp_lt_i16_e32 vcc_lo, 3, v5
	s_cbranch_vccz .LBB481_2123
; %bb.2122:
	v_cvt_f32_f16_e32 v3, v2
	s_mov_b32 s0, 0
	s_delay_alu instid0(VALU_DEP_1) | instskip(NEXT) | instid1(VALU_DEP_1)
	v_cvt_i32_f32_e32 v3, v3
	v_ashrrev_i32_e32 v4, 31, v3
	global_store_b64 v[0:1], v[3:4], off
.LBB481_2123:
	s_and_not1_b32 vcc_lo, exec_lo, s0
	s_cbranch_vccnz .LBB481_2125
; %bb.2124:
	v_cvt_f32_f16_e32 v3, v2
	s_delay_alu instid0(VALU_DEP_1)
	v_cvt_i32_f32_e32 v3, v3
	global_store_b32 v[0:1], v3, off
.LBB481_2125:
	s_mov_b32 s0, 0
.LBB481_2126:
	s_delay_alu instid0(SALU_CYCLE_1)
	s_and_not1_b32 vcc_lo, exec_lo, s0
	s_cbranch_vccnz .LBB481_2128
; %bb.2127:
	v_cvt_i16_f16_e32 v3, v2
	global_store_b16 v[0:1], v3, off
.LBB481_2128:
	s_mov_b32 s0, 0
.LBB481_2129:
	s_delay_alu instid0(SALU_CYCLE_1)
	s_and_not1_b32 vcc_lo, exec_lo, s0
	s_cbranch_vccnz .LBB481_2134
; %bb.2130:
	v_cmp_lt_i16_e32 vcc_lo, 0, v5
	s_mov_b32 s0, -1
	s_cbranch_vccz .LBB481_2132
; %bb.2131:
	v_cvt_i16_f16_e32 v3, v2
	s_mov_b32 s0, 0
	global_store_b8 v[0:1], v3, off
.LBB481_2132:
	s_and_not1_b32 vcc_lo, exec_lo, s0
	s_cbranch_vccnz .LBB481_2134
; %bb.2133:
	v_cvt_f32_f16_e32 v2, v2
	s_delay_alu instid0(VALU_DEP_1)
	v_cvt_i32_f32_e32 v2, v2
	global_store_b8 v[0:1], v2, off
	s_nop 0
	s_sendmsg sendmsg(MSG_DEALLOC_VGPRS)
	s_endpgm
.LBB481_2134:
	s_nop 0
	s_sendmsg sendmsg(MSG_DEALLOC_VGPRS)
	s_endpgm
.LBB481_2135:
	s_cbranch_execnz .LBB481_2139
; %bb.2136:
	s_or_b32 s2, s2, exec_lo
                                        ; implicit-def: $vgpr6
	s_cbranch_execz .LBB481_1608
	s_branch .LBB481_1609
.LBB481_2137:
	s_or_saveexec_b32 s10, s10
                                        ; implicit-def: $sgpr11
	s_delay_alu instid0(SALU_CYCLE_1)
	s_xor_b32 exec_lo, exec_lo, s10
	s_cbranch_execz .LBB481_1688
.LBB481_2138:
	v_add_f32_e64 v11, 0x46000000, |v10|
	s_and_not1_b32 s7, s7, exec_lo
	s_mov_b32 s11, 0
	s_delay_alu instid0(VALU_DEP_1) | instskip(NEXT) | instid1(VALU_DEP_1)
	v_and_b32_e32 v11, 0xff, v11
	v_cmp_ne_u32_e32 vcc_lo, 0, v11
	s_and_b32 s12, vcc_lo, exec_lo
	s_delay_alu instid0(SALU_CYCLE_1)
	s_or_b32 s7, s7, s12
	s_or_b32 exec_lo, exec_lo, s10
	v_mov_b32_e32 v12, s11
	s_and_saveexec_b32 s10, s7
	s_cbranch_execnz .LBB481_1689
	s_branch .LBB481_1690
.LBB481_2139:
	s_trap 2
	s_sendmsg_rtn_b32 s0, sendmsg(MSG_RTN_GET_DOORBELL)
	s_mov_b32 ttmp2, m0
	s_waitcnt lgkmcnt(0)
	s_and_b32 s0, s0, 0x3ff
	s_delay_alu instid0(SALU_CYCLE_1) | instskip(NEXT) | instid1(SALU_CYCLE_1)
	s_bitset1_b32 s0, 10
	s_mov_b32 m0, s0
	s_sendmsg sendmsg(MSG_INTERRUPT)
	s_mov_b32 m0, ttmp2
.LBB481_2140:                           ; =>This Inner Loop Header: Depth=1
	s_sethalt 5
	s_branch .LBB481_2140
.LBB481_2141:
	s_cbranch_execnz .LBB481_2147
; %bb.2142:
	s_or_b32 s2, s2, exec_lo
	s_cbranch_execz .LBB481_1736
	s_branch .LBB481_1737
.LBB481_2143:
	s_or_saveexec_b32 s7, s7
                                        ; implicit-def: $sgpr10
	s_delay_alu instid0(SALU_CYCLE_1)
	s_xor_b32 exec_lo, exec_lo, s7
	s_cbranch_execz .LBB481_1701
.LBB481_2144:
	v_add_f32_e64 v11, 0x42800000, |v10|
	s_and_not1_b32 s6, s6, exec_lo
	s_mov_b32 s10, 0
	s_delay_alu instid0(VALU_DEP_1) | instskip(NEXT) | instid1(VALU_DEP_1)
	v_and_b32_e32 v11, 0xff, v11
	v_cmp_ne_u32_e32 vcc_lo, 0, v11
	s_and_b32 s11, vcc_lo, exec_lo
	s_delay_alu instid0(SALU_CYCLE_1)
	s_or_b32 s6, s6, s11
	s_or_b32 exec_lo, exec_lo, s7
	v_mov_b32_e32 v12, s10
	s_and_saveexec_b32 s7, s6
	s_cbranch_execnz .LBB481_1702
	s_branch .LBB481_1703
.LBB481_2145:
	s_or_saveexec_b32 s10, s10
                                        ; implicit-def: $sgpr11
	s_delay_alu instid0(SALU_CYCLE_1)
	s_xor_b32 exec_lo, exec_lo, s10
	s_cbranch_execz .LBB481_1806
.LBB481_2146:
	v_add_f32_e64 v9, 0x46000000, |v8|
	s_and_not1_b32 s7, s7, exec_lo
	s_mov_b32 s11, 0
	s_delay_alu instid0(VALU_DEP_1) | instskip(NEXT) | instid1(VALU_DEP_1)
	v_and_b32_e32 v9, 0xff, v9
	v_cmp_ne_u32_e32 vcc_lo, 0, v9
	s_and_b32 s12, vcc_lo, exec_lo
	s_delay_alu instid0(SALU_CYCLE_1)
	s_or_b32 s7, s7, s12
	s_or_b32 exec_lo, exec_lo, s10
	v_mov_b32_e32 v10, s11
	s_and_saveexec_b32 s10, s7
	s_cbranch_execnz .LBB481_1807
	s_branch .LBB481_1808
.LBB481_2147:
	s_trap 2
	s_sendmsg_rtn_b32 s0, sendmsg(MSG_RTN_GET_DOORBELL)
	s_mov_b32 ttmp2, m0
	s_waitcnt lgkmcnt(0)
	s_and_b32 s0, s0, 0x3ff
	s_delay_alu instid0(SALU_CYCLE_1) | instskip(NEXT) | instid1(SALU_CYCLE_1)
	s_bitset1_b32 s0, 10
	s_mov_b32 m0, s0
	s_sendmsg sendmsg(MSG_INTERRUPT)
	s_mov_b32 m0, ttmp2
.LBB481_2148:                           ; =>This Inner Loop Header: Depth=1
	s_sethalt 5
	s_branch .LBB481_2148
.LBB481_2149:
	s_cbranch_execnz .LBB481_2155
; %bb.2150:
	s_or_b32 s2, s2, exec_lo
	s_cbranch_execz .LBB481_1854
	s_branch .LBB481_1855
.LBB481_2151:
	s_or_saveexec_b32 s7, s7
                                        ; implicit-def: $sgpr10
	s_delay_alu instid0(SALU_CYCLE_1)
	s_xor_b32 exec_lo, exec_lo, s7
	s_cbranch_execz .LBB481_1819
.LBB481_2152:
	v_add_f32_e64 v9, 0x42800000, |v8|
	s_and_not1_b32 s6, s6, exec_lo
	s_mov_b32 s10, 0
	s_delay_alu instid0(VALU_DEP_1) | instskip(NEXT) | instid1(VALU_DEP_1)
	v_and_b32_e32 v9, 0xff, v9
	v_cmp_ne_u32_e32 vcc_lo, 0, v9
	s_and_b32 s11, vcc_lo, exec_lo
	s_delay_alu instid0(SALU_CYCLE_1)
	s_or_b32 s6, s6, s11
	s_or_b32 exec_lo, exec_lo, s7
	v_mov_b32_e32 v10, s10
	s_and_saveexec_b32 s7, s6
	s_cbranch_execnz .LBB481_1820
	s_branch .LBB481_1821
.LBB481_2153:
	s_or_saveexec_b32 s10, s10
                                        ; implicit-def: $sgpr11
	s_delay_alu instid0(SALU_CYCLE_1)
	s_xor_b32 exec_lo, exec_lo, s10
	s_cbranch_execz .LBB481_1924
.LBB481_2154:
	v_add_f32_e64 v7, 0x46000000, |v4|
	s_and_not1_b32 s7, s7, exec_lo
	s_mov_b32 s11, 0
	s_delay_alu instid0(VALU_DEP_1) | instskip(NEXT) | instid1(VALU_DEP_1)
	v_and_b32_e32 v7, 0xff, v7
	v_cmp_ne_u32_e32 vcc_lo, 0, v7
	s_and_b32 s12, vcc_lo, exec_lo
	s_delay_alu instid0(SALU_CYCLE_1)
	s_or_b32 s7, s7, s12
	s_or_b32 exec_lo, exec_lo, s10
	v_mov_b32_e32 v8, s11
	s_and_saveexec_b32 s10, s7
	s_cbranch_execnz .LBB481_1925
	s_branch .LBB481_1926
.LBB481_2155:
	s_trap 2
	s_sendmsg_rtn_b32 s0, sendmsg(MSG_RTN_GET_DOORBELL)
	s_mov_b32 ttmp2, m0
	s_waitcnt lgkmcnt(0)
	s_and_b32 s0, s0, 0x3ff
	s_delay_alu instid0(SALU_CYCLE_1) | instskip(NEXT) | instid1(SALU_CYCLE_1)
	s_bitset1_b32 s0, 10
	s_mov_b32 m0, s0
	s_sendmsg sendmsg(MSG_INTERRUPT)
	s_mov_b32 m0, ttmp2
.LBB481_2156:                           ; =>This Inner Loop Header: Depth=1
	s_sethalt 5
	s_branch .LBB481_2156
.LBB481_2157:
	s_cbranch_execnz .LBB481_2163
; %bb.2158:
	s_or_b32 s2, s2, exec_lo
	s_cbranch_execz .LBB481_1972
	s_branch .LBB481_1973
.LBB481_2159:
	s_or_saveexec_b32 s7, s7
                                        ; implicit-def: $sgpr10
	s_delay_alu instid0(SALU_CYCLE_1)
	s_xor_b32 exec_lo, exec_lo, s7
	s_cbranch_execz .LBB481_1937
.LBB481_2160:
	v_add_f32_e64 v7, 0x42800000, |v4|
	s_and_not1_b32 s6, s6, exec_lo
	s_mov_b32 s10, 0
	s_delay_alu instid0(VALU_DEP_1) | instskip(NEXT) | instid1(VALU_DEP_1)
	v_and_b32_e32 v7, 0xff, v7
	v_cmp_ne_u32_e32 vcc_lo, 0, v7
	s_and_b32 s11, vcc_lo, exec_lo
	s_delay_alu instid0(SALU_CYCLE_1)
	s_or_b32 s6, s6, s11
	s_or_b32 exec_lo, exec_lo, s7
	v_mov_b32_e32 v8, s10
	s_and_saveexec_b32 s7, s6
	s_cbranch_execnz .LBB481_1938
	s_branch .LBB481_1939
.LBB481_2161:
	s_or_saveexec_b32 s4, s4
                                        ; implicit-def: $sgpr5
	s_delay_alu instid0(SALU_CYCLE_1)
	s_xor_b32 exec_lo, exec_lo, s4
	s_cbranch_execz .LBB481_2043
.LBB481_2162:
	v_add_f32_e64 v4, 0x46000000, |v3|
	s_and_not1_b32 s3, s3, exec_lo
	s_mov_b32 s5, 0
	s_delay_alu instid0(VALU_DEP_1) | instskip(NEXT) | instid1(VALU_DEP_1)
	v_and_b32_e32 v4, 0xff, v4
	v_cmp_ne_u32_e32 vcc_lo, 0, v4
	s_and_b32 s7, vcc_lo, exec_lo
	s_delay_alu instid0(SALU_CYCLE_1)
	s_or_b32 s3, s3, s7
	s_or_b32 exec_lo, exec_lo, s4
	v_mov_b32_e32 v6, s5
	s_and_saveexec_b32 s4, s3
	s_cbranch_execnz .LBB481_2044
	s_branch .LBB481_2045
.LBB481_2163:
	s_trap 2
	s_sendmsg_rtn_b32 s0, sendmsg(MSG_RTN_GET_DOORBELL)
	s_mov_b32 ttmp2, m0
	s_waitcnt lgkmcnt(0)
	s_and_b32 s0, s0, 0x3ff
	s_delay_alu instid0(SALU_CYCLE_1) | instskip(NEXT) | instid1(SALU_CYCLE_1)
	s_bitset1_b32 s0, 10
	s_mov_b32 m0, s0
	s_sendmsg sendmsg(MSG_INTERRUPT)
	s_mov_b32 m0, ttmp2
.LBB481_2164:                           ; =>This Inner Loop Header: Depth=1
	s_sethalt 5
	s_branch .LBB481_2164
.LBB481_2165:
	s_cbranch_execnz .LBB481_2169
; %bb.2166:
	s_mov_b32 s6, 0
	s_or_b32 s2, s2, exec_lo
	s_branch .LBB481_2089
.LBB481_2167:
	s_or_saveexec_b32 s4, s4
                                        ; implicit-def: $sgpr5
	s_delay_alu instid0(SALU_CYCLE_1)
	s_xor_b32 exec_lo, exec_lo, s4
	s_cbranch_execz .LBB481_2055
.LBB481_2168:
	v_add_f32_e64 v4, 0x42800000, |v3|
	s_and_not1_b32 s3, s3, exec_lo
	s_mov_b32 s5, 0
	s_delay_alu instid0(VALU_DEP_1) | instskip(NEXT) | instid1(VALU_DEP_1)
	v_and_b32_e32 v4, 0xff, v4
	v_cmp_ne_u32_e32 vcc_lo, 0, v4
	s_and_b32 s6, vcc_lo, exec_lo
	s_delay_alu instid0(SALU_CYCLE_1)
	s_or_b32 s3, s3, s6
	s_or_b32 exec_lo, exec_lo, s4
	v_mov_b32_e32 v6, s5
	s_and_saveexec_b32 s4, s3
	s_cbranch_execnz .LBB481_2056
	s_branch .LBB481_2057
.LBB481_2169:
	s_trap 2
	s_sendmsg_rtn_b32 s0, sendmsg(MSG_RTN_GET_DOORBELL)
	s_mov_b32 ttmp2, m0
	s_waitcnt lgkmcnt(0)
	s_and_b32 s0, s0, 0x3ff
	s_delay_alu instid0(SALU_CYCLE_1) | instskip(NEXT) | instid1(SALU_CYCLE_1)
	s_bitset1_b32 s0, 10
	s_mov_b32 m0, s0
	s_sendmsg sendmsg(MSG_INTERRUPT)
	s_mov_b32 m0, ttmp2
.LBB481_2170:                           ; =>This Inner Loop Header: Depth=1
	s_sethalt 5
	s_branch .LBB481_2170
	.section	.rodata,"a",@progbits
	.p2align	6, 0x0
	.amdhsa_kernel _ZN2at6native32elementwise_kernel_manual_unrollILi128ELi4EZNS0_15gpu_kernel_implIZZZNS0_21clamp_max_kernel_cudaERNS_18TensorIteratorBaseERKN3c106ScalarEENKUlvE_clEvENKUlvE6_clEvEUlNS5_4HalfEE_EEvS4_RKT_EUlibE0_EEviT1_
		.amdhsa_group_segment_fixed_size 0
		.amdhsa_private_segment_fixed_size 0
		.amdhsa_kernarg_size 360
		.amdhsa_user_sgpr_count 15
		.amdhsa_user_sgpr_dispatch_ptr 0
		.amdhsa_user_sgpr_queue_ptr 0
		.amdhsa_user_sgpr_kernarg_segment_ptr 1
		.amdhsa_user_sgpr_dispatch_id 0
		.amdhsa_user_sgpr_private_segment_size 0
		.amdhsa_wavefront_size32 1
		.amdhsa_uses_dynamic_stack 0
		.amdhsa_enable_private_segment 0
		.amdhsa_system_sgpr_workgroup_id_x 1
		.amdhsa_system_sgpr_workgroup_id_y 0
		.amdhsa_system_sgpr_workgroup_id_z 0
		.amdhsa_system_sgpr_workgroup_info 0
		.amdhsa_system_vgpr_workitem_id 0
		.amdhsa_next_free_vgpr 18
		.amdhsa_next_free_sgpr 68
		.amdhsa_reserve_vcc 1
		.amdhsa_float_round_mode_32 0
		.amdhsa_float_round_mode_16_64 0
		.amdhsa_float_denorm_mode_32 3
		.amdhsa_float_denorm_mode_16_64 3
		.amdhsa_dx10_clamp 1
		.amdhsa_ieee_mode 1
		.amdhsa_fp16_overflow 0
		.amdhsa_workgroup_processor_mode 1
		.amdhsa_memory_ordered 1
		.amdhsa_forward_progress 0
		.amdhsa_shared_vgpr_count 0
		.amdhsa_exception_fp_ieee_invalid_op 0
		.amdhsa_exception_fp_denorm_src 0
		.amdhsa_exception_fp_ieee_div_zero 0
		.amdhsa_exception_fp_ieee_overflow 0
		.amdhsa_exception_fp_ieee_underflow 0
		.amdhsa_exception_fp_ieee_inexact 0
		.amdhsa_exception_int_div_zero 0
	.end_amdhsa_kernel
	.section	.text._ZN2at6native32elementwise_kernel_manual_unrollILi128ELi4EZNS0_15gpu_kernel_implIZZZNS0_21clamp_max_kernel_cudaERNS_18TensorIteratorBaseERKN3c106ScalarEENKUlvE_clEvENKUlvE6_clEvEUlNS5_4HalfEE_EEvS4_RKT_EUlibE0_EEviT1_,"axG",@progbits,_ZN2at6native32elementwise_kernel_manual_unrollILi128ELi4EZNS0_15gpu_kernel_implIZZZNS0_21clamp_max_kernel_cudaERNS_18TensorIteratorBaseERKN3c106ScalarEENKUlvE_clEvENKUlvE6_clEvEUlNS5_4HalfEE_EEvS4_RKT_EUlibE0_EEviT1_,comdat
.Lfunc_end481:
	.size	_ZN2at6native32elementwise_kernel_manual_unrollILi128ELi4EZNS0_15gpu_kernel_implIZZZNS0_21clamp_max_kernel_cudaERNS_18TensorIteratorBaseERKN3c106ScalarEENKUlvE_clEvENKUlvE6_clEvEUlNS5_4HalfEE_EEvS4_RKT_EUlibE0_EEviT1_, .Lfunc_end481-_ZN2at6native32elementwise_kernel_manual_unrollILi128ELi4EZNS0_15gpu_kernel_implIZZZNS0_21clamp_max_kernel_cudaERNS_18TensorIteratorBaseERKN3c106ScalarEENKUlvE_clEvENKUlvE6_clEvEUlNS5_4HalfEE_EEvS4_RKT_EUlibE0_EEviT1_
                                        ; -- End function
	.section	.AMDGPU.csdata,"",@progbits
; Kernel info:
; codeLenInByte = 44108
; NumSgprs: 70
; NumVgprs: 18
; ScratchSize: 0
; MemoryBound: 0
; FloatMode: 240
; IeeeMode: 1
; LDSByteSize: 0 bytes/workgroup (compile time only)
; SGPRBlocks: 8
; VGPRBlocks: 2
; NumSGPRsForWavesPerEU: 70
; NumVGPRsForWavesPerEU: 18
; Occupancy: 16
; WaveLimiterHint : 1
; COMPUTE_PGM_RSRC2:SCRATCH_EN: 0
; COMPUTE_PGM_RSRC2:USER_SGPR: 15
; COMPUTE_PGM_RSRC2:TRAP_HANDLER: 0
; COMPUTE_PGM_RSRC2:TGID_X_EN: 1
; COMPUTE_PGM_RSRC2:TGID_Y_EN: 0
; COMPUTE_PGM_RSRC2:TGID_Z_EN: 0
; COMPUTE_PGM_RSRC2:TIDIG_COMP_CNT: 0
	.section	.text._ZN2at6native29vectorized_elementwise_kernelILi16EZZZNS0_21clamp_max_kernel_cudaERNS_18TensorIteratorBaseERKN3c106ScalarEENKUlvE_clEvENKUlvE7_clEvEUlNS4_8BFloat16EE_St5arrayIPcLm2EEEEviT0_T1_,"axG",@progbits,_ZN2at6native29vectorized_elementwise_kernelILi16EZZZNS0_21clamp_max_kernel_cudaERNS_18TensorIteratorBaseERKN3c106ScalarEENKUlvE_clEvENKUlvE7_clEvEUlNS4_8BFloat16EE_St5arrayIPcLm2EEEEviT0_T1_,comdat
	.globl	_ZN2at6native29vectorized_elementwise_kernelILi16EZZZNS0_21clamp_max_kernel_cudaERNS_18TensorIteratorBaseERKN3c106ScalarEENKUlvE_clEvENKUlvE7_clEvEUlNS4_8BFloat16EE_St5arrayIPcLm2EEEEviT0_T1_ ; -- Begin function _ZN2at6native29vectorized_elementwise_kernelILi16EZZZNS0_21clamp_max_kernel_cudaERNS_18TensorIteratorBaseERKN3c106ScalarEENKUlvE_clEvENKUlvE7_clEvEUlNS4_8BFloat16EE_St5arrayIPcLm2EEEEviT0_T1_
	.p2align	8
	.type	_ZN2at6native29vectorized_elementwise_kernelILi16EZZZNS0_21clamp_max_kernel_cudaERNS_18TensorIteratorBaseERKN3c106ScalarEENKUlvE_clEvENKUlvE7_clEvEUlNS4_8BFloat16EE_St5arrayIPcLm2EEEEviT0_T1_,@function
_ZN2at6native29vectorized_elementwise_kernelILi16EZZZNS0_21clamp_max_kernel_cudaERNS_18TensorIteratorBaseERKN3c106ScalarEENKUlvE_clEvENKUlvE7_clEvEUlNS4_8BFloat16EE_St5arrayIPcLm2EEEEviT0_T1_: ; @_ZN2at6native29vectorized_elementwise_kernelILi16EZZZNS0_21clamp_max_kernel_cudaERNS_18TensorIteratorBaseERKN3c106ScalarEENKUlvE_clEvENKUlvE7_clEvEUlNS4_8BFloat16EE_St5arrayIPcLm2EEEEviT0_T1_
; %bb.0:
	s_clause 0x1
	s_load_b64 s[20:21], s[0:1], 0x0
	s_load_b128 s[16:19], s[0:1], 0x8
	s_lshl_b32 s22, s15, 11
	s_mov_b32 s0, -1
	s_waitcnt lgkmcnt(0)
	s_sub_i32 s15, s20, s22
	s_delay_alu instid0(SALU_CYCLE_1)
	s_cmpk_gt_i32 s15, 0x7ff
	s_cbranch_scc0 .LBB482_2
; %bb.1:
	s_ashr_i32 s23, s22, 31
	v_lshlrev_b32_e32 v5, 4, v0
	s_lshl_b64 s[0:1], s[22:23], 1
	s_delay_alu instid0(SALU_CYCLE_1)
	s_add_u32 s2, s18, s0
	s_addc_u32 s3, s19, s1
	s_lshl_b32 s14, s21, 16
	global_load_b128 v[1:4], v5, s[2:3]
	s_add_u32 s24, s16, s0
	s_addc_u32 s25, s17, s1
	s_waitcnt vmcnt(0)
	v_and_b32_e32 v7, 0xffff0000, v1
	v_and_b32_e32 v10, 0xffff0000, v2
	v_lshrrev_b32_e32 v8, 16, v1
	v_lshrrev_b32_e32 v11, 16, v2
	v_lshlrev_b32_e32 v6, 16, v1
	v_cmp_u_f32_e32 vcc_lo, v7, v7
	v_cmp_gt_f32_e64 s1, s14, v7
	v_and_b32_e32 v13, 0xffff0000, v3
	v_cmp_u_f32_e64 s3, v10, v10
	v_cmp_gt_f32_e64 s5, s14, v10
	v_and_b32_e32 v16, 0xffff0000, v4
	s_or_b32 vcc_lo, vcc_lo, s1
	v_lshlrev_b32_e32 v9, 16, v2
	v_cmp_u_f32_e64 s0, v6, v6
	v_cmp_gt_f32_e64 s2, s14, v6
	v_cndmask_b32_e32 v6, s21, v8, vcc_lo
	v_cmp_u_f32_e64 s7, v13, v13
	v_cmp_u_f32_e64 s4, v9, v9
	v_cmp_gt_f32_e64 s6, s14, v9
	v_cmp_gt_f32_e64 s9, s14, v13
	s_or_b32 vcc_lo, s3, s5
	v_lshrrev_b32_e32 v14, 16, v3
	v_cmp_u_f32_e64 s11, v16, v16
	v_cmp_gt_f32_e64 s13, s14, v16
	v_cndmask_b32_e32 v7, s21, v11, vcc_lo
	s_or_b32 vcc_lo, s4, s6
	v_lshrrev_b32_e32 v17, 16, v4
	v_cndmask_b32_e32 v2, s21, v2, vcc_lo
	s_or_b32 vcc_lo, s7, s9
	v_dual_cndmask_b32 v8, s21, v14 :: v_dual_lshlrev_b32 v15, 16, v4
	s_or_b32 vcc_lo, s11, s13
	v_dual_cndmask_b32 v9, s21, v17 :: v_dual_lshlrev_b32 v12, 16, v3
	s_delay_alu instid0(VALU_DEP_2) | instskip(SKIP_1) | instid1(VALU_DEP_3)
	v_cmp_u_f32_e64 s12, v15, v15
	v_perm_b32 v2, v7, v2, 0x5040100
	v_cmp_gt_f32_e64 s10, s14, v12
	v_cmp_gt_f32_e64 s14, s14, v15
	v_cmp_u_f32_e64 s8, v12, v12
	s_delay_alu instid0(VALU_DEP_2) | instskip(SKIP_1) | instid1(VALU_DEP_2)
	s_or_b32 vcc_lo, s12, s14
	v_cndmask_b32_e32 v4, s21, v4, vcc_lo
	s_or_b32 vcc_lo, s8, s10
	v_cndmask_b32_e32 v3, s21, v3, vcc_lo
	s_or_b32 vcc_lo, s0, s2
	s_delay_alu instid0(VALU_DEP_2) | instskip(SKIP_3) | instid1(VALU_DEP_2)
	v_perm_b32 v4, v9, v4, 0x5040100
	v_cndmask_b32_e32 v1, s21, v1, vcc_lo
	s_mov_b32 s0, 0
	v_perm_b32 v3, v8, v3, 0x5040100
	v_perm_b32 v1, v6, v1, 0x5040100
	global_store_b128 v5, v[1:4], s[24:25]
.LBB482_2:
	s_and_not1_b32 vcc_lo, exec_lo, s0
	s_cbranch_vccnz .LBB482_28
; %bb.3:
	v_cmp_gt_i32_e32 vcc_lo, s15, v0
	v_mov_b32_e32 v6, 0
	v_or_b32_e32 v1, s22, v0
	v_or_b32_e32 v8, 0x100, v0
	v_mov_b32_e32 v12, 0
	v_mov_b32_e32 v2, v0
	s_and_saveexec_b32 s1, vcc_lo
	s_cbranch_execz .LBB482_5
; %bb.4:
	v_mov_b32_e32 v2, 0
	s_delay_alu instid0(VALU_DEP_1) | instskip(NEXT) | instid1(VALU_DEP_1)
	v_lshlrev_b64 v[2:3], 1, v[1:2]
	v_add_co_u32 v2, s0, s18, v2
	s_delay_alu instid0(VALU_DEP_1)
	v_add_co_ci_u32_e64 v3, s0, s19, v3, s0
	global_load_u16 v12, v[2:3], off
	v_or_b32_e32 v2, 0x100, v0
.LBB482_5:
	s_or_b32 exec_lo, exec_lo, s1
	s_delay_alu instid0(SALU_CYCLE_1) | instskip(NEXT) | instid1(VALU_DEP_1)
	s_mov_b32 s1, exec_lo
	v_cmpx_gt_i32_e64 s15, v2
	s_cbranch_execz .LBB482_7
; %bb.6:
	v_dual_mov_b32 v4, 0 :: v_dual_add_nc_u32 v3, s22, v2
	v_add_nc_u32_e32 v2, 0x100, v2
	s_delay_alu instid0(VALU_DEP_2) | instskip(NEXT) | instid1(VALU_DEP_1)
	v_lshlrev_b64 v[3:4], 1, v[3:4]
	v_add_co_u32 v3, s0, s18, v3
	s_delay_alu instid0(VALU_DEP_1)
	v_add_co_ci_u32_e64 v4, s0, s19, v4, s0
	global_load_u16 v6, v[3:4], off
.LBB482_7:
	s_or_b32 exec_lo, exec_lo, s1
	v_mov_b32_e32 v5, 0
	v_mov_b32_e32 v11, 0
	s_mov_b32 s1, exec_lo
	v_cmpx_gt_i32_e64 s15, v2
	s_cbranch_execz .LBB482_9
; %bb.8:
	v_dual_mov_b32 v4, 0 :: v_dual_add_nc_u32 v3, s22, v2
	v_add_nc_u32_e32 v2, 0x100, v2
	s_delay_alu instid0(VALU_DEP_2) | instskip(NEXT) | instid1(VALU_DEP_1)
	v_lshlrev_b64 v[3:4], 1, v[3:4]
	v_add_co_u32 v3, s0, s18, v3
	s_delay_alu instid0(VALU_DEP_1)
	v_add_co_ci_u32_e64 v4, s0, s19, v4, s0
	global_load_u16 v11, v[3:4], off
.LBB482_9:
	s_or_b32 exec_lo, exec_lo, s1
	s_delay_alu instid0(SALU_CYCLE_1)
	s_mov_b32 s1, exec_lo
	v_cmpx_gt_i32_e64 s15, v2
	s_cbranch_execz .LBB482_11
; %bb.10:
	v_dual_mov_b32 v4, 0 :: v_dual_add_nc_u32 v3, s22, v2
	v_add_nc_u32_e32 v2, 0x100, v2
	s_delay_alu instid0(VALU_DEP_2) | instskip(NEXT) | instid1(VALU_DEP_1)
	v_lshlrev_b64 v[3:4], 1, v[3:4]
	v_add_co_u32 v3, s0, s18, v3
	s_delay_alu instid0(VALU_DEP_1)
	v_add_co_ci_u32_e64 v4, s0, s19, v4, s0
	global_load_u16 v5, v[3:4], off
.LBB482_11:
	s_or_b32 exec_lo, exec_lo, s1
	v_dual_mov_b32 v4, 0 :: v_dual_mov_b32 v9, 0
	s_mov_b32 s1, exec_lo
	v_cmpx_gt_i32_e64 s15, v2
	s_cbranch_execz .LBB482_13
; %bb.12:
	v_dual_mov_b32 v10, 0 :: v_dual_add_nc_u32 v9, s22, v2
	v_add_nc_u32_e32 v2, 0x100, v2
	s_delay_alu instid0(VALU_DEP_2) | instskip(NEXT) | instid1(VALU_DEP_1)
	v_lshlrev_b64 v[9:10], 1, v[9:10]
	v_add_co_u32 v9, s0, s18, v9
	s_delay_alu instid0(VALU_DEP_1)
	v_add_co_ci_u32_e64 v10, s0, s19, v10, s0
	global_load_u16 v9, v[9:10], off
.LBB482_13:
	s_or_b32 exec_lo, exec_lo, s1
	s_delay_alu instid0(SALU_CYCLE_1)
	s_mov_b32 s1, exec_lo
	v_cmpx_gt_i32_e64 s15, v2
	s_cbranch_execz .LBB482_15
; %bb.14:
	v_dual_mov_b32 v4, 0 :: v_dual_add_nc_u32 v3, s22, v2
	v_add_nc_u32_e32 v2, 0x100, v2
	s_delay_alu instid0(VALU_DEP_2) | instskip(NEXT) | instid1(VALU_DEP_1)
	v_lshlrev_b64 v[3:4], 1, v[3:4]
	v_add_co_u32 v3, s0, s18, v3
	s_delay_alu instid0(VALU_DEP_1)
	v_add_co_ci_u32_e64 v4, s0, s19, v4, s0
	global_load_u16 v4, v[3:4], off
.LBB482_15:
	s_or_b32 exec_lo, exec_lo, s1
	v_mov_b32_e32 v3, 0
	v_mov_b32_e32 v7, 0
	s_mov_b32 s1, exec_lo
	v_cmpx_gt_i32_e64 s15, v2
	s_cbranch_execz .LBB482_17
; %bb.16:
	v_dual_mov_b32 v14, 0 :: v_dual_add_nc_u32 v13, s22, v2
	v_add_nc_u32_e32 v2, 0x100, v2
	s_delay_alu instid0(VALU_DEP_2) | instskip(NEXT) | instid1(VALU_DEP_1)
	v_lshlrev_b64 v[13:14], 1, v[13:14]
	v_add_co_u32 v13, s0, s18, v13
	s_delay_alu instid0(VALU_DEP_1)
	v_add_co_ci_u32_e64 v14, s0, s19, v14, s0
	global_load_u16 v7, v[13:14], off
.LBB482_17:
	s_or_b32 exec_lo, exec_lo, s1
	s_delay_alu instid0(SALU_CYCLE_1)
	s_mov_b32 s1, exec_lo
	v_cmpx_gt_i32_e64 s15, v2
	s_cbranch_execz .LBB482_19
; %bb.18:
	v_dual_mov_b32 v3, 0 :: v_dual_add_nc_u32 v2, s22, v2
	s_delay_alu instid0(VALU_DEP_1) | instskip(NEXT) | instid1(VALU_DEP_1)
	v_lshlrev_b64 v[2:3], 1, v[2:3]
	v_add_co_u32 v2, s0, s18, v2
	s_delay_alu instid0(VALU_DEP_1)
	v_add_co_ci_u32_e64 v3, s0, s19, v3, s0
	global_load_u16 v3, v[2:3], off
.LBB482_19:
	s_or_b32 exec_lo, exec_lo, s1
	s_lshl_b32 s0, s21, 16
	s_delay_alu instid0(SALU_CYCLE_1)
	v_mov_b32_e32 v10, s0
	s_and_saveexec_b32 s2, vcc_lo
	s_cbranch_execnz .LBB482_29
; %bb.20:
	s_or_b32 exec_lo, exec_lo, s2
	s_delay_alu instid0(SALU_CYCLE_1)
	s_mov_b32 s1, exec_lo
	v_cmpx_gt_i32_e64 s15, v0
	s_cbranch_execnz .LBB482_30
.LBB482_21:
	s_or_b32 exec_lo, exec_lo, s1
	s_delay_alu instid0(SALU_CYCLE_1)
	s_mov_b32 s1, exec_lo
	v_cmpx_gt_i32_e64 s15, v0
	s_cbranch_execnz .LBB482_31
.LBB482_22:
	s_or_b32 exec_lo, exec_lo, s1
	s_delay_alu instid0(SALU_CYCLE_1)
	s_mov_b32 s1, exec_lo
	v_cmpx_gt_i32_e64 s15, v0
	s_cbranch_execnz .LBB482_32
.LBB482_23:
	s_or_b32 exec_lo, exec_lo, s1
	s_delay_alu instid0(SALU_CYCLE_1)
	s_mov_b32 s1, exec_lo
	v_cmpx_gt_i32_e64 s15, v0
	s_cbranch_execnz .LBB482_33
.LBB482_24:
	s_or_b32 exec_lo, exec_lo, s1
	s_delay_alu instid0(SALU_CYCLE_1)
	s_mov_b32 s1, exec_lo
	v_cmpx_gt_i32_e64 s15, v0
	s_cbranch_execnz .LBB482_34
.LBB482_25:
	s_or_b32 exec_lo, exec_lo, s1
	s_delay_alu instid0(SALU_CYCLE_1)
	s_mov_b32 s1, exec_lo
	v_cmpx_gt_i32_e64 s15, v0
	s_cbranch_execnz .LBB482_35
.LBB482_26:
	s_or_b32 exec_lo, exec_lo, s1
	s_delay_alu instid0(SALU_CYCLE_1)
	s_mov_b32 s0, exec_lo
	v_cmpx_gt_i32_e64 s15, v0
	s_cbranch_execz .LBB482_28
.LBB482_27:
	s_waitcnt vmcnt(0)
	v_dual_mov_b32 v1, 0 :: v_dual_lshlrev_b32 v2, 16, v3
	v_add_nc_u32_e32 v0, s22, v0
	s_delay_alu instid0(VALU_DEP_2) | instskip(SKIP_1) | instid1(VALU_DEP_3)
	v_cmp_u_f32_e32 vcc_lo, v2, v2
	v_cmp_lt_f32_e64 s0, v2, v10
	v_lshlrev_b64 v[0:1], 1, v[0:1]
	s_delay_alu instid0(VALU_DEP_2) | instskip(SKIP_1) | instid1(VALU_DEP_2)
	s_or_b32 vcc_lo, vcc_lo, s0
	v_cndmask_b32_e32 v2, s21, v3, vcc_lo
	v_add_co_u32 v0, vcc_lo, s16, v0
	s_delay_alu instid0(VALU_DEP_3)
	v_add_co_ci_u32_e32 v1, vcc_lo, s17, v1, vcc_lo
	global_store_b16 v[0:1], v2, off
.LBB482_28:
	s_nop 0
	s_sendmsg sendmsg(MSG_DEALLOC_VGPRS)
	s_endpgm
.LBB482_29:
	s_waitcnt vmcnt(0)
	v_dual_mov_b32 v2, 0 :: v_dual_lshlrev_b32 v13, 16, v12
	s_delay_alu instid0(VALU_DEP_1) | instskip(NEXT) | instid1(VALU_DEP_2)
	v_lshlrev_b64 v[0:1], 1, v[1:2]
	v_cmp_u_f32_e32 vcc_lo, v13, v13
	v_cmp_gt_f32_e64 s0, v10, v13
	s_delay_alu instid0(VALU_DEP_3) | instskip(NEXT) | instid1(VALU_DEP_2)
	v_add_co_u32 v13, s1, s16, v0
	s_or_b32 vcc_lo, vcc_lo, s0
	s_delay_alu instid0(VALU_DEP_4) | instskip(SKIP_3) | instid1(SALU_CYCLE_1)
	v_add_co_ci_u32_e64 v14, s1, s17, v1, s1
	v_dual_cndmask_b32 v1, s21, v12 :: v_dual_mov_b32 v0, v8
	global_store_b16 v[13:14], v1, off
	s_or_b32 exec_lo, exec_lo, s2
	s_mov_b32 s1, exec_lo
	v_cmpx_gt_i32_e64 s15, v0
	s_cbranch_execz .LBB482_21
.LBB482_30:
	s_waitcnt vmcnt(0)
	v_lshlrev_b32_e32 v8, 16, v6
	v_dual_mov_b32 v2, 0 :: v_dual_add_nc_u32 v1, s22, v0
	v_add_nc_u32_e32 v0, 0x100, v0
	s_delay_alu instid0(VALU_DEP_3) | instskip(SKIP_1) | instid1(VALU_DEP_4)
	v_cmp_u_f32_e32 vcc_lo, v8, v8
	v_cmp_gt_f32_e64 s0, v10, v8
	v_lshlrev_b64 v[1:2], 1, v[1:2]
	s_delay_alu instid0(VALU_DEP_2) | instskip(SKIP_1) | instid1(VALU_DEP_2)
	s_or_b32 vcc_lo, vcc_lo, s0
	v_cndmask_b32_e32 v6, s21, v6, vcc_lo
	v_add_co_u32 v1, vcc_lo, s16, v1
	s_delay_alu instid0(VALU_DEP_3) | instskip(SKIP_2) | instid1(SALU_CYCLE_1)
	v_add_co_ci_u32_e32 v2, vcc_lo, s17, v2, vcc_lo
	global_store_b16 v[1:2], v6, off
	s_or_b32 exec_lo, exec_lo, s1
	s_mov_b32 s1, exec_lo
	v_cmpx_gt_i32_e64 s15, v0
	s_cbranch_execz .LBB482_22
.LBB482_31:
	s_waitcnt vmcnt(0)
	v_lshlrev_b32_e32 v6, 16, v11
	v_dual_mov_b32 v2, 0 :: v_dual_add_nc_u32 v1, s22, v0
	v_add_nc_u32_e32 v0, 0x100, v0
	s_delay_alu instid0(VALU_DEP_3) | instskip(SKIP_1) | instid1(VALU_DEP_4)
	v_cmp_u_f32_e32 vcc_lo, v6, v6
	v_cmp_gt_f32_e64 s0, v10, v6
	v_lshlrev_b64 v[1:2], 1, v[1:2]
	s_delay_alu instid0(VALU_DEP_2) | instskip(SKIP_1) | instid1(VALU_DEP_2)
	s_or_b32 vcc_lo, vcc_lo, s0
	v_cndmask_b32_e32 v6, s21, v11, vcc_lo
	v_add_co_u32 v1, vcc_lo, s16, v1
	s_delay_alu instid0(VALU_DEP_3) | instskip(SKIP_2) | instid1(SALU_CYCLE_1)
	v_add_co_ci_u32_e32 v2, vcc_lo, s17, v2, vcc_lo
	global_store_b16 v[1:2], v6, off
	s_or_b32 exec_lo, exec_lo, s1
	s_mov_b32 s1, exec_lo
	v_cmpx_gt_i32_e64 s15, v0
	s_cbranch_execz .LBB482_23
.LBB482_32:
	s_waitcnt vmcnt(0)
	v_lshlrev_b32_e32 v6, 16, v5
	v_dual_mov_b32 v2, 0 :: v_dual_add_nc_u32 v1, s22, v0
	v_add_nc_u32_e32 v0, 0x100, v0
	s_delay_alu instid0(VALU_DEP_3) | instskip(SKIP_1) | instid1(VALU_DEP_4)
	v_cmp_u_f32_e32 vcc_lo, v6, v6
	v_cmp_gt_f32_e64 s0, v10, v6
	v_lshlrev_b64 v[1:2], 1, v[1:2]
	s_delay_alu instid0(VALU_DEP_2) | instskip(SKIP_1) | instid1(VALU_DEP_2)
	s_or_b32 vcc_lo, vcc_lo, s0
	v_cndmask_b32_e32 v5, s21, v5, vcc_lo
	v_add_co_u32 v1, vcc_lo, s16, v1
	s_delay_alu instid0(VALU_DEP_3) | instskip(SKIP_2) | instid1(SALU_CYCLE_1)
	v_add_co_ci_u32_e32 v2, vcc_lo, s17, v2, vcc_lo
	global_store_b16 v[1:2], v5, off
	s_or_b32 exec_lo, exec_lo, s1
	s_mov_b32 s1, exec_lo
	v_cmpx_gt_i32_e64 s15, v0
	s_cbranch_execz .LBB482_24
.LBB482_33:
	s_waitcnt vmcnt(0)
	v_dual_mov_b32 v2, 0 :: v_dual_lshlrev_b32 v5, 16, v9
	v_add_nc_u32_e32 v1, s22, v0
	v_add_nc_u32_e32 v0, 0x100, v0
	s_delay_alu instid0(VALU_DEP_3) | instskip(SKIP_1) | instid1(VALU_DEP_4)
	v_cmp_u_f32_e32 vcc_lo, v5, v5
	v_cmp_gt_f32_e64 s0, v10, v5
	v_lshlrev_b64 v[1:2], 1, v[1:2]
	s_delay_alu instid0(VALU_DEP_2) | instskip(SKIP_1) | instid1(VALU_DEP_2)
	s_or_b32 vcc_lo, vcc_lo, s0
	v_cndmask_b32_e32 v5, s21, v9, vcc_lo
	v_add_co_u32 v1, vcc_lo, s16, v1
	s_delay_alu instid0(VALU_DEP_3) | instskip(SKIP_2) | instid1(SALU_CYCLE_1)
	v_add_co_ci_u32_e32 v2, vcc_lo, s17, v2, vcc_lo
	global_store_b16 v[1:2], v5, off
	s_or_b32 exec_lo, exec_lo, s1
	s_mov_b32 s1, exec_lo
	v_cmpx_gt_i32_e64 s15, v0
	s_cbranch_execz .LBB482_25
.LBB482_34:
	s_waitcnt vmcnt(0)
	v_dual_mov_b32 v2, 0 :: v_dual_lshlrev_b32 v5, 16, v4
	v_add_nc_u32_e32 v1, s22, v0
	v_add_nc_u32_e32 v0, 0x100, v0
	s_delay_alu instid0(VALU_DEP_3) | instskip(SKIP_1) | instid1(VALU_DEP_4)
	v_cmp_u_f32_e32 vcc_lo, v5, v5
	v_cmp_gt_f32_e64 s0, v10, v5
	v_lshlrev_b64 v[1:2], 1, v[1:2]
	s_delay_alu instid0(VALU_DEP_2) | instskip(SKIP_1) | instid1(VALU_DEP_2)
	s_or_b32 vcc_lo, vcc_lo, s0
	v_cndmask_b32_e32 v4, s21, v4, vcc_lo
	v_add_co_u32 v1, vcc_lo, s16, v1
	s_delay_alu instid0(VALU_DEP_3) | instskip(SKIP_2) | instid1(SALU_CYCLE_1)
	v_add_co_ci_u32_e32 v2, vcc_lo, s17, v2, vcc_lo
	global_store_b16 v[1:2], v4, off
	s_or_b32 exec_lo, exec_lo, s1
	s_mov_b32 s1, exec_lo
	v_cmpx_gt_i32_e64 s15, v0
	s_cbranch_execz .LBB482_26
.LBB482_35:
	s_waitcnt vmcnt(0)
	v_lshlrev_b32_e32 v4, 16, v7
	v_dual_mov_b32 v2, 0 :: v_dual_add_nc_u32 v1, s22, v0
	v_add_nc_u32_e32 v0, 0x100, v0
	s_delay_alu instid0(VALU_DEP_3) | instskip(SKIP_1) | instid1(VALU_DEP_4)
	v_cmp_u_f32_e32 vcc_lo, v4, v4
	v_cmp_gt_f32_e64 s0, v10, v4
	v_lshlrev_b64 v[1:2], 1, v[1:2]
	s_delay_alu instid0(VALU_DEP_2) | instskip(SKIP_1) | instid1(VALU_DEP_2)
	s_or_b32 vcc_lo, vcc_lo, s0
	v_cndmask_b32_e32 v4, s21, v7, vcc_lo
	v_add_co_u32 v1, vcc_lo, s16, v1
	s_delay_alu instid0(VALU_DEP_3) | instskip(SKIP_2) | instid1(SALU_CYCLE_1)
	v_add_co_ci_u32_e32 v2, vcc_lo, s17, v2, vcc_lo
	global_store_b16 v[1:2], v4, off
	s_or_b32 exec_lo, exec_lo, s1
	s_mov_b32 s0, exec_lo
	v_cmpx_gt_i32_e64 s15, v0
	s_cbranch_execnz .LBB482_27
	s_branch .LBB482_28
	.section	.rodata,"a",@progbits
	.p2align	6, 0x0
	.amdhsa_kernel _ZN2at6native29vectorized_elementwise_kernelILi16EZZZNS0_21clamp_max_kernel_cudaERNS_18TensorIteratorBaseERKN3c106ScalarEENKUlvE_clEvENKUlvE7_clEvEUlNS4_8BFloat16EE_St5arrayIPcLm2EEEEviT0_T1_
		.amdhsa_group_segment_fixed_size 0
		.amdhsa_private_segment_fixed_size 0
		.amdhsa_kernarg_size 24
		.amdhsa_user_sgpr_count 15
		.amdhsa_user_sgpr_dispatch_ptr 0
		.amdhsa_user_sgpr_queue_ptr 0
		.amdhsa_user_sgpr_kernarg_segment_ptr 1
		.amdhsa_user_sgpr_dispatch_id 0
		.amdhsa_user_sgpr_private_segment_size 0
		.amdhsa_wavefront_size32 1
		.amdhsa_uses_dynamic_stack 0
		.amdhsa_enable_private_segment 0
		.amdhsa_system_sgpr_workgroup_id_x 1
		.amdhsa_system_sgpr_workgroup_id_y 0
		.amdhsa_system_sgpr_workgroup_id_z 0
		.amdhsa_system_sgpr_workgroup_info 0
		.amdhsa_system_vgpr_workitem_id 0
		.amdhsa_next_free_vgpr 18
		.amdhsa_next_free_sgpr 26
		.amdhsa_reserve_vcc 1
		.amdhsa_float_round_mode_32 0
		.amdhsa_float_round_mode_16_64 0
		.amdhsa_float_denorm_mode_32 3
		.amdhsa_float_denorm_mode_16_64 3
		.amdhsa_dx10_clamp 1
		.amdhsa_ieee_mode 1
		.amdhsa_fp16_overflow 0
		.amdhsa_workgroup_processor_mode 1
		.amdhsa_memory_ordered 1
		.amdhsa_forward_progress 0
		.amdhsa_shared_vgpr_count 0
		.amdhsa_exception_fp_ieee_invalid_op 0
		.amdhsa_exception_fp_denorm_src 0
		.amdhsa_exception_fp_ieee_div_zero 0
		.amdhsa_exception_fp_ieee_overflow 0
		.amdhsa_exception_fp_ieee_underflow 0
		.amdhsa_exception_fp_ieee_inexact 0
		.amdhsa_exception_int_div_zero 0
	.end_amdhsa_kernel
	.section	.text._ZN2at6native29vectorized_elementwise_kernelILi16EZZZNS0_21clamp_max_kernel_cudaERNS_18TensorIteratorBaseERKN3c106ScalarEENKUlvE_clEvENKUlvE7_clEvEUlNS4_8BFloat16EE_St5arrayIPcLm2EEEEviT0_T1_,"axG",@progbits,_ZN2at6native29vectorized_elementwise_kernelILi16EZZZNS0_21clamp_max_kernel_cudaERNS_18TensorIteratorBaseERKN3c106ScalarEENKUlvE_clEvENKUlvE7_clEvEUlNS4_8BFloat16EE_St5arrayIPcLm2EEEEviT0_T1_,comdat
.Lfunc_end482:
	.size	_ZN2at6native29vectorized_elementwise_kernelILi16EZZZNS0_21clamp_max_kernel_cudaERNS_18TensorIteratorBaseERKN3c106ScalarEENKUlvE_clEvENKUlvE7_clEvEUlNS4_8BFloat16EE_St5arrayIPcLm2EEEEviT0_T1_, .Lfunc_end482-_ZN2at6native29vectorized_elementwise_kernelILi16EZZZNS0_21clamp_max_kernel_cudaERNS_18TensorIteratorBaseERKN3c106ScalarEENKUlvE_clEvENKUlvE7_clEvEUlNS4_8BFloat16EE_St5arrayIPcLm2EEEEviT0_T1_
                                        ; -- End function
	.section	.AMDGPU.csdata,"",@progbits
; Kernel info:
; codeLenInByte = 2088
; NumSgprs: 28
; NumVgprs: 18
; ScratchSize: 0
; MemoryBound: 0
; FloatMode: 240
; IeeeMode: 1
; LDSByteSize: 0 bytes/workgroup (compile time only)
; SGPRBlocks: 3
; VGPRBlocks: 2
; NumSGPRsForWavesPerEU: 28
; NumVGPRsForWavesPerEU: 18
; Occupancy: 16
; WaveLimiterHint : 0
; COMPUTE_PGM_RSRC2:SCRATCH_EN: 0
; COMPUTE_PGM_RSRC2:USER_SGPR: 15
; COMPUTE_PGM_RSRC2:TRAP_HANDLER: 0
; COMPUTE_PGM_RSRC2:TGID_X_EN: 1
; COMPUTE_PGM_RSRC2:TGID_Y_EN: 0
; COMPUTE_PGM_RSRC2:TGID_Z_EN: 0
; COMPUTE_PGM_RSRC2:TIDIG_COMP_CNT: 0
	.section	.text._ZN2at6native29vectorized_elementwise_kernelILi8EZZZNS0_21clamp_max_kernel_cudaERNS_18TensorIteratorBaseERKN3c106ScalarEENKUlvE_clEvENKUlvE7_clEvEUlNS4_8BFloat16EE_St5arrayIPcLm2EEEEviT0_T1_,"axG",@progbits,_ZN2at6native29vectorized_elementwise_kernelILi8EZZZNS0_21clamp_max_kernel_cudaERNS_18TensorIteratorBaseERKN3c106ScalarEENKUlvE_clEvENKUlvE7_clEvEUlNS4_8BFloat16EE_St5arrayIPcLm2EEEEviT0_T1_,comdat
	.globl	_ZN2at6native29vectorized_elementwise_kernelILi8EZZZNS0_21clamp_max_kernel_cudaERNS_18TensorIteratorBaseERKN3c106ScalarEENKUlvE_clEvENKUlvE7_clEvEUlNS4_8BFloat16EE_St5arrayIPcLm2EEEEviT0_T1_ ; -- Begin function _ZN2at6native29vectorized_elementwise_kernelILi8EZZZNS0_21clamp_max_kernel_cudaERNS_18TensorIteratorBaseERKN3c106ScalarEENKUlvE_clEvENKUlvE7_clEvEUlNS4_8BFloat16EE_St5arrayIPcLm2EEEEviT0_T1_
	.p2align	8
	.type	_ZN2at6native29vectorized_elementwise_kernelILi8EZZZNS0_21clamp_max_kernel_cudaERNS_18TensorIteratorBaseERKN3c106ScalarEENKUlvE_clEvENKUlvE7_clEvEUlNS4_8BFloat16EE_St5arrayIPcLm2EEEEviT0_T1_,@function
_ZN2at6native29vectorized_elementwise_kernelILi8EZZZNS0_21clamp_max_kernel_cudaERNS_18TensorIteratorBaseERKN3c106ScalarEENKUlvE_clEvENKUlvE7_clEvEUlNS4_8BFloat16EE_St5arrayIPcLm2EEEEviT0_T1_: ; @_ZN2at6native29vectorized_elementwise_kernelILi8EZZZNS0_21clamp_max_kernel_cudaERNS_18TensorIteratorBaseERKN3c106ScalarEENKUlvE_clEvENKUlvE7_clEvEUlNS4_8BFloat16EE_St5arrayIPcLm2EEEEviT0_T1_
; %bb.0:
	s_clause 0x1
	s_load_b64 s[20:21], s[0:1], 0x0
	s_load_b128 s[16:19], s[0:1], 0x8
	s_lshl_b32 s22, s15, 11
	s_mov_b32 s0, -1
	s_waitcnt lgkmcnt(0)
	s_sub_i32 s15, s20, s22
	s_delay_alu instid0(SALU_CYCLE_1)
	s_cmpk_gt_i32 s15, 0x7ff
	s_cbranch_scc0 .LBB483_2
; %bb.1:
	s_ashr_i32 s23, s22, 31
	v_lshlrev_b32_e32 v5, 4, v0
	s_lshl_b64 s[0:1], s[22:23], 1
	s_delay_alu instid0(SALU_CYCLE_1)
	s_add_u32 s2, s18, s0
	s_addc_u32 s3, s19, s1
	s_lshl_b32 s14, s21, 16
	global_load_b128 v[1:4], v5, s[2:3]
	s_add_u32 s24, s16, s0
	s_addc_u32 s25, s17, s1
	s_waitcnt vmcnt(0)
	v_and_b32_e32 v7, 0xffff0000, v1
	v_and_b32_e32 v10, 0xffff0000, v2
	v_lshrrev_b32_e32 v8, 16, v1
	v_lshrrev_b32_e32 v11, 16, v2
	v_lshlrev_b32_e32 v6, 16, v1
	v_cmp_u_f32_e32 vcc_lo, v7, v7
	v_cmp_gt_f32_e64 s1, s14, v7
	v_and_b32_e32 v13, 0xffff0000, v3
	v_cmp_u_f32_e64 s3, v10, v10
	v_cmp_gt_f32_e64 s5, s14, v10
	v_and_b32_e32 v16, 0xffff0000, v4
	s_or_b32 vcc_lo, vcc_lo, s1
	v_lshlrev_b32_e32 v9, 16, v2
	v_cmp_u_f32_e64 s0, v6, v6
	v_cmp_gt_f32_e64 s2, s14, v6
	v_cndmask_b32_e32 v6, s21, v8, vcc_lo
	v_cmp_u_f32_e64 s7, v13, v13
	v_cmp_u_f32_e64 s4, v9, v9
	v_cmp_gt_f32_e64 s6, s14, v9
	v_cmp_gt_f32_e64 s9, s14, v13
	s_or_b32 vcc_lo, s3, s5
	v_lshrrev_b32_e32 v14, 16, v3
	v_cmp_u_f32_e64 s11, v16, v16
	v_cmp_gt_f32_e64 s13, s14, v16
	v_cndmask_b32_e32 v7, s21, v11, vcc_lo
	s_or_b32 vcc_lo, s4, s6
	v_lshrrev_b32_e32 v17, 16, v4
	v_cndmask_b32_e32 v2, s21, v2, vcc_lo
	s_or_b32 vcc_lo, s7, s9
	v_dual_cndmask_b32 v8, s21, v14 :: v_dual_lshlrev_b32 v15, 16, v4
	s_or_b32 vcc_lo, s11, s13
	v_dual_cndmask_b32 v9, s21, v17 :: v_dual_lshlrev_b32 v12, 16, v3
	s_delay_alu instid0(VALU_DEP_2) | instskip(SKIP_1) | instid1(VALU_DEP_3)
	v_cmp_u_f32_e64 s12, v15, v15
	v_perm_b32 v2, v7, v2, 0x5040100
	v_cmp_gt_f32_e64 s10, s14, v12
	v_cmp_gt_f32_e64 s14, s14, v15
	v_cmp_u_f32_e64 s8, v12, v12
	s_delay_alu instid0(VALU_DEP_2) | instskip(SKIP_1) | instid1(VALU_DEP_2)
	s_or_b32 vcc_lo, s12, s14
	v_cndmask_b32_e32 v4, s21, v4, vcc_lo
	s_or_b32 vcc_lo, s8, s10
	v_cndmask_b32_e32 v3, s21, v3, vcc_lo
	s_or_b32 vcc_lo, s0, s2
	s_delay_alu instid0(VALU_DEP_2) | instskip(SKIP_3) | instid1(VALU_DEP_2)
	v_perm_b32 v4, v9, v4, 0x5040100
	v_cndmask_b32_e32 v1, s21, v1, vcc_lo
	s_mov_b32 s0, 0
	v_perm_b32 v3, v8, v3, 0x5040100
	v_perm_b32 v1, v6, v1, 0x5040100
	global_store_b128 v5, v[1:4], s[24:25]
.LBB483_2:
	s_and_not1_b32 vcc_lo, exec_lo, s0
	s_cbranch_vccnz .LBB483_28
; %bb.3:
	v_cmp_gt_i32_e32 vcc_lo, s15, v0
	v_mov_b32_e32 v6, 0
	v_or_b32_e32 v1, s22, v0
	v_or_b32_e32 v8, 0x100, v0
	v_mov_b32_e32 v12, 0
	v_mov_b32_e32 v2, v0
	s_and_saveexec_b32 s1, vcc_lo
	s_cbranch_execz .LBB483_5
; %bb.4:
	v_mov_b32_e32 v2, 0
	s_delay_alu instid0(VALU_DEP_1) | instskip(NEXT) | instid1(VALU_DEP_1)
	v_lshlrev_b64 v[2:3], 1, v[1:2]
	v_add_co_u32 v2, s0, s18, v2
	s_delay_alu instid0(VALU_DEP_1)
	v_add_co_ci_u32_e64 v3, s0, s19, v3, s0
	global_load_u16 v12, v[2:3], off
	v_or_b32_e32 v2, 0x100, v0
.LBB483_5:
	s_or_b32 exec_lo, exec_lo, s1
	s_delay_alu instid0(SALU_CYCLE_1) | instskip(NEXT) | instid1(VALU_DEP_1)
	s_mov_b32 s1, exec_lo
	v_cmpx_gt_i32_e64 s15, v2
	s_cbranch_execz .LBB483_7
; %bb.6:
	v_dual_mov_b32 v4, 0 :: v_dual_add_nc_u32 v3, s22, v2
	v_add_nc_u32_e32 v2, 0x100, v2
	s_delay_alu instid0(VALU_DEP_2) | instskip(NEXT) | instid1(VALU_DEP_1)
	v_lshlrev_b64 v[3:4], 1, v[3:4]
	v_add_co_u32 v3, s0, s18, v3
	s_delay_alu instid0(VALU_DEP_1)
	v_add_co_ci_u32_e64 v4, s0, s19, v4, s0
	global_load_u16 v6, v[3:4], off
.LBB483_7:
	s_or_b32 exec_lo, exec_lo, s1
	v_mov_b32_e32 v5, 0
	v_mov_b32_e32 v11, 0
	s_mov_b32 s1, exec_lo
	v_cmpx_gt_i32_e64 s15, v2
	s_cbranch_execz .LBB483_9
; %bb.8:
	v_dual_mov_b32 v4, 0 :: v_dual_add_nc_u32 v3, s22, v2
	v_add_nc_u32_e32 v2, 0x100, v2
	s_delay_alu instid0(VALU_DEP_2) | instskip(NEXT) | instid1(VALU_DEP_1)
	v_lshlrev_b64 v[3:4], 1, v[3:4]
	v_add_co_u32 v3, s0, s18, v3
	s_delay_alu instid0(VALU_DEP_1)
	v_add_co_ci_u32_e64 v4, s0, s19, v4, s0
	global_load_u16 v11, v[3:4], off
.LBB483_9:
	s_or_b32 exec_lo, exec_lo, s1
	s_delay_alu instid0(SALU_CYCLE_1)
	s_mov_b32 s1, exec_lo
	v_cmpx_gt_i32_e64 s15, v2
	s_cbranch_execz .LBB483_11
; %bb.10:
	v_dual_mov_b32 v4, 0 :: v_dual_add_nc_u32 v3, s22, v2
	v_add_nc_u32_e32 v2, 0x100, v2
	s_delay_alu instid0(VALU_DEP_2) | instskip(NEXT) | instid1(VALU_DEP_1)
	v_lshlrev_b64 v[3:4], 1, v[3:4]
	v_add_co_u32 v3, s0, s18, v3
	s_delay_alu instid0(VALU_DEP_1)
	v_add_co_ci_u32_e64 v4, s0, s19, v4, s0
	global_load_u16 v5, v[3:4], off
.LBB483_11:
	s_or_b32 exec_lo, exec_lo, s1
	v_dual_mov_b32 v4, 0 :: v_dual_mov_b32 v9, 0
	s_mov_b32 s1, exec_lo
	v_cmpx_gt_i32_e64 s15, v2
	s_cbranch_execz .LBB483_13
; %bb.12:
	v_dual_mov_b32 v10, 0 :: v_dual_add_nc_u32 v9, s22, v2
	v_add_nc_u32_e32 v2, 0x100, v2
	s_delay_alu instid0(VALU_DEP_2) | instskip(NEXT) | instid1(VALU_DEP_1)
	v_lshlrev_b64 v[9:10], 1, v[9:10]
	v_add_co_u32 v9, s0, s18, v9
	s_delay_alu instid0(VALU_DEP_1)
	v_add_co_ci_u32_e64 v10, s0, s19, v10, s0
	global_load_u16 v9, v[9:10], off
.LBB483_13:
	s_or_b32 exec_lo, exec_lo, s1
	s_delay_alu instid0(SALU_CYCLE_1)
	s_mov_b32 s1, exec_lo
	v_cmpx_gt_i32_e64 s15, v2
	s_cbranch_execz .LBB483_15
; %bb.14:
	v_dual_mov_b32 v4, 0 :: v_dual_add_nc_u32 v3, s22, v2
	v_add_nc_u32_e32 v2, 0x100, v2
	s_delay_alu instid0(VALU_DEP_2) | instskip(NEXT) | instid1(VALU_DEP_1)
	v_lshlrev_b64 v[3:4], 1, v[3:4]
	v_add_co_u32 v3, s0, s18, v3
	s_delay_alu instid0(VALU_DEP_1)
	v_add_co_ci_u32_e64 v4, s0, s19, v4, s0
	global_load_u16 v4, v[3:4], off
.LBB483_15:
	s_or_b32 exec_lo, exec_lo, s1
	v_mov_b32_e32 v3, 0
	v_mov_b32_e32 v7, 0
	s_mov_b32 s1, exec_lo
	v_cmpx_gt_i32_e64 s15, v2
	s_cbranch_execz .LBB483_17
; %bb.16:
	v_dual_mov_b32 v14, 0 :: v_dual_add_nc_u32 v13, s22, v2
	v_add_nc_u32_e32 v2, 0x100, v2
	s_delay_alu instid0(VALU_DEP_2) | instskip(NEXT) | instid1(VALU_DEP_1)
	v_lshlrev_b64 v[13:14], 1, v[13:14]
	v_add_co_u32 v13, s0, s18, v13
	s_delay_alu instid0(VALU_DEP_1)
	v_add_co_ci_u32_e64 v14, s0, s19, v14, s0
	global_load_u16 v7, v[13:14], off
.LBB483_17:
	s_or_b32 exec_lo, exec_lo, s1
	s_delay_alu instid0(SALU_CYCLE_1)
	s_mov_b32 s1, exec_lo
	v_cmpx_gt_i32_e64 s15, v2
	s_cbranch_execz .LBB483_19
; %bb.18:
	v_dual_mov_b32 v3, 0 :: v_dual_add_nc_u32 v2, s22, v2
	s_delay_alu instid0(VALU_DEP_1) | instskip(NEXT) | instid1(VALU_DEP_1)
	v_lshlrev_b64 v[2:3], 1, v[2:3]
	v_add_co_u32 v2, s0, s18, v2
	s_delay_alu instid0(VALU_DEP_1)
	v_add_co_ci_u32_e64 v3, s0, s19, v3, s0
	global_load_u16 v3, v[2:3], off
.LBB483_19:
	s_or_b32 exec_lo, exec_lo, s1
	s_lshl_b32 s0, s21, 16
	s_delay_alu instid0(SALU_CYCLE_1)
	v_mov_b32_e32 v10, s0
	s_and_saveexec_b32 s2, vcc_lo
	s_cbranch_execnz .LBB483_29
; %bb.20:
	s_or_b32 exec_lo, exec_lo, s2
	s_delay_alu instid0(SALU_CYCLE_1)
	s_mov_b32 s1, exec_lo
	v_cmpx_gt_i32_e64 s15, v0
	s_cbranch_execnz .LBB483_30
.LBB483_21:
	s_or_b32 exec_lo, exec_lo, s1
	s_delay_alu instid0(SALU_CYCLE_1)
	s_mov_b32 s1, exec_lo
	v_cmpx_gt_i32_e64 s15, v0
	s_cbranch_execnz .LBB483_31
.LBB483_22:
	s_or_b32 exec_lo, exec_lo, s1
	s_delay_alu instid0(SALU_CYCLE_1)
	s_mov_b32 s1, exec_lo
	v_cmpx_gt_i32_e64 s15, v0
	s_cbranch_execnz .LBB483_32
.LBB483_23:
	s_or_b32 exec_lo, exec_lo, s1
	s_delay_alu instid0(SALU_CYCLE_1)
	s_mov_b32 s1, exec_lo
	v_cmpx_gt_i32_e64 s15, v0
	s_cbranch_execnz .LBB483_33
.LBB483_24:
	s_or_b32 exec_lo, exec_lo, s1
	s_delay_alu instid0(SALU_CYCLE_1)
	s_mov_b32 s1, exec_lo
	v_cmpx_gt_i32_e64 s15, v0
	s_cbranch_execnz .LBB483_34
.LBB483_25:
	s_or_b32 exec_lo, exec_lo, s1
	s_delay_alu instid0(SALU_CYCLE_1)
	s_mov_b32 s1, exec_lo
	v_cmpx_gt_i32_e64 s15, v0
	s_cbranch_execnz .LBB483_35
.LBB483_26:
	s_or_b32 exec_lo, exec_lo, s1
	s_delay_alu instid0(SALU_CYCLE_1)
	s_mov_b32 s0, exec_lo
	v_cmpx_gt_i32_e64 s15, v0
	s_cbranch_execz .LBB483_28
.LBB483_27:
	s_waitcnt vmcnt(0)
	v_dual_mov_b32 v1, 0 :: v_dual_lshlrev_b32 v2, 16, v3
	v_add_nc_u32_e32 v0, s22, v0
	s_delay_alu instid0(VALU_DEP_2) | instskip(SKIP_1) | instid1(VALU_DEP_3)
	v_cmp_u_f32_e32 vcc_lo, v2, v2
	v_cmp_lt_f32_e64 s0, v2, v10
	v_lshlrev_b64 v[0:1], 1, v[0:1]
	s_delay_alu instid0(VALU_DEP_2) | instskip(SKIP_1) | instid1(VALU_DEP_2)
	s_or_b32 vcc_lo, vcc_lo, s0
	v_cndmask_b32_e32 v2, s21, v3, vcc_lo
	v_add_co_u32 v0, vcc_lo, s16, v0
	s_delay_alu instid0(VALU_DEP_3)
	v_add_co_ci_u32_e32 v1, vcc_lo, s17, v1, vcc_lo
	global_store_b16 v[0:1], v2, off
.LBB483_28:
	s_nop 0
	s_sendmsg sendmsg(MSG_DEALLOC_VGPRS)
	s_endpgm
.LBB483_29:
	s_waitcnt vmcnt(0)
	v_dual_mov_b32 v2, 0 :: v_dual_lshlrev_b32 v13, 16, v12
	s_delay_alu instid0(VALU_DEP_1) | instskip(NEXT) | instid1(VALU_DEP_2)
	v_lshlrev_b64 v[0:1], 1, v[1:2]
	v_cmp_u_f32_e32 vcc_lo, v13, v13
	v_cmp_gt_f32_e64 s0, v10, v13
	s_delay_alu instid0(VALU_DEP_3) | instskip(NEXT) | instid1(VALU_DEP_2)
	v_add_co_u32 v13, s1, s16, v0
	s_or_b32 vcc_lo, vcc_lo, s0
	s_delay_alu instid0(VALU_DEP_4) | instskip(SKIP_3) | instid1(SALU_CYCLE_1)
	v_add_co_ci_u32_e64 v14, s1, s17, v1, s1
	v_dual_cndmask_b32 v1, s21, v12 :: v_dual_mov_b32 v0, v8
	global_store_b16 v[13:14], v1, off
	s_or_b32 exec_lo, exec_lo, s2
	s_mov_b32 s1, exec_lo
	v_cmpx_gt_i32_e64 s15, v0
	s_cbranch_execz .LBB483_21
.LBB483_30:
	s_waitcnt vmcnt(0)
	v_lshlrev_b32_e32 v8, 16, v6
	v_dual_mov_b32 v2, 0 :: v_dual_add_nc_u32 v1, s22, v0
	v_add_nc_u32_e32 v0, 0x100, v0
	s_delay_alu instid0(VALU_DEP_3) | instskip(SKIP_1) | instid1(VALU_DEP_4)
	v_cmp_u_f32_e32 vcc_lo, v8, v8
	v_cmp_gt_f32_e64 s0, v10, v8
	v_lshlrev_b64 v[1:2], 1, v[1:2]
	s_delay_alu instid0(VALU_DEP_2) | instskip(SKIP_1) | instid1(VALU_DEP_2)
	s_or_b32 vcc_lo, vcc_lo, s0
	v_cndmask_b32_e32 v6, s21, v6, vcc_lo
	v_add_co_u32 v1, vcc_lo, s16, v1
	s_delay_alu instid0(VALU_DEP_3) | instskip(SKIP_2) | instid1(SALU_CYCLE_1)
	v_add_co_ci_u32_e32 v2, vcc_lo, s17, v2, vcc_lo
	global_store_b16 v[1:2], v6, off
	s_or_b32 exec_lo, exec_lo, s1
	s_mov_b32 s1, exec_lo
	v_cmpx_gt_i32_e64 s15, v0
	s_cbranch_execz .LBB483_22
.LBB483_31:
	s_waitcnt vmcnt(0)
	v_lshlrev_b32_e32 v6, 16, v11
	v_dual_mov_b32 v2, 0 :: v_dual_add_nc_u32 v1, s22, v0
	v_add_nc_u32_e32 v0, 0x100, v0
	s_delay_alu instid0(VALU_DEP_3) | instskip(SKIP_1) | instid1(VALU_DEP_4)
	v_cmp_u_f32_e32 vcc_lo, v6, v6
	v_cmp_gt_f32_e64 s0, v10, v6
	v_lshlrev_b64 v[1:2], 1, v[1:2]
	s_delay_alu instid0(VALU_DEP_2) | instskip(SKIP_1) | instid1(VALU_DEP_2)
	s_or_b32 vcc_lo, vcc_lo, s0
	v_cndmask_b32_e32 v6, s21, v11, vcc_lo
	v_add_co_u32 v1, vcc_lo, s16, v1
	s_delay_alu instid0(VALU_DEP_3) | instskip(SKIP_2) | instid1(SALU_CYCLE_1)
	v_add_co_ci_u32_e32 v2, vcc_lo, s17, v2, vcc_lo
	global_store_b16 v[1:2], v6, off
	s_or_b32 exec_lo, exec_lo, s1
	s_mov_b32 s1, exec_lo
	v_cmpx_gt_i32_e64 s15, v0
	s_cbranch_execz .LBB483_23
.LBB483_32:
	s_waitcnt vmcnt(0)
	v_lshlrev_b32_e32 v6, 16, v5
	v_dual_mov_b32 v2, 0 :: v_dual_add_nc_u32 v1, s22, v0
	v_add_nc_u32_e32 v0, 0x100, v0
	s_delay_alu instid0(VALU_DEP_3) | instskip(SKIP_1) | instid1(VALU_DEP_4)
	v_cmp_u_f32_e32 vcc_lo, v6, v6
	v_cmp_gt_f32_e64 s0, v10, v6
	v_lshlrev_b64 v[1:2], 1, v[1:2]
	s_delay_alu instid0(VALU_DEP_2) | instskip(SKIP_1) | instid1(VALU_DEP_2)
	s_or_b32 vcc_lo, vcc_lo, s0
	v_cndmask_b32_e32 v5, s21, v5, vcc_lo
	v_add_co_u32 v1, vcc_lo, s16, v1
	s_delay_alu instid0(VALU_DEP_3) | instskip(SKIP_2) | instid1(SALU_CYCLE_1)
	v_add_co_ci_u32_e32 v2, vcc_lo, s17, v2, vcc_lo
	global_store_b16 v[1:2], v5, off
	s_or_b32 exec_lo, exec_lo, s1
	s_mov_b32 s1, exec_lo
	v_cmpx_gt_i32_e64 s15, v0
	s_cbranch_execz .LBB483_24
.LBB483_33:
	s_waitcnt vmcnt(0)
	v_dual_mov_b32 v2, 0 :: v_dual_lshlrev_b32 v5, 16, v9
	v_add_nc_u32_e32 v1, s22, v0
	v_add_nc_u32_e32 v0, 0x100, v0
	s_delay_alu instid0(VALU_DEP_3) | instskip(SKIP_1) | instid1(VALU_DEP_4)
	v_cmp_u_f32_e32 vcc_lo, v5, v5
	v_cmp_gt_f32_e64 s0, v10, v5
	v_lshlrev_b64 v[1:2], 1, v[1:2]
	s_delay_alu instid0(VALU_DEP_2) | instskip(SKIP_1) | instid1(VALU_DEP_2)
	s_or_b32 vcc_lo, vcc_lo, s0
	v_cndmask_b32_e32 v5, s21, v9, vcc_lo
	v_add_co_u32 v1, vcc_lo, s16, v1
	s_delay_alu instid0(VALU_DEP_3) | instskip(SKIP_2) | instid1(SALU_CYCLE_1)
	v_add_co_ci_u32_e32 v2, vcc_lo, s17, v2, vcc_lo
	global_store_b16 v[1:2], v5, off
	s_or_b32 exec_lo, exec_lo, s1
	s_mov_b32 s1, exec_lo
	v_cmpx_gt_i32_e64 s15, v0
	s_cbranch_execz .LBB483_25
.LBB483_34:
	s_waitcnt vmcnt(0)
	v_dual_mov_b32 v2, 0 :: v_dual_lshlrev_b32 v5, 16, v4
	v_add_nc_u32_e32 v1, s22, v0
	v_add_nc_u32_e32 v0, 0x100, v0
	s_delay_alu instid0(VALU_DEP_3) | instskip(SKIP_1) | instid1(VALU_DEP_4)
	v_cmp_u_f32_e32 vcc_lo, v5, v5
	v_cmp_gt_f32_e64 s0, v10, v5
	v_lshlrev_b64 v[1:2], 1, v[1:2]
	s_delay_alu instid0(VALU_DEP_2) | instskip(SKIP_1) | instid1(VALU_DEP_2)
	s_or_b32 vcc_lo, vcc_lo, s0
	v_cndmask_b32_e32 v4, s21, v4, vcc_lo
	v_add_co_u32 v1, vcc_lo, s16, v1
	s_delay_alu instid0(VALU_DEP_3) | instskip(SKIP_2) | instid1(SALU_CYCLE_1)
	v_add_co_ci_u32_e32 v2, vcc_lo, s17, v2, vcc_lo
	global_store_b16 v[1:2], v4, off
	s_or_b32 exec_lo, exec_lo, s1
	s_mov_b32 s1, exec_lo
	v_cmpx_gt_i32_e64 s15, v0
	s_cbranch_execz .LBB483_26
.LBB483_35:
	s_waitcnt vmcnt(0)
	v_lshlrev_b32_e32 v4, 16, v7
	v_dual_mov_b32 v2, 0 :: v_dual_add_nc_u32 v1, s22, v0
	v_add_nc_u32_e32 v0, 0x100, v0
	s_delay_alu instid0(VALU_DEP_3) | instskip(SKIP_1) | instid1(VALU_DEP_4)
	v_cmp_u_f32_e32 vcc_lo, v4, v4
	v_cmp_gt_f32_e64 s0, v10, v4
	v_lshlrev_b64 v[1:2], 1, v[1:2]
	s_delay_alu instid0(VALU_DEP_2) | instskip(SKIP_1) | instid1(VALU_DEP_2)
	s_or_b32 vcc_lo, vcc_lo, s0
	v_cndmask_b32_e32 v4, s21, v7, vcc_lo
	v_add_co_u32 v1, vcc_lo, s16, v1
	s_delay_alu instid0(VALU_DEP_3) | instskip(SKIP_2) | instid1(SALU_CYCLE_1)
	v_add_co_ci_u32_e32 v2, vcc_lo, s17, v2, vcc_lo
	global_store_b16 v[1:2], v4, off
	s_or_b32 exec_lo, exec_lo, s1
	s_mov_b32 s0, exec_lo
	v_cmpx_gt_i32_e64 s15, v0
	s_cbranch_execnz .LBB483_27
	s_branch .LBB483_28
	.section	.rodata,"a",@progbits
	.p2align	6, 0x0
	.amdhsa_kernel _ZN2at6native29vectorized_elementwise_kernelILi8EZZZNS0_21clamp_max_kernel_cudaERNS_18TensorIteratorBaseERKN3c106ScalarEENKUlvE_clEvENKUlvE7_clEvEUlNS4_8BFloat16EE_St5arrayIPcLm2EEEEviT0_T1_
		.amdhsa_group_segment_fixed_size 0
		.amdhsa_private_segment_fixed_size 0
		.amdhsa_kernarg_size 24
		.amdhsa_user_sgpr_count 15
		.amdhsa_user_sgpr_dispatch_ptr 0
		.amdhsa_user_sgpr_queue_ptr 0
		.amdhsa_user_sgpr_kernarg_segment_ptr 1
		.amdhsa_user_sgpr_dispatch_id 0
		.amdhsa_user_sgpr_private_segment_size 0
		.amdhsa_wavefront_size32 1
		.amdhsa_uses_dynamic_stack 0
		.amdhsa_enable_private_segment 0
		.amdhsa_system_sgpr_workgroup_id_x 1
		.amdhsa_system_sgpr_workgroup_id_y 0
		.amdhsa_system_sgpr_workgroup_id_z 0
		.amdhsa_system_sgpr_workgroup_info 0
		.amdhsa_system_vgpr_workitem_id 0
		.amdhsa_next_free_vgpr 18
		.amdhsa_next_free_sgpr 26
		.amdhsa_reserve_vcc 1
		.amdhsa_float_round_mode_32 0
		.amdhsa_float_round_mode_16_64 0
		.amdhsa_float_denorm_mode_32 3
		.amdhsa_float_denorm_mode_16_64 3
		.amdhsa_dx10_clamp 1
		.amdhsa_ieee_mode 1
		.amdhsa_fp16_overflow 0
		.amdhsa_workgroup_processor_mode 1
		.amdhsa_memory_ordered 1
		.amdhsa_forward_progress 0
		.amdhsa_shared_vgpr_count 0
		.amdhsa_exception_fp_ieee_invalid_op 0
		.amdhsa_exception_fp_denorm_src 0
		.amdhsa_exception_fp_ieee_div_zero 0
		.amdhsa_exception_fp_ieee_overflow 0
		.amdhsa_exception_fp_ieee_underflow 0
		.amdhsa_exception_fp_ieee_inexact 0
		.amdhsa_exception_int_div_zero 0
	.end_amdhsa_kernel
	.section	.text._ZN2at6native29vectorized_elementwise_kernelILi8EZZZNS0_21clamp_max_kernel_cudaERNS_18TensorIteratorBaseERKN3c106ScalarEENKUlvE_clEvENKUlvE7_clEvEUlNS4_8BFloat16EE_St5arrayIPcLm2EEEEviT0_T1_,"axG",@progbits,_ZN2at6native29vectorized_elementwise_kernelILi8EZZZNS0_21clamp_max_kernel_cudaERNS_18TensorIteratorBaseERKN3c106ScalarEENKUlvE_clEvENKUlvE7_clEvEUlNS4_8BFloat16EE_St5arrayIPcLm2EEEEviT0_T1_,comdat
.Lfunc_end483:
	.size	_ZN2at6native29vectorized_elementwise_kernelILi8EZZZNS0_21clamp_max_kernel_cudaERNS_18TensorIteratorBaseERKN3c106ScalarEENKUlvE_clEvENKUlvE7_clEvEUlNS4_8BFloat16EE_St5arrayIPcLm2EEEEviT0_T1_, .Lfunc_end483-_ZN2at6native29vectorized_elementwise_kernelILi8EZZZNS0_21clamp_max_kernel_cudaERNS_18TensorIteratorBaseERKN3c106ScalarEENKUlvE_clEvENKUlvE7_clEvEUlNS4_8BFloat16EE_St5arrayIPcLm2EEEEviT0_T1_
                                        ; -- End function
	.section	.AMDGPU.csdata,"",@progbits
; Kernel info:
; codeLenInByte = 2088
; NumSgprs: 28
; NumVgprs: 18
; ScratchSize: 0
; MemoryBound: 0
; FloatMode: 240
; IeeeMode: 1
; LDSByteSize: 0 bytes/workgroup (compile time only)
; SGPRBlocks: 3
; VGPRBlocks: 2
; NumSGPRsForWavesPerEU: 28
; NumVGPRsForWavesPerEU: 18
; Occupancy: 16
; WaveLimiterHint : 0
; COMPUTE_PGM_RSRC2:SCRATCH_EN: 0
; COMPUTE_PGM_RSRC2:USER_SGPR: 15
; COMPUTE_PGM_RSRC2:TRAP_HANDLER: 0
; COMPUTE_PGM_RSRC2:TGID_X_EN: 1
; COMPUTE_PGM_RSRC2:TGID_Y_EN: 0
; COMPUTE_PGM_RSRC2:TGID_Z_EN: 0
; COMPUTE_PGM_RSRC2:TIDIG_COMP_CNT: 0
	.section	.text._ZN2at6native29vectorized_elementwise_kernelILi4EZZZNS0_21clamp_max_kernel_cudaERNS_18TensorIteratorBaseERKN3c106ScalarEENKUlvE_clEvENKUlvE7_clEvEUlNS4_8BFloat16EE_St5arrayIPcLm2EEEEviT0_T1_,"axG",@progbits,_ZN2at6native29vectorized_elementwise_kernelILi4EZZZNS0_21clamp_max_kernel_cudaERNS_18TensorIteratorBaseERKN3c106ScalarEENKUlvE_clEvENKUlvE7_clEvEUlNS4_8BFloat16EE_St5arrayIPcLm2EEEEviT0_T1_,comdat
	.globl	_ZN2at6native29vectorized_elementwise_kernelILi4EZZZNS0_21clamp_max_kernel_cudaERNS_18TensorIteratorBaseERKN3c106ScalarEENKUlvE_clEvENKUlvE7_clEvEUlNS4_8BFloat16EE_St5arrayIPcLm2EEEEviT0_T1_ ; -- Begin function _ZN2at6native29vectorized_elementwise_kernelILi4EZZZNS0_21clamp_max_kernel_cudaERNS_18TensorIteratorBaseERKN3c106ScalarEENKUlvE_clEvENKUlvE7_clEvEUlNS4_8BFloat16EE_St5arrayIPcLm2EEEEviT0_T1_
	.p2align	8
	.type	_ZN2at6native29vectorized_elementwise_kernelILi4EZZZNS0_21clamp_max_kernel_cudaERNS_18TensorIteratorBaseERKN3c106ScalarEENKUlvE_clEvENKUlvE7_clEvEUlNS4_8BFloat16EE_St5arrayIPcLm2EEEEviT0_T1_,@function
_ZN2at6native29vectorized_elementwise_kernelILi4EZZZNS0_21clamp_max_kernel_cudaERNS_18TensorIteratorBaseERKN3c106ScalarEENKUlvE_clEvENKUlvE7_clEvEUlNS4_8BFloat16EE_St5arrayIPcLm2EEEEviT0_T1_: ; @_ZN2at6native29vectorized_elementwise_kernelILi4EZZZNS0_21clamp_max_kernel_cudaERNS_18TensorIteratorBaseERKN3c106ScalarEENKUlvE_clEvENKUlvE7_clEvEUlNS4_8BFloat16EE_St5arrayIPcLm2EEEEviT0_T1_
; %bb.0:
	s_clause 0x1
	s_load_b64 s[20:21], s[0:1], 0x0
	s_load_b128 s[16:19], s[0:1], 0x8
	s_lshl_b32 s22, s15, 11
	s_mov_b32 s0, -1
	s_waitcnt lgkmcnt(0)
	s_sub_i32 s15, s20, s22
	s_delay_alu instid0(SALU_CYCLE_1)
	s_cmpk_gt_i32 s15, 0x7ff
	s_cbranch_scc0 .LBB484_2
; %bb.1:
	s_ashr_i32 s23, s22, 31
	v_lshlrev_b32_e32 v5, 3, v0
	s_lshl_b64 s[24:25], s[22:23], 1
	s_delay_alu instid0(SALU_CYCLE_1)
	s_add_u32 s0, s18, s24
	s_addc_u32 s1, s19, s25
	s_lshl_b32 s14, s21, 16
	s_clause 0x1
	global_load_b64 v[1:2], v5, s[0:1]
	global_load_b64 v[3:4], v5, s[0:1] offset:2048
	s_waitcnt vmcnt(1)
	v_lshrrev_b32_e32 v7, 16, v2
	v_lshlrev_b32_e32 v10, 16, v1
	v_and_b32_e32 v11, 0xffff0000, v1
	v_and_b32_e32 v13, 0xffff0000, v2
	s_waitcnt vmcnt(0)
	v_lshrrev_b32_e32 v9, 16, v4
	v_lshlrev_b32_e32 v14, 16, v3
	v_cmp_u_f32_e32 vcc_lo, v10, v10
	v_cmp_gt_f32_e64 s0, s14, v10
	v_cmp_u_f32_e64 s1, v11, v11
	v_cmp_gt_f32_e64 s2, s14, v11
	v_lshrrev_b32_e32 v6, 16, v1
	v_cmp_u_f32_e64 s5, v13, v13
	s_or_b32 vcc_lo, vcc_lo, s0
	v_dual_cndmask_b32 v1, s21, v1 :: v_dual_lshlrev_b32 v12, 16, v2
	v_cmp_gt_f32_e64 s6, s14, v13
	s_or_b32 vcc_lo, s1, s2
	v_cmp_u_f32_e64 s7, v14, v14
	s_delay_alu instid0(VALU_DEP_3)
	v_cmp_u_f32_e64 s3, v12, v12
	v_cmp_gt_f32_e64 s4, s14, v12
	v_cmp_gt_f32_e64 s8, s14, v14
	v_cndmask_b32_e32 v6, s21, v6, vcc_lo
	v_and_b32_e32 v15, 0xffff0000, v3
	v_and_b32_e32 v17, 0xffff0000, v4
	s_or_b32 vcc_lo, s3, s4
	v_lshrrev_b32_e32 v8, 16, v3
	v_cndmask_b32_e32 v2, s21, v2, vcc_lo
	s_or_b32 vcc_lo, s5, s6
	v_cmp_u_f32_e64 s9, v15, v15
	v_cndmask_b32_e32 v7, s21, v7, vcc_lo
	s_or_b32 vcc_lo, s7, s8
	v_dual_cndmask_b32 v3, s21, v3 :: v_dual_lshlrev_b32 v16, 16, v4
	v_cmp_gt_f32_e64 s10, s14, v15
	v_cmp_u_f32_e64 s13, v17, v17
	v_lshlrev_b32_e32 v6, 16, v6
	s_delay_alu instid0(VALU_DEP_4)
	v_cmp_u_f32_e64 s11, v16, v16
	v_cmp_gt_f32_e64 s12, s14, v16
	v_cmp_gt_f32_e64 s14, s14, v17
	s_or_b32 vcc_lo, s9, s10
	v_and_b32_e32 v1, 0xffff, v1
	v_cndmask_b32_e32 v8, s21, v8, vcc_lo
	s_or_b32 vcc_lo, s11, s12
	v_and_b32_e32 v3, 0xffff, v3
	v_cndmask_b32_e32 v4, s21, v4, vcc_lo
	s_or_b32 vcc_lo, s13, s14
	v_lshlrev_b32_e32 v7, 16, v7
	v_cndmask_b32_e32 v9, s21, v9, vcc_lo
	v_and_b32_e32 v2, 0xffff, v2
	v_or_b32_e32 v1, v6, v1
	v_and_b32_e32 v4, 0xffff, v4
	s_add_u32 s2, s16, s24
	v_lshlrev_b32_e32 v9, 16, v9
	v_lshlrev_b32_e32 v8, 16, v8
	v_or3_b32 v2, 0, v2, v7
	v_or3_b32 v1, v1, 0, 0
	s_addc_u32 s3, s17, s25
	v_or3_b32 v4, 0, v4, v9
	v_or_b32_e32 v3, v8, v3
	s_mov_b32 s0, 0
	s_delay_alu instid0(VALU_DEP_1)
	v_or3_b32 v3, v3, 0, 0
	s_clause 0x1
	global_store_b64 v5, v[1:2], s[2:3]
	global_store_b64 v5, v[3:4], s[2:3] offset:2048
.LBB484_2:
	s_and_not1_b32 vcc_lo, exec_lo, s0
	s_cbranch_vccnz .LBB484_28
; %bb.3:
	v_cmp_gt_i32_e32 vcc_lo, s15, v0
	v_mov_b32_e32 v6, 0
	v_or_b32_e32 v1, s22, v0
	v_or_b32_e32 v8, 0x100, v0
	v_mov_b32_e32 v12, 0
	v_mov_b32_e32 v2, v0
	s_and_saveexec_b32 s1, vcc_lo
	s_cbranch_execz .LBB484_5
; %bb.4:
	v_mov_b32_e32 v2, 0
	s_delay_alu instid0(VALU_DEP_1) | instskip(NEXT) | instid1(VALU_DEP_1)
	v_lshlrev_b64 v[2:3], 1, v[1:2]
	v_add_co_u32 v2, s0, s18, v2
	s_delay_alu instid0(VALU_DEP_1)
	v_add_co_ci_u32_e64 v3, s0, s19, v3, s0
	global_load_u16 v12, v[2:3], off
	v_or_b32_e32 v2, 0x100, v0
.LBB484_5:
	s_or_b32 exec_lo, exec_lo, s1
	s_delay_alu instid0(SALU_CYCLE_1) | instskip(NEXT) | instid1(VALU_DEP_1)
	s_mov_b32 s1, exec_lo
	v_cmpx_gt_i32_e64 s15, v2
	s_cbranch_execz .LBB484_7
; %bb.6:
	v_dual_mov_b32 v4, 0 :: v_dual_add_nc_u32 v3, s22, v2
	v_add_nc_u32_e32 v2, 0x100, v2
	s_delay_alu instid0(VALU_DEP_2) | instskip(NEXT) | instid1(VALU_DEP_1)
	v_lshlrev_b64 v[3:4], 1, v[3:4]
	v_add_co_u32 v3, s0, s18, v3
	s_delay_alu instid0(VALU_DEP_1)
	v_add_co_ci_u32_e64 v4, s0, s19, v4, s0
	global_load_u16 v6, v[3:4], off
.LBB484_7:
	s_or_b32 exec_lo, exec_lo, s1
	v_mov_b32_e32 v5, 0
	v_mov_b32_e32 v11, 0
	s_mov_b32 s1, exec_lo
	v_cmpx_gt_i32_e64 s15, v2
	s_cbranch_execz .LBB484_9
; %bb.8:
	v_dual_mov_b32 v4, 0 :: v_dual_add_nc_u32 v3, s22, v2
	v_add_nc_u32_e32 v2, 0x100, v2
	s_delay_alu instid0(VALU_DEP_2) | instskip(NEXT) | instid1(VALU_DEP_1)
	v_lshlrev_b64 v[3:4], 1, v[3:4]
	v_add_co_u32 v3, s0, s18, v3
	s_delay_alu instid0(VALU_DEP_1)
	v_add_co_ci_u32_e64 v4, s0, s19, v4, s0
	global_load_u16 v11, v[3:4], off
.LBB484_9:
	s_or_b32 exec_lo, exec_lo, s1
	s_delay_alu instid0(SALU_CYCLE_1)
	s_mov_b32 s1, exec_lo
	v_cmpx_gt_i32_e64 s15, v2
	s_cbranch_execz .LBB484_11
; %bb.10:
	v_dual_mov_b32 v4, 0 :: v_dual_add_nc_u32 v3, s22, v2
	v_add_nc_u32_e32 v2, 0x100, v2
	s_delay_alu instid0(VALU_DEP_2) | instskip(NEXT) | instid1(VALU_DEP_1)
	v_lshlrev_b64 v[3:4], 1, v[3:4]
	v_add_co_u32 v3, s0, s18, v3
	s_delay_alu instid0(VALU_DEP_1)
	v_add_co_ci_u32_e64 v4, s0, s19, v4, s0
	global_load_u16 v5, v[3:4], off
.LBB484_11:
	s_or_b32 exec_lo, exec_lo, s1
	v_dual_mov_b32 v4, 0 :: v_dual_mov_b32 v9, 0
	s_mov_b32 s1, exec_lo
	v_cmpx_gt_i32_e64 s15, v2
	s_cbranch_execz .LBB484_13
; %bb.12:
	v_dual_mov_b32 v10, 0 :: v_dual_add_nc_u32 v9, s22, v2
	v_add_nc_u32_e32 v2, 0x100, v2
	s_delay_alu instid0(VALU_DEP_2) | instskip(NEXT) | instid1(VALU_DEP_1)
	v_lshlrev_b64 v[9:10], 1, v[9:10]
	v_add_co_u32 v9, s0, s18, v9
	s_delay_alu instid0(VALU_DEP_1)
	v_add_co_ci_u32_e64 v10, s0, s19, v10, s0
	global_load_u16 v9, v[9:10], off
.LBB484_13:
	s_or_b32 exec_lo, exec_lo, s1
	s_delay_alu instid0(SALU_CYCLE_1)
	s_mov_b32 s1, exec_lo
	v_cmpx_gt_i32_e64 s15, v2
	s_cbranch_execz .LBB484_15
; %bb.14:
	v_dual_mov_b32 v4, 0 :: v_dual_add_nc_u32 v3, s22, v2
	v_add_nc_u32_e32 v2, 0x100, v2
	s_delay_alu instid0(VALU_DEP_2) | instskip(NEXT) | instid1(VALU_DEP_1)
	v_lshlrev_b64 v[3:4], 1, v[3:4]
	v_add_co_u32 v3, s0, s18, v3
	s_delay_alu instid0(VALU_DEP_1)
	v_add_co_ci_u32_e64 v4, s0, s19, v4, s0
	global_load_u16 v4, v[3:4], off
.LBB484_15:
	s_or_b32 exec_lo, exec_lo, s1
	v_mov_b32_e32 v3, 0
	v_mov_b32_e32 v7, 0
	s_mov_b32 s1, exec_lo
	v_cmpx_gt_i32_e64 s15, v2
	s_cbranch_execz .LBB484_17
; %bb.16:
	v_dual_mov_b32 v14, 0 :: v_dual_add_nc_u32 v13, s22, v2
	v_add_nc_u32_e32 v2, 0x100, v2
	s_delay_alu instid0(VALU_DEP_2) | instskip(NEXT) | instid1(VALU_DEP_1)
	v_lshlrev_b64 v[13:14], 1, v[13:14]
	v_add_co_u32 v13, s0, s18, v13
	s_delay_alu instid0(VALU_DEP_1)
	v_add_co_ci_u32_e64 v14, s0, s19, v14, s0
	global_load_u16 v7, v[13:14], off
.LBB484_17:
	s_or_b32 exec_lo, exec_lo, s1
	s_delay_alu instid0(SALU_CYCLE_1)
	s_mov_b32 s1, exec_lo
	v_cmpx_gt_i32_e64 s15, v2
	s_cbranch_execz .LBB484_19
; %bb.18:
	v_dual_mov_b32 v3, 0 :: v_dual_add_nc_u32 v2, s22, v2
	s_delay_alu instid0(VALU_DEP_1) | instskip(NEXT) | instid1(VALU_DEP_1)
	v_lshlrev_b64 v[2:3], 1, v[2:3]
	v_add_co_u32 v2, s0, s18, v2
	s_delay_alu instid0(VALU_DEP_1)
	v_add_co_ci_u32_e64 v3, s0, s19, v3, s0
	global_load_u16 v3, v[2:3], off
.LBB484_19:
	s_or_b32 exec_lo, exec_lo, s1
	s_lshl_b32 s0, s21, 16
	s_delay_alu instid0(SALU_CYCLE_1)
	v_mov_b32_e32 v10, s0
	s_and_saveexec_b32 s2, vcc_lo
	s_cbranch_execnz .LBB484_29
; %bb.20:
	s_or_b32 exec_lo, exec_lo, s2
	s_delay_alu instid0(SALU_CYCLE_1)
	s_mov_b32 s1, exec_lo
	v_cmpx_gt_i32_e64 s15, v0
	s_cbranch_execnz .LBB484_30
.LBB484_21:
	s_or_b32 exec_lo, exec_lo, s1
	s_delay_alu instid0(SALU_CYCLE_1)
	s_mov_b32 s1, exec_lo
	v_cmpx_gt_i32_e64 s15, v0
	s_cbranch_execnz .LBB484_31
.LBB484_22:
	s_or_b32 exec_lo, exec_lo, s1
	s_delay_alu instid0(SALU_CYCLE_1)
	s_mov_b32 s1, exec_lo
	v_cmpx_gt_i32_e64 s15, v0
	s_cbranch_execnz .LBB484_32
.LBB484_23:
	s_or_b32 exec_lo, exec_lo, s1
	s_delay_alu instid0(SALU_CYCLE_1)
	s_mov_b32 s1, exec_lo
	v_cmpx_gt_i32_e64 s15, v0
	s_cbranch_execnz .LBB484_33
.LBB484_24:
	s_or_b32 exec_lo, exec_lo, s1
	s_delay_alu instid0(SALU_CYCLE_1)
	s_mov_b32 s1, exec_lo
	v_cmpx_gt_i32_e64 s15, v0
	s_cbranch_execnz .LBB484_34
.LBB484_25:
	s_or_b32 exec_lo, exec_lo, s1
	s_delay_alu instid0(SALU_CYCLE_1)
	s_mov_b32 s1, exec_lo
	v_cmpx_gt_i32_e64 s15, v0
	s_cbranch_execnz .LBB484_35
.LBB484_26:
	s_or_b32 exec_lo, exec_lo, s1
	s_delay_alu instid0(SALU_CYCLE_1)
	s_mov_b32 s0, exec_lo
	v_cmpx_gt_i32_e64 s15, v0
	s_cbranch_execz .LBB484_28
.LBB484_27:
	s_waitcnt vmcnt(0)
	v_dual_mov_b32 v1, 0 :: v_dual_lshlrev_b32 v2, 16, v3
	v_add_nc_u32_e32 v0, s22, v0
	s_delay_alu instid0(VALU_DEP_2) | instskip(SKIP_1) | instid1(VALU_DEP_3)
	v_cmp_u_f32_e32 vcc_lo, v2, v2
	v_cmp_lt_f32_e64 s0, v2, v10
	v_lshlrev_b64 v[0:1], 1, v[0:1]
	s_delay_alu instid0(VALU_DEP_2) | instskip(SKIP_1) | instid1(VALU_DEP_2)
	s_or_b32 vcc_lo, vcc_lo, s0
	v_cndmask_b32_e32 v2, s21, v3, vcc_lo
	v_add_co_u32 v0, vcc_lo, s16, v0
	s_delay_alu instid0(VALU_DEP_3)
	v_add_co_ci_u32_e32 v1, vcc_lo, s17, v1, vcc_lo
	global_store_b16 v[0:1], v2, off
.LBB484_28:
	s_nop 0
	s_sendmsg sendmsg(MSG_DEALLOC_VGPRS)
	s_endpgm
.LBB484_29:
	s_waitcnt vmcnt(0)
	v_dual_mov_b32 v2, 0 :: v_dual_lshlrev_b32 v13, 16, v12
	s_delay_alu instid0(VALU_DEP_1) | instskip(NEXT) | instid1(VALU_DEP_2)
	v_lshlrev_b64 v[0:1], 1, v[1:2]
	v_cmp_u_f32_e32 vcc_lo, v13, v13
	v_cmp_gt_f32_e64 s0, v10, v13
	s_delay_alu instid0(VALU_DEP_3) | instskip(NEXT) | instid1(VALU_DEP_2)
	v_add_co_u32 v13, s1, s16, v0
	s_or_b32 vcc_lo, vcc_lo, s0
	s_delay_alu instid0(VALU_DEP_4) | instskip(SKIP_3) | instid1(SALU_CYCLE_1)
	v_add_co_ci_u32_e64 v14, s1, s17, v1, s1
	v_dual_cndmask_b32 v1, s21, v12 :: v_dual_mov_b32 v0, v8
	global_store_b16 v[13:14], v1, off
	s_or_b32 exec_lo, exec_lo, s2
	s_mov_b32 s1, exec_lo
	v_cmpx_gt_i32_e64 s15, v0
	s_cbranch_execz .LBB484_21
.LBB484_30:
	s_waitcnt vmcnt(0)
	v_lshlrev_b32_e32 v8, 16, v6
	v_dual_mov_b32 v2, 0 :: v_dual_add_nc_u32 v1, s22, v0
	v_add_nc_u32_e32 v0, 0x100, v0
	s_delay_alu instid0(VALU_DEP_3) | instskip(SKIP_1) | instid1(VALU_DEP_4)
	v_cmp_u_f32_e32 vcc_lo, v8, v8
	v_cmp_gt_f32_e64 s0, v10, v8
	v_lshlrev_b64 v[1:2], 1, v[1:2]
	s_delay_alu instid0(VALU_DEP_2) | instskip(SKIP_1) | instid1(VALU_DEP_2)
	s_or_b32 vcc_lo, vcc_lo, s0
	v_cndmask_b32_e32 v6, s21, v6, vcc_lo
	v_add_co_u32 v1, vcc_lo, s16, v1
	s_delay_alu instid0(VALU_DEP_3) | instskip(SKIP_2) | instid1(SALU_CYCLE_1)
	v_add_co_ci_u32_e32 v2, vcc_lo, s17, v2, vcc_lo
	global_store_b16 v[1:2], v6, off
	s_or_b32 exec_lo, exec_lo, s1
	s_mov_b32 s1, exec_lo
	v_cmpx_gt_i32_e64 s15, v0
	s_cbranch_execz .LBB484_22
.LBB484_31:
	s_waitcnt vmcnt(0)
	v_lshlrev_b32_e32 v6, 16, v11
	v_dual_mov_b32 v2, 0 :: v_dual_add_nc_u32 v1, s22, v0
	v_add_nc_u32_e32 v0, 0x100, v0
	s_delay_alu instid0(VALU_DEP_3) | instskip(SKIP_1) | instid1(VALU_DEP_4)
	v_cmp_u_f32_e32 vcc_lo, v6, v6
	v_cmp_gt_f32_e64 s0, v10, v6
	v_lshlrev_b64 v[1:2], 1, v[1:2]
	s_delay_alu instid0(VALU_DEP_2) | instskip(SKIP_1) | instid1(VALU_DEP_2)
	s_or_b32 vcc_lo, vcc_lo, s0
	v_cndmask_b32_e32 v6, s21, v11, vcc_lo
	v_add_co_u32 v1, vcc_lo, s16, v1
	s_delay_alu instid0(VALU_DEP_3) | instskip(SKIP_2) | instid1(SALU_CYCLE_1)
	v_add_co_ci_u32_e32 v2, vcc_lo, s17, v2, vcc_lo
	global_store_b16 v[1:2], v6, off
	s_or_b32 exec_lo, exec_lo, s1
	s_mov_b32 s1, exec_lo
	v_cmpx_gt_i32_e64 s15, v0
	s_cbranch_execz .LBB484_23
.LBB484_32:
	s_waitcnt vmcnt(0)
	v_lshlrev_b32_e32 v6, 16, v5
	v_dual_mov_b32 v2, 0 :: v_dual_add_nc_u32 v1, s22, v0
	v_add_nc_u32_e32 v0, 0x100, v0
	s_delay_alu instid0(VALU_DEP_3) | instskip(SKIP_1) | instid1(VALU_DEP_4)
	v_cmp_u_f32_e32 vcc_lo, v6, v6
	v_cmp_gt_f32_e64 s0, v10, v6
	v_lshlrev_b64 v[1:2], 1, v[1:2]
	s_delay_alu instid0(VALU_DEP_2) | instskip(SKIP_1) | instid1(VALU_DEP_2)
	s_or_b32 vcc_lo, vcc_lo, s0
	v_cndmask_b32_e32 v5, s21, v5, vcc_lo
	v_add_co_u32 v1, vcc_lo, s16, v1
	s_delay_alu instid0(VALU_DEP_3) | instskip(SKIP_2) | instid1(SALU_CYCLE_1)
	v_add_co_ci_u32_e32 v2, vcc_lo, s17, v2, vcc_lo
	global_store_b16 v[1:2], v5, off
	s_or_b32 exec_lo, exec_lo, s1
	s_mov_b32 s1, exec_lo
	v_cmpx_gt_i32_e64 s15, v0
	s_cbranch_execz .LBB484_24
.LBB484_33:
	s_waitcnt vmcnt(0)
	v_dual_mov_b32 v2, 0 :: v_dual_lshlrev_b32 v5, 16, v9
	v_add_nc_u32_e32 v1, s22, v0
	v_add_nc_u32_e32 v0, 0x100, v0
	s_delay_alu instid0(VALU_DEP_3) | instskip(SKIP_1) | instid1(VALU_DEP_4)
	v_cmp_u_f32_e32 vcc_lo, v5, v5
	v_cmp_gt_f32_e64 s0, v10, v5
	v_lshlrev_b64 v[1:2], 1, v[1:2]
	s_delay_alu instid0(VALU_DEP_2) | instskip(SKIP_1) | instid1(VALU_DEP_2)
	s_or_b32 vcc_lo, vcc_lo, s0
	v_cndmask_b32_e32 v5, s21, v9, vcc_lo
	v_add_co_u32 v1, vcc_lo, s16, v1
	s_delay_alu instid0(VALU_DEP_3) | instskip(SKIP_2) | instid1(SALU_CYCLE_1)
	v_add_co_ci_u32_e32 v2, vcc_lo, s17, v2, vcc_lo
	global_store_b16 v[1:2], v5, off
	s_or_b32 exec_lo, exec_lo, s1
	s_mov_b32 s1, exec_lo
	v_cmpx_gt_i32_e64 s15, v0
	s_cbranch_execz .LBB484_25
.LBB484_34:
	s_waitcnt vmcnt(0)
	v_dual_mov_b32 v2, 0 :: v_dual_lshlrev_b32 v5, 16, v4
	v_add_nc_u32_e32 v1, s22, v0
	v_add_nc_u32_e32 v0, 0x100, v0
	s_delay_alu instid0(VALU_DEP_3) | instskip(SKIP_1) | instid1(VALU_DEP_4)
	v_cmp_u_f32_e32 vcc_lo, v5, v5
	v_cmp_gt_f32_e64 s0, v10, v5
	v_lshlrev_b64 v[1:2], 1, v[1:2]
	s_delay_alu instid0(VALU_DEP_2) | instskip(SKIP_1) | instid1(VALU_DEP_2)
	s_or_b32 vcc_lo, vcc_lo, s0
	v_cndmask_b32_e32 v4, s21, v4, vcc_lo
	v_add_co_u32 v1, vcc_lo, s16, v1
	s_delay_alu instid0(VALU_DEP_3) | instskip(SKIP_2) | instid1(SALU_CYCLE_1)
	v_add_co_ci_u32_e32 v2, vcc_lo, s17, v2, vcc_lo
	global_store_b16 v[1:2], v4, off
	s_or_b32 exec_lo, exec_lo, s1
	s_mov_b32 s1, exec_lo
	v_cmpx_gt_i32_e64 s15, v0
	s_cbranch_execz .LBB484_26
.LBB484_35:
	s_waitcnt vmcnt(0)
	v_lshlrev_b32_e32 v4, 16, v7
	v_dual_mov_b32 v2, 0 :: v_dual_add_nc_u32 v1, s22, v0
	v_add_nc_u32_e32 v0, 0x100, v0
	s_delay_alu instid0(VALU_DEP_3) | instskip(SKIP_1) | instid1(VALU_DEP_4)
	v_cmp_u_f32_e32 vcc_lo, v4, v4
	v_cmp_gt_f32_e64 s0, v10, v4
	v_lshlrev_b64 v[1:2], 1, v[1:2]
	s_delay_alu instid0(VALU_DEP_2) | instskip(SKIP_1) | instid1(VALU_DEP_2)
	s_or_b32 vcc_lo, vcc_lo, s0
	v_cndmask_b32_e32 v4, s21, v7, vcc_lo
	v_add_co_u32 v1, vcc_lo, s16, v1
	s_delay_alu instid0(VALU_DEP_3) | instskip(SKIP_2) | instid1(SALU_CYCLE_1)
	v_add_co_ci_u32_e32 v2, vcc_lo, s17, v2, vcc_lo
	global_store_b16 v[1:2], v4, off
	s_or_b32 exec_lo, exec_lo, s1
	s_mov_b32 s0, exec_lo
	v_cmpx_gt_i32_e64 s15, v0
	s_cbranch_execnz .LBB484_27
	s_branch .LBB484_28
	.section	.rodata,"a",@progbits
	.p2align	6, 0x0
	.amdhsa_kernel _ZN2at6native29vectorized_elementwise_kernelILi4EZZZNS0_21clamp_max_kernel_cudaERNS_18TensorIteratorBaseERKN3c106ScalarEENKUlvE_clEvENKUlvE7_clEvEUlNS4_8BFloat16EE_St5arrayIPcLm2EEEEviT0_T1_
		.amdhsa_group_segment_fixed_size 0
		.amdhsa_private_segment_fixed_size 0
		.amdhsa_kernarg_size 24
		.amdhsa_user_sgpr_count 15
		.amdhsa_user_sgpr_dispatch_ptr 0
		.amdhsa_user_sgpr_queue_ptr 0
		.amdhsa_user_sgpr_kernarg_segment_ptr 1
		.amdhsa_user_sgpr_dispatch_id 0
		.amdhsa_user_sgpr_private_segment_size 0
		.amdhsa_wavefront_size32 1
		.amdhsa_uses_dynamic_stack 0
		.amdhsa_enable_private_segment 0
		.amdhsa_system_sgpr_workgroup_id_x 1
		.amdhsa_system_sgpr_workgroup_id_y 0
		.amdhsa_system_sgpr_workgroup_id_z 0
		.amdhsa_system_sgpr_workgroup_info 0
		.amdhsa_system_vgpr_workitem_id 0
		.amdhsa_next_free_vgpr 18
		.amdhsa_next_free_sgpr 26
		.amdhsa_reserve_vcc 1
		.amdhsa_float_round_mode_32 0
		.amdhsa_float_round_mode_16_64 0
		.amdhsa_float_denorm_mode_32 3
		.amdhsa_float_denorm_mode_16_64 3
		.amdhsa_dx10_clamp 1
		.amdhsa_ieee_mode 1
		.amdhsa_fp16_overflow 0
		.amdhsa_workgroup_processor_mode 1
		.amdhsa_memory_ordered 1
		.amdhsa_forward_progress 0
		.amdhsa_shared_vgpr_count 0
		.amdhsa_exception_fp_ieee_invalid_op 0
		.amdhsa_exception_fp_denorm_src 0
		.amdhsa_exception_fp_ieee_div_zero 0
		.amdhsa_exception_fp_ieee_overflow 0
		.amdhsa_exception_fp_ieee_underflow 0
		.amdhsa_exception_fp_ieee_inexact 0
		.amdhsa_exception_int_div_zero 0
	.end_amdhsa_kernel
	.section	.text._ZN2at6native29vectorized_elementwise_kernelILi4EZZZNS0_21clamp_max_kernel_cudaERNS_18TensorIteratorBaseERKN3c106ScalarEENKUlvE_clEvENKUlvE7_clEvEUlNS4_8BFloat16EE_St5arrayIPcLm2EEEEviT0_T1_,"axG",@progbits,_ZN2at6native29vectorized_elementwise_kernelILi4EZZZNS0_21clamp_max_kernel_cudaERNS_18TensorIteratorBaseERKN3c106ScalarEENKUlvE_clEvENKUlvE7_clEvEUlNS4_8BFloat16EE_St5arrayIPcLm2EEEEviT0_T1_,comdat
.Lfunc_end484:
	.size	_ZN2at6native29vectorized_elementwise_kernelILi4EZZZNS0_21clamp_max_kernel_cudaERNS_18TensorIteratorBaseERKN3c106ScalarEENKUlvE_clEvENKUlvE7_clEvEUlNS4_8BFloat16EE_St5arrayIPcLm2EEEEviT0_T1_, .Lfunc_end484-_ZN2at6native29vectorized_elementwise_kernelILi4EZZZNS0_21clamp_max_kernel_cudaERNS_18TensorIteratorBaseERKN3c106ScalarEENKUlvE_clEvENKUlvE7_clEvEUlNS4_8BFloat16EE_St5arrayIPcLm2EEEEviT0_T1_
                                        ; -- End function
	.section	.AMDGPU.csdata,"",@progbits
; Kernel info:
; codeLenInByte = 2156
; NumSgprs: 28
; NumVgprs: 18
; ScratchSize: 0
; MemoryBound: 0
; FloatMode: 240
; IeeeMode: 1
; LDSByteSize: 0 bytes/workgroup (compile time only)
; SGPRBlocks: 3
; VGPRBlocks: 2
; NumSGPRsForWavesPerEU: 28
; NumVGPRsForWavesPerEU: 18
; Occupancy: 16
; WaveLimiterHint : 1
; COMPUTE_PGM_RSRC2:SCRATCH_EN: 0
; COMPUTE_PGM_RSRC2:USER_SGPR: 15
; COMPUTE_PGM_RSRC2:TRAP_HANDLER: 0
; COMPUTE_PGM_RSRC2:TGID_X_EN: 1
; COMPUTE_PGM_RSRC2:TGID_Y_EN: 0
; COMPUTE_PGM_RSRC2:TGID_Z_EN: 0
; COMPUTE_PGM_RSRC2:TIDIG_COMP_CNT: 0
	.section	.text._ZN2at6native29vectorized_elementwise_kernelILi2EZZZNS0_21clamp_max_kernel_cudaERNS_18TensorIteratorBaseERKN3c106ScalarEENKUlvE_clEvENKUlvE7_clEvEUlNS4_8BFloat16EE_St5arrayIPcLm2EEEEviT0_T1_,"axG",@progbits,_ZN2at6native29vectorized_elementwise_kernelILi2EZZZNS0_21clamp_max_kernel_cudaERNS_18TensorIteratorBaseERKN3c106ScalarEENKUlvE_clEvENKUlvE7_clEvEUlNS4_8BFloat16EE_St5arrayIPcLm2EEEEviT0_T1_,comdat
	.globl	_ZN2at6native29vectorized_elementwise_kernelILi2EZZZNS0_21clamp_max_kernel_cudaERNS_18TensorIteratorBaseERKN3c106ScalarEENKUlvE_clEvENKUlvE7_clEvEUlNS4_8BFloat16EE_St5arrayIPcLm2EEEEviT0_T1_ ; -- Begin function _ZN2at6native29vectorized_elementwise_kernelILi2EZZZNS0_21clamp_max_kernel_cudaERNS_18TensorIteratorBaseERKN3c106ScalarEENKUlvE_clEvENKUlvE7_clEvEUlNS4_8BFloat16EE_St5arrayIPcLm2EEEEviT0_T1_
	.p2align	8
	.type	_ZN2at6native29vectorized_elementwise_kernelILi2EZZZNS0_21clamp_max_kernel_cudaERNS_18TensorIteratorBaseERKN3c106ScalarEENKUlvE_clEvENKUlvE7_clEvEUlNS4_8BFloat16EE_St5arrayIPcLm2EEEEviT0_T1_,@function
_ZN2at6native29vectorized_elementwise_kernelILi2EZZZNS0_21clamp_max_kernel_cudaERNS_18TensorIteratorBaseERKN3c106ScalarEENKUlvE_clEvENKUlvE7_clEvEUlNS4_8BFloat16EE_St5arrayIPcLm2EEEEviT0_T1_: ; @_ZN2at6native29vectorized_elementwise_kernelILi2EZZZNS0_21clamp_max_kernel_cudaERNS_18TensorIteratorBaseERKN3c106ScalarEENKUlvE_clEvENKUlvE7_clEvEUlNS4_8BFloat16EE_St5arrayIPcLm2EEEEviT0_T1_
; %bb.0:
	s_clause 0x1
	s_load_b64 s[20:21], s[0:1], 0x0
	s_load_b128 s[16:19], s[0:1], 0x8
	s_lshl_b32 s22, s15, 11
	s_mov_b32 s0, -1
	s_waitcnt lgkmcnt(0)
	s_sub_i32 s15, s20, s22
	s_delay_alu instid0(SALU_CYCLE_1)
	s_cmpk_gt_i32 s15, 0x7ff
	s_cbranch_scc0 .LBB485_2
; %bb.1:
	s_ashr_i32 s23, s22, 31
	v_lshlrev_b32_e32 v1, 2, v0
	s_lshl_b64 s[24:25], s[22:23], 1
	s_delay_alu instid0(SALU_CYCLE_1)
	s_add_u32 s0, s18, s24
	s_addc_u32 s1, s19, s25
	s_lshl_b32 s14, s21, 16
	s_clause 0x3
	global_load_b32 v2, v1, s[0:1]
	global_load_b32 v3, v1, s[0:1] offset:1024
	global_load_b32 v4, v1, s[0:1] offset:2048
	;; [unrolled: 1-line block ×3, first 2 shown]
	s_waitcnt vmcnt(3)
	v_lshlrev_b32_e32 v10, 16, v2
	v_and_b32_e32 v11, 0xffff0000, v2
	s_waitcnt vmcnt(2)
	v_lshlrev_b32_e32 v12, 16, v3
	v_and_b32_e32 v13, 0xffff0000, v3
	v_lshrrev_b32_e32 v6, 16, v2
	v_cmp_u_f32_e32 vcc_lo, v10, v10
	v_cmp_gt_f32_e64 s0, s14, v10
	v_cmp_u_f32_e64 s1, v11, v11
	v_cmp_gt_f32_e64 s2, s14, v11
	v_cmp_u_f32_e64 s3, v12, v12
	v_cmp_gt_f32_e64 s4, s14, v12
	s_or_b32 vcc_lo, vcc_lo, s0
	v_cmp_u_f32_e64 s5, v13, v13
	v_cmp_gt_f32_e64 s6, s14, v13
	v_cndmask_b32_e32 v2, s21, v2, vcc_lo
	s_or_b32 vcc_lo, s1, s2
	v_lshrrev_b32_e32 v7, 16, v3
	v_cndmask_b32_e32 v6, s21, v6, vcc_lo
	s_or_b32 vcc_lo, s3, s4
	s_waitcnt vmcnt(1)
	v_and_b32_e32 v15, 0xffff0000, v4
	v_cndmask_b32_e32 v3, s21, v3, vcc_lo
	s_or_b32 vcc_lo, s5, s6
	v_dual_cndmask_b32 v7, s21, v7 :: v_dual_lshlrev_b32 v14, 16, v4
	s_waitcnt vmcnt(0)
	v_lshlrev_b32_e32 v16, 16, v5
	v_and_b32_e32 v17, 0xffff0000, v5
	v_cmp_u_f32_e64 s9, v15, v15
	v_cmp_u_f32_e64 s7, v14, v14
	v_cmp_gt_f32_e64 s8, s14, v14
	v_cmp_gt_f32_e64 s10, s14, v15
	v_lshrrev_b32_e32 v8, 16, v4
	v_cmp_u_f32_e64 s11, v16, v16
	v_cmp_gt_f32_e64 s12, s14, v16
	s_or_b32 vcc_lo, s7, s8
	v_cmp_u_f32_e64 s13, v17, v17
	v_cmp_gt_f32_e64 s14, s14, v17
	v_cndmask_b32_e32 v4, s21, v4, vcc_lo
	s_or_b32 vcc_lo, s9, s10
	v_lshrrev_b32_e32 v9, 16, v5
	v_cndmask_b32_e32 v8, s21, v8, vcc_lo
	s_or_b32 vcc_lo, s11, s12
	v_lshlrev_b32_e32 v7, 16, v7
	v_cndmask_b32_e32 v5, s21, v5, vcc_lo
	s_or_b32 vcc_lo, s13, s14
	v_dual_cndmask_b32 v9, s21, v9 :: v_dual_lshlrev_b32 v6, 16, v6
	v_and_b32_e32 v2, 0xffff, v2
	v_and_b32_e32 v3, 0xffff, v3
	v_lshlrev_b32_e32 v8, 16, v8
	v_and_b32_e32 v5, 0xffff, v5
	v_lshlrev_b32_e32 v9, 16, v9
	v_and_b32_e32 v4, 0xffff, v4
	v_or_b32_e32 v2, v6, v2
	v_or_b32_e32 v3, v7, v3
	s_add_u32 s2, s16, s24
	s_addc_u32 s3, s17, s25
	v_or_b32_e32 v4, v8, v4
	v_or_b32_e32 v5, v9, v5
	s_mov_b32 s0, 0
	s_clause 0x3
	global_store_b32 v1, v2, s[2:3]
	global_store_b32 v1, v3, s[2:3] offset:1024
	global_store_b32 v1, v4, s[2:3] offset:2048
	;; [unrolled: 1-line block ×3, first 2 shown]
.LBB485_2:
	s_and_not1_b32 vcc_lo, exec_lo, s0
	s_cbranch_vccnz .LBB485_28
; %bb.3:
	v_cmp_gt_i32_e32 vcc_lo, s15, v0
	v_mov_b32_e32 v6, 0
	v_or_b32_e32 v1, s22, v0
	v_or_b32_e32 v8, 0x100, v0
	v_mov_b32_e32 v12, 0
	v_mov_b32_e32 v2, v0
	s_and_saveexec_b32 s1, vcc_lo
	s_cbranch_execz .LBB485_5
; %bb.4:
	v_mov_b32_e32 v2, 0
	s_delay_alu instid0(VALU_DEP_1) | instskip(NEXT) | instid1(VALU_DEP_1)
	v_lshlrev_b64 v[2:3], 1, v[1:2]
	v_add_co_u32 v2, s0, s18, v2
	s_delay_alu instid0(VALU_DEP_1)
	v_add_co_ci_u32_e64 v3, s0, s19, v3, s0
	global_load_u16 v12, v[2:3], off
	v_or_b32_e32 v2, 0x100, v0
.LBB485_5:
	s_or_b32 exec_lo, exec_lo, s1
	s_delay_alu instid0(SALU_CYCLE_1) | instskip(NEXT) | instid1(VALU_DEP_1)
	s_mov_b32 s1, exec_lo
	v_cmpx_gt_i32_e64 s15, v2
	s_cbranch_execz .LBB485_7
; %bb.6:
	v_dual_mov_b32 v4, 0 :: v_dual_add_nc_u32 v3, s22, v2
	v_add_nc_u32_e32 v2, 0x100, v2
	s_delay_alu instid0(VALU_DEP_2) | instskip(NEXT) | instid1(VALU_DEP_1)
	v_lshlrev_b64 v[3:4], 1, v[3:4]
	v_add_co_u32 v3, s0, s18, v3
	s_delay_alu instid0(VALU_DEP_1)
	v_add_co_ci_u32_e64 v4, s0, s19, v4, s0
	global_load_u16 v6, v[3:4], off
.LBB485_7:
	s_or_b32 exec_lo, exec_lo, s1
	v_mov_b32_e32 v5, 0
	v_mov_b32_e32 v11, 0
	s_mov_b32 s1, exec_lo
	v_cmpx_gt_i32_e64 s15, v2
	s_cbranch_execz .LBB485_9
; %bb.8:
	v_dual_mov_b32 v4, 0 :: v_dual_add_nc_u32 v3, s22, v2
	v_add_nc_u32_e32 v2, 0x100, v2
	s_delay_alu instid0(VALU_DEP_2) | instskip(NEXT) | instid1(VALU_DEP_1)
	v_lshlrev_b64 v[3:4], 1, v[3:4]
	v_add_co_u32 v3, s0, s18, v3
	s_delay_alu instid0(VALU_DEP_1)
	v_add_co_ci_u32_e64 v4, s0, s19, v4, s0
	global_load_u16 v11, v[3:4], off
.LBB485_9:
	s_or_b32 exec_lo, exec_lo, s1
	s_delay_alu instid0(SALU_CYCLE_1)
	s_mov_b32 s1, exec_lo
	v_cmpx_gt_i32_e64 s15, v2
	s_cbranch_execz .LBB485_11
; %bb.10:
	v_dual_mov_b32 v4, 0 :: v_dual_add_nc_u32 v3, s22, v2
	v_add_nc_u32_e32 v2, 0x100, v2
	s_delay_alu instid0(VALU_DEP_2) | instskip(NEXT) | instid1(VALU_DEP_1)
	v_lshlrev_b64 v[3:4], 1, v[3:4]
	v_add_co_u32 v3, s0, s18, v3
	s_delay_alu instid0(VALU_DEP_1)
	v_add_co_ci_u32_e64 v4, s0, s19, v4, s0
	global_load_u16 v5, v[3:4], off
.LBB485_11:
	s_or_b32 exec_lo, exec_lo, s1
	v_dual_mov_b32 v4, 0 :: v_dual_mov_b32 v9, 0
	s_mov_b32 s1, exec_lo
	v_cmpx_gt_i32_e64 s15, v2
	s_cbranch_execz .LBB485_13
; %bb.12:
	v_dual_mov_b32 v10, 0 :: v_dual_add_nc_u32 v9, s22, v2
	v_add_nc_u32_e32 v2, 0x100, v2
	s_delay_alu instid0(VALU_DEP_2) | instskip(NEXT) | instid1(VALU_DEP_1)
	v_lshlrev_b64 v[9:10], 1, v[9:10]
	v_add_co_u32 v9, s0, s18, v9
	s_delay_alu instid0(VALU_DEP_1)
	v_add_co_ci_u32_e64 v10, s0, s19, v10, s0
	global_load_u16 v9, v[9:10], off
.LBB485_13:
	s_or_b32 exec_lo, exec_lo, s1
	s_delay_alu instid0(SALU_CYCLE_1)
	s_mov_b32 s1, exec_lo
	v_cmpx_gt_i32_e64 s15, v2
	s_cbranch_execz .LBB485_15
; %bb.14:
	v_dual_mov_b32 v4, 0 :: v_dual_add_nc_u32 v3, s22, v2
	v_add_nc_u32_e32 v2, 0x100, v2
	s_delay_alu instid0(VALU_DEP_2) | instskip(NEXT) | instid1(VALU_DEP_1)
	v_lshlrev_b64 v[3:4], 1, v[3:4]
	v_add_co_u32 v3, s0, s18, v3
	s_delay_alu instid0(VALU_DEP_1)
	v_add_co_ci_u32_e64 v4, s0, s19, v4, s0
	global_load_u16 v4, v[3:4], off
.LBB485_15:
	s_or_b32 exec_lo, exec_lo, s1
	v_mov_b32_e32 v3, 0
	v_mov_b32_e32 v7, 0
	s_mov_b32 s1, exec_lo
	v_cmpx_gt_i32_e64 s15, v2
	s_cbranch_execz .LBB485_17
; %bb.16:
	v_dual_mov_b32 v14, 0 :: v_dual_add_nc_u32 v13, s22, v2
	v_add_nc_u32_e32 v2, 0x100, v2
	s_delay_alu instid0(VALU_DEP_2) | instskip(NEXT) | instid1(VALU_DEP_1)
	v_lshlrev_b64 v[13:14], 1, v[13:14]
	v_add_co_u32 v13, s0, s18, v13
	s_delay_alu instid0(VALU_DEP_1)
	v_add_co_ci_u32_e64 v14, s0, s19, v14, s0
	global_load_u16 v7, v[13:14], off
.LBB485_17:
	s_or_b32 exec_lo, exec_lo, s1
	s_delay_alu instid0(SALU_CYCLE_1)
	s_mov_b32 s1, exec_lo
	v_cmpx_gt_i32_e64 s15, v2
	s_cbranch_execz .LBB485_19
; %bb.18:
	v_dual_mov_b32 v3, 0 :: v_dual_add_nc_u32 v2, s22, v2
	s_delay_alu instid0(VALU_DEP_1) | instskip(NEXT) | instid1(VALU_DEP_1)
	v_lshlrev_b64 v[2:3], 1, v[2:3]
	v_add_co_u32 v2, s0, s18, v2
	s_delay_alu instid0(VALU_DEP_1)
	v_add_co_ci_u32_e64 v3, s0, s19, v3, s0
	global_load_u16 v3, v[2:3], off
.LBB485_19:
	s_or_b32 exec_lo, exec_lo, s1
	s_lshl_b32 s0, s21, 16
	s_delay_alu instid0(SALU_CYCLE_1)
	v_mov_b32_e32 v10, s0
	s_and_saveexec_b32 s2, vcc_lo
	s_cbranch_execnz .LBB485_29
; %bb.20:
	s_or_b32 exec_lo, exec_lo, s2
	s_delay_alu instid0(SALU_CYCLE_1)
	s_mov_b32 s1, exec_lo
	v_cmpx_gt_i32_e64 s15, v0
	s_cbranch_execnz .LBB485_30
.LBB485_21:
	s_or_b32 exec_lo, exec_lo, s1
	s_delay_alu instid0(SALU_CYCLE_1)
	s_mov_b32 s1, exec_lo
	v_cmpx_gt_i32_e64 s15, v0
	s_cbranch_execnz .LBB485_31
.LBB485_22:
	s_or_b32 exec_lo, exec_lo, s1
	s_delay_alu instid0(SALU_CYCLE_1)
	s_mov_b32 s1, exec_lo
	v_cmpx_gt_i32_e64 s15, v0
	s_cbranch_execnz .LBB485_32
.LBB485_23:
	s_or_b32 exec_lo, exec_lo, s1
	s_delay_alu instid0(SALU_CYCLE_1)
	s_mov_b32 s1, exec_lo
	v_cmpx_gt_i32_e64 s15, v0
	s_cbranch_execnz .LBB485_33
.LBB485_24:
	s_or_b32 exec_lo, exec_lo, s1
	s_delay_alu instid0(SALU_CYCLE_1)
	s_mov_b32 s1, exec_lo
	v_cmpx_gt_i32_e64 s15, v0
	s_cbranch_execnz .LBB485_34
.LBB485_25:
	s_or_b32 exec_lo, exec_lo, s1
	s_delay_alu instid0(SALU_CYCLE_1)
	s_mov_b32 s1, exec_lo
	v_cmpx_gt_i32_e64 s15, v0
	s_cbranch_execnz .LBB485_35
.LBB485_26:
	s_or_b32 exec_lo, exec_lo, s1
	s_delay_alu instid0(SALU_CYCLE_1)
	s_mov_b32 s0, exec_lo
	v_cmpx_gt_i32_e64 s15, v0
	s_cbranch_execz .LBB485_28
.LBB485_27:
	s_waitcnt vmcnt(0)
	v_dual_mov_b32 v1, 0 :: v_dual_lshlrev_b32 v2, 16, v3
	v_add_nc_u32_e32 v0, s22, v0
	s_delay_alu instid0(VALU_DEP_2) | instskip(SKIP_1) | instid1(VALU_DEP_3)
	v_cmp_u_f32_e32 vcc_lo, v2, v2
	v_cmp_lt_f32_e64 s0, v2, v10
	v_lshlrev_b64 v[0:1], 1, v[0:1]
	s_delay_alu instid0(VALU_DEP_2) | instskip(SKIP_1) | instid1(VALU_DEP_2)
	s_or_b32 vcc_lo, vcc_lo, s0
	v_cndmask_b32_e32 v2, s21, v3, vcc_lo
	v_add_co_u32 v0, vcc_lo, s16, v0
	s_delay_alu instid0(VALU_DEP_3)
	v_add_co_ci_u32_e32 v1, vcc_lo, s17, v1, vcc_lo
	global_store_b16 v[0:1], v2, off
.LBB485_28:
	s_nop 0
	s_sendmsg sendmsg(MSG_DEALLOC_VGPRS)
	s_endpgm
.LBB485_29:
	s_waitcnt vmcnt(0)
	v_dual_mov_b32 v2, 0 :: v_dual_lshlrev_b32 v13, 16, v12
	s_delay_alu instid0(VALU_DEP_1) | instskip(NEXT) | instid1(VALU_DEP_2)
	v_lshlrev_b64 v[0:1], 1, v[1:2]
	v_cmp_u_f32_e32 vcc_lo, v13, v13
	v_cmp_gt_f32_e64 s0, v10, v13
	s_delay_alu instid0(VALU_DEP_3) | instskip(NEXT) | instid1(VALU_DEP_2)
	v_add_co_u32 v13, s1, s16, v0
	s_or_b32 vcc_lo, vcc_lo, s0
	s_delay_alu instid0(VALU_DEP_4) | instskip(SKIP_3) | instid1(SALU_CYCLE_1)
	v_add_co_ci_u32_e64 v14, s1, s17, v1, s1
	v_dual_cndmask_b32 v1, s21, v12 :: v_dual_mov_b32 v0, v8
	global_store_b16 v[13:14], v1, off
	s_or_b32 exec_lo, exec_lo, s2
	s_mov_b32 s1, exec_lo
	v_cmpx_gt_i32_e64 s15, v0
	s_cbranch_execz .LBB485_21
.LBB485_30:
	s_waitcnt vmcnt(0)
	v_lshlrev_b32_e32 v8, 16, v6
	v_dual_mov_b32 v2, 0 :: v_dual_add_nc_u32 v1, s22, v0
	v_add_nc_u32_e32 v0, 0x100, v0
	s_delay_alu instid0(VALU_DEP_3) | instskip(SKIP_1) | instid1(VALU_DEP_4)
	v_cmp_u_f32_e32 vcc_lo, v8, v8
	v_cmp_gt_f32_e64 s0, v10, v8
	v_lshlrev_b64 v[1:2], 1, v[1:2]
	s_delay_alu instid0(VALU_DEP_2) | instskip(SKIP_1) | instid1(VALU_DEP_2)
	s_or_b32 vcc_lo, vcc_lo, s0
	v_cndmask_b32_e32 v6, s21, v6, vcc_lo
	v_add_co_u32 v1, vcc_lo, s16, v1
	s_delay_alu instid0(VALU_DEP_3) | instskip(SKIP_2) | instid1(SALU_CYCLE_1)
	v_add_co_ci_u32_e32 v2, vcc_lo, s17, v2, vcc_lo
	global_store_b16 v[1:2], v6, off
	s_or_b32 exec_lo, exec_lo, s1
	s_mov_b32 s1, exec_lo
	v_cmpx_gt_i32_e64 s15, v0
	s_cbranch_execz .LBB485_22
.LBB485_31:
	s_waitcnt vmcnt(0)
	v_lshlrev_b32_e32 v6, 16, v11
	v_dual_mov_b32 v2, 0 :: v_dual_add_nc_u32 v1, s22, v0
	v_add_nc_u32_e32 v0, 0x100, v0
	s_delay_alu instid0(VALU_DEP_3) | instskip(SKIP_1) | instid1(VALU_DEP_4)
	v_cmp_u_f32_e32 vcc_lo, v6, v6
	v_cmp_gt_f32_e64 s0, v10, v6
	v_lshlrev_b64 v[1:2], 1, v[1:2]
	s_delay_alu instid0(VALU_DEP_2) | instskip(SKIP_1) | instid1(VALU_DEP_2)
	s_or_b32 vcc_lo, vcc_lo, s0
	v_cndmask_b32_e32 v6, s21, v11, vcc_lo
	v_add_co_u32 v1, vcc_lo, s16, v1
	s_delay_alu instid0(VALU_DEP_3) | instskip(SKIP_2) | instid1(SALU_CYCLE_1)
	v_add_co_ci_u32_e32 v2, vcc_lo, s17, v2, vcc_lo
	global_store_b16 v[1:2], v6, off
	s_or_b32 exec_lo, exec_lo, s1
	s_mov_b32 s1, exec_lo
	v_cmpx_gt_i32_e64 s15, v0
	s_cbranch_execz .LBB485_23
.LBB485_32:
	s_waitcnt vmcnt(0)
	v_lshlrev_b32_e32 v6, 16, v5
	v_dual_mov_b32 v2, 0 :: v_dual_add_nc_u32 v1, s22, v0
	v_add_nc_u32_e32 v0, 0x100, v0
	s_delay_alu instid0(VALU_DEP_3) | instskip(SKIP_1) | instid1(VALU_DEP_4)
	v_cmp_u_f32_e32 vcc_lo, v6, v6
	v_cmp_gt_f32_e64 s0, v10, v6
	v_lshlrev_b64 v[1:2], 1, v[1:2]
	s_delay_alu instid0(VALU_DEP_2) | instskip(SKIP_1) | instid1(VALU_DEP_2)
	s_or_b32 vcc_lo, vcc_lo, s0
	v_cndmask_b32_e32 v5, s21, v5, vcc_lo
	v_add_co_u32 v1, vcc_lo, s16, v1
	s_delay_alu instid0(VALU_DEP_3) | instskip(SKIP_2) | instid1(SALU_CYCLE_1)
	v_add_co_ci_u32_e32 v2, vcc_lo, s17, v2, vcc_lo
	global_store_b16 v[1:2], v5, off
	s_or_b32 exec_lo, exec_lo, s1
	s_mov_b32 s1, exec_lo
	v_cmpx_gt_i32_e64 s15, v0
	s_cbranch_execz .LBB485_24
.LBB485_33:
	s_waitcnt vmcnt(0)
	v_dual_mov_b32 v2, 0 :: v_dual_lshlrev_b32 v5, 16, v9
	v_add_nc_u32_e32 v1, s22, v0
	v_add_nc_u32_e32 v0, 0x100, v0
	s_delay_alu instid0(VALU_DEP_3) | instskip(SKIP_1) | instid1(VALU_DEP_4)
	v_cmp_u_f32_e32 vcc_lo, v5, v5
	v_cmp_gt_f32_e64 s0, v10, v5
	v_lshlrev_b64 v[1:2], 1, v[1:2]
	s_delay_alu instid0(VALU_DEP_2) | instskip(SKIP_1) | instid1(VALU_DEP_2)
	s_or_b32 vcc_lo, vcc_lo, s0
	v_cndmask_b32_e32 v5, s21, v9, vcc_lo
	v_add_co_u32 v1, vcc_lo, s16, v1
	s_delay_alu instid0(VALU_DEP_3) | instskip(SKIP_2) | instid1(SALU_CYCLE_1)
	v_add_co_ci_u32_e32 v2, vcc_lo, s17, v2, vcc_lo
	global_store_b16 v[1:2], v5, off
	s_or_b32 exec_lo, exec_lo, s1
	s_mov_b32 s1, exec_lo
	v_cmpx_gt_i32_e64 s15, v0
	s_cbranch_execz .LBB485_25
.LBB485_34:
	s_waitcnt vmcnt(0)
	v_dual_mov_b32 v2, 0 :: v_dual_lshlrev_b32 v5, 16, v4
	v_add_nc_u32_e32 v1, s22, v0
	v_add_nc_u32_e32 v0, 0x100, v0
	s_delay_alu instid0(VALU_DEP_3) | instskip(SKIP_1) | instid1(VALU_DEP_4)
	v_cmp_u_f32_e32 vcc_lo, v5, v5
	v_cmp_gt_f32_e64 s0, v10, v5
	v_lshlrev_b64 v[1:2], 1, v[1:2]
	s_delay_alu instid0(VALU_DEP_2) | instskip(SKIP_1) | instid1(VALU_DEP_2)
	s_or_b32 vcc_lo, vcc_lo, s0
	v_cndmask_b32_e32 v4, s21, v4, vcc_lo
	v_add_co_u32 v1, vcc_lo, s16, v1
	s_delay_alu instid0(VALU_DEP_3) | instskip(SKIP_2) | instid1(SALU_CYCLE_1)
	v_add_co_ci_u32_e32 v2, vcc_lo, s17, v2, vcc_lo
	global_store_b16 v[1:2], v4, off
	s_or_b32 exec_lo, exec_lo, s1
	s_mov_b32 s1, exec_lo
	v_cmpx_gt_i32_e64 s15, v0
	s_cbranch_execz .LBB485_26
.LBB485_35:
	s_waitcnt vmcnt(0)
	v_lshlrev_b32_e32 v4, 16, v7
	v_dual_mov_b32 v2, 0 :: v_dual_add_nc_u32 v1, s22, v0
	v_add_nc_u32_e32 v0, 0x100, v0
	s_delay_alu instid0(VALU_DEP_3) | instskip(SKIP_1) | instid1(VALU_DEP_4)
	v_cmp_u_f32_e32 vcc_lo, v4, v4
	v_cmp_gt_f32_e64 s0, v10, v4
	v_lshlrev_b64 v[1:2], 1, v[1:2]
	s_delay_alu instid0(VALU_DEP_2) | instskip(SKIP_1) | instid1(VALU_DEP_2)
	s_or_b32 vcc_lo, vcc_lo, s0
	v_cndmask_b32_e32 v4, s21, v7, vcc_lo
	v_add_co_u32 v1, vcc_lo, s16, v1
	s_delay_alu instid0(VALU_DEP_3) | instskip(SKIP_2) | instid1(SALU_CYCLE_1)
	v_add_co_ci_u32_e32 v2, vcc_lo, s17, v2, vcc_lo
	global_store_b16 v[1:2], v4, off
	s_or_b32 exec_lo, exec_lo, s1
	s_mov_b32 s0, exec_lo
	v_cmpx_gt_i32_e64 s15, v0
	s_cbranch_execnz .LBB485_27
	s_branch .LBB485_28
	.section	.rodata,"a",@progbits
	.p2align	6, 0x0
	.amdhsa_kernel _ZN2at6native29vectorized_elementwise_kernelILi2EZZZNS0_21clamp_max_kernel_cudaERNS_18TensorIteratorBaseERKN3c106ScalarEENKUlvE_clEvENKUlvE7_clEvEUlNS4_8BFloat16EE_St5arrayIPcLm2EEEEviT0_T1_
		.amdhsa_group_segment_fixed_size 0
		.amdhsa_private_segment_fixed_size 0
		.amdhsa_kernarg_size 24
		.amdhsa_user_sgpr_count 15
		.amdhsa_user_sgpr_dispatch_ptr 0
		.amdhsa_user_sgpr_queue_ptr 0
		.amdhsa_user_sgpr_kernarg_segment_ptr 1
		.amdhsa_user_sgpr_dispatch_id 0
		.amdhsa_user_sgpr_private_segment_size 0
		.amdhsa_wavefront_size32 1
		.amdhsa_uses_dynamic_stack 0
		.amdhsa_enable_private_segment 0
		.amdhsa_system_sgpr_workgroup_id_x 1
		.amdhsa_system_sgpr_workgroup_id_y 0
		.amdhsa_system_sgpr_workgroup_id_z 0
		.amdhsa_system_sgpr_workgroup_info 0
		.amdhsa_system_vgpr_workitem_id 0
		.amdhsa_next_free_vgpr 18
		.amdhsa_next_free_sgpr 26
		.amdhsa_reserve_vcc 1
		.amdhsa_float_round_mode_32 0
		.amdhsa_float_round_mode_16_64 0
		.amdhsa_float_denorm_mode_32 3
		.amdhsa_float_denorm_mode_16_64 3
		.amdhsa_dx10_clamp 1
		.amdhsa_ieee_mode 1
		.amdhsa_fp16_overflow 0
		.amdhsa_workgroup_processor_mode 1
		.amdhsa_memory_ordered 1
		.amdhsa_forward_progress 0
		.amdhsa_shared_vgpr_count 0
		.amdhsa_exception_fp_ieee_invalid_op 0
		.amdhsa_exception_fp_denorm_src 0
		.amdhsa_exception_fp_ieee_div_zero 0
		.amdhsa_exception_fp_ieee_overflow 0
		.amdhsa_exception_fp_ieee_underflow 0
		.amdhsa_exception_fp_ieee_inexact 0
		.amdhsa_exception_int_div_zero 0
	.end_amdhsa_kernel
	.section	.text._ZN2at6native29vectorized_elementwise_kernelILi2EZZZNS0_21clamp_max_kernel_cudaERNS_18TensorIteratorBaseERKN3c106ScalarEENKUlvE_clEvENKUlvE7_clEvEUlNS4_8BFloat16EE_St5arrayIPcLm2EEEEviT0_T1_,"axG",@progbits,_ZN2at6native29vectorized_elementwise_kernelILi2EZZZNS0_21clamp_max_kernel_cudaERNS_18TensorIteratorBaseERKN3c106ScalarEENKUlvE_clEvENKUlvE7_clEvEUlNS4_8BFloat16EE_St5arrayIPcLm2EEEEviT0_T1_,comdat
.Lfunc_end485:
	.size	_ZN2at6native29vectorized_elementwise_kernelILi2EZZZNS0_21clamp_max_kernel_cudaERNS_18TensorIteratorBaseERKN3c106ScalarEENKUlvE_clEvENKUlvE7_clEvEUlNS4_8BFloat16EE_St5arrayIPcLm2EEEEviT0_T1_, .Lfunc_end485-_ZN2at6native29vectorized_elementwise_kernelILi2EZZZNS0_21clamp_max_kernel_cudaERNS_18TensorIteratorBaseERKN3c106ScalarEENKUlvE_clEvENKUlvE7_clEvEUlNS4_8BFloat16EE_St5arrayIPcLm2EEEEviT0_T1_
                                        ; -- End function
	.section	.AMDGPU.csdata,"",@progbits
; Kernel info:
; codeLenInByte = 2160
; NumSgprs: 28
; NumVgprs: 18
; ScratchSize: 0
; MemoryBound: 0
; FloatMode: 240
; IeeeMode: 1
; LDSByteSize: 0 bytes/workgroup (compile time only)
; SGPRBlocks: 3
; VGPRBlocks: 2
; NumSGPRsForWavesPerEU: 28
; NumVGPRsForWavesPerEU: 18
; Occupancy: 16
; WaveLimiterHint : 1
; COMPUTE_PGM_RSRC2:SCRATCH_EN: 0
; COMPUTE_PGM_RSRC2:USER_SGPR: 15
; COMPUTE_PGM_RSRC2:TRAP_HANDLER: 0
; COMPUTE_PGM_RSRC2:TGID_X_EN: 1
; COMPUTE_PGM_RSRC2:TGID_Y_EN: 0
; COMPUTE_PGM_RSRC2:TGID_Z_EN: 0
; COMPUTE_PGM_RSRC2:TIDIG_COMP_CNT: 0
	.section	.text._ZN2at6native27unrolled_elementwise_kernelIZZZNS0_21clamp_max_kernel_cudaERNS_18TensorIteratorBaseERKN3c106ScalarEENKUlvE_clEvENKUlvE7_clEvEUlNS4_8BFloat16EE_St5arrayIPcLm2EELi4E23TrivialOffsetCalculatorILi1EjESG_NS0_6memory15LoadWithoutCastENSH_16StoreWithoutCastEEEviT_T0_T2_T3_T4_T5_,"axG",@progbits,_ZN2at6native27unrolled_elementwise_kernelIZZZNS0_21clamp_max_kernel_cudaERNS_18TensorIteratorBaseERKN3c106ScalarEENKUlvE_clEvENKUlvE7_clEvEUlNS4_8BFloat16EE_St5arrayIPcLm2EELi4E23TrivialOffsetCalculatorILi1EjESG_NS0_6memory15LoadWithoutCastENSH_16StoreWithoutCastEEEviT_T0_T2_T3_T4_T5_,comdat
	.globl	_ZN2at6native27unrolled_elementwise_kernelIZZZNS0_21clamp_max_kernel_cudaERNS_18TensorIteratorBaseERKN3c106ScalarEENKUlvE_clEvENKUlvE7_clEvEUlNS4_8BFloat16EE_St5arrayIPcLm2EELi4E23TrivialOffsetCalculatorILi1EjESG_NS0_6memory15LoadWithoutCastENSH_16StoreWithoutCastEEEviT_T0_T2_T3_T4_T5_ ; -- Begin function _ZN2at6native27unrolled_elementwise_kernelIZZZNS0_21clamp_max_kernel_cudaERNS_18TensorIteratorBaseERKN3c106ScalarEENKUlvE_clEvENKUlvE7_clEvEUlNS4_8BFloat16EE_St5arrayIPcLm2EELi4E23TrivialOffsetCalculatorILi1EjESG_NS0_6memory15LoadWithoutCastENSH_16StoreWithoutCastEEEviT_T0_T2_T3_T4_T5_
	.p2align	8
	.type	_ZN2at6native27unrolled_elementwise_kernelIZZZNS0_21clamp_max_kernel_cudaERNS_18TensorIteratorBaseERKN3c106ScalarEENKUlvE_clEvENKUlvE7_clEvEUlNS4_8BFloat16EE_St5arrayIPcLm2EELi4E23TrivialOffsetCalculatorILi1EjESG_NS0_6memory15LoadWithoutCastENSH_16StoreWithoutCastEEEviT_T0_T2_T3_T4_T5_,@function
_ZN2at6native27unrolled_elementwise_kernelIZZZNS0_21clamp_max_kernel_cudaERNS_18TensorIteratorBaseERKN3c106ScalarEENKUlvE_clEvENKUlvE7_clEvEUlNS4_8BFloat16EE_St5arrayIPcLm2EELi4E23TrivialOffsetCalculatorILi1EjESG_NS0_6memory15LoadWithoutCastENSH_16StoreWithoutCastEEEviT_T0_T2_T3_T4_T5_: ; @_ZN2at6native27unrolled_elementwise_kernelIZZZNS0_21clamp_max_kernel_cudaERNS_18TensorIteratorBaseERKN3c106ScalarEENKUlvE_clEvENKUlvE7_clEvEUlNS4_8BFloat16EE_St5arrayIPcLm2EELi4E23TrivialOffsetCalculatorILi1EjESG_NS0_6memory15LoadWithoutCastENSH_16StoreWithoutCastEEEviT_T0_T2_T3_T4_T5_
; %bb.0:
	s_clause 0x1
	s_load_b64 s[2:3], s[0:1], 0x0
	s_load_b128 s[4:7], s[0:1], 0x8
	s_lshl_b32 s8, s15, 10
	v_dual_mov_b32 v4, 0 :: v_dual_mov_b32 v7, 0
	v_or_b32_e32 v1, s8, v0
	v_or_b32_e32 v5, 0x100, v0
	v_mov_b32_e32 v2, v0
	s_waitcnt lgkmcnt(0)
	s_sub_i32 s2, s2, s8
	s_delay_alu instid0(SALU_CYCLE_1)
	v_cmp_gt_i32_e32 vcc_lo, s2, v0
	s_and_saveexec_b32 s1, vcc_lo
	s_cbranch_execz .LBB486_2
; %bb.1:
	v_mov_b32_e32 v2, 0
	s_delay_alu instid0(VALU_DEP_1) | instskip(NEXT) | instid1(VALU_DEP_1)
	v_lshlrev_b64 v[2:3], 1, v[1:2]
	v_add_co_u32 v2, s0, s6, v2
	s_delay_alu instid0(VALU_DEP_1)
	v_add_co_ci_u32_e64 v3, s0, s7, v3, s0
	global_load_u16 v7, v[2:3], off
	v_or_b32_e32 v2, 0x100, v0
.LBB486_2:
	s_or_b32 exec_lo, exec_lo, s1
	s_delay_alu instid0(SALU_CYCLE_1) | instskip(NEXT) | instid1(VALU_DEP_1)
	s_mov_b32 s1, exec_lo
	v_cmpx_gt_i32_e64 s2, v2
	s_cbranch_execz .LBB486_4
; %bb.3:
	v_dual_mov_b32 v4, 0 :: v_dual_add_nc_u32 v3, s8, v2
	v_add_nc_u32_e32 v2, 0x100, v2
	s_delay_alu instid0(VALU_DEP_2) | instskip(NEXT) | instid1(VALU_DEP_1)
	v_lshlrev_b64 v[3:4], 1, v[3:4]
	v_add_co_u32 v3, s0, s6, v3
	s_delay_alu instid0(VALU_DEP_1)
	v_add_co_ci_u32_e64 v4, s0, s7, v4, s0
	global_load_u16 v4, v[3:4], off
.LBB486_4:
	s_or_b32 exec_lo, exec_lo, s1
	v_dual_mov_b32 v3, 0 :: v_dual_mov_b32 v6, 0
	s_mov_b32 s1, exec_lo
	v_cmpx_gt_i32_e64 s2, v2
	s_cbranch_execz .LBB486_6
; %bb.5:
	v_dual_mov_b32 v9, 0 :: v_dual_add_nc_u32 v8, s8, v2
	v_add_nc_u32_e32 v2, 0x100, v2
	s_delay_alu instid0(VALU_DEP_2) | instskip(NEXT) | instid1(VALU_DEP_1)
	v_lshlrev_b64 v[8:9], 1, v[8:9]
	v_add_co_u32 v8, s0, s6, v8
	s_delay_alu instid0(VALU_DEP_1)
	v_add_co_ci_u32_e64 v9, s0, s7, v9, s0
	global_load_u16 v6, v[8:9], off
.LBB486_6:
	s_or_b32 exec_lo, exec_lo, s1
	s_delay_alu instid0(SALU_CYCLE_1)
	s_mov_b32 s1, exec_lo
	v_cmpx_gt_i32_e64 s2, v2
	s_cbranch_execz .LBB486_8
; %bb.7:
	v_dual_mov_b32 v3, 0 :: v_dual_add_nc_u32 v2, s8, v2
	s_delay_alu instid0(VALU_DEP_1) | instskip(NEXT) | instid1(VALU_DEP_1)
	v_lshlrev_b64 v[2:3], 1, v[2:3]
	v_add_co_u32 v2, s0, s6, v2
	s_delay_alu instid0(VALU_DEP_1)
	v_add_co_ci_u32_e64 v3, s0, s7, v3, s0
	global_load_u16 v3, v[2:3], off
.LBB486_8:
	s_or_b32 exec_lo, exec_lo, s1
	s_lshl_b32 s0, s3, 16
	s_delay_alu instid0(SALU_CYCLE_1)
	v_mov_b32_e32 v8, s0
	s_and_saveexec_b32 s6, vcc_lo
	s_cbranch_execnz .LBB486_13
; %bb.9:
	s_or_b32 exec_lo, exec_lo, s6
	s_delay_alu instid0(SALU_CYCLE_1)
	s_mov_b32 s1, exec_lo
	v_cmpx_gt_i32_e64 s2, v0
	s_cbranch_execnz .LBB486_14
.LBB486_10:
	s_or_b32 exec_lo, exec_lo, s1
	s_delay_alu instid0(SALU_CYCLE_1)
	s_mov_b32 s1, exec_lo
	v_cmpx_gt_i32_e64 s2, v0
	s_cbranch_execnz .LBB486_15
.LBB486_11:
	s_or_b32 exec_lo, exec_lo, s1
	s_delay_alu instid0(SALU_CYCLE_1)
	s_mov_b32 s0, exec_lo
	v_cmpx_gt_i32_e64 s2, v0
	s_cbranch_execnz .LBB486_16
.LBB486_12:
	s_nop 0
	s_sendmsg sendmsg(MSG_DEALLOC_VGPRS)
	s_endpgm
.LBB486_13:
	s_waitcnt vmcnt(0)
	v_dual_mov_b32 v2, 0 :: v_dual_lshlrev_b32 v9, 16, v7
	s_delay_alu instid0(VALU_DEP_1) | instskip(NEXT) | instid1(VALU_DEP_2)
	v_lshlrev_b64 v[0:1], 1, v[1:2]
	v_cmp_u_f32_e32 vcc_lo, v9, v9
	v_cmp_gt_f32_e64 s0, v8, v9
	s_delay_alu instid0(VALU_DEP_3) | instskip(NEXT) | instid1(VALU_DEP_2)
	v_add_co_u32 v9, s1, s4, v0
	s_or_b32 vcc_lo, vcc_lo, s0
	s_delay_alu instid0(VALU_DEP_4) | instskip(SKIP_3) | instid1(SALU_CYCLE_1)
	v_add_co_ci_u32_e64 v10, s1, s5, v1, s1
	v_dual_cndmask_b32 v1, s3, v7 :: v_dual_mov_b32 v0, v5
	global_store_b16 v[9:10], v1, off
	s_or_b32 exec_lo, exec_lo, s6
	s_mov_b32 s1, exec_lo
	v_cmpx_gt_i32_e64 s2, v0
	s_cbranch_execz .LBB486_10
.LBB486_14:
	s_waitcnt vmcnt(0)
	v_dual_mov_b32 v2, 0 :: v_dual_lshlrev_b32 v5, 16, v4
	v_add_nc_u32_e32 v1, s8, v0
	v_add_nc_u32_e32 v0, 0x100, v0
	s_delay_alu instid0(VALU_DEP_3) | instskip(SKIP_1) | instid1(VALU_DEP_4)
	v_cmp_u_f32_e32 vcc_lo, v5, v5
	v_cmp_gt_f32_e64 s0, v8, v5
	v_lshlrev_b64 v[1:2], 1, v[1:2]
	s_delay_alu instid0(VALU_DEP_2) | instskip(SKIP_1) | instid1(VALU_DEP_2)
	s_or_b32 vcc_lo, vcc_lo, s0
	v_cndmask_b32_e32 v4, s3, v4, vcc_lo
	v_add_co_u32 v1, vcc_lo, s4, v1
	s_delay_alu instid0(VALU_DEP_3) | instskip(SKIP_2) | instid1(SALU_CYCLE_1)
	v_add_co_ci_u32_e32 v2, vcc_lo, s5, v2, vcc_lo
	global_store_b16 v[1:2], v4, off
	s_or_b32 exec_lo, exec_lo, s1
	s_mov_b32 s1, exec_lo
	v_cmpx_gt_i32_e64 s2, v0
	s_cbranch_execz .LBB486_11
.LBB486_15:
	s_waitcnt vmcnt(0)
	v_lshlrev_b32_e32 v4, 16, v6
	v_dual_mov_b32 v2, 0 :: v_dual_add_nc_u32 v1, s8, v0
	v_add_nc_u32_e32 v0, 0x100, v0
	s_delay_alu instid0(VALU_DEP_3) | instskip(SKIP_1) | instid1(VALU_DEP_4)
	v_cmp_u_f32_e32 vcc_lo, v4, v4
	v_cmp_gt_f32_e64 s0, v8, v4
	v_lshlrev_b64 v[1:2], 1, v[1:2]
	s_delay_alu instid0(VALU_DEP_2) | instskip(SKIP_1) | instid1(VALU_DEP_2)
	s_or_b32 vcc_lo, vcc_lo, s0
	v_cndmask_b32_e32 v4, s3, v6, vcc_lo
	v_add_co_u32 v1, vcc_lo, s4, v1
	s_delay_alu instid0(VALU_DEP_3) | instskip(SKIP_2) | instid1(SALU_CYCLE_1)
	v_add_co_ci_u32_e32 v2, vcc_lo, s5, v2, vcc_lo
	global_store_b16 v[1:2], v4, off
	s_or_b32 exec_lo, exec_lo, s1
	s_mov_b32 s0, exec_lo
	v_cmpx_gt_i32_e64 s2, v0
	s_cbranch_execz .LBB486_12
.LBB486_16:
	s_waitcnt vmcnt(0)
	v_dual_mov_b32 v1, 0 :: v_dual_lshlrev_b32 v2, 16, v3
	v_add_nc_u32_e32 v0, s8, v0
	s_delay_alu instid0(VALU_DEP_2) | instskip(SKIP_1) | instid1(VALU_DEP_3)
	v_cmp_u_f32_e32 vcc_lo, v2, v2
	v_cmp_lt_f32_e64 s0, v2, v8
	v_lshlrev_b64 v[0:1], 1, v[0:1]
	s_delay_alu instid0(VALU_DEP_2) | instskip(SKIP_1) | instid1(VALU_DEP_2)
	s_or_b32 vcc_lo, vcc_lo, s0
	v_cndmask_b32_e32 v2, s3, v3, vcc_lo
	v_add_co_u32 v0, vcc_lo, s4, v0
	s_delay_alu instid0(VALU_DEP_3)
	v_add_co_ci_u32_e32 v1, vcc_lo, s5, v1, vcc_lo
	global_store_b16 v[0:1], v2, off
	s_nop 0
	s_sendmsg sendmsg(MSG_DEALLOC_VGPRS)
	s_endpgm
	.section	.rodata,"a",@progbits
	.p2align	6, 0x0
	.amdhsa_kernel _ZN2at6native27unrolled_elementwise_kernelIZZZNS0_21clamp_max_kernel_cudaERNS_18TensorIteratorBaseERKN3c106ScalarEENKUlvE_clEvENKUlvE7_clEvEUlNS4_8BFloat16EE_St5arrayIPcLm2EELi4E23TrivialOffsetCalculatorILi1EjESG_NS0_6memory15LoadWithoutCastENSH_16StoreWithoutCastEEEviT_T0_T2_T3_T4_T5_
		.amdhsa_group_segment_fixed_size 0
		.amdhsa_private_segment_fixed_size 0
		.amdhsa_kernarg_size 28
		.amdhsa_user_sgpr_count 15
		.amdhsa_user_sgpr_dispatch_ptr 0
		.amdhsa_user_sgpr_queue_ptr 0
		.amdhsa_user_sgpr_kernarg_segment_ptr 1
		.amdhsa_user_sgpr_dispatch_id 0
		.amdhsa_user_sgpr_private_segment_size 0
		.amdhsa_wavefront_size32 1
		.amdhsa_uses_dynamic_stack 0
		.amdhsa_enable_private_segment 0
		.amdhsa_system_sgpr_workgroup_id_x 1
		.amdhsa_system_sgpr_workgroup_id_y 0
		.amdhsa_system_sgpr_workgroup_id_z 0
		.amdhsa_system_sgpr_workgroup_info 0
		.amdhsa_system_vgpr_workitem_id 0
		.amdhsa_next_free_vgpr 11
		.amdhsa_next_free_sgpr 16
		.amdhsa_reserve_vcc 1
		.amdhsa_float_round_mode_32 0
		.amdhsa_float_round_mode_16_64 0
		.amdhsa_float_denorm_mode_32 3
		.amdhsa_float_denorm_mode_16_64 3
		.amdhsa_dx10_clamp 1
		.amdhsa_ieee_mode 1
		.amdhsa_fp16_overflow 0
		.amdhsa_workgroup_processor_mode 1
		.amdhsa_memory_ordered 1
		.amdhsa_forward_progress 0
		.amdhsa_shared_vgpr_count 0
		.amdhsa_exception_fp_ieee_invalid_op 0
		.amdhsa_exception_fp_denorm_src 0
		.amdhsa_exception_fp_ieee_div_zero 0
		.amdhsa_exception_fp_ieee_overflow 0
		.amdhsa_exception_fp_ieee_underflow 0
		.amdhsa_exception_fp_ieee_inexact 0
		.amdhsa_exception_int_div_zero 0
	.end_amdhsa_kernel
	.section	.text._ZN2at6native27unrolled_elementwise_kernelIZZZNS0_21clamp_max_kernel_cudaERNS_18TensorIteratorBaseERKN3c106ScalarEENKUlvE_clEvENKUlvE7_clEvEUlNS4_8BFloat16EE_St5arrayIPcLm2EELi4E23TrivialOffsetCalculatorILi1EjESG_NS0_6memory15LoadWithoutCastENSH_16StoreWithoutCastEEEviT_T0_T2_T3_T4_T5_,"axG",@progbits,_ZN2at6native27unrolled_elementwise_kernelIZZZNS0_21clamp_max_kernel_cudaERNS_18TensorIteratorBaseERKN3c106ScalarEENKUlvE_clEvENKUlvE7_clEvEUlNS4_8BFloat16EE_St5arrayIPcLm2EELi4E23TrivialOffsetCalculatorILi1EjESG_NS0_6memory15LoadWithoutCastENSH_16StoreWithoutCastEEEviT_T0_T2_T3_T4_T5_,comdat
.Lfunc_end486:
	.size	_ZN2at6native27unrolled_elementwise_kernelIZZZNS0_21clamp_max_kernel_cudaERNS_18TensorIteratorBaseERKN3c106ScalarEENKUlvE_clEvENKUlvE7_clEvEUlNS4_8BFloat16EE_St5arrayIPcLm2EELi4E23TrivialOffsetCalculatorILi1EjESG_NS0_6memory15LoadWithoutCastENSH_16StoreWithoutCastEEEviT_T0_T2_T3_T4_T5_, .Lfunc_end486-_ZN2at6native27unrolled_elementwise_kernelIZZZNS0_21clamp_max_kernel_cudaERNS_18TensorIteratorBaseERKN3c106ScalarEENKUlvE_clEvENKUlvE7_clEvEUlNS4_8BFloat16EE_St5arrayIPcLm2EELi4E23TrivialOffsetCalculatorILi1EjESG_NS0_6memory15LoadWithoutCastENSH_16StoreWithoutCastEEEviT_T0_T2_T3_T4_T5_
                                        ; -- End function
	.section	.AMDGPU.csdata,"",@progbits
; Kernel info:
; codeLenInByte = 864
; NumSgprs: 18
; NumVgprs: 11
; ScratchSize: 0
; MemoryBound: 0
; FloatMode: 240
; IeeeMode: 1
; LDSByteSize: 0 bytes/workgroup (compile time only)
; SGPRBlocks: 2
; VGPRBlocks: 1
; NumSGPRsForWavesPerEU: 18
; NumVGPRsForWavesPerEU: 11
; Occupancy: 16
; WaveLimiterHint : 0
; COMPUTE_PGM_RSRC2:SCRATCH_EN: 0
; COMPUTE_PGM_RSRC2:USER_SGPR: 15
; COMPUTE_PGM_RSRC2:TRAP_HANDLER: 0
; COMPUTE_PGM_RSRC2:TGID_X_EN: 1
; COMPUTE_PGM_RSRC2:TGID_Y_EN: 0
; COMPUTE_PGM_RSRC2:TGID_Z_EN: 0
; COMPUTE_PGM_RSRC2:TIDIG_COMP_CNT: 0
	.section	.text._ZN2at6native32elementwise_kernel_manual_unrollILi128ELi8EZNS0_22gpu_kernel_impl_nocastIZZZNS0_21clamp_max_kernel_cudaERNS_18TensorIteratorBaseERKN3c106ScalarEENKUlvE_clEvENKUlvE7_clEvEUlNS5_8BFloat16EE_EEvS4_RKT_EUlibE_EEviT1_,"axG",@progbits,_ZN2at6native32elementwise_kernel_manual_unrollILi128ELi8EZNS0_22gpu_kernel_impl_nocastIZZZNS0_21clamp_max_kernel_cudaERNS_18TensorIteratorBaseERKN3c106ScalarEENKUlvE_clEvENKUlvE7_clEvEUlNS5_8BFloat16EE_EEvS4_RKT_EUlibE_EEviT1_,comdat
	.globl	_ZN2at6native32elementwise_kernel_manual_unrollILi128ELi8EZNS0_22gpu_kernel_impl_nocastIZZZNS0_21clamp_max_kernel_cudaERNS_18TensorIteratorBaseERKN3c106ScalarEENKUlvE_clEvENKUlvE7_clEvEUlNS5_8BFloat16EE_EEvS4_RKT_EUlibE_EEviT1_ ; -- Begin function _ZN2at6native32elementwise_kernel_manual_unrollILi128ELi8EZNS0_22gpu_kernel_impl_nocastIZZZNS0_21clamp_max_kernel_cudaERNS_18TensorIteratorBaseERKN3c106ScalarEENKUlvE_clEvENKUlvE7_clEvEUlNS5_8BFloat16EE_EEvS4_RKT_EUlibE_EEviT1_
	.p2align	8
	.type	_ZN2at6native32elementwise_kernel_manual_unrollILi128ELi8EZNS0_22gpu_kernel_impl_nocastIZZZNS0_21clamp_max_kernel_cudaERNS_18TensorIteratorBaseERKN3c106ScalarEENKUlvE_clEvENKUlvE7_clEvEUlNS5_8BFloat16EE_EEvS4_RKT_EUlibE_EEviT1_,@function
_ZN2at6native32elementwise_kernel_manual_unrollILi128ELi8EZNS0_22gpu_kernel_impl_nocastIZZZNS0_21clamp_max_kernel_cudaERNS_18TensorIteratorBaseERKN3c106ScalarEENKUlvE_clEvENKUlvE7_clEvEUlNS5_8BFloat16EE_EEvS4_RKT_EUlibE_EEviT1_: ; @_ZN2at6native32elementwise_kernel_manual_unrollILi128ELi8EZNS0_22gpu_kernel_impl_nocastIZZZNS0_21clamp_max_kernel_cudaERNS_18TensorIteratorBaseERKN3c106ScalarEENKUlvE_clEvENKUlvE7_clEvEUlNS5_8BFloat16EE_EEvS4_RKT_EUlibE_EEviT1_
; %bb.0:
	s_clause 0x1
	s_load_b32 s22, s[0:1], 0x8
	s_load_b32 s29, s[0:1], 0x0
	v_lshl_or_b32 v12, s15, 10, v0
	s_or_b32 s0, s0, 8
	s_mov_b32 s2, exec_lo
	s_delay_alu instid0(VALU_DEP_1) | instskip(SKIP_2) | instid1(SALU_CYCLE_1)
	v_or_b32_e32 v16, 0x380, v12
	s_waitcnt lgkmcnt(0)
	s_add_i32 s23, s22, -1
	s_cmp_gt_u32 s23, 1
	s_cselect_b32 s24, -1, 0
	v_cmpx_le_i32_e64 s29, v16
	s_xor_b32 s25, exec_lo, s2
	s_cbranch_execz .LBB487_7
; %bb.1:
	s_clause 0x4
	s_load_b128 s[8:11], s[0:1], 0x4
	s_load_b64 s[16:17], s[0:1], 0x14
	s_load_b32 s26, s[0:1], 0x158
	s_load_b128 s[12:15], s[0:1], 0xc4
	s_load_b128 s[4:7], s[0:1], 0x148
	s_cmp_lg_u32 s22, 0
	s_mov_b32 s33, exec_lo
	s_cselect_b32 s31, -1, 0
	s_add_u32 s18, s0, 0xc4
	s_addc_u32 s19, s1, 0
	s_min_u32 s30, s23, 15
	s_cmp_gt_u32 s22, 1
	s_cselect_b32 s28, -1, 0
	s_waitcnt lgkmcnt(0)
	s_lshl_b32 s27, s26, 16
	v_cmpx_gt_i32_e64 s29, v12
	s_cbranch_execz .LBB487_14
; %bb.2:
	s_and_not1_b32 vcc_lo, exec_lo, s24
	s_cbranch_vccnz .LBB487_21
; %bb.3:
	v_dual_mov_b32 v0, 0 :: v_dual_mov_b32 v1, 0
	s_and_not1_b32 vcc_lo, exec_lo, s31
	s_mov_b32 s34, 0
	s_cbranch_vccnz .LBB487_125
; %bb.4:
	v_mov_b32_e32 v0, 0
	s_add_i32 s36, s30, 1
	s_cmp_eq_u32 s23, 2
	s_mov_b32 s35, 0
	s_cbranch_scc1 .LBB487_121
; %bb.5:
	v_dual_mov_b32 v1, 0 :: v_dual_mov_b32 v0, 0
	v_mov_b32_e32 v2, v12
	s_and_b32 s35, s36, 28
	s_mov_b32 s37, 0
	s_mov_b64 s[2:3], s[18:19]
	s_mov_b64 s[20:21], s[0:1]
.LBB487_6:                              ; =>This Inner Loop Header: Depth=1
	s_clause 0x1
	s_load_b256 s[40:47], s[20:21], 0x4
	s_load_b128 s[56:59], s[20:21], 0x24
	s_load_b256 s[48:55], s[2:3], 0x0
	s_add_u32 s20, s20, 48
	s_addc_u32 s21, s21, 0
	s_add_i32 s37, s37, 4
	s_add_u32 s2, s2, 32
	s_addc_u32 s3, s3, 0
	s_cmp_lg_u32 s35, s37
	s_waitcnt lgkmcnt(0)
	v_mul_hi_u32 v3, s41, v2
	s_delay_alu instid0(VALU_DEP_1) | instskip(NEXT) | instid1(VALU_DEP_1)
	v_add_nc_u32_e32 v3, v2, v3
	v_lshrrev_b32_e32 v3, s42, v3
	s_delay_alu instid0(VALU_DEP_1) | instskip(SKIP_1) | instid1(VALU_DEP_2)
	v_mul_hi_u32 v4, s44, v3
	v_mul_lo_u32 v6, v3, s40
	v_add_nc_u32_e32 v4, v3, v4
	s_delay_alu instid0(VALU_DEP_2) | instskip(NEXT) | instid1(VALU_DEP_2)
	v_sub_nc_u32_e32 v2, v2, v6
	v_lshrrev_b32_e32 v4, s45, v4
	s_delay_alu instid0(VALU_DEP_2) | instskip(SKIP_1) | instid1(VALU_DEP_3)
	v_mul_lo_u32 v6, v2, s48
	v_mul_lo_u32 v8, v2, s49
	v_mul_hi_u32 v5, s47, v4
	s_delay_alu instid0(VALU_DEP_1) | instskip(NEXT) | instid1(VALU_DEP_1)
	v_add_nc_u32_e32 v5, v4, v5
	v_lshrrev_b32_e32 v5, s56, v5
	s_delay_alu instid0(VALU_DEP_1) | instskip(SKIP_1) | instid1(VALU_DEP_2)
	v_mul_hi_u32 v7, s58, v5
	v_mul_lo_u32 v9, v5, s46
	v_add_nc_u32_e32 v2, v5, v7
	v_mul_lo_u32 v7, v4, s43
	s_delay_alu instid0(VALU_DEP_3) | instskip(NEXT) | instid1(VALU_DEP_3)
	v_sub_nc_u32_e32 v4, v4, v9
	v_lshrrev_b32_e32 v2, s59, v2
	s_delay_alu instid0(VALU_DEP_2) | instskip(SKIP_2) | instid1(VALU_DEP_4)
	v_mul_lo_u32 v9, v4, s52
	v_mul_lo_u32 v4, v4, s53
	v_sub_nc_u32_e32 v3, v3, v7
	v_mul_lo_u32 v10, v2, s57
	s_delay_alu instid0(VALU_DEP_2) | instskip(SKIP_1) | instid1(VALU_DEP_3)
	v_mul_lo_u32 v7, v3, s50
	v_mul_lo_u32 v3, v3, s51
	v_sub_nc_u32_e32 v5, v5, v10
	s_delay_alu instid0(VALU_DEP_3) | instskip(NEXT) | instid1(VALU_DEP_2)
	v_add3_u32 v0, v6, v0, v7
	v_mul_lo_u32 v10, v5, s54
	v_mul_lo_u32 v5, v5, s55
	v_add3_u32 v1, v8, v1, v3
	s_delay_alu instid0(VALU_DEP_3) | instskip(NEXT) | instid1(VALU_DEP_2)
	v_add3_u32 v0, v9, v0, v10
	v_add3_u32 v1, v4, v1, v5
	s_cbranch_scc1 .LBB487_6
	s_branch .LBB487_122
.LBB487_7:
	s_and_not1_saveexec_b32 s2, s25
	s_cbranch_execz .LBB487_206
.LBB487_8:
	v_cndmask_b32_e64 v14, 0, 1, s24
	s_and_not1_b32 vcc_lo, exec_lo, s24
	s_cbranch_vccnz .LBB487_20
; %bb.9:
	v_dual_mov_b32 v0, 0 :: v_dual_mov_b32 v1, 0
	s_cmp_lg_u32 s22, 0
	s_mov_b32 s6, 0
	s_cbranch_scc0 .LBB487_26
; %bb.10:
	s_min_u32 s7, s23, 15
	v_mov_b32_e32 v0, 0
	s_add_i32 s7, s7, 1
	s_cmp_eq_u32 s23, 2
	s_mov_b32 s8, 0
	s_cbranch_scc1 .LBB487_23
; %bb.11:
	v_dual_mov_b32 v1, 0 :: v_dual_mov_b32 v0, 0
	v_mov_b32_e32 v2, v12
	s_add_u32 s2, s0, 0xc4
	s_addc_u32 s3, s1, 0
	s_and_b32 s8, s7, 28
	s_mov_b32 s9, 0
	s_mov_b64 s[4:5], s[0:1]
.LBB487_12:                             ; =>This Inner Loop Header: Depth=1
	s_clause 0x1
	s_load_b256 s[12:19], s[4:5], 0x4
	s_load_b128 s[36:39], s[4:5], 0x24
	s_load_b256 s[24:31], s[2:3], 0x0
	s_add_u32 s4, s4, 48
	s_addc_u32 s5, s5, 0
	s_add_i32 s9, s9, 4
	s_add_u32 s2, s2, 32
	s_addc_u32 s3, s3, 0
	s_cmp_lg_u32 s8, s9
	s_waitcnt lgkmcnt(0)
	v_mul_hi_u32 v3, s13, v2
	s_delay_alu instid0(VALU_DEP_1) | instskip(NEXT) | instid1(VALU_DEP_1)
	v_add_nc_u32_e32 v3, v2, v3
	v_lshrrev_b32_e32 v3, s14, v3
	s_delay_alu instid0(VALU_DEP_1) | instskip(SKIP_1) | instid1(VALU_DEP_2)
	v_mul_hi_u32 v4, s16, v3
	v_mul_lo_u32 v6, v3, s12
	v_add_nc_u32_e32 v4, v3, v4
	s_delay_alu instid0(VALU_DEP_2) | instskip(NEXT) | instid1(VALU_DEP_2)
	v_sub_nc_u32_e32 v2, v2, v6
	v_lshrrev_b32_e32 v4, s17, v4
	s_delay_alu instid0(VALU_DEP_2) | instskip(SKIP_1) | instid1(VALU_DEP_3)
	v_mul_lo_u32 v6, v2, s24
	v_mul_lo_u32 v8, v2, s25
	v_mul_hi_u32 v5, s19, v4
	s_delay_alu instid0(VALU_DEP_1) | instskip(NEXT) | instid1(VALU_DEP_1)
	v_add_nc_u32_e32 v5, v4, v5
	v_lshrrev_b32_e32 v5, s36, v5
	s_delay_alu instid0(VALU_DEP_1) | instskip(SKIP_1) | instid1(VALU_DEP_2)
	v_mul_hi_u32 v7, s38, v5
	v_mul_lo_u32 v9, v5, s18
	v_add_nc_u32_e32 v2, v5, v7
	v_mul_lo_u32 v7, v4, s15
	s_delay_alu instid0(VALU_DEP_3) | instskip(NEXT) | instid1(VALU_DEP_3)
	v_sub_nc_u32_e32 v4, v4, v9
	v_lshrrev_b32_e32 v2, s39, v2
	s_delay_alu instid0(VALU_DEP_2) | instskip(SKIP_2) | instid1(VALU_DEP_4)
	v_mul_lo_u32 v9, v4, s28
	v_mul_lo_u32 v4, v4, s29
	v_sub_nc_u32_e32 v3, v3, v7
	v_mul_lo_u32 v10, v2, s37
	s_delay_alu instid0(VALU_DEP_2) | instskip(SKIP_1) | instid1(VALU_DEP_3)
	v_mul_lo_u32 v7, v3, s26
	v_mul_lo_u32 v3, v3, s27
	v_sub_nc_u32_e32 v5, v5, v10
	s_delay_alu instid0(VALU_DEP_3) | instskip(NEXT) | instid1(VALU_DEP_2)
	v_add3_u32 v0, v6, v0, v7
	v_mul_lo_u32 v10, v5, s30
	v_mul_lo_u32 v5, v5, s31
	v_add3_u32 v1, v8, v1, v3
	s_delay_alu instid0(VALU_DEP_3) | instskip(NEXT) | instid1(VALU_DEP_2)
	v_add3_u32 v0, v9, v0, v10
	v_add3_u32 v1, v4, v1, v5
	s_cbranch_scc1 .LBB487_12
; %bb.13:
	s_and_b32 s7, s7, 3
	s_delay_alu instid0(SALU_CYCLE_1)
	s_cmp_eq_u32 s7, 0
	s_cbranch_scc0 .LBB487_24
	s_branch .LBB487_26
.LBB487_14:
	s_or_b32 exec_lo, exec_lo, s33
	s_delay_alu instid0(SALU_CYCLE_1)
	s_mov_b32 s33, exec_lo
	v_cmpx_gt_i32_e64 s29, v12
	s_cbranch_execz .LBB487_129
.LBB487_15:
	s_and_not1_b32 vcc_lo, exec_lo, s24
	s_cbranch_vccnz .LBB487_22
; %bb.16:
	v_dual_mov_b32 v0, 0 :: v_dual_mov_b32 v1, 0
	s_and_not1_b32 vcc_lo, exec_lo, s31
	s_mov_b32 s34, 0
	s_cbranch_vccnz .LBB487_140
; %bb.17:
	v_mov_b32_e32 v0, 0
	s_add_i32 s36, s30, 1
	s_cmp_eq_u32 s23, 2
	s_mov_b32 s35, 0
	s_cbranch_scc1 .LBB487_136
; %bb.18:
	v_dual_mov_b32 v1, 0 :: v_dual_mov_b32 v0, 0
	v_mov_b32_e32 v2, v12
	s_and_b32 s35, s36, 28
	s_mov_b32 s37, 0
	s_mov_b64 s[2:3], s[18:19]
	s_mov_b64 s[20:21], s[0:1]
.LBB487_19:                             ; =>This Inner Loop Header: Depth=1
	s_clause 0x1
	s_load_b256 s[40:47], s[20:21], 0x4
	s_load_b128 s[56:59], s[20:21], 0x24
	s_load_b256 s[48:55], s[2:3], 0x0
	s_add_u32 s20, s20, 48
	s_addc_u32 s21, s21, 0
	s_add_i32 s37, s37, 4
	s_add_u32 s2, s2, 32
	s_addc_u32 s3, s3, 0
	s_cmp_eq_u32 s35, s37
	s_waitcnt lgkmcnt(0)
	v_mul_hi_u32 v3, s41, v2
	s_delay_alu instid0(VALU_DEP_1) | instskip(NEXT) | instid1(VALU_DEP_1)
	v_add_nc_u32_e32 v3, v2, v3
	v_lshrrev_b32_e32 v3, s42, v3
	s_delay_alu instid0(VALU_DEP_1) | instskip(SKIP_1) | instid1(VALU_DEP_2)
	v_mul_hi_u32 v4, s44, v3
	v_mul_lo_u32 v6, v3, s40
	v_add_nc_u32_e32 v4, v3, v4
	s_delay_alu instid0(VALU_DEP_2) | instskip(NEXT) | instid1(VALU_DEP_2)
	v_sub_nc_u32_e32 v2, v2, v6
	v_lshrrev_b32_e32 v4, s45, v4
	s_delay_alu instid0(VALU_DEP_2) | instskip(SKIP_1) | instid1(VALU_DEP_3)
	v_mul_lo_u32 v6, v2, s48
	v_mul_lo_u32 v8, v2, s49
	v_mul_hi_u32 v5, s47, v4
	s_delay_alu instid0(VALU_DEP_1) | instskip(NEXT) | instid1(VALU_DEP_1)
	v_add_nc_u32_e32 v5, v4, v5
	v_lshrrev_b32_e32 v5, s56, v5
	s_delay_alu instid0(VALU_DEP_1) | instskip(SKIP_1) | instid1(VALU_DEP_2)
	v_mul_hi_u32 v7, s58, v5
	v_mul_lo_u32 v9, v5, s46
	v_add_nc_u32_e32 v2, v5, v7
	v_mul_lo_u32 v7, v4, s43
	s_delay_alu instid0(VALU_DEP_3) | instskip(NEXT) | instid1(VALU_DEP_3)
	v_sub_nc_u32_e32 v4, v4, v9
	v_lshrrev_b32_e32 v2, s59, v2
	s_delay_alu instid0(VALU_DEP_2) | instskip(SKIP_2) | instid1(VALU_DEP_4)
	v_mul_lo_u32 v9, v4, s52
	v_mul_lo_u32 v4, v4, s53
	v_sub_nc_u32_e32 v3, v3, v7
	v_mul_lo_u32 v10, v2, s57
	s_delay_alu instid0(VALU_DEP_2) | instskip(SKIP_1) | instid1(VALU_DEP_3)
	v_mul_lo_u32 v7, v3, s50
	v_mul_lo_u32 v3, v3, s51
	v_sub_nc_u32_e32 v5, v5, v10
	s_delay_alu instid0(VALU_DEP_3) | instskip(NEXT) | instid1(VALU_DEP_2)
	v_add3_u32 v0, v6, v0, v7
	v_mul_lo_u32 v10, v5, s54
	v_mul_lo_u32 v5, v5, s55
	v_add3_u32 v1, v8, v1, v3
	s_delay_alu instid0(VALU_DEP_3) | instskip(NEXT) | instid1(VALU_DEP_2)
	v_add3_u32 v0, v9, v0, v10
	v_add3_u32 v1, v4, v1, v5
	s_cbranch_scc0 .LBB487_19
	s_branch .LBB487_137
.LBB487_20:
	s_mov_b32 s6, -1
                                        ; implicit-def: $vgpr0
                                        ; implicit-def: $vgpr1
	s_branch .LBB487_26
.LBB487_21:
	s_mov_b32 s34, -1
                                        ; implicit-def: $vgpr0
                                        ; implicit-def: $vgpr1
	s_branch .LBB487_125
.LBB487_22:
	s_mov_b32 s34, -1
                                        ; implicit-def: $vgpr0
                                        ; implicit-def: $vgpr1
	s_branch .LBB487_140
.LBB487_23:
	v_dual_mov_b32 v2, v12 :: v_dual_mov_b32 v1, 0
	s_and_b32 s7, s7, 3
	s_delay_alu instid0(SALU_CYCLE_1)
	s_cmp_eq_u32 s7, 0
	s_cbranch_scc1 .LBB487_26
.LBB487_24:
	s_lshl_b32 s2, s8, 3
	s_mul_i32 s4, s8, 12
	s_add_u32 s2, s2, s0
	s_addc_u32 s3, 0, s1
	s_add_u32 s2, s2, 0xc4
	s_addc_u32 s3, s3, 0
	;; [unrolled: 2-line block ×3, first 2 shown]
	.p2align	6
.LBB487_25:                             ; =>This Inner Loop Header: Depth=1
	s_clause 0x1
	s_load_b64 s[8:9], s[4:5], 0x4
	s_load_b32 s12, s[4:5], 0xc
	s_load_b64 s[10:11], s[2:3], 0x0
	s_add_u32 s4, s4, 12
	s_addc_u32 s5, s5, 0
	s_add_u32 s2, s2, 8
	s_addc_u32 s3, s3, 0
	s_add_i32 s7, s7, -1
	s_delay_alu instid0(SALU_CYCLE_1) | instskip(SKIP_2) | instid1(VALU_DEP_1)
	s_cmp_lg_u32 s7, 0
	s_waitcnt lgkmcnt(0)
	v_mul_hi_u32 v3, s9, v2
	v_add_nc_u32_e32 v3, v2, v3
	s_delay_alu instid0(VALU_DEP_1) | instskip(NEXT) | instid1(VALU_DEP_1)
	v_lshrrev_b32_e32 v6, s12, v3
	v_mul_lo_u32 v3, v6, s8
	s_delay_alu instid0(VALU_DEP_1) | instskip(NEXT) | instid1(VALU_DEP_1)
	v_sub_nc_u32_e32 v2, v2, v3
	v_mad_u64_u32 v[3:4], null, v2, s10, v[0:1]
	v_mad_u64_u32 v[4:5], null, v2, s11, v[1:2]
	v_mov_b32_e32 v2, v6
	s_delay_alu instid0(VALU_DEP_2)
	v_dual_mov_b32 v0, v3 :: v_dual_mov_b32 v1, v4
	s_cbranch_scc1 .LBB487_25
.LBB487_26:
	s_and_not1_b32 vcc_lo, exec_lo, s6
	s_cbranch_vccnz .LBB487_29
; %bb.27:
	s_clause 0x1
	s_load_b128 s[4:7], s[0:1], 0x4
	s_load_b64 s[2:3], s[0:1], 0xc4
	s_cmp_lt_u32 s22, 2
	s_waitcnt lgkmcnt(0)
	v_mul_hi_u32 v0, s5, v12
	s_delay_alu instid0(VALU_DEP_1) | instskip(NEXT) | instid1(VALU_DEP_1)
	v_add_nc_u32_e32 v0, v12, v0
	v_lshrrev_b32_e32 v2, s6, v0
	s_delay_alu instid0(VALU_DEP_1) | instskip(NEXT) | instid1(VALU_DEP_1)
	v_mul_lo_u32 v0, v2, s4
	v_sub_nc_u32_e32 v1, v12, v0
	s_delay_alu instid0(VALU_DEP_1)
	v_mul_lo_u32 v0, v1, s2
	v_mul_lo_u32 v1, v1, s3
	s_cbranch_scc1 .LBB487_29
; %bb.28:
	s_clause 0x1
	s_load_b128 s[4:7], s[0:1], 0x10
	s_load_b64 s[2:3], s[0:1], 0xcc
	s_waitcnt lgkmcnt(0)
	v_mul_hi_u32 v3, s5, v2
	s_delay_alu instid0(VALU_DEP_1) | instskip(NEXT) | instid1(VALU_DEP_1)
	v_add_nc_u32_e32 v3, v2, v3
	v_lshrrev_b32_e32 v3, s6, v3
	s_delay_alu instid0(VALU_DEP_1) | instskip(NEXT) | instid1(VALU_DEP_1)
	v_mul_lo_u32 v3, v3, s4
	v_sub_nc_u32_e32 v5, v2, v3
	s_delay_alu instid0(VALU_DEP_1) | instskip(NEXT) | instid1(VALU_DEP_1)
	v_mad_u64_u32 v[2:3], null, v5, s2, v[0:1]
	v_mad_u64_u32 v[3:4], null, v5, s3, v[1:2]
	s_delay_alu instid0(VALU_DEP_1)
	v_dual_mov_b32 v0, v2 :: v_dual_mov_b32 v1, v3
.LBB487_29:
	v_cmp_ne_u32_e32 vcc_lo, 1, v14
	v_add_nc_u32_e32 v4, 0x80, v12
	s_cbranch_vccnz .LBB487_35
; %bb.30:
	v_dual_mov_b32 v2, 0 :: v_dual_mov_b32 v3, 0
	s_cmp_lg_u32 s22, 0
	s_mov_b32 s6, 0
	s_cbranch_scc0 .LBB487_39
; %bb.31:
	s_min_u32 s7, s23, 15
	v_mov_b32_e32 v2, 0
	s_add_i32 s7, s7, 1
	s_cmp_eq_u32 s23, 2
	s_mov_b32 s8, 0
	s_cbranch_scc1 .LBB487_36
; %bb.32:
	v_dual_mov_b32 v3, 0 :: v_dual_mov_b32 v2, 0
	v_mov_b32_e32 v5, v4
	s_add_u32 s2, s0, 0xc4
	s_addc_u32 s3, s1, 0
	s_and_b32 s8, s7, 28
	s_mov_b32 s9, 0
	s_mov_b64 s[4:5], s[0:1]
.LBB487_33:                             ; =>This Inner Loop Header: Depth=1
	s_clause 0x1
	s_load_b256 s[12:19], s[4:5], 0x4
	s_load_b128 s[36:39], s[4:5], 0x24
	s_load_b256 s[24:31], s[2:3], 0x0
	s_add_u32 s4, s4, 48
	s_addc_u32 s5, s5, 0
	s_add_i32 s9, s9, 4
	s_add_u32 s2, s2, 32
	s_addc_u32 s3, s3, 0
	s_cmp_lg_u32 s8, s9
	s_waitcnt lgkmcnt(0)
	v_mul_hi_u32 v6, s13, v5
	s_delay_alu instid0(VALU_DEP_1) | instskip(NEXT) | instid1(VALU_DEP_1)
	v_add_nc_u32_e32 v6, v5, v6
	v_lshrrev_b32_e32 v6, s14, v6
	s_delay_alu instid0(VALU_DEP_1) | instskip(SKIP_1) | instid1(VALU_DEP_2)
	v_mul_hi_u32 v7, s16, v6
	v_mul_lo_u32 v9, v6, s12
	v_add_nc_u32_e32 v7, v6, v7
	s_delay_alu instid0(VALU_DEP_2) | instskip(NEXT) | instid1(VALU_DEP_2)
	v_sub_nc_u32_e32 v5, v5, v9
	v_lshrrev_b32_e32 v7, s17, v7
	s_delay_alu instid0(VALU_DEP_2) | instskip(SKIP_1) | instid1(VALU_DEP_3)
	v_mul_lo_u32 v9, v5, s24
	v_mul_lo_u32 v11, v5, s25
	v_mul_hi_u32 v8, s19, v7
	s_delay_alu instid0(VALU_DEP_1) | instskip(NEXT) | instid1(VALU_DEP_1)
	v_add_nc_u32_e32 v8, v7, v8
	v_lshrrev_b32_e32 v8, s36, v8
	s_delay_alu instid0(VALU_DEP_1) | instskip(SKIP_1) | instid1(VALU_DEP_2)
	v_mul_hi_u32 v10, s38, v8
	v_mul_lo_u32 v13, v8, s18
	v_add_nc_u32_e32 v5, v8, v10
	v_mul_lo_u32 v10, v7, s15
	s_delay_alu instid0(VALU_DEP_3) | instskip(NEXT) | instid1(VALU_DEP_3)
	v_sub_nc_u32_e32 v7, v7, v13
	v_lshrrev_b32_e32 v5, s39, v5
	s_delay_alu instid0(VALU_DEP_2) | instskip(SKIP_2) | instid1(VALU_DEP_4)
	v_mul_lo_u32 v13, v7, s28
	v_mul_lo_u32 v7, v7, s29
	v_sub_nc_u32_e32 v6, v6, v10
	v_mul_lo_u32 v15, v5, s37
	s_delay_alu instid0(VALU_DEP_2) | instskip(SKIP_1) | instid1(VALU_DEP_3)
	v_mul_lo_u32 v10, v6, s26
	v_mul_lo_u32 v6, v6, s27
	v_sub_nc_u32_e32 v8, v8, v15
	s_delay_alu instid0(VALU_DEP_3) | instskip(NEXT) | instid1(VALU_DEP_2)
	v_add3_u32 v2, v9, v2, v10
	v_mul_lo_u32 v15, v8, s30
	v_mul_lo_u32 v8, v8, s31
	v_add3_u32 v3, v11, v3, v6
	s_delay_alu instid0(VALU_DEP_3) | instskip(NEXT) | instid1(VALU_DEP_2)
	v_add3_u32 v2, v13, v2, v15
	v_add3_u32 v3, v7, v3, v8
	s_cbranch_scc1 .LBB487_33
; %bb.34:
	s_and_b32 s7, s7, 3
	s_delay_alu instid0(SALU_CYCLE_1)
	s_cmp_eq_u32 s7, 0
	s_cbranch_scc0 .LBB487_37
	s_branch .LBB487_39
.LBB487_35:
	s_mov_b32 s6, -1
                                        ; implicit-def: $vgpr2
                                        ; implicit-def: $vgpr3
	s_branch .LBB487_39
.LBB487_36:
	v_mov_b32_e32 v5, v4
	v_mov_b32_e32 v3, 0
	s_and_b32 s7, s7, 3
	s_delay_alu instid0(SALU_CYCLE_1)
	s_cmp_eq_u32 s7, 0
	s_cbranch_scc1 .LBB487_39
.LBB487_37:
	s_lshl_b32 s2, s8, 3
	s_mul_i32 s4, s8, 12
	s_add_u32 s2, s2, s0
	s_addc_u32 s3, 0, s1
	s_add_u32 s2, s2, 0xc4
	s_addc_u32 s3, s3, 0
	;; [unrolled: 2-line block ×3, first 2 shown]
	.p2align	6
.LBB487_38:                             ; =>This Inner Loop Header: Depth=1
	s_clause 0x1
	s_load_b64 s[8:9], s[4:5], 0x4
	s_load_b32 s12, s[4:5], 0xc
	s_load_b64 s[10:11], s[2:3], 0x0
	s_add_u32 s4, s4, 12
	s_addc_u32 s5, s5, 0
	s_add_u32 s2, s2, 8
	s_addc_u32 s3, s3, 0
	s_add_i32 s7, s7, -1
	s_delay_alu instid0(SALU_CYCLE_1) | instskip(SKIP_2) | instid1(VALU_DEP_1)
	s_cmp_lg_u32 s7, 0
	s_waitcnt lgkmcnt(0)
	v_mul_hi_u32 v6, s9, v5
	v_add_nc_u32_e32 v6, v5, v6
	s_delay_alu instid0(VALU_DEP_1) | instskip(NEXT) | instid1(VALU_DEP_1)
	v_lshrrev_b32_e32 v9, s12, v6
	v_mul_lo_u32 v6, v9, s8
	s_delay_alu instid0(VALU_DEP_1) | instskip(NEXT) | instid1(VALU_DEP_1)
	v_sub_nc_u32_e32 v5, v5, v6
	v_mad_u64_u32 v[6:7], null, v5, s10, v[2:3]
	v_mad_u64_u32 v[7:8], null, v5, s11, v[3:4]
	s_delay_alu instid0(VALU_DEP_2) | instskip(NEXT) | instid1(VALU_DEP_2)
	v_dual_mov_b32 v5, v9 :: v_dual_mov_b32 v2, v6
	v_mov_b32_e32 v3, v7
	s_cbranch_scc1 .LBB487_38
.LBB487_39:
	s_and_not1_b32 vcc_lo, exec_lo, s6
	s_cbranch_vccnz .LBB487_42
; %bb.40:
	s_clause 0x1
	s_load_b128 s[4:7], s[0:1], 0x4
	s_load_b64 s[2:3], s[0:1], 0xc4
	s_cmp_lt_u32 s22, 2
	s_waitcnt lgkmcnt(0)
	v_mul_hi_u32 v2, s5, v4
	s_delay_alu instid0(VALU_DEP_1) | instskip(NEXT) | instid1(VALU_DEP_1)
	v_add_nc_u32_e32 v2, v4, v2
	v_lshrrev_b32_e32 v5, s6, v2
	s_delay_alu instid0(VALU_DEP_1) | instskip(NEXT) | instid1(VALU_DEP_1)
	v_mul_lo_u32 v2, v5, s4
	v_sub_nc_u32_e32 v3, v4, v2
	s_delay_alu instid0(VALU_DEP_1)
	v_mul_lo_u32 v2, v3, s2
	v_mul_lo_u32 v3, v3, s3
	s_cbranch_scc1 .LBB487_42
; %bb.41:
	s_clause 0x1
	s_load_b128 s[4:7], s[0:1], 0x10
	s_load_b64 s[2:3], s[0:1], 0xcc
	s_waitcnt lgkmcnt(0)
	v_mul_hi_u32 v4, s5, v5
	s_delay_alu instid0(VALU_DEP_1) | instskip(NEXT) | instid1(VALU_DEP_1)
	v_add_nc_u32_e32 v4, v5, v4
	v_lshrrev_b32_e32 v4, s6, v4
	s_delay_alu instid0(VALU_DEP_1) | instskip(NEXT) | instid1(VALU_DEP_1)
	v_mul_lo_u32 v4, v4, s4
	v_sub_nc_u32_e32 v7, v5, v4
	s_delay_alu instid0(VALU_DEP_1) | instskip(NEXT) | instid1(VALU_DEP_1)
	v_mad_u64_u32 v[4:5], null, v7, s2, v[2:3]
	v_mad_u64_u32 v[5:6], null, v7, s3, v[3:4]
	s_delay_alu instid0(VALU_DEP_1)
	v_dual_mov_b32 v2, v4 :: v_dual_mov_b32 v3, v5
.LBB487_42:
	v_cmp_ne_u32_e32 vcc_lo, 1, v14
	v_add_nc_u32_e32 v6, 0x100, v12
	s_cbranch_vccnz .LBB487_48
; %bb.43:
	v_dual_mov_b32 v4, 0 :: v_dual_mov_b32 v5, 0
	s_cmp_lg_u32 s22, 0
	s_mov_b32 s6, 0
	s_cbranch_scc0 .LBB487_52
; %bb.44:
	s_min_u32 s7, s23, 15
	v_mov_b32_e32 v4, 0
	s_add_i32 s7, s7, 1
	s_cmp_eq_u32 s23, 2
	s_mov_b32 s8, 0
	s_cbranch_scc1 .LBB487_49
; %bb.45:
	v_dual_mov_b32 v5, 0 :: v_dual_mov_b32 v4, 0
	v_mov_b32_e32 v7, v6
	s_add_u32 s2, s0, 0xc4
	s_addc_u32 s3, s1, 0
	s_and_b32 s8, s7, 28
	s_mov_b32 s9, 0
	s_mov_b64 s[4:5], s[0:1]
.LBB487_46:                             ; =>This Inner Loop Header: Depth=1
	s_clause 0x1
	s_load_b256 s[12:19], s[4:5], 0x4
	s_load_b128 s[36:39], s[4:5], 0x24
	s_load_b256 s[24:31], s[2:3], 0x0
	s_add_u32 s4, s4, 48
	s_addc_u32 s5, s5, 0
	s_add_i32 s9, s9, 4
	s_add_u32 s2, s2, 32
	s_addc_u32 s3, s3, 0
	s_cmp_lg_u32 s8, s9
	s_waitcnt lgkmcnt(0)
	v_mul_hi_u32 v8, s13, v7
	s_delay_alu instid0(VALU_DEP_1) | instskip(NEXT) | instid1(VALU_DEP_1)
	v_add_nc_u32_e32 v8, v7, v8
	v_lshrrev_b32_e32 v8, s14, v8
	s_delay_alu instid0(VALU_DEP_1) | instskip(SKIP_1) | instid1(VALU_DEP_2)
	v_mul_hi_u32 v9, s16, v8
	v_mul_lo_u32 v11, v8, s12
	v_add_nc_u32_e32 v9, v8, v9
	s_delay_alu instid0(VALU_DEP_2) | instskip(NEXT) | instid1(VALU_DEP_2)
	v_sub_nc_u32_e32 v7, v7, v11
	v_lshrrev_b32_e32 v9, s17, v9
	s_delay_alu instid0(VALU_DEP_2) | instskip(SKIP_1) | instid1(VALU_DEP_3)
	v_mul_lo_u32 v11, v7, s24
	v_mul_lo_u32 v15, v7, s25
	v_mul_hi_u32 v10, s19, v9
	s_delay_alu instid0(VALU_DEP_1) | instskip(NEXT) | instid1(VALU_DEP_1)
	v_add_nc_u32_e32 v10, v9, v10
	v_lshrrev_b32_e32 v10, s36, v10
	s_delay_alu instid0(VALU_DEP_1) | instskip(SKIP_1) | instid1(VALU_DEP_2)
	v_mul_hi_u32 v13, s38, v10
	v_mul_lo_u32 v17, v10, s18
	v_add_nc_u32_e32 v7, v10, v13
	v_mul_lo_u32 v13, v9, s15
	s_delay_alu instid0(VALU_DEP_3) | instskip(NEXT) | instid1(VALU_DEP_3)
	v_sub_nc_u32_e32 v9, v9, v17
	v_lshrrev_b32_e32 v7, s39, v7
	s_delay_alu instid0(VALU_DEP_2) | instskip(SKIP_2) | instid1(VALU_DEP_4)
	v_mul_lo_u32 v17, v9, s28
	v_mul_lo_u32 v9, v9, s29
	v_sub_nc_u32_e32 v8, v8, v13
	v_mul_lo_u32 v18, v7, s37
	s_delay_alu instid0(VALU_DEP_2) | instskip(SKIP_1) | instid1(VALU_DEP_3)
	v_mul_lo_u32 v13, v8, s26
	v_mul_lo_u32 v8, v8, s27
	v_sub_nc_u32_e32 v10, v10, v18
	s_delay_alu instid0(VALU_DEP_3) | instskip(NEXT) | instid1(VALU_DEP_2)
	v_add3_u32 v4, v11, v4, v13
	v_mul_lo_u32 v18, v10, s30
	v_mul_lo_u32 v10, v10, s31
	v_add3_u32 v5, v15, v5, v8
	s_delay_alu instid0(VALU_DEP_3) | instskip(NEXT) | instid1(VALU_DEP_2)
	v_add3_u32 v4, v17, v4, v18
	v_add3_u32 v5, v9, v5, v10
	s_cbranch_scc1 .LBB487_46
; %bb.47:
	s_and_b32 s7, s7, 3
	s_delay_alu instid0(SALU_CYCLE_1)
	s_cmp_eq_u32 s7, 0
	s_cbranch_scc0 .LBB487_50
	s_branch .LBB487_52
.LBB487_48:
	s_mov_b32 s6, -1
                                        ; implicit-def: $vgpr4
                                        ; implicit-def: $vgpr5
	s_branch .LBB487_52
.LBB487_49:
	v_mov_b32_e32 v7, v6
	v_mov_b32_e32 v5, 0
	s_and_b32 s7, s7, 3
	s_delay_alu instid0(SALU_CYCLE_1)
	s_cmp_eq_u32 s7, 0
	s_cbranch_scc1 .LBB487_52
.LBB487_50:
	s_lshl_b32 s2, s8, 3
	s_mul_i32 s4, s8, 12
	s_add_u32 s2, s2, s0
	s_addc_u32 s3, 0, s1
	s_add_u32 s2, s2, 0xc4
	s_addc_u32 s3, s3, 0
	s_add_u32 s4, s0, s4
	s_addc_u32 s5, 0, s1
	.p2align	6
.LBB487_51:                             ; =>This Inner Loop Header: Depth=1
	s_clause 0x1
	s_load_b64 s[8:9], s[4:5], 0x4
	s_load_b32 s12, s[4:5], 0xc
	s_load_b64 s[10:11], s[2:3], 0x0
	s_add_u32 s4, s4, 12
	s_addc_u32 s5, s5, 0
	s_add_u32 s2, s2, 8
	s_addc_u32 s3, s3, 0
	s_add_i32 s7, s7, -1
	s_delay_alu instid0(SALU_CYCLE_1) | instskip(SKIP_2) | instid1(VALU_DEP_1)
	s_cmp_lg_u32 s7, 0
	s_waitcnt lgkmcnt(0)
	v_mul_hi_u32 v8, s9, v7
	v_add_nc_u32_e32 v8, v7, v8
	s_delay_alu instid0(VALU_DEP_1) | instskip(NEXT) | instid1(VALU_DEP_1)
	v_lshrrev_b32_e32 v11, s12, v8
	v_mul_lo_u32 v8, v11, s8
	s_delay_alu instid0(VALU_DEP_1) | instskip(NEXT) | instid1(VALU_DEP_1)
	v_sub_nc_u32_e32 v7, v7, v8
	v_mad_u64_u32 v[8:9], null, v7, s10, v[4:5]
	v_mad_u64_u32 v[9:10], null, v7, s11, v[5:6]
	s_delay_alu instid0(VALU_DEP_2) | instskip(NEXT) | instid1(VALU_DEP_2)
	v_dual_mov_b32 v7, v11 :: v_dual_mov_b32 v4, v8
	v_mov_b32_e32 v5, v9
	s_cbranch_scc1 .LBB487_51
.LBB487_52:
	s_and_not1_b32 vcc_lo, exec_lo, s6
	s_cbranch_vccnz .LBB487_55
; %bb.53:
	s_clause 0x1
	s_load_b128 s[4:7], s[0:1], 0x4
	s_load_b64 s[2:3], s[0:1], 0xc4
	s_cmp_lt_u32 s22, 2
	s_waitcnt lgkmcnt(0)
	v_mul_hi_u32 v4, s5, v6
	s_delay_alu instid0(VALU_DEP_1) | instskip(NEXT) | instid1(VALU_DEP_1)
	v_add_nc_u32_e32 v4, v6, v4
	v_lshrrev_b32_e32 v7, s6, v4
	s_delay_alu instid0(VALU_DEP_1) | instskip(NEXT) | instid1(VALU_DEP_1)
	v_mul_lo_u32 v4, v7, s4
	v_sub_nc_u32_e32 v5, v6, v4
	s_delay_alu instid0(VALU_DEP_1)
	v_mul_lo_u32 v4, v5, s2
	v_mul_lo_u32 v5, v5, s3
	s_cbranch_scc1 .LBB487_55
; %bb.54:
	s_clause 0x1
	s_load_b128 s[4:7], s[0:1], 0x10
	s_load_b64 s[2:3], s[0:1], 0xcc
	s_waitcnt lgkmcnt(0)
	v_mul_hi_u32 v6, s5, v7
	s_delay_alu instid0(VALU_DEP_1) | instskip(NEXT) | instid1(VALU_DEP_1)
	v_add_nc_u32_e32 v6, v7, v6
	v_lshrrev_b32_e32 v6, s6, v6
	s_delay_alu instid0(VALU_DEP_1) | instskip(NEXT) | instid1(VALU_DEP_1)
	v_mul_lo_u32 v6, v6, s4
	v_sub_nc_u32_e32 v9, v7, v6
	s_delay_alu instid0(VALU_DEP_1) | instskip(NEXT) | instid1(VALU_DEP_1)
	v_mad_u64_u32 v[6:7], null, v9, s2, v[4:5]
	v_mad_u64_u32 v[7:8], null, v9, s3, v[5:6]
	s_delay_alu instid0(VALU_DEP_1)
	v_dual_mov_b32 v4, v6 :: v_dual_mov_b32 v5, v7
.LBB487_55:
	v_cmp_ne_u32_e32 vcc_lo, 1, v14
	v_add_nc_u32_e32 v8, 0x180, v12
	s_cbranch_vccnz .LBB487_61
; %bb.56:
	v_dual_mov_b32 v6, 0 :: v_dual_mov_b32 v7, 0
	s_cmp_lg_u32 s22, 0
	s_mov_b32 s6, 0
	s_cbranch_scc0 .LBB487_65
; %bb.57:
	s_min_u32 s7, s23, 15
	v_mov_b32_e32 v6, 0
	s_add_i32 s7, s7, 1
	s_cmp_eq_u32 s23, 2
	s_mov_b32 s8, 0
	s_cbranch_scc1 .LBB487_62
; %bb.58:
	v_dual_mov_b32 v7, 0 :: v_dual_mov_b32 v6, 0
	v_mov_b32_e32 v9, v8
	s_add_u32 s2, s0, 0xc4
	s_addc_u32 s3, s1, 0
	s_and_b32 s8, s7, 28
	s_mov_b32 s9, 0
	s_mov_b64 s[4:5], s[0:1]
.LBB487_59:                             ; =>This Inner Loop Header: Depth=1
	s_clause 0x1
	s_load_b256 s[12:19], s[4:5], 0x4
	s_load_b128 s[36:39], s[4:5], 0x24
	s_load_b256 s[24:31], s[2:3], 0x0
	s_add_u32 s4, s4, 48
	s_addc_u32 s5, s5, 0
	s_add_i32 s9, s9, 4
	s_add_u32 s2, s2, 32
	s_addc_u32 s3, s3, 0
	s_cmp_lg_u32 s8, s9
	s_waitcnt lgkmcnt(0)
	v_mul_hi_u32 v10, s13, v9
	s_delay_alu instid0(VALU_DEP_1) | instskip(NEXT) | instid1(VALU_DEP_1)
	v_add_nc_u32_e32 v10, v9, v10
	v_lshrrev_b32_e32 v10, s14, v10
	s_delay_alu instid0(VALU_DEP_1) | instskip(SKIP_1) | instid1(VALU_DEP_2)
	v_mul_hi_u32 v11, s16, v10
	v_mul_lo_u32 v15, v10, s12
	v_add_nc_u32_e32 v11, v10, v11
	s_delay_alu instid0(VALU_DEP_2) | instskip(NEXT) | instid1(VALU_DEP_2)
	v_sub_nc_u32_e32 v9, v9, v15
	v_lshrrev_b32_e32 v11, s17, v11
	s_delay_alu instid0(VALU_DEP_2) | instskip(SKIP_1) | instid1(VALU_DEP_3)
	v_mul_lo_u32 v15, v9, s24
	v_mul_lo_u32 v18, v9, s25
	v_mul_hi_u32 v13, s19, v11
	s_delay_alu instid0(VALU_DEP_1) | instskip(NEXT) | instid1(VALU_DEP_1)
	v_add_nc_u32_e32 v13, v11, v13
	v_lshrrev_b32_e32 v13, s36, v13
	s_delay_alu instid0(VALU_DEP_1) | instskip(SKIP_1) | instid1(VALU_DEP_2)
	v_mul_hi_u32 v17, s38, v13
	v_mul_lo_u32 v19, v13, s18
	v_add_nc_u32_e32 v9, v13, v17
	v_mul_lo_u32 v17, v11, s15
	s_delay_alu instid0(VALU_DEP_3) | instskip(NEXT) | instid1(VALU_DEP_3)
	v_sub_nc_u32_e32 v11, v11, v19
	v_lshrrev_b32_e32 v9, s39, v9
	s_delay_alu instid0(VALU_DEP_2) | instskip(SKIP_2) | instid1(VALU_DEP_4)
	v_mul_lo_u32 v19, v11, s28
	v_mul_lo_u32 v11, v11, s29
	v_sub_nc_u32_e32 v10, v10, v17
	v_mul_lo_u32 v20, v9, s37
	s_delay_alu instid0(VALU_DEP_2) | instskip(SKIP_1) | instid1(VALU_DEP_3)
	v_mul_lo_u32 v17, v10, s26
	v_mul_lo_u32 v10, v10, s27
	v_sub_nc_u32_e32 v13, v13, v20
	s_delay_alu instid0(VALU_DEP_3) | instskip(NEXT) | instid1(VALU_DEP_2)
	v_add3_u32 v6, v15, v6, v17
	v_mul_lo_u32 v20, v13, s30
	v_mul_lo_u32 v13, v13, s31
	v_add3_u32 v7, v18, v7, v10
	s_delay_alu instid0(VALU_DEP_3) | instskip(NEXT) | instid1(VALU_DEP_2)
	v_add3_u32 v6, v19, v6, v20
	v_add3_u32 v7, v11, v7, v13
	s_cbranch_scc1 .LBB487_59
; %bb.60:
	s_and_b32 s7, s7, 3
	s_delay_alu instid0(SALU_CYCLE_1)
	s_cmp_eq_u32 s7, 0
	s_cbranch_scc0 .LBB487_63
	s_branch .LBB487_65
.LBB487_61:
	s_mov_b32 s6, -1
                                        ; implicit-def: $vgpr6
                                        ; implicit-def: $vgpr7
	s_branch .LBB487_65
.LBB487_62:
	v_mov_b32_e32 v9, v8
	v_mov_b32_e32 v7, 0
	s_and_b32 s7, s7, 3
	s_delay_alu instid0(SALU_CYCLE_1)
	s_cmp_eq_u32 s7, 0
	s_cbranch_scc1 .LBB487_65
.LBB487_63:
	s_lshl_b32 s2, s8, 3
	s_mul_i32 s4, s8, 12
	s_add_u32 s2, s2, s0
	s_addc_u32 s3, 0, s1
	s_add_u32 s2, s2, 0xc4
	s_addc_u32 s3, s3, 0
	;; [unrolled: 2-line block ×3, first 2 shown]
	.p2align	6
.LBB487_64:                             ; =>This Inner Loop Header: Depth=1
	s_clause 0x1
	s_load_b64 s[8:9], s[4:5], 0x4
	s_load_b32 s12, s[4:5], 0xc
	s_load_b64 s[10:11], s[2:3], 0x0
	s_add_u32 s4, s4, 12
	s_addc_u32 s5, s5, 0
	s_add_u32 s2, s2, 8
	s_addc_u32 s3, s3, 0
	s_add_i32 s7, s7, -1
	s_delay_alu instid0(SALU_CYCLE_1) | instskip(SKIP_2) | instid1(VALU_DEP_1)
	s_cmp_lg_u32 s7, 0
	s_waitcnt lgkmcnt(0)
	v_mul_hi_u32 v10, s9, v9
	v_add_nc_u32_e32 v10, v9, v10
	s_delay_alu instid0(VALU_DEP_1) | instskip(NEXT) | instid1(VALU_DEP_1)
	v_lshrrev_b32_e32 v13, s12, v10
	v_mul_lo_u32 v10, v13, s8
	s_delay_alu instid0(VALU_DEP_1) | instskip(NEXT) | instid1(VALU_DEP_1)
	v_sub_nc_u32_e32 v9, v9, v10
	v_mad_u64_u32 v[10:11], null, v9, s10, v[6:7]
	v_mad_u64_u32 v[17:18], null, v9, s11, v[7:8]
	s_delay_alu instid0(VALU_DEP_2) | instskip(NEXT) | instid1(VALU_DEP_2)
	v_dual_mov_b32 v9, v13 :: v_dual_mov_b32 v6, v10
	v_mov_b32_e32 v7, v17
	s_cbranch_scc1 .LBB487_64
.LBB487_65:
	s_and_not1_b32 vcc_lo, exec_lo, s6
	s_cbranch_vccnz .LBB487_68
; %bb.66:
	s_clause 0x1
	s_load_b128 s[4:7], s[0:1], 0x4
	s_load_b64 s[2:3], s[0:1], 0xc4
	s_cmp_lt_u32 s22, 2
	s_waitcnt lgkmcnt(0)
	v_mul_hi_u32 v6, s5, v8
	s_delay_alu instid0(VALU_DEP_1) | instskip(NEXT) | instid1(VALU_DEP_1)
	v_add_nc_u32_e32 v6, v8, v6
	v_lshrrev_b32_e32 v9, s6, v6
	s_delay_alu instid0(VALU_DEP_1) | instskip(NEXT) | instid1(VALU_DEP_1)
	v_mul_lo_u32 v6, v9, s4
	v_sub_nc_u32_e32 v7, v8, v6
	s_delay_alu instid0(VALU_DEP_1)
	v_mul_lo_u32 v6, v7, s2
	v_mul_lo_u32 v7, v7, s3
	s_cbranch_scc1 .LBB487_68
; %bb.67:
	s_clause 0x1
	s_load_b128 s[4:7], s[0:1], 0x10
	s_load_b64 s[2:3], s[0:1], 0xcc
	s_waitcnt lgkmcnt(0)
	v_mul_hi_u32 v8, s5, v9
	s_delay_alu instid0(VALU_DEP_1) | instskip(NEXT) | instid1(VALU_DEP_1)
	v_add_nc_u32_e32 v8, v9, v8
	v_lshrrev_b32_e32 v8, s6, v8
	s_delay_alu instid0(VALU_DEP_1) | instskip(NEXT) | instid1(VALU_DEP_1)
	v_mul_lo_u32 v8, v8, s4
	v_sub_nc_u32_e32 v11, v9, v8
	s_delay_alu instid0(VALU_DEP_1) | instskip(NEXT) | instid1(VALU_DEP_1)
	v_mad_u64_u32 v[8:9], null, v11, s2, v[6:7]
	v_mad_u64_u32 v[9:10], null, v11, s3, v[7:8]
	s_delay_alu instid0(VALU_DEP_1)
	v_dual_mov_b32 v6, v8 :: v_dual_mov_b32 v7, v9
.LBB487_68:
	v_cmp_ne_u32_e32 vcc_lo, 1, v14
	v_add_nc_u32_e32 v10, 0x200, v12
	s_cbranch_vccnz .LBB487_74
; %bb.69:
	v_dual_mov_b32 v8, 0 :: v_dual_mov_b32 v9, 0
	s_cmp_lg_u32 s22, 0
	s_mov_b32 s6, 0
	s_cbranch_scc0 .LBB487_78
; %bb.70:
	s_min_u32 s7, s23, 15
	v_mov_b32_e32 v8, 0
	s_add_i32 s7, s7, 1
	s_cmp_eq_u32 s23, 2
	s_mov_b32 s8, 0
	s_cbranch_scc1 .LBB487_75
; %bb.71:
	v_dual_mov_b32 v9, 0 :: v_dual_mov_b32 v8, 0
	v_mov_b32_e32 v11, v10
	s_add_u32 s2, s0, 0xc4
	s_addc_u32 s3, s1, 0
	s_and_b32 s8, s7, 28
	s_mov_b32 s9, 0
	s_mov_b64 s[4:5], s[0:1]
.LBB487_72:                             ; =>This Inner Loop Header: Depth=1
	s_clause 0x1
	s_load_b256 s[12:19], s[4:5], 0x4
	s_load_b128 s[36:39], s[4:5], 0x24
	s_load_b256 s[24:31], s[2:3], 0x0
	s_add_u32 s4, s4, 48
	s_addc_u32 s5, s5, 0
	s_add_i32 s9, s9, 4
	s_add_u32 s2, s2, 32
	s_addc_u32 s3, s3, 0
	s_cmp_lg_u32 s8, s9
	s_waitcnt lgkmcnt(0)
	v_mul_hi_u32 v13, s13, v11
	s_delay_alu instid0(VALU_DEP_1) | instskip(NEXT) | instid1(VALU_DEP_1)
	v_add_nc_u32_e32 v13, v11, v13
	v_lshrrev_b32_e32 v13, s14, v13
	s_delay_alu instid0(VALU_DEP_1) | instskip(SKIP_1) | instid1(VALU_DEP_2)
	v_mul_hi_u32 v15, s16, v13
	v_mul_lo_u32 v18, v13, s12
	v_add_nc_u32_e32 v15, v13, v15
	s_delay_alu instid0(VALU_DEP_2) | instskip(NEXT) | instid1(VALU_DEP_2)
	v_sub_nc_u32_e32 v11, v11, v18
	v_lshrrev_b32_e32 v15, s17, v15
	s_delay_alu instid0(VALU_DEP_2) | instskip(SKIP_1) | instid1(VALU_DEP_3)
	v_mul_lo_u32 v18, v11, s24
	v_mul_lo_u32 v20, v11, s25
	v_mul_hi_u32 v17, s19, v15
	s_delay_alu instid0(VALU_DEP_1) | instskip(NEXT) | instid1(VALU_DEP_1)
	v_add_nc_u32_e32 v17, v15, v17
	v_lshrrev_b32_e32 v17, s36, v17
	s_delay_alu instid0(VALU_DEP_1) | instskip(SKIP_1) | instid1(VALU_DEP_2)
	v_mul_hi_u32 v19, s38, v17
	v_mul_lo_u32 v21, v17, s18
	v_add_nc_u32_e32 v11, v17, v19
	v_mul_lo_u32 v19, v15, s15
	s_delay_alu instid0(VALU_DEP_3) | instskip(NEXT) | instid1(VALU_DEP_3)
	v_sub_nc_u32_e32 v15, v15, v21
	v_lshrrev_b32_e32 v11, s39, v11
	s_delay_alu instid0(VALU_DEP_2) | instskip(SKIP_2) | instid1(VALU_DEP_4)
	v_mul_lo_u32 v21, v15, s28
	v_mul_lo_u32 v15, v15, s29
	v_sub_nc_u32_e32 v13, v13, v19
	v_mul_lo_u32 v22, v11, s37
	s_delay_alu instid0(VALU_DEP_2) | instskip(SKIP_1) | instid1(VALU_DEP_3)
	v_mul_lo_u32 v19, v13, s26
	v_mul_lo_u32 v13, v13, s27
	v_sub_nc_u32_e32 v17, v17, v22
	s_delay_alu instid0(VALU_DEP_3) | instskip(NEXT) | instid1(VALU_DEP_2)
	v_add3_u32 v8, v18, v8, v19
	v_mul_lo_u32 v22, v17, s30
	v_mul_lo_u32 v17, v17, s31
	v_add3_u32 v9, v20, v9, v13
	s_delay_alu instid0(VALU_DEP_3) | instskip(NEXT) | instid1(VALU_DEP_2)
	v_add3_u32 v8, v21, v8, v22
	v_add3_u32 v9, v15, v9, v17
	s_cbranch_scc1 .LBB487_72
; %bb.73:
	s_and_b32 s7, s7, 3
	s_delay_alu instid0(SALU_CYCLE_1)
	s_cmp_eq_u32 s7, 0
	s_cbranch_scc0 .LBB487_76
	s_branch .LBB487_78
.LBB487_74:
	s_mov_b32 s6, -1
                                        ; implicit-def: $vgpr8
                                        ; implicit-def: $vgpr9
	s_branch .LBB487_78
.LBB487_75:
	v_mov_b32_e32 v11, v10
	v_mov_b32_e32 v9, 0
	s_and_b32 s7, s7, 3
	s_delay_alu instid0(SALU_CYCLE_1)
	s_cmp_eq_u32 s7, 0
	s_cbranch_scc1 .LBB487_78
.LBB487_76:
	s_lshl_b32 s2, s8, 3
	s_mul_i32 s4, s8, 12
	s_add_u32 s2, s2, s0
	s_addc_u32 s3, 0, s1
	s_add_u32 s2, s2, 0xc4
	s_addc_u32 s3, s3, 0
	;; [unrolled: 2-line block ×3, first 2 shown]
	.p2align	6
.LBB487_77:                             ; =>This Inner Loop Header: Depth=1
	s_clause 0x1
	s_load_b64 s[8:9], s[4:5], 0x4
	s_load_b32 s12, s[4:5], 0xc
	s_load_b64 s[10:11], s[2:3], 0x0
	s_add_u32 s4, s4, 12
	s_addc_u32 s5, s5, 0
	s_add_u32 s2, s2, 8
	s_addc_u32 s3, s3, 0
	s_add_i32 s7, s7, -1
	s_delay_alu instid0(SALU_CYCLE_1) | instskip(SKIP_2) | instid1(VALU_DEP_1)
	s_cmp_lg_u32 s7, 0
	s_waitcnt lgkmcnt(0)
	v_mul_hi_u32 v13, s9, v11
	v_add_nc_u32_e32 v13, v11, v13
	s_delay_alu instid0(VALU_DEP_1) | instskip(NEXT) | instid1(VALU_DEP_1)
	v_lshrrev_b32_e32 v13, s12, v13
	v_mul_lo_u32 v15, v13, s8
	s_delay_alu instid0(VALU_DEP_1) | instskip(NEXT) | instid1(VALU_DEP_1)
	v_sub_nc_u32_e32 v11, v11, v15
	v_mad_u64_u32 v[17:18], null, v11, s10, v[8:9]
	v_mad_u64_u32 v[18:19], null, v11, s11, v[9:10]
	v_mov_b32_e32 v11, v13
	s_delay_alu instid0(VALU_DEP_2)
	v_dual_mov_b32 v8, v17 :: v_dual_mov_b32 v9, v18
	s_cbranch_scc1 .LBB487_77
.LBB487_78:
	s_and_not1_b32 vcc_lo, exec_lo, s6
	s_cbranch_vccnz .LBB487_81
; %bb.79:
	s_clause 0x1
	s_load_b128 s[4:7], s[0:1], 0x4
	s_load_b64 s[2:3], s[0:1], 0xc4
	s_cmp_lt_u32 s22, 2
	s_waitcnt lgkmcnt(0)
	v_mul_hi_u32 v8, s5, v10
	s_delay_alu instid0(VALU_DEP_1) | instskip(NEXT) | instid1(VALU_DEP_1)
	v_add_nc_u32_e32 v8, v10, v8
	v_lshrrev_b32_e32 v11, s6, v8
	s_delay_alu instid0(VALU_DEP_1) | instskip(NEXT) | instid1(VALU_DEP_1)
	v_mul_lo_u32 v8, v11, s4
	v_sub_nc_u32_e32 v9, v10, v8
	s_delay_alu instid0(VALU_DEP_1)
	v_mul_lo_u32 v8, v9, s2
	v_mul_lo_u32 v9, v9, s3
	s_cbranch_scc1 .LBB487_81
; %bb.80:
	s_clause 0x1
	s_load_b128 s[4:7], s[0:1], 0x10
	s_load_b64 s[2:3], s[0:1], 0xcc
	s_waitcnt lgkmcnt(0)
	v_mul_hi_u32 v10, s5, v11
	s_delay_alu instid0(VALU_DEP_1) | instskip(NEXT) | instid1(VALU_DEP_1)
	v_add_nc_u32_e32 v10, v11, v10
	v_lshrrev_b32_e32 v10, s6, v10
	s_delay_alu instid0(VALU_DEP_1) | instskip(NEXT) | instid1(VALU_DEP_1)
	v_mul_lo_u32 v10, v10, s4
	v_sub_nc_u32_e32 v13, v11, v10
	s_delay_alu instid0(VALU_DEP_1) | instskip(NEXT) | instid1(VALU_DEP_1)
	v_mad_u64_u32 v[10:11], null, v13, s2, v[8:9]
	v_mad_u64_u32 v[17:18], null, v13, s3, v[9:10]
	s_delay_alu instid0(VALU_DEP_1)
	v_dual_mov_b32 v8, v10 :: v_dual_mov_b32 v9, v17
.LBB487_81:
	v_cmp_ne_u32_e32 vcc_lo, 1, v14
	v_add_nc_u32_e32 v13, 0x280, v12
	s_cbranch_vccnz .LBB487_87
; %bb.82:
	v_dual_mov_b32 v10, 0 :: v_dual_mov_b32 v11, 0
	s_cmp_lg_u32 s22, 0
	s_mov_b32 s6, 0
	s_cbranch_scc0 .LBB487_91
; %bb.83:
	s_min_u32 s7, s23, 15
	v_mov_b32_e32 v10, 0
	s_add_i32 s7, s7, 1
	s_cmp_eq_u32 s23, 2
	s_mov_b32 s8, 0
	s_cbranch_scc1 .LBB487_88
; %bb.84:
	v_dual_mov_b32 v11, 0 :: v_dual_mov_b32 v10, 0
	v_mov_b32_e32 v15, v13
	s_add_u32 s2, s0, 0xc4
	s_addc_u32 s3, s1, 0
	s_and_b32 s8, s7, 28
	s_mov_b32 s9, 0
	s_mov_b64 s[4:5], s[0:1]
.LBB487_85:                             ; =>This Inner Loop Header: Depth=1
	s_clause 0x1
	s_load_b256 s[12:19], s[4:5], 0x4
	s_load_b128 s[36:39], s[4:5], 0x24
	s_load_b256 s[24:31], s[2:3], 0x0
	s_add_u32 s4, s4, 48
	s_addc_u32 s5, s5, 0
	s_add_i32 s9, s9, 4
	s_add_u32 s2, s2, 32
	s_addc_u32 s3, s3, 0
	s_cmp_lg_u32 s8, s9
	s_waitcnt lgkmcnt(0)
	v_mul_hi_u32 v17, s13, v15
	s_delay_alu instid0(VALU_DEP_1) | instskip(NEXT) | instid1(VALU_DEP_1)
	v_add_nc_u32_e32 v17, v15, v17
	v_lshrrev_b32_e32 v17, s14, v17
	s_delay_alu instid0(VALU_DEP_1) | instskip(SKIP_1) | instid1(VALU_DEP_2)
	v_mul_hi_u32 v18, s16, v17
	v_mul_lo_u32 v20, v17, s12
	v_add_nc_u32_e32 v18, v17, v18
	s_delay_alu instid0(VALU_DEP_2) | instskip(NEXT) | instid1(VALU_DEP_2)
	v_sub_nc_u32_e32 v15, v15, v20
	v_lshrrev_b32_e32 v18, s17, v18
	s_delay_alu instid0(VALU_DEP_2) | instskip(SKIP_1) | instid1(VALU_DEP_3)
	v_mul_lo_u32 v20, v15, s24
	v_mul_lo_u32 v22, v15, s25
	v_mul_hi_u32 v19, s19, v18
	s_delay_alu instid0(VALU_DEP_1) | instskip(NEXT) | instid1(VALU_DEP_1)
	v_add_nc_u32_e32 v19, v18, v19
	v_lshrrev_b32_e32 v19, s36, v19
	s_delay_alu instid0(VALU_DEP_1) | instskip(SKIP_1) | instid1(VALU_DEP_2)
	v_mul_hi_u32 v21, s38, v19
	v_mul_lo_u32 v23, v19, s18
	v_add_nc_u32_e32 v15, v19, v21
	v_mul_lo_u32 v21, v18, s15
	s_delay_alu instid0(VALU_DEP_3) | instskip(NEXT) | instid1(VALU_DEP_3)
	v_sub_nc_u32_e32 v18, v18, v23
	v_lshrrev_b32_e32 v15, s39, v15
	s_delay_alu instid0(VALU_DEP_2) | instskip(SKIP_2) | instid1(VALU_DEP_4)
	v_mul_lo_u32 v23, v18, s28
	v_mul_lo_u32 v18, v18, s29
	v_sub_nc_u32_e32 v17, v17, v21
	v_mul_lo_u32 v24, v15, s37
	s_delay_alu instid0(VALU_DEP_2) | instskip(SKIP_1) | instid1(VALU_DEP_3)
	v_mul_lo_u32 v21, v17, s26
	v_mul_lo_u32 v17, v17, s27
	v_sub_nc_u32_e32 v19, v19, v24
	s_delay_alu instid0(VALU_DEP_3) | instskip(NEXT) | instid1(VALU_DEP_2)
	v_add3_u32 v10, v20, v10, v21
	v_mul_lo_u32 v24, v19, s30
	v_mul_lo_u32 v19, v19, s31
	v_add3_u32 v11, v22, v11, v17
	s_delay_alu instid0(VALU_DEP_3) | instskip(NEXT) | instid1(VALU_DEP_2)
	v_add3_u32 v10, v23, v10, v24
	v_add3_u32 v11, v18, v11, v19
	s_cbranch_scc1 .LBB487_85
; %bb.86:
	s_and_b32 s7, s7, 3
	s_delay_alu instid0(SALU_CYCLE_1)
	s_cmp_eq_u32 s7, 0
	s_cbranch_scc0 .LBB487_89
	s_branch .LBB487_91
.LBB487_87:
	s_mov_b32 s6, -1
                                        ; implicit-def: $vgpr10
                                        ; implicit-def: $vgpr11
	s_branch .LBB487_91
.LBB487_88:
	v_mov_b32_e32 v15, v13
	v_mov_b32_e32 v11, 0
	s_and_b32 s7, s7, 3
	s_delay_alu instid0(SALU_CYCLE_1)
	s_cmp_eq_u32 s7, 0
	s_cbranch_scc1 .LBB487_91
.LBB487_89:
	s_lshl_b32 s2, s8, 3
	s_mul_i32 s4, s8, 12
	s_add_u32 s2, s2, s0
	s_addc_u32 s3, 0, s1
	s_add_u32 s2, s2, 0xc4
	s_addc_u32 s3, s3, 0
	;; [unrolled: 2-line block ×3, first 2 shown]
	.p2align	6
.LBB487_90:                             ; =>This Inner Loop Header: Depth=1
	s_clause 0x1
	s_load_b64 s[8:9], s[4:5], 0x4
	s_load_b32 s12, s[4:5], 0xc
	s_load_b64 s[10:11], s[2:3], 0x0
	s_add_u32 s4, s4, 12
	s_addc_u32 s5, s5, 0
	s_add_u32 s2, s2, 8
	s_addc_u32 s3, s3, 0
	s_add_i32 s7, s7, -1
	s_delay_alu instid0(SALU_CYCLE_1) | instskip(SKIP_2) | instid1(VALU_DEP_1)
	s_cmp_lg_u32 s7, 0
	s_waitcnt lgkmcnt(0)
	v_mul_hi_u32 v17, s9, v15
	v_add_nc_u32_e32 v17, v15, v17
	s_delay_alu instid0(VALU_DEP_1) | instskip(NEXT) | instid1(VALU_DEP_1)
	v_lshrrev_b32_e32 v20, s12, v17
	v_mul_lo_u32 v17, v20, s8
	s_delay_alu instid0(VALU_DEP_1) | instskip(NEXT) | instid1(VALU_DEP_1)
	v_sub_nc_u32_e32 v15, v15, v17
	v_mad_u64_u32 v[17:18], null, v15, s10, v[10:11]
	v_mad_u64_u32 v[18:19], null, v15, s11, v[11:12]
	s_delay_alu instid0(VALU_DEP_2) | instskip(NEXT) | instid1(VALU_DEP_2)
	v_dual_mov_b32 v15, v20 :: v_dual_mov_b32 v10, v17
	v_mov_b32_e32 v11, v18
	s_cbranch_scc1 .LBB487_90
.LBB487_91:
	s_and_not1_b32 vcc_lo, exec_lo, s6
	s_cbranch_vccnz .LBB487_94
; %bb.92:
	s_clause 0x1
	s_load_b128 s[4:7], s[0:1], 0x4
	s_load_b64 s[2:3], s[0:1], 0xc4
	s_cmp_lt_u32 s22, 2
	s_waitcnt lgkmcnt(0)
	v_mul_hi_u32 v10, s5, v13
	s_delay_alu instid0(VALU_DEP_1) | instskip(NEXT) | instid1(VALU_DEP_1)
	v_add_nc_u32_e32 v10, v13, v10
	v_lshrrev_b32_e32 v15, s6, v10
	s_delay_alu instid0(VALU_DEP_1) | instskip(NEXT) | instid1(VALU_DEP_1)
	v_mul_lo_u32 v10, v15, s4
	v_sub_nc_u32_e32 v11, v13, v10
	s_delay_alu instid0(VALU_DEP_1)
	v_mul_lo_u32 v10, v11, s2
	v_mul_lo_u32 v11, v11, s3
	s_cbranch_scc1 .LBB487_94
; %bb.93:
	s_clause 0x1
	s_load_b128 s[4:7], s[0:1], 0x10
	s_load_b64 s[2:3], s[0:1], 0xcc
	s_waitcnt lgkmcnt(0)
	v_mul_hi_u32 v13, s5, v15
	s_delay_alu instid0(VALU_DEP_1) | instskip(NEXT) | instid1(VALU_DEP_1)
	v_add_nc_u32_e32 v13, v15, v13
	v_lshrrev_b32_e32 v13, s6, v13
	s_delay_alu instid0(VALU_DEP_1) | instskip(NEXT) | instid1(VALU_DEP_1)
	v_mul_lo_u32 v13, v13, s4
	v_sub_nc_u32_e32 v13, v15, v13
	s_delay_alu instid0(VALU_DEP_1) | instskip(SKIP_1) | instid1(VALU_DEP_1)
	v_mad_u64_u32 v[17:18], null, v13, s2, v[10:11]
	v_mad_u64_u32 v[18:19], null, v13, s3, v[11:12]
	v_dual_mov_b32 v10, v17 :: v_dual_mov_b32 v11, v18
.LBB487_94:
	v_cmp_ne_u32_e32 vcc_lo, 1, v14
	v_add_nc_u32_e32 v15, 0x300, v12
	s_cbranch_vccnz .LBB487_100
; %bb.95:
	v_dual_mov_b32 v12, 0 :: v_dual_mov_b32 v13, 0
	s_cmp_lg_u32 s22, 0
	s_mov_b32 s6, 0
	s_cbranch_scc0 .LBB487_104
; %bb.96:
	s_min_u32 s7, s23, 15
	v_mov_b32_e32 v12, 0
	s_add_i32 s7, s7, 1
	s_cmp_eq_u32 s23, 2
	s_mov_b32 s8, 0
	s_cbranch_scc1 .LBB487_101
; %bb.97:
	v_dual_mov_b32 v13, 0 :: v_dual_mov_b32 v12, 0
	v_mov_b32_e32 v17, v15
	s_add_u32 s2, s0, 0xc4
	s_addc_u32 s3, s1, 0
	s_and_b32 s8, s7, 28
	s_mov_b32 s9, 0
	s_mov_b64 s[4:5], s[0:1]
.LBB487_98:                             ; =>This Inner Loop Header: Depth=1
	s_clause 0x1
	s_load_b256 s[12:19], s[4:5], 0x4
	s_load_b128 s[36:39], s[4:5], 0x24
	s_load_b256 s[24:31], s[2:3], 0x0
	s_add_u32 s4, s4, 48
	s_addc_u32 s5, s5, 0
	s_add_i32 s9, s9, 4
	s_add_u32 s2, s2, 32
	s_addc_u32 s3, s3, 0
	s_cmp_lg_u32 s8, s9
	s_waitcnt lgkmcnt(0)
	v_mul_hi_u32 v18, s13, v17
	s_delay_alu instid0(VALU_DEP_1) | instskip(NEXT) | instid1(VALU_DEP_1)
	v_add_nc_u32_e32 v18, v17, v18
	v_lshrrev_b32_e32 v18, s14, v18
	s_delay_alu instid0(VALU_DEP_1) | instskip(SKIP_1) | instid1(VALU_DEP_2)
	v_mul_hi_u32 v19, s16, v18
	v_mul_lo_u32 v21, v18, s12
	v_add_nc_u32_e32 v19, v18, v19
	s_delay_alu instid0(VALU_DEP_2) | instskip(NEXT) | instid1(VALU_DEP_2)
	v_sub_nc_u32_e32 v17, v17, v21
	v_lshrrev_b32_e32 v19, s17, v19
	s_delay_alu instid0(VALU_DEP_2) | instskip(SKIP_1) | instid1(VALU_DEP_3)
	v_mul_lo_u32 v21, v17, s24
	v_mul_lo_u32 v23, v17, s25
	v_mul_hi_u32 v20, s19, v19
	s_delay_alu instid0(VALU_DEP_1) | instskip(NEXT) | instid1(VALU_DEP_1)
	v_add_nc_u32_e32 v20, v19, v20
	v_lshrrev_b32_e32 v20, s36, v20
	s_delay_alu instid0(VALU_DEP_1) | instskip(SKIP_1) | instid1(VALU_DEP_2)
	v_mul_hi_u32 v22, s38, v20
	v_mul_lo_u32 v24, v20, s18
	v_add_nc_u32_e32 v17, v20, v22
	v_mul_lo_u32 v22, v19, s15
	s_delay_alu instid0(VALU_DEP_3) | instskip(NEXT) | instid1(VALU_DEP_3)
	v_sub_nc_u32_e32 v19, v19, v24
	v_lshrrev_b32_e32 v17, s39, v17
	s_delay_alu instid0(VALU_DEP_2) | instskip(SKIP_2) | instid1(VALU_DEP_4)
	v_mul_lo_u32 v24, v19, s28
	v_mul_lo_u32 v19, v19, s29
	v_sub_nc_u32_e32 v18, v18, v22
	v_mul_lo_u32 v25, v17, s37
	s_delay_alu instid0(VALU_DEP_2) | instskip(SKIP_1) | instid1(VALU_DEP_3)
	v_mul_lo_u32 v22, v18, s26
	v_mul_lo_u32 v18, v18, s27
	v_sub_nc_u32_e32 v20, v20, v25
	s_delay_alu instid0(VALU_DEP_3) | instskip(NEXT) | instid1(VALU_DEP_2)
	v_add3_u32 v12, v21, v12, v22
	v_mul_lo_u32 v25, v20, s30
	v_mul_lo_u32 v20, v20, s31
	v_add3_u32 v13, v23, v13, v18
	s_delay_alu instid0(VALU_DEP_3) | instskip(NEXT) | instid1(VALU_DEP_2)
	v_add3_u32 v12, v24, v12, v25
	v_add3_u32 v13, v19, v13, v20
	s_cbranch_scc1 .LBB487_98
; %bb.99:
	s_and_b32 s7, s7, 3
	s_delay_alu instid0(SALU_CYCLE_1)
	s_cmp_eq_u32 s7, 0
	s_cbranch_scc0 .LBB487_102
	s_branch .LBB487_104
.LBB487_100:
	s_mov_b32 s6, -1
                                        ; implicit-def: $vgpr12
                                        ; implicit-def: $vgpr13
	s_branch .LBB487_104
.LBB487_101:
	v_mov_b32_e32 v17, v15
	v_mov_b32_e32 v13, 0
	s_and_b32 s7, s7, 3
	s_delay_alu instid0(SALU_CYCLE_1)
	s_cmp_eq_u32 s7, 0
	s_cbranch_scc1 .LBB487_104
.LBB487_102:
	s_lshl_b32 s2, s8, 3
	s_mul_i32 s4, s8, 12
	s_add_u32 s2, s2, s0
	s_addc_u32 s3, 0, s1
	s_add_u32 s2, s2, 0xc4
	s_addc_u32 s3, s3, 0
	;; [unrolled: 2-line block ×3, first 2 shown]
	.p2align	6
.LBB487_103:                            ; =>This Inner Loop Header: Depth=1
	s_clause 0x1
	s_load_b64 s[8:9], s[4:5], 0x4
	s_load_b32 s12, s[4:5], 0xc
	s_load_b64 s[10:11], s[2:3], 0x0
	s_add_u32 s4, s4, 12
	s_addc_u32 s5, s5, 0
	s_add_u32 s2, s2, 8
	s_addc_u32 s3, s3, 0
	s_add_i32 s7, s7, -1
	s_delay_alu instid0(SALU_CYCLE_1) | instskip(SKIP_2) | instid1(VALU_DEP_1)
	s_cmp_lg_u32 s7, 0
	s_waitcnt lgkmcnt(0)
	v_mul_hi_u32 v18, s9, v17
	v_add_nc_u32_e32 v18, v17, v18
	s_delay_alu instid0(VALU_DEP_1) | instskip(NEXT) | instid1(VALU_DEP_1)
	v_lshrrev_b32_e32 v21, s12, v18
	v_mul_lo_u32 v18, v21, s8
	s_delay_alu instid0(VALU_DEP_1) | instskip(NEXT) | instid1(VALU_DEP_1)
	v_sub_nc_u32_e32 v17, v17, v18
	v_mad_u64_u32 v[18:19], null, v17, s10, v[12:13]
	v_mad_u64_u32 v[19:20], null, v17, s11, v[13:14]
	s_delay_alu instid0(VALU_DEP_2) | instskip(NEXT) | instid1(VALU_DEP_2)
	v_dual_mov_b32 v17, v21 :: v_dual_mov_b32 v12, v18
	v_mov_b32_e32 v13, v19
	s_cbranch_scc1 .LBB487_103
.LBB487_104:
	s_and_not1_b32 vcc_lo, exec_lo, s6
	s_cbranch_vccnz .LBB487_107
; %bb.105:
	s_clause 0x1
	s_load_b128 s[4:7], s[0:1], 0x4
	s_load_b64 s[2:3], s[0:1], 0xc4
	s_cmp_lt_u32 s22, 2
	s_waitcnt lgkmcnt(0)
	v_mul_hi_u32 v12, s5, v15
	s_delay_alu instid0(VALU_DEP_1) | instskip(NEXT) | instid1(VALU_DEP_1)
	v_add_nc_u32_e32 v12, v15, v12
	v_lshrrev_b32_e32 v17, s6, v12
	s_delay_alu instid0(VALU_DEP_1) | instskip(NEXT) | instid1(VALU_DEP_1)
	v_mul_lo_u32 v12, v17, s4
	v_sub_nc_u32_e32 v13, v15, v12
	s_delay_alu instid0(VALU_DEP_1)
	v_mul_lo_u32 v12, v13, s2
	v_mul_lo_u32 v13, v13, s3
	s_cbranch_scc1 .LBB487_107
; %bb.106:
	s_clause 0x1
	s_load_b128 s[4:7], s[0:1], 0x10
	s_load_b64 s[2:3], s[0:1], 0xcc
	s_waitcnt lgkmcnt(0)
	v_mul_hi_u32 v15, s5, v17
	s_delay_alu instid0(VALU_DEP_1) | instskip(NEXT) | instid1(VALU_DEP_1)
	v_add_nc_u32_e32 v15, v17, v15
	v_lshrrev_b32_e32 v15, s6, v15
	s_delay_alu instid0(VALU_DEP_1) | instskip(NEXT) | instid1(VALU_DEP_1)
	v_mul_lo_u32 v15, v15, s4
	v_sub_nc_u32_e32 v15, v17, v15
	s_delay_alu instid0(VALU_DEP_1) | instskip(SKIP_1) | instid1(VALU_DEP_1)
	v_mad_u64_u32 v[17:18], null, v15, s2, v[12:13]
	v_mad_u64_u32 v[18:19], null, v15, s3, v[13:14]
	v_dual_mov_b32 v12, v17 :: v_dual_mov_b32 v13, v18
.LBB487_107:
	v_cmp_ne_u32_e32 vcc_lo, 1, v14
	s_cbranch_vccnz .LBB487_113
; %bb.108:
	v_dual_mov_b32 v14, 0 :: v_dual_mov_b32 v15, 0
	s_cmp_lg_u32 s22, 0
	s_mov_b32 s6, 0
	s_cbranch_scc0 .LBB487_117
; %bb.109:
	s_min_u32 s7, s23, 15
	v_mov_b32_e32 v14, 0
	s_add_i32 s7, s7, 1
	s_cmp_eq_u32 s23, 2
	s_mov_b32 s8, 0
	s_cbranch_scc1 .LBB487_114
; %bb.110:
	v_dual_mov_b32 v15, 0 :: v_dual_mov_b32 v14, 0
	v_mov_b32_e32 v17, v16
	s_add_u32 s2, s0, 0xc4
	s_addc_u32 s3, s1, 0
	s_and_b32 s8, s7, 28
	s_mov_b32 s9, 0
	s_mov_b64 s[4:5], s[0:1]
.LBB487_111:                            ; =>This Inner Loop Header: Depth=1
	s_clause 0x1
	s_load_b256 s[12:19], s[4:5], 0x4
	s_load_b128 s[36:39], s[4:5], 0x24
	s_load_b256 s[24:31], s[2:3], 0x0
	s_add_u32 s4, s4, 48
	s_addc_u32 s5, s5, 0
	s_add_i32 s9, s9, 4
	s_add_u32 s2, s2, 32
	s_addc_u32 s3, s3, 0
	s_cmp_lg_u32 s8, s9
	s_waitcnt lgkmcnt(0)
	v_mul_hi_u32 v18, s13, v17
	s_delay_alu instid0(VALU_DEP_1) | instskip(NEXT) | instid1(VALU_DEP_1)
	v_add_nc_u32_e32 v18, v17, v18
	v_lshrrev_b32_e32 v18, s14, v18
	s_delay_alu instid0(VALU_DEP_1) | instskip(SKIP_1) | instid1(VALU_DEP_2)
	v_mul_hi_u32 v19, s16, v18
	v_mul_lo_u32 v21, v18, s12
	v_add_nc_u32_e32 v19, v18, v19
	s_delay_alu instid0(VALU_DEP_2) | instskip(NEXT) | instid1(VALU_DEP_2)
	v_sub_nc_u32_e32 v17, v17, v21
	v_lshrrev_b32_e32 v19, s17, v19
	s_delay_alu instid0(VALU_DEP_2) | instskip(SKIP_1) | instid1(VALU_DEP_3)
	v_mul_lo_u32 v21, v17, s24
	v_mul_lo_u32 v23, v17, s25
	v_mul_hi_u32 v20, s19, v19
	s_delay_alu instid0(VALU_DEP_1) | instskip(NEXT) | instid1(VALU_DEP_1)
	v_add_nc_u32_e32 v20, v19, v20
	v_lshrrev_b32_e32 v20, s36, v20
	s_delay_alu instid0(VALU_DEP_1) | instskip(SKIP_1) | instid1(VALU_DEP_2)
	v_mul_hi_u32 v22, s38, v20
	v_mul_lo_u32 v24, v20, s18
	v_add_nc_u32_e32 v17, v20, v22
	v_mul_lo_u32 v22, v19, s15
	s_delay_alu instid0(VALU_DEP_3) | instskip(NEXT) | instid1(VALU_DEP_3)
	v_sub_nc_u32_e32 v19, v19, v24
	v_lshrrev_b32_e32 v17, s39, v17
	s_delay_alu instid0(VALU_DEP_2) | instskip(SKIP_2) | instid1(VALU_DEP_4)
	v_mul_lo_u32 v24, v19, s28
	v_mul_lo_u32 v19, v19, s29
	v_sub_nc_u32_e32 v18, v18, v22
	v_mul_lo_u32 v25, v17, s37
	s_delay_alu instid0(VALU_DEP_2) | instskip(SKIP_1) | instid1(VALU_DEP_3)
	v_mul_lo_u32 v22, v18, s26
	v_mul_lo_u32 v18, v18, s27
	v_sub_nc_u32_e32 v20, v20, v25
	s_delay_alu instid0(VALU_DEP_3) | instskip(NEXT) | instid1(VALU_DEP_2)
	v_add3_u32 v14, v21, v14, v22
	v_mul_lo_u32 v25, v20, s30
	v_mul_lo_u32 v20, v20, s31
	v_add3_u32 v15, v23, v15, v18
	s_delay_alu instid0(VALU_DEP_3) | instskip(NEXT) | instid1(VALU_DEP_2)
	v_add3_u32 v14, v24, v14, v25
	v_add3_u32 v15, v19, v15, v20
	s_cbranch_scc1 .LBB487_111
; %bb.112:
	s_and_b32 s7, s7, 3
	s_delay_alu instid0(SALU_CYCLE_1)
	s_cmp_eq_u32 s7, 0
	s_cbranch_scc0 .LBB487_115
	s_branch .LBB487_117
.LBB487_113:
	s_mov_b32 s6, -1
                                        ; implicit-def: $vgpr14
                                        ; implicit-def: $vgpr15
	s_branch .LBB487_117
.LBB487_114:
	v_mov_b32_e32 v17, v16
	v_mov_b32_e32 v15, 0
	s_and_b32 s7, s7, 3
	s_delay_alu instid0(SALU_CYCLE_1)
	s_cmp_eq_u32 s7, 0
	s_cbranch_scc1 .LBB487_117
.LBB487_115:
	s_lshl_b32 s2, s8, 3
	s_mul_i32 s4, s8, 12
	s_add_u32 s2, s2, s0
	s_addc_u32 s3, 0, s1
	s_add_u32 s2, s2, 0xc4
	s_addc_u32 s3, s3, 0
	;; [unrolled: 2-line block ×3, first 2 shown]
	.p2align	6
.LBB487_116:                            ; =>This Inner Loop Header: Depth=1
	s_clause 0x1
	s_load_b64 s[8:9], s[4:5], 0x4
	s_load_b32 s12, s[4:5], 0xc
	s_load_b64 s[10:11], s[2:3], 0x0
	s_add_u32 s4, s4, 12
	s_addc_u32 s5, s5, 0
	s_add_u32 s2, s2, 8
	s_addc_u32 s3, s3, 0
	s_add_i32 s7, s7, -1
	s_delay_alu instid0(SALU_CYCLE_1) | instskip(SKIP_2) | instid1(VALU_DEP_1)
	s_cmp_lg_u32 s7, 0
	s_waitcnt lgkmcnt(0)
	v_mul_hi_u32 v18, s9, v17
	v_add_nc_u32_e32 v18, v17, v18
	s_delay_alu instid0(VALU_DEP_1) | instskip(NEXT) | instid1(VALU_DEP_1)
	v_lshrrev_b32_e32 v21, s12, v18
	v_mul_lo_u32 v18, v21, s8
	s_delay_alu instid0(VALU_DEP_1) | instskip(NEXT) | instid1(VALU_DEP_1)
	v_sub_nc_u32_e32 v17, v17, v18
	v_mad_u64_u32 v[18:19], null, v17, s10, v[14:15]
	v_mad_u64_u32 v[19:20], null, v17, s11, v[15:16]
	s_delay_alu instid0(VALU_DEP_2) | instskip(NEXT) | instid1(VALU_DEP_2)
	v_dual_mov_b32 v17, v21 :: v_dual_mov_b32 v14, v18
	v_mov_b32_e32 v15, v19
	s_cbranch_scc1 .LBB487_116
.LBB487_117:
	s_and_not1_b32 vcc_lo, exec_lo, s6
	s_cbranch_vccnz .LBB487_120
; %bb.118:
	s_clause 0x1
	s_load_b128 s[4:7], s[0:1], 0x4
	s_load_b64 s[2:3], s[0:1], 0xc4
	s_cmp_lt_u32 s22, 2
	s_waitcnt lgkmcnt(0)
	v_mul_hi_u32 v14, s5, v16
	s_delay_alu instid0(VALU_DEP_1) | instskip(NEXT) | instid1(VALU_DEP_1)
	v_add_nc_u32_e32 v14, v16, v14
	v_lshrrev_b32_e32 v17, s6, v14
	s_delay_alu instid0(VALU_DEP_1) | instskip(NEXT) | instid1(VALU_DEP_1)
	v_mul_lo_u32 v14, v17, s4
	v_sub_nc_u32_e32 v15, v16, v14
	s_delay_alu instid0(VALU_DEP_1)
	v_mul_lo_u32 v14, v15, s2
	v_mul_lo_u32 v15, v15, s3
	s_cbranch_scc1 .LBB487_120
; %bb.119:
	s_clause 0x1
	s_load_b128 s[4:7], s[0:1], 0x10
	s_load_b64 s[2:3], s[0:1], 0xcc
	s_waitcnt lgkmcnt(0)
	v_mul_hi_u32 v16, s5, v17
	s_delay_alu instid0(VALU_DEP_1) | instskip(NEXT) | instid1(VALU_DEP_1)
	v_add_nc_u32_e32 v16, v17, v16
	v_lshrrev_b32_e32 v16, s6, v16
	s_delay_alu instid0(VALU_DEP_1) | instskip(NEXT) | instid1(VALU_DEP_1)
	v_mul_lo_u32 v16, v16, s4
	v_sub_nc_u32_e32 v19, v17, v16
	s_delay_alu instid0(VALU_DEP_1) | instskip(NEXT) | instid1(VALU_DEP_1)
	v_mad_u64_u32 v[16:17], null, v19, s2, v[14:15]
	v_mad_u64_u32 v[17:18], null, v19, s3, v[15:16]
	s_delay_alu instid0(VALU_DEP_1)
	v_dual_mov_b32 v14, v16 :: v_dual_mov_b32 v15, v17
.LBB487_120:
	s_clause 0x1
	s_load_b128 s[16:19], s[0:1], 0x148
	s_load_b32 s15, s[0:1], 0x158
	s_waitcnt lgkmcnt(0)
	s_clause 0x7
	global_load_u16 v1, v1, s[18:19]
	global_load_u16 v3, v3, s[18:19]
	;; [unrolled: 1-line block ×8, first 2 shown]
	s_lshl_b32 s14, s15, 16
	s_waitcnt vmcnt(7)
	v_lshlrev_b32_e32 v16, 16, v1
	s_waitcnt vmcnt(6)
	v_lshlrev_b32_e32 v17, 16, v3
	;; [unrolled: 2-line block ×5, first 2 shown]
	v_cmp_u_f32_e32 vcc_lo, v16, v16
	v_cmp_gt_f32_e64 s6, s14, v16
	v_cmp_u_f32_e64 s0, v17, v17
	v_cmp_gt_f32_e64 s7, s14, v17
	v_cmp_u_f32_e64 s1, v18, v18
	v_cmp_gt_f32_e64 s8, s14, v18
	s_waitcnt vmcnt(2)
	v_lshlrev_b32_e32 v21, 16, v11
	s_or_b32 vcc_lo, vcc_lo, s6
	v_cmp_u_f32_e64 s2, v19, v19
	v_cmp_gt_f32_e64 s9, s14, v19
	s_waitcnt vmcnt(1)
	v_lshlrev_b32_e32 v22, 16, v13
	v_cndmask_b32_e32 v1, s15, v1, vcc_lo
	s_or_b32 vcc_lo, s0, s7
	v_cmp_u_f32_e64 s3, v20, v20
	v_cmp_gt_f32_e64 s10, s14, v20
	s_waitcnt vmcnt(0)
	v_lshlrev_b32_e32 v23, 16, v15
	v_cndmask_b32_e32 v3, s15, v3, vcc_lo
	s_or_b32 vcc_lo, s1, s8
	v_cmp_u_f32_e64 s4, v21, v21
	v_cmp_gt_f32_e64 s11, s14, v21
	v_cndmask_b32_e32 v5, s15, v5, vcc_lo
	s_or_b32 vcc_lo, s2, s9
	v_cmp_u_f32_e64 s5, v22, v22
	v_cmp_gt_f32_e64 s12, s14, v22
	v_cndmask_b32_e32 v7, s15, v7, vcc_lo
	s_or_b32 vcc_lo, s3, s10
	v_cmp_u_f32_e64 s13, v23, v23
	v_cmp_gt_f32_e64 s14, s14, v23
	v_cndmask_b32_e32 v9, s15, v9, vcc_lo
	s_or_b32 vcc_lo, s4, s11
	v_cndmask_b32_e32 v11, s15, v11, vcc_lo
	s_or_b32 vcc_lo, s5, s12
	;; [unrolled: 2-line block ×3, first 2 shown]
	v_cndmask_b32_e32 v15, s15, v15, vcc_lo
	s_clause 0x7
	global_store_b16 v0, v1, s[16:17]
	global_store_b16 v2, v3, s[16:17]
	;; [unrolled: 1-line block ×8, first 2 shown]
	s_nop 0
	s_sendmsg sendmsg(MSG_DEALLOC_VGPRS)
	s_endpgm
.LBB487_121:
	v_dual_mov_b32 v2, v12 :: v_dual_mov_b32 v1, 0
.LBB487_122:
	s_and_b32 s36, s36, 3
	s_delay_alu instid0(SALU_CYCLE_1)
	s_cmp_eq_u32 s36, 0
	s_cbranch_scc1 .LBB487_125
; %bb.123:
	s_lshl_b32 s2, s35, 3
	s_mul_i32 s20, s35, 12
	s_add_u32 s2, s2, s0
	s_addc_u32 s3, s1, 0
	s_add_u32 s2, s2, 0xc4
	s_addc_u32 s3, s3, 0
	;; [unrolled: 2-line block ×3, first 2 shown]
	.p2align	6
.LBB487_124:                            ; =>This Inner Loop Header: Depth=1
	s_clause 0x1
	s_load_b64 s[38:39], s[20:21], 0x4
	s_load_b32 s35, s[20:21], 0xc
	s_load_b64 s[40:41], s[2:3], 0x0
	s_add_u32 s20, s20, 12
	s_addc_u32 s21, s21, 0
	s_add_u32 s2, s2, 8
	s_addc_u32 s3, s3, 0
	s_add_i32 s36, s36, -1
	s_delay_alu instid0(SALU_CYCLE_1) | instskip(SKIP_2) | instid1(VALU_DEP_1)
	s_cmp_lg_u32 s36, 0
	s_waitcnt lgkmcnt(0)
	v_mul_hi_u32 v3, s39, v2
	v_add_nc_u32_e32 v3, v2, v3
	s_delay_alu instid0(VALU_DEP_1) | instskip(NEXT) | instid1(VALU_DEP_1)
	v_lshrrev_b32_e32 v6, s35, v3
	v_mul_lo_u32 v3, v6, s38
	s_delay_alu instid0(VALU_DEP_1) | instskip(NEXT) | instid1(VALU_DEP_1)
	v_sub_nc_u32_e32 v2, v2, v3
	v_mad_u64_u32 v[3:4], null, v2, s40, v[0:1]
	v_mad_u64_u32 v[4:5], null, v2, s41, v[1:2]
	v_mov_b32_e32 v2, v6
	s_delay_alu instid0(VALU_DEP_2)
	v_dual_mov_b32 v0, v3 :: v_dual_mov_b32 v1, v4
	s_cbranch_scc1 .LBB487_124
.LBB487_125:
	s_and_not1_b32 vcc_lo, exec_lo, s34
	s_cbranch_vccnz .LBB487_128
; %bb.126:
	v_mul_hi_u32 v0, s9, v12
	s_and_not1_b32 vcc_lo, exec_lo, s28
	s_delay_alu instid0(VALU_DEP_1) | instskip(NEXT) | instid1(VALU_DEP_1)
	v_add_nc_u32_e32 v0, v12, v0
	v_lshrrev_b32_e32 v2, s10, v0
	s_delay_alu instid0(VALU_DEP_1) | instskip(NEXT) | instid1(VALU_DEP_1)
	v_mul_lo_u32 v0, v2, s8
	v_sub_nc_u32_e32 v1, v12, v0
	s_delay_alu instid0(VALU_DEP_1)
	v_mul_lo_u32 v0, v1, s12
	v_mul_lo_u32 v1, v1, s13
	s_cbranch_vccnz .LBB487_128
; %bb.127:
	v_mul_hi_u32 v3, s16, v2
	s_delay_alu instid0(VALU_DEP_1) | instskip(NEXT) | instid1(VALU_DEP_1)
	v_add_nc_u32_e32 v3, v2, v3
	v_lshrrev_b32_e32 v3, s17, v3
	s_delay_alu instid0(VALU_DEP_1) | instskip(NEXT) | instid1(VALU_DEP_1)
	v_mul_lo_u32 v3, v3, s11
	v_sub_nc_u32_e32 v5, v2, v3
	s_delay_alu instid0(VALU_DEP_1) | instskip(NEXT) | instid1(VALU_DEP_1)
	v_mad_u64_u32 v[2:3], null, v5, s14, v[0:1]
	v_mad_u64_u32 v[3:4], null, v5, s15, v[1:2]
	s_delay_alu instid0(VALU_DEP_1)
	v_dual_mov_b32 v0, v2 :: v_dual_mov_b32 v1, v3
.LBB487_128:
	global_load_u16 v1, v1, s[6:7]
	v_add_nc_u32_e32 v12, 0x80, v12
	s_waitcnt vmcnt(0)
	v_lshlrev_b32_e32 v2, 16, v1
	s_delay_alu instid0(VALU_DEP_1) | instskip(SKIP_1) | instid1(VALU_DEP_1)
	v_cmp_u_f32_e32 vcc_lo, v2, v2
	v_cmp_gt_f32_e64 s2, s27, v2
	s_or_b32 vcc_lo, vcc_lo, s2
	v_cndmask_b32_e32 v1, s26, v1, vcc_lo
	global_store_b16 v0, v1, s[4:5]
	s_or_b32 exec_lo, exec_lo, s33
	s_delay_alu instid0(SALU_CYCLE_1)
	s_mov_b32 s33, exec_lo
	v_cmpx_gt_i32_e64 s29, v12
	s_cbranch_execnz .LBB487_15
.LBB487_129:
	s_or_b32 exec_lo, exec_lo, s33
	s_delay_alu instid0(SALU_CYCLE_1)
	s_mov_b32 s33, exec_lo
	v_cmpx_gt_i32_e64 s29, v12
	s_cbranch_execz .LBB487_144
.LBB487_130:
	s_and_not1_b32 vcc_lo, exec_lo, s24
	s_cbranch_vccnz .LBB487_135
; %bb.131:
	v_dual_mov_b32 v0, 0 :: v_dual_mov_b32 v1, 0
	s_and_not1_b32 vcc_lo, exec_lo, s31
	s_mov_b32 s34, 0
	s_cbranch_vccnz .LBB487_155
; %bb.132:
	v_mov_b32_e32 v0, 0
	s_add_i32 s36, s30, 1
	s_cmp_eq_u32 s23, 2
	s_mov_b32 s35, 0
	s_cbranch_scc1 .LBB487_151
; %bb.133:
	v_dual_mov_b32 v1, 0 :: v_dual_mov_b32 v0, 0
	v_mov_b32_e32 v2, v12
	s_and_b32 s35, s36, 28
	s_mov_b32 s37, 0
	s_mov_b64 s[2:3], s[18:19]
	s_mov_b64 s[20:21], s[0:1]
.LBB487_134:                            ; =>This Inner Loop Header: Depth=1
	s_clause 0x1
	s_load_b256 s[40:47], s[20:21], 0x4
	s_load_b128 s[56:59], s[20:21], 0x24
	s_load_b256 s[48:55], s[2:3], 0x0
	s_add_u32 s20, s20, 48
	s_addc_u32 s21, s21, 0
	s_add_i32 s37, s37, 4
	s_add_u32 s2, s2, 32
	s_addc_u32 s3, s3, 0
	s_cmp_eq_u32 s35, s37
	s_waitcnt lgkmcnt(0)
	v_mul_hi_u32 v3, s41, v2
	s_delay_alu instid0(VALU_DEP_1) | instskip(NEXT) | instid1(VALU_DEP_1)
	v_add_nc_u32_e32 v3, v2, v3
	v_lshrrev_b32_e32 v3, s42, v3
	s_delay_alu instid0(VALU_DEP_1) | instskip(SKIP_1) | instid1(VALU_DEP_2)
	v_mul_hi_u32 v4, s44, v3
	v_mul_lo_u32 v6, v3, s40
	v_add_nc_u32_e32 v4, v3, v4
	s_delay_alu instid0(VALU_DEP_2) | instskip(NEXT) | instid1(VALU_DEP_2)
	v_sub_nc_u32_e32 v2, v2, v6
	v_lshrrev_b32_e32 v4, s45, v4
	s_delay_alu instid0(VALU_DEP_2) | instskip(SKIP_1) | instid1(VALU_DEP_3)
	v_mul_lo_u32 v6, v2, s48
	v_mul_lo_u32 v8, v2, s49
	v_mul_hi_u32 v5, s47, v4
	s_delay_alu instid0(VALU_DEP_1) | instskip(NEXT) | instid1(VALU_DEP_1)
	v_add_nc_u32_e32 v5, v4, v5
	v_lshrrev_b32_e32 v5, s56, v5
	s_delay_alu instid0(VALU_DEP_1) | instskip(SKIP_1) | instid1(VALU_DEP_2)
	v_mul_hi_u32 v7, s58, v5
	v_mul_lo_u32 v9, v5, s46
	v_add_nc_u32_e32 v2, v5, v7
	v_mul_lo_u32 v7, v4, s43
	s_delay_alu instid0(VALU_DEP_3) | instskip(NEXT) | instid1(VALU_DEP_3)
	v_sub_nc_u32_e32 v4, v4, v9
	v_lshrrev_b32_e32 v2, s59, v2
	s_delay_alu instid0(VALU_DEP_2) | instskip(SKIP_2) | instid1(VALU_DEP_4)
	v_mul_lo_u32 v9, v4, s52
	v_mul_lo_u32 v4, v4, s53
	v_sub_nc_u32_e32 v3, v3, v7
	v_mul_lo_u32 v10, v2, s57
	s_delay_alu instid0(VALU_DEP_2) | instskip(SKIP_1) | instid1(VALU_DEP_3)
	v_mul_lo_u32 v7, v3, s50
	v_mul_lo_u32 v3, v3, s51
	v_sub_nc_u32_e32 v5, v5, v10
	s_delay_alu instid0(VALU_DEP_3) | instskip(NEXT) | instid1(VALU_DEP_2)
	v_add3_u32 v0, v6, v0, v7
	v_mul_lo_u32 v10, v5, s54
	v_mul_lo_u32 v5, v5, s55
	v_add3_u32 v1, v8, v1, v3
	s_delay_alu instid0(VALU_DEP_3) | instskip(NEXT) | instid1(VALU_DEP_2)
	v_add3_u32 v0, v9, v0, v10
	v_add3_u32 v1, v4, v1, v5
	s_cbranch_scc0 .LBB487_134
	s_branch .LBB487_152
.LBB487_135:
	s_mov_b32 s34, -1
                                        ; implicit-def: $vgpr0
                                        ; implicit-def: $vgpr1
	s_branch .LBB487_155
.LBB487_136:
	v_dual_mov_b32 v2, v12 :: v_dual_mov_b32 v1, 0
.LBB487_137:
	s_and_b32 s36, s36, 3
	s_delay_alu instid0(SALU_CYCLE_1)
	s_cmp_eq_u32 s36, 0
	s_cbranch_scc1 .LBB487_140
; %bb.138:
	s_lshl_b32 s2, s35, 3
	s_mul_i32 s20, s35, 12
	s_add_u32 s2, s2, s0
	s_addc_u32 s3, s1, 0
	s_add_u32 s2, s2, 0xc4
	s_addc_u32 s3, s3, 0
	;; [unrolled: 2-line block ×3, first 2 shown]
	.p2align	6
.LBB487_139:                            ; =>This Inner Loop Header: Depth=1
	s_clause 0x1
	s_load_b64 s[38:39], s[20:21], 0x4
	s_load_b32 s35, s[20:21], 0xc
	s_load_b64 s[40:41], s[2:3], 0x0
	s_add_u32 s20, s20, 12
	s_addc_u32 s21, s21, 0
	s_add_u32 s2, s2, 8
	s_addc_u32 s3, s3, 0
	s_add_i32 s36, s36, -1
	s_delay_alu instid0(SALU_CYCLE_1) | instskip(SKIP_2) | instid1(VALU_DEP_1)
	s_cmp_lg_u32 s36, 0
	s_waitcnt lgkmcnt(0)
	v_mul_hi_u32 v3, s39, v2
	v_add_nc_u32_e32 v3, v2, v3
	s_delay_alu instid0(VALU_DEP_1) | instskip(NEXT) | instid1(VALU_DEP_1)
	v_lshrrev_b32_e32 v6, s35, v3
	v_mul_lo_u32 v3, v6, s38
	s_delay_alu instid0(VALU_DEP_1) | instskip(NEXT) | instid1(VALU_DEP_1)
	v_sub_nc_u32_e32 v2, v2, v3
	v_mad_u64_u32 v[3:4], null, v2, s40, v[0:1]
	v_mad_u64_u32 v[4:5], null, v2, s41, v[1:2]
	v_mov_b32_e32 v2, v6
	s_delay_alu instid0(VALU_DEP_2)
	v_dual_mov_b32 v0, v3 :: v_dual_mov_b32 v1, v4
	s_cbranch_scc1 .LBB487_139
.LBB487_140:
	s_and_not1_b32 vcc_lo, exec_lo, s34
	s_cbranch_vccnz .LBB487_143
; %bb.141:
	v_mul_hi_u32 v0, s9, v12
	s_and_not1_b32 vcc_lo, exec_lo, s28
	s_delay_alu instid0(VALU_DEP_1) | instskip(NEXT) | instid1(VALU_DEP_1)
	v_add_nc_u32_e32 v0, v12, v0
	v_lshrrev_b32_e32 v2, s10, v0
	s_delay_alu instid0(VALU_DEP_1) | instskip(NEXT) | instid1(VALU_DEP_1)
	v_mul_lo_u32 v0, v2, s8
	v_sub_nc_u32_e32 v1, v12, v0
	s_delay_alu instid0(VALU_DEP_1)
	v_mul_lo_u32 v0, v1, s12
	v_mul_lo_u32 v1, v1, s13
	s_cbranch_vccnz .LBB487_143
; %bb.142:
	v_mul_hi_u32 v3, s16, v2
	s_delay_alu instid0(VALU_DEP_1) | instskip(NEXT) | instid1(VALU_DEP_1)
	v_add_nc_u32_e32 v3, v2, v3
	v_lshrrev_b32_e32 v3, s17, v3
	s_delay_alu instid0(VALU_DEP_1) | instskip(NEXT) | instid1(VALU_DEP_1)
	v_mul_lo_u32 v3, v3, s11
	v_sub_nc_u32_e32 v5, v2, v3
	s_delay_alu instid0(VALU_DEP_1) | instskip(NEXT) | instid1(VALU_DEP_1)
	v_mad_u64_u32 v[2:3], null, v5, s14, v[0:1]
	v_mad_u64_u32 v[3:4], null, v5, s15, v[1:2]
	s_delay_alu instid0(VALU_DEP_1)
	v_dual_mov_b32 v0, v2 :: v_dual_mov_b32 v1, v3
.LBB487_143:
	global_load_u16 v1, v1, s[6:7]
	v_add_nc_u32_e32 v12, 0x80, v12
	s_waitcnt vmcnt(0)
	v_lshlrev_b32_e32 v2, 16, v1
	s_delay_alu instid0(VALU_DEP_1) | instskip(SKIP_1) | instid1(VALU_DEP_1)
	v_cmp_u_f32_e32 vcc_lo, v2, v2
	v_cmp_gt_f32_e64 s2, s27, v2
	s_or_b32 vcc_lo, vcc_lo, s2
	v_cndmask_b32_e32 v1, s26, v1, vcc_lo
	global_store_b16 v0, v1, s[4:5]
	s_or_b32 exec_lo, exec_lo, s33
	s_delay_alu instid0(SALU_CYCLE_1)
	s_mov_b32 s33, exec_lo
	v_cmpx_gt_i32_e64 s29, v12
	s_cbranch_execnz .LBB487_130
.LBB487_144:
	s_or_b32 exec_lo, exec_lo, s33
	s_delay_alu instid0(SALU_CYCLE_1)
	s_mov_b32 s33, exec_lo
	v_cmpx_gt_i32_e64 s29, v12
	s_cbranch_execz .LBB487_159
.LBB487_145:
	s_and_not1_b32 vcc_lo, exec_lo, s24
	s_cbranch_vccnz .LBB487_150
; %bb.146:
	v_dual_mov_b32 v0, 0 :: v_dual_mov_b32 v1, 0
	s_and_not1_b32 vcc_lo, exec_lo, s31
	s_mov_b32 s34, 0
	s_cbranch_vccnz .LBB487_170
; %bb.147:
	v_mov_b32_e32 v0, 0
	s_add_i32 s36, s30, 1
	s_cmp_eq_u32 s23, 2
	s_mov_b32 s35, 0
	s_cbranch_scc1 .LBB487_166
; %bb.148:
	v_dual_mov_b32 v1, 0 :: v_dual_mov_b32 v0, 0
	v_mov_b32_e32 v2, v12
	s_and_b32 s35, s36, 28
	s_mov_b32 s37, 0
	s_mov_b64 s[2:3], s[18:19]
	s_mov_b64 s[20:21], s[0:1]
.LBB487_149:                            ; =>This Inner Loop Header: Depth=1
	s_clause 0x1
	s_load_b256 s[40:47], s[20:21], 0x4
	s_load_b128 s[56:59], s[20:21], 0x24
	s_load_b256 s[48:55], s[2:3], 0x0
	s_add_u32 s20, s20, 48
	s_addc_u32 s21, s21, 0
	s_add_i32 s37, s37, 4
	s_add_u32 s2, s2, 32
	s_addc_u32 s3, s3, 0
	s_cmp_eq_u32 s35, s37
	s_waitcnt lgkmcnt(0)
	v_mul_hi_u32 v3, s41, v2
	s_delay_alu instid0(VALU_DEP_1) | instskip(NEXT) | instid1(VALU_DEP_1)
	v_add_nc_u32_e32 v3, v2, v3
	v_lshrrev_b32_e32 v3, s42, v3
	s_delay_alu instid0(VALU_DEP_1) | instskip(SKIP_1) | instid1(VALU_DEP_2)
	v_mul_hi_u32 v4, s44, v3
	v_mul_lo_u32 v6, v3, s40
	v_add_nc_u32_e32 v4, v3, v4
	s_delay_alu instid0(VALU_DEP_2) | instskip(NEXT) | instid1(VALU_DEP_2)
	v_sub_nc_u32_e32 v2, v2, v6
	v_lshrrev_b32_e32 v4, s45, v4
	s_delay_alu instid0(VALU_DEP_2) | instskip(SKIP_1) | instid1(VALU_DEP_3)
	v_mul_lo_u32 v6, v2, s48
	v_mul_lo_u32 v8, v2, s49
	v_mul_hi_u32 v5, s47, v4
	s_delay_alu instid0(VALU_DEP_1) | instskip(NEXT) | instid1(VALU_DEP_1)
	v_add_nc_u32_e32 v5, v4, v5
	v_lshrrev_b32_e32 v5, s56, v5
	s_delay_alu instid0(VALU_DEP_1) | instskip(SKIP_1) | instid1(VALU_DEP_2)
	v_mul_hi_u32 v7, s58, v5
	v_mul_lo_u32 v9, v5, s46
	v_add_nc_u32_e32 v2, v5, v7
	v_mul_lo_u32 v7, v4, s43
	s_delay_alu instid0(VALU_DEP_3) | instskip(NEXT) | instid1(VALU_DEP_3)
	v_sub_nc_u32_e32 v4, v4, v9
	v_lshrrev_b32_e32 v2, s59, v2
	s_delay_alu instid0(VALU_DEP_2) | instskip(SKIP_2) | instid1(VALU_DEP_4)
	v_mul_lo_u32 v9, v4, s52
	v_mul_lo_u32 v4, v4, s53
	v_sub_nc_u32_e32 v3, v3, v7
	v_mul_lo_u32 v10, v2, s57
	s_delay_alu instid0(VALU_DEP_2) | instskip(SKIP_1) | instid1(VALU_DEP_3)
	v_mul_lo_u32 v7, v3, s50
	v_mul_lo_u32 v3, v3, s51
	v_sub_nc_u32_e32 v5, v5, v10
	s_delay_alu instid0(VALU_DEP_3) | instskip(NEXT) | instid1(VALU_DEP_2)
	v_add3_u32 v0, v6, v0, v7
	v_mul_lo_u32 v10, v5, s54
	v_mul_lo_u32 v5, v5, s55
	v_add3_u32 v1, v8, v1, v3
	s_delay_alu instid0(VALU_DEP_3) | instskip(NEXT) | instid1(VALU_DEP_2)
	v_add3_u32 v0, v9, v0, v10
	v_add3_u32 v1, v4, v1, v5
	s_cbranch_scc0 .LBB487_149
	s_branch .LBB487_167
.LBB487_150:
	s_mov_b32 s34, -1
                                        ; implicit-def: $vgpr0
                                        ; implicit-def: $vgpr1
	s_branch .LBB487_170
.LBB487_151:
	v_dual_mov_b32 v2, v12 :: v_dual_mov_b32 v1, 0
.LBB487_152:
	s_and_b32 s36, s36, 3
	s_delay_alu instid0(SALU_CYCLE_1)
	s_cmp_eq_u32 s36, 0
	s_cbranch_scc1 .LBB487_155
; %bb.153:
	s_lshl_b32 s2, s35, 3
	s_mul_i32 s20, s35, 12
	s_add_u32 s2, s2, s0
	s_addc_u32 s3, s1, 0
	s_add_u32 s2, s2, 0xc4
	s_addc_u32 s3, s3, 0
	;; [unrolled: 2-line block ×3, first 2 shown]
	.p2align	6
.LBB487_154:                            ; =>This Inner Loop Header: Depth=1
	s_clause 0x1
	s_load_b64 s[38:39], s[20:21], 0x4
	s_load_b32 s35, s[20:21], 0xc
	s_load_b64 s[40:41], s[2:3], 0x0
	s_add_u32 s20, s20, 12
	s_addc_u32 s21, s21, 0
	s_add_u32 s2, s2, 8
	s_addc_u32 s3, s3, 0
	s_add_i32 s36, s36, -1
	s_delay_alu instid0(SALU_CYCLE_1) | instskip(SKIP_2) | instid1(VALU_DEP_1)
	s_cmp_lg_u32 s36, 0
	s_waitcnt lgkmcnt(0)
	v_mul_hi_u32 v3, s39, v2
	v_add_nc_u32_e32 v3, v2, v3
	s_delay_alu instid0(VALU_DEP_1) | instskip(NEXT) | instid1(VALU_DEP_1)
	v_lshrrev_b32_e32 v6, s35, v3
	v_mul_lo_u32 v3, v6, s38
	s_delay_alu instid0(VALU_DEP_1) | instskip(NEXT) | instid1(VALU_DEP_1)
	v_sub_nc_u32_e32 v2, v2, v3
	v_mad_u64_u32 v[3:4], null, v2, s40, v[0:1]
	v_mad_u64_u32 v[4:5], null, v2, s41, v[1:2]
	v_mov_b32_e32 v2, v6
	s_delay_alu instid0(VALU_DEP_2)
	v_dual_mov_b32 v0, v3 :: v_dual_mov_b32 v1, v4
	s_cbranch_scc1 .LBB487_154
.LBB487_155:
	s_and_not1_b32 vcc_lo, exec_lo, s34
	s_cbranch_vccnz .LBB487_158
; %bb.156:
	v_mul_hi_u32 v0, s9, v12
	s_and_not1_b32 vcc_lo, exec_lo, s28
	s_delay_alu instid0(VALU_DEP_1) | instskip(NEXT) | instid1(VALU_DEP_1)
	v_add_nc_u32_e32 v0, v12, v0
	v_lshrrev_b32_e32 v2, s10, v0
	s_delay_alu instid0(VALU_DEP_1) | instskip(NEXT) | instid1(VALU_DEP_1)
	v_mul_lo_u32 v0, v2, s8
	v_sub_nc_u32_e32 v1, v12, v0
	s_delay_alu instid0(VALU_DEP_1)
	v_mul_lo_u32 v0, v1, s12
	v_mul_lo_u32 v1, v1, s13
	s_cbranch_vccnz .LBB487_158
; %bb.157:
	v_mul_hi_u32 v3, s16, v2
	s_delay_alu instid0(VALU_DEP_1) | instskip(NEXT) | instid1(VALU_DEP_1)
	v_add_nc_u32_e32 v3, v2, v3
	v_lshrrev_b32_e32 v3, s17, v3
	s_delay_alu instid0(VALU_DEP_1) | instskip(NEXT) | instid1(VALU_DEP_1)
	v_mul_lo_u32 v3, v3, s11
	v_sub_nc_u32_e32 v5, v2, v3
	s_delay_alu instid0(VALU_DEP_1) | instskip(NEXT) | instid1(VALU_DEP_1)
	v_mad_u64_u32 v[2:3], null, v5, s14, v[0:1]
	v_mad_u64_u32 v[3:4], null, v5, s15, v[1:2]
	s_delay_alu instid0(VALU_DEP_1)
	v_dual_mov_b32 v0, v2 :: v_dual_mov_b32 v1, v3
.LBB487_158:
	global_load_u16 v1, v1, s[6:7]
	v_add_nc_u32_e32 v12, 0x80, v12
	s_waitcnt vmcnt(0)
	v_lshlrev_b32_e32 v2, 16, v1
	s_delay_alu instid0(VALU_DEP_1) | instskip(SKIP_1) | instid1(VALU_DEP_1)
	v_cmp_u_f32_e32 vcc_lo, v2, v2
	v_cmp_gt_f32_e64 s2, s27, v2
	s_or_b32 vcc_lo, vcc_lo, s2
	v_cndmask_b32_e32 v1, s26, v1, vcc_lo
	global_store_b16 v0, v1, s[4:5]
	s_or_b32 exec_lo, exec_lo, s33
	s_delay_alu instid0(SALU_CYCLE_1)
	s_mov_b32 s33, exec_lo
	v_cmpx_gt_i32_e64 s29, v12
	s_cbranch_execnz .LBB487_145
.LBB487_159:
	s_or_b32 exec_lo, exec_lo, s33
	s_delay_alu instid0(SALU_CYCLE_1)
	s_mov_b32 s33, exec_lo
	v_cmpx_gt_i32_e64 s29, v12
	s_cbranch_execz .LBB487_174
.LBB487_160:
	s_and_not1_b32 vcc_lo, exec_lo, s24
	s_cbranch_vccnz .LBB487_165
; %bb.161:
	v_dual_mov_b32 v0, 0 :: v_dual_mov_b32 v1, 0
	s_and_not1_b32 vcc_lo, exec_lo, s31
	s_mov_b32 s34, 0
	s_cbranch_vccnz .LBB487_185
; %bb.162:
	v_mov_b32_e32 v0, 0
	s_add_i32 s36, s30, 1
	s_cmp_eq_u32 s23, 2
	s_mov_b32 s35, 0
	s_cbranch_scc1 .LBB487_181
; %bb.163:
	v_dual_mov_b32 v1, 0 :: v_dual_mov_b32 v0, 0
	v_mov_b32_e32 v2, v12
	s_and_b32 s35, s36, 28
	s_mov_b32 s37, 0
	s_mov_b64 s[2:3], s[18:19]
	s_mov_b64 s[20:21], s[0:1]
.LBB487_164:                            ; =>This Inner Loop Header: Depth=1
	s_clause 0x1
	s_load_b256 s[40:47], s[20:21], 0x4
	s_load_b128 s[56:59], s[20:21], 0x24
	s_load_b256 s[48:55], s[2:3], 0x0
	s_add_u32 s20, s20, 48
	s_addc_u32 s21, s21, 0
	s_add_i32 s37, s37, 4
	s_add_u32 s2, s2, 32
	s_addc_u32 s3, s3, 0
	s_cmp_eq_u32 s35, s37
	s_waitcnt lgkmcnt(0)
	v_mul_hi_u32 v3, s41, v2
	s_delay_alu instid0(VALU_DEP_1) | instskip(NEXT) | instid1(VALU_DEP_1)
	v_add_nc_u32_e32 v3, v2, v3
	v_lshrrev_b32_e32 v3, s42, v3
	s_delay_alu instid0(VALU_DEP_1) | instskip(SKIP_1) | instid1(VALU_DEP_2)
	v_mul_hi_u32 v4, s44, v3
	v_mul_lo_u32 v6, v3, s40
	v_add_nc_u32_e32 v4, v3, v4
	s_delay_alu instid0(VALU_DEP_2) | instskip(NEXT) | instid1(VALU_DEP_2)
	v_sub_nc_u32_e32 v2, v2, v6
	v_lshrrev_b32_e32 v4, s45, v4
	s_delay_alu instid0(VALU_DEP_2) | instskip(SKIP_1) | instid1(VALU_DEP_3)
	v_mul_lo_u32 v6, v2, s48
	v_mul_lo_u32 v8, v2, s49
	v_mul_hi_u32 v5, s47, v4
	s_delay_alu instid0(VALU_DEP_1) | instskip(NEXT) | instid1(VALU_DEP_1)
	v_add_nc_u32_e32 v5, v4, v5
	v_lshrrev_b32_e32 v5, s56, v5
	s_delay_alu instid0(VALU_DEP_1) | instskip(SKIP_1) | instid1(VALU_DEP_2)
	v_mul_hi_u32 v7, s58, v5
	v_mul_lo_u32 v9, v5, s46
	v_add_nc_u32_e32 v2, v5, v7
	v_mul_lo_u32 v7, v4, s43
	s_delay_alu instid0(VALU_DEP_3) | instskip(NEXT) | instid1(VALU_DEP_3)
	v_sub_nc_u32_e32 v4, v4, v9
	v_lshrrev_b32_e32 v2, s59, v2
	s_delay_alu instid0(VALU_DEP_2) | instskip(SKIP_2) | instid1(VALU_DEP_4)
	v_mul_lo_u32 v9, v4, s52
	v_mul_lo_u32 v4, v4, s53
	v_sub_nc_u32_e32 v3, v3, v7
	v_mul_lo_u32 v10, v2, s57
	s_delay_alu instid0(VALU_DEP_2) | instskip(SKIP_1) | instid1(VALU_DEP_3)
	v_mul_lo_u32 v7, v3, s50
	v_mul_lo_u32 v3, v3, s51
	v_sub_nc_u32_e32 v5, v5, v10
	s_delay_alu instid0(VALU_DEP_3) | instskip(NEXT) | instid1(VALU_DEP_2)
	v_add3_u32 v0, v6, v0, v7
	v_mul_lo_u32 v10, v5, s54
	v_mul_lo_u32 v5, v5, s55
	v_add3_u32 v1, v8, v1, v3
	s_delay_alu instid0(VALU_DEP_3) | instskip(NEXT) | instid1(VALU_DEP_2)
	v_add3_u32 v0, v9, v0, v10
	v_add3_u32 v1, v4, v1, v5
	s_cbranch_scc0 .LBB487_164
	s_branch .LBB487_182
.LBB487_165:
	s_mov_b32 s34, -1
                                        ; implicit-def: $vgpr0
                                        ; implicit-def: $vgpr1
	s_branch .LBB487_185
.LBB487_166:
	v_dual_mov_b32 v2, v12 :: v_dual_mov_b32 v1, 0
.LBB487_167:
	s_and_b32 s36, s36, 3
	s_delay_alu instid0(SALU_CYCLE_1)
	s_cmp_eq_u32 s36, 0
	s_cbranch_scc1 .LBB487_170
; %bb.168:
	s_lshl_b32 s2, s35, 3
	s_mul_i32 s20, s35, 12
	s_add_u32 s2, s2, s0
	s_addc_u32 s3, s1, 0
	s_add_u32 s2, s2, 0xc4
	s_addc_u32 s3, s3, 0
	;; [unrolled: 2-line block ×3, first 2 shown]
	.p2align	6
.LBB487_169:                            ; =>This Inner Loop Header: Depth=1
	s_clause 0x1
	s_load_b64 s[38:39], s[20:21], 0x4
	s_load_b32 s35, s[20:21], 0xc
	s_load_b64 s[40:41], s[2:3], 0x0
	s_add_u32 s20, s20, 12
	s_addc_u32 s21, s21, 0
	s_add_u32 s2, s2, 8
	s_addc_u32 s3, s3, 0
	s_add_i32 s36, s36, -1
	s_delay_alu instid0(SALU_CYCLE_1) | instskip(SKIP_2) | instid1(VALU_DEP_1)
	s_cmp_lg_u32 s36, 0
	s_waitcnt lgkmcnt(0)
	v_mul_hi_u32 v3, s39, v2
	v_add_nc_u32_e32 v3, v2, v3
	s_delay_alu instid0(VALU_DEP_1) | instskip(NEXT) | instid1(VALU_DEP_1)
	v_lshrrev_b32_e32 v6, s35, v3
	v_mul_lo_u32 v3, v6, s38
	s_delay_alu instid0(VALU_DEP_1) | instskip(NEXT) | instid1(VALU_DEP_1)
	v_sub_nc_u32_e32 v2, v2, v3
	v_mad_u64_u32 v[3:4], null, v2, s40, v[0:1]
	v_mad_u64_u32 v[4:5], null, v2, s41, v[1:2]
	v_mov_b32_e32 v2, v6
	s_delay_alu instid0(VALU_DEP_2)
	v_dual_mov_b32 v0, v3 :: v_dual_mov_b32 v1, v4
	s_cbranch_scc1 .LBB487_169
.LBB487_170:
	s_and_not1_b32 vcc_lo, exec_lo, s34
	s_cbranch_vccnz .LBB487_173
; %bb.171:
	v_mul_hi_u32 v0, s9, v12
	s_and_not1_b32 vcc_lo, exec_lo, s28
	s_delay_alu instid0(VALU_DEP_1) | instskip(NEXT) | instid1(VALU_DEP_1)
	v_add_nc_u32_e32 v0, v12, v0
	v_lshrrev_b32_e32 v2, s10, v0
	s_delay_alu instid0(VALU_DEP_1) | instskip(NEXT) | instid1(VALU_DEP_1)
	v_mul_lo_u32 v0, v2, s8
	v_sub_nc_u32_e32 v1, v12, v0
	s_delay_alu instid0(VALU_DEP_1)
	v_mul_lo_u32 v0, v1, s12
	v_mul_lo_u32 v1, v1, s13
	s_cbranch_vccnz .LBB487_173
; %bb.172:
	v_mul_hi_u32 v3, s16, v2
	s_delay_alu instid0(VALU_DEP_1) | instskip(NEXT) | instid1(VALU_DEP_1)
	v_add_nc_u32_e32 v3, v2, v3
	v_lshrrev_b32_e32 v3, s17, v3
	s_delay_alu instid0(VALU_DEP_1) | instskip(NEXT) | instid1(VALU_DEP_1)
	v_mul_lo_u32 v3, v3, s11
	v_sub_nc_u32_e32 v5, v2, v3
	s_delay_alu instid0(VALU_DEP_1) | instskip(NEXT) | instid1(VALU_DEP_1)
	v_mad_u64_u32 v[2:3], null, v5, s14, v[0:1]
	v_mad_u64_u32 v[3:4], null, v5, s15, v[1:2]
	s_delay_alu instid0(VALU_DEP_1)
	v_dual_mov_b32 v0, v2 :: v_dual_mov_b32 v1, v3
.LBB487_173:
	global_load_u16 v1, v1, s[6:7]
	v_add_nc_u32_e32 v12, 0x80, v12
	s_waitcnt vmcnt(0)
	v_lshlrev_b32_e32 v2, 16, v1
	s_delay_alu instid0(VALU_DEP_1) | instskip(SKIP_1) | instid1(VALU_DEP_1)
	v_cmp_u_f32_e32 vcc_lo, v2, v2
	v_cmp_gt_f32_e64 s2, s27, v2
	s_or_b32 vcc_lo, vcc_lo, s2
	v_cndmask_b32_e32 v1, s26, v1, vcc_lo
	global_store_b16 v0, v1, s[4:5]
	s_or_b32 exec_lo, exec_lo, s33
	s_delay_alu instid0(SALU_CYCLE_1)
	s_mov_b32 s33, exec_lo
	v_cmpx_gt_i32_e64 s29, v12
	s_cbranch_execnz .LBB487_160
.LBB487_174:
	s_or_b32 exec_lo, exec_lo, s33
	s_delay_alu instid0(SALU_CYCLE_1)
	s_mov_b32 s33, exec_lo
	v_cmpx_gt_i32_e64 s29, v12
	s_cbranch_execz .LBB487_189
.LBB487_175:
	s_and_not1_b32 vcc_lo, exec_lo, s24
	s_cbranch_vccnz .LBB487_180
; %bb.176:
	v_dual_mov_b32 v0, 0 :: v_dual_mov_b32 v1, 0
	s_and_not1_b32 vcc_lo, exec_lo, s31
	s_mov_b32 s34, 0
	s_cbranch_vccnz .LBB487_200
; %bb.177:
	v_mov_b32_e32 v0, 0
	s_add_i32 s36, s30, 1
	s_cmp_eq_u32 s23, 2
	s_mov_b32 s35, 0
	s_cbranch_scc1 .LBB487_196
; %bb.178:
	v_dual_mov_b32 v1, 0 :: v_dual_mov_b32 v0, 0
	v_mov_b32_e32 v2, v12
	s_and_b32 s35, s36, 28
	s_mov_b32 s37, 0
	s_mov_b64 s[2:3], s[18:19]
	s_mov_b64 s[20:21], s[0:1]
.LBB487_179:                            ; =>This Inner Loop Header: Depth=1
	s_clause 0x1
	s_load_b256 s[40:47], s[20:21], 0x4
	s_load_b128 s[56:59], s[20:21], 0x24
	s_load_b256 s[48:55], s[2:3], 0x0
	s_add_u32 s20, s20, 48
	s_addc_u32 s21, s21, 0
	s_add_i32 s37, s37, 4
	s_add_u32 s2, s2, 32
	s_addc_u32 s3, s3, 0
	s_cmp_eq_u32 s35, s37
	s_waitcnt lgkmcnt(0)
	v_mul_hi_u32 v3, s41, v2
	s_delay_alu instid0(VALU_DEP_1) | instskip(NEXT) | instid1(VALU_DEP_1)
	v_add_nc_u32_e32 v3, v2, v3
	v_lshrrev_b32_e32 v3, s42, v3
	s_delay_alu instid0(VALU_DEP_1) | instskip(SKIP_1) | instid1(VALU_DEP_2)
	v_mul_hi_u32 v4, s44, v3
	v_mul_lo_u32 v6, v3, s40
	v_add_nc_u32_e32 v4, v3, v4
	s_delay_alu instid0(VALU_DEP_2) | instskip(NEXT) | instid1(VALU_DEP_2)
	v_sub_nc_u32_e32 v2, v2, v6
	v_lshrrev_b32_e32 v4, s45, v4
	s_delay_alu instid0(VALU_DEP_2) | instskip(SKIP_1) | instid1(VALU_DEP_3)
	v_mul_lo_u32 v6, v2, s48
	v_mul_lo_u32 v8, v2, s49
	v_mul_hi_u32 v5, s47, v4
	s_delay_alu instid0(VALU_DEP_1) | instskip(NEXT) | instid1(VALU_DEP_1)
	v_add_nc_u32_e32 v5, v4, v5
	v_lshrrev_b32_e32 v5, s56, v5
	s_delay_alu instid0(VALU_DEP_1) | instskip(SKIP_1) | instid1(VALU_DEP_2)
	v_mul_hi_u32 v7, s58, v5
	v_mul_lo_u32 v9, v5, s46
	v_add_nc_u32_e32 v2, v5, v7
	v_mul_lo_u32 v7, v4, s43
	s_delay_alu instid0(VALU_DEP_3) | instskip(NEXT) | instid1(VALU_DEP_3)
	v_sub_nc_u32_e32 v4, v4, v9
	v_lshrrev_b32_e32 v2, s59, v2
	s_delay_alu instid0(VALU_DEP_2) | instskip(SKIP_2) | instid1(VALU_DEP_4)
	v_mul_lo_u32 v9, v4, s52
	v_mul_lo_u32 v4, v4, s53
	v_sub_nc_u32_e32 v3, v3, v7
	v_mul_lo_u32 v10, v2, s57
	s_delay_alu instid0(VALU_DEP_2) | instskip(SKIP_1) | instid1(VALU_DEP_3)
	v_mul_lo_u32 v7, v3, s50
	v_mul_lo_u32 v3, v3, s51
	v_sub_nc_u32_e32 v5, v5, v10
	s_delay_alu instid0(VALU_DEP_3) | instskip(NEXT) | instid1(VALU_DEP_2)
	v_add3_u32 v0, v6, v0, v7
	v_mul_lo_u32 v10, v5, s54
	v_mul_lo_u32 v5, v5, s55
	v_add3_u32 v1, v8, v1, v3
	s_delay_alu instid0(VALU_DEP_3) | instskip(NEXT) | instid1(VALU_DEP_2)
	v_add3_u32 v0, v9, v0, v10
	v_add3_u32 v1, v4, v1, v5
	s_cbranch_scc0 .LBB487_179
	s_branch .LBB487_197
.LBB487_180:
	s_mov_b32 s34, -1
                                        ; implicit-def: $vgpr0
                                        ; implicit-def: $vgpr1
	s_branch .LBB487_200
.LBB487_181:
	v_dual_mov_b32 v2, v12 :: v_dual_mov_b32 v1, 0
.LBB487_182:
	s_and_b32 s36, s36, 3
	s_delay_alu instid0(SALU_CYCLE_1)
	s_cmp_eq_u32 s36, 0
	s_cbranch_scc1 .LBB487_185
; %bb.183:
	s_lshl_b32 s2, s35, 3
	s_mul_i32 s20, s35, 12
	s_add_u32 s2, s2, s0
	s_addc_u32 s3, s1, 0
	s_add_u32 s2, s2, 0xc4
	s_addc_u32 s3, s3, 0
	;; [unrolled: 2-line block ×3, first 2 shown]
	.p2align	6
.LBB487_184:                            ; =>This Inner Loop Header: Depth=1
	s_clause 0x1
	s_load_b64 s[38:39], s[20:21], 0x4
	s_load_b32 s35, s[20:21], 0xc
	s_load_b64 s[40:41], s[2:3], 0x0
	s_add_u32 s20, s20, 12
	s_addc_u32 s21, s21, 0
	s_add_u32 s2, s2, 8
	s_addc_u32 s3, s3, 0
	s_add_i32 s36, s36, -1
	s_delay_alu instid0(SALU_CYCLE_1) | instskip(SKIP_2) | instid1(VALU_DEP_1)
	s_cmp_lg_u32 s36, 0
	s_waitcnt lgkmcnt(0)
	v_mul_hi_u32 v3, s39, v2
	v_add_nc_u32_e32 v3, v2, v3
	s_delay_alu instid0(VALU_DEP_1) | instskip(NEXT) | instid1(VALU_DEP_1)
	v_lshrrev_b32_e32 v6, s35, v3
	v_mul_lo_u32 v3, v6, s38
	s_delay_alu instid0(VALU_DEP_1) | instskip(NEXT) | instid1(VALU_DEP_1)
	v_sub_nc_u32_e32 v2, v2, v3
	v_mad_u64_u32 v[3:4], null, v2, s40, v[0:1]
	v_mad_u64_u32 v[4:5], null, v2, s41, v[1:2]
	v_mov_b32_e32 v2, v6
	s_delay_alu instid0(VALU_DEP_2)
	v_dual_mov_b32 v0, v3 :: v_dual_mov_b32 v1, v4
	s_cbranch_scc1 .LBB487_184
.LBB487_185:
	s_and_not1_b32 vcc_lo, exec_lo, s34
	s_cbranch_vccnz .LBB487_188
; %bb.186:
	v_mul_hi_u32 v0, s9, v12
	s_and_not1_b32 vcc_lo, exec_lo, s28
	s_delay_alu instid0(VALU_DEP_1) | instskip(NEXT) | instid1(VALU_DEP_1)
	v_add_nc_u32_e32 v0, v12, v0
	v_lshrrev_b32_e32 v2, s10, v0
	s_delay_alu instid0(VALU_DEP_1) | instskip(NEXT) | instid1(VALU_DEP_1)
	v_mul_lo_u32 v0, v2, s8
	v_sub_nc_u32_e32 v1, v12, v0
	s_delay_alu instid0(VALU_DEP_1)
	v_mul_lo_u32 v0, v1, s12
	v_mul_lo_u32 v1, v1, s13
	s_cbranch_vccnz .LBB487_188
; %bb.187:
	v_mul_hi_u32 v3, s16, v2
	s_delay_alu instid0(VALU_DEP_1) | instskip(NEXT) | instid1(VALU_DEP_1)
	v_add_nc_u32_e32 v3, v2, v3
	v_lshrrev_b32_e32 v3, s17, v3
	s_delay_alu instid0(VALU_DEP_1) | instskip(NEXT) | instid1(VALU_DEP_1)
	v_mul_lo_u32 v3, v3, s11
	v_sub_nc_u32_e32 v5, v2, v3
	s_delay_alu instid0(VALU_DEP_1) | instskip(NEXT) | instid1(VALU_DEP_1)
	v_mad_u64_u32 v[2:3], null, v5, s14, v[0:1]
	v_mad_u64_u32 v[3:4], null, v5, s15, v[1:2]
	s_delay_alu instid0(VALU_DEP_1)
	v_dual_mov_b32 v0, v2 :: v_dual_mov_b32 v1, v3
.LBB487_188:
	global_load_u16 v1, v1, s[6:7]
	v_add_nc_u32_e32 v12, 0x80, v12
	s_waitcnt vmcnt(0)
	v_lshlrev_b32_e32 v2, 16, v1
	s_delay_alu instid0(VALU_DEP_1) | instskip(SKIP_1) | instid1(VALU_DEP_1)
	v_cmp_u_f32_e32 vcc_lo, v2, v2
	v_cmp_gt_f32_e64 s2, s27, v2
	s_or_b32 vcc_lo, vcc_lo, s2
	v_cndmask_b32_e32 v1, s26, v1, vcc_lo
	global_store_b16 v0, v1, s[4:5]
	s_or_b32 exec_lo, exec_lo, s33
	s_delay_alu instid0(SALU_CYCLE_1)
	s_mov_b32 s33, exec_lo
	v_cmpx_gt_i32_e64 s29, v12
	s_cbranch_execnz .LBB487_175
.LBB487_189:
	s_or_b32 exec_lo, exec_lo, s33
	s_delay_alu instid0(SALU_CYCLE_1)
	s_mov_b32 s33, exec_lo
	v_cmpx_gt_i32_e64 s29, v12
	s_cbranch_execz .LBB487_204
.LBB487_190:
	s_and_not1_b32 vcc_lo, exec_lo, s24
	s_cbranch_vccnz .LBB487_195
; %bb.191:
	v_dual_mov_b32 v0, 0 :: v_dual_mov_b32 v1, 0
	s_and_not1_b32 vcc_lo, exec_lo, s31
	s_mov_b32 s34, 0
	s_cbranch_vccnz .LBB487_211
; %bb.192:
	v_mov_b32_e32 v0, 0
	s_add_i32 s36, s30, 1
	s_cmp_eq_u32 s23, 2
	s_mov_b32 s35, 0
	s_cbranch_scc1 .LBB487_207
; %bb.193:
	v_dual_mov_b32 v1, 0 :: v_dual_mov_b32 v0, 0
	v_mov_b32_e32 v2, v12
	s_and_b32 s35, s36, 28
	s_mov_b32 s37, 0
	s_mov_b64 s[2:3], s[18:19]
	s_mov_b64 s[20:21], s[0:1]
.LBB487_194:                            ; =>This Inner Loop Header: Depth=1
	s_clause 0x1
	s_load_b256 s[40:47], s[20:21], 0x4
	s_load_b128 s[56:59], s[20:21], 0x24
	s_load_b256 s[48:55], s[2:3], 0x0
	s_add_u32 s20, s20, 48
	s_addc_u32 s21, s21, 0
	s_add_i32 s37, s37, 4
	s_add_u32 s2, s2, 32
	s_addc_u32 s3, s3, 0
	s_cmp_eq_u32 s35, s37
	s_waitcnt lgkmcnt(0)
	v_mul_hi_u32 v3, s41, v2
	s_delay_alu instid0(VALU_DEP_1) | instskip(NEXT) | instid1(VALU_DEP_1)
	v_add_nc_u32_e32 v3, v2, v3
	v_lshrrev_b32_e32 v3, s42, v3
	s_delay_alu instid0(VALU_DEP_1) | instskip(SKIP_1) | instid1(VALU_DEP_2)
	v_mul_hi_u32 v4, s44, v3
	v_mul_lo_u32 v6, v3, s40
	v_add_nc_u32_e32 v4, v3, v4
	s_delay_alu instid0(VALU_DEP_2) | instskip(NEXT) | instid1(VALU_DEP_2)
	v_sub_nc_u32_e32 v2, v2, v6
	v_lshrrev_b32_e32 v4, s45, v4
	s_delay_alu instid0(VALU_DEP_2) | instskip(SKIP_1) | instid1(VALU_DEP_3)
	v_mul_lo_u32 v6, v2, s48
	v_mul_lo_u32 v8, v2, s49
	v_mul_hi_u32 v5, s47, v4
	s_delay_alu instid0(VALU_DEP_1) | instskip(NEXT) | instid1(VALU_DEP_1)
	v_add_nc_u32_e32 v5, v4, v5
	v_lshrrev_b32_e32 v5, s56, v5
	s_delay_alu instid0(VALU_DEP_1) | instskip(SKIP_1) | instid1(VALU_DEP_2)
	v_mul_hi_u32 v7, s58, v5
	v_mul_lo_u32 v9, v5, s46
	v_add_nc_u32_e32 v2, v5, v7
	v_mul_lo_u32 v7, v4, s43
	s_delay_alu instid0(VALU_DEP_3) | instskip(NEXT) | instid1(VALU_DEP_3)
	v_sub_nc_u32_e32 v4, v4, v9
	v_lshrrev_b32_e32 v2, s59, v2
	s_delay_alu instid0(VALU_DEP_2) | instskip(SKIP_2) | instid1(VALU_DEP_4)
	v_mul_lo_u32 v9, v4, s52
	v_mul_lo_u32 v4, v4, s53
	v_sub_nc_u32_e32 v3, v3, v7
	v_mul_lo_u32 v10, v2, s57
	s_delay_alu instid0(VALU_DEP_2) | instskip(SKIP_1) | instid1(VALU_DEP_3)
	v_mul_lo_u32 v7, v3, s50
	v_mul_lo_u32 v3, v3, s51
	v_sub_nc_u32_e32 v5, v5, v10
	s_delay_alu instid0(VALU_DEP_3) | instskip(NEXT) | instid1(VALU_DEP_2)
	v_add3_u32 v0, v6, v0, v7
	v_mul_lo_u32 v10, v5, s54
	v_mul_lo_u32 v5, v5, s55
	v_add3_u32 v1, v8, v1, v3
	s_delay_alu instid0(VALU_DEP_3) | instskip(NEXT) | instid1(VALU_DEP_2)
	v_add3_u32 v0, v9, v0, v10
	v_add3_u32 v1, v4, v1, v5
	s_cbranch_scc0 .LBB487_194
	s_branch .LBB487_208
.LBB487_195:
	s_mov_b32 s34, -1
                                        ; implicit-def: $vgpr0
                                        ; implicit-def: $vgpr1
	s_branch .LBB487_211
.LBB487_196:
	v_dual_mov_b32 v2, v12 :: v_dual_mov_b32 v1, 0
.LBB487_197:
	s_and_b32 s36, s36, 3
	s_delay_alu instid0(SALU_CYCLE_1)
	s_cmp_eq_u32 s36, 0
	s_cbranch_scc1 .LBB487_200
; %bb.198:
	s_lshl_b32 s2, s35, 3
	s_mul_i32 s20, s35, 12
	s_add_u32 s2, s2, s0
	s_addc_u32 s3, s1, 0
	s_add_u32 s2, s2, 0xc4
	s_addc_u32 s3, s3, 0
	;; [unrolled: 2-line block ×3, first 2 shown]
	.p2align	6
.LBB487_199:                            ; =>This Inner Loop Header: Depth=1
	s_clause 0x1
	s_load_b64 s[38:39], s[20:21], 0x4
	s_load_b32 s35, s[20:21], 0xc
	s_load_b64 s[40:41], s[2:3], 0x0
	s_add_u32 s20, s20, 12
	s_addc_u32 s21, s21, 0
	s_add_u32 s2, s2, 8
	s_addc_u32 s3, s3, 0
	s_add_i32 s36, s36, -1
	s_delay_alu instid0(SALU_CYCLE_1) | instskip(SKIP_2) | instid1(VALU_DEP_1)
	s_cmp_lg_u32 s36, 0
	s_waitcnt lgkmcnt(0)
	v_mul_hi_u32 v3, s39, v2
	v_add_nc_u32_e32 v3, v2, v3
	s_delay_alu instid0(VALU_DEP_1) | instskip(NEXT) | instid1(VALU_DEP_1)
	v_lshrrev_b32_e32 v6, s35, v3
	v_mul_lo_u32 v3, v6, s38
	s_delay_alu instid0(VALU_DEP_1) | instskip(NEXT) | instid1(VALU_DEP_1)
	v_sub_nc_u32_e32 v2, v2, v3
	v_mad_u64_u32 v[3:4], null, v2, s40, v[0:1]
	v_mad_u64_u32 v[4:5], null, v2, s41, v[1:2]
	v_mov_b32_e32 v2, v6
	s_delay_alu instid0(VALU_DEP_2)
	v_dual_mov_b32 v0, v3 :: v_dual_mov_b32 v1, v4
	s_cbranch_scc1 .LBB487_199
.LBB487_200:
	s_and_not1_b32 vcc_lo, exec_lo, s34
	s_cbranch_vccnz .LBB487_203
; %bb.201:
	v_mul_hi_u32 v0, s9, v12
	s_and_not1_b32 vcc_lo, exec_lo, s28
	s_delay_alu instid0(VALU_DEP_1) | instskip(NEXT) | instid1(VALU_DEP_1)
	v_add_nc_u32_e32 v0, v12, v0
	v_lshrrev_b32_e32 v2, s10, v0
	s_delay_alu instid0(VALU_DEP_1) | instskip(NEXT) | instid1(VALU_DEP_1)
	v_mul_lo_u32 v0, v2, s8
	v_sub_nc_u32_e32 v1, v12, v0
	s_delay_alu instid0(VALU_DEP_1)
	v_mul_lo_u32 v0, v1, s12
	v_mul_lo_u32 v1, v1, s13
	s_cbranch_vccnz .LBB487_203
; %bb.202:
	v_mul_hi_u32 v3, s16, v2
	s_delay_alu instid0(VALU_DEP_1) | instskip(NEXT) | instid1(VALU_DEP_1)
	v_add_nc_u32_e32 v3, v2, v3
	v_lshrrev_b32_e32 v3, s17, v3
	s_delay_alu instid0(VALU_DEP_1) | instskip(NEXT) | instid1(VALU_DEP_1)
	v_mul_lo_u32 v3, v3, s11
	v_sub_nc_u32_e32 v5, v2, v3
	s_delay_alu instid0(VALU_DEP_1) | instskip(NEXT) | instid1(VALU_DEP_1)
	v_mad_u64_u32 v[2:3], null, v5, s14, v[0:1]
	v_mad_u64_u32 v[3:4], null, v5, s15, v[1:2]
	s_delay_alu instid0(VALU_DEP_1)
	v_dual_mov_b32 v0, v2 :: v_dual_mov_b32 v1, v3
.LBB487_203:
	global_load_u16 v1, v1, s[6:7]
	v_add_nc_u32_e32 v12, 0x80, v12
	s_waitcnt vmcnt(0)
	v_lshlrev_b32_e32 v2, 16, v1
	s_delay_alu instid0(VALU_DEP_1) | instskip(SKIP_1) | instid1(VALU_DEP_1)
	v_cmp_u_f32_e32 vcc_lo, v2, v2
	v_cmp_gt_f32_e64 s2, s27, v2
	s_or_b32 vcc_lo, vcc_lo, s2
	v_cndmask_b32_e32 v1, s26, v1, vcc_lo
	global_store_b16 v0, v1, s[4:5]
	s_or_b32 exec_lo, exec_lo, s33
	s_delay_alu instid0(SALU_CYCLE_1)
	s_mov_b32 s33, exec_lo
	v_cmpx_gt_i32_e64 s29, v12
	s_cbranch_execnz .LBB487_190
.LBB487_204:
	s_or_b32 exec_lo, exec_lo, s33
	s_delay_alu instid0(SALU_CYCLE_1)
	s_mov_b32 s20, exec_lo
	v_cmpx_gt_i32_e64 s29, v12
	s_cbranch_execnz .LBB487_215
.LBB487_205:
	s_or_b32 exec_lo, exec_lo, s20
                                        ; implicit-def: $vgpr16
                                        ; implicit-def: $vgpr12
	s_and_not1_saveexec_b32 s2, s25
	s_cbranch_execnz .LBB487_8
.LBB487_206:
	s_nop 0
	s_sendmsg sendmsg(MSG_DEALLOC_VGPRS)
	s_endpgm
.LBB487_207:
	v_dual_mov_b32 v2, v12 :: v_dual_mov_b32 v1, 0
.LBB487_208:
	s_and_b32 s36, s36, 3
	s_delay_alu instid0(SALU_CYCLE_1)
	s_cmp_eq_u32 s36, 0
	s_cbranch_scc1 .LBB487_211
; %bb.209:
	s_lshl_b32 s2, s35, 3
	s_mul_i32 s20, s35, 12
	s_add_u32 s2, s2, s0
	s_addc_u32 s3, s1, 0
	s_add_u32 s2, s2, 0xc4
	s_addc_u32 s3, s3, 0
	;; [unrolled: 2-line block ×3, first 2 shown]
	.p2align	6
.LBB487_210:                            ; =>This Inner Loop Header: Depth=1
	s_clause 0x1
	s_load_b64 s[38:39], s[20:21], 0x4
	s_load_b32 s35, s[20:21], 0xc
	s_load_b64 s[40:41], s[2:3], 0x0
	s_add_u32 s20, s20, 12
	s_addc_u32 s21, s21, 0
	s_add_u32 s2, s2, 8
	s_addc_u32 s3, s3, 0
	s_add_i32 s36, s36, -1
	s_delay_alu instid0(SALU_CYCLE_1) | instskip(SKIP_2) | instid1(VALU_DEP_1)
	s_cmp_lg_u32 s36, 0
	s_waitcnt lgkmcnt(0)
	v_mul_hi_u32 v3, s39, v2
	v_add_nc_u32_e32 v3, v2, v3
	s_delay_alu instid0(VALU_DEP_1) | instskip(NEXT) | instid1(VALU_DEP_1)
	v_lshrrev_b32_e32 v6, s35, v3
	v_mul_lo_u32 v3, v6, s38
	s_delay_alu instid0(VALU_DEP_1) | instskip(NEXT) | instid1(VALU_DEP_1)
	v_sub_nc_u32_e32 v2, v2, v3
	v_mad_u64_u32 v[3:4], null, v2, s40, v[0:1]
	v_mad_u64_u32 v[4:5], null, v2, s41, v[1:2]
	v_mov_b32_e32 v2, v6
	s_delay_alu instid0(VALU_DEP_2)
	v_dual_mov_b32 v0, v3 :: v_dual_mov_b32 v1, v4
	s_cbranch_scc1 .LBB487_210
.LBB487_211:
	s_and_not1_b32 vcc_lo, exec_lo, s34
	s_cbranch_vccnz .LBB487_214
; %bb.212:
	v_mul_hi_u32 v0, s9, v12
	s_and_not1_b32 vcc_lo, exec_lo, s28
	s_delay_alu instid0(VALU_DEP_1) | instskip(NEXT) | instid1(VALU_DEP_1)
	v_add_nc_u32_e32 v0, v12, v0
	v_lshrrev_b32_e32 v2, s10, v0
	s_delay_alu instid0(VALU_DEP_1) | instskip(NEXT) | instid1(VALU_DEP_1)
	v_mul_lo_u32 v0, v2, s8
	v_sub_nc_u32_e32 v1, v12, v0
	s_delay_alu instid0(VALU_DEP_1)
	v_mul_lo_u32 v0, v1, s12
	v_mul_lo_u32 v1, v1, s13
	s_cbranch_vccnz .LBB487_214
; %bb.213:
	v_mul_hi_u32 v3, s16, v2
	s_delay_alu instid0(VALU_DEP_1) | instskip(NEXT) | instid1(VALU_DEP_1)
	v_add_nc_u32_e32 v3, v2, v3
	v_lshrrev_b32_e32 v3, s17, v3
	s_delay_alu instid0(VALU_DEP_1) | instskip(NEXT) | instid1(VALU_DEP_1)
	v_mul_lo_u32 v3, v3, s11
	v_sub_nc_u32_e32 v5, v2, v3
	s_delay_alu instid0(VALU_DEP_1) | instskip(NEXT) | instid1(VALU_DEP_1)
	v_mad_u64_u32 v[2:3], null, v5, s14, v[0:1]
	v_mad_u64_u32 v[3:4], null, v5, s15, v[1:2]
	s_delay_alu instid0(VALU_DEP_1)
	v_dual_mov_b32 v0, v2 :: v_dual_mov_b32 v1, v3
.LBB487_214:
	global_load_u16 v1, v1, s[6:7]
	v_add_nc_u32_e32 v12, 0x80, v12
	s_waitcnt vmcnt(0)
	v_lshlrev_b32_e32 v2, 16, v1
	s_delay_alu instid0(VALU_DEP_1) | instskip(SKIP_1) | instid1(VALU_DEP_1)
	v_cmp_u_f32_e32 vcc_lo, v2, v2
	v_cmp_gt_f32_e64 s2, s27, v2
	s_or_b32 vcc_lo, vcc_lo, s2
	v_cndmask_b32_e32 v1, s26, v1, vcc_lo
	global_store_b16 v0, v1, s[4:5]
	s_or_b32 exec_lo, exec_lo, s33
	s_delay_alu instid0(SALU_CYCLE_1)
	s_mov_b32 s20, exec_lo
	v_cmpx_gt_i32_e64 s29, v12
	s_cbranch_execz .LBB487_205
.LBB487_215:
	s_and_not1_b32 vcc_lo, exec_lo, s24
	s_cbranch_vccnz .LBB487_220
; %bb.216:
	v_dual_mov_b32 v0, 0 :: v_dual_mov_b32 v1, 0
	s_and_not1_b32 vcc_lo, exec_lo, s31
	s_mov_b32 s21, 0
	s_cbranch_vccnz .LBB487_225
; %bb.217:
	v_mov_b32_e32 v0, 0
	s_add_i32 s30, s30, 1
	s_cmp_eq_u32 s23, 2
	s_mov_b32 s29, 0
	s_cbranch_scc1 .LBB487_221
; %bb.218:
	v_dual_mov_b32 v1, 0 :: v_dual_mov_b32 v0, 0
	v_mov_b32_e32 v2, v12
	s_and_b32 s29, s30, 28
	s_mov_b32 s31, 0
	s_mov_b64 s[2:3], s[0:1]
.LBB487_219:                            ; =>This Inner Loop Header: Depth=1
	s_clause 0x1
	s_load_b256 s[36:43], s[2:3], 0x4
	s_load_b128 s[52:55], s[2:3], 0x24
	s_load_b256 s[44:51], s[18:19], 0x0
	s_add_u32 s2, s2, 48
	s_addc_u32 s3, s3, 0
	s_add_i32 s31, s31, 4
	s_add_u32 s18, s18, 32
	s_addc_u32 s19, s19, 0
	s_cmp_eq_u32 s29, s31
	s_waitcnt lgkmcnt(0)
	v_mul_hi_u32 v3, s37, v2
	s_delay_alu instid0(VALU_DEP_1) | instskip(NEXT) | instid1(VALU_DEP_1)
	v_add_nc_u32_e32 v3, v2, v3
	v_lshrrev_b32_e32 v3, s38, v3
	s_delay_alu instid0(VALU_DEP_1) | instskip(SKIP_1) | instid1(VALU_DEP_2)
	v_mul_hi_u32 v4, s40, v3
	v_mul_lo_u32 v6, v3, s36
	v_add_nc_u32_e32 v4, v3, v4
	s_delay_alu instid0(VALU_DEP_2) | instskip(NEXT) | instid1(VALU_DEP_2)
	v_sub_nc_u32_e32 v2, v2, v6
	v_lshrrev_b32_e32 v4, s41, v4
	s_delay_alu instid0(VALU_DEP_2) | instskip(SKIP_1) | instid1(VALU_DEP_3)
	v_mul_lo_u32 v6, v2, s44
	v_mul_lo_u32 v8, v2, s45
	v_mul_hi_u32 v5, s43, v4
	s_delay_alu instid0(VALU_DEP_1) | instskip(NEXT) | instid1(VALU_DEP_1)
	v_add_nc_u32_e32 v5, v4, v5
	v_lshrrev_b32_e32 v5, s52, v5
	s_delay_alu instid0(VALU_DEP_1) | instskip(SKIP_1) | instid1(VALU_DEP_2)
	v_mul_hi_u32 v7, s54, v5
	v_mul_lo_u32 v9, v5, s42
	v_add_nc_u32_e32 v2, v5, v7
	v_mul_lo_u32 v7, v4, s39
	s_delay_alu instid0(VALU_DEP_3) | instskip(NEXT) | instid1(VALU_DEP_3)
	v_sub_nc_u32_e32 v4, v4, v9
	v_lshrrev_b32_e32 v2, s55, v2
	s_delay_alu instid0(VALU_DEP_2) | instskip(SKIP_2) | instid1(VALU_DEP_4)
	v_mul_lo_u32 v9, v4, s48
	v_mul_lo_u32 v4, v4, s49
	v_sub_nc_u32_e32 v3, v3, v7
	v_mul_lo_u32 v10, v2, s53
	s_delay_alu instid0(VALU_DEP_2) | instskip(SKIP_1) | instid1(VALU_DEP_3)
	v_mul_lo_u32 v7, v3, s46
	v_mul_lo_u32 v3, v3, s47
	v_sub_nc_u32_e32 v5, v5, v10
	s_delay_alu instid0(VALU_DEP_3) | instskip(NEXT) | instid1(VALU_DEP_2)
	v_add3_u32 v0, v6, v0, v7
	v_mul_lo_u32 v10, v5, s50
	v_mul_lo_u32 v5, v5, s51
	v_add3_u32 v1, v8, v1, v3
	s_delay_alu instid0(VALU_DEP_3) | instskip(NEXT) | instid1(VALU_DEP_2)
	v_add3_u32 v0, v9, v0, v10
	v_add3_u32 v1, v4, v1, v5
	s_cbranch_scc0 .LBB487_219
	s_branch .LBB487_222
.LBB487_220:
	s_mov_b32 s21, -1
                                        ; implicit-def: $vgpr0
                                        ; implicit-def: $vgpr1
	s_branch .LBB487_225
.LBB487_221:
	v_dual_mov_b32 v2, v12 :: v_dual_mov_b32 v1, 0
.LBB487_222:
	s_and_b32 s30, s30, 3
	s_delay_alu instid0(SALU_CYCLE_1)
	s_cmp_eq_u32 s30, 0
	s_cbranch_scc1 .LBB487_225
; %bb.223:
	s_lshl_b32 s2, s29, 3
	s_mul_i32 s18, s29, 12
	s_add_u32 s2, s2, s0
	s_addc_u32 s3, s1, 0
	s_add_u32 s2, s2, 0xc4
	s_addc_u32 s3, s3, 0
	;; [unrolled: 2-line block ×3, first 2 shown]
	.p2align	6
.LBB487_224:                            ; =>This Inner Loop Header: Depth=1
	s_clause 0x1
	s_load_b64 s[34:35], s[18:19], 0x4
	s_load_b32 s29, s[18:19], 0xc
	s_load_b64 s[36:37], s[2:3], 0x0
	s_add_u32 s18, s18, 12
	s_addc_u32 s19, s19, 0
	s_add_u32 s2, s2, 8
	s_addc_u32 s3, s3, 0
	s_add_i32 s30, s30, -1
	s_delay_alu instid0(SALU_CYCLE_1) | instskip(SKIP_2) | instid1(VALU_DEP_1)
	s_cmp_lg_u32 s30, 0
	s_waitcnt lgkmcnt(0)
	v_mul_hi_u32 v3, s35, v2
	v_add_nc_u32_e32 v3, v2, v3
	s_delay_alu instid0(VALU_DEP_1) | instskip(NEXT) | instid1(VALU_DEP_1)
	v_lshrrev_b32_e32 v6, s29, v3
	v_mul_lo_u32 v3, v6, s34
	s_delay_alu instid0(VALU_DEP_1) | instskip(NEXT) | instid1(VALU_DEP_1)
	v_sub_nc_u32_e32 v2, v2, v3
	v_mad_u64_u32 v[3:4], null, v2, s36, v[0:1]
	v_mad_u64_u32 v[4:5], null, v2, s37, v[1:2]
	v_mov_b32_e32 v2, v6
	s_delay_alu instid0(VALU_DEP_2)
	v_dual_mov_b32 v0, v3 :: v_dual_mov_b32 v1, v4
	s_cbranch_scc1 .LBB487_224
.LBB487_225:
	s_and_not1_b32 vcc_lo, exec_lo, s21
	s_cbranch_vccnz .LBB487_228
; %bb.226:
	v_mul_hi_u32 v0, s9, v12
	s_and_not1_b32 vcc_lo, exec_lo, s28
	s_delay_alu instid0(VALU_DEP_1) | instskip(NEXT) | instid1(VALU_DEP_1)
	v_add_nc_u32_e32 v0, v12, v0
	v_lshrrev_b32_e32 v2, s10, v0
	s_delay_alu instid0(VALU_DEP_1) | instskip(NEXT) | instid1(VALU_DEP_1)
	v_mul_lo_u32 v0, v2, s8
	v_sub_nc_u32_e32 v1, v12, v0
	s_delay_alu instid0(VALU_DEP_1)
	v_mul_lo_u32 v0, v1, s12
	v_mul_lo_u32 v1, v1, s13
	s_cbranch_vccnz .LBB487_228
; %bb.227:
	v_mul_hi_u32 v3, s16, v2
	s_delay_alu instid0(VALU_DEP_1) | instskip(NEXT) | instid1(VALU_DEP_1)
	v_add_nc_u32_e32 v3, v2, v3
	v_lshrrev_b32_e32 v3, s17, v3
	s_delay_alu instid0(VALU_DEP_1) | instskip(NEXT) | instid1(VALU_DEP_1)
	v_mul_lo_u32 v3, v3, s11
	v_sub_nc_u32_e32 v5, v2, v3
	s_delay_alu instid0(VALU_DEP_1) | instskip(NEXT) | instid1(VALU_DEP_1)
	v_mad_u64_u32 v[2:3], null, v5, s14, v[0:1]
	v_mad_u64_u32 v[3:4], null, v5, s15, v[1:2]
	s_delay_alu instid0(VALU_DEP_1)
	v_dual_mov_b32 v0, v2 :: v_dual_mov_b32 v1, v3
.LBB487_228:
	global_load_u16 v1, v1, s[6:7]
	s_waitcnt vmcnt(0)
	v_lshlrev_b32_e32 v2, 16, v1
	s_delay_alu instid0(VALU_DEP_1) | instskip(SKIP_1) | instid1(VALU_DEP_1)
	v_cmp_u_f32_e32 vcc_lo, v2, v2
	v_cmp_gt_f32_e64 s2, s27, v2
	s_or_b32 vcc_lo, vcc_lo, s2
	v_cndmask_b32_e32 v1, s26, v1, vcc_lo
	global_store_b16 v0, v1, s[4:5]
	s_or_b32 exec_lo, exec_lo, s20
                                        ; implicit-def: $vgpr16
                                        ; implicit-def: $vgpr12
	s_and_not1_saveexec_b32 s2, s25
	s_cbranch_execz .LBB487_206
	s_branch .LBB487_8
	.section	.rodata,"a",@progbits
	.p2align	6, 0x0
	.amdhsa_kernel _ZN2at6native32elementwise_kernel_manual_unrollILi128ELi8EZNS0_22gpu_kernel_impl_nocastIZZZNS0_21clamp_max_kernel_cudaERNS_18TensorIteratorBaseERKN3c106ScalarEENKUlvE_clEvENKUlvE7_clEvEUlNS5_8BFloat16EE_EEvS4_RKT_EUlibE_EEviT1_
		.amdhsa_group_segment_fixed_size 0
		.amdhsa_private_segment_fixed_size 0
		.amdhsa_kernarg_size 360
		.amdhsa_user_sgpr_count 15
		.amdhsa_user_sgpr_dispatch_ptr 0
		.amdhsa_user_sgpr_queue_ptr 0
		.amdhsa_user_sgpr_kernarg_segment_ptr 1
		.amdhsa_user_sgpr_dispatch_id 0
		.amdhsa_user_sgpr_private_segment_size 0
		.amdhsa_wavefront_size32 1
		.amdhsa_uses_dynamic_stack 0
		.amdhsa_enable_private_segment 0
		.amdhsa_system_sgpr_workgroup_id_x 1
		.amdhsa_system_sgpr_workgroup_id_y 0
		.amdhsa_system_sgpr_workgroup_id_z 0
		.amdhsa_system_sgpr_workgroup_info 0
		.amdhsa_system_vgpr_workitem_id 0
		.amdhsa_next_free_vgpr 26
		.amdhsa_next_free_sgpr 60
		.amdhsa_reserve_vcc 1
		.amdhsa_float_round_mode_32 0
		.amdhsa_float_round_mode_16_64 0
		.amdhsa_float_denorm_mode_32 3
		.amdhsa_float_denorm_mode_16_64 3
		.amdhsa_dx10_clamp 1
		.amdhsa_ieee_mode 1
		.amdhsa_fp16_overflow 0
		.amdhsa_workgroup_processor_mode 1
		.amdhsa_memory_ordered 1
		.amdhsa_forward_progress 0
		.amdhsa_shared_vgpr_count 0
		.amdhsa_exception_fp_ieee_invalid_op 0
		.amdhsa_exception_fp_denorm_src 0
		.amdhsa_exception_fp_ieee_div_zero 0
		.amdhsa_exception_fp_ieee_overflow 0
		.amdhsa_exception_fp_ieee_underflow 0
		.amdhsa_exception_fp_ieee_inexact 0
		.amdhsa_exception_int_div_zero 0
	.end_amdhsa_kernel
	.section	.text._ZN2at6native32elementwise_kernel_manual_unrollILi128ELi8EZNS0_22gpu_kernel_impl_nocastIZZZNS0_21clamp_max_kernel_cudaERNS_18TensorIteratorBaseERKN3c106ScalarEENKUlvE_clEvENKUlvE7_clEvEUlNS5_8BFloat16EE_EEvS4_RKT_EUlibE_EEviT1_,"axG",@progbits,_ZN2at6native32elementwise_kernel_manual_unrollILi128ELi8EZNS0_22gpu_kernel_impl_nocastIZZZNS0_21clamp_max_kernel_cudaERNS_18TensorIteratorBaseERKN3c106ScalarEENKUlvE_clEvENKUlvE7_clEvEUlNS5_8BFloat16EE_EEvS4_RKT_EUlibE_EEviT1_,comdat
.Lfunc_end487:
	.size	_ZN2at6native32elementwise_kernel_manual_unrollILi128ELi8EZNS0_22gpu_kernel_impl_nocastIZZZNS0_21clamp_max_kernel_cudaERNS_18TensorIteratorBaseERKN3c106ScalarEENKUlvE_clEvENKUlvE7_clEvEUlNS5_8BFloat16EE_EEvS4_RKT_EUlibE_EEviT1_, .Lfunc_end487-_ZN2at6native32elementwise_kernel_manual_unrollILi128ELi8EZNS0_22gpu_kernel_impl_nocastIZZZNS0_21clamp_max_kernel_cudaERNS_18TensorIteratorBaseERKN3c106ScalarEENKUlvE_clEvENKUlvE7_clEvEUlNS5_8BFloat16EE_EEvS4_RKT_EUlibE_EEviT1_
                                        ; -- End function
	.section	.AMDGPU.csdata,"",@progbits
; Kernel info:
; codeLenInByte = 13796
; NumSgprs: 62
; NumVgprs: 26
; ScratchSize: 0
; MemoryBound: 0
; FloatMode: 240
; IeeeMode: 1
; LDSByteSize: 0 bytes/workgroup (compile time only)
; SGPRBlocks: 7
; VGPRBlocks: 3
; NumSGPRsForWavesPerEU: 62
; NumVGPRsForWavesPerEU: 26
; Occupancy: 16
; WaveLimiterHint : 1
; COMPUTE_PGM_RSRC2:SCRATCH_EN: 0
; COMPUTE_PGM_RSRC2:USER_SGPR: 15
; COMPUTE_PGM_RSRC2:TRAP_HANDLER: 0
; COMPUTE_PGM_RSRC2:TGID_X_EN: 1
; COMPUTE_PGM_RSRC2:TGID_Y_EN: 0
; COMPUTE_PGM_RSRC2:TGID_Z_EN: 0
; COMPUTE_PGM_RSRC2:TIDIG_COMP_CNT: 0
	.section	.text._ZN2at6native32elementwise_kernel_manual_unrollILi128ELi4EZNS0_15gpu_kernel_implIZZZNS0_21clamp_max_kernel_cudaERNS_18TensorIteratorBaseERKN3c106ScalarEENKUlvE_clEvENKUlvE7_clEvEUlNS5_8BFloat16EE_EEvS4_RKT_EUlibE_EEviT1_,"axG",@progbits,_ZN2at6native32elementwise_kernel_manual_unrollILi128ELi4EZNS0_15gpu_kernel_implIZZZNS0_21clamp_max_kernel_cudaERNS_18TensorIteratorBaseERKN3c106ScalarEENKUlvE_clEvENKUlvE7_clEvEUlNS5_8BFloat16EE_EEvS4_RKT_EUlibE_EEviT1_,comdat
	.globl	_ZN2at6native32elementwise_kernel_manual_unrollILi128ELi4EZNS0_15gpu_kernel_implIZZZNS0_21clamp_max_kernel_cudaERNS_18TensorIteratorBaseERKN3c106ScalarEENKUlvE_clEvENKUlvE7_clEvEUlNS5_8BFloat16EE_EEvS4_RKT_EUlibE_EEviT1_ ; -- Begin function _ZN2at6native32elementwise_kernel_manual_unrollILi128ELi4EZNS0_15gpu_kernel_implIZZZNS0_21clamp_max_kernel_cudaERNS_18TensorIteratorBaseERKN3c106ScalarEENKUlvE_clEvENKUlvE7_clEvEUlNS5_8BFloat16EE_EEvS4_RKT_EUlibE_EEviT1_
	.p2align	8
	.type	_ZN2at6native32elementwise_kernel_manual_unrollILi128ELi4EZNS0_15gpu_kernel_implIZZZNS0_21clamp_max_kernel_cudaERNS_18TensorIteratorBaseERKN3c106ScalarEENKUlvE_clEvENKUlvE7_clEvEUlNS5_8BFloat16EE_EEvS4_RKT_EUlibE_EEviT1_,@function
_ZN2at6native32elementwise_kernel_manual_unrollILi128ELi4EZNS0_15gpu_kernel_implIZZZNS0_21clamp_max_kernel_cudaERNS_18TensorIteratorBaseERKN3c106ScalarEENKUlvE_clEvENKUlvE7_clEvEUlNS5_8BFloat16EE_EEvS4_RKT_EUlibE_EEviT1_: ; @_ZN2at6native32elementwise_kernel_manual_unrollILi128ELi4EZNS0_15gpu_kernel_implIZZZNS0_21clamp_max_kernel_cudaERNS_18TensorIteratorBaseERKN3c106ScalarEENKUlvE_clEvENKUlvE7_clEvEUlNS5_8BFloat16EE_EEvS4_RKT_EUlibE_EEviT1_
; %bb.0:
	s_clause 0x3
	s_load_b32 s10, s[0:1], 0x20
	s_load_b32 s14, s[0:1], 0x0
	s_load_b64 s[2:3], s[0:1], 0x18
	s_load_b128 s[4:7], s[0:1], 0x8
	v_lshl_or_b32 v2, s15, 9, v0
	s_mov_b32 s11, 0
	s_mov_b32 s13, 0
	s_mov_b32 s0, exec_lo
	s_delay_alu instid0(VALU_DEP_1)
	v_or_b32_e32 v0, 0x180, v2
	s_waitcnt lgkmcnt(0)
	s_and_b32 s8, s10, 0xffff
	s_lshr_b32 s9, s10, 16
	s_lshr_b32 s10, s10, 24
	v_cmpx_le_i32_e64 s14, v0
	s_xor_b32 s12, exec_lo, s0
	s_cbranch_execz .LBB488_1032
; %bb.1:
	s_lshl_b32 s13, s8, 16
	s_mov_b32 s1, -1
	s_mov_b32 s18, 0
	s_mov_b32 s16, 0
	s_mov_b32 s15, 0
	s_mov_b32 s17, exec_lo
	v_cmpx_gt_i32_e64 s14, v2
	s_cbranch_execz .LBB488_251
; %bb.2:
	v_mul_lo_u32 v0, v2, s3
	v_cmp_lt_i16_e64 s0, s10, 11
	s_delay_alu instid0(VALU_DEP_2) | instskip(SKIP_1) | instid1(VALU_DEP_2)
	v_ashrrev_i32_e32 v1, 31, v0
	v_add_co_u32 v0, vcc_lo, s6, v0
	v_add_co_ci_u32_e32 v1, vcc_lo, s7, v1, vcc_lo
	s_delay_alu instid0(VALU_DEP_4)
	s_and_b32 vcc_lo, exec_lo, s0
	s_cbranch_vccnz .LBB488_9
; %bb.3:
	v_cmp_gt_i16_e64 s0, s10, 25
	s_delay_alu instid0(VALU_DEP_1)
	s_and_b32 vcc_lo, exec_lo, s0
	s_cbranch_vccz .LBB488_18
; %bb.4:
	v_cmp_gt_i16_e64 s0, s10, 28
	s_delay_alu instid0(VALU_DEP_1)
	s_and_b32 vcc_lo, exec_lo, s0
	s_cbranch_vccz .LBB488_21
	;; [unrolled: 5-line block ×4, first 2 shown]
; %bb.7:
	v_cmp_eq_u16_e64 s0, s10, 46
	s_mov_b32 s1, 0
	s_delay_alu instid0(VALU_DEP_1)
	s_and_b32 vcc_lo, exec_lo, s0
	s_cbranch_vccz .LBB488_26
; %bb.8:
	global_load_b32 v4, v[0:1], off
	s_mov_b32 s0, -1
	s_branch .LBB488_28
.LBB488_9:
	s_mov_b32 s0, 0
                                        ; implicit-def: $vgpr4
	s_and_b32 vcc_lo, exec_lo, s1
	s_cbranch_vccnz .LBB488_201
.LBB488_10:
	s_and_not1_b32 vcc_lo, exec_lo, s0
	s_cbranch_vccnz .LBB488_248
.LBB488_11:
	s_waitcnt vmcnt(0)
	s_delay_alu instid0(VALU_DEP_1) | instskip(SKIP_2) | instid1(VALU_DEP_3)
	v_lshlrev_b32_e32 v0, 16, v4
	v_mul_lo_u32 v1, v2, s2
	v_and_b32_e64 v3, 0xff, s9
	v_cmp_u_f32_e32 vcc_lo, v0, v0
	v_cmp_gt_f32_e64 s0, s13, v0
	s_delay_alu instid0(VALU_DEP_3) | instskip(SKIP_1) | instid1(VALU_DEP_3)
	v_cmp_gt_i16_e64 s1, 11, v3
	v_ashrrev_i32_e32 v5, 31, v1
	s_or_b32 vcc_lo, vcc_lo, s0
	v_cndmask_b32_e32 v4, s8, v4, vcc_lo
	v_add_co_u32 v0, vcc_lo, s4, v1
	s_delay_alu instid0(VALU_DEP_3)
	v_add_co_ci_u32_e32 v1, vcc_lo, s5, v5, vcc_lo
	s_and_b32 vcc_lo, exec_lo, s1
	s_cbranch_vccnz .LBB488_19
; %bb.12:
	v_cmp_lt_i16_e32 vcc_lo, 25, v3
	s_cbranch_vccz .LBB488_22
; %bb.13:
	v_cmp_lt_i16_e32 vcc_lo, 28, v3
	s_cbranch_vccz .LBB488_24
; %bb.14:
	v_cmp_lt_i16_e32 vcc_lo, 43, v3
	s_cbranch_vccz .LBB488_25
; %bb.15:
	v_cmp_lt_i16_e32 vcc_lo, 45, v3
	s_cbranch_vccz .LBB488_31
; %bb.16:
	v_cmp_eq_u16_e32 vcc_lo, 46, v3
	s_mov_b32 s15, 0
	s_mov_b32 s0, -1
	s_mov_b32 s1, 0
	s_cbranch_vccz .LBB488_32
; %bb.17:
	v_and_b32_e32 v5, 0xffff, v4
	s_mov_b32 s1, -1
	s_mov_b32 s0, 0
	global_store_b32 v[0:1], v5, off
	s_branch .LBB488_32
.LBB488_18:
	s_mov_b32 s0, 0
                                        ; implicit-def: $vgpr4
	s_and_b32 vcc_lo, exec_lo, s1
	s_cbranch_vccnz .LBB488_166
	s_branch .LBB488_200
.LBB488_19:
	s_mov_b32 s0, 0
	s_mov_b32 s1, 0
	s_cbranch_execnz .LBB488_101
.LBB488_20:
	s_and_not1_b32 vcc_lo, exec_lo, s1
	s_cbranch_vccnz .LBB488_249
	s_branch .LBB488_139
.LBB488_21:
	s_mov_b32 s0, 0
                                        ; implicit-def: $vgpr4
	s_branch .LBB488_147
.LBB488_22:
	s_mov_b32 s15, -1
	s_mov_b32 s0, 0
	s_mov_b32 s1, 0
	s_branch .LBB488_59
.LBB488_23:
	s_mov_b32 s0, 0
                                        ; implicit-def: $vgpr4
	s_branch .LBB488_142
.LBB488_24:
	s_mov_b32 s15, -1
	s_mov_b32 s0, 0
	s_mov_b32 s1, 0
	s_branch .LBB488_42
.LBB488_25:
	s_mov_b32 s15, -1
	s_mov_b32 s0, 0
	s_mov_b32 s1, 0
	s_branch .LBB488_38
.LBB488_26:
	s_mov_b32 s16, -1
.LBB488_27:
	s_mov_b32 s0, 0
                                        ; implicit-def: $vgpr4
.LBB488_28:
	s_and_b32 vcc_lo, exec_lo, s1
	s_cbranch_vccz .LBB488_141
; %bb.29:
	v_cmp_eq_u16_e64 s1, s10, 44
	s_delay_alu instid0(VALU_DEP_1)
	s_and_b32 vcc_lo, exec_lo, s1
	s_cbranch_vccz .LBB488_140
; %bb.30:
	global_load_u8 v3, v[0:1], off
	s_mov_b32 s16, 0
	s_mov_b32 s0, -1
	s_waitcnt vmcnt(0)
	v_lshlrev_b32_e32 v4, 23, v3
	v_cmp_ne_u32_e32 vcc_lo, 0xff, v3
	s_delay_alu instid0(VALU_DEP_2) | instskip(SKIP_1) | instid1(VALU_DEP_2)
	v_cndmask_b32_e32 v4, 0x7f800001, v4, vcc_lo
	v_cmp_ne_u32_e32 vcc_lo, 0, v3
	v_cndmask_b32_e32 v3, 0x400000, v4, vcc_lo
	s_delay_alu instid0(VALU_DEP_1) | instskip(SKIP_1) | instid1(VALU_DEP_2)
	v_add_nc_u32_e32 v4, 0x7fff, v3
	v_cmp_o_f32_e32 vcc_lo, v3, v3
	v_lshrrev_b32_e32 v4, 16, v4
	s_delay_alu instid0(VALU_DEP_1)
	v_cndmask_b32_e32 v4, 0x7fc0, v4, vcc_lo
	s_branch .LBB488_141
.LBB488_31:
	s_mov_b32 s15, -1
	s_mov_b32 s0, 0
	s_mov_b32 s1, 0
.LBB488_32:
	s_and_b32 vcc_lo, exec_lo, s15
	s_cbranch_vccz .LBB488_37
; %bb.33:
	v_cmp_eq_u16_e32 vcc_lo, 44, v3
	s_mov_b32 s0, -1
	s_cbranch_vccz .LBB488_37
; %bb.34:
	v_and_b32_e32 v5, 0xffff, v4
	v_mov_b32_e32 v6, 0xff
	s_mov_b32 s1, exec_lo
	s_delay_alu instid0(VALU_DEP_2) | instskip(NEXT) | instid1(VALU_DEP_1)
	v_bfe_u32 v7, v5, 7, 8
	v_cmpx_ne_u32_e32 0xff, v7
; %bb.35:
	v_lshlrev_b32_e32 v6, 16, v5
	v_and_b32_e32 v8, 64, v5
	v_lshrrev_b32_e32 v5, 7, v5
	s_delay_alu instid0(VALU_DEP_3) | instskip(NEXT) | instid1(VALU_DEP_3)
	v_and_or_b32 v6, 0x3f0000, v6, v7
	v_cmp_ne_u32_e32 vcc_lo, 0, v8
	s_delay_alu instid0(VALU_DEP_2) | instskip(NEXT) | instid1(VALU_DEP_1)
	v_cmp_ne_u32_e64 s0, 0, v6
	s_and_b32 s0, vcc_lo, s0
	s_delay_alu instid0(SALU_CYCLE_1) | instskip(NEXT) | instid1(VALU_DEP_1)
	v_cndmask_b32_e64 v6, 0, 1, s0
	v_add_nc_u32_e32 v6, v5, v6
; %bb.36:
	s_or_b32 exec_lo, exec_lo, s1
	s_mov_b32 s1, -1
	s_mov_b32 s0, 0
	global_store_b8 v[0:1], v6, off
.LBB488_37:
	s_mov_b32 s15, 0
.LBB488_38:
	s_delay_alu instid0(SALU_CYCLE_1)
	s_and_b32 vcc_lo, exec_lo, s15
	s_cbranch_vccz .LBB488_41
; %bb.39:
	v_cmp_eq_u16_e32 vcc_lo, 29, v3
	s_mov_b32 s0, -1
	s_cbranch_vccz .LBB488_41
; %bb.40:
	v_lshlrev_b32_e32 v5, 16, v4
	s_mov_b32 s1, -1
	s_mov_b32 s0, 0
	s_mov_b32 s15, 0
	s_delay_alu instid0(VALU_DEP_1) | instskip(NEXT) | instid1(VALU_DEP_1)
	v_trunc_f32_e32 v5, v5
	v_mul_f32_e32 v6, 0x2f800000, v5
	s_delay_alu instid0(VALU_DEP_1) | instskip(NEXT) | instid1(VALU_DEP_1)
	v_floor_f32_e32 v6, v6
	v_fmamk_f32 v5, v6, 0xcf800000, v5
	v_cvt_u32_f32_e32 v6, v6
	s_delay_alu instid0(VALU_DEP_2)
	v_cvt_u32_f32_e32 v5, v5
	global_store_b64 v[0:1], v[5:6], off
	s_branch .LBB488_42
.LBB488_41:
	s_mov_b32 s15, 0
.LBB488_42:
	s_delay_alu instid0(SALU_CYCLE_1)
	s_and_b32 vcc_lo, exec_lo, s15
	s_cbranch_vccz .LBB488_58
; %bb.43:
	v_cmp_gt_i16_e32 vcc_lo, 27, v3
	s_mov_b32 s1, -1
	s_cbranch_vccnz .LBB488_49
; %bb.44:
	v_cmp_lt_i16_e32 vcc_lo, 27, v3
	s_cbranch_vccz .LBB488_46
; %bb.45:
	v_lshlrev_b32_e32 v5, 16, v4
	s_mov_b32 s1, 0
	s_delay_alu instid0(VALU_DEP_1)
	v_cvt_u32_f32_e32 v5, v5
	global_store_b32 v[0:1], v5, off
.LBB488_46:
	s_and_not1_b32 vcc_lo, exec_lo, s1
	s_cbranch_vccnz .LBB488_48
; %bb.47:
	v_lshlrev_b32_e32 v5, 16, v4
	s_delay_alu instid0(VALU_DEP_1)
	v_cvt_u32_f32_e32 v5, v5
	global_store_b16 v[0:1], v5, off
.LBB488_48:
	s_mov_b32 s1, 0
.LBB488_49:
	s_delay_alu instid0(SALU_CYCLE_1)
	s_and_not1_b32 vcc_lo, exec_lo, s1
	s_cbranch_vccnz .LBB488_57
; %bb.50:
	v_dual_mov_b32 v8, 0x80 :: v_dual_lshlrev_b32 v7, 16, v4
	s_mov_b32 s1, exec_lo
	s_delay_alu instid0(VALU_DEP_1) | instskip(NEXT) | instid1(VALU_DEP_1)
	v_and_b32_e32 v6, 0x7fffffff, v7
	v_cmpx_gt_u32_e32 0x43800000, v6
	s_cbranch_execz .LBB488_56
; %bb.51:
	v_and_b32_e32 v5, 0xffff, v4
	v_cmp_lt_u32_e32 vcc_lo, 0x3bffffff, v6
	s_mov_b32 s15, 0
                                        ; implicit-def: $vgpr6
	s_and_saveexec_b32 s19, vcc_lo
	s_delay_alu instid0(SALU_CYCLE_1)
	s_xor_b32 s19, exec_lo, s19
	s_cbranch_execz .LBB488_275
; %bb.52:
	v_bfe_u32 v6, v5, 4, 1
	s_mov_b32 s15, exec_lo
	s_delay_alu instid0(VALU_DEP_1) | instskip(NEXT) | instid1(VALU_DEP_1)
	v_add3_u32 v6, v7, v6, 0x487ffff
                                        ; implicit-def: $vgpr7
	v_lshrrev_b32_e32 v6, 20, v6
	s_or_saveexec_b32 s19, s19
                                        ; implicit-def: $sgpr20
	s_delay_alu instid0(SALU_CYCLE_1)
	s_xor_b32 exec_lo, exec_lo, s19
	s_cbranch_execnz .LBB488_276
.LBB488_53:
	s_or_b32 exec_lo, exec_lo, s19
	v_mov_b32_e32 v8, s20
	s_and_saveexec_b32 s19, s15
.LBB488_54:
	v_lshrrev_b32_e32 v5, 8, v5
	s_delay_alu instid0(VALU_DEP_1)
	v_and_or_b32 v8, 0x80, v5, v6
.LBB488_55:
	s_or_b32 exec_lo, exec_lo, s19
.LBB488_56:
	s_delay_alu instid0(SALU_CYCLE_1)
	s_or_b32 exec_lo, exec_lo, s1
	global_store_b8 v[0:1], v8, off
.LBB488_57:
	s_mov_b32 s1, -1
.LBB488_58:
	s_mov_b32 s15, 0
.LBB488_59:
	s_delay_alu instid0(SALU_CYCLE_1)
	s_and_b32 vcc_lo, exec_lo, s15
	s_cbranch_vccz .LBB488_100
; %bb.60:
	v_cmp_lt_i16_e32 vcc_lo, 22, v3
	s_mov_b32 s15, -1
	s_cbranch_vccz .LBB488_92
; %bb.61:
	v_cmp_gt_i16_e32 vcc_lo, 24, v3
	s_mov_b32 s1, -1
	s_cbranch_vccnz .LBB488_81
; %bb.62:
	v_cmp_lt_i16_e32 vcc_lo, 24, v3
	s_cbranch_vccz .LBB488_70
; %bb.63:
	v_dual_mov_b32 v8, 0x80 :: v_dual_lshlrev_b32 v7, 16, v4
	s_mov_b32 s1, exec_lo
	s_delay_alu instid0(VALU_DEP_1) | instskip(NEXT) | instid1(VALU_DEP_1)
	v_and_b32_e32 v6, 0x7fffffff, v7
	v_cmpx_gt_u32_e32 0x47800000, v6
	s_cbranch_execz .LBB488_69
; %bb.64:
	v_and_b32_e32 v5, 0xffff, v4
	v_cmp_lt_u32_e32 vcc_lo, 0x37ffffff, v6
	s_mov_b32 s15, 0
                                        ; implicit-def: $vgpr6
	s_and_saveexec_b32 s19, vcc_lo
	s_delay_alu instid0(SALU_CYCLE_1)
	s_xor_b32 s19, exec_lo, s19
	s_cbranch_execz .LBB488_279
; %bb.65:
	v_bfe_u32 v6, v5, 5, 1
	s_mov_b32 s15, exec_lo
	s_delay_alu instid0(VALU_DEP_1) | instskip(NEXT) | instid1(VALU_DEP_1)
	v_add3_u32 v6, v7, v6, 0x88fffff
                                        ; implicit-def: $vgpr7
	v_lshrrev_b32_e32 v6, 21, v6
	s_or_saveexec_b32 s19, s19
                                        ; implicit-def: $sgpr20
	s_delay_alu instid0(SALU_CYCLE_1)
	s_xor_b32 exec_lo, exec_lo, s19
	s_cbranch_execnz .LBB488_280
.LBB488_66:
	s_or_b32 exec_lo, exec_lo, s19
	v_mov_b32_e32 v8, s20
	s_and_saveexec_b32 s19, s15
.LBB488_67:
	v_lshrrev_b32_e32 v5, 8, v5
	s_delay_alu instid0(VALU_DEP_1)
	v_and_or_b32 v8, 0x80, v5, v6
.LBB488_68:
	s_or_b32 exec_lo, exec_lo, s19
.LBB488_69:
	s_delay_alu instid0(SALU_CYCLE_1)
	s_or_b32 exec_lo, exec_lo, s1
	s_mov_b32 s1, 0
	global_store_b8 v[0:1], v8, off
.LBB488_70:
	s_and_b32 vcc_lo, exec_lo, s1
	s_cbranch_vccz .LBB488_80
; %bb.71:
	v_lshlrev_b32_e32 v7, 16, v4
	v_and_b32_e32 v5, 0xffff, v4
	s_mov_b32 s1, exec_lo
                                        ; implicit-def: $vgpr6
	s_delay_alu instid0(VALU_DEP_2) | instskip(NEXT) | instid1(VALU_DEP_1)
	v_and_b32_e32 v8, 0x7fffffff, v7
	v_cmpx_gt_u32_e32 0x43f00000, v8
	s_xor_b32 s1, exec_lo, s1
	s_cbranch_execz .LBB488_77
; %bb.72:
	s_mov_b32 s15, exec_lo
                                        ; implicit-def: $vgpr6
	v_cmpx_lt_u32_e32 0x3c7fffff, v8
	s_xor_b32 s15, exec_lo, s15
; %bb.73:
	v_bfe_u32 v6, v5, 4, 1
	s_delay_alu instid0(VALU_DEP_1) | instskip(NEXT) | instid1(VALU_DEP_1)
	v_add3_u32 v6, v7, v6, 0x407ffff
	v_and_b32_e32 v7, 0xff00000, v6
	v_lshrrev_b32_e32 v6, 20, v6
	s_delay_alu instid0(VALU_DEP_2) | instskip(NEXT) | instid1(VALU_DEP_2)
	v_cmp_ne_u32_e32 vcc_lo, 0x7f00000, v7
                                        ; implicit-def: $vgpr7
	v_cndmask_b32_e32 v6, 0x7e, v6, vcc_lo
; %bb.74:
	s_and_not1_saveexec_b32 s15, s15
; %bb.75:
	v_add_f32_e64 v6, 0x46800000, |v7|
; %bb.76:
	s_or_b32 exec_lo, exec_lo, s15
                                        ; implicit-def: $vgpr8
.LBB488_77:
	s_and_not1_saveexec_b32 s1, s1
; %bb.78:
	v_mov_b32_e32 v6, 0x7f
	v_cmp_lt_u32_e32 vcc_lo, 0x7f800000, v8
	s_delay_alu instid0(VALU_DEP_2)
	v_cndmask_b32_e32 v6, 0x7e, v6, vcc_lo
; %bb.79:
	s_or_b32 exec_lo, exec_lo, s1
	v_lshrrev_b32_e32 v5, 8, v5
	s_delay_alu instid0(VALU_DEP_1)
	v_and_or_b32 v5, 0x80, v5, v6
	global_store_b8 v[0:1], v5, off
.LBB488_80:
	s_mov_b32 s1, 0
.LBB488_81:
	s_delay_alu instid0(SALU_CYCLE_1)
	s_and_not1_b32 vcc_lo, exec_lo, s1
	s_cbranch_vccnz .LBB488_91
; %bb.82:
	v_lshlrev_b32_e32 v7, 16, v4
	v_and_b32_e32 v5, 0xffff, v4
	s_mov_b32 s1, exec_lo
                                        ; implicit-def: $vgpr6
	s_delay_alu instid0(VALU_DEP_2) | instskip(NEXT) | instid1(VALU_DEP_1)
	v_and_b32_e32 v8, 0x7fffffff, v7
	v_cmpx_gt_u32_e32 0x47800000, v8
	s_xor_b32 s1, exec_lo, s1
	s_cbranch_execz .LBB488_88
; %bb.83:
	s_mov_b32 s15, exec_lo
                                        ; implicit-def: $vgpr6
	v_cmpx_lt_u32_e32 0x387fffff, v8
	s_xor_b32 s15, exec_lo, s15
; %bb.84:
	v_bfe_u32 v6, v5, 5, 1
	s_delay_alu instid0(VALU_DEP_1) | instskip(NEXT) | instid1(VALU_DEP_1)
	v_add3_u32 v6, v7, v6, 0x80fffff
                                        ; implicit-def: $vgpr7
	v_lshrrev_b32_e32 v6, 21, v6
; %bb.85:
	s_and_not1_saveexec_b32 s15, s15
; %bb.86:
	v_add_f32_e64 v6, 0x43000000, |v7|
; %bb.87:
	s_or_b32 exec_lo, exec_lo, s15
                                        ; implicit-def: $vgpr8
.LBB488_88:
	s_and_not1_saveexec_b32 s1, s1
; %bb.89:
	v_mov_b32_e32 v6, 0x7f
	v_cmp_lt_u32_e32 vcc_lo, 0x7f800000, v8
	s_delay_alu instid0(VALU_DEP_2)
	v_cndmask_b32_e32 v6, 0x7c, v6, vcc_lo
; %bb.90:
	s_or_b32 exec_lo, exec_lo, s1
	v_lshrrev_b32_e32 v5, 8, v5
	s_delay_alu instid0(VALU_DEP_1)
	v_and_or_b32 v5, 0x80, v5, v6
	global_store_b8 v[0:1], v5, off
.LBB488_91:
	s_mov_b32 s15, 0
	s_mov_b32 s1, -1
.LBB488_92:
	s_and_not1_b32 vcc_lo, exec_lo, s15
	s_cbranch_vccnz .LBB488_100
; %bb.93:
	v_cmp_lt_i16_e32 vcc_lo, 14, v3
	s_mov_b32 s15, -1
	s_cbranch_vccz .LBB488_97
; %bb.94:
	v_cmp_eq_u16_e32 vcc_lo, 15, v3
	s_mov_b32 s0, -1
	s_cbranch_vccz .LBB488_96
; %bb.95:
	s_mov_b32 s1, -1
	s_mov_b32 s0, 0
	global_store_b16 v[0:1], v4, off
.LBB488_96:
	s_mov_b32 s15, 0
.LBB488_97:
	s_delay_alu instid0(SALU_CYCLE_1)
	s_and_b32 vcc_lo, exec_lo, s15
	s_cbranch_vccz .LBB488_100
; %bb.98:
	v_cmp_eq_u16_e32 vcc_lo, 11, v3
	s_mov_b32 s0, -1
	s_cbranch_vccz .LBB488_100
; %bb.99:
	v_and_b32_e32 v5, 0x7fff, v4
	s_mov_b32 s0, 0
	s_mov_b32 s1, -1
	s_delay_alu instid0(VALU_DEP_1)
	v_cmp_ne_u16_e32 vcc_lo, 0, v5
	v_cndmask_b32_e64 v5, 0, 1, vcc_lo
	global_store_b8 v[0:1], v5, off
.LBB488_100:
	s_branch .LBB488_20
.LBB488_101:
	v_cmp_gt_i16_e32 vcc_lo, 5, v3
	s_mov_b32 s1, -1
	s_cbranch_vccnz .LBB488_122
; %bb.102:
	v_cmp_gt_i16_e32 vcc_lo, 8, v3
	s_cbranch_vccnz .LBB488_112
; %bb.103:
	v_cmp_gt_i16_e32 vcc_lo, 9, v3
	s_cbranch_vccnz .LBB488_109
; %bb.104:
	v_cmp_lt_i16_e32 vcc_lo, 9, v3
	s_cbranch_vccz .LBB488_106
; %bb.105:
	v_mov_b32_e32 v7, 0
	v_lshlrev_b32_e32 v5, 16, v4
	s_mov_b32 s1, 0
	s_delay_alu instid0(VALU_DEP_2) | instskip(NEXT) | instid1(VALU_DEP_2)
	v_mov_b32_e32 v8, v7
	v_cvt_f64_f32_e32 v[5:6], v5
	global_store_b128 v[0:1], v[5:8], off
.LBB488_106:
	s_and_not1_b32 vcc_lo, exec_lo, s1
	s_cbranch_vccnz .LBB488_108
; %bb.107:
	v_dual_mov_b32 v6, 0 :: v_dual_lshlrev_b32 v5, 16, v4
	global_store_b64 v[0:1], v[5:6], off
.LBB488_108:
	s_mov_b32 s1, 0
.LBB488_109:
	s_delay_alu instid0(SALU_CYCLE_1)
	s_and_not1_b32 vcc_lo, exec_lo, s1
	s_cbranch_vccnz .LBB488_111
; %bb.110:
	v_lshlrev_b32_e32 v5, 16, v4
	s_delay_alu instid0(VALU_DEP_1) | instskip(NEXT) | instid1(VALU_DEP_1)
	v_cvt_f16_f32_e32 v5, v5
	v_and_b32_e32 v5, 0xffff, v5
	global_store_b32 v[0:1], v5, off
.LBB488_111:
	s_mov_b32 s1, 0
.LBB488_112:
	s_delay_alu instid0(SALU_CYCLE_1)
	s_and_not1_b32 vcc_lo, exec_lo, s1
	s_cbranch_vccnz .LBB488_121
; %bb.113:
	v_cmp_gt_i16_e32 vcc_lo, 6, v3
	s_mov_b32 s1, -1
	s_cbranch_vccnz .LBB488_119
; %bb.114:
	v_cmp_lt_i16_e32 vcc_lo, 6, v3
	s_cbranch_vccz .LBB488_116
; %bb.115:
	v_lshlrev_b32_e32 v5, 16, v4
	s_mov_b32 s1, 0
	s_delay_alu instid0(VALU_DEP_1)
	v_cvt_f64_f32_e32 v[5:6], v5
	global_store_b64 v[0:1], v[5:6], off
.LBB488_116:
	s_and_not1_b32 vcc_lo, exec_lo, s1
	s_cbranch_vccnz .LBB488_118
; %bb.117:
	v_lshlrev_b32_e32 v5, 16, v4
	global_store_b32 v[0:1], v5, off
.LBB488_118:
	s_mov_b32 s1, 0
.LBB488_119:
	s_delay_alu instid0(SALU_CYCLE_1)
	s_and_not1_b32 vcc_lo, exec_lo, s1
	s_cbranch_vccnz .LBB488_121
; %bb.120:
	v_lshlrev_b32_e32 v5, 16, v4
	s_delay_alu instid0(VALU_DEP_1)
	v_cvt_f16_f32_e32 v5, v5
	global_store_b16 v[0:1], v5, off
.LBB488_121:
	s_mov_b32 s1, 0
.LBB488_122:
	s_delay_alu instid0(SALU_CYCLE_1)
	s_and_not1_b32 vcc_lo, exec_lo, s1
	s_cbranch_vccnz .LBB488_138
; %bb.123:
	v_cmp_gt_i16_e32 vcc_lo, 2, v3
	s_mov_b32 s1, -1
	s_cbranch_vccnz .LBB488_133
; %bb.124:
	v_cmp_gt_i16_e32 vcc_lo, 3, v3
	s_cbranch_vccnz .LBB488_130
; %bb.125:
	v_cmp_lt_i16_e32 vcc_lo, 3, v3
	s_cbranch_vccz .LBB488_127
; %bb.126:
	v_lshlrev_b32_e32 v5, 16, v4
	s_mov_b32 s1, 0
	s_delay_alu instid0(VALU_DEP_1) | instskip(NEXT) | instid1(VALU_DEP_1)
	v_trunc_f32_e32 v5, v5
	v_mul_f32_e64 v6, 0x2f800000, |v5|
	v_ashrrev_i32_e32 v8, 31, v5
	s_delay_alu instid0(VALU_DEP_2) | instskip(NEXT) | instid1(VALU_DEP_1)
	v_floor_f32_e32 v6, v6
	v_fma_f32 v7, 0xcf800000, v6, |v5|
	v_cvt_u32_f32_e32 v6, v6
	s_delay_alu instid0(VALU_DEP_2) | instskip(NEXT) | instid1(VALU_DEP_2)
	v_cvt_u32_f32_e32 v5, v7
	v_xor_b32_e32 v6, v6, v8
	s_delay_alu instid0(VALU_DEP_2) | instskip(NEXT) | instid1(VALU_DEP_1)
	v_xor_b32_e32 v5, v5, v8
	v_sub_co_u32 v5, vcc_lo, v5, v8
	s_delay_alu instid0(VALU_DEP_3)
	v_sub_co_ci_u32_e32 v6, vcc_lo, v6, v8, vcc_lo
	global_store_b64 v[0:1], v[5:6], off
.LBB488_127:
	s_and_not1_b32 vcc_lo, exec_lo, s1
	s_cbranch_vccnz .LBB488_129
; %bb.128:
	v_lshlrev_b32_e32 v5, 16, v4
	s_delay_alu instid0(VALU_DEP_1)
	v_cvt_i32_f32_e32 v5, v5
	global_store_b32 v[0:1], v5, off
.LBB488_129:
	s_mov_b32 s1, 0
.LBB488_130:
	s_delay_alu instid0(SALU_CYCLE_1)
	s_and_not1_b32 vcc_lo, exec_lo, s1
	s_cbranch_vccnz .LBB488_132
; %bb.131:
	v_lshlrev_b32_e32 v5, 16, v4
	s_delay_alu instid0(VALU_DEP_1)
	v_cvt_i32_f32_e32 v5, v5
	global_store_b16 v[0:1], v5, off
.LBB488_132:
	s_mov_b32 s1, 0
.LBB488_133:
	s_delay_alu instid0(SALU_CYCLE_1)
	s_and_not1_b32 vcc_lo, exec_lo, s1
	s_cbranch_vccnz .LBB488_138
; %bb.134:
	v_cmp_lt_i16_e32 vcc_lo, 0, v3
	v_lshlrev_b32_e32 v3, 16, v4
	s_mov_b32 s1, -1
	s_cbranch_vccz .LBB488_136
; %bb.135:
	s_delay_alu instid0(VALU_DEP_1)
	v_cvt_i32_f32_e32 v4, v3
	s_mov_b32 s1, 0
	global_store_b8 v[0:1], v4, off
.LBB488_136:
	s_and_not1_b32 vcc_lo, exec_lo, s1
	s_cbranch_vccnz .LBB488_138
; %bb.137:
	v_trunc_f32_e32 v3, v3
	s_delay_alu instid0(VALU_DEP_1) | instskip(NEXT) | instid1(VALU_DEP_1)
	v_mul_f32_e64 v4, 0x2f800000, |v3|
	v_floor_f32_e32 v4, v4
	s_delay_alu instid0(VALU_DEP_1) | instskip(SKIP_1) | instid1(VALU_DEP_2)
	v_fma_f32 v4, 0xcf800000, v4, |v3|
	v_ashrrev_i32_e32 v3, 31, v3
	v_cvt_u32_f32_e32 v4, v4
	s_delay_alu instid0(VALU_DEP_1) | instskip(NEXT) | instid1(VALU_DEP_1)
	v_xor_b32_e32 v4, v4, v3
	v_sub_nc_u32_e32 v3, v4, v3
	global_store_b8 v[0:1], v3, off
.LBB488_138:
.LBB488_139:
	v_add_nc_u32_e32 v2, 0x80, v2
	s_mov_b32 s1, -1
	s_branch .LBB488_250
.LBB488_140:
	s_mov_b32 s16, -1
                                        ; implicit-def: $vgpr4
.LBB488_141:
	s_mov_b32 s1, 0
.LBB488_142:
	s_delay_alu instid0(SALU_CYCLE_1)
	s_and_b32 vcc_lo, exec_lo, s1
	s_cbranch_vccz .LBB488_146
; %bb.143:
	v_cmp_eq_u16_e64 s1, s10, 29
	s_delay_alu instid0(VALU_DEP_1)
	s_and_b32 vcc_lo, exec_lo, s1
	s_cbranch_vccz .LBB488_145
; %bb.144:
	global_load_b64 v[3:4], v[0:1], off
	s_mov_b32 s0, -1
	s_mov_b32 s16, 0
	s_mov_b32 s1, 0
	s_waitcnt vmcnt(0)
	v_clz_i32_u32_e32 v5, v4
	s_delay_alu instid0(VALU_DEP_1) | instskip(NEXT) | instid1(VALU_DEP_1)
	v_min_u32_e32 v5, 32, v5
	v_lshlrev_b64 v[3:4], v5, v[3:4]
	s_delay_alu instid0(VALU_DEP_1) | instskip(NEXT) | instid1(VALU_DEP_1)
	v_min_u32_e32 v3, 1, v3
	v_or_b32_e32 v3, v4, v3
	v_sub_nc_u32_e32 v4, 32, v5
	s_delay_alu instid0(VALU_DEP_2) | instskip(NEXT) | instid1(VALU_DEP_1)
	v_cvt_f32_u32_e32 v3, v3
	v_ldexp_f32 v3, v3, v4
	s_delay_alu instid0(VALU_DEP_1) | instskip(NEXT) | instid1(VALU_DEP_1)
	v_bfe_u32 v4, v3, 16, 1
	v_add3_u32 v3, v3, v4, 0x7fff
	s_delay_alu instid0(VALU_DEP_1)
	v_lshrrev_b32_e32 v4, 16, v3
	s_branch .LBB488_147
.LBB488_145:
	s_mov_b32 s16, -1
                                        ; implicit-def: $vgpr4
.LBB488_146:
	s_mov_b32 s1, 0
.LBB488_147:
	s_delay_alu instid0(SALU_CYCLE_1)
	s_and_b32 vcc_lo, exec_lo, s1
	s_cbranch_vccz .LBB488_165
; %bb.148:
	v_cmp_lt_i16_e64 s0, s10, 27
	s_delay_alu instid0(VALU_DEP_1)
	s_and_b32 vcc_lo, exec_lo, s0
	s_cbranch_vccnz .LBB488_151
; %bb.149:
	v_cmp_gt_i16_e64 s0, s10, 27
	s_delay_alu instid0(VALU_DEP_1)
	s_and_b32 vcc_lo, exec_lo, s0
	s_cbranch_vccz .LBB488_152
; %bb.150:
	global_load_b32 v3, v[0:1], off
	s_mov_b32 s0, 0
	s_waitcnt vmcnt(0)
	v_cvt_f32_u32_e32 v3, v3
	s_delay_alu instid0(VALU_DEP_1) | instskip(NEXT) | instid1(VALU_DEP_1)
	v_bfe_u32 v4, v3, 16, 1
	v_add3_u32 v3, v3, v4, 0x7fff
	s_delay_alu instid0(VALU_DEP_1)
	v_lshrrev_b32_e32 v4, 16, v3
	s_branch .LBB488_153
.LBB488_151:
	s_mov_b32 s0, -1
                                        ; implicit-def: $vgpr4
	s_branch .LBB488_156
.LBB488_152:
	s_mov_b32 s0, -1
                                        ; implicit-def: $vgpr4
.LBB488_153:
	s_delay_alu instid0(SALU_CYCLE_1)
	s_and_not1_b32 vcc_lo, exec_lo, s0
	s_cbranch_vccnz .LBB488_155
; %bb.154:
	global_load_u16 v3, v[0:1], off
	s_waitcnt vmcnt(0)
	v_cvt_f32_u32_e32 v3, v3
	s_delay_alu instid0(VALU_DEP_1) | instskip(NEXT) | instid1(VALU_DEP_1)
	v_bfe_u32 v4, v3, 16, 1
	v_add3_u32 v3, v3, v4, 0x7fff
	s_delay_alu instid0(VALU_DEP_1)
	v_lshrrev_b32_e32 v4, 16, v3
.LBB488_155:
	s_mov_b32 s0, 0
.LBB488_156:
	s_delay_alu instid0(SALU_CYCLE_1)
	s_and_not1_b32 vcc_lo, exec_lo, s0
	s_cbranch_vccnz .LBB488_164
; %bb.157:
	global_load_u8 v3, v[0:1], off
	s_mov_b32 s0, 0
	s_mov_b32 s15, exec_lo
                                        ; implicit-def: $sgpr1
	s_waitcnt vmcnt(0)
	v_cmpx_lt_i16_e32 0x7f, v3
	s_xor_b32 s15, exec_lo, s15
	s_cbranch_execz .LBB488_177
; %bb.158:
	s_mov_b32 s0, -1
	s_mov_b32 s19, exec_lo
                                        ; implicit-def: $sgpr1
	v_cmpx_eq_u16_e32 0x80, v3
; %bb.159:
	s_mov_b32 s1, 0x7f800001
	s_xor_b32 s0, exec_lo, -1
; %bb.160:
	s_or_b32 exec_lo, exec_lo, s19
	s_delay_alu instid0(SALU_CYCLE_1)
	s_and_b32 s0, s0, exec_lo
	s_or_saveexec_b32 s15, s15
	v_mov_b32_e32 v4, s1
	s_xor_b32 exec_lo, exec_lo, s15
	s_cbranch_execnz .LBB488_178
.LBB488_161:
	s_or_b32 exec_lo, exec_lo, s15
	s_and_saveexec_b32 s1, s0
	s_cbranch_execz .LBB488_163
.LBB488_162:
	v_and_b32_e32 v4, 0xffff, v3
	v_lshlrev_b32_e32 v3, 24, v3
	s_delay_alu instid0(VALU_DEP_2) | instskip(NEXT) | instid1(VALU_DEP_2)
	v_and_b32_e32 v5, 7, v4
	v_and_b32_e32 v3, 0x80000000, v3
	s_delay_alu instid0(VALU_DEP_2) | instskip(NEXT) | instid1(VALU_DEP_1)
	v_clz_i32_u32_e32 v6, v5
	v_min_u32_e32 v6, 32, v6
	s_delay_alu instid0(VALU_DEP_1) | instskip(SKIP_1) | instid1(VALU_DEP_2)
	v_subrev_nc_u32_e32 v7, 28, v6
	v_sub_nc_u32_e32 v6, 29, v6
	v_lshlrev_b32_e32 v7, v7, v4
	v_bfe_u32 v4, v4, 3, 4
	s_delay_alu instid0(VALU_DEP_2) | instskip(NEXT) | instid1(VALU_DEP_2)
	v_and_b32_e32 v7, 7, v7
	v_cmp_eq_u32_e32 vcc_lo, 0, v4
	s_delay_alu instid0(VALU_DEP_2) | instskip(NEXT) | instid1(VALU_DEP_1)
	v_dual_cndmask_b32 v4, v4, v6 :: v_dual_cndmask_b32 v5, v5, v7
	v_lshl_add_u32 v4, v4, 23, 0x3b800000
	s_delay_alu instid0(VALU_DEP_2) | instskip(NEXT) | instid1(VALU_DEP_1)
	v_lshlrev_b32_e32 v5, 20, v5
	v_or3_b32 v4, v3, v4, v5
.LBB488_163:
	s_or_b32 exec_lo, exec_lo, s1
	s_delay_alu instid0(VALU_DEP_1) | instskip(SKIP_1) | instid1(VALU_DEP_2)
	v_bfe_u32 v3, v4, 16, 1
	v_cmp_o_f32_e32 vcc_lo, v4, v4
	v_add3_u32 v3, v4, v3, 0x7fff
	s_delay_alu instid0(VALU_DEP_1) | instskip(NEXT) | instid1(VALU_DEP_1)
	v_lshrrev_b32_e32 v3, 16, v3
	v_cndmask_b32_e32 v4, 0x7fc0, v3, vcc_lo
.LBB488_164:
	s_mov_b32 s0, -1
.LBB488_165:
	s_branch .LBB488_200
.LBB488_166:
	v_cmp_gt_i16_e64 s1, s10, 22
	s_delay_alu instid0(VALU_DEP_1)
	s_and_b32 vcc_lo, exec_lo, s1
	s_cbranch_vccz .LBB488_176
; %bb.167:
	v_cmp_lt_i16_e64 s0, s10, 24
	s_delay_alu instid0(VALU_DEP_1)
	s_and_b32 vcc_lo, exec_lo, s0
	s_cbranch_vccnz .LBB488_179
; %bb.168:
	v_cmp_gt_i16_e64 s0, s10, 24
	s_delay_alu instid0(VALU_DEP_1)
	s_and_b32 vcc_lo, exec_lo, s0
	s_cbranch_vccz .LBB488_180
; %bb.169:
	global_load_u8 v3, v[0:1], off
	s_mov_b32 s0, 0
	s_mov_b32 s15, exec_lo
                                        ; implicit-def: $sgpr1
	s_waitcnt vmcnt(0)
	v_cmpx_lt_i16_e32 0x7f, v3
	s_xor_b32 s15, exec_lo, s15
	s_cbranch_execz .LBB488_192
; %bb.170:
	s_mov_b32 s0, -1
	s_mov_b32 s19, exec_lo
                                        ; implicit-def: $sgpr1
	v_cmpx_eq_u16_e32 0x80, v3
; %bb.171:
	s_mov_b32 s1, 0x7f800001
	s_xor_b32 s0, exec_lo, -1
; %bb.172:
	s_or_b32 exec_lo, exec_lo, s19
	s_delay_alu instid0(SALU_CYCLE_1)
	s_and_b32 s0, s0, exec_lo
	s_or_saveexec_b32 s15, s15
	v_mov_b32_e32 v4, s1
	s_xor_b32 exec_lo, exec_lo, s15
	s_cbranch_execnz .LBB488_193
.LBB488_173:
	s_or_b32 exec_lo, exec_lo, s15
	s_and_saveexec_b32 s1, s0
	s_cbranch_execz .LBB488_175
.LBB488_174:
	v_and_b32_e32 v4, 0xffff, v3
	v_lshlrev_b32_e32 v3, 24, v3
	s_delay_alu instid0(VALU_DEP_2) | instskip(NEXT) | instid1(VALU_DEP_2)
	v_and_b32_e32 v5, 3, v4
	v_and_b32_e32 v3, 0x80000000, v3
	s_delay_alu instid0(VALU_DEP_2) | instskip(NEXT) | instid1(VALU_DEP_1)
	v_clz_i32_u32_e32 v6, v5
	v_min_u32_e32 v6, 32, v6
	s_delay_alu instid0(VALU_DEP_1) | instskip(SKIP_1) | instid1(VALU_DEP_2)
	v_subrev_nc_u32_e32 v7, 29, v6
	v_sub_nc_u32_e32 v6, 30, v6
	v_lshlrev_b32_e32 v7, v7, v4
	v_bfe_u32 v4, v4, 2, 5
	s_delay_alu instid0(VALU_DEP_2) | instskip(NEXT) | instid1(VALU_DEP_2)
	v_and_b32_e32 v7, 3, v7
	v_cmp_eq_u32_e32 vcc_lo, 0, v4
	s_delay_alu instid0(VALU_DEP_2) | instskip(NEXT) | instid1(VALU_DEP_1)
	v_dual_cndmask_b32 v4, v4, v6 :: v_dual_cndmask_b32 v5, v5, v7
	v_lshl_add_u32 v4, v4, 23, 0x37800000
	s_delay_alu instid0(VALU_DEP_2) | instskip(NEXT) | instid1(VALU_DEP_1)
	v_lshlrev_b32_e32 v5, 21, v5
	v_or3_b32 v4, v3, v4, v5
.LBB488_175:
	s_or_b32 exec_lo, exec_lo, s1
	s_delay_alu instid0(VALU_DEP_1) | instskip(SKIP_2) | instid1(VALU_DEP_2)
	v_bfe_u32 v3, v4, 16, 1
	v_cmp_o_f32_e32 vcc_lo, v4, v4
	s_mov_b32 s0, 0
	v_add3_u32 v3, v4, v3, 0x7fff
	s_delay_alu instid0(VALU_DEP_1) | instskip(NEXT) | instid1(VALU_DEP_1)
	v_lshrrev_b32_e32 v3, 16, v3
	v_cndmask_b32_e32 v4, 0x7fc0, v3, vcc_lo
	s_branch .LBB488_181
.LBB488_176:
	s_mov_b32 s1, -1
                                        ; implicit-def: $vgpr4
	s_branch .LBB488_187
.LBB488_177:
	s_or_saveexec_b32 s15, s15
	v_mov_b32_e32 v4, s1
	s_xor_b32 exec_lo, exec_lo, s15
	s_cbranch_execz .LBB488_161
.LBB488_178:
	v_cmp_ne_u16_e32 vcc_lo, 0, v3
	v_mov_b32_e32 v4, 0
	s_and_not1_b32 s0, s0, exec_lo
	s_and_b32 s1, vcc_lo, exec_lo
	s_delay_alu instid0(SALU_CYCLE_1)
	s_or_b32 s0, s0, s1
	s_or_b32 exec_lo, exec_lo, s15
	s_and_saveexec_b32 s1, s0
	s_cbranch_execnz .LBB488_162
	s_branch .LBB488_163
.LBB488_179:
	s_mov_b32 s0, -1
                                        ; implicit-def: $vgpr4
	s_branch .LBB488_184
.LBB488_180:
	s_mov_b32 s0, -1
                                        ; implicit-def: $vgpr4
.LBB488_181:
	s_delay_alu instid0(SALU_CYCLE_1)
	s_and_b32 vcc_lo, exec_lo, s0
	s_cbranch_vccz .LBB488_183
; %bb.182:
	global_load_u8 v3, v[0:1], off
	s_waitcnt vmcnt(0)
	v_lshlrev_b32_e32 v3, 24, v3
	s_delay_alu instid0(VALU_DEP_1) | instskip(NEXT) | instid1(VALU_DEP_1)
	v_and_b32_e32 v4, 0x7f000000, v3
	v_clz_i32_u32_e32 v5, v4
	v_add_nc_u32_e32 v7, 0x1000000, v4
	v_cmp_ne_u32_e32 vcc_lo, 0, v4
	s_delay_alu instid0(VALU_DEP_3) | instskip(NEXT) | instid1(VALU_DEP_1)
	v_min_u32_e32 v5, 32, v5
	v_sub_nc_u32_e64 v5, v5, 4 clamp
	s_delay_alu instid0(VALU_DEP_1) | instskip(SKIP_1) | instid1(VALU_DEP_2)
	v_lshlrev_b32_e32 v6, v5, v4
	v_lshlrev_b32_e32 v5, 23, v5
	v_lshrrev_b32_e32 v6, 4, v6
	s_delay_alu instid0(VALU_DEP_1) | instskip(SKIP_1) | instid1(VALU_DEP_2)
	v_sub_nc_u32_e32 v5, v6, v5
	v_ashrrev_i32_e32 v6, 8, v7
	v_add_nc_u32_e32 v5, 0x3c000000, v5
	s_delay_alu instid0(VALU_DEP_1) | instskip(NEXT) | instid1(VALU_DEP_1)
	v_and_or_b32 v5, 0x7f800000, v6, v5
	v_cndmask_b32_e32 v4, 0, v5, vcc_lo
	s_delay_alu instid0(VALU_DEP_1) | instskip(SKIP_1) | instid1(VALU_DEP_2)
	v_and_or_b32 v3, 0x80000000, v3, v4
	v_bfe_u32 v4, v4, 16, 1
	v_cmp_o_f32_e32 vcc_lo, v3, v3
	s_delay_alu instid0(VALU_DEP_2) | instskip(NEXT) | instid1(VALU_DEP_1)
	v_add3_u32 v4, v3, v4, 0x7fff
	v_lshrrev_b32_e32 v4, 16, v4
	s_delay_alu instid0(VALU_DEP_1)
	v_cndmask_b32_e32 v4, 0x7fc0, v4, vcc_lo
.LBB488_183:
	s_mov_b32 s0, 0
.LBB488_184:
	s_delay_alu instid0(SALU_CYCLE_1)
	s_and_not1_b32 vcc_lo, exec_lo, s0
	s_cbranch_vccnz .LBB488_186
; %bb.185:
	global_load_u8 v3, v[0:1], off
	s_waitcnt vmcnt(0)
	v_lshlrev_b32_e32 v4, 25, v3
	v_lshlrev_b16 v3, 8, v3
	s_delay_alu instid0(VALU_DEP_2) | instskip(NEXT) | instid1(VALU_DEP_2)
	v_lshrrev_b32_e32 v5, 4, v4
	v_and_or_b32 v6, 0x7f00, v3, 0.5
	v_bfe_i32 v3, v3, 0, 16
	s_delay_alu instid0(VALU_DEP_3) | instskip(NEXT) | instid1(VALU_DEP_1)
	v_or_b32_e32 v5, 0x70000000, v5
	v_dual_add_f32 v6, -0.5, v6 :: v_dual_mul_f32 v5, 0x7800000, v5
	v_cmp_gt_u32_e32 vcc_lo, 0x8000000, v4
	s_delay_alu instid0(VALU_DEP_2) | instskip(NEXT) | instid1(VALU_DEP_1)
	v_cndmask_b32_e32 v4, v5, v6, vcc_lo
	v_and_or_b32 v3, 0x80000000, v3, v4
	v_bfe_u32 v4, v4, 16, 1
	s_delay_alu instid0(VALU_DEP_2) | instskip(NEXT) | instid1(VALU_DEP_2)
	v_cmp_o_f32_e32 vcc_lo, v3, v3
	v_add3_u32 v4, v3, v4, 0x7fff
	s_delay_alu instid0(VALU_DEP_1) | instskip(NEXT) | instid1(VALU_DEP_1)
	v_lshrrev_b32_e32 v4, 16, v4
	v_cndmask_b32_e32 v4, 0x7fc0, v4, vcc_lo
.LBB488_186:
	s_mov_b32 s1, 0
	s_mov_b32 s0, -1
.LBB488_187:
	s_and_not1_b32 vcc_lo, exec_lo, s1
	s_cbranch_vccnz .LBB488_200
; %bb.188:
	v_cmp_gt_i16_e64 s1, s10, 14
	s_delay_alu instid0(VALU_DEP_1)
	s_and_b32 vcc_lo, exec_lo, s1
	s_cbranch_vccz .LBB488_191
; %bb.189:
	v_cmp_eq_u16_e64 s1, s10, 15
	s_delay_alu instid0(VALU_DEP_1)
	s_and_b32 vcc_lo, exec_lo, s1
	s_cbranch_vccz .LBB488_194
; %bb.190:
	global_load_u16 v4, v[0:1], off
	s_mov_b32 s0, -1
	s_mov_b32 s16, 0
	s_branch .LBB488_195
.LBB488_191:
	s_mov_b32 s1, -1
                                        ; implicit-def: $vgpr4
	s_branch .LBB488_196
.LBB488_192:
	s_or_saveexec_b32 s15, s15
	v_mov_b32_e32 v4, s1
	s_xor_b32 exec_lo, exec_lo, s15
	s_cbranch_execz .LBB488_173
.LBB488_193:
	v_cmp_ne_u16_e32 vcc_lo, 0, v3
	v_mov_b32_e32 v4, 0
	s_and_not1_b32 s0, s0, exec_lo
	s_and_b32 s1, vcc_lo, exec_lo
	s_delay_alu instid0(SALU_CYCLE_1)
	s_or_b32 s0, s0, s1
	s_or_b32 exec_lo, exec_lo, s15
	s_and_saveexec_b32 s1, s0
	s_cbranch_execnz .LBB488_174
	s_branch .LBB488_175
.LBB488_194:
	s_mov_b32 s16, -1
                                        ; implicit-def: $vgpr4
.LBB488_195:
	s_mov_b32 s1, 0
.LBB488_196:
	s_delay_alu instid0(SALU_CYCLE_1)
	s_and_b32 vcc_lo, exec_lo, s1
	s_cbranch_vccz .LBB488_200
; %bb.197:
	v_cmp_eq_u16_e64 s1, s10, 11
	s_delay_alu instid0(VALU_DEP_1)
	s_and_b32 vcc_lo, exec_lo, s1
	s_cbranch_vccz .LBB488_199
; %bb.198:
	global_load_u8 v3, v[0:1], off
	s_mov_b32 s16, 0
	s_mov_b32 s0, -1
	s_waitcnt vmcnt(0)
	v_cmp_ne_u16_e32 vcc_lo, 0, v3
	v_cndmask_b32_e64 v3, 0, 1.0, vcc_lo
	s_delay_alu instid0(VALU_DEP_1)
	v_lshrrev_b32_e32 v4, 16, v3
	s_branch .LBB488_200
.LBB488_199:
	s_mov_b32 s16, -1
                                        ; implicit-def: $vgpr4
.LBB488_200:
	s_branch .LBB488_10
.LBB488_201:
	v_cmp_lt_i16_e64 s0, s10, 5
	s_delay_alu instid0(VALU_DEP_1)
	s_and_b32 vcc_lo, exec_lo, s0
	s_cbranch_vccnz .LBB488_206
; %bb.202:
	v_cmp_lt_i16_e64 s0, s10, 8
	s_delay_alu instid0(VALU_DEP_1)
	s_and_b32 vcc_lo, exec_lo, s0
	s_cbranch_vccnz .LBB488_207
; %bb.203:
	;; [unrolled: 5-line block ×3, first 2 shown]
	v_cmp_gt_i16_e64 s0, s10, 9
	s_delay_alu instid0(VALU_DEP_1)
	s_and_b32 vcc_lo, exec_lo, s0
	s_cbranch_vccz .LBB488_209
; %bb.205:
	global_load_b64 v[3:4], v[0:1], off
	s_mov_b32 s0, 0
	s_waitcnt vmcnt(0)
	v_cvt_f32_f64_e32 v3, v[3:4]
	s_delay_alu instid0(VALU_DEP_1) | instskip(SKIP_1) | instid1(VALU_DEP_2)
	v_bfe_u32 v4, v3, 16, 1
	v_cmp_o_f32_e32 vcc_lo, v3, v3
	v_add3_u32 v4, v3, v4, 0x7fff
	s_delay_alu instid0(VALU_DEP_1) | instskip(NEXT) | instid1(VALU_DEP_1)
	v_lshrrev_b32_e32 v4, 16, v4
	v_cndmask_b32_e32 v4, 0x7fc0, v4, vcc_lo
	s_branch .LBB488_210
.LBB488_206:
                                        ; implicit-def: $vgpr4
	s_branch .LBB488_228
.LBB488_207:
	s_mov_b32 s0, -1
                                        ; implicit-def: $vgpr4
	s_branch .LBB488_216
.LBB488_208:
	s_mov_b32 s0, -1
                                        ; implicit-def: $vgpr4
	s_branch .LBB488_213
.LBB488_209:
	s_mov_b32 s0, -1
                                        ; implicit-def: $vgpr4
.LBB488_210:
	s_delay_alu instid0(SALU_CYCLE_1)
	s_and_not1_b32 vcc_lo, exec_lo, s0
	s_cbranch_vccnz .LBB488_212
; %bb.211:
	global_load_b32 v3, v[0:1], off
	s_waitcnt vmcnt(0)
	v_bfe_u32 v4, v3, 16, 1
	v_cmp_o_f32_e32 vcc_lo, v3, v3
	s_delay_alu instid0(VALU_DEP_2) | instskip(NEXT) | instid1(VALU_DEP_1)
	v_add3_u32 v4, v3, v4, 0x7fff
	v_lshrrev_b32_e32 v4, 16, v4
	s_delay_alu instid0(VALU_DEP_1)
	v_cndmask_b32_e32 v4, 0x7fc0, v4, vcc_lo
.LBB488_212:
	s_mov_b32 s0, 0
.LBB488_213:
	s_delay_alu instid0(SALU_CYCLE_1)
	s_and_not1_b32 vcc_lo, exec_lo, s0
	s_cbranch_vccnz .LBB488_215
; %bb.214:
	global_load_b32 v3, v[0:1], off
	s_waitcnt vmcnt(0)
	v_cvt_f32_f16_e32 v4, v3
	v_cmp_o_f16_e32 vcc_lo, v3, v3
	s_delay_alu instid0(VALU_DEP_2) | instskip(NEXT) | instid1(VALU_DEP_1)
	v_bfe_u32 v5, v4, 16, 1
	v_add3_u32 v4, v4, v5, 0x7fff
	s_delay_alu instid0(VALU_DEP_1) | instskip(NEXT) | instid1(VALU_DEP_1)
	v_lshrrev_b32_e32 v4, 16, v4
	v_cndmask_b32_e32 v4, 0x7fc0, v4, vcc_lo
.LBB488_215:
	s_mov_b32 s0, 0
.LBB488_216:
	s_delay_alu instid0(SALU_CYCLE_1)
	s_and_not1_b32 vcc_lo, exec_lo, s0
	s_cbranch_vccnz .LBB488_227
; %bb.217:
	v_cmp_lt_i16_e64 s0, s10, 6
	s_delay_alu instid0(VALU_DEP_1)
	s_and_b32 vcc_lo, exec_lo, s0
	s_cbranch_vccnz .LBB488_220
; %bb.218:
	v_cmp_gt_i16_e64 s0, s10, 6
	s_delay_alu instid0(VALU_DEP_1)
	s_and_b32 vcc_lo, exec_lo, s0
	s_cbranch_vccz .LBB488_221
; %bb.219:
	global_load_b64 v[3:4], v[0:1], off
	s_mov_b32 s0, 0
	s_waitcnt vmcnt(0)
	v_cvt_f32_f64_e32 v3, v[3:4]
	s_delay_alu instid0(VALU_DEP_1) | instskip(SKIP_1) | instid1(VALU_DEP_2)
	v_bfe_u32 v4, v3, 16, 1
	v_cmp_o_f32_e32 vcc_lo, v3, v3
	v_add3_u32 v4, v3, v4, 0x7fff
	s_delay_alu instid0(VALU_DEP_1) | instskip(NEXT) | instid1(VALU_DEP_1)
	v_lshrrev_b32_e32 v4, 16, v4
	v_cndmask_b32_e32 v4, 0x7fc0, v4, vcc_lo
	s_branch .LBB488_222
.LBB488_220:
	s_mov_b32 s0, -1
                                        ; implicit-def: $vgpr4
	s_branch .LBB488_225
.LBB488_221:
	s_mov_b32 s0, -1
                                        ; implicit-def: $vgpr4
.LBB488_222:
	s_delay_alu instid0(SALU_CYCLE_1)
	s_and_not1_b32 vcc_lo, exec_lo, s0
	s_cbranch_vccnz .LBB488_224
; %bb.223:
	global_load_b32 v3, v[0:1], off
	s_waitcnt vmcnt(0)
	v_bfe_u32 v4, v3, 16, 1
	v_cmp_o_f32_e32 vcc_lo, v3, v3
	s_delay_alu instid0(VALU_DEP_2) | instskip(NEXT) | instid1(VALU_DEP_1)
	v_add3_u32 v4, v3, v4, 0x7fff
	v_lshrrev_b32_e32 v4, 16, v4
	s_delay_alu instid0(VALU_DEP_1)
	v_cndmask_b32_e32 v4, 0x7fc0, v4, vcc_lo
.LBB488_224:
	s_mov_b32 s0, 0
.LBB488_225:
	s_delay_alu instid0(SALU_CYCLE_1)
	s_and_not1_b32 vcc_lo, exec_lo, s0
	s_cbranch_vccnz .LBB488_227
; %bb.226:
	global_load_u16 v3, v[0:1], off
	s_waitcnt vmcnt(0)
	v_cvt_f32_f16_e32 v4, v3
	v_cmp_o_f16_e32 vcc_lo, v3, v3
	s_delay_alu instid0(VALU_DEP_2) | instskip(NEXT) | instid1(VALU_DEP_1)
	v_bfe_u32 v5, v4, 16, 1
	v_add3_u32 v4, v4, v5, 0x7fff
	s_delay_alu instid0(VALU_DEP_1) | instskip(NEXT) | instid1(VALU_DEP_1)
	v_lshrrev_b32_e32 v4, 16, v4
	v_cndmask_b32_e32 v4, 0x7fc0, v4, vcc_lo
.LBB488_227:
	s_cbranch_execnz .LBB488_247
.LBB488_228:
	v_cmp_lt_i16_e64 s0, s10, 2
	s_delay_alu instid0(VALU_DEP_1)
	s_and_b32 vcc_lo, exec_lo, s0
	s_cbranch_vccnz .LBB488_232
; %bb.229:
	v_cmp_lt_i16_e64 s0, s10, 3
	s_delay_alu instid0(VALU_DEP_1)
	s_and_b32 vcc_lo, exec_lo, s0
	s_cbranch_vccnz .LBB488_233
; %bb.230:
	v_cmp_gt_i16_e64 s0, s10, 3
	s_delay_alu instid0(VALU_DEP_1)
	s_and_b32 vcc_lo, exec_lo, s0
	s_cbranch_vccz .LBB488_234
; %bb.231:
	global_load_b64 v[3:4], v[0:1], off
	s_mov_b32 s0, 0
	s_waitcnt vmcnt(0)
	v_xor_b32_e32 v5, v3, v4
	v_cls_i32_e32 v6, v4
	s_delay_alu instid0(VALU_DEP_2) | instskip(NEXT) | instid1(VALU_DEP_2)
	v_ashrrev_i32_e32 v5, 31, v5
	v_add_nc_u32_e32 v6, -1, v6
	s_delay_alu instid0(VALU_DEP_2) | instskip(NEXT) | instid1(VALU_DEP_1)
	v_add_nc_u32_e32 v5, 32, v5
	v_min_u32_e32 v5, v6, v5
	s_delay_alu instid0(VALU_DEP_1) | instskip(NEXT) | instid1(VALU_DEP_1)
	v_lshlrev_b64 v[3:4], v5, v[3:4]
	v_min_u32_e32 v3, 1, v3
	s_delay_alu instid0(VALU_DEP_1) | instskip(SKIP_1) | instid1(VALU_DEP_2)
	v_or_b32_e32 v3, v4, v3
	v_sub_nc_u32_e32 v4, 32, v5
	v_cvt_f32_i32_e32 v3, v3
	s_delay_alu instid0(VALU_DEP_1) | instskip(NEXT) | instid1(VALU_DEP_1)
	v_ldexp_f32 v3, v3, v4
	v_bfe_u32 v4, v3, 16, 1
	s_delay_alu instid0(VALU_DEP_1) | instskip(NEXT) | instid1(VALU_DEP_1)
	v_add3_u32 v3, v3, v4, 0x7fff
	v_lshrrev_b32_e32 v4, 16, v3
	s_branch .LBB488_235
.LBB488_232:
	s_mov_b32 s0, -1
                                        ; implicit-def: $vgpr4
	s_branch .LBB488_241
.LBB488_233:
	s_mov_b32 s0, -1
                                        ; implicit-def: $vgpr4
	s_branch .LBB488_238
.LBB488_234:
	s_mov_b32 s0, -1
                                        ; implicit-def: $vgpr4
.LBB488_235:
	s_delay_alu instid0(SALU_CYCLE_1)
	s_and_not1_b32 vcc_lo, exec_lo, s0
	s_cbranch_vccnz .LBB488_237
; %bb.236:
	global_load_b32 v3, v[0:1], off
	s_waitcnt vmcnt(0)
	v_cvt_f32_i32_e32 v3, v3
	s_delay_alu instid0(VALU_DEP_1) | instskip(NEXT) | instid1(VALU_DEP_1)
	v_bfe_u32 v4, v3, 16, 1
	v_add3_u32 v3, v3, v4, 0x7fff
	s_delay_alu instid0(VALU_DEP_1)
	v_lshrrev_b32_e32 v4, 16, v3
.LBB488_237:
	s_mov_b32 s0, 0
.LBB488_238:
	s_delay_alu instid0(SALU_CYCLE_1)
	s_and_not1_b32 vcc_lo, exec_lo, s0
	s_cbranch_vccnz .LBB488_240
; %bb.239:
	global_load_i16 v3, v[0:1], off
	s_waitcnt vmcnt(0)
	v_cvt_f32_i32_e32 v3, v3
	s_delay_alu instid0(VALU_DEP_1) | instskip(NEXT) | instid1(VALU_DEP_1)
	v_bfe_u32 v4, v3, 16, 1
	v_add3_u32 v3, v3, v4, 0x7fff
	s_delay_alu instid0(VALU_DEP_1)
	v_lshrrev_b32_e32 v4, 16, v3
.LBB488_240:
	s_mov_b32 s0, 0
.LBB488_241:
	s_delay_alu instid0(SALU_CYCLE_1)
	s_and_not1_b32 vcc_lo, exec_lo, s0
	s_cbranch_vccnz .LBB488_247
; %bb.242:
	v_cmp_gt_i16_e64 s0, s10, 0
	s_delay_alu instid0(VALU_DEP_1)
	s_and_b32 vcc_lo, exec_lo, s0
	s_mov_b32 s0, 0
	s_cbranch_vccz .LBB488_244
; %bb.243:
	global_load_i8 v3, v[0:1], off
	s_waitcnt vmcnt(0)
	v_cvt_f32_i32_e32 v3, v3
	s_delay_alu instid0(VALU_DEP_1) | instskip(NEXT) | instid1(VALU_DEP_1)
	v_bfe_u32 v4, v3, 16, 1
	v_add3_u32 v3, v3, v4, 0x7fff
	s_delay_alu instid0(VALU_DEP_1)
	v_lshrrev_b32_e32 v4, 16, v3
	s_branch .LBB488_245
.LBB488_244:
	s_mov_b32 s0, -1
                                        ; implicit-def: $vgpr4
.LBB488_245:
	s_delay_alu instid0(SALU_CYCLE_1)
	s_and_not1_b32 vcc_lo, exec_lo, s0
	s_cbranch_vccnz .LBB488_247
; %bb.246:
	global_load_u8 v0, v[0:1], off
	s_waitcnt vmcnt(0)
	v_cvt_f32_ubyte0_e32 v0, v0
	s_delay_alu instid0(VALU_DEP_1) | instskip(NEXT) | instid1(VALU_DEP_1)
	v_bfe_u32 v1, v0, 16, 1
	v_add3_u32 v0, v0, v1, 0x7fff
	s_delay_alu instid0(VALU_DEP_1)
	v_lshrrev_b32_e32 v4, 16, v0
.LBB488_247:
	s_branch .LBB488_11
.LBB488_248:
	s_mov_b32 s0, 0
.LBB488_249:
	s_mov_b32 s1, 0
                                        ; implicit-def: $vgpr2
.LBB488_250:
	s_and_b32 s15, s0, exec_lo
	s_and_b32 s16, s16, exec_lo
	s_or_not1_b32 s1, s1, exec_lo
.LBB488_251:
	s_or_b32 exec_lo, exec_lo, s17
	s_mov_b32 s19, 0
	s_mov_b32 s0, 0
                                        ; implicit-def: $vgpr0_vgpr1
                                        ; implicit-def: $vgpr5
	s_and_saveexec_b32 s17, s1
	s_cbranch_execz .LBB488_859
; %bb.252:
	s_mov_b32 s0, -1
	s_mov_b32 s18, s16
	s_mov_b32 s19, s15
	s_mov_b32 s20, exec_lo
	v_cmpx_gt_i32_e64 s14, v2
	s_cbranch_execz .LBB488_511
; %bb.253:
	v_mul_lo_u32 v0, v2, s3
	v_cmp_lt_i16_e64 s0, s10, 11
	s_delay_alu instid0(VALU_DEP_2) | instskip(SKIP_1) | instid1(VALU_DEP_2)
	v_ashrrev_i32_e32 v1, 31, v0
	v_add_co_u32 v0, vcc_lo, s6, v0
	v_add_co_ci_u32_e32 v1, vcc_lo, s7, v1, vcc_lo
	s_delay_alu instid0(VALU_DEP_4)
	s_and_b32 vcc_lo, exec_lo, s0
	s_cbranch_vccnz .LBB488_260
; %bb.254:
	v_cmp_gt_i16_e64 s0, s10, 25
	s_delay_alu instid0(VALU_DEP_1)
	s_and_b32 vcc_lo, exec_lo, s0
	s_cbranch_vccz .LBB488_269
; %bb.255:
	v_cmp_gt_i16_e64 s0, s10, 28
	s_delay_alu instid0(VALU_DEP_1)
	s_and_b32 vcc_lo, exec_lo, s0
	s_cbranch_vccz .LBB488_271
	;; [unrolled: 5-line block ×4, first 2 shown]
; %bb.258:
	v_cmp_eq_u16_e64 s0, s10, 46
	s_mov_b32 s1, 0
	s_delay_alu instid0(VALU_DEP_1)
	s_and_b32 vcc_lo, exec_lo, s0
	s_cbranch_vccz .LBB488_281
; %bb.259:
	global_load_b32 v3, v[0:1], off
	s_mov_b32 s0, -1
	s_mov_b32 s18, 0
	s_branch .LBB488_283
.LBB488_260:
	s_mov_b32 s0, 0
	s_mov_b32 s18, s16
                                        ; implicit-def: $vgpr3
	s_cbranch_execnz .LBB488_460
.LBB488_261:
	s_and_not1_b32 vcc_lo, exec_lo, s0
	s_cbranch_vccnz .LBB488_508
.LBB488_262:
	s_waitcnt vmcnt(0)
	s_delay_alu instid0(VALU_DEP_1) | instskip(SKIP_2) | instid1(VALU_DEP_3)
	v_lshlrev_b32_e32 v0, 16, v3
	v_mul_lo_u32 v1, v2, s2
	v_and_b32_e64 v4, 0xff, s9
	v_cmp_u_f32_e32 vcc_lo, v0, v0
	v_cmp_gt_f32_e64 s0, s13, v0
	s_delay_alu instid0(VALU_DEP_3) | instskip(SKIP_1) | instid1(VALU_DEP_3)
	v_cmp_gt_i16_e64 s1, 11, v4
	v_ashrrev_i32_e32 v5, 31, v1
	s_or_b32 vcc_lo, vcc_lo, s0
	v_cndmask_b32_e32 v3, s8, v3, vcc_lo
	v_add_co_u32 v0, vcc_lo, s4, v1
	s_delay_alu instid0(VALU_DEP_3)
	v_add_co_ci_u32_e32 v1, vcc_lo, s5, v5, vcc_lo
	s_and_b32 vcc_lo, exec_lo, s1
	s_cbranch_vccnz .LBB488_270
; %bb.263:
	v_cmp_lt_i16_e32 vcc_lo, 25, v4
	s_cbranch_vccz .LBB488_272
; %bb.264:
	v_cmp_lt_i16_e32 vcc_lo, 28, v4
	s_cbranch_vccz .LBB488_274
; %bb.265:
	v_cmp_lt_i16_e32 vcc_lo, 43, v4
	s_cbranch_vccz .LBB488_278
; %bb.266:
	v_cmp_lt_i16_e32 vcc_lo, 45, v4
	s_cbranch_vccz .LBB488_286
; %bb.267:
	v_cmp_eq_u16_e32 vcc_lo, 46, v4
	s_mov_b32 s19, 0
	s_mov_b32 s0, -1
	s_mov_b32 s1, 0
	s_cbranch_vccz .LBB488_287
; %bb.268:
	v_and_b32_e32 v5, 0xffff, v3
	s_mov_b32 s1, -1
	s_mov_b32 s0, 0
	global_store_b32 v[0:1], v5, off
	s_branch .LBB488_287
.LBB488_269:
	s_mov_b32 s1, -1
	s_mov_b32 s0, 0
	s_mov_b32 s18, s16
                                        ; implicit-def: $vgpr3
	s_branch .LBB488_424
.LBB488_270:
	s_mov_b32 s19, -1
	s_mov_b32 s1, 0
	s_mov_b32 s0, s15
	s_branch .LBB488_356
.LBB488_271:
	s_mov_b32 s1, -1
	s_mov_b32 s0, 0
	s_mov_b32 s18, s16
                                        ; implicit-def: $vgpr3
	s_branch .LBB488_405
.LBB488_272:
	s_mov_b32 s19, -1
	s_mov_b32 s1, 0
	s_mov_b32 s0, s15
	s_branch .LBB488_314
.LBB488_273:
	s_mov_b32 s1, -1
	s_mov_b32 s0, 0
	s_mov_b32 s18, s16
                                        ; implicit-def: $vgpr3
	s_branch .LBB488_400
.LBB488_274:
	s_mov_b32 s19, -1
	s_mov_b32 s1, 0
	s_mov_b32 s0, s15
	s_branch .LBB488_297
.LBB488_275:
	s_or_saveexec_b32 s19, s19
                                        ; implicit-def: $sgpr20
	s_delay_alu instid0(SALU_CYCLE_1)
	s_xor_b32 exec_lo, exec_lo, s19
	s_cbranch_execz .LBB488_53
.LBB488_276:
	v_add_f32_e64 v6, 0x46000000, |v7|
	s_and_not1_b32 s15, s15, exec_lo
	s_mov_b32 s20, 0
	s_delay_alu instid0(VALU_DEP_1) | instskip(NEXT) | instid1(VALU_DEP_1)
	v_and_b32_e32 v6, 0xff, v6
	v_cmp_ne_u32_e32 vcc_lo, 0, v6
	s_and_b32 s21, vcc_lo, exec_lo
	s_delay_alu instid0(SALU_CYCLE_1)
	s_or_b32 s15, s15, s21
	s_or_b32 exec_lo, exec_lo, s19
	v_mov_b32_e32 v8, s20
	s_and_saveexec_b32 s19, s15
	s_cbranch_execnz .LBB488_54
	s_branch .LBB488_55
.LBB488_277:
	s_mov_b32 s1, -1
	s_mov_b32 s0, 0
	s_mov_b32 s18, s16
	s_branch .LBB488_282
.LBB488_278:
	s_mov_b32 s19, -1
	s_mov_b32 s1, 0
	s_mov_b32 s0, s15
	s_branch .LBB488_293
.LBB488_279:
	s_or_saveexec_b32 s19, s19
                                        ; implicit-def: $sgpr20
	s_delay_alu instid0(SALU_CYCLE_1)
	s_xor_b32 exec_lo, exec_lo, s19
	s_cbranch_execz .LBB488_66
.LBB488_280:
	v_add_f32_e64 v6, 0x42800000, |v7|
	s_and_not1_b32 s15, s15, exec_lo
	s_mov_b32 s20, 0
	s_delay_alu instid0(VALU_DEP_1) | instskip(NEXT) | instid1(VALU_DEP_1)
	v_and_b32_e32 v6, 0xff, v6
	v_cmp_ne_u32_e32 vcc_lo, 0, v6
	s_and_b32 s21, vcc_lo, exec_lo
	s_delay_alu instid0(SALU_CYCLE_1)
	s_or_b32 s15, s15, s21
	s_or_b32 exec_lo, exec_lo, s19
	v_mov_b32_e32 v8, s20
	s_and_saveexec_b32 s19, s15
	s_cbranch_execnz .LBB488_67
	s_branch .LBB488_68
.LBB488_281:
	s_mov_b32 s18, -1
	s_mov_b32 s0, 0
.LBB488_282:
                                        ; implicit-def: $vgpr3
.LBB488_283:
	s_and_b32 vcc_lo, exec_lo, s1
	s_cbranch_vccz .LBB488_399
; %bb.284:
	v_cmp_eq_u16_e64 s1, s10, 44
	s_delay_alu instid0(VALU_DEP_1)
	s_and_b32 vcc_lo, exec_lo, s1
	s_cbranch_vccz .LBB488_398
; %bb.285:
	global_load_u8 v3, v[0:1], off
	s_mov_b32 s18, 0
	s_mov_b32 s0, -1
	s_waitcnt vmcnt(0)
	v_lshlrev_b32_e32 v4, 23, v3
	v_cmp_ne_u32_e32 vcc_lo, 0xff, v3
	s_delay_alu instid0(VALU_DEP_2) | instskip(SKIP_1) | instid1(VALU_DEP_2)
	v_cndmask_b32_e32 v4, 0x7f800001, v4, vcc_lo
	v_cmp_ne_u32_e32 vcc_lo, 0, v3
	v_cndmask_b32_e32 v3, 0x400000, v4, vcc_lo
	s_delay_alu instid0(VALU_DEP_1) | instskip(SKIP_1) | instid1(VALU_DEP_2)
	v_add_nc_u32_e32 v4, 0x7fff, v3
	v_cmp_o_f32_e32 vcc_lo, v3, v3
	v_lshrrev_b32_e32 v4, 16, v4
	s_delay_alu instid0(VALU_DEP_1)
	v_cndmask_b32_e32 v3, 0x7fc0, v4, vcc_lo
	s_branch .LBB488_399
.LBB488_286:
	s_mov_b32 s19, -1
	s_mov_b32 s1, 0
	s_mov_b32 s0, s15
.LBB488_287:
	s_and_b32 vcc_lo, exec_lo, s19
	s_cbranch_vccz .LBB488_292
; %bb.288:
	v_cmp_eq_u16_e32 vcc_lo, 44, v4
	s_mov_b32 s0, -1
	s_cbranch_vccz .LBB488_292
; %bb.289:
	v_and_b32_e32 v5, 0xffff, v3
	v_mov_b32_e32 v6, 0xff
	s_mov_b32 s1, exec_lo
	s_delay_alu instid0(VALU_DEP_2) | instskip(NEXT) | instid1(VALU_DEP_1)
	v_bfe_u32 v7, v5, 7, 8
	v_cmpx_ne_u32_e32 0xff, v7
; %bb.290:
	v_lshlrev_b32_e32 v6, 16, v5
	v_and_b32_e32 v8, 64, v5
	v_lshrrev_b32_e32 v5, 7, v5
	s_delay_alu instid0(VALU_DEP_3) | instskip(NEXT) | instid1(VALU_DEP_3)
	v_and_or_b32 v6, 0x3f0000, v6, v7
	v_cmp_ne_u32_e32 vcc_lo, 0, v8
	s_delay_alu instid0(VALU_DEP_2) | instskip(NEXT) | instid1(VALU_DEP_1)
	v_cmp_ne_u32_e64 s0, 0, v6
	s_and_b32 s0, vcc_lo, s0
	s_delay_alu instid0(SALU_CYCLE_1) | instskip(NEXT) | instid1(VALU_DEP_1)
	v_cndmask_b32_e64 v6, 0, 1, s0
	v_add_nc_u32_e32 v6, v5, v6
; %bb.291:
	s_or_b32 exec_lo, exec_lo, s1
	s_mov_b32 s1, -1
	s_mov_b32 s0, 0
	global_store_b8 v[0:1], v6, off
.LBB488_292:
	s_mov_b32 s19, 0
.LBB488_293:
	s_delay_alu instid0(SALU_CYCLE_1)
	s_and_b32 vcc_lo, exec_lo, s19
	s_cbranch_vccz .LBB488_296
; %bb.294:
	v_cmp_eq_u16_e32 vcc_lo, 29, v4
	s_mov_b32 s0, -1
	s_cbranch_vccz .LBB488_296
; %bb.295:
	v_lshlrev_b32_e32 v5, 16, v3
	s_mov_b32 s1, -1
	s_mov_b32 s0, 0
	s_mov_b32 s19, 0
	s_delay_alu instid0(VALU_DEP_1) | instskip(NEXT) | instid1(VALU_DEP_1)
	v_trunc_f32_e32 v5, v5
	v_mul_f32_e32 v6, 0x2f800000, v5
	s_delay_alu instid0(VALU_DEP_1) | instskip(NEXT) | instid1(VALU_DEP_1)
	v_floor_f32_e32 v6, v6
	v_fmamk_f32 v5, v6, 0xcf800000, v5
	v_cvt_u32_f32_e32 v6, v6
	s_delay_alu instid0(VALU_DEP_2)
	v_cvt_u32_f32_e32 v5, v5
	global_store_b64 v[0:1], v[5:6], off
	s_branch .LBB488_297
.LBB488_296:
	s_mov_b32 s19, 0
.LBB488_297:
	s_delay_alu instid0(SALU_CYCLE_1)
	s_and_b32 vcc_lo, exec_lo, s19
	s_cbranch_vccz .LBB488_313
; %bb.298:
	v_cmp_gt_i16_e32 vcc_lo, 27, v4
	s_mov_b32 s1, -1
	s_cbranch_vccnz .LBB488_304
; %bb.299:
	v_cmp_lt_i16_e32 vcc_lo, 27, v4
	s_cbranch_vccz .LBB488_301
; %bb.300:
	v_lshlrev_b32_e32 v5, 16, v3
	s_mov_b32 s1, 0
	s_delay_alu instid0(VALU_DEP_1)
	v_cvt_u32_f32_e32 v5, v5
	global_store_b32 v[0:1], v5, off
.LBB488_301:
	s_and_not1_b32 vcc_lo, exec_lo, s1
	s_cbranch_vccnz .LBB488_303
; %bb.302:
	v_lshlrev_b32_e32 v5, 16, v3
	s_delay_alu instid0(VALU_DEP_1)
	v_cvt_u32_f32_e32 v5, v5
	global_store_b16 v[0:1], v5, off
.LBB488_303:
	s_mov_b32 s1, 0
.LBB488_304:
	s_delay_alu instid0(SALU_CYCLE_1)
	s_and_not1_b32 vcc_lo, exec_lo, s1
	s_cbranch_vccnz .LBB488_312
; %bb.305:
	v_dual_mov_b32 v8, 0x80 :: v_dual_lshlrev_b32 v7, 16, v3
	s_mov_b32 s1, exec_lo
	s_delay_alu instid0(VALU_DEP_1) | instskip(NEXT) | instid1(VALU_DEP_1)
	v_and_b32_e32 v6, 0x7fffffff, v7
	v_cmpx_gt_u32_e32 0x43800000, v6
	s_cbranch_execz .LBB488_311
; %bb.306:
	v_and_b32_e32 v5, 0xffff, v3
	v_cmp_lt_u32_e32 vcc_lo, 0x3bffffff, v6
	s_mov_b32 s19, 0
                                        ; implicit-def: $vgpr6
	s_and_saveexec_b32 s21, vcc_lo
	s_delay_alu instid0(SALU_CYCLE_1)
	s_xor_b32 s21, exec_lo, s21
	s_cbranch_execz .LBB488_524
; %bb.307:
	v_bfe_u32 v6, v5, 4, 1
	s_mov_b32 s19, exec_lo
	s_delay_alu instid0(VALU_DEP_1) | instskip(NEXT) | instid1(VALU_DEP_1)
	v_add3_u32 v6, v7, v6, 0x487ffff
                                        ; implicit-def: $vgpr7
	v_lshrrev_b32_e32 v6, 20, v6
	s_or_saveexec_b32 s21, s21
                                        ; implicit-def: $sgpr22
	s_delay_alu instid0(SALU_CYCLE_1)
	s_xor_b32 exec_lo, exec_lo, s21
	s_cbranch_execnz .LBB488_525
.LBB488_308:
	s_or_b32 exec_lo, exec_lo, s21
	v_mov_b32_e32 v8, s22
	s_and_saveexec_b32 s21, s19
.LBB488_309:
	v_lshrrev_b32_e32 v5, 8, v5
	s_delay_alu instid0(VALU_DEP_1)
	v_and_or_b32 v8, 0x80, v5, v6
.LBB488_310:
	s_or_b32 exec_lo, exec_lo, s21
.LBB488_311:
	s_delay_alu instid0(SALU_CYCLE_1)
	s_or_b32 exec_lo, exec_lo, s1
	global_store_b8 v[0:1], v8, off
.LBB488_312:
	s_mov_b32 s1, -1
.LBB488_313:
	s_mov_b32 s19, 0
.LBB488_314:
	s_delay_alu instid0(SALU_CYCLE_1)
	s_and_b32 vcc_lo, exec_lo, s19
	s_cbranch_vccz .LBB488_355
; %bb.315:
	v_cmp_lt_i16_e32 vcc_lo, 22, v4
	s_mov_b32 s19, -1
	s_cbranch_vccz .LBB488_347
; %bb.316:
	v_cmp_gt_i16_e32 vcc_lo, 24, v4
	s_mov_b32 s1, -1
	s_cbranch_vccnz .LBB488_336
; %bb.317:
	v_cmp_lt_i16_e32 vcc_lo, 24, v4
	s_cbranch_vccz .LBB488_325
; %bb.318:
	v_dual_mov_b32 v8, 0x80 :: v_dual_lshlrev_b32 v7, 16, v3
	s_mov_b32 s1, exec_lo
	s_delay_alu instid0(VALU_DEP_1) | instskip(NEXT) | instid1(VALU_DEP_1)
	v_and_b32_e32 v6, 0x7fffffff, v7
	v_cmpx_gt_u32_e32 0x47800000, v6
	s_cbranch_execz .LBB488_324
; %bb.319:
	v_and_b32_e32 v5, 0xffff, v3
	v_cmp_lt_u32_e32 vcc_lo, 0x37ffffff, v6
	s_mov_b32 s19, 0
                                        ; implicit-def: $vgpr6
	s_and_saveexec_b32 s21, vcc_lo
	s_delay_alu instid0(SALU_CYCLE_1)
	s_xor_b32 s21, exec_lo, s21
	s_cbranch_execz .LBB488_527
; %bb.320:
	v_bfe_u32 v6, v5, 5, 1
	s_mov_b32 s19, exec_lo
	s_delay_alu instid0(VALU_DEP_1) | instskip(NEXT) | instid1(VALU_DEP_1)
	v_add3_u32 v6, v7, v6, 0x88fffff
                                        ; implicit-def: $vgpr7
	v_lshrrev_b32_e32 v6, 21, v6
	s_or_saveexec_b32 s21, s21
                                        ; implicit-def: $sgpr22
	s_delay_alu instid0(SALU_CYCLE_1)
	s_xor_b32 exec_lo, exec_lo, s21
	s_cbranch_execnz .LBB488_528
.LBB488_321:
	s_or_b32 exec_lo, exec_lo, s21
	v_mov_b32_e32 v8, s22
	s_and_saveexec_b32 s21, s19
.LBB488_322:
	v_lshrrev_b32_e32 v5, 8, v5
	s_delay_alu instid0(VALU_DEP_1)
	v_and_or_b32 v8, 0x80, v5, v6
.LBB488_323:
	s_or_b32 exec_lo, exec_lo, s21
.LBB488_324:
	s_delay_alu instid0(SALU_CYCLE_1)
	s_or_b32 exec_lo, exec_lo, s1
	s_mov_b32 s1, 0
	global_store_b8 v[0:1], v8, off
.LBB488_325:
	s_and_b32 vcc_lo, exec_lo, s1
	s_cbranch_vccz .LBB488_335
; %bb.326:
	v_lshlrev_b32_e32 v7, 16, v3
	v_and_b32_e32 v5, 0xffff, v3
	s_mov_b32 s1, exec_lo
                                        ; implicit-def: $vgpr6
	s_delay_alu instid0(VALU_DEP_2) | instskip(NEXT) | instid1(VALU_DEP_1)
	v_and_b32_e32 v8, 0x7fffffff, v7
	v_cmpx_gt_u32_e32 0x43f00000, v8
	s_xor_b32 s1, exec_lo, s1
	s_cbranch_execz .LBB488_332
; %bb.327:
	s_mov_b32 s19, exec_lo
                                        ; implicit-def: $vgpr6
	v_cmpx_lt_u32_e32 0x3c7fffff, v8
	s_xor_b32 s19, exec_lo, s19
; %bb.328:
	v_bfe_u32 v6, v5, 4, 1
	s_delay_alu instid0(VALU_DEP_1) | instskip(NEXT) | instid1(VALU_DEP_1)
	v_add3_u32 v6, v7, v6, 0x407ffff
	v_and_b32_e32 v7, 0xff00000, v6
	v_lshrrev_b32_e32 v6, 20, v6
	s_delay_alu instid0(VALU_DEP_2) | instskip(NEXT) | instid1(VALU_DEP_2)
	v_cmp_ne_u32_e32 vcc_lo, 0x7f00000, v7
                                        ; implicit-def: $vgpr7
	v_cndmask_b32_e32 v6, 0x7e, v6, vcc_lo
; %bb.329:
	s_and_not1_saveexec_b32 s19, s19
; %bb.330:
	v_add_f32_e64 v6, 0x46800000, |v7|
; %bb.331:
	s_or_b32 exec_lo, exec_lo, s19
                                        ; implicit-def: $vgpr8
.LBB488_332:
	s_and_not1_saveexec_b32 s1, s1
; %bb.333:
	v_mov_b32_e32 v6, 0x7f
	v_cmp_lt_u32_e32 vcc_lo, 0x7f800000, v8
	s_delay_alu instid0(VALU_DEP_2)
	v_cndmask_b32_e32 v6, 0x7e, v6, vcc_lo
; %bb.334:
	s_or_b32 exec_lo, exec_lo, s1
	v_lshrrev_b32_e32 v5, 8, v5
	s_delay_alu instid0(VALU_DEP_1)
	v_and_or_b32 v5, 0x80, v5, v6
	global_store_b8 v[0:1], v5, off
.LBB488_335:
	s_mov_b32 s1, 0
.LBB488_336:
	s_delay_alu instid0(SALU_CYCLE_1)
	s_and_not1_b32 vcc_lo, exec_lo, s1
	s_cbranch_vccnz .LBB488_346
; %bb.337:
	v_lshlrev_b32_e32 v7, 16, v3
	v_and_b32_e32 v5, 0xffff, v3
	s_mov_b32 s1, exec_lo
                                        ; implicit-def: $vgpr6
	s_delay_alu instid0(VALU_DEP_2) | instskip(NEXT) | instid1(VALU_DEP_1)
	v_and_b32_e32 v8, 0x7fffffff, v7
	v_cmpx_gt_u32_e32 0x47800000, v8
	s_xor_b32 s1, exec_lo, s1
	s_cbranch_execz .LBB488_343
; %bb.338:
	s_mov_b32 s19, exec_lo
                                        ; implicit-def: $vgpr6
	v_cmpx_lt_u32_e32 0x387fffff, v8
	s_xor_b32 s19, exec_lo, s19
; %bb.339:
	v_bfe_u32 v6, v5, 5, 1
	s_delay_alu instid0(VALU_DEP_1) | instskip(NEXT) | instid1(VALU_DEP_1)
	v_add3_u32 v6, v7, v6, 0x80fffff
                                        ; implicit-def: $vgpr7
	v_lshrrev_b32_e32 v6, 21, v6
; %bb.340:
	s_and_not1_saveexec_b32 s19, s19
; %bb.341:
	v_add_f32_e64 v6, 0x43000000, |v7|
; %bb.342:
	s_or_b32 exec_lo, exec_lo, s19
                                        ; implicit-def: $vgpr8
.LBB488_343:
	s_and_not1_saveexec_b32 s1, s1
; %bb.344:
	v_mov_b32_e32 v6, 0x7f
	v_cmp_lt_u32_e32 vcc_lo, 0x7f800000, v8
	s_delay_alu instid0(VALU_DEP_2)
	v_cndmask_b32_e32 v6, 0x7c, v6, vcc_lo
; %bb.345:
	s_or_b32 exec_lo, exec_lo, s1
	v_lshrrev_b32_e32 v5, 8, v5
	s_delay_alu instid0(VALU_DEP_1)
	v_and_or_b32 v5, 0x80, v5, v6
	global_store_b8 v[0:1], v5, off
.LBB488_346:
	s_mov_b32 s19, 0
	s_mov_b32 s1, -1
.LBB488_347:
	s_and_not1_b32 vcc_lo, exec_lo, s19
	s_cbranch_vccnz .LBB488_355
; %bb.348:
	v_cmp_lt_i16_e32 vcc_lo, 14, v4
	s_mov_b32 s19, -1
	s_cbranch_vccz .LBB488_352
; %bb.349:
	v_cmp_eq_u16_e32 vcc_lo, 15, v4
	s_mov_b32 s0, -1
	s_cbranch_vccz .LBB488_351
; %bb.350:
	s_mov_b32 s1, -1
	s_mov_b32 s0, 0
	global_store_b16 v[0:1], v3, off
.LBB488_351:
	s_mov_b32 s19, 0
.LBB488_352:
	s_delay_alu instid0(SALU_CYCLE_1)
	s_and_b32 vcc_lo, exec_lo, s19
	s_cbranch_vccz .LBB488_355
; %bb.353:
	v_cmp_eq_u16_e32 vcc_lo, 11, v4
	s_mov_b32 s0, -1
	s_cbranch_vccz .LBB488_355
; %bb.354:
	v_and_b32_e32 v5, 0x7fff, v3
	s_mov_b32 s0, 0
	s_mov_b32 s1, -1
	s_delay_alu instid0(VALU_DEP_1)
	v_cmp_ne_u16_e32 vcc_lo, 0, v5
	v_cndmask_b32_e64 v5, 0, 1, vcc_lo
	global_store_b8 v[0:1], v5, off
.LBB488_355:
	s_mov_b32 s19, 0
.LBB488_356:
	s_delay_alu instid0(SALU_CYCLE_1)
	s_and_b32 vcc_lo, exec_lo, s19
	s_cbranch_vccz .LBB488_395
; %bb.357:
	v_cmp_gt_i16_e32 vcc_lo, 5, v4
	s_mov_b32 s1, -1
	s_cbranch_vccnz .LBB488_378
; %bb.358:
	v_cmp_gt_i16_e32 vcc_lo, 8, v4
	s_cbranch_vccnz .LBB488_368
; %bb.359:
	v_cmp_gt_i16_e32 vcc_lo, 9, v4
	s_cbranch_vccnz .LBB488_365
; %bb.360:
	v_cmp_lt_i16_e32 vcc_lo, 9, v4
	s_cbranch_vccz .LBB488_362
; %bb.361:
	v_mov_b32_e32 v7, 0
	v_lshlrev_b32_e32 v5, 16, v3
	s_mov_b32 s1, 0
	s_delay_alu instid0(VALU_DEP_2) | instskip(NEXT) | instid1(VALU_DEP_2)
	v_mov_b32_e32 v8, v7
	v_cvt_f64_f32_e32 v[5:6], v5
	global_store_b128 v[0:1], v[5:8], off
.LBB488_362:
	s_and_not1_b32 vcc_lo, exec_lo, s1
	s_cbranch_vccnz .LBB488_364
; %bb.363:
	v_dual_mov_b32 v6, 0 :: v_dual_lshlrev_b32 v5, 16, v3
	global_store_b64 v[0:1], v[5:6], off
.LBB488_364:
	s_mov_b32 s1, 0
.LBB488_365:
	s_delay_alu instid0(SALU_CYCLE_1)
	s_and_not1_b32 vcc_lo, exec_lo, s1
	s_cbranch_vccnz .LBB488_367
; %bb.366:
	v_lshlrev_b32_e32 v5, 16, v3
	s_delay_alu instid0(VALU_DEP_1) | instskip(NEXT) | instid1(VALU_DEP_1)
	v_cvt_f16_f32_e32 v5, v5
	v_and_b32_e32 v5, 0xffff, v5
	global_store_b32 v[0:1], v5, off
.LBB488_367:
	s_mov_b32 s1, 0
.LBB488_368:
	s_delay_alu instid0(SALU_CYCLE_1)
	s_and_not1_b32 vcc_lo, exec_lo, s1
	s_cbranch_vccnz .LBB488_377
; %bb.369:
	v_cmp_gt_i16_e32 vcc_lo, 6, v4
	s_mov_b32 s1, -1
	s_cbranch_vccnz .LBB488_375
; %bb.370:
	v_cmp_lt_i16_e32 vcc_lo, 6, v4
	s_cbranch_vccz .LBB488_372
; %bb.371:
	v_lshlrev_b32_e32 v5, 16, v3
	s_mov_b32 s1, 0
	s_delay_alu instid0(VALU_DEP_1)
	v_cvt_f64_f32_e32 v[5:6], v5
	global_store_b64 v[0:1], v[5:6], off
.LBB488_372:
	s_and_not1_b32 vcc_lo, exec_lo, s1
	s_cbranch_vccnz .LBB488_374
; %bb.373:
	v_lshlrev_b32_e32 v5, 16, v3
	global_store_b32 v[0:1], v5, off
.LBB488_374:
	s_mov_b32 s1, 0
.LBB488_375:
	s_delay_alu instid0(SALU_CYCLE_1)
	s_and_not1_b32 vcc_lo, exec_lo, s1
	s_cbranch_vccnz .LBB488_377
; %bb.376:
	v_lshlrev_b32_e32 v5, 16, v3
	s_delay_alu instid0(VALU_DEP_1)
	v_cvt_f16_f32_e32 v5, v5
	global_store_b16 v[0:1], v5, off
.LBB488_377:
	s_mov_b32 s1, 0
.LBB488_378:
	s_delay_alu instid0(SALU_CYCLE_1)
	s_and_not1_b32 vcc_lo, exec_lo, s1
	s_cbranch_vccnz .LBB488_394
; %bb.379:
	v_cmp_gt_i16_e32 vcc_lo, 2, v4
	s_mov_b32 s1, -1
	s_cbranch_vccnz .LBB488_389
; %bb.380:
	v_cmp_gt_i16_e32 vcc_lo, 3, v4
	s_cbranch_vccnz .LBB488_386
; %bb.381:
	v_cmp_lt_i16_e32 vcc_lo, 3, v4
	s_cbranch_vccz .LBB488_383
; %bb.382:
	v_lshlrev_b32_e32 v5, 16, v3
	s_mov_b32 s1, 0
	s_delay_alu instid0(VALU_DEP_1) | instskip(NEXT) | instid1(VALU_DEP_1)
	v_trunc_f32_e32 v5, v5
	v_mul_f32_e64 v6, 0x2f800000, |v5|
	v_ashrrev_i32_e32 v8, 31, v5
	s_delay_alu instid0(VALU_DEP_2) | instskip(NEXT) | instid1(VALU_DEP_1)
	v_floor_f32_e32 v6, v6
	v_fma_f32 v7, 0xcf800000, v6, |v5|
	v_cvt_u32_f32_e32 v6, v6
	s_delay_alu instid0(VALU_DEP_2) | instskip(NEXT) | instid1(VALU_DEP_2)
	v_cvt_u32_f32_e32 v5, v7
	v_xor_b32_e32 v6, v6, v8
	s_delay_alu instid0(VALU_DEP_2) | instskip(NEXT) | instid1(VALU_DEP_1)
	v_xor_b32_e32 v5, v5, v8
	v_sub_co_u32 v5, vcc_lo, v5, v8
	s_delay_alu instid0(VALU_DEP_3)
	v_sub_co_ci_u32_e32 v6, vcc_lo, v6, v8, vcc_lo
	global_store_b64 v[0:1], v[5:6], off
.LBB488_383:
	s_and_not1_b32 vcc_lo, exec_lo, s1
	s_cbranch_vccnz .LBB488_385
; %bb.384:
	v_lshlrev_b32_e32 v5, 16, v3
	s_delay_alu instid0(VALU_DEP_1)
	v_cvt_i32_f32_e32 v5, v5
	global_store_b32 v[0:1], v5, off
.LBB488_385:
	s_mov_b32 s1, 0
.LBB488_386:
	s_delay_alu instid0(SALU_CYCLE_1)
	s_and_not1_b32 vcc_lo, exec_lo, s1
	s_cbranch_vccnz .LBB488_388
; %bb.387:
	v_lshlrev_b32_e32 v5, 16, v3
	s_delay_alu instid0(VALU_DEP_1)
	v_cvt_i32_f32_e32 v5, v5
	global_store_b16 v[0:1], v5, off
.LBB488_388:
	s_mov_b32 s1, 0
.LBB488_389:
	s_delay_alu instid0(SALU_CYCLE_1)
	s_and_not1_b32 vcc_lo, exec_lo, s1
	s_cbranch_vccnz .LBB488_394
; %bb.390:
	v_cmp_lt_i16_e32 vcc_lo, 0, v4
	s_mov_b32 s1, -1
	s_cbranch_vccz .LBB488_392
; %bb.391:
	v_lshlrev_b32_e32 v4, 16, v3
	s_mov_b32 s1, 0
	s_delay_alu instid0(VALU_DEP_1)
	v_cvt_i32_f32_e32 v4, v4
	global_store_b8 v[0:1], v4, off
.LBB488_392:
	s_and_not1_b32 vcc_lo, exec_lo, s1
	s_cbranch_vccnz .LBB488_394
; %bb.393:
	v_lshlrev_b32_e32 v3, 16, v3
	s_delay_alu instid0(VALU_DEP_1) | instskip(NEXT) | instid1(VALU_DEP_1)
	v_trunc_f32_e32 v3, v3
	v_mul_f32_e64 v4, 0x2f800000, |v3|
	s_delay_alu instid0(VALU_DEP_1) | instskip(NEXT) | instid1(VALU_DEP_1)
	v_floor_f32_e32 v4, v4
	v_fma_f32 v4, 0xcf800000, v4, |v3|
	v_ashrrev_i32_e32 v3, 31, v3
	s_delay_alu instid0(VALU_DEP_2) | instskip(NEXT) | instid1(VALU_DEP_1)
	v_cvt_u32_f32_e32 v4, v4
	v_xor_b32_e32 v4, v4, v3
	s_delay_alu instid0(VALU_DEP_1)
	v_sub_nc_u32_e32 v3, v4, v3
	global_store_b8 v[0:1], v3, off
.LBB488_394:
	s_mov_b32 s1, -1
.LBB488_395:
	s_delay_alu instid0(SALU_CYCLE_1)
	s_and_not1_b32 vcc_lo, exec_lo, s1
	s_cbranch_vccnz .LBB488_397
; %bb.396:
	v_add_nc_u32_e32 v2, 0x80, v2
	s_mov_b32 s1, -1
	s_branch .LBB488_510
.LBB488_397:
	s_mov_b32 s1, 0
	s_branch .LBB488_509
.LBB488_398:
	s_mov_b32 s18, -1
                                        ; implicit-def: $vgpr3
.LBB488_399:
	s_mov_b32 s1, 0
.LBB488_400:
	s_delay_alu instid0(SALU_CYCLE_1)
	s_and_b32 vcc_lo, exec_lo, s1
	s_cbranch_vccz .LBB488_404
; %bb.401:
	v_cmp_eq_u16_e64 s1, s10, 29
	s_delay_alu instid0(VALU_DEP_1)
	s_and_b32 vcc_lo, exec_lo, s1
	s_cbranch_vccz .LBB488_403
; %bb.402:
	global_load_b64 v[3:4], v[0:1], off
	s_mov_b32 s0, -1
	s_mov_b32 s18, 0
	s_mov_b32 s1, 0
	s_waitcnt vmcnt(0)
	v_clz_i32_u32_e32 v5, v4
	s_delay_alu instid0(VALU_DEP_1) | instskip(NEXT) | instid1(VALU_DEP_1)
	v_min_u32_e32 v5, 32, v5
	v_lshlrev_b64 v[3:4], v5, v[3:4]
	s_delay_alu instid0(VALU_DEP_1) | instskip(NEXT) | instid1(VALU_DEP_1)
	v_min_u32_e32 v3, 1, v3
	v_or_b32_e32 v3, v4, v3
	v_sub_nc_u32_e32 v4, 32, v5
	s_delay_alu instid0(VALU_DEP_2) | instskip(NEXT) | instid1(VALU_DEP_1)
	v_cvt_f32_u32_e32 v3, v3
	v_ldexp_f32 v3, v3, v4
	s_delay_alu instid0(VALU_DEP_1) | instskip(NEXT) | instid1(VALU_DEP_1)
	v_bfe_u32 v4, v3, 16, 1
	v_add3_u32 v3, v3, v4, 0x7fff
	s_delay_alu instid0(VALU_DEP_1)
	v_lshrrev_b32_e32 v3, 16, v3
	s_branch .LBB488_405
.LBB488_403:
	s_mov_b32 s18, -1
                                        ; implicit-def: $vgpr3
.LBB488_404:
	s_mov_b32 s1, 0
.LBB488_405:
	s_delay_alu instid0(SALU_CYCLE_1)
	s_and_b32 vcc_lo, exec_lo, s1
	s_cbranch_vccz .LBB488_423
; %bb.406:
	v_cmp_lt_i16_e64 s0, s10, 27
	s_delay_alu instid0(VALU_DEP_1)
	s_and_b32 vcc_lo, exec_lo, s0
	s_cbranch_vccnz .LBB488_409
; %bb.407:
	v_cmp_gt_i16_e64 s0, s10, 27
	s_delay_alu instid0(VALU_DEP_1)
	s_and_b32 vcc_lo, exec_lo, s0
	s_cbranch_vccz .LBB488_410
; %bb.408:
	global_load_b32 v3, v[0:1], off
	s_mov_b32 s0, 0
	s_waitcnt vmcnt(0)
	v_cvt_f32_u32_e32 v3, v3
	s_delay_alu instid0(VALU_DEP_1) | instskip(NEXT) | instid1(VALU_DEP_1)
	v_bfe_u32 v4, v3, 16, 1
	v_add3_u32 v3, v3, v4, 0x7fff
	s_delay_alu instid0(VALU_DEP_1)
	v_lshrrev_b32_e32 v3, 16, v3
	s_branch .LBB488_411
.LBB488_409:
	s_mov_b32 s0, -1
                                        ; implicit-def: $vgpr3
	s_branch .LBB488_414
.LBB488_410:
	s_mov_b32 s0, -1
                                        ; implicit-def: $vgpr3
.LBB488_411:
	s_delay_alu instid0(SALU_CYCLE_1)
	s_and_not1_b32 vcc_lo, exec_lo, s0
	s_cbranch_vccnz .LBB488_413
; %bb.412:
	global_load_u16 v3, v[0:1], off
	s_waitcnt vmcnt(0)
	v_cvt_f32_u32_e32 v3, v3
	s_delay_alu instid0(VALU_DEP_1) | instskip(NEXT) | instid1(VALU_DEP_1)
	v_bfe_u32 v4, v3, 16, 1
	v_add3_u32 v3, v3, v4, 0x7fff
	s_delay_alu instid0(VALU_DEP_1)
	v_lshrrev_b32_e32 v3, 16, v3
.LBB488_413:
	s_mov_b32 s0, 0
.LBB488_414:
	s_delay_alu instid0(SALU_CYCLE_1)
	s_and_not1_b32 vcc_lo, exec_lo, s0
	s_cbranch_vccnz .LBB488_422
; %bb.415:
	global_load_u8 v3, v[0:1], off
	s_mov_b32 s0, 0
	s_mov_b32 s19, exec_lo
                                        ; implicit-def: $sgpr1
	s_waitcnt vmcnt(0)
	v_cmpx_lt_i16_e32 0x7f, v3
	s_xor_b32 s19, exec_lo, s19
	s_cbranch_execz .LBB488_436
; %bb.416:
	s_mov_b32 s0, -1
	s_mov_b32 s21, exec_lo
                                        ; implicit-def: $sgpr1
	v_cmpx_eq_u16_e32 0x80, v3
; %bb.417:
	s_mov_b32 s1, 0x7f800001
	s_xor_b32 s0, exec_lo, -1
; %bb.418:
	s_or_b32 exec_lo, exec_lo, s21
	s_delay_alu instid0(SALU_CYCLE_1)
	s_and_b32 s0, s0, exec_lo
	s_or_saveexec_b32 s19, s19
	v_mov_b32_e32 v4, s1
	s_xor_b32 exec_lo, exec_lo, s19
	s_cbranch_execnz .LBB488_437
.LBB488_419:
	s_or_b32 exec_lo, exec_lo, s19
	s_and_saveexec_b32 s1, s0
	s_cbranch_execz .LBB488_421
.LBB488_420:
	v_and_b32_e32 v4, 0xffff, v3
	v_lshlrev_b32_e32 v3, 24, v3
	s_delay_alu instid0(VALU_DEP_2) | instskip(NEXT) | instid1(VALU_DEP_2)
	v_and_b32_e32 v5, 7, v4
	v_and_b32_e32 v3, 0x80000000, v3
	s_delay_alu instid0(VALU_DEP_2) | instskip(NEXT) | instid1(VALU_DEP_1)
	v_clz_i32_u32_e32 v6, v5
	v_min_u32_e32 v6, 32, v6
	s_delay_alu instid0(VALU_DEP_1) | instskip(SKIP_1) | instid1(VALU_DEP_2)
	v_subrev_nc_u32_e32 v7, 28, v6
	v_sub_nc_u32_e32 v6, 29, v6
	v_lshlrev_b32_e32 v7, v7, v4
	v_bfe_u32 v4, v4, 3, 4
	s_delay_alu instid0(VALU_DEP_2) | instskip(NEXT) | instid1(VALU_DEP_2)
	v_and_b32_e32 v7, 7, v7
	v_cmp_eq_u32_e32 vcc_lo, 0, v4
	s_delay_alu instid0(VALU_DEP_2) | instskip(NEXT) | instid1(VALU_DEP_1)
	v_dual_cndmask_b32 v4, v4, v6 :: v_dual_cndmask_b32 v5, v5, v7
	v_lshl_add_u32 v4, v4, 23, 0x3b800000
	s_delay_alu instid0(VALU_DEP_2) | instskip(NEXT) | instid1(VALU_DEP_1)
	v_lshlrev_b32_e32 v5, 20, v5
	v_or3_b32 v4, v3, v4, v5
.LBB488_421:
	s_or_b32 exec_lo, exec_lo, s1
	s_delay_alu instid0(VALU_DEP_1) | instskip(SKIP_1) | instid1(VALU_DEP_2)
	v_bfe_u32 v3, v4, 16, 1
	v_cmp_o_f32_e32 vcc_lo, v4, v4
	v_add3_u32 v3, v4, v3, 0x7fff
	s_delay_alu instid0(VALU_DEP_1) | instskip(NEXT) | instid1(VALU_DEP_1)
	v_lshrrev_b32_e32 v3, 16, v3
	v_cndmask_b32_e32 v3, 0x7fc0, v3, vcc_lo
.LBB488_422:
	s_mov_b32 s0, -1
.LBB488_423:
	s_mov_b32 s1, 0
.LBB488_424:
	s_delay_alu instid0(SALU_CYCLE_1)
	s_and_b32 vcc_lo, exec_lo, s1
	s_cbranch_vccz .LBB488_459
; %bb.425:
	v_cmp_gt_i16_e64 s1, s10, 22
	s_delay_alu instid0(VALU_DEP_1)
	s_and_b32 vcc_lo, exec_lo, s1
	s_cbranch_vccz .LBB488_435
; %bb.426:
	v_cmp_lt_i16_e64 s0, s10, 24
	s_delay_alu instid0(VALU_DEP_1)
	s_and_b32 vcc_lo, exec_lo, s0
	s_cbranch_vccnz .LBB488_438
; %bb.427:
	v_cmp_gt_i16_e64 s0, s10, 24
	s_delay_alu instid0(VALU_DEP_1)
	s_and_b32 vcc_lo, exec_lo, s0
	s_cbranch_vccz .LBB488_439
; %bb.428:
	global_load_u8 v3, v[0:1], off
	s_mov_b32 s0, 0
	s_mov_b32 s19, exec_lo
                                        ; implicit-def: $sgpr1
	s_waitcnt vmcnt(0)
	v_cmpx_lt_i16_e32 0x7f, v3
	s_xor_b32 s19, exec_lo, s19
	s_cbranch_execz .LBB488_451
; %bb.429:
	s_mov_b32 s0, -1
	s_mov_b32 s21, exec_lo
                                        ; implicit-def: $sgpr1
	v_cmpx_eq_u16_e32 0x80, v3
; %bb.430:
	s_mov_b32 s1, 0x7f800001
	s_xor_b32 s0, exec_lo, -1
; %bb.431:
	s_or_b32 exec_lo, exec_lo, s21
	s_delay_alu instid0(SALU_CYCLE_1)
	s_and_b32 s0, s0, exec_lo
	s_or_saveexec_b32 s19, s19
	v_mov_b32_e32 v4, s1
	s_xor_b32 exec_lo, exec_lo, s19
	s_cbranch_execnz .LBB488_452
.LBB488_432:
	s_or_b32 exec_lo, exec_lo, s19
	s_and_saveexec_b32 s1, s0
	s_cbranch_execz .LBB488_434
.LBB488_433:
	v_and_b32_e32 v4, 0xffff, v3
	v_lshlrev_b32_e32 v3, 24, v3
	s_delay_alu instid0(VALU_DEP_2) | instskip(NEXT) | instid1(VALU_DEP_2)
	v_and_b32_e32 v5, 3, v4
	v_and_b32_e32 v3, 0x80000000, v3
	s_delay_alu instid0(VALU_DEP_2) | instskip(NEXT) | instid1(VALU_DEP_1)
	v_clz_i32_u32_e32 v6, v5
	v_min_u32_e32 v6, 32, v6
	s_delay_alu instid0(VALU_DEP_1) | instskip(SKIP_1) | instid1(VALU_DEP_2)
	v_subrev_nc_u32_e32 v7, 29, v6
	v_sub_nc_u32_e32 v6, 30, v6
	v_lshlrev_b32_e32 v7, v7, v4
	v_bfe_u32 v4, v4, 2, 5
	s_delay_alu instid0(VALU_DEP_2) | instskip(NEXT) | instid1(VALU_DEP_2)
	v_and_b32_e32 v7, 3, v7
	v_cmp_eq_u32_e32 vcc_lo, 0, v4
	s_delay_alu instid0(VALU_DEP_2) | instskip(NEXT) | instid1(VALU_DEP_1)
	v_dual_cndmask_b32 v4, v4, v6 :: v_dual_cndmask_b32 v5, v5, v7
	v_lshl_add_u32 v4, v4, 23, 0x37800000
	s_delay_alu instid0(VALU_DEP_2) | instskip(NEXT) | instid1(VALU_DEP_1)
	v_lshlrev_b32_e32 v5, 21, v5
	v_or3_b32 v4, v3, v4, v5
.LBB488_434:
	s_or_b32 exec_lo, exec_lo, s1
	s_delay_alu instid0(VALU_DEP_1) | instskip(SKIP_2) | instid1(VALU_DEP_2)
	v_bfe_u32 v3, v4, 16, 1
	v_cmp_o_f32_e32 vcc_lo, v4, v4
	s_mov_b32 s0, 0
	v_add3_u32 v3, v4, v3, 0x7fff
	s_delay_alu instid0(VALU_DEP_1) | instskip(NEXT) | instid1(VALU_DEP_1)
	v_lshrrev_b32_e32 v3, 16, v3
	v_cndmask_b32_e32 v3, 0x7fc0, v3, vcc_lo
	s_branch .LBB488_440
.LBB488_435:
	s_mov_b32 s1, -1
                                        ; implicit-def: $vgpr3
	s_branch .LBB488_446
.LBB488_436:
	s_or_saveexec_b32 s19, s19
	v_mov_b32_e32 v4, s1
	s_xor_b32 exec_lo, exec_lo, s19
	s_cbranch_execz .LBB488_419
.LBB488_437:
	v_cmp_ne_u16_e32 vcc_lo, 0, v3
	v_mov_b32_e32 v4, 0
	s_and_not1_b32 s0, s0, exec_lo
	s_and_b32 s1, vcc_lo, exec_lo
	s_delay_alu instid0(SALU_CYCLE_1)
	s_or_b32 s0, s0, s1
	s_or_b32 exec_lo, exec_lo, s19
	s_and_saveexec_b32 s1, s0
	s_cbranch_execnz .LBB488_420
	s_branch .LBB488_421
.LBB488_438:
	s_mov_b32 s0, -1
                                        ; implicit-def: $vgpr3
	s_branch .LBB488_443
.LBB488_439:
	s_mov_b32 s0, -1
                                        ; implicit-def: $vgpr3
.LBB488_440:
	s_delay_alu instid0(SALU_CYCLE_1)
	s_and_b32 vcc_lo, exec_lo, s0
	s_cbranch_vccz .LBB488_442
; %bb.441:
	global_load_u8 v3, v[0:1], off
	s_waitcnt vmcnt(0)
	v_lshlrev_b32_e32 v3, 24, v3
	s_delay_alu instid0(VALU_DEP_1) | instskip(NEXT) | instid1(VALU_DEP_1)
	v_and_b32_e32 v4, 0x7f000000, v3
	v_clz_i32_u32_e32 v5, v4
	v_add_nc_u32_e32 v7, 0x1000000, v4
	v_cmp_ne_u32_e32 vcc_lo, 0, v4
	s_delay_alu instid0(VALU_DEP_3) | instskip(NEXT) | instid1(VALU_DEP_1)
	v_min_u32_e32 v5, 32, v5
	v_sub_nc_u32_e64 v5, v5, 4 clamp
	s_delay_alu instid0(VALU_DEP_1) | instskip(SKIP_1) | instid1(VALU_DEP_2)
	v_lshlrev_b32_e32 v6, v5, v4
	v_lshlrev_b32_e32 v5, 23, v5
	v_lshrrev_b32_e32 v6, 4, v6
	s_delay_alu instid0(VALU_DEP_1) | instskip(SKIP_1) | instid1(VALU_DEP_2)
	v_sub_nc_u32_e32 v5, v6, v5
	v_ashrrev_i32_e32 v6, 8, v7
	v_add_nc_u32_e32 v5, 0x3c000000, v5
	s_delay_alu instid0(VALU_DEP_1) | instskip(NEXT) | instid1(VALU_DEP_1)
	v_and_or_b32 v5, 0x7f800000, v6, v5
	v_cndmask_b32_e32 v4, 0, v5, vcc_lo
	s_delay_alu instid0(VALU_DEP_1) | instskip(SKIP_1) | instid1(VALU_DEP_2)
	v_and_or_b32 v3, 0x80000000, v3, v4
	v_bfe_u32 v4, v4, 16, 1
	v_cmp_o_f32_e32 vcc_lo, v3, v3
	s_delay_alu instid0(VALU_DEP_2) | instskip(NEXT) | instid1(VALU_DEP_1)
	v_add3_u32 v4, v3, v4, 0x7fff
	v_lshrrev_b32_e32 v4, 16, v4
	s_delay_alu instid0(VALU_DEP_1)
	v_cndmask_b32_e32 v3, 0x7fc0, v4, vcc_lo
.LBB488_442:
	s_mov_b32 s0, 0
.LBB488_443:
	s_delay_alu instid0(SALU_CYCLE_1)
	s_and_not1_b32 vcc_lo, exec_lo, s0
	s_cbranch_vccnz .LBB488_445
; %bb.444:
	global_load_u8 v3, v[0:1], off
	s_waitcnt vmcnt(0)
	v_lshlrev_b32_e32 v4, 25, v3
	v_lshlrev_b16 v3, 8, v3
	s_delay_alu instid0(VALU_DEP_2) | instskip(NEXT) | instid1(VALU_DEP_2)
	v_lshrrev_b32_e32 v5, 4, v4
	v_and_or_b32 v6, 0x7f00, v3, 0.5
	v_bfe_i32 v3, v3, 0, 16
	s_delay_alu instid0(VALU_DEP_3) | instskip(NEXT) | instid1(VALU_DEP_1)
	v_or_b32_e32 v5, 0x70000000, v5
	v_dual_add_f32 v6, -0.5, v6 :: v_dual_mul_f32 v5, 0x7800000, v5
	v_cmp_gt_u32_e32 vcc_lo, 0x8000000, v4
	s_delay_alu instid0(VALU_DEP_2) | instskip(NEXT) | instid1(VALU_DEP_1)
	v_cndmask_b32_e32 v4, v5, v6, vcc_lo
	v_and_or_b32 v3, 0x80000000, v3, v4
	v_bfe_u32 v4, v4, 16, 1
	s_delay_alu instid0(VALU_DEP_2) | instskip(NEXT) | instid1(VALU_DEP_2)
	v_cmp_o_f32_e32 vcc_lo, v3, v3
	v_add3_u32 v4, v3, v4, 0x7fff
	s_delay_alu instid0(VALU_DEP_1) | instskip(NEXT) | instid1(VALU_DEP_1)
	v_lshrrev_b32_e32 v4, 16, v4
	v_cndmask_b32_e32 v3, 0x7fc0, v4, vcc_lo
.LBB488_445:
	s_mov_b32 s1, 0
	s_mov_b32 s0, -1
.LBB488_446:
	s_and_not1_b32 vcc_lo, exec_lo, s1
	s_cbranch_vccnz .LBB488_459
; %bb.447:
	v_cmp_gt_i16_e64 s1, s10, 14
	s_delay_alu instid0(VALU_DEP_1)
	s_and_b32 vcc_lo, exec_lo, s1
	s_cbranch_vccz .LBB488_450
; %bb.448:
	v_cmp_eq_u16_e64 s1, s10, 15
	s_delay_alu instid0(VALU_DEP_1)
	s_and_b32 vcc_lo, exec_lo, s1
	s_cbranch_vccz .LBB488_453
; %bb.449:
	global_load_u16 v3, v[0:1], off
	s_mov_b32 s0, -1
	s_mov_b32 s18, 0
	s_branch .LBB488_454
.LBB488_450:
	s_mov_b32 s1, -1
                                        ; implicit-def: $vgpr3
	s_branch .LBB488_455
.LBB488_451:
	s_or_saveexec_b32 s19, s19
	v_mov_b32_e32 v4, s1
	s_xor_b32 exec_lo, exec_lo, s19
	s_cbranch_execz .LBB488_432
.LBB488_452:
	v_cmp_ne_u16_e32 vcc_lo, 0, v3
	v_mov_b32_e32 v4, 0
	s_and_not1_b32 s0, s0, exec_lo
	s_and_b32 s1, vcc_lo, exec_lo
	s_delay_alu instid0(SALU_CYCLE_1)
	s_or_b32 s0, s0, s1
	s_or_b32 exec_lo, exec_lo, s19
	s_and_saveexec_b32 s1, s0
	s_cbranch_execnz .LBB488_433
	s_branch .LBB488_434
.LBB488_453:
	s_mov_b32 s18, -1
                                        ; implicit-def: $vgpr3
.LBB488_454:
	s_mov_b32 s1, 0
.LBB488_455:
	s_delay_alu instid0(SALU_CYCLE_1)
	s_and_b32 vcc_lo, exec_lo, s1
	s_cbranch_vccz .LBB488_459
; %bb.456:
	v_cmp_eq_u16_e64 s1, s10, 11
	s_delay_alu instid0(VALU_DEP_1)
	s_and_b32 vcc_lo, exec_lo, s1
	s_cbranch_vccz .LBB488_458
; %bb.457:
	global_load_u8 v3, v[0:1], off
	s_mov_b32 s18, 0
	s_mov_b32 s0, -1
	s_waitcnt vmcnt(0)
	v_cmp_ne_u16_e32 vcc_lo, 0, v3
	v_cndmask_b32_e64 v3, 0, 1.0, vcc_lo
	s_delay_alu instid0(VALU_DEP_1)
	v_lshrrev_b32_e32 v3, 16, v3
	s_branch .LBB488_459
.LBB488_458:
	s_mov_b32 s18, -1
                                        ; implicit-def: $vgpr3
.LBB488_459:
	s_branch .LBB488_261
.LBB488_460:
	v_cmp_lt_i16_e64 s0, s10, 5
	s_delay_alu instid0(VALU_DEP_1)
	s_and_b32 vcc_lo, exec_lo, s0
	s_cbranch_vccnz .LBB488_465
; %bb.461:
	v_cmp_lt_i16_e64 s0, s10, 8
	s_delay_alu instid0(VALU_DEP_1)
	s_and_b32 vcc_lo, exec_lo, s0
	s_cbranch_vccnz .LBB488_466
; %bb.462:
	;; [unrolled: 5-line block ×3, first 2 shown]
	v_cmp_gt_i16_e64 s0, s10, 9
	s_delay_alu instid0(VALU_DEP_1)
	s_and_b32 vcc_lo, exec_lo, s0
	s_cbranch_vccz .LBB488_468
; %bb.464:
	global_load_b64 v[3:4], v[0:1], off
	s_mov_b32 s0, 0
	s_waitcnt vmcnt(0)
	v_cvt_f32_f64_e32 v3, v[3:4]
	s_delay_alu instid0(VALU_DEP_1) | instskip(SKIP_1) | instid1(VALU_DEP_2)
	v_bfe_u32 v4, v3, 16, 1
	v_cmp_o_f32_e32 vcc_lo, v3, v3
	v_add3_u32 v4, v3, v4, 0x7fff
	s_delay_alu instid0(VALU_DEP_1) | instskip(NEXT) | instid1(VALU_DEP_1)
	v_lshrrev_b32_e32 v4, 16, v4
	v_cndmask_b32_e32 v3, 0x7fc0, v4, vcc_lo
	s_branch .LBB488_469
.LBB488_465:
	s_mov_b32 s0, -1
                                        ; implicit-def: $vgpr3
	s_branch .LBB488_487
.LBB488_466:
	s_mov_b32 s0, -1
                                        ; implicit-def: $vgpr3
	s_branch .LBB488_475
.LBB488_467:
	s_mov_b32 s0, -1
                                        ; implicit-def: $vgpr3
	s_branch .LBB488_472
.LBB488_468:
	s_mov_b32 s0, -1
                                        ; implicit-def: $vgpr3
.LBB488_469:
	s_delay_alu instid0(SALU_CYCLE_1)
	s_and_not1_b32 vcc_lo, exec_lo, s0
	s_cbranch_vccnz .LBB488_471
; %bb.470:
	global_load_b32 v3, v[0:1], off
	s_waitcnt vmcnt(0)
	v_bfe_u32 v4, v3, 16, 1
	v_cmp_o_f32_e32 vcc_lo, v3, v3
	s_delay_alu instid0(VALU_DEP_2) | instskip(NEXT) | instid1(VALU_DEP_1)
	v_add3_u32 v4, v3, v4, 0x7fff
	v_lshrrev_b32_e32 v4, 16, v4
	s_delay_alu instid0(VALU_DEP_1)
	v_cndmask_b32_e32 v3, 0x7fc0, v4, vcc_lo
.LBB488_471:
	s_mov_b32 s0, 0
.LBB488_472:
	s_delay_alu instid0(SALU_CYCLE_1)
	s_and_not1_b32 vcc_lo, exec_lo, s0
	s_cbranch_vccnz .LBB488_474
; %bb.473:
	global_load_b32 v3, v[0:1], off
	s_waitcnt vmcnt(0)
	v_cvt_f32_f16_e32 v4, v3
	v_cmp_o_f16_e32 vcc_lo, v3, v3
	s_delay_alu instid0(VALU_DEP_2) | instskip(NEXT) | instid1(VALU_DEP_1)
	v_bfe_u32 v5, v4, 16, 1
	v_add3_u32 v4, v4, v5, 0x7fff
	s_delay_alu instid0(VALU_DEP_1) | instskip(NEXT) | instid1(VALU_DEP_1)
	v_lshrrev_b32_e32 v4, 16, v4
	v_cndmask_b32_e32 v3, 0x7fc0, v4, vcc_lo
.LBB488_474:
	s_mov_b32 s0, 0
.LBB488_475:
	s_delay_alu instid0(SALU_CYCLE_1)
	s_and_not1_b32 vcc_lo, exec_lo, s0
	s_cbranch_vccnz .LBB488_486
; %bb.476:
	v_cmp_lt_i16_e64 s0, s10, 6
	s_delay_alu instid0(VALU_DEP_1)
	s_and_b32 vcc_lo, exec_lo, s0
	s_cbranch_vccnz .LBB488_479
; %bb.477:
	v_cmp_gt_i16_e64 s0, s10, 6
	s_delay_alu instid0(VALU_DEP_1)
	s_and_b32 vcc_lo, exec_lo, s0
	s_cbranch_vccz .LBB488_480
; %bb.478:
	global_load_b64 v[3:4], v[0:1], off
	s_mov_b32 s0, 0
	s_waitcnt vmcnt(0)
	v_cvt_f32_f64_e32 v3, v[3:4]
	s_delay_alu instid0(VALU_DEP_1) | instskip(SKIP_1) | instid1(VALU_DEP_2)
	v_bfe_u32 v4, v3, 16, 1
	v_cmp_o_f32_e32 vcc_lo, v3, v3
	v_add3_u32 v4, v3, v4, 0x7fff
	s_delay_alu instid0(VALU_DEP_1) | instskip(NEXT) | instid1(VALU_DEP_1)
	v_lshrrev_b32_e32 v4, 16, v4
	v_cndmask_b32_e32 v3, 0x7fc0, v4, vcc_lo
	s_branch .LBB488_481
.LBB488_479:
	s_mov_b32 s0, -1
                                        ; implicit-def: $vgpr3
	s_branch .LBB488_484
.LBB488_480:
	s_mov_b32 s0, -1
                                        ; implicit-def: $vgpr3
.LBB488_481:
	s_delay_alu instid0(SALU_CYCLE_1)
	s_and_not1_b32 vcc_lo, exec_lo, s0
	s_cbranch_vccnz .LBB488_483
; %bb.482:
	global_load_b32 v3, v[0:1], off
	s_waitcnt vmcnt(0)
	v_bfe_u32 v4, v3, 16, 1
	v_cmp_o_f32_e32 vcc_lo, v3, v3
	s_delay_alu instid0(VALU_DEP_2) | instskip(NEXT) | instid1(VALU_DEP_1)
	v_add3_u32 v4, v3, v4, 0x7fff
	v_lshrrev_b32_e32 v4, 16, v4
	s_delay_alu instid0(VALU_DEP_1)
	v_cndmask_b32_e32 v3, 0x7fc0, v4, vcc_lo
.LBB488_483:
	s_mov_b32 s0, 0
.LBB488_484:
	s_delay_alu instid0(SALU_CYCLE_1)
	s_and_not1_b32 vcc_lo, exec_lo, s0
	s_cbranch_vccnz .LBB488_486
; %bb.485:
	global_load_u16 v3, v[0:1], off
	s_waitcnt vmcnt(0)
	v_cvt_f32_f16_e32 v4, v3
	v_cmp_o_f16_e32 vcc_lo, v3, v3
	s_delay_alu instid0(VALU_DEP_2) | instskip(NEXT) | instid1(VALU_DEP_1)
	v_bfe_u32 v5, v4, 16, 1
	v_add3_u32 v4, v4, v5, 0x7fff
	s_delay_alu instid0(VALU_DEP_1) | instskip(NEXT) | instid1(VALU_DEP_1)
	v_lshrrev_b32_e32 v4, 16, v4
	v_cndmask_b32_e32 v3, 0x7fc0, v4, vcc_lo
.LBB488_486:
	s_mov_b32 s0, 0
.LBB488_487:
	s_delay_alu instid0(SALU_CYCLE_1)
	s_and_not1_b32 vcc_lo, exec_lo, s0
	s_cbranch_vccnz .LBB488_507
; %bb.488:
	v_cmp_lt_i16_e64 s0, s10, 2
	s_delay_alu instid0(VALU_DEP_1)
	s_and_b32 vcc_lo, exec_lo, s0
	s_cbranch_vccnz .LBB488_492
; %bb.489:
	v_cmp_lt_i16_e64 s0, s10, 3
	s_delay_alu instid0(VALU_DEP_1)
	s_and_b32 vcc_lo, exec_lo, s0
	s_cbranch_vccnz .LBB488_493
; %bb.490:
	v_cmp_gt_i16_e64 s0, s10, 3
	s_delay_alu instid0(VALU_DEP_1)
	s_and_b32 vcc_lo, exec_lo, s0
	s_cbranch_vccz .LBB488_494
; %bb.491:
	global_load_b64 v[3:4], v[0:1], off
	s_mov_b32 s0, 0
	s_waitcnt vmcnt(0)
	v_xor_b32_e32 v5, v3, v4
	v_cls_i32_e32 v6, v4
	s_delay_alu instid0(VALU_DEP_2) | instskip(NEXT) | instid1(VALU_DEP_2)
	v_ashrrev_i32_e32 v5, 31, v5
	v_add_nc_u32_e32 v6, -1, v6
	s_delay_alu instid0(VALU_DEP_2) | instskip(NEXT) | instid1(VALU_DEP_1)
	v_add_nc_u32_e32 v5, 32, v5
	v_min_u32_e32 v5, v6, v5
	s_delay_alu instid0(VALU_DEP_1) | instskip(NEXT) | instid1(VALU_DEP_1)
	v_lshlrev_b64 v[3:4], v5, v[3:4]
	v_min_u32_e32 v3, 1, v3
	s_delay_alu instid0(VALU_DEP_1) | instskip(SKIP_1) | instid1(VALU_DEP_2)
	v_or_b32_e32 v3, v4, v3
	v_sub_nc_u32_e32 v4, 32, v5
	v_cvt_f32_i32_e32 v3, v3
	s_delay_alu instid0(VALU_DEP_1) | instskip(NEXT) | instid1(VALU_DEP_1)
	v_ldexp_f32 v3, v3, v4
	v_bfe_u32 v4, v3, 16, 1
	s_delay_alu instid0(VALU_DEP_1) | instskip(NEXT) | instid1(VALU_DEP_1)
	v_add3_u32 v3, v3, v4, 0x7fff
	v_lshrrev_b32_e32 v3, 16, v3
	s_branch .LBB488_495
.LBB488_492:
	s_mov_b32 s0, -1
                                        ; implicit-def: $vgpr3
	s_branch .LBB488_501
.LBB488_493:
	s_mov_b32 s0, -1
                                        ; implicit-def: $vgpr3
	s_branch .LBB488_498
.LBB488_494:
	s_mov_b32 s0, -1
                                        ; implicit-def: $vgpr3
.LBB488_495:
	s_delay_alu instid0(SALU_CYCLE_1)
	s_and_not1_b32 vcc_lo, exec_lo, s0
	s_cbranch_vccnz .LBB488_497
; %bb.496:
	global_load_b32 v3, v[0:1], off
	s_waitcnt vmcnt(0)
	v_cvt_f32_i32_e32 v3, v3
	s_delay_alu instid0(VALU_DEP_1) | instskip(NEXT) | instid1(VALU_DEP_1)
	v_bfe_u32 v4, v3, 16, 1
	v_add3_u32 v3, v3, v4, 0x7fff
	s_delay_alu instid0(VALU_DEP_1)
	v_lshrrev_b32_e32 v3, 16, v3
.LBB488_497:
	s_mov_b32 s0, 0
.LBB488_498:
	s_delay_alu instid0(SALU_CYCLE_1)
	s_and_not1_b32 vcc_lo, exec_lo, s0
	s_cbranch_vccnz .LBB488_500
; %bb.499:
	global_load_i16 v3, v[0:1], off
	s_waitcnt vmcnt(0)
	v_cvt_f32_i32_e32 v3, v3
	s_delay_alu instid0(VALU_DEP_1) | instskip(NEXT) | instid1(VALU_DEP_1)
	v_bfe_u32 v4, v3, 16, 1
	v_add3_u32 v3, v3, v4, 0x7fff
	s_delay_alu instid0(VALU_DEP_1)
	v_lshrrev_b32_e32 v3, 16, v3
.LBB488_500:
	s_mov_b32 s0, 0
.LBB488_501:
	s_delay_alu instid0(SALU_CYCLE_1)
	s_and_not1_b32 vcc_lo, exec_lo, s0
	s_cbranch_vccnz .LBB488_507
; %bb.502:
	v_cmp_gt_i16_e64 s0, s10, 0
	s_delay_alu instid0(VALU_DEP_1)
	s_and_b32 vcc_lo, exec_lo, s0
	s_mov_b32 s0, 0
	s_cbranch_vccz .LBB488_504
; %bb.503:
	global_load_i8 v3, v[0:1], off
	s_waitcnt vmcnt(0)
	v_cvt_f32_i32_e32 v3, v3
	s_delay_alu instid0(VALU_DEP_1) | instskip(NEXT) | instid1(VALU_DEP_1)
	v_bfe_u32 v4, v3, 16, 1
	v_add3_u32 v3, v3, v4, 0x7fff
	s_delay_alu instid0(VALU_DEP_1)
	v_lshrrev_b32_e32 v3, 16, v3
	s_branch .LBB488_505
.LBB488_504:
	s_mov_b32 s0, -1
                                        ; implicit-def: $vgpr3
.LBB488_505:
	s_delay_alu instid0(SALU_CYCLE_1)
	s_and_not1_b32 vcc_lo, exec_lo, s0
	s_cbranch_vccnz .LBB488_507
; %bb.506:
	global_load_u8 v0, v[0:1], off
	s_waitcnt vmcnt(0)
	v_cvt_f32_ubyte0_e32 v0, v0
	s_delay_alu instid0(VALU_DEP_1) | instskip(NEXT) | instid1(VALU_DEP_1)
	v_bfe_u32 v1, v0, 16, 1
	v_add3_u32 v0, v0, v1, 0x7fff
	s_delay_alu instid0(VALU_DEP_1)
	v_lshrrev_b32_e32 v3, 16, v0
.LBB488_507:
	s_branch .LBB488_262
.LBB488_508:
	s_mov_b32 s1, 0
	s_mov_b32 s0, s15
.LBB488_509:
                                        ; implicit-def: $vgpr2
.LBB488_510:
	s_and_not1_b32 s19, s15, exec_lo
	s_and_b32 s0, s0, exec_lo
	s_and_not1_b32 s21, s16, exec_lo
	s_and_b32 s18, s18, exec_lo
	s_or_b32 s19, s19, s0
	s_or_b32 s18, s21, s18
	s_or_not1_b32 s0, s1, exec_lo
.LBB488_511:
	s_or_b32 exec_lo, exec_lo, s20
	s_mov_b32 s1, 0
	s_mov_b32 s21, 0
	;; [unrolled: 1-line block ×3, first 2 shown]
                                        ; implicit-def: $vgpr0_vgpr1
                                        ; implicit-def: $vgpr5
	s_and_saveexec_b32 s20, s0
	s_cbranch_execz .LBB488_858
; %bb.512:
	s_mov_b32 s22, -1
	s_mov_b32 s0, s18
	s_mov_b32 s1, s19
	s_mov_b32 s21, exec_lo
	v_cmpx_gt_i32_e64 s14, v2
	s_cbranch_execz .LBB488_772
; %bb.513:
	v_mul_lo_u32 v0, v2, s3
	v_cmp_lt_i16_e64 s0, s10, 11
	s_delay_alu instid0(VALU_DEP_2) | instskip(SKIP_1) | instid1(VALU_DEP_2)
	v_ashrrev_i32_e32 v1, 31, v0
	v_add_co_u32 v0, vcc_lo, s6, v0
	v_add_co_ci_u32_e32 v1, vcc_lo, s7, v1, vcc_lo
	s_delay_alu instid0(VALU_DEP_4)
	s_and_b32 vcc_lo, exec_lo, s0
	s_cbranch_vccnz .LBB488_520
; %bb.514:
	v_cmp_gt_i16_e64 s0, s10, 25
	s_delay_alu instid0(VALU_DEP_1)
	s_and_b32 vcc_lo, exec_lo, s0
	s_cbranch_vccz .LBB488_521
; %bb.515:
	v_cmp_gt_i16_e64 s0, s10, 28
	s_delay_alu instid0(VALU_DEP_1)
	s_and_b32 vcc_lo, exec_lo, s0
	s_cbranch_vccz .LBB488_522
; %bb.516:
	v_cmp_gt_i16_e64 s0, s10, 43
	s_delay_alu instid0(VALU_DEP_1)
	s_and_b32 vcc_lo, exec_lo, s0
	s_cbranch_vccz .LBB488_523
; %bb.517:
	v_cmp_gt_i16_e64 s0, s10, 45
	s_delay_alu instid0(VALU_DEP_1)
	s_and_b32 vcc_lo, exec_lo, s0
	s_cbranch_vccz .LBB488_526
; %bb.518:
	v_cmp_eq_u16_e64 s0, s10, 46
	s_mov_b32 s1, 0
	s_delay_alu instid0(VALU_DEP_1)
	s_and_b32 vcc_lo, exec_lo, s0
	s_cbranch_vccz .LBB488_529
; %bb.519:
	global_load_b32 v3, v[0:1], off
	s_mov_b32 s0, -1
	s_mov_b32 s22, 0
	s_branch .LBB488_531
.LBB488_520:
	s_mov_b32 s1, -1
	s_mov_b32 s0, 0
	s_mov_b32 s22, s18
                                        ; implicit-def: $vgpr3
	s_branch .LBB488_596
.LBB488_521:
	s_mov_b32 s1, -1
	s_mov_b32 s0, 0
	s_mov_b32 s22, s18
                                        ; implicit-def: $vgpr3
	s_branch .LBB488_560
.LBB488_522:
	s_mov_b32 s1, -1
	s_mov_b32 s0, 0
	s_mov_b32 s22, s18
                                        ; implicit-def: $vgpr3
	s_branch .LBB488_541
.LBB488_523:
	s_mov_b32 s1, -1
	s_mov_b32 s0, 0
	s_mov_b32 s22, s18
                                        ; implicit-def: $vgpr3
	s_branch .LBB488_536
.LBB488_524:
	s_or_saveexec_b32 s21, s21
                                        ; implicit-def: $sgpr22
	s_delay_alu instid0(SALU_CYCLE_1)
	s_xor_b32 exec_lo, exec_lo, s21
	s_cbranch_execz .LBB488_308
.LBB488_525:
	v_add_f32_e64 v6, 0x46000000, |v7|
	s_and_not1_b32 s19, s19, exec_lo
	s_mov_b32 s22, 0
	s_delay_alu instid0(VALU_DEP_1) | instskip(NEXT) | instid1(VALU_DEP_1)
	v_and_b32_e32 v6, 0xff, v6
	v_cmp_ne_u32_e32 vcc_lo, 0, v6
	s_and_b32 s23, vcc_lo, exec_lo
	s_delay_alu instid0(SALU_CYCLE_1)
	s_or_b32 s19, s19, s23
	s_or_b32 exec_lo, exec_lo, s21
	v_mov_b32_e32 v8, s22
	s_and_saveexec_b32 s21, s19
	s_cbranch_execnz .LBB488_309
	s_branch .LBB488_310
.LBB488_526:
	s_mov_b32 s1, -1
	s_mov_b32 s0, 0
	s_mov_b32 s22, s18
	s_branch .LBB488_530
.LBB488_527:
	s_or_saveexec_b32 s21, s21
                                        ; implicit-def: $sgpr22
	s_delay_alu instid0(SALU_CYCLE_1)
	s_xor_b32 exec_lo, exec_lo, s21
	s_cbranch_execz .LBB488_321
.LBB488_528:
	v_add_f32_e64 v6, 0x42800000, |v7|
	s_and_not1_b32 s19, s19, exec_lo
	s_mov_b32 s22, 0
	s_delay_alu instid0(VALU_DEP_1) | instskip(NEXT) | instid1(VALU_DEP_1)
	v_and_b32_e32 v6, 0xff, v6
	v_cmp_ne_u32_e32 vcc_lo, 0, v6
	s_and_b32 s23, vcc_lo, exec_lo
	s_delay_alu instid0(SALU_CYCLE_1)
	s_or_b32 s19, s19, s23
	s_or_b32 exec_lo, exec_lo, s21
	v_mov_b32_e32 v8, s22
	s_and_saveexec_b32 s21, s19
	s_cbranch_execnz .LBB488_322
	s_branch .LBB488_323
.LBB488_529:
	s_mov_b32 s0, 0
.LBB488_530:
                                        ; implicit-def: $vgpr3
.LBB488_531:
	s_and_b32 vcc_lo, exec_lo, s1
	s_cbranch_vccz .LBB488_535
; %bb.532:
	v_cmp_eq_u16_e64 s1, s10, 44
	s_delay_alu instid0(VALU_DEP_1)
	s_and_b32 vcc_lo, exec_lo, s1
	s_cbranch_vccz .LBB488_534
; %bb.533:
	global_load_u8 v3, v[0:1], off
	s_mov_b32 s22, 0
	s_mov_b32 s0, -1
	s_waitcnt vmcnt(0)
	v_lshlrev_b32_e32 v4, 23, v3
	v_cmp_ne_u32_e32 vcc_lo, 0xff, v3
	s_delay_alu instid0(VALU_DEP_2) | instskip(SKIP_1) | instid1(VALU_DEP_2)
	v_cndmask_b32_e32 v4, 0x7f800001, v4, vcc_lo
	v_cmp_ne_u32_e32 vcc_lo, 0, v3
	v_cndmask_b32_e32 v3, 0x400000, v4, vcc_lo
	s_delay_alu instid0(VALU_DEP_1) | instskip(SKIP_1) | instid1(VALU_DEP_2)
	v_add_nc_u32_e32 v4, 0x7fff, v3
	v_cmp_o_f32_e32 vcc_lo, v3, v3
	v_lshrrev_b32_e32 v4, 16, v4
	s_delay_alu instid0(VALU_DEP_1)
	v_cndmask_b32_e32 v3, 0x7fc0, v4, vcc_lo
	s_branch .LBB488_535
.LBB488_534:
	s_mov_b32 s22, -1
                                        ; implicit-def: $vgpr3
.LBB488_535:
	s_mov_b32 s1, 0
.LBB488_536:
	s_delay_alu instid0(SALU_CYCLE_1)
	s_and_b32 vcc_lo, exec_lo, s1
	s_cbranch_vccz .LBB488_540
; %bb.537:
	v_cmp_eq_u16_e64 s1, s10, 29
	s_delay_alu instid0(VALU_DEP_1)
	s_and_b32 vcc_lo, exec_lo, s1
	s_cbranch_vccz .LBB488_539
; %bb.538:
	global_load_b64 v[3:4], v[0:1], off
	s_mov_b32 s0, -1
	s_mov_b32 s22, 0
	s_mov_b32 s1, 0
	s_waitcnt vmcnt(0)
	v_clz_i32_u32_e32 v5, v4
	s_delay_alu instid0(VALU_DEP_1) | instskip(NEXT) | instid1(VALU_DEP_1)
	v_min_u32_e32 v5, 32, v5
	v_lshlrev_b64 v[3:4], v5, v[3:4]
	s_delay_alu instid0(VALU_DEP_1) | instskip(NEXT) | instid1(VALU_DEP_1)
	v_min_u32_e32 v3, 1, v3
	v_or_b32_e32 v3, v4, v3
	v_sub_nc_u32_e32 v4, 32, v5
	s_delay_alu instid0(VALU_DEP_2) | instskip(NEXT) | instid1(VALU_DEP_1)
	v_cvt_f32_u32_e32 v3, v3
	v_ldexp_f32 v3, v3, v4
	s_delay_alu instid0(VALU_DEP_1) | instskip(NEXT) | instid1(VALU_DEP_1)
	v_bfe_u32 v4, v3, 16, 1
	v_add3_u32 v3, v3, v4, 0x7fff
	s_delay_alu instid0(VALU_DEP_1)
	v_lshrrev_b32_e32 v3, 16, v3
	s_branch .LBB488_541
.LBB488_539:
	s_mov_b32 s22, -1
                                        ; implicit-def: $vgpr3
.LBB488_540:
	s_mov_b32 s1, 0
.LBB488_541:
	s_delay_alu instid0(SALU_CYCLE_1)
	s_and_b32 vcc_lo, exec_lo, s1
	s_cbranch_vccz .LBB488_559
; %bb.542:
	v_cmp_lt_i16_e64 s0, s10, 27
	s_delay_alu instid0(VALU_DEP_1)
	s_and_b32 vcc_lo, exec_lo, s0
	s_cbranch_vccnz .LBB488_545
; %bb.543:
	v_cmp_gt_i16_e64 s0, s10, 27
	s_delay_alu instid0(VALU_DEP_1)
	s_and_b32 vcc_lo, exec_lo, s0
	s_cbranch_vccz .LBB488_546
; %bb.544:
	global_load_b32 v3, v[0:1], off
	s_mov_b32 s0, 0
	s_waitcnt vmcnt(0)
	v_cvt_f32_u32_e32 v3, v3
	s_delay_alu instid0(VALU_DEP_1) | instskip(NEXT) | instid1(VALU_DEP_1)
	v_bfe_u32 v4, v3, 16, 1
	v_add3_u32 v3, v3, v4, 0x7fff
	s_delay_alu instid0(VALU_DEP_1)
	v_lshrrev_b32_e32 v3, 16, v3
	s_branch .LBB488_547
.LBB488_545:
	s_mov_b32 s0, -1
                                        ; implicit-def: $vgpr3
	s_branch .LBB488_550
.LBB488_546:
	s_mov_b32 s0, -1
                                        ; implicit-def: $vgpr3
.LBB488_547:
	s_delay_alu instid0(SALU_CYCLE_1)
	s_and_not1_b32 vcc_lo, exec_lo, s0
	s_cbranch_vccnz .LBB488_549
; %bb.548:
	global_load_u16 v3, v[0:1], off
	s_waitcnt vmcnt(0)
	v_cvt_f32_u32_e32 v3, v3
	s_delay_alu instid0(VALU_DEP_1) | instskip(NEXT) | instid1(VALU_DEP_1)
	v_bfe_u32 v4, v3, 16, 1
	v_add3_u32 v3, v3, v4, 0x7fff
	s_delay_alu instid0(VALU_DEP_1)
	v_lshrrev_b32_e32 v3, 16, v3
.LBB488_549:
	s_mov_b32 s0, 0
.LBB488_550:
	s_delay_alu instid0(SALU_CYCLE_1)
	s_and_not1_b32 vcc_lo, exec_lo, s0
	s_cbranch_vccnz .LBB488_558
; %bb.551:
	global_load_u8 v3, v[0:1], off
	s_mov_b32 s0, 0
	s_mov_b32 s23, exec_lo
                                        ; implicit-def: $sgpr1
	s_waitcnt vmcnt(0)
	v_cmpx_lt_i16_e32 0x7f, v3
	s_xor_b32 s23, exec_lo, s23
	s_cbranch_execz .LBB488_572
; %bb.552:
	s_mov_b32 s0, -1
	s_mov_b32 s24, exec_lo
                                        ; implicit-def: $sgpr1
	v_cmpx_eq_u16_e32 0x80, v3
; %bb.553:
	s_mov_b32 s1, 0x7f800001
	s_xor_b32 s0, exec_lo, -1
; %bb.554:
	s_or_b32 exec_lo, exec_lo, s24
	s_delay_alu instid0(SALU_CYCLE_1)
	s_and_b32 s0, s0, exec_lo
	s_or_saveexec_b32 s23, s23
	v_mov_b32_e32 v4, s1
	s_xor_b32 exec_lo, exec_lo, s23
	s_cbranch_execnz .LBB488_573
.LBB488_555:
	s_or_b32 exec_lo, exec_lo, s23
	s_and_saveexec_b32 s1, s0
	s_cbranch_execz .LBB488_557
.LBB488_556:
	v_and_b32_e32 v4, 0xffff, v3
	v_lshlrev_b32_e32 v3, 24, v3
	s_delay_alu instid0(VALU_DEP_2) | instskip(NEXT) | instid1(VALU_DEP_2)
	v_and_b32_e32 v5, 7, v4
	v_and_b32_e32 v3, 0x80000000, v3
	s_delay_alu instid0(VALU_DEP_2) | instskip(NEXT) | instid1(VALU_DEP_1)
	v_clz_i32_u32_e32 v6, v5
	v_min_u32_e32 v6, 32, v6
	s_delay_alu instid0(VALU_DEP_1) | instskip(SKIP_1) | instid1(VALU_DEP_2)
	v_subrev_nc_u32_e32 v7, 28, v6
	v_sub_nc_u32_e32 v6, 29, v6
	v_lshlrev_b32_e32 v7, v7, v4
	v_bfe_u32 v4, v4, 3, 4
	s_delay_alu instid0(VALU_DEP_2) | instskip(NEXT) | instid1(VALU_DEP_2)
	v_and_b32_e32 v7, 7, v7
	v_cmp_eq_u32_e32 vcc_lo, 0, v4
	s_delay_alu instid0(VALU_DEP_2) | instskip(NEXT) | instid1(VALU_DEP_1)
	v_dual_cndmask_b32 v4, v4, v6 :: v_dual_cndmask_b32 v5, v5, v7
	v_lshl_add_u32 v4, v4, 23, 0x3b800000
	s_delay_alu instid0(VALU_DEP_2) | instskip(NEXT) | instid1(VALU_DEP_1)
	v_lshlrev_b32_e32 v5, 20, v5
	v_or3_b32 v4, v3, v4, v5
.LBB488_557:
	s_or_b32 exec_lo, exec_lo, s1
	s_delay_alu instid0(VALU_DEP_1) | instskip(SKIP_1) | instid1(VALU_DEP_2)
	v_bfe_u32 v3, v4, 16, 1
	v_cmp_o_f32_e32 vcc_lo, v4, v4
	v_add3_u32 v3, v4, v3, 0x7fff
	s_delay_alu instid0(VALU_DEP_1) | instskip(NEXT) | instid1(VALU_DEP_1)
	v_lshrrev_b32_e32 v3, 16, v3
	v_cndmask_b32_e32 v3, 0x7fc0, v3, vcc_lo
.LBB488_558:
	s_mov_b32 s0, -1
.LBB488_559:
	s_mov_b32 s1, 0
.LBB488_560:
	s_delay_alu instid0(SALU_CYCLE_1)
	s_and_b32 vcc_lo, exec_lo, s1
	s_cbranch_vccz .LBB488_595
; %bb.561:
	v_cmp_gt_i16_e64 s1, s10, 22
	s_delay_alu instid0(VALU_DEP_1)
	s_and_b32 vcc_lo, exec_lo, s1
	s_cbranch_vccz .LBB488_571
; %bb.562:
	v_cmp_lt_i16_e64 s0, s10, 24
	s_delay_alu instid0(VALU_DEP_1)
	s_and_b32 vcc_lo, exec_lo, s0
	s_cbranch_vccnz .LBB488_574
; %bb.563:
	v_cmp_gt_i16_e64 s0, s10, 24
	s_delay_alu instid0(VALU_DEP_1)
	s_and_b32 vcc_lo, exec_lo, s0
	s_cbranch_vccz .LBB488_575
; %bb.564:
	global_load_u8 v3, v[0:1], off
	s_mov_b32 s0, 0
	s_mov_b32 s23, exec_lo
                                        ; implicit-def: $sgpr1
	s_waitcnt vmcnt(0)
	v_cmpx_lt_i16_e32 0x7f, v3
	s_xor_b32 s23, exec_lo, s23
	s_cbranch_execz .LBB488_587
; %bb.565:
	s_mov_b32 s0, -1
	s_mov_b32 s24, exec_lo
                                        ; implicit-def: $sgpr1
	v_cmpx_eq_u16_e32 0x80, v3
; %bb.566:
	s_mov_b32 s1, 0x7f800001
	s_xor_b32 s0, exec_lo, -1
; %bb.567:
	s_or_b32 exec_lo, exec_lo, s24
	s_delay_alu instid0(SALU_CYCLE_1)
	s_and_b32 s0, s0, exec_lo
	s_or_saveexec_b32 s23, s23
	v_mov_b32_e32 v4, s1
	s_xor_b32 exec_lo, exec_lo, s23
	s_cbranch_execnz .LBB488_588
.LBB488_568:
	s_or_b32 exec_lo, exec_lo, s23
	s_and_saveexec_b32 s1, s0
	s_cbranch_execz .LBB488_570
.LBB488_569:
	v_and_b32_e32 v4, 0xffff, v3
	v_lshlrev_b32_e32 v3, 24, v3
	s_delay_alu instid0(VALU_DEP_2) | instskip(NEXT) | instid1(VALU_DEP_2)
	v_and_b32_e32 v5, 3, v4
	v_and_b32_e32 v3, 0x80000000, v3
	s_delay_alu instid0(VALU_DEP_2) | instskip(NEXT) | instid1(VALU_DEP_1)
	v_clz_i32_u32_e32 v6, v5
	v_min_u32_e32 v6, 32, v6
	s_delay_alu instid0(VALU_DEP_1) | instskip(SKIP_1) | instid1(VALU_DEP_2)
	v_subrev_nc_u32_e32 v7, 29, v6
	v_sub_nc_u32_e32 v6, 30, v6
	v_lshlrev_b32_e32 v7, v7, v4
	v_bfe_u32 v4, v4, 2, 5
	s_delay_alu instid0(VALU_DEP_2) | instskip(NEXT) | instid1(VALU_DEP_2)
	v_and_b32_e32 v7, 3, v7
	v_cmp_eq_u32_e32 vcc_lo, 0, v4
	s_delay_alu instid0(VALU_DEP_2) | instskip(NEXT) | instid1(VALU_DEP_1)
	v_dual_cndmask_b32 v4, v4, v6 :: v_dual_cndmask_b32 v5, v5, v7
	v_lshl_add_u32 v4, v4, 23, 0x37800000
	s_delay_alu instid0(VALU_DEP_2) | instskip(NEXT) | instid1(VALU_DEP_1)
	v_lshlrev_b32_e32 v5, 21, v5
	v_or3_b32 v4, v3, v4, v5
.LBB488_570:
	s_or_b32 exec_lo, exec_lo, s1
	s_delay_alu instid0(VALU_DEP_1) | instskip(SKIP_2) | instid1(VALU_DEP_2)
	v_bfe_u32 v3, v4, 16, 1
	v_cmp_o_f32_e32 vcc_lo, v4, v4
	s_mov_b32 s0, 0
	v_add3_u32 v3, v4, v3, 0x7fff
	s_delay_alu instid0(VALU_DEP_1) | instskip(NEXT) | instid1(VALU_DEP_1)
	v_lshrrev_b32_e32 v3, 16, v3
	v_cndmask_b32_e32 v3, 0x7fc0, v3, vcc_lo
	s_branch .LBB488_576
.LBB488_571:
	s_mov_b32 s1, -1
                                        ; implicit-def: $vgpr3
	s_branch .LBB488_582
.LBB488_572:
	s_or_saveexec_b32 s23, s23
	v_mov_b32_e32 v4, s1
	s_xor_b32 exec_lo, exec_lo, s23
	s_cbranch_execz .LBB488_555
.LBB488_573:
	v_cmp_ne_u16_e32 vcc_lo, 0, v3
	v_mov_b32_e32 v4, 0
	s_and_not1_b32 s0, s0, exec_lo
	s_and_b32 s1, vcc_lo, exec_lo
	s_delay_alu instid0(SALU_CYCLE_1)
	s_or_b32 s0, s0, s1
	s_or_b32 exec_lo, exec_lo, s23
	s_and_saveexec_b32 s1, s0
	s_cbranch_execnz .LBB488_556
	s_branch .LBB488_557
.LBB488_574:
	s_mov_b32 s0, -1
                                        ; implicit-def: $vgpr3
	s_branch .LBB488_579
.LBB488_575:
	s_mov_b32 s0, -1
                                        ; implicit-def: $vgpr3
.LBB488_576:
	s_delay_alu instid0(SALU_CYCLE_1)
	s_and_b32 vcc_lo, exec_lo, s0
	s_cbranch_vccz .LBB488_578
; %bb.577:
	global_load_u8 v3, v[0:1], off
	s_waitcnt vmcnt(0)
	v_lshlrev_b32_e32 v3, 24, v3
	s_delay_alu instid0(VALU_DEP_1) | instskip(NEXT) | instid1(VALU_DEP_1)
	v_and_b32_e32 v4, 0x7f000000, v3
	v_clz_i32_u32_e32 v5, v4
	v_add_nc_u32_e32 v7, 0x1000000, v4
	v_cmp_ne_u32_e32 vcc_lo, 0, v4
	s_delay_alu instid0(VALU_DEP_3) | instskip(NEXT) | instid1(VALU_DEP_1)
	v_min_u32_e32 v5, 32, v5
	v_sub_nc_u32_e64 v5, v5, 4 clamp
	s_delay_alu instid0(VALU_DEP_1) | instskip(SKIP_1) | instid1(VALU_DEP_2)
	v_lshlrev_b32_e32 v6, v5, v4
	v_lshlrev_b32_e32 v5, 23, v5
	v_lshrrev_b32_e32 v6, 4, v6
	s_delay_alu instid0(VALU_DEP_1) | instskip(SKIP_1) | instid1(VALU_DEP_2)
	v_sub_nc_u32_e32 v5, v6, v5
	v_ashrrev_i32_e32 v6, 8, v7
	v_add_nc_u32_e32 v5, 0x3c000000, v5
	s_delay_alu instid0(VALU_DEP_1) | instskip(NEXT) | instid1(VALU_DEP_1)
	v_and_or_b32 v5, 0x7f800000, v6, v5
	v_cndmask_b32_e32 v4, 0, v5, vcc_lo
	s_delay_alu instid0(VALU_DEP_1) | instskip(SKIP_1) | instid1(VALU_DEP_2)
	v_and_or_b32 v3, 0x80000000, v3, v4
	v_bfe_u32 v4, v4, 16, 1
	v_cmp_o_f32_e32 vcc_lo, v3, v3
	s_delay_alu instid0(VALU_DEP_2) | instskip(NEXT) | instid1(VALU_DEP_1)
	v_add3_u32 v4, v3, v4, 0x7fff
	v_lshrrev_b32_e32 v4, 16, v4
	s_delay_alu instid0(VALU_DEP_1)
	v_cndmask_b32_e32 v3, 0x7fc0, v4, vcc_lo
.LBB488_578:
	s_mov_b32 s0, 0
.LBB488_579:
	s_delay_alu instid0(SALU_CYCLE_1)
	s_and_not1_b32 vcc_lo, exec_lo, s0
	s_cbranch_vccnz .LBB488_581
; %bb.580:
	global_load_u8 v3, v[0:1], off
	s_waitcnt vmcnt(0)
	v_lshlrev_b32_e32 v4, 25, v3
	v_lshlrev_b16 v3, 8, v3
	s_delay_alu instid0(VALU_DEP_2) | instskip(NEXT) | instid1(VALU_DEP_2)
	v_lshrrev_b32_e32 v5, 4, v4
	v_and_or_b32 v6, 0x7f00, v3, 0.5
	v_bfe_i32 v3, v3, 0, 16
	s_delay_alu instid0(VALU_DEP_3) | instskip(NEXT) | instid1(VALU_DEP_1)
	v_or_b32_e32 v5, 0x70000000, v5
	v_dual_add_f32 v6, -0.5, v6 :: v_dual_mul_f32 v5, 0x7800000, v5
	v_cmp_gt_u32_e32 vcc_lo, 0x8000000, v4
	s_delay_alu instid0(VALU_DEP_2) | instskip(NEXT) | instid1(VALU_DEP_1)
	v_cndmask_b32_e32 v4, v5, v6, vcc_lo
	v_and_or_b32 v3, 0x80000000, v3, v4
	v_bfe_u32 v4, v4, 16, 1
	s_delay_alu instid0(VALU_DEP_2) | instskip(NEXT) | instid1(VALU_DEP_2)
	v_cmp_o_f32_e32 vcc_lo, v3, v3
	v_add3_u32 v4, v3, v4, 0x7fff
	s_delay_alu instid0(VALU_DEP_1) | instskip(NEXT) | instid1(VALU_DEP_1)
	v_lshrrev_b32_e32 v4, 16, v4
	v_cndmask_b32_e32 v3, 0x7fc0, v4, vcc_lo
.LBB488_581:
	s_mov_b32 s1, 0
	s_mov_b32 s0, -1
.LBB488_582:
	s_and_not1_b32 vcc_lo, exec_lo, s1
	s_cbranch_vccnz .LBB488_595
; %bb.583:
	v_cmp_gt_i16_e64 s1, s10, 14
	s_delay_alu instid0(VALU_DEP_1)
	s_and_b32 vcc_lo, exec_lo, s1
	s_cbranch_vccz .LBB488_586
; %bb.584:
	v_cmp_eq_u16_e64 s1, s10, 15
	s_delay_alu instid0(VALU_DEP_1)
	s_and_b32 vcc_lo, exec_lo, s1
	s_cbranch_vccz .LBB488_589
; %bb.585:
	global_load_u16 v3, v[0:1], off
	s_mov_b32 s0, -1
	s_mov_b32 s22, 0
	s_branch .LBB488_590
.LBB488_586:
	s_mov_b32 s1, -1
                                        ; implicit-def: $vgpr3
	s_branch .LBB488_591
.LBB488_587:
	s_or_saveexec_b32 s23, s23
	v_mov_b32_e32 v4, s1
	s_xor_b32 exec_lo, exec_lo, s23
	s_cbranch_execz .LBB488_568
.LBB488_588:
	v_cmp_ne_u16_e32 vcc_lo, 0, v3
	v_mov_b32_e32 v4, 0
	s_and_not1_b32 s0, s0, exec_lo
	s_and_b32 s1, vcc_lo, exec_lo
	s_delay_alu instid0(SALU_CYCLE_1)
	s_or_b32 s0, s0, s1
	s_or_b32 exec_lo, exec_lo, s23
	s_and_saveexec_b32 s1, s0
	s_cbranch_execnz .LBB488_569
	s_branch .LBB488_570
.LBB488_589:
	s_mov_b32 s22, -1
                                        ; implicit-def: $vgpr3
.LBB488_590:
	s_mov_b32 s1, 0
.LBB488_591:
	s_delay_alu instid0(SALU_CYCLE_1)
	s_and_b32 vcc_lo, exec_lo, s1
	s_cbranch_vccz .LBB488_595
; %bb.592:
	v_cmp_eq_u16_e64 s1, s10, 11
	s_delay_alu instid0(VALU_DEP_1)
	s_and_b32 vcc_lo, exec_lo, s1
	s_cbranch_vccz .LBB488_594
; %bb.593:
	global_load_u8 v3, v[0:1], off
	s_mov_b32 s22, 0
	s_mov_b32 s0, -1
	s_waitcnt vmcnt(0)
	v_cmp_ne_u16_e32 vcc_lo, 0, v3
	v_cndmask_b32_e64 v3, 0, 1.0, vcc_lo
	s_delay_alu instid0(VALU_DEP_1)
	v_lshrrev_b32_e32 v3, 16, v3
	s_branch .LBB488_595
.LBB488_594:
	s_mov_b32 s22, -1
                                        ; implicit-def: $vgpr3
.LBB488_595:
	s_mov_b32 s1, 0
.LBB488_596:
	s_delay_alu instid0(SALU_CYCLE_1)
	s_and_b32 vcc_lo, exec_lo, s1
	s_cbranch_vccz .LBB488_645
; %bb.597:
	v_cmp_lt_i16_e64 s0, s10, 5
	s_delay_alu instid0(VALU_DEP_1)
	s_and_b32 vcc_lo, exec_lo, s0
	s_cbranch_vccnz .LBB488_602
; %bb.598:
	v_cmp_lt_i16_e64 s0, s10, 8
	s_delay_alu instid0(VALU_DEP_1)
	s_and_b32 vcc_lo, exec_lo, s0
	s_cbranch_vccnz .LBB488_603
; %bb.599:
	v_cmp_lt_i16_e64 s0, s10, 9
	s_delay_alu instid0(VALU_DEP_1)
	s_and_b32 vcc_lo, exec_lo, s0
	s_cbranch_vccnz .LBB488_604
; %bb.600:
	v_cmp_gt_i16_e64 s0, s10, 9
	s_delay_alu instid0(VALU_DEP_1)
	s_and_b32 vcc_lo, exec_lo, s0
	s_cbranch_vccz .LBB488_605
; %bb.601:
	global_load_b64 v[3:4], v[0:1], off
	s_mov_b32 s0, 0
	s_waitcnt vmcnt(0)
	v_cvt_f32_f64_e32 v3, v[3:4]
	s_delay_alu instid0(VALU_DEP_1) | instskip(SKIP_1) | instid1(VALU_DEP_2)
	v_bfe_u32 v4, v3, 16, 1
	v_cmp_o_f32_e32 vcc_lo, v3, v3
	v_add3_u32 v4, v3, v4, 0x7fff
	s_delay_alu instid0(VALU_DEP_1) | instskip(NEXT) | instid1(VALU_DEP_1)
	v_lshrrev_b32_e32 v4, 16, v4
	v_cndmask_b32_e32 v3, 0x7fc0, v4, vcc_lo
	s_branch .LBB488_606
.LBB488_602:
	s_mov_b32 s0, -1
                                        ; implicit-def: $vgpr3
	s_branch .LBB488_624
.LBB488_603:
	s_mov_b32 s0, -1
                                        ; implicit-def: $vgpr3
	s_branch .LBB488_612
.LBB488_604:
	s_mov_b32 s0, -1
                                        ; implicit-def: $vgpr3
	s_branch .LBB488_609
.LBB488_605:
	s_mov_b32 s0, -1
                                        ; implicit-def: $vgpr3
.LBB488_606:
	s_delay_alu instid0(SALU_CYCLE_1)
	s_and_not1_b32 vcc_lo, exec_lo, s0
	s_cbranch_vccnz .LBB488_608
; %bb.607:
	global_load_b32 v3, v[0:1], off
	s_waitcnt vmcnt(0)
	v_bfe_u32 v4, v3, 16, 1
	v_cmp_o_f32_e32 vcc_lo, v3, v3
	s_delay_alu instid0(VALU_DEP_2) | instskip(NEXT) | instid1(VALU_DEP_1)
	v_add3_u32 v4, v3, v4, 0x7fff
	v_lshrrev_b32_e32 v4, 16, v4
	s_delay_alu instid0(VALU_DEP_1)
	v_cndmask_b32_e32 v3, 0x7fc0, v4, vcc_lo
.LBB488_608:
	s_mov_b32 s0, 0
.LBB488_609:
	s_delay_alu instid0(SALU_CYCLE_1)
	s_and_not1_b32 vcc_lo, exec_lo, s0
	s_cbranch_vccnz .LBB488_611
; %bb.610:
	global_load_b32 v3, v[0:1], off
	s_waitcnt vmcnt(0)
	v_cvt_f32_f16_e32 v4, v3
	v_cmp_o_f16_e32 vcc_lo, v3, v3
	s_delay_alu instid0(VALU_DEP_2) | instskip(NEXT) | instid1(VALU_DEP_1)
	v_bfe_u32 v5, v4, 16, 1
	v_add3_u32 v4, v4, v5, 0x7fff
	s_delay_alu instid0(VALU_DEP_1) | instskip(NEXT) | instid1(VALU_DEP_1)
	v_lshrrev_b32_e32 v4, 16, v4
	v_cndmask_b32_e32 v3, 0x7fc0, v4, vcc_lo
.LBB488_611:
	s_mov_b32 s0, 0
.LBB488_612:
	s_delay_alu instid0(SALU_CYCLE_1)
	s_and_not1_b32 vcc_lo, exec_lo, s0
	s_cbranch_vccnz .LBB488_623
; %bb.613:
	v_cmp_lt_i16_e64 s0, s10, 6
	s_delay_alu instid0(VALU_DEP_1)
	s_and_b32 vcc_lo, exec_lo, s0
	s_cbranch_vccnz .LBB488_616
; %bb.614:
	v_cmp_gt_i16_e64 s0, s10, 6
	s_delay_alu instid0(VALU_DEP_1)
	s_and_b32 vcc_lo, exec_lo, s0
	s_cbranch_vccz .LBB488_617
; %bb.615:
	global_load_b64 v[3:4], v[0:1], off
	s_mov_b32 s0, 0
	s_waitcnt vmcnt(0)
	v_cvt_f32_f64_e32 v3, v[3:4]
	s_delay_alu instid0(VALU_DEP_1) | instskip(SKIP_1) | instid1(VALU_DEP_2)
	v_bfe_u32 v4, v3, 16, 1
	v_cmp_o_f32_e32 vcc_lo, v3, v3
	v_add3_u32 v4, v3, v4, 0x7fff
	s_delay_alu instid0(VALU_DEP_1) | instskip(NEXT) | instid1(VALU_DEP_1)
	v_lshrrev_b32_e32 v4, 16, v4
	v_cndmask_b32_e32 v3, 0x7fc0, v4, vcc_lo
	s_branch .LBB488_618
.LBB488_616:
	s_mov_b32 s0, -1
                                        ; implicit-def: $vgpr3
	s_branch .LBB488_621
.LBB488_617:
	s_mov_b32 s0, -1
                                        ; implicit-def: $vgpr3
.LBB488_618:
	s_delay_alu instid0(SALU_CYCLE_1)
	s_and_not1_b32 vcc_lo, exec_lo, s0
	s_cbranch_vccnz .LBB488_620
; %bb.619:
	global_load_b32 v3, v[0:1], off
	s_waitcnt vmcnt(0)
	v_bfe_u32 v4, v3, 16, 1
	v_cmp_o_f32_e32 vcc_lo, v3, v3
	s_delay_alu instid0(VALU_DEP_2) | instskip(NEXT) | instid1(VALU_DEP_1)
	v_add3_u32 v4, v3, v4, 0x7fff
	v_lshrrev_b32_e32 v4, 16, v4
	s_delay_alu instid0(VALU_DEP_1)
	v_cndmask_b32_e32 v3, 0x7fc0, v4, vcc_lo
.LBB488_620:
	s_mov_b32 s0, 0
.LBB488_621:
	s_delay_alu instid0(SALU_CYCLE_1)
	s_and_not1_b32 vcc_lo, exec_lo, s0
	s_cbranch_vccnz .LBB488_623
; %bb.622:
	global_load_u16 v3, v[0:1], off
	s_waitcnt vmcnt(0)
	v_cvt_f32_f16_e32 v4, v3
	v_cmp_o_f16_e32 vcc_lo, v3, v3
	s_delay_alu instid0(VALU_DEP_2) | instskip(NEXT) | instid1(VALU_DEP_1)
	v_bfe_u32 v5, v4, 16, 1
	v_add3_u32 v4, v4, v5, 0x7fff
	s_delay_alu instid0(VALU_DEP_1) | instskip(NEXT) | instid1(VALU_DEP_1)
	v_lshrrev_b32_e32 v4, 16, v4
	v_cndmask_b32_e32 v3, 0x7fc0, v4, vcc_lo
.LBB488_623:
	s_mov_b32 s0, 0
.LBB488_624:
	s_delay_alu instid0(SALU_CYCLE_1)
	s_and_not1_b32 vcc_lo, exec_lo, s0
	s_cbranch_vccnz .LBB488_644
; %bb.625:
	v_cmp_lt_i16_e64 s0, s10, 2
	s_delay_alu instid0(VALU_DEP_1)
	s_and_b32 vcc_lo, exec_lo, s0
	s_cbranch_vccnz .LBB488_629
; %bb.626:
	v_cmp_lt_i16_e64 s0, s10, 3
	s_delay_alu instid0(VALU_DEP_1)
	s_and_b32 vcc_lo, exec_lo, s0
	s_cbranch_vccnz .LBB488_630
; %bb.627:
	v_cmp_gt_i16_e64 s0, s10, 3
	s_delay_alu instid0(VALU_DEP_1)
	s_and_b32 vcc_lo, exec_lo, s0
	s_cbranch_vccz .LBB488_631
; %bb.628:
	global_load_b64 v[3:4], v[0:1], off
	s_mov_b32 s0, 0
	s_waitcnt vmcnt(0)
	v_xor_b32_e32 v5, v3, v4
	v_cls_i32_e32 v6, v4
	s_delay_alu instid0(VALU_DEP_2) | instskip(NEXT) | instid1(VALU_DEP_2)
	v_ashrrev_i32_e32 v5, 31, v5
	v_add_nc_u32_e32 v6, -1, v6
	s_delay_alu instid0(VALU_DEP_2) | instskip(NEXT) | instid1(VALU_DEP_1)
	v_add_nc_u32_e32 v5, 32, v5
	v_min_u32_e32 v5, v6, v5
	s_delay_alu instid0(VALU_DEP_1) | instskip(NEXT) | instid1(VALU_DEP_1)
	v_lshlrev_b64 v[3:4], v5, v[3:4]
	v_min_u32_e32 v3, 1, v3
	s_delay_alu instid0(VALU_DEP_1) | instskip(SKIP_1) | instid1(VALU_DEP_2)
	v_or_b32_e32 v3, v4, v3
	v_sub_nc_u32_e32 v4, 32, v5
	v_cvt_f32_i32_e32 v3, v3
	s_delay_alu instid0(VALU_DEP_1) | instskip(NEXT) | instid1(VALU_DEP_1)
	v_ldexp_f32 v3, v3, v4
	v_bfe_u32 v4, v3, 16, 1
	s_delay_alu instid0(VALU_DEP_1) | instskip(NEXT) | instid1(VALU_DEP_1)
	v_add3_u32 v3, v3, v4, 0x7fff
	v_lshrrev_b32_e32 v3, 16, v3
	s_branch .LBB488_632
.LBB488_629:
	s_mov_b32 s0, -1
                                        ; implicit-def: $vgpr3
	s_branch .LBB488_638
.LBB488_630:
	s_mov_b32 s0, -1
                                        ; implicit-def: $vgpr3
	s_branch .LBB488_635
.LBB488_631:
	s_mov_b32 s0, -1
                                        ; implicit-def: $vgpr3
.LBB488_632:
	s_delay_alu instid0(SALU_CYCLE_1)
	s_and_not1_b32 vcc_lo, exec_lo, s0
	s_cbranch_vccnz .LBB488_634
; %bb.633:
	global_load_b32 v3, v[0:1], off
	s_waitcnt vmcnt(0)
	v_cvt_f32_i32_e32 v3, v3
	s_delay_alu instid0(VALU_DEP_1) | instskip(NEXT) | instid1(VALU_DEP_1)
	v_bfe_u32 v4, v3, 16, 1
	v_add3_u32 v3, v3, v4, 0x7fff
	s_delay_alu instid0(VALU_DEP_1)
	v_lshrrev_b32_e32 v3, 16, v3
.LBB488_634:
	s_mov_b32 s0, 0
.LBB488_635:
	s_delay_alu instid0(SALU_CYCLE_1)
	s_and_not1_b32 vcc_lo, exec_lo, s0
	s_cbranch_vccnz .LBB488_637
; %bb.636:
	global_load_i16 v3, v[0:1], off
	s_waitcnt vmcnt(0)
	v_cvt_f32_i32_e32 v3, v3
	s_delay_alu instid0(VALU_DEP_1) | instskip(NEXT) | instid1(VALU_DEP_1)
	v_bfe_u32 v4, v3, 16, 1
	v_add3_u32 v3, v3, v4, 0x7fff
	s_delay_alu instid0(VALU_DEP_1)
	v_lshrrev_b32_e32 v3, 16, v3
.LBB488_637:
	s_mov_b32 s0, 0
.LBB488_638:
	s_delay_alu instid0(SALU_CYCLE_1)
	s_and_not1_b32 vcc_lo, exec_lo, s0
	s_cbranch_vccnz .LBB488_644
; %bb.639:
	v_cmp_gt_i16_e64 s0, s10, 0
	s_delay_alu instid0(VALU_DEP_1)
	s_and_b32 vcc_lo, exec_lo, s0
	s_mov_b32 s0, 0
	s_cbranch_vccz .LBB488_641
; %bb.640:
	global_load_i8 v3, v[0:1], off
	s_waitcnt vmcnt(0)
	v_cvt_f32_i32_e32 v3, v3
	s_delay_alu instid0(VALU_DEP_1) | instskip(NEXT) | instid1(VALU_DEP_1)
	v_bfe_u32 v4, v3, 16, 1
	v_add3_u32 v3, v3, v4, 0x7fff
	s_delay_alu instid0(VALU_DEP_1)
	v_lshrrev_b32_e32 v3, 16, v3
	s_branch .LBB488_642
.LBB488_641:
	s_mov_b32 s0, -1
                                        ; implicit-def: $vgpr3
.LBB488_642:
	s_delay_alu instid0(SALU_CYCLE_1)
	s_and_not1_b32 vcc_lo, exec_lo, s0
	s_cbranch_vccnz .LBB488_644
; %bb.643:
	global_load_u8 v0, v[0:1], off
	s_waitcnt vmcnt(0)
	v_cvt_f32_ubyte0_e32 v0, v0
	s_delay_alu instid0(VALU_DEP_1) | instskip(NEXT) | instid1(VALU_DEP_1)
	v_bfe_u32 v1, v0, 16, 1
	v_add3_u32 v0, v0, v1, 0x7fff
	s_delay_alu instid0(VALU_DEP_1)
	v_lshrrev_b32_e32 v3, 16, v0
.LBB488_644:
	s_mov_b32 s0, -1
.LBB488_645:
	s_delay_alu instid0(SALU_CYCLE_1)
	s_and_not1_b32 vcc_lo, exec_lo, s0
	s_cbranch_vccnz .LBB488_653
; %bb.646:
	s_waitcnt vmcnt(0)
	v_lshlrev_b32_e32 v0, 16, v3
	v_mul_lo_u32 v1, v2, s2
	v_and_b32_e64 v4, 0xff, s9
	s_delay_alu instid0(VALU_DEP_3) | instskip(SKIP_1) | instid1(VALU_DEP_3)
	v_cmp_u_f32_e32 vcc_lo, v0, v0
	v_cmp_gt_f32_e64 s0, s13, v0
	v_cmp_gt_i16_e64 s1, 11, v4
	v_ashrrev_i32_e32 v5, 31, v1
	s_delay_alu instid0(VALU_DEP_3) | instskip(SKIP_2) | instid1(VALU_DEP_3)
	s_or_b32 vcc_lo, vcc_lo, s0
	v_cndmask_b32_e32 v3, s8, v3, vcc_lo
	v_add_co_u32 v0, vcc_lo, s4, v1
	v_add_co_ci_u32_e32 v1, vcc_lo, s5, v5, vcc_lo
	s_and_b32 vcc_lo, exec_lo, s1
	s_cbranch_vccnz .LBB488_654
; %bb.647:
	v_cmp_lt_i16_e32 vcc_lo, 25, v4
	s_cbranch_vccz .LBB488_655
; %bb.648:
	v_cmp_lt_i16_e32 vcc_lo, 28, v4
	s_cbranch_vccz .LBB488_656
	;; [unrolled: 3-line block ×4, first 2 shown]
; %bb.651:
	v_cmp_eq_u16_e32 vcc_lo, 46, v4
	s_mov_b32 s23, 0
	s_mov_b32 s0, -1
	s_mov_b32 s1, 0
	s_cbranch_vccz .LBB488_659
; %bb.652:
	v_and_b32_e32 v5, 0xffff, v3
	s_mov_b32 s1, -1
	s_mov_b32 s0, 0
	global_store_b32 v[0:1], v5, off
	s_branch .LBB488_659
.LBB488_653:
	s_mov_b32 s23, 0
	s_mov_b32 s0, s19
	s_branch .LBB488_770
.LBB488_654:
	s_mov_b32 s23, -1
	s_mov_b32 s1, 0
	s_mov_b32 s0, s19
	s_branch .LBB488_728
.LBB488_655:
	s_mov_b32 s23, -1
	s_mov_b32 s1, 0
	s_mov_b32 s0, s19
	s_branch .LBB488_686
.LBB488_656:
	s_mov_b32 s23, -1
	s_mov_b32 s1, 0
	s_mov_b32 s0, s19
	s_branch .LBB488_669
.LBB488_657:
	s_mov_b32 s23, -1
	s_mov_b32 s1, 0
	s_mov_b32 s0, s19
	s_branch .LBB488_665
.LBB488_658:
	s_mov_b32 s23, -1
	s_mov_b32 s1, 0
	s_mov_b32 s0, s19
.LBB488_659:
	s_and_b32 vcc_lo, exec_lo, s23
	s_cbranch_vccz .LBB488_664
; %bb.660:
	v_cmp_eq_u16_e32 vcc_lo, 44, v4
	s_mov_b32 s0, -1
	s_cbranch_vccz .LBB488_664
; %bb.661:
	v_and_b32_e32 v5, 0xffff, v3
	v_mov_b32_e32 v6, 0xff
	s_mov_b32 s1, exec_lo
	s_delay_alu instid0(VALU_DEP_2) | instskip(NEXT) | instid1(VALU_DEP_1)
	v_bfe_u32 v7, v5, 7, 8
	v_cmpx_ne_u32_e32 0xff, v7
; %bb.662:
	v_lshlrev_b32_e32 v6, 16, v5
	v_and_b32_e32 v8, 64, v5
	v_lshrrev_b32_e32 v5, 7, v5
	s_delay_alu instid0(VALU_DEP_3) | instskip(NEXT) | instid1(VALU_DEP_3)
	v_and_or_b32 v6, 0x3f0000, v6, v7
	v_cmp_ne_u32_e32 vcc_lo, 0, v8
	s_delay_alu instid0(VALU_DEP_2) | instskip(NEXT) | instid1(VALU_DEP_1)
	v_cmp_ne_u32_e64 s0, 0, v6
	s_and_b32 s0, vcc_lo, s0
	s_delay_alu instid0(SALU_CYCLE_1) | instskip(NEXT) | instid1(VALU_DEP_1)
	v_cndmask_b32_e64 v6, 0, 1, s0
	v_add_nc_u32_e32 v6, v5, v6
; %bb.663:
	s_or_b32 exec_lo, exec_lo, s1
	s_mov_b32 s1, -1
	s_mov_b32 s0, 0
	global_store_b8 v[0:1], v6, off
.LBB488_664:
	s_mov_b32 s23, 0
.LBB488_665:
	s_delay_alu instid0(SALU_CYCLE_1)
	s_and_b32 vcc_lo, exec_lo, s23
	s_cbranch_vccz .LBB488_668
; %bb.666:
	v_cmp_eq_u16_e32 vcc_lo, 29, v4
	s_mov_b32 s0, -1
	s_cbranch_vccz .LBB488_668
; %bb.667:
	v_lshlrev_b32_e32 v5, 16, v3
	s_mov_b32 s1, -1
	s_mov_b32 s0, 0
	s_mov_b32 s23, 0
	s_delay_alu instid0(VALU_DEP_1) | instskip(NEXT) | instid1(VALU_DEP_1)
	v_trunc_f32_e32 v5, v5
	v_mul_f32_e32 v6, 0x2f800000, v5
	s_delay_alu instid0(VALU_DEP_1) | instskip(NEXT) | instid1(VALU_DEP_1)
	v_floor_f32_e32 v6, v6
	v_fmamk_f32 v5, v6, 0xcf800000, v5
	v_cvt_u32_f32_e32 v6, v6
	s_delay_alu instid0(VALU_DEP_2)
	v_cvt_u32_f32_e32 v5, v5
	global_store_b64 v[0:1], v[5:6], off
	s_branch .LBB488_669
.LBB488_668:
	s_mov_b32 s23, 0
.LBB488_669:
	s_delay_alu instid0(SALU_CYCLE_1)
	s_and_b32 vcc_lo, exec_lo, s23
	s_cbranch_vccz .LBB488_685
; %bb.670:
	v_cmp_gt_i16_e32 vcc_lo, 27, v4
	s_mov_b32 s1, -1
	s_cbranch_vccnz .LBB488_676
; %bb.671:
	v_cmp_lt_i16_e32 vcc_lo, 27, v4
	s_cbranch_vccz .LBB488_673
; %bb.672:
	v_lshlrev_b32_e32 v5, 16, v3
	s_mov_b32 s1, 0
	s_delay_alu instid0(VALU_DEP_1)
	v_cvt_u32_f32_e32 v5, v5
	global_store_b32 v[0:1], v5, off
.LBB488_673:
	s_and_not1_b32 vcc_lo, exec_lo, s1
	s_cbranch_vccnz .LBB488_675
; %bb.674:
	v_lshlrev_b32_e32 v5, 16, v3
	s_delay_alu instid0(VALU_DEP_1)
	v_cvt_u32_f32_e32 v5, v5
	global_store_b16 v[0:1], v5, off
.LBB488_675:
	s_mov_b32 s1, 0
.LBB488_676:
	s_delay_alu instid0(SALU_CYCLE_1)
	s_and_not1_b32 vcc_lo, exec_lo, s1
	s_cbranch_vccnz .LBB488_684
; %bb.677:
	v_dual_mov_b32 v8, 0x80 :: v_dual_lshlrev_b32 v7, 16, v3
	s_mov_b32 s1, exec_lo
	s_delay_alu instid0(VALU_DEP_1) | instskip(NEXT) | instid1(VALU_DEP_1)
	v_and_b32_e32 v6, 0x7fffffff, v7
	v_cmpx_gt_u32_e32 0x43800000, v6
	s_cbranch_execz .LBB488_683
; %bb.678:
	v_and_b32_e32 v5, 0xffff, v3
	v_cmp_lt_u32_e32 vcc_lo, 0x3bffffff, v6
	s_mov_b32 s23, 0
                                        ; implicit-def: $vgpr6
	s_and_saveexec_b32 s24, vcc_lo
	s_delay_alu instid0(SALU_CYCLE_1)
	s_xor_b32 s24, exec_lo, s24
	s_cbranch_execz .LBB488_785
; %bb.679:
	v_bfe_u32 v6, v5, 4, 1
	s_mov_b32 s23, exec_lo
	s_delay_alu instid0(VALU_DEP_1) | instskip(NEXT) | instid1(VALU_DEP_1)
	v_add3_u32 v6, v7, v6, 0x487ffff
                                        ; implicit-def: $vgpr7
	v_lshrrev_b32_e32 v6, 20, v6
	s_or_saveexec_b32 s24, s24
                                        ; implicit-def: $sgpr25
	s_delay_alu instid0(SALU_CYCLE_1)
	s_xor_b32 exec_lo, exec_lo, s24
	s_cbranch_execnz .LBB488_786
.LBB488_680:
	s_or_b32 exec_lo, exec_lo, s24
	v_mov_b32_e32 v8, s25
	s_and_saveexec_b32 s24, s23
.LBB488_681:
	v_lshrrev_b32_e32 v5, 8, v5
	s_delay_alu instid0(VALU_DEP_1)
	v_and_or_b32 v8, 0x80, v5, v6
.LBB488_682:
	s_or_b32 exec_lo, exec_lo, s24
.LBB488_683:
	s_delay_alu instid0(SALU_CYCLE_1)
	s_or_b32 exec_lo, exec_lo, s1
	global_store_b8 v[0:1], v8, off
.LBB488_684:
	s_mov_b32 s1, -1
.LBB488_685:
	s_mov_b32 s23, 0
.LBB488_686:
	s_delay_alu instid0(SALU_CYCLE_1)
	s_and_b32 vcc_lo, exec_lo, s23
	s_cbranch_vccz .LBB488_727
; %bb.687:
	v_cmp_lt_i16_e32 vcc_lo, 22, v4
	s_mov_b32 s23, -1
	s_cbranch_vccz .LBB488_719
; %bb.688:
	v_cmp_gt_i16_e32 vcc_lo, 24, v4
	s_mov_b32 s1, -1
	s_cbranch_vccnz .LBB488_708
; %bb.689:
	v_cmp_lt_i16_e32 vcc_lo, 24, v4
	s_cbranch_vccz .LBB488_697
; %bb.690:
	v_dual_mov_b32 v8, 0x80 :: v_dual_lshlrev_b32 v7, 16, v3
	s_mov_b32 s1, exec_lo
	s_delay_alu instid0(VALU_DEP_1) | instskip(NEXT) | instid1(VALU_DEP_1)
	v_and_b32_e32 v6, 0x7fffffff, v7
	v_cmpx_gt_u32_e32 0x47800000, v6
	s_cbranch_execz .LBB488_696
; %bb.691:
	v_and_b32_e32 v5, 0xffff, v3
	v_cmp_lt_u32_e32 vcc_lo, 0x37ffffff, v6
	s_mov_b32 s23, 0
                                        ; implicit-def: $vgpr6
	s_and_saveexec_b32 s24, vcc_lo
	s_delay_alu instid0(SALU_CYCLE_1)
	s_xor_b32 s24, exec_lo, s24
	s_cbranch_execz .LBB488_788
; %bb.692:
	v_bfe_u32 v6, v5, 5, 1
	s_mov_b32 s23, exec_lo
	s_delay_alu instid0(VALU_DEP_1) | instskip(NEXT) | instid1(VALU_DEP_1)
	v_add3_u32 v6, v7, v6, 0x88fffff
                                        ; implicit-def: $vgpr7
	v_lshrrev_b32_e32 v6, 21, v6
	s_or_saveexec_b32 s24, s24
                                        ; implicit-def: $sgpr25
	s_delay_alu instid0(SALU_CYCLE_1)
	s_xor_b32 exec_lo, exec_lo, s24
	s_cbranch_execnz .LBB488_789
.LBB488_693:
	s_or_b32 exec_lo, exec_lo, s24
	v_mov_b32_e32 v8, s25
	s_and_saveexec_b32 s24, s23
.LBB488_694:
	v_lshrrev_b32_e32 v5, 8, v5
	s_delay_alu instid0(VALU_DEP_1)
	v_and_or_b32 v8, 0x80, v5, v6
.LBB488_695:
	s_or_b32 exec_lo, exec_lo, s24
.LBB488_696:
	s_delay_alu instid0(SALU_CYCLE_1)
	s_or_b32 exec_lo, exec_lo, s1
	s_mov_b32 s1, 0
	global_store_b8 v[0:1], v8, off
.LBB488_697:
	s_and_b32 vcc_lo, exec_lo, s1
	s_cbranch_vccz .LBB488_707
; %bb.698:
	v_lshlrev_b32_e32 v7, 16, v3
	v_and_b32_e32 v5, 0xffff, v3
	s_mov_b32 s1, exec_lo
                                        ; implicit-def: $vgpr6
	s_delay_alu instid0(VALU_DEP_2) | instskip(NEXT) | instid1(VALU_DEP_1)
	v_and_b32_e32 v8, 0x7fffffff, v7
	v_cmpx_gt_u32_e32 0x43f00000, v8
	s_xor_b32 s1, exec_lo, s1
	s_cbranch_execz .LBB488_704
; %bb.699:
	s_mov_b32 s23, exec_lo
                                        ; implicit-def: $vgpr6
	v_cmpx_lt_u32_e32 0x3c7fffff, v8
	s_xor_b32 s23, exec_lo, s23
; %bb.700:
	v_bfe_u32 v6, v5, 4, 1
	s_delay_alu instid0(VALU_DEP_1) | instskip(NEXT) | instid1(VALU_DEP_1)
	v_add3_u32 v6, v7, v6, 0x407ffff
	v_and_b32_e32 v7, 0xff00000, v6
	v_lshrrev_b32_e32 v6, 20, v6
	s_delay_alu instid0(VALU_DEP_2) | instskip(NEXT) | instid1(VALU_DEP_2)
	v_cmp_ne_u32_e32 vcc_lo, 0x7f00000, v7
                                        ; implicit-def: $vgpr7
	v_cndmask_b32_e32 v6, 0x7e, v6, vcc_lo
; %bb.701:
	s_and_not1_saveexec_b32 s23, s23
; %bb.702:
	v_add_f32_e64 v6, 0x46800000, |v7|
; %bb.703:
	s_or_b32 exec_lo, exec_lo, s23
                                        ; implicit-def: $vgpr8
.LBB488_704:
	s_and_not1_saveexec_b32 s1, s1
; %bb.705:
	v_mov_b32_e32 v6, 0x7f
	v_cmp_lt_u32_e32 vcc_lo, 0x7f800000, v8
	s_delay_alu instid0(VALU_DEP_2)
	v_cndmask_b32_e32 v6, 0x7e, v6, vcc_lo
; %bb.706:
	s_or_b32 exec_lo, exec_lo, s1
	v_lshrrev_b32_e32 v5, 8, v5
	s_delay_alu instid0(VALU_DEP_1)
	v_and_or_b32 v5, 0x80, v5, v6
	global_store_b8 v[0:1], v5, off
.LBB488_707:
	s_mov_b32 s1, 0
.LBB488_708:
	s_delay_alu instid0(SALU_CYCLE_1)
	s_and_not1_b32 vcc_lo, exec_lo, s1
	s_cbranch_vccnz .LBB488_718
; %bb.709:
	v_lshlrev_b32_e32 v7, 16, v3
	v_and_b32_e32 v5, 0xffff, v3
	s_mov_b32 s1, exec_lo
                                        ; implicit-def: $vgpr6
	s_delay_alu instid0(VALU_DEP_2) | instskip(NEXT) | instid1(VALU_DEP_1)
	v_and_b32_e32 v8, 0x7fffffff, v7
	v_cmpx_gt_u32_e32 0x47800000, v8
	s_xor_b32 s1, exec_lo, s1
	s_cbranch_execz .LBB488_715
; %bb.710:
	s_mov_b32 s23, exec_lo
                                        ; implicit-def: $vgpr6
	v_cmpx_lt_u32_e32 0x387fffff, v8
	s_xor_b32 s23, exec_lo, s23
; %bb.711:
	v_bfe_u32 v6, v5, 5, 1
	s_delay_alu instid0(VALU_DEP_1) | instskip(NEXT) | instid1(VALU_DEP_1)
	v_add3_u32 v6, v7, v6, 0x80fffff
                                        ; implicit-def: $vgpr7
	v_lshrrev_b32_e32 v6, 21, v6
; %bb.712:
	s_and_not1_saveexec_b32 s23, s23
; %bb.713:
	v_add_f32_e64 v6, 0x43000000, |v7|
; %bb.714:
	s_or_b32 exec_lo, exec_lo, s23
                                        ; implicit-def: $vgpr8
.LBB488_715:
	s_and_not1_saveexec_b32 s1, s1
; %bb.716:
	v_mov_b32_e32 v6, 0x7f
	v_cmp_lt_u32_e32 vcc_lo, 0x7f800000, v8
	s_delay_alu instid0(VALU_DEP_2)
	v_cndmask_b32_e32 v6, 0x7c, v6, vcc_lo
; %bb.717:
	s_or_b32 exec_lo, exec_lo, s1
	v_lshrrev_b32_e32 v5, 8, v5
	s_delay_alu instid0(VALU_DEP_1)
	v_and_or_b32 v5, 0x80, v5, v6
	global_store_b8 v[0:1], v5, off
.LBB488_718:
	s_mov_b32 s23, 0
	s_mov_b32 s1, -1
.LBB488_719:
	s_and_not1_b32 vcc_lo, exec_lo, s23
	s_cbranch_vccnz .LBB488_727
; %bb.720:
	v_cmp_lt_i16_e32 vcc_lo, 14, v4
	s_mov_b32 s23, -1
	s_cbranch_vccz .LBB488_724
; %bb.721:
	v_cmp_eq_u16_e32 vcc_lo, 15, v4
	s_mov_b32 s0, -1
	s_cbranch_vccz .LBB488_723
; %bb.722:
	s_mov_b32 s1, -1
	s_mov_b32 s0, 0
	global_store_b16 v[0:1], v3, off
.LBB488_723:
	s_mov_b32 s23, 0
.LBB488_724:
	s_delay_alu instid0(SALU_CYCLE_1)
	s_and_b32 vcc_lo, exec_lo, s23
	s_cbranch_vccz .LBB488_727
; %bb.725:
	v_cmp_eq_u16_e32 vcc_lo, 11, v4
	s_mov_b32 s0, -1
	s_cbranch_vccz .LBB488_727
; %bb.726:
	v_and_b32_e32 v5, 0x7fff, v3
	s_mov_b32 s0, 0
	s_mov_b32 s1, -1
	s_delay_alu instid0(VALU_DEP_1)
	v_cmp_ne_u16_e32 vcc_lo, 0, v5
	v_cndmask_b32_e64 v5, 0, 1, vcc_lo
	global_store_b8 v[0:1], v5, off
.LBB488_727:
	s_mov_b32 s23, 0
.LBB488_728:
	s_delay_alu instid0(SALU_CYCLE_1)
	s_and_b32 vcc_lo, exec_lo, s23
	s_cbranch_vccz .LBB488_767
; %bb.729:
	v_cmp_gt_i16_e32 vcc_lo, 5, v4
	s_mov_b32 s1, -1
	s_cbranch_vccnz .LBB488_750
; %bb.730:
	v_cmp_gt_i16_e32 vcc_lo, 8, v4
	s_cbranch_vccnz .LBB488_740
; %bb.731:
	v_cmp_gt_i16_e32 vcc_lo, 9, v4
	s_cbranch_vccnz .LBB488_737
; %bb.732:
	v_cmp_lt_i16_e32 vcc_lo, 9, v4
	s_cbranch_vccz .LBB488_734
; %bb.733:
	v_mov_b32_e32 v7, 0
	v_lshlrev_b32_e32 v5, 16, v3
	s_mov_b32 s1, 0
	s_delay_alu instid0(VALU_DEP_2) | instskip(NEXT) | instid1(VALU_DEP_2)
	v_mov_b32_e32 v8, v7
	v_cvt_f64_f32_e32 v[5:6], v5
	global_store_b128 v[0:1], v[5:8], off
.LBB488_734:
	s_and_not1_b32 vcc_lo, exec_lo, s1
	s_cbranch_vccnz .LBB488_736
; %bb.735:
	v_dual_mov_b32 v6, 0 :: v_dual_lshlrev_b32 v5, 16, v3
	global_store_b64 v[0:1], v[5:6], off
.LBB488_736:
	s_mov_b32 s1, 0
.LBB488_737:
	s_delay_alu instid0(SALU_CYCLE_1)
	s_and_not1_b32 vcc_lo, exec_lo, s1
	s_cbranch_vccnz .LBB488_739
; %bb.738:
	v_lshlrev_b32_e32 v5, 16, v3
	s_delay_alu instid0(VALU_DEP_1) | instskip(NEXT) | instid1(VALU_DEP_1)
	v_cvt_f16_f32_e32 v5, v5
	v_and_b32_e32 v5, 0xffff, v5
	global_store_b32 v[0:1], v5, off
.LBB488_739:
	s_mov_b32 s1, 0
.LBB488_740:
	s_delay_alu instid0(SALU_CYCLE_1)
	s_and_not1_b32 vcc_lo, exec_lo, s1
	s_cbranch_vccnz .LBB488_749
; %bb.741:
	v_cmp_gt_i16_e32 vcc_lo, 6, v4
	s_mov_b32 s1, -1
	s_cbranch_vccnz .LBB488_747
; %bb.742:
	v_cmp_lt_i16_e32 vcc_lo, 6, v4
	s_cbranch_vccz .LBB488_744
; %bb.743:
	v_lshlrev_b32_e32 v5, 16, v3
	s_mov_b32 s1, 0
	s_delay_alu instid0(VALU_DEP_1)
	v_cvt_f64_f32_e32 v[5:6], v5
	global_store_b64 v[0:1], v[5:6], off
.LBB488_744:
	s_and_not1_b32 vcc_lo, exec_lo, s1
	s_cbranch_vccnz .LBB488_746
; %bb.745:
	v_lshlrev_b32_e32 v5, 16, v3
	global_store_b32 v[0:1], v5, off
.LBB488_746:
	s_mov_b32 s1, 0
.LBB488_747:
	s_delay_alu instid0(SALU_CYCLE_1)
	s_and_not1_b32 vcc_lo, exec_lo, s1
	s_cbranch_vccnz .LBB488_749
; %bb.748:
	v_lshlrev_b32_e32 v5, 16, v3
	s_delay_alu instid0(VALU_DEP_1)
	v_cvt_f16_f32_e32 v5, v5
	global_store_b16 v[0:1], v5, off
.LBB488_749:
	s_mov_b32 s1, 0
.LBB488_750:
	s_delay_alu instid0(SALU_CYCLE_1)
	s_and_not1_b32 vcc_lo, exec_lo, s1
	s_cbranch_vccnz .LBB488_766
; %bb.751:
	v_cmp_gt_i16_e32 vcc_lo, 2, v4
	s_mov_b32 s1, -1
	s_cbranch_vccnz .LBB488_761
; %bb.752:
	v_cmp_gt_i16_e32 vcc_lo, 3, v4
	s_cbranch_vccnz .LBB488_758
; %bb.753:
	v_cmp_lt_i16_e32 vcc_lo, 3, v4
	s_cbranch_vccz .LBB488_755
; %bb.754:
	v_lshlrev_b32_e32 v5, 16, v3
	s_mov_b32 s1, 0
	s_delay_alu instid0(VALU_DEP_1) | instskip(NEXT) | instid1(VALU_DEP_1)
	v_trunc_f32_e32 v5, v5
	v_mul_f32_e64 v6, 0x2f800000, |v5|
	v_ashrrev_i32_e32 v8, 31, v5
	s_delay_alu instid0(VALU_DEP_2) | instskip(NEXT) | instid1(VALU_DEP_1)
	v_floor_f32_e32 v6, v6
	v_fma_f32 v7, 0xcf800000, v6, |v5|
	v_cvt_u32_f32_e32 v6, v6
	s_delay_alu instid0(VALU_DEP_2) | instskip(NEXT) | instid1(VALU_DEP_2)
	v_cvt_u32_f32_e32 v5, v7
	v_xor_b32_e32 v6, v6, v8
	s_delay_alu instid0(VALU_DEP_2) | instskip(NEXT) | instid1(VALU_DEP_1)
	v_xor_b32_e32 v5, v5, v8
	v_sub_co_u32 v5, vcc_lo, v5, v8
	s_delay_alu instid0(VALU_DEP_3)
	v_sub_co_ci_u32_e32 v6, vcc_lo, v6, v8, vcc_lo
	global_store_b64 v[0:1], v[5:6], off
.LBB488_755:
	s_and_not1_b32 vcc_lo, exec_lo, s1
	s_cbranch_vccnz .LBB488_757
; %bb.756:
	v_lshlrev_b32_e32 v5, 16, v3
	s_delay_alu instid0(VALU_DEP_1)
	v_cvt_i32_f32_e32 v5, v5
	global_store_b32 v[0:1], v5, off
.LBB488_757:
	s_mov_b32 s1, 0
.LBB488_758:
	s_delay_alu instid0(SALU_CYCLE_1)
	s_and_not1_b32 vcc_lo, exec_lo, s1
	s_cbranch_vccnz .LBB488_760
; %bb.759:
	v_lshlrev_b32_e32 v5, 16, v3
	s_delay_alu instid0(VALU_DEP_1)
	v_cvt_i32_f32_e32 v5, v5
	global_store_b16 v[0:1], v5, off
.LBB488_760:
	s_mov_b32 s1, 0
.LBB488_761:
	s_delay_alu instid0(SALU_CYCLE_1)
	s_and_not1_b32 vcc_lo, exec_lo, s1
	s_cbranch_vccnz .LBB488_766
; %bb.762:
	v_cmp_lt_i16_e32 vcc_lo, 0, v4
	s_mov_b32 s1, -1
	s_cbranch_vccz .LBB488_764
; %bb.763:
	v_lshlrev_b32_e32 v4, 16, v3
	s_mov_b32 s1, 0
	s_delay_alu instid0(VALU_DEP_1)
	v_cvt_i32_f32_e32 v4, v4
	global_store_b8 v[0:1], v4, off
.LBB488_764:
	s_and_not1_b32 vcc_lo, exec_lo, s1
	s_cbranch_vccnz .LBB488_766
; %bb.765:
	v_lshlrev_b32_e32 v3, 16, v3
	s_delay_alu instid0(VALU_DEP_1) | instskip(NEXT) | instid1(VALU_DEP_1)
	v_trunc_f32_e32 v3, v3
	v_mul_f32_e64 v4, 0x2f800000, |v3|
	s_delay_alu instid0(VALU_DEP_1) | instskip(NEXT) | instid1(VALU_DEP_1)
	v_floor_f32_e32 v4, v4
	v_fma_f32 v4, 0xcf800000, v4, |v3|
	v_ashrrev_i32_e32 v3, 31, v3
	s_delay_alu instid0(VALU_DEP_2) | instskip(NEXT) | instid1(VALU_DEP_1)
	v_cvt_u32_f32_e32 v4, v4
	v_xor_b32_e32 v4, v4, v3
	s_delay_alu instid0(VALU_DEP_1)
	v_sub_nc_u32_e32 v3, v4, v3
	global_store_b8 v[0:1], v3, off
.LBB488_766:
	s_mov_b32 s1, -1
.LBB488_767:
	s_delay_alu instid0(SALU_CYCLE_1)
	s_and_not1_b32 vcc_lo, exec_lo, s1
	s_cbranch_vccnz .LBB488_769
; %bb.768:
	v_add_nc_u32_e32 v2, 0x80, v2
	s_mov_b32 s23, -1
	s_branch .LBB488_771
.LBB488_769:
	s_mov_b32 s23, 0
.LBB488_770:
                                        ; implicit-def: $vgpr2
.LBB488_771:
	s_and_not1_b32 s1, s19, exec_lo
	s_and_b32 s0, s0, exec_lo
	s_and_not1_b32 s24, s18, exec_lo
	s_and_b32 s22, s22, exec_lo
	s_or_b32 s1, s1, s0
	s_or_b32 s0, s24, s22
	s_or_not1_b32 s22, s23, exec_lo
.LBB488_772:
	s_or_b32 exec_lo, exec_lo, s21
	s_mov_b32 s23, 0
	s_mov_b32 s24, 0
	;; [unrolled: 1-line block ×3, first 2 shown]
                                        ; implicit-def: $vgpr0_vgpr1
                                        ; implicit-def: $vgpr5
	s_and_saveexec_b32 s21, s22
	s_cbranch_execz .LBB488_857
; %bb.773:
	v_cmp_gt_i32_e32 vcc_lo, s14, v2
	s_mov_b32 s22, 0
	s_mov_b32 s23, s0
                                        ; implicit-def: $vgpr0_vgpr1
                                        ; implicit-def: $vgpr5
	s_and_saveexec_b32 s14, vcc_lo
	s_cbranch_execz .LBB488_856
; %bb.774:
	v_mul_lo_u32 v0, v2, s3
	v_cmp_lt_i16_e64 s22, s10, 11
	s_delay_alu instid0(VALU_DEP_2) | instskip(SKIP_1) | instid1(VALU_DEP_2)
	v_ashrrev_i32_e32 v1, 31, v0
	v_add_co_u32 v0, vcc_lo, s6, v0
	v_add_co_ci_u32_e32 v1, vcc_lo, s7, v1, vcc_lo
	s_delay_alu instid0(VALU_DEP_4)
	s_and_b32 vcc_lo, exec_lo, s22
	s_cbranch_vccnz .LBB488_781
; %bb.775:
	v_cmp_gt_i16_e64 s22, s10, 25
	s_mov_b32 s23, 0
	s_delay_alu instid0(VALU_DEP_1)
	s_and_b32 vcc_lo, exec_lo, s22
	s_cbranch_vccz .LBB488_782
; %bb.776:
	v_cmp_gt_i16_e64 s22, s10, 28
	s_delay_alu instid0(VALU_DEP_1)
	s_and_b32 vcc_lo, exec_lo, s22
	s_cbranch_vccz .LBB488_783
; %bb.777:
	v_cmp_gt_i16_e64 s22, s10, 43
	;; [unrolled: 5-line block ×3, first 2 shown]
	s_delay_alu instid0(VALU_DEP_1)
	s_and_b32 vcc_lo, exec_lo, s22
	s_cbranch_vccz .LBB488_787
; %bb.779:
	v_cmp_eq_u16_e64 s22, s10, 46
	s_delay_alu instid0(VALU_DEP_1)
	s_and_b32 vcc_lo, exec_lo, s22
	s_cbranch_vccz .LBB488_790
; %bb.780:
	global_load_b32 v5, v[0:1], off
	s_mov_b32 s22, 0
	s_mov_b32 s24, -1
	s_branch .LBB488_792
.LBB488_781:
	s_mov_b32 s26, -1
	s_mov_b32 s23, 0
	s_mov_b32 s22, s0
                                        ; implicit-def: $vgpr5
	s_branch .LBB488_855
.LBB488_782:
	s_mov_b32 s25, -1
	s_mov_b32 s22, s0
                                        ; implicit-def: $vgpr5
	s_branch .LBB488_821
.LBB488_783:
	s_mov_b32 s25, -1
	s_mov_b32 s22, s0
                                        ; implicit-def: $vgpr5
	s_branch .LBB488_802
.LBB488_784:
	s_mov_b32 s25, -1
	s_mov_b32 s22, s0
                                        ; implicit-def: $vgpr5
	s_branch .LBB488_797
.LBB488_785:
	s_or_saveexec_b32 s24, s24
                                        ; implicit-def: $sgpr25
	s_delay_alu instid0(SALU_CYCLE_1)
	s_xor_b32 exec_lo, exec_lo, s24
	s_cbranch_execz .LBB488_680
.LBB488_786:
	v_add_f32_e64 v6, 0x46000000, |v7|
	s_and_not1_b32 s23, s23, exec_lo
	s_mov_b32 s25, 0
	s_delay_alu instid0(VALU_DEP_1) | instskip(NEXT) | instid1(VALU_DEP_1)
	v_and_b32_e32 v6, 0xff, v6
	v_cmp_ne_u32_e32 vcc_lo, 0, v6
	s_and_b32 s26, vcc_lo, exec_lo
	s_delay_alu instid0(SALU_CYCLE_1)
	s_or_b32 s23, s23, s26
	s_or_b32 exec_lo, exec_lo, s24
	v_mov_b32_e32 v8, s25
	s_and_saveexec_b32 s24, s23
	s_cbranch_execnz .LBB488_681
	s_branch .LBB488_682
.LBB488_787:
	s_mov_b32 s25, -1
	s_mov_b32 s22, s0
	s_branch .LBB488_791
.LBB488_788:
	s_or_saveexec_b32 s24, s24
                                        ; implicit-def: $sgpr25
	s_delay_alu instid0(SALU_CYCLE_1)
	s_xor_b32 exec_lo, exec_lo, s24
	s_cbranch_execz .LBB488_693
.LBB488_789:
	v_add_f32_e64 v6, 0x42800000, |v7|
	s_and_not1_b32 s23, s23, exec_lo
	s_mov_b32 s25, 0
	s_delay_alu instid0(VALU_DEP_1) | instskip(NEXT) | instid1(VALU_DEP_1)
	v_and_b32_e32 v6, 0xff, v6
	v_cmp_ne_u32_e32 vcc_lo, 0, v6
	s_and_b32 s26, vcc_lo, exec_lo
	s_delay_alu instid0(SALU_CYCLE_1)
	s_or_b32 s23, s23, s26
	s_or_b32 exec_lo, exec_lo, s24
	v_mov_b32_e32 v8, s25
	s_and_saveexec_b32 s24, s23
	s_cbranch_execnz .LBB488_694
	s_branch .LBB488_695
.LBB488_790:
	s_mov_b32 s22, -1
.LBB488_791:
                                        ; implicit-def: $vgpr5
.LBB488_792:
	s_and_b32 vcc_lo, exec_lo, s25
	s_cbranch_vccz .LBB488_796
; %bb.793:
	v_cmp_eq_u16_e64 s22, s10, 44
	s_delay_alu instid0(VALU_DEP_1)
	s_and_b32 vcc_lo, exec_lo, s22
	s_cbranch_vccz .LBB488_795
; %bb.794:
	global_load_u8 v3, v[0:1], off
	s_mov_b32 s22, 0
	s_mov_b32 s24, -1
	s_waitcnt vmcnt(0)
	v_lshlrev_b32_e32 v4, 23, v3
	v_cmp_ne_u32_e32 vcc_lo, 0xff, v3
	s_delay_alu instid0(VALU_DEP_2) | instskip(SKIP_1) | instid1(VALU_DEP_2)
	v_cndmask_b32_e32 v4, 0x7f800001, v4, vcc_lo
	v_cmp_ne_u32_e32 vcc_lo, 0, v3
	v_cndmask_b32_e32 v3, 0x400000, v4, vcc_lo
	s_delay_alu instid0(VALU_DEP_1) | instskip(SKIP_1) | instid1(VALU_DEP_2)
	v_add_nc_u32_e32 v4, 0x7fff, v3
	v_cmp_o_f32_e32 vcc_lo, v3, v3
	v_lshrrev_b32_e32 v4, 16, v4
	s_delay_alu instid0(VALU_DEP_1)
	v_cndmask_b32_e32 v5, 0x7fc0, v4, vcc_lo
	s_branch .LBB488_796
.LBB488_795:
	s_mov_b32 s22, -1
                                        ; implicit-def: $vgpr5
.LBB488_796:
	s_mov_b32 s25, 0
.LBB488_797:
	s_delay_alu instid0(SALU_CYCLE_1)
	s_and_b32 vcc_lo, exec_lo, s25
	s_cbranch_vccz .LBB488_801
; %bb.798:
	v_cmp_eq_u16_e64 s22, s10, 29
	s_delay_alu instid0(VALU_DEP_1)
	s_and_b32 vcc_lo, exec_lo, s22
	s_cbranch_vccz .LBB488_800
; %bb.799:
	global_load_b64 v[3:4], v[0:1], off
	s_mov_b32 s22, 0
	s_mov_b32 s24, -1
	s_mov_b32 s25, 0
	s_waitcnt vmcnt(0)
	v_clz_i32_u32_e32 v5, v4
	s_delay_alu instid0(VALU_DEP_1) | instskip(NEXT) | instid1(VALU_DEP_1)
	v_min_u32_e32 v5, 32, v5
	v_lshlrev_b64 v[3:4], v5, v[3:4]
	s_delay_alu instid0(VALU_DEP_1) | instskip(NEXT) | instid1(VALU_DEP_1)
	v_min_u32_e32 v3, 1, v3
	v_or_b32_e32 v3, v4, v3
	v_sub_nc_u32_e32 v4, 32, v5
	s_delay_alu instid0(VALU_DEP_2) | instskip(NEXT) | instid1(VALU_DEP_1)
	v_cvt_f32_u32_e32 v3, v3
	v_ldexp_f32 v3, v3, v4
	s_delay_alu instid0(VALU_DEP_1) | instskip(NEXT) | instid1(VALU_DEP_1)
	v_bfe_u32 v4, v3, 16, 1
	v_add3_u32 v3, v3, v4, 0x7fff
	s_delay_alu instid0(VALU_DEP_1)
	v_lshrrev_b32_e32 v5, 16, v3
	s_branch .LBB488_802
.LBB488_800:
	s_mov_b32 s22, -1
                                        ; implicit-def: $vgpr5
.LBB488_801:
	s_mov_b32 s25, 0
.LBB488_802:
	s_delay_alu instid0(SALU_CYCLE_1)
	s_and_b32 vcc_lo, exec_lo, s25
	s_cbranch_vccz .LBB488_820
; %bb.803:
	v_cmp_lt_i16_e64 s24, s10, 27
	s_delay_alu instid0(VALU_DEP_1)
	s_and_b32 vcc_lo, exec_lo, s24
	s_cbranch_vccnz .LBB488_806
; %bb.804:
	v_cmp_gt_i16_e64 s24, s10, 27
	s_delay_alu instid0(VALU_DEP_1)
	s_and_b32 vcc_lo, exec_lo, s24
	s_cbranch_vccz .LBB488_807
; %bb.805:
	global_load_b32 v3, v[0:1], off
	s_mov_b32 s24, 0
	s_waitcnt vmcnt(0)
	v_cvt_f32_u32_e32 v3, v3
	s_delay_alu instid0(VALU_DEP_1) | instskip(NEXT) | instid1(VALU_DEP_1)
	v_bfe_u32 v4, v3, 16, 1
	v_add3_u32 v3, v3, v4, 0x7fff
	s_delay_alu instid0(VALU_DEP_1)
	v_lshrrev_b32_e32 v5, 16, v3
	s_branch .LBB488_808
.LBB488_806:
	s_mov_b32 s24, -1
                                        ; implicit-def: $vgpr5
	s_branch .LBB488_811
.LBB488_807:
	s_mov_b32 s24, -1
                                        ; implicit-def: $vgpr5
.LBB488_808:
	s_delay_alu instid0(SALU_CYCLE_1)
	s_and_not1_b32 vcc_lo, exec_lo, s24
	s_cbranch_vccnz .LBB488_810
; %bb.809:
	global_load_u16 v3, v[0:1], off
	s_waitcnt vmcnt(0)
	v_cvt_f32_u32_e32 v3, v3
	s_delay_alu instid0(VALU_DEP_1) | instskip(NEXT) | instid1(VALU_DEP_1)
	v_bfe_u32 v4, v3, 16, 1
	v_add3_u32 v3, v3, v4, 0x7fff
	s_delay_alu instid0(VALU_DEP_1)
	v_lshrrev_b32_e32 v5, 16, v3
.LBB488_810:
	s_mov_b32 s24, 0
.LBB488_811:
	s_delay_alu instid0(SALU_CYCLE_1)
	s_and_not1_b32 vcc_lo, exec_lo, s24
	s_cbranch_vccnz .LBB488_819
; %bb.812:
	global_load_u8 v3, v[0:1], off
	s_mov_b32 s24, 0
	s_mov_b32 s26, exec_lo
                                        ; implicit-def: $sgpr25
	s_waitcnt vmcnt(0)
	v_cmpx_lt_i16_e32 0x7f, v3
	s_xor_b32 s26, exec_lo, s26
	s_cbranch_execz .LBB488_833
; %bb.813:
	s_mov_b32 s24, -1
	s_mov_b32 s27, exec_lo
                                        ; implicit-def: $sgpr25
	v_cmpx_eq_u16_e32 0x80, v3
; %bb.814:
	s_mov_b32 s25, 0x7f800001
	s_xor_b32 s24, exec_lo, -1
; %bb.815:
	s_or_b32 exec_lo, exec_lo, s27
	s_delay_alu instid0(SALU_CYCLE_1)
	s_and_b32 s24, s24, exec_lo
	s_or_saveexec_b32 s26, s26
	v_mov_b32_e32 v4, s25
	s_xor_b32 exec_lo, exec_lo, s26
	s_cbranch_execnz .LBB488_834
.LBB488_816:
	s_or_b32 exec_lo, exec_lo, s26
	s_and_saveexec_b32 s25, s24
	s_cbranch_execz .LBB488_818
.LBB488_817:
	v_and_b32_e32 v4, 0xffff, v3
	v_lshlrev_b32_e32 v3, 24, v3
	s_delay_alu instid0(VALU_DEP_2) | instskip(NEXT) | instid1(VALU_DEP_2)
	v_and_b32_e32 v5, 7, v4
	v_and_b32_e32 v3, 0x80000000, v3
	s_delay_alu instid0(VALU_DEP_2) | instskip(NEXT) | instid1(VALU_DEP_1)
	v_clz_i32_u32_e32 v6, v5
	v_min_u32_e32 v6, 32, v6
	s_delay_alu instid0(VALU_DEP_1) | instskip(SKIP_1) | instid1(VALU_DEP_2)
	v_subrev_nc_u32_e32 v7, 28, v6
	v_sub_nc_u32_e32 v6, 29, v6
	v_lshlrev_b32_e32 v7, v7, v4
	v_bfe_u32 v4, v4, 3, 4
	s_delay_alu instid0(VALU_DEP_2) | instskip(NEXT) | instid1(VALU_DEP_2)
	v_and_b32_e32 v7, 7, v7
	v_cmp_eq_u32_e32 vcc_lo, 0, v4
	s_delay_alu instid0(VALU_DEP_2) | instskip(NEXT) | instid1(VALU_DEP_1)
	v_dual_cndmask_b32 v4, v4, v6 :: v_dual_cndmask_b32 v5, v5, v7
	v_lshl_add_u32 v4, v4, 23, 0x3b800000
	s_delay_alu instid0(VALU_DEP_2) | instskip(NEXT) | instid1(VALU_DEP_1)
	v_lshlrev_b32_e32 v5, 20, v5
	v_or3_b32 v4, v3, v4, v5
.LBB488_818:
	s_or_b32 exec_lo, exec_lo, s25
	s_delay_alu instid0(VALU_DEP_1) | instskip(SKIP_1) | instid1(VALU_DEP_2)
	v_bfe_u32 v3, v4, 16, 1
	v_cmp_o_f32_e32 vcc_lo, v4, v4
	v_add3_u32 v3, v4, v3, 0x7fff
	s_delay_alu instid0(VALU_DEP_1) | instskip(NEXT) | instid1(VALU_DEP_1)
	v_lshrrev_b32_e32 v3, 16, v3
	v_cndmask_b32_e32 v5, 0x7fc0, v3, vcc_lo
.LBB488_819:
	s_mov_b32 s24, -1
.LBB488_820:
	s_mov_b32 s25, 0
.LBB488_821:
	s_delay_alu instid0(SALU_CYCLE_1)
	s_and_b32 vcc_lo, exec_lo, s25
	s_cbranch_vccz .LBB488_854
; %bb.822:
	v_cmp_gt_i16_e64 s23, s10, 22
	s_delay_alu instid0(VALU_DEP_1)
	s_and_b32 vcc_lo, exec_lo, s23
	s_cbranch_vccz .LBB488_832
; %bb.823:
	v_cmp_lt_i16_e64 s23, s10, 24
	s_delay_alu instid0(VALU_DEP_1)
	s_and_b32 vcc_lo, exec_lo, s23
	s_cbranch_vccnz .LBB488_835
; %bb.824:
	v_cmp_gt_i16_e64 s23, s10, 24
	s_delay_alu instid0(VALU_DEP_1)
	s_and_b32 vcc_lo, exec_lo, s23
	s_cbranch_vccz .LBB488_836
; %bb.825:
	global_load_u8 v3, v[0:1], off
	s_mov_b32 s23, 0
	s_mov_b32 s25, exec_lo
                                        ; implicit-def: $sgpr24
	s_waitcnt vmcnt(0)
	v_cmpx_lt_i16_e32 0x7f, v3
	s_xor_b32 s25, exec_lo, s25
	s_cbranch_execz .LBB488_848
; %bb.826:
	s_mov_b32 s23, -1
	s_mov_b32 s26, exec_lo
                                        ; implicit-def: $sgpr24
	v_cmpx_eq_u16_e32 0x80, v3
; %bb.827:
	s_mov_b32 s24, 0x7f800001
	s_xor_b32 s23, exec_lo, -1
; %bb.828:
	s_or_b32 exec_lo, exec_lo, s26
	s_delay_alu instid0(SALU_CYCLE_1)
	s_and_b32 s23, s23, exec_lo
	s_or_saveexec_b32 s25, s25
	v_mov_b32_e32 v4, s24
	s_xor_b32 exec_lo, exec_lo, s25
	s_cbranch_execnz .LBB488_849
.LBB488_829:
	s_or_b32 exec_lo, exec_lo, s25
	s_and_saveexec_b32 s24, s23
	s_cbranch_execz .LBB488_831
.LBB488_830:
	v_and_b32_e32 v4, 0xffff, v3
	v_lshlrev_b32_e32 v3, 24, v3
	s_delay_alu instid0(VALU_DEP_2) | instskip(NEXT) | instid1(VALU_DEP_2)
	v_and_b32_e32 v5, 3, v4
	v_and_b32_e32 v3, 0x80000000, v3
	s_delay_alu instid0(VALU_DEP_2) | instskip(NEXT) | instid1(VALU_DEP_1)
	v_clz_i32_u32_e32 v6, v5
	v_min_u32_e32 v6, 32, v6
	s_delay_alu instid0(VALU_DEP_1) | instskip(SKIP_1) | instid1(VALU_DEP_2)
	v_subrev_nc_u32_e32 v7, 29, v6
	v_sub_nc_u32_e32 v6, 30, v6
	v_lshlrev_b32_e32 v7, v7, v4
	v_bfe_u32 v4, v4, 2, 5
	s_delay_alu instid0(VALU_DEP_2) | instskip(NEXT) | instid1(VALU_DEP_2)
	v_and_b32_e32 v7, 3, v7
	v_cmp_eq_u32_e32 vcc_lo, 0, v4
	s_delay_alu instid0(VALU_DEP_2) | instskip(NEXT) | instid1(VALU_DEP_1)
	v_dual_cndmask_b32 v4, v4, v6 :: v_dual_cndmask_b32 v5, v5, v7
	v_lshl_add_u32 v4, v4, 23, 0x37800000
	s_delay_alu instid0(VALU_DEP_2) | instskip(NEXT) | instid1(VALU_DEP_1)
	v_lshlrev_b32_e32 v5, 21, v5
	v_or3_b32 v4, v3, v4, v5
.LBB488_831:
	s_or_b32 exec_lo, exec_lo, s24
	s_delay_alu instid0(VALU_DEP_1) | instskip(SKIP_2) | instid1(VALU_DEP_2)
	v_bfe_u32 v3, v4, 16, 1
	v_cmp_o_f32_e32 vcc_lo, v4, v4
	s_mov_b32 s23, 0
	v_add3_u32 v3, v4, v3, 0x7fff
	s_delay_alu instid0(VALU_DEP_1) | instskip(NEXT) | instid1(VALU_DEP_1)
	v_lshrrev_b32_e32 v3, 16, v3
	v_cndmask_b32_e32 v5, 0x7fc0, v3, vcc_lo
	s_branch .LBB488_837
.LBB488_832:
	s_mov_b32 s23, -1
                                        ; implicit-def: $vgpr5
	s_branch .LBB488_843
.LBB488_833:
	s_or_saveexec_b32 s26, s26
	v_mov_b32_e32 v4, s25
	s_xor_b32 exec_lo, exec_lo, s26
	s_cbranch_execz .LBB488_816
.LBB488_834:
	v_cmp_ne_u16_e32 vcc_lo, 0, v3
	v_mov_b32_e32 v4, 0
	s_and_not1_b32 s24, s24, exec_lo
	s_and_b32 s25, vcc_lo, exec_lo
	s_delay_alu instid0(SALU_CYCLE_1)
	s_or_b32 s24, s24, s25
	s_or_b32 exec_lo, exec_lo, s26
	s_and_saveexec_b32 s25, s24
	s_cbranch_execnz .LBB488_817
	s_branch .LBB488_818
.LBB488_835:
	s_mov_b32 s23, -1
                                        ; implicit-def: $vgpr5
	s_branch .LBB488_840
.LBB488_836:
	s_mov_b32 s23, -1
                                        ; implicit-def: $vgpr5
.LBB488_837:
	s_delay_alu instid0(SALU_CYCLE_1)
	s_and_b32 vcc_lo, exec_lo, s23
	s_cbranch_vccz .LBB488_839
; %bb.838:
	global_load_u8 v3, v[0:1], off
	s_waitcnt vmcnt(0)
	v_lshlrev_b32_e32 v3, 24, v3
	s_delay_alu instid0(VALU_DEP_1) | instskip(NEXT) | instid1(VALU_DEP_1)
	v_and_b32_e32 v4, 0x7f000000, v3
	v_clz_i32_u32_e32 v5, v4
	v_add_nc_u32_e32 v7, 0x1000000, v4
	v_cmp_ne_u32_e32 vcc_lo, 0, v4
	s_delay_alu instid0(VALU_DEP_3) | instskip(NEXT) | instid1(VALU_DEP_1)
	v_min_u32_e32 v5, 32, v5
	v_sub_nc_u32_e64 v5, v5, 4 clamp
	s_delay_alu instid0(VALU_DEP_1) | instskip(SKIP_1) | instid1(VALU_DEP_2)
	v_lshlrev_b32_e32 v6, v5, v4
	v_lshlrev_b32_e32 v5, 23, v5
	v_lshrrev_b32_e32 v6, 4, v6
	s_delay_alu instid0(VALU_DEP_1) | instskip(SKIP_1) | instid1(VALU_DEP_2)
	v_sub_nc_u32_e32 v5, v6, v5
	v_ashrrev_i32_e32 v6, 8, v7
	v_add_nc_u32_e32 v5, 0x3c000000, v5
	s_delay_alu instid0(VALU_DEP_1) | instskip(NEXT) | instid1(VALU_DEP_1)
	v_and_or_b32 v5, 0x7f800000, v6, v5
	v_cndmask_b32_e32 v4, 0, v5, vcc_lo
	s_delay_alu instid0(VALU_DEP_1) | instskip(SKIP_1) | instid1(VALU_DEP_2)
	v_and_or_b32 v3, 0x80000000, v3, v4
	v_bfe_u32 v4, v4, 16, 1
	v_cmp_o_f32_e32 vcc_lo, v3, v3
	s_delay_alu instid0(VALU_DEP_2) | instskip(NEXT) | instid1(VALU_DEP_1)
	v_add3_u32 v4, v3, v4, 0x7fff
	v_lshrrev_b32_e32 v4, 16, v4
	s_delay_alu instid0(VALU_DEP_1)
	v_cndmask_b32_e32 v5, 0x7fc0, v4, vcc_lo
.LBB488_839:
	s_mov_b32 s23, 0
.LBB488_840:
	s_delay_alu instid0(SALU_CYCLE_1)
	s_and_not1_b32 vcc_lo, exec_lo, s23
	s_cbranch_vccnz .LBB488_842
; %bb.841:
	global_load_u8 v3, v[0:1], off
	s_waitcnt vmcnt(0)
	v_lshlrev_b32_e32 v4, 25, v3
	v_lshlrev_b16 v3, 8, v3
	s_delay_alu instid0(VALU_DEP_2) | instskip(NEXT) | instid1(VALU_DEP_2)
	v_lshrrev_b32_e32 v5, 4, v4
	v_and_or_b32 v6, 0x7f00, v3, 0.5
	v_bfe_i32 v3, v3, 0, 16
	s_delay_alu instid0(VALU_DEP_3) | instskip(NEXT) | instid1(VALU_DEP_1)
	v_or_b32_e32 v5, 0x70000000, v5
	v_dual_add_f32 v6, -0.5, v6 :: v_dual_mul_f32 v5, 0x7800000, v5
	v_cmp_gt_u32_e32 vcc_lo, 0x8000000, v4
	s_delay_alu instid0(VALU_DEP_2) | instskip(NEXT) | instid1(VALU_DEP_1)
	v_cndmask_b32_e32 v4, v5, v6, vcc_lo
	v_and_or_b32 v3, 0x80000000, v3, v4
	v_bfe_u32 v4, v4, 16, 1
	s_delay_alu instid0(VALU_DEP_2) | instskip(NEXT) | instid1(VALU_DEP_2)
	v_cmp_o_f32_e32 vcc_lo, v3, v3
	v_add3_u32 v4, v3, v4, 0x7fff
	s_delay_alu instid0(VALU_DEP_1) | instskip(NEXT) | instid1(VALU_DEP_1)
	v_lshrrev_b32_e32 v4, 16, v4
	v_cndmask_b32_e32 v5, 0x7fc0, v4, vcc_lo
.LBB488_842:
	s_mov_b32 s23, 0
	s_mov_b32 s24, -1
.LBB488_843:
	s_and_not1_b32 vcc_lo, exec_lo, s23
	s_mov_b32 s23, 0
	s_cbranch_vccnz .LBB488_854
; %bb.844:
	v_cmp_gt_i16_e64 s23, s10, 14
	s_delay_alu instid0(VALU_DEP_1)
	s_and_b32 vcc_lo, exec_lo, s23
	s_cbranch_vccz .LBB488_847
; %bb.845:
	v_cmp_eq_u16_e64 s22, s10, 15
	s_delay_alu instid0(VALU_DEP_1)
	s_and_b32 vcc_lo, exec_lo, s22
	s_cbranch_vccz .LBB488_850
; %bb.846:
	global_load_u16 v5, v[0:1], off
	s_mov_b32 s22, 0
	s_mov_b32 s24, -1
	s_branch .LBB488_851
.LBB488_847:
	s_mov_b32 s23, -1
                                        ; implicit-def: $vgpr5
	s_branch .LBB488_852
.LBB488_848:
	s_or_saveexec_b32 s25, s25
	v_mov_b32_e32 v4, s24
	s_xor_b32 exec_lo, exec_lo, s25
	s_cbranch_execz .LBB488_829
.LBB488_849:
	v_cmp_ne_u16_e32 vcc_lo, 0, v3
	v_mov_b32_e32 v4, 0
	s_and_not1_b32 s23, s23, exec_lo
	s_and_b32 s24, vcc_lo, exec_lo
	s_delay_alu instid0(SALU_CYCLE_1)
	s_or_b32 s23, s23, s24
	s_or_b32 exec_lo, exec_lo, s25
	s_and_saveexec_b32 s24, s23
	s_cbranch_execnz .LBB488_830
	s_branch .LBB488_831
.LBB488_850:
	s_mov_b32 s22, -1
                                        ; implicit-def: $vgpr5
.LBB488_851:
	s_mov_b32 s23, 0
.LBB488_852:
	s_delay_alu instid0(SALU_CYCLE_1)
	s_and_b32 vcc_lo, exec_lo, s23
	s_mov_b32 s23, 0
	s_cbranch_vccz .LBB488_854
; %bb.853:
	v_cmp_ne_u16_e64 s23, s10, 11
	s_and_not1_b32 s22, s22, exec_lo
                                        ; implicit-def: $vgpr5
	s_delay_alu instid0(VALU_DEP_1)
	s_and_b32 s25, s23, exec_lo
	s_mov_b32 s23, -1
	s_or_b32 s22, s22, s25
.LBB488_854:
	s_mov_b32 s26, 0
.LBB488_855:
	s_and_b32 s25, s24, exec_lo
	s_and_b32 s24, s26, exec_lo
	s_and_not1_b32 s26, s0, exec_lo
	s_and_b32 s27, s22, exec_lo
	s_and_b32 s22, s23, exec_lo
	s_or_b32 s23, s26, s27
.LBB488_856:
	s_or_b32 exec_lo, exec_lo, s14
	s_delay_alu instid0(SALU_CYCLE_1)
	s_and_not1_b32 s0, s0, exec_lo
	s_and_b32 s14, s23, exec_lo
	s_and_b32 s25, s25, exec_lo
	;; [unrolled: 1-line block ×4, first 2 shown]
	s_or_b32 s0, s0, s14
.LBB488_857:
	s_or_b32 exec_lo, exec_lo, s21
	s_delay_alu instid0(SALU_CYCLE_1)
	s_and_not1_b32 s14, s19, exec_lo
	s_and_b32 s1, s1, exec_lo
	s_and_b32 s0, s0, exec_lo
	s_or_b32 s19, s14, s1
	s_and_not1_b32 s14, s18, exec_lo
	s_and_b32 s22, s25, exec_lo
	s_and_b32 s21, s24, exec_lo
	;; [unrolled: 1-line block ×3, first 2 shown]
	s_or_b32 s18, s14, s0
.LBB488_858:
	s_or_b32 exec_lo, exec_lo, s20
	s_delay_alu instid0(SALU_CYCLE_1)
	s_and_not1_b32 s0, s15, exec_lo
	s_and_b32 s14, s19, exec_lo
	s_and_b32 s19, s21, exec_lo
	s_or_b32 s15, s0, s14
	s_and_not1_b32 s14, s16, exec_lo
	s_and_b32 s16, s18, exec_lo
	s_and_b32 s0, s22, exec_lo
	;; [unrolled: 1-line block ×3, first 2 shown]
	s_or_b32 s16, s14, s16
.LBB488_859:
	s_or_b32 exec_lo, exec_lo, s17
	s_mov_b32 s14, 0
	s_and_saveexec_b32 s1, s16
	s_cbranch_execnz .LBB488_871
; %bb.860:
	s_or_b32 exec_lo, exec_lo, s1
	s_and_saveexec_b32 s1, s18
	s_delay_alu instid0(SALU_CYCLE_1)
	s_xor_b32 s1, exec_lo, s1
	s_cbranch_execz .LBB488_862
.LBB488_861:
	global_load_u8 v3, v[0:1], off
	s_or_b32 s0, s0, exec_lo
	s_waitcnt vmcnt(0)
	v_cmp_ne_u16_e32 vcc_lo, 0, v3
	v_cndmask_b32_e64 v3, 0, 1.0, vcc_lo
	s_delay_alu instid0(VALU_DEP_1)
	v_lshrrev_b32_e32 v5, 16, v3
.LBB488_862:
	s_or_b32 exec_lo, exec_lo, s1
	s_and_saveexec_b32 s1, s19
	s_cbranch_execz .LBB488_910
; %bb.863:
	v_cmp_lt_i16_e64 s16, s10, 5
	s_delay_alu instid0(VALU_DEP_1)
	s_and_b32 vcc_lo, exec_lo, s16
	s_cbranch_vccnz .LBB488_868
; %bb.864:
	v_cmp_lt_i16_e64 s16, s10, 8
	s_delay_alu instid0(VALU_DEP_1)
	s_and_b32 vcc_lo, exec_lo, s16
	s_cbranch_vccnz .LBB488_869
; %bb.865:
	v_cmp_lt_i16_e64 s16, s10, 9
	s_delay_alu instid0(VALU_DEP_1)
	s_and_b32 vcc_lo, exec_lo, s16
	s_cbranch_vccnz .LBB488_870
; %bb.866:
	v_cmp_gt_i16_e64 s16, s10, 9
	s_delay_alu instid0(VALU_DEP_1)
	s_and_b32 vcc_lo, exec_lo, s16
	s_cbranch_vccz .LBB488_873
; %bb.867:
	global_load_b64 v[3:4], v[0:1], off
	s_mov_b32 s16, 0
	s_waitcnt vmcnt(0)
	v_cvt_f32_f64_e32 v3, v[3:4]
	s_delay_alu instid0(VALU_DEP_1) | instskip(SKIP_1) | instid1(VALU_DEP_2)
	v_bfe_u32 v4, v3, 16, 1
	v_cmp_o_f32_e32 vcc_lo, v3, v3
	v_add3_u32 v4, v3, v4, 0x7fff
	s_delay_alu instid0(VALU_DEP_1) | instskip(NEXT) | instid1(VALU_DEP_1)
	v_lshrrev_b32_e32 v4, 16, v4
	v_cndmask_b32_e32 v5, 0x7fc0, v4, vcc_lo
	s_branch .LBB488_874
.LBB488_868:
                                        ; implicit-def: $vgpr5
	s_branch .LBB488_891
.LBB488_869:
                                        ; implicit-def: $vgpr5
	s_branch .LBB488_880
.LBB488_870:
	s_mov_b32 s16, -1
                                        ; implicit-def: $vgpr5
	s_branch .LBB488_877
.LBB488_871:
	s_cbranch_execnz .LBB488_919
; %bb.872:
	s_mov_b32 s14, exec_lo
	s_and_not1_b32 s18, s18, exec_lo
                                        ; implicit-def: $vgpr5
	s_or_b32 exec_lo, exec_lo, s1
	s_and_saveexec_b32 s1, s18
	s_delay_alu instid0(SALU_CYCLE_1)
	s_xor_b32 s1, exec_lo, s1
	s_cbranch_execnz .LBB488_861
	s_branch .LBB488_862
.LBB488_873:
	s_mov_b32 s16, -1
                                        ; implicit-def: $vgpr5
.LBB488_874:
	s_delay_alu instid0(SALU_CYCLE_1)
	s_and_not1_b32 vcc_lo, exec_lo, s16
	s_cbranch_vccnz .LBB488_876
; %bb.875:
	global_load_b32 v3, v[0:1], off
	s_waitcnt vmcnt(0)
	v_bfe_u32 v4, v3, 16, 1
	v_cmp_o_f32_e32 vcc_lo, v3, v3
	s_delay_alu instid0(VALU_DEP_2) | instskip(NEXT) | instid1(VALU_DEP_1)
	v_add3_u32 v4, v3, v4, 0x7fff
	v_lshrrev_b32_e32 v4, 16, v4
	s_delay_alu instid0(VALU_DEP_1)
	v_cndmask_b32_e32 v5, 0x7fc0, v4, vcc_lo
.LBB488_876:
	s_mov_b32 s16, 0
.LBB488_877:
	s_delay_alu instid0(SALU_CYCLE_1)
	s_and_not1_b32 vcc_lo, exec_lo, s16
	s_cbranch_vccnz .LBB488_879
; %bb.878:
	global_load_b32 v3, v[0:1], off
	s_waitcnt vmcnt(0)
	v_cvt_f32_f16_e32 v4, v3
	v_cmp_o_f16_e32 vcc_lo, v3, v3
	s_delay_alu instid0(VALU_DEP_2) | instskip(NEXT) | instid1(VALU_DEP_1)
	v_bfe_u32 v5, v4, 16, 1
	v_add3_u32 v4, v4, v5, 0x7fff
	s_delay_alu instid0(VALU_DEP_1) | instskip(NEXT) | instid1(VALU_DEP_1)
	v_lshrrev_b32_e32 v4, 16, v4
	v_cndmask_b32_e32 v5, 0x7fc0, v4, vcc_lo
.LBB488_879:
	s_cbranch_execnz .LBB488_890
.LBB488_880:
	v_cmp_lt_i16_e64 s16, s10, 6
	s_delay_alu instid0(VALU_DEP_1)
	s_and_b32 vcc_lo, exec_lo, s16
	s_cbranch_vccnz .LBB488_883
; %bb.881:
	v_cmp_gt_i16_e64 s16, s10, 6
	s_delay_alu instid0(VALU_DEP_1)
	s_and_b32 vcc_lo, exec_lo, s16
	s_cbranch_vccz .LBB488_884
; %bb.882:
	global_load_b64 v[3:4], v[0:1], off
	s_mov_b32 s16, 0
	s_waitcnt vmcnt(0)
	v_cvt_f32_f64_e32 v3, v[3:4]
	s_delay_alu instid0(VALU_DEP_1) | instskip(SKIP_1) | instid1(VALU_DEP_2)
	v_bfe_u32 v4, v3, 16, 1
	v_cmp_o_f32_e32 vcc_lo, v3, v3
	v_add3_u32 v4, v3, v4, 0x7fff
	s_delay_alu instid0(VALU_DEP_1) | instskip(NEXT) | instid1(VALU_DEP_1)
	v_lshrrev_b32_e32 v4, 16, v4
	v_cndmask_b32_e32 v5, 0x7fc0, v4, vcc_lo
	s_branch .LBB488_885
.LBB488_883:
	s_mov_b32 s16, -1
                                        ; implicit-def: $vgpr5
	s_branch .LBB488_888
.LBB488_884:
	s_mov_b32 s16, -1
                                        ; implicit-def: $vgpr5
.LBB488_885:
	s_delay_alu instid0(SALU_CYCLE_1)
	s_and_not1_b32 vcc_lo, exec_lo, s16
	s_cbranch_vccnz .LBB488_887
; %bb.886:
	global_load_b32 v3, v[0:1], off
	s_waitcnt vmcnt(0)
	v_bfe_u32 v4, v3, 16, 1
	v_cmp_o_f32_e32 vcc_lo, v3, v3
	s_delay_alu instid0(VALU_DEP_2) | instskip(NEXT) | instid1(VALU_DEP_1)
	v_add3_u32 v4, v3, v4, 0x7fff
	v_lshrrev_b32_e32 v4, 16, v4
	s_delay_alu instid0(VALU_DEP_1)
	v_cndmask_b32_e32 v5, 0x7fc0, v4, vcc_lo
.LBB488_887:
	s_mov_b32 s16, 0
.LBB488_888:
	s_delay_alu instid0(SALU_CYCLE_1)
	s_and_not1_b32 vcc_lo, exec_lo, s16
	s_cbranch_vccnz .LBB488_890
; %bb.889:
	global_load_u16 v3, v[0:1], off
	s_waitcnt vmcnt(0)
	v_cvt_f32_f16_e32 v4, v3
	v_cmp_o_f16_e32 vcc_lo, v3, v3
	s_delay_alu instid0(VALU_DEP_2) | instskip(NEXT) | instid1(VALU_DEP_1)
	v_bfe_u32 v5, v4, 16, 1
	v_add3_u32 v4, v4, v5, 0x7fff
	s_delay_alu instid0(VALU_DEP_1) | instskip(NEXT) | instid1(VALU_DEP_1)
	v_lshrrev_b32_e32 v4, 16, v4
	v_cndmask_b32_e32 v5, 0x7fc0, v4, vcc_lo
.LBB488_890:
	s_cbranch_execnz .LBB488_909
.LBB488_891:
	v_cmp_lt_i16_e64 s16, s10, 2
	s_delay_alu instid0(VALU_DEP_1)
	s_and_b32 vcc_lo, exec_lo, s16
	s_cbranch_vccnz .LBB488_895
; %bb.892:
	v_cmp_lt_i16_e64 s16, s10, 3
	s_delay_alu instid0(VALU_DEP_1)
	s_and_b32 vcc_lo, exec_lo, s16
	s_cbranch_vccnz .LBB488_896
; %bb.893:
	v_cmp_gt_i16_e64 s16, s10, 3
	s_delay_alu instid0(VALU_DEP_1)
	s_and_b32 vcc_lo, exec_lo, s16
	s_cbranch_vccz .LBB488_897
; %bb.894:
	global_load_b64 v[3:4], v[0:1], off
	s_mov_b32 s16, 0
	s_waitcnt vmcnt(0)
	v_xor_b32_e32 v5, v3, v4
	v_cls_i32_e32 v6, v4
	s_delay_alu instid0(VALU_DEP_2) | instskip(NEXT) | instid1(VALU_DEP_2)
	v_ashrrev_i32_e32 v5, 31, v5
	v_add_nc_u32_e32 v6, -1, v6
	s_delay_alu instid0(VALU_DEP_2) | instskip(NEXT) | instid1(VALU_DEP_1)
	v_add_nc_u32_e32 v5, 32, v5
	v_min_u32_e32 v5, v6, v5
	s_delay_alu instid0(VALU_DEP_1) | instskip(NEXT) | instid1(VALU_DEP_1)
	v_lshlrev_b64 v[3:4], v5, v[3:4]
	v_min_u32_e32 v3, 1, v3
	s_delay_alu instid0(VALU_DEP_1) | instskip(SKIP_1) | instid1(VALU_DEP_2)
	v_or_b32_e32 v3, v4, v3
	v_sub_nc_u32_e32 v4, 32, v5
	v_cvt_f32_i32_e32 v3, v3
	s_delay_alu instid0(VALU_DEP_1) | instskip(NEXT) | instid1(VALU_DEP_1)
	v_ldexp_f32 v3, v3, v4
	v_bfe_u32 v4, v3, 16, 1
	s_delay_alu instid0(VALU_DEP_1) | instskip(NEXT) | instid1(VALU_DEP_1)
	v_add3_u32 v3, v3, v4, 0x7fff
	v_lshrrev_b32_e32 v5, 16, v3
	s_branch .LBB488_898
.LBB488_895:
                                        ; implicit-def: $vgpr5
	s_branch .LBB488_904
.LBB488_896:
	s_mov_b32 s16, -1
                                        ; implicit-def: $vgpr5
	s_branch .LBB488_901
.LBB488_897:
	s_mov_b32 s16, -1
                                        ; implicit-def: $vgpr5
.LBB488_898:
	s_delay_alu instid0(SALU_CYCLE_1)
	s_and_not1_b32 vcc_lo, exec_lo, s16
	s_cbranch_vccnz .LBB488_900
; %bb.899:
	global_load_b32 v3, v[0:1], off
	s_waitcnt vmcnt(0)
	v_cvt_f32_i32_e32 v3, v3
	s_delay_alu instid0(VALU_DEP_1) | instskip(NEXT) | instid1(VALU_DEP_1)
	v_bfe_u32 v4, v3, 16, 1
	v_add3_u32 v3, v3, v4, 0x7fff
	s_delay_alu instid0(VALU_DEP_1)
	v_lshrrev_b32_e32 v5, 16, v3
.LBB488_900:
	s_mov_b32 s16, 0
.LBB488_901:
	s_delay_alu instid0(SALU_CYCLE_1)
	s_and_not1_b32 vcc_lo, exec_lo, s16
	s_cbranch_vccnz .LBB488_903
; %bb.902:
	global_load_i16 v3, v[0:1], off
	s_waitcnt vmcnt(0)
	v_cvt_f32_i32_e32 v3, v3
	s_delay_alu instid0(VALU_DEP_1) | instskip(NEXT) | instid1(VALU_DEP_1)
	v_bfe_u32 v4, v3, 16, 1
	v_add3_u32 v3, v3, v4, 0x7fff
	s_delay_alu instid0(VALU_DEP_1)
	v_lshrrev_b32_e32 v5, 16, v3
.LBB488_903:
	s_cbranch_execnz .LBB488_909
.LBB488_904:
	v_cmp_gt_i16_e64 s16, s10, 0
	s_delay_alu instid0(VALU_DEP_1)
	s_and_b32 vcc_lo, exec_lo, s16
	s_mov_b32 s16, 0
	s_cbranch_vccz .LBB488_906
; %bb.905:
	global_load_i8 v3, v[0:1], off
	s_waitcnt vmcnt(0)
	v_cvt_f32_i32_e32 v3, v3
	s_delay_alu instid0(VALU_DEP_1) | instskip(NEXT) | instid1(VALU_DEP_1)
	v_bfe_u32 v4, v3, 16, 1
	v_add3_u32 v3, v3, v4, 0x7fff
	s_delay_alu instid0(VALU_DEP_1)
	v_lshrrev_b32_e32 v5, 16, v3
	s_branch .LBB488_907
.LBB488_906:
	s_mov_b32 s16, -1
                                        ; implicit-def: $vgpr5
.LBB488_907:
	s_delay_alu instid0(SALU_CYCLE_1)
	s_and_not1_b32 vcc_lo, exec_lo, s16
	s_cbranch_vccnz .LBB488_909
; %bb.908:
	global_load_u8 v0, v[0:1], off
	s_waitcnt vmcnt(0)
	v_cvt_f32_ubyte0_e32 v0, v0
	s_delay_alu instid0(VALU_DEP_1) | instskip(NEXT) | instid1(VALU_DEP_1)
	v_bfe_u32 v1, v0, 16, 1
	v_add3_u32 v0, v0, v1, 0x7fff
	s_delay_alu instid0(VALU_DEP_1)
	v_lshrrev_b32_e32 v5, 16, v0
.LBB488_909:
	s_or_b32 s0, s0, exec_lo
.LBB488_910:
	s_or_b32 exec_lo, exec_lo, s1
	s_mov_b32 s17, 0
	s_mov_b32 s1, 0
                                        ; implicit-def: $vgpr4
                                        ; implicit-def: $vgpr0_vgpr1
                                        ; implicit-def: $vgpr3
	s_and_saveexec_b32 s16, s0
	s_cbranch_execz .LBB488_990
; %bb.911:
	s_waitcnt vmcnt(0)
	v_lshlrev_b32_e32 v0, 16, v5
	v_mul_lo_u32 v1, v2, s2
	v_and_b32_e64 v4, 0xff, s9
	s_delay_alu instid0(VALU_DEP_3) | instskip(SKIP_1) | instid1(VALU_DEP_3)
	v_cmp_u_f32_e32 vcc_lo, v0, v0
	v_cmp_gt_f32_e64 s0, s13, v0
	v_cmp_gt_i16_e64 s1, 11, v4
	v_ashrrev_i32_e32 v2, 31, v1
	s_delay_alu instid0(VALU_DEP_3) | instskip(SKIP_2) | instid1(VALU_DEP_3)
	s_or_b32 vcc_lo, vcc_lo, s0
	v_cndmask_b32_e32 v3, s8, v5, vcc_lo
	v_add_co_u32 v0, vcc_lo, s4, v1
	v_add_co_ci_u32_e32 v1, vcc_lo, s5, v2, vcc_lo
	s_and_b32 vcc_lo, exec_lo, s1
	s_cbranch_vccnz .LBB488_918
; %bb.912:
	v_cmp_lt_i16_e32 vcc_lo, 25, v4
	s_mov_b32 s1, -1
	s_mov_b32 s0, s15
	s_cbranch_vccz .LBB488_948
; %bb.913:
	v_cmp_lt_i16_e32 vcc_lo, 28, v4
	s_mov_b32 s0, s15
	s_cbranch_vccz .LBB488_932
; %bb.914:
	v_cmp_lt_i16_e32 vcc_lo, 43, v4
	;; [unrolled: 4-line block ×3, first 2 shown]
	s_mov_b32 s0, s15
	s_cbranch_vccz .LBB488_922
; %bb.916:
	v_cmp_eq_u16_e32 vcc_lo, 46, v4
	s_mov_b32 s0, -1
	s_cbranch_vccz .LBB488_921
; %bb.917:
	v_and_b32_e32 v2, 0xffff, v3
	s_mov_b32 s0, 0
	s_mov_b32 s1, 0
	global_store_b32 v[0:1], v2, off
	s_branch .LBB488_922
.LBB488_918:
	s_mov_b32 s13, 0
	s_mov_b32 s1, -1
	s_mov_b32 s0, s15
	s_branch .LBB488_989
.LBB488_919:
	s_trap 2
	s_sendmsg_rtn_b32 s0, sendmsg(MSG_RTN_GET_DOORBELL)
	s_mov_b32 ttmp2, m0
	s_waitcnt lgkmcnt(0)
	s_and_b32 s0, s0, 0x3ff
	s_delay_alu instid0(SALU_CYCLE_1) | instskip(NEXT) | instid1(SALU_CYCLE_1)
	s_bitset1_b32 s0, 10
	s_mov_b32 m0, s0
	s_sendmsg sendmsg(MSG_INTERRUPT)
	s_mov_b32 m0, ttmp2
.LBB488_920:                            ; =>This Inner Loop Header: Depth=1
	s_sethalt 5
	s_branch .LBB488_920
.LBB488_921:
	s_mov_b32 s1, 0
.LBB488_922:
	s_delay_alu instid0(SALU_CYCLE_1)
	s_and_b32 vcc_lo, exec_lo, s1
	s_cbranch_vccz .LBB488_927
; %bb.923:
	v_cmp_eq_u16_e32 vcc_lo, 44, v4
	s_mov_b32 s0, -1
	s_cbranch_vccz .LBB488_927
; %bb.924:
	v_and_b32_e32 v2, 0xffff, v3
	v_mov_b32_e32 v5, 0xff
	s_mov_b32 s1, exec_lo
	s_delay_alu instid0(VALU_DEP_2) | instskip(NEXT) | instid1(VALU_DEP_1)
	v_bfe_u32 v6, v2, 7, 8
	v_cmpx_ne_u32_e32 0xff, v6
; %bb.925:
	v_lshlrev_b32_e32 v5, 16, v2
	v_and_b32_e32 v7, 64, v2
	v_lshrrev_b32_e32 v2, 7, v2
	s_delay_alu instid0(VALU_DEP_3) | instskip(NEXT) | instid1(VALU_DEP_3)
	v_and_or_b32 v5, 0x3f0000, v5, v6
	v_cmp_ne_u32_e32 vcc_lo, 0, v7
	s_delay_alu instid0(VALU_DEP_2) | instskip(NEXT) | instid1(VALU_DEP_1)
	v_cmp_ne_u32_e64 s0, 0, v5
	s_and_b32 s0, vcc_lo, s0
	s_delay_alu instid0(SALU_CYCLE_1) | instskip(NEXT) | instid1(VALU_DEP_1)
	v_cndmask_b32_e64 v5, 0, 1, s0
	v_add_nc_u32_e32 v5, v2, v5
; %bb.926:
	s_or_b32 exec_lo, exec_lo, s1
	s_mov_b32 s0, 0
	global_store_b8 v[0:1], v5, off
.LBB488_927:
	s_mov_b32 s1, 0
.LBB488_928:
	s_delay_alu instid0(SALU_CYCLE_1)
	s_and_b32 vcc_lo, exec_lo, s1
	s_cbranch_vccz .LBB488_931
; %bb.929:
	v_cmp_eq_u16_e32 vcc_lo, 29, v4
	s_mov_b32 s0, -1
	s_cbranch_vccz .LBB488_931
; %bb.930:
	v_lshlrev_b32_e32 v2, 16, v3
	s_mov_b32 s0, 0
	s_mov_b32 s1, 0
	s_delay_alu instid0(VALU_DEP_1) | instskip(NEXT) | instid1(VALU_DEP_1)
	v_trunc_f32_e32 v2, v2
	v_mul_f32_e32 v5, 0x2f800000, v2
	s_delay_alu instid0(VALU_DEP_1) | instskip(NEXT) | instid1(VALU_DEP_1)
	v_floor_f32_e32 v5, v5
	v_fmamk_f32 v2, v5, 0xcf800000, v2
	v_cvt_u32_f32_e32 v6, v5
	s_delay_alu instid0(VALU_DEP_2)
	v_cvt_u32_f32_e32 v5, v2
	global_store_b64 v[0:1], v[5:6], off
	s_branch .LBB488_932
.LBB488_931:
	s_mov_b32 s1, 0
.LBB488_932:
	s_delay_alu instid0(SALU_CYCLE_1)
	s_and_b32 vcc_lo, exec_lo, s1
	s_cbranch_vccz .LBB488_947
; %bb.933:
	v_cmp_gt_i16_e32 vcc_lo, 27, v4
	s_mov_b32 s1, -1
	s_cbranch_vccnz .LBB488_939
; %bb.934:
	v_cmp_lt_i16_e32 vcc_lo, 27, v4
	s_cbranch_vccz .LBB488_936
; %bb.935:
	v_lshlrev_b32_e32 v2, 16, v3
	s_mov_b32 s1, 0
	s_delay_alu instid0(VALU_DEP_1)
	v_cvt_u32_f32_e32 v2, v2
	global_store_b32 v[0:1], v2, off
.LBB488_936:
	s_and_not1_b32 vcc_lo, exec_lo, s1
	s_cbranch_vccnz .LBB488_938
; %bb.937:
	v_lshlrev_b32_e32 v2, 16, v3
	s_delay_alu instid0(VALU_DEP_1)
	v_cvt_u32_f32_e32 v2, v2
	global_store_b16 v[0:1], v2, off
.LBB488_938:
	s_mov_b32 s1, 0
.LBB488_939:
	s_delay_alu instid0(SALU_CYCLE_1)
	s_and_not1_b32 vcc_lo, exec_lo, s1
	s_cbranch_vccnz .LBB488_947
; %bb.940:
	v_dual_mov_b32 v7, 0x80 :: v_dual_lshlrev_b32 v6, 16, v3
	s_mov_b32 s1, exec_lo
	s_delay_alu instid0(VALU_DEP_1) | instskip(NEXT) | instid1(VALU_DEP_1)
	v_and_b32_e32 v5, 0x7fffffff, v6
	v_cmpx_gt_u32_e32 0x43800000, v5
	s_cbranch_execz .LBB488_946
; %bb.941:
	v_and_b32_e32 v2, 0xffff, v3
	v_cmp_lt_u32_e32 vcc_lo, 0x3bffffff, v5
	s_mov_b32 s13, 0
                                        ; implicit-def: $vgpr5
	s_and_saveexec_b32 s17, vcc_lo
	s_delay_alu instid0(SALU_CYCLE_1)
	s_xor_b32 s17, exec_lo, s17
	s_cbranch_execz .LBB488_1181
; %bb.942:
	v_bfe_u32 v5, v2, 4, 1
	s_mov_b32 s13, exec_lo
	s_delay_alu instid0(VALU_DEP_1) | instskip(NEXT) | instid1(VALU_DEP_1)
	v_add3_u32 v5, v6, v5, 0x487ffff
                                        ; implicit-def: $vgpr6
	v_lshrrev_b32_e32 v5, 20, v5
	s_or_saveexec_b32 s17, s17
                                        ; implicit-def: $sgpr18
	s_delay_alu instid0(SALU_CYCLE_1)
	s_xor_b32 exec_lo, exec_lo, s17
	s_cbranch_execnz .LBB488_1182
.LBB488_943:
	s_or_b32 exec_lo, exec_lo, s17
	v_mov_b32_e32 v7, s18
	s_and_saveexec_b32 s17, s13
.LBB488_944:
	v_lshrrev_b32_e32 v2, 8, v2
	s_delay_alu instid0(VALU_DEP_1)
	v_and_or_b32 v7, 0x80, v2, v5
.LBB488_945:
	s_or_b32 exec_lo, exec_lo, s17
.LBB488_946:
	s_delay_alu instid0(SALU_CYCLE_1)
	s_or_b32 exec_lo, exec_lo, s1
	global_store_b8 v[0:1], v7, off
.LBB488_947:
	s_mov_b32 s1, 0
.LBB488_948:
	s_delay_alu instid0(SALU_CYCLE_1)
	s_and_b32 vcc_lo, exec_lo, s1
	s_mov_b32 s1, 0
	s_cbranch_vccz .LBB488_988
; %bb.949:
	v_cmp_lt_i16_e32 vcc_lo, 22, v4
	s_mov_b32 s13, -1
	s_cbranch_vccz .LBB488_981
; %bb.950:
	v_cmp_gt_i16_e32 vcc_lo, 24, v4
	s_cbranch_vccnz .LBB488_970
; %bb.951:
	v_cmp_lt_i16_e32 vcc_lo, 24, v4
	s_cbranch_vccz .LBB488_959
; %bb.952:
	v_dual_mov_b32 v7, 0x80 :: v_dual_lshlrev_b32 v6, 16, v3
	s_mov_b32 s13, exec_lo
	s_delay_alu instid0(VALU_DEP_1) | instskip(NEXT) | instid1(VALU_DEP_1)
	v_and_b32_e32 v5, 0x7fffffff, v6
	v_cmpx_gt_u32_e32 0x47800000, v5
	s_cbranch_execz .LBB488_958
; %bb.953:
	v_and_b32_e32 v2, 0xffff, v3
	v_cmp_lt_u32_e32 vcc_lo, 0x37ffffff, v5
	s_mov_b32 s17, 0
                                        ; implicit-def: $vgpr5
	s_and_saveexec_b32 s18, vcc_lo
	s_delay_alu instid0(SALU_CYCLE_1)
	s_xor_b32 s18, exec_lo, s18
	s_cbranch_execz .LBB488_1225
; %bb.954:
	v_bfe_u32 v5, v2, 5, 1
	s_mov_b32 s17, exec_lo
	s_delay_alu instid0(VALU_DEP_1) | instskip(NEXT) | instid1(VALU_DEP_1)
	v_add3_u32 v5, v6, v5, 0x88fffff
                                        ; implicit-def: $vgpr6
	v_lshrrev_b32_e32 v5, 21, v5
	s_or_saveexec_b32 s18, s18
                                        ; implicit-def: $sgpr19
	s_delay_alu instid0(SALU_CYCLE_1)
	s_xor_b32 exec_lo, exec_lo, s18
	s_cbranch_execnz .LBB488_1226
.LBB488_955:
	s_or_b32 exec_lo, exec_lo, s18
	v_mov_b32_e32 v7, s19
	s_and_saveexec_b32 s18, s17
.LBB488_956:
	v_lshrrev_b32_e32 v2, 8, v2
	s_delay_alu instid0(VALU_DEP_1)
	v_and_or_b32 v7, 0x80, v2, v5
.LBB488_957:
	s_or_b32 exec_lo, exec_lo, s18
.LBB488_958:
	s_delay_alu instid0(SALU_CYCLE_1)
	s_or_b32 exec_lo, exec_lo, s13
	s_mov_b32 s13, 0
	global_store_b8 v[0:1], v7, off
.LBB488_959:
	s_and_b32 vcc_lo, exec_lo, s13
	s_cbranch_vccz .LBB488_969
; %bb.960:
	v_lshlrev_b32_e32 v6, 16, v3
	v_and_b32_e32 v2, 0xffff, v3
	s_mov_b32 s13, exec_lo
                                        ; implicit-def: $vgpr5
	s_delay_alu instid0(VALU_DEP_2) | instskip(NEXT) | instid1(VALU_DEP_1)
	v_and_b32_e32 v7, 0x7fffffff, v6
	v_cmpx_gt_u32_e32 0x43f00000, v7
	s_xor_b32 s13, exec_lo, s13
	s_cbranch_execz .LBB488_966
; %bb.961:
	s_mov_b32 s17, exec_lo
                                        ; implicit-def: $vgpr5
	v_cmpx_lt_u32_e32 0x3c7fffff, v7
	s_xor_b32 s17, exec_lo, s17
; %bb.962:
	v_bfe_u32 v5, v2, 4, 1
	s_delay_alu instid0(VALU_DEP_1) | instskip(NEXT) | instid1(VALU_DEP_1)
	v_add3_u32 v5, v6, v5, 0x407ffff
	v_and_b32_e32 v6, 0xff00000, v5
	v_lshrrev_b32_e32 v5, 20, v5
	s_delay_alu instid0(VALU_DEP_2) | instskip(NEXT) | instid1(VALU_DEP_2)
	v_cmp_ne_u32_e32 vcc_lo, 0x7f00000, v6
                                        ; implicit-def: $vgpr6
	v_cndmask_b32_e32 v5, 0x7e, v5, vcc_lo
; %bb.963:
	s_and_not1_saveexec_b32 s17, s17
; %bb.964:
	v_add_f32_e64 v5, 0x46800000, |v6|
; %bb.965:
	s_or_b32 exec_lo, exec_lo, s17
                                        ; implicit-def: $vgpr7
.LBB488_966:
	s_and_not1_saveexec_b32 s13, s13
; %bb.967:
	v_mov_b32_e32 v5, 0x7f
	v_cmp_lt_u32_e32 vcc_lo, 0x7f800000, v7
	s_delay_alu instid0(VALU_DEP_2)
	v_cndmask_b32_e32 v5, 0x7e, v5, vcc_lo
; %bb.968:
	s_or_b32 exec_lo, exec_lo, s13
	v_lshrrev_b32_e32 v2, 8, v2
	s_delay_alu instid0(VALU_DEP_1)
	v_and_or_b32 v2, 0x80, v2, v5
	global_store_b8 v[0:1], v2, off
.LBB488_969:
	s_mov_b32 s13, 0
.LBB488_970:
	s_delay_alu instid0(SALU_CYCLE_1)
	s_and_not1_b32 vcc_lo, exec_lo, s13
	s_cbranch_vccnz .LBB488_980
; %bb.971:
	v_lshlrev_b32_e32 v6, 16, v3
	v_and_b32_e32 v2, 0xffff, v3
	s_mov_b32 s13, exec_lo
                                        ; implicit-def: $vgpr5
	s_delay_alu instid0(VALU_DEP_2) | instskip(NEXT) | instid1(VALU_DEP_1)
	v_and_b32_e32 v7, 0x7fffffff, v6
	v_cmpx_gt_u32_e32 0x47800000, v7
	s_xor_b32 s13, exec_lo, s13
	s_cbranch_execz .LBB488_977
; %bb.972:
	s_mov_b32 s17, exec_lo
                                        ; implicit-def: $vgpr5
	v_cmpx_lt_u32_e32 0x387fffff, v7
	s_xor_b32 s17, exec_lo, s17
; %bb.973:
	v_bfe_u32 v5, v2, 5, 1
	s_delay_alu instid0(VALU_DEP_1) | instskip(NEXT) | instid1(VALU_DEP_1)
	v_add3_u32 v5, v6, v5, 0x80fffff
                                        ; implicit-def: $vgpr6
	v_lshrrev_b32_e32 v5, 21, v5
; %bb.974:
	s_and_not1_saveexec_b32 s17, s17
; %bb.975:
	v_add_f32_e64 v5, 0x43000000, |v6|
; %bb.976:
	s_or_b32 exec_lo, exec_lo, s17
                                        ; implicit-def: $vgpr7
.LBB488_977:
	s_and_not1_saveexec_b32 s13, s13
; %bb.978:
	v_mov_b32_e32 v5, 0x7f
	v_cmp_lt_u32_e32 vcc_lo, 0x7f800000, v7
	s_delay_alu instid0(VALU_DEP_2)
	v_cndmask_b32_e32 v5, 0x7c, v5, vcc_lo
; %bb.979:
	s_or_b32 exec_lo, exec_lo, s13
	v_lshrrev_b32_e32 v2, 8, v2
	s_delay_alu instid0(VALU_DEP_1)
	v_and_or_b32 v2, 0x80, v2, v5
	global_store_b8 v[0:1], v2, off
.LBB488_980:
	s_mov_b32 s13, 0
.LBB488_981:
	s_delay_alu instid0(SALU_CYCLE_1)
	s_and_not1_b32 vcc_lo, exec_lo, s13
	s_mov_b32 s13, 0
	s_cbranch_vccnz .LBB488_989
; %bb.982:
	v_cmp_lt_i16_e32 vcc_lo, 14, v4
	s_mov_b32 s13, -1
	s_cbranch_vccz .LBB488_986
; %bb.983:
	v_cmp_eq_u16_e32 vcc_lo, 15, v4
	s_mov_b32 s0, -1
	s_cbranch_vccz .LBB488_985
; %bb.984:
	s_mov_b32 s0, 0
	global_store_b16 v[0:1], v3, off
.LBB488_985:
	s_mov_b32 s13, 0
.LBB488_986:
	s_delay_alu instid0(SALU_CYCLE_1)
	s_and_b32 vcc_lo, exec_lo, s13
	s_mov_b32 s13, 0
	s_cbranch_vccz .LBB488_989
; %bb.987:
	v_cmp_ne_u16_e32 vcc_lo, 11, v4
	s_and_not1_b32 s0, s0, exec_lo
	s_mov_b32 s13, -1
	s_and_b32 s17, vcc_lo, exec_lo
	s_delay_alu instid0(SALU_CYCLE_1)
	s_or_b32 s0, s0, s17
	s_branch .LBB488_989
.LBB488_988:
	s_mov_b32 s13, 0
.LBB488_989:
	s_and_not1_b32 s15, s15, exec_lo
	s_and_b32 s0, s0, exec_lo
	s_and_b32 s1, s1, exec_lo
	;; [unrolled: 1-line block ×3, first 2 shown]
	s_or_b32 s15, s15, s0
.LBB488_990:
	s_or_b32 exec_lo, exec_lo, s16
	s_and_saveexec_b32 s0, s15
	s_cbranch_execnz .LBB488_1052
; %bb.991:
	s_or_b32 exec_lo, exec_lo, s0
	s_and_saveexec_b32 s0, s17
	s_delay_alu instid0(SALU_CYCLE_1)
	s_xor_b32 s0, exec_lo, s0
	s_cbranch_execz .LBB488_993
.LBB488_992:
	s_waitcnt vmcnt(0)
	v_and_b32_e32 v2, 0x7fff, v3
	s_delay_alu instid0(VALU_DEP_1)
	v_cmp_ne_u16_e32 vcc_lo, 0, v2
	v_cndmask_b32_e64 v2, 0, 1, vcc_lo
	global_store_b8 v[0:1], v2, off
.LBB488_993:
	s_or_b32 exec_lo, exec_lo, s0
	s_and_saveexec_b32 s0, s1
	s_delay_alu instid0(SALU_CYCLE_1)
	s_xor_b32 s0, exec_lo, s0
	s_cbranch_execz .LBB488_1031
; %bb.994:
	s_waitcnt vmcnt(0)
	v_cmp_gt_i16_e32 vcc_lo, 5, v4
	s_mov_b32 s1, -1
	s_cbranch_vccnz .LBB488_1015
; %bb.995:
	v_cmp_gt_i16_e32 vcc_lo, 8, v4
	s_cbranch_vccnz .LBB488_1005
; %bb.996:
	v_cmp_gt_i16_e32 vcc_lo, 9, v4
	s_cbranch_vccnz .LBB488_1002
; %bb.997:
	v_cmp_lt_i16_e32 vcc_lo, 9, v4
	s_cbranch_vccz .LBB488_999
; %bb.998:
	v_dual_mov_b32 v7, 0 :: v_dual_lshlrev_b32 v2, 16, v3
	s_mov_b32 s1, 0
	s_delay_alu instid0(VALU_DEP_1) | instskip(NEXT) | instid1(VALU_DEP_2)
	v_cvt_f64_f32_e32 v[5:6], v2
	v_mov_b32_e32 v8, v7
	global_store_b128 v[0:1], v[5:8], off
.LBB488_999:
	s_and_not1_b32 vcc_lo, exec_lo, s1
	s_cbranch_vccnz .LBB488_1001
; %bb.1000:
	v_dual_mov_b32 v6, 0 :: v_dual_lshlrev_b32 v5, 16, v3
	global_store_b64 v[0:1], v[5:6], off
.LBB488_1001:
	s_mov_b32 s1, 0
.LBB488_1002:
	s_delay_alu instid0(SALU_CYCLE_1)
	s_and_not1_b32 vcc_lo, exec_lo, s1
	s_cbranch_vccnz .LBB488_1004
; %bb.1003:
	v_lshlrev_b32_e32 v2, 16, v3
	s_delay_alu instid0(VALU_DEP_1) | instskip(NEXT) | instid1(VALU_DEP_1)
	v_cvt_f16_f32_e32 v2, v2
	v_and_b32_e32 v2, 0xffff, v2
	global_store_b32 v[0:1], v2, off
.LBB488_1004:
	s_mov_b32 s1, 0
.LBB488_1005:
	s_delay_alu instid0(SALU_CYCLE_1)
	s_and_not1_b32 vcc_lo, exec_lo, s1
	s_cbranch_vccnz .LBB488_1014
; %bb.1006:
	v_cmp_gt_i16_e32 vcc_lo, 6, v4
	s_mov_b32 s1, -1
	s_cbranch_vccnz .LBB488_1012
; %bb.1007:
	v_cmp_lt_i16_e32 vcc_lo, 6, v4
	s_cbranch_vccz .LBB488_1009
; %bb.1008:
	v_lshlrev_b32_e32 v2, 16, v3
	s_mov_b32 s1, 0
	s_delay_alu instid0(VALU_DEP_1)
	v_cvt_f64_f32_e32 v[5:6], v2
	global_store_b64 v[0:1], v[5:6], off
.LBB488_1009:
	s_and_not1_b32 vcc_lo, exec_lo, s1
	s_cbranch_vccnz .LBB488_1011
; %bb.1010:
	v_lshlrev_b32_e32 v2, 16, v3
	global_store_b32 v[0:1], v2, off
.LBB488_1011:
	s_mov_b32 s1, 0
.LBB488_1012:
	s_delay_alu instid0(SALU_CYCLE_1)
	s_and_not1_b32 vcc_lo, exec_lo, s1
	s_cbranch_vccnz .LBB488_1014
; %bb.1013:
	v_lshlrev_b32_e32 v2, 16, v3
	s_delay_alu instid0(VALU_DEP_1)
	v_cvt_f16_f32_e32 v2, v2
	global_store_b16 v[0:1], v2, off
.LBB488_1014:
	s_mov_b32 s1, 0
.LBB488_1015:
	s_delay_alu instid0(SALU_CYCLE_1)
	s_and_not1_b32 vcc_lo, exec_lo, s1
	s_cbranch_vccnz .LBB488_1031
; %bb.1016:
	v_cmp_gt_i16_e32 vcc_lo, 2, v4
	s_mov_b32 s1, -1
	s_cbranch_vccnz .LBB488_1026
; %bb.1017:
	v_cmp_gt_i16_e32 vcc_lo, 3, v4
	s_cbranch_vccnz .LBB488_1023
; %bb.1018:
	v_cmp_lt_i16_e32 vcc_lo, 3, v4
	s_cbranch_vccz .LBB488_1020
; %bb.1019:
	v_lshlrev_b32_e32 v2, 16, v3
	s_mov_b32 s1, 0
	s_delay_alu instid0(VALU_DEP_1) | instskip(NEXT) | instid1(VALU_DEP_1)
	v_trunc_f32_e32 v2, v2
	v_mul_f32_e64 v5, 0x2f800000, |v2|
	s_delay_alu instid0(VALU_DEP_1) | instskip(NEXT) | instid1(VALU_DEP_1)
	v_floor_f32_e32 v5, v5
	v_fma_f32 v6, 0xcf800000, v5, |v2|
	v_ashrrev_i32_e32 v2, 31, v2
	v_cvt_u32_f32_e32 v5, v5
	s_delay_alu instid0(VALU_DEP_3) | instskip(NEXT) | instid1(VALU_DEP_2)
	v_cvt_u32_f32_e32 v6, v6
	v_xor_b32_e32 v7, v5, v2
	s_delay_alu instid0(VALU_DEP_2) | instskip(NEXT) | instid1(VALU_DEP_1)
	v_xor_b32_e32 v6, v6, v2
	v_sub_co_u32 v5, vcc_lo, v6, v2
	s_delay_alu instid0(VALU_DEP_3)
	v_sub_co_ci_u32_e32 v6, vcc_lo, v7, v2, vcc_lo
	global_store_b64 v[0:1], v[5:6], off
.LBB488_1020:
	s_and_not1_b32 vcc_lo, exec_lo, s1
	s_cbranch_vccnz .LBB488_1022
; %bb.1021:
	v_lshlrev_b32_e32 v2, 16, v3
	s_delay_alu instid0(VALU_DEP_1)
	v_cvt_i32_f32_e32 v2, v2
	global_store_b32 v[0:1], v2, off
.LBB488_1022:
	s_mov_b32 s1, 0
.LBB488_1023:
	s_delay_alu instid0(SALU_CYCLE_1)
	s_and_not1_b32 vcc_lo, exec_lo, s1
	s_cbranch_vccnz .LBB488_1025
; %bb.1024:
	v_lshlrev_b32_e32 v2, 16, v3
	s_delay_alu instid0(VALU_DEP_1)
	v_cvt_i32_f32_e32 v2, v2
	global_store_b16 v[0:1], v2, off
.LBB488_1025:
	s_mov_b32 s1, 0
.LBB488_1026:
	s_delay_alu instid0(SALU_CYCLE_1)
	s_and_not1_b32 vcc_lo, exec_lo, s1
	s_cbranch_vccnz .LBB488_1031
; %bb.1027:
	v_cmp_lt_i16_e32 vcc_lo, 0, v4
	s_mov_b32 s1, -1
	s_cbranch_vccz .LBB488_1029
; %bb.1028:
	v_lshlrev_b32_e32 v2, 16, v3
	s_mov_b32 s1, 0
	s_delay_alu instid0(VALU_DEP_1)
	v_cvt_i32_f32_e32 v2, v2
	global_store_b8 v[0:1], v2, off
.LBB488_1029:
	s_and_not1_b32 vcc_lo, exec_lo, s1
	s_cbranch_vccnz .LBB488_1031
; %bb.1030:
	v_lshlrev_b32_e32 v2, 16, v3
	s_delay_alu instid0(VALU_DEP_1) | instskip(NEXT) | instid1(VALU_DEP_1)
	v_trunc_f32_e32 v2, v2
	v_mul_f32_e64 v3, 0x2f800000, |v2|
	s_delay_alu instid0(VALU_DEP_1) | instskip(NEXT) | instid1(VALU_DEP_1)
	v_floor_f32_e32 v3, v3
	v_fma_f32 v3, 0xcf800000, v3, |v2|
	v_ashrrev_i32_e32 v2, 31, v2
	s_delay_alu instid0(VALU_DEP_2) | instskip(NEXT) | instid1(VALU_DEP_1)
	v_cvt_u32_f32_e32 v3, v3
	v_xor_b32_e32 v3, v3, v2
	s_delay_alu instid0(VALU_DEP_1)
	v_sub_nc_u32_e32 v2, v3, v2
	global_store_b8 v[0:1], v2, off
.LBB488_1031:
	s_or_b32 exec_lo, exec_lo, s0
	s_delay_alu instid0(SALU_CYCLE_1)
	s_and_b32 s13, s14, exec_lo
                                        ; implicit-def: $vgpr2
.LBB488_1032:
	s_or_saveexec_b32 s12, s12
	s_mov_b32 s0, 0
                                        ; implicit-def: $vgpr3
                                        ; implicit-def: $vgpr0_vgpr1
                                        ; implicit-def: $vgpr4
	s_xor_b32 exec_lo, exec_lo, s12
	s_cbranch_execz .LBB488_1997
; %bb.1033:
	s_waitcnt vmcnt(0)
	v_mul_lo_u32 v3, s3, v2
	v_cmp_lt_i16_e64 s0, s10, 11
	s_delay_alu instid0(VALU_DEP_2) | instskip(SKIP_1) | instid1(VALU_DEP_2)
	v_ashrrev_i32_e32 v1, 31, v3
	v_add_co_u32 v0, vcc_lo, s6, v3
	v_add_co_ci_u32_e32 v1, vcc_lo, s7, v1, vcc_lo
	s_delay_alu instid0(VALU_DEP_4)
	s_and_b32 vcc_lo, exec_lo, s0
	s_cbranch_vccnz .LBB488_1040
; %bb.1034:
	v_cmp_gt_i16_e64 s0, s10, 25
	s_mov_b32 s1, 0
	s_delay_alu instid0(VALU_DEP_1)
	s_and_b32 vcc_lo, exec_lo, s0
	s_cbranch_vccz .LBB488_1046
; %bb.1035:
	v_cmp_gt_i16_e64 s0, s10, 28
	s_delay_alu instid0(VALU_DEP_1)
	s_and_b32 vcc_lo, exec_lo, s0
	s_cbranch_vccz .LBB488_1048
; %bb.1036:
	v_cmp_gt_i16_e64 s0, s10, 43
	;; [unrolled: 5-line block ×3, first 2 shown]
	s_delay_alu instid0(VALU_DEP_1)
	s_and_b32 vcc_lo, exec_lo, s0
	s_cbranch_vccz .LBB488_1054
; %bb.1038:
	v_cmp_eq_u16_e64 s0, s10, 46
	s_delay_alu instid0(VALU_DEP_1)
	s_and_b32 vcc_lo, exec_lo, s0
	s_cbranch_vccz .LBB488_1094
; %bb.1039:
	global_load_b32 v4, v[0:1], off
	s_mov_b32 s0, 0
	s_mov_b32 s14, -1
	s_branch .LBB488_1096
.LBB488_1040:
	s_mov_b32 s14, 0
	s_mov_b32 s11, s13
                                        ; implicit-def: $vgpr4
	s_cbranch_execz .LBB488_1159
; %bb.1041:
	v_cmp_lt_i16_e64 s0, s10, 5
	s_delay_alu instid0(VALU_DEP_1)
	s_and_b32 vcc_lo, exec_lo, s0
	s_cbranch_vccnz .LBB488_1047
; %bb.1042:
	v_cmp_lt_i16_e64 s0, s10, 8
	s_delay_alu instid0(VALU_DEP_1)
	s_and_b32 vcc_lo, exec_lo, s0
	s_cbranch_vccnz .LBB488_1049
	;; [unrolled: 5-line block ×3, first 2 shown]
; %bb.1044:
	v_cmp_gt_i16_e64 s0, s10, 9
	s_delay_alu instid0(VALU_DEP_1)
	s_and_b32 vcc_lo, exec_lo, s0
	s_cbranch_vccz .LBB488_1055
; %bb.1045:
	global_load_b64 v[4:5], v[0:1], off
	s_mov_b32 s0, 0
	s_waitcnt vmcnt(0)
	v_cvt_f32_f64_e32 v4, v[4:5]
	s_delay_alu instid0(VALU_DEP_1) | instskip(SKIP_1) | instid1(VALU_DEP_2)
	v_bfe_u32 v5, v4, 16, 1
	v_cmp_o_f32_e32 vcc_lo, v4, v4
	v_add3_u32 v5, v4, v5, 0x7fff
	s_delay_alu instid0(VALU_DEP_1) | instskip(NEXT) | instid1(VALU_DEP_1)
	v_lshrrev_b32_e32 v5, 16, v5
	v_cndmask_b32_e32 v4, 0x7fc0, v5, vcc_lo
	s_branch .LBB488_1056
.LBB488_1046:
	s_mov_b32 s14, 0
	s_mov_b32 s0, 0
                                        ; implicit-def: $vgpr4
	s_cbranch_execnz .LBB488_1124
	s_branch .LBB488_1155
.LBB488_1047:
                                        ; implicit-def: $vgpr4
	s_branch .LBB488_1073
.LBB488_1048:
	s_mov_b32 s11, -1
	s_mov_b32 s14, 0
	s_mov_b32 s0, 0
                                        ; implicit-def: $vgpr4
	s_branch .LBB488_1105
.LBB488_1049:
                                        ; implicit-def: $vgpr4
	s_branch .LBB488_1062
.LBB488_1050:
	s_mov_b32 s14, 0
	s_mov_b32 s0, 0
                                        ; implicit-def: $vgpr4
	s_cbranch_execnz .LBB488_1101
	s_branch .LBB488_1104
.LBB488_1051:
	s_mov_b32 s0, -1
                                        ; implicit-def: $vgpr4
	s_branch .LBB488_1059
.LBB488_1052:
	s_cbranch_execnz .LBB488_1092
; %bb.1053:
	s_or_b32 s14, s14, exec_lo
	s_and_not1_b32 s17, s17, exec_lo
	s_or_b32 exec_lo, exec_lo, s0
	s_and_saveexec_b32 s0, s17
	s_delay_alu instid0(SALU_CYCLE_1)
	s_xor_b32 s0, exec_lo, s0
	s_cbranch_execnz .LBB488_992
	s_branch .LBB488_993
.LBB488_1054:
	s_mov_b32 s11, -1
	s_mov_b32 s14, 0
	s_mov_b32 s0, 0
	s_branch .LBB488_1095
.LBB488_1055:
	s_mov_b32 s0, -1
                                        ; implicit-def: $vgpr4
.LBB488_1056:
	s_delay_alu instid0(SALU_CYCLE_1)
	s_and_not1_b32 vcc_lo, exec_lo, s0
	s_cbranch_vccnz .LBB488_1058
; %bb.1057:
	global_load_b32 v4, v[0:1], off
	s_waitcnt vmcnt(0)
	v_bfe_u32 v5, v4, 16, 1
	v_cmp_o_f32_e32 vcc_lo, v4, v4
	s_delay_alu instid0(VALU_DEP_2) | instskip(NEXT) | instid1(VALU_DEP_1)
	v_add3_u32 v5, v4, v5, 0x7fff
	v_lshrrev_b32_e32 v5, 16, v5
	s_delay_alu instid0(VALU_DEP_1)
	v_cndmask_b32_e32 v4, 0x7fc0, v5, vcc_lo
.LBB488_1058:
	s_mov_b32 s0, 0
.LBB488_1059:
	s_delay_alu instid0(SALU_CYCLE_1)
	s_and_not1_b32 vcc_lo, exec_lo, s0
	s_cbranch_vccnz .LBB488_1061
; %bb.1060:
	global_load_b32 v4, v[0:1], off
	s_waitcnt vmcnt(0)
	v_cvt_f32_f16_e32 v5, v4
	v_cmp_o_f16_e32 vcc_lo, v4, v4
	s_delay_alu instid0(VALU_DEP_2) | instskip(NEXT) | instid1(VALU_DEP_1)
	v_bfe_u32 v6, v5, 16, 1
	v_add3_u32 v5, v5, v6, 0x7fff
	s_delay_alu instid0(VALU_DEP_1) | instskip(NEXT) | instid1(VALU_DEP_1)
	v_lshrrev_b32_e32 v5, 16, v5
	v_cndmask_b32_e32 v4, 0x7fc0, v5, vcc_lo
.LBB488_1061:
	s_cbranch_execnz .LBB488_1072
.LBB488_1062:
	v_cmp_lt_i16_e64 s0, s10, 6
	s_delay_alu instid0(VALU_DEP_1)
	s_and_b32 vcc_lo, exec_lo, s0
	s_cbranch_vccnz .LBB488_1065
; %bb.1063:
	v_cmp_gt_i16_e64 s0, s10, 6
	s_delay_alu instid0(VALU_DEP_1)
	s_and_b32 vcc_lo, exec_lo, s0
	s_cbranch_vccz .LBB488_1066
; %bb.1064:
	global_load_b64 v[4:5], v[0:1], off
	s_mov_b32 s0, 0
	s_waitcnt vmcnt(0)
	v_cvt_f32_f64_e32 v4, v[4:5]
	s_delay_alu instid0(VALU_DEP_1) | instskip(SKIP_1) | instid1(VALU_DEP_2)
	v_bfe_u32 v5, v4, 16, 1
	v_cmp_o_f32_e32 vcc_lo, v4, v4
	v_add3_u32 v5, v4, v5, 0x7fff
	s_delay_alu instid0(VALU_DEP_1) | instskip(NEXT) | instid1(VALU_DEP_1)
	v_lshrrev_b32_e32 v5, 16, v5
	v_cndmask_b32_e32 v4, 0x7fc0, v5, vcc_lo
	s_branch .LBB488_1067
.LBB488_1065:
	s_mov_b32 s0, -1
                                        ; implicit-def: $vgpr4
	s_branch .LBB488_1070
.LBB488_1066:
	s_mov_b32 s0, -1
                                        ; implicit-def: $vgpr4
.LBB488_1067:
	s_delay_alu instid0(SALU_CYCLE_1)
	s_and_not1_b32 vcc_lo, exec_lo, s0
	s_cbranch_vccnz .LBB488_1069
; %bb.1068:
	global_load_b32 v4, v[0:1], off
	s_waitcnt vmcnt(0)
	v_bfe_u32 v5, v4, 16, 1
	v_cmp_o_f32_e32 vcc_lo, v4, v4
	s_delay_alu instid0(VALU_DEP_2) | instskip(NEXT) | instid1(VALU_DEP_1)
	v_add3_u32 v5, v4, v5, 0x7fff
	v_lshrrev_b32_e32 v5, 16, v5
	s_delay_alu instid0(VALU_DEP_1)
	v_cndmask_b32_e32 v4, 0x7fc0, v5, vcc_lo
.LBB488_1069:
	s_mov_b32 s0, 0
.LBB488_1070:
	s_delay_alu instid0(SALU_CYCLE_1)
	s_and_not1_b32 vcc_lo, exec_lo, s0
	s_cbranch_vccnz .LBB488_1072
; %bb.1071:
	global_load_u16 v4, v[0:1], off
	s_waitcnt vmcnt(0)
	v_cvt_f32_f16_e32 v5, v4
	v_cmp_o_f16_e32 vcc_lo, v4, v4
	s_delay_alu instid0(VALU_DEP_2) | instskip(NEXT) | instid1(VALU_DEP_1)
	v_bfe_u32 v6, v5, 16, 1
	v_add3_u32 v5, v5, v6, 0x7fff
	s_delay_alu instid0(VALU_DEP_1) | instskip(NEXT) | instid1(VALU_DEP_1)
	v_lshrrev_b32_e32 v5, 16, v5
	v_cndmask_b32_e32 v4, 0x7fc0, v5, vcc_lo
.LBB488_1072:
	s_cbranch_execnz .LBB488_1091
.LBB488_1073:
	v_cmp_lt_i16_e64 s0, s10, 2
	s_delay_alu instid0(VALU_DEP_1)
	s_and_b32 vcc_lo, exec_lo, s0
	s_cbranch_vccnz .LBB488_1077
; %bb.1074:
	v_cmp_lt_i16_e64 s0, s10, 3
	s_delay_alu instid0(VALU_DEP_1)
	s_and_b32 vcc_lo, exec_lo, s0
	s_cbranch_vccnz .LBB488_1078
; %bb.1075:
	v_cmp_gt_i16_e64 s0, s10, 3
	s_delay_alu instid0(VALU_DEP_1)
	s_and_b32 vcc_lo, exec_lo, s0
	s_cbranch_vccz .LBB488_1079
; %bb.1076:
	global_load_b64 v[4:5], v[0:1], off
	s_mov_b32 s0, 0
	s_waitcnt vmcnt(0)
	v_xor_b32_e32 v6, v4, v5
	v_cls_i32_e32 v7, v5
	s_delay_alu instid0(VALU_DEP_2) | instskip(NEXT) | instid1(VALU_DEP_2)
	v_ashrrev_i32_e32 v6, 31, v6
	v_add_nc_u32_e32 v7, -1, v7
	s_delay_alu instid0(VALU_DEP_2) | instskip(NEXT) | instid1(VALU_DEP_1)
	v_add_nc_u32_e32 v6, 32, v6
	v_min_u32_e32 v6, v7, v6
	s_delay_alu instid0(VALU_DEP_1) | instskip(NEXT) | instid1(VALU_DEP_1)
	v_lshlrev_b64 v[4:5], v6, v[4:5]
	v_min_u32_e32 v4, 1, v4
	s_delay_alu instid0(VALU_DEP_1) | instskip(SKIP_1) | instid1(VALU_DEP_2)
	v_or_b32_e32 v4, v5, v4
	v_sub_nc_u32_e32 v5, 32, v6
	v_cvt_f32_i32_e32 v4, v4
	s_delay_alu instid0(VALU_DEP_1) | instskip(NEXT) | instid1(VALU_DEP_1)
	v_ldexp_f32 v4, v4, v5
	v_bfe_u32 v5, v4, 16, 1
	s_delay_alu instid0(VALU_DEP_1) | instskip(NEXT) | instid1(VALU_DEP_1)
	v_add3_u32 v4, v4, v5, 0x7fff
	v_lshrrev_b32_e32 v4, 16, v4
	s_branch .LBB488_1080
.LBB488_1077:
                                        ; implicit-def: $vgpr4
	s_branch .LBB488_1086
.LBB488_1078:
	s_mov_b32 s0, -1
                                        ; implicit-def: $vgpr4
	s_branch .LBB488_1083
.LBB488_1079:
	s_mov_b32 s0, -1
                                        ; implicit-def: $vgpr4
.LBB488_1080:
	s_delay_alu instid0(SALU_CYCLE_1)
	s_and_not1_b32 vcc_lo, exec_lo, s0
	s_cbranch_vccnz .LBB488_1082
; %bb.1081:
	global_load_b32 v4, v[0:1], off
	s_waitcnt vmcnt(0)
	v_cvt_f32_i32_e32 v4, v4
	s_delay_alu instid0(VALU_DEP_1) | instskip(NEXT) | instid1(VALU_DEP_1)
	v_bfe_u32 v5, v4, 16, 1
	v_add3_u32 v4, v4, v5, 0x7fff
	s_delay_alu instid0(VALU_DEP_1)
	v_lshrrev_b32_e32 v4, 16, v4
.LBB488_1082:
	s_mov_b32 s0, 0
.LBB488_1083:
	s_delay_alu instid0(SALU_CYCLE_1)
	s_and_not1_b32 vcc_lo, exec_lo, s0
	s_cbranch_vccnz .LBB488_1085
; %bb.1084:
	global_load_i16 v4, v[0:1], off
	s_waitcnt vmcnt(0)
	v_cvt_f32_i32_e32 v4, v4
	s_delay_alu instid0(VALU_DEP_1) | instskip(NEXT) | instid1(VALU_DEP_1)
	v_bfe_u32 v5, v4, 16, 1
	v_add3_u32 v4, v4, v5, 0x7fff
	s_delay_alu instid0(VALU_DEP_1)
	v_lshrrev_b32_e32 v4, 16, v4
.LBB488_1085:
	s_cbranch_execnz .LBB488_1091
.LBB488_1086:
	v_cmp_gt_i16_e64 s0, s10, 0
	s_delay_alu instid0(VALU_DEP_1)
	s_and_b32 vcc_lo, exec_lo, s0
	s_mov_b32 s0, 0
	s_cbranch_vccz .LBB488_1088
; %bb.1087:
	global_load_i8 v4, v[0:1], off
	s_waitcnt vmcnt(0)
	v_cvt_f32_i32_e32 v4, v4
	s_delay_alu instid0(VALU_DEP_1) | instskip(NEXT) | instid1(VALU_DEP_1)
	v_bfe_u32 v5, v4, 16, 1
	v_add3_u32 v4, v4, v5, 0x7fff
	s_delay_alu instid0(VALU_DEP_1)
	v_lshrrev_b32_e32 v4, 16, v4
	s_branch .LBB488_1089
.LBB488_1088:
	s_mov_b32 s0, -1
                                        ; implicit-def: $vgpr4
.LBB488_1089:
	s_delay_alu instid0(SALU_CYCLE_1)
	s_and_not1_b32 vcc_lo, exec_lo, s0
	s_cbranch_vccnz .LBB488_1091
; %bb.1090:
	global_load_u8 v0, v[0:1], off
	s_waitcnt vmcnt(0)
	v_cvt_f32_ubyte0_e32 v0, v0
	s_delay_alu instid0(VALU_DEP_1) | instskip(NEXT) | instid1(VALU_DEP_1)
	v_bfe_u32 v1, v0, 16, 1
	v_add3_u32 v0, v0, v1, 0x7fff
	s_delay_alu instid0(VALU_DEP_1)
	v_lshrrev_b32_e32 v4, 16, v0
.LBB488_1091:
	s_branch .LBB488_1160
.LBB488_1092:
	s_trap 2
	s_sendmsg_rtn_b32 s0, sendmsg(MSG_RTN_GET_DOORBELL)
	s_mov_b32 ttmp2, m0
	s_waitcnt lgkmcnt(0)
	s_and_b32 s0, s0, 0x3ff
	s_delay_alu instid0(SALU_CYCLE_1) | instskip(NEXT) | instid1(SALU_CYCLE_1)
	s_bitset1_b32 s0, 10
	s_mov_b32 m0, s0
	s_sendmsg sendmsg(MSG_INTERRUPT)
	s_mov_b32 m0, ttmp2
.LBB488_1093:                           ; =>This Inner Loop Header: Depth=1
	s_sethalt 5
	s_branch .LBB488_1093
.LBB488_1094:
	s_mov_b32 s0, -1
	s_mov_b32 s14, 0
.LBB488_1095:
                                        ; implicit-def: $vgpr4
.LBB488_1096:
	s_and_b32 vcc_lo, exec_lo, s11
	s_cbranch_vccz .LBB488_1099
; %bb.1097:
	v_cmp_eq_u16_e64 s0, s10, 44
	s_delay_alu instid0(VALU_DEP_1)
	s_and_b32 vcc_lo, exec_lo, s0
	s_cbranch_vccz .LBB488_1100
; %bb.1098:
	global_load_u8 v4, v[0:1], off
	s_mov_b32 s0, 0
	s_mov_b32 s14, -1
	s_waitcnt vmcnt(0)
	v_lshlrev_b32_e32 v5, 23, v4
	v_cmp_ne_u32_e32 vcc_lo, 0xff, v4
	s_delay_alu instid0(VALU_DEP_2) | instskip(SKIP_1) | instid1(VALU_DEP_2)
	v_cndmask_b32_e32 v5, 0x7f800001, v5, vcc_lo
	v_cmp_ne_u32_e32 vcc_lo, 0, v4
	v_cndmask_b32_e32 v4, 0x400000, v5, vcc_lo
	s_delay_alu instid0(VALU_DEP_1) | instskip(SKIP_1) | instid1(VALU_DEP_2)
	v_add_nc_u32_e32 v5, 0x7fff, v4
	v_cmp_o_f32_e32 vcc_lo, v4, v4
	v_lshrrev_b32_e32 v5, 16, v5
	s_delay_alu instid0(VALU_DEP_1)
	v_cndmask_b32_e32 v4, 0x7fc0, v5, vcc_lo
.LBB488_1099:
	s_branch .LBB488_1104
.LBB488_1100:
	s_mov_b32 s0, -1
                                        ; implicit-def: $vgpr4
	s_branch .LBB488_1104
.LBB488_1101:
	v_cmp_eq_u16_e64 s0, s10, 29
	s_delay_alu instid0(VALU_DEP_1)
	s_and_b32 vcc_lo, exec_lo, s0
	s_cbranch_vccz .LBB488_1103
; %bb.1102:
	global_load_b64 v[4:5], v[0:1], off
	s_mov_b32 s0, 0
	s_mov_b32 s14, -1
	s_mov_b32 s11, 0
	s_waitcnt vmcnt(0)
	v_clz_i32_u32_e32 v6, v5
	s_delay_alu instid0(VALU_DEP_1) | instskip(NEXT) | instid1(VALU_DEP_1)
	v_min_u32_e32 v6, 32, v6
	v_lshlrev_b64 v[4:5], v6, v[4:5]
	s_delay_alu instid0(VALU_DEP_1) | instskip(NEXT) | instid1(VALU_DEP_1)
	v_min_u32_e32 v4, 1, v4
	v_or_b32_e32 v4, v5, v4
	v_sub_nc_u32_e32 v5, 32, v6
	s_delay_alu instid0(VALU_DEP_2) | instskip(NEXT) | instid1(VALU_DEP_1)
	v_cvt_f32_u32_e32 v4, v4
	v_ldexp_f32 v4, v4, v5
	s_delay_alu instid0(VALU_DEP_1) | instskip(NEXT) | instid1(VALU_DEP_1)
	v_bfe_u32 v5, v4, 16, 1
	v_add3_u32 v4, v4, v5, 0x7fff
	s_delay_alu instid0(VALU_DEP_1)
	v_lshrrev_b32_e32 v4, 16, v4
	s_branch .LBB488_1105
.LBB488_1103:
	s_mov_b32 s0, -1
                                        ; implicit-def: $vgpr4
.LBB488_1104:
	s_mov_b32 s11, 0
.LBB488_1105:
	s_delay_alu instid0(SALU_CYCLE_1)
	s_and_b32 vcc_lo, exec_lo, s11
	s_cbranch_vccz .LBB488_1123
; %bb.1106:
	v_cmp_lt_i16_e64 s11, s10, 27
	s_delay_alu instid0(VALU_DEP_1)
	s_and_b32 vcc_lo, exec_lo, s11
	s_cbranch_vccnz .LBB488_1109
; %bb.1107:
	v_cmp_gt_i16_e64 s11, s10, 27
	s_delay_alu instid0(VALU_DEP_1)
	s_and_b32 vcc_lo, exec_lo, s11
	s_cbranch_vccz .LBB488_1110
; %bb.1108:
	global_load_b32 v4, v[0:1], off
	s_mov_b32 s11, 0
	s_waitcnt vmcnt(0)
	v_cvt_f32_u32_e32 v4, v4
	s_delay_alu instid0(VALU_DEP_1) | instskip(NEXT) | instid1(VALU_DEP_1)
	v_bfe_u32 v5, v4, 16, 1
	v_add3_u32 v4, v4, v5, 0x7fff
	s_delay_alu instid0(VALU_DEP_1)
	v_lshrrev_b32_e32 v4, 16, v4
	s_branch .LBB488_1111
.LBB488_1109:
	s_mov_b32 s11, -1
                                        ; implicit-def: $vgpr4
	s_branch .LBB488_1114
.LBB488_1110:
	s_mov_b32 s11, -1
                                        ; implicit-def: $vgpr4
.LBB488_1111:
	s_delay_alu instid0(SALU_CYCLE_1)
	s_and_not1_b32 vcc_lo, exec_lo, s11
	s_cbranch_vccnz .LBB488_1113
; %bb.1112:
	global_load_u16 v4, v[0:1], off
	s_waitcnt vmcnt(0)
	v_cvt_f32_u32_e32 v4, v4
	s_delay_alu instid0(VALU_DEP_1) | instskip(NEXT) | instid1(VALU_DEP_1)
	v_bfe_u32 v5, v4, 16, 1
	v_add3_u32 v4, v4, v5, 0x7fff
	s_delay_alu instid0(VALU_DEP_1)
	v_lshrrev_b32_e32 v4, 16, v4
.LBB488_1113:
	s_mov_b32 s11, 0
.LBB488_1114:
	s_delay_alu instid0(SALU_CYCLE_1)
	s_and_not1_b32 vcc_lo, exec_lo, s11
	s_cbranch_vccnz .LBB488_1122
; %bb.1115:
	global_load_u8 v4, v[0:1], off
	s_mov_b32 s11, 0
	s_mov_b32 s15, exec_lo
                                        ; implicit-def: $sgpr14
	s_waitcnt vmcnt(0)
	v_cmpx_lt_i16_e32 0x7f, v4
	s_xor_b32 s15, exec_lo, s15
	s_cbranch_execz .LBB488_1135
; %bb.1116:
	s_mov_b32 s11, -1
	s_mov_b32 s16, exec_lo
                                        ; implicit-def: $sgpr14
	v_cmpx_eq_u16_e32 0x80, v4
; %bb.1117:
	s_mov_b32 s14, 0x7f800001
	s_xor_b32 s11, exec_lo, -1
; %bb.1118:
	s_or_b32 exec_lo, exec_lo, s16
	s_delay_alu instid0(SALU_CYCLE_1)
	s_and_b32 s11, s11, exec_lo
	s_or_saveexec_b32 s15, s15
	v_mov_b32_e32 v5, s14
	s_xor_b32 exec_lo, exec_lo, s15
	s_cbranch_execnz .LBB488_1136
.LBB488_1119:
	s_or_b32 exec_lo, exec_lo, s15
	s_and_saveexec_b32 s14, s11
	s_cbranch_execz .LBB488_1121
.LBB488_1120:
	v_and_b32_e32 v5, 0xffff, v4
	v_lshlrev_b32_e32 v4, 24, v4
	s_delay_alu instid0(VALU_DEP_2) | instskip(NEXT) | instid1(VALU_DEP_2)
	v_and_b32_e32 v6, 7, v5
	v_and_b32_e32 v4, 0x80000000, v4
	s_delay_alu instid0(VALU_DEP_2) | instskip(NEXT) | instid1(VALU_DEP_1)
	v_clz_i32_u32_e32 v7, v6
	v_min_u32_e32 v7, 32, v7
	s_delay_alu instid0(VALU_DEP_1) | instskip(SKIP_1) | instid1(VALU_DEP_2)
	v_subrev_nc_u32_e32 v8, 28, v7
	v_sub_nc_u32_e32 v7, 29, v7
	v_lshlrev_b32_e32 v8, v8, v5
	v_bfe_u32 v5, v5, 3, 4
	s_delay_alu instid0(VALU_DEP_2) | instskip(NEXT) | instid1(VALU_DEP_2)
	v_and_b32_e32 v8, 7, v8
	v_cmp_eq_u32_e32 vcc_lo, 0, v5
	s_delay_alu instid0(VALU_DEP_2) | instskip(NEXT) | instid1(VALU_DEP_1)
	v_dual_cndmask_b32 v5, v5, v7 :: v_dual_cndmask_b32 v6, v6, v8
	v_lshl_add_u32 v5, v5, 23, 0x3b800000
	s_delay_alu instid0(VALU_DEP_2) | instskip(NEXT) | instid1(VALU_DEP_1)
	v_lshlrev_b32_e32 v6, 20, v6
	v_or3_b32 v5, v4, v5, v6
.LBB488_1121:
	s_or_b32 exec_lo, exec_lo, s14
	s_delay_alu instid0(VALU_DEP_1) | instskip(SKIP_1) | instid1(VALU_DEP_2)
	v_bfe_u32 v4, v5, 16, 1
	v_cmp_o_f32_e32 vcc_lo, v5, v5
	v_add3_u32 v4, v5, v4, 0x7fff
	s_delay_alu instid0(VALU_DEP_1) | instskip(NEXT) | instid1(VALU_DEP_1)
	v_lshrrev_b32_e32 v4, 16, v4
	v_cndmask_b32_e32 v4, 0x7fc0, v4, vcc_lo
.LBB488_1122:
	s_mov_b32 s14, -1
.LBB488_1123:
	s_branch .LBB488_1155
.LBB488_1124:
	v_cmp_gt_i16_e64 s1, s10, 22
	s_delay_alu instid0(VALU_DEP_1)
	s_and_b32 vcc_lo, exec_lo, s1
	s_cbranch_vccz .LBB488_1134
; %bb.1125:
	v_cmp_lt_i16_e64 s1, s10, 24
	s_delay_alu instid0(VALU_DEP_1)
	s_and_b32 vcc_lo, exec_lo, s1
	s_cbranch_vccnz .LBB488_1137
; %bb.1126:
	v_cmp_gt_i16_e64 s1, s10, 24
	s_delay_alu instid0(VALU_DEP_1)
	s_and_b32 vcc_lo, exec_lo, s1
	s_cbranch_vccz .LBB488_1138
; %bb.1127:
	global_load_u8 v4, v[0:1], off
	s_mov_b32 s1, 0
	s_mov_b32 s14, exec_lo
                                        ; implicit-def: $sgpr11
	s_waitcnt vmcnt(0)
	v_cmpx_lt_i16_e32 0x7f, v4
	s_xor_b32 s14, exec_lo, s14
	s_cbranch_execz .LBB488_1149
; %bb.1128:
	s_mov_b32 s1, -1
	s_mov_b32 s15, exec_lo
                                        ; implicit-def: $sgpr11
	v_cmpx_eq_u16_e32 0x80, v4
; %bb.1129:
	s_mov_b32 s11, 0x7f800001
	s_xor_b32 s1, exec_lo, -1
; %bb.1130:
	s_or_b32 exec_lo, exec_lo, s15
	s_delay_alu instid0(SALU_CYCLE_1)
	s_and_b32 s1, s1, exec_lo
	s_or_saveexec_b32 s14, s14
	v_mov_b32_e32 v5, s11
	s_xor_b32 exec_lo, exec_lo, s14
	s_cbranch_execnz .LBB488_1150
.LBB488_1131:
	s_or_b32 exec_lo, exec_lo, s14
	s_and_saveexec_b32 s11, s1
	s_cbranch_execz .LBB488_1133
.LBB488_1132:
	v_and_b32_e32 v5, 0xffff, v4
	v_lshlrev_b32_e32 v4, 24, v4
	s_delay_alu instid0(VALU_DEP_2) | instskip(NEXT) | instid1(VALU_DEP_2)
	v_and_b32_e32 v6, 3, v5
	v_and_b32_e32 v4, 0x80000000, v4
	s_delay_alu instid0(VALU_DEP_2) | instskip(NEXT) | instid1(VALU_DEP_1)
	v_clz_i32_u32_e32 v7, v6
	v_min_u32_e32 v7, 32, v7
	s_delay_alu instid0(VALU_DEP_1) | instskip(SKIP_1) | instid1(VALU_DEP_2)
	v_subrev_nc_u32_e32 v8, 29, v7
	v_sub_nc_u32_e32 v7, 30, v7
	v_lshlrev_b32_e32 v8, v8, v5
	v_bfe_u32 v5, v5, 2, 5
	s_delay_alu instid0(VALU_DEP_2) | instskip(NEXT) | instid1(VALU_DEP_2)
	v_and_b32_e32 v8, 3, v8
	v_cmp_eq_u32_e32 vcc_lo, 0, v5
	s_delay_alu instid0(VALU_DEP_2) | instskip(NEXT) | instid1(VALU_DEP_1)
	v_dual_cndmask_b32 v5, v5, v7 :: v_dual_cndmask_b32 v6, v6, v8
	v_lshl_add_u32 v5, v5, 23, 0x37800000
	s_delay_alu instid0(VALU_DEP_2) | instskip(NEXT) | instid1(VALU_DEP_1)
	v_lshlrev_b32_e32 v6, 21, v6
	v_or3_b32 v5, v4, v5, v6
.LBB488_1133:
	s_or_b32 exec_lo, exec_lo, s11
	s_delay_alu instid0(VALU_DEP_1) | instskip(SKIP_2) | instid1(VALU_DEP_2)
	v_bfe_u32 v4, v5, 16, 1
	v_cmp_o_f32_e32 vcc_lo, v5, v5
	s_mov_b32 s1, 0
	v_add3_u32 v4, v5, v4, 0x7fff
	s_delay_alu instid0(VALU_DEP_1) | instskip(NEXT) | instid1(VALU_DEP_1)
	v_lshrrev_b32_e32 v4, 16, v4
	v_cndmask_b32_e32 v4, 0x7fc0, v4, vcc_lo
	s_branch .LBB488_1139
.LBB488_1134:
                                        ; implicit-def: $vgpr4
	s_mov_b32 s1, 0
	s_branch .LBB488_1145
.LBB488_1135:
	s_or_saveexec_b32 s15, s15
	v_mov_b32_e32 v5, s14
	s_xor_b32 exec_lo, exec_lo, s15
	s_cbranch_execz .LBB488_1119
.LBB488_1136:
	v_cmp_ne_u16_e32 vcc_lo, 0, v4
	v_mov_b32_e32 v5, 0
	s_and_not1_b32 s11, s11, exec_lo
	s_and_b32 s14, vcc_lo, exec_lo
	s_delay_alu instid0(SALU_CYCLE_1)
	s_or_b32 s11, s11, s14
	s_or_b32 exec_lo, exec_lo, s15
	s_and_saveexec_b32 s14, s11
	s_cbranch_execnz .LBB488_1120
	s_branch .LBB488_1121
.LBB488_1137:
	s_mov_b32 s1, -1
                                        ; implicit-def: $vgpr4
	s_branch .LBB488_1142
.LBB488_1138:
	s_mov_b32 s1, -1
                                        ; implicit-def: $vgpr4
.LBB488_1139:
	s_delay_alu instid0(SALU_CYCLE_1)
	s_and_b32 vcc_lo, exec_lo, s1
	s_cbranch_vccz .LBB488_1141
; %bb.1140:
	global_load_u8 v4, v[0:1], off
	s_waitcnt vmcnt(0)
	v_lshlrev_b32_e32 v4, 24, v4
	s_delay_alu instid0(VALU_DEP_1) | instskip(NEXT) | instid1(VALU_DEP_1)
	v_and_b32_e32 v5, 0x7f000000, v4
	v_clz_i32_u32_e32 v6, v5
	v_add_nc_u32_e32 v8, 0x1000000, v5
	v_cmp_ne_u32_e32 vcc_lo, 0, v5
	s_delay_alu instid0(VALU_DEP_3) | instskip(NEXT) | instid1(VALU_DEP_1)
	v_min_u32_e32 v6, 32, v6
	v_sub_nc_u32_e64 v6, v6, 4 clamp
	s_delay_alu instid0(VALU_DEP_1) | instskip(SKIP_1) | instid1(VALU_DEP_2)
	v_lshlrev_b32_e32 v7, v6, v5
	v_lshlrev_b32_e32 v6, 23, v6
	v_lshrrev_b32_e32 v7, 4, v7
	s_delay_alu instid0(VALU_DEP_1) | instskip(SKIP_1) | instid1(VALU_DEP_2)
	v_sub_nc_u32_e32 v6, v7, v6
	v_ashrrev_i32_e32 v7, 8, v8
	v_add_nc_u32_e32 v6, 0x3c000000, v6
	s_delay_alu instid0(VALU_DEP_1) | instskip(NEXT) | instid1(VALU_DEP_1)
	v_and_or_b32 v6, 0x7f800000, v7, v6
	v_cndmask_b32_e32 v5, 0, v6, vcc_lo
	s_delay_alu instid0(VALU_DEP_1) | instskip(SKIP_1) | instid1(VALU_DEP_2)
	v_and_or_b32 v4, 0x80000000, v4, v5
	v_bfe_u32 v5, v5, 16, 1
	v_cmp_o_f32_e32 vcc_lo, v4, v4
	s_delay_alu instid0(VALU_DEP_2) | instskip(NEXT) | instid1(VALU_DEP_1)
	v_add3_u32 v5, v4, v5, 0x7fff
	v_lshrrev_b32_e32 v5, 16, v5
	s_delay_alu instid0(VALU_DEP_1)
	v_cndmask_b32_e32 v4, 0x7fc0, v5, vcc_lo
.LBB488_1141:
	s_mov_b32 s1, 0
.LBB488_1142:
	s_delay_alu instid0(SALU_CYCLE_1)
	s_and_not1_b32 vcc_lo, exec_lo, s1
	s_cbranch_vccnz .LBB488_1144
; %bb.1143:
	global_load_u8 v4, v[0:1], off
	s_waitcnt vmcnt(0)
	v_lshlrev_b32_e32 v5, 25, v4
	v_lshlrev_b16 v4, 8, v4
	s_delay_alu instid0(VALU_DEP_2) | instskip(NEXT) | instid1(VALU_DEP_2)
	v_lshrrev_b32_e32 v6, 4, v5
	v_and_or_b32 v7, 0x7f00, v4, 0.5
	v_bfe_i32 v4, v4, 0, 16
	s_delay_alu instid0(VALU_DEP_3) | instskip(NEXT) | instid1(VALU_DEP_1)
	v_or_b32_e32 v6, 0x70000000, v6
	v_dual_add_f32 v7, -0.5, v7 :: v_dual_mul_f32 v6, 0x7800000, v6
	v_cmp_gt_u32_e32 vcc_lo, 0x8000000, v5
	s_delay_alu instid0(VALU_DEP_2) | instskip(NEXT) | instid1(VALU_DEP_1)
	v_cndmask_b32_e32 v5, v6, v7, vcc_lo
	v_and_or_b32 v4, 0x80000000, v4, v5
	v_bfe_u32 v5, v5, 16, 1
	s_delay_alu instid0(VALU_DEP_2) | instskip(NEXT) | instid1(VALU_DEP_2)
	v_cmp_o_f32_e32 vcc_lo, v4, v4
	v_add3_u32 v5, v4, v5, 0x7fff
	s_delay_alu instid0(VALU_DEP_1) | instskip(NEXT) | instid1(VALU_DEP_1)
	v_lshrrev_b32_e32 v5, 16, v5
	v_cndmask_b32_e32 v4, 0x7fc0, v5, vcc_lo
.LBB488_1144:
	s_mov_b32 s14, -1
	s_mov_b32 s1, 0
	s_cbranch_execnz .LBB488_1155
.LBB488_1145:
	v_cmp_gt_i16_e64 s1, s10, 14
	s_delay_alu instid0(VALU_DEP_1)
	s_and_b32 vcc_lo, exec_lo, s1
	s_cbranch_vccz .LBB488_1148
; %bb.1146:
	v_cmp_eq_u16_e64 s0, s10, 15
	s_delay_alu instid0(VALU_DEP_1)
	s_and_b32 vcc_lo, exec_lo, s0
	s_cbranch_vccz .LBB488_1151
; %bb.1147:
	global_load_u16 v4, v[0:1], off
	s_mov_b32 s0, 0
	s_mov_b32 s14, -1
	s_branch .LBB488_1152
.LBB488_1148:
	s_mov_b32 s1, -1
                                        ; implicit-def: $vgpr4
	s_branch .LBB488_1153
.LBB488_1149:
	s_or_saveexec_b32 s14, s14
	v_mov_b32_e32 v5, s11
	s_xor_b32 exec_lo, exec_lo, s14
	s_cbranch_execz .LBB488_1131
.LBB488_1150:
	v_cmp_ne_u16_e32 vcc_lo, 0, v4
	v_mov_b32_e32 v5, 0
	s_and_not1_b32 s1, s1, exec_lo
	s_and_b32 s11, vcc_lo, exec_lo
	s_delay_alu instid0(SALU_CYCLE_1)
	s_or_b32 s1, s1, s11
	s_or_b32 exec_lo, exec_lo, s14
	s_and_saveexec_b32 s11, s1
	s_cbranch_execnz .LBB488_1132
	s_branch .LBB488_1133
.LBB488_1151:
	s_mov_b32 s0, -1
                                        ; implicit-def: $vgpr4
.LBB488_1152:
	s_mov_b32 s1, 0
.LBB488_1153:
	s_delay_alu instid0(SALU_CYCLE_1)
	s_and_b32 vcc_lo, exec_lo, s1
	s_mov_b32 s1, 0
	s_cbranch_vccz .LBB488_1155
; %bb.1154:
	v_cmp_ne_u16_e64 s0, s10, 11
	s_mov_b32 s1, -1
                                        ; implicit-def: $vgpr4
.LBB488_1155:
	s_delay_alu instid0(VALU_DEP_1)
	s_and_b32 vcc_lo, exec_lo, s0
	s_mov_b32 s11, s13
	s_cbranch_vccnz .LBB488_1179
; %bb.1156:
	s_and_not1_b32 vcc_lo, exec_lo, s1
	s_cbranch_vccnz .LBB488_1158
.LBB488_1157:
	global_load_u8 v4, v[0:1], off
	s_mov_b32 s14, -1
	s_waitcnt vmcnt(0)
	v_cmp_ne_u16_e32 vcc_lo, 0, v4
	v_cndmask_b32_e64 v4, 0, 1.0, vcc_lo
	s_delay_alu instid0(VALU_DEP_1)
	v_lshrrev_b32_e32 v4, 16, v4
.LBB488_1158:
.LBB488_1159:
	s_and_not1_b32 vcc_lo, exec_lo, s14
	s_cbranch_vccnz .LBB488_1995
.LBB488_1160:
	s_lshl_b32 s0, s3, 7
	v_cmp_lt_i16_e64 s1, s10, 11
	v_add_nc_u32_e32 v3, s0, v3
	s_delay_alu instid0(VALU_DEP_1) | instskip(SKIP_1) | instid1(VALU_DEP_2)
	v_ashrrev_i32_e32 v1, 31, v3
	v_add_co_u32 v0, vcc_lo, s6, v3
	v_add_co_ci_u32_e32 v1, vcc_lo, s7, v1, vcc_lo
	s_and_b32 vcc_lo, exec_lo, s1
	s_cbranch_vccnz .LBB488_1167
; %bb.1161:
	v_cmp_gt_i16_e64 s1, s10, 25
	s_mov_b32 s3, 0
	s_delay_alu instid0(VALU_DEP_1)
	s_and_b32 vcc_lo, exec_lo, s1
	s_cbranch_vccz .LBB488_1173
; %bb.1162:
	v_cmp_gt_i16_e64 s1, s10, 28
	s_delay_alu instid0(VALU_DEP_1)
	s_and_b32 vcc_lo, exec_lo, s1
	s_cbranch_vccz .LBB488_1175
; %bb.1163:
	v_cmp_gt_i16_e64 s1, s10, 43
	;; [unrolled: 5-line block ×3, first 2 shown]
	s_delay_alu instid0(VALU_DEP_1)
	s_and_b32 vcc_lo, exec_lo, s1
	s_cbranch_vccz .LBB488_1183
; %bb.1165:
	v_cmp_eq_u16_e64 s1, s10, 46
	s_mov_b32 s15, 0
	s_delay_alu instid0(VALU_DEP_1)
	s_and_b32 vcc_lo, exec_lo, s1
	s_cbranch_vccz .LBB488_1227
; %bb.1166:
	global_load_b32 v5, v[0:1], off
	s_mov_b32 s1, 0
	s_mov_b32 s14, -1
	s_branch .LBB488_1229
.LBB488_1167:
	s_mov_b32 s14, 0
                                        ; implicit-def: $vgpr5
	s_cbranch_execz .LBB488_1294
; %bb.1168:
	v_cmp_lt_i16_e64 s1, s10, 5
	s_delay_alu instid0(VALU_DEP_1)
	s_and_b32 vcc_lo, exec_lo, s1
	s_cbranch_vccnz .LBB488_1174
; %bb.1169:
	v_cmp_lt_i16_e64 s1, s10, 8
	s_delay_alu instid0(VALU_DEP_1)
	s_and_b32 vcc_lo, exec_lo, s1
	s_cbranch_vccnz .LBB488_1176
	;; [unrolled: 5-line block ×3, first 2 shown]
; %bb.1171:
	v_cmp_gt_i16_e64 s1, s10, 9
	s_delay_alu instid0(VALU_DEP_1)
	s_and_b32 vcc_lo, exec_lo, s1
	s_cbranch_vccz .LBB488_1184
; %bb.1172:
	global_load_b64 v[5:6], v[0:1], off
	s_mov_b32 s1, 0
	s_waitcnt vmcnt(0)
	v_cvt_f32_f64_e32 v5, v[5:6]
	s_delay_alu instid0(VALU_DEP_1) | instskip(SKIP_1) | instid1(VALU_DEP_2)
	v_bfe_u32 v6, v5, 16, 1
	v_cmp_o_f32_e32 vcc_lo, v5, v5
	v_add3_u32 v6, v5, v6, 0x7fff
	s_delay_alu instid0(VALU_DEP_1) | instskip(NEXT) | instid1(VALU_DEP_1)
	v_lshrrev_b32_e32 v6, 16, v6
	v_cndmask_b32_e32 v5, 0x7fc0, v6, vcc_lo
	s_branch .LBB488_1185
.LBB488_1173:
	s_mov_b32 s14, 0
	s_mov_b32 s1, 0
                                        ; implicit-def: $vgpr5
	s_cbranch_execnz .LBB488_1258
	s_branch .LBB488_1290
.LBB488_1174:
                                        ; implicit-def: $vgpr5
	s_branch .LBB488_1203
.LBB488_1175:
	s_mov_b32 s15, -1
	s_mov_b32 s14, 0
	s_mov_b32 s1, 0
                                        ; implicit-def: $vgpr5
	s_branch .LBB488_1239
.LBB488_1176:
	s_mov_b32 s1, -1
                                        ; implicit-def: $vgpr5
	s_branch .LBB488_1191
.LBB488_1177:
	s_mov_b32 s15, -1
	s_mov_b32 s14, 0
	s_mov_b32 s1, 0
                                        ; implicit-def: $vgpr5
	s_branch .LBB488_1234
.LBB488_1178:
	s_mov_b32 s1, -1
                                        ; implicit-def: $vgpr5
	s_branch .LBB488_1188
.LBB488_1179:
	s_cbranch_execnz .LBB488_1223
; %bb.1180:
	s_or_b32 s11, s13, exec_lo
                                        ; implicit-def: $vgpr4
	s_cbranch_execz .LBB488_1157
	s_branch .LBB488_1158
.LBB488_1181:
	s_or_saveexec_b32 s17, s17
                                        ; implicit-def: $sgpr18
	s_delay_alu instid0(SALU_CYCLE_1)
	s_xor_b32 exec_lo, exec_lo, s17
	s_cbranch_execz .LBB488_943
.LBB488_1182:
	v_add_f32_e64 v5, 0x46000000, |v6|
	s_and_not1_b32 s13, s13, exec_lo
	s_mov_b32 s18, 0
	s_delay_alu instid0(VALU_DEP_1) | instskip(NEXT) | instid1(VALU_DEP_1)
	v_and_b32_e32 v5, 0xff, v5
	v_cmp_ne_u32_e32 vcc_lo, 0, v5
	s_and_b32 s19, vcc_lo, exec_lo
	s_delay_alu instid0(SALU_CYCLE_1)
	s_or_b32 s13, s13, s19
	s_or_b32 exec_lo, exec_lo, s17
	v_mov_b32_e32 v7, s18
	s_and_saveexec_b32 s17, s13
	s_cbranch_execnz .LBB488_944
	s_branch .LBB488_945
.LBB488_1183:
	s_mov_b32 s15, -1
	s_mov_b32 s14, 0
	s_mov_b32 s1, 0
	s_branch .LBB488_1228
.LBB488_1184:
	s_mov_b32 s1, -1
                                        ; implicit-def: $vgpr5
.LBB488_1185:
	s_delay_alu instid0(SALU_CYCLE_1)
	s_and_not1_b32 vcc_lo, exec_lo, s1
	s_cbranch_vccnz .LBB488_1187
; %bb.1186:
	global_load_b32 v5, v[0:1], off
	s_waitcnt vmcnt(0)
	v_bfe_u32 v6, v5, 16, 1
	v_cmp_o_f32_e32 vcc_lo, v5, v5
	s_delay_alu instid0(VALU_DEP_2) | instskip(NEXT) | instid1(VALU_DEP_1)
	v_add3_u32 v6, v5, v6, 0x7fff
	v_lshrrev_b32_e32 v6, 16, v6
	s_delay_alu instid0(VALU_DEP_1)
	v_cndmask_b32_e32 v5, 0x7fc0, v6, vcc_lo
.LBB488_1187:
	s_mov_b32 s1, 0
.LBB488_1188:
	s_delay_alu instid0(SALU_CYCLE_1)
	s_and_not1_b32 vcc_lo, exec_lo, s1
	s_cbranch_vccnz .LBB488_1190
; %bb.1189:
	global_load_b32 v5, v[0:1], off
	s_waitcnt vmcnt(0)
	v_cvt_f32_f16_e32 v6, v5
	v_cmp_o_f16_e32 vcc_lo, v5, v5
	s_delay_alu instid0(VALU_DEP_2) | instskip(NEXT) | instid1(VALU_DEP_1)
	v_bfe_u32 v7, v6, 16, 1
	v_add3_u32 v6, v6, v7, 0x7fff
	s_delay_alu instid0(VALU_DEP_1) | instskip(NEXT) | instid1(VALU_DEP_1)
	v_lshrrev_b32_e32 v6, 16, v6
	v_cndmask_b32_e32 v5, 0x7fc0, v6, vcc_lo
.LBB488_1190:
	s_mov_b32 s1, 0
.LBB488_1191:
	s_delay_alu instid0(SALU_CYCLE_1)
	s_and_not1_b32 vcc_lo, exec_lo, s1
	s_cbranch_vccnz .LBB488_1202
; %bb.1192:
	v_cmp_lt_i16_e64 s1, s10, 6
	s_delay_alu instid0(VALU_DEP_1)
	s_and_b32 vcc_lo, exec_lo, s1
	s_cbranch_vccnz .LBB488_1195
; %bb.1193:
	v_cmp_gt_i16_e64 s1, s10, 6
	s_delay_alu instid0(VALU_DEP_1)
	s_and_b32 vcc_lo, exec_lo, s1
	s_cbranch_vccz .LBB488_1196
; %bb.1194:
	global_load_b64 v[5:6], v[0:1], off
	s_mov_b32 s1, 0
	s_waitcnt vmcnt(0)
	v_cvt_f32_f64_e32 v5, v[5:6]
	s_delay_alu instid0(VALU_DEP_1) | instskip(SKIP_1) | instid1(VALU_DEP_2)
	v_bfe_u32 v6, v5, 16, 1
	v_cmp_o_f32_e32 vcc_lo, v5, v5
	v_add3_u32 v6, v5, v6, 0x7fff
	s_delay_alu instid0(VALU_DEP_1) | instskip(NEXT) | instid1(VALU_DEP_1)
	v_lshrrev_b32_e32 v6, 16, v6
	v_cndmask_b32_e32 v5, 0x7fc0, v6, vcc_lo
	s_branch .LBB488_1197
.LBB488_1195:
	s_mov_b32 s1, -1
                                        ; implicit-def: $vgpr5
	s_branch .LBB488_1200
.LBB488_1196:
	s_mov_b32 s1, -1
                                        ; implicit-def: $vgpr5
.LBB488_1197:
	s_delay_alu instid0(SALU_CYCLE_1)
	s_and_not1_b32 vcc_lo, exec_lo, s1
	s_cbranch_vccnz .LBB488_1199
; %bb.1198:
	global_load_b32 v5, v[0:1], off
	s_waitcnt vmcnt(0)
	v_bfe_u32 v6, v5, 16, 1
	v_cmp_o_f32_e32 vcc_lo, v5, v5
	s_delay_alu instid0(VALU_DEP_2) | instskip(NEXT) | instid1(VALU_DEP_1)
	v_add3_u32 v6, v5, v6, 0x7fff
	v_lshrrev_b32_e32 v6, 16, v6
	s_delay_alu instid0(VALU_DEP_1)
	v_cndmask_b32_e32 v5, 0x7fc0, v6, vcc_lo
.LBB488_1199:
	s_mov_b32 s1, 0
.LBB488_1200:
	s_delay_alu instid0(SALU_CYCLE_1)
	s_and_not1_b32 vcc_lo, exec_lo, s1
	s_cbranch_vccnz .LBB488_1202
; %bb.1201:
	global_load_u16 v5, v[0:1], off
	s_waitcnt vmcnt(0)
	v_cvt_f32_f16_e32 v6, v5
	v_cmp_o_f16_e32 vcc_lo, v5, v5
	s_delay_alu instid0(VALU_DEP_2) | instskip(NEXT) | instid1(VALU_DEP_1)
	v_bfe_u32 v7, v6, 16, 1
	v_add3_u32 v6, v6, v7, 0x7fff
	s_delay_alu instid0(VALU_DEP_1) | instskip(NEXT) | instid1(VALU_DEP_1)
	v_lshrrev_b32_e32 v6, 16, v6
	v_cndmask_b32_e32 v5, 0x7fc0, v6, vcc_lo
.LBB488_1202:
	s_cbranch_execnz .LBB488_1222
.LBB488_1203:
	v_cmp_lt_i16_e64 s1, s10, 2
	s_delay_alu instid0(VALU_DEP_1)
	s_and_b32 vcc_lo, exec_lo, s1
	s_cbranch_vccnz .LBB488_1207
; %bb.1204:
	v_cmp_lt_i16_e64 s1, s10, 3
	s_delay_alu instid0(VALU_DEP_1)
	s_and_b32 vcc_lo, exec_lo, s1
	s_cbranch_vccnz .LBB488_1208
; %bb.1205:
	v_cmp_gt_i16_e64 s1, s10, 3
	s_delay_alu instid0(VALU_DEP_1)
	s_and_b32 vcc_lo, exec_lo, s1
	s_cbranch_vccz .LBB488_1209
; %bb.1206:
	global_load_b64 v[5:6], v[0:1], off
	s_mov_b32 s1, 0
	s_waitcnt vmcnt(0)
	v_xor_b32_e32 v7, v5, v6
	v_cls_i32_e32 v8, v6
	s_delay_alu instid0(VALU_DEP_2) | instskip(NEXT) | instid1(VALU_DEP_2)
	v_ashrrev_i32_e32 v7, 31, v7
	v_add_nc_u32_e32 v8, -1, v8
	s_delay_alu instid0(VALU_DEP_2) | instskip(NEXT) | instid1(VALU_DEP_1)
	v_add_nc_u32_e32 v7, 32, v7
	v_min_u32_e32 v7, v8, v7
	s_delay_alu instid0(VALU_DEP_1) | instskip(NEXT) | instid1(VALU_DEP_1)
	v_lshlrev_b64 v[5:6], v7, v[5:6]
	v_min_u32_e32 v5, 1, v5
	s_delay_alu instid0(VALU_DEP_1) | instskip(SKIP_1) | instid1(VALU_DEP_2)
	v_or_b32_e32 v5, v6, v5
	v_sub_nc_u32_e32 v6, 32, v7
	v_cvt_f32_i32_e32 v5, v5
	s_delay_alu instid0(VALU_DEP_1) | instskip(NEXT) | instid1(VALU_DEP_1)
	v_ldexp_f32 v5, v5, v6
	v_bfe_u32 v6, v5, 16, 1
	s_delay_alu instid0(VALU_DEP_1) | instskip(NEXT) | instid1(VALU_DEP_1)
	v_add3_u32 v5, v5, v6, 0x7fff
	v_lshrrev_b32_e32 v5, 16, v5
	s_branch .LBB488_1210
.LBB488_1207:
	s_mov_b32 s1, -1
                                        ; implicit-def: $vgpr5
	s_branch .LBB488_1216
.LBB488_1208:
	s_mov_b32 s1, -1
                                        ; implicit-def: $vgpr5
	s_branch .LBB488_1213
.LBB488_1209:
	s_mov_b32 s1, -1
                                        ; implicit-def: $vgpr5
.LBB488_1210:
	s_delay_alu instid0(SALU_CYCLE_1)
	s_and_not1_b32 vcc_lo, exec_lo, s1
	s_cbranch_vccnz .LBB488_1212
; %bb.1211:
	global_load_b32 v5, v[0:1], off
	s_waitcnt vmcnt(0)
	v_cvt_f32_i32_e32 v5, v5
	s_delay_alu instid0(VALU_DEP_1) | instskip(NEXT) | instid1(VALU_DEP_1)
	v_bfe_u32 v6, v5, 16, 1
	v_add3_u32 v5, v5, v6, 0x7fff
	s_delay_alu instid0(VALU_DEP_1)
	v_lshrrev_b32_e32 v5, 16, v5
.LBB488_1212:
	s_mov_b32 s1, 0
.LBB488_1213:
	s_delay_alu instid0(SALU_CYCLE_1)
	s_and_not1_b32 vcc_lo, exec_lo, s1
	s_cbranch_vccnz .LBB488_1215
; %bb.1214:
	global_load_i16 v5, v[0:1], off
	s_waitcnt vmcnt(0)
	v_cvt_f32_i32_e32 v5, v5
	s_delay_alu instid0(VALU_DEP_1) | instskip(NEXT) | instid1(VALU_DEP_1)
	v_bfe_u32 v6, v5, 16, 1
	v_add3_u32 v5, v5, v6, 0x7fff
	s_delay_alu instid0(VALU_DEP_1)
	v_lshrrev_b32_e32 v5, 16, v5
.LBB488_1215:
	s_mov_b32 s1, 0
.LBB488_1216:
	s_delay_alu instid0(SALU_CYCLE_1)
	s_and_not1_b32 vcc_lo, exec_lo, s1
	s_cbranch_vccnz .LBB488_1222
; %bb.1217:
	v_cmp_gt_i16_e64 s1, s10, 0
	s_delay_alu instid0(VALU_DEP_1)
	s_and_b32 vcc_lo, exec_lo, s1
	s_mov_b32 s1, 0
	s_cbranch_vccz .LBB488_1219
; %bb.1218:
	global_load_i8 v5, v[0:1], off
	s_waitcnt vmcnt(0)
	v_cvt_f32_i32_e32 v5, v5
	s_delay_alu instid0(VALU_DEP_1) | instskip(NEXT) | instid1(VALU_DEP_1)
	v_bfe_u32 v6, v5, 16, 1
	v_add3_u32 v5, v5, v6, 0x7fff
	s_delay_alu instid0(VALU_DEP_1)
	v_lshrrev_b32_e32 v5, 16, v5
	s_branch .LBB488_1220
.LBB488_1219:
	s_mov_b32 s1, -1
                                        ; implicit-def: $vgpr5
.LBB488_1220:
	s_delay_alu instid0(SALU_CYCLE_1)
	s_and_not1_b32 vcc_lo, exec_lo, s1
	s_cbranch_vccnz .LBB488_1222
; %bb.1221:
	global_load_u8 v0, v[0:1], off
	s_waitcnt vmcnt(0)
	v_cvt_f32_ubyte0_e32 v0, v0
	s_delay_alu instid0(VALU_DEP_1) | instskip(NEXT) | instid1(VALU_DEP_1)
	v_bfe_u32 v1, v0, 16, 1
	v_add3_u32 v0, v0, v1, 0x7fff
	s_delay_alu instid0(VALU_DEP_1)
	v_lshrrev_b32_e32 v5, 16, v0
.LBB488_1222:
	s_branch .LBB488_1295
.LBB488_1223:
	s_trap 2
	s_sendmsg_rtn_b32 s0, sendmsg(MSG_RTN_GET_DOORBELL)
	s_mov_b32 ttmp2, m0
	s_waitcnt lgkmcnt(0)
	s_and_b32 s0, s0, 0x3ff
	s_delay_alu instid0(SALU_CYCLE_1) | instskip(NEXT) | instid1(SALU_CYCLE_1)
	s_bitset1_b32 s0, 10
	s_mov_b32 m0, s0
	s_sendmsg sendmsg(MSG_INTERRUPT)
	s_mov_b32 m0, ttmp2
.LBB488_1224:                           ; =>This Inner Loop Header: Depth=1
	s_sethalt 5
	s_branch .LBB488_1224
.LBB488_1225:
	s_or_saveexec_b32 s18, s18
                                        ; implicit-def: $sgpr19
	s_delay_alu instid0(SALU_CYCLE_1)
	s_xor_b32 exec_lo, exec_lo, s18
	s_cbranch_execz .LBB488_955
.LBB488_1226:
	v_add_f32_e64 v5, 0x42800000, |v6|
	s_and_not1_b32 s17, s17, exec_lo
	s_mov_b32 s19, 0
	s_delay_alu instid0(VALU_DEP_1) | instskip(NEXT) | instid1(VALU_DEP_1)
	v_and_b32_e32 v5, 0xff, v5
	v_cmp_ne_u32_e32 vcc_lo, 0, v5
	s_and_b32 s20, vcc_lo, exec_lo
	s_delay_alu instid0(SALU_CYCLE_1)
	s_or_b32 s17, s17, s20
	s_or_b32 exec_lo, exec_lo, s18
	v_mov_b32_e32 v7, s19
	s_and_saveexec_b32 s18, s17
	s_cbranch_execnz .LBB488_956
	s_branch .LBB488_957
.LBB488_1227:
	s_mov_b32 s1, -1
	s_mov_b32 s14, 0
.LBB488_1228:
                                        ; implicit-def: $vgpr5
.LBB488_1229:
	s_and_b32 vcc_lo, exec_lo, s15
	s_cbranch_vccz .LBB488_1233
; %bb.1230:
	v_cmp_eq_u16_e64 s1, s10, 44
	s_delay_alu instid0(VALU_DEP_1)
	s_and_b32 vcc_lo, exec_lo, s1
	s_cbranch_vccz .LBB488_1232
; %bb.1231:
	global_load_u8 v5, v[0:1], off
	s_mov_b32 s1, 0
	s_mov_b32 s14, -1
	s_waitcnt vmcnt(0)
	v_lshlrev_b32_e32 v6, 23, v5
	v_cmp_ne_u32_e32 vcc_lo, 0xff, v5
	s_delay_alu instid0(VALU_DEP_2) | instskip(SKIP_1) | instid1(VALU_DEP_2)
	v_cndmask_b32_e32 v6, 0x7f800001, v6, vcc_lo
	v_cmp_ne_u32_e32 vcc_lo, 0, v5
	v_cndmask_b32_e32 v5, 0x400000, v6, vcc_lo
	s_delay_alu instid0(VALU_DEP_1) | instskip(SKIP_1) | instid1(VALU_DEP_2)
	v_add_nc_u32_e32 v6, 0x7fff, v5
	v_cmp_o_f32_e32 vcc_lo, v5, v5
	v_lshrrev_b32_e32 v6, 16, v6
	s_delay_alu instid0(VALU_DEP_1)
	v_cndmask_b32_e32 v5, 0x7fc0, v6, vcc_lo
	s_branch .LBB488_1233
.LBB488_1232:
	s_mov_b32 s1, -1
                                        ; implicit-def: $vgpr5
.LBB488_1233:
	s_mov_b32 s15, 0
.LBB488_1234:
	s_delay_alu instid0(SALU_CYCLE_1)
	s_and_b32 vcc_lo, exec_lo, s15
	s_cbranch_vccz .LBB488_1238
; %bb.1235:
	v_cmp_eq_u16_e64 s1, s10, 29
	s_delay_alu instid0(VALU_DEP_1)
	s_and_b32 vcc_lo, exec_lo, s1
	s_cbranch_vccz .LBB488_1237
; %bb.1236:
	global_load_b64 v[5:6], v[0:1], off
	s_mov_b32 s1, 0
	s_mov_b32 s14, -1
	s_mov_b32 s15, 0
	s_waitcnt vmcnt(0)
	v_clz_i32_u32_e32 v7, v6
	s_delay_alu instid0(VALU_DEP_1) | instskip(NEXT) | instid1(VALU_DEP_1)
	v_min_u32_e32 v7, 32, v7
	v_lshlrev_b64 v[5:6], v7, v[5:6]
	s_delay_alu instid0(VALU_DEP_1) | instskip(NEXT) | instid1(VALU_DEP_1)
	v_min_u32_e32 v5, 1, v5
	v_or_b32_e32 v5, v6, v5
	v_sub_nc_u32_e32 v6, 32, v7
	s_delay_alu instid0(VALU_DEP_2) | instskip(NEXT) | instid1(VALU_DEP_1)
	v_cvt_f32_u32_e32 v5, v5
	v_ldexp_f32 v5, v5, v6
	s_delay_alu instid0(VALU_DEP_1) | instskip(NEXT) | instid1(VALU_DEP_1)
	v_bfe_u32 v6, v5, 16, 1
	v_add3_u32 v5, v5, v6, 0x7fff
	s_delay_alu instid0(VALU_DEP_1)
	v_lshrrev_b32_e32 v5, 16, v5
	s_branch .LBB488_1239
.LBB488_1237:
	s_mov_b32 s1, -1
                                        ; implicit-def: $vgpr5
.LBB488_1238:
	s_mov_b32 s15, 0
.LBB488_1239:
	s_delay_alu instid0(SALU_CYCLE_1)
	s_and_b32 vcc_lo, exec_lo, s15
	s_cbranch_vccz .LBB488_1257
; %bb.1240:
	v_cmp_lt_i16_e64 s14, s10, 27
	s_delay_alu instid0(VALU_DEP_1)
	s_and_b32 vcc_lo, exec_lo, s14
	s_cbranch_vccnz .LBB488_1243
; %bb.1241:
	v_cmp_gt_i16_e64 s14, s10, 27
	s_delay_alu instid0(VALU_DEP_1)
	s_and_b32 vcc_lo, exec_lo, s14
	s_cbranch_vccz .LBB488_1244
; %bb.1242:
	global_load_b32 v5, v[0:1], off
	s_mov_b32 s14, 0
	s_waitcnt vmcnt(0)
	v_cvt_f32_u32_e32 v5, v5
	s_delay_alu instid0(VALU_DEP_1) | instskip(NEXT) | instid1(VALU_DEP_1)
	v_bfe_u32 v6, v5, 16, 1
	v_add3_u32 v5, v5, v6, 0x7fff
	s_delay_alu instid0(VALU_DEP_1)
	v_lshrrev_b32_e32 v5, 16, v5
	s_branch .LBB488_1245
.LBB488_1243:
	s_mov_b32 s14, -1
                                        ; implicit-def: $vgpr5
	s_branch .LBB488_1248
.LBB488_1244:
	s_mov_b32 s14, -1
                                        ; implicit-def: $vgpr5
.LBB488_1245:
	s_delay_alu instid0(SALU_CYCLE_1)
	s_and_not1_b32 vcc_lo, exec_lo, s14
	s_cbranch_vccnz .LBB488_1247
; %bb.1246:
	global_load_u16 v5, v[0:1], off
	s_waitcnt vmcnt(0)
	v_cvt_f32_u32_e32 v5, v5
	s_delay_alu instid0(VALU_DEP_1) | instskip(NEXT) | instid1(VALU_DEP_1)
	v_bfe_u32 v6, v5, 16, 1
	v_add3_u32 v5, v5, v6, 0x7fff
	s_delay_alu instid0(VALU_DEP_1)
	v_lshrrev_b32_e32 v5, 16, v5
.LBB488_1247:
	s_mov_b32 s14, 0
.LBB488_1248:
	s_delay_alu instid0(SALU_CYCLE_1)
	s_and_not1_b32 vcc_lo, exec_lo, s14
	s_cbranch_vccnz .LBB488_1256
; %bb.1249:
	global_load_u8 v5, v[0:1], off
	s_mov_b32 s14, 0
	s_mov_b32 s16, exec_lo
                                        ; implicit-def: $sgpr15
	s_waitcnt vmcnt(0)
	v_cmpx_lt_i16_e32 0x7f, v5
	s_xor_b32 s16, exec_lo, s16
	s_cbranch_execz .LBB488_1269
; %bb.1250:
	s_mov_b32 s14, -1
	s_mov_b32 s17, exec_lo
                                        ; implicit-def: $sgpr15
	v_cmpx_eq_u16_e32 0x80, v5
; %bb.1251:
	s_mov_b32 s15, 0x7f800001
	s_xor_b32 s14, exec_lo, -1
; %bb.1252:
	s_or_b32 exec_lo, exec_lo, s17
	s_delay_alu instid0(SALU_CYCLE_1)
	s_and_b32 s14, s14, exec_lo
	s_or_saveexec_b32 s16, s16
	v_mov_b32_e32 v6, s15
	s_xor_b32 exec_lo, exec_lo, s16
	s_cbranch_execnz .LBB488_1270
.LBB488_1253:
	s_or_b32 exec_lo, exec_lo, s16
	s_and_saveexec_b32 s15, s14
	s_cbranch_execz .LBB488_1255
.LBB488_1254:
	v_and_b32_e32 v6, 0xffff, v5
	v_lshlrev_b32_e32 v5, 24, v5
	s_delay_alu instid0(VALU_DEP_2) | instskip(NEXT) | instid1(VALU_DEP_2)
	v_and_b32_e32 v7, 7, v6
	v_and_b32_e32 v5, 0x80000000, v5
	s_delay_alu instid0(VALU_DEP_2) | instskip(NEXT) | instid1(VALU_DEP_1)
	v_clz_i32_u32_e32 v8, v7
	v_min_u32_e32 v8, 32, v8
	s_delay_alu instid0(VALU_DEP_1) | instskip(SKIP_1) | instid1(VALU_DEP_2)
	v_subrev_nc_u32_e32 v9, 28, v8
	v_sub_nc_u32_e32 v8, 29, v8
	v_lshlrev_b32_e32 v9, v9, v6
	v_bfe_u32 v6, v6, 3, 4
	s_delay_alu instid0(VALU_DEP_2) | instskip(NEXT) | instid1(VALU_DEP_2)
	v_and_b32_e32 v9, 7, v9
	v_cmp_eq_u32_e32 vcc_lo, 0, v6
	s_delay_alu instid0(VALU_DEP_2) | instskip(NEXT) | instid1(VALU_DEP_1)
	v_dual_cndmask_b32 v6, v6, v8 :: v_dual_cndmask_b32 v7, v7, v9
	v_lshl_add_u32 v6, v6, 23, 0x3b800000
	s_delay_alu instid0(VALU_DEP_2) | instskip(NEXT) | instid1(VALU_DEP_1)
	v_lshlrev_b32_e32 v7, 20, v7
	v_or3_b32 v6, v5, v6, v7
.LBB488_1255:
	s_or_b32 exec_lo, exec_lo, s15
	s_delay_alu instid0(VALU_DEP_1) | instskip(SKIP_1) | instid1(VALU_DEP_2)
	v_bfe_u32 v5, v6, 16, 1
	v_cmp_o_f32_e32 vcc_lo, v6, v6
	v_add3_u32 v5, v6, v5, 0x7fff
	s_delay_alu instid0(VALU_DEP_1) | instskip(NEXT) | instid1(VALU_DEP_1)
	v_lshrrev_b32_e32 v5, 16, v5
	v_cndmask_b32_e32 v5, 0x7fc0, v5, vcc_lo
.LBB488_1256:
	s_mov_b32 s14, -1
.LBB488_1257:
	s_branch .LBB488_1290
.LBB488_1258:
	v_cmp_gt_i16_e64 s3, s10, 22
	s_delay_alu instid0(VALU_DEP_1)
	s_and_b32 vcc_lo, exec_lo, s3
	s_cbranch_vccz .LBB488_1268
; %bb.1259:
	v_cmp_lt_i16_e64 s3, s10, 24
	s_delay_alu instid0(VALU_DEP_1)
	s_and_b32 vcc_lo, exec_lo, s3
	s_cbranch_vccnz .LBB488_1271
; %bb.1260:
	v_cmp_gt_i16_e64 s3, s10, 24
	s_delay_alu instid0(VALU_DEP_1)
	s_and_b32 vcc_lo, exec_lo, s3
	s_cbranch_vccz .LBB488_1272
; %bb.1261:
	global_load_u8 v5, v[0:1], off
	s_mov_b32 s3, 0
	s_mov_b32 s15, exec_lo
                                        ; implicit-def: $sgpr14
	s_waitcnt vmcnt(0)
	v_cmpx_lt_i16_e32 0x7f, v5
	s_xor_b32 s15, exec_lo, s15
	s_cbranch_execz .LBB488_1284
; %bb.1262:
	s_mov_b32 s3, -1
	s_mov_b32 s16, exec_lo
                                        ; implicit-def: $sgpr14
	v_cmpx_eq_u16_e32 0x80, v5
; %bb.1263:
	s_mov_b32 s14, 0x7f800001
	s_xor_b32 s3, exec_lo, -1
; %bb.1264:
	s_or_b32 exec_lo, exec_lo, s16
	s_delay_alu instid0(SALU_CYCLE_1)
	s_and_b32 s3, s3, exec_lo
	s_or_saveexec_b32 s15, s15
	v_mov_b32_e32 v6, s14
	s_xor_b32 exec_lo, exec_lo, s15
	s_cbranch_execnz .LBB488_1285
.LBB488_1265:
	s_or_b32 exec_lo, exec_lo, s15
	s_and_saveexec_b32 s14, s3
	s_cbranch_execz .LBB488_1267
.LBB488_1266:
	v_and_b32_e32 v6, 0xffff, v5
	v_lshlrev_b32_e32 v5, 24, v5
	s_delay_alu instid0(VALU_DEP_2) | instskip(NEXT) | instid1(VALU_DEP_2)
	v_and_b32_e32 v7, 3, v6
	v_and_b32_e32 v5, 0x80000000, v5
	s_delay_alu instid0(VALU_DEP_2) | instskip(NEXT) | instid1(VALU_DEP_1)
	v_clz_i32_u32_e32 v8, v7
	v_min_u32_e32 v8, 32, v8
	s_delay_alu instid0(VALU_DEP_1) | instskip(SKIP_1) | instid1(VALU_DEP_2)
	v_subrev_nc_u32_e32 v9, 29, v8
	v_sub_nc_u32_e32 v8, 30, v8
	v_lshlrev_b32_e32 v9, v9, v6
	v_bfe_u32 v6, v6, 2, 5
	s_delay_alu instid0(VALU_DEP_2) | instskip(NEXT) | instid1(VALU_DEP_2)
	v_and_b32_e32 v9, 3, v9
	v_cmp_eq_u32_e32 vcc_lo, 0, v6
	s_delay_alu instid0(VALU_DEP_2) | instskip(NEXT) | instid1(VALU_DEP_1)
	v_dual_cndmask_b32 v6, v6, v8 :: v_dual_cndmask_b32 v7, v7, v9
	v_lshl_add_u32 v6, v6, 23, 0x37800000
	s_delay_alu instid0(VALU_DEP_2) | instskip(NEXT) | instid1(VALU_DEP_1)
	v_lshlrev_b32_e32 v7, 21, v7
	v_or3_b32 v6, v5, v6, v7
.LBB488_1267:
	s_or_b32 exec_lo, exec_lo, s14
	s_delay_alu instid0(VALU_DEP_1) | instskip(SKIP_2) | instid1(VALU_DEP_2)
	v_bfe_u32 v5, v6, 16, 1
	v_cmp_o_f32_e32 vcc_lo, v6, v6
	s_mov_b32 s3, 0
	v_add3_u32 v5, v6, v5, 0x7fff
	s_delay_alu instid0(VALU_DEP_1) | instskip(NEXT) | instid1(VALU_DEP_1)
	v_lshrrev_b32_e32 v5, 16, v5
	v_cndmask_b32_e32 v5, 0x7fc0, v5, vcc_lo
	s_branch .LBB488_1273
.LBB488_1268:
	s_mov_b32 s3, -1
                                        ; implicit-def: $vgpr5
	s_branch .LBB488_1279
.LBB488_1269:
	s_or_saveexec_b32 s16, s16
	v_mov_b32_e32 v6, s15
	s_xor_b32 exec_lo, exec_lo, s16
	s_cbranch_execz .LBB488_1253
.LBB488_1270:
	v_cmp_ne_u16_e32 vcc_lo, 0, v5
	v_mov_b32_e32 v6, 0
	s_and_not1_b32 s14, s14, exec_lo
	s_and_b32 s15, vcc_lo, exec_lo
	s_delay_alu instid0(SALU_CYCLE_1)
	s_or_b32 s14, s14, s15
	s_or_b32 exec_lo, exec_lo, s16
	s_and_saveexec_b32 s15, s14
	s_cbranch_execnz .LBB488_1254
	s_branch .LBB488_1255
.LBB488_1271:
	s_mov_b32 s3, -1
                                        ; implicit-def: $vgpr5
	s_branch .LBB488_1276
.LBB488_1272:
	s_mov_b32 s3, -1
                                        ; implicit-def: $vgpr5
.LBB488_1273:
	s_delay_alu instid0(SALU_CYCLE_1)
	s_and_b32 vcc_lo, exec_lo, s3
	s_cbranch_vccz .LBB488_1275
; %bb.1274:
	global_load_u8 v5, v[0:1], off
	s_waitcnt vmcnt(0)
	v_lshlrev_b32_e32 v5, 24, v5
	s_delay_alu instid0(VALU_DEP_1) | instskip(NEXT) | instid1(VALU_DEP_1)
	v_and_b32_e32 v6, 0x7f000000, v5
	v_clz_i32_u32_e32 v7, v6
	v_add_nc_u32_e32 v9, 0x1000000, v6
	v_cmp_ne_u32_e32 vcc_lo, 0, v6
	s_delay_alu instid0(VALU_DEP_3) | instskip(NEXT) | instid1(VALU_DEP_1)
	v_min_u32_e32 v7, 32, v7
	v_sub_nc_u32_e64 v7, v7, 4 clamp
	s_delay_alu instid0(VALU_DEP_1) | instskip(SKIP_1) | instid1(VALU_DEP_2)
	v_lshlrev_b32_e32 v8, v7, v6
	v_lshlrev_b32_e32 v7, 23, v7
	v_lshrrev_b32_e32 v8, 4, v8
	s_delay_alu instid0(VALU_DEP_1) | instskip(SKIP_1) | instid1(VALU_DEP_2)
	v_sub_nc_u32_e32 v7, v8, v7
	v_ashrrev_i32_e32 v8, 8, v9
	v_add_nc_u32_e32 v7, 0x3c000000, v7
	s_delay_alu instid0(VALU_DEP_1) | instskip(NEXT) | instid1(VALU_DEP_1)
	v_and_or_b32 v7, 0x7f800000, v8, v7
	v_cndmask_b32_e32 v6, 0, v7, vcc_lo
	s_delay_alu instid0(VALU_DEP_1) | instskip(SKIP_1) | instid1(VALU_DEP_2)
	v_and_or_b32 v5, 0x80000000, v5, v6
	v_bfe_u32 v6, v6, 16, 1
	v_cmp_o_f32_e32 vcc_lo, v5, v5
	s_delay_alu instid0(VALU_DEP_2) | instskip(NEXT) | instid1(VALU_DEP_1)
	v_add3_u32 v6, v5, v6, 0x7fff
	v_lshrrev_b32_e32 v6, 16, v6
	s_delay_alu instid0(VALU_DEP_1)
	v_cndmask_b32_e32 v5, 0x7fc0, v6, vcc_lo
.LBB488_1275:
	s_mov_b32 s3, 0
.LBB488_1276:
	s_delay_alu instid0(SALU_CYCLE_1)
	s_and_not1_b32 vcc_lo, exec_lo, s3
	s_cbranch_vccnz .LBB488_1278
; %bb.1277:
	global_load_u8 v5, v[0:1], off
	s_waitcnt vmcnt(0)
	v_lshlrev_b32_e32 v6, 25, v5
	v_lshlrev_b16 v5, 8, v5
	s_delay_alu instid0(VALU_DEP_2) | instskip(NEXT) | instid1(VALU_DEP_2)
	v_lshrrev_b32_e32 v7, 4, v6
	v_and_or_b32 v8, 0x7f00, v5, 0.5
	v_bfe_i32 v5, v5, 0, 16
	s_delay_alu instid0(VALU_DEP_3) | instskip(NEXT) | instid1(VALU_DEP_1)
	v_or_b32_e32 v7, 0x70000000, v7
	v_dual_add_f32 v8, -0.5, v8 :: v_dual_mul_f32 v7, 0x7800000, v7
	v_cmp_gt_u32_e32 vcc_lo, 0x8000000, v6
	s_delay_alu instid0(VALU_DEP_2) | instskip(NEXT) | instid1(VALU_DEP_1)
	v_cndmask_b32_e32 v6, v7, v8, vcc_lo
	v_and_or_b32 v5, 0x80000000, v5, v6
	v_bfe_u32 v6, v6, 16, 1
	s_delay_alu instid0(VALU_DEP_2) | instskip(NEXT) | instid1(VALU_DEP_2)
	v_cmp_o_f32_e32 vcc_lo, v5, v5
	v_add3_u32 v6, v5, v6, 0x7fff
	s_delay_alu instid0(VALU_DEP_1) | instskip(NEXT) | instid1(VALU_DEP_1)
	v_lshrrev_b32_e32 v6, 16, v6
	v_cndmask_b32_e32 v5, 0x7fc0, v6, vcc_lo
.LBB488_1278:
	s_mov_b32 s3, 0
	s_mov_b32 s14, -1
.LBB488_1279:
	s_and_not1_b32 vcc_lo, exec_lo, s3
	s_mov_b32 s3, 0
	s_cbranch_vccnz .LBB488_1290
; %bb.1280:
	v_cmp_gt_i16_e64 s3, s10, 14
	s_delay_alu instid0(VALU_DEP_1)
	s_and_b32 vcc_lo, exec_lo, s3
	s_cbranch_vccz .LBB488_1283
; %bb.1281:
	v_cmp_eq_u16_e64 s1, s10, 15
	s_delay_alu instid0(VALU_DEP_1)
	s_and_b32 vcc_lo, exec_lo, s1
	s_cbranch_vccz .LBB488_1286
; %bb.1282:
	global_load_u16 v5, v[0:1], off
	s_mov_b32 s1, 0
	s_mov_b32 s14, -1
	s_branch .LBB488_1287
.LBB488_1283:
	s_mov_b32 s3, -1
                                        ; implicit-def: $vgpr5
	s_branch .LBB488_1288
.LBB488_1284:
	s_or_saveexec_b32 s15, s15
	v_mov_b32_e32 v6, s14
	s_xor_b32 exec_lo, exec_lo, s15
	s_cbranch_execz .LBB488_1265
.LBB488_1285:
	v_cmp_ne_u16_e32 vcc_lo, 0, v5
	v_mov_b32_e32 v6, 0
	s_and_not1_b32 s3, s3, exec_lo
	s_and_b32 s14, vcc_lo, exec_lo
	s_delay_alu instid0(SALU_CYCLE_1)
	s_or_b32 s3, s3, s14
	s_or_b32 exec_lo, exec_lo, s15
	s_and_saveexec_b32 s14, s3
	s_cbranch_execnz .LBB488_1266
	s_branch .LBB488_1267
.LBB488_1286:
	s_mov_b32 s1, -1
                                        ; implicit-def: $vgpr5
.LBB488_1287:
	s_mov_b32 s3, 0
.LBB488_1288:
	s_delay_alu instid0(SALU_CYCLE_1)
	s_and_b32 vcc_lo, exec_lo, s3
	s_mov_b32 s3, 0
	s_cbranch_vccz .LBB488_1290
; %bb.1289:
	v_cmp_ne_u16_e64 s1, s10, 11
	s_mov_b32 s3, -1
                                        ; implicit-def: $vgpr5
.LBB488_1290:
	s_delay_alu instid0(VALU_DEP_1)
	s_and_b32 vcc_lo, exec_lo, s1
	s_cbranch_vccnz .LBB488_1314
; %bb.1291:
	s_and_not1_b32 vcc_lo, exec_lo, s3
	s_cbranch_vccnz .LBB488_1293
.LBB488_1292:
	global_load_u8 v5, v[0:1], off
	s_mov_b32 s14, -1
	s_waitcnt vmcnt(0)
	v_cmp_ne_u16_e32 vcc_lo, 0, v5
	v_cndmask_b32_e64 v5, 0, 1.0, vcc_lo
	s_delay_alu instid0(VALU_DEP_1)
	v_lshrrev_b32_e32 v5, 16, v5
.LBB488_1293:
.LBB488_1294:
	s_and_not1_b32 vcc_lo, exec_lo, s14
	s_cbranch_vccnz .LBB488_1995
.LBB488_1295:
	v_add_nc_u32_e32 v3, s0, v3
	v_cmp_lt_i16_e64 s1, s10, 11
	s_delay_alu instid0(VALU_DEP_2) | instskip(SKIP_1) | instid1(VALU_DEP_2)
	v_ashrrev_i32_e32 v1, 31, v3
	v_add_co_u32 v0, vcc_lo, s6, v3
	v_add_co_ci_u32_e32 v1, vcc_lo, s7, v1, vcc_lo
	s_delay_alu instid0(VALU_DEP_4)
	s_and_b32 vcc_lo, exec_lo, s1
	s_cbranch_vccnz .LBB488_1302
; %bb.1296:
	v_cmp_gt_i16_e64 s1, s10, 25
	s_mov_b32 s3, 0
	s_delay_alu instid0(VALU_DEP_1)
	s_and_b32 vcc_lo, exec_lo, s1
	s_cbranch_vccz .LBB488_1308
; %bb.1297:
	v_cmp_gt_i16_e64 s1, s10, 28
	s_delay_alu instid0(VALU_DEP_1)
	s_and_b32 vcc_lo, exec_lo, s1
	s_cbranch_vccz .LBB488_1310
; %bb.1298:
	v_cmp_gt_i16_e64 s1, s10, 43
	;; [unrolled: 5-line block ×3, first 2 shown]
	s_delay_alu instid0(VALU_DEP_1)
	s_and_b32 vcc_lo, exec_lo, s1
	s_cbranch_vccz .LBB488_1316
; %bb.1300:
	v_cmp_eq_u16_e64 s1, s10, 46
	s_mov_b32 s15, 0
	s_delay_alu instid0(VALU_DEP_1)
	s_and_b32 vcc_lo, exec_lo, s1
	s_cbranch_vccz .LBB488_1359
; %bb.1301:
	global_load_b32 v6, v[0:1], off
	s_mov_b32 s1, 0
	s_mov_b32 s14, -1
	s_branch .LBB488_1361
.LBB488_1302:
	s_mov_b32 s14, 0
                                        ; implicit-def: $vgpr6
	s_cbranch_execz .LBB488_1427
; %bb.1303:
	v_cmp_lt_i16_e64 s1, s10, 5
	s_delay_alu instid0(VALU_DEP_1)
	s_and_b32 vcc_lo, exec_lo, s1
	s_cbranch_vccnz .LBB488_1309
; %bb.1304:
	v_cmp_lt_i16_e64 s1, s10, 8
	s_delay_alu instid0(VALU_DEP_1)
	s_and_b32 vcc_lo, exec_lo, s1
	s_cbranch_vccnz .LBB488_1311
; %bb.1305:
	v_cmp_lt_i16_e64 s1, s10, 9
	s_delay_alu instid0(VALU_DEP_1)
	s_and_b32 vcc_lo, exec_lo, s1
	s_cbranch_vccnz .LBB488_1313
; %bb.1306:
	v_cmp_gt_i16_e64 s1, s10, 9
	s_delay_alu instid0(VALU_DEP_1)
	s_and_b32 vcc_lo, exec_lo, s1
	s_cbranch_vccz .LBB488_1317
; %bb.1307:
	global_load_b64 v[6:7], v[0:1], off
	s_mov_b32 s1, 0
	s_waitcnt vmcnt(0)
	v_cvt_f32_f64_e32 v6, v[6:7]
	s_delay_alu instid0(VALU_DEP_1) | instskip(SKIP_1) | instid1(VALU_DEP_2)
	v_bfe_u32 v7, v6, 16, 1
	v_cmp_o_f32_e32 vcc_lo, v6, v6
	v_add3_u32 v7, v6, v7, 0x7fff
	s_delay_alu instid0(VALU_DEP_1) | instskip(NEXT) | instid1(VALU_DEP_1)
	v_lshrrev_b32_e32 v7, 16, v7
	v_cndmask_b32_e32 v6, 0x7fc0, v7, vcc_lo
	s_branch .LBB488_1318
.LBB488_1308:
	s_mov_b32 s15, -1
	s_mov_b32 s14, 0
	s_mov_b32 s1, 0
                                        ; implicit-def: $vgpr6
	s_branch .LBB488_1390
.LBB488_1309:
	s_mov_b32 s1, -1
                                        ; implicit-def: $vgpr6
	s_branch .LBB488_1336
.LBB488_1310:
	s_mov_b32 s15, -1
	s_mov_b32 s14, 0
	s_mov_b32 s1, 0
                                        ; implicit-def: $vgpr6
	s_branch .LBB488_1371
.LBB488_1311:
	s_mov_b32 s1, -1
                                        ; implicit-def: $vgpr6
	s_branch .LBB488_1324
.LBB488_1312:
	s_mov_b32 s15, -1
	s_mov_b32 s14, 0
	s_mov_b32 s1, 0
                                        ; implicit-def: $vgpr6
	s_branch .LBB488_1366
.LBB488_1313:
	s_mov_b32 s1, -1
                                        ; implicit-def: $vgpr6
	s_branch .LBB488_1321
.LBB488_1314:
	s_cbranch_execnz .LBB488_1357
; %bb.1315:
	s_or_b32 s11, s11, exec_lo
                                        ; implicit-def: $vgpr5
	s_cbranch_execz .LBB488_1292
	s_branch .LBB488_1293
.LBB488_1316:
	s_mov_b32 s15, -1
	s_mov_b32 s14, 0
	s_mov_b32 s1, 0
	s_branch .LBB488_1360
.LBB488_1317:
	s_mov_b32 s1, -1
                                        ; implicit-def: $vgpr6
.LBB488_1318:
	s_delay_alu instid0(SALU_CYCLE_1)
	s_and_not1_b32 vcc_lo, exec_lo, s1
	s_cbranch_vccnz .LBB488_1320
; %bb.1319:
	global_load_b32 v6, v[0:1], off
	s_waitcnt vmcnt(0)
	v_bfe_u32 v7, v6, 16, 1
	v_cmp_o_f32_e32 vcc_lo, v6, v6
	s_delay_alu instid0(VALU_DEP_2) | instskip(NEXT) | instid1(VALU_DEP_1)
	v_add3_u32 v7, v6, v7, 0x7fff
	v_lshrrev_b32_e32 v7, 16, v7
	s_delay_alu instid0(VALU_DEP_1)
	v_cndmask_b32_e32 v6, 0x7fc0, v7, vcc_lo
.LBB488_1320:
	s_mov_b32 s1, 0
.LBB488_1321:
	s_delay_alu instid0(SALU_CYCLE_1)
	s_and_not1_b32 vcc_lo, exec_lo, s1
	s_cbranch_vccnz .LBB488_1323
; %bb.1322:
	global_load_b32 v6, v[0:1], off
	s_waitcnt vmcnt(0)
	v_cvt_f32_f16_e32 v7, v6
	v_cmp_o_f16_e32 vcc_lo, v6, v6
	s_delay_alu instid0(VALU_DEP_2) | instskip(NEXT) | instid1(VALU_DEP_1)
	v_bfe_u32 v8, v7, 16, 1
	v_add3_u32 v7, v7, v8, 0x7fff
	s_delay_alu instid0(VALU_DEP_1) | instskip(NEXT) | instid1(VALU_DEP_1)
	v_lshrrev_b32_e32 v7, 16, v7
	v_cndmask_b32_e32 v6, 0x7fc0, v7, vcc_lo
.LBB488_1323:
	s_mov_b32 s1, 0
.LBB488_1324:
	s_delay_alu instid0(SALU_CYCLE_1)
	s_and_not1_b32 vcc_lo, exec_lo, s1
	s_cbranch_vccnz .LBB488_1335
; %bb.1325:
	v_cmp_lt_i16_e64 s1, s10, 6
	s_delay_alu instid0(VALU_DEP_1)
	s_and_b32 vcc_lo, exec_lo, s1
	s_cbranch_vccnz .LBB488_1328
; %bb.1326:
	v_cmp_gt_i16_e64 s1, s10, 6
	s_delay_alu instid0(VALU_DEP_1)
	s_and_b32 vcc_lo, exec_lo, s1
	s_cbranch_vccz .LBB488_1329
; %bb.1327:
	global_load_b64 v[6:7], v[0:1], off
	s_mov_b32 s1, 0
	s_waitcnt vmcnt(0)
	v_cvt_f32_f64_e32 v6, v[6:7]
	s_delay_alu instid0(VALU_DEP_1) | instskip(SKIP_1) | instid1(VALU_DEP_2)
	v_bfe_u32 v7, v6, 16, 1
	v_cmp_o_f32_e32 vcc_lo, v6, v6
	v_add3_u32 v7, v6, v7, 0x7fff
	s_delay_alu instid0(VALU_DEP_1) | instskip(NEXT) | instid1(VALU_DEP_1)
	v_lshrrev_b32_e32 v7, 16, v7
	v_cndmask_b32_e32 v6, 0x7fc0, v7, vcc_lo
	s_branch .LBB488_1330
.LBB488_1328:
	s_mov_b32 s1, -1
                                        ; implicit-def: $vgpr6
	s_branch .LBB488_1333
.LBB488_1329:
	s_mov_b32 s1, -1
                                        ; implicit-def: $vgpr6
.LBB488_1330:
	s_delay_alu instid0(SALU_CYCLE_1)
	s_and_not1_b32 vcc_lo, exec_lo, s1
	s_cbranch_vccnz .LBB488_1332
; %bb.1331:
	global_load_b32 v6, v[0:1], off
	s_waitcnt vmcnt(0)
	v_bfe_u32 v7, v6, 16, 1
	v_cmp_o_f32_e32 vcc_lo, v6, v6
	s_delay_alu instid0(VALU_DEP_2) | instskip(NEXT) | instid1(VALU_DEP_1)
	v_add3_u32 v7, v6, v7, 0x7fff
	v_lshrrev_b32_e32 v7, 16, v7
	s_delay_alu instid0(VALU_DEP_1)
	v_cndmask_b32_e32 v6, 0x7fc0, v7, vcc_lo
.LBB488_1332:
	s_mov_b32 s1, 0
.LBB488_1333:
	s_delay_alu instid0(SALU_CYCLE_1)
	s_and_not1_b32 vcc_lo, exec_lo, s1
	s_cbranch_vccnz .LBB488_1335
; %bb.1334:
	global_load_u16 v6, v[0:1], off
	s_waitcnt vmcnt(0)
	v_cvt_f32_f16_e32 v7, v6
	v_cmp_o_f16_e32 vcc_lo, v6, v6
	s_delay_alu instid0(VALU_DEP_2) | instskip(NEXT) | instid1(VALU_DEP_1)
	v_bfe_u32 v8, v7, 16, 1
	v_add3_u32 v7, v7, v8, 0x7fff
	s_delay_alu instid0(VALU_DEP_1) | instskip(NEXT) | instid1(VALU_DEP_1)
	v_lshrrev_b32_e32 v7, 16, v7
	v_cndmask_b32_e32 v6, 0x7fc0, v7, vcc_lo
.LBB488_1335:
	s_mov_b32 s1, 0
.LBB488_1336:
	s_delay_alu instid0(SALU_CYCLE_1)
	s_and_not1_b32 vcc_lo, exec_lo, s1
	s_cbranch_vccnz .LBB488_1356
; %bb.1337:
	v_cmp_lt_i16_e64 s1, s10, 2
	s_delay_alu instid0(VALU_DEP_1)
	s_and_b32 vcc_lo, exec_lo, s1
	s_cbranch_vccnz .LBB488_1341
; %bb.1338:
	v_cmp_lt_i16_e64 s1, s10, 3
	s_delay_alu instid0(VALU_DEP_1)
	s_and_b32 vcc_lo, exec_lo, s1
	s_cbranch_vccnz .LBB488_1342
; %bb.1339:
	v_cmp_gt_i16_e64 s1, s10, 3
	s_delay_alu instid0(VALU_DEP_1)
	s_and_b32 vcc_lo, exec_lo, s1
	s_cbranch_vccz .LBB488_1343
; %bb.1340:
	global_load_b64 v[6:7], v[0:1], off
	s_mov_b32 s1, 0
	s_waitcnt vmcnt(0)
	v_xor_b32_e32 v8, v6, v7
	v_cls_i32_e32 v9, v7
	s_delay_alu instid0(VALU_DEP_2) | instskip(NEXT) | instid1(VALU_DEP_2)
	v_ashrrev_i32_e32 v8, 31, v8
	v_add_nc_u32_e32 v9, -1, v9
	s_delay_alu instid0(VALU_DEP_2) | instskip(NEXT) | instid1(VALU_DEP_1)
	v_add_nc_u32_e32 v8, 32, v8
	v_min_u32_e32 v8, v9, v8
	s_delay_alu instid0(VALU_DEP_1) | instskip(NEXT) | instid1(VALU_DEP_1)
	v_lshlrev_b64 v[6:7], v8, v[6:7]
	v_min_u32_e32 v6, 1, v6
	s_delay_alu instid0(VALU_DEP_1) | instskip(SKIP_1) | instid1(VALU_DEP_2)
	v_or_b32_e32 v6, v7, v6
	v_sub_nc_u32_e32 v7, 32, v8
	v_cvt_f32_i32_e32 v6, v6
	s_delay_alu instid0(VALU_DEP_1) | instskip(NEXT) | instid1(VALU_DEP_1)
	v_ldexp_f32 v6, v6, v7
	v_bfe_u32 v7, v6, 16, 1
	s_delay_alu instid0(VALU_DEP_1) | instskip(NEXT) | instid1(VALU_DEP_1)
	v_add3_u32 v6, v6, v7, 0x7fff
	v_lshrrev_b32_e32 v6, 16, v6
	s_branch .LBB488_1344
.LBB488_1341:
	s_mov_b32 s1, -1
                                        ; implicit-def: $vgpr6
	s_branch .LBB488_1350
.LBB488_1342:
	s_mov_b32 s1, -1
                                        ; implicit-def: $vgpr6
	s_branch .LBB488_1347
.LBB488_1343:
	s_mov_b32 s1, -1
                                        ; implicit-def: $vgpr6
.LBB488_1344:
	s_delay_alu instid0(SALU_CYCLE_1)
	s_and_not1_b32 vcc_lo, exec_lo, s1
	s_cbranch_vccnz .LBB488_1346
; %bb.1345:
	global_load_b32 v6, v[0:1], off
	s_waitcnt vmcnt(0)
	v_cvt_f32_i32_e32 v6, v6
	s_delay_alu instid0(VALU_DEP_1) | instskip(NEXT) | instid1(VALU_DEP_1)
	v_bfe_u32 v7, v6, 16, 1
	v_add3_u32 v6, v6, v7, 0x7fff
	s_delay_alu instid0(VALU_DEP_1)
	v_lshrrev_b32_e32 v6, 16, v6
.LBB488_1346:
	s_mov_b32 s1, 0
.LBB488_1347:
	s_delay_alu instid0(SALU_CYCLE_1)
	s_and_not1_b32 vcc_lo, exec_lo, s1
	s_cbranch_vccnz .LBB488_1349
; %bb.1348:
	global_load_i16 v6, v[0:1], off
	s_waitcnt vmcnt(0)
	v_cvt_f32_i32_e32 v6, v6
	s_delay_alu instid0(VALU_DEP_1) | instskip(NEXT) | instid1(VALU_DEP_1)
	v_bfe_u32 v7, v6, 16, 1
	v_add3_u32 v6, v6, v7, 0x7fff
	s_delay_alu instid0(VALU_DEP_1)
	v_lshrrev_b32_e32 v6, 16, v6
.LBB488_1349:
	s_mov_b32 s1, 0
.LBB488_1350:
	s_delay_alu instid0(SALU_CYCLE_1)
	s_and_not1_b32 vcc_lo, exec_lo, s1
	s_cbranch_vccnz .LBB488_1356
; %bb.1351:
	v_cmp_gt_i16_e64 s1, s10, 0
	s_delay_alu instid0(VALU_DEP_1)
	s_and_b32 vcc_lo, exec_lo, s1
	s_mov_b32 s1, 0
	s_cbranch_vccz .LBB488_1353
; %bb.1352:
	global_load_i8 v6, v[0:1], off
	s_waitcnt vmcnt(0)
	v_cvt_f32_i32_e32 v6, v6
	s_delay_alu instid0(VALU_DEP_1) | instskip(NEXT) | instid1(VALU_DEP_1)
	v_bfe_u32 v7, v6, 16, 1
	v_add3_u32 v6, v6, v7, 0x7fff
	s_delay_alu instid0(VALU_DEP_1)
	v_lshrrev_b32_e32 v6, 16, v6
	s_branch .LBB488_1354
.LBB488_1353:
	s_mov_b32 s1, -1
                                        ; implicit-def: $vgpr6
.LBB488_1354:
	s_delay_alu instid0(SALU_CYCLE_1)
	s_and_not1_b32 vcc_lo, exec_lo, s1
	s_cbranch_vccnz .LBB488_1356
; %bb.1355:
	global_load_u8 v0, v[0:1], off
	s_waitcnt vmcnt(0)
	v_cvt_f32_ubyte0_e32 v0, v0
	s_delay_alu instid0(VALU_DEP_1) | instskip(NEXT) | instid1(VALU_DEP_1)
	v_bfe_u32 v1, v0, 16, 1
	v_add3_u32 v0, v0, v1, 0x7fff
	s_delay_alu instid0(VALU_DEP_1)
	v_lshrrev_b32_e32 v6, 16, v0
.LBB488_1356:
	s_branch .LBB488_1428
.LBB488_1357:
	s_trap 2
	s_sendmsg_rtn_b32 s0, sendmsg(MSG_RTN_GET_DOORBELL)
	s_mov_b32 ttmp2, m0
	s_waitcnt lgkmcnt(0)
	s_and_b32 s0, s0, 0x3ff
	s_delay_alu instid0(SALU_CYCLE_1) | instskip(NEXT) | instid1(SALU_CYCLE_1)
	s_bitset1_b32 s0, 10
	s_mov_b32 m0, s0
	s_sendmsg sendmsg(MSG_INTERRUPT)
	s_mov_b32 m0, ttmp2
.LBB488_1358:                           ; =>This Inner Loop Header: Depth=1
	s_sethalt 5
	s_branch .LBB488_1358
.LBB488_1359:
	s_mov_b32 s1, -1
	s_mov_b32 s14, 0
.LBB488_1360:
                                        ; implicit-def: $vgpr6
.LBB488_1361:
	s_and_b32 vcc_lo, exec_lo, s15
	s_cbranch_vccz .LBB488_1365
; %bb.1362:
	v_cmp_eq_u16_e64 s1, s10, 44
	s_delay_alu instid0(VALU_DEP_1)
	s_and_b32 vcc_lo, exec_lo, s1
	s_cbranch_vccz .LBB488_1364
; %bb.1363:
	global_load_u8 v6, v[0:1], off
	s_mov_b32 s1, 0
	s_mov_b32 s14, -1
	s_waitcnt vmcnt(0)
	v_lshlrev_b32_e32 v7, 23, v6
	v_cmp_ne_u32_e32 vcc_lo, 0xff, v6
	s_delay_alu instid0(VALU_DEP_2) | instskip(SKIP_1) | instid1(VALU_DEP_2)
	v_cndmask_b32_e32 v7, 0x7f800001, v7, vcc_lo
	v_cmp_ne_u32_e32 vcc_lo, 0, v6
	v_cndmask_b32_e32 v6, 0x400000, v7, vcc_lo
	s_delay_alu instid0(VALU_DEP_1) | instskip(SKIP_1) | instid1(VALU_DEP_2)
	v_add_nc_u32_e32 v7, 0x7fff, v6
	v_cmp_o_f32_e32 vcc_lo, v6, v6
	v_lshrrev_b32_e32 v7, 16, v7
	s_delay_alu instid0(VALU_DEP_1)
	v_cndmask_b32_e32 v6, 0x7fc0, v7, vcc_lo
	s_branch .LBB488_1365
.LBB488_1364:
	s_mov_b32 s1, -1
                                        ; implicit-def: $vgpr6
.LBB488_1365:
	s_mov_b32 s15, 0
.LBB488_1366:
	s_delay_alu instid0(SALU_CYCLE_1)
	s_and_b32 vcc_lo, exec_lo, s15
	s_cbranch_vccz .LBB488_1370
; %bb.1367:
	v_cmp_eq_u16_e64 s1, s10, 29
	s_delay_alu instid0(VALU_DEP_1)
	s_and_b32 vcc_lo, exec_lo, s1
	s_cbranch_vccz .LBB488_1369
; %bb.1368:
	global_load_b64 v[6:7], v[0:1], off
	s_mov_b32 s1, 0
	s_mov_b32 s14, -1
	s_mov_b32 s15, 0
	s_waitcnt vmcnt(0)
	v_clz_i32_u32_e32 v8, v7
	s_delay_alu instid0(VALU_DEP_1) | instskip(NEXT) | instid1(VALU_DEP_1)
	v_min_u32_e32 v8, 32, v8
	v_lshlrev_b64 v[6:7], v8, v[6:7]
	s_delay_alu instid0(VALU_DEP_1) | instskip(NEXT) | instid1(VALU_DEP_1)
	v_min_u32_e32 v6, 1, v6
	v_or_b32_e32 v6, v7, v6
	v_sub_nc_u32_e32 v7, 32, v8
	s_delay_alu instid0(VALU_DEP_2) | instskip(NEXT) | instid1(VALU_DEP_1)
	v_cvt_f32_u32_e32 v6, v6
	v_ldexp_f32 v6, v6, v7
	s_delay_alu instid0(VALU_DEP_1) | instskip(NEXT) | instid1(VALU_DEP_1)
	v_bfe_u32 v7, v6, 16, 1
	v_add3_u32 v6, v6, v7, 0x7fff
	s_delay_alu instid0(VALU_DEP_1)
	v_lshrrev_b32_e32 v6, 16, v6
	s_branch .LBB488_1371
.LBB488_1369:
	s_mov_b32 s1, -1
                                        ; implicit-def: $vgpr6
.LBB488_1370:
	s_mov_b32 s15, 0
.LBB488_1371:
	s_delay_alu instid0(SALU_CYCLE_1)
	s_and_b32 vcc_lo, exec_lo, s15
	s_cbranch_vccz .LBB488_1389
; %bb.1372:
	v_cmp_lt_i16_e64 s14, s10, 27
	s_delay_alu instid0(VALU_DEP_1)
	s_and_b32 vcc_lo, exec_lo, s14
	s_cbranch_vccnz .LBB488_1375
; %bb.1373:
	v_cmp_gt_i16_e64 s14, s10, 27
	s_delay_alu instid0(VALU_DEP_1)
	s_and_b32 vcc_lo, exec_lo, s14
	s_cbranch_vccz .LBB488_1376
; %bb.1374:
	global_load_b32 v6, v[0:1], off
	s_mov_b32 s14, 0
	s_waitcnt vmcnt(0)
	v_cvt_f32_u32_e32 v6, v6
	s_delay_alu instid0(VALU_DEP_1) | instskip(NEXT) | instid1(VALU_DEP_1)
	v_bfe_u32 v7, v6, 16, 1
	v_add3_u32 v6, v6, v7, 0x7fff
	s_delay_alu instid0(VALU_DEP_1)
	v_lshrrev_b32_e32 v6, 16, v6
	s_branch .LBB488_1377
.LBB488_1375:
	s_mov_b32 s14, -1
                                        ; implicit-def: $vgpr6
	s_branch .LBB488_1380
.LBB488_1376:
	s_mov_b32 s14, -1
                                        ; implicit-def: $vgpr6
.LBB488_1377:
	s_delay_alu instid0(SALU_CYCLE_1)
	s_and_not1_b32 vcc_lo, exec_lo, s14
	s_cbranch_vccnz .LBB488_1379
; %bb.1378:
	global_load_u16 v6, v[0:1], off
	s_waitcnt vmcnt(0)
	v_cvt_f32_u32_e32 v6, v6
	s_delay_alu instid0(VALU_DEP_1) | instskip(NEXT) | instid1(VALU_DEP_1)
	v_bfe_u32 v7, v6, 16, 1
	v_add3_u32 v6, v6, v7, 0x7fff
	s_delay_alu instid0(VALU_DEP_1)
	v_lshrrev_b32_e32 v6, 16, v6
.LBB488_1379:
	s_mov_b32 s14, 0
.LBB488_1380:
	s_delay_alu instid0(SALU_CYCLE_1)
	s_and_not1_b32 vcc_lo, exec_lo, s14
	s_cbranch_vccnz .LBB488_1388
; %bb.1381:
	global_load_u8 v6, v[0:1], off
	s_mov_b32 s14, 0
	s_mov_b32 s16, exec_lo
                                        ; implicit-def: $sgpr15
	s_waitcnt vmcnt(0)
	v_cmpx_lt_i16_e32 0x7f, v6
	s_xor_b32 s16, exec_lo, s16
	s_cbranch_execz .LBB488_1402
; %bb.1382:
	s_mov_b32 s14, -1
	s_mov_b32 s17, exec_lo
                                        ; implicit-def: $sgpr15
	v_cmpx_eq_u16_e32 0x80, v6
; %bb.1383:
	s_mov_b32 s15, 0x7f800001
	s_xor_b32 s14, exec_lo, -1
; %bb.1384:
	s_or_b32 exec_lo, exec_lo, s17
	s_delay_alu instid0(SALU_CYCLE_1)
	s_and_b32 s14, s14, exec_lo
	s_or_saveexec_b32 s16, s16
	v_mov_b32_e32 v7, s15
	s_xor_b32 exec_lo, exec_lo, s16
	s_cbranch_execnz .LBB488_1403
.LBB488_1385:
	s_or_b32 exec_lo, exec_lo, s16
	s_and_saveexec_b32 s15, s14
	s_cbranch_execz .LBB488_1387
.LBB488_1386:
	v_and_b32_e32 v7, 0xffff, v6
	v_lshlrev_b32_e32 v6, 24, v6
	s_delay_alu instid0(VALU_DEP_2) | instskip(NEXT) | instid1(VALU_DEP_2)
	v_and_b32_e32 v8, 7, v7
	v_and_b32_e32 v6, 0x80000000, v6
	s_delay_alu instid0(VALU_DEP_2) | instskip(NEXT) | instid1(VALU_DEP_1)
	v_clz_i32_u32_e32 v9, v8
	v_min_u32_e32 v9, 32, v9
	s_delay_alu instid0(VALU_DEP_1) | instskip(SKIP_1) | instid1(VALU_DEP_2)
	v_subrev_nc_u32_e32 v10, 28, v9
	v_sub_nc_u32_e32 v9, 29, v9
	v_lshlrev_b32_e32 v10, v10, v7
	v_bfe_u32 v7, v7, 3, 4
	s_delay_alu instid0(VALU_DEP_2) | instskip(NEXT) | instid1(VALU_DEP_2)
	v_and_b32_e32 v10, 7, v10
	v_cmp_eq_u32_e32 vcc_lo, 0, v7
	s_delay_alu instid0(VALU_DEP_2) | instskip(NEXT) | instid1(VALU_DEP_1)
	v_dual_cndmask_b32 v7, v7, v9 :: v_dual_cndmask_b32 v8, v8, v10
	v_lshl_add_u32 v7, v7, 23, 0x3b800000
	s_delay_alu instid0(VALU_DEP_2) | instskip(NEXT) | instid1(VALU_DEP_1)
	v_lshlrev_b32_e32 v8, 20, v8
	v_or3_b32 v7, v6, v7, v8
.LBB488_1387:
	s_or_b32 exec_lo, exec_lo, s15
	s_delay_alu instid0(VALU_DEP_1) | instskip(SKIP_1) | instid1(VALU_DEP_2)
	v_bfe_u32 v6, v7, 16, 1
	v_cmp_o_f32_e32 vcc_lo, v7, v7
	v_add3_u32 v6, v7, v6, 0x7fff
	s_delay_alu instid0(VALU_DEP_1) | instskip(NEXT) | instid1(VALU_DEP_1)
	v_lshrrev_b32_e32 v6, 16, v6
	v_cndmask_b32_e32 v6, 0x7fc0, v6, vcc_lo
.LBB488_1388:
	s_mov_b32 s14, -1
.LBB488_1389:
	s_mov_b32 s15, 0
.LBB488_1390:
	s_delay_alu instid0(SALU_CYCLE_1)
	s_and_b32 vcc_lo, exec_lo, s15
	s_cbranch_vccz .LBB488_1423
; %bb.1391:
	v_cmp_gt_i16_e64 s3, s10, 22
	s_delay_alu instid0(VALU_DEP_1)
	s_and_b32 vcc_lo, exec_lo, s3
	s_cbranch_vccz .LBB488_1401
; %bb.1392:
	v_cmp_lt_i16_e64 s3, s10, 24
	s_delay_alu instid0(VALU_DEP_1)
	s_and_b32 vcc_lo, exec_lo, s3
	s_cbranch_vccnz .LBB488_1404
; %bb.1393:
	v_cmp_gt_i16_e64 s3, s10, 24
	s_delay_alu instid0(VALU_DEP_1)
	s_and_b32 vcc_lo, exec_lo, s3
	s_cbranch_vccz .LBB488_1405
; %bb.1394:
	global_load_u8 v6, v[0:1], off
	s_mov_b32 s3, 0
	s_mov_b32 s15, exec_lo
                                        ; implicit-def: $sgpr14
	s_waitcnt vmcnt(0)
	v_cmpx_lt_i16_e32 0x7f, v6
	s_xor_b32 s15, exec_lo, s15
	s_cbranch_execz .LBB488_1417
; %bb.1395:
	s_mov_b32 s3, -1
	s_mov_b32 s16, exec_lo
                                        ; implicit-def: $sgpr14
	v_cmpx_eq_u16_e32 0x80, v6
; %bb.1396:
	s_mov_b32 s14, 0x7f800001
	s_xor_b32 s3, exec_lo, -1
; %bb.1397:
	s_or_b32 exec_lo, exec_lo, s16
	s_delay_alu instid0(SALU_CYCLE_1)
	s_and_b32 s3, s3, exec_lo
	s_or_saveexec_b32 s15, s15
	v_mov_b32_e32 v7, s14
	s_xor_b32 exec_lo, exec_lo, s15
	s_cbranch_execnz .LBB488_1418
.LBB488_1398:
	s_or_b32 exec_lo, exec_lo, s15
	s_and_saveexec_b32 s14, s3
	s_cbranch_execz .LBB488_1400
.LBB488_1399:
	v_and_b32_e32 v7, 0xffff, v6
	v_lshlrev_b32_e32 v6, 24, v6
	s_delay_alu instid0(VALU_DEP_2) | instskip(NEXT) | instid1(VALU_DEP_2)
	v_and_b32_e32 v8, 3, v7
	v_and_b32_e32 v6, 0x80000000, v6
	s_delay_alu instid0(VALU_DEP_2) | instskip(NEXT) | instid1(VALU_DEP_1)
	v_clz_i32_u32_e32 v9, v8
	v_min_u32_e32 v9, 32, v9
	s_delay_alu instid0(VALU_DEP_1) | instskip(SKIP_1) | instid1(VALU_DEP_2)
	v_subrev_nc_u32_e32 v10, 29, v9
	v_sub_nc_u32_e32 v9, 30, v9
	v_lshlrev_b32_e32 v10, v10, v7
	v_bfe_u32 v7, v7, 2, 5
	s_delay_alu instid0(VALU_DEP_2) | instskip(NEXT) | instid1(VALU_DEP_2)
	v_and_b32_e32 v10, 3, v10
	v_cmp_eq_u32_e32 vcc_lo, 0, v7
	s_delay_alu instid0(VALU_DEP_2) | instskip(NEXT) | instid1(VALU_DEP_1)
	v_dual_cndmask_b32 v7, v7, v9 :: v_dual_cndmask_b32 v8, v8, v10
	v_lshl_add_u32 v7, v7, 23, 0x37800000
	s_delay_alu instid0(VALU_DEP_2) | instskip(NEXT) | instid1(VALU_DEP_1)
	v_lshlrev_b32_e32 v8, 21, v8
	v_or3_b32 v7, v6, v7, v8
.LBB488_1400:
	s_or_b32 exec_lo, exec_lo, s14
	s_delay_alu instid0(VALU_DEP_1) | instskip(SKIP_2) | instid1(VALU_DEP_2)
	v_bfe_u32 v6, v7, 16, 1
	v_cmp_o_f32_e32 vcc_lo, v7, v7
	s_mov_b32 s3, 0
	v_add3_u32 v6, v7, v6, 0x7fff
	s_delay_alu instid0(VALU_DEP_1) | instskip(NEXT) | instid1(VALU_DEP_1)
	v_lshrrev_b32_e32 v6, 16, v6
	v_cndmask_b32_e32 v6, 0x7fc0, v6, vcc_lo
	s_branch .LBB488_1406
.LBB488_1401:
	s_mov_b32 s3, -1
                                        ; implicit-def: $vgpr6
	s_branch .LBB488_1412
.LBB488_1402:
	s_or_saveexec_b32 s16, s16
	v_mov_b32_e32 v7, s15
	s_xor_b32 exec_lo, exec_lo, s16
	s_cbranch_execz .LBB488_1385
.LBB488_1403:
	v_cmp_ne_u16_e32 vcc_lo, 0, v6
	v_mov_b32_e32 v7, 0
	s_and_not1_b32 s14, s14, exec_lo
	s_and_b32 s15, vcc_lo, exec_lo
	s_delay_alu instid0(SALU_CYCLE_1)
	s_or_b32 s14, s14, s15
	s_or_b32 exec_lo, exec_lo, s16
	s_and_saveexec_b32 s15, s14
	s_cbranch_execnz .LBB488_1386
	s_branch .LBB488_1387
.LBB488_1404:
	s_mov_b32 s3, -1
                                        ; implicit-def: $vgpr6
	s_branch .LBB488_1409
.LBB488_1405:
	s_mov_b32 s3, -1
                                        ; implicit-def: $vgpr6
.LBB488_1406:
	s_delay_alu instid0(SALU_CYCLE_1)
	s_and_b32 vcc_lo, exec_lo, s3
	s_cbranch_vccz .LBB488_1408
; %bb.1407:
	global_load_u8 v6, v[0:1], off
	s_waitcnt vmcnt(0)
	v_lshlrev_b32_e32 v6, 24, v6
	s_delay_alu instid0(VALU_DEP_1) | instskip(NEXT) | instid1(VALU_DEP_1)
	v_and_b32_e32 v7, 0x7f000000, v6
	v_clz_i32_u32_e32 v8, v7
	v_add_nc_u32_e32 v10, 0x1000000, v7
	v_cmp_ne_u32_e32 vcc_lo, 0, v7
	s_delay_alu instid0(VALU_DEP_3) | instskip(NEXT) | instid1(VALU_DEP_1)
	v_min_u32_e32 v8, 32, v8
	v_sub_nc_u32_e64 v8, v8, 4 clamp
	s_delay_alu instid0(VALU_DEP_1) | instskip(SKIP_1) | instid1(VALU_DEP_2)
	v_lshlrev_b32_e32 v9, v8, v7
	v_lshlrev_b32_e32 v8, 23, v8
	v_lshrrev_b32_e32 v9, 4, v9
	s_delay_alu instid0(VALU_DEP_1) | instskip(SKIP_1) | instid1(VALU_DEP_2)
	v_sub_nc_u32_e32 v8, v9, v8
	v_ashrrev_i32_e32 v9, 8, v10
	v_add_nc_u32_e32 v8, 0x3c000000, v8
	s_delay_alu instid0(VALU_DEP_1) | instskip(NEXT) | instid1(VALU_DEP_1)
	v_and_or_b32 v8, 0x7f800000, v9, v8
	v_cndmask_b32_e32 v7, 0, v8, vcc_lo
	s_delay_alu instid0(VALU_DEP_1) | instskip(SKIP_1) | instid1(VALU_DEP_2)
	v_and_or_b32 v6, 0x80000000, v6, v7
	v_bfe_u32 v7, v7, 16, 1
	v_cmp_o_f32_e32 vcc_lo, v6, v6
	s_delay_alu instid0(VALU_DEP_2) | instskip(NEXT) | instid1(VALU_DEP_1)
	v_add3_u32 v7, v6, v7, 0x7fff
	v_lshrrev_b32_e32 v7, 16, v7
	s_delay_alu instid0(VALU_DEP_1)
	v_cndmask_b32_e32 v6, 0x7fc0, v7, vcc_lo
.LBB488_1408:
	s_mov_b32 s3, 0
.LBB488_1409:
	s_delay_alu instid0(SALU_CYCLE_1)
	s_and_not1_b32 vcc_lo, exec_lo, s3
	s_cbranch_vccnz .LBB488_1411
; %bb.1410:
	global_load_u8 v6, v[0:1], off
	s_waitcnt vmcnt(0)
	v_lshlrev_b32_e32 v7, 25, v6
	v_lshlrev_b16 v6, 8, v6
	s_delay_alu instid0(VALU_DEP_2) | instskip(NEXT) | instid1(VALU_DEP_2)
	v_lshrrev_b32_e32 v8, 4, v7
	v_and_or_b32 v9, 0x7f00, v6, 0.5
	v_bfe_i32 v6, v6, 0, 16
	s_delay_alu instid0(VALU_DEP_3) | instskip(NEXT) | instid1(VALU_DEP_1)
	v_or_b32_e32 v8, 0x70000000, v8
	v_dual_add_f32 v9, -0.5, v9 :: v_dual_mul_f32 v8, 0x7800000, v8
	v_cmp_gt_u32_e32 vcc_lo, 0x8000000, v7
	s_delay_alu instid0(VALU_DEP_2) | instskip(NEXT) | instid1(VALU_DEP_1)
	v_cndmask_b32_e32 v7, v8, v9, vcc_lo
	v_and_or_b32 v6, 0x80000000, v6, v7
	v_bfe_u32 v7, v7, 16, 1
	s_delay_alu instid0(VALU_DEP_2) | instskip(NEXT) | instid1(VALU_DEP_2)
	v_cmp_o_f32_e32 vcc_lo, v6, v6
	v_add3_u32 v7, v6, v7, 0x7fff
	s_delay_alu instid0(VALU_DEP_1) | instskip(NEXT) | instid1(VALU_DEP_1)
	v_lshrrev_b32_e32 v7, 16, v7
	v_cndmask_b32_e32 v6, 0x7fc0, v7, vcc_lo
.LBB488_1411:
	s_mov_b32 s3, 0
	s_mov_b32 s14, -1
.LBB488_1412:
	s_and_not1_b32 vcc_lo, exec_lo, s3
	s_mov_b32 s3, 0
	s_cbranch_vccnz .LBB488_1423
; %bb.1413:
	v_cmp_gt_i16_e64 s3, s10, 14
	s_delay_alu instid0(VALU_DEP_1)
	s_and_b32 vcc_lo, exec_lo, s3
	s_cbranch_vccz .LBB488_1416
; %bb.1414:
	v_cmp_eq_u16_e64 s1, s10, 15
	s_delay_alu instid0(VALU_DEP_1)
	s_and_b32 vcc_lo, exec_lo, s1
	s_cbranch_vccz .LBB488_1419
; %bb.1415:
	global_load_u16 v6, v[0:1], off
	s_mov_b32 s1, 0
	s_mov_b32 s14, -1
	s_branch .LBB488_1420
.LBB488_1416:
	s_mov_b32 s3, -1
                                        ; implicit-def: $vgpr6
	s_branch .LBB488_1421
.LBB488_1417:
	s_or_saveexec_b32 s15, s15
	v_mov_b32_e32 v7, s14
	s_xor_b32 exec_lo, exec_lo, s15
	s_cbranch_execz .LBB488_1398
.LBB488_1418:
	v_cmp_ne_u16_e32 vcc_lo, 0, v6
	v_mov_b32_e32 v7, 0
	s_and_not1_b32 s3, s3, exec_lo
	s_and_b32 s14, vcc_lo, exec_lo
	s_delay_alu instid0(SALU_CYCLE_1)
	s_or_b32 s3, s3, s14
	s_or_b32 exec_lo, exec_lo, s15
	s_and_saveexec_b32 s14, s3
	s_cbranch_execnz .LBB488_1399
	s_branch .LBB488_1400
.LBB488_1419:
	s_mov_b32 s1, -1
                                        ; implicit-def: $vgpr6
.LBB488_1420:
	s_mov_b32 s3, 0
.LBB488_1421:
	s_delay_alu instid0(SALU_CYCLE_1)
	s_and_b32 vcc_lo, exec_lo, s3
	s_mov_b32 s3, 0
	s_cbranch_vccz .LBB488_1423
; %bb.1422:
	v_cmp_ne_u16_e64 s1, s10, 11
	s_mov_b32 s3, -1
                                        ; implicit-def: $vgpr6
.LBB488_1423:
	s_delay_alu instid0(VALU_DEP_1)
	s_and_b32 vcc_lo, exec_lo, s1
	s_cbranch_vccnz .LBB488_1439
; %bb.1424:
	s_and_not1_b32 vcc_lo, exec_lo, s3
	s_cbranch_vccnz .LBB488_1426
.LBB488_1425:
	global_load_u8 v6, v[0:1], off
	s_mov_b32 s14, -1
	s_waitcnt vmcnt(0)
	v_cmp_ne_u16_e32 vcc_lo, 0, v6
	v_cndmask_b32_e64 v6, 0, 1.0, vcc_lo
	s_delay_alu instid0(VALU_DEP_1)
	v_lshrrev_b32_e32 v6, 16, v6
.LBB488_1426:
.LBB488_1427:
	s_and_not1_b32 vcc_lo, exec_lo, s14
	s_cbranch_vccnz .LBB488_1995
.LBB488_1428:
	v_add_nc_u32_e32 v0, s0, v3
	v_cmp_lt_i16_e64 s0, s10, 11
	s_delay_alu instid0(VALU_DEP_2) | instskip(SKIP_1) | instid1(VALU_DEP_2)
	v_ashrrev_i32_e32 v1, 31, v0
	v_add_co_u32 v0, vcc_lo, s6, v0
	v_add_co_ci_u32_e32 v1, vcc_lo, s7, v1, vcc_lo
	s_delay_alu instid0(VALU_DEP_4)
	s_and_b32 vcc_lo, exec_lo, s0
	s_cbranch_vccnz .LBB488_1435
; %bb.1429:
	v_cmp_gt_i16_e64 s0, s10, 25
	s_mov_b32 s1, 0
	s_delay_alu instid0(VALU_DEP_1)
	s_and_b32 vcc_lo, exec_lo, s0
	s_cbranch_vccz .LBB488_1436
; %bb.1430:
	v_cmp_gt_i16_e64 s0, s10, 28
	s_delay_alu instid0(VALU_DEP_1)
	s_and_b32 vcc_lo, exec_lo, s0
	s_cbranch_vccz .LBB488_1437
; %bb.1431:
	v_cmp_gt_i16_e64 s0, s10, 43
	;; [unrolled: 5-line block ×3, first 2 shown]
	s_delay_alu instid0(VALU_DEP_1)
	s_and_b32 vcc_lo, exec_lo, s0
	s_cbranch_vccz .LBB488_1441
; %bb.1433:
	v_cmp_eq_u16_e64 s0, s10, 46
	s_mov_b32 s6, 0
	s_delay_alu instid0(VALU_DEP_1)
	s_and_b32 vcc_lo, exec_lo, s0
	s_cbranch_vccz .LBB488_1444
; %bb.1434:
	global_load_b32 v7, v[0:1], off
	s_mov_b32 s0, 0
	s_mov_b32 s3, -1
	s_branch .LBB488_1446
.LBB488_1435:
	s_mov_b32 s0, -1
	s_mov_b32 s3, 0
                                        ; implicit-def: $vgpr7
	s_branch .LBB488_1512
.LBB488_1436:
	s_mov_b32 s6, -1
	s_mov_b32 s3, 0
	s_mov_b32 s0, 0
                                        ; implicit-def: $vgpr7
	s_branch .LBB488_1475
.LBB488_1437:
	s_mov_b32 s6, -1
	s_mov_b32 s3, 0
	s_mov_b32 s0, 0
                                        ; implicit-def: $vgpr7
	s_branch .LBB488_1456
.LBB488_1438:
	s_mov_b32 s6, -1
	s_mov_b32 s3, 0
	s_mov_b32 s0, 0
                                        ; implicit-def: $vgpr7
	s_branch .LBB488_1451
.LBB488_1439:
	s_cbranch_execnz .LBB488_1442
; %bb.1440:
	s_or_b32 s11, s11, exec_lo
                                        ; implicit-def: $vgpr6
	s_cbranch_execz .LBB488_1425
	s_branch .LBB488_1426
.LBB488_1441:
	s_mov_b32 s6, -1
	s_mov_b32 s3, 0
	s_mov_b32 s0, 0
	s_branch .LBB488_1445
.LBB488_1442:
	s_trap 2
	s_sendmsg_rtn_b32 s0, sendmsg(MSG_RTN_GET_DOORBELL)
	s_mov_b32 ttmp2, m0
	s_waitcnt lgkmcnt(0)
	s_and_b32 s0, s0, 0x3ff
	s_delay_alu instid0(SALU_CYCLE_1) | instskip(NEXT) | instid1(SALU_CYCLE_1)
	s_bitset1_b32 s0, 10
	s_mov_b32 m0, s0
	s_sendmsg sendmsg(MSG_INTERRUPT)
	s_mov_b32 m0, ttmp2
.LBB488_1443:                           ; =>This Inner Loop Header: Depth=1
	s_sethalt 5
	s_branch .LBB488_1443
.LBB488_1444:
	s_mov_b32 s0, -1
	s_mov_b32 s3, 0
.LBB488_1445:
                                        ; implicit-def: $vgpr7
.LBB488_1446:
	s_and_b32 vcc_lo, exec_lo, s6
	s_cbranch_vccz .LBB488_1450
; %bb.1447:
	v_cmp_eq_u16_e64 s0, s10, 44
	s_delay_alu instid0(VALU_DEP_1)
	s_and_b32 vcc_lo, exec_lo, s0
	s_cbranch_vccz .LBB488_1449
; %bb.1448:
	global_load_u8 v3, v[0:1], off
	s_mov_b32 s0, 0
	s_mov_b32 s3, -1
	s_waitcnt vmcnt(0)
	v_lshlrev_b32_e32 v7, 23, v3
	v_cmp_ne_u32_e32 vcc_lo, 0xff, v3
	s_delay_alu instid0(VALU_DEP_2) | instskip(SKIP_1) | instid1(VALU_DEP_2)
	v_cndmask_b32_e32 v7, 0x7f800001, v7, vcc_lo
	v_cmp_ne_u32_e32 vcc_lo, 0, v3
	v_cndmask_b32_e32 v3, 0x400000, v7, vcc_lo
	s_delay_alu instid0(VALU_DEP_1) | instskip(SKIP_1) | instid1(VALU_DEP_2)
	v_add_nc_u32_e32 v7, 0x7fff, v3
	v_cmp_o_f32_e32 vcc_lo, v3, v3
	v_lshrrev_b32_e32 v7, 16, v7
	s_delay_alu instid0(VALU_DEP_1)
	v_cndmask_b32_e32 v7, 0x7fc0, v7, vcc_lo
	s_branch .LBB488_1450
.LBB488_1449:
	s_mov_b32 s0, -1
                                        ; implicit-def: $vgpr7
.LBB488_1450:
	s_mov_b32 s6, 0
.LBB488_1451:
	s_delay_alu instid0(SALU_CYCLE_1)
	s_and_b32 vcc_lo, exec_lo, s6
	s_cbranch_vccz .LBB488_1455
; %bb.1452:
	v_cmp_eq_u16_e64 s0, s10, 29
	s_delay_alu instid0(VALU_DEP_1)
	s_and_b32 vcc_lo, exec_lo, s0
	s_cbranch_vccz .LBB488_1454
; %bb.1453:
	global_load_b64 v[7:8], v[0:1], off
	s_mov_b32 s0, 0
	s_mov_b32 s3, -1
	s_mov_b32 s6, 0
	s_waitcnt vmcnt(0)
	v_clz_i32_u32_e32 v3, v8
	s_delay_alu instid0(VALU_DEP_1) | instskip(NEXT) | instid1(VALU_DEP_1)
	v_min_u32_e32 v3, 32, v3
	v_lshlrev_b64 v[7:8], v3, v[7:8]
	v_sub_nc_u32_e32 v3, 32, v3
	s_delay_alu instid0(VALU_DEP_2) | instskip(NEXT) | instid1(VALU_DEP_1)
	v_min_u32_e32 v7, 1, v7
	v_or_b32_e32 v7, v8, v7
	s_delay_alu instid0(VALU_DEP_1) | instskip(NEXT) | instid1(VALU_DEP_1)
	v_cvt_f32_u32_e32 v7, v7
	v_ldexp_f32 v3, v7, v3
	s_delay_alu instid0(VALU_DEP_1) | instskip(NEXT) | instid1(VALU_DEP_1)
	v_bfe_u32 v7, v3, 16, 1
	v_add3_u32 v3, v3, v7, 0x7fff
	s_delay_alu instid0(VALU_DEP_1)
	v_lshrrev_b32_e32 v7, 16, v3
	s_branch .LBB488_1456
.LBB488_1454:
	s_mov_b32 s0, -1
                                        ; implicit-def: $vgpr7
.LBB488_1455:
	s_mov_b32 s6, 0
.LBB488_1456:
	s_delay_alu instid0(SALU_CYCLE_1)
	s_and_b32 vcc_lo, exec_lo, s6
	s_cbranch_vccz .LBB488_1474
; %bb.1457:
	v_cmp_lt_i16_e64 s3, s10, 27
	s_delay_alu instid0(VALU_DEP_1)
	s_and_b32 vcc_lo, exec_lo, s3
	s_cbranch_vccnz .LBB488_1460
; %bb.1458:
	v_cmp_gt_i16_e64 s3, s10, 27
	s_delay_alu instid0(VALU_DEP_1)
	s_and_b32 vcc_lo, exec_lo, s3
	s_cbranch_vccz .LBB488_1461
; %bb.1459:
	global_load_b32 v3, v[0:1], off
	s_mov_b32 s3, 0
	s_waitcnt vmcnt(0)
	v_cvt_f32_u32_e32 v3, v3
	s_delay_alu instid0(VALU_DEP_1) | instskip(NEXT) | instid1(VALU_DEP_1)
	v_bfe_u32 v7, v3, 16, 1
	v_add3_u32 v3, v3, v7, 0x7fff
	s_delay_alu instid0(VALU_DEP_1)
	v_lshrrev_b32_e32 v7, 16, v3
	s_branch .LBB488_1462
.LBB488_1460:
	s_mov_b32 s3, -1
                                        ; implicit-def: $vgpr7
	s_branch .LBB488_1465
.LBB488_1461:
	s_mov_b32 s3, -1
                                        ; implicit-def: $vgpr7
.LBB488_1462:
	s_delay_alu instid0(SALU_CYCLE_1)
	s_and_not1_b32 vcc_lo, exec_lo, s3
	s_cbranch_vccnz .LBB488_1464
; %bb.1463:
	global_load_u16 v3, v[0:1], off
	s_waitcnt vmcnt(0)
	v_cvt_f32_u32_e32 v3, v3
	s_delay_alu instid0(VALU_DEP_1) | instskip(NEXT) | instid1(VALU_DEP_1)
	v_bfe_u32 v7, v3, 16, 1
	v_add3_u32 v3, v3, v7, 0x7fff
	s_delay_alu instid0(VALU_DEP_1)
	v_lshrrev_b32_e32 v7, 16, v3
.LBB488_1464:
	s_mov_b32 s3, 0
.LBB488_1465:
	s_delay_alu instid0(SALU_CYCLE_1)
	s_and_not1_b32 vcc_lo, exec_lo, s3
	s_cbranch_vccnz .LBB488_1473
; %bb.1466:
	global_load_u8 v3, v[0:1], off
	s_mov_b32 s3, 0
	s_mov_b32 s7, exec_lo
                                        ; implicit-def: $sgpr6
	s_waitcnt vmcnt(0)
	v_cmpx_lt_i16_e32 0x7f, v3
	s_xor_b32 s7, exec_lo, s7
	s_cbranch_execz .LBB488_1487
; %bb.1467:
	s_mov_b32 s3, -1
	s_mov_b32 s14, exec_lo
                                        ; implicit-def: $sgpr6
	v_cmpx_eq_u16_e32 0x80, v3
; %bb.1468:
	s_mov_b32 s6, 0x7f800001
	s_xor_b32 s3, exec_lo, -1
; %bb.1469:
	s_or_b32 exec_lo, exec_lo, s14
	s_delay_alu instid0(SALU_CYCLE_1)
	s_and_b32 s3, s3, exec_lo
	s_or_saveexec_b32 s7, s7
	v_mov_b32_e32 v7, s6
	s_xor_b32 exec_lo, exec_lo, s7
	s_cbranch_execnz .LBB488_1488
.LBB488_1470:
	s_or_b32 exec_lo, exec_lo, s7
	s_and_saveexec_b32 s6, s3
	s_cbranch_execz .LBB488_1472
.LBB488_1471:
	v_and_b32_e32 v7, 0xffff, v3
	v_lshlrev_b32_e32 v3, 24, v3
	s_delay_alu instid0(VALU_DEP_2) | instskip(NEXT) | instid1(VALU_DEP_2)
	v_and_b32_e32 v8, 7, v7
	v_and_b32_e32 v3, 0x80000000, v3
	s_delay_alu instid0(VALU_DEP_2) | instskip(NEXT) | instid1(VALU_DEP_1)
	v_clz_i32_u32_e32 v9, v8
	v_min_u32_e32 v9, 32, v9
	s_delay_alu instid0(VALU_DEP_1) | instskip(SKIP_1) | instid1(VALU_DEP_2)
	v_subrev_nc_u32_e32 v10, 28, v9
	v_sub_nc_u32_e32 v9, 29, v9
	v_lshlrev_b32_e32 v10, v10, v7
	v_bfe_u32 v7, v7, 3, 4
	s_delay_alu instid0(VALU_DEP_2) | instskip(NEXT) | instid1(VALU_DEP_2)
	v_and_b32_e32 v10, 7, v10
	v_cmp_eq_u32_e32 vcc_lo, 0, v7
	s_delay_alu instid0(VALU_DEP_2) | instskip(NEXT) | instid1(VALU_DEP_1)
	v_dual_cndmask_b32 v7, v7, v9 :: v_dual_cndmask_b32 v8, v8, v10
	v_lshl_add_u32 v7, v7, 23, 0x3b800000
	s_delay_alu instid0(VALU_DEP_2) | instskip(NEXT) | instid1(VALU_DEP_1)
	v_lshlrev_b32_e32 v8, 20, v8
	v_or3_b32 v7, v3, v7, v8
.LBB488_1472:
	s_or_b32 exec_lo, exec_lo, s6
	s_delay_alu instid0(VALU_DEP_1) | instskip(SKIP_1) | instid1(VALU_DEP_2)
	v_bfe_u32 v3, v7, 16, 1
	v_cmp_o_f32_e32 vcc_lo, v7, v7
	v_add3_u32 v3, v7, v3, 0x7fff
	s_delay_alu instid0(VALU_DEP_1) | instskip(NEXT) | instid1(VALU_DEP_1)
	v_lshrrev_b32_e32 v3, 16, v3
	v_cndmask_b32_e32 v7, 0x7fc0, v3, vcc_lo
.LBB488_1473:
	s_mov_b32 s3, -1
.LBB488_1474:
	s_mov_b32 s6, 0
.LBB488_1475:
	s_delay_alu instid0(SALU_CYCLE_1)
	s_and_b32 vcc_lo, exec_lo, s6
	s_cbranch_vccz .LBB488_1508
; %bb.1476:
	v_cmp_gt_i16_e64 s1, s10, 22
	s_delay_alu instid0(VALU_DEP_1)
	s_and_b32 vcc_lo, exec_lo, s1
	s_cbranch_vccz .LBB488_1486
; %bb.1477:
	v_cmp_lt_i16_e64 s1, s10, 24
	s_delay_alu instid0(VALU_DEP_1)
	s_and_b32 vcc_lo, exec_lo, s1
	s_cbranch_vccnz .LBB488_1489
; %bb.1478:
	v_cmp_gt_i16_e64 s1, s10, 24
	s_delay_alu instid0(VALU_DEP_1)
	s_and_b32 vcc_lo, exec_lo, s1
	s_cbranch_vccz .LBB488_1490
; %bb.1479:
	global_load_u8 v3, v[0:1], off
	s_mov_b32 s1, 0
	s_mov_b32 s6, exec_lo
                                        ; implicit-def: $sgpr3
	s_waitcnt vmcnt(0)
	v_cmpx_lt_i16_e32 0x7f, v3
	s_xor_b32 s6, exec_lo, s6
	s_cbranch_execz .LBB488_1502
; %bb.1480:
	s_mov_b32 s1, -1
	s_mov_b32 s7, exec_lo
                                        ; implicit-def: $sgpr3
	v_cmpx_eq_u16_e32 0x80, v3
; %bb.1481:
	s_mov_b32 s3, 0x7f800001
	s_xor_b32 s1, exec_lo, -1
; %bb.1482:
	s_or_b32 exec_lo, exec_lo, s7
	s_delay_alu instid0(SALU_CYCLE_1)
	s_and_b32 s1, s1, exec_lo
	s_or_saveexec_b32 s6, s6
	v_mov_b32_e32 v7, s3
	s_xor_b32 exec_lo, exec_lo, s6
	s_cbranch_execnz .LBB488_1503
.LBB488_1483:
	s_or_b32 exec_lo, exec_lo, s6
	s_and_saveexec_b32 s3, s1
	s_cbranch_execz .LBB488_1485
.LBB488_1484:
	v_and_b32_e32 v7, 0xffff, v3
	v_lshlrev_b32_e32 v3, 24, v3
	s_delay_alu instid0(VALU_DEP_2) | instskip(NEXT) | instid1(VALU_DEP_2)
	v_and_b32_e32 v8, 3, v7
	v_and_b32_e32 v3, 0x80000000, v3
	s_delay_alu instid0(VALU_DEP_2) | instskip(NEXT) | instid1(VALU_DEP_1)
	v_clz_i32_u32_e32 v9, v8
	v_min_u32_e32 v9, 32, v9
	s_delay_alu instid0(VALU_DEP_1) | instskip(SKIP_1) | instid1(VALU_DEP_2)
	v_subrev_nc_u32_e32 v10, 29, v9
	v_sub_nc_u32_e32 v9, 30, v9
	v_lshlrev_b32_e32 v10, v10, v7
	v_bfe_u32 v7, v7, 2, 5
	s_delay_alu instid0(VALU_DEP_2) | instskip(NEXT) | instid1(VALU_DEP_2)
	v_and_b32_e32 v10, 3, v10
	v_cmp_eq_u32_e32 vcc_lo, 0, v7
	s_delay_alu instid0(VALU_DEP_2) | instskip(NEXT) | instid1(VALU_DEP_1)
	v_dual_cndmask_b32 v7, v7, v9 :: v_dual_cndmask_b32 v8, v8, v10
	v_lshl_add_u32 v7, v7, 23, 0x37800000
	s_delay_alu instid0(VALU_DEP_2) | instskip(NEXT) | instid1(VALU_DEP_1)
	v_lshlrev_b32_e32 v8, 21, v8
	v_or3_b32 v7, v3, v7, v8
.LBB488_1485:
	s_or_b32 exec_lo, exec_lo, s3
	s_delay_alu instid0(VALU_DEP_1) | instskip(SKIP_2) | instid1(VALU_DEP_2)
	v_bfe_u32 v3, v7, 16, 1
	v_cmp_o_f32_e32 vcc_lo, v7, v7
	s_mov_b32 s1, 0
	v_add3_u32 v3, v7, v3, 0x7fff
	s_delay_alu instid0(VALU_DEP_1) | instskip(NEXT) | instid1(VALU_DEP_1)
	v_lshrrev_b32_e32 v3, 16, v3
	v_cndmask_b32_e32 v7, 0x7fc0, v3, vcc_lo
	s_branch .LBB488_1491
.LBB488_1486:
	s_mov_b32 s1, -1
                                        ; implicit-def: $vgpr7
	s_branch .LBB488_1497
.LBB488_1487:
	s_or_saveexec_b32 s7, s7
	v_mov_b32_e32 v7, s6
	s_xor_b32 exec_lo, exec_lo, s7
	s_cbranch_execz .LBB488_1470
.LBB488_1488:
	v_cmp_ne_u16_e32 vcc_lo, 0, v3
	v_mov_b32_e32 v7, 0
	s_and_not1_b32 s3, s3, exec_lo
	s_and_b32 s6, vcc_lo, exec_lo
	s_delay_alu instid0(SALU_CYCLE_1)
	s_or_b32 s3, s3, s6
	s_or_b32 exec_lo, exec_lo, s7
	s_and_saveexec_b32 s6, s3
	s_cbranch_execnz .LBB488_1471
	s_branch .LBB488_1472
.LBB488_1489:
	s_mov_b32 s1, -1
                                        ; implicit-def: $vgpr7
	s_branch .LBB488_1494
.LBB488_1490:
	s_mov_b32 s1, -1
                                        ; implicit-def: $vgpr7
.LBB488_1491:
	s_delay_alu instid0(SALU_CYCLE_1)
	s_and_b32 vcc_lo, exec_lo, s1
	s_cbranch_vccz .LBB488_1493
; %bb.1492:
	global_load_u8 v3, v[0:1], off
	s_waitcnt vmcnt(0)
	v_lshlrev_b32_e32 v3, 24, v3
	s_delay_alu instid0(VALU_DEP_1) | instskip(NEXT) | instid1(VALU_DEP_1)
	v_and_b32_e32 v7, 0x7f000000, v3
	v_clz_i32_u32_e32 v8, v7
	v_cmp_ne_u32_e32 vcc_lo, 0, v7
	v_add_nc_u32_e32 v10, 0x1000000, v7
	s_delay_alu instid0(VALU_DEP_3) | instskip(NEXT) | instid1(VALU_DEP_1)
	v_min_u32_e32 v8, 32, v8
	v_sub_nc_u32_e64 v8, v8, 4 clamp
	s_delay_alu instid0(VALU_DEP_1) | instskip(SKIP_1) | instid1(VALU_DEP_2)
	v_lshlrev_b32_e32 v9, v8, v7
	v_lshlrev_b32_e32 v8, 23, v8
	v_lshrrev_b32_e32 v9, 4, v9
	s_delay_alu instid0(VALU_DEP_1) | instskip(SKIP_1) | instid1(VALU_DEP_2)
	v_sub_nc_u32_e32 v8, v9, v8
	v_ashrrev_i32_e32 v9, 8, v10
	v_add_nc_u32_e32 v8, 0x3c000000, v8
	s_delay_alu instid0(VALU_DEP_1) | instskip(NEXT) | instid1(VALU_DEP_1)
	v_and_or_b32 v8, 0x7f800000, v9, v8
	v_cndmask_b32_e32 v7, 0, v8, vcc_lo
	s_delay_alu instid0(VALU_DEP_1) | instskip(SKIP_1) | instid1(VALU_DEP_2)
	v_and_or_b32 v3, 0x80000000, v3, v7
	v_bfe_u32 v7, v7, 16, 1
	v_cmp_o_f32_e32 vcc_lo, v3, v3
	s_delay_alu instid0(VALU_DEP_2) | instskip(NEXT) | instid1(VALU_DEP_1)
	v_add3_u32 v7, v3, v7, 0x7fff
	v_lshrrev_b32_e32 v7, 16, v7
	s_delay_alu instid0(VALU_DEP_1)
	v_cndmask_b32_e32 v7, 0x7fc0, v7, vcc_lo
.LBB488_1493:
	s_mov_b32 s1, 0
.LBB488_1494:
	s_delay_alu instid0(SALU_CYCLE_1)
	s_and_not1_b32 vcc_lo, exec_lo, s1
	s_cbranch_vccnz .LBB488_1496
; %bb.1495:
	global_load_u8 v3, v[0:1], off
	s_waitcnt vmcnt(0)
	v_lshlrev_b32_e32 v7, 25, v3
	v_lshlrev_b16 v3, 8, v3
	s_delay_alu instid0(VALU_DEP_2) | instskip(NEXT) | instid1(VALU_DEP_2)
	v_lshrrev_b32_e32 v8, 4, v7
	v_and_or_b32 v9, 0x7f00, v3, 0.5
	v_bfe_i32 v3, v3, 0, 16
	s_delay_alu instid0(VALU_DEP_3) | instskip(NEXT) | instid1(VALU_DEP_1)
	v_or_b32_e32 v8, 0x70000000, v8
	v_dual_add_f32 v9, -0.5, v9 :: v_dual_mul_f32 v8, 0x7800000, v8
	v_cmp_gt_u32_e32 vcc_lo, 0x8000000, v7
	s_delay_alu instid0(VALU_DEP_2) | instskip(NEXT) | instid1(VALU_DEP_1)
	v_cndmask_b32_e32 v7, v8, v9, vcc_lo
	v_and_or_b32 v3, 0x80000000, v3, v7
	v_bfe_u32 v7, v7, 16, 1
	s_delay_alu instid0(VALU_DEP_2) | instskip(NEXT) | instid1(VALU_DEP_2)
	v_cmp_o_f32_e32 vcc_lo, v3, v3
	v_add3_u32 v7, v3, v7, 0x7fff
	s_delay_alu instid0(VALU_DEP_1) | instskip(NEXT) | instid1(VALU_DEP_1)
	v_lshrrev_b32_e32 v7, 16, v7
	v_cndmask_b32_e32 v7, 0x7fc0, v7, vcc_lo
.LBB488_1496:
	s_mov_b32 s1, 0
	s_mov_b32 s3, -1
.LBB488_1497:
	s_and_not1_b32 vcc_lo, exec_lo, s1
	s_mov_b32 s1, 0
	s_cbranch_vccnz .LBB488_1508
; %bb.1498:
	v_cmp_gt_i16_e64 s1, s10, 14
	s_delay_alu instid0(VALU_DEP_1)
	s_and_b32 vcc_lo, exec_lo, s1
	s_cbranch_vccz .LBB488_1501
; %bb.1499:
	v_cmp_eq_u16_e64 s0, s10, 15
	s_delay_alu instid0(VALU_DEP_1)
	s_and_b32 vcc_lo, exec_lo, s0
	s_cbranch_vccz .LBB488_1504
; %bb.1500:
	global_load_u16 v7, v[0:1], off
	s_mov_b32 s0, 0
	s_mov_b32 s3, -1
	s_branch .LBB488_1505
.LBB488_1501:
	s_mov_b32 s1, -1
                                        ; implicit-def: $vgpr7
	s_branch .LBB488_1506
.LBB488_1502:
	s_or_saveexec_b32 s6, s6
	v_mov_b32_e32 v7, s3
	s_xor_b32 exec_lo, exec_lo, s6
	s_cbranch_execz .LBB488_1483
.LBB488_1503:
	v_cmp_ne_u16_e32 vcc_lo, 0, v3
	v_mov_b32_e32 v7, 0
	s_and_not1_b32 s1, s1, exec_lo
	s_and_b32 s3, vcc_lo, exec_lo
	s_delay_alu instid0(SALU_CYCLE_1)
	s_or_b32 s1, s1, s3
	s_or_b32 exec_lo, exec_lo, s6
	s_and_saveexec_b32 s3, s1
	s_cbranch_execnz .LBB488_1484
	s_branch .LBB488_1485
.LBB488_1504:
	s_mov_b32 s0, -1
                                        ; implicit-def: $vgpr7
.LBB488_1505:
	s_mov_b32 s1, 0
.LBB488_1506:
	s_delay_alu instid0(SALU_CYCLE_1)
	s_and_b32 vcc_lo, exec_lo, s1
	s_mov_b32 s1, 0
	s_cbranch_vccz .LBB488_1508
; %bb.1507:
	v_cmp_ne_u16_e64 s0, s10, 11
	s_mov_b32 s1, -1
                                        ; implicit-def: $vgpr7
.LBB488_1508:
	s_delay_alu instid0(VALU_DEP_1)
	s_and_b32 vcc_lo, exec_lo, s0
	s_cbranch_vccnz .LBB488_2041
; %bb.1509:
	s_and_not1_b32 vcc_lo, exec_lo, s1
	s_cbranch_vccnz .LBB488_1511
.LBB488_1510:
	global_load_u8 v3, v[0:1], off
	s_mov_b32 s3, -1
	s_waitcnt vmcnt(0)
	v_cmp_ne_u16_e32 vcc_lo, 0, v3
	v_cndmask_b32_e64 v3, 0, 1.0, vcc_lo
	s_delay_alu instid0(VALU_DEP_1)
	v_lshrrev_b32_e32 v7, 16, v3
.LBB488_1511:
	s_mov_b32 s0, 0
.LBB488_1512:
	s_delay_alu instid0(SALU_CYCLE_1)
	s_and_b32 vcc_lo, exec_lo, s0
	s_cbranch_vccz .LBB488_1561
; %bb.1513:
	v_cmp_lt_i16_e64 s0, s10, 5
	s_delay_alu instid0(VALU_DEP_1)
	s_and_b32 vcc_lo, exec_lo, s0
	s_cbranch_vccnz .LBB488_1518
; %bb.1514:
	v_cmp_lt_i16_e64 s0, s10, 8
	s_delay_alu instid0(VALU_DEP_1)
	s_and_b32 vcc_lo, exec_lo, s0
	s_cbranch_vccnz .LBB488_1519
	;; [unrolled: 5-line block ×3, first 2 shown]
; %bb.1516:
	v_cmp_gt_i16_e64 s0, s10, 9
	s_delay_alu instid0(VALU_DEP_1)
	s_and_b32 vcc_lo, exec_lo, s0
	s_cbranch_vccz .LBB488_1521
; %bb.1517:
	global_load_b64 v[7:8], v[0:1], off
	s_mov_b32 s0, 0
	s_waitcnt vmcnt(0)
	v_cvt_f32_f64_e32 v3, v[7:8]
	s_delay_alu instid0(VALU_DEP_1) | instskip(SKIP_1) | instid1(VALU_DEP_2)
	v_bfe_u32 v7, v3, 16, 1
	v_cmp_o_f32_e32 vcc_lo, v3, v3
	v_add3_u32 v7, v3, v7, 0x7fff
	s_delay_alu instid0(VALU_DEP_1) | instskip(NEXT) | instid1(VALU_DEP_1)
	v_lshrrev_b32_e32 v7, 16, v7
	v_cndmask_b32_e32 v7, 0x7fc0, v7, vcc_lo
	s_branch .LBB488_1522
.LBB488_1518:
	s_mov_b32 s0, -1
                                        ; implicit-def: $vgpr7
	s_branch .LBB488_1540
.LBB488_1519:
	s_mov_b32 s0, -1
                                        ; implicit-def: $vgpr7
	s_branch .LBB488_1528
.LBB488_1520:
	s_mov_b32 s0, -1
                                        ; implicit-def: $vgpr7
	s_branch .LBB488_1525
.LBB488_1521:
	s_mov_b32 s0, -1
                                        ; implicit-def: $vgpr7
.LBB488_1522:
	s_delay_alu instid0(SALU_CYCLE_1)
	s_and_not1_b32 vcc_lo, exec_lo, s0
	s_cbranch_vccnz .LBB488_1524
; %bb.1523:
	global_load_b32 v3, v[0:1], off
	s_waitcnt vmcnt(0)
	v_bfe_u32 v7, v3, 16, 1
	v_cmp_o_f32_e32 vcc_lo, v3, v3
	s_delay_alu instid0(VALU_DEP_2) | instskip(NEXT) | instid1(VALU_DEP_1)
	v_add3_u32 v7, v3, v7, 0x7fff
	v_lshrrev_b32_e32 v7, 16, v7
	s_delay_alu instid0(VALU_DEP_1)
	v_cndmask_b32_e32 v7, 0x7fc0, v7, vcc_lo
.LBB488_1524:
	s_mov_b32 s0, 0
.LBB488_1525:
	s_delay_alu instid0(SALU_CYCLE_1)
	s_and_not1_b32 vcc_lo, exec_lo, s0
	s_cbranch_vccnz .LBB488_1527
; %bb.1526:
	global_load_b32 v3, v[0:1], off
	s_waitcnt vmcnt(0)
	v_cvt_f32_f16_e32 v7, v3
	v_cmp_o_f16_e32 vcc_lo, v3, v3
	s_delay_alu instid0(VALU_DEP_2) | instskip(NEXT) | instid1(VALU_DEP_1)
	v_bfe_u32 v8, v7, 16, 1
	v_add3_u32 v7, v7, v8, 0x7fff
	s_delay_alu instid0(VALU_DEP_1) | instskip(NEXT) | instid1(VALU_DEP_1)
	v_lshrrev_b32_e32 v7, 16, v7
	v_cndmask_b32_e32 v7, 0x7fc0, v7, vcc_lo
.LBB488_1527:
	s_mov_b32 s0, 0
.LBB488_1528:
	s_delay_alu instid0(SALU_CYCLE_1)
	s_and_not1_b32 vcc_lo, exec_lo, s0
	s_cbranch_vccnz .LBB488_1539
; %bb.1529:
	v_cmp_lt_i16_e64 s0, s10, 6
	s_delay_alu instid0(VALU_DEP_1)
	s_and_b32 vcc_lo, exec_lo, s0
	s_cbranch_vccnz .LBB488_1532
; %bb.1530:
	v_cmp_gt_i16_e64 s0, s10, 6
	s_delay_alu instid0(VALU_DEP_1)
	s_and_b32 vcc_lo, exec_lo, s0
	s_cbranch_vccz .LBB488_1533
; %bb.1531:
	global_load_b64 v[7:8], v[0:1], off
	s_mov_b32 s0, 0
	s_waitcnt vmcnt(0)
	v_cvt_f32_f64_e32 v3, v[7:8]
	s_delay_alu instid0(VALU_DEP_1) | instskip(SKIP_1) | instid1(VALU_DEP_2)
	v_bfe_u32 v7, v3, 16, 1
	v_cmp_o_f32_e32 vcc_lo, v3, v3
	v_add3_u32 v7, v3, v7, 0x7fff
	s_delay_alu instid0(VALU_DEP_1) | instskip(NEXT) | instid1(VALU_DEP_1)
	v_lshrrev_b32_e32 v7, 16, v7
	v_cndmask_b32_e32 v7, 0x7fc0, v7, vcc_lo
	s_branch .LBB488_1534
.LBB488_1532:
	s_mov_b32 s0, -1
                                        ; implicit-def: $vgpr7
	s_branch .LBB488_1537
.LBB488_1533:
	s_mov_b32 s0, -1
                                        ; implicit-def: $vgpr7
.LBB488_1534:
	s_delay_alu instid0(SALU_CYCLE_1)
	s_and_not1_b32 vcc_lo, exec_lo, s0
	s_cbranch_vccnz .LBB488_1536
; %bb.1535:
	global_load_b32 v3, v[0:1], off
	s_waitcnt vmcnt(0)
	v_bfe_u32 v7, v3, 16, 1
	v_cmp_o_f32_e32 vcc_lo, v3, v3
	s_delay_alu instid0(VALU_DEP_2) | instskip(NEXT) | instid1(VALU_DEP_1)
	v_add3_u32 v7, v3, v7, 0x7fff
	v_lshrrev_b32_e32 v7, 16, v7
	s_delay_alu instid0(VALU_DEP_1)
	v_cndmask_b32_e32 v7, 0x7fc0, v7, vcc_lo
.LBB488_1536:
	s_mov_b32 s0, 0
.LBB488_1537:
	s_delay_alu instid0(SALU_CYCLE_1)
	s_and_not1_b32 vcc_lo, exec_lo, s0
	s_cbranch_vccnz .LBB488_1539
; %bb.1538:
	global_load_u16 v3, v[0:1], off
	s_waitcnt vmcnt(0)
	v_cvt_f32_f16_e32 v7, v3
	v_cmp_o_f16_e32 vcc_lo, v3, v3
	s_delay_alu instid0(VALU_DEP_2) | instskip(NEXT) | instid1(VALU_DEP_1)
	v_bfe_u32 v8, v7, 16, 1
	v_add3_u32 v7, v7, v8, 0x7fff
	s_delay_alu instid0(VALU_DEP_1) | instskip(NEXT) | instid1(VALU_DEP_1)
	v_lshrrev_b32_e32 v7, 16, v7
	v_cndmask_b32_e32 v7, 0x7fc0, v7, vcc_lo
.LBB488_1539:
	s_mov_b32 s0, 0
.LBB488_1540:
	s_delay_alu instid0(SALU_CYCLE_1)
	s_and_not1_b32 vcc_lo, exec_lo, s0
	s_cbranch_vccnz .LBB488_1560
; %bb.1541:
	v_cmp_lt_i16_e64 s0, s10, 2
	s_delay_alu instid0(VALU_DEP_1)
	s_and_b32 vcc_lo, exec_lo, s0
	s_cbranch_vccnz .LBB488_1545
; %bb.1542:
	v_cmp_lt_i16_e64 s0, s10, 3
	s_delay_alu instid0(VALU_DEP_1)
	s_and_b32 vcc_lo, exec_lo, s0
	s_cbranch_vccnz .LBB488_1546
; %bb.1543:
	v_cmp_gt_i16_e64 s0, s10, 3
	s_delay_alu instid0(VALU_DEP_1)
	s_and_b32 vcc_lo, exec_lo, s0
	s_cbranch_vccz .LBB488_1547
; %bb.1544:
	global_load_b64 v[7:8], v[0:1], off
	s_mov_b32 s0, 0
	s_waitcnt vmcnt(0)
	v_xor_b32_e32 v3, v7, v8
	v_cls_i32_e32 v9, v8
	s_delay_alu instid0(VALU_DEP_2) | instskip(NEXT) | instid1(VALU_DEP_2)
	v_ashrrev_i32_e32 v3, 31, v3
	v_add_nc_u32_e32 v9, -1, v9
	s_delay_alu instid0(VALU_DEP_2) | instskip(NEXT) | instid1(VALU_DEP_1)
	v_add_nc_u32_e32 v3, 32, v3
	v_min_u32_e32 v3, v9, v3
	s_delay_alu instid0(VALU_DEP_1) | instskip(SKIP_1) | instid1(VALU_DEP_2)
	v_lshlrev_b64 v[7:8], v3, v[7:8]
	v_sub_nc_u32_e32 v3, 32, v3
	v_min_u32_e32 v7, 1, v7
	s_delay_alu instid0(VALU_DEP_1) | instskip(NEXT) | instid1(VALU_DEP_1)
	v_or_b32_e32 v7, v8, v7
	v_cvt_f32_i32_e32 v7, v7
	s_delay_alu instid0(VALU_DEP_1) | instskip(NEXT) | instid1(VALU_DEP_1)
	v_ldexp_f32 v3, v7, v3
	v_bfe_u32 v7, v3, 16, 1
	s_delay_alu instid0(VALU_DEP_1) | instskip(NEXT) | instid1(VALU_DEP_1)
	v_add3_u32 v3, v3, v7, 0x7fff
	v_lshrrev_b32_e32 v7, 16, v3
	s_branch .LBB488_1548
.LBB488_1545:
	s_mov_b32 s0, -1
                                        ; implicit-def: $vgpr7
	s_branch .LBB488_1554
.LBB488_1546:
	s_mov_b32 s0, -1
                                        ; implicit-def: $vgpr7
	s_branch .LBB488_1551
.LBB488_1547:
	s_mov_b32 s0, -1
                                        ; implicit-def: $vgpr7
.LBB488_1548:
	s_delay_alu instid0(SALU_CYCLE_1)
	s_and_not1_b32 vcc_lo, exec_lo, s0
	s_cbranch_vccnz .LBB488_1550
; %bb.1549:
	global_load_b32 v3, v[0:1], off
	s_waitcnt vmcnt(0)
	v_cvt_f32_i32_e32 v3, v3
	s_delay_alu instid0(VALU_DEP_1) | instskip(NEXT) | instid1(VALU_DEP_1)
	v_bfe_u32 v7, v3, 16, 1
	v_add3_u32 v3, v3, v7, 0x7fff
	s_delay_alu instid0(VALU_DEP_1)
	v_lshrrev_b32_e32 v7, 16, v3
.LBB488_1550:
	s_mov_b32 s0, 0
.LBB488_1551:
	s_delay_alu instid0(SALU_CYCLE_1)
	s_and_not1_b32 vcc_lo, exec_lo, s0
	s_cbranch_vccnz .LBB488_1553
; %bb.1552:
	global_load_i16 v3, v[0:1], off
	s_waitcnt vmcnt(0)
	v_cvt_f32_i32_e32 v3, v3
	s_delay_alu instid0(VALU_DEP_1) | instskip(NEXT) | instid1(VALU_DEP_1)
	v_bfe_u32 v7, v3, 16, 1
	v_add3_u32 v3, v3, v7, 0x7fff
	s_delay_alu instid0(VALU_DEP_1)
	v_lshrrev_b32_e32 v7, 16, v3
.LBB488_1553:
	s_mov_b32 s0, 0
.LBB488_1554:
	s_delay_alu instid0(SALU_CYCLE_1)
	s_and_not1_b32 vcc_lo, exec_lo, s0
	s_cbranch_vccnz .LBB488_1560
; %bb.1555:
	v_cmp_gt_i16_e64 s0, s10, 0
	s_delay_alu instid0(VALU_DEP_1)
	s_and_b32 vcc_lo, exec_lo, s0
	s_mov_b32 s0, 0
	s_cbranch_vccz .LBB488_1557
; %bb.1556:
	global_load_i8 v3, v[0:1], off
	s_waitcnt vmcnt(0)
	v_cvt_f32_i32_e32 v3, v3
	s_delay_alu instid0(VALU_DEP_1) | instskip(NEXT) | instid1(VALU_DEP_1)
	v_bfe_u32 v7, v3, 16, 1
	v_add3_u32 v3, v3, v7, 0x7fff
	s_delay_alu instid0(VALU_DEP_1)
	v_lshrrev_b32_e32 v7, 16, v3
	s_branch .LBB488_1558
.LBB488_1557:
	s_mov_b32 s0, -1
                                        ; implicit-def: $vgpr7
.LBB488_1558:
	s_delay_alu instid0(SALU_CYCLE_1)
	s_and_not1_b32 vcc_lo, exec_lo, s0
	s_cbranch_vccnz .LBB488_1560
; %bb.1559:
	global_load_u8 v0, v[0:1], off
	s_waitcnt vmcnt(0)
	v_cvt_f32_ubyte0_e32 v0, v0
	s_delay_alu instid0(VALU_DEP_1) | instskip(NEXT) | instid1(VALU_DEP_1)
	v_bfe_u32 v1, v0, 16, 1
	v_add3_u32 v0, v0, v1, 0x7fff
	s_delay_alu instid0(VALU_DEP_1)
	v_lshrrev_b32_e32 v7, 16, v0
.LBB488_1560:
	s_mov_b32 s3, -1
.LBB488_1561:
	s_delay_alu instid0(SALU_CYCLE_1)
	s_and_not1_b32 vcc_lo, exec_lo, s3
	s_cbranch_vccnz .LBB488_1995
; %bb.1562:
	s_waitcnt vmcnt(0)
	v_lshlrev_b32_e32 v0, 16, v4
	v_mul_lo_u32 v2, s2, v2
	s_lshl_b32 s3, s8, 16
	v_and_b32_e64 v3, 0xff, s9
	s_delay_alu instid0(VALU_DEP_3) | instskip(SKIP_1) | instid1(VALU_DEP_3)
	v_cmp_u_f32_e32 vcc_lo, v0, v0
	v_cmp_gt_f32_e64 s0, s3, v0
	v_cmp_gt_i16_e64 s1, 11, v3
	v_ashrrev_i32_e32 v1, 31, v2
	s_delay_alu instid0(VALU_DEP_3) | instskip(SKIP_2) | instid1(VALU_DEP_3)
	s_or_b32 vcc_lo, vcc_lo, s0
	v_cndmask_b32_e32 v4, s8, v4, vcc_lo
	v_add_co_u32 v0, vcc_lo, s4, v2
	v_add_co_ci_u32_e32 v1, vcc_lo, s5, v1, vcc_lo
	s_and_b32 vcc_lo, exec_lo, s1
	s_cbranch_vccnz .LBB488_1640
; %bb.1563:
	v_cmp_lt_i16_e32 vcc_lo, 25, v3
	s_mov_b32 s7, -1
	s_mov_b32 s1, 0
	s_mov_b32 s6, 0
	;; [unrolled: 1-line block ×3, first 2 shown]
	s_cbranch_vccz .LBB488_1596
; %bb.1564:
	v_cmp_lt_i16_e32 vcc_lo, 28, v3
	s_cbranch_vccz .LBB488_1579
; %bb.1565:
	v_cmp_lt_i16_e32 vcc_lo, 43, v3
	;; [unrolled: 3-line block ×3, first 2 shown]
	s_cbranch_vccz .LBB488_1569
; %bb.1567:
	v_cmp_eq_u16_e32 vcc_lo, 46, v3
	s_mov_b32 s0, -1
	s_mov_b32 s7, 0
	s_cbranch_vccz .LBB488_1569
; %bb.1568:
	v_and_b32_e32 v8, 0xffff, v4
	s_mov_b32 s0, 0
	s_mov_b32 s6, -1
	global_store_b32 v[0:1], v8, off
.LBB488_1569:
	s_and_b32 vcc_lo, exec_lo, s7
	s_cbranch_vccz .LBB488_1574
; %bb.1570:
	v_cmp_eq_u16_e32 vcc_lo, 44, v3
	s_mov_b32 s0, -1
	s_cbranch_vccz .LBB488_1574
; %bb.1571:
	v_and_b32_e32 v8, 0xffff, v4
	v_mov_b32_e32 v9, 0xff
	s_mov_b32 s6, exec_lo
	s_delay_alu instid0(VALU_DEP_2) | instskip(NEXT) | instid1(VALU_DEP_1)
	v_bfe_u32 v10, v8, 7, 8
	v_cmpx_ne_u32_e32 0xff, v10
; %bb.1572:
	v_lshlrev_b32_e32 v9, 16, v8
	v_and_b32_e32 v11, 64, v8
	v_lshrrev_b32_e32 v8, 7, v8
	s_delay_alu instid0(VALU_DEP_3) | instskip(NEXT) | instid1(VALU_DEP_3)
	v_and_or_b32 v9, 0x3f0000, v9, v10
	v_cmp_ne_u32_e32 vcc_lo, 0, v11
	s_delay_alu instid0(VALU_DEP_2) | instskip(NEXT) | instid1(VALU_DEP_1)
	v_cmp_ne_u32_e64 s0, 0, v9
	s_and_b32 s0, vcc_lo, s0
	s_delay_alu instid0(SALU_CYCLE_1) | instskip(NEXT) | instid1(VALU_DEP_1)
	v_cndmask_b32_e64 v9, 0, 1, s0
	v_add_nc_u32_e32 v9, v8, v9
; %bb.1573:
	s_or_b32 exec_lo, exec_lo, s6
	s_mov_b32 s0, 0
	s_mov_b32 s6, -1
	global_store_b8 v[0:1], v9, off
.LBB488_1574:
	s_mov_b32 s7, 0
.LBB488_1575:
	s_delay_alu instid0(SALU_CYCLE_1)
	s_and_b32 vcc_lo, exec_lo, s7
	s_cbranch_vccz .LBB488_1578
; %bb.1576:
	v_cmp_eq_u16_e32 vcc_lo, 29, v3
	s_mov_b32 s0, -1
	s_cbranch_vccz .LBB488_1578
; %bb.1577:
	v_lshlrev_b32_e32 v8, 16, v4
	s_mov_b32 s0, 0
	s_mov_b32 s6, -1
	s_delay_alu instid0(VALU_DEP_1) | instskip(NEXT) | instid1(VALU_DEP_1)
	v_trunc_f32_e32 v8, v8
	v_mul_f32_e32 v9, 0x2f800000, v8
	s_delay_alu instid0(VALU_DEP_1) | instskip(NEXT) | instid1(VALU_DEP_1)
	v_floor_f32_e32 v9, v9
	v_fmamk_f32 v8, v9, 0xcf800000, v8
	v_cvt_u32_f32_e32 v9, v9
	s_delay_alu instid0(VALU_DEP_2)
	v_cvt_u32_f32_e32 v8, v8
	global_store_b64 v[0:1], v[8:9], off
.LBB488_1578:
	s_mov_b32 s7, 0
.LBB488_1579:
	s_delay_alu instid0(SALU_CYCLE_1)
	s_and_b32 vcc_lo, exec_lo, s7
	s_cbranch_vccz .LBB488_1595
; %bb.1580:
	v_cmp_gt_i16_e32 vcc_lo, 27, v3
	s_mov_b32 s6, -1
	s_cbranch_vccnz .LBB488_1586
; %bb.1581:
	v_cmp_lt_i16_e32 vcc_lo, 27, v3
	s_cbranch_vccz .LBB488_1583
; %bb.1582:
	v_lshlrev_b32_e32 v8, 16, v4
	s_mov_b32 s6, 0
	s_delay_alu instid0(VALU_DEP_1)
	v_cvt_u32_f32_e32 v8, v8
	global_store_b32 v[0:1], v8, off
.LBB488_1583:
	s_and_not1_b32 vcc_lo, exec_lo, s6
	s_cbranch_vccnz .LBB488_1585
; %bb.1584:
	v_lshlrev_b32_e32 v8, 16, v4
	s_delay_alu instid0(VALU_DEP_1)
	v_cvt_u32_f32_e32 v8, v8
	global_store_b16 v[0:1], v8, off
.LBB488_1585:
	s_mov_b32 s6, 0
.LBB488_1586:
	s_delay_alu instid0(SALU_CYCLE_1)
	s_and_not1_b32 vcc_lo, exec_lo, s6
	s_cbranch_vccnz .LBB488_1594
; %bb.1587:
	v_dual_mov_b32 v11, 0x80 :: v_dual_lshlrev_b32 v10, 16, v4
	s_mov_b32 s6, exec_lo
	s_delay_alu instid0(VALU_DEP_1) | instskip(NEXT) | instid1(VALU_DEP_1)
	v_and_b32_e32 v9, 0x7fffffff, v10
	v_cmpx_gt_u32_e32 0x43800000, v9
	s_cbranch_execz .LBB488_1593
; %bb.1588:
	v_and_b32_e32 v8, 0xffff, v4
	v_cmp_lt_u32_e32 vcc_lo, 0x3bffffff, v9
	s_mov_b32 s7, 0
                                        ; implicit-def: $vgpr9
	s_and_saveexec_b32 s9, vcc_lo
	s_delay_alu instid0(SALU_CYCLE_1)
	s_xor_b32 s9, exec_lo, s9
	s_cbranch_execz .LBB488_2043
; %bb.1589:
	v_bfe_u32 v9, v8, 4, 1
	s_mov_b32 s7, exec_lo
	s_delay_alu instid0(VALU_DEP_1) | instskip(NEXT) | instid1(VALU_DEP_1)
	v_add3_u32 v9, v10, v9, 0x487ffff
                                        ; implicit-def: $vgpr10
	v_lshrrev_b32_e32 v9, 20, v9
	s_or_saveexec_b32 s9, s9
                                        ; implicit-def: $sgpr10
	s_delay_alu instid0(SALU_CYCLE_1)
	s_xor_b32 exec_lo, exec_lo, s9
	s_cbranch_execnz .LBB488_2044
.LBB488_1590:
	s_or_b32 exec_lo, exec_lo, s9
	v_mov_b32_e32 v11, s10
	s_and_saveexec_b32 s9, s7
.LBB488_1591:
	v_lshrrev_b32_e32 v8, 8, v8
	s_delay_alu instid0(VALU_DEP_1)
	v_and_or_b32 v11, 0x80, v8, v9
.LBB488_1592:
	s_or_b32 exec_lo, exec_lo, s9
.LBB488_1593:
	s_delay_alu instid0(SALU_CYCLE_1)
	s_or_b32 exec_lo, exec_lo, s6
	global_store_b8 v[0:1], v11, off
.LBB488_1594:
	s_mov_b32 s6, -1
.LBB488_1595:
	s_mov_b32 s7, 0
.LBB488_1596:
	s_delay_alu instid0(SALU_CYCLE_1)
	s_and_b32 vcc_lo, exec_lo, s7
	s_cbranch_vccz .LBB488_1636
; %bb.1597:
	v_cmp_lt_i16_e32 vcc_lo, 22, v3
	s_mov_b32 s1, -1
	s_cbranch_vccz .LBB488_1629
; %bb.1598:
	v_cmp_gt_i16_e32 vcc_lo, 24, v3
	s_cbranch_vccnz .LBB488_1618
; %bb.1599:
	v_cmp_lt_i16_e32 vcc_lo, 24, v3
	s_cbranch_vccz .LBB488_1607
; %bb.1600:
	v_dual_mov_b32 v11, 0x80 :: v_dual_lshlrev_b32 v10, 16, v4
	s_mov_b32 s1, exec_lo
	s_delay_alu instid0(VALU_DEP_1) | instskip(NEXT) | instid1(VALU_DEP_1)
	v_and_b32_e32 v9, 0x7fffffff, v10
	v_cmpx_gt_u32_e32 0x47800000, v9
	s_cbranch_execz .LBB488_1606
; %bb.1601:
	v_and_b32_e32 v8, 0xffff, v4
	v_cmp_lt_u32_e32 vcc_lo, 0x37ffffff, v9
	s_mov_b32 s6, 0
                                        ; implicit-def: $vgpr9
	s_and_saveexec_b32 s7, vcc_lo
	s_delay_alu instid0(SALU_CYCLE_1)
	s_xor_b32 s7, exec_lo, s7
	s_cbranch_execz .LBB488_2049
; %bb.1602:
	v_bfe_u32 v9, v8, 5, 1
	s_mov_b32 s6, exec_lo
	s_delay_alu instid0(VALU_DEP_1) | instskip(NEXT) | instid1(VALU_DEP_1)
	v_add3_u32 v9, v10, v9, 0x88fffff
                                        ; implicit-def: $vgpr10
	v_lshrrev_b32_e32 v9, 21, v9
	s_or_saveexec_b32 s7, s7
                                        ; implicit-def: $sgpr9
	s_delay_alu instid0(SALU_CYCLE_1)
	s_xor_b32 exec_lo, exec_lo, s7
	s_cbranch_execnz .LBB488_2050
.LBB488_1603:
	s_or_b32 exec_lo, exec_lo, s7
	v_mov_b32_e32 v11, s9
	s_and_saveexec_b32 s7, s6
.LBB488_1604:
	v_lshrrev_b32_e32 v8, 8, v8
	s_delay_alu instid0(VALU_DEP_1)
	v_and_or_b32 v11, 0x80, v8, v9
.LBB488_1605:
	s_or_b32 exec_lo, exec_lo, s7
.LBB488_1606:
	s_delay_alu instid0(SALU_CYCLE_1)
	s_or_b32 exec_lo, exec_lo, s1
	s_mov_b32 s1, 0
	global_store_b8 v[0:1], v11, off
.LBB488_1607:
	s_and_b32 vcc_lo, exec_lo, s1
	s_cbranch_vccz .LBB488_1617
; %bb.1608:
	v_lshlrev_b32_e32 v10, 16, v4
	v_and_b32_e32 v8, 0xffff, v4
	s_mov_b32 s1, exec_lo
                                        ; implicit-def: $vgpr9
	s_delay_alu instid0(VALU_DEP_2) | instskip(NEXT) | instid1(VALU_DEP_1)
	v_and_b32_e32 v11, 0x7fffffff, v10
	v_cmpx_gt_u32_e32 0x43f00000, v11
	s_xor_b32 s1, exec_lo, s1
	s_cbranch_execz .LBB488_1614
; %bb.1609:
	s_mov_b32 s6, exec_lo
                                        ; implicit-def: $vgpr9
	v_cmpx_lt_u32_e32 0x3c7fffff, v11
	s_xor_b32 s6, exec_lo, s6
; %bb.1610:
	v_bfe_u32 v9, v8, 4, 1
	s_delay_alu instid0(VALU_DEP_1) | instskip(NEXT) | instid1(VALU_DEP_1)
	v_add3_u32 v9, v10, v9, 0x407ffff
	v_and_b32_e32 v10, 0xff00000, v9
	v_lshrrev_b32_e32 v9, 20, v9
	s_delay_alu instid0(VALU_DEP_2) | instskip(NEXT) | instid1(VALU_DEP_2)
	v_cmp_ne_u32_e32 vcc_lo, 0x7f00000, v10
                                        ; implicit-def: $vgpr10
	v_cndmask_b32_e32 v9, 0x7e, v9, vcc_lo
; %bb.1611:
	s_and_not1_saveexec_b32 s6, s6
; %bb.1612:
	v_add_f32_e64 v9, 0x46800000, |v10|
; %bb.1613:
	s_or_b32 exec_lo, exec_lo, s6
                                        ; implicit-def: $vgpr11
.LBB488_1614:
	s_and_not1_saveexec_b32 s1, s1
; %bb.1615:
	v_mov_b32_e32 v9, 0x7f
	v_cmp_lt_u32_e32 vcc_lo, 0x7f800000, v11
	s_delay_alu instid0(VALU_DEP_2)
	v_cndmask_b32_e32 v9, 0x7e, v9, vcc_lo
; %bb.1616:
	s_or_b32 exec_lo, exec_lo, s1
	v_lshrrev_b32_e32 v8, 8, v8
	s_delay_alu instid0(VALU_DEP_1)
	v_and_or_b32 v8, 0x80, v8, v9
	global_store_b8 v[0:1], v8, off
.LBB488_1617:
	s_mov_b32 s1, 0
.LBB488_1618:
	s_delay_alu instid0(SALU_CYCLE_1)
	s_and_not1_b32 vcc_lo, exec_lo, s1
	s_cbranch_vccnz .LBB488_1628
; %bb.1619:
	v_lshlrev_b32_e32 v10, 16, v4
	v_and_b32_e32 v8, 0xffff, v4
	s_mov_b32 s1, exec_lo
                                        ; implicit-def: $vgpr9
	s_delay_alu instid0(VALU_DEP_2) | instskip(NEXT) | instid1(VALU_DEP_1)
	v_and_b32_e32 v11, 0x7fffffff, v10
	v_cmpx_gt_u32_e32 0x47800000, v11
	s_xor_b32 s1, exec_lo, s1
	s_cbranch_execz .LBB488_1625
; %bb.1620:
	s_mov_b32 s6, exec_lo
                                        ; implicit-def: $vgpr9
	v_cmpx_lt_u32_e32 0x387fffff, v11
	s_xor_b32 s6, exec_lo, s6
; %bb.1621:
	v_bfe_u32 v9, v8, 5, 1
	s_delay_alu instid0(VALU_DEP_1) | instskip(NEXT) | instid1(VALU_DEP_1)
	v_add3_u32 v9, v10, v9, 0x80fffff
                                        ; implicit-def: $vgpr10
	v_lshrrev_b32_e32 v9, 21, v9
; %bb.1622:
	s_and_not1_saveexec_b32 s6, s6
; %bb.1623:
	v_add_f32_e64 v9, 0x43000000, |v10|
; %bb.1624:
	s_or_b32 exec_lo, exec_lo, s6
                                        ; implicit-def: $vgpr11
.LBB488_1625:
	s_and_not1_saveexec_b32 s1, s1
; %bb.1626:
	v_mov_b32_e32 v9, 0x7f
	v_cmp_lt_u32_e32 vcc_lo, 0x7f800000, v11
	s_delay_alu instid0(VALU_DEP_2)
	v_cndmask_b32_e32 v9, 0x7c, v9, vcc_lo
; %bb.1627:
	s_or_b32 exec_lo, exec_lo, s1
	v_lshrrev_b32_e32 v8, 8, v8
	s_delay_alu instid0(VALU_DEP_1)
	v_and_or_b32 v8, 0x80, v8, v9
	global_store_b8 v[0:1], v8, off
.LBB488_1628:
	s_mov_b32 s1, 0
	s_mov_b32 s6, -1
.LBB488_1629:
	s_and_not1_b32 vcc_lo, exec_lo, s1
	s_mov_b32 s1, 0
	s_cbranch_vccnz .LBB488_1636
; %bb.1630:
	v_cmp_lt_i16_e32 vcc_lo, 14, v3
	s_mov_b32 s1, -1
	s_cbranch_vccz .LBB488_1634
; %bb.1631:
	v_cmp_eq_u16_e32 vcc_lo, 15, v3
	s_mov_b32 s0, -1
	s_cbranch_vccz .LBB488_1633
; %bb.1632:
	s_mov_b32 s0, 0
	s_mov_b32 s6, -1
	global_store_b16 v[0:1], v4, off
.LBB488_1633:
	s_mov_b32 s1, 0
.LBB488_1634:
	s_delay_alu instid0(SALU_CYCLE_1)
	s_and_b32 vcc_lo, exec_lo, s1
	s_mov_b32 s1, 0
	s_cbranch_vccz .LBB488_1636
; %bb.1635:
	v_cmp_ne_u16_e64 s0, 11, v3
	s_mov_b32 s1, -1
.LBB488_1636:
	s_delay_alu instid0(VALU_DEP_1)
	s_and_b32 vcc_lo, exec_lo, s0
	s_cbranch_vccnz .LBB488_2047
; %bb.1637:
	s_and_not1_b32 vcc_lo, exec_lo, s1
	s_cbranch_vccnz .LBB488_1639
.LBB488_1638:
	v_and_b32_e32 v8, 0x7fff, v4
	s_mov_b32 s6, -1
	s_delay_alu instid0(VALU_DEP_1)
	v_cmp_ne_u16_e32 vcc_lo, 0, v8
	v_cndmask_b32_e64 v8, 0, 1, vcc_lo
	global_store_b8 v[0:1], v8, off
.LBB488_1639:
	s_mov_b32 s0, 0
	s_branch .LBB488_1641
.LBB488_1640:
	s_mov_b32 s0, -1
	s_mov_b32 s6, 0
.LBB488_1641:
	s_and_b32 vcc_lo, exec_lo, s0
	s_cbranch_vccz .LBB488_1680
; %bb.1642:
	v_cmp_gt_i16_e32 vcc_lo, 5, v3
	s_mov_b32 s0, -1
	s_cbranch_vccnz .LBB488_1663
; %bb.1643:
	v_cmp_gt_i16_e32 vcc_lo, 8, v3
	s_cbranch_vccnz .LBB488_1653
; %bb.1644:
	v_cmp_gt_i16_e32 vcc_lo, 9, v3
	s_cbranch_vccnz .LBB488_1650
; %bb.1645:
	v_cmp_lt_i16_e32 vcc_lo, 9, v3
	s_cbranch_vccz .LBB488_1647
; %bb.1646:
	v_mov_b32_e32 v10, 0
	v_lshlrev_b32_e32 v8, 16, v4
	s_mov_b32 s0, 0
	s_delay_alu instid0(VALU_DEP_2) | instskip(NEXT) | instid1(VALU_DEP_2)
	v_mov_b32_e32 v11, v10
	v_cvt_f64_f32_e32 v[8:9], v8
	global_store_b128 v[0:1], v[8:11], off
.LBB488_1647:
	s_and_not1_b32 vcc_lo, exec_lo, s0
	s_cbranch_vccnz .LBB488_1649
; %bb.1648:
	v_dual_mov_b32 v9, 0 :: v_dual_lshlrev_b32 v8, 16, v4
	global_store_b64 v[0:1], v[8:9], off
.LBB488_1649:
	s_mov_b32 s0, 0
.LBB488_1650:
	s_delay_alu instid0(SALU_CYCLE_1)
	s_and_not1_b32 vcc_lo, exec_lo, s0
	s_cbranch_vccnz .LBB488_1652
; %bb.1651:
	v_lshlrev_b32_e32 v8, 16, v4
	s_delay_alu instid0(VALU_DEP_1) | instskip(NEXT) | instid1(VALU_DEP_1)
	v_cvt_f16_f32_e32 v8, v8
	v_and_b32_e32 v8, 0xffff, v8
	global_store_b32 v[0:1], v8, off
.LBB488_1652:
	s_mov_b32 s0, 0
.LBB488_1653:
	s_delay_alu instid0(SALU_CYCLE_1)
	s_and_not1_b32 vcc_lo, exec_lo, s0
	s_cbranch_vccnz .LBB488_1662
; %bb.1654:
	v_cmp_gt_i16_e32 vcc_lo, 6, v3
	s_mov_b32 s0, -1
	s_cbranch_vccnz .LBB488_1660
; %bb.1655:
	v_cmp_lt_i16_e32 vcc_lo, 6, v3
	s_cbranch_vccz .LBB488_1657
; %bb.1656:
	v_lshlrev_b32_e32 v8, 16, v4
	s_mov_b32 s0, 0
	s_delay_alu instid0(VALU_DEP_1)
	v_cvt_f64_f32_e32 v[8:9], v8
	global_store_b64 v[0:1], v[8:9], off
.LBB488_1657:
	s_and_not1_b32 vcc_lo, exec_lo, s0
	s_cbranch_vccnz .LBB488_1659
; %bb.1658:
	v_lshlrev_b32_e32 v8, 16, v4
	global_store_b32 v[0:1], v8, off
.LBB488_1659:
	s_mov_b32 s0, 0
.LBB488_1660:
	s_delay_alu instid0(SALU_CYCLE_1)
	s_and_not1_b32 vcc_lo, exec_lo, s0
	s_cbranch_vccnz .LBB488_1662
; %bb.1661:
	v_lshlrev_b32_e32 v8, 16, v4
	s_delay_alu instid0(VALU_DEP_1)
	v_cvt_f16_f32_e32 v8, v8
	global_store_b16 v[0:1], v8, off
.LBB488_1662:
	s_mov_b32 s0, 0
.LBB488_1663:
	s_delay_alu instid0(SALU_CYCLE_1)
	s_and_not1_b32 vcc_lo, exec_lo, s0
	s_cbranch_vccnz .LBB488_1679
; %bb.1664:
	v_cmp_gt_i16_e32 vcc_lo, 2, v3
	s_mov_b32 s0, -1
	s_cbranch_vccnz .LBB488_1674
; %bb.1665:
	v_cmp_gt_i16_e32 vcc_lo, 3, v3
	s_cbranch_vccnz .LBB488_1671
; %bb.1666:
	v_cmp_lt_i16_e32 vcc_lo, 3, v3
	s_cbranch_vccz .LBB488_1668
; %bb.1667:
	v_lshlrev_b32_e32 v8, 16, v4
	s_mov_b32 s0, 0
	s_delay_alu instid0(VALU_DEP_1) | instskip(NEXT) | instid1(VALU_DEP_1)
	v_trunc_f32_e32 v8, v8
	v_mul_f32_e64 v9, 0x2f800000, |v8|
	v_ashrrev_i32_e32 v11, 31, v8
	s_delay_alu instid0(VALU_DEP_2) | instskip(NEXT) | instid1(VALU_DEP_1)
	v_floor_f32_e32 v9, v9
	v_fma_f32 v10, 0xcf800000, v9, |v8|
	v_cvt_u32_f32_e32 v9, v9
	s_delay_alu instid0(VALU_DEP_2) | instskip(NEXT) | instid1(VALU_DEP_2)
	v_cvt_u32_f32_e32 v8, v10
	v_xor_b32_e32 v9, v9, v11
	s_delay_alu instid0(VALU_DEP_2) | instskip(NEXT) | instid1(VALU_DEP_1)
	v_xor_b32_e32 v8, v8, v11
	v_sub_co_u32 v8, vcc_lo, v8, v11
	s_delay_alu instid0(VALU_DEP_3)
	v_sub_co_ci_u32_e32 v9, vcc_lo, v9, v11, vcc_lo
	global_store_b64 v[0:1], v[8:9], off
.LBB488_1668:
	s_and_not1_b32 vcc_lo, exec_lo, s0
	s_cbranch_vccnz .LBB488_1670
; %bb.1669:
	v_lshlrev_b32_e32 v8, 16, v4
	s_delay_alu instid0(VALU_DEP_1)
	v_cvt_i32_f32_e32 v8, v8
	global_store_b32 v[0:1], v8, off
.LBB488_1670:
	s_mov_b32 s0, 0
.LBB488_1671:
	s_delay_alu instid0(SALU_CYCLE_1)
	s_and_not1_b32 vcc_lo, exec_lo, s0
	s_cbranch_vccnz .LBB488_1673
; %bb.1672:
	v_lshlrev_b32_e32 v8, 16, v4
	s_delay_alu instid0(VALU_DEP_1)
	v_cvt_i32_f32_e32 v8, v8
	global_store_b16 v[0:1], v8, off
.LBB488_1673:
	s_mov_b32 s0, 0
.LBB488_1674:
	s_delay_alu instid0(SALU_CYCLE_1)
	s_and_not1_b32 vcc_lo, exec_lo, s0
	s_cbranch_vccnz .LBB488_1679
; %bb.1675:
	v_cmp_lt_i16_e32 vcc_lo, 0, v3
	s_mov_b32 s0, -1
	s_cbranch_vccz .LBB488_1677
; %bb.1676:
	v_lshlrev_b32_e32 v8, 16, v4
	s_mov_b32 s0, 0
	s_delay_alu instid0(VALU_DEP_1)
	v_cvt_i32_f32_e32 v8, v8
	global_store_b8 v[0:1], v8, off
.LBB488_1677:
	s_and_not1_b32 vcc_lo, exec_lo, s0
	s_cbranch_vccnz .LBB488_1679
; %bb.1678:
	v_lshlrev_b32_e32 v4, 16, v4
	s_delay_alu instid0(VALU_DEP_1) | instskip(NEXT) | instid1(VALU_DEP_1)
	v_trunc_f32_e32 v4, v4
	v_mul_f32_e64 v8, 0x2f800000, |v4|
	s_delay_alu instid0(VALU_DEP_1) | instskip(NEXT) | instid1(VALU_DEP_1)
	v_floor_f32_e32 v8, v8
	v_fma_f32 v8, 0xcf800000, v8, |v4|
	v_ashrrev_i32_e32 v4, 31, v4
	s_delay_alu instid0(VALU_DEP_2) | instskip(NEXT) | instid1(VALU_DEP_1)
	v_cvt_u32_f32_e32 v8, v8
	v_xor_b32_e32 v8, v8, v4
	s_delay_alu instid0(VALU_DEP_1)
	v_sub_nc_u32_e32 v4, v8, v4
	global_store_b8 v[0:1], v4, off
.LBB488_1679:
	s_mov_b32 s6, -1
.LBB488_1680:
	s_delay_alu instid0(SALU_CYCLE_1)
	s_and_not1_b32 vcc_lo, exec_lo, s6
	s_cbranch_vccnz .LBB488_1995
; %bb.1681:
	v_lshlrev_b32_e32 v0, 16, v5
	s_lshl_b32 s2, s2, 7
	v_cmp_gt_i16_e64 s1, 11, v3
	v_add_nc_u32_e32 v2, s2, v2
	s_delay_alu instid0(VALU_DEP_3) | instskip(SKIP_1) | instid1(VALU_DEP_3)
	v_cmp_u_f32_e32 vcc_lo, v0, v0
	v_cmp_gt_f32_e64 s0, s3, v0
	v_ashrrev_i32_e32 v1, 31, v2
	s_delay_alu instid0(VALU_DEP_2) | instskip(SKIP_2) | instid1(VALU_DEP_3)
	s_or_b32 vcc_lo, vcc_lo, s0
	v_cndmask_b32_e32 v4, s8, v5, vcc_lo
	v_add_co_u32 v0, vcc_lo, s4, v2
	v_add_co_ci_u32_e32 v1, vcc_lo, s5, v1, vcc_lo
	s_and_b32 vcc_lo, exec_lo, s1
	s_cbranch_vccnz .LBB488_1759
; %bb.1682:
	v_cmp_lt_i16_e32 vcc_lo, 25, v3
	s_mov_b32 s7, -1
	s_mov_b32 s1, 0
	s_mov_b32 s6, 0
	;; [unrolled: 1-line block ×3, first 2 shown]
	s_cbranch_vccz .LBB488_1715
; %bb.1683:
	v_cmp_lt_i16_e32 vcc_lo, 28, v3
	s_cbranch_vccz .LBB488_1698
; %bb.1684:
	v_cmp_lt_i16_e32 vcc_lo, 43, v3
	;; [unrolled: 3-line block ×3, first 2 shown]
	s_cbranch_vccz .LBB488_1688
; %bb.1686:
	v_cmp_eq_u16_e32 vcc_lo, 46, v3
	s_mov_b32 s0, -1
	s_mov_b32 s7, 0
	s_cbranch_vccz .LBB488_1688
; %bb.1687:
	v_and_b32_e32 v5, 0xffff, v4
	s_mov_b32 s0, 0
	s_mov_b32 s6, -1
	global_store_b32 v[0:1], v5, off
.LBB488_1688:
	s_and_b32 vcc_lo, exec_lo, s7
	s_cbranch_vccz .LBB488_1693
; %bb.1689:
	v_cmp_eq_u16_e32 vcc_lo, 44, v3
	s_mov_b32 s0, -1
	s_cbranch_vccz .LBB488_1693
; %bb.1690:
	v_and_b32_e32 v5, 0xffff, v4
	v_mov_b32_e32 v8, 0xff
	s_mov_b32 s6, exec_lo
	s_delay_alu instid0(VALU_DEP_2) | instskip(NEXT) | instid1(VALU_DEP_1)
	v_bfe_u32 v9, v5, 7, 8
	v_cmpx_ne_u32_e32 0xff, v9
; %bb.1691:
	v_lshlrev_b32_e32 v8, 16, v5
	v_and_b32_e32 v10, 64, v5
	v_lshrrev_b32_e32 v5, 7, v5
	s_delay_alu instid0(VALU_DEP_3) | instskip(NEXT) | instid1(VALU_DEP_3)
	v_and_or_b32 v8, 0x3f0000, v8, v9
	v_cmp_ne_u32_e32 vcc_lo, 0, v10
	s_delay_alu instid0(VALU_DEP_2) | instskip(NEXT) | instid1(VALU_DEP_1)
	v_cmp_ne_u32_e64 s0, 0, v8
	s_and_b32 s0, vcc_lo, s0
	s_delay_alu instid0(SALU_CYCLE_1) | instskip(NEXT) | instid1(VALU_DEP_1)
	v_cndmask_b32_e64 v8, 0, 1, s0
	v_add_nc_u32_e32 v8, v5, v8
; %bb.1692:
	s_or_b32 exec_lo, exec_lo, s6
	s_mov_b32 s0, 0
	s_mov_b32 s6, -1
	global_store_b8 v[0:1], v8, off
.LBB488_1693:
	s_mov_b32 s7, 0
.LBB488_1694:
	s_delay_alu instid0(SALU_CYCLE_1)
	s_and_b32 vcc_lo, exec_lo, s7
	s_cbranch_vccz .LBB488_1697
; %bb.1695:
	v_cmp_eq_u16_e32 vcc_lo, 29, v3
	s_mov_b32 s0, -1
	s_cbranch_vccz .LBB488_1697
; %bb.1696:
	v_lshlrev_b32_e32 v5, 16, v4
	s_mov_b32 s0, 0
	s_mov_b32 s6, -1
	s_delay_alu instid0(VALU_DEP_1) | instskip(NEXT) | instid1(VALU_DEP_1)
	v_trunc_f32_e32 v5, v5
	v_mul_f32_e32 v8, 0x2f800000, v5
	s_delay_alu instid0(VALU_DEP_1) | instskip(NEXT) | instid1(VALU_DEP_1)
	v_floor_f32_e32 v8, v8
	v_fmamk_f32 v5, v8, 0xcf800000, v5
	v_cvt_u32_f32_e32 v9, v8
	s_delay_alu instid0(VALU_DEP_2)
	v_cvt_u32_f32_e32 v8, v5
	global_store_b64 v[0:1], v[8:9], off
.LBB488_1697:
	s_mov_b32 s7, 0
.LBB488_1698:
	s_delay_alu instid0(SALU_CYCLE_1)
	s_and_b32 vcc_lo, exec_lo, s7
	s_cbranch_vccz .LBB488_1714
; %bb.1699:
	v_cmp_gt_i16_e32 vcc_lo, 27, v3
	s_mov_b32 s6, -1
	s_cbranch_vccnz .LBB488_1705
; %bb.1700:
	v_cmp_lt_i16_e32 vcc_lo, 27, v3
	s_cbranch_vccz .LBB488_1702
; %bb.1701:
	v_lshlrev_b32_e32 v5, 16, v4
	s_mov_b32 s6, 0
	s_delay_alu instid0(VALU_DEP_1)
	v_cvt_u32_f32_e32 v5, v5
	global_store_b32 v[0:1], v5, off
.LBB488_1702:
	s_and_not1_b32 vcc_lo, exec_lo, s6
	s_cbranch_vccnz .LBB488_1704
; %bb.1703:
	v_lshlrev_b32_e32 v5, 16, v4
	s_delay_alu instid0(VALU_DEP_1)
	v_cvt_u32_f32_e32 v5, v5
	global_store_b16 v[0:1], v5, off
.LBB488_1704:
	s_mov_b32 s6, 0
.LBB488_1705:
	s_delay_alu instid0(SALU_CYCLE_1)
	s_and_not1_b32 vcc_lo, exec_lo, s6
	s_cbranch_vccnz .LBB488_1713
; %bb.1706:
	v_dual_mov_b32 v10, 0x80 :: v_dual_lshlrev_b32 v9, 16, v4
	s_mov_b32 s6, exec_lo
	s_delay_alu instid0(VALU_DEP_1) | instskip(NEXT) | instid1(VALU_DEP_1)
	v_and_b32_e32 v8, 0x7fffffff, v9
	v_cmpx_gt_u32_e32 0x43800000, v8
	s_cbranch_execz .LBB488_1712
; %bb.1707:
	v_and_b32_e32 v5, 0xffff, v4
	v_cmp_lt_u32_e32 vcc_lo, 0x3bffffff, v8
	s_mov_b32 s7, 0
                                        ; implicit-def: $vgpr8
	s_and_saveexec_b32 s9, vcc_lo
	s_delay_alu instid0(SALU_CYCLE_1)
	s_xor_b32 s9, exec_lo, s9
	s_cbranch_execz .LBB488_2051
; %bb.1708:
	v_bfe_u32 v8, v5, 4, 1
	s_mov_b32 s7, exec_lo
	s_delay_alu instid0(VALU_DEP_1) | instskip(NEXT) | instid1(VALU_DEP_1)
	v_add3_u32 v8, v9, v8, 0x487ffff
                                        ; implicit-def: $vgpr9
	v_lshrrev_b32_e32 v8, 20, v8
	s_or_saveexec_b32 s9, s9
                                        ; implicit-def: $sgpr10
	s_delay_alu instid0(SALU_CYCLE_1)
	s_xor_b32 exec_lo, exec_lo, s9
	s_cbranch_execnz .LBB488_2052
.LBB488_1709:
	s_or_b32 exec_lo, exec_lo, s9
	v_mov_b32_e32 v10, s10
	s_and_saveexec_b32 s9, s7
.LBB488_1710:
	v_lshrrev_b32_e32 v5, 8, v5
	s_delay_alu instid0(VALU_DEP_1)
	v_and_or_b32 v10, 0x80, v5, v8
.LBB488_1711:
	s_or_b32 exec_lo, exec_lo, s9
.LBB488_1712:
	s_delay_alu instid0(SALU_CYCLE_1)
	s_or_b32 exec_lo, exec_lo, s6
	global_store_b8 v[0:1], v10, off
.LBB488_1713:
	s_mov_b32 s6, -1
.LBB488_1714:
	s_mov_b32 s7, 0
.LBB488_1715:
	s_delay_alu instid0(SALU_CYCLE_1)
	s_and_b32 vcc_lo, exec_lo, s7
	s_cbranch_vccz .LBB488_1755
; %bb.1716:
	v_cmp_lt_i16_e32 vcc_lo, 22, v3
	s_mov_b32 s1, -1
	s_cbranch_vccz .LBB488_1748
; %bb.1717:
	v_cmp_gt_i16_e32 vcc_lo, 24, v3
	s_cbranch_vccnz .LBB488_1737
; %bb.1718:
	v_cmp_lt_i16_e32 vcc_lo, 24, v3
	s_cbranch_vccz .LBB488_1726
; %bb.1719:
	v_dual_mov_b32 v10, 0x80 :: v_dual_lshlrev_b32 v9, 16, v4
	s_mov_b32 s1, exec_lo
	s_delay_alu instid0(VALU_DEP_1) | instskip(NEXT) | instid1(VALU_DEP_1)
	v_and_b32_e32 v8, 0x7fffffff, v9
	v_cmpx_gt_u32_e32 0x47800000, v8
	s_cbranch_execz .LBB488_1725
; %bb.1720:
	v_and_b32_e32 v5, 0xffff, v4
	v_cmp_lt_u32_e32 vcc_lo, 0x37ffffff, v8
	s_mov_b32 s6, 0
                                        ; implicit-def: $vgpr8
	s_and_saveexec_b32 s7, vcc_lo
	s_delay_alu instid0(SALU_CYCLE_1)
	s_xor_b32 s7, exec_lo, s7
	s_cbranch_execz .LBB488_2057
; %bb.1721:
	v_bfe_u32 v8, v5, 5, 1
	s_mov_b32 s6, exec_lo
	s_delay_alu instid0(VALU_DEP_1) | instskip(NEXT) | instid1(VALU_DEP_1)
	v_add3_u32 v8, v9, v8, 0x88fffff
                                        ; implicit-def: $vgpr9
	v_lshrrev_b32_e32 v8, 21, v8
	s_or_saveexec_b32 s7, s7
                                        ; implicit-def: $sgpr9
	s_delay_alu instid0(SALU_CYCLE_1)
	s_xor_b32 exec_lo, exec_lo, s7
	s_cbranch_execnz .LBB488_2058
.LBB488_1722:
	s_or_b32 exec_lo, exec_lo, s7
	v_mov_b32_e32 v10, s9
	s_and_saveexec_b32 s7, s6
.LBB488_1723:
	v_lshrrev_b32_e32 v5, 8, v5
	s_delay_alu instid0(VALU_DEP_1)
	v_and_or_b32 v10, 0x80, v5, v8
.LBB488_1724:
	s_or_b32 exec_lo, exec_lo, s7
.LBB488_1725:
	s_delay_alu instid0(SALU_CYCLE_1)
	s_or_b32 exec_lo, exec_lo, s1
	s_mov_b32 s1, 0
	global_store_b8 v[0:1], v10, off
.LBB488_1726:
	s_and_b32 vcc_lo, exec_lo, s1
	s_cbranch_vccz .LBB488_1736
; %bb.1727:
	v_lshlrev_b32_e32 v9, 16, v4
	v_and_b32_e32 v5, 0xffff, v4
	s_mov_b32 s1, exec_lo
                                        ; implicit-def: $vgpr8
	s_delay_alu instid0(VALU_DEP_2) | instskip(NEXT) | instid1(VALU_DEP_1)
	v_and_b32_e32 v10, 0x7fffffff, v9
	v_cmpx_gt_u32_e32 0x43f00000, v10
	s_xor_b32 s1, exec_lo, s1
	s_cbranch_execz .LBB488_1733
; %bb.1728:
	s_mov_b32 s6, exec_lo
                                        ; implicit-def: $vgpr8
	v_cmpx_lt_u32_e32 0x3c7fffff, v10
	s_xor_b32 s6, exec_lo, s6
; %bb.1729:
	v_bfe_u32 v8, v5, 4, 1
	s_delay_alu instid0(VALU_DEP_1) | instskip(NEXT) | instid1(VALU_DEP_1)
	v_add3_u32 v8, v9, v8, 0x407ffff
	v_and_b32_e32 v9, 0xff00000, v8
	v_lshrrev_b32_e32 v8, 20, v8
	s_delay_alu instid0(VALU_DEP_2) | instskip(NEXT) | instid1(VALU_DEP_2)
	v_cmp_ne_u32_e32 vcc_lo, 0x7f00000, v9
                                        ; implicit-def: $vgpr9
	v_cndmask_b32_e32 v8, 0x7e, v8, vcc_lo
; %bb.1730:
	s_and_not1_saveexec_b32 s6, s6
; %bb.1731:
	v_add_f32_e64 v8, 0x46800000, |v9|
; %bb.1732:
	s_or_b32 exec_lo, exec_lo, s6
                                        ; implicit-def: $vgpr10
.LBB488_1733:
	s_and_not1_saveexec_b32 s1, s1
; %bb.1734:
	v_mov_b32_e32 v8, 0x7f
	v_cmp_lt_u32_e32 vcc_lo, 0x7f800000, v10
	s_delay_alu instid0(VALU_DEP_2)
	v_cndmask_b32_e32 v8, 0x7e, v8, vcc_lo
; %bb.1735:
	s_or_b32 exec_lo, exec_lo, s1
	v_lshrrev_b32_e32 v5, 8, v5
	s_delay_alu instid0(VALU_DEP_1)
	v_and_or_b32 v5, 0x80, v5, v8
	global_store_b8 v[0:1], v5, off
.LBB488_1736:
	s_mov_b32 s1, 0
.LBB488_1737:
	s_delay_alu instid0(SALU_CYCLE_1)
	s_and_not1_b32 vcc_lo, exec_lo, s1
	s_cbranch_vccnz .LBB488_1747
; %bb.1738:
	v_lshlrev_b32_e32 v9, 16, v4
	v_and_b32_e32 v5, 0xffff, v4
	s_mov_b32 s1, exec_lo
                                        ; implicit-def: $vgpr8
	s_delay_alu instid0(VALU_DEP_2) | instskip(NEXT) | instid1(VALU_DEP_1)
	v_and_b32_e32 v10, 0x7fffffff, v9
	v_cmpx_gt_u32_e32 0x47800000, v10
	s_xor_b32 s1, exec_lo, s1
	s_cbranch_execz .LBB488_1744
; %bb.1739:
	s_mov_b32 s6, exec_lo
                                        ; implicit-def: $vgpr8
	v_cmpx_lt_u32_e32 0x387fffff, v10
	s_xor_b32 s6, exec_lo, s6
; %bb.1740:
	v_bfe_u32 v8, v5, 5, 1
	s_delay_alu instid0(VALU_DEP_1) | instskip(NEXT) | instid1(VALU_DEP_1)
	v_add3_u32 v8, v9, v8, 0x80fffff
                                        ; implicit-def: $vgpr9
	v_lshrrev_b32_e32 v8, 21, v8
; %bb.1741:
	s_and_not1_saveexec_b32 s6, s6
; %bb.1742:
	v_add_f32_e64 v8, 0x43000000, |v9|
; %bb.1743:
	s_or_b32 exec_lo, exec_lo, s6
                                        ; implicit-def: $vgpr10
.LBB488_1744:
	s_and_not1_saveexec_b32 s1, s1
; %bb.1745:
	v_mov_b32_e32 v8, 0x7f
	v_cmp_lt_u32_e32 vcc_lo, 0x7f800000, v10
	s_delay_alu instid0(VALU_DEP_2)
	v_cndmask_b32_e32 v8, 0x7c, v8, vcc_lo
; %bb.1746:
	s_or_b32 exec_lo, exec_lo, s1
	v_lshrrev_b32_e32 v5, 8, v5
	s_delay_alu instid0(VALU_DEP_1)
	v_and_or_b32 v5, 0x80, v5, v8
	global_store_b8 v[0:1], v5, off
.LBB488_1747:
	s_mov_b32 s1, 0
	s_mov_b32 s6, -1
.LBB488_1748:
	s_and_not1_b32 vcc_lo, exec_lo, s1
	s_mov_b32 s1, 0
	s_cbranch_vccnz .LBB488_1755
; %bb.1749:
	v_cmp_lt_i16_e32 vcc_lo, 14, v3
	s_mov_b32 s1, -1
	s_cbranch_vccz .LBB488_1753
; %bb.1750:
	v_cmp_eq_u16_e32 vcc_lo, 15, v3
	s_mov_b32 s0, -1
	s_cbranch_vccz .LBB488_1752
; %bb.1751:
	s_mov_b32 s0, 0
	s_mov_b32 s6, -1
	global_store_b16 v[0:1], v4, off
.LBB488_1752:
	s_mov_b32 s1, 0
.LBB488_1753:
	s_delay_alu instid0(SALU_CYCLE_1)
	s_and_b32 vcc_lo, exec_lo, s1
	s_mov_b32 s1, 0
	s_cbranch_vccz .LBB488_1755
; %bb.1754:
	v_cmp_ne_u16_e64 s0, 11, v3
	s_mov_b32 s1, -1
.LBB488_1755:
	s_delay_alu instid0(VALU_DEP_1)
	s_and_b32 vcc_lo, exec_lo, s0
	s_cbranch_vccnz .LBB488_2055
; %bb.1756:
	s_and_not1_b32 vcc_lo, exec_lo, s1
	s_cbranch_vccnz .LBB488_1758
.LBB488_1757:
	v_and_b32_e32 v5, 0x7fff, v4
	s_mov_b32 s6, -1
	s_delay_alu instid0(VALU_DEP_1)
	v_cmp_ne_u16_e32 vcc_lo, 0, v5
	v_cndmask_b32_e64 v5, 0, 1, vcc_lo
	global_store_b8 v[0:1], v5, off
.LBB488_1758:
	s_mov_b32 s0, 0
	s_branch .LBB488_1760
.LBB488_1759:
	s_mov_b32 s0, -1
	s_mov_b32 s6, 0
.LBB488_1760:
	s_and_b32 vcc_lo, exec_lo, s0
	s_cbranch_vccz .LBB488_1799
; %bb.1761:
	v_cmp_gt_i16_e32 vcc_lo, 5, v3
	s_mov_b32 s0, -1
	s_cbranch_vccnz .LBB488_1782
; %bb.1762:
	v_cmp_gt_i16_e32 vcc_lo, 8, v3
	s_cbranch_vccnz .LBB488_1772
; %bb.1763:
	v_cmp_gt_i16_e32 vcc_lo, 9, v3
	s_cbranch_vccnz .LBB488_1769
; %bb.1764:
	v_cmp_lt_i16_e32 vcc_lo, 9, v3
	s_cbranch_vccz .LBB488_1766
; %bb.1765:
	v_dual_mov_b32 v10, 0 :: v_dual_lshlrev_b32 v5, 16, v4
	s_mov_b32 s0, 0
	s_delay_alu instid0(VALU_DEP_1) | instskip(NEXT) | instid1(VALU_DEP_2)
	v_cvt_f64_f32_e32 v[8:9], v5
	v_mov_b32_e32 v11, v10
	global_store_b128 v[0:1], v[8:11], off
.LBB488_1766:
	s_and_not1_b32 vcc_lo, exec_lo, s0
	s_cbranch_vccnz .LBB488_1768
; %bb.1767:
	v_dual_mov_b32 v9, 0 :: v_dual_lshlrev_b32 v8, 16, v4
	global_store_b64 v[0:1], v[8:9], off
.LBB488_1768:
	s_mov_b32 s0, 0
.LBB488_1769:
	s_delay_alu instid0(SALU_CYCLE_1)
	s_and_not1_b32 vcc_lo, exec_lo, s0
	s_cbranch_vccnz .LBB488_1771
; %bb.1770:
	v_lshlrev_b32_e32 v5, 16, v4
	s_delay_alu instid0(VALU_DEP_1) | instskip(NEXT) | instid1(VALU_DEP_1)
	v_cvt_f16_f32_e32 v5, v5
	v_and_b32_e32 v5, 0xffff, v5
	global_store_b32 v[0:1], v5, off
.LBB488_1771:
	s_mov_b32 s0, 0
.LBB488_1772:
	s_delay_alu instid0(SALU_CYCLE_1)
	s_and_not1_b32 vcc_lo, exec_lo, s0
	s_cbranch_vccnz .LBB488_1781
; %bb.1773:
	v_cmp_gt_i16_e32 vcc_lo, 6, v3
	s_mov_b32 s0, -1
	s_cbranch_vccnz .LBB488_1779
; %bb.1774:
	v_cmp_lt_i16_e32 vcc_lo, 6, v3
	s_cbranch_vccz .LBB488_1776
; %bb.1775:
	v_lshlrev_b32_e32 v5, 16, v4
	s_mov_b32 s0, 0
	s_delay_alu instid0(VALU_DEP_1)
	v_cvt_f64_f32_e32 v[8:9], v5
	global_store_b64 v[0:1], v[8:9], off
.LBB488_1776:
	s_and_not1_b32 vcc_lo, exec_lo, s0
	s_cbranch_vccnz .LBB488_1778
; %bb.1777:
	v_lshlrev_b32_e32 v5, 16, v4
	global_store_b32 v[0:1], v5, off
.LBB488_1778:
	s_mov_b32 s0, 0
.LBB488_1779:
	s_delay_alu instid0(SALU_CYCLE_1)
	s_and_not1_b32 vcc_lo, exec_lo, s0
	s_cbranch_vccnz .LBB488_1781
; %bb.1780:
	v_lshlrev_b32_e32 v5, 16, v4
	s_delay_alu instid0(VALU_DEP_1)
	v_cvt_f16_f32_e32 v5, v5
	global_store_b16 v[0:1], v5, off
.LBB488_1781:
	s_mov_b32 s0, 0
.LBB488_1782:
	s_delay_alu instid0(SALU_CYCLE_1)
	s_and_not1_b32 vcc_lo, exec_lo, s0
	s_cbranch_vccnz .LBB488_1798
; %bb.1783:
	v_cmp_gt_i16_e32 vcc_lo, 2, v3
	s_mov_b32 s0, -1
	s_cbranch_vccnz .LBB488_1793
; %bb.1784:
	v_cmp_gt_i16_e32 vcc_lo, 3, v3
	s_cbranch_vccnz .LBB488_1790
; %bb.1785:
	v_cmp_lt_i16_e32 vcc_lo, 3, v3
	s_cbranch_vccz .LBB488_1787
; %bb.1786:
	v_lshlrev_b32_e32 v5, 16, v4
	s_mov_b32 s0, 0
	s_delay_alu instid0(VALU_DEP_1) | instskip(NEXT) | instid1(VALU_DEP_1)
	v_trunc_f32_e32 v5, v5
	v_mul_f32_e64 v8, 0x2f800000, |v5|
	s_delay_alu instid0(VALU_DEP_1) | instskip(NEXT) | instid1(VALU_DEP_1)
	v_floor_f32_e32 v8, v8
	v_fma_f32 v9, 0xcf800000, v8, |v5|
	v_ashrrev_i32_e32 v5, 31, v5
	v_cvt_u32_f32_e32 v8, v8
	s_delay_alu instid0(VALU_DEP_3) | instskip(NEXT) | instid1(VALU_DEP_2)
	v_cvt_u32_f32_e32 v9, v9
	v_xor_b32_e32 v10, v8, v5
	s_delay_alu instid0(VALU_DEP_2) | instskip(NEXT) | instid1(VALU_DEP_1)
	v_xor_b32_e32 v9, v9, v5
	v_sub_co_u32 v8, vcc_lo, v9, v5
	s_delay_alu instid0(VALU_DEP_3)
	v_sub_co_ci_u32_e32 v9, vcc_lo, v10, v5, vcc_lo
	global_store_b64 v[0:1], v[8:9], off
.LBB488_1787:
	s_and_not1_b32 vcc_lo, exec_lo, s0
	s_cbranch_vccnz .LBB488_1789
; %bb.1788:
	v_lshlrev_b32_e32 v5, 16, v4
	s_delay_alu instid0(VALU_DEP_1)
	v_cvt_i32_f32_e32 v5, v5
	global_store_b32 v[0:1], v5, off
.LBB488_1789:
	s_mov_b32 s0, 0
.LBB488_1790:
	s_delay_alu instid0(SALU_CYCLE_1)
	s_and_not1_b32 vcc_lo, exec_lo, s0
	s_cbranch_vccnz .LBB488_1792
; %bb.1791:
	v_lshlrev_b32_e32 v5, 16, v4
	s_delay_alu instid0(VALU_DEP_1)
	v_cvt_i32_f32_e32 v5, v5
	global_store_b16 v[0:1], v5, off
.LBB488_1792:
	s_mov_b32 s0, 0
.LBB488_1793:
	s_delay_alu instid0(SALU_CYCLE_1)
	s_and_not1_b32 vcc_lo, exec_lo, s0
	s_cbranch_vccnz .LBB488_1798
; %bb.1794:
	v_cmp_lt_i16_e32 vcc_lo, 0, v3
	v_lshlrev_b32_e32 v4, 16, v4
	s_mov_b32 s0, -1
	s_cbranch_vccz .LBB488_1796
; %bb.1795:
	s_delay_alu instid0(VALU_DEP_1)
	v_cvt_i32_f32_e32 v5, v4
	s_mov_b32 s0, 0
	global_store_b8 v[0:1], v5, off
.LBB488_1796:
	s_and_not1_b32 vcc_lo, exec_lo, s0
	s_cbranch_vccnz .LBB488_1798
; %bb.1797:
	v_trunc_f32_e32 v4, v4
	s_delay_alu instid0(VALU_DEP_1) | instskip(NEXT) | instid1(VALU_DEP_1)
	v_mul_f32_e64 v5, 0x2f800000, |v4|
	v_floor_f32_e32 v5, v5
	s_delay_alu instid0(VALU_DEP_1) | instskip(SKIP_1) | instid1(VALU_DEP_2)
	v_fma_f32 v5, 0xcf800000, v5, |v4|
	v_ashrrev_i32_e32 v4, 31, v4
	v_cvt_u32_f32_e32 v5, v5
	s_delay_alu instid0(VALU_DEP_1) | instskip(NEXT) | instid1(VALU_DEP_1)
	v_xor_b32_e32 v5, v5, v4
	v_sub_nc_u32_e32 v4, v5, v4
	global_store_b8 v[0:1], v4, off
.LBB488_1798:
	s_mov_b32 s6, -1
.LBB488_1799:
	s_delay_alu instid0(SALU_CYCLE_1)
	s_and_not1_b32 vcc_lo, exec_lo, s6
	s_cbranch_vccnz .LBB488_1995
; %bb.1800:
	v_lshlrev_b32_e32 v0, 16, v6
	v_add_nc_u32_e32 v2, s2, v2
	v_cmp_gt_i16_e64 s1, 11, v3
	s_delay_alu instid0(VALU_DEP_3) | instskip(SKIP_1) | instid1(VALU_DEP_4)
	v_cmp_u_f32_e32 vcc_lo, v0, v0
	v_cmp_gt_f32_e64 s0, s3, v0
	v_ashrrev_i32_e32 v1, 31, v2
	s_delay_alu instid0(VALU_DEP_2) | instskip(SKIP_2) | instid1(VALU_DEP_3)
	s_or_b32 vcc_lo, vcc_lo, s0
	v_cndmask_b32_e32 v4, s8, v6, vcc_lo
	v_add_co_u32 v0, vcc_lo, s4, v2
	v_add_co_ci_u32_e32 v1, vcc_lo, s5, v1, vcc_lo
	s_and_b32 vcc_lo, exec_lo, s1
	s_cbranch_vccnz .LBB488_1878
; %bb.1801:
	v_cmp_lt_i16_e32 vcc_lo, 25, v3
	s_mov_b32 s7, -1
	s_mov_b32 s1, 0
	s_mov_b32 s6, 0
	;; [unrolled: 1-line block ×3, first 2 shown]
	s_cbranch_vccz .LBB488_1834
; %bb.1802:
	v_cmp_lt_i16_e32 vcc_lo, 28, v3
	s_cbranch_vccz .LBB488_1817
; %bb.1803:
	v_cmp_lt_i16_e32 vcc_lo, 43, v3
	;; [unrolled: 3-line block ×3, first 2 shown]
	s_cbranch_vccz .LBB488_1807
; %bb.1805:
	v_cmp_eq_u16_e32 vcc_lo, 46, v3
	s_mov_b32 s0, -1
	s_mov_b32 s7, 0
	s_cbranch_vccz .LBB488_1807
; %bb.1806:
	v_and_b32_e32 v5, 0xffff, v4
	s_mov_b32 s0, 0
	s_mov_b32 s6, -1
	global_store_b32 v[0:1], v5, off
.LBB488_1807:
	s_and_b32 vcc_lo, exec_lo, s7
	s_cbranch_vccz .LBB488_1812
; %bb.1808:
	v_cmp_eq_u16_e32 vcc_lo, 44, v3
	s_mov_b32 s0, -1
	s_cbranch_vccz .LBB488_1812
; %bb.1809:
	v_and_b32_e32 v5, 0xffff, v4
	v_mov_b32_e32 v6, 0xff
	s_mov_b32 s6, exec_lo
	s_delay_alu instid0(VALU_DEP_2) | instskip(NEXT) | instid1(VALU_DEP_1)
	v_bfe_u32 v8, v5, 7, 8
	v_cmpx_ne_u32_e32 0xff, v8
; %bb.1810:
	v_lshlrev_b32_e32 v6, 16, v5
	v_and_b32_e32 v9, 64, v5
	v_lshrrev_b32_e32 v5, 7, v5
	s_delay_alu instid0(VALU_DEP_3) | instskip(NEXT) | instid1(VALU_DEP_3)
	v_and_or_b32 v6, 0x3f0000, v6, v8
	v_cmp_ne_u32_e32 vcc_lo, 0, v9
	s_delay_alu instid0(VALU_DEP_2) | instskip(NEXT) | instid1(VALU_DEP_1)
	v_cmp_ne_u32_e64 s0, 0, v6
	s_and_b32 s0, vcc_lo, s0
	s_delay_alu instid0(SALU_CYCLE_1) | instskip(NEXT) | instid1(VALU_DEP_1)
	v_cndmask_b32_e64 v6, 0, 1, s0
	v_add_nc_u32_e32 v6, v5, v6
; %bb.1811:
	s_or_b32 exec_lo, exec_lo, s6
	s_mov_b32 s0, 0
	s_mov_b32 s6, -1
	global_store_b8 v[0:1], v6, off
.LBB488_1812:
	s_mov_b32 s7, 0
.LBB488_1813:
	s_delay_alu instid0(SALU_CYCLE_1)
	s_and_b32 vcc_lo, exec_lo, s7
	s_cbranch_vccz .LBB488_1816
; %bb.1814:
	v_cmp_eq_u16_e32 vcc_lo, 29, v3
	s_mov_b32 s0, -1
	s_cbranch_vccz .LBB488_1816
; %bb.1815:
	v_lshlrev_b32_e32 v5, 16, v4
	s_mov_b32 s0, 0
	s_mov_b32 s6, -1
	s_delay_alu instid0(VALU_DEP_1) | instskip(NEXT) | instid1(VALU_DEP_1)
	v_trunc_f32_e32 v5, v5
	v_mul_f32_e32 v6, 0x2f800000, v5
	s_delay_alu instid0(VALU_DEP_1) | instskip(NEXT) | instid1(VALU_DEP_1)
	v_floor_f32_e32 v6, v6
	v_fmamk_f32 v5, v6, 0xcf800000, v5
	v_cvt_u32_f32_e32 v6, v6
	s_delay_alu instid0(VALU_DEP_2)
	v_cvt_u32_f32_e32 v5, v5
	global_store_b64 v[0:1], v[5:6], off
.LBB488_1816:
	s_mov_b32 s7, 0
.LBB488_1817:
	s_delay_alu instid0(SALU_CYCLE_1)
	s_and_b32 vcc_lo, exec_lo, s7
	s_cbranch_vccz .LBB488_1833
; %bb.1818:
	v_cmp_gt_i16_e32 vcc_lo, 27, v3
	s_mov_b32 s6, -1
	s_cbranch_vccnz .LBB488_1824
; %bb.1819:
	v_cmp_lt_i16_e32 vcc_lo, 27, v3
	s_cbranch_vccz .LBB488_1821
; %bb.1820:
	v_lshlrev_b32_e32 v5, 16, v4
	s_mov_b32 s6, 0
	s_delay_alu instid0(VALU_DEP_1)
	v_cvt_u32_f32_e32 v5, v5
	global_store_b32 v[0:1], v5, off
.LBB488_1821:
	s_and_not1_b32 vcc_lo, exec_lo, s6
	s_cbranch_vccnz .LBB488_1823
; %bb.1822:
	v_lshlrev_b32_e32 v5, 16, v4
	s_delay_alu instid0(VALU_DEP_1)
	v_cvt_u32_f32_e32 v5, v5
	global_store_b16 v[0:1], v5, off
.LBB488_1823:
	s_mov_b32 s6, 0
.LBB488_1824:
	s_delay_alu instid0(SALU_CYCLE_1)
	s_and_not1_b32 vcc_lo, exec_lo, s6
	s_cbranch_vccnz .LBB488_1832
; %bb.1825:
	v_dual_mov_b32 v9, 0x80 :: v_dual_lshlrev_b32 v8, 16, v4
	s_mov_b32 s6, exec_lo
	s_delay_alu instid0(VALU_DEP_1) | instskip(NEXT) | instid1(VALU_DEP_1)
	v_and_b32_e32 v6, 0x7fffffff, v8
	v_cmpx_gt_u32_e32 0x43800000, v6
	s_cbranch_execz .LBB488_1831
; %bb.1826:
	v_and_b32_e32 v5, 0xffff, v4
	v_cmp_lt_u32_e32 vcc_lo, 0x3bffffff, v6
	s_mov_b32 s7, 0
                                        ; implicit-def: $vgpr6
	s_and_saveexec_b32 s9, vcc_lo
	s_delay_alu instid0(SALU_CYCLE_1)
	s_xor_b32 s9, exec_lo, s9
	s_cbranch_execz .LBB488_2059
; %bb.1827:
	v_bfe_u32 v6, v5, 4, 1
	s_mov_b32 s7, exec_lo
	s_delay_alu instid0(VALU_DEP_1) | instskip(NEXT) | instid1(VALU_DEP_1)
	v_add3_u32 v6, v8, v6, 0x487ffff
                                        ; implicit-def: $vgpr8
	v_lshrrev_b32_e32 v6, 20, v6
	s_or_saveexec_b32 s9, s9
                                        ; implicit-def: $sgpr10
	s_delay_alu instid0(SALU_CYCLE_1)
	s_xor_b32 exec_lo, exec_lo, s9
	s_cbranch_execnz .LBB488_2060
.LBB488_1828:
	s_or_b32 exec_lo, exec_lo, s9
	v_mov_b32_e32 v9, s10
	s_and_saveexec_b32 s9, s7
.LBB488_1829:
	v_lshrrev_b32_e32 v5, 8, v5
	s_delay_alu instid0(VALU_DEP_1)
	v_and_or_b32 v9, 0x80, v5, v6
.LBB488_1830:
	s_or_b32 exec_lo, exec_lo, s9
.LBB488_1831:
	s_delay_alu instid0(SALU_CYCLE_1)
	s_or_b32 exec_lo, exec_lo, s6
	global_store_b8 v[0:1], v9, off
.LBB488_1832:
	s_mov_b32 s6, -1
.LBB488_1833:
	s_mov_b32 s7, 0
.LBB488_1834:
	s_delay_alu instid0(SALU_CYCLE_1)
	s_and_b32 vcc_lo, exec_lo, s7
	s_cbranch_vccz .LBB488_1874
; %bb.1835:
	v_cmp_lt_i16_e32 vcc_lo, 22, v3
	s_mov_b32 s1, -1
	s_cbranch_vccz .LBB488_1867
; %bb.1836:
	v_cmp_gt_i16_e32 vcc_lo, 24, v3
	s_cbranch_vccnz .LBB488_1856
; %bb.1837:
	v_cmp_lt_i16_e32 vcc_lo, 24, v3
	s_cbranch_vccz .LBB488_1845
; %bb.1838:
	v_dual_mov_b32 v9, 0x80 :: v_dual_lshlrev_b32 v8, 16, v4
	s_mov_b32 s1, exec_lo
	s_delay_alu instid0(VALU_DEP_1) | instskip(NEXT) | instid1(VALU_DEP_1)
	v_and_b32_e32 v6, 0x7fffffff, v8
	v_cmpx_gt_u32_e32 0x47800000, v6
	s_cbranch_execz .LBB488_1844
; %bb.1839:
	v_and_b32_e32 v5, 0xffff, v4
	v_cmp_lt_u32_e32 vcc_lo, 0x37ffffff, v6
	s_mov_b32 s6, 0
                                        ; implicit-def: $vgpr6
	s_and_saveexec_b32 s7, vcc_lo
	s_delay_alu instid0(SALU_CYCLE_1)
	s_xor_b32 s7, exec_lo, s7
	s_cbranch_execz .LBB488_2065
; %bb.1840:
	v_bfe_u32 v6, v5, 5, 1
	s_mov_b32 s6, exec_lo
	s_delay_alu instid0(VALU_DEP_1) | instskip(NEXT) | instid1(VALU_DEP_1)
	v_add3_u32 v6, v8, v6, 0x88fffff
                                        ; implicit-def: $vgpr8
	v_lshrrev_b32_e32 v6, 21, v6
	s_or_saveexec_b32 s7, s7
                                        ; implicit-def: $sgpr9
	s_delay_alu instid0(SALU_CYCLE_1)
	s_xor_b32 exec_lo, exec_lo, s7
	s_cbranch_execnz .LBB488_2066
.LBB488_1841:
	s_or_b32 exec_lo, exec_lo, s7
	v_mov_b32_e32 v9, s9
	s_and_saveexec_b32 s7, s6
.LBB488_1842:
	v_lshrrev_b32_e32 v5, 8, v5
	s_delay_alu instid0(VALU_DEP_1)
	v_and_or_b32 v9, 0x80, v5, v6
.LBB488_1843:
	s_or_b32 exec_lo, exec_lo, s7
.LBB488_1844:
	s_delay_alu instid0(SALU_CYCLE_1)
	s_or_b32 exec_lo, exec_lo, s1
	s_mov_b32 s1, 0
	global_store_b8 v[0:1], v9, off
.LBB488_1845:
	s_and_b32 vcc_lo, exec_lo, s1
	s_cbranch_vccz .LBB488_1855
; %bb.1846:
	v_lshlrev_b32_e32 v8, 16, v4
	v_and_b32_e32 v5, 0xffff, v4
	s_mov_b32 s1, exec_lo
                                        ; implicit-def: $vgpr6
	s_delay_alu instid0(VALU_DEP_2) | instskip(NEXT) | instid1(VALU_DEP_1)
	v_and_b32_e32 v9, 0x7fffffff, v8
	v_cmpx_gt_u32_e32 0x43f00000, v9
	s_xor_b32 s1, exec_lo, s1
	s_cbranch_execz .LBB488_1852
; %bb.1847:
	s_mov_b32 s6, exec_lo
                                        ; implicit-def: $vgpr6
	v_cmpx_lt_u32_e32 0x3c7fffff, v9
	s_xor_b32 s6, exec_lo, s6
; %bb.1848:
	v_bfe_u32 v6, v5, 4, 1
	s_delay_alu instid0(VALU_DEP_1) | instskip(NEXT) | instid1(VALU_DEP_1)
	v_add3_u32 v6, v8, v6, 0x407ffff
	v_and_b32_e32 v8, 0xff00000, v6
	v_lshrrev_b32_e32 v6, 20, v6
	s_delay_alu instid0(VALU_DEP_2) | instskip(NEXT) | instid1(VALU_DEP_2)
	v_cmp_ne_u32_e32 vcc_lo, 0x7f00000, v8
                                        ; implicit-def: $vgpr8
	v_cndmask_b32_e32 v6, 0x7e, v6, vcc_lo
; %bb.1849:
	s_and_not1_saveexec_b32 s6, s6
; %bb.1850:
	v_add_f32_e64 v6, 0x46800000, |v8|
; %bb.1851:
	s_or_b32 exec_lo, exec_lo, s6
                                        ; implicit-def: $vgpr9
.LBB488_1852:
	s_and_not1_saveexec_b32 s1, s1
; %bb.1853:
	v_mov_b32_e32 v6, 0x7f
	v_cmp_lt_u32_e32 vcc_lo, 0x7f800000, v9
	s_delay_alu instid0(VALU_DEP_2)
	v_cndmask_b32_e32 v6, 0x7e, v6, vcc_lo
; %bb.1854:
	s_or_b32 exec_lo, exec_lo, s1
	v_lshrrev_b32_e32 v5, 8, v5
	s_delay_alu instid0(VALU_DEP_1)
	v_and_or_b32 v5, 0x80, v5, v6
	global_store_b8 v[0:1], v5, off
.LBB488_1855:
	s_mov_b32 s1, 0
.LBB488_1856:
	s_delay_alu instid0(SALU_CYCLE_1)
	s_and_not1_b32 vcc_lo, exec_lo, s1
	s_cbranch_vccnz .LBB488_1866
; %bb.1857:
	v_lshlrev_b32_e32 v8, 16, v4
	v_and_b32_e32 v5, 0xffff, v4
	s_mov_b32 s1, exec_lo
                                        ; implicit-def: $vgpr6
	s_delay_alu instid0(VALU_DEP_2) | instskip(NEXT) | instid1(VALU_DEP_1)
	v_and_b32_e32 v9, 0x7fffffff, v8
	v_cmpx_gt_u32_e32 0x47800000, v9
	s_xor_b32 s1, exec_lo, s1
	s_cbranch_execz .LBB488_1863
; %bb.1858:
	s_mov_b32 s6, exec_lo
                                        ; implicit-def: $vgpr6
	v_cmpx_lt_u32_e32 0x387fffff, v9
	s_xor_b32 s6, exec_lo, s6
; %bb.1859:
	v_bfe_u32 v6, v5, 5, 1
	s_delay_alu instid0(VALU_DEP_1) | instskip(NEXT) | instid1(VALU_DEP_1)
	v_add3_u32 v6, v8, v6, 0x80fffff
                                        ; implicit-def: $vgpr8
	v_lshrrev_b32_e32 v6, 21, v6
; %bb.1860:
	s_and_not1_saveexec_b32 s6, s6
; %bb.1861:
	v_add_f32_e64 v6, 0x43000000, |v8|
; %bb.1862:
	s_or_b32 exec_lo, exec_lo, s6
                                        ; implicit-def: $vgpr9
.LBB488_1863:
	s_and_not1_saveexec_b32 s1, s1
; %bb.1864:
	v_mov_b32_e32 v6, 0x7f
	v_cmp_lt_u32_e32 vcc_lo, 0x7f800000, v9
	s_delay_alu instid0(VALU_DEP_2)
	v_cndmask_b32_e32 v6, 0x7c, v6, vcc_lo
; %bb.1865:
	s_or_b32 exec_lo, exec_lo, s1
	v_lshrrev_b32_e32 v5, 8, v5
	s_delay_alu instid0(VALU_DEP_1)
	v_and_or_b32 v5, 0x80, v5, v6
	global_store_b8 v[0:1], v5, off
.LBB488_1866:
	s_mov_b32 s1, 0
	s_mov_b32 s6, -1
.LBB488_1867:
	s_and_not1_b32 vcc_lo, exec_lo, s1
	s_mov_b32 s1, 0
	s_cbranch_vccnz .LBB488_1874
; %bb.1868:
	v_cmp_lt_i16_e32 vcc_lo, 14, v3
	s_mov_b32 s1, -1
	s_cbranch_vccz .LBB488_1872
; %bb.1869:
	v_cmp_eq_u16_e32 vcc_lo, 15, v3
	s_mov_b32 s0, -1
	s_cbranch_vccz .LBB488_1871
; %bb.1870:
	s_mov_b32 s0, 0
	s_mov_b32 s6, -1
	global_store_b16 v[0:1], v4, off
.LBB488_1871:
	s_mov_b32 s1, 0
.LBB488_1872:
	s_delay_alu instid0(SALU_CYCLE_1)
	s_and_b32 vcc_lo, exec_lo, s1
	s_mov_b32 s1, 0
	s_cbranch_vccz .LBB488_1874
; %bb.1873:
	v_cmp_ne_u16_e64 s0, 11, v3
	s_mov_b32 s1, -1
.LBB488_1874:
	s_delay_alu instid0(VALU_DEP_1)
	s_and_b32 vcc_lo, exec_lo, s0
	s_cbranch_vccnz .LBB488_2063
; %bb.1875:
	s_and_not1_b32 vcc_lo, exec_lo, s1
	s_cbranch_vccnz .LBB488_1877
.LBB488_1876:
	v_and_b32_e32 v5, 0x7fff, v4
	s_mov_b32 s6, -1
	s_delay_alu instid0(VALU_DEP_1)
	v_cmp_ne_u16_e32 vcc_lo, 0, v5
	v_cndmask_b32_e64 v5, 0, 1, vcc_lo
	global_store_b8 v[0:1], v5, off
.LBB488_1877:
	s_mov_b32 s0, 0
	s_branch .LBB488_1879
.LBB488_1878:
	s_mov_b32 s0, -1
	s_mov_b32 s6, 0
.LBB488_1879:
	s_and_b32 vcc_lo, exec_lo, s0
	s_cbranch_vccz .LBB488_1918
; %bb.1880:
	v_cmp_gt_i16_e32 vcc_lo, 5, v3
	s_mov_b32 s0, -1
	s_cbranch_vccnz .LBB488_1901
; %bb.1881:
	v_cmp_gt_i16_e32 vcc_lo, 8, v3
	s_cbranch_vccnz .LBB488_1891
; %bb.1882:
	v_cmp_gt_i16_e32 vcc_lo, 9, v3
	s_cbranch_vccnz .LBB488_1888
; %bb.1883:
	v_cmp_lt_i16_e32 vcc_lo, 9, v3
	s_cbranch_vccz .LBB488_1885
; %bb.1884:
	v_dual_mov_b32 v10, 0 :: v_dual_lshlrev_b32 v5, 16, v4
	s_mov_b32 s0, 0
	s_delay_alu instid0(VALU_DEP_1) | instskip(NEXT) | instid1(VALU_DEP_2)
	v_cvt_f64_f32_e32 v[8:9], v5
	v_mov_b32_e32 v11, v10
	global_store_b128 v[0:1], v[8:11], off
.LBB488_1885:
	s_and_not1_b32 vcc_lo, exec_lo, s0
	s_cbranch_vccnz .LBB488_1887
; %bb.1886:
	v_dual_mov_b32 v6, 0 :: v_dual_lshlrev_b32 v5, 16, v4
	global_store_b64 v[0:1], v[5:6], off
.LBB488_1887:
	s_mov_b32 s0, 0
.LBB488_1888:
	s_delay_alu instid0(SALU_CYCLE_1)
	s_and_not1_b32 vcc_lo, exec_lo, s0
	s_cbranch_vccnz .LBB488_1890
; %bb.1889:
	v_lshlrev_b32_e32 v5, 16, v4
	s_delay_alu instid0(VALU_DEP_1) | instskip(NEXT) | instid1(VALU_DEP_1)
	v_cvt_f16_f32_e32 v5, v5
	v_and_b32_e32 v5, 0xffff, v5
	global_store_b32 v[0:1], v5, off
.LBB488_1890:
	s_mov_b32 s0, 0
.LBB488_1891:
	s_delay_alu instid0(SALU_CYCLE_1)
	s_and_not1_b32 vcc_lo, exec_lo, s0
	s_cbranch_vccnz .LBB488_1900
; %bb.1892:
	v_cmp_gt_i16_e32 vcc_lo, 6, v3
	s_mov_b32 s0, -1
	s_cbranch_vccnz .LBB488_1898
; %bb.1893:
	v_cmp_lt_i16_e32 vcc_lo, 6, v3
	s_cbranch_vccz .LBB488_1895
; %bb.1894:
	v_lshlrev_b32_e32 v5, 16, v4
	s_mov_b32 s0, 0
	s_delay_alu instid0(VALU_DEP_1)
	v_cvt_f64_f32_e32 v[5:6], v5
	global_store_b64 v[0:1], v[5:6], off
.LBB488_1895:
	s_and_not1_b32 vcc_lo, exec_lo, s0
	s_cbranch_vccnz .LBB488_1897
; %bb.1896:
	v_lshlrev_b32_e32 v5, 16, v4
	global_store_b32 v[0:1], v5, off
.LBB488_1897:
	s_mov_b32 s0, 0
.LBB488_1898:
	s_delay_alu instid0(SALU_CYCLE_1)
	s_and_not1_b32 vcc_lo, exec_lo, s0
	s_cbranch_vccnz .LBB488_1900
; %bb.1899:
	v_lshlrev_b32_e32 v5, 16, v4
	s_delay_alu instid0(VALU_DEP_1)
	v_cvt_f16_f32_e32 v5, v5
	global_store_b16 v[0:1], v5, off
.LBB488_1900:
	s_mov_b32 s0, 0
.LBB488_1901:
	s_delay_alu instid0(SALU_CYCLE_1)
	s_and_not1_b32 vcc_lo, exec_lo, s0
	s_cbranch_vccnz .LBB488_1917
; %bb.1902:
	v_cmp_gt_i16_e32 vcc_lo, 2, v3
	s_mov_b32 s0, -1
	s_cbranch_vccnz .LBB488_1912
; %bb.1903:
	v_cmp_gt_i16_e32 vcc_lo, 3, v3
	s_cbranch_vccnz .LBB488_1909
; %bb.1904:
	v_cmp_lt_i16_e32 vcc_lo, 3, v3
	s_cbranch_vccz .LBB488_1906
; %bb.1905:
	v_lshlrev_b32_e32 v5, 16, v4
	s_mov_b32 s0, 0
	s_delay_alu instid0(VALU_DEP_1) | instskip(NEXT) | instid1(VALU_DEP_1)
	v_trunc_f32_e32 v5, v5
	v_mul_f32_e64 v6, 0x2f800000, |v5|
	v_ashrrev_i32_e32 v9, 31, v5
	s_delay_alu instid0(VALU_DEP_2) | instskip(NEXT) | instid1(VALU_DEP_1)
	v_floor_f32_e32 v6, v6
	v_fma_f32 v8, 0xcf800000, v6, |v5|
	v_cvt_u32_f32_e32 v6, v6
	s_delay_alu instid0(VALU_DEP_2) | instskip(NEXT) | instid1(VALU_DEP_2)
	v_cvt_u32_f32_e32 v5, v8
	v_xor_b32_e32 v6, v6, v9
	s_delay_alu instid0(VALU_DEP_2) | instskip(NEXT) | instid1(VALU_DEP_1)
	v_xor_b32_e32 v5, v5, v9
	v_sub_co_u32 v5, vcc_lo, v5, v9
	s_delay_alu instid0(VALU_DEP_3)
	v_sub_co_ci_u32_e32 v6, vcc_lo, v6, v9, vcc_lo
	global_store_b64 v[0:1], v[5:6], off
.LBB488_1906:
	s_and_not1_b32 vcc_lo, exec_lo, s0
	s_cbranch_vccnz .LBB488_1908
; %bb.1907:
	v_lshlrev_b32_e32 v5, 16, v4
	s_delay_alu instid0(VALU_DEP_1)
	v_cvt_i32_f32_e32 v5, v5
	global_store_b32 v[0:1], v5, off
.LBB488_1908:
	s_mov_b32 s0, 0
.LBB488_1909:
	s_delay_alu instid0(SALU_CYCLE_1)
	s_and_not1_b32 vcc_lo, exec_lo, s0
	s_cbranch_vccnz .LBB488_1911
; %bb.1910:
	v_lshlrev_b32_e32 v5, 16, v4
	s_delay_alu instid0(VALU_DEP_1)
	v_cvt_i32_f32_e32 v5, v5
	global_store_b16 v[0:1], v5, off
.LBB488_1911:
	s_mov_b32 s0, 0
.LBB488_1912:
	s_delay_alu instid0(SALU_CYCLE_1)
	s_and_not1_b32 vcc_lo, exec_lo, s0
	s_cbranch_vccnz .LBB488_1917
; %bb.1913:
	v_cmp_lt_i16_e32 vcc_lo, 0, v3
	v_lshlrev_b32_e32 v4, 16, v4
	s_mov_b32 s0, -1
	s_cbranch_vccz .LBB488_1915
; %bb.1914:
	s_delay_alu instid0(VALU_DEP_1)
	v_cvt_i32_f32_e32 v5, v4
	s_mov_b32 s0, 0
	global_store_b8 v[0:1], v5, off
.LBB488_1915:
	s_and_not1_b32 vcc_lo, exec_lo, s0
	s_cbranch_vccnz .LBB488_1917
; %bb.1916:
	v_trunc_f32_e32 v4, v4
	s_delay_alu instid0(VALU_DEP_1) | instskip(NEXT) | instid1(VALU_DEP_1)
	v_mul_f32_e64 v5, 0x2f800000, |v4|
	v_floor_f32_e32 v5, v5
	s_delay_alu instid0(VALU_DEP_1) | instskip(SKIP_1) | instid1(VALU_DEP_2)
	v_fma_f32 v5, 0xcf800000, v5, |v4|
	v_ashrrev_i32_e32 v4, 31, v4
	v_cvt_u32_f32_e32 v5, v5
	s_delay_alu instid0(VALU_DEP_1) | instskip(NEXT) | instid1(VALU_DEP_1)
	v_xor_b32_e32 v5, v5, v4
	v_sub_nc_u32_e32 v4, v5, v4
	global_store_b8 v[0:1], v4, off
.LBB488_1917:
	s_mov_b32 s6, -1
.LBB488_1918:
	s_delay_alu instid0(SALU_CYCLE_1)
	s_and_not1_b32 vcc_lo, exec_lo, s6
	s_cbranch_vccnz .LBB488_1995
; %bb.1919:
	v_lshlrev_b32_e32 v0, 16, v7
	v_add_nc_u32_e32 v1, s2, v2
	v_cmp_gt_i16_e64 s1, 11, v3
	s_delay_alu instid0(VALU_DEP_3) | instskip(SKIP_1) | instid1(VALU_DEP_4)
	v_cmp_u_f32_e32 vcc_lo, v0, v0
	v_cmp_gt_f32_e64 s0, s3, v0
	v_ashrrev_i32_e32 v2, 31, v1
	s_delay_alu instid0(VALU_DEP_2) | instskip(SKIP_2) | instid1(VALU_DEP_3)
	s_or_b32 vcc_lo, vcc_lo, s0
	v_cndmask_b32_e32 v4, s8, v7, vcc_lo
	v_add_co_u32 v0, vcc_lo, s4, v1
	v_add_co_ci_u32_e32 v1, vcc_lo, s5, v2, vcc_lo
	s_and_b32 vcc_lo, exec_lo, s1
	s_cbranch_vccnz .LBB488_2040
; %bb.1920:
	v_cmp_lt_i16_e32 vcc_lo, 25, v3
	s_mov_b32 s2, -1
	s_mov_b32 s1, 0
	s_mov_b32 s0, 0
	s_cbranch_vccz .LBB488_1953
; %bb.1921:
	v_cmp_lt_i16_e32 vcc_lo, 28, v3
	s_cbranch_vccz .LBB488_1937
; %bb.1922:
	v_cmp_lt_i16_e32 vcc_lo, 43, v3
	;; [unrolled: 3-line block ×3, first 2 shown]
	s_cbranch_vccz .LBB488_1927
; %bb.1924:
	v_cmp_eq_u16_e32 vcc_lo, 46, v3
	s_mov_b32 s0, -1
	s_cbranch_vccz .LBB488_1926
; %bb.1925:
	v_and_b32_e32 v2, 0xffff, v4
	s_mov_b32 s0, 0
	global_store_b32 v[0:1], v2, off
.LBB488_1926:
	s_mov_b32 s2, 0
.LBB488_1927:
	s_delay_alu instid0(SALU_CYCLE_1)
	s_and_b32 vcc_lo, exec_lo, s2
	s_cbranch_vccz .LBB488_1932
; %bb.1928:
	v_cmp_eq_u16_e32 vcc_lo, 44, v3
	s_mov_b32 s0, -1
	s_cbranch_vccz .LBB488_1932
; %bb.1929:
	v_and_b32_e32 v2, 0xffff, v4
	v_mov_b32_e32 v5, 0xff
	s_mov_b32 s2, exec_lo
	s_delay_alu instid0(VALU_DEP_2) | instskip(NEXT) | instid1(VALU_DEP_1)
	v_bfe_u32 v6, v2, 7, 8
	v_cmpx_ne_u32_e32 0xff, v6
; %bb.1930:
	v_lshlrev_b32_e32 v5, 16, v2
	v_and_b32_e32 v7, 64, v2
	v_lshrrev_b32_e32 v2, 7, v2
	s_delay_alu instid0(VALU_DEP_3) | instskip(NEXT) | instid1(VALU_DEP_3)
	v_and_or_b32 v5, 0x3f0000, v5, v6
	v_cmp_ne_u32_e32 vcc_lo, 0, v7
	s_delay_alu instid0(VALU_DEP_2) | instskip(NEXT) | instid1(VALU_DEP_1)
	v_cmp_ne_u32_e64 s0, 0, v5
	s_and_b32 s0, vcc_lo, s0
	s_delay_alu instid0(SALU_CYCLE_1) | instskip(NEXT) | instid1(VALU_DEP_1)
	v_cndmask_b32_e64 v5, 0, 1, s0
	v_add_nc_u32_e32 v5, v2, v5
; %bb.1931:
	s_or_b32 exec_lo, exec_lo, s2
	s_mov_b32 s0, 0
	global_store_b8 v[0:1], v5, off
.LBB488_1932:
	s_mov_b32 s2, 0
.LBB488_1933:
	s_delay_alu instid0(SALU_CYCLE_1)
	s_and_b32 vcc_lo, exec_lo, s2
	s_cbranch_vccz .LBB488_1936
; %bb.1934:
	v_cmp_eq_u16_e32 vcc_lo, 29, v3
	s_mov_b32 s0, -1
	s_cbranch_vccz .LBB488_1936
; %bb.1935:
	v_lshlrev_b32_e32 v2, 16, v4
	s_mov_b32 s0, 0
	s_delay_alu instid0(VALU_DEP_1) | instskip(NEXT) | instid1(VALU_DEP_1)
	v_trunc_f32_e32 v2, v2
	v_mul_f32_e32 v5, 0x2f800000, v2
	s_delay_alu instid0(VALU_DEP_1) | instskip(NEXT) | instid1(VALU_DEP_1)
	v_floor_f32_e32 v5, v5
	v_fmamk_f32 v2, v5, 0xcf800000, v2
	v_cvt_u32_f32_e32 v6, v5
	s_delay_alu instid0(VALU_DEP_2)
	v_cvt_u32_f32_e32 v5, v2
	global_store_b64 v[0:1], v[5:6], off
.LBB488_1936:
	s_mov_b32 s2, 0
.LBB488_1937:
	s_delay_alu instid0(SALU_CYCLE_1)
	s_and_b32 vcc_lo, exec_lo, s2
	s_cbranch_vccz .LBB488_1952
; %bb.1938:
	v_cmp_gt_i16_e32 vcc_lo, 27, v3
	s_mov_b32 s2, -1
	s_cbranch_vccnz .LBB488_1944
; %bb.1939:
	v_cmp_lt_i16_e32 vcc_lo, 27, v3
	s_cbranch_vccz .LBB488_1941
; %bb.1940:
	v_lshlrev_b32_e32 v2, 16, v4
	s_mov_b32 s2, 0
	s_delay_alu instid0(VALU_DEP_1)
	v_cvt_u32_f32_e32 v2, v2
	global_store_b32 v[0:1], v2, off
.LBB488_1941:
	s_and_not1_b32 vcc_lo, exec_lo, s2
	s_cbranch_vccnz .LBB488_1943
; %bb.1942:
	v_lshlrev_b32_e32 v2, 16, v4
	s_delay_alu instid0(VALU_DEP_1)
	v_cvt_u32_f32_e32 v2, v2
	global_store_b16 v[0:1], v2, off
.LBB488_1943:
	s_mov_b32 s2, 0
.LBB488_1944:
	s_delay_alu instid0(SALU_CYCLE_1)
	s_and_not1_b32 vcc_lo, exec_lo, s2
	s_cbranch_vccnz .LBB488_1952
; %bb.1945:
	v_dual_mov_b32 v7, 0x80 :: v_dual_lshlrev_b32 v6, 16, v4
	s_mov_b32 s2, exec_lo
	s_delay_alu instid0(VALU_DEP_1) | instskip(NEXT) | instid1(VALU_DEP_1)
	v_and_b32_e32 v5, 0x7fffffff, v6
	v_cmpx_gt_u32_e32 0x43800000, v5
	s_cbranch_execz .LBB488_1951
; %bb.1946:
	v_and_b32_e32 v2, 0xffff, v4
	v_cmp_lt_u32_e32 vcc_lo, 0x3bffffff, v5
	s_mov_b32 s3, 0
                                        ; implicit-def: $vgpr5
	s_and_saveexec_b32 s4, vcc_lo
	s_delay_alu instid0(SALU_CYCLE_1)
	s_xor_b32 s4, exec_lo, s4
	s_cbranch_execz .LBB488_2067
; %bb.1947:
	v_bfe_u32 v5, v2, 4, 1
	s_mov_b32 s3, exec_lo
	s_delay_alu instid0(VALU_DEP_1) | instskip(NEXT) | instid1(VALU_DEP_1)
	v_add3_u32 v5, v6, v5, 0x487ffff
                                        ; implicit-def: $vgpr6
	v_lshrrev_b32_e32 v5, 20, v5
	s_or_saveexec_b32 s4, s4
                                        ; implicit-def: $sgpr5
	s_delay_alu instid0(SALU_CYCLE_1)
	s_xor_b32 exec_lo, exec_lo, s4
	s_cbranch_execnz .LBB488_2068
.LBB488_1948:
	s_or_b32 exec_lo, exec_lo, s4
	v_mov_b32_e32 v7, s5
	s_and_saveexec_b32 s4, s3
.LBB488_1949:
	v_lshrrev_b32_e32 v2, 8, v2
	s_delay_alu instid0(VALU_DEP_1)
	v_and_or_b32 v7, 0x80, v2, v5
.LBB488_1950:
	s_or_b32 exec_lo, exec_lo, s4
.LBB488_1951:
	s_delay_alu instid0(SALU_CYCLE_1)
	s_or_b32 exec_lo, exec_lo, s2
	global_store_b8 v[0:1], v7, off
.LBB488_1952:
	s_mov_b32 s2, 0
.LBB488_1953:
	s_delay_alu instid0(SALU_CYCLE_1)
	s_and_b32 vcc_lo, exec_lo, s2
	s_cbranch_vccz .LBB488_1993
; %bb.1954:
	v_cmp_lt_i16_e32 vcc_lo, 22, v3
	s_mov_b32 s1, -1
	s_cbranch_vccz .LBB488_1986
; %bb.1955:
	v_cmp_gt_i16_e32 vcc_lo, 24, v3
	s_cbranch_vccnz .LBB488_1975
; %bb.1956:
	v_cmp_lt_i16_e32 vcc_lo, 24, v3
	s_cbranch_vccz .LBB488_1964
; %bb.1957:
	v_dual_mov_b32 v7, 0x80 :: v_dual_lshlrev_b32 v6, 16, v4
	s_mov_b32 s1, exec_lo
	s_delay_alu instid0(VALU_DEP_1) | instskip(NEXT) | instid1(VALU_DEP_1)
	v_and_b32_e32 v5, 0x7fffffff, v6
	v_cmpx_gt_u32_e32 0x47800000, v5
	s_cbranch_execz .LBB488_1963
; %bb.1958:
	v_and_b32_e32 v2, 0xffff, v4
	v_cmp_lt_u32_e32 vcc_lo, 0x37ffffff, v5
	s_mov_b32 s2, 0
                                        ; implicit-def: $vgpr5
	s_and_saveexec_b32 s3, vcc_lo
	s_delay_alu instid0(SALU_CYCLE_1)
	s_xor_b32 s3, exec_lo, s3
	s_cbranch_execz .LBB488_2073
; %bb.1959:
	v_bfe_u32 v5, v2, 5, 1
	s_mov_b32 s2, exec_lo
	s_delay_alu instid0(VALU_DEP_1) | instskip(NEXT) | instid1(VALU_DEP_1)
	v_add3_u32 v5, v6, v5, 0x88fffff
                                        ; implicit-def: $vgpr6
	v_lshrrev_b32_e32 v5, 21, v5
	s_or_saveexec_b32 s3, s3
                                        ; implicit-def: $sgpr4
	s_delay_alu instid0(SALU_CYCLE_1)
	s_xor_b32 exec_lo, exec_lo, s3
	s_cbranch_execnz .LBB488_2074
.LBB488_1960:
	s_or_b32 exec_lo, exec_lo, s3
	v_mov_b32_e32 v7, s4
	s_and_saveexec_b32 s3, s2
.LBB488_1961:
	v_lshrrev_b32_e32 v2, 8, v2
	s_delay_alu instid0(VALU_DEP_1)
	v_and_or_b32 v7, 0x80, v2, v5
.LBB488_1962:
	s_or_b32 exec_lo, exec_lo, s3
.LBB488_1963:
	s_delay_alu instid0(SALU_CYCLE_1)
	s_or_b32 exec_lo, exec_lo, s1
	s_mov_b32 s1, 0
	global_store_b8 v[0:1], v7, off
.LBB488_1964:
	s_and_b32 vcc_lo, exec_lo, s1
	s_cbranch_vccz .LBB488_1974
; %bb.1965:
	v_lshlrev_b32_e32 v6, 16, v4
	v_and_b32_e32 v2, 0xffff, v4
	s_mov_b32 s1, exec_lo
                                        ; implicit-def: $vgpr5
	s_delay_alu instid0(VALU_DEP_2) | instskip(NEXT) | instid1(VALU_DEP_1)
	v_and_b32_e32 v7, 0x7fffffff, v6
	v_cmpx_gt_u32_e32 0x43f00000, v7
	s_xor_b32 s1, exec_lo, s1
	s_cbranch_execz .LBB488_1971
; %bb.1966:
	s_mov_b32 s2, exec_lo
                                        ; implicit-def: $vgpr5
	v_cmpx_lt_u32_e32 0x3c7fffff, v7
	s_xor_b32 s2, exec_lo, s2
; %bb.1967:
	v_bfe_u32 v5, v2, 4, 1
	s_delay_alu instid0(VALU_DEP_1) | instskip(NEXT) | instid1(VALU_DEP_1)
	v_add3_u32 v5, v6, v5, 0x407ffff
	v_and_b32_e32 v6, 0xff00000, v5
	v_lshrrev_b32_e32 v5, 20, v5
	s_delay_alu instid0(VALU_DEP_2) | instskip(NEXT) | instid1(VALU_DEP_2)
	v_cmp_ne_u32_e32 vcc_lo, 0x7f00000, v6
                                        ; implicit-def: $vgpr6
	v_cndmask_b32_e32 v5, 0x7e, v5, vcc_lo
; %bb.1968:
	s_and_not1_saveexec_b32 s2, s2
; %bb.1969:
	v_add_f32_e64 v5, 0x46800000, |v6|
; %bb.1970:
	s_or_b32 exec_lo, exec_lo, s2
                                        ; implicit-def: $vgpr7
.LBB488_1971:
	s_and_not1_saveexec_b32 s1, s1
; %bb.1972:
	v_mov_b32_e32 v5, 0x7f
	v_cmp_lt_u32_e32 vcc_lo, 0x7f800000, v7
	s_delay_alu instid0(VALU_DEP_2)
	v_cndmask_b32_e32 v5, 0x7e, v5, vcc_lo
; %bb.1973:
	s_or_b32 exec_lo, exec_lo, s1
	v_lshrrev_b32_e32 v2, 8, v2
	s_delay_alu instid0(VALU_DEP_1)
	v_and_or_b32 v2, 0x80, v2, v5
	global_store_b8 v[0:1], v2, off
.LBB488_1974:
	s_mov_b32 s1, 0
.LBB488_1975:
	s_delay_alu instid0(SALU_CYCLE_1)
	s_and_not1_b32 vcc_lo, exec_lo, s1
	s_cbranch_vccnz .LBB488_1985
; %bb.1976:
	v_lshlrev_b32_e32 v6, 16, v4
	v_and_b32_e32 v2, 0xffff, v4
	s_mov_b32 s1, exec_lo
                                        ; implicit-def: $vgpr5
	s_delay_alu instid0(VALU_DEP_2) | instskip(NEXT) | instid1(VALU_DEP_1)
	v_and_b32_e32 v7, 0x7fffffff, v6
	v_cmpx_gt_u32_e32 0x47800000, v7
	s_xor_b32 s1, exec_lo, s1
	s_cbranch_execz .LBB488_1982
; %bb.1977:
	s_mov_b32 s2, exec_lo
                                        ; implicit-def: $vgpr5
	v_cmpx_lt_u32_e32 0x387fffff, v7
	s_xor_b32 s2, exec_lo, s2
; %bb.1978:
	v_bfe_u32 v5, v2, 5, 1
	s_delay_alu instid0(VALU_DEP_1) | instskip(NEXT) | instid1(VALU_DEP_1)
	v_add3_u32 v5, v6, v5, 0x80fffff
                                        ; implicit-def: $vgpr6
	v_lshrrev_b32_e32 v5, 21, v5
; %bb.1979:
	s_and_not1_saveexec_b32 s2, s2
; %bb.1980:
	v_add_f32_e64 v5, 0x43000000, |v6|
; %bb.1981:
	s_or_b32 exec_lo, exec_lo, s2
                                        ; implicit-def: $vgpr7
.LBB488_1982:
	s_and_not1_saveexec_b32 s1, s1
; %bb.1983:
	v_mov_b32_e32 v5, 0x7f
	v_cmp_lt_u32_e32 vcc_lo, 0x7f800000, v7
	s_delay_alu instid0(VALU_DEP_2)
	v_cndmask_b32_e32 v5, 0x7c, v5, vcc_lo
; %bb.1984:
	s_or_b32 exec_lo, exec_lo, s1
	v_lshrrev_b32_e32 v2, 8, v2
	s_delay_alu instid0(VALU_DEP_1)
	v_and_or_b32 v2, 0x80, v2, v5
	global_store_b8 v[0:1], v2, off
.LBB488_1985:
	s_mov_b32 s1, 0
.LBB488_1986:
	s_delay_alu instid0(SALU_CYCLE_1)
	s_and_not1_b32 vcc_lo, exec_lo, s1
	s_mov_b32 s1, 0
	s_cbranch_vccnz .LBB488_1993
; %bb.1987:
	v_cmp_lt_i16_e32 vcc_lo, 14, v3
	s_mov_b32 s1, -1
	s_cbranch_vccz .LBB488_1991
; %bb.1988:
	v_cmp_eq_u16_e32 vcc_lo, 15, v3
	s_mov_b32 s0, -1
	s_cbranch_vccz .LBB488_1990
; %bb.1989:
	s_mov_b32 s0, 0
	global_store_b16 v[0:1], v4, off
.LBB488_1990:
	s_mov_b32 s1, 0
.LBB488_1991:
	s_delay_alu instid0(SALU_CYCLE_1)
	s_and_b32 vcc_lo, exec_lo, s1
	s_mov_b32 s1, 0
	s_cbranch_vccz .LBB488_1993
; %bb.1992:
	v_cmp_ne_u16_e64 s0, 11, v3
	s_mov_b32 s1, -1
.LBB488_1993:
	s_delay_alu instid0(VALU_DEP_1)
	s_and_b32 vcc_lo, exec_lo, s0
	s_cbranch_vccnz .LBB488_2071
.LBB488_1994:
	s_mov_b32 s0, 0
	s_branch .LBB488_1996
.LBB488_1995:
	s_mov_b32 s0, 0
	s_mov_b32 s1, 0
                                        ; implicit-def: $vgpr3
                                        ; implicit-def: $vgpr0_vgpr1
                                        ; implicit-def: $vgpr4
.LBB488_1996:
	s_and_not1_b32 s2, s13, exec_lo
	s_and_b32 s3, s11, exec_lo
	s_and_b32 s0, s0, exec_lo
	;; [unrolled: 1-line block ×3, first 2 shown]
	s_or_b32 s13, s2, s3
.LBB488_1997:
	s_or_b32 exec_lo, exec_lo, s12
	s_and_saveexec_b32 s1, s13
	s_cbranch_execz .LBB488_2000
; %bb.1998:
	; divergent unreachable
	s_or_b32 exec_lo, exec_lo, s1
	s_and_saveexec_b32 s1, s11
	s_delay_alu instid0(SALU_CYCLE_1)
	s_xor_b32 s1, exec_lo, s1
	s_cbranch_execnz .LBB488_2001
.LBB488_1999:
	s_or_b32 exec_lo, exec_lo, s1
	s_and_saveexec_b32 s1, s0
	s_cbranch_execnz .LBB488_2002
	s_branch .LBB488_2039
.LBB488_2000:
	s_or_b32 exec_lo, exec_lo, s1
	s_and_saveexec_b32 s1, s11
	s_delay_alu instid0(SALU_CYCLE_1)
	s_xor_b32 s1, exec_lo, s1
	s_cbranch_execz .LBB488_1999
.LBB488_2001:
	s_waitcnt vmcnt(0)
	v_and_b32_e32 v2, 0x7fff, v4
	s_delay_alu instid0(VALU_DEP_1)
	v_cmp_ne_u16_e32 vcc_lo, 0, v2
	v_cndmask_b32_e64 v2, 0, 1, vcc_lo
	global_store_b8 v[0:1], v2, off
	s_or_b32 exec_lo, exec_lo, s1
	s_and_saveexec_b32 s1, s0
	s_cbranch_execz .LBB488_2039
.LBB488_2002:
	s_waitcnt vmcnt(0)
	v_cmp_gt_i16_e32 vcc_lo, 5, v3
	s_mov_b32 s0, -1
	s_cbranch_vccnz .LBB488_2023
; %bb.2003:
	v_cmp_gt_i16_e32 vcc_lo, 8, v3
	s_cbranch_vccnz .LBB488_2013
; %bb.2004:
	v_cmp_gt_i16_e32 vcc_lo, 9, v3
	s_cbranch_vccnz .LBB488_2010
; %bb.2005:
	v_cmp_lt_i16_e32 vcc_lo, 9, v3
	s_cbranch_vccz .LBB488_2007
; %bb.2006:
	v_dual_mov_b32 v7, 0 :: v_dual_lshlrev_b32 v2, 16, v4
	s_mov_b32 s0, 0
	s_delay_alu instid0(VALU_DEP_1) | instskip(NEXT) | instid1(VALU_DEP_2)
	v_cvt_f64_f32_e32 v[5:6], v2
	v_mov_b32_e32 v8, v7
	global_store_b128 v[0:1], v[5:8], off
.LBB488_2007:
	s_and_not1_b32 vcc_lo, exec_lo, s0
	s_cbranch_vccnz .LBB488_2009
; %bb.2008:
	v_dual_mov_b32 v6, 0 :: v_dual_lshlrev_b32 v5, 16, v4
	global_store_b64 v[0:1], v[5:6], off
.LBB488_2009:
	s_mov_b32 s0, 0
.LBB488_2010:
	s_delay_alu instid0(SALU_CYCLE_1)
	s_and_not1_b32 vcc_lo, exec_lo, s0
	s_cbranch_vccnz .LBB488_2012
; %bb.2011:
	v_lshlrev_b32_e32 v2, 16, v4
	s_delay_alu instid0(VALU_DEP_1) | instskip(NEXT) | instid1(VALU_DEP_1)
	v_cvt_f16_f32_e32 v2, v2
	v_and_b32_e32 v2, 0xffff, v2
	global_store_b32 v[0:1], v2, off
.LBB488_2012:
	s_mov_b32 s0, 0
.LBB488_2013:
	s_delay_alu instid0(SALU_CYCLE_1)
	s_and_not1_b32 vcc_lo, exec_lo, s0
	s_cbranch_vccnz .LBB488_2022
; %bb.2014:
	v_cmp_gt_i16_e32 vcc_lo, 6, v3
	s_mov_b32 s0, -1
	s_cbranch_vccnz .LBB488_2020
; %bb.2015:
	v_cmp_lt_i16_e32 vcc_lo, 6, v3
	s_cbranch_vccz .LBB488_2017
; %bb.2016:
	v_lshlrev_b32_e32 v2, 16, v4
	s_mov_b32 s0, 0
	s_delay_alu instid0(VALU_DEP_1)
	v_cvt_f64_f32_e32 v[5:6], v2
	global_store_b64 v[0:1], v[5:6], off
.LBB488_2017:
	s_and_not1_b32 vcc_lo, exec_lo, s0
	s_cbranch_vccnz .LBB488_2019
; %bb.2018:
	v_lshlrev_b32_e32 v2, 16, v4
	global_store_b32 v[0:1], v2, off
.LBB488_2019:
	s_mov_b32 s0, 0
.LBB488_2020:
	s_delay_alu instid0(SALU_CYCLE_1)
	s_and_not1_b32 vcc_lo, exec_lo, s0
	s_cbranch_vccnz .LBB488_2022
; %bb.2021:
	v_lshlrev_b32_e32 v2, 16, v4
	s_delay_alu instid0(VALU_DEP_1)
	v_cvt_f16_f32_e32 v2, v2
	global_store_b16 v[0:1], v2, off
.LBB488_2022:
	s_mov_b32 s0, 0
.LBB488_2023:
	s_delay_alu instid0(SALU_CYCLE_1)
	s_and_not1_b32 vcc_lo, exec_lo, s0
	s_cbranch_vccnz .LBB488_2039
; %bb.2024:
	v_cmp_gt_i16_e32 vcc_lo, 2, v3
	s_mov_b32 s0, -1
	s_cbranch_vccnz .LBB488_2034
; %bb.2025:
	v_cmp_gt_i16_e32 vcc_lo, 3, v3
	s_cbranch_vccnz .LBB488_2031
; %bb.2026:
	v_cmp_lt_i16_e32 vcc_lo, 3, v3
	s_cbranch_vccz .LBB488_2028
; %bb.2027:
	v_lshlrev_b32_e32 v2, 16, v4
	s_mov_b32 s0, 0
	s_delay_alu instid0(VALU_DEP_1) | instskip(NEXT) | instid1(VALU_DEP_1)
	v_trunc_f32_e32 v2, v2
	v_mul_f32_e64 v5, 0x2f800000, |v2|
	s_delay_alu instid0(VALU_DEP_1) | instskip(NEXT) | instid1(VALU_DEP_1)
	v_floor_f32_e32 v5, v5
	v_fma_f32 v6, 0xcf800000, v5, |v2|
	v_ashrrev_i32_e32 v2, 31, v2
	v_cvt_u32_f32_e32 v5, v5
	s_delay_alu instid0(VALU_DEP_3) | instskip(NEXT) | instid1(VALU_DEP_2)
	v_cvt_u32_f32_e32 v6, v6
	v_xor_b32_e32 v7, v5, v2
	s_delay_alu instid0(VALU_DEP_2) | instskip(NEXT) | instid1(VALU_DEP_1)
	v_xor_b32_e32 v6, v6, v2
	v_sub_co_u32 v5, vcc_lo, v6, v2
	s_delay_alu instid0(VALU_DEP_3)
	v_sub_co_ci_u32_e32 v6, vcc_lo, v7, v2, vcc_lo
	global_store_b64 v[0:1], v[5:6], off
.LBB488_2028:
	s_and_not1_b32 vcc_lo, exec_lo, s0
	s_cbranch_vccnz .LBB488_2030
; %bb.2029:
	v_lshlrev_b32_e32 v2, 16, v4
	s_delay_alu instid0(VALU_DEP_1)
	v_cvt_i32_f32_e32 v2, v2
	global_store_b32 v[0:1], v2, off
.LBB488_2030:
	s_mov_b32 s0, 0
.LBB488_2031:
	s_delay_alu instid0(SALU_CYCLE_1)
	s_and_not1_b32 vcc_lo, exec_lo, s0
	s_cbranch_vccnz .LBB488_2033
; %bb.2032:
	v_lshlrev_b32_e32 v2, 16, v4
	s_delay_alu instid0(VALU_DEP_1)
	v_cvt_i32_f32_e32 v2, v2
	global_store_b16 v[0:1], v2, off
.LBB488_2033:
	s_mov_b32 s0, 0
.LBB488_2034:
	s_delay_alu instid0(SALU_CYCLE_1)
	s_and_not1_b32 vcc_lo, exec_lo, s0
	s_cbranch_vccnz .LBB488_2039
; %bb.2035:
	v_cmp_lt_i16_e32 vcc_lo, 0, v3
	v_lshlrev_b32_e32 v2, 16, v4
	s_mov_b32 s0, -1
	s_cbranch_vccz .LBB488_2037
; %bb.2036:
	s_delay_alu instid0(VALU_DEP_1)
	v_cvt_i32_f32_e32 v3, v2
	s_mov_b32 s0, 0
	global_store_b8 v[0:1], v3, off
.LBB488_2037:
	s_and_not1_b32 vcc_lo, exec_lo, s0
	s_cbranch_vccnz .LBB488_2039
; %bb.2038:
	v_trunc_f32_e32 v2, v2
	s_delay_alu instid0(VALU_DEP_1) | instskip(NEXT) | instid1(VALU_DEP_1)
	v_mul_f32_e64 v3, 0x2f800000, |v2|
	v_floor_f32_e32 v3, v3
	s_delay_alu instid0(VALU_DEP_1) | instskip(SKIP_1) | instid1(VALU_DEP_2)
	v_fma_f32 v3, 0xcf800000, v3, |v2|
	v_ashrrev_i32_e32 v2, 31, v2
	v_cvt_u32_f32_e32 v3, v3
	s_delay_alu instid0(VALU_DEP_1) | instskip(NEXT) | instid1(VALU_DEP_1)
	v_xor_b32_e32 v3, v3, v2
	v_sub_nc_u32_e32 v2, v3, v2
	global_store_b8 v[0:1], v2, off
	s_nop 0
	s_sendmsg sendmsg(MSG_DEALLOC_VGPRS)
	s_endpgm
.LBB488_2039:
	s_nop 0
	s_sendmsg sendmsg(MSG_DEALLOC_VGPRS)
	s_endpgm
.LBB488_2040:
	s_mov_b32 s1, 0
	s_mov_b32 s0, -1
	s_branch .LBB488_1996
.LBB488_2041:
	s_cbranch_execnz .LBB488_2045
; %bb.2042:
	s_or_b32 s11, s11, exec_lo
                                        ; implicit-def: $vgpr7
	s_cbranch_execz .LBB488_1510
	s_branch .LBB488_1511
.LBB488_2043:
	s_or_saveexec_b32 s9, s9
                                        ; implicit-def: $sgpr10
	s_delay_alu instid0(SALU_CYCLE_1)
	s_xor_b32 exec_lo, exec_lo, s9
	s_cbranch_execz .LBB488_1590
.LBB488_2044:
	v_add_f32_e64 v9, 0x46000000, |v10|
	s_and_not1_b32 s7, s7, exec_lo
	s_mov_b32 s10, 0
	s_delay_alu instid0(VALU_DEP_1) | instskip(NEXT) | instid1(VALU_DEP_1)
	v_and_b32_e32 v9, 0xff, v9
	v_cmp_ne_u32_e32 vcc_lo, 0, v9
	s_and_b32 s14, vcc_lo, exec_lo
	s_delay_alu instid0(SALU_CYCLE_1)
	s_or_b32 s7, s7, s14
	s_or_b32 exec_lo, exec_lo, s9
	v_mov_b32_e32 v11, s10
	s_and_saveexec_b32 s9, s7
	s_cbranch_execnz .LBB488_1591
	s_branch .LBB488_1592
.LBB488_2045:
	s_trap 2
	s_sendmsg_rtn_b32 s0, sendmsg(MSG_RTN_GET_DOORBELL)
	s_mov_b32 ttmp2, m0
	s_waitcnt lgkmcnt(0)
	s_and_b32 s0, s0, 0x3ff
	s_delay_alu instid0(SALU_CYCLE_1) | instskip(NEXT) | instid1(SALU_CYCLE_1)
	s_bitset1_b32 s0, 10
	s_mov_b32 m0, s0
	s_sendmsg sendmsg(MSG_INTERRUPT)
	s_mov_b32 m0, ttmp2
.LBB488_2046:                           ; =>This Inner Loop Header: Depth=1
	s_sethalt 5
	s_branch .LBB488_2046
.LBB488_2047:
	s_cbranch_execnz .LBB488_2053
; %bb.2048:
	s_or_b32 s11, s11, exec_lo
	s_cbranch_execz .LBB488_1638
	s_branch .LBB488_1639
.LBB488_2049:
	s_or_saveexec_b32 s7, s7
                                        ; implicit-def: $sgpr9
	s_delay_alu instid0(SALU_CYCLE_1)
	s_xor_b32 exec_lo, exec_lo, s7
	s_cbranch_execz .LBB488_1603
.LBB488_2050:
	v_add_f32_e64 v9, 0x42800000, |v10|
	s_and_not1_b32 s6, s6, exec_lo
	s_mov_b32 s9, 0
	s_delay_alu instid0(VALU_DEP_1) | instskip(NEXT) | instid1(VALU_DEP_1)
	v_and_b32_e32 v9, 0xff, v9
	v_cmp_ne_u32_e32 vcc_lo, 0, v9
	s_and_b32 s10, vcc_lo, exec_lo
	s_delay_alu instid0(SALU_CYCLE_1)
	s_or_b32 s6, s6, s10
	s_or_b32 exec_lo, exec_lo, s7
	v_mov_b32_e32 v11, s9
	s_and_saveexec_b32 s7, s6
	s_cbranch_execnz .LBB488_1604
	s_branch .LBB488_1605
.LBB488_2051:
	s_or_saveexec_b32 s9, s9
                                        ; implicit-def: $sgpr10
	s_delay_alu instid0(SALU_CYCLE_1)
	s_xor_b32 exec_lo, exec_lo, s9
	s_cbranch_execz .LBB488_1709
.LBB488_2052:
	v_add_f32_e64 v8, 0x46000000, |v9|
	s_and_not1_b32 s7, s7, exec_lo
	s_mov_b32 s10, 0
	s_delay_alu instid0(VALU_DEP_1) | instskip(NEXT) | instid1(VALU_DEP_1)
	v_and_b32_e32 v8, 0xff, v8
	v_cmp_ne_u32_e32 vcc_lo, 0, v8
	s_and_b32 s14, vcc_lo, exec_lo
	s_delay_alu instid0(SALU_CYCLE_1)
	s_or_b32 s7, s7, s14
	s_or_b32 exec_lo, exec_lo, s9
	v_mov_b32_e32 v10, s10
	s_and_saveexec_b32 s9, s7
	s_cbranch_execnz .LBB488_1710
	s_branch .LBB488_1711
.LBB488_2053:
	s_trap 2
	s_sendmsg_rtn_b32 s0, sendmsg(MSG_RTN_GET_DOORBELL)
	s_mov_b32 ttmp2, m0
	s_waitcnt lgkmcnt(0)
	s_and_b32 s0, s0, 0x3ff
	s_delay_alu instid0(SALU_CYCLE_1) | instskip(NEXT) | instid1(SALU_CYCLE_1)
	s_bitset1_b32 s0, 10
	s_mov_b32 m0, s0
	s_sendmsg sendmsg(MSG_INTERRUPT)
	s_mov_b32 m0, ttmp2
.LBB488_2054:                           ; =>This Inner Loop Header: Depth=1
	s_sethalt 5
	s_branch .LBB488_2054
.LBB488_2055:
	s_cbranch_execnz .LBB488_2061
; %bb.2056:
	s_or_b32 s11, s11, exec_lo
	s_cbranch_execz .LBB488_1757
	s_branch .LBB488_1758
.LBB488_2057:
	s_or_saveexec_b32 s7, s7
                                        ; implicit-def: $sgpr9
	s_delay_alu instid0(SALU_CYCLE_1)
	s_xor_b32 exec_lo, exec_lo, s7
	s_cbranch_execz .LBB488_1722
.LBB488_2058:
	v_add_f32_e64 v8, 0x42800000, |v9|
	s_and_not1_b32 s6, s6, exec_lo
	s_mov_b32 s9, 0
	s_delay_alu instid0(VALU_DEP_1) | instskip(NEXT) | instid1(VALU_DEP_1)
	v_and_b32_e32 v8, 0xff, v8
	v_cmp_ne_u32_e32 vcc_lo, 0, v8
	s_and_b32 s10, vcc_lo, exec_lo
	s_delay_alu instid0(SALU_CYCLE_1)
	s_or_b32 s6, s6, s10
	s_or_b32 exec_lo, exec_lo, s7
	v_mov_b32_e32 v10, s9
	s_and_saveexec_b32 s7, s6
	s_cbranch_execnz .LBB488_1723
	s_branch .LBB488_1724
.LBB488_2059:
	s_or_saveexec_b32 s9, s9
                                        ; implicit-def: $sgpr10
	s_delay_alu instid0(SALU_CYCLE_1)
	s_xor_b32 exec_lo, exec_lo, s9
	s_cbranch_execz .LBB488_1828
.LBB488_2060:
	v_add_f32_e64 v6, 0x46000000, |v8|
	s_and_not1_b32 s7, s7, exec_lo
	s_mov_b32 s10, 0
	s_delay_alu instid0(VALU_DEP_1) | instskip(NEXT) | instid1(VALU_DEP_1)
	v_and_b32_e32 v6, 0xff, v6
	v_cmp_ne_u32_e32 vcc_lo, 0, v6
	s_and_b32 s14, vcc_lo, exec_lo
	s_delay_alu instid0(SALU_CYCLE_1)
	s_or_b32 s7, s7, s14
	s_or_b32 exec_lo, exec_lo, s9
	v_mov_b32_e32 v9, s10
	s_and_saveexec_b32 s9, s7
	s_cbranch_execnz .LBB488_1829
	s_branch .LBB488_1830
.LBB488_2061:
	s_trap 2
	s_sendmsg_rtn_b32 s0, sendmsg(MSG_RTN_GET_DOORBELL)
	s_mov_b32 ttmp2, m0
	s_waitcnt lgkmcnt(0)
	s_and_b32 s0, s0, 0x3ff
	s_delay_alu instid0(SALU_CYCLE_1) | instskip(NEXT) | instid1(SALU_CYCLE_1)
	s_bitset1_b32 s0, 10
	s_mov_b32 m0, s0
	s_sendmsg sendmsg(MSG_INTERRUPT)
	s_mov_b32 m0, ttmp2
.LBB488_2062:                           ; =>This Inner Loop Header: Depth=1
	s_sethalt 5
	s_branch .LBB488_2062
.LBB488_2063:
	s_cbranch_execnz .LBB488_2069
; %bb.2064:
	s_or_b32 s11, s11, exec_lo
	s_cbranch_execz .LBB488_1876
	s_branch .LBB488_1877
.LBB488_2065:
	s_or_saveexec_b32 s7, s7
                                        ; implicit-def: $sgpr9
	s_delay_alu instid0(SALU_CYCLE_1)
	s_xor_b32 exec_lo, exec_lo, s7
	s_cbranch_execz .LBB488_1841
.LBB488_2066:
	v_add_f32_e64 v6, 0x42800000, |v8|
	s_and_not1_b32 s6, s6, exec_lo
	s_mov_b32 s9, 0
	s_delay_alu instid0(VALU_DEP_1) | instskip(NEXT) | instid1(VALU_DEP_1)
	v_and_b32_e32 v6, 0xff, v6
	v_cmp_ne_u32_e32 vcc_lo, 0, v6
	s_and_b32 s10, vcc_lo, exec_lo
	s_delay_alu instid0(SALU_CYCLE_1)
	s_or_b32 s6, s6, s10
	s_or_b32 exec_lo, exec_lo, s7
	v_mov_b32_e32 v9, s9
	s_and_saveexec_b32 s7, s6
	s_cbranch_execnz .LBB488_1842
	s_branch .LBB488_1843
.LBB488_2067:
	s_or_saveexec_b32 s4, s4
                                        ; implicit-def: $sgpr5
	s_delay_alu instid0(SALU_CYCLE_1)
	s_xor_b32 exec_lo, exec_lo, s4
	s_cbranch_execz .LBB488_1948
.LBB488_2068:
	v_add_f32_e64 v5, 0x46000000, |v6|
	s_and_not1_b32 s3, s3, exec_lo
	s_mov_b32 s5, 0
	s_delay_alu instid0(VALU_DEP_1) | instskip(NEXT) | instid1(VALU_DEP_1)
	v_and_b32_e32 v5, 0xff, v5
	v_cmp_ne_u32_e32 vcc_lo, 0, v5
	s_and_b32 s6, vcc_lo, exec_lo
	s_delay_alu instid0(SALU_CYCLE_1)
	s_or_b32 s3, s3, s6
	s_or_b32 exec_lo, exec_lo, s4
	v_mov_b32_e32 v7, s5
	s_and_saveexec_b32 s4, s3
	s_cbranch_execnz .LBB488_1949
	s_branch .LBB488_1950
.LBB488_2069:
	s_trap 2
	s_sendmsg_rtn_b32 s0, sendmsg(MSG_RTN_GET_DOORBELL)
	s_mov_b32 ttmp2, m0
	s_waitcnt lgkmcnt(0)
	s_and_b32 s0, s0, 0x3ff
	s_delay_alu instid0(SALU_CYCLE_1) | instskip(NEXT) | instid1(SALU_CYCLE_1)
	s_bitset1_b32 s0, 10
	s_mov_b32 m0, s0
	s_sendmsg sendmsg(MSG_INTERRUPT)
	s_mov_b32 m0, ttmp2
.LBB488_2070:                           ; =>This Inner Loop Header: Depth=1
	s_sethalt 5
	s_branch .LBB488_2070
.LBB488_2071:
	s_cbranch_execnz .LBB488_2075
; %bb.2072:
	s_mov_b32 s1, 0
	s_or_b32 s11, s11, exec_lo
	s_branch .LBB488_1994
.LBB488_2073:
	s_or_saveexec_b32 s3, s3
                                        ; implicit-def: $sgpr4
	s_delay_alu instid0(SALU_CYCLE_1)
	s_xor_b32 exec_lo, exec_lo, s3
	s_cbranch_execz .LBB488_1960
.LBB488_2074:
	v_add_f32_e64 v5, 0x42800000, |v6|
	s_and_not1_b32 s2, s2, exec_lo
	s_mov_b32 s4, 0
	s_delay_alu instid0(VALU_DEP_1) | instskip(NEXT) | instid1(VALU_DEP_1)
	v_and_b32_e32 v5, 0xff, v5
	v_cmp_ne_u32_e32 vcc_lo, 0, v5
	s_and_b32 s5, vcc_lo, exec_lo
	s_delay_alu instid0(SALU_CYCLE_1)
	s_or_b32 s2, s2, s5
	s_or_b32 exec_lo, exec_lo, s3
	v_mov_b32_e32 v7, s4
	s_and_saveexec_b32 s3, s2
	s_cbranch_execnz .LBB488_1961
	s_branch .LBB488_1962
.LBB488_2075:
	s_trap 2
	s_sendmsg_rtn_b32 s0, sendmsg(MSG_RTN_GET_DOORBELL)
	s_mov_b32 ttmp2, m0
	s_waitcnt lgkmcnt(0)
	s_and_b32 s0, s0, 0x3ff
	s_delay_alu instid0(SALU_CYCLE_1) | instskip(NEXT) | instid1(SALU_CYCLE_1)
	s_bitset1_b32 s0, 10
	s_mov_b32 m0, s0
	s_sendmsg sendmsg(MSG_INTERRUPT)
	s_mov_b32 m0, ttmp2
.LBB488_2076:                           ; =>This Inner Loop Header: Depth=1
	s_sethalt 5
	s_branch .LBB488_2076
	.section	.rodata,"a",@progbits
	.p2align	6, 0x0
	.amdhsa_kernel _ZN2at6native32elementwise_kernel_manual_unrollILi128ELi4EZNS0_15gpu_kernel_implIZZZNS0_21clamp_max_kernel_cudaERNS_18TensorIteratorBaseERKN3c106ScalarEENKUlvE_clEvENKUlvE7_clEvEUlNS5_8BFloat16EE_EEvS4_RKT_EUlibE_EEviT1_
		.amdhsa_group_segment_fixed_size 0
		.amdhsa_private_segment_fixed_size 0
		.amdhsa_kernarg_size 40
		.amdhsa_user_sgpr_count 15
		.amdhsa_user_sgpr_dispatch_ptr 0
		.amdhsa_user_sgpr_queue_ptr 0
		.amdhsa_user_sgpr_kernarg_segment_ptr 1
		.amdhsa_user_sgpr_dispatch_id 0
		.amdhsa_user_sgpr_private_segment_size 0
		.amdhsa_wavefront_size32 1
		.amdhsa_uses_dynamic_stack 0
		.amdhsa_enable_private_segment 0
		.amdhsa_system_sgpr_workgroup_id_x 1
		.amdhsa_system_sgpr_workgroup_id_y 0
		.amdhsa_system_sgpr_workgroup_id_z 0
		.amdhsa_system_sgpr_workgroup_info 0
		.amdhsa_system_vgpr_workitem_id 0
		.amdhsa_next_free_vgpr 12
		.amdhsa_next_free_sgpr 28
		.amdhsa_reserve_vcc 1
		.amdhsa_float_round_mode_32 0
		.amdhsa_float_round_mode_16_64 0
		.amdhsa_float_denorm_mode_32 3
		.amdhsa_float_denorm_mode_16_64 3
		.amdhsa_dx10_clamp 1
		.amdhsa_ieee_mode 1
		.amdhsa_fp16_overflow 0
		.amdhsa_workgroup_processor_mode 1
		.amdhsa_memory_ordered 1
		.amdhsa_forward_progress 0
		.amdhsa_shared_vgpr_count 0
		.amdhsa_exception_fp_ieee_invalid_op 0
		.amdhsa_exception_fp_denorm_src 0
		.amdhsa_exception_fp_ieee_div_zero 0
		.amdhsa_exception_fp_ieee_overflow 0
		.amdhsa_exception_fp_ieee_underflow 0
		.amdhsa_exception_fp_ieee_inexact 0
		.amdhsa_exception_int_div_zero 0
	.end_amdhsa_kernel
	.section	.text._ZN2at6native32elementwise_kernel_manual_unrollILi128ELi4EZNS0_15gpu_kernel_implIZZZNS0_21clamp_max_kernel_cudaERNS_18TensorIteratorBaseERKN3c106ScalarEENKUlvE_clEvENKUlvE7_clEvEUlNS5_8BFloat16EE_EEvS4_RKT_EUlibE_EEviT1_,"axG",@progbits,_ZN2at6native32elementwise_kernel_manual_unrollILi128ELi4EZNS0_15gpu_kernel_implIZZZNS0_21clamp_max_kernel_cudaERNS_18TensorIteratorBaseERKN3c106ScalarEENKUlvE_clEvENKUlvE7_clEvEUlNS5_8BFloat16EE_EEvS4_RKT_EUlibE_EEviT1_,comdat
.Lfunc_end488:
	.size	_ZN2at6native32elementwise_kernel_manual_unrollILi128ELi4EZNS0_15gpu_kernel_implIZZZNS0_21clamp_max_kernel_cudaERNS_18TensorIteratorBaseERKN3c106ScalarEENKUlvE_clEvENKUlvE7_clEvEUlNS5_8BFloat16EE_EEvS4_RKT_EUlibE_EEviT1_, .Lfunc_end488-_ZN2at6native32elementwise_kernel_manual_unrollILi128ELi4EZNS0_15gpu_kernel_implIZZZNS0_21clamp_max_kernel_cudaERNS_18TensorIteratorBaseERKN3c106ScalarEENKUlvE_clEvENKUlvE7_clEvEUlNS5_8BFloat16EE_EEvS4_RKT_EUlibE_EEviT1_
                                        ; -- End function
	.section	.AMDGPU.csdata,"",@progbits
; Kernel info:
; codeLenInByte = 44576
; NumSgprs: 30
; NumVgprs: 12
; ScratchSize: 0
; MemoryBound: 0
; FloatMode: 240
; IeeeMode: 1
; LDSByteSize: 0 bytes/workgroup (compile time only)
; SGPRBlocks: 3
; VGPRBlocks: 1
; NumSGPRsForWavesPerEU: 30
; NumVGPRsForWavesPerEU: 12
; Occupancy: 16
; WaveLimiterHint : 0
; COMPUTE_PGM_RSRC2:SCRATCH_EN: 0
; COMPUTE_PGM_RSRC2:USER_SGPR: 15
; COMPUTE_PGM_RSRC2:TRAP_HANDLER: 0
; COMPUTE_PGM_RSRC2:TGID_X_EN: 1
; COMPUTE_PGM_RSRC2:TGID_Y_EN: 0
; COMPUTE_PGM_RSRC2:TGID_Z_EN: 0
; COMPUTE_PGM_RSRC2:TIDIG_COMP_CNT: 0
	.section	.text._ZN2at6native32elementwise_kernel_manual_unrollILi128ELi4EZNS0_15gpu_kernel_implIZZZNS0_21clamp_max_kernel_cudaERNS_18TensorIteratorBaseERKN3c106ScalarEENKUlvE_clEvENKUlvE7_clEvEUlNS5_8BFloat16EE_EEvS4_RKT_EUlibE0_EEviT1_,"axG",@progbits,_ZN2at6native32elementwise_kernel_manual_unrollILi128ELi4EZNS0_15gpu_kernel_implIZZZNS0_21clamp_max_kernel_cudaERNS_18TensorIteratorBaseERKN3c106ScalarEENKUlvE_clEvENKUlvE7_clEvEUlNS5_8BFloat16EE_EEvS4_RKT_EUlibE0_EEviT1_,comdat
	.globl	_ZN2at6native32elementwise_kernel_manual_unrollILi128ELi4EZNS0_15gpu_kernel_implIZZZNS0_21clamp_max_kernel_cudaERNS_18TensorIteratorBaseERKN3c106ScalarEENKUlvE_clEvENKUlvE7_clEvEUlNS5_8BFloat16EE_EEvS4_RKT_EUlibE0_EEviT1_ ; -- Begin function _ZN2at6native32elementwise_kernel_manual_unrollILi128ELi4EZNS0_15gpu_kernel_implIZZZNS0_21clamp_max_kernel_cudaERNS_18TensorIteratorBaseERKN3c106ScalarEENKUlvE_clEvENKUlvE7_clEvEUlNS5_8BFloat16EE_EEvS4_RKT_EUlibE0_EEviT1_
	.p2align	8
	.type	_ZN2at6native32elementwise_kernel_manual_unrollILi128ELi4EZNS0_15gpu_kernel_implIZZZNS0_21clamp_max_kernel_cudaERNS_18TensorIteratorBaseERKN3c106ScalarEENKUlvE_clEvENKUlvE7_clEvEUlNS5_8BFloat16EE_EEvS4_RKT_EUlibE0_EEviT1_,@function
_ZN2at6native32elementwise_kernel_manual_unrollILi128ELi4EZNS0_15gpu_kernel_implIZZZNS0_21clamp_max_kernel_cudaERNS_18TensorIteratorBaseERKN3c106ScalarEENKUlvE_clEvENKUlvE7_clEvEUlNS5_8BFloat16EE_EEvS4_RKT_EUlibE0_EEviT1_: ; @_ZN2at6native32elementwise_kernel_manual_unrollILi128ELi4EZNS0_15gpu_kernel_implIZZZNS0_21clamp_max_kernel_cudaERNS_18TensorIteratorBaseERKN3c106ScalarEENKUlvE_clEvENKUlvE7_clEvEUlNS5_8BFloat16EE_EEvS4_RKT_EUlibE0_EEviT1_
; %bb.0:
	s_clause 0x1
	s_load_b32 s24, s[0:1], 0x8
	s_load_b32 s35, s[0:1], 0x0
	v_lshl_or_b32 v4, s15, 9, v0
	s_or_b32 s16, s0, 8
	s_mov_b32 s3, -1
	s_mov_b32 s26, 0
	s_mov_b32 s17, s1
	v_or_b32_e32 v8, 0x180, v4
	s_mov_b32 s8, 0
	s_mov_b32 s2, exec_lo
	s_waitcnt lgkmcnt(0)
	s_add_i32 s25, s24, -1
	s_delay_alu instid0(SALU_CYCLE_1)
	s_cmp_gt_u32 s25, 1
	s_cselect_b32 s27, -1, 0
	v_cmpx_le_i32_e64 s35, v8
	s_xor_b32 s28, exec_lo, s2
	s_cbranch_execz .LBB489_1080
; %bb.1:
	s_clause 0x5
	s_load_b32 s2, s[0:1], 0x160
	s_load_b128 s[12:15], s[16:17], 0x4
	s_load_b32 s29, s[16:17], 0x158
	s_load_b128 s[4:7], s[16:17], 0x148
	s_load_b64 s[18:19], s[16:17], 0x14
	s_load_b128 s[8:11], s[16:17], 0xc4
	s_cmp_lg_u32 s24, 0
	s_mov_b32 s41, 0
	s_cselect_b32 s37, -1, 0
	s_add_u32 s20, s16, 0xc4
	s_addc_u32 s21, s17, 0
	s_min_u32 s36, s25, 15
	s_cmp_gt_u32 s24, 1
	s_mov_b32 s39, 0
	s_cselect_b32 s34, -1, 0
	s_mov_b32 s38, 0
	s_mov_b32 s40, exec_lo
	s_waitcnt lgkmcnt(0)
	s_lshr_b32 s30, s2, 16
	s_lshr_b32 s33, s2, 24
	s_lshl_b32 s31, s29, 16
	v_cmpx_gt_i32_e64 s35, v4
	s_cbranch_execz .LBB489_265
; %bb.2:
	s_and_not1_b32 vcc_lo, exec_lo, s27
	s_cbranch_vccnz .LBB489_7
; %bb.3:
	v_dual_mov_b32 v0, 0 :: v_dual_mov_b32 v1, 0
	s_and_not1_b32 vcc_lo, exec_lo, s37
	s_cbranch_vccnz .LBB489_12
; %bb.4:
	v_mov_b32_e32 v0, 0
	s_add_i32 s42, s36, 1
	s_cmp_eq_u32 s25, 2
	s_cbranch_scc1 .LBB489_8
; %bb.5:
	v_dual_mov_b32 v1, 0 :: v_dual_mov_b32 v0, 0
	v_mov_b32_e32 v2, v4
	s_and_b32 s39, s42, 28
	s_mov_b32 s43, 0
	s_mov_b64 s[2:3], s[20:21]
	s_mov_b64 s[22:23], s[16:17]
.LBB489_6:                              ; =>This Inner Loop Header: Depth=1
	s_clause 0x1
	s_load_b256 s[44:51], s[22:23], 0x4
	s_load_b128 s[60:63], s[22:23], 0x24
	s_load_b256 s[52:59], s[2:3], 0x0
	s_add_u32 s22, s22, 48
	s_addc_u32 s23, s23, 0
	s_add_i32 s43, s43, 4
	s_add_u32 s2, s2, 32
	s_addc_u32 s3, s3, 0
	s_cmp_lg_u32 s39, s43
	s_waitcnt lgkmcnt(0)
	v_mul_hi_u32 v3, s45, v2
	s_delay_alu instid0(VALU_DEP_1) | instskip(NEXT) | instid1(VALU_DEP_1)
	v_add_nc_u32_e32 v3, v2, v3
	v_lshrrev_b32_e32 v3, s46, v3
	s_delay_alu instid0(VALU_DEP_1) | instskip(SKIP_1) | instid1(VALU_DEP_2)
	v_mul_hi_u32 v5, s48, v3
	v_mul_lo_u32 v7, v3, s44
	v_add_nc_u32_e32 v5, v3, v5
	s_delay_alu instid0(VALU_DEP_2) | instskip(NEXT) | instid1(VALU_DEP_2)
	v_sub_nc_u32_e32 v2, v2, v7
	v_lshrrev_b32_e32 v5, s49, v5
	s_delay_alu instid0(VALU_DEP_2) | instskip(SKIP_1) | instid1(VALU_DEP_3)
	v_mul_lo_u32 v7, v2, s52
	v_mul_lo_u32 v9, v2, s53
	v_mul_hi_u32 v6, s51, v5
	s_delay_alu instid0(VALU_DEP_1) | instskip(NEXT) | instid1(VALU_DEP_1)
	v_add_nc_u32_e32 v6, v5, v6
	v_lshrrev_b32_e32 v6, s60, v6
	s_delay_alu instid0(VALU_DEP_1) | instskip(SKIP_1) | instid1(VALU_DEP_2)
	v_mul_hi_u32 v8, s62, v6
	v_mul_lo_u32 v10, v6, s50
	v_add_nc_u32_e32 v2, v6, v8
	v_mul_lo_u32 v8, v5, s47
	s_delay_alu instid0(VALU_DEP_3) | instskip(NEXT) | instid1(VALU_DEP_3)
	v_sub_nc_u32_e32 v5, v5, v10
	v_lshrrev_b32_e32 v2, s63, v2
	s_delay_alu instid0(VALU_DEP_2) | instskip(SKIP_2) | instid1(VALU_DEP_4)
	v_mul_lo_u32 v10, v5, s56
	v_mul_lo_u32 v5, v5, s57
	v_sub_nc_u32_e32 v3, v3, v8
	v_mul_lo_u32 v11, v2, s61
	s_delay_alu instid0(VALU_DEP_2) | instskip(SKIP_1) | instid1(VALU_DEP_3)
	v_mul_lo_u32 v8, v3, s54
	v_mul_lo_u32 v3, v3, s55
	v_sub_nc_u32_e32 v6, v6, v11
	s_delay_alu instid0(VALU_DEP_3) | instskip(NEXT) | instid1(VALU_DEP_2)
	v_add3_u32 v0, v7, v0, v8
	v_mul_lo_u32 v11, v6, s58
	v_mul_lo_u32 v6, v6, s59
	v_add3_u32 v1, v9, v1, v3
	s_delay_alu instid0(VALU_DEP_3) | instskip(NEXT) | instid1(VALU_DEP_2)
	v_add3_u32 v0, v10, v0, v11
	v_add3_u32 v1, v5, v1, v6
	s_cbranch_scc1 .LBB489_6
	s_branch .LBB489_9
.LBB489_7:
	s_mov_b32 s38, -1
                                        ; implicit-def: $vgpr0
                                        ; implicit-def: $vgpr1
	s_branch .LBB489_12
.LBB489_8:
	v_dual_mov_b32 v2, v4 :: v_dual_mov_b32 v1, 0
.LBB489_9:
	s_and_b32 s42, s42, 3
	s_delay_alu instid0(SALU_CYCLE_1)
	s_cmp_eq_u32 s42, 0
	s_cbranch_scc1 .LBB489_12
; %bb.10:
	s_lshl_b32 s2, s39, 3
	s_mul_i32 s22, s39, 12
	s_add_u32 s2, s2, s16
	s_addc_u32 s3, s17, 0
	s_add_u32 s2, s2, 0xc4
	s_addc_u32 s3, s3, 0
	;; [unrolled: 2-line block ×3, first 2 shown]
	.p2align	6
.LBB489_11:                             ; =>This Inner Loop Header: Depth=1
	s_clause 0x1
	s_load_b64 s[44:45], s[22:23], 0x4
	s_load_b32 s39, s[22:23], 0xc
	s_load_b64 s[46:47], s[2:3], 0x0
	s_add_u32 s22, s22, 12
	s_addc_u32 s23, s23, 0
	s_add_u32 s2, s2, 8
	s_addc_u32 s3, s3, 0
	s_add_i32 s42, s42, -1
	s_delay_alu instid0(SALU_CYCLE_1) | instskip(SKIP_2) | instid1(VALU_DEP_1)
	s_cmp_lg_u32 s42, 0
	s_waitcnt lgkmcnt(0)
	v_mul_hi_u32 v3, s45, v2
	v_add_nc_u32_e32 v3, v2, v3
	s_delay_alu instid0(VALU_DEP_1) | instskip(NEXT) | instid1(VALU_DEP_1)
	v_lshrrev_b32_e32 v3, s39, v3
	v_mul_lo_u32 v5, v3, s44
	s_delay_alu instid0(VALU_DEP_1) | instskip(NEXT) | instid1(VALU_DEP_1)
	v_sub_nc_u32_e32 v2, v2, v5
	v_mad_u64_u32 v[5:6], null, v2, s46, v[0:1]
	v_mad_u64_u32 v[6:7], null, v2, s47, v[1:2]
	v_mov_b32_e32 v2, v3
	s_delay_alu instid0(VALU_DEP_2)
	v_dual_mov_b32 v0, v5 :: v_dual_mov_b32 v1, v6
	s_cbranch_scc1 .LBB489_11
.LBB489_12:
	s_and_not1_b32 vcc_lo, exec_lo, s38
	s_cbranch_vccnz .LBB489_15
; %bb.13:
	v_mul_hi_u32 v0, s13, v4
	s_and_not1_b32 vcc_lo, exec_lo, s34
	s_delay_alu instid0(VALU_DEP_1) | instskip(NEXT) | instid1(VALU_DEP_1)
	v_add_nc_u32_e32 v0, v4, v0
	v_lshrrev_b32_e32 v2, s14, v0
	s_delay_alu instid0(VALU_DEP_1) | instskip(NEXT) | instid1(VALU_DEP_1)
	v_mul_lo_u32 v0, v2, s12
	v_sub_nc_u32_e32 v1, v4, v0
	s_delay_alu instid0(VALU_DEP_1)
	v_mul_lo_u32 v0, v1, s8
	v_mul_lo_u32 v1, v1, s9
	s_cbranch_vccnz .LBB489_15
; %bb.14:
	v_mul_hi_u32 v3, s18, v2
	s_delay_alu instid0(VALU_DEP_1) | instskip(NEXT) | instid1(VALU_DEP_1)
	v_add_nc_u32_e32 v3, v2, v3
	v_lshrrev_b32_e32 v3, s19, v3
	s_delay_alu instid0(VALU_DEP_1) | instskip(NEXT) | instid1(VALU_DEP_1)
	v_mul_lo_u32 v3, v3, s15
	v_sub_nc_u32_e32 v7, v2, v3
	s_delay_alu instid0(VALU_DEP_1) | instskip(NEXT) | instid1(VALU_DEP_1)
	v_mad_u64_u32 v[2:3], null, v7, s10, v[0:1]
	v_mad_u64_u32 v[5:6], null, v7, s11, v[1:2]
	s_delay_alu instid0(VALU_DEP_1)
	v_dual_mov_b32 v0, v2 :: v_dual_mov_b32 v1, v5
.LBB489_15:
	v_cmp_lt_i16_e64 s2, s33, 11
	s_delay_alu instid0(VALU_DEP_2) | instskip(NEXT) | instid1(VALU_DEP_1)
	v_add_co_u32 v1, s3, s6, v1
	v_add_co_ci_u32_e64 v2, null, s7, 0, s3
	s_delay_alu instid0(VALU_DEP_3)
	s_and_b32 vcc_lo, exec_lo, s2
	s_mov_b32 s22, 0
	s_cbranch_vccnz .LBB489_22
; %bb.16:
	v_cmp_gt_i16_e64 s2, s33, 25
	s_delay_alu instid0(VALU_DEP_1)
	s_and_b32 vcc_lo, exec_lo, s2
	s_cbranch_vccz .LBB489_70
; %bb.17:
	v_cmp_gt_i16_e64 s2, s33, 28
	s_delay_alu instid0(VALU_DEP_1)
	s_and_b32 vcc_lo, exec_lo, s2
	s_cbranch_vccz .LBB489_71
; %bb.18:
	v_cmp_gt_i16_e64 s2, s33, 43
	s_delay_alu instid0(VALU_DEP_1)
	s_and_b32 vcc_lo, exec_lo, s2
	s_cbranch_vccz .LBB489_73
; %bb.19:
	v_cmp_gt_i16_e64 s2, s33, 45
	s_delay_alu instid0(VALU_DEP_1)
	s_and_b32 vcc_lo, exec_lo, s2
	s_cbranch_vccz .LBB489_75
; %bb.20:
	v_cmp_eq_u16_e64 s2, s33, 46
	s_mov_b32 s3, 0
	s_delay_alu instid0(VALU_DEP_1)
	s_and_b32 vcc_lo, exec_lo, s2
	s_cbranch_vccz .LBB489_77
; %bb.21:
	global_load_b32 v3, v[1:2], off
	s_mov_b32 s2, -1
	s_branch .LBB489_79
.LBB489_22:
	s_mov_b32 s2, 0
                                        ; implicit-def: $vgpr3
	s_cbranch_execnz .LBB489_215
.LBB489_23:
	s_and_not1_b32 vcc_lo, exec_lo, s2
	s_cbranch_vccnz .LBB489_262
.LBB489_24:
	s_waitcnt vmcnt(0)
	s_delay_alu instid0(VALU_DEP_1) | instskip(SKIP_3) | instid1(VALU_DEP_2)
	v_lshlrev_b32_e32 v1, 16, v3
	v_and_b32_e64 v2, 0xff, s30
	s_mov_b32 s23, 0
	s_mov_b32 s38, -1
	v_cmp_u_f32_e32 vcc_lo, v1, v1
	v_cmp_gt_f32_e64 s2, s31, v1
	v_cmp_gt_i16_e64 s3, 11, v2
	s_delay_alu instid0(VALU_DEP_2)
	s_or_b32 vcc_lo, vcc_lo, s2
	v_add_co_u32 v0, s2, s4, v0
	v_cndmask_b32_e32 v3, s29, v3, vcc_lo
	v_add_co_ci_u32_e64 v1, null, s5, 0, s2
	s_and_b32 vcc_lo, exec_lo, s3
	s_mov_b32 s2, 0
	s_cbranch_vccnz .LBB489_31
; %bb.25:
	v_cmp_lt_i16_e32 vcc_lo, 25, v2
	s_cbranch_vccz .LBB489_72
; %bb.26:
	v_cmp_lt_i16_e32 vcc_lo, 28, v2
	s_cbranch_vccz .LBB489_74
	;; [unrolled: 3-line block ×4, first 2 shown]
; %bb.29:
	v_cmp_eq_u16_e32 vcc_lo, 46, v2
	s_mov_b32 s3, 0
	s_mov_b32 s23, -1
	s_cbranch_vccz .LBB489_83
; %bb.30:
	v_and_b32_e32 v5, 0xffff, v3
	s_mov_b32 s2, -1
	s_mov_b32 s23, 0
	global_store_b32 v[0:1], v5, off
	s_branch .LBB489_83
.LBB489_31:
	s_and_b32 vcc_lo, exec_lo, s38
	s_cbranch_vccz .LBB489_152
; %bb.32:
	v_cmp_gt_i16_e32 vcc_lo, 5, v2
	s_mov_b32 s2, -1
	s_cbranch_vccnz .LBB489_53
; %bb.33:
	v_cmp_gt_i16_e32 vcc_lo, 8, v2
	s_cbranch_vccnz .LBB489_43
; %bb.34:
	v_cmp_gt_i16_e32 vcc_lo, 9, v2
	s_cbranch_vccnz .LBB489_40
; %bb.35:
	v_cmp_lt_i16_e32 vcc_lo, 9, v2
	s_cbranch_vccz .LBB489_37
; %bb.36:
	v_mov_b32_e32 v7, 0
	v_lshlrev_b32_e32 v5, 16, v3
	s_mov_b32 s2, 0
	s_delay_alu instid0(VALU_DEP_2) | instskip(NEXT) | instid1(VALU_DEP_2)
	v_mov_b32_e32 v8, v7
	v_cvt_f64_f32_e32 v[5:6], v5
	global_store_b128 v[0:1], v[5:8], off
.LBB489_37:
	s_and_not1_b32 vcc_lo, exec_lo, s2
	s_cbranch_vccnz .LBB489_39
; %bb.38:
	v_dual_mov_b32 v6, 0 :: v_dual_lshlrev_b32 v5, 16, v3
	global_store_b64 v[0:1], v[5:6], off
.LBB489_39:
	s_mov_b32 s2, 0
.LBB489_40:
	s_delay_alu instid0(SALU_CYCLE_1)
	s_and_not1_b32 vcc_lo, exec_lo, s2
	s_cbranch_vccnz .LBB489_42
; %bb.41:
	v_lshlrev_b32_e32 v5, 16, v3
	s_delay_alu instid0(VALU_DEP_1) | instskip(NEXT) | instid1(VALU_DEP_1)
	v_cvt_f16_f32_e32 v5, v5
	v_and_b32_e32 v5, 0xffff, v5
	global_store_b32 v[0:1], v5, off
.LBB489_42:
	s_mov_b32 s2, 0
.LBB489_43:
	s_delay_alu instid0(SALU_CYCLE_1)
	s_and_not1_b32 vcc_lo, exec_lo, s2
	s_cbranch_vccnz .LBB489_52
; %bb.44:
	v_cmp_gt_i16_e32 vcc_lo, 6, v2
	s_mov_b32 s2, -1
	s_cbranch_vccnz .LBB489_50
; %bb.45:
	v_cmp_lt_i16_e32 vcc_lo, 6, v2
	s_cbranch_vccz .LBB489_47
; %bb.46:
	v_lshlrev_b32_e32 v5, 16, v3
	s_mov_b32 s2, 0
	s_delay_alu instid0(VALU_DEP_1)
	v_cvt_f64_f32_e32 v[5:6], v5
	global_store_b64 v[0:1], v[5:6], off
.LBB489_47:
	s_and_not1_b32 vcc_lo, exec_lo, s2
	s_cbranch_vccnz .LBB489_49
; %bb.48:
	v_lshlrev_b32_e32 v5, 16, v3
	global_store_b32 v[0:1], v5, off
.LBB489_49:
	s_mov_b32 s2, 0
.LBB489_50:
	s_delay_alu instid0(SALU_CYCLE_1)
	s_and_not1_b32 vcc_lo, exec_lo, s2
	s_cbranch_vccnz .LBB489_52
; %bb.51:
	v_lshlrev_b32_e32 v5, 16, v3
	s_delay_alu instid0(VALU_DEP_1)
	v_cvt_f16_f32_e32 v5, v5
	global_store_b16 v[0:1], v5, off
.LBB489_52:
	s_mov_b32 s2, 0
.LBB489_53:
	s_delay_alu instid0(SALU_CYCLE_1)
	s_and_not1_b32 vcc_lo, exec_lo, s2
	s_cbranch_vccnz .LBB489_69
; %bb.54:
	v_cmp_gt_i16_e32 vcc_lo, 2, v2
	s_mov_b32 s2, -1
	s_cbranch_vccnz .LBB489_64
; %bb.55:
	v_cmp_gt_i16_e32 vcc_lo, 3, v2
	s_cbranch_vccnz .LBB489_61
; %bb.56:
	v_cmp_lt_i16_e32 vcc_lo, 3, v2
	s_cbranch_vccz .LBB489_58
; %bb.57:
	v_lshlrev_b32_e32 v5, 16, v3
	s_mov_b32 s2, 0
	s_delay_alu instid0(VALU_DEP_1) | instskip(NEXT) | instid1(VALU_DEP_1)
	v_trunc_f32_e32 v5, v5
	v_mul_f32_e64 v6, 0x2f800000, |v5|
	v_ashrrev_i32_e32 v8, 31, v5
	s_delay_alu instid0(VALU_DEP_2) | instskip(NEXT) | instid1(VALU_DEP_1)
	v_floor_f32_e32 v6, v6
	v_fma_f32 v7, 0xcf800000, v6, |v5|
	v_cvt_u32_f32_e32 v6, v6
	s_delay_alu instid0(VALU_DEP_2) | instskip(NEXT) | instid1(VALU_DEP_2)
	v_cvt_u32_f32_e32 v5, v7
	v_xor_b32_e32 v6, v6, v8
	s_delay_alu instid0(VALU_DEP_2) | instskip(NEXT) | instid1(VALU_DEP_1)
	v_xor_b32_e32 v5, v5, v8
	v_sub_co_u32 v5, vcc_lo, v5, v8
	s_delay_alu instid0(VALU_DEP_3)
	v_sub_co_ci_u32_e32 v6, vcc_lo, v6, v8, vcc_lo
	global_store_b64 v[0:1], v[5:6], off
.LBB489_58:
	s_and_not1_b32 vcc_lo, exec_lo, s2
	s_cbranch_vccnz .LBB489_60
; %bb.59:
	v_lshlrev_b32_e32 v5, 16, v3
	s_delay_alu instid0(VALU_DEP_1)
	v_cvt_i32_f32_e32 v5, v5
	global_store_b32 v[0:1], v5, off
.LBB489_60:
	s_mov_b32 s2, 0
.LBB489_61:
	s_delay_alu instid0(SALU_CYCLE_1)
	s_and_not1_b32 vcc_lo, exec_lo, s2
	s_cbranch_vccnz .LBB489_63
; %bb.62:
	v_lshlrev_b32_e32 v5, 16, v3
	s_delay_alu instid0(VALU_DEP_1)
	v_cvt_i32_f32_e32 v5, v5
	global_store_b16 v[0:1], v5, off
.LBB489_63:
	s_mov_b32 s2, 0
.LBB489_64:
	s_delay_alu instid0(SALU_CYCLE_1)
	s_and_not1_b32 vcc_lo, exec_lo, s2
	s_cbranch_vccnz .LBB489_69
; %bb.65:
	v_cmp_lt_i16_e32 vcc_lo, 0, v2
	v_lshlrev_b32_e32 v2, 16, v3
	s_mov_b32 s2, -1
	s_cbranch_vccz .LBB489_67
; %bb.66:
	s_delay_alu instid0(VALU_DEP_1)
	v_cvt_i32_f32_e32 v3, v2
	s_mov_b32 s2, 0
	global_store_b8 v[0:1], v3, off
.LBB489_67:
	s_and_not1_b32 vcc_lo, exec_lo, s2
	s_cbranch_vccnz .LBB489_69
; %bb.68:
	v_trunc_f32_e32 v2, v2
	s_delay_alu instid0(VALU_DEP_1) | instskip(NEXT) | instid1(VALU_DEP_1)
	v_mul_f32_e64 v3, 0x2f800000, |v2|
	v_floor_f32_e32 v3, v3
	s_delay_alu instid0(VALU_DEP_1) | instskip(SKIP_1) | instid1(VALU_DEP_2)
	v_fma_f32 v3, 0xcf800000, v3, |v2|
	v_ashrrev_i32_e32 v2, 31, v2
	v_cvt_u32_f32_e32 v3, v3
	s_delay_alu instid0(VALU_DEP_1) | instskip(NEXT) | instid1(VALU_DEP_1)
	v_xor_b32_e32 v3, v3, v2
	v_sub_nc_u32_e32 v2, v3, v2
	global_store_b8 v[0:1], v2, off
.LBB489_69:
	s_branch .LBB489_153
.LBB489_70:
	s_mov_b32 s2, 0
                                        ; implicit-def: $vgpr3
	s_cbranch_execnz .LBB489_180
	s_branch .LBB489_214
.LBB489_71:
	s_mov_b32 s3, -1
	s_mov_b32 s2, 0
                                        ; implicit-def: $vgpr3
	s_branch .LBB489_161
.LBB489_72:
	s_mov_b32 s3, -1
	s_branch .LBB489_110
.LBB489_73:
	s_mov_b32 s3, -1
	s_mov_b32 s2, 0
                                        ; implicit-def: $vgpr3
	s_branch .LBB489_156
.LBB489_74:
	s_mov_b32 s3, -1
	s_branch .LBB489_93
.LBB489_75:
	s_mov_b32 s3, -1
	s_branch .LBB489_78
.LBB489_76:
	s_mov_b32 s3, -1
	s_branch .LBB489_89
.LBB489_77:
	s_mov_b32 s22, -1
.LBB489_78:
	s_mov_b32 s2, 0
                                        ; implicit-def: $vgpr3
.LBB489_79:
	s_and_b32 vcc_lo, exec_lo, s3
	s_cbranch_vccz .LBB489_155
; %bb.80:
	v_cmp_eq_u16_e64 s3, s33, 44
	s_delay_alu instid0(VALU_DEP_1)
	s_and_b32 vcc_lo, exec_lo, s3
	s_cbranch_vccz .LBB489_154
; %bb.81:
	global_load_u8 v3, v[1:2], off
	s_mov_b32 s22, 0
	s_mov_b32 s2, -1
	s_waitcnt vmcnt(0)
	v_lshlrev_b32_e32 v5, 23, v3
	v_cmp_ne_u32_e32 vcc_lo, 0xff, v3
	s_delay_alu instid0(VALU_DEP_2) | instskip(SKIP_1) | instid1(VALU_DEP_2)
	v_cndmask_b32_e32 v5, 0x7f800001, v5, vcc_lo
	v_cmp_ne_u32_e32 vcc_lo, 0, v3
	v_cndmask_b32_e32 v3, 0x400000, v5, vcc_lo
	s_delay_alu instid0(VALU_DEP_1) | instskip(SKIP_1) | instid1(VALU_DEP_2)
	v_add_nc_u32_e32 v5, 0x7fff, v3
	v_cmp_o_f32_e32 vcc_lo, v3, v3
	v_lshrrev_b32_e32 v5, 16, v5
	s_delay_alu instid0(VALU_DEP_1)
	v_cndmask_b32_e32 v3, 0x7fc0, v5, vcc_lo
	s_branch .LBB489_155
.LBB489_82:
	s_mov_b32 s3, -1
.LBB489_83:
	s_delay_alu instid0(SALU_CYCLE_1)
	s_and_b32 vcc_lo, exec_lo, s3
	s_cbranch_vccz .LBB489_88
; %bb.84:
	v_cmp_eq_u16_e32 vcc_lo, 44, v2
	s_mov_b32 s23, -1
	s_cbranch_vccz .LBB489_88
; %bb.85:
	v_and_b32_e32 v5, 0xffff, v3
	v_mov_b32_e32 v6, 0xff
	s_mov_b32 s3, exec_lo
	s_delay_alu instid0(VALU_DEP_2) | instskip(NEXT) | instid1(VALU_DEP_1)
	v_bfe_u32 v7, v5, 7, 8
	v_cmpx_ne_u32_e32 0xff, v7
; %bb.86:
	v_lshlrev_b32_e32 v6, 16, v5
	v_and_b32_e32 v8, 64, v5
	v_lshrrev_b32_e32 v5, 7, v5
	s_delay_alu instid0(VALU_DEP_3) | instskip(NEXT) | instid1(VALU_DEP_3)
	v_and_or_b32 v6, 0x3f0000, v6, v7
	v_cmp_ne_u32_e32 vcc_lo, 0, v8
	s_delay_alu instid0(VALU_DEP_2) | instskip(NEXT) | instid1(VALU_DEP_1)
	v_cmp_ne_u32_e64 s2, 0, v6
	s_and_b32 s2, vcc_lo, s2
	s_delay_alu instid0(SALU_CYCLE_1) | instskip(NEXT) | instid1(VALU_DEP_1)
	v_cndmask_b32_e64 v6, 0, 1, s2
	v_add_nc_u32_e32 v6, v5, v6
; %bb.87:
	s_or_b32 exec_lo, exec_lo, s3
	s_mov_b32 s2, -1
	s_mov_b32 s23, 0
	global_store_b8 v[0:1], v6, off
.LBB489_88:
	s_mov_b32 s3, 0
.LBB489_89:
	s_delay_alu instid0(SALU_CYCLE_1)
	s_and_b32 vcc_lo, exec_lo, s3
	s_cbranch_vccz .LBB489_92
; %bb.90:
	v_cmp_eq_u16_e32 vcc_lo, 29, v2
	s_mov_b32 s23, -1
	s_cbranch_vccz .LBB489_92
; %bb.91:
	v_lshlrev_b32_e32 v5, 16, v3
	s_mov_b32 s2, -1
	s_mov_b32 s23, 0
	s_mov_b32 s3, 0
	s_delay_alu instid0(VALU_DEP_1) | instskip(NEXT) | instid1(VALU_DEP_1)
	v_trunc_f32_e32 v5, v5
	v_mul_f32_e32 v6, 0x2f800000, v5
	s_delay_alu instid0(VALU_DEP_1) | instskip(NEXT) | instid1(VALU_DEP_1)
	v_floor_f32_e32 v6, v6
	v_fmamk_f32 v5, v6, 0xcf800000, v5
	v_cvt_u32_f32_e32 v6, v6
	s_delay_alu instid0(VALU_DEP_2)
	v_cvt_u32_f32_e32 v5, v5
	global_store_b64 v[0:1], v[5:6], off
	s_branch .LBB489_93
.LBB489_92:
	s_mov_b32 s3, 0
.LBB489_93:
	s_delay_alu instid0(SALU_CYCLE_1)
	s_and_b32 vcc_lo, exec_lo, s3
	s_cbranch_vccz .LBB489_109
; %bb.94:
	v_cmp_gt_i16_e32 vcc_lo, 27, v2
	s_mov_b32 s2, -1
	s_cbranch_vccnz .LBB489_100
; %bb.95:
	v_cmp_lt_i16_e32 vcc_lo, 27, v2
	s_cbranch_vccz .LBB489_97
; %bb.96:
	v_lshlrev_b32_e32 v5, 16, v3
	s_mov_b32 s2, 0
	s_delay_alu instid0(VALU_DEP_1)
	v_cvt_u32_f32_e32 v5, v5
	global_store_b32 v[0:1], v5, off
.LBB489_97:
	s_and_not1_b32 vcc_lo, exec_lo, s2
	s_cbranch_vccnz .LBB489_99
; %bb.98:
	v_lshlrev_b32_e32 v5, 16, v3
	s_delay_alu instid0(VALU_DEP_1)
	v_cvt_u32_f32_e32 v5, v5
	global_store_b16 v[0:1], v5, off
.LBB489_99:
	s_mov_b32 s2, 0
.LBB489_100:
	s_delay_alu instid0(SALU_CYCLE_1)
	s_and_not1_b32 vcc_lo, exec_lo, s2
	s_cbranch_vccnz .LBB489_108
; %bb.101:
	v_dual_mov_b32 v8, 0x80 :: v_dual_lshlrev_b32 v7, 16, v3
	s_mov_b32 s2, exec_lo
	s_delay_alu instid0(VALU_DEP_1) | instskip(NEXT) | instid1(VALU_DEP_1)
	v_and_b32_e32 v6, 0x7fffffff, v7
	v_cmpx_gt_u32_e32 0x43800000, v6
	s_cbranch_execz .LBB489_107
; %bb.102:
	v_and_b32_e32 v5, 0xffff, v3
	v_cmp_lt_u32_e32 vcc_lo, 0x3bffffff, v6
	s_mov_b32 s3, 0
                                        ; implicit-def: $vgpr6
	s_and_saveexec_b32 s38, vcc_lo
	s_delay_alu instid0(SALU_CYCLE_1)
	s_xor_b32 s38, exec_lo, s38
	s_cbranch_execz .LBB489_341
; %bb.103:
	v_bfe_u32 v6, v5, 4, 1
	s_mov_b32 s3, exec_lo
	s_delay_alu instid0(VALU_DEP_1) | instskip(NEXT) | instid1(VALU_DEP_1)
	v_add3_u32 v6, v7, v6, 0x487ffff
                                        ; implicit-def: $vgpr7
	v_lshrrev_b32_e32 v6, 20, v6
	s_or_saveexec_b32 s38, s38
                                        ; implicit-def: $sgpr39
	s_delay_alu instid0(SALU_CYCLE_1)
	s_xor_b32 exec_lo, exec_lo, s38
	s_cbranch_execnz .LBB489_342
.LBB489_104:
	s_or_b32 exec_lo, exec_lo, s38
	v_mov_b32_e32 v8, s39
	s_and_saveexec_b32 s38, s3
.LBB489_105:
	v_lshrrev_b32_e32 v5, 8, v5
	s_delay_alu instid0(VALU_DEP_1)
	v_and_or_b32 v8, 0x80, v5, v6
.LBB489_106:
	s_or_b32 exec_lo, exec_lo, s38
.LBB489_107:
	s_delay_alu instid0(SALU_CYCLE_1)
	s_or_b32 exec_lo, exec_lo, s2
	global_store_b8 v[0:1], v8, off
.LBB489_108:
	s_mov_b32 s2, -1
.LBB489_109:
	s_mov_b32 s3, 0
.LBB489_110:
	s_delay_alu instid0(SALU_CYCLE_1)
	s_and_b32 vcc_lo, exec_lo, s3
	s_cbranch_vccz .LBB489_151
; %bb.111:
	v_cmp_lt_i16_e32 vcc_lo, 22, v2
	s_mov_b32 s3, -1
	s_cbranch_vccz .LBB489_143
; %bb.112:
	v_cmp_gt_i16_e32 vcc_lo, 24, v2
	s_mov_b32 s2, -1
	s_cbranch_vccnz .LBB489_132
; %bb.113:
	v_cmp_lt_i16_e32 vcc_lo, 24, v2
	s_cbranch_vccz .LBB489_121
; %bb.114:
	v_dual_mov_b32 v8, 0x80 :: v_dual_lshlrev_b32 v7, 16, v3
	s_mov_b32 s2, exec_lo
	s_delay_alu instid0(VALU_DEP_1) | instskip(NEXT) | instid1(VALU_DEP_1)
	v_and_b32_e32 v6, 0x7fffffff, v7
	v_cmpx_gt_u32_e32 0x47800000, v6
	s_cbranch_execz .LBB489_120
; %bb.115:
	v_and_b32_e32 v5, 0xffff, v3
	v_cmp_lt_u32_e32 vcc_lo, 0x37ffffff, v6
	s_mov_b32 s3, 0
                                        ; implicit-def: $vgpr6
	s_and_saveexec_b32 s38, vcc_lo
	s_delay_alu instid0(SALU_CYCLE_1)
	s_xor_b32 s38, exec_lo, s38
	s_cbranch_execz .LBB489_345
; %bb.116:
	v_bfe_u32 v6, v5, 5, 1
	s_mov_b32 s3, exec_lo
	s_delay_alu instid0(VALU_DEP_1) | instskip(NEXT) | instid1(VALU_DEP_1)
	v_add3_u32 v6, v7, v6, 0x88fffff
                                        ; implicit-def: $vgpr7
	v_lshrrev_b32_e32 v6, 21, v6
	s_or_saveexec_b32 s38, s38
                                        ; implicit-def: $sgpr39
	s_delay_alu instid0(SALU_CYCLE_1)
	s_xor_b32 exec_lo, exec_lo, s38
	s_cbranch_execnz .LBB489_346
.LBB489_117:
	s_or_b32 exec_lo, exec_lo, s38
	v_mov_b32_e32 v8, s39
	s_and_saveexec_b32 s38, s3
.LBB489_118:
	v_lshrrev_b32_e32 v5, 8, v5
	s_delay_alu instid0(VALU_DEP_1)
	v_and_or_b32 v8, 0x80, v5, v6
.LBB489_119:
	s_or_b32 exec_lo, exec_lo, s38
.LBB489_120:
	s_delay_alu instid0(SALU_CYCLE_1)
	s_or_b32 exec_lo, exec_lo, s2
	s_mov_b32 s2, 0
	global_store_b8 v[0:1], v8, off
.LBB489_121:
	s_and_b32 vcc_lo, exec_lo, s2
	s_cbranch_vccz .LBB489_131
; %bb.122:
	v_lshlrev_b32_e32 v7, 16, v3
	v_and_b32_e32 v5, 0xffff, v3
	s_mov_b32 s2, exec_lo
                                        ; implicit-def: $vgpr6
	s_delay_alu instid0(VALU_DEP_2) | instskip(NEXT) | instid1(VALU_DEP_1)
	v_and_b32_e32 v8, 0x7fffffff, v7
	v_cmpx_gt_u32_e32 0x43f00000, v8
	s_xor_b32 s2, exec_lo, s2
	s_cbranch_execz .LBB489_128
; %bb.123:
	s_mov_b32 s3, exec_lo
                                        ; implicit-def: $vgpr6
	v_cmpx_lt_u32_e32 0x3c7fffff, v8
	s_xor_b32 s3, exec_lo, s3
; %bb.124:
	v_bfe_u32 v6, v5, 4, 1
	s_delay_alu instid0(VALU_DEP_1) | instskip(NEXT) | instid1(VALU_DEP_1)
	v_add3_u32 v6, v7, v6, 0x407ffff
	v_and_b32_e32 v7, 0xff00000, v6
	v_lshrrev_b32_e32 v6, 20, v6
	s_delay_alu instid0(VALU_DEP_2) | instskip(NEXT) | instid1(VALU_DEP_2)
	v_cmp_ne_u32_e32 vcc_lo, 0x7f00000, v7
                                        ; implicit-def: $vgpr7
	v_cndmask_b32_e32 v6, 0x7e, v6, vcc_lo
; %bb.125:
	s_and_not1_saveexec_b32 s3, s3
; %bb.126:
	v_add_f32_e64 v6, 0x46800000, |v7|
; %bb.127:
	s_or_b32 exec_lo, exec_lo, s3
                                        ; implicit-def: $vgpr8
.LBB489_128:
	s_and_not1_saveexec_b32 s2, s2
; %bb.129:
	v_mov_b32_e32 v6, 0x7f
	v_cmp_lt_u32_e32 vcc_lo, 0x7f800000, v8
	s_delay_alu instid0(VALU_DEP_2)
	v_cndmask_b32_e32 v6, 0x7e, v6, vcc_lo
; %bb.130:
	s_or_b32 exec_lo, exec_lo, s2
	v_lshrrev_b32_e32 v5, 8, v5
	s_delay_alu instid0(VALU_DEP_1)
	v_and_or_b32 v5, 0x80, v5, v6
	global_store_b8 v[0:1], v5, off
.LBB489_131:
	s_mov_b32 s2, 0
.LBB489_132:
	s_delay_alu instid0(SALU_CYCLE_1)
	s_and_not1_b32 vcc_lo, exec_lo, s2
	s_cbranch_vccnz .LBB489_142
; %bb.133:
	v_lshlrev_b32_e32 v7, 16, v3
	v_and_b32_e32 v5, 0xffff, v3
	s_mov_b32 s2, exec_lo
                                        ; implicit-def: $vgpr6
	s_delay_alu instid0(VALU_DEP_2) | instskip(NEXT) | instid1(VALU_DEP_1)
	v_and_b32_e32 v8, 0x7fffffff, v7
	v_cmpx_gt_u32_e32 0x47800000, v8
	s_xor_b32 s2, exec_lo, s2
	s_cbranch_execz .LBB489_139
; %bb.134:
	s_mov_b32 s3, exec_lo
                                        ; implicit-def: $vgpr6
	v_cmpx_lt_u32_e32 0x387fffff, v8
	s_xor_b32 s3, exec_lo, s3
; %bb.135:
	v_bfe_u32 v6, v5, 5, 1
	s_delay_alu instid0(VALU_DEP_1) | instskip(NEXT) | instid1(VALU_DEP_1)
	v_add3_u32 v6, v7, v6, 0x80fffff
                                        ; implicit-def: $vgpr7
	v_lshrrev_b32_e32 v6, 21, v6
; %bb.136:
	s_and_not1_saveexec_b32 s3, s3
; %bb.137:
	v_add_f32_e64 v6, 0x43000000, |v7|
; %bb.138:
	s_or_b32 exec_lo, exec_lo, s3
                                        ; implicit-def: $vgpr8
.LBB489_139:
	s_and_not1_saveexec_b32 s2, s2
; %bb.140:
	v_mov_b32_e32 v6, 0x7f
	v_cmp_lt_u32_e32 vcc_lo, 0x7f800000, v8
	s_delay_alu instid0(VALU_DEP_2)
	v_cndmask_b32_e32 v6, 0x7c, v6, vcc_lo
; %bb.141:
	s_or_b32 exec_lo, exec_lo, s2
	v_lshrrev_b32_e32 v5, 8, v5
	s_delay_alu instid0(VALU_DEP_1)
	v_and_or_b32 v5, 0x80, v5, v6
	global_store_b8 v[0:1], v5, off
.LBB489_142:
	s_mov_b32 s3, 0
	s_mov_b32 s2, -1
.LBB489_143:
	s_and_not1_b32 vcc_lo, exec_lo, s3
	s_cbranch_vccnz .LBB489_151
; %bb.144:
	v_cmp_lt_i16_e32 vcc_lo, 14, v2
	s_mov_b32 s3, -1
	s_cbranch_vccz .LBB489_148
; %bb.145:
	v_cmp_eq_u16_e32 vcc_lo, 15, v2
	s_mov_b32 s23, -1
	s_cbranch_vccz .LBB489_147
; %bb.146:
	s_mov_b32 s2, -1
	s_mov_b32 s23, 0
	global_store_b16 v[0:1], v3, off
.LBB489_147:
	s_mov_b32 s3, 0
.LBB489_148:
	s_delay_alu instid0(SALU_CYCLE_1)
	s_and_b32 vcc_lo, exec_lo, s3
	s_cbranch_vccz .LBB489_151
; %bb.149:
	v_cmp_eq_u16_e32 vcc_lo, 11, v2
	s_mov_b32 s23, -1
	s_cbranch_vccz .LBB489_151
; %bb.150:
	v_and_b32_e32 v5, 0x7fff, v3
	s_mov_b32 s23, 0
	s_mov_b32 s2, -1
	s_delay_alu instid0(VALU_DEP_1)
	v_cmp_ne_u16_e32 vcc_lo, 0, v5
	v_cndmask_b32_e64 v5, 0, 1, vcc_lo
	global_store_b8 v[0:1], v5, off
.LBB489_151:
.LBB489_152:
	s_and_not1_b32 vcc_lo, exec_lo, s2
	s_cbranch_vccnz .LBB489_263
.LBB489_153:
	v_add_nc_u32_e32 v4, 0x80, v4
	s_mov_b32 s2, -1
	s_branch .LBB489_264
.LBB489_154:
	s_mov_b32 s22, -1
                                        ; implicit-def: $vgpr3
.LBB489_155:
	s_mov_b32 s3, 0
.LBB489_156:
	s_delay_alu instid0(SALU_CYCLE_1)
	s_and_b32 vcc_lo, exec_lo, s3
	s_cbranch_vccz .LBB489_160
; %bb.157:
	v_cmp_eq_u16_e64 s3, s33, 29
	s_delay_alu instid0(VALU_DEP_1)
	s_and_b32 vcc_lo, exec_lo, s3
	s_cbranch_vccz .LBB489_159
; %bb.158:
	global_load_b64 v[5:6], v[1:2], off
	s_mov_b32 s2, -1
	s_mov_b32 s22, 0
	s_mov_b32 s3, 0
	s_waitcnt vmcnt(0)
	v_clz_i32_u32_e32 v3, v6
	s_delay_alu instid0(VALU_DEP_1) | instskip(NEXT) | instid1(VALU_DEP_1)
	v_min_u32_e32 v3, 32, v3
	v_lshlrev_b64 v[5:6], v3, v[5:6]
	v_sub_nc_u32_e32 v3, 32, v3
	s_delay_alu instid0(VALU_DEP_2) | instskip(NEXT) | instid1(VALU_DEP_1)
	v_min_u32_e32 v5, 1, v5
	v_or_b32_e32 v5, v6, v5
	s_delay_alu instid0(VALU_DEP_1) | instskip(NEXT) | instid1(VALU_DEP_1)
	v_cvt_f32_u32_e32 v5, v5
	v_ldexp_f32 v3, v5, v3
	s_delay_alu instid0(VALU_DEP_1) | instskip(NEXT) | instid1(VALU_DEP_1)
	v_bfe_u32 v5, v3, 16, 1
	v_add3_u32 v3, v3, v5, 0x7fff
	s_delay_alu instid0(VALU_DEP_1)
	v_lshrrev_b32_e32 v3, 16, v3
	s_branch .LBB489_161
.LBB489_159:
	s_mov_b32 s22, -1
                                        ; implicit-def: $vgpr3
.LBB489_160:
	s_mov_b32 s3, 0
.LBB489_161:
	s_delay_alu instid0(SALU_CYCLE_1)
	s_and_b32 vcc_lo, exec_lo, s3
	s_cbranch_vccz .LBB489_179
; %bb.162:
	v_cmp_lt_i16_e64 s2, s33, 27
	s_delay_alu instid0(VALU_DEP_1)
	s_and_b32 vcc_lo, exec_lo, s2
	s_cbranch_vccnz .LBB489_165
; %bb.163:
	v_cmp_gt_i16_e64 s2, s33, 27
	s_delay_alu instid0(VALU_DEP_1)
	s_and_b32 vcc_lo, exec_lo, s2
	s_cbranch_vccz .LBB489_166
; %bb.164:
	global_load_b32 v3, v[1:2], off
	s_mov_b32 s2, 0
	s_waitcnt vmcnt(0)
	v_cvt_f32_u32_e32 v3, v3
	s_delay_alu instid0(VALU_DEP_1) | instskip(NEXT) | instid1(VALU_DEP_1)
	v_bfe_u32 v5, v3, 16, 1
	v_add3_u32 v3, v3, v5, 0x7fff
	s_delay_alu instid0(VALU_DEP_1)
	v_lshrrev_b32_e32 v3, 16, v3
	s_branch .LBB489_167
.LBB489_165:
	s_mov_b32 s2, -1
                                        ; implicit-def: $vgpr3
	s_branch .LBB489_170
.LBB489_166:
	s_mov_b32 s2, -1
                                        ; implicit-def: $vgpr3
.LBB489_167:
	s_delay_alu instid0(SALU_CYCLE_1)
	s_and_not1_b32 vcc_lo, exec_lo, s2
	s_cbranch_vccnz .LBB489_169
; %bb.168:
	global_load_u16 v3, v[1:2], off
	s_waitcnt vmcnt(0)
	v_cvt_f32_u32_e32 v3, v3
	s_delay_alu instid0(VALU_DEP_1) | instskip(NEXT) | instid1(VALU_DEP_1)
	v_bfe_u32 v5, v3, 16, 1
	v_add3_u32 v3, v3, v5, 0x7fff
	s_delay_alu instid0(VALU_DEP_1)
	v_lshrrev_b32_e32 v3, 16, v3
.LBB489_169:
	s_mov_b32 s2, 0
.LBB489_170:
	s_delay_alu instid0(SALU_CYCLE_1)
	s_and_not1_b32 vcc_lo, exec_lo, s2
	s_cbranch_vccnz .LBB489_178
; %bb.171:
	global_load_u8 v3, v[1:2], off
	s_mov_b32 s2, 0
	s_mov_b32 s23, exec_lo
                                        ; implicit-def: $sgpr3
	s_waitcnt vmcnt(0)
	v_cmpx_lt_i16_e32 0x7f, v3
	s_xor_b32 s23, exec_lo, s23
	s_cbranch_execz .LBB489_191
; %bb.172:
	s_mov_b32 s2, -1
	s_mov_b32 s38, exec_lo
                                        ; implicit-def: $sgpr3
	v_cmpx_eq_u16_e32 0x80, v3
; %bb.173:
	s_mov_b32 s3, 0x7f800001
	s_xor_b32 s2, exec_lo, -1
; %bb.174:
	s_or_b32 exec_lo, exec_lo, s38
	s_delay_alu instid0(SALU_CYCLE_1)
	s_and_b32 s2, s2, exec_lo
	s_or_saveexec_b32 s23, s23
	v_mov_b32_e32 v5, s3
	s_xor_b32 exec_lo, exec_lo, s23
	s_cbranch_execnz .LBB489_192
.LBB489_175:
	s_or_b32 exec_lo, exec_lo, s23
	s_and_saveexec_b32 s3, s2
	s_cbranch_execz .LBB489_177
.LBB489_176:
	v_and_b32_e32 v5, 0xffff, v3
	v_lshlrev_b32_e32 v3, 24, v3
	s_delay_alu instid0(VALU_DEP_2) | instskip(NEXT) | instid1(VALU_DEP_2)
	v_and_b32_e32 v6, 7, v5
	v_and_b32_e32 v3, 0x80000000, v3
	s_delay_alu instid0(VALU_DEP_2) | instskip(NEXT) | instid1(VALU_DEP_1)
	v_clz_i32_u32_e32 v7, v6
	v_min_u32_e32 v7, 32, v7
	s_delay_alu instid0(VALU_DEP_1) | instskip(SKIP_1) | instid1(VALU_DEP_2)
	v_subrev_nc_u32_e32 v8, 28, v7
	v_sub_nc_u32_e32 v7, 29, v7
	v_lshlrev_b32_e32 v8, v8, v5
	v_bfe_u32 v5, v5, 3, 4
	s_delay_alu instid0(VALU_DEP_2) | instskip(NEXT) | instid1(VALU_DEP_2)
	v_and_b32_e32 v8, 7, v8
	v_cmp_eq_u32_e32 vcc_lo, 0, v5
	s_delay_alu instid0(VALU_DEP_2) | instskip(NEXT) | instid1(VALU_DEP_1)
	v_dual_cndmask_b32 v5, v5, v7 :: v_dual_cndmask_b32 v6, v6, v8
	v_lshl_add_u32 v5, v5, 23, 0x3b800000
	s_delay_alu instid0(VALU_DEP_2) | instskip(NEXT) | instid1(VALU_DEP_1)
	v_lshlrev_b32_e32 v6, 20, v6
	v_or3_b32 v5, v3, v5, v6
.LBB489_177:
	s_or_b32 exec_lo, exec_lo, s3
	s_delay_alu instid0(VALU_DEP_1) | instskip(SKIP_1) | instid1(VALU_DEP_2)
	v_bfe_u32 v3, v5, 16, 1
	v_cmp_o_f32_e32 vcc_lo, v5, v5
	v_add3_u32 v3, v5, v3, 0x7fff
	s_delay_alu instid0(VALU_DEP_1) | instskip(NEXT) | instid1(VALU_DEP_1)
	v_lshrrev_b32_e32 v3, 16, v3
	v_cndmask_b32_e32 v3, 0x7fc0, v3, vcc_lo
.LBB489_178:
	s_mov_b32 s2, -1
.LBB489_179:
	s_branch .LBB489_214
.LBB489_180:
	v_cmp_gt_i16_e64 s3, s33, 22
	s_delay_alu instid0(VALU_DEP_1)
	s_and_b32 vcc_lo, exec_lo, s3
	s_cbranch_vccz .LBB489_190
; %bb.181:
	v_cmp_lt_i16_e64 s2, s33, 24
	s_delay_alu instid0(VALU_DEP_1)
	s_and_b32 vcc_lo, exec_lo, s2
	s_cbranch_vccnz .LBB489_193
; %bb.182:
	v_cmp_gt_i16_e64 s2, s33, 24
	s_delay_alu instid0(VALU_DEP_1)
	s_and_b32 vcc_lo, exec_lo, s2
	s_cbranch_vccz .LBB489_194
; %bb.183:
	global_load_u8 v3, v[1:2], off
	s_mov_b32 s2, 0
	s_mov_b32 s23, exec_lo
                                        ; implicit-def: $sgpr3
	s_waitcnt vmcnt(0)
	v_cmpx_lt_i16_e32 0x7f, v3
	s_xor_b32 s23, exec_lo, s23
	s_cbranch_execz .LBB489_206
; %bb.184:
	s_mov_b32 s2, -1
	s_mov_b32 s38, exec_lo
                                        ; implicit-def: $sgpr3
	v_cmpx_eq_u16_e32 0x80, v3
; %bb.185:
	s_mov_b32 s3, 0x7f800001
	s_xor_b32 s2, exec_lo, -1
; %bb.186:
	s_or_b32 exec_lo, exec_lo, s38
	s_delay_alu instid0(SALU_CYCLE_1)
	s_and_b32 s2, s2, exec_lo
	s_or_saveexec_b32 s23, s23
	v_mov_b32_e32 v5, s3
	s_xor_b32 exec_lo, exec_lo, s23
	s_cbranch_execnz .LBB489_207
.LBB489_187:
	s_or_b32 exec_lo, exec_lo, s23
	s_and_saveexec_b32 s3, s2
	s_cbranch_execz .LBB489_189
.LBB489_188:
	v_and_b32_e32 v5, 0xffff, v3
	v_lshlrev_b32_e32 v3, 24, v3
	s_delay_alu instid0(VALU_DEP_2) | instskip(NEXT) | instid1(VALU_DEP_2)
	v_and_b32_e32 v6, 3, v5
	v_and_b32_e32 v3, 0x80000000, v3
	s_delay_alu instid0(VALU_DEP_2) | instskip(NEXT) | instid1(VALU_DEP_1)
	v_clz_i32_u32_e32 v7, v6
	v_min_u32_e32 v7, 32, v7
	s_delay_alu instid0(VALU_DEP_1) | instskip(SKIP_1) | instid1(VALU_DEP_2)
	v_subrev_nc_u32_e32 v8, 29, v7
	v_sub_nc_u32_e32 v7, 30, v7
	v_lshlrev_b32_e32 v8, v8, v5
	v_bfe_u32 v5, v5, 2, 5
	s_delay_alu instid0(VALU_DEP_2) | instskip(NEXT) | instid1(VALU_DEP_2)
	v_and_b32_e32 v8, 3, v8
	v_cmp_eq_u32_e32 vcc_lo, 0, v5
	s_delay_alu instid0(VALU_DEP_2) | instskip(NEXT) | instid1(VALU_DEP_1)
	v_dual_cndmask_b32 v5, v5, v7 :: v_dual_cndmask_b32 v6, v6, v8
	v_lshl_add_u32 v5, v5, 23, 0x37800000
	s_delay_alu instid0(VALU_DEP_2) | instskip(NEXT) | instid1(VALU_DEP_1)
	v_lshlrev_b32_e32 v6, 21, v6
	v_or3_b32 v5, v3, v5, v6
.LBB489_189:
	s_or_b32 exec_lo, exec_lo, s3
	s_delay_alu instid0(VALU_DEP_1) | instskip(SKIP_2) | instid1(VALU_DEP_2)
	v_bfe_u32 v3, v5, 16, 1
	v_cmp_o_f32_e32 vcc_lo, v5, v5
	s_mov_b32 s2, 0
	v_add3_u32 v3, v5, v3, 0x7fff
	s_delay_alu instid0(VALU_DEP_1) | instskip(NEXT) | instid1(VALU_DEP_1)
	v_lshrrev_b32_e32 v3, 16, v3
	v_cndmask_b32_e32 v3, 0x7fc0, v3, vcc_lo
	s_branch .LBB489_195
.LBB489_190:
	s_mov_b32 s3, -1
                                        ; implicit-def: $vgpr3
	s_branch .LBB489_201
.LBB489_191:
	s_or_saveexec_b32 s23, s23
	v_mov_b32_e32 v5, s3
	s_xor_b32 exec_lo, exec_lo, s23
	s_cbranch_execz .LBB489_175
.LBB489_192:
	v_cmp_ne_u16_e32 vcc_lo, 0, v3
	v_mov_b32_e32 v5, 0
	s_and_not1_b32 s2, s2, exec_lo
	s_and_b32 s3, vcc_lo, exec_lo
	s_delay_alu instid0(SALU_CYCLE_1)
	s_or_b32 s2, s2, s3
	s_or_b32 exec_lo, exec_lo, s23
	s_and_saveexec_b32 s3, s2
	s_cbranch_execnz .LBB489_176
	s_branch .LBB489_177
.LBB489_193:
	s_mov_b32 s2, -1
                                        ; implicit-def: $vgpr3
	s_branch .LBB489_198
.LBB489_194:
	s_mov_b32 s2, -1
                                        ; implicit-def: $vgpr3
.LBB489_195:
	s_delay_alu instid0(SALU_CYCLE_1)
	s_and_b32 vcc_lo, exec_lo, s2
	s_cbranch_vccz .LBB489_197
; %bb.196:
	global_load_u8 v3, v[1:2], off
	s_waitcnt vmcnt(0)
	v_lshlrev_b32_e32 v3, 24, v3
	s_delay_alu instid0(VALU_DEP_1) | instskip(NEXT) | instid1(VALU_DEP_1)
	v_and_b32_e32 v5, 0x7f000000, v3
	v_clz_i32_u32_e32 v6, v5
	v_cmp_ne_u32_e32 vcc_lo, 0, v5
	v_add_nc_u32_e32 v8, 0x1000000, v5
	s_delay_alu instid0(VALU_DEP_3) | instskip(NEXT) | instid1(VALU_DEP_1)
	v_min_u32_e32 v6, 32, v6
	v_sub_nc_u32_e64 v6, v6, 4 clamp
	s_delay_alu instid0(VALU_DEP_1) | instskip(SKIP_1) | instid1(VALU_DEP_2)
	v_lshlrev_b32_e32 v7, v6, v5
	v_lshlrev_b32_e32 v6, 23, v6
	v_lshrrev_b32_e32 v7, 4, v7
	s_delay_alu instid0(VALU_DEP_1) | instskip(SKIP_1) | instid1(VALU_DEP_2)
	v_sub_nc_u32_e32 v6, v7, v6
	v_ashrrev_i32_e32 v7, 8, v8
	v_add_nc_u32_e32 v6, 0x3c000000, v6
	s_delay_alu instid0(VALU_DEP_1) | instskip(NEXT) | instid1(VALU_DEP_1)
	v_and_or_b32 v6, 0x7f800000, v7, v6
	v_cndmask_b32_e32 v5, 0, v6, vcc_lo
	s_delay_alu instid0(VALU_DEP_1) | instskip(SKIP_1) | instid1(VALU_DEP_2)
	v_and_or_b32 v3, 0x80000000, v3, v5
	v_bfe_u32 v5, v5, 16, 1
	v_cmp_o_f32_e32 vcc_lo, v3, v3
	s_delay_alu instid0(VALU_DEP_2) | instskip(NEXT) | instid1(VALU_DEP_1)
	v_add3_u32 v5, v3, v5, 0x7fff
	v_lshrrev_b32_e32 v5, 16, v5
	s_delay_alu instid0(VALU_DEP_1)
	v_cndmask_b32_e32 v3, 0x7fc0, v5, vcc_lo
.LBB489_197:
	s_mov_b32 s2, 0
.LBB489_198:
	s_delay_alu instid0(SALU_CYCLE_1)
	s_and_not1_b32 vcc_lo, exec_lo, s2
	s_cbranch_vccnz .LBB489_200
; %bb.199:
	global_load_u8 v3, v[1:2], off
	s_waitcnt vmcnt(0)
	v_lshlrev_b32_e32 v5, 25, v3
	v_lshlrev_b16 v3, 8, v3
	s_delay_alu instid0(VALU_DEP_2) | instskip(NEXT) | instid1(VALU_DEP_2)
	v_lshrrev_b32_e32 v6, 4, v5
	v_and_or_b32 v7, 0x7f00, v3, 0.5
	v_bfe_i32 v3, v3, 0, 16
	s_delay_alu instid0(VALU_DEP_3) | instskip(NEXT) | instid1(VALU_DEP_1)
	v_or_b32_e32 v6, 0x70000000, v6
	v_dual_add_f32 v7, -0.5, v7 :: v_dual_mul_f32 v6, 0x7800000, v6
	v_cmp_gt_u32_e32 vcc_lo, 0x8000000, v5
	s_delay_alu instid0(VALU_DEP_2) | instskip(NEXT) | instid1(VALU_DEP_1)
	v_cndmask_b32_e32 v5, v6, v7, vcc_lo
	v_and_or_b32 v3, 0x80000000, v3, v5
	v_bfe_u32 v5, v5, 16, 1
	s_delay_alu instid0(VALU_DEP_2) | instskip(NEXT) | instid1(VALU_DEP_2)
	v_cmp_o_f32_e32 vcc_lo, v3, v3
	v_add3_u32 v5, v3, v5, 0x7fff
	s_delay_alu instid0(VALU_DEP_1) | instskip(NEXT) | instid1(VALU_DEP_1)
	v_lshrrev_b32_e32 v5, 16, v5
	v_cndmask_b32_e32 v3, 0x7fc0, v5, vcc_lo
.LBB489_200:
	s_mov_b32 s3, 0
	s_mov_b32 s2, -1
.LBB489_201:
	s_and_not1_b32 vcc_lo, exec_lo, s3
	s_cbranch_vccnz .LBB489_214
; %bb.202:
	v_cmp_gt_i16_e64 s3, s33, 14
	s_delay_alu instid0(VALU_DEP_1)
	s_and_b32 vcc_lo, exec_lo, s3
	s_cbranch_vccz .LBB489_205
; %bb.203:
	v_cmp_eq_u16_e64 s3, s33, 15
	s_delay_alu instid0(VALU_DEP_1)
	s_and_b32 vcc_lo, exec_lo, s3
	s_cbranch_vccz .LBB489_208
; %bb.204:
	global_load_u16 v3, v[1:2], off
	s_mov_b32 s2, -1
	s_mov_b32 s22, 0
	s_branch .LBB489_209
.LBB489_205:
	s_mov_b32 s3, -1
                                        ; implicit-def: $vgpr3
	s_branch .LBB489_210
.LBB489_206:
	s_or_saveexec_b32 s23, s23
	v_mov_b32_e32 v5, s3
	s_xor_b32 exec_lo, exec_lo, s23
	s_cbranch_execz .LBB489_187
.LBB489_207:
	v_cmp_ne_u16_e32 vcc_lo, 0, v3
	v_mov_b32_e32 v5, 0
	s_and_not1_b32 s2, s2, exec_lo
	s_and_b32 s3, vcc_lo, exec_lo
	s_delay_alu instid0(SALU_CYCLE_1)
	s_or_b32 s2, s2, s3
	s_or_b32 exec_lo, exec_lo, s23
	s_and_saveexec_b32 s3, s2
	s_cbranch_execnz .LBB489_188
	s_branch .LBB489_189
.LBB489_208:
	s_mov_b32 s22, -1
                                        ; implicit-def: $vgpr3
.LBB489_209:
	s_mov_b32 s3, 0
.LBB489_210:
	s_delay_alu instid0(SALU_CYCLE_1)
	s_and_b32 vcc_lo, exec_lo, s3
	s_cbranch_vccz .LBB489_214
; %bb.211:
	v_cmp_eq_u16_e64 s3, s33, 11
	s_delay_alu instid0(VALU_DEP_1)
	s_and_b32 vcc_lo, exec_lo, s3
	s_cbranch_vccz .LBB489_213
; %bb.212:
	global_load_u8 v3, v[1:2], off
	s_mov_b32 s22, 0
	s_mov_b32 s2, -1
	s_waitcnt vmcnt(0)
	v_cmp_ne_u16_e32 vcc_lo, 0, v3
	v_cndmask_b32_e64 v3, 0, 1.0, vcc_lo
	s_delay_alu instid0(VALU_DEP_1)
	v_lshrrev_b32_e32 v3, 16, v3
	s_branch .LBB489_214
.LBB489_213:
	s_mov_b32 s22, -1
                                        ; implicit-def: $vgpr3
.LBB489_214:
	s_branch .LBB489_23
.LBB489_215:
	v_cmp_lt_i16_e64 s2, s33, 5
	s_delay_alu instid0(VALU_DEP_1)
	s_and_b32 vcc_lo, exec_lo, s2
	s_cbranch_vccnz .LBB489_220
; %bb.216:
	v_cmp_lt_i16_e64 s2, s33, 8
	s_delay_alu instid0(VALU_DEP_1)
	s_and_b32 vcc_lo, exec_lo, s2
	s_cbranch_vccnz .LBB489_221
; %bb.217:
	;; [unrolled: 5-line block ×3, first 2 shown]
	v_cmp_gt_i16_e64 s2, s33, 9
	s_delay_alu instid0(VALU_DEP_1)
	s_and_b32 vcc_lo, exec_lo, s2
	s_cbranch_vccz .LBB489_223
; %bb.219:
	global_load_b64 v[5:6], v[1:2], off
	s_mov_b32 s2, 0
	s_waitcnt vmcnt(0)
	v_cvt_f32_f64_e32 v3, v[5:6]
	s_delay_alu instid0(VALU_DEP_1) | instskip(SKIP_1) | instid1(VALU_DEP_2)
	v_bfe_u32 v5, v3, 16, 1
	v_cmp_o_f32_e32 vcc_lo, v3, v3
	v_add3_u32 v5, v3, v5, 0x7fff
	s_delay_alu instid0(VALU_DEP_1) | instskip(NEXT) | instid1(VALU_DEP_1)
	v_lshrrev_b32_e32 v5, 16, v5
	v_cndmask_b32_e32 v3, 0x7fc0, v5, vcc_lo
	s_branch .LBB489_224
.LBB489_220:
                                        ; implicit-def: $vgpr3
	s_branch .LBB489_242
.LBB489_221:
	s_mov_b32 s2, -1
                                        ; implicit-def: $vgpr3
	s_branch .LBB489_230
.LBB489_222:
	s_mov_b32 s2, -1
                                        ; implicit-def: $vgpr3
	s_branch .LBB489_227
.LBB489_223:
	s_mov_b32 s2, -1
                                        ; implicit-def: $vgpr3
.LBB489_224:
	s_delay_alu instid0(SALU_CYCLE_1)
	s_and_not1_b32 vcc_lo, exec_lo, s2
	s_cbranch_vccnz .LBB489_226
; %bb.225:
	global_load_b32 v3, v[1:2], off
	s_waitcnt vmcnt(0)
	v_bfe_u32 v5, v3, 16, 1
	v_cmp_o_f32_e32 vcc_lo, v3, v3
	s_delay_alu instid0(VALU_DEP_2) | instskip(NEXT) | instid1(VALU_DEP_1)
	v_add3_u32 v5, v3, v5, 0x7fff
	v_lshrrev_b32_e32 v5, 16, v5
	s_delay_alu instid0(VALU_DEP_1)
	v_cndmask_b32_e32 v3, 0x7fc0, v5, vcc_lo
.LBB489_226:
	s_mov_b32 s2, 0
.LBB489_227:
	s_delay_alu instid0(SALU_CYCLE_1)
	s_and_not1_b32 vcc_lo, exec_lo, s2
	s_cbranch_vccnz .LBB489_229
; %bb.228:
	global_load_b32 v3, v[1:2], off
	s_waitcnt vmcnt(0)
	v_cvt_f32_f16_e32 v5, v3
	v_cmp_o_f16_e32 vcc_lo, v3, v3
	s_delay_alu instid0(VALU_DEP_2) | instskip(NEXT) | instid1(VALU_DEP_1)
	v_bfe_u32 v6, v5, 16, 1
	v_add3_u32 v5, v5, v6, 0x7fff
	s_delay_alu instid0(VALU_DEP_1) | instskip(NEXT) | instid1(VALU_DEP_1)
	v_lshrrev_b32_e32 v5, 16, v5
	v_cndmask_b32_e32 v3, 0x7fc0, v5, vcc_lo
.LBB489_229:
	s_mov_b32 s2, 0
.LBB489_230:
	s_delay_alu instid0(SALU_CYCLE_1)
	s_and_not1_b32 vcc_lo, exec_lo, s2
	s_cbranch_vccnz .LBB489_241
; %bb.231:
	v_cmp_lt_i16_e64 s2, s33, 6
	s_delay_alu instid0(VALU_DEP_1)
	s_and_b32 vcc_lo, exec_lo, s2
	s_cbranch_vccnz .LBB489_234
; %bb.232:
	v_cmp_gt_i16_e64 s2, s33, 6
	s_delay_alu instid0(VALU_DEP_1)
	s_and_b32 vcc_lo, exec_lo, s2
	s_cbranch_vccz .LBB489_235
; %bb.233:
	global_load_b64 v[5:6], v[1:2], off
	s_mov_b32 s2, 0
	s_waitcnt vmcnt(0)
	v_cvt_f32_f64_e32 v3, v[5:6]
	s_delay_alu instid0(VALU_DEP_1) | instskip(SKIP_1) | instid1(VALU_DEP_2)
	v_bfe_u32 v5, v3, 16, 1
	v_cmp_o_f32_e32 vcc_lo, v3, v3
	v_add3_u32 v5, v3, v5, 0x7fff
	s_delay_alu instid0(VALU_DEP_1) | instskip(NEXT) | instid1(VALU_DEP_1)
	v_lshrrev_b32_e32 v5, 16, v5
	v_cndmask_b32_e32 v3, 0x7fc0, v5, vcc_lo
	s_branch .LBB489_236
.LBB489_234:
	s_mov_b32 s2, -1
                                        ; implicit-def: $vgpr3
	s_branch .LBB489_239
.LBB489_235:
	s_mov_b32 s2, -1
                                        ; implicit-def: $vgpr3
.LBB489_236:
	s_delay_alu instid0(SALU_CYCLE_1)
	s_and_not1_b32 vcc_lo, exec_lo, s2
	s_cbranch_vccnz .LBB489_238
; %bb.237:
	global_load_b32 v3, v[1:2], off
	s_waitcnt vmcnt(0)
	v_bfe_u32 v5, v3, 16, 1
	v_cmp_o_f32_e32 vcc_lo, v3, v3
	s_delay_alu instid0(VALU_DEP_2) | instskip(NEXT) | instid1(VALU_DEP_1)
	v_add3_u32 v5, v3, v5, 0x7fff
	v_lshrrev_b32_e32 v5, 16, v5
	s_delay_alu instid0(VALU_DEP_1)
	v_cndmask_b32_e32 v3, 0x7fc0, v5, vcc_lo
.LBB489_238:
	s_mov_b32 s2, 0
.LBB489_239:
	s_delay_alu instid0(SALU_CYCLE_1)
	s_and_not1_b32 vcc_lo, exec_lo, s2
	s_cbranch_vccnz .LBB489_241
; %bb.240:
	global_load_u16 v3, v[1:2], off
	s_waitcnt vmcnt(0)
	v_cvt_f32_f16_e32 v5, v3
	v_cmp_o_f16_e32 vcc_lo, v3, v3
	s_delay_alu instid0(VALU_DEP_2) | instskip(NEXT) | instid1(VALU_DEP_1)
	v_bfe_u32 v6, v5, 16, 1
	v_add3_u32 v5, v5, v6, 0x7fff
	s_delay_alu instid0(VALU_DEP_1) | instskip(NEXT) | instid1(VALU_DEP_1)
	v_lshrrev_b32_e32 v5, 16, v5
	v_cndmask_b32_e32 v3, 0x7fc0, v5, vcc_lo
.LBB489_241:
	s_cbranch_execnz .LBB489_261
.LBB489_242:
	v_cmp_lt_i16_e64 s2, s33, 2
	s_delay_alu instid0(VALU_DEP_1)
	s_and_b32 vcc_lo, exec_lo, s2
	s_cbranch_vccnz .LBB489_246
; %bb.243:
	v_cmp_lt_i16_e64 s2, s33, 3
	s_delay_alu instid0(VALU_DEP_1)
	s_and_b32 vcc_lo, exec_lo, s2
	s_cbranch_vccnz .LBB489_247
; %bb.244:
	v_cmp_gt_i16_e64 s2, s33, 3
	s_delay_alu instid0(VALU_DEP_1)
	s_and_b32 vcc_lo, exec_lo, s2
	s_cbranch_vccz .LBB489_248
; %bb.245:
	global_load_b64 v[5:6], v[1:2], off
	s_mov_b32 s2, 0
	s_waitcnt vmcnt(0)
	v_xor_b32_e32 v3, v5, v6
	v_cls_i32_e32 v7, v6
	s_delay_alu instid0(VALU_DEP_2) | instskip(NEXT) | instid1(VALU_DEP_2)
	v_ashrrev_i32_e32 v3, 31, v3
	v_add_nc_u32_e32 v7, -1, v7
	s_delay_alu instid0(VALU_DEP_2) | instskip(NEXT) | instid1(VALU_DEP_1)
	v_add_nc_u32_e32 v3, 32, v3
	v_min_u32_e32 v3, v7, v3
	s_delay_alu instid0(VALU_DEP_1) | instskip(SKIP_1) | instid1(VALU_DEP_2)
	v_lshlrev_b64 v[5:6], v3, v[5:6]
	v_sub_nc_u32_e32 v3, 32, v3
	v_min_u32_e32 v5, 1, v5
	s_delay_alu instid0(VALU_DEP_1) | instskip(NEXT) | instid1(VALU_DEP_1)
	v_or_b32_e32 v5, v6, v5
	v_cvt_f32_i32_e32 v5, v5
	s_delay_alu instid0(VALU_DEP_1) | instskip(NEXT) | instid1(VALU_DEP_1)
	v_ldexp_f32 v3, v5, v3
	v_bfe_u32 v5, v3, 16, 1
	s_delay_alu instid0(VALU_DEP_1) | instskip(NEXT) | instid1(VALU_DEP_1)
	v_add3_u32 v3, v3, v5, 0x7fff
	v_lshrrev_b32_e32 v3, 16, v3
	s_branch .LBB489_249
.LBB489_246:
	s_mov_b32 s2, -1
                                        ; implicit-def: $vgpr3
	s_branch .LBB489_255
.LBB489_247:
	s_mov_b32 s2, -1
                                        ; implicit-def: $vgpr3
	s_branch .LBB489_252
.LBB489_248:
	s_mov_b32 s2, -1
                                        ; implicit-def: $vgpr3
.LBB489_249:
	s_delay_alu instid0(SALU_CYCLE_1)
	s_and_not1_b32 vcc_lo, exec_lo, s2
	s_cbranch_vccnz .LBB489_251
; %bb.250:
	global_load_b32 v3, v[1:2], off
	s_waitcnt vmcnt(0)
	v_cvt_f32_i32_e32 v3, v3
	s_delay_alu instid0(VALU_DEP_1) | instskip(NEXT) | instid1(VALU_DEP_1)
	v_bfe_u32 v5, v3, 16, 1
	v_add3_u32 v3, v3, v5, 0x7fff
	s_delay_alu instid0(VALU_DEP_1)
	v_lshrrev_b32_e32 v3, 16, v3
.LBB489_251:
	s_mov_b32 s2, 0
.LBB489_252:
	s_delay_alu instid0(SALU_CYCLE_1)
	s_and_not1_b32 vcc_lo, exec_lo, s2
	s_cbranch_vccnz .LBB489_254
; %bb.253:
	global_load_i16 v3, v[1:2], off
	s_waitcnt vmcnt(0)
	v_cvt_f32_i32_e32 v3, v3
	s_delay_alu instid0(VALU_DEP_1) | instskip(NEXT) | instid1(VALU_DEP_1)
	v_bfe_u32 v5, v3, 16, 1
	v_add3_u32 v3, v3, v5, 0x7fff
	s_delay_alu instid0(VALU_DEP_1)
	v_lshrrev_b32_e32 v3, 16, v3
.LBB489_254:
	s_mov_b32 s2, 0
.LBB489_255:
	s_delay_alu instid0(SALU_CYCLE_1)
	s_and_not1_b32 vcc_lo, exec_lo, s2
	s_cbranch_vccnz .LBB489_261
; %bb.256:
	v_cmp_gt_i16_e64 s2, s33, 0
	s_delay_alu instid0(VALU_DEP_1)
	s_and_b32 vcc_lo, exec_lo, s2
	s_mov_b32 s2, 0
	s_cbranch_vccz .LBB489_258
; %bb.257:
	global_load_i8 v3, v[1:2], off
	s_waitcnt vmcnt(0)
	v_cvt_f32_i32_e32 v3, v3
	s_delay_alu instid0(VALU_DEP_1) | instskip(NEXT) | instid1(VALU_DEP_1)
	v_bfe_u32 v5, v3, 16, 1
	v_add3_u32 v3, v3, v5, 0x7fff
	s_delay_alu instid0(VALU_DEP_1)
	v_lshrrev_b32_e32 v3, 16, v3
	s_branch .LBB489_259
.LBB489_258:
	s_mov_b32 s2, -1
                                        ; implicit-def: $vgpr3
.LBB489_259:
	s_delay_alu instid0(SALU_CYCLE_1)
	s_and_not1_b32 vcc_lo, exec_lo, s2
	s_cbranch_vccnz .LBB489_261
; %bb.260:
	global_load_u8 v1, v[1:2], off
	s_waitcnt vmcnt(0)
	v_cvt_f32_ubyte0_e32 v1, v1
	s_delay_alu instid0(VALU_DEP_1) | instskip(NEXT) | instid1(VALU_DEP_1)
	v_bfe_u32 v2, v1, 16, 1
	v_add3_u32 v1, v1, v2, 0x7fff
	s_delay_alu instid0(VALU_DEP_1)
	v_lshrrev_b32_e32 v3, 16, v1
.LBB489_261:
	s_branch .LBB489_24
.LBB489_262:
	s_mov_b32 s23, 0
.LBB489_263:
	s_mov_b32 s2, 0
                                        ; implicit-def: $vgpr4
.LBB489_264:
	s_and_b32 s38, s23, exec_lo
	s_and_b32 s39, s22, exec_lo
	s_or_not1_b32 s3, s2, exec_lo
.LBB489_265:
	s_or_b32 exec_lo, exec_lo, s40
	s_mov_b32 s22, 0
	s_mov_b32 s2, 0
                                        ; implicit-def: $vgpr1_vgpr2
                                        ; implicit-def: $vgpr0
                                        ; implicit-def: $vgpr5
	s_and_saveexec_b32 s40, s3
	s_cbranch_execz .LBB489_910
; %bb.266:
	s_mov_b32 s2, -1
	s_mov_b32 s41, s39
	s_mov_b32 s42, s38
	s_mov_b32 s43, exec_lo
	v_cmpx_gt_i32_e64 s35, v4
	s_cbranch_execz .LBB489_537
; %bb.267:
	s_and_not1_b32 vcc_lo, exec_lo, s27
	s_cbranch_vccnz .LBB489_272
; %bb.268:
	v_dual_mov_b32 v0, 0 :: v_dual_mov_b32 v1, 0
	s_and_not1_b32 vcc_lo, exec_lo, s37
	s_mov_b32 s41, 0
	s_cbranch_vccnz .LBB489_277
; %bb.269:
	v_mov_b32_e32 v0, 0
	s_add_i32 s44, s36, 1
	s_cmp_eq_u32 s25, 2
	s_mov_b32 s42, 0
	s_cbranch_scc1 .LBB489_273
; %bb.270:
	v_dual_mov_b32 v1, 0 :: v_dual_mov_b32 v0, 0
	v_mov_b32_e32 v2, v4
	s_and_b32 s42, s44, 28
	s_mov_b32 s45, 0
	s_mov_b64 s[2:3], s[20:21]
	s_mov_b64 s[22:23], s[16:17]
.LBB489_271:                            ; =>This Inner Loop Header: Depth=1
	s_clause 0x1
	s_load_b256 s[48:55], s[22:23], 0x4
	s_load_b128 s[64:67], s[22:23], 0x24
	s_load_b256 s[56:63], s[2:3], 0x0
	s_add_u32 s22, s22, 48
	s_addc_u32 s23, s23, 0
	s_add_i32 s45, s45, 4
	s_add_u32 s2, s2, 32
	s_addc_u32 s3, s3, 0
	s_cmp_eq_u32 s42, s45
	s_waitcnt vmcnt(0) lgkmcnt(0)
	v_mul_hi_u32 v3, s49, v2
	s_delay_alu instid0(VALU_DEP_1) | instskip(NEXT) | instid1(VALU_DEP_1)
	v_add_nc_u32_e32 v3, v2, v3
	v_lshrrev_b32_e32 v3, s50, v3
	s_delay_alu instid0(VALU_DEP_1) | instskip(SKIP_1) | instid1(VALU_DEP_2)
	v_mul_hi_u32 v5, s52, v3
	v_mul_lo_u32 v7, v3, s48
	v_add_nc_u32_e32 v5, v3, v5
	s_delay_alu instid0(VALU_DEP_2) | instskip(NEXT) | instid1(VALU_DEP_2)
	v_sub_nc_u32_e32 v2, v2, v7
	v_lshrrev_b32_e32 v5, s53, v5
	s_delay_alu instid0(VALU_DEP_2) | instskip(SKIP_1) | instid1(VALU_DEP_3)
	v_mul_lo_u32 v7, v2, s56
	v_mul_lo_u32 v9, v2, s57
	v_mul_hi_u32 v6, s55, v5
	s_delay_alu instid0(VALU_DEP_1) | instskip(NEXT) | instid1(VALU_DEP_1)
	v_add_nc_u32_e32 v6, v5, v6
	v_lshrrev_b32_e32 v6, s64, v6
	s_delay_alu instid0(VALU_DEP_1) | instskip(SKIP_1) | instid1(VALU_DEP_2)
	v_mul_hi_u32 v8, s66, v6
	v_mul_lo_u32 v10, v6, s54
	v_add_nc_u32_e32 v2, v6, v8
	v_mul_lo_u32 v8, v5, s51
	s_delay_alu instid0(VALU_DEP_3) | instskip(NEXT) | instid1(VALU_DEP_3)
	v_sub_nc_u32_e32 v5, v5, v10
	v_lshrrev_b32_e32 v2, s67, v2
	s_delay_alu instid0(VALU_DEP_2) | instskip(SKIP_2) | instid1(VALU_DEP_4)
	v_mul_lo_u32 v10, v5, s60
	v_mul_lo_u32 v5, v5, s61
	v_sub_nc_u32_e32 v3, v3, v8
	v_mul_lo_u32 v11, v2, s65
	s_delay_alu instid0(VALU_DEP_2) | instskip(SKIP_1) | instid1(VALU_DEP_3)
	v_mul_lo_u32 v8, v3, s58
	v_mul_lo_u32 v3, v3, s59
	v_sub_nc_u32_e32 v6, v6, v11
	s_delay_alu instid0(VALU_DEP_3) | instskip(NEXT) | instid1(VALU_DEP_2)
	v_add3_u32 v0, v7, v0, v8
	v_mul_lo_u32 v11, v6, s62
	v_mul_lo_u32 v6, v6, s63
	v_add3_u32 v1, v9, v1, v3
	s_delay_alu instid0(VALU_DEP_3) | instskip(NEXT) | instid1(VALU_DEP_2)
	v_add3_u32 v0, v10, v0, v11
	v_add3_u32 v1, v5, v1, v6
	s_cbranch_scc0 .LBB489_271
	s_branch .LBB489_274
.LBB489_272:
	s_mov_b32 s41, -1
                                        ; implicit-def: $vgpr0
                                        ; implicit-def: $vgpr1
	s_branch .LBB489_277
.LBB489_273:
	v_dual_mov_b32 v2, v4 :: v_dual_mov_b32 v1, 0
.LBB489_274:
	s_and_b32 s44, s44, 3
	s_delay_alu instid0(SALU_CYCLE_1)
	s_cmp_eq_u32 s44, 0
	s_cbranch_scc1 .LBB489_277
; %bb.275:
	s_lshl_b32 s2, s42, 3
	s_mul_i32 s22, s42, 12
	s_add_u32 s2, s2, s16
	s_addc_u32 s3, s17, 0
	s_add_u32 s2, s2, 0xc4
	s_addc_u32 s3, s3, 0
	;; [unrolled: 2-line block ×3, first 2 shown]
	.p2align	6
.LBB489_276:                            ; =>This Inner Loop Header: Depth=1
	s_clause 0x1
	s_load_b64 s[46:47], s[22:23], 0x4
	s_load_b32 s42, s[22:23], 0xc
	s_load_b64 s[48:49], s[2:3], 0x0
	s_add_u32 s22, s22, 12
	s_addc_u32 s23, s23, 0
	s_add_u32 s2, s2, 8
	s_addc_u32 s3, s3, 0
	s_add_i32 s44, s44, -1
	s_delay_alu instid0(SALU_CYCLE_1) | instskip(SKIP_2) | instid1(VALU_DEP_1)
	s_cmp_lg_u32 s44, 0
	s_waitcnt vmcnt(0) lgkmcnt(0)
	v_mul_hi_u32 v3, s47, v2
	v_add_nc_u32_e32 v3, v2, v3
	s_delay_alu instid0(VALU_DEP_1) | instskip(NEXT) | instid1(VALU_DEP_1)
	v_lshrrev_b32_e32 v3, s42, v3
	v_mul_lo_u32 v5, v3, s46
	s_delay_alu instid0(VALU_DEP_1) | instskip(NEXT) | instid1(VALU_DEP_1)
	v_sub_nc_u32_e32 v2, v2, v5
	v_mad_u64_u32 v[5:6], null, v2, s48, v[0:1]
	v_mad_u64_u32 v[6:7], null, v2, s49, v[1:2]
	v_mov_b32_e32 v2, v3
	s_delay_alu instid0(VALU_DEP_2)
	v_dual_mov_b32 v0, v5 :: v_dual_mov_b32 v1, v6
	s_cbranch_scc1 .LBB489_276
.LBB489_277:
	s_and_not1_b32 vcc_lo, exec_lo, s41
	s_cbranch_vccnz .LBB489_280
; %bb.278:
	v_mul_hi_u32 v0, s13, v4
	s_and_not1_b32 vcc_lo, exec_lo, s34
	s_delay_alu instid0(VALU_DEP_1) | instskip(NEXT) | instid1(VALU_DEP_1)
	v_add_nc_u32_e32 v0, v4, v0
	v_lshrrev_b32_e32 v2, s14, v0
	s_delay_alu instid0(VALU_DEP_1) | instskip(NEXT) | instid1(VALU_DEP_1)
	v_mul_lo_u32 v0, v2, s12
	v_sub_nc_u32_e32 v1, v4, v0
	s_delay_alu instid0(VALU_DEP_1)
	v_mul_lo_u32 v0, v1, s8
	v_mul_lo_u32 v1, v1, s9
	s_cbranch_vccnz .LBB489_280
; %bb.279:
	s_waitcnt vmcnt(0)
	v_mul_hi_u32 v3, s18, v2
	s_delay_alu instid0(VALU_DEP_1) | instskip(NEXT) | instid1(VALU_DEP_1)
	v_add_nc_u32_e32 v3, v2, v3
	v_lshrrev_b32_e32 v3, s19, v3
	s_delay_alu instid0(VALU_DEP_1) | instskip(NEXT) | instid1(VALU_DEP_1)
	v_mul_lo_u32 v3, v3, s15
	v_sub_nc_u32_e32 v7, v2, v3
	s_delay_alu instid0(VALU_DEP_1) | instskip(NEXT) | instid1(VALU_DEP_1)
	v_mad_u64_u32 v[2:3], null, v7, s10, v[0:1]
	v_mad_u64_u32 v[5:6], null, v7, s11, v[1:2]
	s_delay_alu instid0(VALU_DEP_1)
	v_dual_mov_b32 v0, v2 :: v_dual_mov_b32 v1, v5
.LBB489_280:
	v_cmp_lt_i16_e64 s2, s33, 11
	s_delay_alu instid0(VALU_DEP_2) | instskip(NEXT) | instid1(VALU_DEP_1)
	v_add_co_u32 v1, s3, s6, v1
	v_add_co_ci_u32_e64 v2, null, s7, 0, s3
	s_delay_alu instid0(VALU_DEP_3)
	s_and_b32 vcc_lo, exec_lo, s2
	s_mov_b32 s2, 0
	s_cbranch_vccnz .LBB489_287
; %bb.281:
	v_cmp_gt_i16_e64 s2, s33, 25
	s_delay_alu instid0(VALU_DEP_1)
	s_and_b32 vcc_lo, exec_lo, s2
	s_cbranch_vccz .LBB489_336
; %bb.282:
	v_cmp_gt_i16_e64 s2, s33, 28
	s_delay_alu instid0(VALU_DEP_1)
	s_and_b32 vcc_lo, exec_lo, s2
	s_cbranch_vccz .LBB489_337
	;; [unrolled: 5-line block ×4, first 2 shown]
; %bb.285:
	v_cmp_eq_u16_e64 s2, s33, 46
	s_mov_b32 s3, 0
	s_delay_alu instid0(VALU_DEP_1)
	s_and_b32 vcc_lo, exec_lo, s2
	s_cbranch_vccz .LBB489_347
; %bb.286:
	global_load_b32 v5, v[1:2], off
	s_mov_b32 s2, -1
	s_mov_b32 s22, 0
	s_branch .LBB489_349
.LBB489_287:
	s_mov_b32 s22, s39
                                        ; implicit-def: $vgpr5
	s_cbranch_execnz .LBB489_486
.LBB489_288:
	s_and_not1_b32 vcc_lo, exec_lo, s2
	s_cbranch_vccnz .LBB489_534
.LBB489_289:
	s_waitcnt vmcnt(0)
	s_delay_alu instid0(VALU_DEP_1) | instskip(SKIP_3) | instid1(VALU_DEP_2)
	v_lshlrev_b32_e32 v1, 16, v5
	v_and_b32_e64 v3, 0xff, s30
	s_mov_b32 s23, 0
	s_mov_b32 s41, -1
	v_cmp_u_f32_e32 vcc_lo, v1, v1
	v_cmp_gt_f32_e64 s2, s31, v1
	v_cmp_gt_i16_e64 s3, 11, v3
	s_delay_alu instid0(VALU_DEP_2)
	s_or_b32 vcc_lo, vcc_lo, s2
	v_add_co_u32 v0, s2, s4, v0
	v_cndmask_b32_e32 v2, s29, v5, vcc_lo
	v_add_co_ci_u32_e64 v1, null, s5, 0, s2
	s_and_b32 vcc_lo, exec_lo, s3
	s_mov_b32 s2, s38
	s_cbranch_vccnz .LBB489_296
; %bb.290:
	v_cmp_lt_i16_e32 vcc_lo, 25, v3
	s_cbranch_vccz .LBB489_338
; %bb.291:
	v_cmp_lt_i16_e32 vcc_lo, 28, v3
	s_cbranch_vccz .LBB489_340
; %bb.292:
	v_cmp_lt_i16_e32 vcc_lo, 43, v3
	s_cbranch_vccz .LBB489_344
; %bb.293:
	v_cmp_lt_i16_e32 vcc_lo, 45, v3
	s_cbranch_vccz .LBB489_352
; %bb.294:
	v_cmp_eq_u16_e32 vcc_lo, 46, v3
	s_mov_b32 s3, 0
	s_mov_b32 s2, -1
	s_cbranch_vccz .LBB489_353
; %bb.295:
	v_and_b32_e32 v5, 0xffff, v2
	s_mov_b32 s23, -1
	s_mov_b32 s2, 0
	global_store_b32 v[0:1], v5, off
	s_branch .LBB489_353
.LBB489_296:
	s_and_b32 vcc_lo, exec_lo, s41
	s_cbranch_vccz .LBB489_422
; %bb.297:
	v_cmp_gt_i16_e32 vcc_lo, 5, v3
	s_mov_b32 s3, -1
	s_cbranch_vccnz .LBB489_318
; %bb.298:
	v_cmp_gt_i16_e32 vcc_lo, 8, v3
	s_cbranch_vccnz .LBB489_308
; %bb.299:
	v_cmp_gt_i16_e32 vcc_lo, 9, v3
	s_cbranch_vccnz .LBB489_305
; %bb.300:
	v_cmp_lt_i16_e32 vcc_lo, 9, v3
	s_cbranch_vccz .LBB489_302
; %bb.301:
	v_mov_b32_e32 v7, 0
	v_lshlrev_b32_e32 v5, 16, v2
	s_mov_b32 s3, 0
	s_delay_alu instid0(VALU_DEP_2) | instskip(NEXT) | instid1(VALU_DEP_2)
	v_mov_b32_e32 v8, v7
	v_cvt_f64_f32_e32 v[5:6], v5
	global_store_b128 v[0:1], v[5:8], off
.LBB489_302:
	s_and_not1_b32 vcc_lo, exec_lo, s3
	s_cbranch_vccnz .LBB489_304
; %bb.303:
	v_dual_mov_b32 v6, 0 :: v_dual_lshlrev_b32 v5, 16, v2
	global_store_b64 v[0:1], v[5:6], off
.LBB489_304:
	s_mov_b32 s3, 0
.LBB489_305:
	s_delay_alu instid0(SALU_CYCLE_1)
	s_and_not1_b32 vcc_lo, exec_lo, s3
	s_cbranch_vccnz .LBB489_307
; %bb.306:
	v_lshlrev_b32_e32 v5, 16, v2
	s_delay_alu instid0(VALU_DEP_1) | instskip(NEXT) | instid1(VALU_DEP_1)
	v_cvt_f16_f32_e32 v5, v5
	v_and_b32_e32 v5, 0xffff, v5
	global_store_b32 v[0:1], v5, off
.LBB489_307:
	s_mov_b32 s3, 0
.LBB489_308:
	s_delay_alu instid0(SALU_CYCLE_1)
	s_and_not1_b32 vcc_lo, exec_lo, s3
	s_cbranch_vccnz .LBB489_317
; %bb.309:
	v_cmp_gt_i16_e32 vcc_lo, 6, v3
	s_mov_b32 s3, -1
	s_cbranch_vccnz .LBB489_315
; %bb.310:
	v_cmp_lt_i16_e32 vcc_lo, 6, v3
	s_cbranch_vccz .LBB489_312
; %bb.311:
	v_lshlrev_b32_e32 v5, 16, v2
	s_mov_b32 s3, 0
	s_delay_alu instid0(VALU_DEP_1)
	v_cvt_f64_f32_e32 v[5:6], v5
	global_store_b64 v[0:1], v[5:6], off
.LBB489_312:
	s_and_not1_b32 vcc_lo, exec_lo, s3
	s_cbranch_vccnz .LBB489_314
; %bb.313:
	v_lshlrev_b32_e32 v5, 16, v2
	global_store_b32 v[0:1], v5, off
.LBB489_314:
	s_mov_b32 s3, 0
.LBB489_315:
	s_delay_alu instid0(SALU_CYCLE_1)
	s_and_not1_b32 vcc_lo, exec_lo, s3
	s_cbranch_vccnz .LBB489_317
; %bb.316:
	v_lshlrev_b32_e32 v5, 16, v2
	s_delay_alu instid0(VALU_DEP_1)
	v_cvt_f16_f32_e32 v5, v5
	global_store_b16 v[0:1], v5, off
.LBB489_317:
	s_mov_b32 s3, 0
.LBB489_318:
	s_delay_alu instid0(SALU_CYCLE_1)
	s_and_not1_b32 vcc_lo, exec_lo, s3
	s_cbranch_vccnz .LBB489_334
; %bb.319:
	v_cmp_gt_i16_e32 vcc_lo, 2, v3
	s_mov_b32 s3, -1
	s_cbranch_vccnz .LBB489_329
; %bb.320:
	v_cmp_gt_i16_e32 vcc_lo, 3, v3
	s_cbranch_vccnz .LBB489_326
; %bb.321:
	v_cmp_lt_i16_e32 vcc_lo, 3, v3
	s_cbranch_vccz .LBB489_323
; %bb.322:
	v_lshlrev_b32_e32 v5, 16, v2
	s_mov_b32 s3, 0
	s_delay_alu instid0(VALU_DEP_1) | instskip(NEXT) | instid1(VALU_DEP_1)
	v_trunc_f32_e32 v5, v5
	v_mul_f32_e64 v6, 0x2f800000, |v5|
	v_ashrrev_i32_e32 v8, 31, v5
	s_delay_alu instid0(VALU_DEP_2) | instskip(NEXT) | instid1(VALU_DEP_1)
	v_floor_f32_e32 v6, v6
	v_fma_f32 v7, 0xcf800000, v6, |v5|
	v_cvt_u32_f32_e32 v6, v6
	s_delay_alu instid0(VALU_DEP_2) | instskip(NEXT) | instid1(VALU_DEP_2)
	v_cvt_u32_f32_e32 v5, v7
	v_xor_b32_e32 v6, v6, v8
	s_delay_alu instid0(VALU_DEP_2) | instskip(NEXT) | instid1(VALU_DEP_1)
	v_xor_b32_e32 v5, v5, v8
	v_sub_co_u32 v5, vcc_lo, v5, v8
	s_delay_alu instid0(VALU_DEP_3)
	v_sub_co_ci_u32_e32 v6, vcc_lo, v6, v8, vcc_lo
	global_store_b64 v[0:1], v[5:6], off
.LBB489_323:
	s_and_not1_b32 vcc_lo, exec_lo, s3
	s_cbranch_vccnz .LBB489_325
; %bb.324:
	v_lshlrev_b32_e32 v5, 16, v2
	s_delay_alu instid0(VALU_DEP_1)
	v_cvt_i32_f32_e32 v5, v5
	global_store_b32 v[0:1], v5, off
.LBB489_325:
	s_mov_b32 s3, 0
.LBB489_326:
	s_delay_alu instid0(SALU_CYCLE_1)
	s_and_not1_b32 vcc_lo, exec_lo, s3
	s_cbranch_vccnz .LBB489_328
; %bb.327:
	v_lshlrev_b32_e32 v5, 16, v2
	s_delay_alu instid0(VALU_DEP_1)
	v_cvt_i32_f32_e32 v5, v5
	global_store_b16 v[0:1], v5, off
.LBB489_328:
	s_mov_b32 s3, 0
.LBB489_329:
	s_delay_alu instid0(SALU_CYCLE_1)
	s_and_not1_b32 vcc_lo, exec_lo, s3
	s_cbranch_vccnz .LBB489_334
; %bb.330:
	v_cmp_lt_i16_e32 vcc_lo, 0, v3
	s_mov_b32 s3, -1
	s_cbranch_vccz .LBB489_332
; %bb.331:
	v_lshlrev_b32_e32 v3, 16, v2
	s_mov_b32 s3, 0
	s_delay_alu instid0(VALU_DEP_1)
	v_cvt_i32_f32_e32 v3, v3
	global_store_b8 v[0:1], v3, off
.LBB489_332:
	s_and_not1_b32 vcc_lo, exec_lo, s3
	s_cbranch_vccnz .LBB489_334
; %bb.333:
	v_lshlrev_b32_e32 v2, 16, v2
	s_delay_alu instid0(VALU_DEP_1) | instskip(NEXT) | instid1(VALU_DEP_1)
	v_trunc_f32_e32 v2, v2
	v_mul_f32_e64 v3, 0x2f800000, |v2|
	s_delay_alu instid0(VALU_DEP_1) | instskip(NEXT) | instid1(VALU_DEP_1)
	v_floor_f32_e32 v3, v3
	v_fma_f32 v3, 0xcf800000, v3, |v2|
	v_ashrrev_i32_e32 v2, 31, v2
	s_delay_alu instid0(VALU_DEP_2) | instskip(NEXT) | instid1(VALU_DEP_1)
	v_cvt_u32_f32_e32 v3, v3
	v_xor_b32_e32 v3, v3, v2
	s_delay_alu instid0(VALU_DEP_1)
	v_sub_nc_u32_e32 v2, v3, v2
	global_store_b8 v[0:1], v2, off
.LBB489_334:
	s_branch .LBB489_423
.LBB489_335:
	s_mov_b32 s3, 0
	s_branch .LBB489_535
.LBB489_336:
	s_mov_b32 s3, -1
	s_mov_b32 s2, 0
	s_mov_b32 s22, s39
                                        ; implicit-def: $vgpr5
	s_branch .LBB489_450
.LBB489_337:
	s_mov_b32 s3, -1
	s_mov_b32 s2, 0
	s_mov_b32 s22, s39
                                        ; implicit-def: $vgpr5
	s_branch .LBB489_431
.LBB489_338:
	s_mov_b32 s3, -1
	s_mov_b32 s2, s38
	s_branch .LBB489_380
.LBB489_339:
	s_mov_b32 s3, -1
	s_mov_b32 s2, 0
	s_mov_b32 s22, s39
                                        ; implicit-def: $vgpr5
	s_branch .LBB489_426
.LBB489_340:
	s_mov_b32 s3, -1
	s_mov_b32 s2, s38
	s_branch .LBB489_363
.LBB489_341:
	s_or_saveexec_b32 s38, s38
                                        ; implicit-def: $sgpr39
	s_delay_alu instid0(SALU_CYCLE_1)
	s_xor_b32 exec_lo, exec_lo, s38
	s_cbranch_execz .LBB489_104
.LBB489_342:
	v_add_f32_e64 v6, 0x46000000, |v7|
	s_and_not1_b32 s3, s3, exec_lo
	s_mov_b32 s39, 0
	s_delay_alu instid0(VALU_DEP_1) | instskip(NEXT) | instid1(VALU_DEP_1)
	v_and_b32_e32 v6, 0xff, v6
	v_cmp_ne_u32_e32 vcc_lo, 0, v6
	s_and_b32 s42, vcc_lo, exec_lo
	s_delay_alu instid0(SALU_CYCLE_1)
	s_or_b32 s3, s3, s42
	s_or_b32 exec_lo, exec_lo, s38
	v_mov_b32_e32 v8, s39
	s_and_saveexec_b32 s38, s3
	s_cbranch_execnz .LBB489_105
	s_branch .LBB489_106
.LBB489_343:
	s_mov_b32 s3, -1
	s_mov_b32 s2, 0
	s_mov_b32 s22, s39
	s_branch .LBB489_348
.LBB489_344:
	s_mov_b32 s3, -1
	s_mov_b32 s2, s38
	s_branch .LBB489_359
.LBB489_345:
	s_or_saveexec_b32 s38, s38
                                        ; implicit-def: $sgpr39
	s_delay_alu instid0(SALU_CYCLE_1)
	s_xor_b32 exec_lo, exec_lo, s38
	s_cbranch_execz .LBB489_117
.LBB489_346:
	v_add_f32_e64 v6, 0x42800000, |v7|
	s_and_not1_b32 s3, s3, exec_lo
	s_mov_b32 s39, 0
	s_delay_alu instid0(VALU_DEP_1) | instskip(NEXT) | instid1(VALU_DEP_1)
	v_and_b32_e32 v6, 0xff, v6
	v_cmp_ne_u32_e32 vcc_lo, 0, v6
	s_and_b32 s42, vcc_lo, exec_lo
	s_delay_alu instid0(SALU_CYCLE_1)
	s_or_b32 s3, s3, s42
	s_or_b32 exec_lo, exec_lo, s38
	v_mov_b32_e32 v8, s39
	s_and_saveexec_b32 s38, s3
	s_cbranch_execnz .LBB489_118
	s_branch .LBB489_119
.LBB489_347:
	s_mov_b32 s22, -1
	s_mov_b32 s2, 0
.LBB489_348:
                                        ; implicit-def: $vgpr5
.LBB489_349:
	s_and_b32 vcc_lo, exec_lo, s3
	s_cbranch_vccz .LBB489_425
; %bb.350:
	v_cmp_eq_u16_e64 s3, s33, 44
	s_delay_alu instid0(VALU_DEP_1)
	s_and_b32 vcc_lo, exec_lo, s3
	s_cbranch_vccz .LBB489_424
; %bb.351:
	global_load_u8 v3, v[1:2], off
	s_mov_b32 s22, 0
	s_mov_b32 s2, -1
	s_waitcnt vmcnt(0)
	v_lshlrev_b32_e32 v5, 23, v3
	v_cmp_ne_u32_e32 vcc_lo, 0xff, v3
	s_delay_alu instid0(VALU_DEP_2) | instskip(SKIP_1) | instid1(VALU_DEP_2)
	v_cndmask_b32_e32 v5, 0x7f800001, v5, vcc_lo
	v_cmp_ne_u32_e32 vcc_lo, 0, v3
	v_cndmask_b32_e32 v3, 0x400000, v5, vcc_lo
	s_delay_alu instid0(VALU_DEP_1) | instskip(SKIP_1) | instid1(VALU_DEP_2)
	v_add_nc_u32_e32 v5, 0x7fff, v3
	v_cmp_o_f32_e32 vcc_lo, v3, v3
	v_lshrrev_b32_e32 v5, 16, v5
	s_delay_alu instid0(VALU_DEP_1)
	v_cndmask_b32_e32 v5, 0x7fc0, v5, vcc_lo
	s_branch .LBB489_425
.LBB489_352:
	s_mov_b32 s3, -1
	s_mov_b32 s2, s38
.LBB489_353:
	s_and_b32 vcc_lo, exec_lo, s3
	s_cbranch_vccz .LBB489_358
; %bb.354:
	v_cmp_eq_u16_e32 vcc_lo, 44, v3
	s_mov_b32 s2, -1
	s_cbranch_vccz .LBB489_358
; %bb.355:
	v_and_b32_e32 v5, 0xffff, v2
	v_mov_b32_e32 v6, 0xff
	s_mov_b32 s3, exec_lo
	s_delay_alu instid0(VALU_DEP_2) | instskip(NEXT) | instid1(VALU_DEP_1)
	v_bfe_u32 v7, v5, 7, 8
	v_cmpx_ne_u32_e32 0xff, v7
; %bb.356:
	v_lshlrev_b32_e32 v6, 16, v5
	v_and_b32_e32 v8, 64, v5
	v_lshrrev_b32_e32 v5, 7, v5
	s_delay_alu instid0(VALU_DEP_3) | instskip(NEXT) | instid1(VALU_DEP_3)
	v_and_or_b32 v6, 0x3f0000, v6, v7
	v_cmp_ne_u32_e32 vcc_lo, 0, v8
	s_delay_alu instid0(VALU_DEP_2) | instskip(NEXT) | instid1(VALU_DEP_1)
	v_cmp_ne_u32_e64 s2, 0, v6
	s_and_b32 s2, vcc_lo, s2
	s_delay_alu instid0(SALU_CYCLE_1) | instskip(NEXT) | instid1(VALU_DEP_1)
	v_cndmask_b32_e64 v6, 0, 1, s2
	v_add_nc_u32_e32 v6, v5, v6
; %bb.357:
	s_or_b32 exec_lo, exec_lo, s3
	s_mov_b32 s23, -1
	s_mov_b32 s2, 0
	global_store_b8 v[0:1], v6, off
.LBB489_358:
	s_mov_b32 s3, 0
.LBB489_359:
	s_delay_alu instid0(SALU_CYCLE_1)
	s_and_b32 vcc_lo, exec_lo, s3
	s_cbranch_vccz .LBB489_362
; %bb.360:
	v_cmp_eq_u16_e32 vcc_lo, 29, v3
	s_mov_b32 s2, -1
	s_cbranch_vccz .LBB489_362
; %bb.361:
	v_lshlrev_b32_e32 v5, 16, v2
	s_mov_b32 s23, -1
	s_mov_b32 s2, 0
	s_mov_b32 s3, 0
	s_delay_alu instid0(VALU_DEP_1) | instskip(NEXT) | instid1(VALU_DEP_1)
	v_trunc_f32_e32 v5, v5
	v_mul_f32_e32 v6, 0x2f800000, v5
	s_delay_alu instid0(VALU_DEP_1) | instskip(NEXT) | instid1(VALU_DEP_1)
	v_floor_f32_e32 v6, v6
	v_fmamk_f32 v5, v6, 0xcf800000, v5
	v_cvt_u32_f32_e32 v6, v6
	s_delay_alu instid0(VALU_DEP_2)
	v_cvt_u32_f32_e32 v5, v5
	global_store_b64 v[0:1], v[5:6], off
	s_branch .LBB489_363
.LBB489_362:
	s_mov_b32 s3, 0
.LBB489_363:
	s_delay_alu instid0(SALU_CYCLE_1)
	s_and_b32 vcc_lo, exec_lo, s3
	s_cbranch_vccz .LBB489_379
; %bb.364:
	v_cmp_gt_i16_e32 vcc_lo, 27, v3
	s_mov_b32 s3, -1
	s_cbranch_vccnz .LBB489_370
; %bb.365:
	v_cmp_lt_i16_e32 vcc_lo, 27, v3
	s_cbranch_vccz .LBB489_367
; %bb.366:
	v_lshlrev_b32_e32 v5, 16, v2
	s_mov_b32 s3, 0
	s_delay_alu instid0(VALU_DEP_1)
	v_cvt_u32_f32_e32 v5, v5
	global_store_b32 v[0:1], v5, off
.LBB489_367:
	s_and_not1_b32 vcc_lo, exec_lo, s3
	s_cbranch_vccnz .LBB489_369
; %bb.368:
	v_lshlrev_b32_e32 v5, 16, v2
	s_delay_alu instid0(VALU_DEP_1)
	v_cvt_u32_f32_e32 v5, v5
	global_store_b16 v[0:1], v5, off
.LBB489_369:
	s_mov_b32 s3, 0
.LBB489_370:
	s_delay_alu instid0(SALU_CYCLE_1)
	s_and_not1_b32 vcc_lo, exec_lo, s3
	s_cbranch_vccnz .LBB489_378
; %bb.371:
	v_dual_mov_b32 v8, 0x80 :: v_dual_lshlrev_b32 v7, 16, v2
	s_mov_b32 s3, exec_lo
	s_delay_alu instid0(VALU_DEP_1) | instskip(NEXT) | instid1(VALU_DEP_1)
	v_and_b32_e32 v6, 0x7fffffff, v7
	v_cmpx_gt_u32_e32 0x43800000, v6
	s_cbranch_execz .LBB489_377
; %bb.372:
	v_and_b32_e32 v5, 0xffff, v2
	v_cmp_lt_u32_e32 vcc_lo, 0x3bffffff, v6
	s_mov_b32 s23, 0
                                        ; implicit-def: $vgpr6
	s_and_saveexec_b32 s41, vcc_lo
	s_delay_alu instid0(SALU_CYCLE_1)
	s_xor_b32 s41, exec_lo, s41
	s_cbranch_execz .LBB489_563
; %bb.373:
	v_bfe_u32 v6, v5, 4, 1
	s_mov_b32 s23, exec_lo
	s_delay_alu instid0(VALU_DEP_1) | instskip(NEXT) | instid1(VALU_DEP_1)
	v_add3_u32 v6, v7, v6, 0x487ffff
                                        ; implicit-def: $vgpr7
	v_lshrrev_b32_e32 v6, 20, v6
	s_or_saveexec_b32 s41, s41
                                        ; implicit-def: $sgpr42
	s_delay_alu instid0(SALU_CYCLE_1)
	s_xor_b32 exec_lo, exec_lo, s41
	s_cbranch_execnz .LBB489_564
.LBB489_374:
	s_or_b32 exec_lo, exec_lo, s41
	v_mov_b32_e32 v8, s42
	s_and_saveexec_b32 s41, s23
.LBB489_375:
	v_lshrrev_b32_e32 v5, 8, v5
	s_delay_alu instid0(VALU_DEP_1)
	v_and_or_b32 v8, 0x80, v5, v6
.LBB489_376:
	s_or_b32 exec_lo, exec_lo, s41
.LBB489_377:
	s_delay_alu instid0(SALU_CYCLE_1)
	s_or_b32 exec_lo, exec_lo, s3
	global_store_b8 v[0:1], v8, off
.LBB489_378:
	s_mov_b32 s23, -1
.LBB489_379:
	s_mov_b32 s3, 0
.LBB489_380:
	s_delay_alu instid0(SALU_CYCLE_1)
	s_and_b32 vcc_lo, exec_lo, s3
	s_cbranch_vccz .LBB489_421
; %bb.381:
	v_cmp_lt_i16_e32 vcc_lo, 22, v3
	s_mov_b32 s3, -1
	s_cbranch_vccz .LBB489_413
; %bb.382:
	v_cmp_gt_i16_e32 vcc_lo, 24, v3
	s_cbranch_vccnz .LBB489_402
; %bb.383:
	v_cmp_lt_i16_e32 vcc_lo, 24, v3
	s_cbranch_vccz .LBB489_391
; %bb.384:
	v_dual_mov_b32 v8, 0x80 :: v_dual_lshlrev_b32 v7, 16, v2
	s_mov_b32 s3, exec_lo
	s_delay_alu instid0(VALU_DEP_1) | instskip(NEXT) | instid1(VALU_DEP_1)
	v_and_b32_e32 v6, 0x7fffffff, v7
	v_cmpx_gt_u32_e32 0x47800000, v6
	s_cbranch_execz .LBB489_390
; %bb.385:
	v_and_b32_e32 v5, 0xffff, v2
	v_cmp_lt_u32_e32 vcc_lo, 0x37ffffff, v6
	s_mov_b32 s23, 0
                                        ; implicit-def: $vgpr6
	s_and_saveexec_b32 s41, vcc_lo
	s_delay_alu instid0(SALU_CYCLE_1)
	s_xor_b32 s41, exec_lo, s41
	s_cbranch_execz .LBB489_566
; %bb.386:
	v_bfe_u32 v6, v5, 5, 1
	s_mov_b32 s23, exec_lo
	s_delay_alu instid0(VALU_DEP_1) | instskip(NEXT) | instid1(VALU_DEP_1)
	v_add3_u32 v6, v7, v6, 0x88fffff
                                        ; implicit-def: $vgpr7
	v_lshrrev_b32_e32 v6, 21, v6
	s_or_saveexec_b32 s41, s41
                                        ; implicit-def: $sgpr42
	s_delay_alu instid0(SALU_CYCLE_1)
	s_xor_b32 exec_lo, exec_lo, s41
	s_cbranch_execnz .LBB489_567
.LBB489_387:
	s_or_b32 exec_lo, exec_lo, s41
	v_mov_b32_e32 v8, s42
	s_and_saveexec_b32 s41, s23
.LBB489_388:
	v_lshrrev_b32_e32 v5, 8, v5
	s_delay_alu instid0(VALU_DEP_1)
	v_and_or_b32 v8, 0x80, v5, v6
.LBB489_389:
	s_or_b32 exec_lo, exec_lo, s41
.LBB489_390:
	s_delay_alu instid0(SALU_CYCLE_1)
	s_or_b32 exec_lo, exec_lo, s3
	s_mov_b32 s3, 0
	global_store_b8 v[0:1], v8, off
.LBB489_391:
	s_and_b32 vcc_lo, exec_lo, s3
	s_cbranch_vccz .LBB489_401
; %bb.392:
	v_lshlrev_b32_e32 v7, 16, v2
	v_and_b32_e32 v5, 0xffff, v2
	s_mov_b32 s3, exec_lo
                                        ; implicit-def: $vgpr6
	s_delay_alu instid0(VALU_DEP_2) | instskip(NEXT) | instid1(VALU_DEP_1)
	v_and_b32_e32 v8, 0x7fffffff, v7
	v_cmpx_gt_u32_e32 0x43f00000, v8
	s_xor_b32 s3, exec_lo, s3
	s_cbranch_execz .LBB489_398
; %bb.393:
	s_mov_b32 s23, exec_lo
                                        ; implicit-def: $vgpr6
	v_cmpx_lt_u32_e32 0x3c7fffff, v8
	s_xor_b32 s23, exec_lo, s23
; %bb.394:
	v_bfe_u32 v6, v5, 4, 1
	s_delay_alu instid0(VALU_DEP_1) | instskip(NEXT) | instid1(VALU_DEP_1)
	v_add3_u32 v6, v7, v6, 0x407ffff
	v_and_b32_e32 v7, 0xff00000, v6
	v_lshrrev_b32_e32 v6, 20, v6
	s_delay_alu instid0(VALU_DEP_2) | instskip(NEXT) | instid1(VALU_DEP_2)
	v_cmp_ne_u32_e32 vcc_lo, 0x7f00000, v7
                                        ; implicit-def: $vgpr7
	v_cndmask_b32_e32 v6, 0x7e, v6, vcc_lo
; %bb.395:
	s_and_not1_saveexec_b32 s23, s23
; %bb.396:
	v_add_f32_e64 v6, 0x46800000, |v7|
; %bb.397:
	s_or_b32 exec_lo, exec_lo, s23
                                        ; implicit-def: $vgpr8
.LBB489_398:
	s_and_not1_saveexec_b32 s3, s3
; %bb.399:
	v_mov_b32_e32 v6, 0x7f
	v_cmp_lt_u32_e32 vcc_lo, 0x7f800000, v8
	s_delay_alu instid0(VALU_DEP_2)
	v_cndmask_b32_e32 v6, 0x7e, v6, vcc_lo
; %bb.400:
	s_or_b32 exec_lo, exec_lo, s3
	v_lshrrev_b32_e32 v5, 8, v5
	s_delay_alu instid0(VALU_DEP_1)
	v_and_or_b32 v5, 0x80, v5, v6
	global_store_b8 v[0:1], v5, off
.LBB489_401:
	s_mov_b32 s3, 0
.LBB489_402:
	s_delay_alu instid0(SALU_CYCLE_1)
	s_and_not1_b32 vcc_lo, exec_lo, s3
	s_cbranch_vccnz .LBB489_412
; %bb.403:
	v_lshlrev_b32_e32 v7, 16, v2
	v_and_b32_e32 v5, 0xffff, v2
	s_mov_b32 s3, exec_lo
                                        ; implicit-def: $vgpr6
	s_delay_alu instid0(VALU_DEP_2) | instskip(NEXT) | instid1(VALU_DEP_1)
	v_and_b32_e32 v8, 0x7fffffff, v7
	v_cmpx_gt_u32_e32 0x47800000, v8
	s_xor_b32 s3, exec_lo, s3
	s_cbranch_execz .LBB489_409
; %bb.404:
	s_mov_b32 s23, exec_lo
                                        ; implicit-def: $vgpr6
	v_cmpx_lt_u32_e32 0x387fffff, v8
	s_xor_b32 s23, exec_lo, s23
; %bb.405:
	v_bfe_u32 v6, v5, 5, 1
	s_delay_alu instid0(VALU_DEP_1) | instskip(NEXT) | instid1(VALU_DEP_1)
	v_add3_u32 v6, v7, v6, 0x80fffff
                                        ; implicit-def: $vgpr7
	v_lshrrev_b32_e32 v6, 21, v6
; %bb.406:
	s_and_not1_saveexec_b32 s23, s23
; %bb.407:
	v_add_f32_e64 v6, 0x43000000, |v7|
; %bb.408:
	s_or_b32 exec_lo, exec_lo, s23
                                        ; implicit-def: $vgpr8
.LBB489_409:
	s_and_not1_saveexec_b32 s3, s3
; %bb.410:
	v_mov_b32_e32 v6, 0x7f
	v_cmp_lt_u32_e32 vcc_lo, 0x7f800000, v8
	s_delay_alu instid0(VALU_DEP_2)
	v_cndmask_b32_e32 v6, 0x7c, v6, vcc_lo
; %bb.411:
	s_or_b32 exec_lo, exec_lo, s3
	v_lshrrev_b32_e32 v5, 8, v5
	s_delay_alu instid0(VALU_DEP_1)
	v_and_or_b32 v5, 0x80, v5, v6
	global_store_b8 v[0:1], v5, off
.LBB489_412:
	s_mov_b32 s3, 0
	s_mov_b32 s23, -1
.LBB489_413:
	s_and_not1_b32 vcc_lo, exec_lo, s3
	s_cbranch_vccnz .LBB489_421
; %bb.414:
	v_cmp_lt_i16_e32 vcc_lo, 14, v3
	s_mov_b32 s3, -1
	s_cbranch_vccz .LBB489_418
; %bb.415:
	v_cmp_eq_u16_e32 vcc_lo, 15, v3
	s_mov_b32 s2, -1
	s_cbranch_vccz .LBB489_417
; %bb.416:
	s_mov_b32 s23, -1
	s_mov_b32 s2, 0
	global_store_b16 v[0:1], v2, off
.LBB489_417:
	s_mov_b32 s3, 0
.LBB489_418:
	s_delay_alu instid0(SALU_CYCLE_1)
	s_and_b32 vcc_lo, exec_lo, s3
	s_cbranch_vccz .LBB489_421
; %bb.419:
	v_cmp_eq_u16_e32 vcc_lo, 11, v3
	s_mov_b32 s2, -1
	s_cbranch_vccz .LBB489_421
; %bb.420:
	v_and_b32_e32 v5, 0x7fff, v2
	s_mov_b32 s2, 0
	s_mov_b32 s23, -1
	s_delay_alu instid0(VALU_DEP_1)
	v_cmp_ne_u16_e32 vcc_lo, 0, v5
	v_cndmask_b32_e64 v5, 0, 1, vcc_lo
	global_store_b8 v[0:1], v5, off
.LBB489_421:
.LBB489_422:
	s_and_not1_b32 vcc_lo, exec_lo, s23
	s_cbranch_vccnz .LBB489_335
.LBB489_423:
	v_add_nc_u32_e32 v4, 0x80, v4
	s_mov_b32 s3, -1
	s_branch .LBB489_536
.LBB489_424:
	s_mov_b32 s22, -1
                                        ; implicit-def: $vgpr5
.LBB489_425:
	s_mov_b32 s3, 0
.LBB489_426:
	s_delay_alu instid0(SALU_CYCLE_1)
	s_and_b32 vcc_lo, exec_lo, s3
	s_cbranch_vccz .LBB489_430
; %bb.427:
	v_cmp_eq_u16_e64 s3, s33, 29
	s_delay_alu instid0(VALU_DEP_1)
	s_and_b32 vcc_lo, exec_lo, s3
	s_cbranch_vccz .LBB489_429
; %bb.428:
	global_load_b64 v[5:6], v[1:2], off
	s_mov_b32 s2, -1
	s_mov_b32 s22, 0
	s_mov_b32 s3, 0
	s_waitcnt vmcnt(0)
	v_clz_i32_u32_e32 v3, v6
	s_delay_alu instid0(VALU_DEP_1) | instskip(NEXT) | instid1(VALU_DEP_1)
	v_min_u32_e32 v3, 32, v3
	v_lshlrev_b64 v[5:6], v3, v[5:6]
	v_sub_nc_u32_e32 v3, 32, v3
	s_delay_alu instid0(VALU_DEP_2) | instskip(NEXT) | instid1(VALU_DEP_1)
	v_min_u32_e32 v5, 1, v5
	v_or_b32_e32 v5, v6, v5
	s_delay_alu instid0(VALU_DEP_1) | instskip(NEXT) | instid1(VALU_DEP_1)
	v_cvt_f32_u32_e32 v5, v5
	v_ldexp_f32 v3, v5, v3
	s_delay_alu instid0(VALU_DEP_1) | instskip(NEXT) | instid1(VALU_DEP_1)
	v_bfe_u32 v5, v3, 16, 1
	v_add3_u32 v3, v3, v5, 0x7fff
	s_delay_alu instid0(VALU_DEP_1)
	v_lshrrev_b32_e32 v5, 16, v3
	s_branch .LBB489_431
.LBB489_429:
	s_mov_b32 s22, -1
                                        ; implicit-def: $vgpr5
.LBB489_430:
	s_mov_b32 s3, 0
.LBB489_431:
	s_delay_alu instid0(SALU_CYCLE_1)
	s_and_b32 vcc_lo, exec_lo, s3
	s_cbranch_vccz .LBB489_449
; %bb.432:
	v_cmp_lt_i16_e64 s2, s33, 27
	s_delay_alu instid0(VALU_DEP_1)
	s_and_b32 vcc_lo, exec_lo, s2
	s_cbranch_vccnz .LBB489_435
; %bb.433:
	v_cmp_gt_i16_e64 s2, s33, 27
	s_delay_alu instid0(VALU_DEP_1)
	s_and_b32 vcc_lo, exec_lo, s2
	s_cbranch_vccz .LBB489_436
; %bb.434:
	global_load_b32 v3, v[1:2], off
	s_mov_b32 s2, 0
	s_waitcnt vmcnt(0)
	v_cvt_f32_u32_e32 v3, v3
	s_delay_alu instid0(VALU_DEP_1) | instskip(NEXT) | instid1(VALU_DEP_1)
	v_bfe_u32 v5, v3, 16, 1
	v_add3_u32 v3, v3, v5, 0x7fff
	s_delay_alu instid0(VALU_DEP_1)
	v_lshrrev_b32_e32 v5, 16, v3
	s_branch .LBB489_437
.LBB489_435:
	s_mov_b32 s2, -1
                                        ; implicit-def: $vgpr5
	s_branch .LBB489_440
.LBB489_436:
	s_mov_b32 s2, -1
                                        ; implicit-def: $vgpr5
.LBB489_437:
	s_delay_alu instid0(SALU_CYCLE_1)
	s_and_not1_b32 vcc_lo, exec_lo, s2
	s_cbranch_vccnz .LBB489_439
; %bb.438:
	global_load_u16 v3, v[1:2], off
	s_waitcnt vmcnt(0)
	v_cvt_f32_u32_e32 v3, v3
	s_delay_alu instid0(VALU_DEP_1) | instskip(NEXT) | instid1(VALU_DEP_1)
	v_bfe_u32 v5, v3, 16, 1
	v_add3_u32 v3, v3, v5, 0x7fff
	s_delay_alu instid0(VALU_DEP_1)
	v_lshrrev_b32_e32 v5, 16, v3
.LBB489_439:
	s_mov_b32 s2, 0
.LBB489_440:
	s_delay_alu instid0(SALU_CYCLE_1)
	s_and_not1_b32 vcc_lo, exec_lo, s2
	s_cbranch_vccnz .LBB489_448
; %bb.441:
	global_load_u8 v3, v[1:2], off
	s_mov_b32 s2, 0
	s_mov_b32 s23, exec_lo
                                        ; implicit-def: $sgpr3
	s_waitcnt vmcnt(0)
	v_cmpx_lt_i16_e32 0x7f, v3
	s_xor_b32 s23, exec_lo, s23
	s_cbranch_execz .LBB489_462
; %bb.442:
	s_mov_b32 s2, -1
	s_mov_b32 s41, exec_lo
                                        ; implicit-def: $sgpr3
	v_cmpx_eq_u16_e32 0x80, v3
; %bb.443:
	s_mov_b32 s3, 0x7f800001
	s_xor_b32 s2, exec_lo, -1
; %bb.444:
	s_or_b32 exec_lo, exec_lo, s41
	s_delay_alu instid0(SALU_CYCLE_1)
	s_and_b32 s2, s2, exec_lo
	s_or_saveexec_b32 s23, s23
	v_mov_b32_e32 v5, s3
	s_xor_b32 exec_lo, exec_lo, s23
	s_cbranch_execnz .LBB489_463
.LBB489_445:
	s_or_b32 exec_lo, exec_lo, s23
	s_and_saveexec_b32 s3, s2
	s_cbranch_execz .LBB489_447
.LBB489_446:
	v_and_b32_e32 v5, 0xffff, v3
	v_lshlrev_b32_e32 v3, 24, v3
	s_delay_alu instid0(VALU_DEP_2) | instskip(NEXT) | instid1(VALU_DEP_2)
	v_and_b32_e32 v6, 7, v5
	v_and_b32_e32 v3, 0x80000000, v3
	s_delay_alu instid0(VALU_DEP_2) | instskip(NEXT) | instid1(VALU_DEP_1)
	v_clz_i32_u32_e32 v7, v6
	v_min_u32_e32 v7, 32, v7
	s_delay_alu instid0(VALU_DEP_1) | instskip(SKIP_1) | instid1(VALU_DEP_2)
	v_subrev_nc_u32_e32 v8, 28, v7
	v_sub_nc_u32_e32 v7, 29, v7
	v_lshlrev_b32_e32 v8, v8, v5
	v_bfe_u32 v5, v5, 3, 4
	s_delay_alu instid0(VALU_DEP_2) | instskip(NEXT) | instid1(VALU_DEP_2)
	v_and_b32_e32 v8, 7, v8
	v_cmp_eq_u32_e32 vcc_lo, 0, v5
	s_delay_alu instid0(VALU_DEP_2) | instskip(NEXT) | instid1(VALU_DEP_1)
	v_dual_cndmask_b32 v5, v5, v7 :: v_dual_cndmask_b32 v6, v6, v8
	v_lshl_add_u32 v5, v5, 23, 0x3b800000
	s_delay_alu instid0(VALU_DEP_2) | instskip(NEXT) | instid1(VALU_DEP_1)
	v_lshlrev_b32_e32 v6, 20, v6
	v_or3_b32 v5, v3, v5, v6
.LBB489_447:
	s_or_b32 exec_lo, exec_lo, s3
	s_delay_alu instid0(VALU_DEP_1) | instskip(SKIP_1) | instid1(VALU_DEP_2)
	v_bfe_u32 v3, v5, 16, 1
	v_cmp_o_f32_e32 vcc_lo, v5, v5
	v_add3_u32 v3, v5, v3, 0x7fff
	s_delay_alu instid0(VALU_DEP_1) | instskip(NEXT) | instid1(VALU_DEP_1)
	v_lshrrev_b32_e32 v3, 16, v3
	v_cndmask_b32_e32 v5, 0x7fc0, v3, vcc_lo
.LBB489_448:
	s_mov_b32 s2, -1
.LBB489_449:
	s_mov_b32 s3, 0
.LBB489_450:
	s_delay_alu instid0(SALU_CYCLE_1)
	s_and_b32 vcc_lo, exec_lo, s3
	s_cbranch_vccz .LBB489_485
; %bb.451:
	v_cmp_gt_i16_e64 s3, s33, 22
	s_delay_alu instid0(VALU_DEP_1)
	s_and_b32 vcc_lo, exec_lo, s3
	s_cbranch_vccz .LBB489_461
; %bb.452:
	v_cmp_lt_i16_e64 s2, s33, 24
	s_delay_alu instid0(VALU_DEP_1)
	s_and_b32 vcc_lo, exec_lo, s2
	s_cbranch_vccnz .LBB489_464
; %bb.453:
	v_cmp_gt_i16_e64 s2, s33, 24
	s_delay_alu instid0(VALU_DEP_1)
	s_and_b32 vcc_lo, exec_lo, s2
	s_cbranch_vccz .LBB489_465
; %bb.454:
	global_load_u8 v3, v[1:2], off
	s_mov_b32 s2, 0
	s_mov_b32 s23, exec_lo
                                        ; implicit-def: $sgpr3
	s_waitcnt vmcnt(0)
	v_cmpx_lt_i16_e32 0x7f, v3
	s_xor_b32 s23, exec_lo, s23
	s_cbranch_execz .LBB489_477
; %bb.455:
	s_mov_b32 s2, -1
	s_mov_b32 s41, exec_lo
                                        ; implicit-def: $sgpr3
	v_cmpx_eq_u16_e32 0x80, v3
; %bb.456:
	s_mov_b32 s3, 0x7f800001
	s_xor_b32 s2, exec_lo, -1
; %bb.457:
	s_or_b32 exec_lo, exec_lo, s41
	s_delay_alu instid0(SALU_CYCLE_1)
	s_and_b32 s2, s2, exec_lo
	s_or_saveexec_b32 s23, s23
	v_mov_b32_e32 v5, s3
	s_xor_b32 exec_lo, exec_lo, s23
	s_cbranch_execnz .LBB489_478
.LBB489_458:
	s_or_b32 exec_lo, exec_lo, s23
	s_and_saveexec_b32 s3, s2
	s_cbranch_execz .LBB489_460
.LBB489_459:
	v_and_b32_e32 v5, 0xffff, v3
	v_lshlrev_b32_e32 v3, 24, v3
	s_delay_alu instid0(VALU_DEP_2) | instskip(NEXT) | instid1(VALU_DEP_2)
	v_and_b32_e32 v6, 3, v5
	v_and_b32_e32 v3, 0x80000000, v3
	s_delay_alu instid0(VALU_DEP_2) | instskip(NEXT) | instid1(VALU_DEP_1)
	v_clz_i32_u32_e32 v7, v6
	v_min_u32_e32 v7, 32, v7
	s_delay_alu instid0(VALU_DEP_1) | instskip(SKIP_1) | instid1(VALU_DEP_2)
	v_subrev_nc_u32_e32 v8, 29, v7
	v_sub_nc_u32_e32 v7, 30, v7
	v_lshlrev_b32_e32 v8, v8, v5
	v_bfe_u32 v5, v5, 2, 5
	s_delay_alu instid0(VALU_DEP_2) | instskip(NEXT) | instid1(VALU_DEP_2)
	v_and_b32_e32 v8, 3, v8
	v_cmp_eq_u32_e32 vcc_lo, 0, v5
	s_delay_alu instid0(VALU_DEP_2) | instskip(NEXT) | instid1(VALU_DEP_1)
	v_dual_cndmask_b32 v5, v5, v7 :: v_dual_cndmask_b32 v6, v6, v8
	v_lshl_add_u32 v5, v5, 23, 0x37800000
	s_delay_alu instid0(VALU_DEP_2) | instskip(NEXT) | instid1(VALU_DEP_1)
	v_lshlrev_b32_e32 v6, 21, v6
	v_or3_b32 v5, v3, v5, v6
.LBB489_460:
	s_or_b32 exec_lo, exec_lo, s3
	s_delay_alu instid0(VALU_DEP_1) | instskip(SKIP_2) | instid1(VALU_DEP_2)
	v_bfe_u32 v3, v5, 16, 1
	v_cmp_o_f32_e32 vcc_lo, v5, v5
	s_mov_b32 s2, 0
	v_add3_u32 v3, v5, v3, 0x7fff
	s_delay_alu instid0(VALU_DEP_1) | instskip(NEXT) | instid1(VALU_DEP_1)
	v_lshrrev_b32_e32 v3, 16, v3
	v_cndmask_b32_e32 v5, 0x7fc0, v3, vcc_lo
	s_branch .LBB489_466
.LBB489_461:
	s_mov_b32 s3, -1
                                        ; implicit-def: $vgpr5
	s_branch .LBB489_472
.LBB489_462:
	s_or_saveexec_b32 s23, s23
	v_mov_b32_e32 v5, s3
	s_xor_b32 exec_lo, exec_lo, s23
	s_cbranch_execz .LBB489_445
.LBB489_463:
	v_cmp_ne_u16_e32 vcc_lo, 0, v3
	v_mov_b32_e32 v5, 0
	s_and_not1_b32 s2, s2, exec_lo
	s_and_b32 s3, vcc_lo, exec_lo
	s_delay_alu instid0(SALU_CYCLE_1)
	s_or_b32 s2, s2, s3
	s_or_b32 exec_lo, exec_lo, s23
	s_and_saveexec_b32 s3, s2
	s_cbranch_execnz .LBB489_446
	s_branch .LBB489_447
.LBB489_464:
	s_mov_b32 s2, -1
                                        ; implicit-def: $vgpr5
	s_branch .LBB489_469
.LBB489_465:
	s_mov_b32 s2, -1
                                        ; implicit-def: $vgpr5
.LBB489_466:
	s_delay_alu instid0(SALU_CYCLE_1)
	s_and_b32 vcc_lo, exec_lo, s2
	s_cbranch_vccz .LBB489_468
; %bb.467:
	global_load_u8 v3, v[1:2], off
	s_waitcnt vmcnt(0)
	v_lshlrev_b32_e32 v3, 24, v3
	s_delay_alu instid0(VALU_DEP_1) | instskip(NEXT) | instid1(VALU_DEP_1)
	v_and_b32_e32 v5, 0x7f000000, v3
	v_clz_i32_u32_e32 v6, v5
	v_cmp_ne_u32_e32 vcc_lo, 0, v5
	v_add_nc_u32_e32 v8, 0x1000000, v5
	s_delay_alu instid0(VALU_DEP_3) | instskip(NEXT) | instid1(VALU_DEP_1)
	v_min_u32_e32 v6, 32, v6
	v_sub_nc_u32_e64 v6, v6, 4 clamp
	s_delay_alu instid0(VALU_DEP_1) | instskip(SKIP_1) | instid1(VALU_DEP_2)
	v_lshlrev_b32_e32 v7, v6, v5
	v_lshlrev_b32_e32 v6, 23, v6
	v_lshrrev_b32_e32 v7, 4, v7
	s_delay_alu instid0(VALU_DEP_1) | instskip(SKIP_1) | instid1(VALU_DEP_2)
	v_sub_nc_u32_e32 v6, v7, v6
	v_ashrrev_i32_e32 v7, 8, v8
	v_add_nc_u32_e32 v6, 0x3c000000, v6
	s_delay_alu instid0(VALU_DEP_1) | instskip(NEXT) | instid1(VALU_DEP_1)
	v_and_or_b32 v6, 0x7f800000, v7, v6
	v_cndmask_b32_e32 v5, 0, v6, vcc_lo
	s_delay_alu instid0(VALU_DEP_1) | instskip(SKIP_1) | instid1(VALU_DEP_2)
	v_and_or_b32 v3, 0x80000000, v3, v5
	v_bfe_u32 v5, v5, 16, 1
	v_cmp_o_f32_e32 vcc_lo, v3, v3
	s_delay_alu instid0(VALU_DEP_2) | instskip(NEXT) | instid1(VALU_DEP_1)
	v_add3_u32 v5, v3, v5, 0x7fff
	v_lshrrev_b32_e32 v5, 16, v5
	s_delay_alu instid0(VALU_DEP_1)
	v_cndmask_b32_e32 v5, 0x7fc0, v5, vcc_lo
.LBB489_468:
	s_mov_b32 s2, 0
.LBB489_469:
	s_delay_alu instid0(SALU_CYCLE_1)
	s_and_not1_b32 vcc_lo, exec_lo, s2
	s_cbranch_vccnz .LBB489_471
; %bb.470:
	global_load_u8 v3, v[1:2], off
	s_waitcnt vmcnt(0)
	v_lshlrev_b32_e32 v5, 25, v3
	v_lshlrev_b16 v3, 8, v3
	s_delay_alu instid0(VALU_DEP_2) | instskip(NEXT) | instid1(VALU_DEP_2)
	v_lshrrev_b32_e32 v6, 4, v5
	v_and_or_b32 v7, 0x7f00, v3, 0.5
	v_bfe_i32 v3, v3, 0, 16
	s_delay_alu instid0(VALU_DEP_3) | instskip(NEXT) | instid1(VALU_DEP_1)
	v_or_b32_e32 v6, 0x70000000, v6
	v_dual_add_f32 v7, -0.5, v7 :: v_dual_mul_f32 v6, 0x7800000, v6
	v_cmp_gt_u32_e32 vcc_lo, 0x8000000, v5
	s_delay_alu instid0(VALU_DEP_2) | instskip(NEXT) | instid1(VALU_DEP_1)
	v_cndmask_b32_e32 v5, v6, v7, vcc_lo
	v_and_or_b32 v3, 0x80000000, v3, v5
	v_bfe_u32 v5, v5, 16, 1
	s_delay_alu instid0(VALU_DEP_2) | instskip(NEXT) | instid1(VALU_DEP_2)
	v_cmp_o_f32_e32 vcc_lo, v3, v3
	v_add3_u32 v5, v3, v5, 0x7fff
	s_delay_alu instid0(VALU_DEP_1) | instskip(NEXT) | instid1(VALU_DEP_1)
	v_lshrrev_b32_e32 v5, 16, v5
	v_cndmask_b32_e32 v5, 0x7fc0, v5, vcc_lo
.LBB489_471:
	s_mov_b32 s3, 0
	s_mov_b32 s2, -1
.LBB489_472:
	s_and_not1_b32 vcc_lo, exec_lo, s3
	s_cbranch_vccnz .LBB489_485
; %bb.473:
	v_cmp_gt_i16_e64 s3, s33, 14
	s_delay_alu instid0(VALU_DEP_1)
	s_and_b32 vcc_lo, exec_lo, s3
	s_cbranch_vccz .LBB489_476
; %bb.474:
	v_cmp_eq_u16_e64 s3, s33, 15
	s_delay_alu instid0(VALU_DEP_1)
	s_and_b32 vcc_lo, exec_lo, s3
	s_cbranch_vccz .LBB489_479
; %bb.475:
	global_load_u16 v5, v[1:2], off
	s_mov_b32 s2, -1
	s_mov_b32 s22, 0
	s_branch .LBB489_480
.LBB489_476:
	s_mov_b32 s3, -1
                                        ; implicit-def: $vgpr5
	s_branch .LBB489_481
.LBB489_477:
	s_or_saveexec_b32 s23, s23
	v_mov_b32_e32 v5, s3
	s_xor_b32 exec_lo, exec_lo, s23
	s_cbranch_execz .LBB489_458
.LBB489_478:
	v_cmp_ne_u16_e32 vcc_lo, 0, v3
	v_mov_b32_e32 v5, 0
	s_and_not1_b32 s2, s2, exec_lo
	s_and_b32 s3, vcc_lo, exec_lo
	s_delay_alu instid0(SALU_CYCLE_1)
	s_or_b32 s2, s2, s3
	s_or_b32 exec_lo, exec_lo, s23
	s_and_saveexec_b32 s3, s2
	s_cbranch_execnz .LBB489_459
	s_branch .LBB489_460
.LBB489_479:
	s_mov_b32 s22, -1
                                        ; implicit-def: $vgpr5
.LBB489_480:
	s_mov_b32 s3, 0
.LBB489_481:
	s_delay_alu instid0(SALU_CYCLE_1)
	s_and_b32 vcc_lo, exec_lo, s3
	s_cbranch_vccz .LBB489_485
; %bb.482:
	v_cmp_eq_u16_e64 s3, s33, 11
	s_delay_alu instid0(VALU_DEP_1)
	s_and_b32 vcc_lo, exec_lo, s3
	s_cbranch_vccz .LBB489_484
; %bb.483:
	global_load_u8 v3, v[1:2], off
	s_mov_b32 s22, 0
	s_mov_b32 s2, -1
	s_waitcnt vmcnt(0)
	v_cmp_ne_u16_e32 vcc_lo, 0, v3
	v_cndmask_b32_e64 v3, 0, 1.0, vcc_lo
	s_delay_alu instid0(VALU_DEP_1)
	v_lshrrev_b32_e32 v5, 16, v3
	s_branch .LBB489_485
.LBB489_484:
	s_mov_b32 s22, -1
                                        ; implicit-def: $vgpr5
.LBB489_485:
	s_branch .LBB489_288
.LBB489_486:
	v_cmp_lt_i16_e64 s2, s33, 5
	s_delay_alu instid0(VALU_DEP_1)
	s_and_b32 vcc_lo, exec_lo, s2
	s_cbranch_vccnz .LBB489_491
; %bb.487:
	v_cmp_lt_i16_e64 s2, s33, 8
	s_delay_alu instid0(VALU_DEP_1)
	s_and_b32 vcc_lo, exec_lo, s2
	s_cbranch_vccnz .LBB489_492
; %bb.488:
	;; [unrolled: 5-line block ×3, first 2 shown]
	v_cmp_gt_i16_e64 s2, s33, 9
	s_delay_alu instid0(VALU_DEP_1)
	s_and_b32 vcc_lo, exec_lo, s2
	s_cbranch_vccz .LBB489_494
; %bb.490:
	global_load_b64 v[5:6], v[1:2], off
	s_mov_b32 s2, 0
	s_waitcnt vmcnt(0)
	v_cvt_f32_f64_e32 v3, v[5:6]
	s_delay_alu instid0(VALU_DEP_1) | instskip(SKIP_1) | instid1(VALU_DEP_2)
	v_bfe_u32 v5, v3, 16, 1
	v_cmp_o_f32_e32 vcc_lo, v3, v3
	v_add3_u32 v5, v3, v5, 0x7fff
	s_delay_alu instid0(VALU_DEP_1) | instskip(NEXT) | instid1(VALU_DEP_1)
	v_lshrrev_b32_e32 v5, 16, v5
	v_cndmask_b32_e32 v5, 0x7fc0, v5, vcc_lo
	s_branch .LBB489_495
.LBB489_491:
	s_mov_b32 s2, -1
                                        ; implicit-def: $vgpr5
	s_branch .LBB489_513
.LBB489_492:
	s_mov_b32 s2, -1
                                        ; implicit-def: $vgpr5
	s_branch .LBB489_501
.LBB489_493:
	s_mov_b32 s2, -1
                                        ; implicit-def: $vgpr5
	s_branch .LBB489_498
.LBB489_494:
	s_mov_b32 s2, -1
                                        ; implicit-def: $vgpr5
.LBB489_495:
	s_delay_alu instid0(SALU_CYCLE_1)
	s_and_not1_b32 vcc_lo, exec_lo, s2
	s_cbranch_vccnz .LBB489_497
; %bb.496:
	global_load_b32 v3, v[1:2], off
	s_waitcnt vmcnt(0)
	v_bfe_u32 v5, v3, 16, 1
	v_cmp_o_f32_e32 vcc_lo, v3, v3
	s_delay_alu instid0(VALU_DEP_2) | instskip(NEXT) | instid1(VALU_DEP_1)
	v_add3_u32 v5, v3, v5, 0x7fff
	v_lshrrev_b32_e32 v5, 16, v5
	s_delay_alu instid0(VALU_DEP_1)
	v_cndmask_b32_e32 v5, 0x7fc0, v5, vcc_lo
.LBB489_497:
	s_mov_b32 s2, 0
.LBB489_498:
	s_delay_alu instid0(SALU_CYCLE_1)
	s_and_not1_b32 vcc_lo, exec_lo, s2
	s_cbranch_vccnz .LBB489_500
; %bb.499:
	global_load_b32 v3, v[1:2], off
	s_waitcnt vmcnt(0)
	v_cvt_f32_f16_e32 v5, v3
	v_cmp_o_f16_e32 vcc_lo, v3, v3
	s_delay_alu instid0(VALU_DEP_2) | instskip(NEXT) | instid1(VALU_DEP_1)
	v_bfe_u32 v6, v5, 16, 1
	v_add3_u32 v5, v5, v6, 0x7fff
	s_delay_alu instid0(VALU_DEP_1) | instskip(NEXT) | instid1(VALU_DEP_1)
	v_lshrrev_b32_e32 v5, 16, v5
	v_cndmask_b32_e32 v5, 0x7fc0, v5, vcc_lo
.LBB489_500:
	s_mov_b32 s2, 0
.LBB489_501:
	s_delay_alu instid0(SALU_CYCLE_1)
	s_and_not1_b32 vcc_lo, exec_lo, s2
	s_cbranch_vccnz .LBB489_512
; %bb.502:
	v_cmp_lt_i16_e64 s2, s33, 6
	s_delay_alu instid0(VALU_DEP_1)
	s_and_b32 vcc_lo, exec_lo, s2
	s_cbranch_vccnz .LBB489_505
; %bb.503:
	v_cmp_gt_i16_e64 s2, s33, 6
	s_delay_alu instid0(VALU_DEP_1)
	s_and_b32 vcc_lo, exec_lo, s2
	s_cbranch_vccz .LBB489_506
; %bb.504:
	global_load_b64 v[5:6], v[1:2], off
	s_mov_b32 s2, 0
	s_waitcnt vmcnt(0)
	v_cvt_f32_f64_e32 v3, v[5:6]
	s_delay_alu instid0(VALU_DEP_1) | instskip(SKIP_1) | instid1(VALU_DEP_2)
	v_bfe_u32 v5, v3, 16, 1
	v_cmp_o_f32_e32 vcc_lo, v3, v3
	v_add3_u32 v5, v3, v5, 0x7fff
	s_delay_alu instid0(VALU_DEP_1) | instskip(NEXT) | instid1(VALU_DEP_1)
	v_lshrrev_b32_e32 v5, 16, v5
	v_cndmask_b32_e32 v5, 0x7fc0, v5, vcc_lo
	s_branch .LBB489_507
.LBB489_505:
	s_mov_b32 s2, -1
                                        ; implicit-def: $vgpr5
	s_branch .LBB489_510
.LBB489_506:
	s_mov_b32 s2, -1
                                        ; implicit-def: $vgpr5
.LBB489_507:
	s_delay_alu instid0(SALU_CYCLE_1)
	s_and_not1_b32 vcc_lo, exec_lo, s2
	s_cbranch_vccnz .LBB489_509
; %bb.508:
	global_load_b32 v3, v[1:2], off
	s_waitcnt vmcnt(0)
	v_bfe_u32 v5, v3, 16, 1
	v_cmp_o_f32_e32 vcc_lo, v3, v3
	s_delay_alu instid0(VALU_DEP_2) | instskip(NEXT) | instid1(VALU_DEP_1)
	v_add3_u32 v5, v3, v5, 0x7fff
	v_lshrrev_b32_e32 v5, 16, v5
	s_delay_alu instid0(VALU_DEP_1)
	v_cndmask_b32_e32 v5, 0x7fc0, v5, vcc_lo
.LBB489_509:
	s_mov_b32 s2, 0
.LBB489_510:
	s_delay_alu instid0(SALU_CYCLE_1)
	s_and_not1_b32 vcc_lo, exec_lo, s2
	s_cbranch_vccnz .LBB489_512
; %bb.511:
	global_load_u16 v3, v[1:2], off
	s_waitcnt vmcnt(0)
	v_cvt_f32_f16_e32 v5, v3
	v_cmp_o_f16_e32 vcc_lo, v3, v3
	s_delay_alu instid0(VALU_DEP_2) | instskip(NEXT) | instid1(VALU_DEP_1)
	v_bfe_u32 v6, v5, 16, 1
	v_add3_u32 v5, v5, v6, 0x7fff
	s_delay_alu instid0(VALU_DEP_1) | instskip(NEXT) | instid1(VALU_DEP_1)
	v_lshrrev_b32_e32 v5, 16, v5
	v_cndmask_b32_e32 v5, 0x7fc0, v5, vcc_lo
.LBB489_512:
	s_mov_b32 s2, 0
.LBB489_513:
	s_delay_alu instid0(SALU_CYCLE_1)
	s_and_not1_b32 vcc_lo, exec_lo, s2
	s_cbranch_vccnz .LBB489_533
; %bb.514:
	v_cmp_lt_i16_e64 s2, s33, 2
	s_delay_alu instid0(VALU_DEP_1)
	s_and_b32 vcc_lo, exec_lo, s2
	s_cbranch_vccnz .LBB489_518
; %bb.515:
	v_cmp_lt_i16_e64 s2, s33, 3
	s_delay_alu instid0(VALU_DEP_1)
	s_and_b32 vcc_lo, exec_lo, s2
	s_cbranch_vccnz .LBB489_519
; %bb.516:
	v_cmp_gt_i16_e64 s2, s33, 3
	s_delay_alu instid0(VALU_DEP_1)
	s_and_b32 vcc_lo, exec_lo, s2
	s_cbranch_vccz .LBB489_520
; %bb.517:
	global_load_b64 v[5:6], v[1:2], off
	s_mov_b32 s2, 0
	s_waitcnt vmcnt(0)
	v_xor_b32_e32 v3, v5, v6
	v_cls_i32_e32 v7, v6
	s_delay_alu instid0(VALU_DEP_2) | instskip(NEXT) | instid1(VALU_DEP_2)
	v_ashrrev_i32_e32 v3, 31, v3
	v_add_nc_u32_e32 v7, -1, v7
	s_delay_alu instid0(VALU_DEP_2) | instskip(NEXT) | instid1(VALU_DEP_1)
	v_add_nc_u32_e32 v3, 32, v3
	v_min_u32_e32 v3, v7, v3
	s_delay_alu instid0(VALU_DEP_1) | instskip(SKIP_1) | instid1(VALU_DEP_2)
	v_lshlrev_b64 v[5:6], v3, v[5:6]
	v_sub_nc_u32_e32 v3, 32, v3
	v_min_u32_e32 v5, 1, v5
	s_delay_alu instid0(VALU_DEP_1) | instskip(NEXT) | instid1(VALU_DEP_1)
	v_or_b32_e32 v5, v6, v5
	v_cvt_f32_i32_e32 v5, v5
	s_delay_alu instid0(VALU_DEP_1) | instskip(NEXT) | instid1(VALU_DEP_1)
	v_ldexp_f32 v3, v5, v3
	v_bfe_u32 v5, v3, 16, 1
	s_delay_alu instid0(VALU_DEP_1) | instskip(NEXT) | instid1(VALU_DEP_1)
	v_add3_u32 v3, v3, v5, 0x7fff
	v_lshrrev_b32_e32 v5, 16, v3
	s_branch .LBB489_521
.LBB489_518:
	s_mov_b32 s2, -1
                                        ; implicit-def: $vgpr5
	s_branch .LBB489_527
.LBB489_519:
	s_mov_b32 s2, -1
                                        ; implicit-def: $vgpr5
	s_branch .LBB489_524
.LBB489_520:
	s_mov_b32 s2, -1
                                        ; implicit-def: $vgpr5
.LBB489_521:
	s_delay_alu instid0(SALU_CYCLE_1)
	s_and_not1_b32 vcc_lo, exec_lo, s2
	s_cbranch_vccnz .LBB489_523
; %bb.522:
	global_load_b32 v3, v[1:2], off
	s_waitcnt vmcnt(0)
	v_cvt_f32_i32_e32 v3, v3
	s_delay_alu instid0(VALU_DEP_1) | instskip(NEXT) | instid1(VALU_DEP_1)
	v_bfe_u32 v5, v3, 16, 1
	v_add3_u32 v3, v3, v5, 0x7fff
	s_delay_alu instid0(VALU_DEP_1)
	v_lshrrev_b32_e32 v5, 16, v3
.LBB489_523:
	s_mov_b32 s2, 0
.LBB489_524:
	s_delay_alu instid0(SALU_CYCLE_1)
	s_and_not1_b32 vcc_lo, exec_lo, s2
	s_cbranch_vccnz .LBB489_526
; %bb.525:
	global_load_i16 v3, v[1:2], off
	s_waitcnt vmcnt(0)
	v_cvt_f32_i32_e32 v3, v3
	s_delay_alu instid0(VALU_DEP_1) | instskip(NEXT) | instid1(VALU_DEP_1)
	v_bfe_u32 v5, v3, 16, 1
	v_add3_u32 v3, v3, v5, 0x7fff
	s_delay_alu instid0(VALU_DEP_1)
	v_lshrrev_b32_e32 v5, 16, v3
.LBB489_526:
	s_mov_b32 s2, 0
.LBB489_527:
	s_delay_alu instid0(SALU_CYCLE_1)
	s_and_not1_b32 vcc_lo, exec_lo, s2
	s_cbranch_vccnz .LBB489_533
; %bb.528:
	v_cmp_gt_i16_e64 s2, s33, 0
	s_delay_alu instid0(VALU_DEP_1)
	s_and_b32 vcc_lo, exec_lo, s2
	s_mov_b32 s2, 0
	s_cbranch_vccz .LBB489_530
; %bb.529:
	global_load_i8 v3, v[1:2], off
	s_waitcnt vmcnt(0)
	v_cvt_f32_i32_e32 v3, v3
	s_delay_alu instid0(VALU_DEP_1) | instskip(NEXT) | instid1(VALU_DEP_1)
	v_bfe_u32 v5, v3, 16, 1
	v_add3_u32 v3, v3, v5, 0x7fff
	s_delay_alu instid0(VALU_DEP_1)
	v_lshrrev_b32_e32 v5, 16, v3
	s_branch .LBB489_531
.LBB489_530:
	s_mov_b32 s2, -1
                                        ; implicit-def: $vgpr5
.LBB489_531:
	s_delay_alu instid0(SALU_CYCLE_1)
	s_and_not1_b32 vcc_lo, exec_lo, s2
	s_cbranch_vccnz .LBB489_533
; %bb.532:
	global_load_u8 v1, v[1:2], off
	s_waitcnt vmcnt(0)
	v_cvt_f32_ubyte0_e32 v1, v1
	s_delay_alu instid0(VALU_DEP_1) | instskip(NEXT) | instid1(VALU_DEP_1)
	v_bfe_u32 v2, v1, 16, 1
	v_add3_u32 v1, v1, v2, 0x7fff
	s_delay_alu instid0(VALU_DEP_1)
	v_lshrrev_b32_e32 v5, 16, v1
.LBB489_533:
	s_branch .LBB489_289
.LBB489_534:
	s_mov_b32 s3, 0
	s_mov_b32 s2, s38
.LBB489_535:
                                        ; implicit-def: $vgpr4
.LBB489_536:
	s_and_not1_b32 s23, s38, exec_lo
	s_and_b32 s2, s2, exec_lo
	s_and_not1_b32 s41, s39, exec_lo
	s_and_b32 s22, s22, exec_lo
	s_or_b32 s42, s23, s2
	s_or_b32 s41, s41, s22
	s_or_not1_b32 s2, s3, exec_lo
.LBB489_537:
	s_or_b32 exec_lo, exec_lo, s43
	s_mov_b32 s3, 0
	s_mov_b32 s23, 0
	;; [unrolled: 1-line block ×3, first 2 shown]
                                        ; implicit-def: $vgpr1_vgpr2
                                        ; implicit-def: $vgpr0
                                        ; implicit-def: $vgpr5
	s_and_saveexec_b32 s43, s2
	s_cbranch_execz .LBB489_909
; %bb.538:
	s_mov_b32 s46, -1
	s_mov_b32 s22, s41
	s_mov_b32 s23, s42
	s_mov_b32 s44, exec_lo
	v_cmpx_gt_i32_e64 s35, v4
	s_cbranch_execz .LBB489_810
; %bb.539:
	s_and_not1_b32 vcc_lo, exec_lo, s27
	s_cbranch_vccnz .LBB489_544
; %bb.540:
	v_dual_mov_b32 v0, 0 :: v_dual_mov_b32 v1, 0
	s_and_not1_b32 vcc_lo, exec_lo, s37
	s_mov_b32 s45, 0
	s_cbranch_vccnz .LBB489_549
; %bb.541:
	v_mov_b32_e32 v0, 0
	s_add_i32 s47, s36, 1
	s_cmp_eq_u32 s25, 2
	s_mov_b32 s46, 0
	s_cbranch_scc1 .LBB489_545
; %bb.542:
	v_dual_mov_b32 v1, 0 :: v_dual_mov_b32 v0, 0
	v_mov_b32_e32 v2, v4
	s_and_b32 s46, s47, 28
	s_mov_b32 s48, 0
	s_mov_b64 s[2:3], s[20:21]
	s_mov_b64 s[22:23], s[16:17]
.LBB489_543:                            ; =>This Inner Loop Header: Depth=1
	s_clause 0x1
	s_load_b256 s[52:59], s[22:23], 0x4
	s_load_b128 s[68:71], s[22:23], 0x24
	s_load_b256 s[60:67], s[2:3], 0x0
	s_add_u32 s22, s22, 48
	s_addc_u32 s23, s23, 0
	s_add_i32 s48, s48, 4
	s_add_u32 s2, s2, 32
	s_addc_u32 s3, s3, 0
	s_cmp_eq_u32 s46, s48
	s_waitcnt vmcnt(0) lgkmcnt(0)
	v_mul_hi_u32 v3, s53, v2
	s_delay_alu instid0(VALU_DEP_1) | instskip(NEXT) | instid1(VALU_DEP_1)
	v_add_nc_u32_e32 v3, v2, v3
	v_lshrrev_b32_e32 v3, s54, v3
	s_delay_alu instid0(VALU_DEP_1) | instskip(SKIP_1) | instid1(VALU_DEP_2)
	v_mul_hi_u32 v5, s56, v3
	v_mul_lo_u32 v7, v3, s52
	v_add_nc_u32_e32 v5, v3, v5
	s_delay_alu instid0(VALU_DEP_2) | instskip(NEXT) | instid1(VALU_DEP_2)
	v_sub_nc_u32_e32 v2, v2, v7
	v_lshrrev_b32_e32 v5, s57, v5
	s_delay_alu instid0(VALU_DEP_2) | instskip(SKIP_1) | instid1(VALU_DEP_3)
	v_mul_lo_u32 v7, v2, s60
	v_mul_lo_u32 v9, v2, s61
	v_mul_hi_u32 v6, s59, v5
	s_delay_alu instid0(VALU_DEP_1) | instskip(NEXT) | instid1(VALU_DEP_1)
	v_add_nc_u32_e32 v6, v5, v6
	v_lshrrev_b32_e32 v6, s68, v6
	s_delay_alu instid0(VALU_DEP_1) | instskip(SKIP_1) | instid1(VALU_DEP_2)
	v_mul_hi_u32 v8, s70, v6
	v_mul_lo_u32 v10, v6, s58
	v_add_nc_u32_e32 v2, v6, v8
	v_mul_lo_u32 v8, v5, s55
	s_delay_alu instid0(VALU_DEP_3) | instskip(NEXT) | instid1(VALU_DEP_3)
	v_sub_nc_u32_e32 v5, v5, v10
	v_lshrrev_b32_e32 v2, s71, v2
	s_delay_alu instid0(VALU_DEP_2) | instskip(SKIP_2) | instid1(VALU_DEP_4)
	v_mul_lo_u32 v10, v5, s64
	v_mul_lo_u32 v5, v5, s65
	v_sub_nc_u32_e32 v3, v3, v8
	v_mul_lo_u32 v11, v2, s69
	s_delay_alu instid0(VALU_DEP_2) | instskip(SKIP_1) | instid1(VALU_DEP_3)
	v_mul_lo_u32 v8, v3, s62
	v_mul_lo_u32 v3, v3, s63
	v_sub_nc_u32_e32 v6, v6, v11
	s_delay_alu instid0(VALU_DEP_3) | instskip(NEXT) | instid1(VALU_DEP_2)
	v_add3_u32 v0, v7, v0, v8
	v_mul_lo_u32 v11, v6, s66
	v_mul_lo_u32 v6, v6, s67
	v_add3_u32 v1, v9, v1, v3
	s_delay_alu instid0(VALU_DEP_3) | instskip(NEXT) | instid1(VALU_DEP_2)
	v_add3_u32 v0, v10, v0, v11
	v_add3_u32 v1, v5, v1, v6
	s_cbranch_scc0 .LBB489_543
	s_branch .LBB489_546
.LBB489_544:
	s_mov_b32 s45, -1
                                        ; implicit-def: $vgpr0
                                        ; implicit-def: $vgpr1
	s_branch .LBB489_549
.LBB489_545:
	v_dual_mov_b32 v2, v4 :: v_dual_mov_b32 v1, 0
.LBB489_546:
	s_and_b32 s47, s47, 3
	s_delay_alu instid0(SALU_CYCLE_1)
	s_cmp_eq_u32 s47, 0
	s_cbranch_scc1 .LBB489_549
; %bb.547:
	s_lshl_b32 s2, s46, 3
	s_mul_i32 s22, s46, 12
	s_add_u32 s2, s2, s16
	s_addc_u32 s3, s17, 0
	s_add_u32 s2, s2, 0xc4
	s_addc_u32 s3, s3, 0
	;; [unrolled: 2-line block ×3, first 2 shown]
	.p2align	6
.LBB489_548:                            ; =>This Inner Loop Header: Depth=1
	s_clause 0x1
	s_load_b64 s[48:49], s[22:23], 0x4
	s_load_b32 s46, s[22:23], 0xc
	s_load_b64 s[50:51], s[2:3], 0x0
	s_add_u32 s22, s22, 12
	s_addc_u32 s23, s23, 0
	s_add_u32 s2, s2, 8
	s_addc_u32 s3, s3, 0
	s_add_i32 s47, s47, -1
	s_delay_alu instid0(SALU_CYCLE_1) | instskip(SKIP_2) | instid1(VALU_DEP_1)
	s_cmp_lg_u32 s47, 0
	s_waitcnt vmcnt(0) lgkmcnt(0)
	v_mul_hi_u32 v3, s49, v2
	v_add_nc_u32_e32 v3, v2, v3
	s_delay_alu instid0(VALU_DEP_1) | instskip(NEXT) | instid1(VALU_DEP_1)
	v_lshrrev_b32_e32 v3, s46, v3
	v_mul_lo_u32 v5, v3, s48
	s_delay_alu instid0(VALU_DEP_1) | instskip(NEXT) | instid1(VALU_DEP_1)
	v_sub_nc_u32_e32 v2, v2, v5
	v_mad_u64_u32 v[5:6], null, v2, s50, v[0:1]
	v_mad_u64_u32 v[6:7], null, v2, s51, v[1:2]
	v_mov_b32_e32 v2, v3
	s_delay_alu instid0(VALU_DEP_2)
	v_dual_mov_b32 v0, v5 :: v_dual_mov_b32 v1, v6
	s_cbranch_scc1 .LBB489_548
.LBB489_549:
	s_and_not1_b32 vcc_lo, exec_lo, s45
	s_cbranch_vccnz .LBB489_552
; %bb.550:
	v_mul_hi_u32 v0, s13, v4
	s_and_not1_b32 vcc_lo, exec_lo, s34
	s_delay_alu instid0(VALU_DEP_1) | instskip(NEXT) | instid1(VALU_DEP_1)
	v_add_nc_u32_e32 v0, v4, v0
	v_lshrrev_b32_e32 v2, s14, v0
	s_delay_alu instid0(VALU_DEP_1) | instskip(NEXT) | instid1(VALU_DEP_1)
	v_mul_lo_u32 v0, v2, s12
	v_sub_nc_u32_e32 v1, v4, v0
	s_delay_alu instid0(VALU_DEP_1)
	v_mul_lo_u32 v0, v1, s8
	v_mul_lo_u32 v1, v1, s9
	s_cbranch_vccnz .LBB489_552
; %bb.551:
	s_waitcnt vmcnt(0)
	v_mul_hi_u32 v3, s18, v2
	s_delay_alu instid0(VALU_DEP_1) | instskip(NEXT) | instid1(VALU_DEP_1)
	v_add_nc_u32_e32 v3, v2, v3
	v_lshrrev_b32_e32 v3, s19, v3
	s_delay_alu instid0(VALU_DEP_1) | instskip(NEXT) | instid1(VALU_DEP_1)
	v_mul_lo_u32 v3, v3, s15
	v_sub_nc_u32_e32 v7, v2, v3
	s_delay_alu instid0(VALU_DEP_1) | instskip(NEXT) | instid1(VALU_DEP_1)
	v_mad_u64_u32 v[2:3], null, v7, s10, v[0:1]
	v_mad_u64_u32 v[5:6], null, v7, s11, v[1:2]
	s_delay_alu instid0(VALU_DEP_1)
	v_dual_mov_b32 v0, v2 :: v_dual_mov_b32 v1, v5
.LBB489_552:
	v_cmp_lt_i16_e64 s2, s33, 11
	s_delay_alu instid0(VALU_DEP_2) | instskip(NEXT) | instid1(VALU_DEP_1)
	v_add_co_u32 v1, s3, s6, v1
	v_add_co_ci_u32_e64 v2, null, s7, 0, s3
	s_delay_alu instid0(VALU_DEP_3)
	s_and_b32 vcc_lo, exec_lo, s2
	s_mov_b32 s2, 0
	s_cbranch_vccnz .LBB489_559
; %bb.553:
	v_cmp_gt_i16_e64 s2, s33, 25
	s_delay_alu instid0(VALU_DEP_1)
	s_and_b32 vcc_lo, exec_lo, s2
	s_cbranch_vccz .LBB489_560
; %bb.554:
	v_cmp_gt_i16_e64 s2, s33, 28
	s_delay_alu instid0(VALU_DEP_1)
	s_and_b32 vcc_lo, exec_lo, s2
	s_cbranch_vccz .LBB489_561
	;; [unrolled: 5-line block ×4, first 2 shown]
; %bb.557:
	v_cmp_eq_u16_e64 s2, s33, 46
	s_mov_b32 s3, 0
	s_delay_alu instid0(VALU_DEP_1)
	s_and_b32 vcc_lo, exec_lo, s2
	s_cbranch_vccz .LBB489_568
; %bb.558:
	global_load_b32 v5, v[1:2], off
	s_mov_b32 s2, -1
	s_mov_b32 s22, 0
	s_branch .LBB489_570
.LBB489_559:
	s_mov_b32 s3, -1
	s_mov_b32 s22, s41
                                        ; implicit-def: $vgpr5
	s_branch .LBB489_635
.LBB489_560:
	s_mov_b32 s3, -1
	s_mov_b32 s2, 0
	s_mov_b32 s22, s41
                                        ; implicit-def: $vgpr5
	s_branch .LBB489_599
.LBB489_561:
	s_mov_b32 s3, -1
	s_mov_b32 s2, 0
	s_mov_b32 s22, s41
                                        ; implicit-def: $vgpr5
	s_branch .LBB489_580
.LBB489_562:
	s_mov_b32 s3, -1
	s_mov_b32 s2, 0
	s_mov_b32 s22, s41
                                        ; implicit-def: $vgpr5
	s_branch .LBB489_575
.LBB489_563:
	s_or_saveexec_b32 s41, s41
                                        ; implicit-def: $sgpr42
	s_delay_alu instid0(SALU_CYCLE_1)
	s_xor_b32 exec_lo, exec_lo, s41
	s_cbranch_execz .LBB489_374
.LBB489_564:
	v_add_f32_e64 v6, 0x46000000, |v7|
	s_and_not1_b32 s23, s23, exec_lo
	s_mov_b32 s42, 0
	s_delay_alu instid0(VALU_DEP_1) | instskip(NEXT) | instid1(VALU_DEP_1)
	v_and_b32_e32 v6, 0xff, v6
	v_cmp_ne_u32_e32 vcc_lo, 0, v6
	s_and_b32 s44, vcc_lo, exec_lo
	s_delay_alu instid0(SALU_CYCLE_1)
	s_or_b32 s23, s23, s44
	s_or_b32 exec_lo, exec_lo, s41
	v_mov_b32_e32 v8, s42
	s_and_saveexec_b32 s41, s23
	s_cbranch_execnz .LBB489_375
	s_branch .LBB489_376
.LBB489_565:
	s_mov_b32 s3, -1
	s_mov_b32 s2, 0
	s_mov_b32 s22, s41
	s_branch .LBB489_569
.LBB489_566:
	s_or_saveexec_b32 s41, s41
                                        ; implicit-def: $sgpr42
	s_delay_alu instid0(SALU_CYCLE_1)
	s_xor_b32 exec_lo, exec_lo, s41
	s_cbranch_execz .LBB489_387
.LBB489_567:
	v_add_f32_e64 v6, 0x42800000, |v7|
	s_and_not1_b32 s23, s23, exec_lo
	s_mov_b32 s42, 0
	s_delay_alu instid0(VALU_DEP_1) | instskip(NEXT) | instid1(VALU_DEP_1)
	v_and_b32_e32 v6, 0xff, v6
	v_cmp_ne_u32_e32 vcc_lo, 0, v6
	s_and_b32 s44, vcc_lo, exec_lo
	s_delay_alu instid0(SALU_CYCLE_1)
	s_or_b32 s23, s23, s44
	s_or_b32 exec_lo, exec_lo, s41
	v_mov_b32_e32 v8, s42
	s_and_saveexec_b32 s41, s23
	s_cbranch_execnz .LBB489_388
	s_branch .LBB489_389
.LBB489_568:
	s_mov_b32 s22, -1
	s_mov_b32 s2, 0
.LBB489_569:
                                        ; implicit-def: $vgpr5
.LBB489_570:
	s_and_b32 vcc_lo, exec_lo, s3
	s_cbranch_vccz .LBB489_574
; %bb.571:
	v_cmp_eq_u16_e64 s3, s33, 44
	s_delay_alu instid0(VALU_DEP_1)
	s_and_b32 vcc_lo, exec_lo, s3
	s_cbranch_vccz .LBB489_573
; %bb.572:
	global_load_u8 v3, v[1:2], off
	s_mov_b32 s22, 0
	s_mov_b32 s2, -1
	s_waitcnt vmcnt(0)
	v_lshlrev_b32_e32 v5, 23, v3
	v_cmp_ne_u32_e32 vcc_lo, 0xff, v3
	s_delay_alu instid0(VALU_DEP_2) | instskip(SKIP_1) | instid1(VALU_DEP_2)
	v_cndmask_b32_e32 v5, 0x7f800001, v5, vcc_lo
	v_cmp_ne_u32_e32 vcc_lo, 0, v3
	v_cndmask_b32_e32 v3, 0x400000, v5, vcc_lo
	s_delay_alu instid0(VALU_DEP_1) | instskip(SKIP_1) | instid1(VALU_DEP_2)
	v_add_nc_u32_e32 v5, 0x7fff, v3
	v_cmp_o_f32_e32 vcc_lo, v3, v3
	v_lshrrev_b32_e32 v5, 16, v5
	s_delay_alu instid0(VALU_DEP_1)
	v_cndmask_b32_e32 v5, 0x7fc0, v5, vcc_lo
	s_branch .LBB489_574
.LBB489_573:
	s_mov_b32 s22, -1
                                        ; implicit-def: $vgpr5
.LBB489_574:
	s_mov_b32 s3, 0
.LBB489_575:
	s_delay_alu instid0(SALU_CYCLE_1)
	s_and_b32 vcc_lo, exec_lo, s3
	s_cbranch_vccz .LBB489_579
; %bb.576:
	v_cmp_eq_u16_e64 s3, s33, 29
	s_delay_alu instid0(VALU_DEP_1)
	s_and_b32 vcc_lo, exec_lo, s3
	s_cbranch_vccz .LBB489_578
; %bb.577:
	global_load_b64 v[5:6], v[1:2], off
	s_mov_b32 s2, -1
	s_mov_b32 s22, 0
	s_mov_b32 s3, 0
	s_waitcnt vmcnt(0)
	v_clz_i32_u32_e32 v3, v6
	s_delay_alu instid0(VALU_DEP_1) | instskip(NEXT) | instid1(VALU_DEP_1)
	v_min_u32_e32 v3, 32, v3
	v_lshlrev_b64 v[5:6], v3, v[5:6]
	v_sub_nc_u32_e32 v3, 32, v3
	s_delay_alu instid0(VALU_DEP_2) | instskip(NEXT) | instid1(VALU_DEP_1)
	v_min_u32_e32 v5, 1, v5
	v_or_b32_e32 v5, v6, v5
	s_delay_alu instid0(VALU_DEP_1) | instskip(NEXT) | instid1(VALU_DEP_1)
	v_cvt_f32_u32_e32 v5, v5
	v_ldexp_f32 v3, v5, v3
	s_delay_alu instid0(VALU_DEP_1) | instskip(NEXT) | instid1(VALU_DEP_1)
	v_bfe_u32 v5, v3, 16, 1
	v_add3_u32 v3, v3, v5, 0x7fff
	s_delay_alu instid0(VALU_DEP_1)
	v_lshrrev_b32_e32 v5, 16, v3
	s_branch .LBB489_580
.LBB489_578:
	s_mov_b32 s22, -1
                                        ; implicit-def: $vgpr5
.LBB489_579:
	s_mov_b32 s3, 0
.LBB489_580:
	s_delay_alu instid0(SALU_CYCLE_1)
	s_and_b32 vcc_lo, exec_lo, s3
	s_cbranch_vccz .LBB489_598
; %bb.581:
	v_cmp_lt_i16_e64 s2, s33, 27
	s_delay_alu instid0(VALU_DEP_1)
	s_and_b32 vcc_lo, exec_lo, s2
	s_cbranch_vccnz .LBB489_584
; %bb.582:
	v_cmp_gt_i16_e64 s2, s33, 27
	s_delay_alu instid0(VALU_DEP_1)
	s_and_b32 vcc_lo, exec_lo, s2
	s_cbranch_vccz .LBB489_585
; %bb.583:
	global_load_b32 v3, v[1:2], off
	s_mov_b32 s2, 0
	s_waitcnt vmcnt(0)
	v_cvt_f32_u32_e32 v3, v3
	s_delay_alu instid0(VALU_DEP_1) | instskip(NEXT) | instid1(VALU_DEP_1)
	v_bfe_u32 v5, v3, 16, 1
	v_add3_u32 v3, v3, v5, 0x7fff
	s_delay_alu instid0(VALU_DEP_1)
	v_lshrrev_b32_e32 v5, 16, v3
	s_branch .LBB489_586
.LBB489_584:
	s_mov_b32 s2, -1
                                        ; implicit-def: $vgpr5
	s_branch .LBB489_589
.LBB489_585:
	s_mov_b32 s2, -1
                                        ; implicit-def: $vgpr5
.LBB489_586:
	s_delay_alu instid0(SALU_CYCLE_1)
	s_and_not1_b32 vcc_lo, exec_lo, s2
	s_cbranch_vccnz .LBB489_588
; %bb.587:
	global_load_u16 v3, v[1:2], off
	s_waitcnt vmcnt(0)
	v_cvt_f32_u32_e32 v3, v3
	s_delay_alu instid0(VALU_DEP_1) | instskip(NEXT) | instid1(VALU_DEP_1)
	v_bfe_u32 v5, v3, 16, 1
	v_add3_u32 v3, v3, v5, 0x7fff
	s_delay_alu instid0(VALU_DEP_1)
	v_lshrrev_b32_e32 v5, 16, v3
.LBB489_588:
	s_mov_b32 s2, 0
.LBB489_589:
	s_delay_alu instid0(SALU_CYCLE_1)
	s_and_not1_b32 vcc_lo, exec_lo, s2
	s_cbranch_vccnz .LBB489_597
; %bb.590:
	global_load_u8 v3, v[1:2], off
	s_mov_b32 s2, 0
	s_mov_b32 s23, exec_lo
                                        ; implicit-def: $sgpr3
	s_waitcnt vmcnt(0)
	v_cmpx_lt_i16_e32 0x7f, v3
	s_xor_b32 s23, exec_lo, s23
	s_cbranch_execz .LBB489_611
; %bb.591:
	s_mov_b32 s2, -1
	s_mov_b32 s45, exec_lo
                                        ; implicit-def: $sgpr3
	v_cmpx_eq_u16_e32 0x80, v3
; %bb.592:
	s_mov_b32 s3, 0x7f800001
	s_xor_b32 s2, exec_lo, -1
; %bb.593:
	s_or_b32 exec_lo, exec_lo, s45
	s_delay_alu instid0(SALU_CYCLE_1)
	s_and_b32 s2, s2, exec_lo
	s_or_saveexec_b32 s23, s23
	v_mov_b32_e32 v5, s3
	s_xor_b32 exec_lo, exec_lo, s23
	s_cbranch_execnz .LBB489_612
.LBB489_594:
	s_or_b32 exec_lo, exec_lo, s23
	s_and_saveexec_b32 s3, s2
	s_cbranch_execz .LBB489_596
.LBB489_595:
	v_and_b32_e32 v5, 0xffff, v3
	v_lshlrev_b32_e32 v3, 24, v3
	s_delay_alu instid0(VALU_DEP_2) | instskip(NEXT) | instid1(VALU_DEP_2)
	v_and_b32_e32 v6, 7, v5
	v_and_b32_e32 v3, 0x80000000, v3
	s_delay_alu instid0(VALU_DEP_2) | instskip(NEXT) | instid1(VALU_DEP_1)
	v_clz_i32_u32_e32 v7, v6
	v_min_u32_e32 v7, 32, v7
	s_delay_alu instid0(VALU_DEP_1) | instskip(SKIP_1) | instid1(VALU_DEP_2)
	v_subrev_nc_u32_e32 v8, 28, v7
	v_sub_nc_u32_e32 v7, 29, v7
	v_lshlrev_b32_e32 v8, v8, v5
	v_bfe_u32 v5, v5, 3, 4
	s_delay_alu instid0(VALU_DEP_2) | instskip(NEXT) | instid1(VALU_DEP_2)
	v_and_b32_e32 v8, 7, v8
	v_cmp_eq_u32_e32 vcc_lo, 0, v5
	s_delay_alu instid0(VALU_DEP_2) | instskip(NEXT) | instid1(VALU_DEP_1)
	v_dual_cndmask_b32 v5, v5, v7 :: v_dual_cndmask_b32 v6, v6, v8
	v_lshl_add_u32 v5, v5, 23, 0x3b800000
	s_delay_alu instid0(VALU_DEP_2) | instskip(NEXT) | instid1(VALU_DEP_1)
	v_lshlrev_b32_e32 v6, 20, v6
	v_or3_b32 v5, v3, v5, v6
.LBB489_596:
	s_or_b32 exec_lo, exec_lo, s3
	s_delay_alu instid0(VALU_DEP_1) | instskip(SKIP_1) | instid1(VALU_DEP_2)
	v_bfe_u32 v3, v5, 16, 1
	v_cmp_o_f32_e32 vcc_lo, v5, v5
	v_add3_u32 v3, v5, v3, 0x7fff
	s_delay_alu instid0(VALU_DEP_1) | instskip(NEXT) | instid1(VALU_DEP_1)
	v_lshrrev_b32_e32 v3, 16, v3
	v_cndmask_b32_e32 v5, 0x7fc0, v3, vcc_lo
.LBB489_597:
	s_mov_b32 s2, -1
.LBB489_598:
	s_mov_b32 s3, 0
.LBB489_599:
	s_delay_alu instid0(SALU_CYCLE_1)
	s_and_b32 vcc_lo, exec_lo, s3
	s_cbranch_vccz .LBB489_634
; %bb.600:
	v_cmp_gt_i16_e64 s3, s33, 22
	s_delay_alu instid0(VALU_DEP_1)
	s_and_b32 vcc_lo, exec_lo, s3
	s_cbranch_vccz .LBB489_610
; %bb.601:
	v_cmp_lt_i16_e64 s2, s33, 24
	s_delay_alu instid0(VALU_DEP_1)
	s_and_b32 vcc_lo, exec_lo, s2
	s_cbranch_vccnz .LBB489_613
; %bb.602:
	v_cmp_gt_i16_e64 s2, s33, 24
	s_delay_alu instid0(VALU_DEP_1)
	s_and_b32 vcc_lo, exec_lo, s2
	s_cbranch_vccz .LBB489_614
; %bb.603:
	global_load_u8 v3, v[1:2], off
	s_mov_b32 s2, 0
	s_mov_b32 s23, exec_lo
                                        ; implicit-def: $sgpr3
	s_waitcnt vmcnt(0)
	v_cmpx_lt_i16_e32 0x7f, v3
	s_xor_b32 s23, exec_lo, s23
	s_cbranch_execz .LBB489_626
; %bb.604:
	s_mov_b32 s2, -1
	s_mov_b32 s45, exec_lo
                                        ; implicit-def: $sgpr3
	v_cmpx_eq_u16_e32 0x80, v3
; %bb.605:
	s_mov_b32 s3, 0x7f800001
	s_xor_b32 s2, exec_lo, -1
; %bb.606:
	s_or_b32 exec_lo, exec_lo, s45
	s_delay_alu instid0(SALU_CYCLE_1)
	s_and_b32 s2, s2, exec_lo
	s_or_saveexec_b32 s23, s23
	v_mov_b32_e32 v5, s3
	s_xor_b32 exec_lo, exec_lo, s23
	s_cbranch_execnz .LBB489_627
.LBB489_607:
	s_or_b32 exec_lo, exec_lo, s23
	s_and_saveexec_b32 s3, s2
	s_cbranch_execz .LBB489_609
.LBB489_608:
	v_and_b32_e32 v5, 0xffff, v3
	v_lshlrev_b32_e32 v3, 24, v3
	s_delay_alu instid0(VALU_DEP_2) | instskip(NEXT) | instid1(VALU_DEP_2)
	v_and_b32_e32 v6, 3, v5
	v_and_b32_e32 v3, 0x80000000, v3
	s_delay_alu instid0(VALU_DEP_2) | instskip(NEXT) | instid1(VALU_DEP_1)
	v_clz_i32_u32_e32 v7, v6
	v_min_u32_e32 v7, 32, v7
	s_delay_alu instid0(VALU_DEP_1) | instskip(SKIP_1) | instid1(VALU_DEP_2)
	v_subrev_nc_u32_e32 v8, 29, v7
	v_sub_nc_u32_e32 v7, 30, v7
	v_lshlrev_b32_e32 v8, v8, v5
	v_bfe_u32 v5, v5, 2, 5
	s_delay_alu instid0(VALU_DEP_2) | instskip(NEXT) | instid1(VALU_DEP_2)
	v_and_b32_e32 v8, 3, v8
	v_cmp_eq_u32_e32 vcc_lo, 0, v5
	s_delay_alu instid0(VALU_DEP_2) | instskip(NEXT) | instid1(VALU_DEP_1)
	v_dual_cndmask_b32 v5, v5, v7 :: v_dual_cndmask_b32 v6, v6, v8
	v_lshl_add_u32 v5, v5, 23, 0x37800000
	s_delay_alu instid0(VALU_DEP_2) | instskip(NEXT) | instid1(VALU_DEP_1)
	v_lshlrev_b32_e32 v6, 21, v6
	v_or3_b32 v5, v3, v5, v6
.LBB489_609:
	s_or_b32 exec_lo, exec_lo, s3
	s_delay_alu instid0(VALU_DEP_1) | instskip(SKIP_2) | instid1(VALU_DEP_2)
	v_bfe_u32 v3, v5, 16, 1
	v_cmp_o_f32_e32 vcc_lo, v5, v5
	s_mov_b32 s2, 0
	v_add3_u32 v3, v5, v3, 0x7fff
	s_delay_alu instid0(VALU_DEP_1) | instskip(NEXT) | instid1(VALU_DEP_1)
	v_lshrrev_b32_e32 v3, 16, v3
	v_cndmask_b32_e32 v5, 0x7fc0, v3, vcc_lo
	s_branch .LBB489_615
.LBB489_610:
	s_mov_b32 s3, -1
                                        ; implicit-def: $vgpr5
	s_branch .LBB489_621
.LBB489_611:
	s_or_saveexec_b32 s23, s23
	v_mov_b32_e32 v5, s3
	s_xor_b32 exec_lo, exec_lo, s23
	s_cbranch_execz .LBB489_594
.LBB489_612:
	v_cmp_ne_u16_e32 vcc_lo, 0, v3
	v_mov_b32_e32 v5, 0
	s_and_not1_b32 s2, s2, exec_lo
	s_and_b32 s3, vcc_lo, exec_lo
	s_delay_alu instid0(SALU_CYCLE_1)
	s_or_b32 s2, s2, s3
	s_or_b32 exec_lo, exec_lo, s23
	s_and_saveexec_b32 s3, s2
	s_cbranch_execnz .LBB489_595
	s_branch .LBB489_596
.LBB489_613:
	s_mov_b32 s2, -1
                                        ; implicit-def: $vgpr5
	s_branch .LBB489_618
.LBB489_614:
	s_mov_b32 s2, -1
                                        ; implicit-def: $vgpr5
.LBB489_615:
	s_delay_alu instid0(SALU_CYCLE_1)
	s_and_b32 vcc_lo, exec_lo, s2
	s_cbranch_vccz .LBB489_617
; %bb.616:
	global_load_u8 v3, v[1:2], off
	s_waitcnt vmcnt(0)
	v_lshlrev_b32_e32 v3, 24, v3
	s_delay_alu instid0(VALU_DEP_1) | instskip(NEXT) | instid1(VALU_DEP_1)
	v_and_b32_e32 v5, 0x7f000000, v3
	v_clz_i32_u32_e32 v6, v5
	v_cmp_ne_u32_e32 vcc_lo, 0, v5
	v_add_nc_u32_e32 v8, 0x1000000, v5
	s_delay_alu instid0(VALU_DEP_3) | instskip(NEXT) | instid1(VALU_DEP_1)
	v_min_u32_e32 v6, 32, v6
	v_sub_nc_u32_e64 v6, v6, 4 clamp
	s_delay_alu instid0(VALU_DEP_1) | instskip(SKIP_1) | instid1(VALU_DEP_2)
	v_lshlrev_b32_e32 v7, v6, v5
	v_lshlrev_b32_e32 v6, 23, v6
	v_lshrrev_b32_e32 v7, 4, v7
	s_delay_alu instid0(VALU_DEP_1) | instskip(SKIP_1) | instid1(VALU_DEP_2)
	v_sub_nc_u32_e32 v6, v7, v6
	v_ashrrev_i32_e32 v7, 8, v8
	v_add_nc_u32_e32 v6, 0x3c000000, v6
	s_delay_alu instid0(VALU_DEP_1) | instskip(NEXT) | instid1(VALU_DEP_1)
	v_and_or_b32 v6, 0x7f800000, v7, v6
	v_cndmask_b32_e32 v5, 0, v6, vcc_lo
	s_delay_alu instid0(VALU_DEP_1) | instskip(SKIP_1) | instid1(VALU_DEP_2)
	v_and_or_b32 v3, 0x80000000, v3, v5
	v_bfe_u32 v5, v5, 16, 1
	v_cmp_o_f32_e32 vcc_lo, v3, v3
	s_delay_alu instid0(VALU_DEP_2) | instskip(NEXT) | instid1(VALU_DEP_1)
	v_add3_u32 v5, v3, v5, 0x7fff
	v_lshrrev_b32_e32 v5, 16, v5
	s_delay_alu instid0(VALU_DEP_1)
	v_cndmask_b32_e32 v5, 0x7fc0, v5, vcc_lo
.LBB489_617:
	s_mov_b32 s2, 0
.LBB489_618:
	s_delay_alu instid0(SALU_CYCLE_1)
	s_and_not1_b32 vcc_lo, exec_lo, s2
	s_cbranch_vccnz .LBB489_620
; %bb.619:
	global_load_u8 v3, v[1:2], off
	s_waitcnt vmcnt(0)
	v_lshlrev_b32_e32 v5, 25, v3
	v_lshlrev_b16 v3, 8, v3
	s_delay_alu instid0(VALU_DEP_2) | instskip(NEXT) | instid1(VALU_DEP_2)
	v_lshrrev_b32_e32 v6, 4, v5
	v_and_or_b32 v7, 0x7f00, v3, 0.5
	v_bfe_i32 v3, v3, 0, 16
	s_delay_alu instid0(VALU_DEP_3) | instskip(NEXT) | instid1(VALU_DEP_1)
	v_or_b32_e32 v6, 0x70000000, v6
	v_dual_add_f32 v7, -0.5, v7 :: v_dual_mul_f32 v6, 0x7800000, v6
	v_cmp_gt_u32_e32 vcc_lo, 0x8000000, v5
	s_delay_alu instid0(VALU_DEP_2) | instskip(NEXT) | instid1(VALU_DEP_1)
	v_cndmask_b32_e32 v5, v6, v7, vcc_lo
	v_and_or_b32 v3, 0x80000000, v3, v5
	v_bfe_u32 v5, v5, 16, 1
	s_delay_alu instid0(VALU_DEP_2) | instskip(NEXT) | instid1(VALU_DEP_2)
	v_cmp_o_f32_e32 vcc_lo, v3, v3
	v_add3_u32 v5, v3, v5, 0x7fff
	s_delay_alu instid0(VALU_DEP_1) | instskip(NEXT) | instid1(VALU_DEP_1)
	v_lshrrev_b32_e32 v5, 16, v5
	v_cndmask_b32_e32 v5, 0x7fc0, v5, vcc_lo
.LBB489_620:
	s_mov_b32 s3, 0
	s_mov_b32 s2, -1
.LBB489_621:
	s_and_not1_b32 vcc_lo, exec_lo, s3
	s_cbranch_vccnz .LBB489_634
; %bb.622:
	v_cmp_gt_i16_e64 s3, s33, 14
	s_delay_alu instid0(VALU_DEP_1)
	s_and_b32 vcc_lo, exec_lo, s3
	s_cbranch_vccz .LBB489_625
; %bb.623:
	v_cmp_eq_u16_e64 s3, s33, 15
	s_delay_alu instid0(VALU_DEP_1)
	s_and_b32 vcc_lo, exec_lo, s3
	s_cbranch_vccz .LBB489_628
; %bb.624:
	global_load_u16 v5, v[1:2], off
	s_mov_b32 s2, -1
	s_mov_b32 s22, 0
	s_branch .LBB489_629
.LBB489_625:
	s_mov_b32 s3, -1
                                        ; implicit-def: $vgpr5
	s_branch .LBB489_630
.LBB489_626:
	s_or_saveexec_b32 s23, s23
	v_mov_b32_e32 v5, s3
	s_xor_b32 exec_lo, exec_lo, s23
	s_cbranch_execz .LBB489_607
.LBB489_627:
	v_cmp_ne_u16_e32 vcc_lo, 0, v3
	v_mov_b32_e32 v5, 0
	s_and_not1_b32 s2, s2, exec_lo
	s_and_b32 s3, vcc_lo, exec_lo
	s_delay_alu instid0(SALU_CYCLE_1)
	s_or_b32 s2, s2, s3
	s_or_b32 exec_lo, exec_lo, s23
	s_and_saveexec_b32 s3, s2
	s_cbranch_execnz .LBB489_608
	s_branch .LBB489_609
.LBB489_628:
	s_mov_b32 s22, -1
                                        ; implicit-def: $vgpr5
.LBB489_629:
	s_mov_b32 s3, 0
.LBB489_630:
	s_delay_alu instid0(SALU_CYCLE_1)
	s_and_b32 vcc_lo, exec_lo, s3
	s_cbranch_vccz .LBB489_634
; %bb.631:
	v_cmp_eq_u16_e64 s3, s33, 11
	s_delay_alu instid0(VALU_DEP_1)
	s_and_b32 vcc_lo, exec_lo, s3
	s_cbranch_vccz .LBB489_633
; %bb.632:
	global_load_u8 v3, v[1:2], off
	s_mov_b32 s22, 0
	s_mov_b32 s2, -1
	s_waitcnt vmcnt(0)
	v_cmp_ne_u16_e32 vcc_lo, 0, v3
	v_cndmask_b32_e64 v3, 0, 1.0, vcc_lo
	s_delay_alu instid0(VALU_DEP_1)
	v_lshrrev_b32_e32 v5, 16, v3
	s_branch .LBB489_634
.LBB489_633:
	s_mov_b32 s22, -1
                                        ; implicit-def: $vgpr5
.LBB489_634:
	s_mov_b32 s3, 0
.LBB489_635:
	s_delay_alu instid0(SALU_CYCLE_1)
	s_and_b32 vcc_lo, exec_lo, s3
	s_cbranch_vccz .LBB489_684
; %bb.636:
	v_cmp_lt_i16_e64 s2, s33, 5
	s_delay_alu instid0(VALU_DEP_1)
	s_and_b32 vcc_lo, exec_lo, s2
	s_cbranch_vccnz .LBB489_641
; %bb.637:
	v_cmp_lt_i16_e64 s2, s33, 8
	s_delay_alu instid0(VALU_DEP_1)
	s_and_b32 vcc_lo, exec_lo, s2
	s_cbranch_vccnz .LBB489_642
	;; [unrolled: 5-line block ×3, first 2 shown]
; %bb.639:
	v_cmp_gt_i16_e64 s2, s33, 9
	s_delay_alu instid0(VALU_DEP_1)
	s_and_b32 vcc_lo, exec_lo, s2
	s_cbranch_vccz .LBB489_644
; %bb.640:
	global_load_b64 v[5:6], v[1:2], off
	s_mov_b32 s2, 0
	s_waitcnt vmcnt(0)
	v_cvt_f32_f64_e32 v3, v[5:6]
	s_delay_alu instid0(VALU_DEP_1) | instskip(SKIP_1) | instid1(VALU_DEP_2)
	v_bfe_u32 v5, v3, 16, 1
	v_cmp_o_f32_e32 vcc_lo, v3, v3
	v_add3_u32 v5, v3, v5, 0x7fff
	s_delay_alu instid0(VALU_DEP_1) | instskip(NEXT) | instid1(VALU_DEP_1)
	v_lshrrev_b32_e32 v5, 16, v5
	v_cndmask_b32_e32 v5, 0x7fc0, v5, vcc_lo
	s_branch .LBB489_645
.LBB489_641:
	s_mov_b32 s2, -1
                                        ; implicit-def: $vgpr5
	s_branch .LBB489_663
.LBB489_642:
	s_mov_b32 s2, -1
                                        ; implicit-def: $vgpr5
	s_branch .LBB489_651
.LBB489_643:
	s_mov_b32 s2, -1
                                        ; implicit-def: $vgpr5
	s_branch .LBB489_648
.LBB489_644:
	s_mov_b32 s2, -1
                                        ; implicit-def: $vgpr5
.LBB489_645:
	s_delay_alu instid0(SALU_CYCLE_1)
	s_and_not1_b32 vcc_lo, exec_lo, s2
	s_cbranch_vccnz .LBB489_647
; %bb.646:
	global_load_b32 v3, v[1:2], off
	s_waitcnt vmcnt(0)
	v_bfe_u32 v5, v3, 16, 1
	v_cmp_o_f32_e32 vcc_lo, v3, v3
	s_delay_alu instid0(VALU_DEP_2) | instskip(NEXT) | instid1(VALU_DEP_1)
	v_add3_u32 v5, v3, v5, 0x7fff
	v_lshrrev_b32_e32 v5, 16, v5
	s_delay_alu instid0(VALU_DEP_1)
	v_cndmask_b32_e32 v5, 0x7fc0, v5, vcc_lo
.LBB489_647:
	s_mov_b32 s2, 0
.LBB489_648:
	s_delay_alu instid0(SALU_CYCLE_1)
	s_and_not1_b32 vcc_lo, exec_lo, s2
	s_cbranch_vccnz .LBB489_650
; %bb.649:
	global_load_b32 v3, v[1:2], off
	s_waitcnt vmcnt(0)
	v_cvt_f32_f16_e32 v5, v3
	v_cmp_o_f16_e32 vcc_lo, v3, v3
	s_delay_alu instid0(VALU_DEP_2) | instskip(NEXT) | instid1(VALU_DEP_1)
	v_bfe_u32 v6, v5, 16, 1
	v_add3_u32 v5, v5, v6, 0x7fff
	s_delay_alu instid0(VALU_DEP_1) | instskip(NEXT) | instid1(VALU_DEP_1)
	v_lshrrev_b32_e32 v5, 16, v5
	v_cndmask_b32_e32 v5, 0x7fc0, v5, vcc_lo
.LBB489_650:
	s_mov_b32 s2, 0
.LBB489_651:
	s_delay_alu instid0(SALU_CYCLE_1)
	s_and_not1_b32 vcc_lo, exec_lo, s2
	s_cbranch_vccnz .LBB489_662
; %bb.652:
	v_cmp_lt_i16_e64 s2, s33, 6
	s_delay_alu instid0(VALU_DEP_1)
	s_and_b32 vcc_lo, exec_lo, s2
	s_cbranch_vccnz .LBB489_655
; %bb.653:
	v_cmp_gt_i16_e64 s2, s33, 6
	s_delay_alu instid0(VALU_DEP_1)
	s_and_b32 vcc_lo, exec_lo, s2
	s_cbranch_vccz .LBB489_656
; %bb.654:
	global_load_b64 v[5:6], v[1:2], off
	s_mov_b32 s2, 0
	s_waitcnt vmcnt(0)
	v_cvt_f32_f64_e32 v3, v[5:6]
	s_delay_alu instid0(VALU_DEP_1) | instskip(SKIP_1) | instid1(VALU_DEP_2)
	v_bfe_u32 v5, v3, 16, 1
	v_cmp_o_f32_e32 vcc_lo, v3, v3
	v_add3_u32 v5, v3, v5, 0x7fff
	s_delay_alu instid0(VALU_DEP_1) | instskip(NEXT) | instid1(VALU_DEP_1)
	v_lshrrev_b32_e32 v5, 16, v5
	v_cndmask_b32_e32 v5, 0x7fc0, v5, vcc_lo
	s_branch .LBB489_657
.LBB489_655:
	s_mov_b32 s2, -1
                                        ; implicit-def: $vgpr5
	s_branch .LBB489_660
.LBB489_656:
	s_mov_b32 s2, -1
                                        ; implicit-def: $vgpr5
.LBB489_657:
	s_delay_alu instid0(SALU_CYCLE_1)
	s_and_not1_b32 vcc_lo, exec_lo, s2
	s_cbranch_vccnz .LBB489_659
; %bb.658:
	global_load_b32 v3, v[1:2], off
	s_waitcnt vmcnt(0)
	v_bfe_u32 v5, v3, 16, 1
	v_cmp_o_f32_e32 vcc_lo, v3, v3
	s_delay_alu instid0(VALU_DEP_2) | instskip(NEXT) | instid1(VALU_DEP_1)
	v_add3_u32 v5, v3, v5, 0x7fff
	v_lshrrev_b32_e32 v5, 16, v5
	s_delay_alu instid0(VALU_DEP_1)
	v_cndmask_b32_e32 v5, 0x7fc0, v5, vcc_lo
.LBB489_659:
	s_mov_b32 s2, 0
.LBB489_660:
	s_delay_alu instid0(SALU_CYCLE_1)
	s_and_not1_b32 vcc_lo, exec_lo, s2
	s_cbranch_vccnz .LBB489_662
; %bb.661:
	global_load_u16 v3, v[1:2], off
	s_waitcnt vmcnt(0)
	v_cvt_f32_f16_e32 v5, v3
	v_cmp_o_f16_e32 vcc_lo, v3, v3
	s_delay_alu instid0(VALU_DEP_2) | instskip(NEXT) | instid1(VALU_DEP_1)
	v_bfe_u32 v6, v5, 16, 1
	v_add3_u32 v5, v5, v6, 0x7fff
	s_delay_alu instid0(VALU_DEP_1) | instskip(NEXT) | instid1(VALU_DEP_1)
	v_lshrrev_b32_e32 v5, 16, v5
	v_cndmask_b32_e32 v5, 0x7fc0, v5, vcc_lo
.LBB489_662:
	s_mov_b32 s2, 0
.LBB489_663:
	s_delay_alu instid0(SALU_CYCLE_1)
	s_and_not1_b32 vcc_lo, exec_lo, s2
	s_cbranch_vccnz .LBB489_683
; %bb.664:
	v_cmp_lt_i16_e64 s2, s33, 2
	s_delay_alu instid0(VALU_DEP_1)
	s_and_b32 vcc_lo, exec_lo, s2
	s_cbranch_vccnz .LBB489_668
; %bb.665:
	v_cmp_lt_i16_e64 s2, s33, 3
	s_delay_alu instid0(VALU_DEP_1)
	s_and_b32 vcc_lo, exec_lo, s2
	s_cbranch_vccnz .LBB489_669
; %bb.666:
	v_cmp_gt_i16_e64 s2, s33, 3
	s_delay_alu instid0(VALU_DEP_1)
	s_and_b32 vcc_lo, exec_lo, s2
	s_cbranch_vccz .LBB489_670
; %bb.667:
	global_load_b64 v[5:6], v[1:2], off
	s_mov_b32 s2, 0
	s_waitcnt vmcnt(0)
	v_xor_b32_e32 v3, v5, v6
	v_cls_i32_e32 v7, v6
	s_delay_alu instid0(VALU_DEP_2) | instskip(NEXT) | instid1(VALU_DEP_2)
	v_ashrrev_i32_e32 v3, 31, v3
	v_add_nc_u32_e32 v7, -1, v7
	s_delay_alu instid0(VALU_DEP_2) | instskip(NEXT) | instid1(VALU_DEP_1)
	v_add_nc_u32_e32 v3, 32, v3
	v_min_u32_e32 v3, v7, v3
	s_delay_alu instid0(VALU_DEP_1) | instskip(SKIP_1) | instid1(VALU_DEP_2)
	v_lshlrev_b64 v[5:6], v3, v[5:6]
	v_sub_nc_u32_e32 v3, 32, v3
	v_min_u32_e32 v5, 1, v5
	s_delay_alu instid0(VALU_DEP_1) | instskip(NEXT) | instid1(VALU_DEP_1)
	v_or_b32_e32 v5, v6, v5
	v_cvt_f32_i32_e32 v5, v5
	s_delay_alu instid0(VALU_DEP_1) | instskip(NEXT) | instid1(VALU_DEP_1)
	v_ldexp_f32 v3, v5, v3
	v_bfe_u32 v5, v3, 16, 1
	s_delay_alu instid0(VALU_DEP_1) | instskip(NEXT) | instid1(VALU_DEP_1)
	v_add3_u32 v3, v3, v5, 0x7fff
	v_lshrrev_b32_e32 v5, 16, v3
	s_branch .LBB489_671
.LBB489_668:
	s_mov_b32 s2, -1
                                        ; implicit-def: $vgpr5
	s_branch .LBB489_677
.LBB489_669:
	s_mov_b32 s2, -1
                                        ; implicit-def: $vgpr5
	s_branch .LBB489_674
.LBB489_670:
	s_mov_b32 s2, -1
                                        ; implicit-def: $vgpr5
.LBB489_671:
	s_delay_alu instid0(SALU_CYCLE_1)
	s_and_not1_b32 vcc_lo, exec_lo, s2
	s_cbranch_vccnz .LBB489_673
; %bb.672:
	global_load_b32 v3, v[1:2], off
	s_waitcnt vmcnt(0)
	v_cvt_f32_i32_e32 v3, v3
	s_delay_alu instid0(VALU_DEP_1) | instskip(NEXT) | instid1(VALU_DEP_1)
	v_bfe_u32 v5, v3, 16, 1
	v_add3_u32 v3, v3, v5, 0x7fff
	s_delay_alu instid0(VALU_DEP_1)
	v_lshrrev_b32_e32 v5, 16, v3
.LBB489_673:
	s_mov_b32 s2, 0
.LBB489_674:
	s_delay_alu instid0(SALU_CYCLE_1)
	s_and_not1_b32 vcc_lo, exec_lo, s2
	s_cbranch_vccnz .LBB489_676
; %bb.675:
	global_load_i16 v3, v[1:2], off
	s_waitcnt vmcnt(0)
	v_cvt_f32_i32_e32 v3, v3
	s_delay_alu instid0(VALU_DEP_1) | instskip(NEXT) | instid1(VALU_DEP_1)
	v_bfe_u32 v5, v3, 16, 1
	v_add3_u32 v3, v3, v5, 0x7fff
	s_delay_alu instid0(VALU_DEP_1)
	v_lshrrev_b32_e32 v5, 16, v3
.LBB489_676:
	s_mov_b32 s2, 0
.LBB489_677:
	s_delay_alu instid0(SALU_CYCLE_1)
	s_and_not1_b32 vcc_lo, exec_lo, s2
	s_cbranch_vccnz .LBB489_683
; %bb.678:
	v_cmp_gt_i16_e64 s2, s33, 0
	s_delay_alu instid0(VALU_DEP_1)
	s_and_b32 vcc_lo, exec_lo, s2
	s_mov_b32 s2, 0
	s_cbranch_vccz .LBB489_680
; %bb.679:
	global_load_i8 v3, v[1:2], off
	s_waitcnt vmcnt(0)
	v_cvt_f32_i32_e32 v3, v3
	s_delay_alu instid0(VALU_DEP_1) | instskip(NEXT) | instid1(VALU_DEP_1)
	v_bfe_u32 v5, v3, 16, 1
	v_add3_u32 v3, v3, v5, 0x7fff
	s_delay_alu instid0(VALU_DEP_1)
	v_lshrrev_b32_e32 v5, 16, v3
	s_branch .LBB489_681
.LBB489_680:
	s_mov_b32 s2, -1
                                        ; implicit-def: $vgpr5
.LBB489_681:
	s_delay_alu instid0(SALU_CYCLE_1)
	s_and_not1_b32 vcc_lo, exec_lo, s2
	s_cbranch_vccnz .LBB489_683
; %bb.682:
	global_load_u8 v1, v[1:2], off
	s_waitcnt vmcnt(0)
	v_cvt_f32_ubyte0_e32 v1, v1
	s_delay_alu instid0(VALU_DEP_1) | instskip(NEXT) | instid1(VALU_DEP_1)
	v_bfe_u32 v2, v1, 16, 1
	v_add3_u32 v1, v1, v2, 0x7fff
	s_delay_alu instid0(VALU_DEP_1)
	v_lshrrev_b32_e32 v5, 16, v1
.LBB489_683:
	s_mov_b32 s2, -1
.LBB489_684:
	s_delay_alu instid0(SALU_CYCLE_1)
	s_and_not1_b32 vcc_lo, exec_lo, s2
	s_cbranch_vccnz .LBB489_692
; %bb.685:
	s_waitcnt vmcnt(0)
	v_lshlrev_b32_e32 v1, 16, v5
	v_and_b32_e64 v3, 0xff, s30
	s_mov_b32 s23, 0
	s_mov_b32 s45, -1
	s_delay_alu instid0(VALU_DEP_2) | instskip(SKIP_2) | instid1(VALU_DEP_2)
	v_cmp_u_f32_e32 vcc_lo, v1, v1
	v_cmp_gt_f32_e64 s2, s31, v1
	v_cmp_gt_i16_e64 s3, 11, v3
	s_or_b32 vcc_lo, vcc_lo, s2
	v_add_co_u32 v0, s2, s4, v0
	v_cndmask_b32_e32 v2, s29, v5, vcc_lo
	v_add_co_ci_u32_e64 v1, null, s5, 0, s2
	s_and_b32 vcc_lo, exec_lo, s3
	s_mov_b32 s2, s42
	s_cbranch_vccnz .LBB489_693
; %bb.686:
	v_cmp_lt_i16_e32 vcc_lo, 25, v3
	s_cbranch_vccz .LBB489_734
; %bb.687:
	v_cmp_lt_i16_e32 vcc_lo, 28, v3
	s_cbranch_vccz .LBB489_735
	;; [unrolled: 3-line block ×4, first 2 shown]
; %bb.690:
	v_cmp_eq_u16_e32 vcc_lo, 46, v3
	s_mov_b32 s3, 0
	s_mov_b32 s2, -1
	s_cbranch_vccz .LBB489_738
; %bb.691:
	v_and_b32_e32 v5, 0xffff, v2
	s_mov_b32 s23, -1
	s_mov_b32 s2, 0
	global_store_b32 v[0:1], v5, off
	s_branch .LBB489_738
.LBB489_692:
	s_mov_b32 s3, 0
	s_mov_b32 s2, s42
	s_branch .LBB489_733
.LBB489_693:
	s_and_b32 vcc_lo, exec_lo, s45
	s_cbranch_vccz .LBB489_807
; %bb.694:
	v_cmp_gt_i16_e32 vcc_lo, 5, v3
	s_mov_b32 s3, -1
	s_cbranch_vccnz .LBB489_715
; %bb.695:
	v_cmp_gt_i16_e32 vcc_lo, 8, v3
	s_cbranch_vccnz .LBB489_705
; %bb.696:
	v_cmp_gt_i16_e32 vcc_lo, 9, v3
	s_cbranch_vccnz .LBB489_702
; %bb.697:
	v_cmp_lt_i16_e32 vcc_lo, 9, v3
	s_cbranch_vccz .LBB489_699
; %bb.698:
	v_mov_b32_e32 v7, 0
	v_lshlrev_b32_e32 v5, 16, v2
	s_mov_b32 s3, 0
	s_delay_alu instid0(VALU_DEP_2) | instskip(NEXT) | instid1(VALU_DEP_2)
	v_mov_b32_e32 v8, v7
	v_cvt_f64_f32_e32 v[5:6], v5
	global_store_b128 v[0:1], v[5:8], off
.LBB489_699:
	s_and_not1_b32 vcc_lo, exec_lo, s3
	s_cbranch_vccnz .LBB489_701
; %bb.700:
	v_dual_mov_b32 v6, 0 :: v_dual_lshlrev_b32 v5, 16, v2
	global_store_b64 v[0:1], v[5:6], off
.LBB489_701:
	s_mov_b32 s3, 0
.LBB489_702:
	s_delay_alu instid0(SALU_CYCLE_1)
	s_and_not1_b32 vcc_lo, exec_lo, s3
	s_cbranch_vccnz .LBB489_704
; %bb.703:
	v_lshlrev_b32_e32 v5, 16, v2
	s_delay_alu instid0(VALU_DEP_1) | instskip(NEXT) | instid1(VALU_DEP_1)
	v_cvt_f16_f32_e32 v5, v5
	v_and_b32_e32 v5, 0xffff, v5
	global_store_b32 v[0:1], v5, off
.LBB489_704:
	s_mov_b32 s3, 0
.LBB489_705:
	s_delay_alu instid0(SALU_CYCLE_1)
	s_and_not1_b32 vcc_lo, exec_lo, s3
	s_cbranch_vccnz .LBB489_714
; %bb.706:
	v_cmp_gt_i16_e32 vcc_lo, 6, v3
	s_mov_b32 s3, -1
	s_cbranch_vccnz .LBB489_712
; %bb.707:
	v_cmp_lt_i16_e32 vcc_lo, 6, v3
	s_cbranch_vccz .LBB489_709
; %bb.708:
	v_lshlrev_b32_e32 v5, 16, v2
	s_mov_b32 s3, 0
	s_delay_alu instid0(VALU_DEP_1)
	v_cvt_f64_f32_e32 v[5:6], v5
	global_store_b64 v[0:1], v[5:6], off
.LBB489_709:
	s_and_not1_b32 vcc_lo, exec_lo, s3
	s_cbranch_vccnz .LBB489_711
; %bb.710:
	v_lshlrev_b32_e32 v5, 16, v2
	global_store_b32 v[0:1], v5, off
.LBB489_711:
	s_mov_b32 s3, 0
.LBB489_712:
	s_delay_alu instid0(SALU_CYCLE_1)
	s_and_not1_b32 vcc_lo, exec_lo, s3
	s_cbranch_vccnz .LBB489_714
; %bb.713:
	v_lshlrev_b32_e32 v5, 16, v2
	s_delay_alu instid0(VALU_DEP_1)
	v_cvt_f16_f32_e32 v5, v5
	global_store_b16 v[0:1], v5, off
.LBB489_714:
	s_mov_b32 s3, 0
.LBB489_715:
	s_delay_alu instid0(SALU_CYCLE_1)
	s_and_not1_b32 vcc_lo, exec_lo, s3
	s_cbranch_vccnz .LBB489_731
; %bb.716:
	v_cmp_gt_i16_e32 vcc_lo, 2, v3
	s_mov_b32 s3, -1
	s_cbranch_vccnz .LBB489_726
; %bb.717:
	v_cmp_gt_i16_e32 vcc_lo, 3, v3
	s_cbranch_vccnz .LBB489_723
; %bb.718:
	v_cmp_lt_i16_e32 vcc_lo, 3, v3
	s_cbranch_vccz .LBB489_720
; %bb.719:
	v_lshlrev_b32_e32 v5, 16, v2
	s_mov_b32 s3, 0
	s_delay_alu instid0(VALU_DEP_1) | instskip(NEXT) | instid1(VALU_DEP_1)
	v_trunc_f32_e32 v5, v5
	v_mul_f32_e64 v6, 0x2f800000, |v5|
	v_ashrrev_i32_e32 v8, 31, v5
	s_delay_alu instid0(VALU_DEP_2) | instskip(NEXT) | instid1(VALU_DEP_1)
	v_floor_f32_e32 v6, v6
	v_fma_f32 v7, 0xcf800000, v6, |v5|
	v_cvt_u32_f32_e32 v6, v6
	s_delay_alu instid0(VALU_DEP_2) | instskip(NEXT) | instid1(VALU_DEP_2)
	v_cvt_u32_f32_e32 v5, v7
	v_xor_b32_e32 v6, v6, v8
	s_delay_alu instid0(VALU_DEP_2) | instskip(NEXT) | instid1(VALU_DEP_1)
	v_xor_b32_e32 v5, v5, v8
	v_sub_co_u32 v5, vcc_lo, v5, v8
	s_delay_alu instid0(VALU_DEP_3)
	v_sub_co_ci_u32_e32 v6, vcc_lo, v6, v8, vcc_lo
	global_store_b64 v[0:1], v[5:6], off
.LBB489_720:
	s_and_not1_b32 vcc_lo, exec_lo, s3
	s_cbranch_vccnz .LBB489_722
; %bb.721:
	v_lshlrev_b32_e32 v5, 16, v2
	s_delay_alu instid0(VALU_DEP_1)
	v_cvt_i32_f32_e32 v5, v5
	global_store_b32 v[0:1], v5, off
.LBB489_722:
	s_mov_b32 s3, 0
.LBB489_723:
	s_delay_alu instid0(SALU_CYCLE_1)
	s_and_not1_b32 vcc_lo, exec_lo, s3
	s_cbranch_vccnz .LBB489_725
; %bb.724:
	v_lshlrev_b32_e32 v5, 16, v2
	s_delay_alu instid0(VALU_DEP_1)
	v_cvt_i32_f32_e32 v5, v5
	global_store_b16 v[0:1], v5, off
.LBB489_725:
	s_mov_b32 s3, 0
.LBB489_726:
	s_delay_alu instid0(SALU_CYCLE_1)
	s_and_not1_b32 vcc_lo, exec_lo, s3
	s_cbranch_vccnz .LBB489_731
; %bb.727:
	v_cmp_lt_i16_e32 vcc_lo, 0, v3
	s_mov_b32 s3, -1
	s_cbranch_vccz .LBB489_729
; %bb.728:
	v_lshlrev_b32_e32 v3, 16, v2
	s_mov_b32 s3, 0
	s_delay_alu instid0(VALU_DEP_1)
	v_cvt_i32_f32_e32 v3, v3
	global_store_b8 v[0:1], v3, off
.LBB489_729:
	s_and_not1_b32 vcc_lo, exec_lo, s3
	s_cbranch_vccnz .LBB489_731
; %bb.730:
	v_lshlrev_b32_e32 v2, 16, v2
	s_delay_alu instid0(VALU_DEP_1) | instskip(NEXT) | instid1(VALU_DEP_1)
	v_trunc_f32_e32 v2, v2
	v_mul_f32_e64 v3, 0x2f800000, |v2|
	s_delay_alu instid0(VALU_DEP_1) | instskip(NEXT) | instid1(VALU_DEP_1)
	v_floor_f32_e32 v3, v3
	v_fma_f32 v3, 0xcf800000, v3, |v2|
	v_ashrrev_i32_e32 v2, 31, v2
	s_delay_alu instid0(VALU_DEP_2) | instskip(NEXT) | instid1(VALU_DEP_1)
	v_cvt_u32_f32_e32 v3, v3
	v_xor_b32_e32 v3, v3, v2
	s_delay_alu instid0(VALU_DEP_1)
	v_sub_nc_u32_e32 v2, v3, v2
	global_store_b8 v[0:1], v2, off
.LBB489_731:
	s_branch .LBB489_808
.LBB489_732:
	s_mov_b32 s3, 0
.LBB489_733:
                                        ; implicit-def: $vgpr4
	s_branch .LBB489_809
.LBB489_734:
	s_mov_b32 s3, -1
	s_mov_b32 s2, s42
	s_branch .LBB489_765
.LBB489_735:
	s_mov_b32 s3, -1
	s_mov_b32 s2, s42
	s_branch .LBB489_748
.LBB489_736:
	s_mov_b32 s3, -1
	s_mov_b32 s2, s42
	s_branch .LBB489_744
.LBB489_737:
	s_mov_b32 s3, -1
	s_mov_b32 s2, s42
.LBB489_738:
	s_and_b32 vcc_lo, exec_lo, s3
	s_cbranch_vccz .LBB489_743
; %bb.739:
	v_cmp_eq_u16_e32 vcc_lo, 44, v3
	s_mov_b32 s2, -1
	s_cbranch_vccz .LBB489_743
; %bb.740:
	v_and_b32_e32 v5, 0xffff, v2
	v_mov_b32_e32 v6, 0xff
	s_mov_b32 s3, exec_lo
	s_delay_alu instid0(VALU_DEP_2) | instskip(NEXT) | instid1(VALU_DEP_1)
	v_bfe_u32 v7, v5, 7, 8
	v_cmpx_ne_u32_e32 0xff, v7
; %bb.741:
	v_lshlrev_b32_e32 v6, 16, v5
	v_and_b32_e32 v8, 64, v5
	v_lshrrev_b32_e32 v5, 7, v5
	s_delay_alu instid0(VALU_DEP_3) | instskip(NEXT) | instid1(VALU_DEP_3)
	v_and_or_b32 v6, 0x3f0000, v6, v7
	v_cmp_ne_u32_e32 vcc_lo, 0, v8
	s_delay_alu instid0(VALU_DEP_2) | instskip(NEXT) | instid1(VALU_DEP_1)
	v_cmp_ne_u32_e64 s2, 0, v6
	s_and_b32 s2, vcc_lo, s2
	s_delay_alu instid0(SALU_CYCLE_1) | instskip(NEXT) | instid1(VALU_DEP_1)
	v_cndmask_b32_e64 v6, 0, 1, s2
	v_add_nc_u32_e32 v6, v5, v6
; %bb.742:
	s_or_b32 exec_lo, exec_lo, s3
	s_mov_b32 s23, -1
	s_mov_b32 s2, 0
	global_store_b8 v[0:1], v6, off
.LBB489_743:
	s_mov_b32 s3, 0
.LBB489_744:
	s_delay_alu instid0(SALU_CYCLE_1)
	s_and_b32 vcc_lo, exec_lo, s3
	s_cbranch_vccz .LBB489_747
; %bb.745:
	v_cmp_eq_u16_e32 vcc_lo, 29, v3
	s_mov_b32 s2, -1
	s_cbranch_vccz .LBB489_747
; %bb.746:
	v_lshlrev_b32_e32 v5, 16, v2
	s_mov_b32 s23, -1
	s_mov_b32 s2, 0
	s_mov_b32 s3, 0
	s_delay_alu instid0(VALU_DEP_1) | instskip(NEXT) | instid1(VALU_DEP_1)
	v_trunc_f32_e32 v5, v5
	v_mul_f32_e32 v6, 0x2f800000, v5
	s_delay_alu instid0(VALU_DEP_1) | instskip(NEXT) | instid1(VALU_DEP_1)
	v_floor_f32_e32 v6, v6
	v_fmamk_f32 v5, v6, 0xcf800000, v5
	v_cvt_u32_f32_e32 v6, v6
	s_delay_alu instid0(VALU_DEP_2)
	v_cvt_u32_f32_e32 v5, v5
	global_store_b64 v[0:1], v[5:6], off
	s_branch .LBB489_748
.LBB489_747:
	s_mov_b32 s3, 0
.LBB489_748:
	s_delay_alu instid0(SALU_CYCLE_1)
	s_and_b32 vcc_lo, exec_lo, s3
	s_cbranch_vccz .LBB489_764
; %bb.749:
	v_cmp_gt_i16_e32 vcc_lo, 27, v3
	s_mov_b32 s3, -1
	s_cbranch_vccnz .LBB489_755
; %bb.750:
	v_cmp_lt_i16_e32 vcc_lo, 27, v3
	s_cbranch_vccz .LBB489_752
; %bb.751:
	v_lshlrev_b32_e32 v5, 16, v2
	s_mov_b32 s3, 0
	s_delay_alu instid0(VALU_DEP_1)
	v_cvt_u32_f32_e32 v5, v5
	global_store_b32 v[0:1], v5, off
.LBB489_752:
	s_and_not1_b32 vcc_lo, exec_lo, s3
	s_cbranch_vccnz .LBB489_754
; %bb.753:
	v_lshlrev_b32_e32 v5, 16, v2
	s_delay_alu instid0(VALU_DEP_1)
	v_cvt_u32_f32_e32 v5, v5
	global_store_b16 v[0:1], v5, off
.LBB489_754:
	s_mov_b32 s3, 0
.LBB489_755:
	s_delay_alu instid0(SALU_CYCLE_1)
	s_and_not1_b32 vcc_lo, exec_lo, s3
	s_cbranch_vccnz .LBB489_763
; %bb.756:
	v_dual_mov_b32 v8, 0x80 :: v_dual_lshlrev_b32 v7, 16, v2
	s_mov_b32 s3, exec_lo
	s_delay_alu instid0(VALU_DEP_1) | instskip(NEXT) | instid1(VALU_DEP_1)
	v_and_b32_e32 v6, 0x7fffffff, v7
	v_cmpx_gt_u32_e32 0x43800000, v6
	s_cbranch_execz .LBB489_762
; %bb.757:
	v_and_b32_e32 v5, 0xffff, v2
	v_cmp_lt_u32_e32 vcc_lo, 0x3bffffff, v6
	s_mov_b32 s23, 0
                                        ; implicit-def: $vgpr6
	s_and_saveexec_b32 s45, vcc_lo
	s_delay_alu instid0(SALU_CYCLE_1)
	s_xor_b32 s45, exec_lo, s45
	s_cbranch_execz .LBB489_836
; %bb.758:
	v_bfe_u32 v6, v5, 4, 1
	s_mov_b32 s23, exec_lo
	s_delay_alu instid0(VALU_DEP_1) | instskip(NEXT) | instid1(VALU_DEP_1)
	v_add3_u32 v6, v7, v6, 0x487ffff
                                        ; implicit-def: $vgpr7
	v_lshrrev_b32_e32 v6, 20, v6
	s_or_saveexec_b32 s45, s45
                                        ; implicit-def: $sgpr46
	s_delay_alu instid0(SALU_CYCLE_1)
	s_xor_b32 exec_lo, exec_lo, s45
	s_cbranch_execnz .LBB489_837
.LBB489_759:
	s_or_b32 exec_lo, exec_lo, s45
	v_mov_b32_e32 v8, s46
	s_and_saveexec_b32 s45, s23
.LBB489_760:
	v_lshrrev_b32_e32 v5, 8, v5
	s_delay_alu instid0(VALU_DEP_1)
	v_and_or_b32 v8, 0x80, v5, v6
.LBB489_761:
	s_or_b32 exec_lo, exec_lo, s45
.LBB489_762:
	s_delay_alu instid0(SALU_CYCLE_1)
	s_or_b32 exec_lo, exec_lo, s3
	global_store_b8 v[0:1], v8, off
.LBB489_763:
	s_mov_b32 s23, -1
.LBB489_764:
	s_mov_b32 s3, 0
.LBB489_765:
	s_delay_alu instid0(SALU_CYCLE_1)
	s_and_b32 vcc_lo, exec_lo, s3
	s_cbranch_vccz .LBB489_806
; %bb.766:
	v_cmp_lt_i16_e32 vcc_lo, 22, v3
	s_mov_b32 s3, -1
	s_cbranch_vccz .LBB489_798
; %bb.767:
	v_cmp_gt_i16_e32 vcc_lo, 24, v3
	s_cbranch_vccnz .LBB489_787
; %bb.768:
	v_cmp_lt_i16_e32 vcc_lo, 24, v3
	s_cbranch_vccz .LBB489_776
; %bb.769:
	v_dual_mov_b32 v8, 0x80 :: v_dual_lshlrev_b32 v7, 16, v2
	s_mov_b32 s3, exec_lo
	s_delay_alu instid0(VALU_DEP_1) | instskip(NEXT) | instid1(VALU_DEP_1)
	v_and_b32_e32 v6, 0x7fffffff, v7
	v_cmpx_gt_u32_e32 0x47800000, v6
	s_cbranch_execz .LBB489_775
; %bb.770:
	v_and_b32_e32 v5, 0xffff, v2
	v_cmp_lt_u32_e32 vcc_lo, 0x37ffffff, v6
	s_mov_b32 s23, 0
                                        ; implicit-def: $vgpr6
	s_and_saveexec_b32 s45, vcc_lo
	s_delay_alu instid0(SALU_CYCLE_1)
	s_xor_b32 s45, exec_lo, s45
	s_cbranch_execz .LBB489_839
; %bb.771:
	v_bfe_u32 v6, v5, 5, 1
	s_mov_b32 s23, exec_lo
	s_delay_alu instid0(VALU_DEP_1) | instskip(NEXT) | instid1(VALU_DEP_1)
	v_add3_u32 v6, v7, v6, 0x88fffff
                                        ; implicit-def: $vgpr7
	v_lshrrev_b32_e32 v6, 21, v6
	s_or_saveexec_b32 s45, s45
                                        ; implicit-def: $sgpr46
	s_delay_alu instid0(SALU_CYCLE_1)
	s_xor_b32 exec_lo, exec_lo, s45
	s_cbranch_execnz .LBB489_840
.LBB489_772:
	s_or_b32 exec_lo, exec_lo, s45
	v_mov_b32_e32 v8, s46
	s_and_saveexec_b32 s45, s23
.LBB489_773:
	v_lshrrev_b32_e32 v5, 8, v5
	s_delay_alu instid0(VALU_DEP_1)
	v_and_or_b32 v8, 0x80, v5, v6
.LBB489_774:
	s_or_b32 exec_lo, exec_lo, s45
.LBB489_775:
	s_delay_alu instid0(SALU_CYCLE_1)
	s_or_b32 exec_lo, exec_lo, s3
	s_mov_b32 s3, 0
	global_store_b8 v[0:1], v8, off
.LBB489_776:
	s_and_b32 vcc_lo, exec_lo, s3
	s_cbranch_vccz .LBB489_786
; %bb.777:
	v_lshlrev_b32_e32 v7, 16, v2
	v_and_b32_e32 v5, 0xffff, v2
	s_mov_b32 s3, exec_lo
                                        ; implicit-def: $vgpr6
	s_delay_alu instid0(VALU_DEP_2) | instskip(NEXT) | instid1(VALU_DEP_1)
	v_and_b32_e32 v8, 0x7fffffff, v7
	v_cmpx_gt_u32_e32 0x43f00000, v8
	s_xor_b32 s3, exec_lo, s3
	s_cbranch_execz .LBB489_783
; %bb.778:
	s_mov_b32 s23, exec_lo
                                        ; implicit-def: $vgpr6
	v_cmpx_lt_u32_e32 0x3c7fffff, v8
	s_xor_b32 s23, exec_lo, s23
; %bb.779:
	v_bfe_u32 v6, v5, 4, 1
	s_delay_alu instid0(VALU_DEP_1) | instskip(NEXT) | instid1(VALU_DEP_1)
	v_add3_u32 v6, v7, v6, 0x407ffff
	v_and_b32_e32 v7, 0xff00000, v6
	v_lshrrev_b32_e32 v6, 20, v6
	s_delay_alu instid0(VALU_DEP_2) | instskip(NEXT) | instid1(VALU_DEP_2)
	v_cmp_ne_u32_e32 vcc_lo, 0x7f00000, v7
                                        ; implicit-def: $vgpr7
	v_cndmask_b32_e32 v6, 0x7e, v6, vcc_lo
; %bb.780:
	s_and_not1_saveexec_b32 s23, s23
; %bb.781:
	v_add_f32_e64 v6, 0x46800000, |v7|
; %bb.782:
	s_or_b32 exec_lo, exec_lo, s23
                                        ; implicit-def: $vgpr8
.LBB489_783:
	s_and_not1_saveexec_b32 s3, s3
; %bb.784:
	v_mov_b32_e32 v6, 0x7f
	v_cmp_lt_u32_e32 vcc_lo, 0x7f800000, v8
	s_delay_alu instid0(VALU_DEP_2)
	v_cndmask_b32_e32 v6, 0x7e, v6, vcc_lo
; %bb.785:
	s_or_b32 exec_lo, exec_lo, s3
	v_lshrrev_b32_e32 v5, 8, v5
	s_delay_alu instid0(VALU_DEP_1)
	v_and_or_b32 v5, 0x80, v5, v6
	global_store_b8 v[0:1], v5, off
.LBB489_786:
	s_mov_b32 s3, 0
.LBB489_787:
	s_delay_alu instid0(SALU_CYCLE_1)
	s_and_not1_b32 vcc_lo, exec_lo, s3
	s_cbranch_vccnz .LBB489_797
; %bb.788:
	v_lshlrev_b32_e32 v7, 16, v2
	v_and_b32_e32 v5, 0xffff, v2
	s_mov_b32 s3, exec_lo
                                        ; implicit-def: $vgpr6
	s_delay_alu instid0(VALU_DEP_2) | instskip(NEXT) | instid1(VALU_DEP_1)
	v_and_b32_e32 v8, 0x7fffffff, v7
	v_cmpx_gt_u32_e32 0x47800000, v8
	s_xor_b32 s3, exec_lo, s3
	s_cbranch_execz .LBB489_794
; %bb.789:
	s_mov_b32 s23, exec_lo
                                        ; implicit-def: $vgpr6
	v_cmpx_lt_u32_e32 0x387fffff, v8
	s_xor_b32 s23, exec_lo, s23
; %bb.790:
	v_bfe_u32 v6, v5, 5, 1
	s_delay_alu instid0(VALU_DEP_1) | instskip(NEXT) | instid1(VALU_DEP_1)
	v_add3_u32 v6, v7, v6, 0x80fffff
                                        ; implicit-def: $vgpr7
	v_lshrrev_b32_e32 v6, 21, v6
; %bb.791:
	s_and_not1_saveexec_b32 s23, s23
; %bb.792:
	v_add_f32_e64 v6, 0x43000000, |v7|
; %bb.793:
	s_or_b32 exec_lo, exec_lo, s23
                                        ; implicit-def: $vgpr8
.LBB489_794:
	s_and_not1_saveexec_b32 s3, s3
; %bb.795:
	v_mov_b32_e32 v6, 0x7f
	v_cmp_lt_u32_e32 vcc_lo, 0x7f800000, v8
	s_delay_alu instid0(VALU_DEP_2)
	v_cndmask_b32_e32 v6, 0x7c, v6, vcc_lo
; %bb.796:
	s_or_b32 exec_lo, exec_lo, s3
	v_lshrrev_b32_e32 v5, 8, v5
	s_delay_alu instid0(VALU_DEP_1)
	v_and_or_b32 v5, 0x80, v5, v6
	global_store_b8 v[0:1], v5, off
.LBB489_797:
	s_mov_b32 s3, 0
	s_mov_b32 s23, -1
.LBB489_798:
	s_and_not1_b32 vcc_lo, exec_lo, s3
	s_cbranch_vccnz .LBB489_806
; %bb.799:
	v_cmp_lt_i16_e32 vcc_lo, 14, v3
	s_mov_b32 s3, -1
	s_cbranch_vccz .LBB489_803
; %bb.800:
	v_cmp_eq_u16_e32 vcc_lo, 15, v3
	s_mov_b32 s2, -1
	s_cbranch_vccz .LBB489_802
; %bb.801:
	s_mov_b32 s23, -1
	s_mov_b32 s2, 0
	global_store_b16 v[0:1], v2, off
.LBB489_802:
	s_mov_b32 s3, 0
.LBB489_803:
	s_delay_alu instid0(SALU_CYCLE_1)
	s_and_b32 vcc_lo, exec_lo, s3
	s_cbranch_vccz .LBB489_806
; %bb.804:
	v_cmp_eq_u16_e32 vcc_lo, 11, v3
	s_mov_b32 s2, -1
	s_cbranch_vccz .LBB489_806
; %bb.805:
	v_and_b32_e32 v5, 0x7fff, v2
	s_mov_b32 s2, 0
	s_mov_b32 s23, -1
	s_delay_alu instid0(VALU_DEP_1)
	v_cmp_ne_u16_e32 vcc_lo, 0, v5
	v_cndmask_b32_e64 v5, 0, 1, vcc_lo
	global_store_b8 v[0:1], v5, off
.LBB489_806:
.LBB489_807:
	s_and_not1_b32 vcc_lo, exec_lo, s23
	s_cbranch_vccnz .LBB489_732
.LBB489_808:
	v_add_nc_u32_e32 v4, 0x80, v4
	s_mov_b32 s3, -1
.LBB489_809:
	s_and_not1_b32 s23, s42, exec_lo
	s_and_b32 s2, s2, exec_lo
	s_and_not1_b32 s45, s41, exec_lo
	s_and_b32 s22, s22, exec_lo
	s_or_b32 s23, s23, s2
	s_or_b32 s22, s45, s22
	s_or_not1_b32 s46, s3, exec_lo
.LBB489_810:
	s_or_b32 exec_lo, exec_lo, s44
	s_mov_b32 s2, 0
	s_mov_b32 s3, 0
	s_mov_b32 s45, 0
                                        ; implicit-def: $vgpr1_vgpr2
                                        ; implicit-def: $vgpr0
                                        ; implicit-def: $vgpr5
	s_and_saveexec_b32 s44, s46
	s_cbranch_execz .LBB489_908
; %bb.811:
	v_cmp_gt_i32_e32 vcc_lo, s35, v4
	s_mov_b32 s47, s22
	s_mov_b32 s46, 0
                                        ; implicit-def: $vgpr1_vgpr2
                                        ; implicit-def: $vgpr0
                                        ; implicit-def: $vgpr5
	s_and_saveexec_b32 s35, vcc_lo
	s_cbranch_execz .LBB489_907
; %bb.812:
	s_and_not1_b32 vcc_lo, exec_lo, s27
	s_cbranch_vccnz .LBB489_817
; %bb.813:
	v_dual_mov_b32 v0, 0 :: v_dual_mov_b32 v1, 0
	s_and_not1_b32 vcc_lo, exec_lo, s37
	s_mov_b32 s37, 0
	s_cbranch_vccnz .LBB489_822
; %bb.814:
	v_mov_b32_e32 v0, 0
	s_add_i32 s45, s36, 1
	s_cmp_eq_u32 s25, 2
	s_mov_b32 s36, 0
	s_cbranch_scc1 .LBB489_818
; %bb.815:
	v_dual_mov_b32 v1, 0 :: v_dual_mov_b32 v0, 0
	v_mov_b32_e32 v2, v4
	s_and_b32 s36, s45, 28
	s_mov_b64 s[2:3], s[16:17]
.LBB489_816:                            ; =>This Inner Loop Header: Depth=1
	s_clause 0x1
	s_load_b256 s[48:55], s[2:3], 0x4
	s_load_b128 s[64:67], s[2:3], 0x24
	s_load_b256 s[56:63], s[20:21], 0x0
	s_add_u32 s2, s2, 48
	s_addc_u32 s3, s3, 0
	s_add_i32 s46, s46, 4
	s_add_u32 s20, s20, 32
	s_addc_u32 s21, s21, 0
	s_cmp_eq_u32 s36, s46
	s_waitcnt vmcnt(0) lgkmcnt(0)
	v_mul_hi_u32 v3, s49, v2
	s_delay_alu instid0(VALU_DEP_1) | instskip(NEXT) | instid1(VALU_DEP_1)
	v_add_nc_u32_e32 v3, v2, v3
	v_lshrrev_b32_e32 v3, s50, v3
	s_delay_alu instid0(VALU_DEP_1) | instskip(SKIP_1) | instid1(VALU_DEP_2)
	v_mul_hi_u32 v5, s52, v3
	v_mul_lo_u32 v7, v3, s48
	v_add_nc_u32_e32 v5, v3, v5
	s_delay_alu instid0(VALU_DEP_2) | instskip(NEXT) | instid1(VALU_DEP_2)
	v_sub_nc_u32_e32 v2, v2, v7
	v_lshrrev_b32_e32 v5, s53, v5
	s_delay_alu instid0(VALU_DEP_2) | instskip(SKIP_1) | instid1(VALU_DEP_3)
	v_mul_lo_u32 v7, v2, s56
	v_mul_lo_u32 v9, v2, s57
	v_mul_hi_u32 v6, s55, v5
	s_delay_alu instid0(VALU_DEP_1) | instskip(NEXT) | instid1(VALU_DEP_1)
	v_add_nc_u32_e32 v6, v5, v6
	v_lshrrev_b32_e32 v6, s64, v6
	s_delay_alu instid0(VALU_DEP_1) | instskip(SKIP_1) | instid1(VALU_DEP_2)
	v_mul_hi_u32 v8, s66, v6
	v_mul_lo_u32 v10, v6, s54
	v_add_nc_u32_e32 v2, v6, v8
	v_mul_lo_u32 v8, v5, s51
	s_delay_alu instid0(VALU_DEP_3) | instskip(NEXT) | instid1(VALU_DEP_3)
	v_sub_nc_u32_e32 v5, v5, v10
	v_lshrrev_b32_e32 v2, s67, v2
	s_delay_alu instid0(VALU_DEP_2) | instskip(SKIP_2) | instid1(VALU_DEP_4)
	v_mul_lo_u32 v10, v5, s60
	v_mul_lo_u32 v5, v5, s61
	v_sub_nc_u32_e32 v3, v3, v8
	v_mul_lo_u32 v11, v2, s65
	s_delay_alu instid0(VALU_DEP_2) | instskip(SKIP_1) | instid1(VALU_DEP_3)
	v_mul_lo_u32 v8, v3, s58
	v_mul_lo_u32 v3, v3, s59
	v_sub_nc_u32_e32 v6, v6, v11
	s_delay_alu instid0(VALU_DEP_3) | instskip(NEXT) | instid1(VALU_DEP_2)
	v_add3_u32 v0, v7, v0, v8
	v_mul_lo_u32 v11, v6, s62
	v_mul_lo_u32 v6, v6, s63
	v_add3_u32 v1, v9, v1, v3
	s_delay_alu instid0(VALU_DEP_3) | instskip(NEXT) | instid1(VALU_DEP_2)
	v_add3_u32 v0, v10, v0, v11
	v_add3_u32 v1, v5, v1, v6
	s_cbranch_scc0 .LBB489_816
	s_branch .LBB489_819
.LBB489_817:
	s_mov_b32 s37, -1
                                        ; implicit-def: $vgpr0
                                        ; implicit-def: $vgpr1
	s_branch .LBB489_822
.LBB489_818:
	v_dual_mov_b32 v2, v4 :: v_dual_mov_b32 v1, 0
.LBB489_819:
	s_and_b32 s45, s45, 3
	s_delay_alu instid0(SALU_CYCLE_1)
	s_cmp_eq_u32 s45, 0
	s_cbranch_scc1 .LBB489_822
; %bb.820:
	s_lshl_b32 s2, s36, 3
	s_mul_i32 s20, s36, 12
	s_add_u32 s2, s2, s16
	s_addc_u32 s3, s17, 0
	s_add_u32 s2, s2, 0xc4
	s_addc_u32 s3, s3, 0
	;; [unrolled: 2-line block ×3, first 2 shown]
.LBB489_821:                            ; =>This Inner Loop Header: Depth=1
	s_clause 0x1
	s_load_b64 s[46:47], s[20:21], 0x4
	s_load_b32 s36, s[20:21], 0xc
	s_load_b64 s[48:49], s[2:3], 0x0
	s_add_u32 s20, s20, 12
	s_addc_u32 s21, s21, 0
	s_add_u32 s2, s2, 8
	s_addc_u32 s3, s3, 0
	s_add_i32 s45, s45, -1
	s_delay_alu instid0(SALU_CYCLE_1) | instskip(SKIP_2) | instid1(VALU_DEP_1)
	s_cmp_lg_u32 s45, 0
	s_waitcnt vmcnt(0) lgkmcnt(0)
	v_mul_hi_u32 v3, s47, v2
	v_add_nc_u32_e32 v3, v2, v3
	s_delay_alu instid0(VALU_DEP_1) | instskip(NEXT) | instid1(VALU_DEP_1)
	v_lshrrev_b32_e32 v3, s36, v3
	v_mul_lo_u32 v5, v3, s46
	s_delay_alu instid0(VALU_DEP_1) | instskip(NEXT) | instid1(VALU_DEP_1)
	v_sub_nc_u32_e32 v2, v2, v5
	v_mad_u64_u32 v[5:6], null, v2, s48, v[0:1]
	v_mad_u64_u32 v[6:7], null, v2, s49, v[1:2]
	v_mov_b32_e32 v2, v3
	s_delay_alu instid0(VALU_DEP_2)
	v_dual_mov_b32 v0, v5 :: v_dual_mov_b32 v1, v6
	s_cbranch_scc1 .LBB489_821
.LBB489_822:
	s_and_not1_b32 vcc_lo, exec_lo, s37
	s_cbranch_vccnz .LBB489_825
; %bb.823:
	v_mul_hi_u32 v0, s13, v4
	s_and_not1_b32 vcc_lo, exec_lo, s34
	s_delay_alu instid0(VALU_DEP_1) | instskip(NEXT) | instid1(VALU_DEP_1)
	v_add_nc_u32_e32 v0, v4, v0
	v_lshrrev_b32_e32 v2, s14, v0
	s_delay_alu instid0(VALU_DEP_1) | instskip(NEXT) | instid1(VALU_DEP_1)
	v_mul_lo_u32 v0, v2, s12
	v_sub_nc_u32_e32 v1, v4, v0
	s_delay_alu instid0(VALU_DEP_1)
	v_mul_lo_u32 v0, v1, s8
	v_mul_lo_u32 v1, v1, s9
	s_cbranch_vccnz .LBB489_825
; %bb.824:
	s_waitcnt vmcnt(0)
	v_mul_hi_u32 v3, s18, v2
	s_delay_alu instid0(VALU_DEP_1) | instskip(NEXT) | instid1(VALU_DEP_1)
	v_add_nc_u32_e32 v3, v2, v3
	v_lshrrev_b32_e32 v3, s19, v3
	s_delay_alu instid0(VALU_DEP_1) | instskip(NEXT) | instid1(VALU_DEP_1)
	v_mul_lo_u32 v3, v3, s15
	v_sub_nc_u32_e32 v5, v2, v3
	s_delay_alu instid0(VALU_DEP_1) | instskip(NEXT) | instid1(VALU_DEP_1)
	v_mad_u64_u32 v[2:3], null, v5, s10, v[0:1]
	v_mad_u64_u32 v[3:4], null, v5, s11, v[1:2]
	s_delay_alu instid0(VALU_DEP_1)
	v_dual_mov_b32 v0, v2 :: v_dual_mov_b32 v1, v3
.LBB489_825:
	v_cmp_lt_i16_e64 s2, s33, 11
	s_delay_alu instid0(VALU_DEP_2) | instskip(NEXT) | instid1(VALU_DEP_1)
	v_add_co_u32 v1, s3, s6, v1
	v_add_co_ci_u32_e64 v2, null, s7, 0, s3
	s_delay_alu instid0(VALU_DEP_3)
	s_and_b32 vcc_lo, exec_lo, s2
	s_mov_b32 s6, 0
	s_cbranch_vccnz .LBB489_832
; %bb.826:
	v_cmp_gt_i16_e64 s2, s33, 25
	s_mov_b32 s3, 0
	s_delay_alu instid0(VALU_DEP_1)
	s_and_b32 vcc_lo, exec_lo, s2
	s_cbranch_vccz .LBB489_833
; %bb.827:
	v_cmp_gt_i16_e64 s2, s33, 28
	s_delay_alu instid0(VALU_DEP_1)
	s_and_b32 vcc_lo, exec_lo, s2
	s_cbranch_vccz .LBB489_834
; %bb.828:
	v_cmp_gt_i16_e64 s2, s33, 43
	;; [unrolled: 5-line block ×3, first 2 shown]
	s_delay_alu instid0(VALU_DEP_1)
	s_and_b32 vcc_lo, exec_lo, s2
	s_cbranch_vccz .LBB489_838
; %bb.830:
	v_cmp_eq_u16_e64 s2, s33, 46
	s_mov_b32 s7, 0
	s_delay_alu instid0(VALU_DEP_1)
	s_and_b32 vcc_lo, exec_lo, s2
	s_cbranch_vccz .LBB489_841
; %bb.831:
	global_load_b32 v5, v[1:2], off
	s_mov_b32 s2, 0
	s_mov_b32 s6, -1
	s_branch .LBB489_843
.LBB489_832:
	s_mov_b32 s7, -1
	s_mov_b32 s3, 0
	s_mov_b32 s2, s22
                                        ; implicit-def: $vgpr5
	s_branch .LBB489_906
.LBB489_833:
	s_mov_b32 s7, -1
	s_mov_b32 s2, s22
                                        ; implicit-def: $vgpr5
	s_branch .LBB489_872
.LBB489_834:
	s_mov_b32 s7, -1
	s_mov_b32 s2, s22
                                        ; implicit-def: $vgpr5
	s_branch .LBB489_853
.LBB489_835:
	s_mov_b32 s7, -1
	s_mov_b32 s2, s22
                                        ; implicit-def: $vgpr5
	s_branch .LBB489_848
.LBB489_836:
	s_or_saveexec_b32 s45, s45
                                        ; implicit-def: $sgpr46
	s_delay_alu instid0(SALU_CYCLE_1)
	s_xor_b32 exec_lo, exec_lo, s45
	s_cbranch_execz .LBB489_759
.LBB489_837:
	v_add_f32_e64 v6, 0x46000000, |v7|
	s_and_not1_b32 s23, s23, exec_lo
	s_mov_b32 s46, 0
	s_delay_alu instid0(VALU_DEP_1) | instskip(NEXT) | instid1(VALU_DEP_1)
	v_and_b32_e32 v6, 0xff, v6
	v_cmp_ne_u32_e32 vcc_lo, 0, v6
	s_and_b32 s47, vcc_lo, exec_lo
	s_delay_alu instid0(SALU_CYCLE_1)
	s_or_b32 s23, s23, s47
	s_or_b32 exec_lo, exec_lo, s45
	v_mov_b32_e32 v8, s46
	s_and_saveexec_b32 s45, s23
	s_cbranch_execnz .LBB489_760
	s_branch .LBB489_761
.LBB489_838:
	s_mov_b32 s7, -1
	s_mov_b32 s2, s22
	s_branch .LBB489_842
.LBB489_839:
	s_or_saveexec_b32 s45, s45
                                        ; implicit-def: $sgpr46
	s_delay_alu instid0(SALU_CYCLE_1)
	s_xor_b32 exec_lo, exec_lo, s45
	s_cbranch_execz .LBB489_772
.LBB489_840:
	v_add_f32_e64 v6, 0x42800000, |v7|
	s_and_not1_b32 s23, s23, exec_lo
	s_mov_b32 s46, 0
	s_delay_alu instid0(VALU_DEP_1) | instskip(NEXT) | instid1(VALU_DEP_1)
	v_and_b32_e32 v6, 0xff, v6
	v_cmp_ne_u32_e32 vcc_lo, 0, v6
	s_and_b32 s47, vcc_lo, exec_lo
	s_delay_alu instid0(SALU_CYCLE_1)
	s_or_b32 s23, s23, s47
	s_or_b32 exec_lo, exec_lo, s45
	v_mov_b32_e32 v8, s46
	s_and_saveexec_b32 s45, s23
	s_cbranch_execnz .LBB489_773
	s_branch .LBB489_774
.LBB489_841:
	s_mov_b32 s2, -1
.LBB489_842:
                                        ; implicit-def: $vgpr5
.LBB489_843:
	s_and_b32 vcc_lo, exec_lo, s7
	s_cbranch_vccz .LBB489_847
; %bb.844:
	v_cmp_eq_u16_e64 s2, s33, 44
	s_delay_alu instid0(VALU_DEP_1)
	s_and_b32 vcc_lo, exec_lo, s2
	s_cbranch_vccz .LBB489_846
; %bb.845:
	global_load_u8 v3, v[1:2], off
	s_mov_b32 s2, 0
	s_mov_b32 s6, -1
	s_waitcnt vmcnt(0)
	v_lshlrev_b32_e32 v4, 23, v3
	v_cmp_ne_u32_e32 vcc_lo, 0xff, v3
	s_delay_alu instid0(VALU_DEP_2) | instskip(SKIP_1) | instid1(VALU_DEP_2)
	v_cndmask_b32_e32 v4, 0x7f800001, v4, vcc_lo
	v_cmp_ne_u32_e32 vcc_lo, 0, v3
	v_cndmask_b32_e32 v3, 0x400000, v4, vcc_lo
	s_delay_alu instid0(VALU_DEP_1) | instskip(SKIP_1) | instid1(VALU_DEP_2)
	v_add_nc_u32_e32 v4, 0x7fff, v3
	v_cmp_o_f32_e32 vcc_lo, v3, v3
	v_lshrrev_b32_e32 v4, 16, v4
	s_delay_alu instid0(VALU_DEP_1)
	v_cndmask_b32_e32 v5, 0x7fc0, v4, vcc_lo
	s_branch .LBB489_847
.LBB489_846:
	s_mov_b32 s2, -1
                                        ; implicit-def: $vgpr5
.LBB489_847:
	s_mov_b32 s7, 0
.LBB489_848:
	s_delay_alu instid0(SALU_CYCLE_1)
	s_and_b32 vcc_lo, exec_lo, s7
	s_cbranch_vccz .LBB489_852
; %bb.849:
	v_cmp_eq_u16_e64 s2, s33, 29
	s_delay_alu instid0(VALU_DEP_1)
	s_and_b32 vcc_lo, exec_lo, s2
	s_cbranch_vccz .LBB489_851
; %bb.850:
	global_load_b64 v[3:4], v[1:2], off
	s_mov_b32 s2, 0
	s_mov_b32 s6, -1
	s_mov_b32 s7, 0
	s_waitcnt vmcnt(0)
	v_clz_i32_u32_e32 v5, v4
	s_delay_alu instid0(VALU_DEP_1) | instskip(NEXT) | instid1(VALU_DEP_1)
	v_min_u32_e32 v5, 32, v5
	v_lshlrev_b64 v[3:4], v5, v[3:4]
	s_delay_alu instid0(VALU_DEP_1) | instskip(NEXT) | instid1(VALU_DEP_1)
	v_min_u32_e32 v3, 1, v3
	v_or_b32_e32 v3, v4, v3
	v_sub_nc_u32_e32 v4, 32, v5
	s_delay_alu instid0(VALU_DEP_2) | instskip(NEXT) | instid1(VALU_DEP_1)
	v_cvt_f32_u32_e32 v3, v3
	v_ldexp_f32 v3, v3, v4
	s_delay_alu instid0(VALU_DEP_1) | instskip(NEXT) | instid1(VALU_DEP_1)
	v_bfe_u32 v4, v3, 16, 1
	v_add3_u32 v3, v3, v4, 0x7fff
	s_delay_alu instid0(VALU_DEP_1)
	v_lshrrev_b32_e32 v5, 16, v3
	s_branch .LBB489_853
.LBB489_851:
	s_mov_b32 s2, -1
                                        ; implicit-def: $vgpr5
.LBB489_852:
	s_mov_b32 s7, 0
.LBB489_853:
	s_delay_alu instid0(SALU_CYCLE_1)
	s_and_b32 vcc_lo, exec_lo, s7
	s_cbranch_vccz .LBB489_871
; %bb.854:
	v_cmp_lt_i16_e64 s6, s33, 27
	s_delay_alu instid0(VALU_DEP_1)
	s_and_b32 vcc_lo, exec_lo, s6
	s_cbranch_vccnz .LBB489_857
; %bb.855:
	v_cmp_gt_i16_e64 s6, s33, 27
	s_delay_alu instid0(VALU_DEP_1)
	s_and_b32 vcc_lo, exec_lo, s6
	s_cbranch_vccz .LBB489_858
; %bb.856:
	global_load_b32 v3, v[1:2], off
	s_mov_b32 s6, 0
	s_waitcnt vmcnt(0)
	v_cvt_f32_u32_e32 v3, v3
	s_delay_alu instid0(VALU_DEP_1) | instskip(NEXT) | instid1(VALU_DEP_1)
	v_bfe_u32 v4, v3, 16, 1
	v_add3_u32 v3, v3, v4, 0x7fff
	s_delay_alu instid0(VALU_DEP_1)
	v_lshrrev_b32_e32 v5, 16, v3
	s_branch .LBB489_859
.LBB489_857:
	s_mov_b32 s6, -1
                                        ; implicit-def: $vgpr5
	s_branch .LBB489_862
.LBB489_858:
	s_mov_b32 s6, -1
                                        ; implicit-def: $vgpr5
.LBB489_859:
	s_delay_alu instid0(SALU_CYCLE_1)
	s_and_not1_b32 vcc_lo, exec_lo, s6
	s_cbranch_vccnz .LBB489_861
; %bb.860:
	global_load_u16 v3, v[1:2], off
	s_waitcnt vmcnt(0)
	v_cvt_f32_u32_e32 v3, v3
	s_delay_alu instid0(VALU_DEP_1) | instskip(NEXT) | instid1(VALU_DEP_1)
	v_bfe_u32 v4, v3, 16, 1
	v_add3_u32 v3, v3, v4, 0x7fff
	s_delay_alu instid0(VALU_DEP_1)
	v_lshrrev_b32_e32 v5, 16, v3
.LBB489_861:
	s_mov_b32 s6, 0
.LBB489_862:
	s_delay_alu instid0(SALU_CYCLE_1)
	s_and_not1_b32 vcc_lo, exec_lo, s6
	s_cbranch_vccnz .LBB489_870
; %bb.863:
	global_load_u8 v3, v[1:2], off
	s_mov_b32 s6, 0
	s_mov_b32 s8, exec_lo
                                        ; implicit-def: $sgpr7
	s_waitcnt vmcnt(0)
	v_cmpx_lt_i16_e32 0x7f, v3
	s_xor_b32 s8, exec_lo, s8
	s_cbranch_execz .LBB489_884
; %bb.864:
	s_mov_b32 s6, -1
	s_mov_b32 s9, exec_lo
                                        ; implicit-def: $sgpr7
	v_cmpx_eq_u16_e32 0x80, v3
; %bb.865:
	s_mov_b32 s7, 0x7f800001
	s_xor_b32 s6, exec_lo, -1
; %bb.866:
	s_or_b32 exec_lo, exec_lo, s9
	s_delay_alu instid0(SALU_CYCLE_1)
	s_and_b32 s6, s6, exec_lo
	s_or_saveexec_b32 s8, s8
	v_mov_b32_e32 v4, s7
	s_xor_b32 exec_lo, exec_lo, s8
	s_cbranch_execnz .LBB489_885
.LBB489_867:
	s_or_b32 exec_lo, exec_lo, s8
	s_and_saveexec_b32 s7, s6
	s_cbranch_execz .LBB489_869
.LBB489_868:
	v_and_b32_e32 v4, 0xffff, v3
	v_lshlrev_b32_e32 v3, 24, v3
	s_delay_alu instid0(VALU_DEP_2) | instskip(NEXT) | instid1(VALU_DEP_2)
	v_and_b32_e32 v5, 7, v4
	v_and_b32_e32 v3, 0x80000000, v3
	s_delay_alu instid0(VALU_DEP_2) | instskip(NEXT) | instid1(VALU_DEP_1)
	v_clz_i32_u32_e32 v6, v5
	v_min_u32_e32 v6, 32, v6
	s_delay_alu instid0(VALU_DEP_1) | instskip(SKIP_1) | instid1(VALU_DEP_2)
	v_subrev_nc_u32_e32 v7, 28, v6
	v_sub_nc_u32_e32 v6, 29, v6
	v_lshlrev_b32_e32 v7, v7, v4
	v_bfe_u32 v4, v4, 3, 4
	s_delay_alu instid0(VALU_DEP_2) | instskip(NEXT) | instid1(VALU_DEP_2)
	v_and_b32_e32 v7, 7, v7
	v_cmp_eq_u32_e32 vcc_lo, 0, v4
	s_delay_alu instid0(VALU_DEP_2) | instskip(NEXT) | instid1(VALU_DEP_1)
	v_dual_cndmask_b32 v4, v4, v6 :: v_dual_cndmask_b32 v5, v5, v7
	v_lshl_add_u32 v4, v4, 23, 0x3b800000
	s_delay_alu instid0(VALU_DEP_2) | instskip(NEXT) | instid1(VALU_DEP_1)
	v_lshlrev_b32_e32 v5, 20, v5
	v_or3_b32 v4, v3, v4, v5
.LBB489_869:
	s_or_b32 exec_lo, exec_lo, s7
	s_delay_alu instid0(VALU_DEP_1) | instskip(SKIP_1) | instid1(VALU_DEP_2)
	v_bfe_u32 v3, v4, 16, 1
	v_cmp_o_f32_e32 vcc_lo, v4, v4
	v_add3_u32 v3, v4, v3, 0x7fff
	s_delay_alu instid0(VALU_DEP_1) | instskip(NEXT) | instid1(VALU_DEP_1)
	v_lshrrev_b32_e32 v3, 16, v3
	v_cndmask_b32_e32 v5, 0x7fc0, v3, vcc_lo
.LBB489_870:
	s_mov_b32 s6, -1
.LBB489_871:
	s_mov_b32 s7, 0
.LBB489_872:
	s_delay_alu instid0(SALU_CYCLE_1)
	s_and_b32 vcc_lo, exec_lo, s7
	s_cbranch_vccz .LBB489_905
; %bb.873:
	v_cmp_gt_i16_e64 s3, s33, 22
	s_delay_alu instid0(VALU_DEP_1)
	s_and_b32 vcc_lo, exec_lo, s3
	s_cbranch_vccz .LBB489_883
; %bb.874:
	v_cmp_lt_i16_e64 s3, s33, 24
	s_delay_alu instid0(VALU_DEP_1)
	s_and_b32 vcc_lo, exec_lo, s3
	s_cbranch_vccnz .LBB489_886
; %bb.875:
	v_cmp_gt_i16_e64 s3, s33, 24
	s_delay_alu instid0(VALU_DEP_1)
	s_and_b32 vcc_lo, exec_lo, s3
	s_cbranch_vccz .LBB489_887
; %bb.876:
	global_load_u8 v3, v[1:2], off
	s_mov_b32 s3, 0
	s_mov_b32 s7, exec_lo
                                        ; implicit-def: $sgpr6
	s_waitcnt vmcnt(0)
	v_cmpx_lt_i16_e32 0x7f, v3
	s_xor_b32 s7, exec_lo, s7
	s_cbranch_execz .LBB489_899
; %bb.877:
	s_mov_b32 s3, -1
	s_mov_b32 s8, exec_lo
                                        ; implicit-def: $sgpr6
	v_cmpx_eq_u16_e32 0x80, v3
; %bb.878:
	s_mov_b32 s6, 0x7f800001
	s_xor_b32 s3, exec_lo, -1
; %bb.879:
	s_or_b32 exec_lo, exec_lo, s8
	s_delay_alu instid0(SALU_CYCLE_1)
	s_and_b32 s3, s3, exec_lo
	s_or_saveexec_b32 s7, s7
	v_mov_b32_e32 v4, s6
	s_xor_b32 exec_lo, exec_lo, s7
	s_cbranch_execnz .LBB489_900
.LBB489_880:
	s_or_b32 exec_lo, exec_lo, s7
	s_and_saveexec_b32 s6, s3
	s_cbranch_execz .LBB489_882
.LBB489_881:
	v_and_b32_e32 v4, 0xffff, v3
	v_lshlrev_b32_e32 v3, 24, v3
	s_delay_alu instid0(VALU_DEP_2) | instskip(NEXT) | instid1(VALU_DEP_2)
	v_and_b32_e32 v5, 3, v4
	v_and_b32_e32 v3, 0x80000000, v3
	s_delay_alu instid0(VALU_DEP_2) | instskip(NEXT) | instid1(VALU_DEP_1)
	v_clz_i32_u32_e32 v6, v5
	v_min_u32_e32 v6, 32, v6
	s_delay_alu instid0(VALU_DEP_1) | instskip(SKIP_1) | instid1(VALU_DEP_2)
	v_subrev_nc_u32_e32 v7, 29, v6
	v_sub_nc_u32_e32 v6, 30, v6
	v_lshlrev_b32_e32 v7, v7, v4
	v_bfe_u32 v4, v4, 2, 5
	s_delay_alu instid0(VALU_DEP_2) | instskip(NEXT) | instid1(VALU_DEP_2)
	v_and_b32_e32 v7, 3, v7
	v_cmp_eq_u32_e32 vcc_lo, 0, v4
	s_delay_alu instid0(VALU_DEP_2) | instskip(NEXT) | instid1(VALU_DEP_1)
	v_dual_cndmask_b32 v4, v4, v6 :: v_dual_cndmask_b32 v5, v5, v7
	v_lshl_add_u32 v4, v4, 23, 0x37800000
	s_delay_alu instid0(VALU_DEP_2) | instskip(NEXT) | instid1(VALU_DEP_1)
	v_lshlrev_b32_e32 v5, 21, v5
	v_or3_b32 v4, v3, v4, v5
.LBB489_882:
	s_or_b32 exec_lo, exec_lo, s6
	s_delay_alu instid0(VALU_DEP_1) | instskip(SKIP_2) | instid1(VALU_DEP_2)
	v_bfe_u32 v3, v4, 16, 1
	v_cmp_o_f32_e32 vcc_lo, v4, v4
	s_mov_b32 s3, 0
	v_add3_u32 v3, v4, v3, 0x7fff
	s_delay_alu instid0(VALU_DEP_1) | instskip(NEXT) | instid1(VALU_DEP_1)
	v_lshrrev_b32_e32 v3, 16, v3
	v_cndmask_b32_e32 v5, 0x7fc0, v3, vcc_lo
	s_branch .LBB489_888
.LBB489_883:
	s_mov_b32 s3, -1
                                        ; implicit-def: $vgpr5
	s_branch .LBB489_894
.LBB489_884:
	s_or_saveexec_b32 s8, s8
	v_mov_b32_e32 v4, s7
	s_xor_b32 exec_lo, exec_lo, s8
	s_cbranch_execz .LBB489_867
.LBB489_885:
	v_cmp_ne_u16_e32 vcc_lo, 0, v3
	v_mov_b32_e32 v4, 0
	s_and_not1_b32 s6, s6, exec_lo
	s_and_b32 s7, vcc_lo, exec_lo
	s_delay_alu instid0(SALU_CYCLE_1)
	s_or_b32 s6, s6, s7
	s_or_b32 exec_lo, exec_lo, s8
	s_and_saveexec_b32 s7, s6
	s_cbranch_execnz .LBB489_868
	s_branch .LBB489_869
.LBB489_886:
	s_mov_b32 s3, -1
                                        ; implicit-def: $vgpr5
	s_branch .LBB489_891
.LBB489_887:
	s_mov_b32 s3, -1
                                        ; implicit-def: $vgpr5
.LBB489_888:
	s_delay_alu instid0(SALU_CYCLE_1)
	s_and_b32 vcc_lo, exec_lo, s3
	s_cbranch_vccz .LBB489_890
; %bb.889:
	global_load_u8 v3, v[1:2], off
	s_waitcnt vmcnt(0)
	v_lshlrev_b32_e32 v3, 24, v3
	s_delay_alu instid0(VALU_DEP_1) | instskip(NEXT) | instid1(VALU_DEP_1)
	v_and_b32_e32 v4, 0x7f000000, v3
	v_clz_i32_u32_e32 v5, v4
	v_add_nc_u32_e32 v7, 0x1000000, v4
	v_cmp_ne_u32_e32 vcc_lo, 0, v4
	s_delay_alu instid0(VALU_DEP_3) | instskip(NEXT) | instid1(VALU_DEP_1)
	v_min_u32_e32 v5, 32, v5
	v_sub_nc_u32_e64 v5, v5, 4 clamp
	s_delay_alu instid0(VALU_DEP_1) | instskip(SKIP_1) | instid1(VALU_DEP_2)
	v_lshlrev_b32_e32 v6, v5, v4
	v_lshlrev_b32_e32 v5, 23, v5
	v_lshrrev_b32_e32 v6, 4, v6
	s_delay_alu instid0(VALU_DEP_1) | instskip(SKIP_1) | instid1(VALU_DEP_2)
	v_sub_nc_u32_e32 v5, v6, v5
	v_ashrrev_i32_e32 v6, 8, v7
	v_add_nc_u32_e32 v5, 0x3c000000, v5
	s_delay_alu instid0(VALU_DEP_1) | instskip(NEXT) | instid1(VALU_DEP_1)
	v_and_or_b32 v5, 0x7f800000, v6, v5
	v_cndmask_b32_e32 v4, 0, v5, vcc_lo
	s_delay_alu instid0(VALU_DEP_1) | instskip(SKIP_1) | instid1(VALU_DEP_2)
	v_and_or_b32 v3, 0x80000000, v3, v4
	v_bfe_u32 v4, v4, 16, 1
	v_cmp_o_f32_e32 vcc_lo, v3, v3
	s_delay_alu instid0(VALU_DEP_2) | instskip(NEXT) | instid1(VALU_DEP_1)
	v_add3_u32 v4, v3, v4, 0x7fff
	v_lshrrev_b32_e32 v4, 16, v4
	s_delay_alu instid0(VALU_DEP_1)
	v_cndmask_b32_e32 v5, 0x7fc0, v4, vcc_lo
.LBB489_890:
	s_mov_b32 s3, 0
.LBB489_891:
	s_delay_alu instid0(SALU_CYCLE_1)
	s_and_not1_b32 vcc_lo, exec_lo, s3
	s_cbranch_vccnz .LBB489_893
; %bb.892:
	global_load_u8 v3, v[1:2], off
	s_waitcnt vmcnt(0)
	v_lshlrev_b32_e32 v4, 25, v3
	v_lshlrev_b16 v3, 8, v3
	s_delay_alu instid0(VALU_DEP_2) | instskip(NEXT) | instid1(VALU_DEP_2)
	v_lshrrev_b32_e32 v5, 4, v4
	v_and_or_b32 v6, 0x7f00, v3, 0.5
	v_bfe_i32 v3, v3, 0, 16
	s_delay_alu instid0(VALU_DEP_3) | instskip(NEXT) | instid1(VALU_DEP_1)
	v_or_b32_e32 v5, 0x70000000, v5
	v_dual_add_f32 v6, -0.5, v6 :: v_dual_mul_f32 v5, 0x7800000, v5
	v_cmp_gt_u32_e32 vcc_lo, 0x8000000, v4
	s_delay_alu instid0(VALU_DEP_2) | instskip(NEXT) | instid1(VALU_DEP_1)
	v_cndmask_b32_e32 v4, v5, v6, vcc_lo
	v_and_or_b32 v3, 0x80000000, v3, v4
	v_bfe_u32 v4, v4, 16, 1
	s_delay_alu instid0(VALU_DEP_2) | instskip(NEXT) | instid1(VALU_DEP_2)
	v_cmp_o_f32_e32 vcc_lo, v3, v3
	v_add3_u32 v4, v3, v4, 0x7fff
	s_delay_alu instid0(VALU_DEP_1) | instskip(NEXT) | instid1(VALU_DEP_1)
	v_lshrrev_b32_e32 v4, 16, v4
	v_cndmask_b32_e32 v5, 0x7fc0, v4, vcc_lo
.LBB489_893:
	s_mov_b32 s3, 0
	s_mov_b32 s6, -1
.LBB489_894:
	s_and_not1_b32 vcc_lo, exec_lo, s3
	s_mov_b32 s3, 0
	s_cbranch_vccnz .LBB489_905
; %bb.895:
	v_cmp_gt_i16_e64 s3, s33, 14
	s_delay_alu instid0(VALU_DEP_1)
	s_and_b32 vcc_lo, exec_lo, s3
	s_cbranch_vccz .LBB489_898
; %bb.896:
	v_cmp_eq_u16_e64 s2, s33, 15
	s_delay_alu instid0(VALU_DEP_1)
	s_and_b32 vcc_lo, exec_lo, s2
	s_cbranch_vccz .LBB489_901
; %bb.897:
	global_load_u16 v5, v[1:2], off
	s_mov_b32 s2, 0
	s_mov_b32 s6, -1
	s_branch .LBB489_902
.LBB489_898:
	s_mov_b32 s3, -1
                                        ; implicit-def: $vgpr5
	s_branch .LBB489_903
.LBB489_899:
	s_or_saveexec_b32 s7, s7
	v_mov_b32_e32 v4, s6
	s_xor_b32 exec_lo, exec_lo, s7
	s_cbranch_execz .LBB489_880
.LBB489_900:
	v_cmp_ne_u16_e32 vcc_lo, 0, v3
	v_mov_b32_e32 v4, 0
	s_and_not1_b32 s3, s3, exec_lo
	s_and_b32 s6, vcc_lo, exec_lo
	s_delay_alu instid0(SALU_CYCLE_1)
	s_or_b32 s3, s3, s6
	s_or_b32 exec_lo, exec_lo, s7
	s_and_saveexec_b32 s6, s3
	s_cbranch_execnz .LBB489_881
	s_branch .LBB489_882
.LBB489_901:
	s_mov_b32 s2, -1
                                        ; implicit-def: $vgpr5
.LBB489_902:
	s_mov_b32 s3, 0
.LBB489_903:
	s_delay_alu instid0(SALU_CYCLE_1)
	s_and_b32 vcc_lo, exec_lo, s3
	s_mov_b32 s3, 0
	s_cbranch_vccz .LBB489_905
; %bb.904:
	v_cmp_ne_u16_e64 s3, s33, 11
	s_and_not1_b32 s2, s2, exec_lo
                                        ; implicit-def: $vgpr5
	s_delay_alu instid0(VALU_DEP_1)
	s_and_b32 s7, s3, exec_lo
	s_mov_b32 s3, -1
	s_or_b32 s2, s2, s7
.LBB489_905:
	s_mov_b32 s7, 0
.LBB489_906:
	s_and_b32 s45, s6, exec_lo
	s_and_b32 s46, s7, exec_lo
	s_and_not1_b32 s6, s22, exec_lo
	s_and_b32 s7, s2, exec_lo
	s_and_b32 s2, s3, exec_lo
	s_or_b32 s47, s6, s7
.LBB489_907:
	s_or_b32 exec_lo, exec_lo, s35
	s_delay_alu instid0(SALU_CYCLE_1)
	s_and_not1_b32 s6, s22, exec_lo
	s_and_b32 s7, s47, exec_lo
	s_and_b32 s45, s45, exec_lo
	;; [unrolled: 1-line block ×4, first 2 shown]
	s_or_b32 s22, s6, s7
.LBB489_908:
	s_or_b32 exec_lo, exec_lo, s44
	s_delay_alu instid0(SALU_CYCLE_1)
	s_and_not1_b32 s6, s42, exec_lo
	s_and_b32 s7, s23, exec_lo
	s_and_b32 s44, s45, exec_lo
	s_or_b32 s42, s6, s7
	s_and_not1_b32 s6, s41, exec_lo
	s_and_b32 s7, s22, exec_lo
	s_and_b32 s23, s3, exec_lo
	;; [unrolled: 1-line block ×3, first 2 shown]
	s_or_b32 s41, s6, s7
.LBB489_909:
	s_or_b32 exec_lo, exec_lo, s43
	s_delay_alu instid0(SALU_CYCLE_1)
	s_and_not1_b32 s2, s38, exec_lo
	s_and_b32 s6, s42, exec_lo
	s_and_b32 s7, s41, exec_lo
	s_or_b32 s38, s2, s6
	s_and_not1_b32 s6, s39, exec_lo
	s_and_b32 s2, s44, exec_lo
	s_and_b32 s22, s23, exec_lo
	;; [unrolled: 1-line block ×3, first 2 shown]
	s_or_b32 s39, s6, s7
.LBB489_910:
	s_or_b32 exec_lo, exec_lo, s40
	s_mov_b32 s6, 0
	s_and_saveexec_b32 s3, s39
	s_cbranch_execnz .LBB489_922
; %bb.911:
	s_or_b32 exec_lo, exec_lo, s3
	s_and_saveexec_b32 s3, s41
	s_delay_alu instid0(SALU_CYCLE_1)
	s_xor_b32 s3, exec_lo, s3
	s_cbranch_execz .LBB489_913
.LBB489_912:
	global_load_u8 v3, v[1:2], off
	s_or_b32 s2, s2, exec_lo
	s_waitcnt vmcnt(0)
	v_cmp_ne_u16_e32 vcc_lo, 0, v3
	v_cndmask_b32_e64 v3, 0, 1.0, vcc_lo
	s_delay_alu instid0(VALU_DEP_1)
	v_lshrrev_b32_e32 v5, 16, v3
.LBB489_913:
	s_or_b32 exec_lo, exec_lo, s3
	s_and_saveexec_b32 s3, s22
	s_cbranch_execz .LBB489_961
; %bb.914:
	v_cmp_lt_i16_e64 s7, s33, 5
	s_delay_alu instid0(VALU_DEP_1)
	s_and_b32 vcc_lo, exec_lo, s7
	s_cbranch_vccnz .LBB489_919
; %bb.915:
	v_cmp_lt_i16_e64 s7, s33, 8
	s_delay_alu instid0(VALU_DEP_1)
	s_and_b32 vcc_lo, exec_lo, s7
	s_cbranch_vccnz .LBB489_920
	;; [unrolled: 5-line block ×3, first 2 shown]
; %bb.917:
	v_cmp_gt_i16_e64 s7, s33, 9
	s_delay_alu instid0(VALU_DEP_1)
	s_and_b32 vcc_lo, exec_lo, s7
	s_cbranch_vccz .LBB489_924
; %bb.918:
	global_load_b64 v[3:4], v[1:2], off
	s_mov_b32 s7, 0
	s_waitcnt vmcnt(0)
	v_cvt_f32_f64_e32 v3, v[3:4]
	s_delay_alu instid0(VALU_DEP_1) | instskip(SKIP_1) | instid1(VALU_DEP_2)
	v_bfe_u32 v4, v3, 16, 1
	v_cmp_o_f32_e32 vcc_lo, v3, v3
	v_add3_u32 v4, v3, v4, 0x7fff
	s_delay_alu instid0(VALU_DEP_1) | instskip(NEXT) | instid1(VALU_DEP_1)
	v_lshrrev_b32_e32 v4, 16, v4
	v_cndmask_b32_e32 v5, 0x7fc0, v4, vcc_lo
	s_branch .LBB489_925
.LBB489_919:
                                        ; implicit-def: $vgpr5
	s_branch .LBB489_942
.LBB489_920:
                                        ; implicit-def: $vgpr5
	s_branch .LBB489_931
.LBB489_921:
	s_mov_b32 s7, -1
                                        ; implicit-def: $vgpr5
	s_branch .LBB489_928
.LBB489_922:
	s_cbranch_execnz .LBB489_1192
; %bb.923:
	s_mov_b32 s6, exec_lo
	s_and_not1_b32 s41, s41, exec_lo
                                        ; implicit-def: $vgpr5
	s_or_b32 exec_lo, exec_lo, s3
	s_and_saveexec_b32 s3, s41
	s_delay_alu instid0(SALU_CYCLE_1)
	s_xor_b32 s3, exec_lo, s3
	s_cbranch_execnz .LBB489_912
	s_branch .LBB489_913
.LBB489_924:
	s_mov_b32 s7, -1
                                        ; implicit-def: $vgpr5
.LBB489_925:
	s_delay_alu instid0(SALU_CYCLE_1)
	s_and_not1_b32 vcc_lo, exec_lo, s7
	s_cbranch_vccnz .LBB489_927
; %bb.926:
	global_load_b32 v3, v[1:2], off
	s_waitcnt vmcnt(0)
	v_bfe_u32 v4, v3, 16, 1
	v_cmp_o_f32_e32 vcc_lo, v3, v3
	s_delay_alu instid0(VALU_DEP_2) | instskip(NEXT) | instid1(VALU_DEP_1)
	v_add3_u32 v4, v3, v4, 0x7fff
	v_lshrrev_b32_e32 v4, 16, v4
	s_delay_alu instid0(VALU_DEP_1)
	v_cndmask_b32_e32 v5, 0x7fc0, v4, vcc_lo
.LBB489_927:
	s_mov_b32 s7, 0
.LBB489_928:
	s_delay_alu instid0(SALU_CYCLE_1)
	s_and_not1_b32 vcc_lo, exec_lo, s7
	s_cbranch_vccnz .LBB489_930
; %bb.929:
	global_load_b32 v3, v[1:2], off
	s_waitcnt vmcnt(0)
	v_cvt_f32_f16_e32 v4, v3
	v_cmp_o_f16_e32 vcc_lo, v3, v3
	s_delay_alu instid0(VALU_DEP_2) | instskip(NEXT) | instid1(VALU_DEP_1)
	v_bfe_u32 v5, v4, 16, 1
	v_add3_u32 v4, v4, v5, 0x7fff
	s_delay_alu instid0(VALU_DEP_1) | instskip(NEXT) | instid1(VALU_DEP_1)
	v_lshrrev_b32_e32 v4, 16, v4
	v_cndmask_b32_e32 v5, 0x7fc0, v4, vcc_lo
.LBB489_930:
	s_cbranch_execnz .LBB489_941
.LBB489_931:
	v_cmp_lt_i16_e64 s7, s33, 6
	s_delay_alu instid0(VALU_DEP_1)
	s_and_b32 vcc_lo, exec_lo, s7
	s_cbranch_vccnz .LBB489_934
; %bb.932:
	v_cmp_gt_i16_e64 s7, s33, 6
	s_delay_alu instid0(VALU_DEP_1)
	s_and_b32 vcc_lo, exec_lo, s7
	s_cbranch_vccz .LBB489_935
; %bb.933:
	global_load_b64 v[3:4], v[1:2], off
	s_mov_b32 s7, 0
	s_waitcnt vmcnt(0)
	v_cvt_f32_f64_e32 v3, v[3:4]
	s_delay_alu instid0(VALU_DEP_1) | instskip(SKIP_1) | instid1(VALU_DEP_2)
	v_bfe_u32 v4, v3, 16, 1
	v_cmp_o_f32_e32 vcc_lo, v3, v3
	v_add3_u32 v4, v3, v4, 0x7fff
	s_delay_alu instid0(VALU_DEP_1) | instskip(NEXT) | instid1(VALU_DEP_1)
	v_lshrrev_b32_e32 v4, 16, v4
	v_cndmask_b32_e32 v5, 0x7fc0, v4, vcc_lo
	s_branch .LBB489_936
.LBB489_934:
	s_mov_b32 s7, -1
                                        ; implicit-def: $vgpr5
	s_branch .LBB489_939
.LBB489_935:
	s_mov_b32 s7, -1
                                        ; implicit-def: $vgpr5
.LBB489_936:
	s_delay_alu instid0(SALU_CYCLE_1)
	s_and_not1_b32 vcc_lo, exec_lo, s7
	s_cbranch_vccnz .LBB489_938
; %bb.937:
	global_load_b32 v3, v[1:2], off
	s_waitcnt vmcnt(0)
	v_bfe_u32 v4, v3, 16, 1
	v_cmp_o_f32_e32 vcc_lo, v3, v3
	s_delay_alu instid0(VALU_DEP_2) | instskip(NEXT) | instid1(VALU_DEP_1)
	v_add3_u32 v4, v3, v4, 0x7fff
	v_lshrrev_b32_e32 v4, 16, v4
	s_delay_alu instid0(VALU_DEP_1)
	v_cndmask_b32_e32 v5, 0x7fc0, v4, vcc_lo
.LBB489_938:
	s_mov_b32 s7, 0
.LBB489_939:
	s_delay_alu instid0(SALU_CYCLE_1)
	s_and_not1_b32 vcc_lo, exec_lo, s7
	s_cbranch_vccnz .LBB489_941
; %bb.940:
	global_load_u16 v3, v[1:2], off
	s_waitcnt vmcnt(0)
	v_cvt_f32_f16_e32 v4, v3
	v_cmp_o_f16_e32 vcc_lo, v3, v3
	s_delay_alu instid0(VALU_DEP_2) | instskip(NEXT) | instid1(VALU_DEP_1)
	v_bfe_u32 v5, v4, 16, 1
	v_add3_u32 v4, v4, v5, 0x7fff
	s_delay_alu instid0(VALU_DEP_1) | instskip(NEXT) | instid1(VALU_DEP_1)
	v_lshrrev_b32_e32 v4, 16, v4
	v_cndmask_b32_e32 v5, 0x7fc0, v4, vcc_lo
.LBB489_941:
	s_cbranch_execnz .LBB489_960
.LBB489_942:
	v_cmp_lt_i16_e64 s7, s33, 2
	s_delay_alu instid0(VALU_DEP_1)
	s_and_b32 vcc_lo, exec_lo, s7
	s_cbranch_vccnz .LBB489_946
; %bb.943:
	v_cmp_lt_i16_e64 s7, s33, 3
	s_delay_alu instid0(VALU_DEP_1)
	s_and_b32 vcc_lo, exec_lo, s7
	s_cbranch_vccnz .LBB489_947
; %bb.944:
	v_cmp_gt_i16_e64 s7, s33, 3
	s_delay_alu instid0(VALU_DEP_1)
	s_and_b32 vcc_lo, exec_lo, s7
	s_cbranch_vccz .LBB489_948
; %bb.945:
	global_load_b64 v[3:4], v[1:2], off
	s_mov_b32 s7, 0
	s_waitcnt vmcnt(0)
	v_xor_b32_e32 v5, v3, v4
	v_cls_i32_e32 v6, v4
	s_delay_alu instid0(VALU_DEP_2) | instskip(NEXT) | instid1(VALU_DEP_2)
	v_ashrrev_i32_e32 v5, 31, v5
	v_add_nc_u32_e32 v6, -1, v6
	s_delay_alu instid0(VALU_DEP_2) | instskip(NEXT) | instid1(VALU_DEP_1)
	v_add_nc_u32_e32 v5, 32, v5
	v_min_u32_e32 v5, v6, v5
	s_delay_alu instid0(VALU_DEP_1) | instskip(NEXT) | instid1(VALU_DEP_1)
	v_lshlrev_b64 v[3:4], v5, v[3:4]
	v_min_u32_e32 v3, 1, v3
	s_delay_alu instid0(VALU_DEP_1) | instskip(SKIP_1) | instid1(VALU_DEP_2)
	v_or_b32_e32 v3, v4, v3
	v_sub_nc_u32_e32 v4, 32, v5
	v_cvt_f32_i32_e32 v3, v3
	s_delay_alu instid0(VALU_DEP_1) | instskip(NEXT) | instid1(VALU_DEP_1)
	v_ldexp_f32 v3, v3, v4
	v_bfe_u32 v4, v3, 16, 1
	s_delay_alu instid0(VALU_DEP_1) | instskip(NEXT) | instid1(VALU_DEP_1)
	v_add3_u32 v3, v3, v4, 0x7fff
	v_lshrrev_b32_e32 v5, 16, v3
	s_branch .LBB489_949
.LBB489_946:
                                        ; implicit-def: $vgpr5
	s_branch .LBB489_955
.LBB489_947:
	s_mov_b32 s7, -1
                                        ; implicit-def: $vgpr5
	s_branch .LBB489_952
.LBB489_948:
	s_mov_b32 s7, -1
                                        ; implicit-def: $vgpr5
.LBB489_949:
	s_delay_alu instid0(SALU_CYCLE_1)
	s_and_not1_b32 vcc_lo, exec_lo, s7
	s_cbranch_vccnz .LBB489_951
; %bb.950:
	global_load_b32 v3, v[1:2], off
	s_waitcnt vmcnt(0)
	v_cvt_f32_i32_e32 v3, v3
	s_delay_alu instid0(VALU_DEP_1) | instskip(NEXT) | instid1(VALU_DEP_1)
	v_bfe_u32 v4, v3, 16, 1
	v_add3_u32 v3, v3, v4, 0x7fff
	s_delay_alu instid0(VALU_DEP_1)
	v_lshrrev_b32_e32 v5, 16, v3
.LBB489_951:
	s_mov_b32 s7, 0
.LBB489_952:
	s_delay_alu instid0(SALU_CYCLE_1)
	s_and_not1_b32 vcc_lo, exec_lo, s7
	s_cbranch_vccnz .LBB489_954
; %bb.953:
	global_load_i16 v3, v[1:2], off
	s_waitcnt vmcnt(0)
	v_cvt_f32_i32_e32 v3, v3
	s_delay_alu instid0(VALU_DEP_1) | instskip(NEXT) | instid1(VALU_DEP_1)
	v_bfe_u32 v4, v3, 16, 1
	v_add3_u32 v3, v3, v4, 0x7fff
	s_delay_alu instid0(VALU_DEP_1)
	v_lshrrev_b32_e32 v5, 16, v3
.LBB489_954:
	s_cbranch_execnz .LBB489_960
.LBB489_955:
	v_cmp_gt_i16_e64 s7, s33, 0
	s_delay_alu instid0(VALU_DEP_1)
	s_and_b32 vcc_lo, exec_lo, s7
	s_mov_b32 s7, 0
	s_cbranch_vccz .LBB489_957
; %bb.956:
	global_load_i8 v3, v[1:2], off
	s_waitcnt vmcnt(0)
	v_cvt_f32_i32_e32 v3, v3
	s_delay_alu instid0(VALU_DEP_1) | instskip(NEXT) | instid1(VALU_DEP_1)
	v_bfe_u32 v4, v3, 16, 1
	v_add3_u32 v3, v3, v4, 0x7fff
	s_delay_alu instid0(VALU_DEP_1)
	v_lshrrev_b32_e32 v5, 16, v3
	s_branch .LBB489_958
.LBB489_957:
	s_mov_b32 s7, -1
                                        ; implicit-def: $vgpr5
.LBB489_958:
	s_delay_alu instid0(SALU_CYCLE_1)
	s_and_not1_b32 vcc_lo, exec_lo, s7
	s_cbranch_vccnz .LBB489_960
; %bb.959:
	global_load_u8 v1, v[1:2], off
	s_waitcnt vmcnt(0)
	v_cvt_f32_ubyte0_e32 v1, v1
	s_delay_alu instid0(VALU_DEP_1) | instskip(NEXT) | instid1(VALU_DEP_1)
	v_bfe_u32 v2, v1, 16, 1
	v_add3_u32 v1, v1, v2, 0x7fff
	s_delay_alu instid0(VALU_DEP_1)
	v_lshrrev_b32_e32 v5, 16, v1
.LBB489_960:
	s_or_b32 s2, s2, exec_lo
.LBB489_961:
	s_or_b32 exec_lo, exec_lo, s3
	s_mov_b32 s8, 0
	s_mov_b32 s3, 0
                                        ; implicit-def: $vgpr4
                                        ; implicit-def: $vgpr1_vgpr2
                                        ; implicit-def: $vgpr3
	s_and_saveexec_b32 s7, s2
	s_cbranch_execz .LBB489_1038
; %bb.962:
	s_waitcnt vmcnt(0)
	v_lshlrev_b32_e32 v1, 16, v5
	v_and_b32_e64 v4, 0xff, s30
	s_delay_alu instid0(VALU_DEP_2) | instskip(SKIP_1) | instid1(VALU_DEP_3)
	v_cmp_u_f32_e32 vcc_lo, v1, v1
	v_cmp_gt_f32_e64 s2, s31, v1
	v_cmp_gt_i16_e64 s3, 11, v4
	s_delay_alu instid0(VALU_DEP_2)
	s_or_b32 vcc_lo, vcc_lo, s2
	v_add_co_u32 v1, s2, s4, v0
	v_cndmask_b32_e32 v3, s29, v5, vcc_lo
	v_add_co_ci_u32_e64 v2, null, s5, 0, s2
	s_mov_b32 s4, -1
	s_and_b32 vcc_lo, exec_lo, s3
	s_mov_b32 s2, s38
	s_cbranch_vccnz .LBB489_1037
; %bb.963:
	v_cmp_lt_i16_e32 vcc_lo, 25, v4
	s_mov_b32 s3, -1
	s_mov_b32 s2, s38
	s_cbranch_vccz .LBB489_996
; %bb.964:
	v_cmp_lt_i16_e32 vcc_lo, 28, v4
	s_mov_b32 s2, s38
	s_cbranch_vccz .LBB489_980
; %bb.965:
	v_cmp_lt_i16_e32 vcc_lo, 43, v4
	;; [unrolled: 4-line block ×3, first 2 shown]
	s_mov_b32 s2, s38
	s_cbranch_vccz .LBB489_970
; %bb.967:
	v_cmp_eq_u16_e32 vcc_lo, 46, v4
	s_mov_b32 s2, -1
	s_cbranch_vccz .LBB489_969
; %bb.968:
	v_and_b32_e32 v0, 0xffff, v3
	s_mov_b32 s2, 0
	global_store_b32 v[1:2], v0, off
.LBB489_969:
	s_mov_b32 s3, 0
.LBB489_970:
	s_delay_alu instid0(SALU_CYCLE_1)
	s_and_b32 vcc_lo, exec_lo, s3
	s_cbranch_vccz .LBB489_975
; %bb.971:
	v_cmp_eq_u16_e32 vcc_lo, 44, v4
	s_mov_b32 s2, -1
	s_cbranch_vccz .LBB489_975
; %bb.972:
	v_and_b32_e32 v0, 0xffff, v3
	v_mov_b32_e32 v5, 0xff
	s_mov_b32 s3, exec_lo
	s_delay_alu instid0(VALU_DEP_2) | instskip(NEXT) | instid1(VALU_DEP_1)
	v_bfe_u32 v6, v0, 7, 8
	v_cmpx_ne_u32_e32 0xff, v6
; %bb.973:
	v_lshlrev_b32_e32 v5, 16, v0
	v_and_b32_e32 v7, 64, v0
	v_lshrrev_b32_e32 v0, 7, v0
	s_delay_alu instid0(VALU_DEP_3) | instskip(NEXT) | instid1(VALU_DEP_3)
	v_and_or_b32 v5, 0x3f0000, v5, v6
	v_cmp_ne_u32_e32 vcc_lo, 0, v7
	s_delay_alu instid0(VALU_DEP_2) | instskip(NEXT) | instid1(VALU_DEP_1)
	v_cmp_ne_u32_e64 s2, 0, v5
	s_and_b32 s2, vcc_lo, s2
	s_delay_alu instid0(SALU_CYCLE_1) | instskip(NEXT) | instid1(VALU_DEP_1)
	v_cndmask_b32_e64 v5, 0, 1, s2
	v_add_nc_u32_e32 v5, v0, v5
; %bb.974:
	s_or_b32 exec_lo, exec_lo, s3
	s_mov_b32 s2, 0
	global_store_b8 v[1:2], v5, off
.LBB489_975:
	s_mov_b32 s3, 0
.LBB489_976:
	s_delay_alu instid0(SALU_CYCLE_1)
	s_and_b32 vcc_lo, exec_lo, s3
	s_cbranch_vccz .LBB489_979
; %bb.977:
	v_cmp_eq_u16_e32 vcc_lo, 29, v4
	s_mov_b32 s2, -1
	s_cbranch_vccz .LBB489_979
; %bb.978:
	v_lshlrev_b32_e32 v0, 16, v3
	s_mov_b32 s2, 0
	s_delay_alu instid0(VALU_DEP_1) | instskip(NEXT) | instid1(VALU_DEP_1)
	v_trunc_f32_e32 v0, v0
	v_mul_f32_e32 v5, 0x2f800000, v0
	s_delay_alu instid0(VALU_DEP_1) | instskip(NEXT) | instid1(VALU_DEP_1)
	v_floor_f32_e32 v5, v5
	v_fmamk_f32 v0, v5, 0xcf800000, v0
	v_cvt_u32_f32_e32 v6, v5
	s_delay_alu instid0(VALU_DEP_2)
	v_cvt_u32_f32_e32 v5, v0
	global_store_b64 v[1:2], v[5:6], off
.LBB489_979:
	s_mov_b32 s3, 0
.LBB489_980:
	s_delay_alu instid0(SALU_CYCLE_1)
	s_and_b32 vcc_lo, exec_lo, s3
	s_cbranch_vccz .LBB489_995
; %bb.981:
	v_cmp_gt_i16_e32 vcc_lo, 27, v4
	s_mov_b32 s3, -1
	s_cbranch_vccnz .LBB489_987
; %bb.982:
	v_cmp_lt_i16_e32 vcc_lo, 27, v4
	s_cbranch_vccz .LBB489_984
; %bb.983:
	v_lshlrev_b32_e32 v0, 16, v3
	s_mov_b32 s3, 0
	s_delay_alu instid0(VALU_DEP_1)
	v_cvt_u32_f32_e32 v0, v0
	global_store_b32 v[1:2], v0, off
.LBB489_984:
	s_and_not1_b32 vcc_lo, exec_lo, s3
	s_cbranch_vccnz .LBB489_986
; %bb.985:
	v_lshlrev_b32_e32 v0, 16, v3
	s_delay_alu instid0(VALU_DEP_1)
	v_cvt_u32_f32_e32 v0, v0
	global_store_b16 v[1:2], v0, off
.LBB489_986:
	s_mov_b32 s3, 0
.LBB489_987:
	s_delay_alu instid0(SALU_CYCLE_1)
	s_and_not1_b32 vcc_lo, exec_lo, s3
	s_cbranch_vccnz .LBB489_995
; %bb.988:
	v_dual_mov_b32 v7, 0x80 :: v_dual_lshlrev_b32 v6, 16, v3
	s_mov_b32 s3, exec_lo
	s_delay_alu instid0(VALU_DEP_1) | instskip(NEXT) | instid1(VALU_DEP_1)
	v_and_b32_e32 v5, 0x7fffffff, v6
	v_cmpx_gt_u32_e32 0x43800000, v5
	s_cbranch_execz .LBB489_994
; %bb.989:
	v_and_b32_e32 v0, 0xffff, v3
	v_cmp_lt_u32_e32 vcc_lo, 0x3bffffff, v5
	s_mov_b32 s4, 0
                                        ; implicit-def: $vgpr5
	s_and_saveexec_b32 s5, vcc_lo
	s_delay_alu instid0(SALU_CYCLE_1)
	s_xor_b32 s5, exec_lo, s5
	s_cbranch_execz .LBB489_1283
; %bb.990:
	v_bfe_u32 v5, v0, 4, 1
	s_mov_b32 s4, exec_lo
	s_delay_alu instid0(VALU_DEP_1) | instskip(NEXT) | instid1(VALU_DEP_1)
	v_add3_u32 v5, v6, v5, 0x487ffff
                                        ; implicit-def: $vgpr6
	v_lshrrev_b32_e32 v5, 20, v5
	s_or_saveexec_b32 s5, s5
                                        ; implicit-def: $sgpr8
	s_delay_alu instid0(SALU_CYCLE_1)
	s_xor_b32 exec_lo, exec_lo, s5
	s_cbranch_execnz .LBB489_1284
.LBB489_991:
	s_or_b32 exec_lo, exec_lo, s5
	v_mov_b32_e32 v7, s8
	s_and_saveexec_b32 s5, s4
.LBB489_992:
	v_lshrrev_b32_e32 v0, 8, v0
	s_delay_alu instid0(VALU_DEP_1)
	v_and_or_b32 v7, 0x80, v0, v5
.LBB489_993:
	s_or_b32 exec_lo, exec_lo, s5
.LBB489_994:
	s_delay_alu instid0(SALU_CYCLE_1)
	s_or_b32 exec_lo, exec_lo, s3
	global_store_b8 v[1:2], v7, off
.LBB489_995:
	s_mov_b32 s3, 0
.LBB489_996:
	s_delay_alu instid0(SALU_CYCLE_1)
	s_and_b32 vcc_lo, exec_lo, s3
	s_mov_b32 s4, 0
	s_cbranch_vccz .LBB489_1036
; %bb.997:
	v_cmp_lt_i16_e32 vcc_lo, 22, v4
	s_mov_b32 s3, -1
	s_cbranch_vccz .LBB489_1029
; %bb.998:
	v_cmp_gt_i16_e32 vcc_lo, 24, v4
	s_cbranch_vccnz .LBB489_1018
; %bb.999:
	v_cmp_lt_i16_e32 vcc_lo, 24, v4
	s_cbranch_vccz .LBB489_1007
; %bb.1000:
	v_dual_mov_b32 v7, 0x80 :: v_dual_lshlrev_b32 v6, 16, v3
	s_mov_b32 s3, exec_lo
	s_delay_alu instid0(VALU_DEP_1) | instskip(NEXT) | instid1(VALU_DEP_1)
	v_and_b32_e32 v5, 0x7fffffff, v6
	v_cmpx_gt_u32_e32 0x47800000, v5
	s_cbranch_execz .LBB489_1006
; %bb.1001:
	v_and_b32_e32 v0, 0xffff, v3
	v_cmp_lt_u32_e32 vcc_lo, 0x37ffffff, v5
	s_mov_b32 s5, 0
                                        ; implicit-def: $vgpr5
	s_and_saveexec_b32 s8, vcc_lo
	s_delay_alu instid0(SALU_CYCLE_1)
	s_xor_b32 s8, exec_lo, s8
	s_cbranch_execz .LBB489_1327
; %bb.1002:
	v_bfe_u32 v5, v0, 5, 1
	s_mov_b32 s5, exec_lo
	s_delay_alu instid0(VALU_DEP_1) | instskip(NEXT) | instid1(VALU_DEP_1)
	v_add3_u32 v5, v6, v5, 0x88fffff
                                        ; implicit-def: $vgpr6
	v_lshrrev_b32_e32 v5, 21, v5
	s_or_saveexec_b32 s8, s8
                                        ; implicit-def: $sgpr9
	s_delay_alu instid0(SALU_CYCLE_1)
	s_xor_b32 exec_lo, exec_lo, s8
	s_cbranch_execnz .LBB489_1328
.LBB489_1003:
	s_or_b32 exec_lo, exec_lo, s8
	v_mov_b32_e32 v7, s9
	s_and_saveexec_b32 s8, s5
.LBB489_1004:
	v_lshrrev_b32_e32 v0, 8, v0
	s_delay_alu instid0(VALU_DEP_1)
	v_and_or_b32 v7, 0x80, v0, v5
.LBB489_1005:
	s_or_b32 exec_lo, exec_lo, s8
.LBB489_1006:
	s_delay_alu instid0(SALU_CYCLE_1)
	s_or_b32 exec_lo, exec_lo, s3
	s_mov_b32 s3, 0
	global_store_b8 v[1:2], v7, off
.LBB489_1007:
	s_and_b32 vcc_lo, exec_lo, s3
	s_cbranch_vccz .LBB489_1017
; %bb.1008:
	v_lshlrev_b32_e32 v6, 16, v3
	v_and_b32_e32 v0, 0xffff, v3
	s_mov_b32 s3, exec_lo
                                        ; implicit-def: $vgpr5
	s_delay_alu instid0(VALU_DEP_2) | instskip(NEXT) | instid1(VALU_DEP_1)
	v_and_b32_e32 v7, 0x7fffffff, v6
	v_cmpx_gt_u32_e32 0x43f00000, v7
	s_xor_b32 s3, exec_lo, s3
	s_cbranch_execz .LBB489_1014
; %bb.1009:
	s_mov_b32 s5, exec_lo
                                        ; implicit-def: $vgpr5
	v_cmpx_lt_u32_e32 0x3c7fffff, v7
	s_xor_b32 s5, exec_lo, s5
; %bb.1010:
	v_bfe_u32 v5, v0, 4, 1
	s_delay_alu instid0(VALU_DEP_1) | instskip(NEXT) | instid1(VALU_DEP_1)
	v_add3_u32 v5, v6, v5, 0x407ffff
	v_and_b32_e32 v6, 0xff00000, v5
	v_lshrrev_b32_e32 v5, 20, v5
	s_delay_alu instid0(VALU_DEP_2) | instskip(NEXT) | instid1(VALU_DEP_2)
	v_cmp_ne_u32_e32 vcc_lo, 0x7f00000, v6
                                        ; implicit-def: $vgpr6
	v_cndmask_b32_e32 v5, 0x7e, v5, vcc_lo
; %bb.1011:
	s_and_not1_saveexec_b32 s5, s5
; %bb.1012:
	v_add_f32_e64 v5, 0x46800000, |v6|
; %bb.1013:
	s_or_b32 exec_lo, exec_lo, s5
                                        ; implicit-def: $vgpr7
.LBB489_1014:
	s_and_not1_saveexec_b32 s3, s3
; %bb.1015:
	v_mov_b32_e32 v5, 0x7f
	v_cmp_lt_u32_e32 vcc_lo, 0x7f800000, v7
	s_delay_alu instid0(VALU_DEP_2)
	v_cndmask_b32_e32 v5, 0x7e, v5, vcc_lo
; %bb.1016:
	s_or_b32 exec_lo, exec_lo, s3
	v_lshrrev_b32_e32 v0, 8, v0
	s_delay_alu instid0(VALU_DEP_1)
	v_and_or_b32 v0, 0x80, v0, v5
	global_store_b8 v[1:2], v0, off
.LBB489_1017:
	s_mov_b32 s3, 0
.LBB489_1018:
	s_delay_alu instid0(SALU_CYCLE_1)
	s_and_not1_b32 vcc_lo, exec_lo, s3
	s_cbranch_vccnz .LBB489_1028
; %bb.1019:
	v_lshlrev_b32_e32 v6, 16, v3
	v_and_b32_e32 v0, 0xffff, v3
	s_mov_b32 s3, exec_lo
                                        ; implicit-def: $vgpr5
	s_delay_alu instid0(VALU_DEP_2) | instskip(NEXT) | instid1(VALU_DEP_1)
	v_and_b32_e32 v7, 0x7fffffff, v6
	v_cmpx_gt_u32_e32 0x47800000, v7
	s_xor_b32 s3, exec_lo, s3
	s_cbranch_execz .LBB489_1025
; %bb.1020:
	s_mov_b32 s5, exec_lo
                                        ; implicit-def: $vgpr5
	v_cmpx_lt_u32_e32 0x387fffff, v7
	s_xor_b32 s5, exec_lo, s5
; %bb.1021:
	v_bfe_u32 v5, v0, 5, 1
	s_delay_alu instid0(VALU_DEP_1) | instskip(NEXT) | instid1(VALU_DEP_1)
	v_add3_u32 v5, v6, v5, 0x80fffff
                                        ; implicit-def: $vgpr6
	v_lshrrev_b32_e32 v5, 21, v5
; %bb.1022:
	s_and_not1_saveexec_b32 s5, s5
; %bb.1023:
	v_add_f32_e64 v5, 0x43000000, |v6|
; %bb.1024:
	s_or_b32 exec_lo, exec_lo, s5
                                        ; implicit-def: $vgpr7
.LBB489_1025:
	s_and_not1_saveexec_b32 s3, s3
; %bb.1026:
	v_mov_b32_e32 v5, 0x7f
	v_cmp_lt_u32_e32 vcc_lo, 0x7f800000, v7
	s_delay_alu instid0(VALU_DEP_2)
	v_cndmask_b32_e32 v5, 0x7c, v5, vcc_lo
; %bb.1027:
	s_or_b32 exec_lo, exec_lo, s3
	v_lshrrev_b32_e32 v0, 8, v0
	s_delay_alu instid0(VALU_DEP_1)
	v_and_or_b32 v0, 0x80, v0, v5
	global_store_b8 v[1:2], v0, off
.LBB489_1028:
	s_mov_b32 s3, 0
.LBB489_1029:
	s_delay_alu instid0(SALU_CYCLE_1)
	s_and_not1_b32 vcc_lo, exec_lo, s3
	s_mov_b32 s8, 0
	s_cbranch_vccnz .LBB489_1037
; %bb.1030:
	v_cmp_lt_i16_e32 vcc_lo, 14, v4
	s_mov_b32 s3, -1
	s_cbranch_vccz .LBB489_1034
; %bb.1031:
	v_cmp_eq_u16_e32 vcc_lo, 15, v4
	s_mov_b32 s2, -1
	s_cbranch_vccz .LBB489_1033
; %bb.1032:
	s_mov_b32 s2, 0
	global_store_b16 v[1:2], v3, off
.LBB489_1033:
	s_mov_b32 s3, 0
.LBB489_1034:
	s_delay_alu instid0(SALU_CYCLE_1)
	s_and_b32 vcc_lo, exec_lo, s3
	s_cbranch_vccz .LBB489_1037
; %bb.1035:
	v_cmp_ne_u16_e32 vcc_lo, 11, v4
	s_and_not1_b32 s2, s2, exec_lo
	s_mov_b32 s8, -1
	s_and_b32 s3, vcc_lo, exec_lo
	s_delay_alu instid0(SALU_CYCLE_1)
	s_or_b32 s2, s2, s3
	s_branch .LBB489_1037
.LBB489_1036:
	s_mov_b32 s8, 0
.LBB489_1037:
	s_and_b32 s3, s4, exec_lo
	s_and_not1_b32 s4, s38, exec_lo
	s_and_b32 s2, s2, exec_lo
	s_and_b32 s8, s8, exec_lo
	s_or_b32 s38, s4, s2
.LBB489_1038:
	s_or_b32 exec_lo, exec_lo, s7
	s_and_saveexec_b32 s2, s38
	s_cbranch_execnz .LBB489_1152
; %bb.1039:
	s_or_b32 exec_lo, exec_lo, s2
	s_and_saveexec_b32 s2, s8
	s_delay_alu instid0(SALU_CYCLE_1)
	s_xor_b32 s2, exec_lo, s2
	s_cbranch_execz .LBB489_1041
.LBB489_1040:
	s_waitcnt vmcnt(0)
	v_and_b32_e32 v0, 0x7fff, v3
	s_delay_alu instid0(VALU_DEP_1)
	v_cmp_ne_u16_e32 vcc_lo, 0, v0
	v_cndmask_b32_e64 v0, 0, 1, vcc_lo
	global_store_b8 v[1:2], v0, off
.LBB489_1041:
	s_or_b32 exec_lo, exec_lo, s2
	s_and_saveexec_b32 s2, s3
	s_delay_alu instid0(SALU_CYCLE_1)
	s_xor_b32 s2, exec_lo, s2
	s_cbranch_execz .LBB489_1079
; %bb.1042:
	v_cmp_gt_i16_e32 vcc_lo, 5, v4
	s_mov_b32 s3, -1
	s_cbranch_vccnz .LBB489_1063
; %bb.1043:
	v_cmp_gt_i16_e32 vcc_lo, 8, v4
	s_cbranch_vccnz .LBB489_1053
; %bb.1044:
	v_cmp_gt_i16_e32 vcc_lo, 9, v4
	s_cbranch_vccnz .LBB489_1050
; %bb.1045:
	v_cmp_lt_i16_e32 vcc_lo, 9, v4
	s_cbranch_vccz .LBB489_1047
; %bb.1046:
	s_waitcnt vmcnt(0)
	v_dual_mov_b32 v7, 0 :: v_dual_lshlrev_b32 v0, 16, v3
	s_mov_b32 s3, 0
	s_delay_alu instid0(VALU_DEP_1) | instskip(NEXT) | instid1(VALU_DEP_2)
	v_cvt_f64_f32_e32 v[5:6], v0
	v_mov_b32_e32 v8, v7
	global_store_b128 v[1:2], v[5:8], off
.LBB489_1047:
	s_and_not1_b32 vcc_lo, exec_lo, s3
	s_cbranch_vccnz .LBB489_1049
; %bb.1048:
	s_waitcnt vmcnt(0)
	v_dual_mov_b32 v6, 0 :: v_dual_lshlrev_b32 v5, 16, v3
	global_store_b64 v[1:2], v[5:6], off
.LBB489_1049:
	s_mov_b32 s3, 0
.LBB489_1050:
	s_delay_alu instid0(SALU_CYCLE_1)
	s_and_not1_b32 vcc_lo, exec_lo, s3
	s_cbranch_vccnz .LBB489_1052
; %bb.1051:
	s_waitcnt vmcnt(0)
	v_lshlrev_b32_e32 v0, 16, v3
	s_delay_alu instid0(VALU_DEP_1) | instskip(NEXT) | instid1(VALU_DEP_1)
	v_cvt_f16_f32_e32 v0, v0
	v_and_b32_e32 v0, 0xffff, v0
	global_store_b32 v[1:2], v0, off
.LBB489_1052:
	s_mov_b32 s3, 0
.LBB489_1053:
	s_delay_alu instid0(SALU_CYCLE_1)
	s_and_not1_b32 vcc_lo, exec_lo, s3
	s_cbranch_vccnz .LBB489_1062
; %bb.1054:
	v_cmp_gt_i16_e32 vcc_lo, 6, v4
	s_mov_b32 s3, -1
	s_cbranch_vccnz .LBB489_1060
; %bb.1055:
	v_cmp_lt_i16_e32 vcc_lo, 6, v4
	s_cbranch_vccz .LBB489_1057
; %bb.1056:
	s_waitcnt vmcnt(0)
	v_lshlrev_b32_e32 v0, 16, v3
	s_mov_b32 s3, 0
	s_delay_alu instid0(VALU_DEP_1)
	v_cvt_f64_f32_e32 v[5:6], v0
	global_store_b64 v[1:2], v[5:6], off
.LBB489_1057:
	s_and_not1_b32 vcc_lo, exec_lo, s3
	s_cbranch_vccnz .LBB489_1059
; %bb.1058:
	s_waitcnt vmcnt(0)
	v_lshlrev_b32_e32 v0, 16, v3
	global_store_b32 v[1:2], v0, off
.LBB489_1059:
	s_mov_b32 s3, 0
.LBB489_1060:
	s_delay_alu instid0(SALU_CYCLE_1)
	s_and_not1_b32 vcc_lo, exec_lo, s3
	s_cbranch_vccnz .LBB489_1062
; %bb.1061:
	s_waitcnt vmcnt(0)
	v_lshlrev_b32_e32 v0, 16, v3
	s_delay_alu instid0(VALU_DEP_1)
	v_cvt_f16_f32_e32 v0, v0
	global_store_b16 v[1:2], v0, off
.LBB489_1062:
	s_mov_b32 s3, 0
.LBB489_1063:
	s_delay_alu instid0(SALU_CYCLE_1)
	s_and_not1_b32 vcc_lo, exec_lo, s3
	s_cbranch_vccnz .LBB489_1079
; %bb.1064:
	v_cmp_gt_i16_e32 vcc_lo, 2, v4
	s_mov_b32 s3, -1
	s_cbranch_vccnz .LBB489_1074
; %bb.1065:
	v_cmp_gt_i16_e32 vcc_lo, 3, v4
	s_cbranch_vccnz .LBB489_1071
; %bb.1066:
	v_cmp_lt_i16_e32 vcc_lo, 3, v4
	s_cbranch_vccz .LBB489_1068
; %bb.1067:
	s_waitcnt vmcnt(0)
	v_lshlrev_b32_e32 v0, 16, v3
	s_mov_b32 s3, 0
	s_delay_alu instid0(VALU_DEP_1) | instskip(NEXT) | instid1(VALU_DEP_1)
	v_trunc_f32_e32 v0, v0
	v_mul_f32_e64 v5, 0x2f800000, |v0|
	s_delay_alu instid0(VALU_DEP_1) | instskip(NEXT) | instid1(VALU_DEP_1)
	v_floor_f32_e32 v5, v5
	v_fma_f32 v6, 0xcf800000, v5, |v0|
	v_ashrrev_i32_e32 v0, 31, v0
	v_cvt_u32_f32_e32 v5, v5
	s_delay_alu instid0(VALU_DEP_3) | instskip(NEXT) | instid1(VALU_DEP_2)
	v_cvt_u32_f32_e32 v6, v6
	v_xor_b32_e32 v7, v5, v0
	s_delay_alu instid0(VALU_DEP_2) | instskip(NEXT) | instid1(VALU_DEP_1)
	v_xor_b32_e32 v6, v6, v0
	v_sub_co_u32 v5, vcc_lo, v6, v0
	s_delay_alu instid0(VALU_DEP_3)
	v_sub_co_ci_u32_e32 v6, vcc_lo, v7, v0, vcc_lo
	global_store_b64 v[1:2], v[5:6], off
.LBB489_1068:
	s_and_not1_b32 vcc_lo, exec_lo, s3
	s_cbranch_vccnz .LBB489_1070
; %bb.1069:
	s_waitcnt vmcnt(0)
	v_lshlrev_b32_e32 v0, 16, v3
	s_delay_alu instid0(VALU_DEP_1)
	v_cvt_i32_f32_e32 v0, v0
	global_store_b32 v[1:2], v0, off
.LBB489_1070:
	s_mov_b32 s3, 0
.LBB489_1071:
	s_delay_alu instid0(SALU_CYCLE_1)
	s_and_not1_b32 vcc_lo, exec_lo, s3
	s_cbranch_vccnz .LBB489_1073
; %bb.1072:
	s_waitcnt vmcnt(0)
	v_lshlrev_b32_e32 v0, 16, v3
	s_delay_alu instid0(VALU_DEP_1)
	v_cvt_i32_f32_e32 v0, v0
	global_store_b16 v[1:2], v0, off
.LBB489_1073:
	s_mov_b32 s3, 0
.LBB489_1074:
	s_delay_alu instid0(SALU_CYCLE_1)
	s_and_not1_b32 vcc_lo, exec_lo, s3
	s_cbranch_vccnz .LBB489_1079
; %bb.1075:
	v_cmp_lt_i16_e32 vcc_lo, 0, v4
	s_mov_b32 s3, -1
	s_cbranch_vccz .LBB489_1077
; %bb.1076:
	s_waitcnt vmcnt(0)
	v_lshlrev_b32_e32 v0, 16, v3
	s_mov_b32 s3, 0
	s_delay_alu instid0(VALU_DEP_1)
	v_cvt_i32_f32_e32 v0, v0
	global_store_b8 v[1:2], v0, off
.LBB489_1077:
	s_and_not1_b32 vcc_lo, exec_lo, s3
	s_cbranch_vccnz .LBB489_1079
; %bb.1078:
	s_waitcnt vmcnt(0)
	v_lshlrev_b32_e32 v0, 16, v3
	s_delay_alu instid0(VALU_DEP_1) | instskip(NEXT) | instid1(VALU_DEP_1)
	v_trunc_f32_e32 v0, v0
	v_mul_f32_e64 v3, 0x2f800000, |v0|
	s_delay_alu instid0(VALU_DEP_1) | instskip(NEXT) | instid1(VALU_DEP_1)
	v_floor_f32_e32 v3, v3
	v_fma_f32 v3, 0xcf800000, v3, |v0|
	v_ashrrev_i32_e32 v0, 31, v0
	s_delay_alu instid0(VALU_DEP_2) | instskip(NEXT) | instid1(VALU_DEP_1)
	v_cvt_u32_f32_e32 v3, v3
	v_xor_b32_e32 v3, v3, v0
	s_delay_alu instid0(VALU_DEP_1)
	v_sub_nc_u32_e32 v0, v3, v0
	global_store_b8 v[1:2], v0, off
.LBB489_1079:
	s_or_b32 exec_lo, exec_lo, s2
	s_delay_alu instid0(SALU_CYCLE_1)
	s_and_b32 s8, s6, exec_lo
                                        ; implicit-def: $vgpr8
                                        ; implicit-def: $vgpr4
.LBB489_1080:
	s_or_saveexec_b32 s9, s28
	s_mov_b32 s3, 0
                                        ; implicit-def: $vgpr0_vgpr1
                                        ; implicit-def: $vgpr5
                                        ; implicit-def: $vgpr2
	s_xor_b32 exec_lo, exec_lo, s9
	s_cbranch_execz .LBB489_2096
; %bb.1081:
	v_cndmask_b32_e64 v0, 0, 1, s27
	s_and_not1_b32 vcc_lo, exec_lo, s27
	s_cbranch_vccnz .LBB489_1087
; %bb.1082:
	s_waitcnt vmcnt(0)
	v_mov_b32_e32 v3, 0
	v_mov_b32_e32 v7, 0
	s_cmp_lg_u32 s24, 0
	s_mov_b32 s6, 0
	s_cbranch_scc0 .LBB489_1091
; %bb.1083:
	s_min_u32 s7, s25, 15
	v_mov_b32_e32 v3, 0
	s_add_i32 s7, s7, 1
	s_cmp_eq_u32 s25, 2
	s_mov_b32 s10, 0
	s_cbranch_scc1 .LBB489_1088
; %bb.1084:
	v_mov_b32_e32 v7, 0
	v_mov_b32_e32 v3, 0
	;; [unrolled: 1-line block ×3, first 2 shown]
	s_add_u32 s2, s16, 0xc4
	s_addc_u32 s3, s17, 0
	s_and_b32 s10, s7, 28
	s_mov_b32 s11, 0
	s_mov_b64 s[4:5], s[16:17]
.LBB489_1085:                           ; =>This Inner Loop Header: Depth=1
	s_clause 0x1
	s_load_b256 s[36:43], s[4:5], 0x4
	s_load_b128 s[12:15], s[4:5], 0x24
	s_load_b256 s[44:51], s[2:3], 0x0
	s_add_u32 s4, s4, 48
	s_addc_u32 s5, s5, 0
	s_add_i32 s11, s11, 4
	s_add_u32 s2, s2, 32
	s_addc_u32 s3, s3, 0
	s_cmp_lg_u32 s10, s11
	s_waitcnt lgkmcnt(0)
	v_mul_hi_u32 v2, s37, v1
	s_delay_alu instid0(VALU_DEP_1) | instskip(NEXT) | instid1(VALU_DEP_1)
	v_add_nc_u32_e32 v2, v1, v2
	v_lshrrev_b32_e32 v2, s38, v2
	s_delay_alu instid0(VALU_DEP_1) | instskip(SKIP_1) | instid1(VALU_DEP_2)
	v_mul_hi_u32 v5, s40, v2
	v_mul_lo_u32 v9, v2, s36
	v_add_nc_u32_e32 v5, v2, v5
	s_delay_alu instid0(VALU_DEP_2) | instskip(NEXT) | instid1(VALU_DEP_2)
	v_sub_nc_u32_e32 v1, v1, v9
	v_lshrrev_b32_e32 v5, s41, v5
	s_delay_alu instid0(VALU_DEP_2) | instskip(SKIP_1) | instid1(VALU_DEP_3)
	v_mul_lo_u32 v9, v1, s44
	v_mul_lo_u32 v11, v1, s45
	v_mul_hi_u32 v6, s43, v5
	s_delay_alu instid0(VALU_DEP_1) | instskip(NEXT) | instid1(VALU_DEP_1)
	v_add_nc_u32_e32 v6, v5, v6
	v_lshrrev_b32_e32 v6, s12, v6
	s_delay_alu instid0(VALU_DEP_1) | instskip(SKIP_1) | instid1(VALU_DEP_2)
	v_mul_hi_u32 v10, s14, v6
	v_mul_lo_u32 v12, v6, s42
	v_add_nc_u32_e32 v1, v6, v10
	v_mul_lo_u32 v10, v5, s39
	s_delay_alu instid0(VALU_DEP_3) | instskip(NEXT) | instid1(VALU_DEP_3)
	v_sub_nc_u32_e32 v5, v5, v12
	v_lshrrev_b32_e32 v1, s15, v1
	s_delay_alu instid0(VALU_DEP_2) | instskip(SKIP_2) | instid1(VALU_DEP_4)
	v_mul_lo_u32 v12, v5, s48
	v_mul_lo_u32 v5, v5, s49
	v_sub_nc_u32_e32 v2, v2, v10
	v_mul_lo_u32 v13, v1, s13
	s_delay_alu instid0(VALU_DEP_2) | instskip(SKIP_1) | instid1(VALU_DEP_3)
	v_mul_lo_u32 v10, v2, s46
	v_mul_lo_u32 v2, v2, s47
	v_sub_nc_u32_e32 v6, v6, v13
	s_delay_alu instid0(VALU_DEP_3) | instskip(NEXT) | instid1(VALU_DEP_2)
	v_add3_u32 v3, v9, v3, v10
	v_mul_lo_u32 v13, v6, s50
	v_mul_lo_u32 v6, v6, s51
	v_add3_u32 v2, v11, v7, v2
	s_delay_alu instid0(VALU_DEP_3) | instskip(NEXT) | instid1(VALU_DEP_2)
	v_add3_u32 v3, v12, v3, v13
	v_add3_u32 v7, v5, v2, v6
	s_cbranch_scc1 .LBB489_1085
; %bb.1086:
	s_and_b32 s7, s7, 3
	s_delay_alu instid0(SALU_CYCLE_1)
	s_cmp_eq_u32 s7, 0
	s_cbranch_scc0 .LBB489_1089
	s_branch .LBB489_1091
.LBB489_1087:
	s_mov_b32 s6, -1
                                        ; implicit-def: $vgpr3
                                        ; implicit-def: $vgpr7
	s_branch .LBB489_1091
.LBB489_1088:
	v_mov_b32_e32 v1, v4
	v_mov_b32_e32 v7, 0
	s_and_b32 s7, s7, 3
	s_delay_alu instid0(SALU_CYCLE_1)
	s_cmp_eq_u32 s7, 0
	s_cbranch_scc1 .LBB489_1091
.LBB489_1089:
	s_lshl_b32 s2, s10, 3
	s_mul_i32 s4, s10, 12
	s_add_u32 s2, s2, s16
	s_addc_u32 s3, 0, s17
	s_add_u32 s2, s2, 0xc4
	s_addc_u32 s3, s3, 0
	s_add_u32 s4, s16, s4
	s_addc_u32 s5, 0, s17
	.p2align	6
.LBB489_1090:                           ; =>This Inner Loop Header: Depth=1
	s_clause 0x1
	s_load_b64 s[10:11], s[4:5], 0x4
	s_load_b32 s14, s[4:5], 0xc
	s_load_b64 s[12:13], s[2:3], 0x0
	s_add_u32 s4, s4, 12
	s_addc_u32 s5, s5, 0
	s_add_u32 s2, s2, 8
	s_addc_u32 s3, s3, 0
	s_add_i32 s7, s7, -1
	s_delay_alu instid0(SALU_CYCLE_1) | instskip(SKIP_2) | instid1(VALU_DEP_1)
	s_cmp_lg_u32 s7, 0
	s_waitcnt lgkmcnt(0)
	v_mul_hi_u32 v2, s11, v1
	v_add_nc_u32_e32 v2, v1, v2
	s_delay_alu instid0(VALU_DEP_1) | instskip(NEXT) | instid1(VALU_DEP_1)
	v_lshrrev_b32_e32 v9, s14, v2
	v_mul_lo_u32 v2, v9, s10
	s_delay_alu instid0(VALU_DEP_1) | instskip(NEXT) | instid1(VALU_DEP_1)
	v_sub_nc_u32_e32 v1, v1, v2
	v_mad_u64_u32 v[5:6], null, v1, s12, v[3:4]
	v_mad_u64_u32 v[2:3], null, v1, s13, v[7:8]
	v_mov_b32_e32 v1, v9
	s_delay_alu instid0(VALU_DEP_3) | instskip(NEXT) | instid1(VALU_DEP_3)
	v_mov_b32_e32 v3, v5
	v_mov_b32_e32 v7, v2
	s_cbranch_scc1 .LBB489_1090
.LBB489_1091:
	s_and_not1_b32 vcc_lo, exec_lo, s6
	s_cbranch_vccnz .LBB489_1094
; %bb.1092:
	s_clause 0x1
	s_load_b128 s[4:7], s[16:17], 0x4
	s_load_b64 s[2:3], s[16:17], 0xc4
	s_cmp_lt_u32 s24, 2
	s_waitcnt lgkmcnt(0)
	v_mul_hi_u32 v1, s5, v4
	s_delay_alu instid0(VALU_DEP_1) | instskip(NEXT) | instid1(VALU_DEP_1)
	v_add_nc_u32_e32 v1, v4, v1
	v_lshrrev_b32_e32 v1, s6, v1
	s_delay_alu instid0(VALU_DEP_1) | instskip(NEXT) | instid1(VALU_DEP_1)
	v_mul_lo_u32 v2, v1, s4
	v_sub_nc_u32_e32 v2, v4, v2
	s_waitcnt vmcnt(0)
	s_delay_alu instid0(VALU_DEP_1)
	v_mul_lo_u32 v3, v2, s2
	v_mul_lo_u32 v7, v2, s3
	s_cbranch_scc1 .LBB489_1094
; %bb.1093:
	s_clause 0x1
	s_load_b128 s[4:7], s[16:17], 0x10
	s_load_b64 s[2:3], s[16:17], 0xcc
	s_waitcnt lgkmcnt(0)
	v_mul_hi_u32 v2, s5, v1
	s_delay_alu instid0(VALU_DEP_1) | instskip(NEXT) | instid1(VALU_DEP_1)
	v_add_nc_u32_e32 v2, v1, v2
	v_lshrrev_b32_e32 v2, s6, v2
	s_delay_alu instid0(VALU_DEP_1) | instskip(NEXT) | instid1(VALU_DEP_1)
	v_mul_lo_u32 v2, v2, s4
	v_sub_nc_u32_e32 v5, v1, v2
	s_delay_alu instid0(VALU_DEP_1) | instskip(SKIP_1) | instid1(VALU_DEP_2)
	v_mad_u64_u32 v[1:2], null, v5, s2, v[3:4]
	v_mad_u64_u32 v[2:3], null, v5, s3, v[7:8]
	v_mov_b32_e32 v3, v1
	s_delay_alu instid0(VALU_DEP_2)
	v_mov_b32_e32 v7, v2
.LBB489_1094:
	v_cmp_ne_u32_e32 vcc_lo, 1, v0
	v_add_nc_u32_e32 v1, 0x80, v4
	s_cbranch_vccnz .LBB489_1100
; %bb.1095:
	v_mov_b32_e32 v2, 0
	v_mov_b32_e32 v6, 0
	s_cmp_lg_u32 s24, 0
	s_mov_b32 s6, 0
	s_cbranch_scc0 .LBB489_1104
; %bb.1096:
	s_min_u32 s7, s25, 15
	v_mov_b32_e32 v2, 0
	s_add_i32 s7, s7, 1
	s_cmp_eq_u32 s25, 2
	s_mov_b32 s10, 0
	s_cbranch_scc1 .LBB489_1101
; %bb.1097:
	s_waitcnt vmcnt(0)
	v_dual_mov_b32 v6, 0 :: v_dual_mov_b32 v5, v1
	v_mov_b32_e32 v2, 0
	s_add_u32 s2, s16, 0xc4
	s_addc_u32 s3, s17, 0
	s_and_b32 s10, s7, 28
	s_mov_b32 s11, 0
	s_mov_b64 s[4:5], s[16:17]
.LBB489_1098:                           ; =>This Inner Loop Header: Depth=1
	s_clause 0x1
	s_load_b256 s[36:43], s[4:5], 0x4
	s_load_b128 s[12:15], s[4:5], 0x24
	s_load_b256 s[44:51], s[2:3], 0x0
	s_add_u32 s4, s4, 48
	s_addc_u32 s5, s5, 0
	s_add_i32 s11, s11, 4
	s_add_u32 s2, s2, 32
	s_addc_u32 s3, s3, 0
	s_cmp_lg_u32 s10, s11
	s_waitcnt lgkmcnt(0)
	v_mul_hi_u32 v9, s37, v5
	s_delay_alu instid0(VALU_DEP_1) | instskip(NEXT) | instid1(VALU_DEP_1)
	v_add_nc_u32_e32 v9, v5, v9
	v_lshrrev_b32_e32 v9, s38, v9
	s_delay_alu instid0(VALU_DEP_1) | instskip(SKIP_1) | instid1(VALU_DEP_2)
	v_mul_hi_u32 v10, s40, v9
	v_mul_lo_u32 v12, v9, s36
	v_add_nc_u32_e32 v10, v9, v10
	s_delay_alu instid0(VALU_DEP_2) | instskip(NEXT) | instid1(VALU_DEP_2)
	v_sub_nc_u32_e32 v5, v5, v12
	v_lshrrev_b32_e32 v10, s41, v10
	s_delay_alu instid0(VALU_DEP_2) | instskip(SKIP_1) | instid1(VALU_DEP_3)
	v_mul_lo_u32 v12, v5, s44
	v_mul_lo_u32 v14, v5, s45
	v_mul_hi_u32 v11, s43, v10
	s_delay_alu instid0(VALU_DEP_1) | instskip(NEXT) | instid1(VALU_DEP_1)
	v_add_nc_u32_e32 v11, v10, v11
	v_lshrrev_b32_e32 v11, s12, v11
	s_delay_alu instid0(VALU_DEP_1) | instskip(SKIP_1) | instid1(VALU_DEP_2)
	v_mul_hi_u32 v13, s14, v11
	v_mul_lo_u32 v15, v11, s42
	v_add_nc_u32_e32 v5, v11, v13
	v_mul_lo_u32 v13, v10, s39
	s_delay_alu instid0(VALU_DEP_3) | instskip(NEXT) | instid1(VALU_DEP_3)
	v_sub_nc_u32_e32 v10, v10, v15
	v_lshrrev_b32_e32 v5, s15, v5
	s_delay_alu instid0(VALU_DEP_2) | instskip(SKIP_2) | instid1(VALU_DEP_4)
	v_mul_lo_u32 v15, v10, s48
	v_mul_lo_u32 v10, v10, s49
	v_sub_nc_u32_e32 v9, v9, v13
	v_mul_lo_u32 v16, v5, s13
	s_delay_alu instid0(VALU_DEP_2) | instskip(SKIP_1) | instid1(VALU_DEP_3)
	v_mul_lo_u32 v13, v9, s46
	v_mul_lo_u32 v9, v9, s47
	v_sub_nc_u32_e32 v11, v11, v16
	s_delay_alu instid0(VALU_DEP_3) | instskip(NEXT) | instid1(VALU_DEP_2)
	v_add3_u32 v2, v12, v2, v13
	v_mul_lo_u32 v16, v11, s50
	v_mul_lo_u32 v11, v11, s51
	v_add3_u32 v6, v14, v6, v9
	s_delay_alu instid0(VALU_DEP_3) | instskip(NEXT) | instid1(VALU_DEP_2)
	v_add3_u32 v2, v15, v2, v16
	v_add3_u32 v6, v10, v6, v11
	s_cbranch_scc1 .LBB489_1098
; %bb.1099:
	s_and_b32 s7, s7, 3
	s_delay_alu instid0(SALU_CYCLE_1)
	s_cmp_eq_u32 s7, 0
	s_cbranch_scc0 .LBB489_1102
	s_branch .LBB489_1104
.LBB489_1100:
	s_mov_b32 s6, -1
                                        ; implicit-def: $vgpr2
                                        ; implicit-def: $vgpr6
	s_branch .LBB489_1104
.LBB489_1101:
	s_waitcnt vmcnt(0)
	v_dual_mov_b32 v5, v1 :: v_dual_mov_b32 v6, 0
	s_and_b32 s7, s7, 3
	s_delay_alu instid0(SALU_CYCLE_1)
	s_cmp_eq_u32 s7, 0
	s_cbranch_scc1 .LBB489_1104
.LBB489_1102:
	s_lshl_b32 s2, s10, 3
	s_mul_i32 s4, s10, 12
	s_add_u32 s2, s2, s16
	s_addc_u32 s3, 0, s17
	s_add_u32 s2, s2, 0xc4
	s_addc_u32 s3, s3, 0
	;; [unrolled: 2-line block ×3, first 2 shown]
	.p2align	6
.LBB489_1103:                           ; =>This Inner Loop Header: Depth=1
	s_clause 0x1
	s_load_b64 s[10:11], s[4:5], 0x4
	s_load_b32 s14, s[4:5], 0xc
	s_load_b64 s[12:13], s[2:3], 0x0
	s_add_u32 s4, s4, 12
	s_addc_u32 s5, s5, 0
	s_add_u32 s2, s2, 8
	s_addc_u32 s3, s3, 0
	s_add_i32 s7, s7, -1
	s_delay_alu instid0(SALU_CYCLE_1) | instskip(SKIP_2) | instid1(VALU_DEP_1)
	s_cmp_lg_u32 s7, 0
	s_waitcnt lgkmcnt(0)
	v_mul_hi_u32 v9, s11, v5
	v_add_nc_u32_e32 v9, v5, v9
	s_delay_alu instid0(VALU_DEP_1) | instskip(NEXT) | instid1(VALU_DEP_1)
	v_lshrrev_b32_e32 v12, s14, v9
	v_mul_lo_u32 v9, v12, s10
	s_delay_alu instid0(VALU_DEP_1) | instskip(NEXT) | instid1(VALU_DEP_1)
	v_sub_nc_u32_e32 v5, v5, v9
	v_mad_u64_u32 v[9:10], null, v5, s12, v[2:3]
	v_mad_u64_u32 v[10:11], null, v5, s13, v[6:7]
	s_delay_alu instid0(VALU_DEP_2) | instskip(NEXT) | instid1(VALU_DEP_2)
	v_dual_mov_b32 v5, v12 :: v_dual_mov_b32 v2, v9
	v_mov_b32_e32 v6, v10
	s_cbranch_scc1 .LBB489_1103
.LBB489_1104:
	s_and_not1_b32 vcc_lo, exec_lo, s6
	s_cbranch_vccnz .LBB489_1107
; %bb.1105:
	s_clause 0x1
	s_load_b128 s[4:7], s[16:17], 0x4
	s_load_b64 s[2:3], s[16:17], 0xc4
	s_cmp_lt_u32 s24, 2
	s_waitcnt lgkmcnt(0)
	v_mul_hi_u32 v2, s5, v1
	s_delay_alu instid0(VALU_DEP_1) | instskip(SKIP_1) | instid1(VALU_DEP_1)
	v_add_nc_u32_e32 v2, v1, v2
	s_waitcnt vmcnt(0)
	v_lshrrev_b32_e32 v5, s6, v2
	s_delay_alu instid0(VALU_DEP_1) | instskip(NEXT) | instid1(VALU_DEP_1)
	v_mul_lo_u32 v2, v5, s4
	v_sub_nc_u32_e32 v1, v1, v2
	s_delay_alu instid0(VALU_DEP_1)
	v_mul_lo_u32 v2, v1, s2
	v_mul_lo_u32 v6, v1, s3
	s_cbranch_scc1 .LBB489_1107
; %bb.1106:
	s_clause 0x1
	s_load_b128 s[4:7], s[16:17], 0x10
	s_load_b64 s[2:3], s[16:17], 0xcc
	s_waitcnt lgkmcnt(0)
	v_mul_hi_u32 v1, s5, v5
	s_delay_alu instid0(VALU_DEP_1) | instskip(NEXT) | instid1(VALU_DEP_1)
	v_add_nc_u32_e32 v1, v5, v1
	v_lshrrev_b32_e32 v1, s6, v1
	s_delay_alu instid0(VALU_DEP_1) | instskip(NEXT) | instid1(VALU_DEP_1)
	v_mul_lo_u32 v1, v1, s4
	v_sub_nc_u32_e32 v5, v5, v1
	s_delay_alu instid0(VALU_DEP_1) | instskip(SKIP_1) | instid1(VALU_DEP_2)
	v_mad_u64_u32 v[9:10], null, v5, s2, v[2:3]
	v_mad_u64_u32 v[1:2], null, v5, s3, v[6:7]
	v_mov_b32_e32 v2, v9
	s_delay_alu instid0(VALU_DEP_2)
	v_mov_b32_e32 v6, v1
.LBB489_1107:
	v_cmp_ne_u32_e32 vcc_lo, 1, v0
	v_add_nc_u32_e32 v4, 0x100, v4
	s_cbranch_vccnz .LBB489_1113
; %bb.1108:
	v_mov_b32_e32 v1, 0
	s_waitcnt vmcnt(0)
	v_mov_b32_e32 v5, 0
	s_cmp_lg_u32 s24, 0
	s_mov_b32 s6, 0
	s_cbranch_scc0 .LBB489_1117
; %bb.1109:
	s_min_u32 s7, s25, 15
	v_mov_b32_e32 v1, 0
	s_add_i32 s7, s7, 1
	s_cmp_eq_u32 s25, 2
	s_mov_b32 s10, 0
	s_cbranch_scc1 .LBB489_1114
; %bb.1110:
	v_mov_b32_e32 v5, 0
	v_mov_b32_e32 v1, 0
	;; [unrolled: 1-line block ×3, first 2 shown]
	s_add_u32 s2, s16, 0xc4
	s_addc_u32 s3, s17, 0
	s_and_b32 s10, s7, 28
	s_mov_b32 s11, 0
	s_mov_b64 s[4:5], s[16:17]
.LBB489_1111:                           ; =>This Inner Loop Header: Depth=1
	s_clause 0x1
	s_load_b256 s[36:43], s[4:5], 0x4
	s_load_b128 s[12:15], s[4:5], 0x24
	s_load_b256 s[44:51], s[2:3], 0x0
	s_add_u32 s4, s4, 48
	s_addc_u32 s5, s5, 0
	s_add_i32 s11, s11, 4
	s_add_u32 s2, s2, 32
	s_addc_u32 s3, s3, 0
	s_cmp_lg_u32 s10, s11
	s_waitcnt lgkmcnt(0)
	v_mul_hi_u32 v10, s37, v9
	s_delay_alu instid0(VALU_DEP_1) | instskip(NEXT) | instid1(VALU_DEP_1)
	v_add_nc_u32_e32 v10, v9, v10
	v_lshrrev_b32_e32 v10, s38, v10
	s_delay_alu instid0(VALU_DEP_1) | instskip(SKIP_1) | instid1(VALU_DEP_2)
	v_mul_hi_u32 v11, s40, v10
	v_mul_lo_u32 v13, v10, s36
	v_add_nc_u32_e32 v11, v10, v11
	s_delay_alu instid0(VALU_DEP_2) | instskip(NEXT) | instid1(VALU_DEP_2)
	v_sub_nc_u32_e32 v9, v9, v13
	v_lshrrev_b32_e32 v11, s41, v11
	s_delay_alu instid0(VALU_DEP_2) | instskip(SKIP_1) | instid1(VALU_DEP_3)
	v_mul_lo_u32 v13, v9, s44
	v_mul_lo_u32 v15, v9, s45
	v_mul_hi_u32 v12, s43, v11
	s_delay_alu instid0(VALU_DEP_1) | instskip(NEXT) | instid1(VALU_DEP_1)
	v_add_nc_u32_e32 v12, v11, v12
	v_lshrrev_b32_e32 v12, s12, v12
	s_delay_alu instid0(VALU_DEP_1) | instskip(SKIP_1) | instid1(VALU_DEP_2)
	v_mul_hi_u32 v14, s14, v12
	v_mul_lo_u32 v16, v12, s42
	v_add_nc_u32_e32 v9, v12, v14
	v_mul_lo_u32 v14, v11, s39
	s_delay_alu instid0(VALU_DEP_3) | instskip(NEXT) | instid1(VALU_DEP_3)
	v_sub_nc_u32_e32 v11, v11, v16
	v_lshrrev_b32_e32 v9, s15, v9
	s_delay_alu instid0(VALU_DEP_2) | instskip(SKIP_2) | instid1(VALU_DEP_4)
	v_mul_lo_u32 v16, v11, s48
	v_mul_lo_u32 v11, v11, s49
	v_sub_nc_u32_e32 v10, v10, v14
	v_mul_lo_u32 v17, v9, s13
	s_delay_alu instid0(VALU_DEP_2) | instskip(SKIP_1) | instid1(VALU_DEP_3)
	v_mul_lo_u32 v14, v10, s46
	v_mul_lo_u32 v10, v10, s47
	v_sub_nc_u32_e32 v12, v12, v17
	s_delay_alu instid0(VALU_DEP_3) | instskip(NEXT) | instid1(VALU_DEP_2)
	v_add3_u32 v1, v13, v1, v14
	v_mul_lo_u32 v17, v12, s50
	v_mul_lo_u32 v12, v12, s51
	v_add3_u32 v5, v15, v5, v10
	s_delay_alu instid0(VALU_DEP_3) | instskip(NEXT) | instid1(VALU_DEP_2)
	v_add3_u32 v1, v16, v1, v17
	v_add3_u32 v5, v11, v5, v12
	s_cbranch_scc1 .LBB489_1111
; %bb.1112:
	s_and_b32 s7, s7, 3
	s_delay_alu instid0(SALU_CYCLE_1)
	s_cmp_eq_u32 s7, 0
	s_cbranch_scc0 .LBB489_1115
	s_branch .LBB489_1117
.LBB489_1113:
	s_mov_b32 s6, -1
                                        ; implicit-def: $vgpr1
                                        ; implicit-def: $vgpr5
	s_branch .LBB489_1117
.LBB489_1114:
	v_mov_b32_e32 v9, v4
	v_mov_b32_e32 v5, 0
	s_and_b32 s7, s7, 3
	s_delay_alu instid0(SALU_CYCLE_1)
	s_cmp_eq_u32 s7, 0
	s_cbranch_scc1 .LBB489_1117
.LBB489_1115:
	s_lshl_b32 s2, s10, 3
	s_mul_i32 s4, s10, 12
	s_add_u32 s2, s2, s16
	s_addc_u32 s3, 0, s17
	s_add_u32 s2, s2, 0xc4
	s_addc_u32 s3, s3, 0
	s_add_u32 s4, s16, s4
	s_addc_u32 s5, 0, s17
	.p2align	6
.LBB489_1116:                           ; =>This Inner Loop Header: Depth=1
	s_clause 0x1
	s_load_b64 s[10:11], s[4:5], 0x4
	s_load_b32 s14, s[4:5], 0xc
	s_load_b64 s[12:13], s[2:3], 0x0
	s_add_u32 s4, s4, 12
	s_addc_u32 s5, s5, 0
	s_add_u32 s2, s2, 8
	s_addc_u32 s3, s3, 0
	s_add_i32 s7, s7, -1
	s_delay_alu instid0(SALU_CYCLE_1) | instskip(SKIP_2) | instid1(VALU_DEP_1)
	s_cmp_lg_u32 s7, 0
	s_waitcnt lgkmcnt(0)
	v_mul_hi_u32 v10, s11, v9
	v_add_nc_u32_e32 v10, v9, v10
	s_delay_alu instid0(VALU_DEP_1) | instskip(NEXT) | instid1(VALU_DEP_1)
	v_lshrrev_b32_e32 v13, s14, v10
	v_mul_lo_u32 v10, v13, s10
	s_delay_alu instid0(VALU_DEP_1) | instskip(NEXT) | instid1(VALU_DEP_1)
	v_sub_nc_u32_e32 v9, v9, v10
	v_mad_u64_u32 v[10:11], null, v9, s12, v[1:2]
	v_mad_u64_u32 v[11:12], null, v9, s13, v[5:6]
	v_mov_b32_e32 v9, v13
	s_delay_alu instid0(VALU_DEP_3) | instskip(NEXT) | instid1(VALU_DEP_3)
	v_mov_b32_e32 v1, v10
	v_mov_b32_e32 v5, v11
	s_cbranch_scc1 .LBB489_1116
.LBB489_1117:
	s_and_not1_b32 vcc_lo, exec_lo, s6
	s_cbranch_vccnz .LBB489_1120
; %bb.1118:
	s_clause 0x1
	s_load_b128 s[4:7], s[16:17], 0x4
	s_load_b64 s[2:3], s[16:17], 0xc4
	s_cmp_lt_u32 s24, 2
	s_waitcnt lgkmcnt(0)
	v_mul_hi_u32 v1, s5, v4
	s_delay_alu instid0(VALU_DEP_1) | instskip(NEXT) | instid1(VALU_DEP_1)
	v_add_nc_u32_e32 v1, v4, v1
	v_lshrrev_b32_e32 v9, s6, v1
	s_delay_alu instid0(VALU_DEP_1) | instskip(NEXT) | instid1(VALU_DEP_1)
	v_mul_lo_u32 v1, v9, s4
	v_sub_nc_u32_e32 v4, v4, v1
	s_delay_alu instid0(VALU_DEP_1)
	v_mul_lo_u32 v1, v4, s2
	s_waitcnt vmcnt(0)
	v_mul_lo_u32 v5, v4, s3
	s_cbranch_scc1 .LBB489_1120
; %bb.1119:
	s_clause 0x1
	s_load_b128 s[4:7], s[16:17], 0x10
	s_load_b64 s[2:3], s[16:17], 0xcc
	s_waitcnt lgkmcnt(0)
	v_mul_hi_u32 v4, s5, v9
	s_delay_alu instid0(VALU_DEP_1) | instskip(NEXT) | instid1(VALU_DEP_1)
	v_add_nc_u32_e32 v4, v9, v4
	v_lshrrev_b32_e32 v4, s6, v4
	s_delay_alu instid0(VALU_DEP_1) | instskip(NEXT) | instid1(VALU_DEP_1)
	v_mul_lo_u32 v4, v4, s4
	v_sub_nc_u32_e32 v4, v9, v4
	s_delay_alu instid0(VALU_DEP_1) | instskip(SKIP_1) | instid1(VALU_DEP_2)
	v_mad_u64_u32 v[9:10], null, v4, s2, v[1:2]
	v_mad_u64_u32 v[10:11], null, v4, s3, v[5:6]
	v_mov_b32_e32 v1, v9
	s_delay_alu instid0(VALU_DEP_2)
	v_mov_b32_e32 v5, v10
.LBB489_1120:
	v_cmp_ne_u32_e32 vcc_lo, 1, v0
	s_cbranch_vccnz .LBB489_1126
; %bb.1121:
	v_mov_b32_e32 v0, 0
	v_mov_b32_e32 v4, 0
	s_cmp_lg_u32 s24, 0
	s_mov_b32 s6, 0
	s_cbranch_scc0 .LBB489_1130
; %bb.1122:
	s_min_u32 s7, s25, 15
	v_mov_b32_e32 v0, 0
	s_add_i32 s7, s7, 1
	s_cmp_eq_u32 s25, 2
	s_mov_b32 s10, 0
	s_cbranch_scc1 .LBB489_1127
; %bb.1123:
	v_dual_mov_b32 v4, 0 :: v_dual_mov_b32 v9, v8
	v_mov_b32_e32 v0, 0
	s_add_u32 s2, s16, 0xc4
	s_addc_u32 s3, s17, 0
	s_and_b32 s10, s7, 28
	s_mov_b32 s11, 0
	s_mov_b64 s[4:5], s[16:17]
.LBB489_1124:                           ; =>This Inner Loop Header: Depth=1
	s_clause 0x1
	s_load_b256 s[36:43], s[4:5], 0x4
	s_load_b128 s[12:15], s[4:5], 0x24
	s_load_b256 s[44:51], s[2:3], 0x0
	s_add_u32 s4, s4, 48
	s_addc_u32 s5, s5, 0
	s_add_i32 s11, s11, 4
	s_add_u32 s2, s2, 32
	s_addc_u32 s3, s3, 0
	s_cmp_lg_u32 s10, s11
	s_waitcnt lgkmcnt(0)
	v_mul_hi_u32 v10, s37, v9
	s_delay_alu instid0(VALU_DEP_1) | instskip(NEXT) | instid1(VALU_DEP_1)
	v_add_nc_u32_e32 v10, v9, v10
	v_lshrrev_b32_e32 v10, s38, v10
	s_delay_alu instid0(VALU_DEP_1) | instskip(SKIP_1) | instid1(VALU_DEP_2)
	v_mul_hi_u32 v11, s40, v10
	v_mul_lo_u32 v13, v10, s36
	v_add_nc_u32_e32 v11, v10, v11
	s_delay_alu instid0(VALU_DEP_2) | instskip(NEXT) | instid1(VALU_DEP_2)
	v_sub_nc_u32_e32 v9, v9, v13
	v_lshrrev_b32_e32 v11, s41, v11
	s_delay_alu instid0(VALU_DEP_2) | instskip(SKIP_1) | instid1(VALU_DEP_3)
	v_mul_lo_u32 v13, v9, s44
	v_mul_lo_u32 v15, v9, s45
	v_mul_hi_u32 v12, s43, v11
	s_delay_alu instid0(VALU_DEP_1) | instskip(NEXT) | instid1(VALU_DEP_1)
	v_add_nc_u32_e32 v12, v11, v12
	v_lshrrev_b32_e32 v12, s12, v12
	s_delay_alu instid0(VALU_DEP_1) | instskip(SKIP_1) | instid1(VALU_DEP_2)
	v_mul_hi_u32 v14, s14, v12
	v_mul_lo_u32 v16, v12, s42
	v_add_nc_u32_e32 v9, v12, v14
	v_mul_lo_u32 v14, v11, s39
	s_delay_alu instid0(VALU_DEP_3) | instskip(NEXT) | instid1(VALU_DEP_3)
	v_sub_nc_u32_e32 v11, v11, v16
	v_lshrrev_b32_e32 v9, s15, v9
	s_delay_alu instid0(VALU_DEP_2) | instskip(SKIP_2) | instid1(VALU_DEP_4)
	v_mul_lo_u32 v16, v11, s48
	v_mul_lo_u32 v11, v11, s49
	v_sub_nc_u32_e32 v10, v10, v14
	v_mul_lo_u32 v17, v9, s13
	s_delay_alu instid0(VALU_DEP_2) | instskip(SKIP_1) | instid1(VALU_DEP_3)
	v_mul_lo_u32 v14, v10, s46
	v_mul_lo_u32 v10, v10, s47
	v_sub_nc_u32_e32 v12, v12, v17
	s_delay_alu instid0(VALU_DEP_3) | instskip(NEXT) | instid1(VALU_DEP_2)
	v_add3_u32 v0, v13, v0, v14
	v_mul_lo_u32 v17, v12, s50
	v_mul_lo_u32 v12, v12, s51
	v_add3_u32 v4, v15, v4, v10
	s_delay_alu instid0(VALU_DEP_3) | instskip(NEXT) | instid1(VALU_DEP_2)
	v_add3_u32 v0, v16, v0, v17
	v_add3_u32 v4, v11, v4, v12
	s_cbranch_scc1 .LBB489_1124
; %bb.1125:
	s_and_b32 s7, s7, 3
	s_delay_alu instid0(SALU_CYCLE_1)
	s_cmp_eq_u32 s7, 0
	s_cbranch_scc0 .LBB489_1128
	s_branch .LBB489_1130
.LBB489_1126:
	s_mov_b32 s6, -1
                                        ; implicit-def: $vgpr0
                                        ; implicit-def: $vgpr4
	s_branch .LBB489_1130
.LBB489_1127:
	v_dual_mov_b32 v9, v8 :: v_dual_mov_b32 v4, 0
	s_and_b32 s7, s7, 3
	s_delay_alu instid0(SALU_CYCLE_1)
	s_cmp_eq_u32 s7, 0
	s_cbranch_scc1 .LBB489_1130
.LBB489_1128:
	s_lshl_b32 s2, s10, 3
	s_mul_i32 s4, s10, 12
	s_add_u32 s2, s2, s16
	s_addc_u32 s3, 0, s17
	s_add_u32 s2, s2, 0xc4
	s_addc_u32 s3, s3, 0
	;; [unrolled: 2-line block ×3, first 2 shown]
	.p2align	6
.LBB489_1129:                           ; =>This Inner Loop Header: Depth=1
	s_clause 0x1
	s_load_b64 s[10:11], s[4:5], 0x4
	s_load_b32 s14, s[4:5], 0xc
	s_load_b64 s[12:13], s[2:3], 0x0
	s_add_u32 s4, s4, 12
	s_addc_u32 s5, s5, 0
	s_add_u32 s2, s2, 8
	s_addc_u32 s3, s3, 0
	s_add_i32 s7, s7, -1
	s_delay_alu instid0(SALU_CYCLE_1) | instskip(SKIP_2) | instid1(VALU_DEP_1)
	s_cmp_lg_u32 s7, 0
	s_waitcnt lgkmcnt(0)
	v_mul_hi_u32 v10, s11, v9
	v_add_nc_u32_e32 v10, v9, v10
	s_delay_alu instid0(VALU_DEP_1) | instskip(NEXT) | instid1(VALU_DEP_1)
	v_lshrrev_b32_e32 v13, s14, v10
	v_mul_lo_u32 v10, v13, s10
	s_delay_alu instid0(VALU_DEP_1) | instskip(NEXT) | instid1(VALU_DEP_1)
	v_sub_nc_u32_e32 v9, v9, v10
	v_mad_u64_u32 v[10:11], null, v9, s12, v[0:1]
	s_waitcnt vmcnt(0)
	v_mad_u64_u32 v[11:12], null, v9, s13, v[4:5]
	s_delay_alu instid0(VALU_DEP_2) | instskip(NEXT) | instid1(VALU_DEP_2)
	v_dual_mov_b32 v9, v13 :: v_dual_mov_b32 v0, v10
	v_mov_b32_e32 v4, v11
	s_cbranch_scc1 .LBB489_1129
.LBB489_1130:
	s_and_not1_b32 vcc_lo, exec_lo, s6
	s_cbranch_vccnz .LBB489_1133
; %bb.1131:
	s_clause 0x1
	s_load_b128 s[4:7], s[16:17], 0x4
	s_load_b64 s[2:3], s[16:17], 0xc4
	s_cmp_lt_u32 s24, 2
	s_waitcnt lgkmcnt(0)
	v_mul_hi_u32 v0, s5, v8
	s_delay_alu instid0(VALU_DEP_1) | instskip(NEXT) | instid1(VALU_DEP_1)
	v_add_nc_u32_e32 v0, v8, v0
	v_lshrrev_b32_e32 v9, s6, v0
	s_delay_alu instid0(VALU_DEP_1) | instskip(NEXT) | instid1(VALU_DEP_1)
	v_mul_lo_u32 v0, v9, s4
	v_sub_nc_u32_e32 v4, v8, v0
	s_delay_alu instid0(VALU_DEP_1)
	v_mul_lo_u32 v0, v4, s2
	v_mul_lo_u32 v4, v4, s3
	s_cbranch_scc1 .LBB489_1133
; %bb.1132:
	s_clause 0x1
	s_load_b128 s[4:7], s[16:17], 0x10
	s_load_b64 s[2:3], s[16:17], 0xcc
	s_waitcnt lgkmcnt(0)
	v_mul_hi_u32 v8, s5, v9
	s_delay_alu instid0(VALU_DEP_1) | instskip(NEXT) | instid1(VALU_DEP_1)
	v_add_nc_u32_e32 v8, v9, v8
	v_lshrrev_b32_e32 v8, s6, v8
	s_delay_alu instid0(VALU_DEP_1) | instskip(NEXT) | instid1(VALU_DEP_1)
	v_mul_lo_u32 v8, v8, s4
	v_sub_nc_u32_e32 v11, v9, v8
	s_delay_alu instid0(VALU_DEP_1) | instskip(SKIP_2) | instid1(VALU_DEP_2)
	v_mad_u64_u32 v[8:9], null, v11, s2, v[0:1]
	s_waitcnt vmcnt(0)
	v_mad_u64_u32 v[9:10], null, v11, s3, v[4:5]
	v_mov_b32_e32 v0, v8
	s_delay_alu instid0(VALU_DEP_2)
	v_mov_b32_e32 v4, v9
.LBB489_1133:
	s_clause 0x1
	s_load_b32 s0, s[0:1], 0x160
	s_load_b128 s[4:7], s[16:17], 0x148
	s_mov_b32 s10, 0
	s_waitcnt lgkmcnt(0)
	s_lshr_b32 s1, s0, 24
	v_add_co_u32 v7, s3, s6, v7
	v_cmp_lt_i16_e64 s2, s1, 11
	v_add_co_ci_u32_e64 v8, null, s7, 0, s3
	s_delay_alu instid0(VALU_DEP_2)
	s_and_b32 vcc_lo, exec_lo, s2
	s_cbranch_vccnz .LBB489_1140
; %bb.1134:
	v_cmp_gt_i16_e64 s2, s1, 25
	s_mov_b32 s3, 0
	s_delay_alu instid0(VALU_DEP_1)
	s_and_b32 vcc_lo, exec_lo, s2
	s_cbranch_vccz .LBB489_1146
; %bb.1135:
	v_cmp_gt_i16_e64 s2, s1, 28
	s_delay_alu instid0(VALU_DEP_1)
	s_and_b32 vcc_lo, exec_lo, s2
	s_cbranch_vccz .LBB489_1148
; %bb.1136:
	v_cmp_gt_i16_e64 s2, s1, 43
	;; [unrolled: 5-line block ×3, first 2 shown]
	s_delay_alu instid0(VALU_DEP_1)
	s_and_b32 vcc_lo, exec_lo, s2
	s_cbranch_vccz .LBB489_1154
; %bb.1138:
	v_cmp_eq_u16_e64 s2, s1, 46
	s_mov_b32 s11, 0
	s_delay_alu instid0(VALU_DEP_1)
	s_and_b32 vcc_lo, exec_lo, s2
	s_cbranch_vccz .LBB489_1196
; %bb.1139:
	global_load_b32 v9, v[7:8], off
	s_mov_b32 s2, 0
	s_mov_b32 s10, -1
	s_branch .LBB489_1198
.LBB489_1140:
	s_mov_b32 s2, s8
                                        ; implicit-def: $vgpr9
	s_cbranch_execz .LBB489_1261
; %bb.1141:
	v_cmp_lt_i16_e64 s3, s1, 5
	s_delay_alu instid0(VALU_DEP_1)
	s_and_b32 vcc_lo, exec_lo, s3
	s_cbranch_vccnz .LBB489_1147
; %bb.1142:
	v_cmp_lt_i16_e64 s3, s1, 8
	s_delay_alu instid0(VALU_DEP_1)
	s_and_b32 vcc_lo, exec_lo, s3
	s_cbranch_vccnz .LBB489_1149
; %bb.1143:
	v_cmp_lt_i16_e64 s3, s1, 9
	s_delay_alu instid0(VALU_DEP_1)
	s_and_b32 vcc_lo, exec_lo, s3
	s_cbranch_vccnz .LBB489_1151
; %bb.1144:
	v_cmp_gt_i16_e64 s3, s1, 9
	s_delay_alu instid0(VALU_DEP_1)
	s_and_b32 vcc_lo, exec_lo, s3
	s_cbranch_vccz .LBB489_1155
; %bb.1145:
	global_load_b64 v[9:10], v[7:8], off
	s_mov_b32 s3, 0
	s_waitcnt vmcnt(0)
	v_cvt_f32_f64_e32 v9, v[9:10]
	s_delay_alu instid0(VALU_DEP_1) | instskip(SKIP_1) | instid1(VALU_DEP_2)
	v_bfe_u32 v10, v9, 16, 1
	v_cmp_o_f32_e32 vcc_lo, v9, v9
	v_add3_u32 v10, v9, v10, 0x7fff
	s_delay_alu instid0(VALU_DEP_1) | instskip(NEXT) | instid1(VALU_DEP_1)
	v_lshrrev_b32_e32 v10, 16, v10
	v_cndmask_b32_e32 v9, 0x7fc0, v10, vcc_lo
	s_branch .LBB489_1156
.LBB489_1146:
	s_mov_b32 s2, 0
                                        ; implicit-def: $vgpr9
	s_cbranch_execnz .LBB489_1226
	s_branch .LBB489_1257
.LBB489_1147:
                                        ; implicit-def: $vgpr9
	s_branch .LBB489_1173
.LBB489_1148:
	s_mov_b32 s11, -1
	s_mov_b32 s2, 0
                                        ; implicit-def: $vgpr9
	s_branch .LBB489_1207
.LBB489_1149:
                                        ; implicit-def: $vgpr9
	s_branch .LBB489_1162
.LBB489_1150:
	s_mov_b32 s2, 0
                                        ; implicit-def: $vgpr9
	s_cbranch_execnz .LBB489_1203
	s_branch .LBB489_1206
.LBB489_1151:
	s_mov_b32 s3, -1
                                        ; implicit-def: $vgpr9
	s_branch .LBB489_1159
.LBB489_1152:
	s_cbranch_execnz .LBB489_1194
; %bb.1153:
	s_or_b32 s6, s6, exec_lo
	s_and_not1_b32 s8, s8, exec_lo
	s_or_b32 exec_lo, exec_lo, s2
	s_and_saveexec_b32 s2, s8
	s_delay_alu instid0(SALU_CYCLE_1)
	s_xor_b32 s2, exec_lo, s2
	s_cbranch_execnz .LBB489_1040
	s_branch .LBB489_1041
.LBB489_1154:
	s_mov_b32 s11, -1
	s_mov_b32 s2, 0
	s_branch .LBB489_1197
.LBB489_1155:
	s_mov_b32 s3, -1
                                        ; implicit-def: $vgpr9
.LBB489_1156:
	s_delay_alu instid0(SALU_CYCLE_1)
	s_and_not1_b32 vcc_lo, exec_lo, s3
	s_cbranch_vccnz .LBB489_1158
; %bb.1157:
	global_load_b32 v9, v[7:8], off
	s_waitcnt vmcnt(0)
	v_bfe_u32 v10, v9, 16, 1
	v_cmp_o_f32_e32 vcc_lo, v9, v9
	s_delay_alu instid0(VALU_DEP_2) | instskip(NEXT) | instid1(VALU_DEP_1)
	v_add3_u32 v10, v9, v10, 0x7fff
	v_lshrrev_b32_e32 v10, 16, v10
	s_delay_alu instid0(VALU_DEP_1)
	v_cndmask_b32_e32 v9, 0x7fc0, v10, vcc_lo
.LBB489_1158:
	s_mov_b32 s3, 0
.LBB489_1159:
	s_delay_alu instid0(SALU_CYCLE_1)
	s_and_not1_b32 vcc_lo, exec_lo, s3
	s_cbranch_vccnz .LBB489_1161
; %bb.1160:
	global_load_b32 v9, v[7:8], off
	s_waitcnt vmcnt(0)
	v_cvt_f32_f16_e32 v10, v9
	v_cmp_o_f16_e32 vcc_lo, v9, v9
	s_delay_alu instid0(VALU_DEP_2) | instskip(NEXT) | instid1(VALU_DEP_1)
	v_bfe_u32 v11, v10, 16, 1
	v_add3_u32 v10, v10, v11, 0x7fff
	s_delay_alu instid0(VALU_DEP_1) | instskip(NEXT) | instid1(VALU_DEP_1)
	v_lshrrev_b32_e32 v10, 16, v10
	v_cndmask_b32_e32 v9, 0x7fc0, v10, vcc_lo
.LBB489_1161:
	s_cbranch_execnz .LBB489_1172
.LBB489_1162:
	v_cmp_lt_i16_e64 s3, s1, 6
	s_delay_alu instid0(VALU_DEP_1)
	s_and_b32 vcc_lo, exec_lo, s3
	s_cbranch_vccnz .LBB489_1165
; %bb.1163:
	v_cmp_gt_i16_e64 s3, s1, 6
	s_delay_alu instid0(VALU_DEP_1)
	s_and_b32 vcc_lo, exec_lo, s3
	s_cbranch_vccz .LBB489_1166
; %bb.1164:
	global_load_b64 v[9:10], v[7:8], off
	s_mov_b32 s3, 0
	s_waitcnt vmcnt(0)
	v_cvt_f32_f64_e32 v9, v[9:10]
	s_delay_alu instid0(VALU_DEP_1) | instskip(SKIP_1) | instid1(VALU_DEP_2)
	v_bfe_u32 v10, v9, 16, 1
	v_cmp_o_f32_e32 vcc_lo, v9, v9
	v_add3_u32 v10, v9, v10, 0x7fff
	s_delay_alu instid0(VALU_DEP_1) | instskip(NEXT) | instid1(VALU_DEP_1)
	v_lshrrev_b32_e32 v10, 16, v10
	v_cndmask_b32_e32 v9, 0x7fc0, v10, vcc_lo
	s_branch .LBB489_1167
.LBB489_1165:
	s_mov_b32 s3, -1
                                        ; implicit-def: $vgpr9
	s_branch .LBB489_1170
.LBB489_1166:
	s_mov_b32 s3, -1
                                        ; implicit-def: $vgpr9
.LBB489_1167:
	s_delay_alu instid0(SALU_CYCLE_1)
	s_and_not1_b32 vcc_lo, exec_lo, s3
	s_cbranch_vccnz .LBB489_1169
; %bb.1168:
	global_load_b32 v9, v[7:8], off
	s_waitcnt vmcnt(0)
	v_bfe_u32 v10, v9, 16, 1
	v_cmp_o_f32_e32 vcc_lo, v9, v9
	s_delay_alu instid0(VALU_DEP_2) | instskip(NEXT) | instid1(VALU_DEP_1)
	v_add3_u32 v10, v9, v10, 0x7fff
	v_lshrrev_b32_e32 v10, 16, v10
	s_delay_alu instid0(VALU_DEP_1)
	v_cndmask_b32_e32 v9, 0x7fc0, v10, vcc_lo
.LBB489_1169:
	s_mov_b32 s3, 0
.LBB489_1170:
	s_delay_alu instid0(SALU_CYCLE_1)
	s_and_not1_b32 vcc_lo, exec_lo, s3
	s_cbranch_vccnz .LBB489_1172
; %bb.1171:
	global_load_u16 v9, v[7:8], off
	s_waitcnt vmcnt(0)
	v_cvt_f32_f16_e32 v10, v9
	v_cmp_o_f16_e32 vcc_lo, v9, v9
	s_delay_alu instid0(VALU_DEP_2) | instskip(NEXT) | instid1(VALU_DEP_1)
	v_bfe_u32 v11, v10, 16, 1
	v_add3_u32 v10, v10, v11, 0x7fff
	s_delay_alu instid0(VALU_DEP_1) | instskip(NEXT) | instid1(VALU_DEP_1)
	v_lshrrev_b32_e32 v10, 16, v10
	v_cndmask_b32_e32 v9, 0x7fc0, v10, vcc_lo
.LBB489_1172:
	s_cbranch_execnz .LBB489_1191
.LBB489_1173:
	v_cmp_lt_i16_e64 s3, s1, 2
	s_delay_alu instid0(VALU_DEP_1)
	s_and_b32 vcc_lo, exec_lo, s3
	s_cbranch_vccnz .LBB489_1177
; %bb.1174:
	v_cmp_lt_i16_e64 s3, s1, 3
	s_delay_alu instid0(VALU_DEP_1)
	s_and_b32 vcc_lo, exec_lo, s3
	s_cbranch_vccnz .LBB489_1178
; %bb.1175:
	v_cmp_gt_i16_e64 s3, s1, 3
	s_delay_alu instid0(VALU_DEP_1)
	s_and_b32 vcc_lo, exec_lo, s3
	s_cbranch_vccz .LBB489_1179
; %bb.1176:
	global_load_b64 v[9:10], v[7:8], off
	s_mov_b32 s3, 0
	s_waitcnt vmcnt(0)
	v_xor_b32_e32 v11, v9, v10
	v_cls_i32_e32 v12, v10
	s_delay_alu instid0(VALU_DEP_2) | instskip(NEXT) | instid1(VALU_DEP_2)
	v_ashrrev_i32_e32 v11, 31, v11
	v_add_nc_u32_e32 v12, -1, v12
	s_delay_alu instid0(VALU_DEP_2) | instskip(NEXT) | instid1(VALU_DEP_1)
	v_add_nc_u32_e32 v11, 32, v11
	v_min_u32_e32 v11, v12, v11
	s_delay_alu instid0(VALU_DEP_1) | instskip(NEXT) | instid1(VALU_DEP_1)
	v_lshlrev_b64 v[9:10], v11, v[9:10]
	v_min_u32_e32 v9, 1, v9
	s_delay_alu instid0(VALU_DEP_1) | instskip(SKIP_1) | instid1(VALU_DEP_2)
	v_or_b32_e32 v9, v10, v9
	v_sub_nc_u32_e32 v10, 32, v11
	v_cvt_f32_i32_e32 v9, v9
	s_delay_alu instid0(VALU_DEP_1) | instskip(NEXT) | instid1(VALU_DEP_1)
	v_ldexp_f32 v9, v9, v10
	v_bfe_u32 v10, v9, 16, 1
	s_delay_alu instid0(VALU_DEP_1) | instskip(NEXT) | instid1(VALU_DEP_1)
	v_add3_u32 v9, v9, v10, 0x7fff
	v_lshrrev_b32_e32 v9, 16, v9
	s_branch .LBB489_1180
.LBB489_1177:
                                        ; implicit-def: $vgpr9
	s_branch .LBB489_1186
.LBB489_1178:
	s_mov_b32 s3, -1
                                        ; implicit-def: $vgpr9
	s_branch .LBB489_1183
.LBB489_1179:
	s_mov_b32 s3, -1
                                        ; implicit-def: $vgpr9
.LBB489_1180:
	s_delay_alu instid0(SALU_CYCLE_1)
	s_and_not1_b32 vcc_lo, exec_lo, s3
	s_cbranch_vccnz .LBB489_1182
; %bb.1181:
	global_load_b32 v9, v[7:8], off
	s_waitcnt vmcnt(0)
	v_cvt_f32_i32_e32 v9, v9
	s_delay_alu instid0(VALU_DEP_1) | instskip(NEXT) | instid1(VALU_DEP_1)
	v_bfe_u32 v10, v9, 16, 1
	v_add3_u32 v9, v9, v10, 0x7fff
	s_delay_alu instid0(VALU_DEP_1)
	v_lshrrev_b32_e32 v9, 16, v9
.LBB489_1182:
	s_mov_b32 s3, 0
.LBB489_1183:
	s_delay_alu instid0(SALU_CYCLE_1)
	s_and_not1_b32 vcc_lo, exec_lo, s3
	s_cbranch_vccnz .LBB489_1185
; %bb.1184:
	global_load_i16 v9, v[7:8], off
	s_waitcnt vmcnt(0)
	v_cvt_f32_i32_e32 v9, v9
	s_delay_alu instid0(VALU_DEP_1) | instskip(NEXT) | instid1(VALU_DEP_1)
	v_bfe_u32 v10, v9, 16, 1
	v_add3_u32 v9, v9, v10, 0x7fff
	s_delay_alu instid0(VALU_DEP_1)
	v_lshrrev_b32_e32 v9, 16, v9
.LBB489_1185:
	s_cbranch_execnz .LBB489_1191
.LBB489_1186:
	v_cmp_gt_i16_e64 s3, s1, 0
	s_delay_alu instid0(VALU_DEP_1)
	s_and_b32 vcc_lo, exec_lo, s3
	s_mov_b32 s3, 0
	s_cbranch_vccz .LBB489_1188
; %bb.1187:
	global_load_i8 v9, v[7:8], off
	s_waitcnt vmcnt(0)
	v_cvt_f32_i32_e32 v9, v9
	s_delay_alu instid0(VALU_DEP_1) | instskip(NEXT) | instid1(VALU_DEP_1)
	v_bfe_u32 v10, v9, 16, 1
	v_add3_u32 v9, v9, v10, 0x7fff
	s_delay_alu instid0(VALU_DEP_1)
	v_lshrrev_b32_e32 v9, 16, v9
	s_branch .LBB489_1189
.LBB489_1188:
	s_mov_b32 s3, -1
                                        ; implicit-def: $vgpr9
.LBB489_1189:
	s_delay_alu instid0(SALU_CYCLE_1)
	s_and_not1_b32 vcc_lo, exec_lo, s3
	s_cbranch_vccnz .LBB489_1191
; %bb.1190:
	global_load_u8 v7, v[7:8], off
	s_waitcnt vmcnt(0)
	v_cvt_f32_ubyte0_e32 v7, v7
	s_delay_alu instid0(VALU_DEP_1) | instskip(NEXT) | instid1(VALU_DEP_1)
	v_bfe_u32 v8, v7, 16, 1
	v_add3_u32 v7, v7, v8, 0x7fff
	s_delay_alu instid0(VALU_DEP_1)
	v_lshrrev_b32_e32 v9, 16, v7
.LBB489_1191:
	s_branch .LBB489_1262
.LBB489_1192:
	s_trap 2
	s_sendmsg_rtn_b32 s0, sendmsg(MSG_RTN_GET_DOORBELL)
	s_mov_b32 ttmp2, m0
	s_waitcnt lgkmcnt(0)
	s_and_b32 s0, s0, 0x3ff
	s_delay_alu instid0(SALU_CYCLE_1) | instskip(NEXT) | instid1(SALU_CYCLE_1)
	s_bitset1_b32 s0, 10
	s_mov_b32 m0, s0
	s_sendmsg sendmsg(MSG_INTERRUPT)
	s_mov_b32 m0, ttmp2
.LBB489_1193:                           ; =>This Inner Loop Header: Depth=1
	s_sethalt 5
	s_branch .LBB489_1193
.LBB489_1194:
	s_trap 2
	s_sendmsg_rtn_b32 s0, sendmsg(MSG_RTN_GET_DOORBELL)
	s_mov_b32 ttmp2, m0
	s_waitcnt lgkmcnt(0)
	s_and_b32 s0, s0, 0x3ff
	s_delay_alu instid0(SALU_CYCLE_1) | instskip(NEXT) | instid1(SALU_CYCLE_1)
	s_bitset1_b32 s0, 10
	s_mov_b32 m0, s0
	s_sendmsg sendmsg(MSG_INTERRUPT)
	s_mov_b32 m0, ttmp2
.LBB489_1195:                           ; =>This Inner Loop Header: Depth=1
	s_sethalt 5
	s_branch .LBB489_1195
.LBB489_1196:
	s_mov_b32 s2, -1
.LBB489_1197:
                                        ; implicit-def: $vgpr9
.LBB489_1198:
	s_and_b32 vcc_lo, exec_lo, s11
	s_cbranch_vccz .LBB489_1201
; %bb.1199:
	v_cmp_eq_u16_e64 s2, s1, 44
	s_delay_alu instid0(VALU_DEP_1)
	s_and_b32 vcc_lo, exec_lo, s2
	s_cbranch_vccz .LBB489_1202
; %bb.1200:
	global_load_u8 v9, v[7:8], off
	s_mov_b32 s2, 0
	s_mov_b32 s10, -1
	s_waitcnt vmcnt(0)
	v_lshlrev_b32_e32 v10, 23, v9
	v_cmp_ne_u32_e32 vcc_lo, 0xff, v9
	s_delay_alu instid0(VALU_DEP_2) | instskip(SKIP_1) | instid1(VALU_DEP_2)
	v_cndmask_b32_e32 v10, 0x7f800001, v10, vcc_lo
	v_cmp_ne_u32_e32 vcc_lo, 0, v9
	v_cndmask_b32_e32 v9, 0x400000, v10, vcc_lo
	s_delay_alu instid0(VALU_DEP_1) | instskip(SKIP_1) | instid1(VALU_DEP_2)
	v_add_nc_u32_e32 v10, 0x7fff, v9
	v_cmp_o_f32_e32 vcc_lo, v9, v9
	v_lshrrev_b32_e32 v10, 16, v10
	s_delay_alu instid0(VALU_DEP_1)
	v_cndmask_b32_e32 v9, 0x7fc0, v10, vcc_lo
.LBB489_1201:
	s_branch .LBB489_1206
.LBB489_1202:
	s_mov_b32 s2, -1
                                        ; implicit-def: $vgpr9
	s_branch .LBB489_1206
.LBB489_1203:
	v_cmp_eq_u16_e64 s2, s1, 29
	s_delay_alu instid0(VALU_DEP_1)
	s_and_b32 vcc_lo, exec_lo, s2
	s_cbranch_vccz .LBB489_1205
; %bb.1204:
	global_load_b64 v[9:10], v[7:8], off
	s_mov_b32 s2, 0
	s_mov_b32 s10, -1
	s_mov_b32 s11, 0
	s_waitcnt vmcnt(0)
	v_clz_i32_u32_e32 v11, v10
	s_delay_alu instid0(VALU_DEP_1) | instskip(NEXT) | instid1(VALU_DEP_1)
	v_min_u32_e32 v11, 32, v11
	v_lshlrev_b64 v[9:10], v11, v[9:10]
	s_delay_alu instid0(VALU_DEP_1) | instskip(NEXT) | instid1(VALU_DEP_1)
	v_min_u32_e32 v9, 1, v9
	v_or_b32_e32 v9, v10, v9
	v_sub_nc_u32_e32 v10, 32, v11
	s_delay_alu instid0(VALU_DEP_2) | instskip(NEXT) | instid1(VALU_DEP_1)
	v_cvt_f32_u32_e32 v9, v9
	v_ldexp_f32 v9, v9, v10
	s_delay_alu instid0(VALU_DEP_1) | instskip(NEXT) | instid1(VALU_DEP_1)
	v_bfe_u32 v10, v9, 16, 1
	v_add3_u32 v9, v9, v10, 0x7fff
	s_delay_alu instid0(VALU_DEP_1)
	v_lshrrev_b32_e32 v9, 16, v9
	s_branch .LBB489_1207
.LBB489_1205:
	s_mov_b32 s2, -1
                                        ; implicit-def: $vgpr9
.LBB489_1206:
	s_mov_b32 s11, 0
.LBB489_1207:
	s_delay_alu instid0(SALU_CYCLE_1)
	s_and_b32 vcc_lo, exec_lo, s11
	s_cbranch_vccz .LBB489_1225
; %bb.1208:
	v_cmp_lt_i16_e64 s10, s1, 27
	s_delay_alu instid0(VALU_DEP_1)
	s_and_b32 vcc_lo, exec_lo, s10
	s_cbranch_vccnz .LBB489_1211
; %bb.1209:
	v_cmp_gt_i16_e64 s10, s1, 27
	s_delay_alu instid0(VALU_DEP_1)
	s_and_b32 vcc_lo, exec_lo, s10
	s_cbranch_vccz .LBB489_1212
; %bb.1210:
	global_load_b32 v9, v[7:8], off
	s_mov_b32 s10, 0
	s_waitcnt vmcnt(0)
	v_cvt_f32_u32_e32 v9, v9
	s_delay_alu instid0(VALU_DEP_1) | instskip(NEXT) | instid1(VALU_DEP_1)
	v_bfe_u32 v10, v9, 16, 1
	v_add3_u32 v9, v9, v10, 0x7fff
	s_delay_alu instid0(VALU_DEP_1)
	v_lshrrev_b32_e32 v9, 16, v9
	s_branch .LBB489_1213
.LBB489_1211:
	s_mov_b32 s10, -1
                                        ; implicit-def: $vgpr9
	s_branch .LBB489_1216
.LBB489_1212:
	s_mov_b32 s10, -1
                                        ; implicit-def: $vgpr9
.LBB489_1213:
	s_delay_alu instid0(SALU_CYCLE_1)
	s_and_not1_b32 vcc_lo, exec_lo, s10
	s_cbranch_vccnz .LBB489_1215
; %bb.1214:
	global_load_u16 v9, v[7:8], off
	s_waitcnt vmcnt(0)
	v_cvt_f32_u32_e32 v9, v9
	s_delay_alu instid0(VALU_DEP_1) | instskip(NEXT) | instid1(VALU_DEP_1)
	v_bfe_u32 v10, v9, 16, 1
	v_add3_u32 v9, v9, v10, 0x7fff
	s_delay_alu instid0(VALU_DEP_1)
	v_lshrrev_b32_e32 v9, 16, v9
.LBB489_1215:
	s_mov_b32 s10, 0
.LBB489_1216:
	s_delay_alu instid0(SALU_CYCLE_1)
	s_and_not1_b32 vcc_lo, exec_lo, s10
	s_cbranch_vccnz .LBB489_1224
; %bb.1217:
	global_load_u8 v9, v[7:8], off
	s_mov_b32 s10, 0
	s_mov_b32 s12, exec_lo
                                        ; implicit-def: $sgpr11
	s_waitcnt vmcnt(0)
	v_cmpx_lt_i16_e32 0x7f, v9
	s_xor_b32 s12, exec_lo, s12
	s_cbranch_execz .LBB489_1237
; %bb.1218:
	s_mov_b32 s10, -1
	s_mov_b32 s13, exec_lo
                                        ; implicit-def: $sgpr11
	v_cmpx_eq_u16_e32 0x80, v9
; %bb.1219:
	s_mov_b32 s11, 0x7f800001
	s_xor_b32 s10, exec_lo, -1
; %bb.1220:
	s_or_b32 exec_lo, exec_lo, s13
	s_delay_alu instid0(SALU_CYCLE_1)
	s_and_b32 s10, s10, exec_lo
	s_or_saveexec_b32 s12, s12
	v_mov_b32_e32 v10, s11
	s_xor_b32 exec_lo, exec_lo, s12
	s_cbranch_execnz .LBB489_1238
.LBB489_1221:
	s_or_b32 exec_lo, exec_lo, s12
	s_and_saveexec_b32 s11, s10
	s_cbranch_execz .LBB489_1223
.LBB489_1222:
	v_and_b32_e32 v10, 0xffff, v9
	v_lshlrev_b32_e32 v9, 24, v9
	s_delay_alu instid0(VALU_DEP_2) | instskip(NEXT) | instid1(VALU_DEP_2)
	v_and_b32_e32 v11, 7, v10
	v_and_b32_e32 v9, 0x80000000, v9
	s_delay_alu instid0(VALU_DEP_2) | instskip(NEXT) | instid1(VALU_DEP_1)
	v_clz_i32_u32_e32 v12, v11
	v_min_u32_e32 v12, 32, v12
	s_delay_alu instid0(VALU_DEP_1) | instskip(SKIP_1) | instid1(VALU_DEP_2)
	v_subrev_nc_u32_e32 v13, 28, v12
	v_sub_nc_u32_e32 v12, 29, v12
	v_lshlrev_b32_e32 v13, v13, v10
	v_bfe_u32 v10, v10, 3, 4
	s_delay_alu instid0(VALU_DEP_2) | instskip(NEXT) | instid1(VALU_DEP_2)
	v_and_b32_e32 v13, 7, v13
	v_cmp_eq_u32_e32 vcc_lo, 0, v10
	s_delay_alu instid0(VALU_DEP_2) | instskip(NEXT) | instid1(VALU_DEP_1)
	v_dual_cndmask_b32 v10, v10, v12 :: v_dual_cndmask_b32 v11, v11, v13
	v_lshl_add_u32 v10, v10, 23, 0x3b800000
	s_delay_alu instid0(VALU_DEP_2) | instskip(NEXT) | instid1(VALU_DEP_1)
	v_lshlrev_b32_e32 v11, 20, v11
	v_or3_b32 v10, v9, v10, v11
.LBB489_1223:
	s_or_b32 exec_lo, exec_lo, s11
	s_delay_alu instid0(VALU_DEP_1) | instskip(SKIP_1) | instid1(VALU_DEP_2)
	v_bfe_u32 v9, v10, 16, 1
	v_cmp_o_f32_e32 vcc_lo, v10, v10
	v_add3_u32 v9, v10, v9, 0x7fff
	s_delay_alu instid0(VALU_DEP_1) | instskip(NEXT) | instid1(VALU_DEP_1)
	v_lshrrev_b32_e32 v9, 16, v9
	v_cndmask_b32_e32 v9, 0x7fc0, v9, vcc_lo
.LBB489_1224:
	s_mov_b32 s10, -1
.LBB489_1225:
	s_branch .LBB489_1257
.LBB489_1226:
	v_cmp_gt_i16_e64 s3, s1, 22
	s_delay_alu instid0(VALU_DEP_1)
	s_and_b32 vcc_lo, exec_lo, s3
	s_cbranch_vccz .LBB489_1236
; %bb.1227:
	v_cmp_lt_i16_e64 s3, s1, 24
	s_delay_alu instid0(VALU_DEP_1)
	s_and_b32 vcc_lo, exec_lo, s3
	s_cbranch_vccnz .LBB489_1239
; %bb.1228:
	v_cmp_gt_i16_e64 s3, s1, 24
	s_delay_alu instid0(VALU_DEP_1)
	s_and_b32 vcc_lo, exec_lo, s3
	s_cbranch_vccz .LBB489_1240
; %bb.1229:
	global_load_u8 v9, v[7:8], off
	s_mov_b32 s3, 0
	s_mov_b32 s11, exec_lo
                                        ; implicit-def: $sgpr10
	s_waitcnt vmcnt(0)
	v_cmpx_lt_i16_e32 0x7f, v9
	s_xor_b32 s11, exec_lo, s11
	s_cbranch_execz .LBB489_1251
; %bb.1230:
	s_mov_b32 s3, -1
	s_mov_b32 s12, exec_lo
                                        ; implicit-def: $sgpr10
	v_cmpx_eq_u16_e32 0x80, v9
; %bb.1231:
	s_mov_b32 s10, 0x7f800001
	s_xor_b32 s3, exec_lo, -1
; %bb.1232:
	s_or_b32 exec_lo, exec_lo, s12
	s_delay_alu instid0(SALU_CYCLE_1)
	s_and_b32 s3, s3, exec_lo
	s_or_saveexec_b32 s11, s11
	v_mov_b32_e32 v10, s10
	s_xor_b32 exec_lo, exec_lo, s11
	s_cbranch_execnz .LBB489_1252
.LBB489_1233:
	s_or_b32 exec_lo, exec_lo, s11
	s_and_saveexec_b32 s10, s3
	s_cbranch_execz .LBB489_1235
.LBB489_1234:
	v_and_b32_e32 v10, 0xffff, v9
	v_lshlrev_b32_e32 v9, 24, v9
	s_delay_alu instid0(VALU_DEP_2) | instskip(NEXT) | instid1(VALU_DEP_2)
	v_and_b32_e32 v11, 3, v10
	v_and_b32_e32 v9, 0x80000000, v9
	s_delay_alu instid0(VALU_DEP_2) | instskip(NEXT) | instid1(VALU_DEP_1)
	v_clz_i32_u32_e32 v12, v11
	v_min_u32_e32 v12, 32, v12
	s_delay_alu instid0(VALU_DEP_1) | instskip(SKIP_1) | instid1(VALU_DEP_2)
	v_subrev_nc_u32_e32 v13, 29, v12
	v_sub_nc_u32_e32 v12, 30, v12
	v_lshlrev_b32_e32 v13, v13, v10
	v_bfe_u32 v10, v10, 2, 5
	s_delay_alu instid0(VALU_DEP_2) | instskip(NEXT) | instid1(VALU_DEP_2)
	v_and_b32_e32 v13, 3, v13
	v_cmp_eq_u32_e32 vcc_lo, 0, v10
	s_delay_alu instid0(VALU_DEP_2) | instskip(NEXT) | instid1(VALU_DEP_1)
	v_dual_cndmask_b32 v10, v10, v12 :: v_dual_cndmask_b32 v11, v11, v13
	v_lshl_add_u32 v10, v10, 23, 0x37800000
	s_delay_alu instid0(VALU_DEP_2) | instskip(NEXT) | instid1(VALU_DEP_1)
	v_lshlrev_b32_e32 v11, 21, v11
	v_or3_b32 v10, v9, v10, v11
.LBB489_1235:
	s_or_b32 exec_lo, exec_lo, s10
	s_delay_alu instid0(VALU_DEP_1) | instskip(SKIP_2) | instid1(VALU_DEP_2)
	v_bfe_u32 v9, v10, 16, 1
	v_cmp_o_f32_e32 vcc_lo, v10, v10
	s_mov_b32 s3, 0
	v_add3_u32 v9, v10, v9, 0x7fff
	s_delay_alu instid0(VALU_DEP_1) | instskip(NEXT) | instid1(VALU_DEP_1)
	v_lshrrev_b32_e32 v9, 16, v9
	v_cndmask_b32_e32 v9, 0x7fc0, v9, vcc_lo
	s_branch .LBB489_1241
.LBB489_1236:
                                        ; implicit-def: $vgpr9
	s_mov_b32 s3, 0
	s_branch .LBB489_1247
.LBB489_1237:
	s_or_saveexec_b32 s12, s12
	v_mov_b32_e32 v10, s11
	s_xor_b32 exec_lo, exec_lo, s12
	s_cbranch_execz .LBB489_1221
.LBB489_1238:
	v_cmp_ne_u16_e32 vcc_lo, 0, v9
	v_mov_b32_e32 v10, 0
	s_and_not1_b32 s10, s10, exec_lo
	s_and_b32 s11, vcc_lo, exec_lo
	s_delay_alu instid0(SALU_CYCLE_1)
	s_or_b32 s10, s10, s11
	s_or_b32 exec_lo, exec_lo, s12
	s_and_saveexec_b32 s11, s10
	s_cbranch_execnz .LBB489_1222
	s_branch .LBB489_1223
.LBB489_1239:
	s_mov_b32 s3, -1
                                        ; implicit-def: $vgpr9
	s_branch .LBB489_1244
.LBB489_1240:
	s_mov_b32 s3, -1
                                        ; implicit-def: $vgpr9
.LBB489_1241:
	s_delay_alu instid0(SALU_CYCLE_1)
	s_and_b32 vcc_lo, exec_lo, s3
	s_cbranch_vccz .LBB489_1243
; %bb.1242:
	global_load_u8 v9, v[7:8], off
	s_waitcnt vmcnt(0)
	v_lshlrev_b32_e32 v9, 24, v9
	s_delay_alu instid0(VALU_DEP_1) | instskip(NEXT) | instid1(VALU_DEP_1)
	v_and_b32_e32 v10, 0x7f000000, v9
	v_clz_i32_u32_e32 v11, v10
	v_add_nc_u32_e32 v13, 0x1000000, v10
	v_cmp_ne_u32_e32 vcc_lo, 0, v10
	s_delay_alu instid0(VALU_DEP_3) | instskip(NEXT) | instid1(VALU_DEP_1)
	v_min_u32_e32 v11, 32, v11
	v_sub_nc_u32_e64 v11, v11, 4 clamp
	s_delay_alu instid0(VALU_DEP_1) | instskip(SKIP_1) | instid1(VALU_DEP_2)
	v_lshlrev_b32_e32 v12, v11, v10
	v_lshlrev_b32_e32 v11, 23, v11
	v_lshrrev_b32_e32 v12, 4, v12
	s_delay_alu instid0(VALU_DEP_1) | instskip(SKIP_1) | instid1(VALU_DEP_2)
	v_sub_nc_u32_e32 v11, v12, v11
	v_ashrrev_i32_e32 v12, 8, v13
	v_add_nc_u32_e32 v11, 0x3c000000, v11
	s_delay_alu instid0(VALU_DEP_1) | instskip(NEXT) | instid1(VALU_DEP_1)
	v_and_or_b32 v11, 0x7f800000, v12, v11
	v_cndmask_b32_e32 v10, 0, v11, vcc_lo
	s_delay_alu instid0(VALU_DEP_1) | instskip(SKIP_1) | instid1(VALU_DEP_2)
	v_and_or_b32 v9, 0x80000000, v9, v10
	v_bfe_u32 v10, v10, 16, 1
	v_cmp_o_f32_e32 vcc_lo, v9, v9
	s_delay_alu instid0(VALU_DEP_2) | instskip(NEXT) | instid1(VALU_DEP_1)
	v_add3_u32 v10, v9, v10, 0x7fff
	v_lshrrev_b32_e32 v10, 16, v10
	s_delay_alu instid0(VALU_DEP_1)
	v_cndmask_b32_e32 v9, 0x7fc0, v10, vcc_lo
.LBB489_1243:
	s_mov_b32 s3, 0
.LBB489_1244:
	s_delay_alu instid0(SALU_CYCLE_1)
	s_and_not1_b32 vcc_lo, exec_lo, s3
	s_cbranch_vccnz .LBB489_1246
; %bb.1245:
	global_load_u8 v9, v[7:8], off
	s_waitcnt vmcnt(0)
	v_lshlrev_b32_e32 v10, 25, v9
	v_lshlrev_b16 v9, 8, v9
	s_delay_alu instid0(VALU_DEP_2) | instskip(NEXT) | instid1(VALU_DEP_2)
	v_lshrrev_b32_e32 v11, 4, v10
	v_and_or_b32 v12, 0x7f00, v9, 0.5
	v_bfe_i32 v9, v9, 0, 16
	s_delay_alu instid0(VALU_DEP_3) | instskip(NEXT) | instid1(VALU_DEP_1)
	v_or_b32_e32 v11, 0x70000000, v11
	v_dual_add_f32 v12, -0.5, v12 :: v_dual_mul_f32 v11, 0x7800000, v11
	v_cmp_gt_u32_e32 vcc_lo, 0x8000000, v10
	s_delay_alu instid0(VALU_DEP_2) | instskip(NEXT) | instid1(VALU_DEP_1)
	v_cndmask_b32_e32 v10, v11, v12, vcc_lo
	v_and_or_b32 v9, 0x80000000, v9, v10
	v_bfe_u32 v10, v10, 16, 1
	s_delay_alu instid0(VALU_DEP_2) | instskip(NEXT) | instid1(VALU_DEP_2)
	v_cmp_o_f32_e32 vcc_lo, v9, v9
	v_add3_u32 v10, v9, v10, 0x7fff
	s_delay_alu instid0(VALU_DEP_1) | instskip(NEXT) | instid1(VALU_DEP_1)
	v_lshrrev_b32_e32 v10, 16, v10
	v_cndmask_b32_e32 v9, 0x7fc0, v10, vcc_lo
.LBB489_1246:
	s_mov_b32 s10, -1
	s_mov_b32 s3, 0
	s_cbranch_execnz .LBB489_1257
.LBB489_1247:
	v_cmp_gt_i16_e64 s3, s1, 14
	s_delay_alu instid0(VALU_DEP_1)
	s_and_b32 vcc_lo, exec_lo, s3
	s_cbranch_vccz .LBB489_1250
; %bb.1248:
	v_cmp_eq_u16_e64 s2, s1, 15
	s_delay_alu instid0(VALU_DEP_1)
	s_and_b32 vcc_lo, exec_lo, s2
	s_cbranch_vccz .LBB489_1253
; %bb.1249:
	global_load_u16 v9, v[7:8], off
	s_mov_b32 s2, 0
	s_mov_b32 s10, -1
	s_branch .LBB489_1254
.LBB489_1250:
	s_mov_b32 s3, -1
                                        ; implicit-def: $vgpr9
	s_branch .LBB489_1255
.LBB489_1251:
	s_or_saveexec_b32 s11, s11
	v_mov_b32_e32 v10, s10
	s_xor_b32 exec_lo, exec_lo, s11
	s_cbranch_execz .LBB489_1233
.LBB489_1252:
	v_cmp_ne_u16_e32 vcc_lo, 0, v9
	v_mov_b32_e32 v10, 0
	s_and_not1_b32 s3, s3, exec_lo
	s_and_b32 s10, vcc_lo, exec_lo
	s_delay_alu instid0(SALU_CYCLE_1)
	s_or_b32 s3, s3, s10
	s_or_b32 exec_lo, exec_lo, s11
	s_and_saveexec_b32 s10, s3
	s_cbranch_execnz .LBB489_1234
	s_branch .LBB489_1235
.LBB489_1253:
	s_mov_b32 s2, -1
                                        ; implicit-def: $vgpr9
.LBB489_1254:
	s_mov_b32 s3, 0
.LBB489_1255:
	s_delay_alu instid0(SALU_CYCLE_1)
	s_and_b32 vcc_lo, exec_lo, s3
	s_mov_b32 s3, 0
	s_cbranch_vccz .LBB489_1257
; %bb.1256:
	v_cmp_ne_u16_e64 s2, s1, 11
	s_mov_b32 s3, -1
                                        ; implicit-def: $vgpr9
.LBB489_1257:
	s_delay_alu instid0(VALU_DEP_1)
	s_and_b32 vcc_lo, exec_lo, s2
	s_mov_b32 s2, s8
	s_cbranch_vccnz .LBB489_1281
; %bb.1258:
	s_and_not1_b32 vcc_lo, exec_lo, s3
	s_cbranch_vccnz .LBB489_1260
.LBB489_1259:
	global_load_u8 v9, v[7:8], off
	s_mov_b32 s10, -1
	s_waitcnt vmcnt(0)
	v_cmp_ne_u16_e32 vcc_lo, 0, v9
	v_cndmask_b32_e64 v9, 0, 1.0, vcc_lo
	s_delay_alu instid0(VALU_DEP_1)
	v_lshrrev_b32_e32 v9, 16, v9
.LBB489_1260:
.LBB489_1261:
	s_and_not1_b32 vcc_lo, exec_lo, s10
	s_cbranch_vccnz .LBB489_2094
.LBB489_1262:
	v_cmp_lt_i16_e64 s3, s1, 11
	v_add_co_u32 v6, s10, s6, v6
	s_delay_alu instid0(VALU_DEP_1) | instskip(NEXT) | instid1(VALU_DEP_3)
	v_add_co_ci_u32_e64 v7, null, s7, 0, s10
	s_and_b32 vcc_lo, exec_lo, s3
	s_mov_b32 s11, 0
	s_cbranch_vccnz .LBB489_1269
; %bb.1263:
	v_cmp_gt_i16_e64 s3, s1, 25
	s_mov_b32 s10, 0
	s_delay_alu instid0(VALU_DEP_1)
	s_and_b32 vcc_lo, exec_lo, s3
	s_cbranch_vccz .LBB489_1275
; %bb.1264:
	v_cmp_gt_i16_e64 s3, s1, 28
	s_delay_alu instid0(VALU_DEP_1)
	s_and_b32 vcc_lo, exec_lo, s3
	s_cbranch_vccz .LBB489_1277
; %bb.1265:
	v_cmp_gt_i16_e64 s3, s1, 43
	;; [unrolled: 5-line block ×3, first 2 shown]
	s_delay_alu instid0(VALU_DEP_1)
	s_and_b32 vcc_lo, exec_lo, s3
	s_cbranch_vccz .LBB489_1285
; %bb.1267:
	v_cmp_eq_u16_e64 s3, s1, 46
	s_mov_b32 s12, 0
	s_delay_alu instid0(VALU_DEP_1)
	s_and_b32 vcc_lo, exec_lo, s3
	s_cbranch_vccz .LBB489_1329
; %bb.1268:
	global_load_b32 v8, v[6:7], off
	s_mov_b32 s3, 0
	s_mov_b32 s11, -1
	s_branch .LBB489_1331
.LBB489_1269:
                                        ; implicit-def: $vgpr8
	s_cbranch_execz .LBB489_1396
; %bb.1270:
	v_cmp_lt_i16_e64 s3, s1, 5
	s_delay_alu instid0(VALU_DEP_1)
	s_and_b32 vcc_lo, exec_lo, s3
	s_cbranch_vccnz .LBB489_1276
; %bb.1271:
	v_cmp_lt_i16_e64 s3, s1, 8
	s_delay_alu instid0(VALU_DEP_1)
	s_and_b32 vcc_lo, exec_lo, s3
	s_cbranch_vccnz .LBB489_1278
; %bb.1272:
	v_cmp_lt_i16_e64 s3, s1, 9
	s_delay_alu instid0(VALU_DEP_1)
	s_and_b32 vcc_lo, exec_lo, s3
	s_cbranch_vccnz .LBB489_1280
; %bb.1273:
	v_cmp_gt_i16_e64 s3, s1, 9
	s_delay_alu instid0(VALU_DEP_1)
	s_and_b32 vcc_lo, exec_lo, s3
	s_cbranch_vccz .LBB489_1286
; %bb.1274:
	global_load_b64 v[10:11], v[6:7], off
	s_mov_b32 s3, 0
	s_waitcnt vmcnt(0)
	v_cvt_f32_f64_e32 v8, v[10:11]
	s_delay_alu instid0(VALU_DEP_1) | instskip(SKIP_1) | instid1(VALU_DEP_2)
	v_bfe_u32 v10, v8, 16, 1
	v_cmp_o_f32_e32 vcc_lo, v8, v8
	v_add3_u32 v10, v8, v10, 0x7fff
	s_delay_alu instid0(VALU_DEP_1) | instskip(NEXT) | instid1(VALU_DEP_1)
	v_lshrrev_b32_e32 v10, 16, v10
	v_cndmask_b32_e32 v8, 0x7fc0, v10, vcc_lo
	s_branch .LBB489_1287
.LBB489_1275:
	s_mov_b32 s3, 0
                                        ; implicit-def: $vgpr8
	s_cbranch_execnz .LBB489_1360
	s_branch .LBB489_1392
.LBB489_1276:
                                        ; implicit-def: $vgpr8
	s_branch .LBB489_1305
.LBB489_1277:
	s_mov_b32 s12, -1
	s_mov_b32 s3, 0
                                        ; implicit-def: $vgpr8
	s_branch .LBB489_1341
.LBB489_1278:
	s_mov_b32 s3, -1
                                        ; implicit-def: $vgpr8
	s_branch .LBB489_1293
.LBB489_1279:
	s_mov_b32 s12, -1
	s_mov_b32 s3, 0
                                        ; implicit-def: $vgpr8
	s_branch .LBB489_1336
.LBB489_1280:
	s_mov_b32 s3, -1
                                        ; implicit-def: $vgpr8
	s_branch .LBB489_1290
.LBB489_1281:
	s_cbranch_execnz .LBB489_1325
; %bb.1282:
	s_or_b32 s2, s8, exec_lo
                                        ; implicit-def: $vgpr9
	s_cbranch_execz .LBB489_1259
	s_branch .LBB489_1260
.LBB489_1283:
	s_or_saveexec_b32 s5, s5
                                        ; implicit-def: $sgpr8
	s_delay_alu instid0(SALU_CYCLE_1)
	s_xor_b32 exec_lo, exec_lo, s5
	s_cbranch_execz .LBB489_991
.LBB489_1284:
	v_add_f32_e64 v5, 0x46000000, |v6|
	s_and_not1_b32 s4, s4, exec_lo
	s_mov_b32 s8, 0
	s_delay_alu instid0(VALU_DEP_1) | instskip(NEXT) | instid1(VALU_DEP_1)
	v_and_b32_e32 v5, 0xff, v5
	v_cmp_ne_u32_e32 vcc_lo, 0, v5
	s_and_b32 s9, vcc_lo, exec_lo
	s_delay_alu instid0(SALU_CYCLE_1)
	s_or_b32 s4, s4, s9
	s_or_b32 exec_lo, exec_lo, s5
	v_mov_b32_e32 v7, s8
	s_and_saveexec_b32 s5, s4
	s_cbranch_execnz .LBB489_992
	s_branch .LBB489_993
.LBB489_1285:
	s_mov_b32 s12, -1
	s_mov_b32 s3, 0
	s_branch .LBB489_1330
.LBB489_1286:
	s_mov_b32 s3, -1
                                        ; implicit-def: $vgpr8
.LBB489_1287:
	s_delay_alu instid0(SALU_CYCLE_1)
	s_and_not1_b32 vcc_lo, exec_lo, s3
	s_cbranch_vccnz .LBB489_1289
; %bb.1288:
	global_load_b32 v8, v[6:7], off
	s_waitcnt vmcnt(0)
	v_bfe_u32 v10, v8, 16, 1
	v_cmp_o_f32_e32 vcc_lo, v8, v8
	s_delay_alu instid0(VALU_DEP_2) | instskip(NEXT) | instid1(VALU_DEP_1)
	v_add3_u32 v10, v8, v10, 0x7fff
	v_lshrrev_b32_e32 v10, 16, v10
	s_delay_alu instid0(VALU_DEP_1)
	v_cndmask_b32_e32 v8, 0x7fc0, v10, vcc_lo
.LBB489_1289:
	s_mov_b32 s3, 0
.LBB489_1290:
	s_delay_alu instid0(SALU_CYCLE_1)
	s_and_not1_b32 vcc_lo, exec_lo, s3
	s_cbranch_vccnz .LBB489_1292
; %bb.1291:
	global_load_b32 v8, v[6:7], off
	s_waitcnt vmcnt(0)
	v_cvt_f32_f16_e32 v10, v8
	v_cmp_o_f16_e32 vcc_lo, v8, v8
	s_delay_alu instid0(VALU_DEP_2) | instskip(NEXT) | instid1(VALU_DEP_1)
	v_bfe_u32 v11, v10, 16, 1
	v_add3_u32 v10, v10, v11, 0x7fff
	s_delay_alu instid0(VALU_DEP_1) | instskip(NEXT) | instid1(VALU_DEP_1)
	v_lshrrev_b32_e32 v10, 16, v10
	v_cndmask_b32_e32 v8, 0x7fc0, v10, vcc_lo
.LBB489_1292:
	s_mov_b32 s3, 0
.LBB489_1293:
	s_delay_alu instid0(SALU_CYCLE_1)
	s_and_not1_b32 vcc_lo, exec_lo, s3
	s_cbranch_vccnz .LBB489_1304
; %bb.1294:
	v_cmp_lt_i16_e64 s3, s1, 6
	s_delay_alu instid0(VALU_DEP_1)
	s_and_b32 vcc_lo, exec_lo, s3
	s_cbranch_vccnz .LBB489_1297
; %bb.1295:
	v_cmp_gt_i16_e64 s3, s1, 6
	s_delay_alu instid0(VALU_DEP_1)
	s_and_b32 vcc_lo, exec_lo, s3
	s_cbranch_vccz .LBB489_1298
; %bb.1296:
	global_load_b64 v[10:11], v[6:7], off
	s_mov_b32 s3, 0
	s_waitcnt vmcnt(0)
	v_cvt_f32_f64_e32 v8, v[10:11]
	s_delay_alu instid0(VALU_DEP_1) | instskip(SKIP_1) | instid1(VALU_DEP_2)
	v_bfe_u32 v10, v8, 16, 1
	v_cmp_o_f32_e32 vcc_lo, v8, v8
	v_add3_u32 v10, v8, v10, 0x7fff
	s_delay_alu instid0(VALU_DEP_1) | instskip(NEXT) | instid1(VALU_DEP_1)
	v_lshrrev_b32_e32 v10, 16, v10
	v_cndmask_b32_e32 v8, 0x7fc0, v10, vcc_lo
	s_branch .LBB489_1299
.LBB489_1297:
	s_mov_b32 s3, -1
                                        ; implicit-def: $vgpr8
	s_branch .LBB489_1302
.LBB489_1298:
	s_mov_b32 s3, -1
                                        ; implicit-def: $vgpr8
.LBB489_1299:
	s_delay_alu instid0(SALU_CYCLE_1)
	s_and_not1_b32 vcc_lo, exec_lo, s3
	s_cbranch_vccnz .LBB489_1301
; %bb.1300:
	global_load_b32 v8, v[6:7], off
	s_waitcnt vmcnt(0)
	v_bfe_u32 v10, v8, 16, 1
	v_cmp_o_f32_e32 vcc_lo, v8, v8
	s_delay_alu instid0(VALU_DEP_2) | instskip(NEXT) | instid1(VALU_DEP_1)
	v_add3_u32 v10, v8, v10, 0x7fff
	v_lshrrev_b32_e32 v10, 16, v10
	s_delay_alu instid0(VALU_DEP_1)
	v_cndmask_b32_e32 v8, 0x7fc0, v10, vcc_lo
.LBB489_1301:
	s_mov_b32 s3, 0
.LBB489_1302:
	s_delay_alu instid0(SALU_CYCLE_1)
	s_and_not1_b32 vcc_lo, exec_lo, s3
	s_cbranch_vccnz .LBB489_1304
; %bb.1303:
	global_load_u16 v8, v[6:7], off
	s_waitcnt vmcnt(0)
	v_cvt_f32_f16_e32 v10, v8
	v_cmp_o_f16_e32 vcc_lo, v8, v8
	s_delay_alu instid0(VALU_DEP_2) | instskip(NEXT) | instid1(VALU_DEP_1)
	v_bfe_u32 v11, v10, 16, 1
	v_add3_u32 v10, v10, v11, 0x7fff
	s_delay_alu instid0(VALU_DEP_1) | instskip(NEXT) | instid1(VALU_DEP_1)
	v_lshrrev_b32_e32 v10, 16, v10
	v_cndmask_b32_e32 v8, 0x7fc0, v10, vcc_lo
.LBB489_1304:
	s_cbranch_execnz .LBB489_1324
.LBB489_1305:
	v_cmp_lt_i16_e64 s3, s1, 2
	s_delay_alu instid0(VALU_DEP_1)
	s_and_b32 vcc_lo, exec_lo, s3
	s_cbranch_vccnz .LBB489_1309
; %bb.1306:
	v_cmp_lt_i16_e64 s3, s1, 3
	s_delay_alu instid0(VALU_DEP_1)
	s_and_b32 vcc_lo, exec_lo, s3
	s_cbranch_vccnz .LBB489_1310
; %bb.1307:
	v_cmp_gt_i16_e64 s3, s1, 3
	s_delay_alu instid0(VALU_DEP_1)
	s_and_b32 vcc_lo, exec_lo, s3
	s_cbranch_vccz .LBB489_1311
; %bb.1308:
	global_load_b64 v[10:11], v[6:7], off
	s_mov_b32 s3, 0
	s_waitcnt vmcnt(0)
	v_xor_b32_e32 v8, v10, v11
	v_cls_i32_e32 v12, v11
	s_delay_alu instid0(VALU_DEP_2) | instskip(NEXT) | instid1(VALU_DEP_2)
	v_ashrrev_i32_e32 v8, 31, v8
	v_add_nc_u32_e32 v12, -1, v12
	s_delay_alu instid0(VALU_DEP_2) | instskip(NEXT) | instid1(VALU_DEP_1)
	v_add_nc_u32_e32 v8, 32, v8
	v_min_u32_e32 v8, v12, v8
	s_delay_alu instid0(VALU_DEP_1) | instskip(SKIP_1) | instid1(VALU_DEP_2)
	v_lshlrev_b64 v[10:11], v8, v[10:11]
	v_sub_nc_u32_e32 v8, 32, v8
	v_min_u32_e32 v10, 1, v10
	s_delay_alu instid0(VALU_DEP_1) | instskip(NEXT) | instid1(VALU_DEP_1)
	v_or_b32_e32 v10, v11, v10
	v_cvt_f32_i32_e32 v10, v10
	s_delay_alu instid0(VALU_DEP_1) | instskip(NEXT) | instid1(VALU_DEP_1)
	v_ldexp_f32 v8, v10, v8
	v_bfe_u32 v10, v8, 16, 1
	s_delay_alu instid0(VALU_DEP_1) | instskip(NEXT) | instid1(VALU_DEP_1)
	v_add3_u32 v8, v8, v10, 0x7fff
	v_lshrrev_b32_e32 v8, 16, v8
	s_branch .LBB489_1312
.LBB489_1309:
	s_mov_b32 s3, -1
                                        ; implicit-def: $vgpr8
	s_branch .LBB489_1318
.LBB489_1310:
	s_mov_b32 s3, -1
                                        ; implicit-def: $vgpr8
	s_branch .LBB489_1315
.LBB489_1311:
	s_mov_b32 s3, -1
                                        ; implicit-def: $vgpr8
.LBB489_1312:
	s_delay_alu instid0(SALU_CYCLE_1)
	s_and_not1_b32 vcc_lo, exec_lo, s3
	s_cbranch_vccnz .LBB489_1314
; %bb.1313:
	global_load_b32 v8, v[6:7], off
	s_waitcnt vmcnt(0)
	v_cvt_f32_i32_e32 v8, v8
	s_delay_alu instid0(VALU_DEP_1) | instskip(NEXT) | instid1(VALU_DEP_1)
	v_bfe_u32 v10, v8, 16, 1
	v_add3_u32 v8, v8, v10, 0x7fff
	s_delay_alu instid0(VALU_DEP_1)
	v_lshrrev_b32_e32 v8, 16, v8
.LBB489_1314:
	s_mov_b32 s3, 0
.LBB489_1315:
	s_delay_alu instid0(SALU_CYCLE_1)
	s_and_not1_b32 vcc_lo, exec_lo, s3
	s_cbranch_vccnz .LBB489_1317
; %bb.1316:
	global_load_i16 v8, v[6:7], off
	s_waitcnt vmcnt(0)
	v_cvt_f32_i32_e32 v8, v8
	s_delay_alu instid0(VALU_DEP_1) | instskip(NEXT) | instid1(VALU_DEP_1)
	v_bfe_u32 v10, v8, 16, 1
	v_add3_u32 v8, v8, v10, 0x7fff
	s_delay_alu instid0(VALU_DEP_1)
	v_lshrrev_b32_e32 v8, 16, v8
.LBB489_1317:
	s_mov_b32 s3, 0
.LBB489_1318:
	s_delay_alu instid0(SALU_CYCLE_1)
	s_and_not1_b32 vcc_lo, exec_lo, s3
	s_cbranch_vccnz .LBB489_1324
; %bb.1319:
	v_cmp_gt_i16_e64 s3, s1, 0
	s_delay_alu instid0(VALU_DEP_1)
	s_and_b32 vcc_lo, exec_lo, s3
	s_mov_b32 s3, 0
	s_cbranch_vccz .LBB489_1321
; %bb.1320:
	global_load_i8 v8, v[6:7], off
	s_waitcnt vmcnt(0)
	v_cvt_f32_i32_e32 v8, v8
	s_delay_alu instid0(VALU_DEP_1) | instskip(NEXT) | instid1(VALU_DEP_1)
	v_bfe_u32 v10, v8, 16, 1
	v_add3_u32 v8, v8, v10, 0x7fff
	s_delay_alu instid0(VALU_DEP_1)
	v_lshrrev_b32_e32 v8, 16, v8
	s_branch .LBB489_1322
.LBB489_1321:
	s_mov_b32 s3, -1
                                        ; implicit-def: $vgpr8
.LBB489_1322:
	s_delay_alu instid0(SALU_CYCLE_1)
	s_and_not1_b32 vcc_lo, exec_lo, s3
	s_cbranch_vccnz .LBB489_1324
; %bb.1323:
	global_load_u8 v6, v[6:7], off
	s_waitcnt vmcnt(0)
	v_cvt_f32_ubyte0_e32 v6, v6
	s_delay_alu instid0(VALU_DEP_1) | instskip(NEXT) | instid1(VALU_DEP_1)
	v_bfe_u32 v7, v6, 16, 1
	v_add3_u32 v6, v6, v7, 0x7fff
	s_delay_alu instid0(VALU_DEP_1)
	v_lshrrev_b32_e32 v8, 16, v6
.LBB489_1324:
	s_branch .LBB489_1397
.LBB489_1325:
	s_trap 2
	s_sendmsg_rtn_b32 s0, sendmsg(MSG_RTN_GET_DOORBELL)
	s_mov_b32 ttmp2, m0
	s_waitcnt lgkmcnt(0)
	s_and_b32 s0, s0, 0x3ff
	s_delay_alu instid0(SALU_CYCLE_1) | instskip(NEXT) | instid1(SALU_CYCLE_1)
	s_bitset1_b32 s0, 10
	s_mov_b32 m0, s0
	s_sendmsg sendmsg(MSG_INTERRUPT)
	s_mov_b32 m0, ttmp2
.LBB489_1326:                           ; =>This Inner Loop Header: Depth=1
	s_sethalt 5
	s_branch .LBB489_1326
.LBB489_1327:
	s_or_saveexec_b32 s8, s8
                                        ; implicit-def: $sgpr9
	s_delay_alu instid0(SALU_CYCLE_1)
	s_xor_b32 exec_lo, exec_lo, s8
	s_cbranch_execz .LBB489_1003
.LBB489_1328:
	v_add_f32_e64 v5, 0x42800000, |v6|
	s_and_not1_b32 s5, s5, exec_lo
	s_mov_b32 s9, 0
	s_delay_alu instid0(VALU_DEP_1) | instskip(NEXT) | instid1(VALU_DEP_1)
	v_and_b32_e32 v5, 0xff, v5
	v_cmp_ne_u32_e32 vcc_lo, 0, v5
	s_and_b32 s10, vcc_lo, exec_lo
	s_delay_alu instid0(SALU_CYCLE_1)
	s_or_b32 s5, s5, s10
	s_or_b32 exec_lo, exec_lo, s8
	v_mov_b32_e32 v7, s9
	s_and_saveexec_b32 s8, s5
	s_cbranch_execnz .LBB489_1004
	s_branch .LBB489_1005
.LBB489_1329:
	s_mov_b32 s3, -1
.LBB489_1330:
                                        ; implicit-def: $vgpr8
.LBB489_1331:
	s_and_b32 vcc_lo, exec_lo, s12
	s_cbranch_vccz .LBB489_1335
; %bb.1332:
	v_cmp_eq_u16_e64 s3, s1, 44
	s_delay_alu instid0(VALU_DEP_1)
	s_and_b32 vcc_lo, exec_lo, s3
	s_cbranch_vccz .LBB489_1334
; %bb.1333:
	global_load_u8 v8, v[6:7], off
	s_mov_b32 s3, 0
	s_mov_b32 s11, -1
	s_waitcnt vmcnt(0)
	v_lshlrev_b32_e32 v10, 23, v8
	v_cmp_ne_u32_e32 vcc_lo, 0xff, v8
	s_delay_alu instid0(VALU_DEP_2) | instskip(SKIP_1) | instid1(VALU_DEP_2)
	v_cndmask_b32_e32 v10, 0x7f800001, v10, vcc_lo
	v_cmp_ne_u32_e32 vcc_lo, 0, v8
	v_cndmask_b32_e32 v8, 0x400000, v10, vcc_lo
	s_delay_alu instid0(VALU_DEP_1) | instskip(SKIP_1) | instid1(VALU_DEP_2)
	v_add_nc_u32_e32 v10, 0x7fff, v8
	v_cmp_o_f32_e32 vcc_lo, v8, v8
	v_lshrrev_b32_e32 v10, 16, v10
	s_delay_alu instid0(VALU_DEP_1)
	v_cndmask_b32_e32 v8, 0x7fc0, v10, vcc_lo
	s_branch .LBB489_1335
.LBB489_1334:
	s_mov_b32 s3, -1
                                        ; implicit-def: $vgpr8
.LBB489_1335:
	s_mov_b32 s12, 0
.LBB489_1336:
	s_delay_alu instid0(SALU_CYCLE_1)
	s_and_b32 vcc_lo, exec_lo, s12
	s_cbranch_vccz .LBB489_1340
; %bb.1337:
	v_cmp_eq_u16_e64 s3, s1, 29
	s_delay_alu instid0(VALU_DEP_1)
	s_and_b32 vcc_lo, exec_lo, s3
	s_cbranch_vccz .LBB489_1339
; %bb.1338:
	global_load_b64 v[10:11], v[6:7], off
	s_mov_b32 s3, 0
	s_mov_b32 s11, -1
	s_mov_b32 s12, 0
	s_waitcnt vmcnt(0)
	v_clz_i32_u32_e32 v8, v11
	s_delay_alu instid0(VALU_DEP_1) | instskip(NEXT) | instid1(VALU_DEP_1)
	v_min_u32_e32 v8, 32, v8
	v_lshlrev_b64 v[10:11], v8, v[10:11]
	v_sub_nc_u32_e32 v8, 32, v8
	s_delay_alu instid0(VALU_DEP_2) | instskip(NEXT) | instid1(VALU_DEP_1)
	v_min_u32_e32 v10, 1, v10
	v_or_b32_e32 v10, v11, v10
	s_delay_alu instid0(VALU_DEP_1) | instskip(NEXT) | instid1(VALU_DEP_1)
	v_cvt_f32_u32_e32 v10, v10
	v_ldexp_f32 v8, v10, v8
	s_delay_alu instid0(VALU_DEP_1) | instskip(NEXT) | instid1(VALU_DEP_1)
	v_bfe_u32 v10, v8, 16, 1
	v_add3_u32 v8, v8, v10, 0x7fff
	s_delay_alu instid0(VALU_DEP_1)
	v_lshrrev_b32_e32 v8, 16, v8
	s_branch .LBB489_1341
.LBB489_1339:
	s_mov_b32 s3, -1
                                        ; implicit-def: $vgpr8
.LBB489_1340:
	s_mov_b32 s12, 0
.LBB489_1341:
	s_delay_alu instid0(SALU_CYCLE_1)
	s_and_b32 vcc_lo, exec_lo, s12
	s_cbranch_vccz .LBB489_1359
; %bb.1342:
	v_cmp_lt_i16_e64 s11, s1, 27
	s_delay_alu instid0(VALU_DEP_1)
	s_and_b32 vcc_lo, exec_lo, s11
	s_cbranch_vccnz .LBB489_1345
; %bb.1343:
	v_cmp_gt_i16_e64 s11, s1, 27
	s_delay_alu instid0(VALU_DEP_1)
	s_and_b32 vcc_lo, exec_lo, s11
	s_cbranch_vccz .LBB489_1346
; %bb.1344:
	global_load_b32 v8, v[6:7], off
	s_mov_b32 s11, 0
	s_waitcnt vmcnt(0)
	v_cvt_f32_u32_e32 v8, v8
	s_delay_alu instid0(VALU_DEP_1) | instskip(NEXT) | instid1(VALU_DEP_1)
	v_bfe_u32 v10, v8, 16, 1
	v_add3_u32 v8, v8, v10, 0x7fff
	s_delay_alu instid0(VALU_DEP_1)
	v_lshrrev_b32_e32 v8, 16, v8
	s_branch .LBB489_1347
.LBB489_1345:
	s_mov_b32 s11, -1
                                        ; implicit-def: $vgpr8
	s_branch .LBB489_1350
.LBB489_1346:
	s_mov_b32 s11, -1
                                        ; implicit-def: $vgpr8
.LBB489_1347:
	s_delay_alu instid0(SALU_CYCLE_1)
	s_and_not1_b32 vcc_lo, exec_lo, s11
	s_cbranch_vccnz .LBB489_1349
; %bb.1348:
	global_load_u16 v8, v[6:7], off
	s_waitcnt vmcnt(0)
	v_cvt_f32_u32_e32 v8, v8
	s_delay_alu instid0(VALU_DEP_1) | instskip(NEXT) | instid1(VALU_DEP_1)
	v_bfe_u32 v10, v8, 16, 1
	v_add3_u32 v8, v8, v10, 0x7fff
	s_delay_alu instid0(VALU_DEP_1)
	v_lshrrev_b32_e32 v8, 16, v8
.LBB489_1349:
	s_mov_b32 s11, 0
.LBB489_1350:
	s_delay_alu instid0(SALU_CYCLE_1)
	s_and_not1_b32 vcc_lo, exec_lo, s11
	s_cbranch_vccnz .LBB489_1358
; %bb.1351:
	global_load_u8 v8, v[6:7], off
	s_mov_b32 s11, 0
	s_mov_b32 s13, exec_lo
                                        ; implicit-def: $sgpr12
	s_waitcnt vmcnt(0)
	v_cmpx_lt_i16_e32 0x7f, v8
	s_xor_b32 s13, exec_lo, s13
	s_cbranch_execz .LBB489_1371
; %bb.1352:
	s_mov_b32 s11, -1
	s_mov_b32 s14, exec_lo
                                        ; implicit-def: $sgpr12
	v_cmpx_eq_u16_e32 0x80, v8
; %bb.1353:
	s_mov_b32 s12, 0x7f800001
	s_xor_b32 s11, exec_lo, -1
; %bb.1354:
	s_or_b32 exec_lo, exec_lo, s14
	s_delay_alu instid0(SALU_CYCLE_1)
	s_and_b32 s11, s11, exec_lo
	s_or_saveexec_b32 s13, s13
	v_mov_b32_e32 v10, s12
	s_xor_b32 exec_lo, exec_lo, s13
	s_cbranch_execnz .LBB489_1372
.LBB489_1355:
	s_or_b32 exec_lo, exec_lo, s13
	s_and_saveexec_b32 s12, s11
	s_cbranch_execz .LBB489_1357
.LBB489_1356:
	v_and_b32_e32 v10, 0xffff, v8
	v_lshlrev_b32_e32 v8, 24, v8
	s_delay_alu instid0(VALU_DEP_2) | instskip(NEXT) | instid1(VALU_DEP_2)
	v_and_b32_e32 v11, 7, v10
	v_and_b32_e32 v8, 0x80000000, v8
	s_delay_alu instid0(VALU_DEP_2) | instskip(NEXT) | instid1(VALU_DEP_1)
	v_clz_i32_u32_e32 v12, v11
	v_min_u32_e32 v12, 32, v12
	s_delay_alu instid0(VALU_DEP_1) | instskip(SKIP_1) | instid1(VALU_DEP_2)
	v_subrev_nc_u32_e32 v13, 28, v12
	v_sub_nc_u32_e32 v12, 29, v12
	v_lshlrev_b32_e32 v13, v13, v10
	v_bfe_u32 v10, v10, 3, 4
	s_delay_alu instid0(VALU_DEP_2) | instskip(NEXT) | instid1(VALU_DEP_2)
	v_and_b32_e32 v13, 7, v13
	v_cmp_eq_u32_e32 vcc_lo, 0, v10
	s_delay_alu instid0(VALU_DEP_2) | instskip(NEXT) | instid1(VALU_DEP_1)
	v_dual_cndmask_b32 v10, v10, v12 :: v_dual_cndmask_b32 v11, v11, v13
	v_lshl_add_u32 v10, v10, 23, 0x3b800000
	s_delay_alu instid0(VALU_DEP_2) | instskip(NEXT) | instid1(VALU_DEP_1)
	v_lshlrev_b32_e32 v11, 20, v11
	v_or3_b32 v10, v8, v10, v11
.LBB489_1357:
	s_or_b32 exec_lo, exec_lo, s12
	s_delay_alu instid0(VALU_DEP_1) | instskip(SKIP_1) | instid1(VALU_DEP_2)
	v_bfe_u32 v8, v10, 16, 1
	v_cmp_o_f32_e32 vcc_lo, v10, v10
	v_add3_u32 v8, v10, v8, 0x7fff
	s_delay_alu instid0(VALU_DEP_1) | instskip(NEXT) | instid1(VALU_DEP_1)
	v_lshrrev_b32_e32 v8, 16, v8
	v_cndmask_b32_e32 v8, 0x7fc0, v8, vcc_lo
.LBB489_1358:
	s_mov_b32 s11, -1
.LBB489_1359:
	s_branch .LBB489_1392
.LBB489_1360:
	v_cmp_gt_i16_e64 s10, s1, 22
	s_delay_alu instid0(VALU_DEP_1)
	s_and_b32 vcc_lo, exec_lo, s10
	s_cbranch_vccz .LBB489_1370
; %bb.1361:
	v_cmp_lt_i16_e64 s10, s1, 24
	s_delay_alu instid0(VALU_DEP_1)
	s_and_b32 vcc_lo, exec_lo, s10
	s_cbranch_vccnz .LBB489_1373
; %bb.1362:
	v_cmp_gt_i16_e64 s10, s1, 24
	s_delay_alu instid0(VALU_DEP_1)
	s_and_b32 vcc_lo, exec_lo, s10
	s_cbranch_vccz .LBB489_1374
; %bb.1363:
	global_load_u8 v8, v[6:7], off
	s_mov_b32 s10, 0
	s_mov_b32 s12, exec_lo
                                        ; implicit-def: $sgpr11
	s_waitcnt vmcnt(0)
	v_cmpx_lt_i16_e32 0x7f, v8
	s_xor_b32 s12, exec_lo, s12
	s_cbranch_execz .LBB489_1386
; %bb.1364:
	s_mov_b32 s10, -1
	s_mov_b32 s13, exec_lo
                                        ; implicit-def: $sgpr11
	v_cmpx_eq_u16_e32 0x80, v8
; %bb.1365:
	s_mov_b32 s11, 0x7f800001
	s_xor_b32 s10, exec_lo, -1
; %bb.1366:
	s_or_b32 exec_lo, exec_lo, s13
	s_delay_alu instid0(SALU_CYCLE_1)
	s_and_b32 s10, s10, exec_lo
	s_or_saveexec_b32 s12, s12
	v_mov_b32_e32 v10, s11
	s_xor_b32 exec_lo, exec_lo, s12
	s_cbranch_execnz .LBB489_1387
.LBB489_1367:
	s_or_b32 exec_lo, exec_lo, s12
	s_and_saveexec_b32 s11, s10
	s_cbranch_execz .LBB489_1369
.LBB489_1368:
	v_and_b32_e32 v10, 0xffff, v8
	v_lshlrev_b32_e32 v8, 24, v8
	s_delay_alu instid0(VALU_DEP_2) | instskip(NEXT) | instid1(VALU_DEP_2)
	v_and_b32_e32 v11, 3, v10
	v_and_b32_e32 v8, 0x80000000, v8
	s_delay_alu instid0(VALU_DEP_2) | instskip(NEXT) | instid1(VALU_DEP_1)
	v_clz_i32_u32_e32 v12, v11
	v_min_u32_e32 v12, 32, v12
	s_delay_alu instid0(VALU_DEP_1) | instskip(SKIP_1) | instid1(VALU_DEP_2)
	v_subrev_nc_u32_e32 v13, 29, v12
	v_sub_nc_u32_e32 v12, 30, v12
	v_lshlrev_b32_e32 v13, v13, v10
	v_bfe_u32 v10, v10, 2, 5
	s_delay_alu instid0(VALU_DEP_2) | instskip(NEXT) | instid1(VALU_DEP_2)
	v_and_b32_e32 v13, 3, v13
	v_cmp_eq_u32_e32 vcc_lo, 0, v10
	s_delay_alu instid0(VALU_DEP_2) | instskip(NEXT) | instid1(VALU_DEP_1)
	v_dual_cndmask_b32 v10, v10, v12 :: v_dual_cndmask_b32 v11, v11, v13
	v_lshl_add_u32 v10, v10, 23, 0x37800000
	s_delay_alu instid0(VALU_DEP_2) | instskip(NEXT) | instid1(VALU_DEP_1)
	v_lshlrev_b32_e32 v11, 21, v11
	v_or3_b32 v10, v8, v10, v11
.LBB489_1369:
	s_or_b32 exec_lo, exec_lo, s11
	s_delay_alu instid0(VALU_DEP_1) | instskip(SKIP_2) | instid1(VALU_DEP_2)
	v_bfe_u32 v8, v10, 16, 1
	v_cmp_o_f32_e32 vcc_lo, v10, v10
	s_mov_b32 s10, 0
	v_add3_u32 v8, v10, v8, 0x7fff
	s_delay_alu instid0(VALU_DEP_1) | instskip(NEXT) | instid1(VALU_DEP_1)
	v_lshrrev_b32_e32 v8, 16, v8
	v_cndmask_b32_e32 v8, 0x7fc0, v8, vcc_lo
	s_branch .LBB489_1375
.LBB489_1370:
	s_mov_b32 s10, -1
                                        ; implicit-def: $vgpr8
	s_branch .LBB489_1381
.LBB489_1371:
	s_or_saveexec_b32 s13, s13
	v_mov_b32_e32 v10, s12
	s_xor_b32 exec_lo, exec_lo, s13
	s_cbranch_execz .LBB489_1355
.LBB489_1372:
	v_cmp_ne_u16_e32 vcc_lo, 0, v8
	v_mov_b32_e32 v10, 0
	s_and_not1_b32 s11, s11, exec_lo
	s_and_b32 s12, vcc_lo, exec_lo
	s_delay_alu instid0(SALU_CYCLE_1)
	s_or_b32 s11, s11, s12
	s_or_b32 exec_lo, exec_lo, s13
	s_and_saveexec_b32 s12, s11
	s_cbranch_execnz .LBB489_1356
	s_branch .LBB489_1357
.LBB489_1373:
	s_mov_b32 s10, -1
                                        ; implicit-def: $vgpr8
	s_branch .LBB489_1378
.LBB489_1374:
	s_mov_b32 s10, -1
                                        ; implicit-def: $vgpr8
.LBB489_1375:
	s_delay_alu instid0(SALU_CYCLE_1)
	s_and_b32 vcc_lo, exec_lo, s10
	s_cbranch_vccz .LBB489_1377
; %bb.1376:
	global_load_u8 v8, v[6:7], off
	s_waitcnt vmcnt(0)
	v_lshlrev_b32_e32 v8, 24, v8
	s_delay_alu instid0(VALU_DEP_1) | instskip(NEXT) | instid1(VALU_DEP_1)
	v_and_b32_e32 v10, 0x7f000000, v8
	v_clz_i32_u32_e32 v11, v10
	v_cmp_ne_u32_e32 vcc_lo, 0, v10
	v_add_nc_u32_e32 v13, 0x1000000, v10
	s_delay_alu instid0(VALU_DEP_3) | instskip(NEXT) | instid1(VALU_DEP_1)
	v_min_u32_e32 v11, 32, v11
	v_sub_nc_u32_e64 v11, v11, 4 clamp
	s_delay_alu instid0(VALU_DEP_1) | instskip(SKIP_1) | instid1(VALU_DEP_2)
	v_lshlrev_b32_e32 v12, v11, v10
	v_lshlrev_b32_e32 v11, 23, v11
	v_lshrrev_b32_e32 v12, 4, v12
	s_delay_alu instid0(VALU_DEP_1) | instskip(SKIP_1) | instid1(VALU_DEP_2)
	v_sub_nc_u32_e32 v11, v12, v11
	v_ashrrev_i32_e32 v12, 8, v13
	v_add_nc_u32_e32 v11, 0x3c000000, v11
	s_delay_alu instid0(VALU_DEP_1) | instskip(NEXT) | instid1(VALU_DEP_1)
	v_and_or_b32 v11, 0x7f800000, v12, v11
	v_cndmask_b32_e32 v10, 0, v11, vcc_lo
	s_delay_alu instid0(VALU_DEP_1) | instskip(SKIP_1) | instid1(VALU_DEP_2)
	v_and_or_b32 v8, 0x80000000, v8, v10
	v_bfe_u32 v10, v10, 16, 1
	v_cmp_o_f32_e32 vcc_lo, v8, v8
	s_delay_alu instid0(VALU_DEP_2) | instskip(NEXT) | instid1(VALU_DEP_1)
	v_add3_u32 v10, v8, v10, 0x7fff
	v_lshrrev_b32_e32 v10, 16, v10
	s_delay_alu instid0(VALU_DEP_1)
	v_cndmask_b32_e32 v8, 0x7fc0, v10, vcc_lo
.LBB489_1377:
	s_mov_b32 s10, 0
.LBB489_1378:
	s_delay_alu instid0(SALU_CYCLE_1)
	s_and_not1_b32 vcc_lo, exec_lo, s10
	s_cbranch_vccnz .LBB489_1380
; %bb.1379:
	global_load_u8 v8, v[6:7], off
	s_waitcnt vmcnt(0)
	v_lshlrev_b32_e32 v10, 25, v8
	v_lshlrev_b16 v8, 8, v8
	s_delay_alu instid0(VALU_DEP_2) | instskip(NEXT) | instid1(VALU_DEP_2)
	v_lshrrev_b32_e32 v11, 4, v10
	v_and_or_b32 v12, 0x7f00, v8, 0.5
	v_bfe_i32 v8, v8, 0, 16
	s_delay_alu instid0(VALU_DEP_3) | instskip(NEXT) | instid1(VALU_DEP_1)
	v_or_b32_e32 v11, 0x70000000, v11
	v_dual_add_f32 v12, -0.5, v12 :: v_dual_mul_f32 v11, 0x7800000, v11
	v_cmp_gt_u32_e32 vcc_lo, 0x8000000, v10
	s_delay_alu instid0(VALU_DEP_2) | instskip(NEXT) | instid1(VALU_DEP_1)
	v_cndmask_b32_e32 v10, v11, v12, vcc_lo
	v_and_or_b32 v8, 0x80000000, v8, v10
	v_bfe_u32 v10, v10, 16, 1
	s_delay_alu instid0(VALU_DEP_2) | instskip(NEXT) | instid1(VALU_DEP_2)
	v_cmp_o_f32_e32 vcc_lo, v8, v8
	v_add3_u32 v10, v8, v10, 0x7fff
	s_delay_alu instid0(VALU_DEP_1) | instskip(NEXT) | instid1(VALU_DEP_1)
	v_lshrrev_b32_e32 v10, 16, v10
	v_cndmask_b32_e32 v8, 0x7fc0, v10, vcc_lo
.LBB489_1380:
	s_mov_b32 s10, 0
	s_mov_b32 s11, -1
.LBB489_1381:
	s_and_not1_b32 vcc_lo, exec_lo, s10
	s_mov_b32 s10, 0
	s_cbranch_vccnz .LBB489_1392
; %bb.1382:
	v_cmp_gt_i16_e64 s10, s1, 14
	s_delay_alu instid0(VALU_DEP_1)
	s_and_b32 vcc_lo, exec_lo, s10
	s_cbranch_vccz .LBB489_1385
; %bb.1383:
	v_cmp_eq_u16_e64 s3, s1, 15
	s_delay_alu instid0(VALU_DEP_1)
	s_and_b32 vcc_lo, exec_lo, s3
	s_cbranch_vccz .LBB489_1388
; %bb.1384:
	global_load_u16 v8, v[6:7], off
	s_mov_b32 s3, 0
	s_mov_b32 s11, -1
	s_branch .LBB489_1389
.LBB489_1385:
	s_mov_b32 s10, -1
                                        ; implicit-def: $vgpr8
	s_branch .LBB489_1390
.LBB489_1386:
	s_or_saveexec_b32 s12, s12
	v_mov_b32_e32 v10, s11
	s_xor_b32 exec_lo, exec_lo, s12
	s_cbranch_execz .LBB489_1367
.LBB489_1387:
	v_cmp_ne_u16_e32 vcc_lo, 0, v8
	v_mov_b32_e32 v10, 0
	s_and_not1_b32 s10, s10, exec_lo
	s_and_b32 s11, vcc_lo, exec_lo
	s_delay_alu instid0(SALU_CYCLE_1)
	s_or_b32 s10, s10, s11
	s_or_b32 exec_lo, exec_lo, s12
	s_and_saveexec_b32 s11, s10
	s_cbranch_execnz .LBB489_1368
	s_branch .LBB489_1369
.LBB489_1388:
	s_mov_b32 s3, -1
                                        ; implicit-def: $vgpr8
.LBB489_1389:
	s_mov_b32 s10, 0
.LBB489_1390:
	s_delay_alu instid0(SALU_CYCLE_1)
	s_and_b32 vcc_lo, exec_lo, s10
	s_mov_b32 s10, 0
	s_cbranch_vccz .LBB489_1392
; %bb.1391:
	v_cmp_ne_u16_e64 s3, s1, 11
	s_mov_b32 s10, -1
                                        ; implicit-def: $vgpr8
.LBB489_1392:
	s_delay_alu instid0(VALU_DEP_1)
	s_and_b32 vcc_lo, exec_lo, s3
	s_cbranch_vccnz .LBB489_1416
; %bb.1393:
	s_and_not1_b32 vcc_lo, exec_lo, s10
	s_cbranch_vccnz .LBB489_1395
.LBB489_1394:
	global_load_u8 v8, v[6:7], off
	s_mov_b32 s11, -1
	s_waitcnt vmcnt(0)
	v_cmp_ne_u16_e32 vcc_lo, 0, v8
	v_cndmask_b32_e64 v8, 0, 1.0, vcc_lo
	s_delay_alu instid0(VALU_DEP_1)
	v_lshrrev_b32_e32 v8, 16, v8
.LBB489_1395:
.LBB489_1396:
	s_and_not1_b32 vcc_lo, exec_lo, s11
	s_cbranch_vccnz .LBB489_2094
.LBB489_1397:
	v_cmp_lt_i16_e64 s3, s1, 11
	s_waitcnt vmcnt(0)
	v_add_co_u32 v5, s10, s6, v5
	s_delay_alu instid0(VALU_DEP_1) | instskip(NEXT) | instid1(VALU_DEP_3)
	v_add_co_ci_u32_e64 v6, null, s7, 0, s10
	s_and_b32 vcc_lo, exec_lo, s3
	s_mov_b32 s11, 0
	s_cbranch_vccnz .LBB489_1404
; %bb.1398:
	v_cmp_gt_i16_e64 s3, s1, 25
	s_mov_b32 s10, 0
	s_delay_alu instid0(VALU_DEP_1)
	s_and_b32 vcc_lo, exec_lo, s3
	s_cbranch_vccz .LBB489_1410
; %bb.1399:
	v_cmp_gt_i16_e64 s3, s1, 28
	s_delay_alu instid0(VALU_DEP_1)
	s_and_b32 vcc_lo, exec_lo, s3
	s_cbranch_vccz .LBB489_1412
; %bb.1400:
	v_cmp_gt_i16_e64 s3, s1, 43
	;; [unrolled: 5-line block ×3, first 2 shown]
	s_delay_alu instid0(VALU_DEP_1)
	s_and_b32 vcc_lo, exec_lo, s3
	s_cbranch_vccz .LBB489_1418
; %bb.1402:
	v_cmp_eq_u16_e64 s3, s1, 46
	s_mov_b32 s12, 0
	s_delay_alu instid0(VALU_DEP_1)
	s_and_b32 vcc_lo, exec_lo, s3
	s_cbranch_vccz .LBB489_1461
; %bb.1403:
	global_load_b32 v7, v[5:6], off
	s_mov_b32 s3, 0
	s_mov_b32 s11, -1
	s_branch .LBB489_1463
.LBB489_1404:
                                        ; implicit-def: $vgpr7
	s_cbranch_execz .LBB489_1529
; %bb.1405:
	v_cmp_lt_i16_e64 s3, s1, 5
	s_delay_alu instid0(VALU_DEP_1)
	s_and_b32 vcc_lo, exec_lo, s3
	s_cbranch_vccnz .LBB489_1411
; %bb.1406:
	v_cmp_lt_i16_e64 s3, s1, 8
	s_delay_alu instid0(VALU_DEP_1)
	s_and_b32 vcc_lo, exec_lo, s3
	s_cbranch_vccnz .LBB489_1413
; %bb.1407:
	v_cmp_lt_i16_e64 s3, s1, 9
	s_delay_alu instid0(VALU_DEP_1)
	s_and_b32 vcc_lo, exec_lo, s3
	s_cbranch_vccnz .LBB489_1415
; %bb.1408:
	v_cmp_gt_i16_e64 s3, s1, 9
	s_delay_alu instid0(VALU_DEP_1)
	s_and_b32 vcc_lo, exec_lo, s3
	s_cbranch_vccz .LBB489_1419
; %bb.1409:
	global_load_b64 v[10:11], v[5:6], off
	s_mov_b32 s3, 0
	s_waitcnt vmcnt(0)
	v_cvt_f32_f64_e32 v7, v[10:11]
	s_delay_alu instid0(VALU_DEP_1) | instskip(SKIP_1) | instid1(VALU_DEP_2)
	v_bfe_u32 v10, v7, 16, 1
	v_cmp_o_f32_e32 vcc_lo, v7, v7
	v_add3_u32 v10, v7, v10, 0x7fff
	s_delay_alu instid0(VALU_DEP_1) | instskip(NEXT) | instid1(VALU_DEP_1)
	v_lshrrev_b32_e32 v10, 16, v10
	v_cndmask_b32_e32 v7, 0x7fc0, v10, vcc_lo
	s_branch .LBB489_1420
.LBB489_1410:
	s_mov_b32 s12, -1
	s_mov_b32 s3, 0
                                        ; implicit-def: $vgpr7
	s_branch .LBB489_1492
.LBB489_1411:
	s_mov_b32 s3, -1
                                        ; implicit-def: $vgpr7
	s_branch .LBB489_1438
.LBB489_1412:
	s_mov_b32 s12, -1
	s_mov_b32 s3, 0
                                        ; implicit-def: $vgpr7
	s_branch .LBB489_1473
.LBB489_1413:
	s_mov_b32 s3, -1
                                        ; implicit-def: $vgpr7
	s_branch .LBB489_1426
.LBB489_1414:
	s_mov_b32 s12, -1
	s_mov_b32 s3, 0
                                        ; implicit-def: $vgpr7
	s_branch .LBB489_1468
.LBB489_1415:
	s_mov_b32 s3, -1
                                        ; implicit-def: $vgpr7
	s_branch .LBB489_1423
.LBB489_1416:
	s_cbranch_execnz .LBB489_1459
; %bb.1417:
	s_or_b32 s2, s2, exec_lo
                                        ; implicit-def: $vgpr8
	s_cbranch_execz .LBB489_1394
	s_branch .LBB489_1395
.LBB489_1418:
	s_mov_b32 s12, -1
	s_mov_b32 s3, 0
	s_branch .LBB489_1462
.LBB489_1419:
	s_mov_b32 s3, -1
                                        ; implicit-def: $vgpr7
.LBB489_1420:
	s_delay_alu instid0(SALU_CYCLE_1)
	s_and_not1_b32 vcc_lo, exec_lo, s3
	s_cbranch_vccnz .LBB489_1422
; %bb.1421:
	global_load_b32 v7, v[5:6], off
	s_waitcnt vmcnt(0)
	v_bfe_u32 v10, v7, 16, 1
	v_cmp_o_f32_e32 vcc_lo, v7, v7
	s_delay_alu instid0(VALU_DEP_2) | instskip(NEXT) | instid1(VALU_DEP_1)
	v_add3_u32 v10, v7, v10, 0x7fff
	v_lshrrev_b32_e32 v10, 16, v10
	s_delay_alu instid0(VALU_DEP_1)
	v_cndmask_b32_e32 v7, 0x7fc0, v10, vcc_lo
.LBB489_1422:
	s_mov_b32 s3, 0
.LBB489_1423:
	s_delay_alu instid0(SALU_CYCLE_1)
	s_and_not1_b32 vcc_lo, exec_lo, s3
	s_cbranch_vccnz .LBB489_1425
; %bb.1424:
	global_load_b32 v7, v[5:6], off
	s_waitcnt vmcnt(0)
	v_cvt_f32_f16_e32 v10, v7
	v_cmp_o_f16_e32 vcc_lo, v7, v7
	s_delay_alu instid0(VALU_DEP_2) | instskip(NEXT) | instid1(VALU_DEP_1)
	v_bfe_u32 v11, v10, 16, 1
	v_add3_u32 v10, v10, v11, 0x7fff
	s_delay_alu instid0(VALU_DEP_1) | instskip(NEXT) | instid1(VALU_DEP_1)
	v_lshrrev_b32_e32 v10, 16, v10
	v_cndmask_b32_e32 v7, 0x7fc0, v10, vcc_lo
.LBB489_1425:
	s_mov_b32 s3, 0
.LBB489_1426:
	s_delay_alu instid0(SALU_CYCLE_1)
	s_and_not1_b32 vcc_lo, exec_lo, s3
	s_cbranch_vccnz .LBB489_1437
; %bb.1427:
	v_cmp_lt_i16_e64 s3, s1, 6
	s_delay_alu instid0(VALU_DEP_1)
	s_and_b32 vcc_lo, exec_lo, s3
	s_cbranch_vccnz .LBB489_1430
; %bb.1428:
	v_cmp_gt_i16_e64 s3, s1, 6
	s_delay_alu instid0(VALU_DEP_1)
	s_and_b32 vcc_lo, exec_lo, s3
	s_cbranch_vccz .LBB489_1431
; %bb.1429:
	global_load_b64 v[10:11], v[5:6], off
	s_mov_b32 s3, 0
	s_waitcnt vmcnt(0)
	v_cvt_f32_f64_e32 v7, v[10:11]
	s_delay_alu instid0(VALU_DEP_1) | instskip(SKIP_1) | instid1(VALU_DEP_2)
	v_bfe_u32 v10, v7, 16, 1
	v_cmp_o_f32_e32 vcc_lo, v7, v7
	v_add3_u32 v10, v7, v10, 0x7fff
	s_delay_alu instid0(VALU_DEP_1) | instskip(NEXT) | instid1(VALU_DEP_1)
	v_lshrrev_b32_e32 v10, 16, v10
	v_cndmask_b32_e32 v7, 0x7fc0, v10, vcc_lo
	s_branch .LBB489_1432
.LBB489_1430:
	s_mov_b32 s3, -1
                                        ; implicit-def: $vgpr7
	s_branch .LBB489_1435
.LBB489_1431:
	s_mov_b32 s3, -1
                                        ; implicit-def: $vgpr7
.LBB489_1432:
	s_delay_alu instid0(SALU_CYCLE_1)
	s_and_not1_b32 vcc_lo, exec_lo, s3
	s_cbranch_vccnz .LBB489_1434
; %bb.1433:
	global_load_b32 v7, v[5:6], off
	s_waitcnt vmcnt(0)
	v_bfe_u32 v10, v7, 16, 1
	v_cmp_o_f32_e32 vcc_lo, v7, v7
	s_delay_alu instid0(VALU_DEP_2) | instskip(NEXT) | instid1(VALU_DEP_1)
	v_add3_u32 v10, v7, v10, 0x7fff
	v_lshrrev_b32_e32 v10, 16, v10
	s_delay_alu instid0(VALU_DEP_1)
	v_cndmask_b32_e32 v7, 0x7fc0, v10, vcc_lo
.LBB489_1434:
	s_mov_b32 s3, 0
.LBB489_1435:
	s_delay_alu instid0(SALU_CYCLE_1)
	s_and_not1_b32 vcc_lo, exec_lo, s3
	s_cbranch_vccnz .LBB489_1437
; %bb.1436:
	global_load_u16 v7, v[5:6], off
	s_waitcnt vmcnt(0)
	v_cvt_f32_f16_e32 v10, v7
	v_cmp_o_f16_e32 vcc_lo, v7, v7
	s_delay_alu instid0(VALU_DEP_2) | instskip(NEXT) | instid1(VALU_DEP_1)
	v_bfe_u32 v11, v10, 16, 1
	v_add3_u32 v10, v10, v11, 0x7fff
	s_delay_alu instid0(VALU_DEP_1) | instskip(NEXT) | instid1(VALU_DEP_1)
	v_lshrrev_b32_e32 v10, 16, v10
	v_cndmask_b32_e32 v7, 0x7fc0, v10, vcc_lo
.LBB489_1437:
	s_mov_b32 s3, 0
.LBB489_1438:
	s_delay_alu instid0(SALU_CYCLE_1)
	s_and_not1_b32 vcc_lo, exec_lo, s3
	s_cbranch_vccnz .LBB489_1458
; %bb.1439:
	v_cmp_lt_i16_e64 s3, s1, 2
	s_delay_alu instid0(VALU_DEP_1)
	s_and_b32 vcc_lo, exec_lo, s3
	s_cbranch_vccnz .LBB489_1443
; %bb.1440:
	v_cmp_lt_i16_e64 s3, s1, 3
	s_delay_alu instid0(VALU_DEP_1)
	s_and_b32 vcc_lo, exec_lo, s3
	s_cbranch_vccnz .LBB489_1444
; %bb.1441:
	v_cmp_gt_i16_e64 s3, s1, 3
	s_delay_alu instid0(VALU_DEP_1)
	s_and_b32 vcc_lo, exec_lo, s3
	s_cbranch_vccz .LBB489_1445
; %bb.1442:
	global_load_b64 v[10:11], v[5:6], off
	s_mov_b32 s3, 0
	s_waitcnt vmcnt(0)
	v_xor_b32_e32 v7, v10, v11
	v_cls_i32_e32 v12, v11
	s_delay_alu instid0(VALU_DEP_2) | instskip(NEXT) | instid1(VALU_DEP_2)
	v_ashrrev_i32_e32 v7, 31, v7
	v_add_nc_u32_e32 v12, -1, v12
	s_delay_alu instid0(VALU_DEP_2) | instskip(NEXT) | instid1(VALU_DEP_1)
	v_add_nc_u32_e32 v7, 32, v7
	v_min_u32_e32 v7, v12, v7
	s_delay_alu instid0(VALU_DEP_1) | instskip(SKIP_1) | instid1(VALU_DEP_2)
	v_lshlrev_b64 v[10:11], v7, v[10:11]
	v_sub_nc_u32_e32 v7, 32, v7
	v_min_u32_e32 v10, 1, v10
	s_delay_alu instid0(VALU_DEP_1) | instskip(NEXT) | instid1(VALU_DEP_1)
	v_or_b32_e32 v10, v11, v10
	v_cvt_f32_i32_e32 v10, v10
	s_delay_alu instid0(VALU_DEP_1) | instskip(NEXT) | instid1(VALU_DEP_1)
	v_ldexp_f32 v7, v10, v7
	v_bfe_u32 v10, v7, 16, 1
	s_delay_alu instid0(VALU_DEP_1) | instskip(NEXT) | instid1(VALU_DEP_1)
	v_add3_u32 v7, v7, v10, 0x7fff
	v_lshrrev_b32_e32 v7, 16, v7
	s_branch .LBB489_1446
.LBB489_1443:
	s_mov_b32 s3, -1
                                        ; implicit-def: $vgpr7
	s_branch .LBB489_1452
.LBB489_1444:
	s_mov_b32 s3, -1
                                        ; implicit-def: $vgpr7
	s_branch .LBB489_1449
.LBB489_1445:
	s_mov_b32 s3, -1
                                        ; implicit-def: $vgpr7
.LBB489_1446:
	s_delay_alu instid0(SALU_CYCLE_1)
	s_and_not1_b32 vcc_lo, exec_lo, s3
	s_cbranch_vccnz .LBB489_1448
; %bb.1447:
	global_load_b32 v7, v[5:6], off
	s_waitcnt vmcnt(0)
	v_cvt_f32_i32_e32 v7, v7
	s_delay_alu instid0(VALU_DEP_1) | instskip(NEXT) | instid1(VALU_DEP_1)
	v_bfe_u32 v10, v7, 16, 1
	v_add3_u32 v7, v7, v10, 0x7fff
	s_delay_alu instid0(VALU_DEP_1)
	v_lshrrev_b32_e32 v7, 16, v7
.LBB489_1448:
	s_mov_b32 s3, 0
.LBB489_1449:
	s_delay_alu instid0(SALU_CYCLE_1)
	s_and_not1_b32 vcc_lo, exec_lo, s3
	s_cbranch_vccnz .LBB489_1451
; %bb.1450:
	global_load_i16 v7, v[5:6], off
	s_waitcnt vmcnt(0)
	v_cvt_f32_i32_e32 v7, v7
	s_delay_alu instid0(VALU_DEP_1) | instskip(NEXT) | instid1(VALU_DEP_1)
	v_bfe_u32 v10, v7, 16, 1
	v_add3_u32 v7, v7, v10, 0x7fff
	s_delay_alu instid0(VALU_DEP_1)
	v_lshrrev_b32_e32 v7, 16, v7
.LBB489_1451:
	s_mov_b32 s3, 0
.LBB489_1452:
	s_delay_alu instid0(SALU_CYCLE_1)
	s_and_not1_b32 vcc_lo, exec_lo, s3
	s_cbranch_vccnz .LBB489_1458
; %bb.1453:
	v_cmp_gt_i16_e64 s3, s1, 0
	s_delay_alu instid0(VALU_DEP_1)
	s_and_b32 vcc_lo, exec_lo, s3
	s_mov_b32 s3, 0
	s_cbranch_vccz .LBB489_1455
; %bb.1454:
	global_load_i8 v7, v[5:6], off
	s_waitcnt vmcnt(0)
	v_cvt_f32_i32_e32 v7, v7
	s_delay_alu instid0(VALU_DEP_1) | instskip(NEXT) | instid1(VALU_DEP_1)
	v_bfe_u32 v10, v7, 16, 1
	v_add3_u32 v7, v7, v10, 0x7fff
	s_delay_alu instid0(VALU_DEP_1)
	v_lshrrev_b32_e32 v7, 16, v7
	s_branch .LBB489_1456
.LBB489_1455:
	s_mov_b32 s3, -1
                                        ; implicit-def: $vgpr7
.LBB489_1456:
	s_delay_alu instid0(SALU_CYCLE_1)
	s_and_not1_b32 vcc_lo, exec_lo, s3
	s_cbranch_vccnz .LBB489_1458
; %bb.1457:
	global_load_u8 v5, v[5:6], off
	s_waitcnt vmcnt(0)
	v_cvt_f32_ubyte0_e32 v5, v5
	s_delay_alu instid0(VALU_DEP_1) | instskip(NEXT) | instid1(VALU_DEP_1)
	v_bfe_u32 v6, v5, 16, 1
	v_add3_u32 v5, v5, v6, 0x7fff
	s_delay_alu instid0(VALU_DEP_1)
	v_lshrrev_b32_e32 v7, 16, v5
.LBB489_1458:
	s_branch .LBB489_1530
.LBB489_1459:
	s_trap 2
	s_sendmsg_rtn_b32 s0, sendmsg(MSG_RTN_GET_DOORBELL)
	s_mov_b32 ttmp2, m0
	s_waitcnt lgkmcnt(0)
	s_and_b32 s0, s0, 0x3ff
	s_delay_alu instid0(SALU_CYCLE_1) | instskip(NEXT) | instid1(SALU_CYCLE_1)
	s_bitset1_b32 s0, 10
	s_mov_b32 m0, s0
	s_sendmsg sendmsg(MSG_INTERRUPT)
	s_mov_b32 m0, ttmp2
.LBB489_1460:                           ; =>This Inner Loop Header: Depth=1
	s_sethalt 5
	s_branch .LBB489_1460
.LBB489_1461:
	s_mov_b32 s3, -1
.LBB489_1462:
                                        ; implicit-def: $vgpr7
.LBB489_1463:
	s_and_b32 vcc_lo, exec_lo, s12
	s_cbranch_vccz .LBB489_1467
; %bb.1464:
	v_cmp_eq_u16_e64 s3, s1, 44
	s_delay_alu instid0(VALU_DEP_1)
	s_and_b32 vcc_lo, exec_lo, s3
	s_cbranch_vccz .LBB489_1466
; %bb.1465:
	global_load_u8 v7, v[5:6], off
	s_mov_b32 s3, 0
	s_mov_b32 s11, -1
	s_waitcnt vmcnt(0)
	v_lshlrev_b32_e32 v10, 23, v7
	v_cmp_ne_u32_e32 vcc_lo, 0xff, v7
	s_delay_alu instid0(VALU_DEP_2) | instskip(SKIP_1) | instid1(VALU_DEP_2)
	v_cndmask_b32_e32 v10, 0x7f800001, v10, vcc_lo
	v_cmp_ne_u32_e32 vcc_lo, 0, v7
	v_cndmask_b32_e32 v7, 0x400000, v10, vcc_lo
	s_delay_alu instid0(VALU_DEP_1) | instskip(SKIP_1) | instid1(VALU_DEP_2)
	v_add_nc_u32_e32 v10, 0x7fff, v7
	v_cmp_o_f32_e32 vcc_lo, v7, v7
	v_lshrrev_b32_e32 v10, 16, v10
	s_delay_alu instid0(VALU_DEP_1)
	v_cndmask_b32_e32 v7, 0x7fc0, v10, vcc_lo
	s_branch .LBB489_1467
.LBB489_1466:
	s_mov_b32 s3, -1
                                        ; implicit-def: $vgpr7
.LBB489_1467:
	s_mov_b32 s12, 0
.LBB489_1468:
	s_delay_alu instid0(SALU_CYCLE_1)
	s_and_b32 vcc_lo, exec_lo, s12
	s_cbranch_vccz .LBB489_1472
; %bb.1469:
	v_cmp_eq_u16_e64 s3, s1, 29
	s_delay_alu instid0(VALU_DEP_1)
	s_and_b32 vcc_lo, exec_lo, s3
	s_cbranch_vccz .LBB489_1471
; %bb.1470:
	global_load_b64 v[10:11], v[5:6], off
	s_mov_b32 s3, 0
	s_mov_b32 s11, -1
	s_mov_b32 s12, 0
	s_waitcnt vmcnt(0)
	v_clz_i32_u32_e32 v7, v11
	s_delay_alu instid0(VALU_DEP_1) | instskip(NEXT) | instid1(VALU_DEP_1)
	v_min_u32_e32 v7, 32, v7
	v_lshlrev_b64 v[10:11], v7, v[10:11]
	v_sub_nc_u32_e32 v7, 32, v7
	s_delay_alu instid0(VALU_DEP_2) | instskip(NEXT) | instid1(VALU_DEP_1)
	v_min_u32_e32 v10, 1, v10
	v_or_b32_e32 v10, v11, v10
	s_delay_alu instid0(VALU_DEP_1) | instskip(NEXT) | instid1(VALU_DEP_1)
	v_cvt_f32_u32_e32 v10, v10
	v_ldexp_f32 v7, v10, v7
	s_delay_alu instid0(VALU_DEP_1) | instskip(NEXT) | instid1(VALU_DEP_1)
	v_bfe_u32 v10, v7, 16, 1
	v_add3_u32 v7, v7, v10, 0x7fff
	s_delay_alu instid0(VALU_DEP_1)
	v_lshrrev_b32_e32 v7, 16, v7
	s_branch .LBB489_1473
.LBB489_1471:
	s_mov_b32 s3, -1
                                        ; implicit-def: $vgpr7
.LBB489_1472:
	s_mov_b32 s12, 0
.LBB489_1473:
	s_delay_alu instid0(SALU_CYCLE_1)
	s_and_b32 vcc_lo, exec_lo, s12
	s_cbranch_vccz .LBB489_1491
; %bb.1474:
	v_cmp_lt_i16_e64 s11, s1, 27
	s_delay_alu instid0(VALU_DEP_1)
	s_and_b32 vcc_lo, exec_lo, s11
	s_cbranch_vccnz .LBB489_1477
; %bb.1475:
	v_cmp_gt_i16_e64 s11, s1, 27
	s_delay_alu instid0(VALU_DEP_1)
	s_and_b32 vcc_lo, exec_lo, s11
	s_cbranch_vccz .LBB489_1478
; %bb.1476:
	global_load_b32 v7, v[5:6], off
	s_mov_b32 s11, 0
	s_waitcnt vmcnt(0)
	v_cvt_f32_u32_e32 v7, v7
	s_delay_alu instid0(VALU_DEP_1) | instskip(NEXT) | instid1(VALU_DEP_1)
	v_bfe_u32 v10, v7, 16, 1
	v_add3_u32 v7, v7, v10, 0x7fff
	s_delay_alu instid0(VALU_DEP_1)
	v_lshrrev_b32_e32 v7, 16, v7
	s_branch .LBB489_1479
.LBB489_1477:
	s_mov_b32 s11, -1
                                        ; implicit-def: $vgpr7
	s_branch .LBB489_1482
.LBB489_1478:
	s_mov_b32 s11, -1
                                        ; implicit-def: $vgpr7
.LBB489_1479:
	s_delay_alu instid0(SALU_CYCLE_1)
	s_and_not1_b32 vcc_lo, exec_lo, s11
	s_cbranch_vccnz .LBB489_1481
; %bb.1480:
	global_load_u16 v7, v[5:6], off
	s_waitcnt vmcnt(0)
	v_cvt_f32_u32_e32 v7, v7
	s_delay_alu instid0(VALU_DEP_1) | instskip(NEXT) | instid1(VALU_DEP_1)
	v_bfe_u32 v10, v7, 16, 1
	v_add3_u32 v7, v7, v10, 0x7fff
	s_delay_alu instid0(VALU_DEP_1)
	v_lshrrev_b32_e32 v7, 16, v7
.LBB489_1481:
	s_mov_b32 s11, 0
.LBB489_1482:
	s_delay_alu instid0(SALU_CYCLE_1)
	s_and_not1_b32 vcc_lo, exec_lo, s11
	s_cbranch_vccnz .LBB489_1490
; %bb.1483:
	global_load_u8 v7, v[5:6], off
	s_mov_b32 s11, 0
	s_mov_b32 s13, exec_lo
                                        ; implicit-def: $sgpr12
	s_waitcnt vmcnt(0)
	v_cmpx_lt_i16_e32 0x7f, v7
	s_xor_b32 s13, exec_lo, s13
	s_cbranch_execz .LBB489_1504
; %bb.1484:
	s_mov_b32 s11, -1
	s_mov_b32 s14, exec_lo
                                        ; implicit-def: $sgpr12
	v_cmpx_eq_u16_e32 0x80, v7
; %bb.1485:
	s_mov_b32 s12, 0x7f800001
	s_xor_b32 s11, exec_lo, -1
; %bb.1486:
	s_or_b32 exec_lo, exec_lo, s14
	s_delay_alu instid0(SALU_CYCLE_1)
	s_and_b32 s11, s11, exec_lo
	s_or_saveexec_b32 s13, s13
	v_mov_b32_e32 v10, s12
	s_xor_b32 exec_lo, exec_lo, s13
	s_cbranch_execnz .LBB489_1505
.LBB489_1487:
	s_or_b32 exec_lo, exec_lo, s13
	s_and_saveexec_b32 s12, s11
	s_cbranch_execz .LBB489_1489
.LBB489_1488:
	v_and_b32_e32 v10, 0xffff, v7
	v_lshlrev_b32_e32 v7, 24, v7
	s_delay_alu instid0(VALU_DEP_2) | instskip(NEXT) | instid1(VALU_DEP_2)
	v_and_b32_e32 v11, 7, v10
	v_and_b32_e32 v7, 0x80000000, v7
	s_delay_alu instid0(VALU_DEP_2) | instskip(NEXT) | instid1(VALU_DEP_1)
	v_clz_i32_u32_e32 v12, v11
	v_min_u32_e32 v12, 32, v12
	s_delay_alu instid0(VALU_DEP_1) | instskip(SKIP_1) | instid1(VALU_DEP_2)
	v_subrev_nc_u32_e32 v13, 28, v12
	v_sub_nc_u32_e32 v12, 29, v12
	v_lshlrev_b32_e32 v13, v13, v10
	v_bfe_u32 v10, v10, 3, 4
	s_delay_alu instid0(VALU_DEP_2) | instskip(NEXT) | instid1(VALU_DEP_2)
	v_and_b32_e32 v13, 7, v13
	v_cmp_eq_u32_e32 vcc_lo, 0, v10
	s_delay_alu instid0(VALU_DEP_2) | instskip(NEXT) | instid1(VALU_DEP_1)
	v_dual_cndmask_b32 v10, v10, v12 :: v_dual_cndmask_b32 v11, v11, v13
	v_lshl_add_u32 v10, v10, 23, 0x3b800000
	s_delay_alu instid0(VALU_DEP_2) | instskip(NEXT) | instid1(VALU_DEP_1)
	v_lshlrev_b32_e32 v11, 20, v11
	v_or3_b32 v10, v7, v10, v11
.LBB489_1489:
	s_or_b32 exec_lo, exec_lo, s12
	s_delay_alu instid0(VALU_DEP_1) | instskip(SKIP_1) | instid1(VALU_DEP_2)
	v_bfe_u32 v7, v10, 16, 1
	v_cmp_o_f32_e32 vcc_lo, v10, v10
	v_add3_u32 v7, v10, v7, 0x7fff
	s_delay_alu instid0(VALU_DEP_1) | instskip(NEXT) | instid1(VALU_DEP_1)
	v_lshrrev_b32_e32 v7, 16, v7
	v_cndmask_b32_e32 v7, 0x7fc0, v7, vcc_lo
.LBB489_1490:
	s_mov_b32 s11, -1
.LBB489_1491:
	s_mov_b32 s12, 0
.LBB489_1492:
	s_delay_alu instid0(SALU_CYCLE_1)
	s_and_b32 vcc_lo, exec_lo, s12
	s_cbranch_vccz .LBB489_1525
; %bb.1493:
	v_cmp_gt_i16_e64 s10, s1, 22
	s_delay_alu instid0(VALU_DEP_1)
	s_and_b32 vcc_lo, exec_lo, s10
	s_cbranch_vccz .LBB489_1503
; %bb.1494:
	v_cmp_lt_i16_e64 s10, s1, 24
	s_delay_alu instid0(VALU_DEP_1)
	s_and_b32 vcc_lo, exec_lo, s10
	s_cbranch_vccnz .LBB489_1506
; %bb.1495:
	v_cmp_gt_i16_e64 s10, s1, 24
	s_delay_alu instid0(VALU_DEP_1)
	s_and_b32 vcc_lo, exec_lo, s10
	s_cbranch_vccz .LBB489_1507
; %bb.1496:
	global_load_u8 v7, v[5:6], off
	s_mov_b32 s10, 0
	s_mov_b32 s12, exec_lo
                                        ; implicit-def: $sgpr11
	s_waitcnt vmcnt(0)
	v_cmpx_lt_i16_e32 0x7f, v7
	s_xor_b32 s12, exec_lo, s12
	s_cbranch_execz .LBB489_1519
; %bb.1497:
	s_mov_b32 s10, -1
	s_mov_b32 s13, exec_lo
                                        ; implicit-def: $sgpr11
	v_cmpx_eq_u16_e32 0x80, v7
; %bb.1498:
	s_mov_b32 s11, 0x7f800001
	s_xor_b32 s10, exec_lo, -1
; %bb.1499:
	s_or_b32 exec_lo, exec_lo, s13
	s_delay_alu instid0(SALU_CYCLE_1)
	s_and_b32 s10, s10, exec_lo
	s_or_saveexec_b32 s12, s12
	v_mov_b32_e32 v10, s11
	s_xor_b32 exec_lo, exec_lo, s12
	s_cbranch_execnz .LBB489_1520
.LBB489_1500:
	s_or_b32 exec_lo, exec_lo, s12
	s_and_saveexec_b32 s11, s10
	s_cbranch_execz .LBB489_1502
.LBB489_1501:
	v_and_b32_e32 v10, 0xffff, v7
	v_lshlrev_b32_e32 v7, 24, v7
	s_delay_alu instid0(VALU_DEP_2) | instskip(NEXT) | instid1(VALU_DEP_2)
	v_and_b32_e32 v11, 3, v10
	v_and_b32_e32 v7, 0x80000000, v7
	s_delay_alu instid0(VALU_DEP_2) | instskip(NEXT) | instid1(VALU_DEP_1)
	v_clz_i32_u32_e32 v12, v11
	v_min_u32_e32 v12, 32, v12
	s_delay_alu instid0(VALU_DEP_1) | instskip(SKIP_1) | instid1(VALU_DEP_2)
	v_subrev_nc_u32_e32 v13, 29, v12
	v_sub_nc_u32_e32 v12, 30, v12
	v_lshlrev_b32_e32 v13, v13, v10
	v_bfe_u32 v10, v10, 2, 5
	s_delay_alu instid0(VALU_DEP_2) | instskip(NEXT) | instid1(VALU_DEP_2)
	v_and_b32_e32 v13, 3, v13
	v_cmp_eq_u32_e32 vcc_lo, 0, v10
	s_delay_alu instid0(VALU_DEP_2) | instskip(NEXT) | instid1(VALU_DEP_1)
	v_dual_cndmask_b32 v10, v10, v12 :: v_dual_cndmask_b32 v11, v11, v13
	v_lshl_add_u32 v10, v10, 23, 0x37800000
	s_delay_alu instid0(VALU_DEP_2) | instskip(NEXT) | instid1(VALU_DEP_1)
	v_lshlrev_b32_e32 v11, 21, v11
	v_or3_b32 v10, v7, v10, v11
.LBB489_1502:
	s_or_b32 exec_lo, exec_lo, s11
	s_delay_alu instid0(VALU_DEP_1) | instskip(SKIP_2) | instid1(VALU_DEP_2)
	v_bfe_u32 v7, v10, 16, 1
	v_cmp_o_f32_e32 vcc_lo, v10, v10
	s_mov_b32 s10, 0
	v_add3_u32 v7, v10, v7, 0x7fff
	s_delay_alu instid0(VALU_DEP_1) | instskip(NEXT) | instid1(VALU_DEP_1)
	v_lshrrev_b32_e32 v7, 16, v7
	v_cndmask_b32_e32 v7, 0x7fc0, v7, vcc_lo
	s_branch .LBB489_1508
.LBB489_1503:
	s_mov_b32 s10, -1
                                        ; implicit-def: $vgpr7
	s_branch .LBB489_1514
.LBB489_1504:
	s_or_saveexec_b32 s13, s13
	v_mov_b32_e32 v10, s12
	s_xor_b32 exec_lo, exec_lo, s13
	s_cbranch_execz .LBB489_1487
.LBB489_1505:
	v_cmp_ne_u16_e32 vcc_lo, 0, v7
	v_mov_b32_e32 v10, 0
	s_and_not1_b32 s11, s11, exec_lo
	s_and_b32 s12, vcc_lo, exec_lo
	s_delay_alu instid0(SALU_CYCLE_1)
	s_or_b32 s11, s11, s12
	s_or_b32 exec_lo, exec_lo, s13
	s_and_saveexec_b32 s12, s11
	s_cbranch_execnz .LBB489_1488
	s_branch .LBB489_1489
.LBB489_1506:
	s_mov_b32 s10, -1
                                        ; implicit-def: $vgpr7
	s_branch .LBB489_1511
.LBB489_1507:
	s_mov_b32 s10, -1
                                        ; implicit-def: $vgpr7
.LBB489_1508:
	s_delay_alu instid0(SALU_CYCLE_1)
	s_and_b32 vcc_lo, exec_lo, s10
	s_cbranch_vccz .LBB489_1510
; %bb.1509:
	global_load_u8 v7, v[5:6], off
	s_waitcnt vmcnt(0)
	v_lshlrev_b32_e32 v7, 24, v7
	s_delay_alu instid0(VALU_DEP_1) | instskip(NEXT) | instid1(VALU_DEP_1)
	v_and_b32_e32 v10, 0x7f000000, v7
	v_clz_i32_u32_e32 v11, v10
	v_cmp_ne_u32_e32 vcc_lo, 0, v10
	v_add_nc_u32_e32 v13, 0x1000000, v10
	s_delay_alu instid0(VALU_DEP_3) | instskip(NEXT) | instid1(VALU_DEP_1)
	v_min_u32_e32 v11, 32, v11
	v_sub_nc_u32_e64 v11, v11, 4 clamp
	s_delay_alu instid0(VALU_DEP_1) | instskip(SKIP_1) | instid1(VALU_DEP_2)
	v_lshlrev_b32_e32 v12, v11, v10
	v_lshlrev_b32_e32 v11, 23, v11
	v_lshrrev_b32_e32 v12, 4, v12
	s_delay_alu instid0(VALU_DEP_1) | instskip(SKIP_1) | instid1(VALU_DEP_2)
	v_sub_nc_u32_e32 v11, v12, v11
	v_ashrrev_i32_e32 v12, 8, v13
	v_add_nc_u32_e32 v11, 0x3c000000, v11
	s_delay_alu instid0(VALU_DEP_1) | instskip(NEXT) | instid1(VALU_DEP_1)
	v_and_or_b32 v11, 0x7f800000, v12, v11
	v_cndmask_b32_e32 v10, 0, v11, vcc_lo
	s_delay_alu instid0(VALU_DEP_1) | instskip(SKIP_1) | instid1(VALU_DEP_2)
	v_and_or_b32 v7, 0x80000000, v7, v10
	v_bfe_u32 v10, v10, 16, 1
	v_cmp_o_f32_e32 vcc_lo, v7, v7
	s_delay_alu instid0(VALU_DEP_2) | instskip(NEXT) | instid1(VALU_DEP_1)
	v_add3_u32 v10, v7, v10, 0x7fff
	v_lshrrev_b32_e32 v10, 16, v10
	s_delay_alu instid0(VALU_DEP_1)
	v_cndmask_b32_e32 v7, 0x7fc0, v10, vcc_lo
.LBB489_1510:
	s_mov_b32 s10, 0
.LBB489_1511:
	s_delay_alu instid0(SALU_CYCLE_1)
	s_and_not1_b32 vcc_lo, exec_lo, s10
	s_cbranch_vccnz .LBB489_1513
; %bb.1512:
	global_load_u8 v7, v[5:6], off
	s_waitcnt vmcnt(0)
	v_lshlrev_b32_e32 v10, 25, v7
	v_lshlrev_b16 v7, 8, v7
	s_delay_alu instid0(VALU_DEP_2) | instskip(NEXT) | instid1(VALU_DEP_2)
	v_lshrrev_b32_e32 v11, 4, v10
	v_and_or_b32 v12, 0x7f00, v7, 0.5
	v_cmp_gt_u32_e32 vcc_lo, 0x8000000, v10
	v_bfe_i32 v7, v7, 0, 16
	s_delay_alu instid0(VALU_DEP_4) | instskip(NEXT) | instid1(VALU_DEP_1)
	v_or_b32_e32 v11, 0x70000000, v11
	v_dual_add_f32 v12, -0.5, v12 :: v_dual_mul_f32 v11, 0x7800000, v11
	s_delay_alu instid0(VALU_DEP_1) | instskip(NEXT) | instid1(VALU_DEP_1)
	v_cndmask_b32_e32 v10, v11, v12, vcc_lo
	v_and_or_b32 v7, 0x80000000, v7, v10
	v_bfe_u32 v10, v10, 16, 1
	s_delay_alu instid0(VALU_DEP_2) | instskip(NEXT) | instid1(VALU_DEP_2)
	v_cmp_o_f32_e32 vcc_lo, v7, v7
	v_add3_u32 v10, v7, v10, 0x7fff
	s_delay_alu instid0(VALU_DEP_1) | instskip(NEXT) | instid1(VALU_DEP_1)
	v_lshrrev_b32_e32 v10, 16, v10
	v_cndmask_b32_e32 v7, 0x7fc0, v10, vcc_lo
.LBB489_1513:
	s_mov_b32 s10, 0
	s_mov_b32 s11, -1
.LBB489_1514:
	s_and_not1_b32 vcc_lo, exec_lo, s10
	s_mov_b32 s10, 0
	s_cbranch_vccnz .LBB489_1525
; %bb.1515:
	v_cmp_gt_i16_e64 s10, s1, 14
	s_delay_alu instid0(VALU_DEP_1)
	s_and_b32 vcc_lo, exec_lo, s10
	s_cbranch_vccz .LBB489_1518
; %bb.1516:
	v_cmp_eq_u16_e64 s3, s1, 15
	s_delay_alu instid0(VALU_DEP_1)
	s_and_b32 vcc_lo, exec_lo, s3
	s_cbranch_vccz .LBB489_1521
; %bb.1517:
	global_load_u16 v7, v[5:6], off
	s_mov_b32 s3, 0
	s_mov_b32 s11, -1
	s_branch .LBB489_1522
.LBB489_1518:
	s_mov_b32 s10, -1
                                        ; implicit-def: $vgpr7
	s_branch .LBB489_1523
.LBB489_1519:
	s_or_saveexec_b32 s12, s12
	v_mov_b32_e32 v10, s11
	s_xor_b32 exec_lo, exec_lo, s12
	s_cbranch_execz .LBB489_1500
.LBB489_1520:
	v_cmp_ne_u16_e32 vcc_lo, 0, v7
	v_mov_b32_e32 v10, 0
	s_and_not1_b32 s10, s10, exec_lo
	s_and_b32 s11, vcc_lo, exec_lo
	s_delay_alu instid0(SALU_CYCLE_1)
	s_or_b32 s10, s10, s11
	s_or_b32 exec_lo, exec_lo, s12
	s_and_saveexec_b32 s11, s10
	s_cbranch_execnz .LBB489_1501
	s_branch .LBB489_1502
.LBB489_1521:
	s_mov_b32 s3, -1
                                        ; implicit-def: $vgpr7
.LBB489_1522:
	s_mov_b32 s10, 0
.LBB489_1523:
	s_delay_alu instid0(SALU_CYCLE_1)
	s_and_b32 vcc_lo, exec_lo, s10
	s_mov_b32 s10, 0
	s_cbranch_vccz .LBB489_1525
; %bb.1524:
	v_cmp_ne_u16_e64 s3, s1, 11
	s_mov_b32 s10, -1
                                        ; implicit-def: $vgpr7
.LBB489_1525:
	s_delay_alu instid0(VALU_DEP_1)
	s_and_b32 vcc_lo, exec_lo, s3
	s_cbranch_vccnz .LBB489_1541
; %bb.1526:
	s_and_not1_b32 vcc_lo, exec_lo, s10
	s_cbranch_vccnz .LBB489_1528
.LBB489_1527:
	global_load_u8 v7, v[5:6], off
	s_mov_b32 s11, -1
	s_waitcnt vmcnt(0)
	v_cmp_ne_u16_e32 vcc_lo, 0, v7
	v_cndmask_b32_e64 v7, 0, 1.0, vcc_lo
	s_delay_alu instid0(VALU_DEP_1)
	v_lshrrev_b32_e32 v7, 16, v7
.LBB489_1528:
.LBB489_1529:
	s_and_not1_b32 vcc_lo, exec_lo, s11
	s_cbranch_vccnz .LBB489_2094
.LBB489_1530:
	v_cmp_lt_i16_e64 s3, s1, 11
	v_add_co_u32 v4, s6, s6, v4
	s_delay_alu instid0(VALU_DEP_1) | instskip(NEXT) | instid1(VALU_DEP_3)
	v_add_co_ci_u32_e64 v5, null, s7, 0, s6
	s_and_b32 vcc_lo, exec_lo, s3
	s_mov_b32 s7, 0
	s_cbranch_vccnz .LBB489_1537
; %bb.1531:
	v_cmp_gt_i16_e64 s3, s1, 25
	s_mov_b32 s6, 0
	s_delay_alu instid0(VALU_DEP_1)
	s_and_b32 vcc_lo, exec_lo, s3
	s_cbranch_vccz .LBB489_1538
; %bb.1532:
	v_cmp_gt_i16_e64 s3, s1, 28
	s_delay_alu instid0(VALU_DEP_1)
	s_and_b32 vcc_lo, exec_lo, s3
	s_cbranch_vccz .LBB489_1539
; %bb.1533:
	v_cmp_gt_i16_e64 s3, s1, 43
	;; [unrolled: 5-line block ×3, first 2 shown]
	s_delay_alu instid0(VALU_DEP_1)
	s_and_b32 vcc_lo, exec_lo, s3
	s_cbranch_vccz .LBB489_1543
; %bb.1535:
	v_cmp_eq_u16_e64 s3, s1, 46
	s_mov_b32 s10, 0
	s_delay_alu instid0(VALU_DEP_1)
	s_and_b32 vcc_lo, exec_lo, s3
	s_cbranch_vccz .LBB489_1546
; %bb.1536:
	global_load_b32 v6, v[4:5], off
	s_mov_b32 s3, 0
	s_mov_b32 s7, -1
	s_branch .LBB489_1548
.LBB489_1537:
	s_mov_b32 s3, -1
                                        ; implicit-def: $vgpr6
	s_branch .LBB489_1614
.LBB489_1538:
	s_mov_b32 s10, -1
	s_mov_b32 s3, 0
                                        ; implicit-def: $vgpr6
	s_branch .LBB489_1577
.LBB489_1539:
	s_mov_b32 s10, -1
	s_mov_b32 s3, 0
                                        ; implicit-def: $vgpr6
	s_branch .LBB489_1558
.LBB489_1540:
	s_mov_b32 s10, -1
	s_mov_b32 s3, 0
                                        ; implicit-def: $vgpr6
	s_branch .LBB489_1553
.LBB489_1541:
	s_cbranch_execnz .LBB489_1544
; %bb.1542:
	s_or_b32 s2, s2, exec_lo
                                        ; implicit-def: $vgpr7
	s_cbranch_execz .LBB489_1527
	s_branch .LBB489_1528
.LBB489_1543:
	s_mov_b32 s10, -1
	s_mov_b32 s3, 0
	s_branch .LBB489_1547
.LBB489_1544:
	s_trap 2
	s_sendmsg_rtn_b32 s0, sendmsg(MSG_RTN_GET_DOORBELL)
	s_mov_b32 ttmp2, m0
	s_waitcnt lgkmcnt(0)
	s_and_b32 s0, s0, 0x3ff
	s_delay_alu instid0(SALU_CYCLE_1) | instskip(NEXT) | instid1(SALU_CYCLE_1)
	s_bitset1_b32 s0, 10
	s_mov_b32 m0, s0
	s_sendmsg sendmsg(MSG_INTERRUPT)
	s_mov_b32 m0, ttmp2
.LBB489_1545:                           ; =>This Inner Loop Header: Depth=1
	s_sethalt 5
	s_branch .LBB489_1545
.LBB489_1546:
	s_mov_b32 s3, -1
.LBB489_1547:
                                        ; implicit-def: $vgpr6
.LBB489_1548:
	s_and_b32 vcc_lo, exec_lo, s10
	s_cbranch_vccz .LBB489_1552
; %bb.1549:
	v_cmp_eq_u16_e64 s3, s1, 44
	s_delay_alu instid0(VALU_DEP_1)
	s_and_b32 vcc_lo, exec_lo, s3
	s_cbranch_vccz .LBB489_1551
; %bb.1550:
	global_load_u8 v6, v[4:5], off
	s_mov_b32 s3, 0
	s_mov_b32 s7, -1
	s_waitcnt vmcnt(0)
	v_lshlrev_b32_e32 v10, 23, v6
	v_cmp_ne_u32_e32 vcc_lo, 0xff, v6
	s_delay_alu instid0(VALU_DEP_2) | instskip(SKIP_1) | instid1(VALU_DEP_2)
	v_cndmask_b32_e32 v10, 0x7f800001, v10, vcc_lo
	v_cmp_ne_u32_e32 vcc_lo, 0, v6
	v_cndmask_b32_e32 v6, 0x400000, v10, vcc_lo
	s_delay_alu instid0(VALU_DEP_1) | instskip(SKIP_1) | instid1(VALU_DEP_2)
	v_add_nc_u32_e32 v10, 0x7fff, v6
	v_cmp_o_f32_e32 vcc_lo, v6, v6
	v_lshrrev_b32_e32 v10, 16, v10
	s_delay_alu instid0(VALU_DEP_1)
	v_cndmask_b32_e32 v6, 0x7fc0, v10, vcc_lo
	s_branch .LBB489_1552
.LBB489_1551:
	s_mov_b32 s3, -1
                                        ; implicit-def: $vgpr6
.LBB489_1552:
	s_mov_b32 s10, 0
.LBB489_1553:
	s_delay_alu instid0(SALU_CYCLE_1)
	s_and_b32 vcc_lo, exec_lo, s10
	s_cbranch_vccz .LBB489_1557
; %bb.1554:
	v_cmp_eq_u16_e64 s3, s1, 29
	s_delay_alu instid0(VALU_DEP_1)
	s_and_b32 vcc_lo, exec_lo, s3
	s_cbranch_vccz .LBB489_1556
; %bb.1555:
	global_load_b64 v[10:11], v[4:5], off
	s_mov_b32 s3, 0
	s_mov_b32 s7, -1
	s_mov_b32 s10, 0
	s_waitcnt vmcnt(0)
	v_clz_i32_u32_e32 v6, v11
	s_delay_alu instid0(VALU_DEP_1) | instskip(NEXT) | instid1(VALU_DEP_1)
	v_min_u32_e32 v6, 32, v6
	v_lshlrev_b64 v[10:11], v6, v[10:11]
	v_sub_nc_u32_e32 v6, 32, v6
	s_delay_alu instid0(VALU_DEP_2) | instskip(NEXT) | instid1(VALU_DEP_1)
	v_min_u32_e32 v10, 1, v10
	v_or_b32_e32 v10, v11, v10
	s_delay_alu instid0(VALU_DEP_1) | instskip(NEXT) | instid1(VALU_DEP_1)
	v_cvt_f32_u32_e32 v10, v10
	v_ldexp_f32 v6, v10, v6
	s_delay_alu instid0(VALU_DEP_1) | instskip(NEXT) | instid1(VALU_DEP_1)
	v_bfe_u32 v10, v6, 16, 1
	v_add3_u32 v6, v6, v10, 0x7fff
	s_delay_alu instid0(VALU_DEP_1)
	v_lshrrev_b32_e32 v6, 16, v6
	s_branch .LBB489_1558
.LBB489_1556:
	s_mov_b32 s3, -1
                                        ; implicit-def: $vgpr6
.LBB489_1557:
	s_mov_b32 s10, 0
.LBB489_1558:
	s_delay_alu instid0(SALU_CYCLE_1)
	s_and_b32 vcc_lo, exec_lo, s10
	s_cbranch_vccz .LBB489_1576
; %bb.1559:
	v_cmp_lt_i16_e64 s7, s1, 27
	s_delay_alu instid0(VALU_DEP_1)
	s_and_b32 vcc_lo, exec_lo, s7
	s_cbranch_vccnz .LBB489_1562
; %bb.1560:
	v_cmp_gt_i16_e64 s7, s1, 27
	s_delay_alu instid0(VALU_DEP_1)
	s_and_b32 vcc_lo, exec_lo, s7
	s_cbranch_vccz .LBB489_1563
; %bb.1561:
	global_load_b32 v6, v[4:5], off
	s_mov_b32 s7, 0
	s_waitcnt vmcnt(0)
	v_cvt_f32_u32_e32 v6, v6
	s_delay_alu instid0(VALU_DEP_1) | instskip(NEXT) | instid1(VALU_DEP_1)
	v_bfe_u32 v10, v6, 16, 1
	v_add3_u32 v6, v6, v10, 0x7fff
	s_delay_alu instid0(VALU_DEP_1)
	v_lshrrev_b32_e32 v6, 16, v6
	s_branch .LBB489_1564
.LBB489_1562:
	s_mov_b32 s7, -1
                                        ; implicit-def: $vgpr6
	s_branch .LBB489_1567
.LBB489_1563:
	s_mov_b32 s7, -1
                                        ; implicit-def: $vgpr6
.LBB489_1564:
	s_delay_alu instid0(SALU_CYCLE_1)
	s_and_not1_b32 vcc_lo, exec_lo, s7
	s_cbranch_vccnz .LBB489_1566
; %bb.1565:
	global_load_u16 v6, v[4:5], off
	s_waitcnt vmcnt(0)
	v_cvt_f32_u32_e32 v6, v6
	s_delay_alu instid0(VALU_DEP_1) | instskip(NEXT) | instid1(VALU_DEP_1)
	v_bfe_u32 v10, v6, 16, 1
	v_add3_u32 v6, v6, v10, 0x7fff
	s_delay_alu instid0(VALU_DEP_1)
	v_lshrrev_b32_e32 v6, 16, v6
.LBB489_1566:
	s_mov_b32 s7, 0
.LBB489_1567:
	s_delay_alu instid0(SALU_CYCLE_1)
	s_and_not1_b32 vcc_lo, exec_lo, s7
	s_cbranch_vccnz .LBB489_1575
; %bb.1568:
	global_load_u8 v6, v[4:5], off
	s_mov_b32 s7, 0
	s_mov_b32 s11, exec_lo
                                        ; implicit-def: $sgpr10
	s_waitcnt vmcnt(0)
	v_cmpx_lt_i16_e32 0x7f, v6
	s_xor_b32 s11, exec_lo, s11
	s_cbranch_execz .LBB489_1589
; %bb.1569:
	s_mov_b32 s7, -1
	s_mov_b32 s12, exec_lo
                                        ; implicit-def: $sgpr10
	v_cmpx_eq_u16_e32 0x80, v6
; %bb.1570:
	s_mov_b32 s10, 0x7f800001
	s_xor_b32 s7, exec_lo, -1
; %bb.1571:
	s_or_b32 exec_lo, exec_lo, s12
	s_delay_alu instid0(SALU_CYCLE_1)
	s_and_b32 s7, s7, exec_lo
	s_or_saveexec_b32 s11, s11
	v_mov_b32_e32 v10, s10
	s_xor_b32 exec_lo, exec_lo, s11
	s_cbranch_execnz .LBB489_1590
.LBB489_1572:
	s_or_b32 exec_lo, exec_lo, s11
	s_and_saveexec_b32 s10, s7
	s_cbranch_execz .LBB489_1574
.LBB489_1573:
	v_and_b32_e32 v10, 0xffff, v6
	v_lshlrev_b32_e32 v6, 24, v6
	s_delay_alu instid0(VALU_DEP_2) | instskip(NEXT) | instid1(VALU_DEP_2)
	v_and_b32_e32 v11, 7, v10
	v_and_b32_e32 v6, 0x80000000, v6
	s_delay_alu instid0(VALU_DEP_2) | instskip(NEXT) | instid1(VALU_DEP_1)
	v_clz_i32_u32_e32 v12, v11
	v_min_u32_e32 v12, 32, v12
	s_delay_alu instid0(VALU_DEP_1) | instskip(SKIP_1) | instid1(VALU_DEP_2)
	v_subrev_nc_u32_e32 v13, 28, v12
	v_sub_nc_u32_e32 v12, 29, v12
	v_lshlrev_b32_e32 v13, v13, v10
	v_bfe_u32 v10, v10, 3, 4
	s_delay_alu instid0(VALU_DEP_2) | instskip(NEXT) | instid1(VALU_DEP_2)
	v_and_b32_e32 v13, 7, v13
	v_cmp_eq_u32_e32 vcc_lo, 0, v10
	s_delay_alu instid0(VALU_DEP_2) | instskip(NEXT) | instid1(VALU_DEP_1)
	v_dual_cndmask_b32 v10, v10, v12 :: v_dual_cndmask_b32 v11, v11, v13
	v_lshl_add_u32 v10, v10, 23, 0x3b800000
	s_delay_alu instid0(VALU_DEP_2) | instskip(NEXT) | instid1(VALU_DEP_1)
	v_lshlrev_b32_e32 v11, 20, v11
	v_or3_b32 v10, v6, v10, v11
.LBB489_1574:
	s_or_b32 exec_lo, exec_lo, s10
	s_delay_alu instid0(VALU_DEP_1) | instskip(SKIP_1) | instid1(VALU_DEP_2)
	v_bfe_u32 v6, v10, 16, 1
	v_cmp_o_f32_e32 vcc_lo, v10, v10
	v_add3_u32 v6, v10, v6, 0x7fff
	s_delay_alu instid0(VALU_DEP_1) | instskip(NEXT) | instid1(VALU_DEP_1)
	v_lshrrev_b32_e32 v6, 16, v6
	v_cndmask_b32_e32 v6, 0x7fc0, v6, vcc_lo
.LBB489_1575:
	s_mov_b32 s7, -1
.LBB489_1576:
	s_mov_b32 s10, 0
.LBB489_1577:
	s_delay_alu instid0(SALU_CYCLE_1)
	s_and_b32 vcc_lo, exec_lo, s10
	s_cbranch_vccz .LBB489_1610
; %bb.1578:
	v_cmp_gt_i16_e64 s6, s1, 22
	s_delay_alu instid0(VALU_DEP_1)
	s_and_b32 vcc_lo, exec_lo, s6
	s_cbranch_vccz .LBB489_1588
; %bb.1579:
	v_cmp_lt_i16_e64 s6, s1, 24
	s_delay_alu instid0(VALU_DEP_1)
	s_and_b32 vcc_lo, exec_lo, s6
	s_cbranch_vccnz .LBB489_1591
; %bb.1580:
	v_cmp_gt_i16_e64 s6, s1, 24
	s_delay_alu instid0(VALU_DEP_1)
	s_and_b32 vcc_lo, exec_lo, s6
	s_cbranch_vccz .LBB489_1592
; %bb.1581:
	global_load_u8 v6, v[4:5], off
	s_mov_b32 s6, 0
	s_mov_b32 s10, exec_lo
                                        ; implicit-def: $sgpr7
	s_waitcnt vmcnt(0)
	v_cmpx_lt_i16_e32 0x7f, v6
	s_xor_b32 s10, exec_lo, s10
	s_cbranch_execz .LBB489_1604
; %bb.1582:
	s_mov_b32 s6, -1
	s_mov_b32 s11, exec_lo
                                        ; implicit-def: $sgpr7
	v_cmpx_eq_u16_e32 0x80, v6
; %bb.1583:
	s_mov_b32 s7, 0x7f800001
	s_xor_b32 s6, exec_lo, -1
; %bb.1584:
	s_or_b32 exec_lo, exec_lo, s11
	s_delay_alu instid0(SALU_CYCLE_1)
	s_and_b32 s6, s6, exec_lo
	s_or_saveexec_b32 s10, s10
	v_mov_b32_e32 v10, s7
	s_xor_b32 exec_lo, exec_lo, s10
	s_cbranch_execnz .LBB489_1605
.LBB489_1585:
	s_or_b32 exec_lo, exec_lo, s10
	s_and_saveexec_b32 s7, s6
	s_cbranch_execz .LBB489_1587
.LBB489_1586:
	v_and_b32_e32 v10, 0xffff, v6
	v_lshlrev_b32_e32 v6, 24, v6
	s_delay_alu instid0(VALU_DEP_2) | instskip(NEXT) | instid1(VALU_DEP_2)
	v_and_b32_e32 v11, 3, v10
	v_and_b32_e32 v6, 0x80000000, v6
	s_delay_alu instid0(VALU_DEP_2) | instskip(NEXT) | instid1(VALU_DEP_1)
	v_clz_i32_u32_e32 v12, v11
	v_min_u32_e32 v12, 32, v12
	s_delay_alu instid0(VALU_DEP_1) | instskip(SKIP_1) | instid1(VALU_DEP_2)
	v_subrev_nc_u32_e32 v13, 29, v12
	v_sub_nc_u32_e32 v12, 30, v12
	v_lshlrev_b32_e32 v13, v13, v10
	v_bfe_u32 v10, v10, 2, 5
	s_delay_alu instid0(VALU_DEP_2) | instskip(NEXT) | instid1(VALU_DEP_2)
	v_and_b32_e32 v13, 3, v13
	v_cmp_eq_u32_e32 vcc_lo, 0, v10
	s_delay_alu instid0(VALU_DEP_2) | instskip(NEXT) | instid1(VALU_DEP_1)
	v_dual_cndmask_b32 v10, v10, v12 :: v_dual_cndmask_b32 v11, v11, v13
	v_lshl_add_u32 v10, v10, 23, 0x37800000
	s_delay_alu instid0(VALU_DEP_2) | instskip(NEXT) | instid1(VALU_DEP_1)
	v_lshlrev_b32_e32 v11, 21, v11
	v_or3_b32 v10, v6, v10, v11
.LBB489_1587:
	s_or_b32 exec_lo, exec_lo, s7
	s_delay_alu instid0(VALU_DEP_1) | instskip(SKIP_2) | instid1(VALU_DEP_2)
	v_bfe_u32 v6, v10, 16, 1
	v_cmp_o_f32_e32 vcc_lo, v10, v10
	s_mov_b32 s6, 0
	v_add3_u32 v6, v10, v6, 0x7fff
	s_delay_alu instid0(VALU_DEP_1) | instskip(NEXT) | instid1(VALU_DEP_1)
	v_lshrrev_b32_e32 v6, 16, v6
	v_cndmask_b32_e32 v6, 0x7fc0, v6, vcc_lo
	s_branch .LBB489_1593
.LBB489_1588:
	s_mov_b32 s6, -1
                                        ; implicit-def: $vgpr6
	s_branch .LBB489_1599
.LBB489_1589:
	s_or_saveexec_b32 s11, s11
	v_mov_b32_e32 v10, s10
	s_xor_b32 exec_lo, exec_lo, s11
	s_cbranch_execz .LBB489_1572
.LBB489_1590:
	v_cmp_ne_u16_e32 vcc_lo, 0, v6
	v_mov_b32_e32 v10, 0
	s_and_not1_b32 s7, s7, exec_lo
	s_and_b32 s10, vcc_lo, exec_lo
	s_delay_alu instid0(SALU_CYCLE_1)
	s_or_b32 s7, s7, s10
	s_or_b32 exec_lo, exec_lo, s11
	s_and_saveexec_b32 s10, s7
	s_cbranch_execnz .LBB489_1573
	s_branch .LBB489_1574
.LBB489_1591:
	s_mov_b32 s6, -1
                                        ; implicit-def: $vgpr6
	s_branch .LBB489_1596
.LBB489_1592:
	s_mov_b32 s6, -1
                                        ; implicit-def: $vgpr6
.LBB489_1593:
	s_delay_alu instid0(SALU_CYCLE_1)
	s_and_b32 vcc_lo, exec_lo, s6
	s_cbranch_vccz .LBB489_1595
; %bb.1594:
	global_load_u8 v6, v[4:5], off
	s_waitcnt vmcnt(0)
	v_lshlrev_b32_e32 v6, 24, v6
	s_delay_alu instid0(VALU_DEP_1) | instskip(NEXT) | instid1(VALU_DEP_1)
	v_and_b32_e32 v10, 0x7f000000, v6
	v_clz_i32_u32_e32 v11, v10
	v_cmp_ne_u32_e32 vcc_lo, 0, v10
	v_add_nc_u32_e32 v13, 0x1000000, v10
	s_delay_alu instid0(VALU_DEP_3) | instskip(NEXT) | instid1(VALU_DEP_1)
	v_min_u32_e32 v11, 32, v11
	v_sub_nc_u32_e64 v11, v11, 4 clamp
	s_delay_alu instid0(VALU_DEP_1) | instskip(SKIP_1) | instid1(VALU_DEP_2)
	v_lshlrev_b32_e32 v12, v11, v10
	v_lshlrev_b32_e32 v11, 23, v11
	v_lshrrev_b32_e32 v12, 4, v12
	s_delay_alu instid0(VALU_DEP_1) | instskip(SKIP_1) | instid1(VALU_DEP_2)
	v_sub_nc_u32_e32 v11, v12, v11
	v_ashrrev_i32_e32 v12, 8, v13
	v_add_nc_u32_e32 v11, 0x3c000000, v11
	s_delay_alu instid0(VALU_DEP_1) | instskip(NEXT) | instid1(VALU_DEP_1)
	v_and_or_b32 v11, 0x7f800000, v12, v11
	v_cndmask_b32_e32 v10, 0, v11, vcc_lo
	s_delay_alu instid0(VALU_DEP_1) | instskip(SKIP_1) | instid1(VALU_DEP_2)
	v_and_or_b32 v6, 0x80000000, v6, v10
	v_bfe_u32 v10, v10, 16, 1
	v_cmp_o_f32_e32 vcc_lo, v6, v6
	s_delay_alu instid0(VALU_DEP_2) | instskip(NEXT) | instid1(VALU_DEP_1)
	v_add3_u32 v10, v6, v10, 0x7fff
	v_lshrrev_b32_e32 v10, 16, v10
	s_delay_alu instid0(VALU_DEP_1)
	v_cndmask_b32_e32 v6, 0x7fc0, v10, vcc_lo
.LBB489_1595:
	s_mov_b32 s6, 0
.LBB489_1596:
	s_delay_alu instid0(SALU_CYCLE_1)
	s_and_not1_b32 vcc_lo, exec_lo, s6
	s_cbranch_vccnz .LBB489_1598
; %bb.1597:
	global_load_u8 v6, v[4:5], off
	s_waitcnt vmcnt(0)
	v_lshlrev_b32_e32 v10, 25, v6
	v_lshlrev_b16 v6, 8, v6
	s_delay_alu instid0(VALU_DEP_2) | instskip(NEXT) | instid1(VALU_DEP_2)
	v_lshrrev_b32_e32 v11, 4, v10
	v_and_or_b32 v12, 0x7f00, v6, 0.5
	v_bfe_i32 v6, v6, 0, 16
	s_delay_alu instid0(VALU_DEP_3) | instskip(NEXT) | instid1(VALU_DEP_1)
	v_or_b32_e32 v11, 0x70000000, v11
	v_dual_add_f32 v12, -0.5, v12 :: v_dual_mul_f32 v11, 0x7800000, v11
	v_cmp_gt_u32_e32 vcc_lo, 0x8000000, v10
	s_delay_alu instid0(VALU_DEP_2) | instskip(NEXT) | instid1(VALU_DEP_1)
	v_cndmask_b32_e32 v10, v11, v12, vcc_lo
	v_and_or_b32 v6, 0x80000000, v6, v10
	v_bfe_u32 v10, v10, 16, 1
	s_delay_alu instid0(VALU_DEP_2) | instskip(NEXT) | instid1(VALU_DEP_2)
	v_cmp_o_f32_e32 vcc_lo, v6, v6
	v_add3_u32 v10, v6, v10, 0x7fff
	s_delay_alu instid0(VALU_DEP_1) | instskip(NEXT) | instid1(VALU_DEP_1)
	v_lshrrev_b32_e32 v10, 16, v10
	v_cndmask_b32_e32 v6, 0x7fc0, v10, vcc_lo
.LBB489_1598:
	s_mov_b32 s6, 0
	s_mov_b32 s7, -1
.LBB489_1599:
	s_and_not1_b32 vcc_lo, exec_lo, s6
	s_mov_b32 s6, 0
	s_cbranch_vccnz .LBB489_1610
; %bb.1600:
	v_cmp_gt_i16_e64 s6, s1, 14
	s_delay_alu instid0(VALU_DEP_1)
	s_and_b32 vcc_lo, exec_lo, s6
	s_cbranch_vccz .LBB489_1603
; %bb.1601:
	v_cmp_eq_u16_e64 s3, s1, 15
	s_delay_alu instid0(VALU_DEP_1)
	s_and_b32 vcc_lo, exec_lo, s3
	s_cbranch_vccz .LBB489_1606
; %bb.1602:
	global_load_u16 v6, v[4:5], off
	s_mov_b32 s3, 0
	s_mov_b32 s7, -1
	s_branch .LBB489_1607
.LBB489_1603:
	s_mov_b32 s6, -1
                                        ; implicit-def: $vgpr6
	s_branch .LBB489_1608
.LBB489_1604:
	s_or_saveexec_b32 s10, s10
	v_mov_b32_e32 v10, s7
	s_xor_b32 exec_lo, exec_lo, s10
	s_cbranch_execz .LBB489_1585
.LBB489_1605:
	v_cmp_ne_u16_e32 vcc_lo, 0, v6
	v_mov_b32_e32 v10, 0
	s_and_not1_b32 s6, s6, exec_lo
	s_and_b32 s7, vcc_lo, exec_lo
	s_delay_alu instid0(SALU_CYCLE_1)
	s_or_b32 s6, s6, s7
	s_or_b32 exec_lo, exec_lo, s10
	s_and_saveexec_b32 s7, s6
	s_cbranch_execnz .LBB489_1586
	s_branch .LBB489_1587
.LBB489_1606:
	s_mov_b32 s3, -1
                                        ; implicit-def: $vgpr6
.LBB489_1607:
	s_mov_b32 s6, 0
.LBB489_1608:
	s_delay_alu instid0(SALU_CYCLE_1)
	s_and_b32 vcc_lo, exec_lo, s6
	s_mov_b32 s6, 0
	s_cbranch_vccz .LBB489_1610
; %bb.1609:
	v_cmp_ne_u16_e64 s3, s1, 11
	s_mov_b32 s6, -1
                                        ; implicit-def: $vgpr6
.LBB489_1610:
	s_delay_alu instid0(VALU_DEP_1)
	s_and_b32 vcc_lo, exec_lo, s3
	s_cbranch_vccnz .LBB489_2139
; %bb.1611:
	s_and_not1_b32 vcc_lo, exec_lo, s6
	s_cbranch_vccnz .LBB489_1613
.LBB489_1612:
	global_load_u8 v6, v[4:5], off
	s_mov_b32 s7, -1
	s_waitcnt vmcnt(0)
	v_cmp_ne_u16_e32 vcc_lo, 0, v6
	v_cndmask_b32_e64 v6, 0, 1.0, vcc_lo
	s_delay_alu instid0(VALU_DEP_1)
	v_lshrrev_b32_e32 v6, 16, v6
.LBB489_1613:
	s_mov_b32 s3, 0
.LBB489_1614:
	s_delay_alu instid0(SALU_CYCLE_1)
	s_and_b32 vcc_lo, exec_lo, s3
	s_cbranch_vccz .LBB489_1663
; %bb.1615:
	v_cmp_lt_i16_e64 s3, s1, 5
	s_delay_alu instid0(VALU_DEP_1)
	s_and_b32 vcc_lo, exec_lo, s3
	s_cbranch_vccnz .LBB489_1620
; %bb.1616:
	v_cmp_lt_i16_e64 s3, s1, 8
	s_delay_alu instid0(VALU_DEP_1)
	s_and_b32 vcc_lo, exec_lo, s3
	s_cbranch_vccnz .LBB489_1621
	;; [unrolled: 5-line block ×3, first 2 shown]
; %bb.1618:
	v_cmp_gt_i16_e64 s3, s1, 9
	s_delay_alu instid0(VALU_DEP_1)
	s_and_b32 vcc_lo, exec_lo, s3
	s_cbranch_vccz .LBB489_1623
; %bb.1619:
	global_load_b64 v[10:11], v[4:5], off
	s_mov_b32 s3, 0
	s_waitcnt vmcnt(0)
	v_cvt_f32_f64_e32 v6, v[10:11]
	s_delay_alu instid0(VALU_DEP_1) | instskip(SKIP_1) | instid1(VALU_DEP_2)
	v_bfe_u32 v10, v6, 16, 1
	v_cmp_o_f32_e32 vcc_lo, v6, v6
	v_add3_u32 v10, v6, v10, 0x7fff
	s_delay_alu instid0(VALU_DEP_1) | instskip(NEXT) | instid1(VALU_DEP_1)
	v_lshrrev_b32_e32 v10, 16, v10
	v_cndmask_b32_e32 v6, 0x7fc0, v10, vcc_lo
	s_branch .LBB489_1624
.LBB489_1620:
	s_mov_b32 s3, -1
                                        ; implicit-def: $vgpr6
	s_branch .LBB489_1642
.LBB489_1621:
	s_mov_b32 s3, -1
                                        ; implicit-def: $vgpr6
	s_branch .LBB489_1630
.LBB489_1622:
	s_mov_b32 s3, -1
                                        ; implicit-def: $vgpr6
	s_branch .LBB489_1627
.LBB489_1623:
	s_mov_b32 s3, -1
                                        ; implicit-def: $vgpr6
.LBB489_1624:
	s_delay_alu instid0(SALU_CYCLE_1)
	s_and_not1_b32 vcc_lo, exec_lo, s3
	s_cbranch_vccnz .LBB489_1626
; %bb.1625:
	global_load_b32 v6, v[4:5], off
	s_waitcnt vmcnt(0)
	v_bfe_u32 v10, v6, 16, 1
	v_cmp_o_f32_e32 vcc_lo, v6, v6
	s_delay_alu instid0(VALU_DEP_2) | instskip(NEXT) | instid1(VALU_DEP_1)
	v_add3_u32 v10, v6, v10, 0x7fff
	v_lshrrev_b32_e32 v10, 16, v10
	s_delay_alu instid0(VALU_DEP_1)
	v_cndmask_b32_e32 v6, 0x7fc0, v10, vcc_lo
.LBB489_1626:
	s_mov_b32 s3, 0
.LBB489_1627:
	s_delay_alu instid0(SALU_CYCLE_1)
	s_and_not1_b32 vcc_lo, exec_lo, s3
	s_cbranch_vccnz .LBB489_1629
; %bb.1628:
	global_load_b32 v6, v[4:5], off
	s_waitcnt vmcnt(0)
	v_cvt_f32_f16_e32 v10, v6
	v_cmp_o_f16_e32 vcc_lo, v6, v6
	s_delay_alu instid0(VALU_DEP_2) | instskip(NEXT) | instid1(VALU_DEP_1)
	v_bfe_u32 v11, v10, 16, 1
	v_add3_u32 v10, v10, v11, 0x7fff
	s_delay_alu instid0(VALU_DEP_1) | instskip(NEXT) | instid1(VALU_DEP_1)
	v_lshrrev_b32_e32 v10, 16, v10
	v_cndmask_b32_e32 v6, 0x7fc0, v10, vcc_lo
.LBB489_1629:
	s_mov_b32 s3, 0
.LBB489_1630:
	s_delay_alu instid0(SALU_CYCLE_1)
	s_and_not1_b32 vcc_lo, exec_lo, s3
	s_cbranch_vccnz .LBB489_1641
; %bb.1631:
	v_cmp_lt_i16_e64 s3, s1, 6
	s_delay_alu instid0(VALU_DEP_1)
	s_and_b32 vcc_lo, exec_lo, s3
	s_cbranch_vccnz .LBB489_1634
; %bb.1632:
	v_cmp_gt_i16_e64 s3, s1, 6
	s_delay_alu instid0(VALU_DEP_1)
	s_and_b32 vcc_lo, exec_lo, s3
	s_cbranch_vccz .LBB489_1635
; %bb.1633:
	global_load_b64 v[10:11], v[4:5], off
	s_mov_b32 s3, 0
	s_waitcnt vmcnt(0)
	v_cvt_f32_f64_e32 v6, v[10:11]
	s_delay_alu instid0(VALU_DEP_1) | instskip(SKIP_1) | instid1(VALU_DEP_2)
	v_bfe_u32 v10, v6, 16, 1
	v_cmp_o_f32_e32 vcc_lo, v6, v6
	v_add3_u32 v10, v6, v10, 0x7fff
	s_delay_alu instid0(VALU_DEP_1) | instskip(NEXT) | instid1(VALU_DEP_1)
	v_lshrrev_b32_e32 v10, 16, v10
	v_cndmask_b32_e32 v6, 0x7fc0, v10, vcc_lo
	s_branch .LBB489_1636
.LBB489_1634:
	s_mov_b32 s3, -1
                                        ; implicit-def: $vgpr6
	s_branch .LBB489_1639
.LBB489_1635:
	s_mov_b32 s3, -1
                                        ; implicit-def: $vgpr6
.LBB489_1636:
	s_delay_alu instid0(SALU_CYCLE_1)
	s_and_not1_b32 vcc_lo, exec_lo, s3
	s_cbranch_vccnz .LBB489_1638
; %bb.1637:
	global_load_b32 v6, v[4:5], off
	s_waitcnt vmcnt(0)
	v_bfe_u32 v10, v6, 16, 1
	v_cmp_o_f32_e32 vcc_lo, v6, v6
	s_delay_alu instid0(VALU_DEP_2) | instskip(NEXT) | instid1(VALU_DEP_1)
	v_add3_u32 v10, v6, v10, 0x7fff
	v_lshrrev_b32_e32 v10, 16, v10
	s_delay_alu instid0(VALU_DEP_1)
	v_cndmask_b32_e32 v6, 0x7fc0, v10, vcc_lo
.LBB489_1638:
	s_mov_b32 s3, 0
.LBB489_1639:
	s_delay_alu instid0(SALU_CYCLE_1)
	s_and_not1_b32 vcc_lo, exec_lo, s3
	s_cbranch_vccnz .LBB489_1641
; %bb.1640:
	global_load_u16 v6, v[4:5], off
	s_waitcnt vmcnt(0)
	v_cvt_f32_f16_e32 v10, v6
	v_cmp_o_f16_e32 vcc_lo, v6, v6
	s_delay_alu instid0(VALU_DEP_2) | instskip(NEXT) | instid1(VALU_DEP_1)
	v_bfe_u32 v11, v10, 16, 1
	v_add3_u32 v10, v10, v11, 0x7fff
	s_delay_alu instid0(VALU_DEP_1) | instskip(NEXT) | instid1(VALU_DEP_1)
	v_lshrrev_b32_e32 v10, 16, v10
	v_cndmask_b32_e32 v6, 0x7fc0, v10, vcc_lo
.LBB489_1641:
	s_mov_b32 s3, 0
.LBB489_1642:
	s_delay_alu instid0(SALU_CYCLE_1)
	s_and_not1_b32 vcc_lo, exec_lo, s3
	s_cbranch_vccnz .LBB489_1662
; %bb.1643:
	v_cmp_lt_i16_e64 s3, s1, 2
	s_delay_alu instid0(VALU_DEP_1)
	s_and_b32 vcc_lo, exec_lo, s3
	s_cbranch_vccnz .LBB489_1647
; %bb.1644:
	v_cmp_lt_i16_e64 s3, s1, 3
	s_delay_alu instid0(VALU_DEP_1)
	s_and_b32 vcc_lo, exec_lo, s3
	s_cbranch_vccnz .LBB489_1648
; %bb.1645:
	v_cmp_gt_i16_e64 s3, s1, 3
	s_delay_alu instid0(VALU_DEP_1)
	s_and_b32 vcc_lo, exec_lo, s3
	s_cbranch_vccz .LBB489_1649
; %bb.1646:
	global_load_b64 v[10:11], v[4:5], off
	s_mov_b32 s3, 0
	s_waitcnt vmcnt(0)
	v_xor_b32_e32 v6, v10, v11
	v_cls_i32_e32 v12, v11
	s_delay_alu instid0(VALU_DEP_2) | instskip(NEXT) | instid1(VALU_DEP_2)
	v_ashrrev_i32_e32 v6, 31, v6
	v_add_nc_u32_e32 v12, -1, v12
	s_delay_alu instid0(VALU_DEP_2) | instskip(NEXT) | instid1(VALU_DEP_1)
	v_add_nc_u32_e32 v6, 32, v6
	v_min_u32_e32 v6, v12, v6
	s_delay_alu instid0(VALU_DEP_1) | instskip(SKIP_1) | instid1(VALU_DEP_2)
	v_lshlrev_b64 v[10:11], v6, v[10:11]
	v_sub_nc_u32_e32 v6, 32, v6
	v_min_u32_e32 v10, 1, v10
	s_delay_alu instid0(VALU_DEP_1) | instskip(NEXT) | instid1(VALU_DEP_1)
	v_or_b32_e32 v10, v11, v10
	v_cvt_f32_i32_e32 v10, v10
	s_delay_alu instid0(VALU_DEP_1) | instskip(NEXT) | instid1(VALU_DEP_1)
	v_ldexp_f32 v6, v10, v6
	v_bfe_u32 v10, v6, 16, 1
	s_delay_alu instid0(VALU_DEP_1) | instskip(NEXT) | instid1(VALU_DEP_1)
	v_add3_u32 v6, v6, v10, 0x7fff
	v_lshrrev_b32_e32 v6, 16, v6
	s_branch .LBB489_1650
.LBB489_1647:
	s_mov_b32 s3, -1
                                        ; implicit-def: $vgpr6
	s_branch .LBB489_1656
.LBB489_1648:
	s_mov_b32 s3, -1
                                        ; implicit-def: $vgpr6
	s_branch .LBB489_1653
.LBB489_1649:
	s_mov_b32 s3, -1
                                        ; implicit-def: $vgpr6
.LBB489_1650:
	s_delay_alu instid0(SALU_CYCLE_1)
	s_and_not1_b32 vcc_lo, exec_lo, s3
	s_cbranch_vccnz .LBB489_1652
; %bb.1651:
	global_load_b32 v6, v[4:5], off
	s_waitcnt vmcnt(0)
	v_cvt_f32_i32_e32 v6, v6
	s_delay_alu instid0(VALU_DEP_1) | instskip(NEXT) | instid1(VALU_DEP_1)
	v_bfe_u32 v10, v6, 16, 1
	v_add3_u32 v6, v6, v10, 0x7fff
	s_delay_alu instid0(VALU_DEP_1)
	v_lshrrev_b32_e32 v6, 16, v6
.LBB489_1652:
	s_mov_b32 s3, 0
.LBB489_1653:
	s_delay_alu instid0(SALU_CYCLE_1)
	s_and_not1_b32 vcc_lo, exec_lo, s3
	s_cbranch_vccnz .LBB489_1655
; %bb.1654:
	global_load_i16 v6, v[4:5], off
	s_waitcnt vmcnt(0)
	v_cvt_f32_i32_e32 v6, v6
	s_delay_alu instid0(VALU_DEP_1) | instskip(NEXT) | instid1(VALU_DEP_1)
	v_bfe_u32 v10, v6, 16, 1
	v_add3_u32 v6, v6, v10, 0x7fff
	s_delay_alu instid0(VALU_DEP_1)
	v_lshrrev_b32_e32 v6, 16, v6
.LBB489_1655:
	s_mov_b32 s3, 0
.LBB489_1656:
	s_delay_alu instid0(SALU_CYCLE_1)
	s_and_not1_b32 vcc_lo, exec_lo, s3
	s_cbranch_vccnz .LBB489_1662
; %bb.1657:
	v_cmp_gt_i16_e64 s1, s1, 0
	s_delay_alu instid0(VALU_DEP_1)
	s_and_b32 vcc_lo, exec_lo, s1
	s_mov_b32 s1, 0
	s_cbranch_vccz .LBB489_1659
; %bb.1658:
	global_load_i8 v6, v[4:5], off
	s_waitcnt vmcnt(0)
	v_cvt_f32_i32_e32 v6, v6
	s_delay_alu instid0(VALU_DEP_1) | instskip(NEXT) | instid1(VALU_DEP_1)
	v_bfe_u32 v10, v6, 16, 1
	v_add3_u32 v6, v6, v10, 0x7fff
	s_delay_alu instid0(VALU_DEP_1)
	v_lshrrev_b32_e32 v6, 16, v6
	s_branch .LBB489_1660
.LBB489_1659:
	s_mov_b32 s1, -1
                                        ; implicit-def: $vgpr6
.LBB489_1660:
	s_delay_alu instid0(SALU_CYCLE_1)
	s_and_not1_b32 vcc_lo, exec_lo, s1
	s_cbranch_vccnz .LBB489_1662
; %bb.1661:
	global_load_u8 v4, v[4:5], off
	s_waitcnt vmcnt(0)
	v_cvt_f32_ubyte0_e32 v4, v4
	s_delay_alu instid0(VALU_DEP_1) | instskip(NEXT) | instid1(VALU_DEP_1)
	v_bfe_u32 v5, v4, 16, 1
	v_add3_u32 v4, v4, v5, 0x7fff
	s_delay_alu instid0(VALU_DEP_1)
	v_lshrrev_b32_e32 v6, 16, v4
.LBB489_1662:
	s_mov_b32 s7, -1
.LBB489_1663:
	s_delay_alu instid0(SALU_CYCLE_1)
	s_and_not1_b32 vcc_lo, exec_lo, s7
	s_cbranch_vccnz .LBB489_2094
; %bb.1664:
	s_load_b32 s6, s[16:17], 0x158
	v_lshlrev_b32_e32 v4, 16, v9
	s_lshr_b32 s0, s0, 16
	v_add_co_u32 v3, s10, s4, v3
	v_and_b32_e64 v5, 0xff, s0
	s_delay_alu instid0(VALU_DEP_3) | instskip(SKIP_1) | instid1(VALU_DEP_2)
	v_cmp_u_f32_e32 vcc_lo, v4, v4
	s_mov_b32 s7, 0
	v_cmp_gt_i16_e64 s0, 11, v5
	s_waitcnt lgkmcnt(0)
	s_lshl_b32 s3, s6, 16
	s_delay_alu instid0(SALU_CYCLE_1) | instskip(SKIP_1) | instid1(VALU_DEP_2)
	v_cmp_gt_f32_e64 s1, s3, v4
	v_add_co_ci_u32_e64 v4, null, s5, 0, s10
	s_or_b32 vcc_lo, vcc_lo, s1
	v_cndmask_b32_e32 v9, s6, v9, vcc_lo
	s_and_b32 vcc_lo, exec_lo, s0
	s_mov_b32 s0, -1
	s_cbranch_vccnz .LBB489_1742
; %bb.1665:
	v_cmp_lt_i16_e32 vcc_lo, 25, v5
	s_mov_b32 s10, -1
	s_mov_b32 s1, 0
	s_mov_b32 s0, 0
	s_cbranch_vccz .LBB489_1698
; %bb.1666:
	v_cmp_lt_i16_e32 vcc_lo, 28, v5
	s_cbranch_vccz .LBB489_1681
; %bb.1667:
	v_cmp_lt_i16_e32 vcc_lo, 43, v5
	;; [unrolled: 3-line block ×3, first 2 shown]
	s_cbranch_vccz .LBB489_1671
; %bb.1669:
	v_cmp_eq_u16_e32 vcc_lo, 46, v5
	s_mov_b32 s0, -1
	s_mov_b32 s10, 0
	s_cbranch_vccz .LBB489_1671
; %bb.1670:
	v_and_b32_e32 v10, 0xffff, v9
	s_mov_b32 s0, 0
	s_mov_b32 s7, -1
	global_store_b32 v[3:4], v10, off
.LBB489_1671:
	s_and_b32 vcc_lo, exec_lo, s10
	s_cbranch_vccz .LBB489_1676
; %bb.1672:
	v_cmp_eq_u16_e32 vcc_lo, 44, v5
	s_mov_b32 s0, -1
	s_cbranch_vccz .LBB489_1676
; %bb.1673:
	v_and_b32_e32 v10, 0xffff, v9
	v_mov_b32_e32 v11, 0xff
	s_mov_b32 s7, exec_lo
	s_delay_alu instid0(VALU_DEP_2) | instskip(NEXT) | instid1(VALU_DEP_1)
	v_bfe_u32 v12, v10, 7, 8
	v_cmpx_ne_u32_e32 0xff, v12
; %bb.1674:
	v_lshlrev_b32_e32 v11, 16, v10
	v_and_b32_e32 v13, 64, v10
	v_lshrrev_b32_e32 v10, 7, v10
	s_delay_alu instid0(VALU_DEP_3) | instskip(NEXT) | instid1(VALU_DEP_3)
	v_and_or_b32 v11, 0x3f0000, v11, v12
	v_cmp_ne_u32_e32 vcc_lo, 0, v13
	s_delay_alu instid0(VALU_DEP_2) | instskip(NEXT) | instid1(VALU_DEP_1)
	v_cmp_ne_u32_e64 s0, 0, v11
	s_and_b32 s0, vcc_lo, s0
	s_delay_alu instid0(SALU_CYCLE_1) | instskip(NEXT) | instid1(VALU_DEP_1)
	v_cndmask_b32_e64 v11, 0, 1, s0
	v_add_nc_u32_e32 v11, v10, v11
; %bb.1675:
	s_or_b32 exec_lo, exec_lo, s7
	s_mov_b32 s0, 0
	s_mov_b32 s7, -1
	global_store_b8 v[3:4], v11, off
.LBB489_1676:
	s_mov_b32 s10, 0
.LBB489_1677:
	s_delay_alu instid0(SALU_CYCLE_1)
	s_and_b32 vcc_lo, exec_lo, s10
	s_cbranch_vccz .LBB489_1680
; %bb.1678:
	v_cmp_eq_u16_e32 vcc_lo, 29, v5
	s_mov_b32 s0, -1
	s_cbranch_vccz .LBB489_1680
; %bb.1679:
	v_lshlrev_b32_e32 v10, 16, v9
	s_mov_b32 s0, 0
	s_mov_b32 s7, -1
	s_delay_alu instid0(VALU_DEP_1) | instskip(NEXT) | instid1(VALU_DEP_1)
	v_trunc_f32_e32 v10, v10
	v_mul_f32_e32 v11, 0x2f800000, v10
	s_delay_alu instid0(VALU_DEP_1) | instskip(NEXT) | instid1(VALU_DEP_1)
	v_floor_f32_e32 v11, v11
	v_fmamk_f32 v10, v11, 0xcf800000, v10
	v_cvt_u32_f32_e32 v11, v11
	s_delay_alu instid0(VALU_DEP_2)
	v_cvt_u32_f32_e32 v10, v10
	global_store_b64 v[3:4], v[10:11], off
.LBB489_1680:
	s_mov_b32 s10, 0
.LBB489_1681:
	s_delay_alu instid0(SALU_CYCLE_1)
	s_and_b32 vcc_lo, exec_lo, s10
	s_cbranch_vccz .LBB489_1697
; %bb.1682:
	v_cmp_gt_i16_e32 vcc_lo, 27, v5
	s_mov_b32 s7, -1
	s_cbranch_vccnz .LBB489_1688
; %bb.1683:
	v_cmp_lt_i16_e32 vcc_lo, 27, v5
	s_cbranch_vccz .LBB489_1685
; %bb.1684:
	v_lshlrev_b32_e32 v10, 16, v9
	s_mov_b32 s7, 0
	s_delay_alu instid0(VALU_DEP_1)
	v_cvt_u32_f32_e32 v10, v10
	global_store_b32 v[3:4], v10, off
.LBB489_1685:
	s_and_not1_b32 vcc_lo, exec_lo, s7
	s_cbranch_vccnz .LBB489_1687
; %bb.1686:
	v_lshlrev_b32_e32 v10, 16, v9
	s_delay_alu instid0(VALU_DEP_1)
	v_cvt_u32_f32_e32 v10, v10
	global_store_b16 v[3:4], v10, off
.LBB489_1687:
	s_mov_b32 s7, 0
.LBB489_1688:
	s_delay_alu instid0(SALU_CYCLE_1)
	s_and_not1_b32 vcc_lo, exec_lo, s7
	s_cbranch_vccnz .LBB489_1696
; %bb.1689:
	v_dual_mov_b32 v13, 0x80 :: v_dual_lshlrev_b32 v12, 16, v9
	s_mov_b32 s7, exec_lo
	s_delay_alu instid0(VALU_DEP_1) | instskip(NEXT) | instid1(VALU_DEP_1)
	v_and_b32_e32 v11, 0x7fffffff, v12
	v_cmpx_gt_u32_e32 0x43800000, v11
	s_cbranch_execz .LBB489_1695
; %bb.1690:
	v_and_b32_e32 v10, 0xffff, v9
	v_cmp_lt_u32_e32 vcc_lo, 0x3bffffff, v11
	s_mov_b32 s10, 0
                                        ; implicit-def: $vgpr11
	s_and_saveexec_b32 s11, vcc_lo
	s_delay_alu instid0(SALU_CYCLE_1)
	s_xor_b32 s11, exec_lo, s11
	s_cbranch_execz .LBB489_2141
; %bb.1691:
	v_bfe_u32 v11, v10, 4, 1
	s_mov_b32 s10, exec_lo
	s_delay_alu instid0(VALU_DEP_1) | instskip(NEXT) | instid1(VALU_DEP_1)
	v_add3_u32 v11, v12, v11, 0x487ffff
                                        ; implicit-def: $vgpr12
	v_lshrrev_b32_e32 v11, 20, v11
	s_or_saveexec_b32 s11, s11
                                        ; implicit-def: $sgpr12
	s_delay_alu instid0(SALU_CYCLE_1)
	s_xor_b32 exec_lo, exec_lo, s11
	s_cbranch_execnz .LBB489_2142
.LBB489_1692:
	s_or_b32 exec_lo, exec_lo, s11
	v_mov_b32_e32 v13, s12
	s_and_saveexec_b32 s11, s10
.LBB489_1693:
	v_lshrrev_b32_e32 v10, 8, v10
	s_delay_alu instid0(VALU_DEP_1)
	v_and_or_b32 v13, 0x80, v10, v11
.LBB489_1694:
	s_or_b32 exec_lo, exec_lo, s11
.LBB489_1695:
	s_delay_alu instid0(SALU_CYCLE_1)
	s_or_b32 exec_lo, exec_lo, s7
	global_store_b8 v[3:4], v13, off
.LBB489_1696:
	s_mov_b32 s7, -1
.LBB489_1697:
	s_mov_b32 s10, 0
.LBB489_1698:
	s_delay_alu instid0(SALU_CYCLE_1)
	s_and_b32 vcc_lo, exec_lo, s10
	s_cbranch_vccz .LBB489_1738
; %bb.1699:
	v_cmp_lt_i16_e32 vcc_lo, 22, v5
	s_mov_b32 s1, -1
	s_cbranch_vccz .LBB489_1731
; %bb.1700:
	v_cmp_gt_i16_e32 vcc_lo, 24, v5
	s_cbranch_vccnz .LBB489_1720
; %bb.1701:
	v_cmp_lt_i16_e32 vcc_lo, 24, v5
	s_cbranch_vccz .LBB489_1709
; %bb.1702:
	v_dual_mov_b32 v13, 0x80 :: v_dual_lshlrev_b32 v12, 16, v9
	s_mov_b32 s1, exec_lo
	s_delay_alu instid0(VALU_DEP_1) | instskip(NEXT) | instid1(VALU_DEP_1)
	v_and_b32_e32 v11, 0x7fffffff, v12
	v_cmpx_gt_u32_e32 0x47800000, v11
	s_cbranch_execz .LBB489_1708
; %bb.1703:
	v_and_b32_e32 v10, 0xffff, v9
	v_cmp_lt_u32_e32 vcc_lo, 0x37ffffff, v11
	s_mov_b32 s7, 0
                                        ; implicit-def: $vgpr11
	s_and_saveexec_b32 s10, vcc_lo
	s_delay_alu instid0(SALU_CYCLE_1)
	s_xor_b32 s10, exec_lo, s10
	s_cbranch_execz .LBB489_2147
; %bb.1704:
	v_bfe_u32 v11, v10, 5, 1
	s_mov_b32 s7, exec_lo
	s_delay_alu instid0(VALU_DEP_1) | instskip(NEXT) | instid1(VALU_DEP_1)
	v_add3_u32 v11, v12, v11, 0x88fffff
                                        ; implicit-def: $vgpr12
	v_lshrrev_b32_e32 v11, 21, v11
	s_or_saveexec_b32 s10, s10
                                        ; implicit-def: $sgpr11
	s_delay_alu instid0(SALU_CYCLE_1)
	s_xor_b32 exec_lo, exec_lo, s10
	s_cbranch_execnz .LBB489_2148
.LBB489_1705:
	s_or_b32 exec_lo, exec_lo, s10
	v_mov_b32_e32 v13, s11
	s_and_saveexec_b32 s10, s7
.LBB489_1706:
	v_lshrrev_b32_e32 v10, 8, v10
	s_delay_alu instid0(VALU_DEP_1)
	v_and_or_b32 v13, 0x80, v10, v11
.LBB489_1707:
	s_or_b32 exec_lo, exec_lo, s10
.LBB489_1708:
	s_delay_alu instid0(SALU_CYCLE_1)
	s_or_b32 exec_lo, exec_lo, s1
	s_mov_b32 s1, 0
	global_store_b8 v[3:4], v13, off
.LBB489_1709:
	s_and_b32 vcc_lo, exec_lo, s1
	s_cbranch_vccz .LBB489_1719
; %bb.1710:
	v_lshlrev_b32_e32 v12, 16, v9
	v_and_b32_e32 v10, 0xffff, v9
	s_mov_b32 s1, exec_lo
                                        ; implicit-def: $vgpr11
	s_delay_alu instid0(VALU_DEP_2) | instskip(NEXT) | instid1(VALU_DEP_1)
	v_and_b32_e32 v13, 0x7fffffff, v12
	v_cmpx_gt_u32_e32 0x43f00000, v13
	s_xor_b32 s1, exec_lo, s1
	s_cbranch_execz .LBB489_1716
; %bb.1711:
	s_mov_b32 s7, exec_lo
                                        ; implicit-def: $vgpr11
	v_cmpx_lt_u32_e32 0x3c7fffff, v13
	s_xor_b32 s7, exec_lo, s7
; %bb.1712:
	v_bfe_u32 v11, v10, 4, 1
	s_delay_alu instid0(VALU_DEP_1) | instskip(NEXT) | instid1(VALU_DEP_1)
	v_add3_u32 v11, v12, v11, 0x407ffff
	v_and_b32_e32 v12, 0xff00000, v11
	v_lshrrev_b32_e32 v11, 20, v11
	s_delay_alu instid0(VALU_DEP_2) | instskip(NEXT) | instid1(VALU_DEP_2)
	v_cmp_ne_u32_e32 vcc_lo, 0x7f00000, v12
                                        ; implicit-def: $vgpr12
	v_cndmask_b32_e32 v11, 0x7e, v11, vcc_lo
; %bb.1713:
	s_and_not1_saveexec_b32 s7, s7
; %bb.1714:
	v_add_f32_e64 v11, 0x46800000, |v12|
; %bb.1715:
	s_or_b32 exec_lo, exec_lo, s7
                                        ; implicit-def: $vgpr13
.LBB489_1716:
	s_and_not1_saveexec_b32 s1, s1
; %bb.1717:
	v_mov_b32_e32 v11, 0x7f
	v_cmp_lt_u32_e32 vcc_lo, 0x7f800000, v13
	s_delay_alu instid0(VALU_DEP_2)
	v_cndmask_b32_e32 v11, 0x7e, v11, vcc_lo
; %bb.1718:
	s_or_b32 exec_lo, exec_lo, s1
	v_lshrrev_b32_e32 v10, 8, v10
	s_delay_alu instid0(VALU_DEP_1)
	v_and_or_b32 v10, 0x80, v10, v11
	global_store_b8 v[3:4], v10, off
.LBB489_1719:
	s_mov_b32 s1, 0
.LBB489_1720:
	s_delay_alu instid0(SALU_CYCLE_1)
	s_and_not1_b32 vcc_lo, exec_lo, s1
	s_cbranch_vccnz .LBB489_1730
; %bb.1721:
	v_lshlrev_b32_e32 v12, 16, v9
	v_and_b32_e32 v10, 0xffff, v9
	s_mov_b32 s1, exec_lo
                                        ; implicit-def: $vgpr11
	s_delay_alu instid0(VALU_DEP_2) | instskip(NEXT) | instid1(VALU_DEP_1)
	v_and_b32_e32 v13, 0x7fffffff, v12
	v_cmpx_gt_u32_e32 0x47800000, v13
	s_xor_b32 s1, exec_lo, s1
	s_cbranch_execz .LBB489_1727
; %bb.1722:
	s_mov_b32 s7, exec_lo
                                        ; implicit-def: $vgpr11
	v_cmpx_lt_u32_e32 0x387fffff, v13
	s_xor_b32 s7, exec_lo, s7
; %bb.1723:
	v_bfe_u32 v11, v10, 5, 1
	s_delay_alu instid0(VALU_DEP_1) | instskip(NEXT) | instid1(VALU_DEP_1)
	v_add3_u32 v11, v12, v11, 0x80fffff
                                        ; implicit-def: $vgpr12
	v_lshrrev_b32_e32 v11, 21, v11
; %bb.1724:
	s_and_not1_saveexec_b32 s7, s7
; %bb.1725:
	v_add_f32_e64 v11, 0x43000000, |v12|
; %bb.1726:
	s_or_b32 exec_lo, exec_lo, s7
                                        ; implicit-def: $vgpr13
.LBB489_1727:
	s_and_not1_saveexec_b32 s1, s1
; %bb.1728:
	v_mov_b32_e32 v11, 0x7f
	v_cmp_lt_u32_e32 vcc_lo, 0x7f800000, v13
	s_delay_alu instid0(VALU_DEP_2)
	v_cndmask_b32_e32 v11, 0x7c, v11, vcc_lo
; %bb.1729:
	s_or_b32 exec_lo, exec_lo, s1
	v_lshrrev_b32_e32 v10, 8, v10
	s_delay_alu instid0(VALU_DEP_1)
	v_and_or_b32 v10, 0x80, v10, v11
	global_store_b8 v[3:4], v10, off
.LBB489_1730:
	s_mov_b32 s1, 0
	s_mov_b32 s7, -1
.LBB489_1731:
	s_and_not1_b32 vcc_lo, exec_lo, s1
	s_mov_b32 s1, 0
	s_cbranch_vccnz .LBB489_1738
; %bb.1732:
	v_cmp_lt_i16_e32 vcc_lo, 14, v5
	s_mov_b32 s1, -1
	s_cbranch_vccz .LBB489_1736
; %bb.1733:
	v_cmp_eq_u16_e32 vcc_lo, 15, v5
	s_mov_b32 s0, -1
	s_cbranch_vccz .LBB489_1735
; %bb.1734:
	s_mov_b32 s0, 0
	s_mov_b32 s7, -1
	global_store_b16 v[3:4], v9, off
.LBB489_1735:
	s_mov_b32 s1, 0
.LBB489_1736:
	s_delay_alu instid0(SALU_CYCLE_1)
	s_and_b32 vcc_lo, exec_lo, s1
	s_mov_b32 s1, 0
	s_cbranch_vccz .LBB489_1738
; %bb.1737:
	v_cmp_ne_u16_e64 s0, 11, v5
	s_mov_b32 s1, -1
.LBB489_1738:
	s_delay_alu instid0(VALU_DEP_1)
	s_and_b32 vcc_lo, exec_lo, s0
	s_cbranch_vccnz .LBB489_2145
; %bb.1739:
	s_and_not1_b32 vcc_lo, exec_lo, s1
	s_cbranch_vccnz .LBB489_1741
.LBB489_1740:
	v_and_b32_e32 v10, 0x7fff, v9
	s_mov_b32 s7, -1
	s_delay_alu instid0(VALU_DEP_1)
	v_cmp_ne_u16_e32 vcc_lo, 0, v10
	v_cndmask_b32_e64 v10, 0, 1, vcc_lo
	global_store_b8 v[3:4], v10, off
.LBB489_1741:
	s_mov_b32 s0, 0
.LBB489_1742:
	s_delay_alu instid0(SALU_CYCLE_1)
	s_and_b32 vcc_lo, exec_lo, s0
	s_cbranch_vccz .LBB489_1781
; %bb.1743:
	v_cmp_gt_i16_e32 vcc_lo, 5, v5
	s_mov_b32 s0, -1
	s_cbranch_vccnz .LBB489_1764
; %bb.1744:
	v_cmp_gt_i16_e32 vcc_lo, 8, v5
	s_cbranch_vccnz .LBB489_1754
; %bb.1745:
	v_cmp_gt_i16_e32 vcc_lo, 9, v5
	s_cbranch_vccnz .LBB489_1751
; %bb.1746:
	v_cmp_lt_i16_e32 vcc_lo, 9, v5
	s_cbranch_vccz .LBB489_1748
; %bb.1747:
	v_mov_b32_e32 v12, 0
	v_lshlrev_b32_e32 v10, 16, v9
	s_mov_b32 s0, 0
	s_delay_alu instid0(VALU_DEP_2) | instskip(NEXT) | instid1(VALU_DEP_2)
	v_mov_b32_e32 v13, v12
	v_cvt_f64_f32_e32 v[10:11], v10
	global_store_b128 v[3:4], v[10:13], off
.LBB489_1748:
	s_and_not1_b32 vcc_lo, exec_lo, s0
	s_cbranch_vccnz .LBB489_1750
; %bb.1749:
	v_dual_mov_b32 v11, 0 :: v_dual_lshlrev_b32 v10, 16, v9
	global_store_b64 v[3:4], v[10:11], off
.LBB489_1750:
	s_mov_b32 s0, 0
.LBB489_1751:
	s_delay_alu instid0(SALU_CYCLE_1)
	s_and_not1_b32 vcc_lo, exec_lo, s0
	s_cbranch_vccnz .LBB489_1753
; %bb.1752:
	v_lshlrev_b32_e32 v10, 16, v9
	s_delay_alu instid0(VALU_DEP_1) | instskip(NEXT) | instid1(VALU_DEP_1)
	v_cvt_f16_f32_e32 v10, v10
	v_and_b32_e32 v10, 0xffff, v10
	global_store_b32 v[3:4], v10, off
.LBB489_1753:
	s_mov_b32 s0, 0
.LBB489_1754:
	s_delay_alu instid0(SALU_CYCLE_1)
	s_and_not1_b32 vcc_lo, exec_lo, s0
	s_cbranch_vccnz .LBB489_1763
; %bb.1755:
	v_cmp_gt_i16_e32 vcc_lo, 6, v5
	s_mov_b32 s0, -1
	s_cbranch_vccnz .LBB489_1761
; %bb.1756:
	v_cmp_lt_i16_e32 vcc_lo, 6, v5
	s_cbranch_vccz .LBB489_1758
; %bb.1757:
	v_lshlrev_b32_e32 v10, 16, v9
	s_mov_b32 s0, 0
	s_delay_alu instid0(VALU_DEP_1)
	v_cvt_f64_f32_e32 v[10:11], v10
	global_store_b64 v[3:4], v[10:11], off
.LBB489_1758:
	s_and_not1_b32 vcc_lo, exec_lo, s0
	s_cbranch_vccnz .LBB489_1760
; %bb.1759:
	v_lshlrev_b32_e32 v10, 16, v9
	global_store_b32 v[3:4], v10, off
.LBB489_1760:
	s_mov_b32 s0, 0
.LBB489_1761:
	s_delay_alu instid0(SALU_CYCLE_1)
	s_and_not1_b32 vcc_lo, exec_lo, s0
	s_cbranch_vccnz .LBB489_1763
; %bb.1762:
	v_lshlrev_b32_e32 v10, 16, v9
	s_delay_alu instid0(VALU_DEP_1)
	v_cvt_f16_f32_e32 v10, v10
	global_store_b16 v[3:4], v10, off
.LBB489_1763:
	s_mov_b32 s0, 0
.LBB489_1764:
	s_delay_alu instid0(SALU_CYCLE_1)
	s_and_not1_b32 vcc_lo, exec_lo, s0
	s_cbranch_vccnz .LBB489_1780
; %bb.1765:
	v_cmp_gt_i16_e32 vcc_lo, 2, v5
	s_mov_b32 s0, -1
	s_cbranch_vccnz .LBB489_1775
; %bb.1766:
	v_cmp_gt_i16_e32 vcc_lo, 3, v5
	s_cbranch_vccnz .LBB489_1772
; %bb.1767:
	v_cmp_lt_i16_e32 vcc_lo, 3, v5
	s_cbranch_vccz .LBB489_1769
; %bb.1768:
	v_lshlrev_b32_e32 v10, 16, v9
	s_mov_b32 s0, 0
	s_delay_alu instid0(VALU_DEP_1) | instskip(NEXT) | instid1(VALU_DEP_1)
	v_trunc_f32_e32 v10, v10
	v_mul_f32_e64 v11, 0x2f800000, |v10|
	v_ashrrev_i32_e32 v13, 31, v10
	s_delay_alu instid0(VALU_DEP_2) | instskip(NEXT) | instid1(VALU_DEP_1)
	v_floor_f32_e32 v11, v11
	v_fma_f32 v12, 0xcf800000, v11, |v10|
	v_cvt_u32_f32_e32 v11, v11
	s_delay_alu instid0(VALU_DEP_2) | instskip(NEXT) | instid1(VALU_DEP_2)
	v_cvt_u32_f32_e32 v10, v12
	v_xor_b32_e32 v11, v11, v13
	s_delay_alu instid0(VALU_DEP_2) | instskip(NEXT) | instid1(VALU_DEP_1)
	v_xor_b32_e32 v10, v10, v13
	v_sub_co_u32 v10, vcc_lo, v10, v13
	s_delay_alu instid0(VALU_DEP_3)
	v_sub_co_ci_u32_e32 v11, vcc_lo, v11, v13, vcc_lo
	global_store_b64 v[3:4], v[10:11], off
.LBB489_1769:
	s_and_not1_b32 vcc_lo, exec_lo, s0
	s_cbranch_vccnz .LBB489_1771
; %bb.1770:
	v_lshlrev_b32_e32 v10, 16, v9
	s_delay_alu instid0(VALU_DEP_1)
	v_cvt_i32_f32_e32 v10, v10
	global_store_b32 v[3:4], v10, off
.LBB489_1771:
	s_mov_b32 s0, 0
.LBB489_1772:
	s_delay_alu instid0(SALU_CYCLE_1)
	s_and_not1_b32 vcc_lo, exec_lo, s0
	s_cbranch_vccnz .LBB489_1774
; %bb.1773:
	v_lshlrev_b32_e32 v10, 16, v9
	s_delay_alu instid0(VALU_DEP_1)
	v_cvt_i32_f32_e32 v10, v10
	global_store_b16 v[3:4], v10, off
.LBB489_1774:
	s_mov_b32 s0, 0
.LBB489_1775:
	s_delay_alu instid0(SALU_CYCLE_1)
	s_and_not1_b32 vcc_lo, exec_lo, s0
	s_cbranch_vccnz .LBB489_1780
; %bb.1776:
	v_cmp_lt_i16_e32 vcc_lo, 0, v5
	s_mov_b32 s0, -1
	s_cbranch_vccz .LBB489_1778
; %bb.1777:
	v_lshlrev_b32_e32 v10, 16, v9
	s_mov_b32 s0, 0
	s_delay_alu instid0(VALU_DEP_1)
	v_cvt_i32_f32_e32 v10, v10
	global_store_b8 v[3:4], v10, off
.LBB489_1778:
	s_and_not1_b32 vcc_lo, exec_lo, s0
	s_cbranch_vccnz .LBB489_1780
; %bb.1779:
	v_lshlrev_b32_e32 v9, 16, v9
	s_delay_alu instid0(VALU_DEP_1) | instskip(NEXT) | instid1(VALU_DEP_1)
	v_trunc_f32_e32 v9, v9
	v_mul_f32_e64 v10, 0x2f800000, |v9|
	s_delay_alu instid0(VALU_DEP_1) | instskip(NEXT) | instid1(VALU_DEP_1)
	v_floor_f32_e32 v10, v10
	v_fma_f32 v10, 0xcf800000, v10, |v9|
	v_ashrrev_i32_e32 v9, 31, v9
	s_delay_alu instid0(VALU_DEP_2) | instskip(NEXT) | instid1(VALU_DEP_1)
	v_cvt_u32_f32_e32 v10, v10
	v_xor_b32_e32 v10, v10, v9
	s_delay_alu instid0(VALU_DEP_1)
	v_sub_nc_u32_e32 v9, v10, v9
	global_store_b8 v[3:4], v9, off
.LBB489_1780:
	s_mov_b32 s7, -1
.LBB489_1781:
	s_delay_alu instid0(SALU_CYCLE_1)
	s_and_not1_b32 vcc_lo, exec_lo, s7
	s_cbranch_vccnz .LBB489_2094
; %bb.1782:
	v_lshlrev_b32_e32 v3, 16, v8
	s_and_b32 s6, 0xffff, s6
	v_cmp_gt_i16_e64 s1, 11, v5
	s_mov_b32 s7, 0
	s_delay_alu instid0(VALU_DEP_2) | instskip(SKIP_1) | instid1(VALU_DEP_1)
	v_cmp_u_f32_e32 vcc_lo, v3, v3
	v_cmp_gt_f32_e64 s0, s3, v3
	s_or_b32 vcc_lo, vcc_lo, s0
	v_add_co_u32 v2, s0, s4, v2
	v_cndmask_b32_e32 v4, s6, v8, vcc_lo
	v_add_co_ci_u32_e64 v3, null, s5, 0, s0
	s_and_b32 vcc_lo, exec_lo, s1
	s_mov_b32 s0, -1
	s_cbranch_vccnz .LBB489_1860
; %bb.1783:
	v_cmp_lt_i16_e32 vcc_lo, 25, v5
	s_mov_b32 s10, -1
	s_mov_b32 s1, 0
	s_mov_b32 s0, 0
	s_cbranch_vccz .LBB489_1816
; %bb.1784:
	v_cmp_lt_i16_e32 vcc_lo, 28, v5
	s_cbranch_vccz .LBB489_1799
; %bb.1785:
	v_cmp_lt_i16_e32 vcc_lo, 43, v5
	;; [unrolled: 3-line block ×3, first 2 shown]
	s_cbranch_vccz .LBB489_1789
; %bb.1787:
	v_cmp_eq_u16_e32 vcc_lo, 46, v5
	s_mov_b32 s0, -1
	s_mov_b32 s10, 0
	s_cbranch_vccz .LBB489_1789
; %bb.1788:
	v_and_b32_e32 v8, 0xffff, v4
	s_mov_b32 s0, 0
	s_mov_b32 s7, -1
	global_store_b32 v[2:3], v8, off
.LBB489_1789:
	s_and_b32 vcc_lo, exec_lo, s10
	s_cbranch_vccz .LBB489_1794
; %bb.1790:
	v_cmp_eq_u16_e32 vcc_lo, 44, v5
	s_mov_b32 s0, -1
	s_cbranch_vccz .LBB489_1794
; %bb.1791:
	v_and_b32_e32 v8, 0xffff, v4
	v_mov_b32_e32 v9, 0xff
	s_mov_b32 s7, exec_lo
	s_delay_alu instid0(VALU_DEP_2) | instskip(NEXT) | instid1(VALU_DEP_1)
	v_bfe_u32 v10, v8, 7, 8
	v_cmpx_ne_u32_e32 0xff, v10
; %bb.1792:
	v_lshlrev_b32_e32 v9, 16, v8
	v_and_b32_e32 v11, 64, v8
	v_lshrrev_b32_e32 v8, 7, v8
	s_delay_alu instid0(VALU_DEP_3) | instskip(NEXT) | instid1(VALU_DEP_3)
	v_and_or_b32 v9, 0x3f0000, v9, v10
	v_cmp_ne_u32_e32 vcc_lo, 0, v11
	s_delay_alu instid0(VALU_DEP_2) | instskip(NEXT) | instid1(VALU_DEP_1)
	v_cmp_ne_u32_e64 s0, 0, v9
	s_and_b32 s0, vcc_lo, s0
	s_delay_alu instid0(SALU_CYCLE_1) | instskip(NEXT) | instid1(VALU_DEP_1)
	v_cndmask_b32_e64 v9, 0, 1, s0
	v_add_nc_u32_e32 v9, v8, v9
; %bb.1793:
	s_or_b32 exec_lo, exec_lo, s7
	s_mov_b32 s0, 0
	s_mov_b32 s7, -1
	global_store_b8 v[2:3], v9, off
.LBB489_1794:
	s_mov_b32 s10, 0
.LBB489_1795:
	s_delay_alu instid0(SALU_CYCLE_1)
	s_and_b32 vcc_lo, exec_lo, s10
	s_cbranch_vccz .LBB489_1798
; %bb.1796:
	v_cmp_eq_u16_e32 vcc_lo, 29, v5
	s_mov_b32 s0, -1
	s_cbranch_vccz .LBB489_1798
; %bb.1797:
	v_lshlrev_b32_e32 v8, 16, v4
	s_mov_b32 s0, 0
	s_mov_b32 s7, -1
	s_delay_alu instid0(VALU_DEP_1) | instskip(NEXT) | instid1(VALU_DEP_1)
	v_trunc_f32_e32 v8, v8
	v_mul_f32_e32 v9, 0x2f800000, v8
	s_delay_alu instid0(VALU_DEP_1) | instskip(NEXT) | instid1(VALU_DEP_1)
	v_floor_f32_e32 v9, v9
	v_fmamk_f32 v8, v9, 0xcf800000, v8
	v_cvt_u32_f32_e32 v9, v9
	s_delay_alu instid0(VALU_DEP_2)
	v_cvt_u32_f32_e32 v8, v8
	global_store_b64 v[2:3], v[8:9], off
.LBB489_1798:
	s_mov_b32 s10, 0
.LBB489_1799:
	s_delay_alu instid0(SALU_CYCLE_1)
	s_and_b32 vcc_lo, exec_lo, s10
	s_cbranch_vccz .LBB489_1815
; %bb.1800:
	v_cmp_gt_i16_e32 vcc_lo, 27, v5
	s_mov_b32 s7, -1
	s_cbranch_vccnz .LBB489_1806
; %bb.1801:
	v_cmp_lt_i16_e32 vcc_lo, 27, v5
	s_cbranch_vccz .LBB489_1803
; %bb.1802:
	v_lshlrev_b32_e32 v8, 16, v4
	s_mov_b32 s7, 0
	s_delay_alu instid0(VALU_DEP_1)
	v_cvt_u32_f32_e32 v8, v8
	global_store_b32 v[2:3], v8, off
.LBB489_1803:
	s_and_not1_b32 vcc_lo, exec_lo, s7
	s_cbranch_vccnz .LBB489_1805
; %bb.1804:
	v_lshlrev_b32_e32 v8, 16, v4
	s_delay_alu instid0(VALU_DEP_1)
	v_cvt_u32_f32_e32 v8, v8
	global_store_b16 v[2:3], v8, off
.LBB489_1805:
	s_mov_b32 s7, 0
.LBB489_1806:
	s_delay_alu instid0(SALU_CYCLE_1)
	s_and_not1_b32 vcc_lo, exec_lo, s7
	s_cbranch_vccnz .LBB489_1814
; %bb.1807:
	v_dual_mov_b32 v11, 0x80 :: v_dual_lshlrev_b32 v10, 16, v4
	s_mov_b32 s7, exec_lo
	s_delay_alu instid0(VALU_DEP_1) | instskip(NEXT) | instid1(VALU_DEP_1)
	v_and_b32_e32 v9, 0x7fffffff, v10
	v_cmpx_gt_u32_e32 0x43800000, v9
	s_cbranch_execz .LBB489_1813
; %bb.1808:
	v_and_b32_e32 v8, 0xffff, v4
	v_cmp_lt_u32_e32 vcc_lo, 0x3bffffff, v9
	s_mov_b32 s10, 0
                                        ; implicit-def: $vgpr9
	s_and_saveexec_b32 s11, vcc_lo
	s_delay_alu instid0(SALU_CYCLE_1)
	s_xor_b32 s11, exec_lo, s11
	s_cbranch_execz .LBB489_2149
; %bb.1809:
	v_bfe_u32 v9, v8, 4, 1
	s_mov_b32 s10, exec_lo
	s_delay_alu instid0(VALU_DEP_1) | instskip(NEXT) | instid1(VALU_DEP_1)
	v_add3_u32 v9, v10, v9, 0x487ffff
                                        ; implicit-def: $vgpr10
	v_lshrrev_b32_e32 v9, 20, v9
	s_or_saveexec_b32 s11, s11
                                        ; implicit-def: $sgpr12
	s_delay_alu instid0(SALU_CYCLE_1)
	s_xor_b32 exec_lo, exec_lo, s11
	s_cbranch_execnz .LBB489_2150
.LBB489_1810:
	s_or_b32 exec_lo, exec_lo, s11
	v_mov_b32_e32 v11, s12
	s_and_saveexec_b32 s11, s10
.LBB489_1811:
	v_lshrrev_b32_e32 v8, 8, v8
	s_delay_alu instid0(VALU_DEP_1)
	v_and_or_b32 v11, 0x80, v8, v9
.LBB489_1812:
	s_or_b32 exec_lo, exec_lo, s11
.LBB489_1813:
	s_delay_alu instid0(SALU_CYCLE_1)
	s_or_b32 exec_lo, exec_lo, s7
	global_store_b8 v[2:3], v11, off
.LBB489_1814:
	s_mov_b32 s7, -1
.LBB489_1815:
	s_mov_b32 s10, 0
.LBB489_1816:
	s_delay_alu instid0(SALU_CYCLE_1)
	s_and_b32 vcc_lo, exec_lo, s10
	s_cbranch_vccz .LBB489_1856
; %bb.1817:
	v_cmp_lt_i16_e32 vcc_lo, 22, v5
	s_mov_b32 s1, -1
	s_cbranch_vccz .LBB489_1849
; %bb.1818:
	v_cmp_gt_i16_e32 vcc_lo, 24, v5
	s_cbranch_vccnz .LBB489_1838
; %bb.1819:
	v_cmp_lt_i16_e32 vcc_lo, 24, v5
	s_cbranch_vccz .LBB489_1827
; %bb.1820:
	v_dual_mov_b32 v11, 0x80 :: v_dual_lshlrev_b32 v10, 16, v4
	s_mov_b32 s1, exec_lo
	s_delay_alu instid0(VALU_DEP_1) | instskip(NEXT) | instid1(VALU_DEP_1)
	v_and_b32_e32 v9, 0x7fffffff, v10
	v_cmpx_gt_u32_e32 0x47800000, v9
	s_cbranch_execz .LBB489_1826
; %bb.1821:
	v_and_b32_e32 v8, 0xffff, v4
	v_cmp_lt_u32_e32 vcc_lo, 0x37ffffff, v9
	s_mov_b32 s7, 0
                                        ; implicit-def: $vgpr9
	s_and_saveexec_b32 s10, vcc_lo
	s_delay_alu instid0(SALU_CYCLE_1)
	s_xor_b32 s10, exec_lo, s10
	s_cbranch_execz .LBB489_2155
; %bb.1822:
	v_bfe_u32 v9, v8, 5, 1
	s_mov_b32 s7, exec_lo
	s_delay_alu instid0(VALU_DEP_1) | instskip(NEXT) | instid1(VALU_DEP_1)
	v_add3_u32 v9, v10, v9, 0x88fffff
                                        ; implicit-def: $vgpr10
	v_lshrrev_b32_e32 v9, 21, v9
	s_or_saveexec_b32 s10, s10
                                        ; implicit-def: $sgpr11
	s_delay_alu instid0(SALU_CYCLE_1)
	s_xor_b32 exec_lo, exec_lo, s10
	s_cbranch_execnz .LBB489_2156
.LBB489_1823:
	s_or_b32 exec_lo, exec_lo, s10
	v_mov_b32_e32 v11, s11
	s_and_saveexec_b32 s10, s7
.LBB489_1824:
	v_lshrrev_b32_e32 v8, 8, v8
	s_delay_alu instid0(VALU_DEP_1)
	v_and_or_b32 v11, 0x80, v8, v9
.LBB489_1825:
	s_or_b32 exec_lo, exec_lo, s10
.LBB489_1826:
	s_delay_alu instid0(SALU_CYCLE_1)
	s_or_b32 exec_lo, exec_lo, s1
	s_mov_b32 s1, 0
	global_store_b8 v[2:3], v11, off
.LBB489_1827:
	s_and_b32 vcc_lo, exec_lo, s1
	s_cbranch_vccz .LBB489_1837
; %bb.1828:
	v_lshlrev_b32_e32 v10, 16, v4
	v_and_b32_e32 v8, 0xffff, v4
	s_mov_b32 s1, exec_lo
                                        ; implicit-def: $vgpr9
	s_delay_alu instid0(VALU_DEP_2) | instskip(NEXT) | instid1(VALU_DEP_1)
	v_and_b32_e32 v11, 0x7fffffff, v10
	v_cmpx_gt_u32_e32 0x43f00000, v11
	s_xor_b32 s1, exec_lo, s1
	s_cbranch_execz .LBB489_1834
; %bb.1829:
	s_mov_b32 s7, exec_lo
                                        ; implicit-def: $vgpr9
	v_cmpx_lt_u32_e32 0x3c7fffff, v11
	s_xor_b32 s7, exec_lo, s7
; %bb.1830:
	v_bfe_u32 v9, v8, 4, 1
	s_delay_alu instid0(VALU_DEP_1) | instskip(NEXT) | instid1(VALU_DEP_1)
	v_add3_u32 v9, v10, v9, 0x407ffff
	v_and_b32_e32 v10, 0xff00000, v9
	v_lshrrev_b32_e32 v9, 20, v9
	s_delay_alu instid0(VALU_DEP_2) | instskip(NEXT) | instid1(VALU_DEP_2)
	v_cmp_ne_u32_e32 vcc_lo, 0x7f00000, v10
                                        ; implicit-def: $vgpr10
	v_cndmask_b32_e32 v9, 0x7e, v9, vcc_lo
; %bb.1831:
	s_and_not1_saveexec_b32 s7, s7
; %bb.1832:
	v_add_f32_e64 v9, 0x46800000, |v10|
; %bb.1833:
	s_or_b32 exec_lo, exec_lo, s7
                                        ; implicit-def: $vgpr11
.LBB489_1834:
	s_and_not1_saveexec_b32 s1, s1
; %bb.1835:
	v_mov_b32_e32 v9, 0x7f
	v_cmp_lt_u32_e32 vcc_lo, 0x7f800000, v11
	s_delay_alu instid0(VALU_DEP_2)
	v_cndmask_b32_e32 v9, 0x7e, v9, vcc_lo
; %bb.1836:
	s_or_b32 exec_lo, exec_lo, s1
	v_lshrrev_b32_e32 v8, 8, v8
	s_delay_alu instid0(VALU_DEP_1)
	v_and_or_b32 v8, 0x80, v8, v9
	global_store_b8 v[2:3], v8, off
.LBB489_1837:
	s_mov_b32 s1, 0
.LBB489_1838:
	s_delay_alu instid0(SALU_CYCLE_1)
	s_and_not1_b32 vcc_lo, exec_lo, s1
	s_cbranch_vccnz .LBB489_1848
; %bb.1839:
	v_lshlrev_b32_e32 v10, 16, v4
	v_and_b32_e32 v8, 0xffff, v4
	s_mov_b32 s1, exec_lo
                                        ; implicit-def: $vgpr9
	s_delay_alu instid0(VALU_DEP_2) | instskip(NEXT) | instid1(VALU_DEP_1)
	v_and_b32_e32 v11, 0x7fffffff, v10
	v_cmpx_gt_u32_e32 0x47800000, v11
	s_xor_b32 s1, exec_lo, s1
	s_cbranch_execz .LBB489_1845
; %bb.1840:
	s_mov_b32 s7, exec_lo
                                        ; implicit-def: $vgpr9
	v_cmpx_lt_u32_e32 0x387fffff, v11
	s_xor_b32 s7, exec_lo, s7
; %bb.1841:
	v_bfe_u32 v9, v8, 5, 1
	s_delay_alu instid0(VALU_DEP_1) | instskip(NEXT) | instid1(VALU_DEP_1)
	v_add3_u32 v9, v10, v9, 0x80fffff
                                        ; implicit-def: $vgpr10
	v_lshrrev_b32_e32 v9, 21, v9
; %bb.1842:
	s_and_not1_saveexec_b32 s7, s7
; %bb.1843:
	v_add_f32_e64 v9, 0x43000000, |v10|
; %bb.1844:
	s_or_b32 exec_lo, exec_lo, s7
                                        ; implicit-def: $vgpr11
.LBB489_1845:
	s_and_not1_saveexec_b32 s1, s1
; %bb.1846:
	v_mov_b32_e32 v9, 0x7f
	v_cmp_lt_u32_e32 vcc_lo, 0x7f800000, v11
	s_delay_alu instid0(VALU_DEP_2)
	v_cndmask_b32_e32 v9, 0x7c, v9, vcc_lo
; %bb.1847:
	s_or_b32 exec_lo, exec_lo, s1
	v_lshrrev_b32_e32 v8, 8, v8
	s_delay_alu instid0(VALU_DEP_1)
	v_and_or_b32 v8, 0x80, v8, v9
	global_store_b8 v[2:3], v8, off
.LBB489_1848:
	s_mov_b32 s1, 0
	s_mov_b32 s7, -1
.LBB489_1849:
	s_and_not1_b32 vcc_lo, exec_lo, s1
	s_mov_b32 s1, 0
	s_cbranch_vccnz .LBB489_1856
; %bb.1850:
	v_cmp_lt_i16_e32 vcc_lo, 14, v5
	s_mov_b32 s1, -1
	s_cbranch_vccz .LBB489_1854
; %bb.1851:
	v_cmp_eq_u16_e32 vcc_lo, 15, v5
	s_mov_b32 s0, -1
	s_cbranch_vccz .LBB489_1853
; %bb.1852:
	s_mov_b32 s0, 0
	s_mov_b32 s7, -1
	global_store_b16 v[2:3], v4, off
.LBB489_1853:
	s_mov_b32 s1, 0
.LBB489_1854:
	s_delay_alu instid0(SALU_CYCLE_1)
	s_and_b32 vcc_lo, exec_lo, s1
	s_mov_b32 s1, 0
	s_cbranch_vccz .LBB489_1856
; %bb.1855:
	v_cmp_ne_u16_e64 s0, 11, v5
	s_mov_b32 s1, -1
.LBB489_1856:
	s_delay_alu instid0(VALU_DEP_1)
	s_and_b32 vcc_lo, exec_lo, s0
	s_cbranch_vccnz .LBB489_2153
; %bb.1857:
	s_and_not1_b32 vcc_lo, exec_lo, s1
	s_cbranch_vccnz .LBB489_1859
.LBB489_1858:
	v_and_b32_e32 v8, 0x7fff, v4
	s_mov_b32 s7, -1
	s_delay_alu instid0(VALU_DEP_1)
	v_cmp_ne_u16_e32 vcc_lo, 0, v8
	v_cndmask_b32_e64 v8, 0, 1, vcc_lo
	global_store_b8 v[2:3], v8, off
.LBB489_1859:
	s_mov_b32 s0, 0
.LBB489_1860:
	s_delay_alu instid0(SALU_CYCLE_1)
	s_and_b32 vcc_lo, exec_lo, s0
	s_cbranch_vccz .LBB489_1899
; %bb.1861:
	v_cmp_gt_i16_e32 vcc_lo, 5, v5
	s_mov_b32 s0, -1
	s_cbranch_vccnz .LBB489_1882
; %bb.1862:
	v_cmp_gt_i16_e32 vcc_lo, 8, v5
	s_cbranch_vccnz .LBB489_1872
; %bb.1863:
	v_cmp_gt_i16_e32 vcc_lo, 9, v5
	s_cbranch_vccnz .LBB489_1869
; %bb.1864:
	v_cmp_lt_i16_e32 vcc_lo, 9, v5
	s_cbranch_vccz .LBB489_1866
; %bb.1865:
	v_mov_b32_e32 v10, 0
	v_lshlrev_b32_e32 v8, 16, v4
	s_mov_b32 s0, 0
	s_delay_alu instid0(VALU_DEP_2) | instskip(NEXT) | instid1(VALU_DEP_2)
	v_mov_b32_e32 v11, v10
	v_cvt_f64_f32_e32 v[8:9], v8
	global_store_b128 v[2:3], v[8:11], off
.LBB489_1866:
	s_and_not1_b32 vcc_lo, exec_lo, s0
	s_cbranch_vccnz .LBB489_1868
; %bb.1867:
	v_dual_mov_b32 v9, 0 :: v_dual_lshlrev_b32 v8, 16, v4
	global_store_b64 v[2:3], v[8:9], off
.LBB489_1868:
	s_mov_b32 s0, 0
.LBB489_1869:
	s_delay_alu instid0(SALU_CYCLE_1)
	s_and_not1_b32 vcc_lo, exec_lo, s0
	s_cbranch_vccnz .LBB489_1871
; %bb.1870:
	v_lshlrev_b32_e32 v8, 16, v4
	s_delay_alu instid0(VALU_DEP_1) | instskip(NEXT) | instid1(VALU_DEP_1)
	v_cvt_f16_f32_e32 v8, v8
	v_and_b32_e32 v8, 0xffff, v8
	global_store_b32 v[2:3], v8, off
.LBB489_1871:
	s_mov_b32 s0, 0
.LBB489_1872:
	s_delay_alu instid0(SALU_CYCLE_1)
	s_and_not1_b32 vcc_lo, exec_lo, s0
	s_cbranch_vccnz .LBB489_1881
; %bb.1873:
	v_cmp_gt_i16_e32 vcc_lo, 6, v5
	s_mov_b32 s0, -1
	s_cbranch_vccnz .LBB489_1879
; %bb.1874:
	v_cmp_lt_i16_e32 vcc_lo, 6, v5
	s_cbranch_vccz .LBB489_1876
; %bb.1875:
	v_lshlrev_b32_e32 v8, 16, v4
	s_mov_b32 s0, 0
	s_delay_alu instid0(VALU_DEP_1)
	v_cvt_f64_f32_e32 v[8:9], v8
	global_store_b64 v[2:3], v[8:9], off
.LBB489_1876:
	s_and_not1_b32 vcc_lo, exec_lo, s0
	s_cbranch_vccnz .LBB489_1878
; %bb.1877:
	v_lshlrev_b32_e32 v8, 16, v4
	global_store_b32 v[2:3], v8, off
.LBB489_1878:
	s_mov_b32 s0, 0
.LBB489_1879:
	s_delay_alu instid0(SALU_CYCLE_1)
	s_and_not1_b32 vcc_lo, exec_lo, s0
	s_cbranch_vccnz .LBB489_1881
; %bb.1880:
	v_lshlrev_b32_e32 v8, 16, v4
	s_delay_alu instid0(VALU_DEP_1)
	v_cvt_f16_f32_e32 v8, v8
	global_store_b16 v[2:3], v8, off
.LBB489_1881:
	s_mov_b32 s0, 0
.LBB489_1882:
	s_delay_alu instid0(SALU_CYCLE_1)
	s_and_not1_b32 vcc_lo, exec_lo, s0
	s_cbranch_vccnz .LBB489_1898
; %bb.1883:
	v_cmp_gt_i16_e32 vcc_lo, 2, v5
	s_mov_b32 s0, -1
	s_cbranch_vccnz .LBB489_1893
; %bb.1884:
	v_cmp_gt_i16_e32 vcc_lo, 3, v5
	s_cbranch_vccnz .LBB489_1890
; %bb.1885:
	v_cmp_lt_i16_e32 vcc_lo, 3, v5
	s_cbranch_vccz .LBB489_1887
; %bb.1886:
	v_lshlrev_b32_e32 v8, 16, v4
	s_mov_b32 s0, 0
	s_delay_alu instid0(VALU_DEP_1) | instskip(NEXT) | instid1(VALU_DEP_1)
	v_trunc_f32_e32 v8, v8
	v_mul_f32_e64 v9, 0x2f800000, |v8|
	v_ashrrev_i32_e32 v11, 31, v8
	s_delay_alu instid0(VALU_DEP_2) | instskip(NEXT) | instid1(VALU_DEP_1)
	v_floor_f32_e32 v9, v9
	v_fma_f32 v10, 0xcf800000, v9, |v8|
	v_cvt_u32_f32_e32 v9, v9
	s_delay_alu instid0(VALU_DEP_2) | instskip(NEXT) | instid1(VALU_DEP_2)
	v_cvt_u32_f32_e32 v8, v10
	v_xor_b32_e32 v9, v9, v11
	s_delay_alu instid0(VALU_DEP_2) | instskip(NEXT) | instid1(VALU_DEP_1)
	v_xor_b32_e32 v8, v8, v11
	v_sub_co_u32 v8, vcc_lo, v8, v11
	s_delay_alu instid0(VALU_DEP_3)
	v_sub_co_ci_u32_e32 v9, vcc_lo, v9, v11, vcc_lo
	global_store_b64 v[2:3], v[8:9], off
.LBB489_1887:
	s_and_not1_b32 vcc_lo, exec_lo, s0
	s_cbranch_vccnz .LBB489_1889
; %bb.1888:
	v_lshlrev_b32_e32 v8, 16, v4
	s_delay_alu instid0(VALU_DEP_1)
	v_cvt_i32_f32_e32 v8, v8
	global_store_b32 v[2:3], v8, off
.LBB489_1889:
	s_mov_b32 s0, 0
.LBB489_1890:
	s_delay_alu instid0(SALU_CYCLE_1)
	s_and_not1_b32 vcc_lo, exec_lo, s0
	s_cbranch_vccnz .LBB489_1892
; %bb.1891:
	v_lshlrev_b32_e32 v8, 16, v4
	s_delay_alu instid0(VALU_DEP_1)
	v_cvt_i32_f32_e32 v8, v8
	global_store_b16 v[2:3], v8, off
.LBB489_1892:
	s_mov_b32 s0, 0
.LBB489_1893:
	s_delay_alu instid0(SALU_CYCLE_1)
	s_and_not1_b32 vcc_lo, exec_lo, s0
	s_cbranch_vccnz .LBB489_1898
; %bb.1894:
	v_cmp_lt_i16_e32 vcc_lo, 0, v5
	v_lshlrev_b32_e32 v4, 16, v4
	s_mov_b32 s0, -1
	s_cbranch_vccz .LBB489_1896
; %bb.1895:
	s_delay_alu instid0(VALU_DEP_1)
	v_cvt_i32_f32_e32 v8, v4
	s_mov_b32 s0, 0
	global_store_b8 v[2:3], v8, off
.LBB489_1896:
	s_and_not1_b32 vcc_lo, exec_lo, s0
	s_cbranch_vccnz .LBB489_1898
; %bb.1897:
	v_trunc_f32_e32 v4, v4
	s_delay_alu instid0(VALU_DEP_1) | instskip(NEXT) | instid1(VALU_DEP_1)
	v_mul_f32_e64 v8, 0x2f800000, |v4|
	v_floor_f32_e32 v8, v8
	s_delay_alu instid0(VALU_DEP_1) | instskip(SKIP_1) | instid1(VALU_DEP_2)
	v_fma_f32 v8, 0xcf800000, v8, |v4|
	v_ashrrev_i32_e32 v4, 31, v4
	v_cvt_u32_f32_e32 v8, v8
	s_delay_alu instid0(VALU_DEP_1) | instskip(NEXT) | instid1(VALU_DEP_1)
	v_xor_b32_e32 v8, v8, v4
	v_sub_nc_u32_e32 v4, v8, v4
	global_store_b8 v[2:3], v4, off
.LBB489_1898:
	s_mov_b32 s7, -1
.LBB489_1899:
	s_delay_alu instid0(SALU_CYCLE_1)
	s_and_not1_b32 vcc_lo, exec_lo, s7
	s_cbranch_vccnz .LBB489_2094
; %bb.1900:
	s_waitcnt vmcnt(0)
	v_lshlrev_b32_e32 v2, 16, v7
	v_cmp_gt_i16_e32 vcc_lo, 11, v5
	v_add_co_u32 v1, s10, s4, v1
	s_mov_b32 s7, 0
	s_delay_alu instid0(VALU_DEP_3) | instskip(SKIP_2) | instid1(VALU_DEP_2)
	v_cmp_u_f32_e64 s0, v2, v2
	v_cmp_gt_f32_e64 s1, s3, v2
	v_add_co_ci_u32_e64 v2, null, s5, 0, s10
	s_or_b32 s0, s0, s1
	s_delay_alu instid0(SALU_CYCLE_1)
	v_cndmask_b32_e64 v3, s6, v7, s0
	s_mov_b32 s0, -1
	s_cbranch_vccnz .LBB489_1978
; %bb.1901:
	v_cmp_lt_i16_e32 vcc_lo, 25, v5
	s_mov_b32 s10, -1
	s_mov_b32 s1, 0
	s_mov_b32 s0, 0
	s_cbranch_vccz .LBB489_1934
; %bb.1902:
	v_cmp_lt_i16_e32 vcc_lo, 28, v5
	s_cbranch_vccz .LBB489_1917
; %bb.1903:
	v_cmp_lt_i16_e32 vcc_lo, 43, v5
	;; [unrolled: 3-line block ×3, first 2 shown]
	s_cbranch_vccz .LBB489_1907
; %bb.1905:
	v_cmp_eq_u16_e32 vcc_lo, 46, v5
	s_mov_b32 s0, -1
	s_mov_b32 s10, 0
	s_cbranch_vccz .LBB489_1907
; %bb.1906:
	v_and_b32_e32 v4, 0xffff, v3
	s_mov_b32 s0, 0
	s_mov_b32 s7, -1
	global_store_b32 v[1:2], v4, off
.LBB489_1907:
	s_and_b32 vcc_lo, exec_lo, s10
	s_cbranch_vccz .LBB489_1912
; %bb.1908:
	v_cmp_eq_u16_e32 vcc_lo, 44, v5
	s_mov_b32 s0, -1
	s_cbranch_vccz .LBB489_1912
; %bb.1909:
	v_and_b32_e32 v4, 0xffff, v3
	v_mov_b32_e32 v7, 0xff
	s_mov_b32 s7, exec_lo
	s_delay_alu instid0(VALU_DEP_2) | instskip(NEXT) | instid1(VALU_DEP_1)
	v_bfe_u32 v8, v4, 7, 8
	v_cmpx_ne_u32_e32 0xff, v8
; %bb.1910:
	v_lshlrev_b32_e32 v7, 16, v4
	v_and_b32_e32 v9, 64, v4
	v_lshrrev_b32_e32 v4, 7, v4
	s_delay_alu instid0(VALU_DEP_3) | instskip(NEXT) | instid1(VALU_DEP_3)
	v_and_or_b32 v7, 0x3f0000, v7, v8
	v_cmp_ne_u32_e32 vcc_lo, 0, v9
	s_delay_alu instid0(VALU_DEP_2) | instskip(NEXT) | instid1(VALU_DEP_1)
	v_cmp_ne_u32_e64 s0, 0, v7
	s_and_b32 s0, vcc_lo, s0
	s_delay_alu instid0(SALU_CYCLE_1) | instskip(NEXT) | instid1(VALU_DEP_1)
	v_cndmask_b32_e64 v7, 0, 1, s0
	v_add_nc_u32_e32 v7, v4, v7
; %bb.1911:
	s_or_b32 exec_lo, exec_lo, s7
	s_mov_b32 s0, 0
	s_mov_b32 s7, -1
	global_store_b8 v[1:2], v7, off
.LBB489_1912:
	s_mov_b32 s10, 0
.LBB489_1913:
	s_delay_alu instid0(SALU_CYCLE_1)
	s_and_b32 vcc_lo, exec_lo, s10
	s_cbranch_vccz .LBB489_1916
; %bb.1914:
	v_cmp_eq_u16_e32 vcc_lo, 29, v5
	s_mov_b32 s0, -1
	s_cbranch_vccz .LBB489_1916
; %bb.1915:
	v_lshlrev_b32_e32 v4, 16, v3
	s_mov_b32 s0, 0
	s_mov_b32 s7, -1
	s_delay_alu instid0(VALU_DEP_1) | instskip(NEXT) | instid1(VALU_DEP_1)
	v_trunc_f32_e32 v4, v4
	v_mul_f32_e32 v7, 0x2f800000, v4
	s_delay_alu instid0(VALU_DEP_1) | instskip(NEXT) | instid1(VALU_DEP_1)
	v_floor_f32_e32 v7, v7
	v_fmamk_f32 v4, v7, 0xcf800000, v4
	v_cvt_u32_f32_e32 v8, v7
	s_delay_alu instid0(VALU_DEP_2)
	v_cvt_u32_f32_e32 v7, v4
	global_store_b64 v[1:2], v[7:8], off
.LBB489_1916:
	s_mov_b32 s10, 0
.LBB489_1917:
	s_delay_alu instid0(SALU_CYCLE_1)
	s_and_b32 vcc_lo, exec_lo, s10
	s_cbranch_vccz .LBB489_1933
; %bb.1918:
	v_cmp_gt_i16_e32 vcc_lo, 27, v5
	s_mov_b32 s7, -1
	s_cbranch_vccnz .LBB489_1924
; %bb.1919:
	v_cmp_lt_i16_e32 vcc_lo, 27, v5
	s_cbranch_vccz .LBB489_1921
; %bb.1920:
	v_lshlrev_b32_e32 v4, 16, v3
	s_mov_b32 s7, 0
	s_delay_alu instid0(VALU_DEP_1)
	v_cvt_u32_f32_e32 v4, v4
	global_store_b32 v[1:2], v4, off
.LBB489_1921:
	s_and_not1_b32 vcc_lo, exec_lo, s7
	s_cbranch_vccnz .LBB489_1923
; %bb.1922:
	v_lshlrev_b32_e32 v4, 16, v3
	s_delay_alu instid0(VALU_DEP_1)
	v_cvt_u32_f32_e32 v4, v4
	global_store_b16 v[1:2], v4, off
.LBB489_1923:
	s_mov_b32 s7, 0
.LBB489_1924:
	s_delay_alu instid0(SALU_CYCLE_1)
	s_and_not1_b32 vcc_lo, exec_lo, s7
	s_cbranch_vccnz .LBB489_1932
; %bb.1925:
	v_dual_mov_b32 v9, 0x80 :: v_dual_lshlrev_b32 v8, 16, v3
	s_mov_b32 s7, exec_lo
	s_delay_alu instid0(VALU_DEP_1) | instskip(NEXT) | instid1(VALU_DEP_1)
	v_and_b32_e32 v7, 0x7fffffff, v8
	v_cmpx_gt_u32_e32 0x43800000, v7
	s_cbranch_execz .LBB489_1931
; %bb.1926:
	v_and_b32_e32 v4, 0xffff, v3
	v_cmp_lt_u32_e32 vcc_lo, 0x3bffffff, v7
	s_mov_b32 s10, 0
                                        ; implicit-def: $vgpr7
	s_and_saveexec_b32 s11, vcc_lo
	s_delay_alu instid0(SALU_CYCLE_1)
	s_xor_b32 s11, exec_lo, s11
	s_cbranch_execz .LBB489_2157
; %bb.1927:
	v_bfe_u32 v7, v4, 4, 1
	s_mov_b32 s10, exec_lo
	s_delay_alu instid0(VALU_DEP_1) | instskip(NEXT) | instid1(VALU_DEP_1)
	v_add3_u32 v7, v8, v7, 0x487ffff
                                        ; implicit-def: $vgpr8
	v_lshrrev_b32_e32 v7, 20, v7
	s_or_saveexec_b32 s11, s11
                                        ; implicit-def: $sgpr12
	s_delay_alu instid0(SALU_CYCLE_1)
	s_xor_b32 exec_lo, exec_lo, s11
	s_cbranch_execnz .LBB489_2158
.LBB489_1928:
	s_or_b32 exec_lo, exec_lo, s11
	v_mov_b32_e32 v9, s12
	s_and_saveexec_b32 s11, s10
.LBB489_1929:
	v_lshrrev_b32_e32 v4, 8, v4
	s_delay_alu instid0(VALU_DEP_1)
	v_and_or_b32 v9, 0x80, v4, v7
.LBB489_1930:
	s_or_b32 exec_lo, exec_lo, s11
.LBB489_1931:
	s_delay_alu instid0(SALU_CYCLE_1)
	s_or_b32 exec_lo, exec_lo, s7
	global_store_b8 v[1:2], v9, off
.LBB489_1932:
	s_mov_b32 s7, -1
.LBB489_1933:
	s_mov_b32 s10, 0
.LBB489_1934:
	s_delay_alu instid0(SALU_CYCLE_1)
	s_and_b32 vcc_lo, exec_lo, s10
	s_cbranch_vccz .LBB489_1974
; %bb.1935:
	v_cmp_lt_i16_e32 vcc_lo, 22, v5
	s_mov_b32 s1, -1
	s_cbranch_vccz .LBB489_1967
; %bb.1936:
	v_cmp_gt_i16_e32 vcc_lo, 24, v5
	s_cbranch_vccnz .LBB489_1956
; %bb.1937:
	v_cmp_lt_i16_e32 vcc_lo, 24, v5
	s_cbranch_vccz .LBB489_1945
; %bb.1938:
	v_dual_mov_b32 v9, 0x80 :: v_dual_lshlrev_b32 v8, 16, v3
	s_mov_b32 s1, exec_lo
	s_delay_alu instid0(VALU_DEP_1) | instskip(NEXT) | instid1(VALU_DEP_1)
	v_and_b32_e32 v7, 0x7fffffff, v8
	v_cmpx_gt_u32_e32 0x47800000, v7
	s_cbranch_execz .LBB489_1944
; %bb.1939:
	v_and_b32_e32 v4, 0xffff, v3
	v_cmp_lt_u32_e32 vcc_lo, 0x37ffffff, v7
	s_mov_b32 s7, 0
                                        ; implicit-def: $vgpr7
	s_and_saveexec_b32 s10, vcc_lo
	s_delay_alu instid0(SALU_CYCLE_1)
	s_xor_b32 s10, exec_lo, s10
	s_cbranch_execz .LBB489_2163
; %bb.1940:
	v_bfe_u32 v7, v4, 5, 1
	s_mov_b32 s7, exec_lo
	s_delay_alu instid0(VALU_DEP_1) | instskip(NEXT) | instid1(VALU_DEP_1)
	v_add3_u32 v7, v8, v7, 0x88fffff
                                        ; implicit-def: $vgpr8
	v_lshrrev_b32_e32 v7, 21, v7
	s_or_saveexec_b32 s10, s10
                                        ; implicit-def: $sgpr11
	s_delay_alu instid0(SALU_CYCLE_1)
	s_xor_b32 exec_lo, exec_lo, s10
	s_cbranch_execnz .LBB489_2164
.LBB489_1941:
	s_or_b32 exec_lo, exec_lo, s10
	v_mov_b32_e32 v9, s11
	s_and_saveexec_b32 s10, s7
.LBB489_1942:
	v_lshrrev_b32_e32 v4, 8, v4
	s_delay_alu instid0(VALU_DEP_1)
	v_and_or_b32 v9, 0x80, v4, v7
.LBB489_1943:
	s_or_b32 exec_lo, exec_lo, s10
.LBB489_1944:
	s_delay_alu instid0(SALU_CYCLE_1)
	s_or_b32 exec_lo, exec_lo, s1
	s_mov_b32 s1, 0
	global_store_b8 v[1:2], v9, off
.LBB489_1945:
	s_and_b32 vcc_lo, exec_lo, s1
	s_cbranch_vccz .LBB489_1955
; %bb.1946:
	v_lshlrev_b32_e32 v8, 16, v3
	v_and_b32_e32 v4, 0xffff, v3
	s_mov_b32 s1, exec_lo
                                        ; implicit-def: $vgpr7
	s_delay_alu instid0(VALU_DEP_2) | instskip(NEXT) | instid1(VALU_DEP_1)
	v_and_b32_e32 v9, 0x7fffffff, v8
	v_cmpx_gt_u32_e32 0x43f00000, v9
	s_xor_b32 s1, exec_lo, s1
	s_cbranch_execz .LBB489_1952
; %bb.1947:
	s_mov_b32 s7, exec_lo
                                        ; implicit-def: $vgpr7
	v_cmpx_lt_u32_e32 0x3c7fffff, v9
	s_xor_b32 s7, exec_lo, s7
; %bb.1948:
	v_bfe_u32 v7, v4, 4, 1
	s_delay_alu instid0(VALU_DEP_1) | instskip(NEXT) | instid1(VALU_DEP_1)
	v_add3_u32 v7, v8, v7, 0x407ffff
	v_and_b32_e32 v8, 0xff00000, v7
	v_lshrrev_b32_e32 v7, 20, v7
	s_delay_alu instid0(VALU_DEP_2) | instskip(NEXT) | instid1(VALU_DEP_2)
	v_cmp_ne_u32_e32 vcc_lo, 0x7f00000, v8
                                        ; implicit-def: $vgpr8
	v_cndmask_b32_e32 v7, 0x7e, v7, vcc_lo
; %bb.1949:
	s_and_not1_saveexec_b32 s7, s7
; %bb.1950:
	v_add_f32_e64 v7, 0x46800000, |v8|
; %bb.1951:
	s_or_b32 exec_lo, exec_lo, s7
                                        ; implicit-def: $vgpr9
.LBB489_1952:
	s_and_not1_saveexec_b32 s1, s1
; %bb.1953:
	v_mov_b32_e32 v7, 0x7f
	v_cmp_lt_u32_e32 vcc_lo, 0x7f800000, v9
	s_delay_alu instid0(VALU_DEP_2)
	v_cndmask_b32_e32 v7, 0x7e, v7, vcc_lo
; %bb.1954:
	s_or_b32 exec_lo, exec_lo, s1
	v_lshrrev_b32_e32 v4, 8, v4
	s_delay_alu instid0(VALU_DEP_1)
	v_and_or_b32 v4, 0x80, v4, v7
	global_store_b8 v[1:2], v4, off
.LBB489_1955:
	s_mov_b32 s1, 0
.LBB489_1956:
	s_delay_alu instid0(SALU_CYCLE_1)
	s_and_not1_b32 vcc_lo, exec_lo, s1
	s_cbranch_vccnz .LBB489_1966
; %bb.1957:
	v_lshlrev_b32_e32 v8, 16, v3
	v_and_b32_e32 v4, 0xffff, v3
	s_mov_b32 s1, exec_lo
                                        ; implicit-def: $vgpr7
	s_delay_alu instid0(VALU_DEP_2) | instskip(NEXT) | instid1(VALU_DEP_1)
	v_and_b32_e32 v9, 0x7fffffff, v8
	v_cmpx_gt_u32_e32 0x47800000, v9
	s_xor_b32 s1, exec_lo, s1
	s_cbranch_execz .LBB489_1963
; %bb.1958:
	s_mov_b32 s7, exec_lo
                                        ; implicit-def: $vgpr7
	v_cmpx_lt_u32_e32 0x387fffff, v9
	s_xor_b32 s7, exec_lo, s7
; %bb.1959:
	v_bfe_u32 v7, v4, 5, 1
	s_delay_alu instid0(VALU_DEP_1) | instskip(NEXT) | instid1(VALU_DEP_1)
	v_add3_u32 v7, v8, v7, 0x80fffff
                                        ; implicit-def: $vgpr8
	v_lshrrev_b32_e32 v7, 21, v7
; %bb.1960:
	s_and_not1_saveexec_b32 s7, s7
; %bb.1961:
	v_add_f32_e64 v7, 0x43000000, |v8|
; %bb.1962:
	s_or_b32 exec_lo, exec_lo, s7
                                        ; implicit-def: $vgpr9
.LBB489_1963:
	s_and_not1_saveexec_b32 s1, s1
; %bb.1964:
	v_mov_b32_e32 v7, 0x7f
	v_cmp_lt_u32_e32 vcc_lo, 0x7f800000, v9
	s_delay_alu instid0(VALU_DEP_2)
	v_cndmask_b32_e32 v7, 0x7c, v7, vcc_lo
; %bb.1965:
	s_or_b32 exec_lo, exec_lo, s1
	v_lshrrev_b32_e32 v4, 8, v4
	s_delay_alu instid0(VALU_DEP_1)
	v_and_or_b32 v4, 0x80, v4, v7
	global_store_b8 v[1:2], v4, off
.LBB489_1966:
	s_mov_b32 s1, 0
	s_mov_b32 s7, -1
.LBB489_1967:
	s_and_not1_b32 vcc_lo, exec_lo, s1
	s_mov_b32 s1, 0
	s_cbranch_vccnz .LBB489_1974
; %bb.1968:
	v_cmp_lt_i16_e32 vcc_lo, 14, v5
	s_mov_b32 s1, -1
	s_cbranch_vccz .LBB489_1972
; %bb.1969:
	v_cmp_eq_u16_e32 vcc_lo, 15, v5
	s_mov_b32 s0, -1
	s_cbranch_vccz .LBB489_1971
; %bb.1970:
	s_mov_b32 s0, 0
	s_mov_b32 s7, -1
	global_store_b16 v[1:2], v3, off
.LBB489_1971:
	s_mov_b32 s1, 0
.LBB489_1972:
	s_delay_alu instid0(SALU_CYCLE_1)
	s_and_b32 vcc_lo, exec_lo, s1
	s_mov_b32 s1, 0
	s_cbranch_vccz .LBB489_1974
; %bb.1973:
	v_cmp_ne_u16_e64 s0, 11, v5
	s_mov_b32 s1, -1
.LBB489_1974:
	s_delay_alu instid0(VALU_DEP_1)
	s_and_b32 vcc_lo, exec_lo, s0
	s_cbranch_vccnz .LBB489_2161
; %bb.1975:
	s_and_not1_b32 vcc_lo, exec_lo, s1
	s_cbranch_vccnz .LBB489_1977
.LBB489_1976:
	v_and_b32_e32 v4, 0x7fff, v3
	s_mov_b32 s7, -1
	s_delay_alu instid0(VALU_DEP_1)
	v_cmp_ne_u16_e32 vcc_lo, 0, v4
	v_cndmask_b32_e64 v4, 0, 1, vcc_lo
	global_store_b8 v[1:2], v4, off
.LBB489_1977:
	s_mov_b32 s0, 0
.LBB489_1978:
	s_delay_alu instid0(SALU_CYCLE_1)
	s_and_b32 vcc_lo, exec_lo, s0
	s_cbranch_vccz .LBB489_2017
; %bb.1979:
	v_cmp_gt_i16_e32 vcc_lo, 5, v5
	s_mov_b32 s0, -1
	s_cbranch_vccnz .LBB489_2000
; %bb.1980:
	v_cmp_gt_i16_e32 vcc_lo, 8, v5
	s_cbranch_vccnz .LBB489_1990
; %bb.1981:
	v_cmp_gt_i16_e32 vcc_lo, 9, v5
	s_cbranch_vccnz .LBB489_1987
; %bb.1982:
	v_cmp_lt_i16_e32 vcc_lo, 9, v5
	s_cbranch_vccz .LBB489_1984
; %bb.1983:
	v_dual_mov_b32 v9, 0 :: v_dual_lshlrev_b32 v4, 16, v3
	s_mov_b32 s0, 0
	s_delay_alu instid0(VALU_DEP_1) | instskip(NEXT) | instid1(VALU_DEP_2)
	v_cvt_f64_f32_e32 v[7:8], v4
	v_mov_b32_e32 v10, v9
	global_store_b128 v[1:2], v[7:10], off
.LBB489_1984:
	s_and_not1_b32 vcc_lo, exec_lo, s0
	s_cbranch_vccnz .LBB489_1986
; %bb.1985:
	v_dual_mov_b32 v8, 0 :: v_dual_lshlrev_b32 v7, 16, v3
	global_store_b64 v[1:2], v[7:8], off
.LBB489_1986:
	s_mov_b32 s0, 0
.LBB489_1987:
	s_delay_alu instid0(SALU_CYCLE_1)
	s_and_not1_b32 vcc_lo, exec_lo, s0
	s_cbranch_vccnz .LBB489_1989
; %bb.1988:
	v_lshlrev_b32_e32 v4, 16, v3
	s_delay_alu instid0(VALU_DEP_1) | instskip(NEXT) | instid1(VALU_DEP_1)
	v_cvt_f16_f32_e32 v4, v4
	v_and_b32_e32 v4, 0xffff, v4
	global_store_b32 v[1:2], v4, off
.LBB489_1989:
	s_mov_b32 s0, 0
.LBB489_1990:
	s_delay_alu instid0(SALU_CYCLE_1)
	s_and_not1_b32 vcc_lo, exec_lo, s0
	s_cbranch_vccnz .LBB489_1999
; %bb.1991:
	v_cmp_gt_i16_e32 vcc_lo, 6, v5
	s_mov_b32 s0, -1
	s_cbranch_vccnz .LBB489_1997
; %bb.1992:
	v_cmp_lt_i16_e32 vcc_lo, 6, v5
	s_cbranch_vccz .LBB489_1994
; %bb.1993:
	v_lshlrev_b32_e32 v4, 16, v3
	s_mov_b32 s0, 0
	s_delay_alu instid0(VALU_DEP_1)
	v_cvt_f64_f32_e32 v[7:8], v4
	global_store_b64 v[1:2], v[7:8], off
.LBB489_1994:
	s_and_not1_b32 vcc_lo, exec_lo, s0
	s_cbranch_vccnz .LBB489_1996
; %bb.1995:
	v_lshlrev_b32_e32 v4, 16, v3
	global_store_b32 v[1:2], v4, off
.LBB489_1996:
	s_mov_b32 s0, 0
.LBB489_1997:
	s_delay_alu instid0(SALU_CYCLE_1)
	s_and_not1_b32 vcc_lo, exec_lo, s0
	s_cbranch_vccnz .LBB489_1999
; %bb.1998:
	v_lshlrev_b32_e32 v4, 16, v3
	s_delay_alu instid0(VALU_DEP_1)
	v_cvt_f16_f32_e32 v4, v4
	global_store_b16 v[1:2], v4, off
.LBB489_1999:
	s_mov_b32 s0, 0
.LBB489_2000:
	s_delay_alu instid0(SALU_CYCLE_1)
	s_and_not1_b32 vcc_lo, exec_lo, s0
	s_cbranch_vccnz .LBB489_2016
; %bb.2001:
	v_cmp_gt_i16_e32 vcc_lo, 2, v5
	s_mov_b32 s0, -1
	s_cbranch_vccnz .LBB489_2011
; %bb.2002:
	v_cmp_gt_i16_e32 vcc_lo, 3, v5
	s_cbranch_vccnz .LBB489_2008
; %bb.2003:
	v_cmp_lt_i16_e32 vcc_lo, 3, v5
	s_cbranch_vccz .LBB489_2005
; %bb.2004:
	v_lshlrev_b32_e32 v4, 16, v3
	s_mov_b32 s0, 0
	s_delay_alu instid0(VALU_DEP_1) | instskip(NEXT) | instid1(VALU_DEP_1)
	v_trunc_f32_e32 v4, v4
	v_mul_f32_e64 v7, 0x2f800000, |v4|
	s_delay_alu instid0(VALU_DEP_1) | instskip(NEXT) | instid1(VALU_DEP_1)
	v_floor_f32_e32 v7, v7
	v_fma_f32 v8, 0xcf800000, v7, |v4|
	v_ashrrev_i32_e32 v4, 31, v4
	v_cvt_u32_f32_e32 v7, v7
	s_delay_alu instid0(VALU_DEP_3) | instskip(NEXT) | instid1(VALU_DEP_2)
	v_cvt_u32_f32_e32 v8, v8
	v_xor_b32_e32 v9, v7, v4
	s_delay_alu instid0(VALU_DEP_2) | instskip(NEXT) | instid1(VALU_DEP_1)
	v_xor_b32_e32 v8, v8, v4
	v_sub_co_u32 v7, vcc_lo, v8, v4
	s_delay_alu instid0(VALU_DEP_3)
	v_sub_co_ci_u32_e32 v8, vcc_lo, v9, v4, vcc_lo
	global_store_b64 v[1:2], v[7:8], off
.LBB489_2005:
	s_and_not1_b32 vcc_lo, exec_lo, s0
	s_cbranch_vccnz .LBB489_2007
; %bb.2006:
	v_lshlrev_b32_e32 v4, 16, v3
	s_delay_alu instid0(VALU_DEP_1)
	v_cvt_i32_f32_e32 v4, v4
	global_store_b32 v[1:2], v4, off
.LBB489_2007:
	s_mov_b32 s0, 0
.LBB489_2008:
	s_delay_alu instid0(SALU_CYCLE_1)
	s_and_not1_b32 vcc_lo, exec_lo, s0
	s_cbranch_vccnz .LBB489_2010
; %bb.2009:
	v_lshlrev_b32_e32 v4, 16, v3
	s_delay_alu instid0(VALU_DEP_1)
	v_cvt_i32_f32_e32 v4, v4
	global_store_b16 v[1:2], v4, off
.LBB489_2010:
	s_mov_b32 s0, 0
.LBB489_2011:
	s_delay_alu instid0(SALU_CYCLE_1)
	s_and_not1_b32 vcc_lo, exec_lo, s0
	s_cbranch_vccnz .LBB489_2016
; %bb.2012:
	v_cmp_lt_i16_e32 vcc_lo, 0, v5
	v_lshlrev_b32_e32 v3, 16, v3
	s_mov_b32 s0, -1
	s_cbranch_vccz .LBB489_2014
; %bb.2013:
	s_delay_alu instid0(VALU_DEP_1)
	v_cvt_i32_f32_e32 v4, v3
	s_mov_b32 s0, 0
	global_store_b8 v[1:2], v4, off
.LBB489_2014:
	s_and_not1_b32 vcc_lo, exec_lo, s0
	s_cbranch_vccnz .LBB489_2016
; %bb.2015:
	v_trunc_f32_e32 v3, v3
	s_delay_alu instid0(VALU_DEP_1) | instskip(NEXT) | instid1(VALU_DEP_1)
	v_mul_f32_e64 v4, 0x2f800000, |v3|
	v_floor_f32_e32 v4, v4
	s_delay_alu instid0(VALU_DEP_1) | instskip(SKIP_1) | instid1(VALU_DEP_2)
	v_fma_f32 v4, 0xcf800000, v4, |v3|
	v_ashrrev_i32_e32 v3, 31, v3
	v_cvt_u32_f32_e32 v4, v4
	s_delay_alu instid0(VALU_DEP_1) | instskip(NEXT) | instid1(VALU_DEP_1)
	v_xor_b32_e32 v4, v4, v3
	v_sub_nc_u32_e32 v3, v4, v3
	global_store_b8 v[1:2], v3, off
.LBB489_2016:
	s_mov_b32 s7, -1
.LBB489_2017:
	s_delay_alu instid0(SALU_CYCLE_1)
	s_and_not1_b32 vcc_lo, exec_lo, s7
	s_cbranch_vccnz .LBB489_2094
; %bb.2018:
	v_lshlrev_b32_e32 v1, 16, v6
	v_cmp_gt_i16_e32 vcc_lo, 11, v5
	s_mov_b32 s7, 0
	s_delay_alu instid0(VALU_DEP_2) | instskip(SKIP_2) | instid1(VALU_DEP_1)
	v_cmp_u_f32_e64 s0, v1, v1
	v_cmp_gt_f32_e64 s1, s3, v1
	v_add_co_u32 v0, s3, s4, v0
	v_add_co_ci_u32_e64 v1, null, s5, 0, s3
	s_delay_alu instid0(VALU_DEP_3) | instskip(NEXT) | instid1(SALU_CYCLE_1)
	s_or_b32 s0, s0, s1
	v_cndmask_b32_e64 v2, s6, v6, s0
	s_mov_b32 s0, -1
	s_cbranch_vccnz .LBB489_2095
; %bb.2019:
	v_cmp_lt_i16_e32 vcc_lo, 25, v5
	s_mov_b32 s1, -1
	s_mov_b32 s0, 0
	s_cbranch_vccz .LBB489_2052
; %bb.2020:
	v_cmp_lt_i16_e32 vcc_lo, 28, v5
	s_cbranch_vccz .LBB489_2036
; %bb.2021:
	v_cmp_lt_i16_e32 vcc_lo, 43, v5
	;; [unrolled: 3-line block ×3, first 2 shown]
	s_cbranch_vccz .LBB489_2026
; %bb.2023:
	v_cmp_eq_u16_e32 vcc_lo, 46, v5
	s_mov_b32 s0, -1
	s_cbranch_vccz .LBB489_2025
; %bb.2024:
	v_and_b32_e32 v3, 0xffff, v2
	s_mov_b32 s0, 0
	global_store_b32 v[0:1], v3, off
.LBB489_2025:
	s_mov_b32 s1, 0
.LBB489_2026:
	s_delay_alu instid0(SALU_CYCLE_1)
	s_and_b32 vcc_lo, exec_lo, s1
	s_cbranch_vccz .LBB489_2031
; %bb.2027:
	v_cmp_eq_u16_e32 vcc_lo, 44, v5
	s_mov_b32 s0, -1
	s_cbranch_vccz .LBB489_2031
; %bb.2028:
	v_and_b32_e32 v3, 0xffff, v2
	v_mov_b32_e32 v4, 0xff
	s_mov_b32 s1, exec_lo
	s_delay_alu instid0(VALU_DEP_2) | instskip(NEXT) | instid1(VALU_DEP_1)
	v_bfe_u32 v6, v3, 7, 8
	v_cmpx_ne_u32_e32 0xff, v6
; %bb.2029:
	v_lshlrev_b32_e32 v4, 16, v3
	v_and_b32_e32 v7, 64, v3
	v_lshrrev_b32_e32 v3, 7, v3
	s_delay_alu instid0(VALU_DEP_3) | instskip(NEXT) | instid1(VALU_DEP_3)
	v_and_or_b32 v4, 0x3f0000, v4, v6
	v_cmp_ne_u32_e32 vcc_lo, 0, v7
	s_delay_alu instid0(VALU_DEP_2) | instskip(NEXT) | instid1(VALU_DEP_1)
	v_cmp_ne_u32_e64 s0, 0, v4
	s_and_b32 s0, vcc_lo, s0
	s_delay_alu instid0(SALU_CYCLE_1) | instskip(NEXT) | instid1(VALU_DEP_1)
	v_cndmask_b32_e64 v4, 0, 1, s0
	v_add_nc_u32_e32 v4, v3, v4
; %bb.2030:
	s_or_b32 exec_lo, exec_lo, s1
	s_mov_b32 s0, 0
	global_store_b8 v[0:1], v4, off
.LBB489_2031:
	s_mov_b32 s1, 0
.LBB489_2032:
	s_delay_alu instid0(SALU_CYCLE_1)
	s_and_b32 vcc_lo, exec_lo, s1
	s_cbranch_vccz .LBB489_2035
; %bb.2033:
	v_cmp_eq_u16_e32 vcc_lo, 29, v5
	s_mov_b32 s0, -1
	s_cbranch_vccz .LBB489_2035
; %bb.2034:
	v_lshlrev_b32_e32 v3, 16, v2
	s_mov_b32 s0, 0
	s_delay_alu instid0(VALU_DEP_1) | instskip(NEXT) | instid1(VALU_DEP_1)
	v_trunc_f32_e32 v3, v3
	v_mul_f32_e32 v4, 0x2f800000, v3
	s_delay_alu instid0(VALU_DEP_1) | instskip(NEXT) | instid1(VALU_DEP_1)
	v_floor_f32_e32 v4, v4
	v_fmamk_f32 v3, v4, 0xcf800000, v3
	v_cvt_u32_f32_e32 v4, v4
	s_delay_alu instid0(VALU_DEP_2)
	v_cvt_u32_f32_e32 v3, v3
	global_store_b64 v[0:1], v[3:4], off
.LBB489_2035:
	s_mov_b32 s1, 0
.LBB489_2036:
	s_delay_alu instid0(SALU_CYCLE_1)
	s_and_b32 vcc_lo, exec_lo, s1
	s_cbranch_vccz .LBB489_2051
; %bb.2037:
	v_cmp_gt_i16_e32 vcc_lo, 27, v5
	s_mov_b32 s1, -1
	s_cbranch_vccnz .LBB489_2043
; %bb.2038:
	v_cmp_lt_i16_e32 vcc_lo, 27, v5
	s_cbranch_vccz .LBB489_2040
; %bb.2039:
	v_lshlrev_b32_e32 v3, 16, v2
	s_mov_b32 s1, 0
	s_delay_alu instid0(VALU_DEP_1)
	v_cvt_u32_f32_e32 v3, v3
	global_store_b32 v[0:1], v3, off
.LBB489_2040:
	s_and_not1_b32 vcc_lo, exec_lo, s1
	s_cbranch_vccnz .LBB489_2042
; %bb.2041:
	v_lshlrev_b32_e32 v3, 16, v2
	s_delay_alu instid0(VALU_DEP_1)
	v_cvt_u32_f32_e32 v3, v3
	global_store_b16 v[0:1], v3, off
.LBB489_2042:
	s_mov_b32 s1, 0
.LBB489_2043:
	s_delay_alu instid0(SALU_CYCLE_1)
	s_and_not1_b32 vcc_lo, exec_lo, s1
	s_cbranch_vccnz .LBB489_2051
; %bb.2044:
	v_dual_mov_b32 v7, 0x80 :: v_dual_lshlrev_b32 v6, 16, v2
	s_mov_b32 s1, exec_lo
	s_delay_alu instid0(VALU_DEP_1) | instskip(NEXT) | instid1(VALU_DEP_1)
	v_and_b32_e32 v4, 0x7fffffff, v6
	v_cmpx_gt_u32_e32 0x43800000, v4
	s_cbranch_execz .LBB489_2050
; %bb.2045:
	v_and_b32_e32 v3, 0xffff, v2
	v_cmp_lt_u32_e32 vcc_lo, 0x3bffffff, v4
	s_mov_b32 s3, 0
                                        ; implicit-def: $vgpr4
	s_and_saveexec_b32 s4, vcc_lo
	s_delay_alu instid0(SALU_CYCLE_1)
	s_xor_b32 s4, exec_lo, s4
	s_cbranch_execz .LBB489_2165
; %bb.2046:
	v_bfe_u32 v4, v3, 4, 1
	s_mov_b32 s3, exec_lo
	s_delay_alu instid0(VALU_DEP_1) | instskip(NEXT) | instid1(VALU_DEP_1)
	v_add3_u32 v4, v6, v4, 0x487ffff
                                        ; implicit-def: $vgpr6
	v_lshrrev_b32_e32 v4, 20, v4
	s_or_saveexec_b32 s4, s4
                                        ; implicit-def: $sgpr5
	s_delay_alu instid0(SALU_CYCLE_1)
	s_xor_b32 exec_lo, exec_lo, s4
	s_cbranch_execnz .LBB489_2166
.LBB489_2047:
	s_or_b32 exec_lo, exec_lo, s4
	v_mov_b32_e32 v7, s5
	s_and_saveexec_b32 s4, s3
.LBB489_2048:
	v_lshrrev_b32_e32 v3, 8, v3
	s_delay_alu instid0(VALU_DEP_1)
	v_and_or_b32 v7, 0x80, v3, v4
.LBB489_2049:
	s_or_b32 exec_lo, exec_lo, s4
.LBB489_2050:
	s_delay_alu instid0(SALU_CYCLE_1)
	s_or_b32 exec_lo, exec_lo, s1
	global_store_b8 v[0:1], v7, off
.LBB489_2051:
	s_mov_b32 s1, 0
.LBB489_2052:
	s_delay_alu instid0(SALU_CYCLE_1)
	s_and_b32 vcc_lo, exec_lo, s1
	s_cbranch_vccz .LBB489_2092
; %bb.2053:
	v_cmp_lt_i16_e32 vcc_lo, 22, v5
	s_mov_b32 s1, -1
	s_cbranch_vccz .LBB489_2085
; %bb.2054:
	v_cmp_gt_i16_e32 vcc_lo, 24, v5
	s_cbranch_vccnz .LBB489_2074
; %bb.2055:
	v_cmp_lt_i16_e32 vcc_lo, 24, v5
	s_cbranch_vccz .LBB489_2063
; %bb.2056:
	v_dual_mov_b32 v7, 0x80 :: v_dual_lshlrev_b32 v6, 16, v2
	s_mov_b32 s1, exec_lo
	s_delay_alu instid0(VALU_DEP_1) | instskip(NEXT) | instid1(VALU_DEP_1)
	v_and_b32_e32 v4, 0x7fffffff, v6
	v_cmpx_gt_u32_e32 0x47800000, v4
	s_cbranch_execz .LBB489_2062
; %bb.2057:
	v_and_b32_e32 v3, 0xffff, v2
	v_cmp_lt_u32_e32 vcc_lo, 0x37ffffff, v4
	s_mov_b32 s3, 0
                                        ; implicit-def: $vgpr4
	s_and_saveexec_b32 s4, vcc_lo
	s_delay_alu instid0(SALU_CYCLE_1)
	s_xor_b32 s4, exec_lo, s4
	s_cbranch_execz .LBB489_2171
; %bb.2058:
	v_bfe_u32 v4, v3, 5, 1
	s_mov_b32 s3, exec_lo
	s_delay_alu instid0(VALU_DEP_1) | instskip(NEXT) | instid1(VALU_DEP_1)
	v_add3_u32 v4, v6, v4, 0x88fffff
                                        ; implicit-def: $vgpr6
	v_lshrrev_b32_e32 v4, 21, v4
	s_or_saveexec_b32 s4, s4
                                        ; implicit-def: $sgpr5
	s_delay_alu instid0(SALU_CYCLE_1)
	s_xor_b32 exec_lo, exec_lo, s4
	s_cbranch_execnz .LBB489_2172
.LBB489_2059:
	s_or_b32 exec_lo, exec_lo, s4
	v_mov_b32_e32 v7, s5
	s_and_saveexec_b32 s4, s3
.LBB489_2060:
	v_lshrrev_b32_e32 v3, 8, v3
	s_delay_alu instid0(VALU_DEP_1)
	v_and_or_b32 v7, 0x80, v3, v4
.LBB489_2061:
	s_or_b32 exec_lo, exec_lo, s4
.LBB489_2062:
	s_delay_alu instid0(SALU_CYCLE_1)
	s_or_b32 exec_lo, exec_lo, s1
	s_mov_b32 s1, 0
	global_store_b8 v[0:1], v7, off
.LBB489_2063:
	s_and_b32 vcc_lo, exec_lo, s1
	s_cbranch_vccz .LBB489_2073
; %bb.2064:
	v_lshlrev_b32_e32 v6, 16, v2
	v_and_b32_e32 v3, 0xffff, v2
	s_mov_b32 s1, exec_lo
                                        ; implicit-def: $vgpr4
	s_delay_alu instid0(VALU_DEP_2) | instskip(NEXT) | instid1(VALU_DEP_1)
	v_and_b32_e32 v7, 0x7fffffff, v6
	v_cmpx_gt_u32_e32 0x43f00000, v7
	s_xor_b32 s1, exec_lo, s1
	s_cbranch_execz .LBB489_2070
; %bb.2065:
	s_mov_b32 s3, exec_lo
                                        ; implicit-def: $vgpr4
	v_cmpx_lt_u32_e32 0x3c7fffff, v7
	s_xor_b32 s3, exec_lo, s3
; %bb.2066:
	v_bfe_u32 v4, v3, 4, 1
	s_delay_alu instid0(VALU_DEP_1) | instskip(NEXT) | instid1(VALU_DEP_1)
	v_add3_u32 v4, v6, v4, 0x407ffff
	v_and_b32_e32 v6, 0xff00000, v4
	v_lshrrev_b32_e32 v4, 20, v4
	s_delay_alu instid0(VALU_DEP_2) | instskip(NEXT) | instid1(VALU_DEP_2)
	v_cmp_ne_u32_e32 vcc_lo, 0x7f00000, v6
                                        ; implicit-def: $vgpr6
	v_cndmask_b32_e32 v4, 0x7e, v4, vcc_lo
; %bb.2067:
	s_and_not1_saveexec_b32 s3, s3
; %bb.2068:
	v_add_f32_e64 v4, 0x46800000, |v6|
; %bb.2069:
	s_or_b32 exec_lo, exec_lo, s3
                                        ; implicit-def: $vgpr7
.LBB489_2070:
	s_and_not1_saveexec_b32 s1, s1
; %bb.2071:
	v_mov_b32_e32 v4, 0x7f
	v_cmp_lt_u32_e32 vcc_lo, 0x7f800000, v7
	s_delay_alu instid0(VALU_DEP_2)
	v_cndmask_b32_e32 v4, 0x7e, v4, vcc_lo
; %bb.2072:
	s_or_b32 exec_lo, exec_lo, s1
	v_lshrrev_b32_e32 v3, 8, v3
	s_delay_alu instid0(VALU_DEP_1)
	v_and_or_b32 v3, 0x80, v3, v4
	global_store_b8 v[0:1], v3, off
.LBB489_2073:
	s_mov_b32 s1, 0
.LBB489_2074:
	s_delay_alu instid0(SALU_CYCLE_1)
	s_and_not1_b32 vcc_lo, exec_lo, s1
	s_cbranch_vccnz .LBB489_2084
; %bb.2075:
	v_lshlrev_b32_e32 v6, 16, v2
	v_and_b32_e32 v3, 0xffff, v2
	s_mov_b32 s1, exec_lo
                                        ; implicit-def: $vgpr4
	s_delay_alu instid0(VALU_DEP_2) | instskip(NEXT) | instid1(VALU_DEP_1)
	v_and_b32_e32 v7, 0x7fffffff, v6
	v_cmpx_gt_u32_e32 0x47800000, v7
	s_xor_b32 s1, exec_lo, s1
	s_cbranch_execz .LBB489_2081
; %bb.2076:
	s_mov_b32 s3, exec_lo
                                        ; implicit-def: $vgpr4
	v_cmpx_lt_u32_e32 0x387fffff, v7
	s_xor_b32 s3, exec_lo, s3
; %bb.2077:
	v_bfe_u32 v4, v3, 5, 1
	s_delay_alu instid0(VALU_DEP_1) | instskip(NEXT) | instid1(VALU_DEP_1)
	v_add3_u32 v4, v6, v4, 0x80fffff
                                        ; implicit-def: $vgpr6
	v_lshrrev_b32_e32 v4, 21, v4
; %bb.2078:
	s_and_not1_saveexec_b32 s3, s3
; %bb.2079:
	v_add_f32_e64 v4, 0x43000000, |v6|
; %bb.2080:
	s_or_b32 exec_lo, exec_lo, s3
                                        ; implicit-def: $vgpr7
.LBB489_2081:
	s_and_not1_saveexec_b32 s1, s1
; %bb.2082:
	v_mov_b32_e32 v4, 0x7f
	v_cmp_lt_u32_e32 vcc_lo, 0x7f800000, v7
	s_delay_alu instid0(VALU_DEP_2)
	v_cndmask_b32_e32 v4, 0x7c, v4, vcc_lo
; %bb.2083:
	s_or_b32 exec_lo, exec_lo, s1
	v_lshrrev_b32_e32 v3, 8, v3
	s_delay_alu instid0(VALU_DEP_1)
	v_and_or_b32 v3, 0x80, v3, v4
	global_store_b8 v[0:1], v3, off
.LBB489_2084:
	s_mov_b32 s1, 0
.LBB489_2085:
	s_delay_alu instid0(SALU_CYCLE_1)
	s_and_not1_b32 vcc_lo, exec_lo, s1
	s_cbranch_vccnz .LBB489_2092
; %bb.2086:
	v_cmp_lt_i16_e32 vcc_lo, 14, v5
	s_mov_b32 s1, -1
	s_cbranch_vccz .LBB489_2090
; %bb.2087:
	v_cmp_eq_u16_e32 vcc_lo, 15, v5
	s_mov_b32 s0, -1
	s_cbranch_vccz .LBB489_2089
; %bb.2088:
	s_mov_b32 s0, 0
	global_store_b16 v[0:1], v2, off
.LBB489_2089:
	s_mov_b32 s1, 0
.LBB489_2090:
	s_delay_alu instid0(SALU_CYCLE_1)
	s_and_b32 vcc_lo, exec_lo, s1
	s_cbranch_vccz .LBB489_2092
; %bb.2091:
	v_cmp_ne_u16_e64 s0, 11, v5
	s_mov_b32 s7, -1
.LBB489_2092:
	s_delay_alu instid0(VALU_DEP_1)
	s_and_b32 vcc_lo, exec_lo, s0
	s_cbranch_vccnz .LBB489_2169
.LBB489_2093:
	s_mov_b32 s0, 0
	s_branch .LBB489_2095
.LBB489_2094:
	s_mov_b32 s0, 0
	s_mov_b32 s7, 0
                                        ; implicit-def: $vgpr0_vgpr1
                                        ; implicit-def: $vgpr5
                                        ; implicit-def: $vgpr2
.LBB489_2095:
	s_and_b32 s3, s0, exec_lo
	s_and_not1_b32 s0, s8, exec_lo
	s_and_b32 s1, s2, exec_lo
	s_and_b32 s26, s7, exec_lo
	s_or_b32 s8, s0, s1
.LBB489_2096:
	s_or_b32 exec_lo, exec_lo, s9
	s_and_saveexec_b32 s0, s8
	s_cbranch_execz .LBB489_2099
; %bb.2097:
	; divergent unreachable
	s_or_b32 exec_lo, exec_lo, s0
	s_and_saveexec_b32 s0, s26
	s_delay_alu instid0(SALU_CYCLE_1)
	s_xor_b32 s0, exec_lo, s0
	s_cbranch_execnz .LBB489_2100
.LBB489_2098:
	s_or_b32 exec_lo, exec_lo, s0
	s_and_saveexec_b32 s0, s3
	s_cbranch_execnz .LBB489_2101
	s_branch .LBB489_2138
.LBB489_2099:
	s_or_b32 exec_lo, exec_lo, s0
	s_and_saveexec_b32 s0, s26
	s_delay_alu instid0(SALU_CYCLE_1)
	s_xor_b32 s0, exec_lo, s0
	s_cbranch_execz .LBB489_2098
.LBB489_2100:
	s_waitcnt vmcnt(0)
	v_and_b32_e32 v3, 0x7fff, v2
	s_delay_alu instid0(VALU_DEP_1)
	v_cmp_ne_u16_e32 vcc_lo, 0, v3
	v_cndmask_b32_e64 v3, 0, 1, vcc_lo
	global_store_b8 v[0:1], v3, off
	s_or_b32 exec_lo, exec_lo, s0
	s_and_saveexec_b32 s0, s3
	s_cbranch_execz .LBB489_2138
.LBB489_2101:
	s_waitcnt vmcnt(0)
	v_cmp_gt_i16_e32 vcc_lo, 5, v5
	s_mov_b32 s0, -1
	s_cbranch_vccnz .LBB489_2122
; %bb.2102:
	v_cmp_gt_i16_e32 vcc_lo, 8, v5
	s_cbranch_vccnz .LBB489_2112
; %bb.2103:
	v_cmp_gt_i16_e32 vcc_lo, 9, v5
	s_cbranch_vccnz .LBB489_2109
; %bb.2104:
	v_cmp_lt_i16_e32 vcc_lo, 9, v5
	s_cbranch_vccz .LBB489_2106
; %bb.2105:
	v_dual_mov_b32 v8, 0 :: v_dual_lshlrev_b32 v3, 16, v2
	s_mov_b32 s0, 0
	s_delay_alu instid0(VALU_DEP_1) | instskip(NEXT) | instid1(VALU_DEP_2)
	v_cvt_f64_f32_e32 v[6:7], v3
	v_mov_b32_e32 v9, v8
	global_store_b128 v[0:1], v[6:9], off
.LBB489_2106:
	s_and_not1_b32 vcc_lo, exec_lo, s0
	s_cbranch_vccnz .LBB489_2108
; %bb.2107:
	v_dual_mov_b32 v4, 0 :: v_dual_lshlrev_b32 v3, 16, v2
	global_store_b64 v[0:1], v[3:4], off
.LBB489_2108:
	s_mov_b32 s0, 0
.LBB489_2109:
	s_delay_alu instid0(SALU_CYCLE_1)
	s_and_not1_b32 vcc_lo, exec_lo, s0
	s_cbranch_vccnz .LBB489_2111
; %bb.2110:
	v_lshlrev_b32_e32 v3, 16, v2
	s_delay_alu instid0(VALU_DEP_1) | instskip(NEXT) | instid1(VALU_DEP_1)
	v_cvt_f16_f32_e32 v3, v3
	v_and_b32_e32 v3, 0xffff, v3
	global_store_b32 v[0:1], v3, off
.LBB489_2111:
	s_mov_b32 s0, 0
.LBB489_2112:
	s_delay_alu instid0(SALU_CYCLE_1)
	s_and_not1_b32 vcc_lo, exec_lo, s0
	s_cbranch_vccnz .LBB489_2121
; %bb.2113:
	v_cmp_gt_i16_e32 vcc_lo, 6, v5
	s_mov_b32 s0, -1
	s_cbranch_vccnz .LBB489_2119
; %bb.2114:
	v_cmp_lt_i16_e32 vcc_lo, 6, v5
	s_cbranch_vccz .LBB489_2116
; %bb.2115:
	v_lshlrev_b32_e32 v3, 16, v2
	s_mov_b32 s0, 0
	s_delay_alu instid0(VALU_DEP_1)
	v_cvt_f64_f32_e32 v[3:4], v3
	global_store_b64 v[0:1], v[3:4], off
.LBB489_2116:
	s_and_not1_b32 vcc_lo, exec_lo, s0
	s_cbranch_vccnz .LBB489_2118
; %bb.2117:
	v_lshlrev_b32_e32 v3, 16, v2
	global_store_b32 v[0:1], v3, off
.LBB489_2118:
	s_mov_b32 s0, 0
.LBB489_2119:
	s_delay_alu instid0(SALU_CYCLE_1)
	s_and_not1_b32 vcc_lo, exec_lo, s0
	s_cbranch_vccnz .LBB489_2121
; %bb.2120:
	v_lshlrev_b32_e32 v3, 16, v2
	s_delay_alu instid0(VALU_DEP_1)
	v_cvt_f16_f32_e32 v3, v3
	global_store_b16 v[0:1], v3, off
.LBB489_2121:
	s_mov_b32 s0, 0
.LBB489_2122:
	s_delay_alu instid0(SALU_CYCLE_1)
	s_and_not1_b32 vcc_lo, exec_lo, s0
	s_cbranch_vccnz .LBB489_2138
; %bb.2123:
	v_cmp_gt_i16_e32 vcc_lo, 2, v5
	s_mov_b32 s0, -1
	s_cbranch_vccnz .LBB489_2133
; %bb.2124:
	v_cmp_gt_i16_e32 vcc_lo, 3, v5
	s_cbranch_vccnz .LBB489_2130
; %bb.2125:
	v_cmp_lt_i16_e32 vcc_lo, 3, v5
	s_cbranch_vccz .LBB489_2127
; %bb.2126:
	v_lshlrev_b32_e32 v3, 16, v2
	s_mov_b32 s0, 0
	s_delay_alu instid0(VALU_DEP_1) | instskip(NEXT) | instid1(VALU_DEP_1)
	v_trunc_f32_e32 v3, v3
	v_mul_f32_e64 v4, 0x2f800000, |v3|
	v_ashrrev_i32_e32 v7, 31, v3
	s_delay_alu instid0(VALU_DEP_2) | instskip(NEXT) | instid1(VALU_DEP_1)
	v_floor_f32_e32 v4, v4
	v_fma_f32 v6, 0xcf800000, v4, |v3|
	v_cvt_u32_f32_e32 v4, v4
	s_delay_alu instid0(VALU_DEP_2) | instskip(NEXT) | instid1(VALU_DEP_2)
	v_cvt_u32_f32_e32 v3, v6
	v_xor_b32_e32 v4, v4, v7
	s_delay_alu instid0(VALU_DEP_2) | instskip(NEXT) | instid1(VALU_DEP_1)
	v_xor_b32_e32 v3, v3, v7
	v_sub_co_u32 v3, vcc_lo, v3, v7
	s_delay_alu instid0(VALU_DEP_3)
	v_sub_co_ci_u32_e32 v4, vcc_lo, v4, v7, vcc_lo
	global_store_b64 v[0:1], v[3:4], off
.LBB489_2127:
	s_and_not1_b32 vcc_lo, exec_lo, s0
	s_cbranch_vccnz .LBB489_2129
; %bb.2128:
	v_lshlrev_b32_e32 v3, 16, v2
	s_delay_alu instid0(VALU_DEP_1)
	v_cvt_i32_f32_e32 v3, v3
	global_store_b32 v[0:1], v3, off
.LBB489_2129:
	s_mov_b32 s0, 0
.LBB489_2130:
	s_delay_alu instid0(SALU_CYCLE_1)
	s_and_not1_b32 vcc_lo, exec_lo, s0
	s_cbranch_vccnz .LBB489_2132
; %bb.2131:
	v_lshlrev_b32_e32 v3, 16, v2
	s_delay_alu instid0(VALU_DEP_1)
	v_cvt_i32_f32_e32 v3, v3
	global_store_b16 v[0:1], v3, off
.LBB489_2132:
	s_mov_b32 s0, 0
.LBB489_2133:
	s_delay_alu instid0(SALU_CYCLE_1)
	s_and_not1_b32 vcc_lo, exec_lo, s0
	s_cbranch_vccnz .LBB489_2138
; %bb.2134:
	v_cmp_lt_i16_e32 vcc_lo, 0, v5
	v_lshlrev_b32_e32 v2, 16, v2
	s_mov_b32 s0, -1
	s_cbranch_vccz .LBB489_2136
; %bb.2135:
	s_delay_alu instid0(VALU_DEP_1)
	v_cvt_i32_f32_e32 v3, v2
	s_mov_b32 s0, 0
	global_store_b8 v[0:1], v3, off
.LBB489_2136:
	s_and_not1_b32 vcc_lo, exec_lo, s0
	s_cbranch_vccnz .LBB489_2138
; %bb.2137:
	v_trunc_f32_e32 v2, v2
	s_delay_alu instid0(VALU_DEP_1) | instskip(NEXT) | instid1(VALU_DEP_1)
	v_mul_f32_e64 v3, 0x2f800000, |v2|
	v_floor_f32_e32 v3, v3
	s_delay_alu instid0(VALU_DEP_1) | instskip(SKIP_1) | instid1(VALU_DEP_2)
	v_fma_f32 v3, 0xcf800000, v3, |v2|
	v_ashrrev_i32_e32 v2, 31, v2
	v_cvt_u32_f32_e32 v3, v3
	s_delay_alu instid0(VALU_DEP_1) | instskip(NEXT) | instid1(VALU_DEP_1)
	v_xor_b32_e32 v3, v3, v2
	v_sub_nc_u32_e32 v2, v3, v2
	global_store_b8 v[0:1], v2, off
	s_nop 0
	s_sendmsg sendmsg(MSG_DEALLOC_VGPRS)
	s_endpgm
.LBB489_2138:
	s_nop 0
	s_sendmsg sendmsg(MSG_DEALLOC_VGPRS)
	s_endpgm
.LBB489_2139:
	s_cbranch_execnz .LBB489_2143
; %bb.2140:
	s_or_b32 s2, s2, exec_lo
                                        ; implicit-def: $vgpr6
	s_cbranch_execz .LBB489_1612
	s_branch .LBB489_1613
.LBB489_2141:
	s_or_saveexec_b32 s11, s11
                                        ; implicit-def: $sgpr12
	s_delay_alu instid0(SALU_CYCLE_1)
	s_xor_b32 exec_lo, exec_lo, s11
	s_cbranch_execz .LBB489_1692
.LBB489_2142:
	v_add_f32_e64 v11, 0x46000000, |v12|
	s_and_not1_b32 s10, s10, exec_lo
	s_mov_b32 s12, 0
	s_delay_alu instid0(VALU_DEP_1) | instskip(NEXT) | instid1(VALU_DEP_1)
	v_and_b32_e32 v11, 0xff, v11
	v_cmp_ne_u32_e32 vcc_lo, 0, v11
	s_and_b32 s13, vcc_lo, exec_lo
	s_delay_alu instid0(SALU_CYCLE_1)
	s_or_b32 s10, s10, s13
	s_or_b32 exec_lo, exec_lo, s11
	v_mov_b32_e32 v13, s12
	s_and_saveexec_b32 s11, s10
	s_cbranch_execnz .LBB489_1693
	s_branch .LBB489_1694
.LBB489_2143:
	s_trap 2
	s_sendmsg_rtn_b32 s0, sendmsg(MSG_RTN_GET_DOORBELL)
	s_mov_b32 ttmp2, m0
	s_waitcnt lgkmcnt(0)
	s_and_b32 s0, s0, 0x3ff
	s_delay_alu instid0(SALU_CYCLE_1) | instskip(NEXT) | instid1(SALU_CYCLE_1)
	s_bitset1_b32 s0, 10
	s_mov_b32 m0, s0
	s_sendmsg sendmsg(MSG_INTERRUPT)
	s_mov_b32 m0, ttmp2
.LBB489_2144:                           ; =>This Inner Loop Header: Depth=1
	s_sethalt 5
	s_branch .LBB489_2144
.LBB489_2145:
	s_cbranch_execnz .LBB489_2151
; %bb.2146:
	s_or_b32 s2, s2, exec_lo
	s_cbranch_execz .LBB489_1740
	s_branch .LBB489_1741
.LBB489_2147:
	s_or_saveexec_b32 s10, s10
                                        ; implicit-def: $sgpr11
	s_delay_alu instid0(SALU_CYCLE_1)
	s_xor_b32 exec_lo, exec_lo, s10
	s_cbranch_execz .LBB489_1705
.LBB489_2148:
	v_add_f32_e64 v11, 0x42800000, |v12|
	s_and_not1_b32 s7, s7, exec_lo
	s_mov_b32 s11, 0
	s_delay_alu instid0(VALU_DEP_1) | instskip(NEXT) | instid1(VALU_DEP_1)
	v_and_b32_e32 v11, 0xff, v11
	v_cmp_ne_u32_e32 vcc_lo, 0, v11
	s_and_b32 s12, vcc_lo, exec_lo
	s_delay_alu instid0(SALU_CYCLE_1)
	s_or_b32 s7, s7, s12
	s_or_b32 exec_lo, exec_lo, s10
	v_mov_b32_e32 v13, s11
	s_and_saveexec_b32 s10, s7
	s_cbranch_execnz .LBB489_1706
	s_branch .LBB489_1707
.LBB489_2149:
	s_or_saveexec_b32 s11, s11
                                        ; implicit-def: $sgpr12
	s_delay_alu instid0(SALU_CYCLE_1)
	s_xor_b32 exec_lo, exec_lo, s11
	s_cbranch_execz .LBB489_1810
.LBB489_2150:
	v_add_f32_e64 v9, 0x46000000, |v10|
	s_and_not1_b32 s10, s10, exec_lo
	s_mov_b32 s12, 0
	s_delay_alu instid0(VALU_DEP_1) | instskip(NEXT) | instid1(VALU_DEP_1)
	v_and_b32_e32 v9, 0xff, v9
	v_cmp_ne_u32_e32 vcc_lo, 0, v9
	s_and_b32 s13, vcc_lo, exec_lo
	s_delay_alu instid0(SALU_CYCLE_1)
	s_or_b32 s10, s10, s13
	s_or_b32 exec_lo, exec_lo, s11
	v_mov_b32_e32 v11, s12
	s_and_saveexec_b32 s11, s10
	s_cbranch_execnz .LBB489_1811
	s_branch .LBB489_1812
.LBB489_2151:
	s_trap 2
	s_sendmsg_rtn_b32 s0, sendmsg(MSG_RTN_GET_DOORBELL)
	s_mov_b32 ttmp2, m0
	s_waitcnt lgkmcnt(0)
	s_and_b32 s0, s0, 0x3ff
	s_delay_alu instid0(SALU_CYCLE_1) | instskip(NEXT) | instid1(SALU_CYCLE_1)
	s_bitset1_b32 s0, 10
	s_mov_b32 m0, s0
	s_sendmsg sendmsg(MSG_INTERRUPT)
	s_mov_b32 m0, ttmp2
.LBB489_2152:                           ; =>This Inner Loop Header: Depth=1
	s_sethalt 5
	s_branch .LBB489_2152
.LBB489_2153:
	s_cbranch_execnz .LBB489_2159
; %bb.2154:
	s_or_b32 s2, s2, exec_lo
	s_cbranch_execz .LBB489_1858
	s_branch .LBB489_1859
.LBB489_2155:
	s_or_saveexec_b32 s10, s10
                                        ; implicit-def: $sgpr11
	s_delay_alu instid0(SALU_CYCLE_1)
	s_xor_b32 exec_lo, exec_lo, s10
	s_cbranch_execz .LBB489_1823
.LBB489_2156:
	v_add_f32_e64 v9, 0x42800000, |v10|
	s_and_not1_b32 s7, s7, exec_lo
	s_mov_b32 s11, 0
	s_delay_alu instid0(VALU_DEP_1) | instskip(NEXT) | instid1(VALU_DEP_1)
	v_and_b32_e32 v9, 0xff, v9
	v_cmp_ne_u32_e32 vcc_lo, 0, v9
	s_and_b32 s12, vcc_lo, exec_lo
	s_delay_alu instid0(SALU_CYCLE_1)
	s_or_b32 s7, s7, s12
	s_or_b32 exec_lo, exec_lo, s10
	v_mov_b32_e32 v11, s11
	s_and_saveexec_b32 s10, s7
	s_cbranch_execnz .LBB489_1824
	s_branch .LBB489_1825
.LBB489_2157:
	s_or_saveexec_b32 s11, s11
                                        ; implicit-def: $sgpr12
	s_delay_alu instid0(SALU_CYCLE_1)
	s_xor_b32 exec_lo, exec_lo, s11
	s_cbranch_execz .LBB489_1928
.LBB489_2158:
	v_add_f32_e64 v7, 0x46000000, |v8|
	s_and_not1_b32 s10, s10, exec_lo
	s_mov_b32 s12, 0
	s_delay_alu instid0(VALU_DEP_1) | instskip(NEXT) | instid1(VALU_DEP_1)
	v_and_b32_e32 v7, 0xff, v7
	v_cmp_ne_u32_e32 vcc_lo, 0, v7
	s_and_b32 s13, vcc_lo, exec_lo
	s_delay_alu instid0(SALU_CYCLE_1)
	s_or_b32 s10, s10, s13
	s_or_b32 exec_lo, exec_lo, s11
	v_mov_b32_e32 v9, s12
	s_and_saveexec_b32 s11, s10
	s_cbranch_execnz .LBB489_1929
	s_branch .LBB489_1930
.LBB489_2159:
	s_trap 2
	s_sendmsg_rtn_b32 s0, sendmsg(MSG_RTN_GET_DOORBELL)
	s_mov_b32 ttmp2, m0
	s_waitcnt lgkmcnt(0)
	s_and_b32 s0, s0, 0x3ff
	s_delay_alu instid0(SALU_CYCLE_1) | instskip(NEXT) | instid1(SALU_CYCLE_1)
	s_bitset1_b32 s0, 10
	s_mov_b32 m0, s0
	s_sendmsg sendmsg(MSG_INTERRUPT)
	s_mov_b32 m0, ttmp2
.LBB489_2160:                           ; =>This Inner Loop Header: Depth=1
	s_sethalt 5
	s_branch .LBB489_2160
.LBB489_2161:
	s_cbranch_execnz .LBB489_2167
; %bb.2162:
	s_or_b32 s2, s2, exec_lo
	s_cbranch_execz .LBB489_1976
	s_branch .LBB489_1977
.LBB489_2163:
	s_or_saveexec_b32 s10, s10
                                        ; implicit-def: $sgpr11
	s_delay_alu instid0(SALU_CYCLE_1)
	s_xor_b32 exec_lo, exec_lo, s10
	s_cbranch_execz .LBB489_1941
.LBB489_2164:
	v_add_f32_e64 v7, 0x42800000, |v8|
	s_and_not1_b32 s7, s7, exec_lo
	s_mov_b32 s11, 0
	s_delay_alu instid0(VALU_DEP_1) | instskip(NEXT) | instid1(VALU_DEP_1)
	v_and_b32_e32 v7, 0xff, v7
	v_cmp_ne_u32_e32 vcc_lo, 0, v7
	s_and_b32 s12, vcc_lo, exec_lo
	s_delay_alu instid0(SALU_CYCLE_1)
	s_or_b32 s7, s7, s12
	s_or_b32 exec_lo, exec_lo, s10
	v_mov_b32_e32 v9, s11
	s_and_saveexec_b32 s10, s7
	s_cbranch_execnz .LBB489_1942
	s_branch .LBB489_1943
.LBB489_2165:
	s_or_saveexec_b32 s4, s4
                                        ; implicit-def: $sgpr5
	s_delay_alu instid0(SALU_CYCLE_1)
	s_xor_b32 exec_lo, exec_lo, s4
	s_cbranch_execz .LBB489_2047
.LBB489_2166:
	v_add_f32_e64 v4, 0x46000000, |v6|
	s_and_not1_b32 s3, s3, exec_lo
	s_mov_b32 s5, 0
	s_delay_alu instid0(VALU_DEP_1) | instskip(NEXT) | instid1(VALU_DEP_1)
	v_and_b32_e32 v4, 0xff, v4
	v_cmp_ne_u32_e32 vcc_lo, 0, v4
	s_and_b32 s6, vcc_lo, exec_lo
	s_delay_alu instid0(SALU_CYCLE_1)
	s_or_b32 s3, s3, s6
	s_or_b32 exec_lo, exec_lo, s4
	v_mov_b32_e32 v7, s5
	s_and_saveexec_b32 s4, s3
	s_cbranch_execnz .LBB489_2048
	s_branch .LBB489_2049
.LBB489_2167:
	s_trap 2
	s_sendmsg_rtn_b32 s0, sendmsg(MSG_RTN_GET_DOORBELL)
	s_mov_b32 ttmp2, m0
	s_waitcnt lgkmcnt(0)
	s_and_b32 s0, s0, 0x3ff
	s_delay_alu instid0(SALU_CYCLE_1) | instskip(NEXT) | instid1(SALU_CYCLE_1)
	s_bitset1_b32 s0, 10
	s_mov_b32 m0, s0
	s_sendmsg sendmsg(MSG_INTERRUPT)
	s_mov_b32 m0, ttmp2
.LBB489_2168:                           ; =>This Inner Loop Header: Depth=1
	s_sethalt 5
	s_branch .LBB489_2168
.LBB489_2169:
	s_cbranch_execnz .LBB489_2173
; %bb.2170:
	s_mov_b32 s7, 0
	s_or_b32 s2, s2, exec_lo
	s_branch .LBB489_2093
.LBB489_2171:
	s_or_saveexec_b32 s4, s4
                                        ; implicit-def: $sgpr5
	s_delay_alu instid0(SALU_CYCLE_1)
	s_xor_b32 exec_lo, exec_lo, s4
	s_cbranch_execz .LBB489_2059
.LBB489_2172:
	v_add_f32_e64 v4, 0x42800000, |v6|
	s_and_not1_b32 s3, s3, exec_lo
	s_mov_b32 s5, 0
	s_delay_alu instid0(VALU_DEP_1) | instskip(NEXT) | instid1(VALU_DEP_1)
	v_and_b32_e32 v4, 0xff, v4
	v_cmp_ne_u32_e32 vcc_lo, 0, v4
	s_and_b32 s6, vcc_lo, exec_lo
	s_delay_alu instid0(SALU_CYCLE_1)
	s_or_b32 s3, s3, s6
	s_or_b32 exec_lo, exec_lo, s4
	v_mov_b32_e32 v7, s5
	s_and_saveexec_b32 s4, s3
	s_cbranch_execnz .LBB489_2060
	s_branch .LBB489_2061
.LBB489_2173:
	s_trap 2
	s_sendmsg_rtn_b32 s0, sendmsg(MSG_RTN_GET_DOORBELL)
	s_mov_b32 ttmp2, m0
	s_waitcnt lgkmcnt(0)
	s_and_b32 s0, s0, 0x3ff
	s_delay_alu instid0(SALU_CYCLE_1) | instskip(NEXT) | instid1(SALU_CYCLE_1)
	s_bitset1_b32 s0, 10
	s_mov_b32 m0, s0
	s_sendmsg sendmsg(MSG_INTERRUPT)
	s_mov_b32 m0, ttmp2
.LBB489_2174:                           ; =>This Inner Loop Header: Depth=1
	s_sethalt 5
	s_branch .LBB489_2174
	.section	.rodata,"a",@progbits
	.p2align	6, 0x0
	.amdhsa_kernel _ZN2at6native32elementwise_kernel_manual_unrollILi128ELi4EZNS0_15gpu_kernel_implIZZZNS0_21clamp_max_kernel_cudaERNS_18TensorIteratorBaseERKN3c106ScalarEENKUlvE_clEvENKUlvE7_clEvEUlNS5_8BFloat16EE_EEvS4_RKT_EUlibE0_EEviT1_
		.amdhsa_group_segment_fixed_size 0
		.amdhsa_private_segment_fixed_size 0
		.amdhsa_kernarg_size 360
		.amdhsa_user_sgpr_count 15
		.amdhsa_user_sgpr_dispatch_ptr 0
		.amdhsa_user_sgpr_queue_ptr 0
		.amdhsa_user_sgpr_kernarg_segment_ptr 1
		.amdhsa_user_sgpr_dispatch_id 0
		.amdhsa_user_sgpr_private_segment_size 0
		.amdhsa_wavefront_size32 1
		.amdhsa_uses_dynamic_stack 0
		.amdhsa_enable_private_segment 0
		.amdhsa_system_sgpr_workgroup_id_x 1
		.amdhsa_system_sgpr_workgroup_id_y 0
		.amdhsa_system_sgpr_workgroup_id_z 0
		.amdhsa_system_sgpr_workgroup_info 0
		.amdhsa_system_vgpr_workitem_id 0
		.amdhsa_next_free_vgpr 18
		.amdhsa_next_free_sgpr 72
		.amdhsa_reserve_vcc 1
		.amdhsa_float_round_mode_32 0
		.amdhsa_float_round_mode_16_64 0
		.amdhsa_float_denorm_mode_32 3
		.amdhsa_float_denorm_mode_16_64 3
		.amdhsa_dx10_clamp 1
		.amdhsa_ieee_mode 1
		.amdhsa_fp16_overflow 0
		.amdhsa_workgroup_processor_mode 1
		.amdhsa_memory_ordered 1
		.amdhsa_forward_progress 0
		.amdhsa_shared_vgpr_count 0
		.amdhsa_exception_fp_ieee_invalid_op 0
		.amdhsa_exception_fp_denorm_src 0
		.amdhsa_exception_fp_ieee_div_zero 0
		.amdhsa_exception_fp_ieee_overflow 0
		.amdhsa_exception_fp_ieee_underflow 0
		.amdhsa_exception_fp_ieee_inexact 0
		.amdhsa_exception_int_div_zero 0
	.end_amdhsa_kernel
	.section	.text._ZN2at6native32elementwise_kernel_manual_unrollILi128ELi4EZNS0_15gpu_kernel_implIZZZNS0_21clamp_max_kernel_cudaERNS_18TensorIteratorBaseERKN3c106ScalarEENKUlvE_clEvENKUlvE7_clEvEUlNS5_8BFloat16EE_EEvS4_RKT_EUlibE0_EEviT1_,"axG",@progbits,_ZN2at6native32elementwise_kernel_manual_unrollILi128ELi4EZNS0_15gpu_kernel_implIZZZNS0_21clamp_max_kernel_cudaERNS_18TensorIteratorBaseERKN3c106ScalarEENKUlvE_clEvENKUlvE7_clEvEUlNS5_8BFloat16EE_EEvS4_RKT_EUlibE0_EEviT1_,comdat
.Lfunc_end489:
	.size	_ZN2at6native32elementwise_kernel_manual_unrollILi128ELi4EZNS0_15gpu_kernel_implIZZZNS0_21clamp_max_kernel_cudaERNS_18TensorIteratorBaseERKN3c106ScalarEENKUlvE_clEvENKUlvE7_clEvEUlNS5_8BFloat16EE_EEvS4_RKT_EUlibE0_EEviT1_, .Lfunc_end489-_ZN2at6native32elementwise_kernel_manual_unrollILi128ELi4EZNS0_15gpu_kernel_implIZZZNS0_21clamp_max_kernel_cudaERNS_18TensorIteratorBaseERKN3c106ScalarEENKUlvE_clEvENKUlvE7_clEvEUlNS5_8BFloat16EE_EEvS4_RKT_EUlibE0_EEviT1_
                                        ; -- End function
	.section	.AMDGPU.csdata,"",@progbits
; Kernel info:
; codeLenInByte = 50612
; NumSgprs: 74
; NumVgprs: 18
; ScratchSize: 0
; MemoryBound: 0
; FloatMode: 240
; IeeeMode: 1
; LDSByteSize: 0 bytes/workgroup (compile time only)
; SGPRBlocks: 9
; VGPRBlocks: 2
; NumSGPRsForWavesPerEU: 74
; NumVGPRsForWavesPerEU: 18
; Occupancy: 16
; WaveLimiterHint : 1
; COMPUTE_PGM_RSRC2:SCRATCH_EN: 0
; COMPUTE_PGM_RSRC2:USER_SGPR: 15
; COMPUTE_PGM_RSRC2:TRAP_HANDLER: 0
; COMPUTE_PGM_RSRC2:TGID_X_EN: 1
; COMPUTE_PGM_RSRC2:TGID_Y_EN: 0
; COMPUTE_PGM_RSRC2:TGID_Z_EN: 0
; COMPUTE_PGM_RSRC2:TIDIG_COMP_CNT: 0
	.section	.text._ZN2at6native29vectorized_elementwise_kernelILi16EZZZNS0_22nan_to_num_kernel_cudaERNS_18TensorIteratorBaseESt8optionalIdES5_S5_ENKUlvE_clEvENKUlvE_clEvEUlN3c107complexIdEEE_St5arrayIPcLm2EEEEviT0_T1_,"axG",@progbits,_ZN2at6native29vectorized_elementwise_kernelILi16EZZZNS0_22nan_to_num_kernel_cudaERNS_18TensorIteratorBaseESt8optionalIdES5_S5_ENKUlvE_clEvENKUlvE_clEvEUlN3c107complexIdEEE_St5arrayIPcLm2EEEEviT0_T1_,comdat
	.globl	_ZN2at6native29vectorized_elementwise_kernelILi16EZZZNS0_22nan_to_num_kernel_cudaERNS_18TensorIteratorBaseESt8optionalIdES5_S5_ENKUlvE_clEvENKUlvE_clEvEUlN3c107complexIdEEE_St5arrayIPcLm2EEEEviT0_T1_ ; -- Begin function _ZN2at6native29vectorized_elementwise_kernelILi16EZZZNS0_22nan_to_num_kernel_cudaERNS_18TensorIteratorBaseESt8optionalIdES5_S5_ENKUlvE_clEvENKUlvE_clEvEUlN3c107complexIdEEE_St5arrayIPcLm2EEEEviT0_T1_
	.p2align	8
	.type	_ZN2at6native29vectorized_elementwise_kernelILi16EZZZNS0_22nan_to_num_kernel_cudaERNS_18TensorIteratorBaseESt8optionalIdES5_S5_ENKUlvE_clEvENKUlvE_clEvEUlN3c107complexIdEEE_St5arrayIPcLm2EEEEviT0_T1_,@function
_ZN2at6native29vectorized_elementwise_kernelILi16EZZZNS0_22nan_to_num_kernel_cudaERNS_18TensorIteratorBaseESt8optionalIdES5_S5_ENKUlvE_clEvENKUlvE_clEvEUlN3c107complexIdEEE_St5arrayIPcLm2EEEEviT0_T1_: ; @_ZN2at6native29vectorized_elementwise_kernelILi16EZZZNS0_22nan_to_num_kernel_cudaERNS_18TensorIteratorBaseESt8optionalIdES5_S5_ENKUlvE_clEvENKUlvE_clEvEUlN3c107complexIdEEE_St5arrayIPcLm2EEEEviT0_T1_
; %bb.0:
	s_clause 0x2
	s_load_b32 s3, s[0:1], 0x0
	s_load_b256 s[4:11], s[0:1], 0x8
	s_load_b64 s[12:13], s[0:1], 0x28
	s_lshl_b32 s2, s15, 10
	s_mov_b32 s0, -1
	s_waitcnt lgkmcnt(0)
	s_sub_i32 s14, s3, s2
	s_delay_alu instid0(SALU_CYCLE_1)
	s_cmpk_gt_i32 s14, 0x3ff
	s_cbranch_scc0 .LBB490_34
; %bb.1:
	s_ashr_i32 s3, s2, 31
	v_lshlrev_b32_e32 v21, 6, v0
	s_lshl_b64 s[0:1], s[2:3], 4
	v_dual_mov_b32 v1, s4 :: v_dual_mov_b32 v2, s5
	s_add_u32 s16, s12, s0
	s_addc_u32 s17, s13, s1
	s_clause 0x3
	global_load_b128 v[9:12], v21, s[16:17]
	global_load_b128 v[17:20], v21, s[16:17] offset:16
	global_load_b128 v[5:8], v21, s[16:17] offset:48
	;; [unrolled: 1-line block ×3, first 2 shown]
	s_mov_b32 s3, exec_lo
	s_waitcnt vmcnt(3)
	v_cmpx_o_f64_e32 v[9:10], v[9:10]
	s_cbranch_execz .LBB490_5
; %bb.2:
	v_dual_mov_b32 v1, s6 :: v_dual_mov_b32 v2, s7
	s_mov_b32 s15, exec_lo
	v_cmpx_neq_f64_e32 0x7ff00000, v[9:10]
; %bb.3:
	v_cmp_eq_f64_e32 vcc_lo, 0xfff00000, v[9:10]
	v_cndmask_b32_e64 v2, v10, s9, vcc_lo
	v_cndmask_b32_e64 v1, v9, s8, vcc_lo
; %bb.4:
	s_or_b32 exec_lo, exec_lo, s15
.LBB490_5:
	s_delay_alu instid0(SALU_CYCLE_1)
	s_or_b32 exec_lo, exec_lo, s3
	v_dual_mov_b32 v3, s4 :: v_dual_mov_b32 v4, s5
	s_mov_b32 s3, exec_lo
	v_cmpx_o_f64_e32 v[11:12], v[11:12]
	s_cbranch_execz .LBB490_9
; %bb.6:
	v_dual_mov_b32 v3, s6 :: v_dual_mov_b32 v4, s7
	s_mov_b32 s15, exec_lo
	v_cmpx_neq_f64_e32 0x7ff00000, v[11:12]
; %bb.7:
	v_cmp_eq_f64_e32 vcc_lo, 0xfff00000, v[11:12]
	v_cndmask_b32_e64 v4, v12, s9, vcc_lo
	v_cndmask_b32_e64 v3, v11, s8, vcc_lo
; %bb.8:
	s_or_b32 exec_lo, exec_lo, s15
.LBB490_9:
	s_delay_alu instid0(SALU_CYCLE_1)
	s_or_b32 exec_lo, exec_lo, s3
	v_dual_mov_b32 v10, s5 :: v_dual_mov_b32 v9, s4
	s_mov_b32 s3, exec_lo
	s_waitcnt vmcnt(2)
	v_cmpx_o_f64_e32 v[17:18], v[17:18]
	s_cbranch_execz .LBB490_13
; %bb.10:
	v_dual_mov_b32 v10, s7 :: v_dual_mov_b32 v9, s6
	s_mov_b32 s15, exec_lo
	v_cmpx_neq_f64_e32 0x7ff00000, v[17:18]
; %bb.11:
	v_cmp_eq_f64_e32 vcc_lo, 0xfff00000, v[17:18]
	v_cndmask_b32_e64 v10, v18, s9, vcc_lo
	v_cndmask_b32_e64 v9, v17, s8, vcc_lo
; %bb.12:
	s_or_b32 exec_lo, exec_lo, s15
.LBB490_13:
	s_delay_alu instid0(SALU_CYCLE_1)
	s_or_b32 exec_lo, exec_lo, s3
	v_dual_mov_b32 v12, s5 :: v_dual_mov_b32 v11, s4
	s_mov_b32 s3, exec_lo
	v_cmpx_o_f64_e32 v[19:20], v[19:20]
	s_cbranch_execz .LBB490_17
; %bb.14:
	v_dual_mov_b32 v12, s7 :: v_dual_mov_b32 v11, s6
	s_mov_b32 s15, exec_lo
	v_cmpx_neq_f64_e32 0x7ff00000, v[19:20]
; %bb.15:
	v_cmp_eq_f64_e32 vcc_lo, 0xfff00000, v[19:20]
	v_cndmask_b32_e64 v12, v20, s9, vcc_lo
	v_cndmask_b32_e64 v11, v19, s8, vcc_lo
; %bb.16:
	s_or_b32 exec_lo, exec_lo, s15
.LBB490_17:
	s_delay_alu instid0(SALU_CYCLE_1)
	s_or_b32 exec_lo, exec_lo, s3
	v_dual_mov_b32 v18, s5 :: v_dual_mov_b32 v17, s4
	;; [unrolled: 35-line block ×3, first 2 shown]
	s_mov_b32 s3, exec_lo
	v_cmpx_o_f64_e32 v[5:6], v[5:6]
	s_cbranch_execz .LBB490_29
; %bb.26:
	v_dual_mov_b32 v14, s7 :: v_dual_mov_b32 v13, s6
	s_mov_b32 s15, exec_lo
	v_cmpx_neq_f64_e32 0x7ff00000, v[5:6]
; %bb.27:
	v_cmp_eq_f64_e32 vcc_lo, 0xfff00000, v[5:6]
	v_cndmask_b32_e64 v14, v6, s9, vcc_lo
	v_cndmask_b32_e64 v13, v5, s8, vcc_lo
; %bb.28:
	s_or_b32 exec_lo, exec_lo, s15
.LBB490_29:
	s_delay_alu instid0(SALU_CYCLE_1)
	s_or_b32 exec_lo, exec_lo, s3
	v_dual_mov_b32 v16, s5 :: v_dual_mov_b32 v15, s4
	s_mov_b32 s3, exec_lo
	v_cmpx_o_f64_e32 v[7:8], v[7:8]
	s_cbranch_execz .LBB490_33
; %bb.30:
	v_dual_mov_b32 v16, s7 :: v_dual_mov_b32 v15, s6
	s_mov_b32 s15, exec_lo
	v_cmpx_neq_f64_e32 0x7ff00000, v[7:8]
; %bb.31:
	v_cmp_eq_f64_e32 vcc_lo, 0xfff00000, v[7:8]
	v_cndmask_b32_e64 v16, v8, s9, vcc_lo
	v_cndmask_b32_e64 v15, v7, s8, vcc_lo
; %bb.32:
	s_or_b32 exec_lo, exec_lo, s15
.LBB490_33:
	s_delay_alu instid0(SALU_CYCLE_1)
	s_or_b32 exec_lo, exec_lo, s3
	s_add_u32 s16, s10, s0
	s_addc_u32 s17, s11, s1
	s_mov_b32 s0, 0
	s_clause 0x3
	global_store_b128 v21, v[1:4], s[16:17]
	global_store_b128 v21, v[9:12], s[16:17] offset:16
	global_store_b128 v21, v[17:20], s[16:17] offset:32
	global_store_b128 v21, v[13:16], s[16:17] offset:48
.LBB490_34:
	s_and_b32 vcc_lo, exec_lo, s0
	s_cbranch_vccz .LBB490_79
; %bb.35:
	v_mov_b32_e32 v13, 0
	v_dual_mov_b32 v14, 0 :: v_dual_mov_b32 v5, v0
	v_cmp_gt_i32_e32 vcc_lo, s14, v0
	v_or_b32_e32 v21, s2, v0
	v_or_b32_e32 v23, 0x100, v0
	s_delay_alu instid0(VALU_DEP_4)
	v_dual_mov_b32 v9, v13 :: v_dual_mov_b32 v10, v14
	v_dual_mov_b32 v11, v13 :: v_dual_mov_b32 v12, v14
	s_and_saveexec_b32 s1, vcc_lo
	s_cbranch_execz .LBB490_37
; %bb.36:
	v_mov_b32_e32 v22, 0
	v_or_b32_e32 v5, 0x100, v0
	s_delay_alu instid0(VALU_DEP_2) | instskip(NEXT) | instid1(VALU_DEP_1)
	v_lshlrev_b64 v[1:2], 4, v[21:22]
	v_add_co_u32 v1, s0, s12, v1
	s_delay_alu instid0(VALU_DEP_1)
	v_add_co_ci_u32_e64 v2, s0, s13, v2, s0
	global_load_b128 v[9:12], v[1:2], off
.LBB490_37:
	s_or_b32 exec_lo, exec_lo, s1
	v_dual_mov_b32 v16, v14 :: v_dual_mov_b32 v15, v13
	s_mov_b32 s1, exec_lo
	v_cmpx_gt_i32_e64 s14, v5
	s_cbranch_execz .LBB490_39
; %bb.38:
	v_dual_mov_b32 v2, 0 :: v_dual_add_nc_u32 v1, s2, v5
	v_add_nc_u32_e32 v5, 0x100, v5
	s_delay_alu instid0(VALU_DEP_2) | instskip(NEXT) | instid1(VALU_DEP_1)
	v_lshlrev_b64 v[1:2], 4, v[1:2]
	v_add_co_u32 v1, s0, s12, v1
	s_delay_alu instid0(VALU_DEP_1)
	v_add_co_ci_u32_e64 v2, s0, s13, v2, s0
	global_load_b128 v[13:16], v[1:2], off
.LBB490_39:
	s_or_b32 exec_lo, exec_lo, s1
	v_mov_b32_e32 v1, 0
	v_mov_b32_e32 v2, 0
	s_mov_b32 s1, exec_lo
	s_delay_alu instid0(VALU_DEP_1)
	v_dual_mov_b32 v18, v2 :: v_dual_mov_b32 v17, v1
	v_dual_mov_b32 v20, v2 :: v_dual_mov_b32 v19, v1
	v_cmpx_gt_i32_e64 s14, v5
	s_cbranch_execz .LBB490_41
; %bb.40:
	v_dual_mov_b32 v4, 0 :: v_dual_add_nc_u32 v3, s2, v5
	v_add_nc_u32_e32 v5, 0x100, v5
	s_delay_alu instid0(VALU_DEP_2) | instskip(NEXT) | instid1(VALU_DEP_1)
	v_lshlrev_b64 v[3:4], 4, v[3:4]
	v_add_co_u32 v3, s0, s12, v3
	s_delay_alu instid0(VALU_DEP_1)
	v_add_co_ci_u32_e64 v4, s0, s13, v4, s0
	global_load_b128 v[17:20], v[3:4], off
.LBB490_41:
	s_or_b32 exec_lo, exec_lo, s1
	v_dual_mov_b32 v4, v2 :: v_dual_mov_b32 v3, v1
	s_mov_b32 s1, exec_lo
	v_cmpx_gt_i32_e64 s14, v5
	s_cbranch_execz .LBB490_43
; %bb.42:
	v_dual_mov_b32 v2, 0 :: v_dual_add_nc_u32 v1, s2, v5
	s_delay_alu instid0(VALU_DEP_1) | instskip(NEXT) | instid1(VALU_DEP_1)
	v_lshlrev_b64 v[1:2], 4, v[1:2]
	v_add_co_u32 v1, s0, s12, v1
	s_delay_alu instid0(VALU_DEP_1)
	v_add_co_ci_u32_e64 v2, s0, s13, v2, s0
	global_load_b128 v[1:4], v[1:2], off
.LBB490_43:
	s_or_b32 exec_lo, exec_lo, s1
	v_mov_b32_e32 v5, 0
	v_mov_b32_e32 v6, 0
	s_delay_alu instid0(VALU_DEP_1)
	v_dual_mov_b32 v8, v6 :: v_dual_mov_b32 v7, v5
	s_and_saveexec_b32 s1, vcc_lo
	s_cbranch_execz .LBB490_53
; %bb.44:
	v_dual_mov_b32 v6, s5 :: v_dual_mov_b32 v5, s4
	s_mov_b32 s3, exec_lo
	s_waitcnt vmcnt(0)
	v_cmpx_o_f64_e32 v[9:10], v[9:10]
	s_cbranch_execz .LBB490_48
; %bb.45:
	v_dual_mov_b32 v5, s6 :: v_dual_mov_b32 v6, s7
	s_mov_b32 s12, exec_lo
	v_cmpx_neq_f64_e32 0x7ff00000, v[9:10]
; %bb.46:
	v_cmp_eq_f64_e64 s0, 0xfff00000, v[9:10]
	s_delay_alu instid0(VALU_DEP_1)
	v_cndmask_b32_e64 v6, v10, s9, s0
	v_cndmask_b32_e64 v5, v9, s8, s0
; %bb.47:
	s_or_b32 exec_lo, exec_lo, s12
.LBB490_48:
	s_delay_alu instid0(SALU_CYCLE_1)
	s_or_b32 exec_lo, exec_lo, s3
	v_dual_mov_b32 v8, s5 :: v_dual_mov_b32 v7, s4
	s_mov_b32 s3, exec_lo
	v_cmpx_o_f64_e32 v[11:12], v[11:12]
	s_cbranch_execz .LBB490_52
; %bb.49:
	v_dual_mov_b32 v8, s7 :: v_dual_mov_b32 v7, s6
	s_mov_b32 s12, exec_lo
	v_cmpx_neq_f64_e32 0x7ff00000, v[11:12]
; %bb.50:
	v_cmp_eq_f64_e64 s0, 0xfff00000, v[11:12]
	s_delay_alu instid0(VALU_DEP_1)
	v_cndmask_b32_e64 v8, v12, s9, s0
	v_cndmask_b32_e64 v7, v11, s8, s0
; %bb.51:
	s_or_b32 exec_lo, exec_lo, s12
.LBB490_52:
	s_delay_alu instid0(SALU_CYCLE_1)
	s_or_b32 exec_lo, exec_lo, s3
.LBB490_53:
	s_delay_alu instid0(SALU_CYCLE_1) | instskip(SKIP_4) | instid1(VALU_DEP_1)
	s_or_b32 exec_lo, exec_lo, s1
	s_waitcnt vmcnt(0)
	v_mov_b32_e32 v9, 0
	v_mov_b32_e32 v10, 0
	s_mov_b32 s1, exec_lo
	v_dual_mov_b32 v12, v10 :: v_dual_mov_b32 v11, v9
	v_cmpx_gt_i32_e64 s14, v23
	s_cbranch_execz .LBB490_63
; %bb.54:
	v_dual_mov_b32 v10, s5 :: v_dual_mov_b32 v9, s4
	s_mov_b32 s3, exec_lo
	v_cmpx_o_f64_e32 v[13:14], v[13:14]
	s_cbranch_execz .LBB490_58
; %bb.55:
	v_dual_mov_b32 v10, s7 :: v_dual_mov_b32 v9, s6
	s_mov_b32 s12, exec_lo
	v_cmpx_neq_f64_e32 0x7ff00000, v[13:14]
; %bb.56:
	v_cmp_eq_f64_e64 s0, 0xfff00000, v[13:14]
	s_delay_alu instid0(VALU_DEP_1)
	v_cndmask_b32_e64 v10, v14, s9, s0
	v_cndmask_b32_e64 v9, v13, s8, s0
; %bb.57:
	s_or_b32 exec_lo, exec_lo, s12
.LBB490_58:
	s_delay_alu instid0(SALU_CYCLE_1)
	s_or_b32 exec_lo, exec_lo, s3
	v_dual_mov_b32 v12, s5 :: v_dual_mov_b32 v11, s4
	s_mov_b32 s3, exec_lo
	v_cmpx_o_f64_e32 v[15:16], v[15:16]
	s_cbranch_execz .LBB490_62
; %bb.59:
	v_dual_mov_b32 v12, s7 :: v_dual_mov_b32 v11, s6
	s_mov_b32 s12, exec_lo
	v_cmpx_neq_f64_e32 0x7ff00000, v[15:16]
; %bb.60:
	v_cmp_eq_f64_e64 s0, 0xfff00000, v[15:16]
	s_delay_alu instid0(VALU_DEP_1)
	v_cndmask_b32_e64 v12, v16, s9, s0
	v_cndmask_b32_e64 v11, v15, s8, s0
; %bb.61:
	s_or_b32 exec_lo, exec_lo, s12
.LBB490_62:
	s_delay_alu instid0(SALU_CYCLE_1)
	s_or_b32 exec_lo, exec_lo, s3
.LBB490_63:
	s_delay_alu instid0(SALU_CYCLE_1) | instskip(SKIP_3) | instid1(VALU_DEP_2)
	s_or_b32 exec_lo, exec_lo, s1
	v_mov_b32_e32 v13, 0
	v_or_b32_e32 v15, 0x200, v0
	v_mov_b32_e32 v14, 0
	v_cmp_gt_i32_e64 s0, s14, v15
	s_delay_alu instid0(VALU_DEP_2) | instskip(NEXT) | instid1(VALU_DEP_2)
	v_dual_mov_b32 v16, v14 :: v_dual_mov_b32 v15, v13
	s_and_saveexec_b32 s1, s0
	s_cbranch_execz .LBB490_73
; %bb.64:
	v_dual_mov_b32 v14, s5 :: v_dual_mov_b32 v13, s4
	s_mov_b32 s3, exec_lo
	v_cmpx_o_f64_e32 v[17:18], v[17:18]
	s_cbranch_execz .LBB490_68
; %bb.65:
	v_dual_mov_b32 v14, s7 :: v_dual_mov_b32 v13, s6
	s_mov_b32 s12, exec_lo
	v_cmpx_neq_f64_e32 0x7ff00000, v[17:18]
; %bb.66:
	v_cmp_eq_f64_e64 s0, 0xfff00000, v[17:18]
	s_delay_alu instid0(VALU_DEP_1)
	v_cndmask_b32_e64 v14, v18, s9, s0
	v_cndmask_b32_e64 v13, v17, s8, s0
; %bb.67:
	s_or_b32 exec_lo, exec_lo, s12
.LBB490_68:
	s_delay_alu instid0(SALU_CYCLE_1)
	s_or_b32 exec_lo, exec_lo, s3
	v_dual_mov_b32 v16, s5 :: v_dual_mov_b32 v15, s4
	s_mov_b32 s3, exec_lo
	v_cmpx_o_f64_e32 v[19:20], v[19:20]
	s_cbranch_execz .LBB490_72
; %bb.69:
	v_dual_mov_b32 v16, s7 :: v_dual_mov_b32 v15, s6
	s_mov_b32 s12, exec_lo
	v_cmpx_neq_f64_e32 0x7ff00000, v[19:20]
; %bb.70:
	v_cmp_eq_f64_e64 s0, 0xfff00000, v[19:20]
	s_delay_alu instid0(VALU_DEP_1)
	v_cndmask_b32_e64 v16, v20, s9, s0
	v_cndmask_b32_e64 v15, v19, s8, s0
; %bb.71:
	s_or_b32 exec_lo, exec_lo, s12
.LBB490_72:
	s_delay_alu instid0(SALU_CYCLE_1)
	s_or_b32 exec_lo, exec_lo, s3
.LBB490_73:
	s_delay_alu instid0(SALU_CYCLE_1) | instskip(SKIP_3) | instid1(VALU_DEP_2)
	s_or_b32 exec_lo, exec_lo, s1
	v_mov_b32_e32 v17, 0
	v_or_b32_e32 v19, 0x300, v0
	v_mov_b32_e32 v18, 0
	v_cmp_gt_i32_e64 s0, s14, v19
	s_delay_alu instid0(VALU_DEP_2) | instskip(NEXT) | instid1(VALU_DEP_2)
	v_dual_mov_b32 v20, v18 :: v_dual_mov_b32 v19, v17
	s_and_saveexec_b32 s1, s0
	s_cbranch_execnz .LBB490_80
; %bb.74:
	s_or_b32 exec_lo, exec_lo, s1
	s_and_saveexec_b32 s0, vcc_lo
	s_delay_alu instid0(SALU_CYCLE_1)
	s_xor_b32 s0, exec_lo, s0
	s_cbranch_execnz .LBB490_89
.LBB490_75:
	s_or_b32 exec_lo, exec_lo, s0
	s_delay_alu instid0(SALU_CYCLE_1)
	s_mov_b32 s0, exec_lo
	v_cmpx_gt_i32_e64 s14, v0
	s_cbranch_execnz .LBB490_90
.LBB490_76:
	s_or_b32 exec_lo, exec_lo, s0
	s_delay_alu instid0(SALU_CYCLE_1)
	s_mov_b32 s0, exec_lo
	v_cmpx_gt_i32_e64 s14, v0
	s_cbranch_execnz .LBB490_91
.LBB490_77:
	s_or_b32 exec_lo, exec_lo, s0
	s_delay_alu instid0(SALU_CYCLE_1)
	s_mov_b32 s0, exec_lo
	v_cmpx_gt_i32_e64 s14, v0
	s_cbranch_execz .LBB490_79
.LBB490_78:
	v_dual_mov_b32 v1, 0 :: v_dual_add_nc_u32 v0, s2, v0
	s_delay_alu instid0(VALU_DEP_1) | instskip(NEXT) | instid1(VALU_DEP_1)
	v_lshlrev_b64 v[0:1], 4, v[0:1]
	v_add_co_u32 v0, vcc_lo, s10, v0
	s_delay_alu instid0(VALU_DEP_2)
	v_add_co_ci_u32_e32 v1, vcc_lo, s11, v1, vcc_lo
	global_store_b128 v[0:1], v[17:20], off
.LBB490_79:
	s_nop 0
	s_sendmsg sendmsg(MSG_DEALLOC_VGPRS)
	s_endpgm
.LBB490_80:
	v_dual_mov_b32 v18, s5 :: v_dual_mov_b32 v17, s4
	s_mov_b32 s3, exec_lo
	v_cmpx_o_f64_e32 v[1:2], v[1:2]
	s_cbranch_execz .LBB490_84
; %bb.81:
	v_dual_mov_b32 v18, s7 :: v_dual_mov_b32 v17, s6
	s_mov_b32 s12, exec_lo
	v_cmpx_neq_f64_e32 0x7ff00000, v[1:2]
; %bb.82:
	v_cmp_eq_f64_e64 s0, 0xfff00000, v[1:2]
	s_delay_alu instid0(VALU_DEP_1)
	v_cndmask_b32_e64 v18, v2, s9, s0
	v_cndmask_b32_e64 v17, v1, s8, s0
; %bb.83:
	s_or_b32 exec_lo, exec_lo, s12
.LBB490_84:
	s_delay_alu instid0(SALU_CYCLE_1)
	s_or_b32 exec_lo, exec_lo, s3
	v_dual_mov_b32 v20, s5 :: v_dual_mov_b32 v19, s4
	s_mov_b32 s3, exec_lo
	v_cmpx_o_f64_e32 v[3:4], v[3:4]
	s_cbranch_execz .LBB490_88
; %bb.85:
	v_dual_mov_b32 v20, s7 :: v_dual_mov_b32 v19, s6
	s_mov_b32 s4, exec_lo
	v_cmpx_neq_f64_e32 0x7ff00000, v[3:4]
; %bb.86:
	v_cmp_eq_f64_e64 s0, 0xfff00000, v[3:4]
	s_delay_alu instid0(VALU_DEP_1)
	v_cndmask_b32_e64 v20, v4, s9, s0
	v_cndmask_b32_e64 v19, v3, s8, s0
; %bb.87:
	s_or_b32 exec_lo, exec_lo, s4
.LBB490_88:
	s_delay_alu instid0(SALU_CYCLE_1) | instskip(NEXT) | instid1(SALU_CYCLE_1)
	s_or_b32 exec_lo, exec_lo, s3
	s_or_b32 exec_lo, exec_lo, s1
	s_and_saveexec_b32 s0, vcc_lo
	s_delay_alu instid0(SALU_CYCLE_1)
	s_xor_b32 s0, exec_lo, s0
	s_cbranch_execz .LBB490_75
.LBB490_89:
	v_mov_b32_e32 v22, 0
	s_delay_alu instid0(VALU_DEP_1) | instskip(NEXT) | instid1(VALU_DEP_1)
	v_lshlrev_b64 v[0:1], 4, v[21:22]
	v_add_co_u32 v2, vcc_lo, s10, v0
	s_delay_alu instid0(VALU_DEP_2) | instskip(SKIP_3) | instid1(SALU_CYCLE_1)
	v_add_co_ci_u32_e32 v3, vcc_lo, s11, v1, vcc_lo
	v_mov_b32_e32 v0, v23
	global_store_b128 v[2:3], v[5:8], off
	s_or_b32 exec_lo, exec_lo, s0
	s_mov_b32 s0, exec_lo
	v_cmpx_gt_i32_e64 s14, v0
	s_cbranch_execz .LBB490_76
.LBB490_90:
	v_dual_mov_b32 v2, 0 :: v_dual_add_nc_u32 v1, s2, v0
	v_add_nc_u32_e32 v0, 0x100, v0
	s_delay_alu instid0(VALU_DEP_2) | instskip(NEXT) | instid1(VALU_DEP_1)
	v_lshlrev_b64 v[1:2], 4, v[1:2]
	v_add_co_u32 v1, vcc_lo, s10, v1
	s_delay_alu instid0(VALU_DEP_2) | instskip(SKIP_2) | instid1(SALU_CYCLE_1)
	v_add_co_ci_u32_e32 v2, vcc_lo, s11, v2, vcc_lo
	global_store_b128 v[1:2], v[9:12], off
	s_or_b32 exec_lo, exec_lo, s0
	s_mov_b32 s0, exec_lo
	v_cmpx_gt_i32_e64 s14, v0
	s_cbranch_execz .LBB490_77
.LBB490_91:
	v_dual_mov_b32 v2, 0 :: v_dual_add_nc_u32 v1, s2, v0
	v_add_nc_u32_e32 v0, 0x100, v0
	s_delay_alu instid0(VALU_DEP_2) | instskip(NEXT) | instid1(VALU_DEP_1)
	v_lshlrev_b64 v[1:2], 4, v[1:2]
	v_add_co_u32 v1, vcc_lo, s10, v1
	s_delay_alu instid0(VALU_DEP_2) | instskip(SKIP_2) | instid1(SALU_CYCLE_1)
	v_add_co_ci_u32_e32 v2, vcc_lo, s11, v2, vcc_lo
	global_store_b128 v[1:2], v[13:16], off
	s_or_b32 exec_lo, exec_lo, s0
	s_mov_b32 s0, exec_lo
	v_cmpx_gt_i32_e64 s14, v0
	s_cbranch_execnz .LBB490_78
	s_branch .LBB490_79
	.section	.rodata,"a",@progbits
	.p2align	6, 0x0
	.amdhsa_kernel _ZN2at6native29vectorized_elementwise_kernelILi16EZZZNS0_22nan_to_num_kernel_cudaERNS_18TensorIteratorBaseESt8optionalIdES5_S5_ENKUlvE_clEvENKUlvE_clEvEUlN3c107complexIdEEE_St5arrayIPcLm2EEEEviT0_T1_
		.amdhsa_group_segment_fixed_size 0
		.amdhsa_private_segment_fixed_size 0
		.amdhsa_kernarg_size 48
		.amdhsa_user_sgpr_count 15
		.amdhsa_user_sgpr_dispatch_ptr 0
		.amdhsa_user_sgpr_queue_ptr 0
		.amdhsa_user_sgpr_kernarg_segment_ptr 1
		.amdhsa_user_sgpr_dispatch_id 0
		.amdhsa_user_sgpr_private_segment_size 0
		.amdhsa_wavefront_size32 1
		.amdhsa_uses_dynamic_stack 0
		.amdhsa_enable_private_segment 0
		.amdhsa_system_sgpr_workgroup_id_x 1
		.amdhsa_system_sgpr_workgroup_id_y 0
		.amdhsa_system_sgpr_workgroup_id_z 0
		.amdhsa_system_sgpr_workgroup_info 0
		.amdhsa_system_vgpr_workitem_id 0
		.amdhsa_next_free_vgpr 24
		.amdhsa_next_free_sgpr 18
		.amdhsa_reserve_vcc 1
		.amdhsa_float_round_mode_32 0
		.amdhsa_float_round_mode_16_64 0
		.amdhsa_float_denorm_mode_32 3
		.amdhsa_float_denorm_mode_16_64 3
		.amdhsa_dx10_clamp 1
		.amdhsa_ieee_mode 1
		.amdhsa_fp16_overflow 0
		.amdhsa_workgroup_processor_mode 1
		.amdhsa_memory_ordered 1
		.amdhsa_forward_progress 0
		.amdhsa_shared_vgpr_count 0
		.amdhsa_exception_fp_ieee_invalid_op 0
		.amdhsa_exception_fp_denorm_src 0
		.amdhsa_exception_fp_ieee_div_zero 0
		.amdhsa_exception_fp_ieee_overflow 0
		.amdhsa_exception_fp_ieee_underflow 0
		.amdhsa_exception_fp_ieee_inexact 0
		.amdhsa_exception_int_div_zero 0
	.end_amdhsa_kernel
	.section	.text._ZN2at6native29vectorized_elementwise_kernelILi16EZZZNS0_22nan_to_num_kernel_cudaERNS_18TensorIteratorBaseESt8optionalIdES5_S5_ENKUlvE_clEvENKUlvE_clEvEUlN3c107complexIdEEE_St5arrayIPcLm2EEEEviT0_T1_,"axG",@progbits,_ZN2at6native29vectorized_elementwise_kernelILi16EZZZNS0_22nan_to_num_kernel_cudaERNS_18TensorIteratorBaseESt8optionalIdES5_S5_ENKUlvE_clEvENKUlvE_clEvEUlN3c107complexIdEEE_St5arrayIPcLm2EEEEviT0_T1_,comdat
.Lfunc_end490:
	.size	_ZN2at6native29vectorized_elementwise_kernelILi16EZZZNS0_22nan_to_num_kernel_cudaERNS_18TensorIteratorBaseESt8optionalIdES5_S5_ENKUlvE_clEvENKUlvE_clEvEUlN3c107complexIdEEE_St5arrayIPcLm2EEEEviT0_T1_, .Lfunc_end490-_ZN2at6native29vectorized_elementwise_kernelILi16EZZZNS0_22nan_to_num_kernel_cudaERNS_18TensorIteratorBaseESt8optionalIdES5_S5_ENKUlvE_clEvENKUlvE_clEvEUlN3c107complexIdEEE_St5arrayIPcLm2EEEEviT0_T1_
                                        ; -- End function
	.section	.AMDGPU.csdata,"",@progbits
; Kernel info:
; codeLenInByte = 2396
; NumSgprs: 20
; NumVgprs: 24
; ScratchSize: 0
; MemoryBound: 1
; FloatMode: 240
; IeeeMode: 1
; LDSByteSize: 0 bytes/workgroup (compile time only)
; SGPRBlocks: 2
; VGPRBlocks: 2
; NumSGPRsForWavesPerEU: 20
; NumVGPRsForWavesPerEU: 24
; Occupancy: 16
; WaveLimiterHint : 0
; COMPUTE_PGM_RSRC2:SCRATCH_EN: 0
; COMPUTE_PGM_RSRC2:USER_SGPR: 15
; COMPUTE_PGM_RSRC2:TRAP_HANDLER: 0
; COMPUTE_PGM_RSRC2:TGID_X_EN: 1
; COMPUTE_PGM_RSRC2:TGID_Y_EN: 0
; COMPUTE_PGM_RSRC2:TGID_Z_EN: 0
; COMPUTE_PGM_RSRC2:TIDIG_COMP_CNT: 0
	.section	.text._ZN2at6native29vectorized_elementwise_kernelILi8EZZZNS0_22nan_to_num_kernel_cudaERNS_18TensorIteratorBaseESt8optionalIdES5_S5_ENKUlvE_clEvENKUlvE_clEvEUlN3c107complexIdEEE_St5arrayIPcLm2EEEEviT0_T1_,"axG",@progbits,_ZN2at6native29vectorized_elementwise_kernelILi8EZZZNS0_22nan_to_num_kernel_cudaERNS_18TensorIteratorBaseESt8optionalIdES5_S5_ENKUlvE_clEvENKUlvE_clEvEUlN3c107complexIdEEE_St5arrayIPcLm2EEEEviT0_T1_,comdat
	.globl	_ZN2at6native29vectorized_elementwise_kernelILi8EZZZNS0_22nan_to_num_kernel_cudaERNS_18TensorIteratorBaseESt8optionalIdES5_S5_ENKUlvE_clEvENKUlvE_clEvEUlN3c107complexIdEEE_St5arrayIPcLm2EEEEviT0_T1_ ; -- Begin function _ZN2at6native29vectorized_elementwise_kernelILi8EZZZNS0_22nan_to_num_kernel_cudaERNS_18TensorIteratorBaseESt8optionalIdES5_S5_ENKUlvE_clEvENKUlvE_clEvEUlN3c107complexIdEEE_St5arrayIPcLm2EEEEviT0_T1_
	.p2align	8
	.type	_ZN2at6native29vectorized_elementwise_kernelILi8EZZZNS0_22nan_to_num_kernel_cudaERNS_18TensorIteratorBaseESt8optionalIdES5_S5_ENKUlvE_clEvENKUlvE_clEvEUlN3c107complexIdEEE_St5arrayIPcLm2EEEEviT0_T1_,@function
_ZN2at6native29vectorized_elementwise_kernelILi8EZZZNS0_22nan_to_num_kernel_cudaERNS_18TensorIteratorBaseESt8optionalIdES5_S5_ENKUlvE_clEvENKUlvE_clEvEUlN3c107complexIdEEE_St5arrayIPcLm2EEEEviT0_T1_: ; @_ZN2at6native29vectorized_elementwise_kernelILi8EZZZNS0_22nan_to_num_kernel_cudaERNS_18TensorIteratorBaseESt8optionalIdES5_S5_ENKUlvE_clEvENKUlvE_clEvEUlN3c107complexIdEEE_St5arrayIPcLm2EEEEviT0_T1_
; %bb.0:
	s_clause 0x2
	s_load_b32 s3, s[0:1], 0x0
	s_load_b256 s[4:11], s[0:1], 0x8
	s_load_b64 s[12:13], s[0:1], 0x28
	s_lshl_b32 s2, s15, 10
	s_mov_b32 s0, -1
	s_waitcnt lgkmcnt(0)
	s_sub_i32 s14, s3, s2
	s_delay_alu instid0(SALU_CYCLE_1)
	s_cmpk_gt_i32 s14, 0x3ff
	s_cbranch_scc0 .LBB491_34
; %bb.1:
	s_ashr_i32 s3, s2, 31
	v_lshlrev_b32_e32 v21, 6, v0
	s_lshl_b64 s[0:1], s[2:3], 4
	v_dual_mov_b32 v1, s4 :: v_dual_mov_b32 v2, s5
	s_add_u32 s16, s12, s0
	s_addc_u32 s17, s13, s1
	s_clause 0x3
	global_load_b128 v[9:12], v21, s[16:17]
	global_load_b128 v[17:20], v21, s[16:17] offset:16
	global_load_b128 v[5:8], v21, s[16:17] offset:48
	;; [unrolled: 1-line block ×3, first 2 shown]
	s_mov_b32 s3, exec_lo
	s_waitcnt vmcnt(3)
	v_cmpx_o_f64_e32 v[9:10], v[9:10]
	s_cbranch_execz .LBB491_5
; %bb.2:
	v_dual_mov_b32 v1, s6 :: v_dual_mov_b32 v2, s7
	s_mov_b32 s15, exec_lo
	v_cmpx_neq_f64_e32 0x7ff00000, v[9:10]
; %bb.3:
	v_cmp_eq_f64_e32 vcc_lo, 0xfff00000, v[9:10]
	v_cndmask_b32_e64 v2, v10, s9, vcc_lo
	v_cndmask_b32_e64 v1, v9, s8, vcc_lo
; %bb.4:
	s_or_b32 exec_lo, exec_lo, s15
.LBB491_5:
	s_delay_alu instid0(SALU_CYCLE_1)
	s_or_b32 exec_lo, exec_lo, s3
	v_dual_mov_b32 v3, s4 :: v_dual_mov_b32 v4, s5
	s_mov_b32 s3, exec_lo
	v_cmpx_o_f64_e32 v[11:12], v[11:12]
	s_cbranch_execz .LBB491_9
; %bb.6:
	v_dual_mov_b32 v3, s6 :: v_dual_mov_b32 v4, s7
	s_mov_b32 s15, exec_lo
	v_cmpx_neq_f64_e32 0x7ff00000, v[11:12]
; %bb.7:
	v_cmp_eq_f64_e32 vcc_lo, 0xfff00000, v[11:12]
	v_cndmask_b32_e64 v4, v12, s9, vcc_lo
	v_cndmask_b32_e64 v3, v11, s8, vcc_lo
; %bb.8:
	s_or_b32 exec_lo, exec_lo, s15
.LBB491_9:
	s_delay_alu instid0(SALU_CYCLE_1)
	s_or_b32 exec_lo, exec_lo, s3
	v_dual_mov_b32 v10, s5 :: v_dual_mov_b32 v9, s4
	s_mov_b32 s3, exec_lo
	s_waitcnt vmcnt(2)
	v_cmpx_o_f64_e32 v[17:18], v[17:18]
	s_cbranch_execz .LBB491_13
; %bb.10:
	v_dual_mov_b32 v10, s7 :: v_dual_mov_b32 v9, s6
	s_mov_b32 s15, exec_lo
	v_cmpx_neq_f64_e32 0x7ff00000, v[17:18]
; %bb.11:
	v_cmp_eq_f64_e32 vcc_lo, 0xfff00000, v[17:18]
	v_cndmask_b32_e64 v10, v18, s9, vcc_lo
	v_cndmask_b32_e64 v9, v17, s8, vcc_lo
; %bb.12:
	s_or_b32 exec_lo, exec_lo, s15
.LBB491_13:
	s_delay_alu instid0(SALU_CYCLE_1)
	s_or_b32 exec_lo, exec_lo, s3
	v_dual_mov_b32 v12, s5 :: v_dual_mov_b32 v11, s4
	s_mov_b32 s3, exec_lo
	v_cmpx_o_f64_e32 v[19:20], v[19:20]
	s_cbranch_execz .LBB491_17
; %bb.14:
	v_dual_mov_b32 v12, s7 :: v_dual_mov_b32 v11, s6
	s_mov_b32 s15, exec_lo
	v_cmpx_neq_f64_e32 0x7ff00000, v[19:20]
; %bb.15:
	v_cmp_eq_f64_e32 vcc_lo, 0xfff00000, v[19:20]
	v_cndmask_b32_e64 v12, v20, s9, vcc_lo
	v_cndmask_b32_e64 v11, v19, s8, vcc_lo
; %bb.16:
	s_or_b32 exec_lo, exec_lo, s15
.LBB491_17:
	s_delay_alu instid0(SALU_CYCLE_1)
	s_or_b32 exec_lo, exec_lo, s3
	v_dual_mov_b32 v18, s5 :: v_dual_mov_b32 v17, s4
	;; [unrolled: 35-line block ×3, first 2 shown]
	s_mov_b32 s3, exec_lo
	v_cmpx_o_f64_e32 v[5:6], v[5:6]
	s_cbranch_execz .LBB491_29
; %bb.26:
	v_dual_mov_b32 v14, s7 :: v_dual_mov_b32 v13, s6
	s_mov_b32 s15, exec_lo
	v_cmpx_neq_f64_e32 0x7ff00000, v[5:6]
; %bb.27:
	v_cmp_eq_f64_e32 vcc_lo, 0xfff00000, v[5:6]
	v_cndmask_b32_e64 v14, v6, s9, vcc_lo
	v_cndmask_b32_e64 v13, v5, s8, vcc_lo
; %bb.28:
	s_or_b32 exec_lo, exec_lo, s15
.LBB491_29:
	s_delay_alu instid0(SALU_CYCLE_1)
	s_or_b32 exec_lo, exec_lo, s3
	v_dual_mov_b32 v16, s5 :: v_dual_mov_b32 v15, s4
	s_mov_b32 s3, exec_lo
	v_cmpx_o_f64_e32 v[7:8], v[7:8]
	s_cbranch_execz .LBB491_33
; %bb.30:
	v_dual_mov_b32 v16, s7 :: v_dual_mov_b32 v15, s6
	s_mov_b32 s15, exec_lo
	v_cmpx_neq_f64_e32 0x7ff00000, v[7:8]
; %bb.31:
	v_cmp_eq_f64_e32 vcc_lo, 0xfff00000, v[7:8]
	v_cndmask_b32_e64 v16, v8, s9, vcc_lo
	v_cndmask_b32_e64 v15, v7, s8, vcc_lo
; %bb.32:
	s_or_b32 exec_lo, exec_lo, s15
.LBB491_33:
	s_delay_alu instid0(SALU_CYCLE_1)
	s_or_b32 exec_lo, exec_lo, s3
	s_add_u32 s16, s10, s0
	s_addc_u32 s17, s11, s1
	s_mov_b32 s0, 0
	s_clause 0x3
	global_store_b128 v21, v[1:4], s[16:17]
	global_store_b128 v21, v[9:12], s[16:17] offset:16
	global_store_b128 v21, v[17:20], s[16:17] offset:32
	;; [unrolled: 1-line block ×3, first 2 shown]
.LBB491_34:
	s_and_b32 vcc_lo, exec_lo, s0
	s_cbranch_vccz .LBB491_79
; %bb.35:
	v_mov_b32_e32 v13, 0
	v_dual_mov_b32 v14, 0 :: v_dual_mov_b32 v5, v0
	v_cmp_gt_i32_e32 vcc_lo, s14, v0
	v_or_b32_e32 v21, s2, v0
	v_or_b32_e32 v23, 0x100, v0
	s_delay_alu instid0(VALU_DEP_4)
	v_dual_mov_b32 v9, v13 :: v_dual_mov_b32 v10, v14
	v_dual_mov_b32 v11, v13 :: v_dual_mov_b32 v12, v14
	s_and_saveexec_b32 s1, vcc_lo
	s_cbranch_execz .LBB491_37
; %bb.36:
	v_mov_b32_e32 v22, 0
	v_or_b32_e32 v5, 0x100, v0
	s_delay_alu instid0(VALU_DEP_2) | instskip(NEXT) | instid1(VALU_DEP_1)
	v_lshlrev_b64 v[1:2], 4, v[21:22]
	v_add_co_u32 v1, s0, s12, v1
	s_delay_alu instid0(VALU_DEP_1)
	v_add_co_ci_u32_e64 v2, s0, s13, v2, s0
	global_load_b128 v[9:12], v[1:2], off
.LBB491_37:
	s_or_b32 exec_lo, exec_lo, s1
	v_dual_mov_b32 v16, v14 :: v_dual_mov_b32 v15, v13
	s_mov_b32 s1, exec_lo
	v_cmpx_gt_i32_e64 s14, v5
	s_cbranch_execz .LBB491_39
; %bb.38:
	v_dual_mov_b32 v2, 0 :: v_dual_add_nc_u32 v1, s2, v5
	v_add_nc_u32_e32 v5, 0x100, v5
	s_delay_alu instid0(VALU_DEP_2) | instskip(NEXT) | instid1(VALU_DEP_1)
	v_lshlrev_b64 v[1:2], 4, v[1:2]
	v_add_co_u32 v1, s0, s12, v1
	s_delay_alu instid0(VALU_DEP_1)
	v_add_co_ci_u32_e64 v2, s0, s13, v2, s0
	global_load_b128 v[13:16], v[1:2], off
.LBB491_39:
	s_or_b32 exec_lo, exec_lo, s1
	v_mov_b32_e32 v1, 0
	v_mov_b32_e32 v2, 0
	s_mov_b32 s1, exec_lo
	s_delay_alu instid0(VALU_DEP_1)
	v_dual_mov_b32 v18, v2 :: v_dual_mov_b32 v17, v1
	v_dual_mov_b32 v20, v2 :: v_dual_mov_b32 v19, v1
	v_cmpx_gt_i32_e64 s14, v5
	s_cbranch_execz .LBB491_41
; %bb.40:
	v_dual_mov_b32 v4, 0 :: v_dual_add_nc_u32 v3, s2, v5
	v_add_nc_u32_e32 v5, 0x100, v5
	s_delay_alu instid0(VALU_DEP_2) | instskip(NEXT) | instid1(VALU_DEP_1)
	v_lshlrev_b64 v[3:4], 4, v[3:4]
	v_add_co_u32 v3, s0, s12, v3
	s_delay_alu instid0(VALU_DEP_1)
	v_add_co_ci_u32_e64 v4, s0, s13, v4, s0
	global_load_b128 v[17:20], v[3:4], off
.LBB491_41:
	s_or_b32 exec_lo, exec_lo, s1
	v_dual_mov_b32 v4, v2 :: v_dual_mov_b32 v3, v1
	s_mov_b32 s1, exec_lo
	v_cmpx_gt_i32_e64 s14, v5
	s_cbranch_execz .LBB491_43
; %bb.42:
	v_dual_mov_b32 v2, 0 :: v_dual_add_nc_u32 v1, s2, v5
	s_delay_alu instid0(VALU_DEP_1) | instskip(NEXT) | instid1(VALU_DEP_1)
	v_lshlrev_b64 v[1:2], 4, v[1:2]
	v_add_co_u32 v1, s0, s12, v1
	s_delay_alu instid0(VALU_DEP_1)
	v_add_co_ci_u32_e64 v2, s0, s13, v2, s0
	global_load_b128 v[1:4], v[1:2], off
.LBB491_43:
	s_or_b32 exec_lo, exec_lo, s1
	v_mov_b32_e32 v5, 0
	v_mov_b32_e32 v6, 0
	s_delay_alu instid0(VALU_DEP_1)
	v_dual_mov_b32 v8, v6 :: v_dual_mov_b32 v7, v5
	s_and_saveexec_b32 s1, vcc_lo
	s_cbranch_execz .LBB491_53
; %bb.44:
	v_dual_mov_b32 v6, s5 :: v_dual_mov_b32 v5, s4
	s_mov_b32 s3, exec_lo
	s_waitcnt vmcnt(0)
	v_cmpx_o_f64_e32 v[9:10], v[9:10]
	s_cbranch_execz .LBB491_48
; %bb.45:
	v_dual_mov_b32 v5, s6 :: v_dual_mov_b32 v6, s7
	s_mov_b32 s12, exec_lo
	v_cmpx_neq_f64_e32 0x7ff00000, v[9:10]
; %bb.46:
	v_cmp_eq_f64_e64 s0, 0xfff00000, v[9:10]
	s_delay_alu instid0(VALU_DEP_1)
	v_cndmask_b32_e64 v6, v10, s9, s0
	v_cndmask_b32_e64 v5, v9, s8, s0
; %bb.47:
	s_or_b32 exec_lo, exec_lo, s12
.LBB491_48:
	s_delay_alu instid0(SALU_CYCLE_1)
	s_or_b32 exec_lo, exec_lo, s3
	v_dual_mov_b32 v8, s5 :: v_dual_mov_b32 v7, s4
	s_mov_b32 s3, exec_lo
	v_cmpx_o_f64_e32 v[11:12], v[11:12]
	s_cbranch_execz .LBB491_52
; %bb.49:
	v_dual_mov_b32 v8, s7 :: v_dual_mov_b32 v7, s6
	s_mov_b32 s12, exec_lo
	v_cmpx_neq_f64_e32 0x7ff00000, v[11:12]
; %bb.50:
	v_cmp_eq_f64_e64 s0, 0xfff00000, v[11:12]
	s_delay_alu instid0(VALU_DEP_1)
	v_cndmask_b32_e64 v8, v12, s9, s0
	v_cndmask_b32_e64 v7, v11, s8, s0
; %bb.51:
	s_or_b32 exec_lo, exec_lo, s12
.LBB491_52:
	s_delay_alu instid0(SALU_CYCLE_1)
	s_or_b32 exec_lo, exec_lo, s3
.LBB491_53:
	s_delay_alu instid0(SALU_CYCLE_1) | instskip(SKIP_4) | instid1(VALU_DEP_1)
	s_or_b32 exec_lo, exec_lo, s1
	s_waitcnt vmcnt(0)
	v_mov_b32_e32 v9, 0
	v_mov_b32_e32 v10, 0
	s_mov_b32 s1, exec_lo
	v_dual_mov_b32 v12, v10 :: v_dual_mov_b32 v11, v9
	v_cmpx_gt_i32_e64 s14, v23
	s_cbranch_execz .LBB491_63
; %bb.54:
	v_dual_mov_b32 v10, s5 :: v_dual_mov_b32 v9, s4
	s_mov_b32 s3, exec_lo
	v_cmpx_o_f64_e32 v[13:14], v[13:14]
	s_cbranch_execz .LBB491_58
; %bb.55:
	v_dual_mov_b32 v10, s7 :: v_dual_mov_b32 v9, s6
	s_mov_b32 s12, exec_lo
	v_cmpx_neq_f64_e32 0x7ff00000, v[13:14]
; %bb.56:
	v_cmp_eq_f64_e64 s0, 0xfff00000, v[13:14]
	s_delay_alu instid0(VALU_DEP_1)
	v_cndmask_b32_e64 v10, v14, s9, s0
	v_cndmask_b32_e64 v9, v13, s8, s0
; %bb.57:
	s_or_b32 exec_lo, exec_lo, s12
.LBB491_58:
	s_delay_alu instid0(SALU_CYCLE_1)
	s_or_b32 exec_lo, exec_lo, s3
	v_dual_mov_b32 v12, s5 :: v_dual_mov_b32 v11, s4
	s_mov_b32 s3, exec_lo
	v_cmpx_o_f64_e32 v[15:16], v[15:16]
	s_cbranch_execz .LBB491_62
; %bb.59:
	v_dual_mov_b32 v12, s7 :: v_dual_mov_b32 v11, s6
	s_mov_b32 s12, exec_lo
	v_cmpx_neq_f64_e32 0x7ff00000, v[15:16]
; %bb.60:
	v_cmp_eq_f64_e64 s0, 0xfff00000, v[15:16]
	s_delay_alu instid0(VALU_DEP_1)
	v_cndmask_b32_e64 v12, v16, s9, s0
	v_cndmask_b32_e64 v11, v15, s8, s0
; %bb.61:
	s_or_b32 exec_lo, exec_lo, s12
.LBB491_62:
	s_delay_alu instid0(SALU_CYCLE_1)
	s_or_b32 exec_lo, exec_lo, s3
.LBB491_63:
	s_delay_alu instid0(SALU_CYCLE_1) | instskip(SKIP_3) | instid1(VALU_DEP_2)
	s_or_b32 exec_lo, exec_lo, s1
	v_mov_b32_e32 v13, 0
	v_or_b32_e32 v15, 0x200, v0
	v_mov_b32_e32 v14, 0
	v_cmp_gt_i32_e64 s0, s14, v15
	s_delay_alu instid0(VALU_DEP_2) | instskip(NEXT) | instid1(VALU_DEP_2)
	v_dual_mov_b32 v16, v14 :: v_dual_mov_b32 v15, v13
	s_and_saveexec_b32 s1, s0
	s_cbranch_execz .LBB491_73
; %bb.64:
	v_dual_mov_b32 v14, s5 :: v_dual_mov_b32 v13, s4
	s_mov_b32 s3, exec_lo
	v_cmpx_o_f64_e32 v[17:18], v[17:18]
	s_cbranch_execz .LBB491_68
; %bb.65:
	v_dual_mov_b32 v14, s7 :: v_dual_mov_b32 v13, s6
	s_mov_b32 s12, exec_lo
	v_cmpx_neq_f64_e32 0x7ff00000, v[17:18]
; %bb.66:
	v_cmp_eq_f64_e64 s0, 0xfff00000, v[17:18]
	s_delay_alu instid0(VALU_DEP_1)
	v_cndmask_b32_e64 v14, v18, s9, s0
	v_cndmask_b32_e64 v13, v17, s8, s0
; %bb.67:
	s_or_b32 exec_lo, exec_lo, s12
.LBB491_68:
	s_delay_alu instid0(SALU_CYCLE_1)
	s_or_b32 exec_lo, exec_lo, s3
	v_dual_mov_b32 v16, s5 :: v_dual_mov_b32 v15, s4
	s_mov_b32 s3, exec_lo
	v_cmpx_o_f64_e32 v[19:20], v[19:20]
	s_cbranch_execz .LBB491_72
; %bb.69:
	v_dual_mov_b32 v16, s7 :: v_dual_mov_b32 v15, s6
	s_mov_b32 s12, exec_lo
	v_cmpx_neq_f64_e32 0x7ff00000, v[19:20]
; %bb.70:
	v_cmp_eq_f64_e64 s0, 0xfff00000, v[19:20]
	s_delay_alu instid0(VALU_DEP_1)
	v_cndmask_b32_e64 v16, v20, s9, s0
	v_cndmask_b32_e64 v15, v19, s8, s0
; %bb.71:
	s_or_b32 exec_lo, exec_lo, s12
.LBB491_72:
	s_delay_alu instid0(SALU_CYCLE_1)
	s_or_b32 exec_lo, exec_lo, s3
.LBB491_73:
	s_delay_alu instid0(SALU_CYCLE_1) | instskip(SKIP_3) | instid1(VALU_DEP_2)
	s_or_b32 exec_lo, exec_lo, s1
	v_mov_b32_e32 v17, 0
	v_or_b32_e32 v19, 0x300, v0
	v_mov_b32_e32 v18, 0
	v_cmp_gt_i32_e64 s0, s14, v19
	s_delay_alu instid0(VALU_DEP_2) | instskip(NEXT) | instid1(VALU_DEP_2)
	v_dual_mov_b32 v20, v18 :: v_dual_mov_b32 v19, v17
	s_and_saveexec_b32 s1, s0
	s_cbranch_execnz .LBB491_80
; %bb.74:
	s_or_b32 exec_lo, exec_lo, s1
	s_and_saveexec_b32 s0, vcc_lo
	s_delay_alu instid0(SALU_CYCLE_1)
	s_xor_b32 s0, exec_lo, s0
	s_cbranch_execnz .LBB491_89
.LBB491_75:
	s_or_b32 exec_lo, exec_lo, s0
	s_delay_alu instid0(SALU_CYCLE_1)
	s_mov_b32 s0, exec_lo
	v_cmpx_gt_i32_e64 s14, v0
	s_cbranch_execnz .LBB491_90
.LBB491_76:
	s_or_b32 exec_lo, exec_lo, s0
	s_delay_alu instid0(SALU_CYCLE_1)
	s_mov_b32 s0, exec_lo
	v_cmpx_gt_i32_e64 s14, v0
	s_cbranch_execnz .LBB491_91
.LBB491_77:
	s_or_b32 exec_lo, exec_lo, s0
	s_delay_alu instid0(SALU_CYCLE_1)
	s_mov_b32 s0, exec_lo
	v_cmpx_gt_i32_e64 s14, v0
	s_cbranch_execz .LBB491_79
.LBB491_78:
	v_dual_mov_b32 v1, 0 :: v_dual_add_nc_u32 v0, s2, v0
	s_delay_alu instid0(VALU_DEP_1) | instskip(NEXT) | instid1(VALU_DEP_1)
	v_lshlrev_b64 v[0:1], 4, v[0:1]
	v_add_co_u32 v0, vcc_lo, s10, v0
	s_delay_alu instid0(VALU_DEP_2)
	v_add_co_ci_u32_e32 v1, vcc_lo, s11, v1, vcc_lo
	global_store_b128 v[0:1], v[17:20], off
.LBB491_79:
	s_nop 0
	s_sendmsg sendmsg(MSG_DEALLOC_VGPRS)
	s_endpgm
.LBB491_80:
	v_dual_mov_b32 v18, s5 :: v_dual_mov_b32 v17, s4
	s_mov_b32 s3, exec_lo
	v_cmpx_o_f64_e32 v[1:2], v[1:2]
	s_cbranch_execz .LBB491_84
; %bb.81:
	v_dual_mov_b32 v18, s7 :: v_dual_mov_b32 v17, s6
	s_mov_b32 s12, exec_lo
	v_cmpx_neq_f64_e32 0x7ff00000, v[1:2]
; %bb.82:
	v_cmp_eq_f64_e64 s0, 0xfff00000, v[1:2]
	s_delay_alu instid0(VALU_DEP_1)
	v_cndmask_b32_e64 v18, v2, s9, s0
	v_cndmask_b32_e64 v17, v1, s8, s0
; %bb.83:
	s_or_b32 exec_lo, exec_lo, s12
.LBB491_84:
	s_delay_alu instid0(SALU_CYCLE_1)
	s_or_b32 exec_lo, exec_lo, s3
	v_dual_mov_b32 v20, s5 :: v_dual_mov_b32 v19, s4
	s_mov_b32 s3, exec_lo
	v_cmpx_o_f64_e32 v[3:4], v[3:4]
	s_cbranch_execz .LBB491_88
; %bb.85:
	v_dual_mov_b32 v20, s7 :: v_dual_mov_b32 v19, s6
	s_mov_b32 s4, exec_lo
	v_cmpx_neq_f64_e32 0x7ff00000, v[3:4]
; %bb.86:
	v_cmp_eq_f64_e64 s0, 0xfff00000, v[3:4]
	s_delay_alu instid0(VALU_DEP_1)
	v_cndmask_b32_e64 v20, v4, s9, s0
	v_cndmask_b32_e64 v19, v3, s8, s0
; %bb.87:
	s_or_b32 exec_lo, exec_lo, s4
.LBB491_88:
	s_delay_alu instid0(SALU_CYCLE_1) | instskip(NEXT) | instid1(SALU_CYCLE_1)
	s_or_b32 exec_lo, exec_lo, s3
	s_or_b32 exec_lo, exec_lo, s1
	s_and_saveexec_b32 s0, vcc_lo
	s_delay_alu instid0(SALU_CYCLE_1)
	s_xor_b32 s0, exec_lo, s0
	s_cbranch_execz .LBB491_75
.LBB491_89:
	v_mov_b32_e32 v22, 0
	s_delay_alu instid0(VALU_DEP_1) | instskip(NEXT) | instid1(VALU_DEP_1)
	v_lshlrev_b64 v[0:1], 4, v[21:22]
	v_add_co_u32 v2, vcc_lo, s10, v0
	s_delay_alu instid0(VALU_DEP_2) | instskip(SKIP_3) | instid1(SALU_CYCLE_1)
	v_add_co_ci_u32_e32 v3, vcc_lo, s11, v1, vcc_lo
	v_mov_b32_e32 v0, v23
	global_store_b128 v[2:3], v[5:8], off
	s_or_b32 exec_lo, exec_lo, s0
	s_mov_b32 s0, exec_lo
	v_cmpx_gt_i32_e64 s14, v0
	s_cbranch_execz .LBB491_76
.LBB491_90:
	v_dual_mov_b32 v2, 0 :: v_dual_add_nc_u32 v1, s2, v0
	v_add_nc_u32_e32 v0, 0x100, v0
	s_delay_alu instid0(VALU_DEP_2) | instskip(NEXT) | instid1(VALU_DEP_1)
	v_lshlrev_b64 v[1:2], 4, v[1:2]
	v_add_co_u32 v1, vcc_lo, s10, v1
	s_delay_alu instid0(VALU_DEP_2) | instskip(SKIP_2) | instid1(SALU_CYCLE_1)
	v_add_co_ci_u32_e32 v2, vcc_lo, s11, v2, vcc_lo
	global_store_b128 v[1:2], v[9:12], off
	s_or_b32 exec_lo, exec_lo, s0
	s_mov_b32 s0, exec_lo
	v_cmpx_gt_i32_e64 s14, v0
	s_cbranch_execz .LBB491_77
.LBB491_91:
	v_dual_mov_b32 v2, 0 :: v_dual_add_nc_u32 v1, s2, v0
	v_add_nc_u32_e32 v0, 0x100, v0
	s_delay_alu instid0(VALU_DEP_2) | instskip(NEXT) | instid1(VALU_DEP_1)
	v_lshlrev_b64 v[1:2], 4, v[1:2]
	v_add_co_u32 v1, vcc_lo, s10, v1
	s_delay_alu instid0(VALU_DEP_2) | instskip(SKIP_2) | instid1(SALU_CYCLE_1)
	v_add_co_ci_u32_e32 v2, vcc_lo, s11, v2, vcc_lo
	global_store_b128 v[1:2], v[13:16], off
	s_or_b32 exec_lo, exec_lo, s0
	s_mov_b32 s0, exec_lo
	v_cmpx_gt_i32_e64 s14, v0
	s_cbranch_execnz .LBB491_78
	s_branch .LBB491_79
	.section	.rodata,"a",@progbits
	.p2align	6, 0x0
	.amdhsa_kernel _ZN2at6native29vectorized_elementwise_kernelILi8EZZZNS0_22nan_to_num_kernel_cudaERNS_18TensorIteratorBaseESt8optionalIdES5_S5_ENKUlvE_clEvENKUlvE_clEvEUlN3c107complexIdEEE_St5arrayIPcLm2EEEEviT0_T1_
		.amdhsa_group_segment_fixed_size 0
		.amdhsa_private_segment_fixed_size 0
		.amdhsa_kernarg_size 48
		.amdhsa_user_sgpr_count 15
		.amdhsa_user_sgpr_dispatch_ptr 0
		.amdhsa_user_sgpr_queue_ptr 0
		.amdhsa_user_sgpr_kernarg_segment_ptr 1
		.amdhsa_user_sgpr_dispatch_id 0
		.amdhsa_user_sgpr_private_segment_size 0
		.amdhsa_wavefront_size32 1
		.amdhsa_uses_dynamic_stack 0
		.amdhsa_enable_private_segment 0
		.amdhsa_system_sgpr_workgroup_id_x 1
		.amdhsa_system_sgpr_workgroup_id_y 0
		.amdhsa_system_sgpr_workgroup_id_z 0
		.amdhsa_system_sgpr_workgroup_info 0
		.amdhsa_system_vgpr_workitem_id 0
		.amdhsa_next_free_vgpr 24
		.amdhsa_next_free_sgpr 18
		.amdhsa_reserve_vcc 1
		.amdhsa_float_round_mode_32 0
		.amdhsa_float_round_mode_16_64 0
		.amdhsa_float_denorm_mode_32 3
		.amdhsa_float_denorm_mode_16_64 3
		.amdhsa_dx10_clamp 1
		.amdhsa_ieee_mode 1
		.amdhsa_fp16_overflow 0
		.amdhsa_workgroup_processor_mode 1
		.amdhsa_memory_ordered 1
		.amdhsa_forward_progress 0
		.amdhsa_shared_vgpr_count 0
		.amdhsa_exception_fp_ieee_invalid_op 0
		.amdhsa_exception_fp_denorm_src 0
		.amdhsa_exception_fp_ieee_div_zero 0
		.amdhsa_exception_fp_ieee_overflow 0
		.amdhsa_exception_fp_ieee_underflow 0
		.amdhsa_exception_fp_ieee_inexact 0
		.amdhsa_exception_int_div_zero 0
	.end_amdhsa_kernel
	.section	.text._ZN2at6native29vectorized_elementwise_kernelILi8EZZZNS0_22nan_to_num_kernel_cudaERNS_18TensorIteratorBaseESt8optionalIdES5_S5_ENKUlvE_clEvENKUlvE_clEvEUlN3c107complexIdEEE_St5arrayIPcLm2EEEEviT0_T1_,"axG",@progbits,_ZN2at6native29vectorized_elementwise_kernelILi8EZZZNS0_22nan_to_num_kernel_cudaERNS_18TensorIteratorBaseESt8optionalIdES5_S5_ENKUlvE_clEvENKUlvE_clEvEUlN3c107complexIdEEE_St5arrayIPcLm2EEEEviT0_T1_,comdat
.Lfunc_end491:
	.size	_ZN2at6native29vectorized_elementwise_kernelILi8EZZZNS0_22nan_to_num_kernel_cudaERNS_18TensorIteratorBaseESt8optionalIdES5_S5_ENKUlvE_clEvENKUlvE_clEvEUlN3c107complexIdEEE_St5arrayIPcLm2EEEEviT0_T1_, .Lfunc_end491-_ZN2at6native29vectorized_elementwise_kernelILi8EZZZNS0_22nan_to_num_kernel_cudaERNS_18TensorIteratorBaseESt8optionalIdES5_S5_ENKUlvE_clEvENKUlvE_clEvEUlN3c107complexIdEEE_St5arrayIPcLm2EEEEviT0_T1_
                                        ; -- End function
	.section	.AMDGPU.csdata,"",@progbits
; Kernel info:
; codeLenInByte = 2396
; NumSgprs: 20
; NumVgprs: 24
; ScratchSize: 0
; MemoryBound: 1
; FloatMode: 240
; IeeeMode: 1
; LDSByteSize: 0 bytes/workgroup (compile time only)
; SGPRBlocks: 2
; VGPRBlocks: 2
; NumSGPRsForWavesPerEU: 20
; NumVGPRsForWavesPerEU: 24
; Occupancy: 16
; WaveLimiterHint : 0
; COMPUTE_PGM_RSRC2:SCRATCH_EN: 0
; COMPUTE_PGM_RSRC2:USER_SGPR: 15
; COMPUTE_PGM_RSRC2:TRAP_HANDLER: 0
; COMPUTE_PGM_RSRC2:TGID_X_EN: 1
; COMPUTE_PGM_RSRC2:TGID_Y_EN: 0
; COMPUTE_PGM_RSRC2:TGID_Z_EN: 0
; COMPUTE_PGM_RSRC2:TIDIG_COMP_CNT: 0
	.section	.text._ZN2at6native29vectorized_elementwise_kernelILi4EZZZNS0_22nan_to_num_kernel_cudaERNS_18TensorIteratorBaseESt8optionalIdES5_S5_ENKUlvE_clEvENKUlvE_clEvEUlN3c107complexIdEEE_St5arrayIPcLm2EEEEviT0_T1_,"axG",@progbits,_ZN2at6native29vectorized_elementwise_kernelILi4EZZZNS0_22nan_to_num_kernel_cudaERNS_18TensorIteratorBaseESt8optionalIdES5_S5_ENKUlvE_clEvENKUlvE_clEvEUlN3c107complexIdEEE_St5arrayIPcLm2EEEEviT0_T1_,comdat
	.globl	_ZN2at6native29vectorized_elementwise_kernelILi4EZZZNS0_22nan_to_num_kernel_cudaERNS_18TensorIteratorBaseESt8optionalIdES5_S5_ENKUlvE_clEvENKUlvE_clEvEUlN3c107complexIdEEE_St5arrayIPcLm2EEEEviT0_T1_ ; -- Begin function _ZN2at6native29vectorized_elementwise_kernelILi4EZZZNS0_22nan_to_num_kernel_cudaERNS_18TensorIteratorBaseESt8optionalIdES5_S5_ENKUlvE_clEvENKUlvE_clEvEUlN3c107complexIdEEE_St5arrayIPcLm2EEEEviT0_T1_
	.p2align	8
	.type	_ZN2at6native29vectorized_elementwise_kernelILi4EZZZNS0_22nan_to_num_kernel_cudaERNS_18TensorIteratorBaseESt8optionalIdES5_S5_ENKUlvE_clEvENKUlvE_clEvEUlN3c107complexIdEEE_St5arrayIPcLm2EEEEviT0_T1_,@function
_ZN2at6native29vectorized_elementwise_kernelILi4EZZZNS0_22nan_to_num_kernel_cudaERNS_18TensorIteratorBaseESt8optionalIdES5_S5_ENKUlvE_clEvENKUlvE_clEvEUlN3c107complexIdEEE_St5arrayIPcLm2EEEEviT0_T1_: ; @_ZN2at6native29vectorized_elementwise_kernelILi4EZZZNS0_22nan_to_num_kernel_cudaERNS_18TensorIteratorBaseESt8optionalIdES5_S5_ENKUlvE_clEvENKUlvE_clEvEUlN3c107complexIdEEE_St5arrayIPcLm2EEEEviT0_T1_
; %bb.0:
	s_clause 0x2
	s_load_b32 s3, s[0:1], 0x0
	s_load_b256 s[4:11], s[0:1], 0x8
	s_load_b64 s[12:13], s[0:1], 0x28
	s_lshl_b32 s2, s15, 10
	s_mov_b32 s0, -1
	s_waitcnt lgkmcnt(0)
	s_sub_i32 s14, s3, s2
	s_delay_alu instid0(SALU_CYCLE_1)
	s_cmpk_gt_i32 s14, 0x3ff
	s_cbranch_scc0 .LBB492_34
; %bb.1:
	s_ashr_i32 s3, s2, 31
	v_lshlrev_b32_e32 v21, 6, v0
	s_lshl_b64 s[0:1], s[2:3], 4
	v_dual_mov_b32 v1, s4 :: v_dual_mov_b32 v2, s5
	s_add_u32 s16, s12, s0
	s_addc_u32 s17, s13, s1
	s_clause 0x3
	global_load_b128 v[9:12], v21, s[16:17]
	global_load_b128 v[17:20], v21, s[16:17] offset:16
	global_load_b128 v[5:8], v21, s[16:17] offset:48
	;; [unrolled: 1-line block ×3, first 2 shown]
	s_mov_b32 s3, exec_lo
	s_waitcnt vmcnt(3)
	v_cmpx_o_f64_e32 v[9:10], v[9:10]
	s_cbranch_execz .LBB492_5
; %bb.2:
	v_dual_mov_b32 v1, s6 :: v_dual_mov_b32 v2, s7
	s_mov_b32 s15, exec_lo
	v_cmpx_neq_f64_e32 0x7ff00000, v[9:10]
; %bb.3:
	v_cmp_eq_f64_e32 vcc_lo, 0xfff00000, v[9:10]
	v_cndmask_b32_e64 v2, v10, s9, vcc_lo
	v_cndmask_b32_e64 v1, v9, s8, vcc_lo
; %bb.4:
	s_or_b32 exec_lo, exec_lo, s15
.LBB492_5:
	s_delay_alu instid0(SALU_CYCLE_1)
	s_or_b32 exec_lo, exec_lo, s3
	v_dual_mov_b32 v3, s4 :: v_dual_mov_b32 v4, s5
	s_mov_b32 s3, exec_lo
	v_cmpx_o_f64_e32 v[11:12], v[11:12]
	s_cbranch_execz .LBB492_9
; %bb.6:
	v_dual_mov_b32 v3, s6 :: v_dual_mov_b32 v4, s7
	s_mov_b32 s15, exec_lo
	v_cmpx_neq_f64_e32 0x7ff00000, v[11:12]
; %bb.7:
	v_cmp_eq_f64_e32 vcc_lo, 0xfff00000, v[11:12]
	v_cndmask_b32_e64 v4, v12, s9, vcc_lo
	v_cndmask_b32_e64 v3, v11, s8, vcc_lo
; %bb.8:
	s_or_b32 exec_lo, exec_lo, s15
.LBB492_9:
	s_delay_alu instid0(SALU_CYCLE_1)
	s_or_b32 exec_lo, exec_lo, s3
	v_dual_mov_b32 v10, s5 :: v_dual_mov_b32 v9, s4
	s_mov_b32 s3, exec_lo
	s_waitcnt vmcnt(2)
	v_cmpx_o_f64_e32 v[17:18], v[17:18]
	s_cbranch_execz .LBB492_13
; %bb.10:
	v_dual_mov_b32 v10, s7 :: v_dual_mov_b32 v9, s6
	s_mov_b32 s15, exec_lo
	v_cmpx_neq_f64_e32 0x7ff00000, v[17:18]
; %bb.11:
	v_cmp_eq_f64_e32 vcc_lo, 0xfff00000, v[17:18]
	v_cndmask_b32_e64 v10, v18, s9, vcc_lo
	v_cndmask_b32_e64 v9, v17, s8, vcc_lo
; %bb.12:
	s_or_b32 exec_lo, exec_lo, s15
.LBB492_13:
	s_delay_alu instid0(SALU_CYCLE_1)
	s_or_b32 exec_lo, exec_lo, s3
	v_dual_mov_b32 v12, s5 :: v_dual_mov_b32 v11, s4
	s_mov_b32 s3, exec_lo
	v_cmpx_o_f64_e32 v[19:20], v[19:20]
	s_cbranch_execz .LBB492_17
; %bb.14:
	v_dual_mov_b32 v12, s7 :: v_dual_mov_b32 v11, s6
	s_mov_b32 s15, exec_lo
	v_cmpx_neq_f64_e32 0x7ff00000, v[19:20]
; %bb.15:
	v_cmp_eq_f64_e32 vcc_lo, 0xfff00000, v[19:20]
	v_cndmask_b32_e64 v12, v20, s9, vcc_lo
	v_cndmask_b32_e64 v11, v19, s8, vcc_lo
; %bb.16:
	s_or_b32 exec_lo, exec_lo, s15
.LBB492_17:
	s_delay_alu instid0(SALU_CYCLE_1)
	s_or_b32 exec_lo, exec_lo, s3
	v_dual_mov_b32 v18, s5 :: v_dual_mov_b32 v17, s4
	;; [unrolled: 35-line block ×3, first 2 shown]
	s_mov_b32 s3, exec_lo
	v_cmpx_o_f64_e32 v[5:6], v[5:6]
	s_cbranch_execz .LBB492_29
; %bb.26:
	v_dual_mov_b32 v14, s7 :: v_dual_mov_b32 v13, s6
	s_mov_b32 s15, exec_lo
	v_cmpx_neq_f64_e32 0x7ff00000, v[5:6]
; %bb.27:
	v_cmp_eq_f64_e32 vcc_lo, 0xfff00000, v[5:6]
	v_cndmask_b32_e64 v14, v6, s9, vcc_lo
	v_cndmask_b32_e64 v13, v5, s8, vcc_lo
; %bb.28:
	s_or_b32 exec_lo, exec_lo, s15
.LBB492_29:
	s_delay_alu instid0(SALU_CYCLE_1)
	s_or_b32 exec_lo, exec_lo, s3
	v_dual_mov_b32 v16, s5 :: v_dual_mov_b32 v15, s4
	s_mov_b32 s3, exec_lo
	v_cmpx_o_f64_e32 v[7:8], v[7:8]
	s_cbranch_execz .LBB492_33
; %bb.30:
	v_dual_mov_b32 v16, s7 :: v_dual_mov_b32 v15, s6
	s_mov_b32 s15, exec_lo
	v_cmpx_neq_f64_e32 0x7ff00000, v[7:8]
; %bb.31:
	v_cmp_eq_f64_e32 vcc_lo, 0xfff00000, v[7:8]
	v_cndmask_b32_e64 v16, v8, s9, vcc_lo
	v_cndmask_b32_e64 v15, v7, s8, vcc_lo
; %bb.32:
	s_or_b32 exec_lo, exec_lo, s15
.LBB492_33:
	s_delay_alu instid0(SALU_CYCLE_1)
	s_or_b32 exec_lo, exec_lo, s3
	s_add_u32 s16, s10, s0
	s_addc_u32 s17, s11, s1
	s_mov_b32 s0, 0
	s_clause 0x3
	global_store_b128 v21, v[1:4], s[16:17]
	global_store_b128 v21, v[9:12], s[16:17] offset:16
	global_store_b128 v21, v[17:20], s[16:17] offset:32
	;; [unrolled: 1-line block ×3, first 2 shown]
.LBB492_34:
	s_and_b32 vcc_lo, exec_lo, s0
	s_cbranch_vccz .LBB492_79
; %bb.35:
	v_mov_b32_e32 v13, 0
	v_dual_mov_b32 v14, 0 :: v_dual_mov_b32 v5, v0
	v_cmp_gt_i32_e32 vcc_lo, s14, v0
	v_or_b32_e32 v21, s2, v0
	v_or_b32_e32 v23, 0x100, v0
	s_delay_alu instid0(VALU_DEP_4)
	v_dual_mov_b32 v9, v13 :: v_dual_mov_b32 v10, v14
	v_dual_mov_b32 v11, v13 :: v_dual_mov_b32 v12, v14
	s_and_saveexec_b32 s1, vcc_lo
	s_cbranch_execz .LBB492_37
; %bb.36:
	v_mov_b32_e32 v22, 0
	v_or_b32_e32 v5, 0x100, v0
	s_delay_alu instid0(VALU_DEP_2) | instskip(NEXT) | instid1(VALU_DEP_1)
	v_lshlrev_b64 v[1:2], 4, v[21:22]
	v_add_co_u32 v1, s0, s12, v1
	s_delay_alu instid0(VALU_DEP_1)
	v_add_co_ci_u32_e64 v2, s0, s13, v2, s0
	global_load_b128 v[9:12], v[1:2], off
.LBB492_37:
	s_or_b32 exec_lo, exec_lo, s1
	v_dual_mov_b32 v16, v14 :: v_dual_mov_b32 v15, v13
	s_mov_b32 s1, exec_lo
	v_cmpx_gt_i32_e64 s14, v5
	s_cbranch_execz .LBB492_39
; %bb.38:
	v_dual_mov_b32 v2, 0 :: v_dual_add_nc_u32 v1, s2, v5
	v_add_nc_u32_e32 v5, 0x100, v5
	s_delay_alu instid0(VALU_DEP_2) | instskip(NEXT) | instid1(VALU_DEP_1)
	v_lshlrev_b64 v[1:2], 4, v[1:2]
	v_add_co_u32 v1, s0, s12, v1
	s_delay_alu instid0(VALU_DEP_1)
	v_add_co_ci_u32_e64 v2, s0, s13, v2, s0
	global_load_b128 v[13:16], v[1:2], off
.LBB492_39:
	s_or_b32 exec_lo, exec_lo, s1
	v_mov_b32_e32 v1, 0
	v_mov_b32_e32 v2, 0
	s_mov_b32 s1, exec_lo
	s_delay_alu instid0(VALU_DEP_1)
	v_dual_mov_b32 v18, v2 :: v_dual_mov_b32 v17, v1
	v_dual_mov_b32 v20, v2 :: v_dual_mov_b32 v19, v1
	v_cmpx_gt_i32_e64 s14, v5
	s_cbranch_execz .LBB492_41
; %bb.40:
	v_dual_mov_b32 v4, 0 :: v_dual_add_nc_u32 v3, s2, v5
	v_add_nc_u32_e32 v5, 0x100, v5
	s_delay_alu instid0(VALU_DEP_2) | instskip(NEXT) | instid1(VALU_DEP_1)
	v_lshlrev_b64 v[3:4], 4, v[3:4]
	v_add_co_u32 v3, s0, s12, v3
	s_delay_alu instid0(VALU_DEP_1)
	v_add_co_ci_u32_e64 v4, s0, s13, v4, s0
	global_load_b128 v[17:20], v[3:4], off
.LBB492_41:
	s_or_b32 exec_lo, exec_lo, s1
	v_dual_mov_b32 v4, v2 :: v_dual_mov_b32 v3, v1
	s_mov_b32 s1, exec_lo
	v_cmpx_gt_i32_e64 s14, v5
	s_cbranch_execz .LBB492_43
; %bb.42:
	v_dual_mov_b32 v2, 0 :: v_dual_add_nc_u32 v1, s2, v5
	s_delay_alu instid0(VALU_DEP_1) | instskip(NEXT) | instid1(VALU_DEP_1)
	v_lshlrev_b64 v[1:2], 4, v[1:2]
	v_add_co_u32 v1, s0, s12, v1
	s_delay_alu instid0(VALU_DEP_1)
	v_add_co_ci_u32_e64 v2, s0, s13, v2, s0
	global_load_b128 v[1:4], v[1:2], off
.LBB492_43:
	s_or_b32 exec_lo, exec_lo, s1
	v_mov_b32_e32 v5, 0
	v_mov_b32_e32 v6, 0
	s_delay_alu instid0(VALU_DEP_1)
	v_dual_mov_b32 v8, v6 :: v_dual_mov_b32 v7, v5
	s_and_saveexec_b32 s1, vcc_lo
	s_cbranch_execz .LBB492_53
; %bb.44:
	v_dual_mov_b32 v6, s5 :: v_dual_mov_b32 v5, s4
	s_mov_b32 s3, exec_lo
	s_waitcnt vmcnt(0)
	v_cmpx_o_f64_e32 v[9:10], v[9:10]
	s_cbranch_execz .LBB492_48
; %bb.45:
	v_dual_mov_b32 v5, s6 :: v_dual_mov_b32 v6, s7
	s_mov_b32 s12, exec_lo
	v_cmpx_neq_f64_e32 0x7ff00000, v[9:10]
; %bb.46:
	v_cmp_eq_f64_e64 s0, 0xfff00000, v[9:10]
	s_delay_alu instid0(VALU_DEP_1)
	v_cndmask_b32_e64 v6, v10, s9, s0
	v_cndmask_b32_e64 v5, v9, s8, s0
; %bb.47:
	s_or_b32 exec_lo, exec_lo, s12
.LBB492_48:
	s_delay_alu instid0(SALU_CYCLE_1)
	s_or_b32 exec_lo, exec_lo, s3
	v_dual_mov_b32 v8, s5 :: v_dual_mov_b32 v7, s4
	s_mov_b32 s3, exec_lo
	v_cmpx_o_f64_e32 v[11:12], v[11:12]
	s_cbranch_execz .LBB492_52
; %bb.49:
	v_dual_mov_b32 v8, s7 :: v_dual_mov_b32 v7, s6
	s_mov_b32 s12, exec_lo
	v_cmpx_neq_f64_e32 0x7ff00000, v[11:12]
; %bb.50:
	v_cmp_eq_f64_e64 s0, 0xfff00000, v[11:12]
	s_delay_alu instid0(VALU_DEP_1)
	v_cndmask_b32_e64 v8, v12, s9, s0
	v_cndmask_b32_e64 v7, v11, s8, s0
; %bb.51:
	s_or_b32 exec_lo, exec_lo, s12
.LBB492_52:
	s_delay_alu instid0(SALU_CYCLE_1)
	s_or_b32 exec_lo, exec_lo, s3
.LBB492_53:
	s_delay_alu instid0(SALU_CYCLE_1) | instskip(SKIP_4) | instid1(VALU_DEP_1)
	s_or_b32 exec_lo, exec_lo, s1
	s_waitcnt vmcnt(0)
	v_mov_b32_e32 v9, 0
	v_mov_b32_e32 v10, 0
	s_mov_b32 s1, exec_lo
	v_dual_mov_b32 v12, v10 :: v_dual_mov_b32 v11, v9
	v_cmpx_gt_i32_e64 s14, v23
	s_cbranch_execz .LBB492_63
; %bb.54:
	v_dual_mov_b32 v10, s5 :: v_dual_mov_b32 v9, s4
	s_mov_b32 s3, exec_lo
	v_cmpx_o_f64_e32 v[13:14], v[13:14]
	s_cbranch_execz .LBB492_58
; %bb.55:
	v_dual_mov_b32 v10, s7 :: v_dual_mov_b32 v9, s6
	s_mov_b32 s12, exec_lo
	v_cmpx_neq_f64_e32 0x7ff00000, v[13:14]
; %bb.56:
	v_cmp_eq_f64_e64 s0, 0xfff00000, v[13:14]
	s_delay_alu instid0(VALU_DEP_1)
	v_cndmask_b32_e64 v10, v14, s9, s0
	v_cndmask_b32_e64 v9, v13, s8, s0
; %bb.57:
	s_or_b32 exec_lo, exec_lo, s12
.LBB492_58:
	s_delay_alu instid0(SALU_CYCLE_1)
	s_or_b32 exec_lo, exec_lo, s3
	v_dual_mov_b32 v12, s5 :: v_dual_mov_b32 v11, s4
	s_mov_b32 s3, exec_lo
	v_cmpx_o_f64_e32 v[15:16], v[15:16]
	s_cbranch_execz .LBB492_62
; %bb.59:
	v_dual_mov_b32 v12, s7 :: v_dual_mov_b32 v11, s6
	s_mov_b32 s12, exec_lo
	v_cmpx_neq_f64_e32 0x7ff00000, v[15:16]
; %bb.60:
	v_cmp_eq_f64_e64 s0, 0xfff00000, v[15:16]
	s_delay_alu instid0(VALU_DEP_1)
	v_cndmask_b32_e64 v12, v16, s9, s0
	v_cndmask_b32_e64 v11, v15, s8, s0
; %bb.61:
	s_or_b32 exec_lo, exec_lo, s12
.LBB492_62:
	s_delay_alu instid0(SALU_CYCLE_1)
	s_or_b32 exec_lo, exec_lo, s3
.LBB492_63:
	s_delay_alu instid0(SALU_CYCLE_1) | instskip(SKIP_3) | instid1(VALU_DEP_2)
	s_or_b32 exec_lo, exec_lo, s1
	v_mov_b32_e32 v13, 0
	v_or_b32_e32 v15, 0x200, v0
	v_mov_b32_e32 v14, 0
	v_cmp_gt_i32_e64 s0, s14, v15
	s_delay_alu instid0(VALU_DEP_2) | instskip(NEXT) | instid1(VALU_DEP_2)
	v_dual_mov_b32 v16, v14 :: v_dual_mov_b32 v15, v13
	s_and_saveexec_b32 s1, s0
	s_cbranch_execz .LBB492_73
; %bb.64:
	v_dual_mov_b32 v14, s5 :: v_dual_mov_b32 v13, s4
	s_mov_b32 s3, exec_lo
	v_cmpx_o_f64_e32 v[17:18], v[17:18]
	s_cbranch_execz .LBB492_68
; %bb.65:
	v_dual_mov_b32 v14, s7 :: v_dual_mov_b32 v13, s6
	s_mov_b32 s12, exec_lo
	v_cmpx_neq_f64_e32 0x7ff00000, v[17:18]
; %bb.66:
	v_cmp_eq_f64_e64 s0, 0xfff00000, v[17:18]
	s_delay_alu instid0(VALU_DEP_1)
	v_cndmask_b32_e64 v14, v18, s9, s0
	v_cndmask_b32_e64 v13, v17, s8, s0
; %bb.67:
	s_or_b32 exec_lo, exec_lo, s12
.LBB492_68:
	s_delay_alu instid0(SALU_CYCLE_1)
	s_or_b32 exec_lo, exec_lo, s3
	v_dual_mov_b32 v16, s5 :: v_dual_mov_b32 v15, s4
	s_mov_b32 s3, exec_lo
	v_cmpx_o_f64_e32 v[19:20], v[19:20]
	s_cbranch_execz .LBB492_72
; %bb.69:
	v_dual_mov_b32 v16, s7 :: v_dual_mov_b32 v15, s6
	s_mov_b32 s12, exec_lo
	v_cmpx_neq_f64_e32 0x7ff00000, v[19:20]
; %bb.70:
	v_cmp_eq_f64_e64 s0, 0xfff00000, v[19:20]
	s_delay_alu instid0(VALU_DEP_1)
	v_cndmask_b32_e64 v16, v20, s9, s0
	v_cndmask_b32_e64 v15, v19, s8, s0
; %bb.71:
	s_or_b32 exec_lo, exec_lo, s12
.LBB492_72:
	s_delay_alu instid0(SALU_CYCLE_1)
	s_or_b32 exec_lo, exec_lo, s3
.LBB492_73:
	s_delay_alu instid0(SALU_CYCLE_1) | instskip(SKIP_3) | instid1(VALU_DEP_2)
	s_or_b32 exec_lo, exec_lo, s1
	v_mov_b32_e32 v17, 0
	v_or_b32_e32 v19, 0x300, v0
	v_mov_b32_e32 v18, 0
	v_cmp_gt_i32_e64 s0, s14, v19
	s_delay_alu instid0(VALU_DEP_2) | instskip(NEXT) | instid1(VALU_DEP_2)
	v_dual_mov_b32 v20, v18 :: v_dual_mov_b32 v19, v17
	s_and_saveexec_b32 s1, s0
	s_cbranch_execnz .LBB492_80
; %bb.74:
	s_or_b32 exec_lo, exec_lo, s1
	s_and_saveexec_b32 s0, vcc_lo
	s_delay_alu instid0(SALU_CYCLE_1)
	s_xor_b32 s0, exec_lo, s0
	s_cbranch_execnz .LBB492_89
.LBB492_75:
	s_or_b32 exec_lo, exec_lo, s0
	s_delay_alu instid0(SALU_CYCLE_1)
	s_mov_b32 s0, exec_lo
	v_cmpx_gt_i32_e64 s14, v0
	s_cbranch_execnz .LBB492_90
.LBB492_76:
	s_or_b32 exec_lo, exec_lo, s0
	s_delay_alu instid0(SALU_CYCLE_1)
	s_mov_b32 s0, exec_lo
	v_cmpx_gt_i32_e64 s14, v0
	s_cbranch_execnz .LBB492_91
.LBB492_77:
	s_or_b32 exec_lo, exec_lo, s0
	s_delay_alu instid0(SALU_CYCLE_1)
	s_mov_b32 s0, exec_lo
	v_cmpx_gt_i32_e64 s14, v0
	s_cbranch_execz .LBB492_79
.LBB492_78:
	v_dual_mov_b32 v1, 0 :: v_dual_add_nc_u32 v0, s2, v0
	s_delay_alu instid0(VALU_DEP_1) | instskip(NEXT) | instid1(VALU_DEP_1)
	v_lshlrev_b64 v[0:1], 4, v[0:1]
	v_add_co_u32 v0, vcc_lo, s10, v0
	s_delay_alu instid0(VALU_DEP_2)
	v_add_co_ci_u32_e32 v1, vcc_lo, s11, v1, vcc_lo
	global_store_b128 v[0:1], v[17:20], off
.LBB492_79:
	s_nop 0
	s_sendmsg sendmsg(MSG_DEALLOC_VGPRS)
	s_endpgm
.LBB492_80:
	v_dual_mov_b32 v18, s5 :: v_dual_mov_b32 v17, s4
	s_mov_b32 s3, exec_lo
	v_cmpx_o_f64_e32 v[1:2], v[1:2]
	s_cbranch_execz .LBB492_84
; %bb.81:
	v_dual_mov_b32 v18, s7 :: v_dual_mov_b32 v17, s6
	s_mov_b32 s12, exec_lo
	v_cmpx_neq_f64_e32 0x7ff00000, v[1:2]
; %bb.82:
	v_cmp_eq_f64_e64 s0, 0xfff00000, v[1:2]
	s_delay_alu instid0(VALU_DEP_1)
	v_cndmask_b32_e64 v18, v2, s9, s0
	v_cndmask_b32_e64 v17, v1, s8, s0
; %bb.83:
	s_or_b32 exec_lo, exec_lo, s12
.LBB492_84:
	s_delay_alu instid0(SALU_CYCLE_1)
	s_or_b32 exec_lo, exec_lo, s3
	v_dual_mov_b32 v20, s5 :: v_dual_mov_b32 v19, s4
	s_mov_b32 s3, exec_lo
	v_cmpx_o_f64_e32 v[3:4], v[3:4]
	s_cbranch_execz .LBB492_88
; %bb.85:
	v_dual_mov_b32 v20, s7 :: v_dual_mov_b32 v19, s6
	s_mov_b32 s4, exec_lo
	v_cmpx_neq_f64_e32 0x7ff00000, v[3:4]
; %bb.86:
	v_cmp_eq_f64_e64 s0, 0xfff00000, v[3:4]
	s_delay_alu instid0(VALU_DEP_1)
	v_cndmask_b32_e64 v20, v4, s9, s0
	v_cndmask_b32_e64 v19, v3, s8, s0
; %bb.87:
	s_or_b32 exec_lo, exec_lo, s4
.LBB492_88:
	s_delay_alu instid0(SALU_CYCLE_1) | instskip(NEXT) | instid1(SALU_CYCLE_1)
	s_or_b32 exec_lo, exec_lo, s3
	s_or_b32 exec_lo, exec_lo, s1
	s_and_saveexec_b32 s0, vcc_lo
	s_delay_alu instid0(SALU_CYCLE_1)
	s_xor_b32 s0, exec_lo, s0
	s_cbranch_execz .LBB492_75
.LBB492_89:
	v_mov_b32_e32 v22, 0
	s_delay_alu instid0(VALU_DEP_1) | instskip(NEXT) | instid1(VALU_DEP_1)
	v_lshlrev_b64 v[0:1], 4, v[21:22]
	v_add_co_u32 v2, vcc_lo, s10, v0
	s_delay_alu instid0(VALU_DEP_2) | instskip(SKIP_3) | instid1(SALU_CYCLE_1)
	v_add_co_ci_u32_e32 v3, vcc_lo, s11, v1, vcc_lo
	v_mov_b32_e32 v0, v23
	global_store_b128 v[2:3], v[5:8], off
	s_or_b32 exec_lo, exec_lo, s0
	s_mov_b32 s0, exec_lo
	v_cmpx_gt_i32_e64 s14, v0
	s_cbranch_execz .LBB492_76
.LBB492_90:
	v_dual_mov_b32 v2, 0 :: v_dual_add_nc_u32 v1, s2, v0
	v_add_nc_u32_e32 v0, 0x100, v0
	s_delay_alu instid0(VALU_DEP_2) | instskip(NEXT) | instid1(VALU_DEP_1)
	v_lshlrev_b64 v[1:2], 4, v[1:2]
	v_add_co_u32 v1, vcc_lo, s10, v1
	s_delay_alu instid0(VALU_DEP_2) | instskip(SKIP_2) | instid1(SALU_CYCLE_1)
	v_add_co_ci_u32_e32 v2, vcc_lo, s11, v2, vcc_lo
	global_store_b128 v[1:2], v[9:12], off
	s_or_b32 exec_lo, exec_lo, s0
	s_mov_b32 s0, exec_lo
	v_cmpx_gt_i32_e64 s14, v0
	s_cbranch_execz .LBB492_77
.LBB492_91:
	v_dual_mov_b32 v2, 0 :: v_dual_add_nc_u32 v1, s2, v0
	v_add_nc_u32_e32 v0, 0x100, v0
	s_delay_alu instid0(VALU_DEP_2) | instskip(NEXT) | instid1(VALU_DEP_1)
	v_lshlrev_b64 v[1:2], 4, v[1:2]
	v_add_co_u32 v1, vcc_lo, s10, v1
	s_delay_alu instid0(VALU_DEP_2) | instskip(SKIP_2) | instid1(SALU_CYCLE_1)
	v_add_co_ci_u32_e32 v2, vcc_lo, s11, v2, vcc_lo
	global_store_b128 v[1:2], v[13:16], off
	s_or_b32 exec_lo, exec_lo, s0
	s_mov_b32 s0, exec_lo
	v_cmpx_gt_i32_e64 s14, v0
	s_cbranch_execnz .LBB492_78
	s_branch .LBB492_79
	.section	.rodata,"a",@progbits
	.p2align	6, 0x0
	.amdhsa_kernel _ZN2at6native29vectorized_elementwise_kernelILi4EZZZNS0_22nan_to_num_kernel_cudaERNS_18TensorIteratorBaseESt8optionalIdES5_S5_ENKUlvE_clEvENKUlvE_clEvEUlN3c107complexIdEEE_St5arrayIPcLm2EEEEviT0_T1_
		.amdhsa_group_segment_fixed_size 0
		.amdhsa_private_segment_fixed_size 0
		.amdhsa_kernarg_size 48
		.amdhsa_user_sgpr_count 15
		.amdhsa_user_sgpr_dispatch_ptr 0
		.amdhsa_user_sgpr_queue_ptr 0
		.amdhsa_user_sgpr_kernarg_segment_ptr 1
		.amdhsa_user_sgpr_dispatch_id 0
		.amdhsa_user_sgpr_private_segment_size 0
		.amdhsa_wavefront_size32 1
		.amdhsa_uses_dynamic_stack 0
		.amdhsa_enable_private_segment 0
		.amdhsa_system_sgpr_workgroup_id_x 1
		.amdhsa_system_sgpr_workgroup_id_y 0
		.amdhsa_system_sgpr_workgroup_id_z 0
		.amdhsa_system_sgpr_workgroup_info 0
		.amdhsa_system_vgpr_workitem_id 0
		.amdhsa_next_free_vgpr 24
		.amdhsa_next_free_sgpr 18
		.amdhsa_reserve_vcc 1
		.amdhsa_float_round_mode_32 0
		.amdhsa_float_round_mode_16_64 0
		.amdhsa_float_denorm_mode_32 3
		.amdhsa_float_denorm_mode_16_64 3
		.amdhsa_dx10_clamp 1
		.amdhsa_ieee_mode 1
		.amdhsa_fp16_overflow 0
		.amdhsa_workgroup_processor_mode 1
		.amdhsa_memory_ordered 1
		.amdhsa_forward_progress 0
		.amdhsa_shared_vgpr_count 0
		.amdhsa_exception_fp_ieee_invalid_op 0
		.amdhsa_exception_fp_denorm_src 0
		.amdhsa_exception_fp_ieee_div_zero 0
		.amdhsa_exception_fp_ieee_overflow 0
		.amdhsa_exception_fp_ieee_underflow 0
		.amdhsa_exception_fp_ieee_inexact 0
		.amdhsa_exception_int_div_zero 0
	.end_amdhsa_kernel
	.section	.text._ZN2at6native29vectorized_elementwise_kernelILi4EZZZNS0_22nan_to_num_kernel_cudaERNS_18TensorIteratorBaseESt8optionalIdES5_S5_ENKUlvE_clEvENKUlvE_clEvEUlN3c107complexIdEEE_St5arrayIPcLm2EEEEviT0_T1_,"axG",@progbits,_ZN2at6native29vectorized_elementwise_kernelILi4EZZZNS0_22nan_to_num_kernel_cudaERNS_18TensorIteratorBaseESt8optionalIdES5_S5_ENKUlvE_clEvENKUlvE_clEvEUlN3c107complexIdEEE_St5arrayIPcLm2EEEEviT0_T1_,comdat
.Lfunc_end492:
	.size	_ZN2at6native29vectorized_elementwise_kernelILi4EZZZNS0_22nan_to_num_kernel_cudaERNS_18TensorIteratorBaseESt8optionalIdES5_S5_ENKUlvE_clEvENKUlvE_clEvEUlN3c107complexIdEEE_St5arrayIPcLm2EEEEviT0_T1_, .Lfunc_end492-_ZN2at6native29vectorized_elementwise_kernelILi4EZZZNS0_22nan_to_num_kernel_cudaERNS_18TensorIteratorBaseESt8optionalIdES5_S5_ENKUlvE_clEvENKUlvE_clEvEUlN3c107complexIdEEE_St5arrayIPcLm2EEEEviT0_T1_
                                        ; -- End function
	.section	.AMDGPU.csdata,"",@progbits
; Kernel info:
; codeLenInByte = 2396
; NumSgprs: 20
; NumVgprs: 24
; ScratchSize: 0
; MemoryBound: 1
; FloatMode: 240
; IeeeMode: 1
; LDSByteSize: 0 bytes/workgroup (compile time only)
; SGPRBlocks: 2
; VGPRBlocks: 2
; NumSGPRsForWavesPerEU: 20
; NumVGPRsForWavesPerEU: 24
; Occupancy: 16
; WaveLimiterHint : 0
; COMPUTE_PGM_RSRC2:SCRATCH_EN: 0
; COMPUTE_PGM_RSRC2:USER_SGPR: 15
; COMPUTE_PGM_RSRC2:TRAP_HANDLER: 0
; COMPUTE_PGM_RSRC2:TGID_X_EN: 1
; COMPUTE_PGM_RSRC2:TGID_Y_EN: 0
; COMPUTE_PGM_RSRC2:TGID_Z_EN: 0
; COMPUTE_PGM_RSRC2:TIDIG_COMP_CNT: 0
	.section	.text._ZN2at6native29vectorized_elementwise_kernelILi2EZZZNS0_22nan_to_num_kernel_cudaERNS_18TensorIteratorBaseESt8optionalIdES5_S5_ENKUlvE_clEvENKUlvE_clEvEUlN3c107complexIdEEE_St5arrayIPcLm2EEEEviT0_T1_,"axG",@progbits,_ZN2at6native29vectorized_elementwise_kernelILi2EZZZNS0_22nan_to_num_kernel_cudaERNS_18TensorIteratorBaseESt8optionalIdES5_S5_ENKUlvE_clEvENKUlvE_clEvEUlN3c107complexIdEEE_St5arrayIPcLm2EEEEviT0_T1_,comdat
	.globl	_ZN2at6native29vectorized_elementwise_kernelILi2EZZZNS0_22nan_to_num_kernel_cudaERNS_18TensorIteratorBaseESt8optionalIdES5_S5_ENKUlvE_clEvENKUlvE_clEvEUlN3c107complexIdEEE_St5arrayIPcLm2EEEEviT0_T1_ ; -- Begin function _ZN2at6native29vectorized_elementwise_kernelILi2EZZZNS0_22nan_to_num_kernel_cudaERNS_18TensorIteratorBaseESt8optionalIdES5_S5_ENKUlvE_clEvENKUlvE_clEvEUlN3c107complexIdEEE_St5arrayIPcLm2EEEEviT0_T1_
	.p2align	8
	.type	_ZN2at6native29vectorized_elementwise_kernelILi2EZZZNS0_22nan_to_num_kernel_cudaERNS_18TensorIteratorBaseESt8optionalIdES5_S5_ENKUlvE_clEvENKUlvE_clEvEUlN3c107complexIdEEE_St5arrayIPcLm2EEEEviT0_T1_,@function
_ZN2at6native29vectorized_elementwise_kernelILi2EZZZNS0_22nan_to_num_kernel_cudaERNS_18TensorIteratorBaseESt8optionalIdES5_S5_ENKUlvE_clEvENKUlvE_clEvEUlN3c107complexIdEEE_St5arrayIPcLm2EEEEviT0_T1_: ; @_ZN2at6native29vectorized_elementwise_kernelILi2EZZZNS0_22nan_to_num_kernel_cudaERNS_18TensorIteratorBaseESt8optionalIdES5_S5_ENKUlvE_clEvENKUlvE_clEvEUlN3c107complexIdEEE_St5arrayIPcLm2EEEEviT0_T1_
; %bb.0:
	s_clause 0x2
	s_load_b32 s3, s[0:1], 0x0
	s_load_b256 s[4:11], s[0:1], 0x8
	s_load_b64 s[12:13], s[0:1], 0x28
	s_lshl_b32 s2, s15, 10
	s_mov_b32 s0, -1
	s_waitcnt lgkmcnt(0)
	s_sub_i32 s14, s3, s2
	s_delay_alu instid0(SALU_CYCLE_1)
	s_cmpk_gt_i32 s14, 0x3ff
	s_cbranch_scc0 .LBB493_34
; %bb.1:
	s_ashr_i32 s3, s2, 31
	v_lshlrev_b32_e32 v21, 5, v0
	s_lshl_b64 s[0:1], s[2:3], 4
	s_delay_alu instid0(SALU_CYCLE_1) | instskip(SKIP_1) | instid1(VALU_DEP_1)
	s_add_u32 s16, s12, s0
	s_addc_u32 s17, s13, s1
	v_add_co_u32 v1, s3, s16, v21
	s_delay_alu instid0(VALU_DEP_1)
	v_add_co_ci_u32_e64 v2, null, s17, 0, s3
	global_load_b128 v[9:12], v21, s[16:17]
	v_add_co_u32 v1, vcc_lo, 0x2000, v1
	v_add_co_ci_u32_e32 v2, vcc_lo, 0, v2, vcc_lo
	s_mov_b32 s3, exec_lo
	s_clause 0x2
	global_load_b128 v[17:20], v21, s[16:17] offset:16
	global_load_b128 v[13:16], v[1:2], off
	global_load_b128 v[5:8], v[1:2], off offset:16
	v_dual_mov_b32 v1, s4 :: v_dual_mov_b32 v2, s5
	s_waitcnt vmcnt(3)
	v_cmpx_o_f64_e32 v[9:10], v[9:10]
	s_cbranch_execz .LBB493_5
; %bb.2:
	v_dual_mov_b32 v1, s6 :: v_dual_mov_b32 v2, s7
	s_mov_b32 s15, exec_lo
	v_cmpx_neq_f64_e32 0x7ff00000, v[9:10]
; %bb.3:
	v_cmp_eq_f64_e32 vcc_lo, 0xfff00000, v[9:10]
	v_cndmask_b32_e64 v2, v10, s9, vcc_lo
	v_cndmask_b32_e64 v1, v9, s8, vcc_lo
; %bb.4:
	s_or_b32 exec_lo, exec_lo, s15
.LBB493_5:
	s_delay_alu instid0(SALU_CYCLE_1)
	s_or_b32 exec_lo, exec_lo, s3
	v_dual_mov_b32 v3, s4 :: v_dual_mov_b32 v4, s5
	s_mov_b32 s3, exec_lo
	v_cmpx_o_f64_e32 v[11:12], v[11:12]
	s_cbranch_execz .LBB493_9
; %bb.6:
	v_dual_mov_b32 v3, s6 :: v_dual_mov_b32 v4, s7
	s_mov_b32 s15, exec_lo
	v_cmpx_neq_f64_e32 0x7ff00000, v[11:12]
; %bb.7:
	v_cmp_eq_f64_e32 vcc_lo, 0xfff00000, v[11:12]
	v_cndmask_b32_e64 v4, v12, s9, vcc_lo
	v_cndmask_b32_e64 v3, v11, s8, vcc_lo
; %bb.8:
	s_or_b32 exec_lo, exec_lo, s15
.LBB493_9:
	s_delay_alu instid0(SALU_CYCLE_1)
	s_or_b32 exec_lo, exec_lo, s3
	v_dual_mov_b32 v10, s5 :: v_dual_mov_b32 v9, s4
	s_mov_b32 s3, exec_lo
	s_waitcnt vmcnt(2)
	v_cmpx_o_f64_e32 v[17:18], v[17:18]
	s_cbranch_execz .LBB493_13
; %bb.10:
	v_dual_mov_b32 v10, s7 :: v_dual_mov_b32 v9, s6
	s_mov_b32 s15, exec_lo
	v_cmpx_neq_f64_e32 0x7ff00000, v[17:18]
; %bb.11:
	v_cmp_eq_f64_e32 vcc_lo, 0xfff00000, v[17:18]
	v_cndmask_b32_e64 v10, v18, s9, vcc_lo
	v_cndmask_b32_e64 v9, v17, s8, vcc_lo
; %bb.12:
	s_or_b32 exec_lo, exec_lo, s15
.LBB493_13:
	s_delay_alu instid0(SALU_CYCLE_1)
	s_or_b32 exec_lo, exec_lo, s3
	v_dual_mov_b32 v12, s5 :: v_dual_mov_b32 v11, s4
	s_mov_b32 s3, exec_lo
	v_cmpx_o_f64_e32 v[19:20], v[19:20]
	s_cbranch_execz .LBB493_17
; %bb.14:
	v_dual_mov_b32 v12, s7 :: v_dual_mov_b32 v11, s6
	s_mov_b32 s15, exec_lo
	v_cmpx_neq_f64_e32 0x7ff00000, v[19:20]
; %bb.15:
	v_cmp_eq_f64_e32 vcc_lo, 0xfff00000, v[19:20]
	v_cndmask_b32_e64 v12, v20, s9, vcc_lo
	v_cndmask_b32_e64 v11, v19, s8, vcc_lo
; %bb.16:
	s_or_b32 exec_lo, exec_lo, s15
.LBB493_17:
	s_delay_alu instid0(SALU_CYCLE_1)
	s_or_b32 exec_lo, exec_lo, s3
	v_dual_mov_b32 v18, s5 :: v_dual_mov_b32 v17, s4
	s_mov_b32 s3, exec_lo
	;; [unrolled: 35-line block ×3, first 2 shown]
	s_waitcnt vmcnt(0)
	v_cmpx_o_f64_e32 v[5:6], v[5:6]
	s_cbranch_execz .LBB493_29
; %bb.26:
	v_dual_mov_b32 v14, s7 :: v_dual_mov_b32 v13, s6
	s_mov_b32 s15, exec_lo
	v_cmpx_neq_f64_e32 0x7ff00000, v[5:6]
; %bb.27:
	v_cmp_eq_f64_e32 vcc_lo, 0xfff00000, v[5:6]
	v_cndmask_b32_e64 v14, v6, s9, vcc_lo
	v_cndmask_b32_e64 v13, v5, s8, vcc_lo
; %bb.28:
	s_or_b32 exec_lo, exec_lo, s15
.LBB493_29:
	s_delay_alu instid0(SALU_CYCLE_1)
	s_or_b32 exec_lo, exec_lo, s3
	v_dual_mov_b32 v16, s5 :: v_dual_mov_b32 v15, s4
	s_mov_b32 s3, exec_lo
	v_cmpx_o_f64_e32 v[7:8], v[7:8]
	s_cbranch_execz .LBB493_33
; %bb.30:
	v_dual_mov_b32 v16, s7 :: v_dual_mov_b32 v15, s6
	s_mov_b32 s15, exec_lo
	v_cmpx_neq_f64_e32 0x7ff00000, v[7:8]
; %bb.31:
	v_cmp_eq_f64_e32 vcc_lo, 0xfff00000, v[7:8]
	v_cndmask_b32_e64 v16, v8, s9, vcc_lo
	v_cndmask_b32_e64 v15, v7, s8, vcc_lo
; %bb.32:
	s_or_b32 exec_lo, exec_lo, s15
.LBB493_33:
	s_delay_alu instid0(SALU_CYCLE_1) | instskip(SKIP_3) | instid1(VALU_DEP_1)
	s_or_b32 exec_lo, exec_lo, s3
	s_add_u32 s16, s10, s0
	s_addc_u32 s17, s11, s1
	v_add_co_u32 v5, s0, s16, v21
	v_add_co_ci_u32_e64 v6, null, s17, 0, s0
	s_mov_b32 s0, 0
	s_delay_alu instid0(VALU_DEP_2) | instskip(NEXT) | instid1(VALU_DEP_2)
	v_add_co_u32 v5, vcc_lo, 0x2000, v5
	v_add_co_ci_u32_e32 v6, vcc_lo, 0, v6, vcc_lo
	s_clause 0x3
	global_store_b128 v21, v[1:4], s[16:17]
	global_store_b128 v21, v[9:12], s[16:17] offset:16
	global_store_b128 v[5:6], v[17:20], off
	global_store_b128 v[5:6], v[13:16], off offset:16
.LBB493_34:
	s_and_b32 vcc_lo, exec_lo, s0
	s_cbranch_vccz .LBB493_79
; %bb.35:
	v_mov_b32_e32 v13, 0
	v_dual_mov_b32 v14, 0 :: v_dual_mov_b32 v5, v0
	v_cmp_gt_i32_e32 vcc_lo, s14, v0
	v_or_b32_e32 v21, s2, v0
	v_or_b32_e32 v23, 0x100, v0
	s_delay_alu instid0(VALU_DEP_4)
	v_dual_mov_b32 v9, v13 :: v_dual_mov_b32 v10, v14
	v_dual_mov_b32 v11, v13 :: v_dual_mov_b32 v12, v14
	s_and_saveexec_b32 s1, vcc_lo
	s_cbranch_execz .LBB493_37
; %bb.36:
	v_mov_b32_e32 v22, 0
	v_or_b32_e32 v5, 0x100, v0
	s_delay_alu instid0(VALU_DEP_2) | instskip(NEXT) | instid1(VALU_DEP_1)
	v_lshlrev_b64 v[1:2], 4, v[21:22]
	v_add_co_u32 v1, s0, s12, v1
	s_delay_alu instid0(VALU_DEP_1)
	v_add_co_ci_u32_e64 v2, s0, s13, v2, s0
	global_load_b128 v[9:12], v[1:2], off
.LBB493_37:
	s_or_b32 exec_lo, exec_lo, s1
	v_dual_mov_b32 v16, v14 :: v_dual_mov_b32 v15, v13
	s_mov_b32 s1, exec_lo
	v_cmpx_gt_i32_e64 s14, v5
	s_cbranch_execz .LBB493_39
; %bb.38:
	v_dual_mov_b32 v2, 0 :: v_dual_add_nc_u32 v1, s2, v5
	v_add_nc_u32_e32 v5, 0x100, v5
	s_delay_alu instid0(VALU_DEP_2) | instskip(NEXT) | instid1(VALU_DEP_1)
	v_lshlrev_b64 v[1:2], 4, v[1:2]
	v_add_co_u32 v1, s0, s12, v1
	s_delay_alu instid0(VALU_DEP_1)
	v_add_co_ci_u32_e64 v2, s0, s13, v2, s0
	global_load_b128 v[13:16], v[1:2], off
.LBB493_39:
	s_or_b32 exec_lo, exec_lo, s1
	v_mov_b32_e32 v1, 0
	v_mov_b32_e32 v2, 0
	s_mov_b32 s1, exec_lo
	s_delay_alu instid0(VALU_DEP_1)
	v_dual_mov_b32 v18, v2 :: v_dual_mov_b32 v17, v1
	v_dual_mov_b32 v20, v2 :: v_dual_mov_b32 v19, v1
	v_cmpx_gt_i32_e64 s14, v5
	s_cbranch_execz .LBB493_41
; %bb.40:
	v_dual_mov_b32 v4, 0 :: v_dual_add_nc_u32 v3, s2, v5
	v_add_nc_u32_e32 v5, 0x100, v5
	s_delay_alu instid0(VALU_DEP_2) | instskip(NEXT) | instid1(VALU_DEP_1)
	v_lshlrev_b64 v[3:4], 4, v[3:4]
	v_add_co_u32 v3, s0, s12, v3
	s_delay_alu instid0(VALU_DEP_1)
	v_add_co_ci_u32_e64 v4, s0, s13, v4, s0
	global_load_b128 v[17:20], v[3:4], off
.LBB493_41:
	s_or_b32 exec_lo, exec_lo, s1
	v_dual_mov_b32 v4, v2 :: v_dual_mov_b32 v3, v1
	s_mov_b32 s1, exec_lo
	v_cmpx_gt_i32_e64 s14, v5
	s_cbranch_execz .LBB493_43
; %bb.42:
	v_dual_mov_b32 v2, 0 :: v_dual_add_nc_u32 v1, s2, v5
	s_delay_alu instid0(VALU_DEP_1) | instskip(NEXT) | instid1(VALU_DEP_1)
	v_lshlrev_b64 v[1:2], 4, v[1:2]
	v_add_co_u32 v1, s0, s12, v1
	s_delay_alu instid0(VALU_DEP_1)
	v_add_co_ci_u32_e64 v2, s0, s13, v2, s0
	global_load_b128 v[1:4], v[1:2], off
.LBB493_43:
	s_or_b32 exec_lo, exec_lo, s1
	v_mov_b32_e32 v5, 0
	v_mov_b32_e32 v6, 0
	s_delay_alu instid0(VALU_DEP_1)
	v_dual_mov_b32 v8, v6 :: v_dual_mov_b32 v7, v5
	s_and_saveexec_b32 s1, vcc_lo
	s_cbranch_execz .LBB493_53
; %bb.44:
	v_dual_mov_b32 v6, s5 :: v_dual_mov_b32 v5, s4
	s_mov_b32 s3, exec_lo
	s_waitcnt vmcnt(0)
	v_cmpx_o_f64_e32 v[9:10], v[9:10]
	s_cbranch_execz .LBB493_48
; %bb.45:
	v_dual_mov_b32 v5, s6 :: v_dual_mov_b32 v6, s7
	s_mov_b32 s12, exec_lo
	v_cmpx_neq_f64_e32 0x7ff00000, v[9:10]
; %bb.46:
	v_cmp_eq_f64_e64 s0, 0xfff00000, v[9:10]
	s_delay_alu instid0(VALU_DEP_1)
	v_cndmask_b32_e64 v6, v10, s9, s0
	v_cndmask_b32_e64 v5, v9, s8, s0
; %bb.47:
	s_or_b32 exec_lo, exec_lo, s12
.LBB493_48:
	s_delay_alu instid0(SALU_CYCLE_1)
	s_or_b32 exec_lo, exec_lo, s3
	v_dual_mov_b32 v8, s5 :: v_dual_mov_b32 v7, s4
	s_mov_b32 s3, exec_lo
	v_cmpx_o_f64_e32 v[11:12], v[11:12]
	s_cbranch_execz .LBB493_52
; %bb.49:
	v_dual_mov_b32 v8, s7 :: v_dual_mov_b32 v7, s6
	s_mov_b32 s12, exec_lo
	v_cmpx_neq_f64_e32 0x7ff00000, v[11:12]
; %bb.50:
	v_cmp_eq_f64_e64 s0, 0xfff00000, v[11:12]
	s_delay_alu instid0(VALU_DEP_1)
	v_cndmask_b32_e64 v8, v12, s9, s0
	v_cndmask_b32_e64 v7, v11, s8, s0
; %bb.51:
	s_or_b32 exec_lo, exec_lo, s12
.LBB493_52:
	s_delay_alu instid0(SALU_CYCLE_1)
	s_or_b32 exec_lo, exec_lo, s3
.LBB493_53:
	s_delay_alu instid0(SALU_CYCLE_1) | instskip(SKIP_4) | instid1(VALU_DEP_1)
	s_or_b32 exec_lo, exec_lo, s1
	s_waitcnt vmcnt(0)
	v_mov_b32_e32 v9, 0
	v_mov_b32_e32 v10, 0
	s_mov_b32 s1, exec_lo
	v_dual_mov_b32 v12, v10 :: v_dual_mov_b32 v11, v9
	v_cmpx_gt_i32_e64 s14, v23
	s_cbranch_execz .LBB493_63
; %bb.54:
	v_dual_mov_b32 v10, s5 :: v_dual_mov_b32 v9, s4
	s_mov_b32 s3, exec_lo
	v_cmpx_o_f64_e32 v[13:14], v[13:14]
	s_cbranch_execz .LBB493_58
; %bb.55:
	v_dual_mov_b32 v10, s7 :: v_dual_mov_b32 v9, s6
	s_mov_b32 s12, exec_lo
	v_cmpx_neq_f64_e32 0x7ff00000, v[13:14]
; %bb.56:
	v_cmp_eq_f64_e64 s0, 0xfff00000, v[13:14]
	s_delay_alu instid0(VALU_DEP_1)
	v_cndmask_b32_e64 v10, v14, s9, s0
	v_cndmask_b32_e64 v9, v13, s8, s0
; %bb.57:
	s_or_b32 exec_lo, exec_lo, s12
.LBB493_58:
	s_delay_alu instid0(SALU_CYCLE_1)
	s_or_b32 exec_lo, exec_lo, s3
	v_dual_mov_b32 v12, s5 :: v_dual_mov_b32 v11, s4
	s_mov_b32 s3, exec_lo
	v_cmpx_o_f64_e32 v[15:16], v[15:16]
	s_cbranch_execz .LBB493_62
; %bb.59:
	v_dual_mov_b32 v12, s7 :: v_dual_mov_b32 v11, s6
	s_mov_b32 s12, exec_lo
	v_cmpx_neq_f64_e32 0x7ff00000, v[15:16]
; %bb.60:
	v_cmp_eq_f64_e64 s0, 0xfff00000, v[15:16]
	s_delay_alu instid0(VALU_DEP_1)
	v_cndmask_b32_e64 v12, v16, s9, s0
	v_cndmask_b32_e64 v11, v15, s8, s0
; %bb.61:
	s_or_b32 exec_lo, exec_lo, s12
.LBB493_62:
	s_delay_alu instid0(SALU_CYCLE_1)
	s_or_b32 exec_lo, exec_lo, s3
.LBB493_63:
	s_delay_alu instid0(SALU_CYCLE_1) | instskip(SKIP_3) | instid1(VALU_DEP_2)
	s_or_b32 exec_lo, exec_lo, s1
	v_mov_b32_e32 v13, 0
	v_or_b32_e32 v15, 0x200, v0
	v_mov_b32_e32 v14, 0
	v_cmp_gt_i32_e64 s0, s14, v15
	s_delay_alu instid0(VALU_DEP_2) | instskip(NEXT) | instid1(VALU_DEP_2)
	v_dual_mov_b32 v16, v14 :: v_dual_mov_b32 v15, v13
	s_and_saveexec_b32 s1, s0
	s_cbranch_execz .LBB493_73
; %bb.64:
	v_dual_mov_b32 v14, s5 :: v_dual_mov_b32 v13, s4
	s_mov_b32 s3, exec_lo
	v_cmpx_o_f64_e32 v[17:18], v[17:18]
	s_cbranch_execz .LBB493_68
; %bb.65:
	v_dual_mov_b32 v14, s7 :: v_dual_mov_b32 v13, s6
	s_mov_b32 s12, exec_lo
	v_cmpx_neq_f64_e32 0x7ff00000, v[17:18]
; %bb.66:
	v_cmp_eq_f64_e64 s0, 0xfff00000, v[17:18]
	s_delay_alu instid0(VALU_DEP_1)
	v_cndmask_b32_e64 v14, v18, s9, s0
	v_cndmask_b32_e64 v13, v17, s8, s0
; %bb.67:
	s_or_b32 exec_lo, exec_lo, s12
.LBB493_68:
	s_delay_alu instid0(SALU_CYCLE_1)
	s_or_b32 exec_lo, exec_lo, s3
	v_dual_mov_b32 v16, s5 :: v_dual_mov_b32 v15, s4
	s_mov_b32 s3, exec_lo
	v_cmpx_o_f64_e32 v[19:20], v[19:20]
	s_cbranch_execz .LBB493_72
; %bb.69:
	v_dual_mov_b32 v16, s7 :: v_dual_mov_b32 v15, s6
	s_mov_b32 s12, exec_lo
	v_cmpx_neq_f64_e32 0x7ff00000, v[19:20]
; %bb.70:
	v_cmp_eq_f64_e64 s0, 0xfff00000, v[19:20]
	s_delay_alu instid0(VALU_DEP_1)
	v_cndmask_b32_e64 v16, v20, s9, s0
	v_cndmask_b32_e64 v15, v19, s8, s0
; %bb.71:
	s_or_b32 exec_lo, exec_lo, s12
.LBB493_72:
	s_delay_alu instid0(SALU_CYCLE_1)
	s_or_b32 exec_lo, exec_lo, s3
.LBB493_73:
	s_delay_alu instid0(SALU_CYCLE_1) | instskip(SKIP_3) | instid1(VALU_DEP_2)
	s_or_b32 exec_lo, exec_lo, s1
	v_mov_b32_e32 v17, 0
	v_or_b32_e32 v19, 0x300, v0
	v_mov_b32_e32 v18, 0
	v_cmp_gt_i32_e64 s0, s14, v19
	s_delay_alu instid0(VALU_DEP_2) | instskip(NEXT) | instid1(VALU_DEP_2)
	v_dual_mov_b32 v20, v18 :: v_dual_mov_b32 v19, v17
	s_and_saveexec_b32 s1, s0
	s_cbranch_execnz .LBB493_80
; %bb.74:
	s_or_b32 exec_lo, exec_lo, s1
	s_and_saveexec_b32 s0, vcc_lo
	s_delay_alu instid0(SALU_CYCLE_1)
	s_xor_b32 s0, exec_lo, s0
	s_cbranch_execnz .LBB493_89
.LBB493_75:
	s_or_b32 exec_lo, exec_lo, s0
	s_delay_alu instid0(SALU_CYCLE_1)
	s_mov_b32 s0, exec_lo
	v_cmpx_gt_i32_e64 s14, v0
	s_cbranch_execnz .LBB493_90
.LBB493_76:
	s_or_b32 exec_lo, exec_lo, s0
	s_delay_alu instid0(SALU_CYCLE_1)
	s_mov_b32 s0, exec_lo
	v_cmpx_gt_i32_e64 s14, v0
	s_cbranch_execnz .LBB493_91
.LBB493_77:
	s_or_b32 exec_lo, exec_lo, s0
	s_delay_alu instid0(SALU_CYCLE_1)
	s_mov_b32 s0, exec_lo
	v_cmpx_gt_i32_e64 s14, v0
	s_cbranch_execz .LBB493_79
.LBB493_78:
	v_dual_mov_b32 v1, 0 :: v_dual_add_nc_u32 v0, s2, v0
	s_delay_alu instid0(VALU_DEP_1) | instskip(NEXT) | instid1(VALU_DEP_1)
	v_lshlrev_b64 v[0:1], 4, v[0:1]
	v_add_co_u32 v0, vcc_lo, s10, v0
	s_delay_alu instid0(VALU_DEP_2)
	v_add_co_ci_u32_e32 v1, vcc_lo, s11, v1, vcc_lo
	global_store_b128 v[0:1], v[17:20], off
.LBB493_79:
	s_nop 0
	s_sendmsg sendmsg(MSG_DEALLOC_VGPRS)
	s_endpgm
.LBB493_80:
	v_dual_mov_b32 v18, s5 :: v_dual_mov_b32 v17, s4
	s_mov_b32 s3, exec_lo
	v_cmpx_o_f64_e32 v[1:2], v[1:2]
	s_cbranch_execz .LBB493_84
; %bb.81:
	v_dual_mov_b32 v18, s7 :: v_dual_mov_b32 v17, s6
	s_mov_b32 s12, exec_lo
	v_cmpx_neq_f64_e32 0x7ff00000, v[1:2]
; %bb.82:
	v_cmp_eq_f64_e64 s0, 0xfff00000, v[1:2]
	s_delay_alu instid0(VALU_DEP_1)
	v_cndmask_b32_e64 v18, v2, s9, s0
	v_cndmask_b32_e64 v17, v1, s8, s0
; %bb.83:
	s_or_b32 exec_lo, exec_lo, s12
.LBB493_84:
	s_delay_alu instid0(SALU_CYCLE_1)
	s_or_b32 exec_lo, exec_lo, s3
	v_dual_mov_b32 v20, s5 :: v_dual_mov_b32 v19, s4
	s_mov_b32 s3, exec_lo
	v_cmpx_o_f64_e32 v[3:4], v[3:4]
	s_cbranch_execz .LBB493_88
; %bb.85:
	v_dual_mov_b32 v20, s7 :: v_dual_mov_b32 v19, s6
	s_mov_b32 s4, exec_lo
	v_cmpx_neq_f64_e32 0x7ff00000, v[3:4]
; %bb.86:
	v_cmp_eq_f64_e64 s0, 0xfff00000, v[3:4]
	s_delay_alu instid0(VALU_DEP_1)
	v_cndmask_b32_e64 v20, v4, s9, s0
	v_cndmask_b32_e64 v19, v3, s8, s0
; %bb.87:
	s_or_b32 exec_lo, exec_lo, s4
.LBB493_88:
	s_delay_alu instid0(SALU_CYCLE_1) | instskip(NEXT) | instid1(SALU_CYCLE_1)
	s_or_b32 exec_lo, exec_lo, s3
	s_or_b32 exec_lo, exec_lo, s1
	s_and_saveexec_b32 s0, vcc_lo
	s_delay_alu instid0(SALU_CYCLE_1)
	s_xor_b32 s0, exec_lo, s0
	s_cbranch_execz .LBB493_75
.LBB493_89:
	v_mov_b32_e32 v22, 0
	s_delay_alu instid0(VALU_DEP_1) | instskip(NEXT) | instid1(VALU_DEP_1)
	v_lshlrev_b64 v[0:1], 4, v[21:22]
	v_add_co_u32 v2, vcc_lo, s10, v0
	s_delay_alu instid0(VALU_DEP_2) | instskip(SKIP_3) | instid1(SALU_CYCLE_1)
	v_add_co_ci_u32_e32 v3, vcc_lo, s11, v1, vcc_lo
	v_mov_b32_e32 v0, v23
	global_store_b128 v[2:3], v[5:8], off
	s_or_b32 exec_lo, exec_lo, s0
	s_mov_b32 s0, exec_lo
	v_cmpx_gt_i32_e64 s14, v0
	s_cbranch_execz .LBB493_76
.LBB493_90:
	v_dual_mov_b32 v2, 0 :: v_dual_add_nc_u32 v1, s2, v0
	v_add_nc_u32_e32 v0, 0x100, v0
	s_delay_alu instid0(VALU_DEP_2) | instskip(NEXT) | instid1(VALU_DEP_1)
	v_lshlrev_b64 v[1:2], 4, v[1:2]
	v_add_co_u32 v1, vcc_lo, s10, v1
	s_delay_alu instid0(VALU_DEP_2) | instskip(SKIP_2) | instid1(SALU_CYCLE_1)
	v_add_co_ci_u32_e32 v2, vcc_lo, s11, v2, vcc_lo
	global_store_b128 v[1:2], v[9:12], off
	s_or_b32 exec_lo, exec_lo, s0
	s_mov_b32 s0, exec_lo
	v_cmpx_gt_i32_e64 s14, v0
	s_cbranch_execz .LBB493_77
.LBB493_91:
	v_dual_mov_b32 v2, 0 :: v_dual_add_nc_u32 v1, s2, v0
	v_add_nc_u32_e32 v0, 0x100, v0
	s_delay_alu instid0(VALU_DEP_2) | instskip(NEXT) | instid1(VALU_DEP_1)
	v_lshlrev_b64 v[1:2], 4, v[1:2]
	v_add_co_u32 v1, vcc_lo, s10, v1
	s_delay_alu instid0(VALU_DEP_2) | instskip(SKIP_2) | instid1(SALU_CYCLE_1)
	v_add_co_ci_u32_e32 v2, vcc_lo, s11, v2, vcc_lo
	global_store_b128 v[1:2], v[13:16], off
	s_or_b32 exec_lo, exec_lo, s0
	s_mov_b32 s0, exec_lo
	v_cmpx_gt_i32_e64 s14, v0
	s_cbranch_execnz .LBB493_78
	s_branch .LBB493_79
	.section	.rodata,"a",@progbits
	.p2align	6, 0x0
	.amdhsa_kernel _ZN2at6native29vectorized_elementwise_kernelILi2EZZZNS0_22nan_to_num_kernel_cudaERNS_18TensorIteratorBaseESt8optionalIdES5_S5_ENKUlvE_clEvENKUlvE_clEvEUlN3c107complexIdEEE_St5arrayIPcLm2EEEEviT0_T1_
		.amdhsa_group_segment_fixed_size 0
		.amdhsa_private_segment_fixed_size 0
		.amdhsa_kernarg_size 48
		.amdhsa_user_sgpr_count 15
		.amdhsa_user_sgpr_dispatch_ptr 0
		.amdhsa_user_sgpr_queue_ptr 0
		.amdhsa_user_sgpr_kernarg_segment_ptr 1
		.amdhsa_user_sgpr_dispatch_id 0
		.amdhsa_user_sgpr_private_segment_size 0
		.amdhsa_wavefront_size32 1
		.amdhsa_uses_dynamic_stack 0
		.amdhsa_enable_private_segment 0
		.amdhsa_system_sgpr_workgroup_id_x 1
		.amdhsa_system_sgpr_workgroup_id_y 0
		.amdhsa_system_sgpr_workgroup_id_z 0
		.amdhsa_system_sgpr_workgroup_info 0
		.amdhsa_system_vgpr_workitem_id 0
		.amdhsa_next_free_vgpr 24
		.amdhsa_next_free_sgpr 18
		.amdhsa_reserve_vcc 1
		.amdhsa_float_round_mode_32 0
		.amdhsa_float_round_mode_16_64 0
		.amdhsa_float_denorm_mode_32 3
		.amdhsa_float_denorm_mode_16_64 3
		.amdhsa_dx10_clamp 1
		.amdhsa_ieee_mode 1
		.amdhsa_fp16_overflow 0
		.amdhsa_workgroup_processor_mode 1
		.amdhsa_memory_ordered 1
		.amdhsa_forward_progress 0
		.amdhsa_shared_vgpr_count 0
		.amdhsa_exception_fp_ieee_invalid_op 0
		.amdhsa_exception_fp_denorm_src 0
		.amdhsa_exception_fp_ieee_div_zero 0
		.amdhsa_exception_fp_ieee_overflow 0
		.amdhsa_exception_fp_ieee_underflow 0
		.amdhsa_exception_fp_ieee_inexact 0
		.amdhsa_exception_int_div_zero 0
	.end_amdhsa_kernel
	.section	.text._ZN2at6native29vectorized_elementwise_kernelILi2EZZZNS0_22nan_to_num_kernel_cudaERNS_18TensorIteratorBaseESt8optionalIdES5_S5_ENKUlvE_clEvENKUlvE_clEvEUlN3c107complexIdEEE_St5arrayIPcLm2EEEEviT0_T1_,"axG",@progbits,_ZN2at6native29vectorized_elementwise_kernelILi2EZZZNS0_22nan_to_num_kernel_cudaERNS_18TensorIteratorBaseESt8optionalIdES5_S5_ENKUlvE_clEvENKUlvE_clEvEUlN3c107complexIdEEE_St5arrayIPcLm2EEEEviT0_T1_,comdat
.Lfunc_end493:
	.size	_ZN2at6native29vectorized_elementwise_kernelILi2EZZZNS0_22nan_to_num_kernel_cudaERNS_18TensorIteratorBaseESt8optionalIdES5_S5_ENKUlvE_clEvENKUlvE_clEvEUlN3c107complexIdEEE_St5arrayIPcLm2EEEEviT0_T1_, .Lfunc_end493-_ZN2at6native29vectorized_elementwise_kernelILi2EZZZNS0_22nan_to_num_kernel_cudaERNS_18TensorIteratorBaseESt8optionalIdES5_S5_ENKUlvE_clEvENKUlvE_clEvEUlN3c107complexIdEEE_St5arrayIPcLm2EEEEviT0_T1_
                                        ; -- End function
	.section	.AMDGPU.csdata,"",@progbits
; Kernel info:
; codeLenInByte = 2476
; NumSgprs: 20
; NumVgprs: 24
; ScratchSize: 0
; MemoryBound: 1
; FloatMode: 240
; IeeeMode: 1
; LDSByteSize: 0 bytes/workgroup (compile time only)
; SGPRBlocks: 2
; VGPRBlocks: 2
; NumSGPRsForWavesPerEU: 20
; NumVGPRsForWavesPerEU: 24
; Occupancy: 16
; WaveLimiterHint : 1
; COMPUTE_PGM_RSRC2:SCRATCH_EN: 0
; COMPUTE_PGM_RSRC2:USER_SGPR: 15
; COMPUTE_PGM_RSRC2:TRAP_HANDLER: 0
; COMPUTE_PGM_RSRC2:TGID_X_EN: 1
; COMPUTE_PGM_RSRC2:TGID_Y_EN: 0
; COMPUTE_PGM_RSRC2:TGID_Z_EN: 0
; COMPUTE_PGM_RSRC2:TIDIG_COMP_CNT: 0
	.section	.text._ZN2at6native27unrolled_elementwise_kernelIZZZNS0_22nan_to_num_kernel_cudaERNS_18TensorIteratorBaseESt8optionalIdES5_S5_ENKUlvE_clEvENKUlvE_clEvEUlN3c107complexIdEEE_St5arrayIPcLm2EELi4E23TrivialOffsetCalculatorILi1EjESG_NS0_6memory15LoadWithoutCastENSH_16StoreWithoutCastEEEviT_T0_T2_T3_T4_T5_,"axG",@progbits,_ZN2at6native27unrolled_elementwise_kernelIZZZNS0_22nan_to_num_kernel_cudaERNS_18TensorIteratorBaseESt8optionalIdES5_S5_ENKUlvE_clEvENKUlvE_clEvEUlN3c107complexIdEEE_St5arrayIPcLm2EELi4E23TrivialOffsetCalculatorILi1EjESG_NS0_6memory15LoadWithoutCastENSH_16StoreWithoutCastEEEviT_T0_T2_T3_T4_T5_,comdat
	.globl	_ZN2at6native27unrolled_elementwise_kernelIZZZNS0_22nan_to_num_kernel_cudaERNS_18TensorIteratorBaseESt8optionalIdES5_S5_ENKUlvE_clEvENKUlvE_clEvEUlN3c107complexIdEEE_St5arrayIPcLm2EELi4E23TrivialOffsetCalculatorILi1EjESG_NS0_6memory15LoadWithoutCastENSH_16StoreWithoutCastEEEviT_T0_T2_T3_T4_T5_ ; -- Begin function _ZN2at6native27unrolled_elementwise_kernelIZZZNS0_22nan_to_num_kernel_cudaERNS_18TensorIteratorBaseESt8optionalIdES5_S5_ENKUlvE_clEvENKUlvE_clEvEUlN3c107complexIdEEE_St5arrayIPcLm2EELi4E23TrivialOffsetCalculatorILi1EjESG_NS0_6memory15LoadWithoutCastENSH_16StoreWithoutCastEEEviT_T0_T2_T3_T4_T5_
	.p2align	8
	.type	_ZN2at6native27unrolled_elementwise_kernelIZZZNS0_22nan_to_num_kernel_cudaERNS_18TensorIteratorBaseESt8optionalIdES5_S5_ENKUlvE_clEvENKUlvE_clEvEUlN3c107complexIdEEE_St5arrayIPcLm2EELi4E23TrivialOffsetCalculatorILi1EjESG_NS0_6memory15LoadWithoutCastENSH_16StoreWithoutCastEEEviT_T0_T2_T3_T4_T5_,@function
_ZN2at6native27unrolled_elementwise_kernelIZZZNS0_22nan_to_num_kernel_cudaERNS_18TensorIteratorBaseESt8optionalIdES5_S5_ENKUlvE_clEvENKUlvE_clEvEUlN3c107complexIdEEE_St5arrayIPcLm2EELi4E23TrivialOffsetCalculatorILi1EjESG_NS0_6memory15LoadWithoutCastENSH_16StoreWithoutCastEEEviT_T0_T2_T3_T4_T5_: ; @_ZN2at6native27unrolled_elementwise_kernelIZZZNS0_22nan_to_num_kernel_cudaERNS_18TensorIteratorBaseESt8optionalIdES5_S5_ENKUlvE_clEvENKUlvE_clEvEUlN3c107complexIdEEE_St5arrayIPcLm2EELi4E23TrivialOffsetCalculatorILi1EjESG_NS0_6memory15LoadWithoutCastENSH_16StoreWithoutCastEEEviT_T0_T2_T3_T4_T5_
; %bb.0:
	s_clause 0x1
	s_load_b32 s2, s[0:1], 0x0
	s_load_b64 s[12:13], s[0:1], 0x28
	v_mov_b32_e32 v13, 0
	v_dual_mov_b32 v14, 0 :: v_dual_mov_b32 v5, v0
	s_lshl_b32 s3, s15, 10
	v_or_b32_e32 v23, 0x100, v0
	v_or_b32_e32 v21, s3, v0
	s_delay_alu instid0(VALU_DEP_3) | instskip(SKIP_3) | instid1(SALU_CYCLE_1)
	v_dual_mov_b32 v9, v13 :: v_dual_mov_b32 v10, v14
	v_dual_mov_b32 v11, v13 :: v_dual_mov_b32 v12, v14
	s_waitcnt lgkmcnt(0)
	s_sub_i32 s14, s2, s3
	v_cmp_gt_i32_e32 vcc_lo, s14, v0
	s_and_saveexec_b32 s4, vcc_lo
	s_cbranch_execz .LBB494_2
; %bb.1:
	v_mov_b32_e32 v22, 0
	v_or_b32_e32 v5, 0x100, v0
	s_delay_alu instid0(VALU_DEP_2) | instskip(NEXT) | instid1(VALU_DEP_1)
	v_lshlrev_b64 v[1:2], 4, v[21:22]
	v_add_co_u32 v1, s2, s12, v1
	s_delay_alu instid0(VALU_DEP_1)
	v_add_co_ci_u32_e64 v2, s2, s13, v2, s2
	global_load_b128 v[9:12], v[1:2], off
.LBB494_2:
	s_or_b32 exec_lo, exec_lo, s4
	s_load_b256 s[4:11], s[0:1], 0x8
	v_dual_mov_b32 v16, v14 :: v_dual_mov_b32 v15, v13
	s_mov_b32 s1, exec_lo
	v_cmpx_gt_i32_e64 s14, v5
	s_cbranch_execz .LBB494_4
; %bb.3:
	v_dual_mov_b32 v2, 0 :: v_dual_add_nc_u32 v1, s3, v5
	v_add_nc_u32_e32 v5, 0x100, v5
	s_delay_alu instid0(VALU_DEP_2) | instskip(NEXT) | instid1(VALU_DEP_1)
	v_lshlrev_b64 v[1:2], 4, v[1:2]
	v_add_co_u32 v1, s0, s12, v1
	s_delay_alu instid0(VALU_DEP_1)
	v_add_co_ci_u32_e64 v2, s0, s13, v2, s0
	global_load_b128 v[13:16], v[1:2], off
.LBB494_4:
	s_or_b32 exec_lo, exec_lo, s1
	v_mov_b32_e32 v1, 0
	v_mov_b32_e32 v2, 0
	s_mov_b32 s1, exec_lo
	s_delay_alu instid0(VALU_DEP_1)
	v_dual_mov_b32 v18, v2 :: v_dual_mov_b32 v17, v1
	v_dual_mov_b32 v20, v2 :: v_dual_mov_b32 v19, v1
	v_cmpx_gt_i32_e64 s14, v5
	s_cbranch_execz .LBB494_6
; %bb.5:
	v_dual_mov_b32 v4, 0 :: v_dual_add_nc_u32 v3, s3, v5
	v_add_nc_u32_e32 v5, 0x100, v5
	s_delay_alu instid0(VALU_DEP_2) | instskip(NEXT) | instid1(VALU_DEP_1)
	v_lshlrev_b64 v[3:4], 4, v[3:4]
	v_add_co_u32 v3, s0, s12, v3
	s_delay_alu instid0(VALU_DEP_1)
	v_add_co_ci_u32_e64 v4, s0, s13, v4, s0
	global_load_b128 v[17:20], v[3:4], off
.LBB494_6:
	s_or_b32 exec_lo, exec_lo, s1
	v_dual_mov_b32 v4, v2 :: v_dual_mov_b32 v3, v1
	s_mov_b32 s1, exec_lo
	v_cmpx_gt_i32_e64 s14, v5
	s_cbranch_execz .LBB494_8
; %bb.7:
	v_dual_mov_b32 v2, 0 :: v_dual_add_nc_u32 v1, s3, v5
	s_delay_alu instid0(VALU_DEP_1) | instskip(NEXT) | instid1(VALU_DEP_1)
	v_lshlrev_b64 v[1:2], 4, v[1:2]
	v_add_co_u32 v1, s0, s12, v1
	s_delay_alu instid0(VALU_DEP_1)
	v_add_co_ci_u32_e64 v2, s0, s13, v2, s0
	global_load_b128 v[1:4], v[1:2], off
.LBB494_8:
	s_or_b32 exec_lo, exec_lo, s1
	v_mov_b32_e32 v5, 0
	v_mov_b32_e32 v6, 0
	s_delay_alu instid0(VALU_DEP_1)
	v_dual_mov_b32 v8, v6 :: v_dual_mov_b32 v7, v5
	s_and_saveexec_b32 s1, vcc_lo
	s_cbranch_execz .LBB494_18
; %bb.9:
	s_waitcnt lgkmcnt(0)
	v_dual_mov_b32 v6, s5 :: v_dual_mov_b32 v5, s4
	s_mov_b32 s2, exec_lo
	s_waitcnt vmcnt(0)
	v_cmpx_o_f64_e32 v[9:10], v[9:10]
	s_cbranch_execz .LBB494_13
; %bb.10:
	v_dual_mov_b32 v5, s6 :: v_dual_mov_b32 v6, s7
	s_mov_b32 s12, exec_lo
	v_cmpx_neq_f64_e32 0x7ff00000, v[9:10]
; %bb.11:
	v_cmp_eq_f64_e64 s0, 0xfff00000, v[9:10]
	s_delay_alu instid0(VALU_DEP_1)
	v_cndmask_b32_e64 v6, v10, s9, s0
	v_cndmask_b32_e64 v5, v9, s8, s0
; %bb.12:
	s_or_b32 exec_lo, exec_lo, s12
.LBB494_13:
	s_delay_alu instid0(SALU_CYCLE_1)
	s_or_b32 exec_lo, exec_lo, s2
	v_dual_mov_b32 v8, s5 :: v_dual_mov_b32 v7, s4
	s_mov_b32 s2, exec_lo
	v_cmpx_o_f64_e32 v[11:12], v[11:12]
	s_cbranch_execz .LBB494_17
; %bb.14:
	v_dual_mov_b32 v8, s7 :: v_dual_mov_b32 v7, s6
	s_mov_b32 s12, exec_lo
	v_cmpx_neq_f64_e32 0x7ff00000, v[11:12]
; %bb.15:
	v_cmp_eq_f64_e64 s0, 0xfff00000, v[11:12]
	s_delay_alu instid0(VALU_DEP_1)
	v_cndmask_b32_e64 v8, v12, s9, s0
	v_cndmask_b32_e64 v7, v11, s8, s0
; %bb.16:
	s_or_b32 exec_lo, exec_lo, s12
.LBB494_17:
	s_delay_alu instid0(SALU_CYCLE_1)
	s_or_b32 exec_lo, exec_lo, s2
.LBB494_18:
	s_delay_alu instid0(SALU_CYCLE_1) | instskip(SKIP_4) | instid1(VALU_DEP_1)
	s_or_b32 exec_lo, exec_lo, s1
	s_waitcnt vmcnt(0)
	v_mov_b32_e32 v9, 0
	v_mov_b32_e32 v10, 0
	s_mov_b32 s1, exec_lo
	v_dual_mov_b32 v12, v10 :: v_dual_mov_b32 v11, v9
	v_cmpx_gt_i32_e64 s14, v23
	s_cbranch_execz .LBB494_28
; %bb.19:
	s_waitcnt lgkmcnt(0)
	v_dual_mov_b32 v10, s5 :: v_dual_mov_b32 v9, s4
	s_mov_b32 s2, exec_lo
	v_cmpx_o_f64_e32 v[13:14], v[13:14]
	s_cbranch_execz .LBB494_23
; %bb.20:
	v_dual_mov_b32 v10, s7 :: v_dual_mov_b32 v9, s6
	s_mov_b32 s12, exec_lo
	v_cmpx_neq_f64_e32 0x7ff00000, v[13:14]
; %bb.21:
	v_cmp_eq_f64_e64 s0, 0xfff00000, v[13:14]
	s_delay_alu instid0(VALU_DEP_1)
	v_cndmask_b32_e64 v10, v14, s9, s0
	v_cndmask_b32_e64 v9, v13, s8, s0
; %bb.22:
	s_or_b32 exec_lo, exec_lo, s12
.LBB494_23:
	s_delay_alu instid0(SALU_CYCLE_1)
	s_or_b32 exec_lo, exec_lo, s2
	v_dual_mov_b32 v12, s5 :: v_dual_mov_b32 v11, s4
	s_mov_b32 s2, exec_lo
	v_cmpx_o_f64_e32 v[15:16], v[15:16]
	s_cbranch_execz .LBB494_27
; %bb.24:
	v_dual_mov_b32 v12, s7 :: v_dual_mov_b32 v11, s6
	s_mov_b32 s12, exec_lo
	v_cmpx_neq_f64_e32 0x7ff00000, v[15:16]
; %bb.25:
	v_cmp_eq_f64_e64 s0, 0xfff00000, v[15:16]
	s_delay_alu instid0(VALU_DEP_1)
	v_cndmask_b32_e64 v12, v16, s9, s0
	v_cndmask_b32_e64 v11, v15, s8, s0
; %bb.26:
	s_or_b32 exec_lo, exec_lo, s12
.LBB494_27:
	s_delay_alu instid0(SALU_CYCLE_1)
	s_or_b32 exec_lo, exec_lo, s2
.LBB494_28:
	s_delay_alu instid0(SALU_CYCLE_1) | instskip(SKIP_3) | instid1(VALU_DEP_2)
	s_or_b32 exec_lo, exec_lo, s1
	v_mov_b32_e32 v13, 0
	v_or_b32_e32 v15, 0x200, v0
	v_mov_b32_e32 v14, 0
	v_cmp_gt_i32_e64 s0, s14, v15
	s_delay_alu instid0(VALU_DEP_2) | instskip(NEXT) | instid1(VALU_DEP_2)
	v_dual_mov_b32 v16, v14 :: v_dual_mov_b32 v15, v13
	s_and_saveexec_b32 s1, s0
	s_cbranch_execz .LBB494_38
; %bb.29:
	s_waitcnt lgkmcnt(0)
	v_dual_mov_b32 v14, s5 :: v_dual_mov_b32 v13, s4
	s_mov_b32 s2, exec_lo
	v_cmpx_o_f64_e32 v[17:18], v[17:18]
	s_cbranch_execz .LBB494_33
; %bb.30:
	v_dual_mov_b32 v14, s7 :: v_dual_mov_b32 v13, s6
	s_mov_b32 s12, exec_lo
	v_cmpx_neq_f64_e32 0x7ff00000, v[17:18]
; %bb.31:
	v_cmp_eq_f64_e64 s0, 0xfff00000, v[17:18]
	s_delay_alu instid0(VALU_DEP_1)
	v_cndmask_b32_e64 v14, v18, s9, s0
	v_cndmask_b32_e64 v13, v17, s8, s0
; %bb.32:
	s_or_b32 exec_lo, exec_lo, s12
.LBB494_33:
	s_delay_alu instid0(SALU_CYCLE_1)
	s_or_b32 exec_lo, exec_lo, s2
	v_dual_mov_b32 v16, s5 :: v_dual_mov_b32 v15, s4
	s_mov_b32 s2, exec_lo
	v_cmpx_o_f64_e32 v[19:20], v[19:20]
	s_cbranch_execz .LBB494_37
; %bb.34:
	v_dual_mov_b32 v16, s7 :: v_dual_mov_b32 v15, s6
	s_mov_b32 s12, exec_lo
	v_cmpx_neq_f64_e32 0x7ff00000, v[19:20]
; %bb.35:
	v_cmp_eq_f64_e64 s0, 0xfff00000, v[19:20]
	s_delay_alu instid0(VALU_DEP_1)
	v_cndmask_b32_e64 v16, v20, s9, s0
	v_cndmask_b32_e64 v15, v19, s8, s0
; %bb.36:
	s_or_b32 exec_lo, exec_lo, s12
.LBB494_37:
	s_delay_alu instid0(SALU_CYCLE_1)
	s_or_b32 exec_lo, exec_lo, s2
.LBB494_38:
	s_delay_alu instid0(SALU_CYCLE_1) | instskip(SKIP_3) | instid1(VALU_DEP_2)
	s_or_b32 exec_lo, exec_lo, s1
	v_mov_b32_e32 v17, 0
	v_or_b32_e32 v19, 0x300, v0
	v_mov_b32_e32 v18, 0
	v_cmp_gt_i32_e64 s0, s14, v19
	s_delay_alu instid0(VALU_DEP_2) | instskip(NEXT) | instid1(VALU_DEP_2)
	v_dual_mov_b32 v20, v18 :: v_dual_mov_b32 v19, v17
	s_and_saveexec_b32 s1, s0
	s_cbranch_execnz .LBB494_44
; %bb.39:
	s_or_b32 exec_lo, exec_lo, s1
	s_and_saveexec_b32 s0, vcc_lo
	s_delay_alu instid0(SALU_CYCLE_1)
	s_xor_b32 s0, exec_lo, s0
	s_cbranch_execnz .LBB494_53
.LBB494_40:
	s_or_b32 exec_lo, exec_lo, s0
	s_delay_alu instid0(SALU_CYCLE_1)
	s_mov_b32 s0, exec_lo
	v_cmpx_gt_i32_e64 s14, v0
	s_cbranch_execnz .LBB494_54
.LBB494_41:
	s_or_b32 exec_lo, exec_lo, s0
	s_delay_alu instid0(SALU_CYCLE_1)
	s_mov_b32 s0, exec_lo
	v_cmpx_gt_i32_e64 s14, v0
	s_cbranch_execnz .LBB494_55
.LBB494_42:
	s_or_b32 exec_lo, exec_lo, s0
	s_delay_alu instid0(SALU_CYCLE_1)
	s_mov_b32 s0, exec_lo
	v_cmpx_gt_i32_e64 s14, v0
	s_cbranch_execnz .LBB494_56
.LBB494_43:
	s_nop 0
	s_sendmsg sendmsg(MSG_DEALLOC_VGPRS)
	s_endpgm
.LBB494_44:
	s_waitcnt lgkmcnt(0)
	v_dual_mov_b32 v18, s5 :: v_dual_mov_b32 v17, s4
	s_mov_b32 s2, exec_lo
	v_cmpx_o_f64_e32 v[1:2], v[1:2]
	s_cbranch_execz .LBB494_48
; %bb.45:
	v_dual_mov_b32 v18, s7 :: v_dual_mov_b32 v17, s6
	s_mov_b32 s12, exec_lo
	v_cmpx_neq_f64_e32 0x7ff00000, v[1:2]
; %bb.46:
	v_cmp_eq_f64_e64 s0, 0xfff00000, v[1:2]
	s_delay_alu instid0(VALU_DEP_1)
	v_cndmask_b32_e64 v18, v2, s9, s0
	v_cndmask_b32_e64 v17, v1, s8, s0
; %bb.47:
	s_or_b32 exec_lo, exec_lo, s12
.LBB494_48:
	s_delay_alu instid0(SALU_CYCLE_1)
	s_or_b32 exec_lo, exec_lo, s2
	v_dual_mov_b32 v20, s5 :: v_dual_mov_b32 v19, s4
	s_mov_b32 s2, exec_lo
	v_cmpx_o_f64_e32 v[3:4], v[3:4]
	s_cbranch_execz .LBB494_52
; %bb.49:
	v_dual_mov_b32 v20, s7 :: v_dual_mov_b32 v19, s6
	s_mov_b32 s4, exec_lo
	v_cmpx_neq_f64_e32 0x7ff00000, v[3:4]
; %bb.50:
	v_cmp_eq_f64_e64 s0, 0xfff00000, v[3:4]
	s_delay_alu instid0(VALU_DEP_1)
	v_cndmask_b32_e64 v20, v4, s9, s0
	v_cndmask_b32_e64 v19, v3, s8, s0
; %bb.51:
	s_or_b32 exec_lo, exec_lo, s4
.LBB494_52:
	s_delay_alu instid0(SALU_CYCLE_1) | instskip(NEXT) | instid1(SALU_CYCLE_1)
	s_or_b32 exec_lo, exec_lo, s2
	s_or_b32 exec_lo, exec_lo, s1
	s_and_saveexec_b32 s0, vcc_lo
	s_delay_alu instid0(SALU_CYCLE_1)
	s_xor_b32 s0, exec_lo, s0
	s_cbranch_execz .LBB494_40
.LBB494_53:
	v_mov_b32_e32 v22, 0
	s_delay_alu instid0(VALU_DEP_1) | instskip(SKIP_1) | instid1(VALU_DEP_1)
	v_lshlrev_b64 v[0:1], 4, v[21:22]
	s_waitcnt lgkmcnt(0)
	v_add_co_u32 v2, vcc_lo, s10, v0
	s_delay_alu instid0(VALU_DEP_2) | instskip(SKIP_3) | instid1(SALU_CYCLE_1)
	v_add_co_ci_u32_e32 v3, vcc_lo, s11, v1, vcc_lo
	v_mov_b32_e32 v0, v23
	global_store_b128 v[2:3], v[5:8], off
	s_or_b32 exec_lo, exec_lo, s0
	s_mov_b32 s0, exec_lo
	v_cmpx_gt_i32_e64 s14, v0
	s_cbranch_execz .LBB494_41
.LBB494_54:
	v_dual_mov_b32 v2, 0 :: v_dual_add_nc_u32 v1, s3, v0
	v_add_nc_u32_e32 v0, 0x100, v0
	s_delay_alu instid0(VALU_DEP_2) | instskip(SKIP_1) | instid1(VALU_DEP_1)
	v_lshlrev_b64 v[1:2], 4, v[1:2]
	s_waitcnt lgkmcnt(0)
	v_add_co_u32 v1, vcc_lo, s10, v1
	s_delay_alu instid0(VALU_DEP_2) | instskip(SKIP_2) | instid1(SALU_CYCLE_1)
	v_add_co_ci_u32_e32 v2, vcc_lo, s11, v2, vcc_lo
	global_store_b128 v[1:2], v[9:12], off
	s_or_b32 exec_lo, exec_lo, s0
	s_mov_b32 s0, exec_lo
	v_cmpx_gt_i32_e64 s14, v0
	s_cbranch_execz .LBB494_42
.LBB494_55:
	v_dual_mov_b32 v2, 0 :: v_dual_add_nc_u32 v1, s3, v0
	v_add_nc_u32_e32 v0, 0x100, v0
	s_delay_alu instid0(VALU_DEP_2) | instskip(SKIP_1) | instid1(VALU_DEP_1)
	v_lshlrev_b64 v[1:2], 4, v[1:2]
	s_waitcnt lgkmcnt(0)
	v_add_co_u32 v1, vcc_lo, s10, v1
	s_delay_alu instid0(VALU_DEP_2) | instskip(SKIP_2) | instid1(SALU_CYCLE_1)
	v_add_co_ci_u32_e32 v2, vcc_lo, s11, v2, vcc_lo
	global_store_b128 v[1:2], v[13:16], off
	s_or_b32 exec_lo, exec_lo, s0
	s_mov_b32 s0, exec_lo
	v_cmpx_gt_i32_e64 s14, v0
	s_cbranch_execz .LBB494_43
.LBB494_56:
	v_dual_mov_b32 v1, 0 :: v_dual_add_nc_u32 v0, s3, v0
	s_delay_alu instid0(VALU_DEP_1) | instskip(SKIP_1) | instid1(VALU_DEP_1)
	v_lshlrev_b64 v[0:1], 4, v[0:1]
	s_waitcnt lgkmcnt(0)
	v_add_co_u32 v0, vcc_lo, s10, v0
	s_delay_alu instid0(VALU_DEP_2)
	v_add_co_ci_u32_e32 v1, vcc_lo, s11, v1, vcc_lo
	global_store_b128 v[0:1], v[17:20], off
	s_nop 0
	s_sendmsg sendmsg(MSG_DEALLOC_VGPRS)
	s_endpgm
	.section	.rodata,"a",@progbits
	.p2align	6, 0x0
	.amdhsa_kernel _ZN2at6native27unrolled_elementwise_kernelIZZZNS0_22nan_to_num_kernel_cudaERNS_18TensorIteratorBaseESt8optionalIdES5_S5_ENKUlvE_clEvENKUlvE_clEvEUlN3c107complexIdEEE_St5arrayIPcLm2EELi4E23TrivialOffsetCalculatorILi1EjESG_NS0_6memory15LoadWithoutCastENSH_16StoreWithoutCastEEEviT_T0_T2_T3_T4_T5_
		.amdhsa_group_segment_fixed_size 0
		.amdhsa_private_segment_fixed_size 0
		.amdhsa_kernarg_size 52
		.amdhsa_user_sgpr_count 15
		.amdhsa_user_sgpr_dispatch_ptr 0
		.amdhsa_user_sgpr_queue_ptr 0
		.amdhsa_user_sgpr_kernarg_segment_ptr 1
		.amdhsa_user_sgpr_dispatch_id 0
		.amdhsa_user_sgpr_private_segment_size 0
		.amdhsa_wavefront_size32 1
		.amdhsa_uses_dynamic_stack 0
		.amdhsa_enable_private_segment 0
		.amdhsa_system_sgpr_workgroup_id_x 1
		.amdhsa_system_sgpr_workgroup_id_y 0
		.amdhsa_system_sgpr_workgroup_id_z 0
		.amdhsa_system_sgpr_workgroup_info 0
		.amdhsa_system_vgpr_workitem_id 0
		.amdhsa_next_free_vgpr 24
		.amdhsa_next_free_sgpr 16
		.amdhsa_reserve_vcc 1
		.amdhsa_float_round_mode_32 0
		.amdhsa_float_round_mode_16_64 0
		.amdhsa_float_denorm_mode_32 3
		.amdhsa_float_denorm_mode_16_64 3
		.amdhsa_dx10_clamp 1
		.amdhsa_ieee_mode 1
		.amdhsa_fp16_overflow 0
		.amdhsa_workgroup_processor_mode 1
		.amdhsa_memory_ordered 1
		.amdhsa_forward_progress 0
		.amdhsa_shared_vgpr_count 0
		.amdhsa_exception_fp_ieee_invalid_op 0
		.amdhsa_exception_fp_denorm_src 0
		.amdhsa_exception_fp_ieee_div_zero 0
		.amdhsa_exception_fp_ieee_overflow 0
		.amdhsa_exception_fp_ieee_underflow 0
		.amdhsa_exception_fp_ieee_inexact 0
		.amdhsa_exception_int_div_zero 0
	.end_amdhsa_kernel
	.section	.text._ZN2at6native27unrolled_elementwise_kernelIZZZNS0_22nan_to_num_kernel_cudaERNS_18TensorIteratorBaseESt8optionalIdES5_S5_ENKUlvE_clEvENKUlvE_clEvEUlN3c107complexIdEEE_St5arrayIPcLm2EELi4E23TrivialOffsetCalculatorILi1EjESG_NS0_6memory15LoadWithoutCastENSH_16StoreWithoutCastEEEviT_T0_T2_T3_T4_T5_,"axG",@progbits,_ZN2at6native27unrolled_elementwise_kernelIZZZNS0_22nan_to_num_kernel_cudaERNS_18TensorIteratorBaseESt8optionalIdES5_S5_ENKUlvE_clEvENKUlvE_clEvEUlN3c107complexIdEEE_St5arrayIPcLm2EELi4E23TrivialOffsetCalculatorILi1EjESG_NS0_6memory15LoadWithoutCastENSH_16StoreWithoutCastEEEviT_T0_T2_T3_T4_T5_,comdat
.Lfunc_end494:
	.size	_ZN2at6native27unrolled_elementwise_kernelIZZZNS0_22nan_to_num_kernel_cudaERNS_18TensorIteratorBaseESt8optionalIdES5_S5_ENKUlvE_clEvENKUlvE_clEvEUlN3c107complexIdEEE_St5arrayIPcLm2EELi4E23TrivialOffsetCalculatorILi1EjESG_NS0_6memory15LoadWithoutCastENSH_16StoreWithoutCastEEEviT_T0_T2_T3_T4_T5_, .Lfunc_end494-_ZN2at6native27unrolled_elementwise_kernelIZZZNS0_22nan_to_num_kernel_cudaERNS_18TensorIteratorBaseESt8optionalIdES5_S5_ENKUlvE_clEvENKUlvE_clEvEUlN3c107complexIdEEE_St5arrayIPcLm2EELi4E23TrivialOffsetCalculatorILi1EjESG_NS0_6memory15LoadWithoutCastENSH_16StoreWithoutCastEEEviT_T0_T2_T3_T4_T5_
                                        ; -- End function
	.section	.AMDGPU.csdata,"",@progbits
; Kernel info:
; codeLenInByte = 1688
; NumSgprs: 18
; NumVgprs: 24
; ScratchSize: 0
; MemoryBound: 0
; FloatMode: 240
; IeeeMode: 1
; LDSByteSize: 0 bytes/workgroup (compile time only)
; SGPRBlocks: 2
; VGPRBlocks: 2
; NumSGPRsForWavesPerEU: 18
; NumVGPRsForWavesPerEU: 24
; Occupancy: 16
; WaveLimiterHint : 0
; COMPUTE_PGM_RSRC2:SCRATCH_EN: 0
; COMPUTE_PGM_RSRC2:USER_SGPR: 15
; COMPUTE_PGM_RSRC2:TRAP_HANDLER: 0
; COMPUTE_PGM_RSRC2:TGID_X_EN: 1
; COMPUTE_PGM_RSRC2:TGID_Y_EN: 0
; COMPUTE_PGM_RSRC2:TGID_Z_EN: 0
; COMPUTE_PGM_RSRC2:TIDIG_COMP_CNT: 0
	.section	.text._ZN2at6native32elementwise_kernel_manual_unrollILi128ELi4EZNS0_22gpu_kernel_impl_nocastIZZZNS0_22nan_to_num_kernel_cudaERNS_18TensorIteratorBaseESt8optionalIdES6_S6_ENKUlvE_clEvENKUlvE_clEvEUlN3c107complexIdEEE_EEvS4_RKT_EUlibE_EEviT1_,"axG",@progbits,_ZN2at6native32elementwise_kernel_manual_unrollILi128ELi4EZNS0_22gpu_kernel_impl_nocastIZZZNS0_22nan_to_num_kernel_cudaERNS_18TensorIteratorBaseESt8optionalIdES6_S6_ENKUlvE_clEvENKUlvE_clEvEUlN3c107complexIdEEE_EEvS4_RKT_EUlibE_EEviT1_,comdat
	.globl	_ZN2at6native32elementwise_kernel_manual_unrollILi128ELi4EZNS0_22gpu_kernel_impl_nocastIZZZNS0_22nan_to_num_kernel_cudaERNS_18TensorIteratorBaseESt8optionalIdES6_S6_ENKUlvE_clEvENKUlvE_clEvEUlN3c107complexIdEEE_EEvS4_RKT_EUlibE_EEviT1_ ; -- Begin function _ZN2at6native32elementwise_kernel_manual_unrollILi128ELi4EZNS0_22gpu_kernel_impl_nocastIZZZNS0_22nan_to_num_kernel_cudaERNS_18TensorIteratorBaseESt8optionalIdES6_S6_ENKUlvE_clEvENKUlvE_clEvEUlN3c107complexIdEEE_EEvS4_RKT_EUlibE_EEviT1_
	.p2align	8
	.type	_ZN2at6native32elementwise_kernel_manual_unrollILi128ELi4EZNS0_22gpu_kernel_impl_nocastIZZZNS0_22nan_to_num_kernel_cudaERNS_18TensorIteratorBaseESt8optionalIdES6_S6_ENKUlvE_clEvENKUlvE_clEvEUlN3c107complexIdEEE_EEvS4_RKT_EUlibE_EEviT1_,@function
_ZN2at6native32elementwise_kernel_manual_unrollILi128ELi4EZNS0_22gpu_kernel_impl_nocastIZZZNS0_22nan_to_num_kernel_cudaERNS_18TensorIteratorBaseESt8optionalIdES6_S6_ENKUlvE_clEvENKUlvE_clEvEUlN3c107complexIdEEE_EEvS4_RKT_EUlibE_EEviT1_: ; @_ZN2at6native32elementwise_kernel_manual_unrollILi128ELi4EZNS0_22gpu_kernel_impl_nocastIZZZNS0_22nan_to_num_kernel_cudaERNS_18TensorIteratorBaseESt8optionalIdES6_S6_ENKUlvE_clEvENKUlvE_clEvEUlN3c107complexIdEEE_EEvS4_RKT_EUlibE_EEviT1_
; %bb.0:
	s_clause 0x1
	s_load_b32 s28, s[0:1], 0x8
	s_load_b32 s34, s[0:1], 0x0
	v_lshl_or_b32 v7, s15, 9, v0
	s_or_b32 s0, s0, 8
	s_mov_b32 s12, 0
                                        ; implicit-def: $vgpr12_vgpr13
                                        ; implicit-def: $vgpr14_vgpr15
	s_mov_b32 s2, exec_lo
	s_delay_alu instid0(VALU_DEP_1) | instskip(SKIP_2) | instid1(SALU_CYCLE_1)
	v_or_b32_e32 v1, 0x180, v7
	s_waitcnt lgkmcnt(0)
	s_add_i32 s29, s28, -1
	s_cmp_gt_u32 s29, 1
	s_cselect_b32 s30, -1, 0
	v_cmpx_le_i32_e64 s34, v1
	s_xor_b32 s31, exec_lo, s2
	s_cbranch_execnz .LBB495_4
; %bb.1:
	s_and_not1_saveexec_b32 s13, s31
	s_cbranch_execnz .LBB495_97
.LBB495_2:
	s_or_b32 exec_lo, exec_lo, s13
	s_and_saveexec_b32 s0, s12
	s_cbranch_execnz .LBB495_182
.LBB495_3:
	s_nop 0
	s_sendmsg sendmsg(MSG_DEALLOC_VGPRS)
	s_endpgm
.LBB495_4:
	s_clause 0x4
	s_load_b128 s[16:19], s[0:1], 0x4
	s_load_b64 s[20:21], s[0:1], 0x14
	s_load_b128 s[12:15], s[0:1], 0xc4
	s_load_b64 s[2:3], s[0:1], 0x168
	s_load_b256 s[4:11], s[0:1], 0x148
	s_cmp_lg_u32 s28, 0
	s_mov_b32 s37, exec_lo
	s_cselect_b32 s36, -1, 0
	s_add_u32 s22, s0, 0xc4
	s_addc_u32 s23, s1, 0
	s_min_u32 s35, s29, 15
	s_cmp_gt_u32 s28, 1
	s_cselect_b32 s33, -1, 0
	v_cmpx_gt_i32_e64 s34, v7
	s_cbranch_execnz .LBB495_7
; %bb.5:
	s_or_b32 exec_lo, exec_lo, s37
	s_delay_alu instid0(SALU_CYCLE_1)
	s_mov_b32 s37, exec_lo
	v_cmpx_gt_i32_e64 s34, v7
	s_cbranch_execnz .LBB495_29
.LBB495_6:
	s_or_b32 exec_lo, exec_lo, s37
	s_delay_alu instid0(SALU_CYCLE_1)
	s_mov_b32 s37, exec_lo
	v_cmpx_gt_i32_e64 s34, v7
	s_cbranch_execnz .LBB495_51
	s_branch .LBB495_73
.LBB495_7:
	s_and_not1_b32 vcc_lo, exec_lo, s30
	s_cbranch_vccnz .LBB495_12
; %bb.8:
	v_mov_b32_e32 v6, 0
	v_mov_b32_e32 v0, 0
	s_and_not1_b32 vcc_lo, exec_lo, s36
	s_mov_b32 s38, 0
	s_cbranch_vccnz .LBB495_17
; %bb.9:
	v_mov_b32_e32 v6, 0
	s_add_i32 s40, s35, 1
	s_cmp_eq_u32 s29, 2
	s_mov_b32 s39, 0
	s_cbranch_scc1 .LBB495_13
; %bb.10:
	v_dual_mov_b32 v0, 0 :: v_dual_mov_b32 v1, v7
	v_mov_b32_e32 v6, 0
	s_and_b32 s39, s40, 28
	s_mov_b32 s41, 0
	s_mov_b64 s[24:25], s[22:23]
	s_mov_b64 s[26:27], s[0:1]
.LBB495_11:                             ; =>This Inner Loop Header: Depth=1
	s_clause 0x1
	s_load_b256 s[44:51], s[26:27], 0x4
	s_load_b128 s[60:63], s[26:27], 0x24
	s_load_b256 s[52:59], s[24:25], 0x0
	s_add_u32 s26, s26, 48
	s_addc_u32 s27, s27, 0
	s_add_i32 s41, s41, 4
	s_add_u32 s24, s24, 32
	s_addc_u32 s25, s25, 0
	s_cmp_lg_u32 s39, s41
	s_waitcnt lgkmcnt(0)
	v_mul_hi_u32 v2, s45, v1
	s_delay_alu instid0(VALU_DEP_1) | instskip(NEXT) | instid1(VALU_DEP_1)
	v_add_nc_u32_e32 v2, v1, v2
	v_lshrrev_b32_e32 v2, s46, v2
	s_delay_alu instid0(VALU_DEP_1) | instskip(SKIP_1) | instid1(VALU_DEP_2)
	v_mul_hi_u32 v3, s48, v2
	v_mul_lo_u32 v5, v2, s44
	v_add_nc_u32_e32 v3, v2, v3
	s_delay_alu instid0(VALU_DEP_2) | instskip(NEXT) | instid1(VALU_DEP_2)
	v_sub_nc_u32_e32 v1, v1, v5
	v_lshrrev_b32_e32 v3, s49, v3
	s_delay_alu instid0(VALU_DEP_2) | instskip(SKIP_1) | instid1(VALU_DEP_3)
	v_mul_lo_u32 v5, v1, s52
	v_mul_lo_u32 v9, v1, s53
	v_mul_hi_u32 v4, s51, v3
	s_delay_alu instid0(VALU_DEP_1) | instskip(NEXT) | instid1(VALU_DEP_1)
	v_add_nc_u32_e32 v4, v3, v4
	v_lshrrev_b32_e32 v4, s60, v4
	s_delay_alu instid0(VALU_DEP_1) | instskip(SKIP_1) | instid1(VALU_DEP_2)
	v_mul_hi_u32 v8, s62, v4
	v_mul_lo_u32 v10, v4, s50
	v_add_nc_u32_e32 v1, v4, v8
	v_mul_lo_u32 v8, v3, s47
	s_delay_alu instid0(VALU_DEP_3) | instskip(NEXT) | instid1(VALU_DEP_3)
	v_sub_nc_u32_e32 v3, v3, v10
	v_lshrrev_b32_e32 v1, s63, v1
	s_delay_alu instid0(VALU_DEP_2) | instskip(SKIP_2) | instid1(VALU_DEP_4)
	v_mul_lo_u32 v10, v3, s56
	v_mul_lo_u32 v3, v3, s57
	v_sub_nc_u32_e32 v2, v2, v8
	v_mul_lo_u32 v11, v1, s61
	s_delay_alu instid0(VALU_DEP_2) | instskip(SKIP_1) | instid1(VALU_DEP_3)
	v_mul_lo_u32 v8, v2, s54
	v_mul_lo_u32 v2, v2, s55
	v_sub_nc_u32_e32 v4, v4, v11
	s_delay_alu instid0(VALU_DEP_3) | instskip(NEXT) | instid1(VALU_DEP_2)
	v_add3_u32 v5, v5, v6, v8
	v_mul_lo_u32 v11, v4, s58
	v_mul_lo_u32 v4, v4, s59
	v_add3_u32 v0, v9, v0, v2
	s_delay_alu instid0(VALU_DEP_3) | instskip(NEXT) | instid1(VALU_DEP_2)
	v_add3_u32 v6, v10, v5, v11
	v_add3_u32 v0, v3, v0, v4
	s_cbranch_scc1 .LBB495_11
	s_branch .LBB495_14
.LBB495_12:
	s_mov_b32 s38, -1
                                        ; implicit-def: $vgpr6
                                        ; implicit-def: $vgpr0
	s_branch .LBB495_17
.LBB495_13:
	v_dual_mov_b32 v1, v7 :: v_dual_mov_b32 v0, 0
.LBB495_14:
	s_and_b32 s40, s40, 3
	s_delay_alu instid0(SALU_CYCLE_1)
	s_cmp_eq_u32 s40, 0
	s_cbranch_scc1 .LBB495_17
; %bb.15:
	s_lshl_b32 s24, s39, 3
	s_mul_i32 s26, s39, 12
	s_add_u32 s24, s24, s0
	s_addc_u32 s25, s1, 0
	s_add_u32 s24, s24, 0xc4
	s_addc_u32 s25, s25, 0
	;; [unrolled: 2-line block ×3, first 2 shown]
	.p2align	6
.LBB495_16:                             ; =>This Inner Loop Header: Depth=1
	s_clause 0x1
	s_load_b64 s[42:43], s[26:27], 0x4
	s_load_b32 s39, s[26:27], 0xc
	s_load_b64 s[44:45], s[24:25], 0x0
	s_add_u32 s26, s26, 12
	s_addc_u32 s27, s27, 0
	s_add_u32 s24, s24, 8
	s_addc_u32 s25, s25, 0
	s_add_i32 s40, s40, -1
	s_delay_alu instid0(SALU_CYCLE_1) | instskip(SKIP_2) | instid1(VALU_DEP_1)
	s_cmp_lg_u32 s40, 0
	s_waitcnt lgkmcnt(0)
	v_mul_hi_u32 v2, s43, v1
	v_add_nc_u32_e32 v2, v1, v2
	s_delay_alu instid0(VALU_DEP_1) | instskip(NEXT) | instid1(VALU_DEP_1)
	v_lshrrev_b32_e32 v5, s39, v2
	v_mul_lo_u32 v2, v5, s42
	s_delay_alu instid0(VALU_DEP_1) | instskip(NEXT) | instid1(VALU_DEP_1)
	v_sub_nc_u32_e32 v1, v1, v2
	v_mad_u64_u32 v[2:3], null, v1, s44, v[6:7]
	v_mad_u64_u32 v[3:4], null, v1, s45, v[0:1]
	s_delay_alu instid0(VALU_DEP_2) | instskip(NEXT) | instid1(VALU_DEP_2)
	v_dual_mov_b32 v1, v5 :: v_dual_mov_b32 v6, v2
	v_mov_b32_e32 v0, v3
	s_cbranch_scc1 .LBB495_16
.LBB495_17:
	s_and_not1_b32 vcc_lo, exec_lo, s38
	s_cbranch_vccnz .LBB495_20
; %bb.18:
	s_waitcnt lgkmcnt(0)
	v_mul_hi_u32 v0, s17, v7
	s_and_not1_b32 vcc_lo, exec_lo, s33
	s_delay_alu instid0(VALU_DEP_1) | instskip(NEXT) | instid1(VALU_DEP_1)
	v_add_nc_u32_e32 v0, v7, v0
	v_lshrrev_b32_e32 v1, s18, v0
	s_delay_alu instid0(VALU_DEP_1) | instskip(NEXT) | instid1(VALU_DEP_1)
	v_mul_lo_u32 v0, v1, s16
	v_sub_nc_u32_e32 v0, v7, v0
	s_delay_alu instid0(VALU_DEP_1)
	v_mul_lo_u32 v6, v0, s12
	v_mul_lo_u32 v0, v0, s13
	s_cbranch_vccnz .LBB495_20
; %bb.19:
	v_mul_hi_u32 v2, s20, v1
	s_delay_alu instid0(VALU_DEP_1) | instskip(NEXT) | instid1(VALU_DEP_1)
	v_add_nc_u32_e32 v2, v1, v2
	v_lshrrev_b32_e32 v2, s21, v2
	s_delay_alu instid0(VALU_DEP_1) | instskip(NEXT) | instid1(VALU_DEP_1)
	v_mul_lo_u32 v2, v2, s19
	v_sub_nc_u32_e32 v4, v1, v2
	s_delay_alu instid0(VALU_DEP_1) | instskip(NEXT) | instid1(VALU_DEP_1)
	v_mad_u64_u32 v[1:2], null, v4, s14, v[6:7]
	v_mad_u64_u32 v[2:3], null, v4, s15, v[0:1]
	v_mov_b32_e32 v6, v1
	s_delay_alu instid0(VALU_DEP_2)
	v_mov_b32_e32 v0, v2
.LBB495_20:
	s_waitcnt lgkmcnt(0)
	global_load_b128 v[2:5], v0, s[6:7]
	v_dual_mov_b32 v0, s8 :: v_dual_mov_b32 v1, s9
	s_mov_b32 s24, exec_lo
	s_waitcnt vmcnt(0)
	v_cmpx_o_f64_e32 v[2:3], v[2:3]
	s_cbranch_execz .LBB495_24
; %bb.21:
	v_dual_mov_b32 v0, s10 :: v_dual_mov_b32 v1, s11
	s_mov_b32 s25, exec_lo
	v_cmpx_neq_f64_e32 0x7ff00000, v[2:3]
; %bb.22:
	v_cmp_eq_f64_e32 vcc_lo, 0xfff00000, v[2:3]
	v_cndmask_b32_e64 v1, v3, s3, vcc_lo
	v_cndmask_b32_e64 v0, v2, s2, vcc_lo
; %bb.23:
	s_or_b32 exec_lo, exec_lo, s25
.LBB495_24:
	s_delay_alu instid0(SALU_CYCLE_1)
	s_or_b32 exec_lo, exec_lo, s24
	v_dual_mov_b32 v2, s8 :: v_dual_mov_b32 v3, s9
	s_mov_b32 s24, exec_lo
	v_cmpx_o_f64_e32 v[4:5], v[4:5]
	s_cbranch_execz .LBB495_28
; %bb.25:
	v_dual_mov_b32 v2, s10 :: v_dual_mov_b32 v3, s11
	s_mov_b32 s25, exec_lo
	v_cmpx_neq_f64_e32 0x7ff00000, v[4:5]
; %bb.26:
	v_cmp_eq_f64_e32 vcc_lo, 0xfff00000, v[4:5]
	v_cndmask_b32_e64 v3, v5, s3, vcc_lo
	v_cndmask_b32_e64 v2, v4, s2, vcc_lo
; %bb.27:
	s_or_b32 exec_lo, exec_lo, s25
.LBB495_28:
	s_delay_alu instid0(SALU_CYCLE_1) | instskip(SKIP_3) | instid1(SALU_CYCLE_1)
	s_or_b32 exec_lo, exec_lo, s24
	v_add_nc_u32_e32 v7, 0x80, v7
	global_store_b128 v6, v[0:3], s[4:5]
	s_or_b32 exec_lo, exec_lo, s37
	s_mov_b32 s37, exec_lo
	v_cmpx_gt_i32_e64 s34, v7
	s_cbranch_execz .LBB495_6
.LBB495_29:
	s_and_not1_b32 vcc_lo, exec_lo, s30
	s_cbranch_vccnz .LBB495_34
; %bb.30:
	v_mov_b32_e32 v6, 0
	v_mov_b32_e32 v0, 0
	s_and_not1_b32 vcc_lo, exec_lo, s36
	s_mov_b32 s38, 0
	s_cbranch_vccnz .LBB495_39
; %bb.31:
	v_mov_b32_e32 v6, 0
	s_add_i32 s40, s35, 1
	s_cmp_eq_u32 s29, 2
	s_mov_b32 s39, 0
	s_cbranch_scc1 .LBB495_35
; %bb.32:
	v_dual_mov_b32 v0, 0 :: v_dual_mov_b32 v1, v7
	v_mov_b32_e32 v6, 0
	s_and_b32 s39, s40, 28
	s_mov_b32 s41, 0
	s_mov_b64 s[24:25], s[22:23]
	s_mov_b64 s[26:27], s[0:1]
.LBB495_33:                             ; =>This Inner Loop Header: Depth=1
	s_clause 0x1
	s_load_b256 s[44:51], s[26:27], 0x4
	s_load_b128 s[60:63], s[26:27], 0x24
	s_load_b256 s[52:59], s[24:25], 0x0
	s_add_u32 s26, s26, 48
	s_addc_u32 s27, s27, 0
	s_add_i32 s41, s41, 4
	s_add_u32 s24, s24, 32
	s_addc_u32 s25, s25, 0
	s_cmp_eq_u32 s39, s41
	s_waitcnt lgkmcnt(0)
	v_mul_hi_u32 v2, s45, v1
	s_delay_alu instid0(VALU_DEP_1) | instskip(NEXT) | instid1(VALU_DEP_1)
	v_add_nc_u32_e32 v2, v1, v2
	v_lshrrev_b32_e32 v2, s46, v2
	s_delay_alu instid0(VALU_DEP_1) | instskip(SKIP_1) | instid1(VALU_DEP_2)
	v_mul_hi_u32 v3, s48, v2
	v_mul_lo_u32 v5, v2, s44
	v_add_nc_u32_e32 v3, v2, v3
	s_delay_alu instid0(VALU_DEP_2) | instskip(NEXT) | instid1(VALU_DEP_2)
	v_sub_nc_u32_e32 v1, v1, v5
	v_lshrrev_b32_e32 v3, s49, v3
	s_delay_alu instid0(VALU_DEP_2) | instskip(SKIP_1) | instid1(VALU_DEP_3)
	v_mul_lo_u32 v5, v1, s52
	v_mul_lo_u32 v9, v1, s53
	v_mul_hi_u32 v4, s51, v3
	s_delay_alu instid0(VALU_DEP_1) | instskip(NEXT) | instid1(VALU_DEP_1)
	v_add_nc_u32_e32 v4, v3, v4
	v_lshrrev_b32_e32 v4, s60, v4
	s_delay_alu instid0(VALU_DEP_1) | instskip(SKIP_1) | instid1(VALU_DEP_2)
	v_mul_hi_u32 v8, s62, v4
	v_mul_lo_u32 v10, v4, s50
	v_add_nc_u32_e32 v1, v4, v8
	v_mul_lo_u32 v8, v3, s47
	s_delay_alu instid0(VALU_DEP_3) | instskip(NEXT) | instid1(VALU_DEP_3)
	v_sub_nc_u32_e32 v3, v3, v10
	v_lshrrev_b32_e32 v1, s63, v1
	s_delay_alu instid0(VALU_DEP_2) | instskip(SKIP_2) | instid1(VALU_DEP_4)
	v_mul_lo_u32 v10, v3, s56
	v_mul_lo_u32 v3, v3, s57
	v_sub_nc_u32_e32 v2, v2, v8
	v_mul_lo_u32 v11, v1, s61
	s_delay_alu instid0(VALU_DEP_2) | instskip(SKIP_1) | instid1(VALU_DEP_3)
	v_mul_lo_u32 v8, v2, s54
	v_mul_lo_u32 v2, v2, s55
	v_sub_nc_u32_e32 v4, v4, v11
	s_delay_alu instid0(VALU_DEP_3) | instskip(NEXT) | instid1(VALU_DEP_2)
	v_add3_u32 v5, v5, v6, v8
	v_mul_lo_u32 v11, v4, s58
	v_mul_lo_u32 v4, v4, s59
	v_add3_u32 v0, v9, v0, v2
	s_delay_alu instid0(VALU_DEP_3) | instskip(NEXT) | instid1(VALU_DEP_2)
	v_add3_u32 v6, v10, v5, v11
	v_add3_u32 v0, v3, v0, v4
	s_cbranch_scc0 .LBB495_33
	s_branch .LBB495_36
.LBB495_34:
	s_mov_b32 s38, -1
                                        ; implicit-def: $vgpr6
                                        ; implicit-def: $vgpr0
	s_branch .LBB495_39
.LBB495_35:
	v_dual_mov_b32 v1, v7 :: v_dual_mov_b32 v0, 0
.LBB495_36:
	s_and_b32 s40, s40, 3
	s_delay_alu instid0(SALU_CYCLE_1)
	s_cmp_eq_u32 s40, 0
	s_cbranch_scc1 .LBB495_39
; %bb.37:
	s_lshl_b32 s24, s39, 3
	s_mul_i32 s26, s39, 12
	s_add_u32 s24, s24, s0
	s_addc_u32 s25, s1, 0
	s_add_u32 s24, s24, 0xc4
	s_addc_u32 s25, s25, 0
	;; [unrolled: 2-line block ×3, first 2 shown]
	.p2align	6
.LBB495_38:                             ; =>This Inner Loop Header: Depth=1
	s_clause 0x1
	s_load_b64 s[42:43], s[26:27], 0x4
	s_load_b32 s39, s[26:27], 0xc
	s_load_b64 s[44:45], s[24:25], 0x0
	s_add_u32 s26, s26, 12
	s_addc_u32 s27, s27, 0
	s_add_u32 s24, s24, 8
	s_addc_u32 s25, s25, 0
	s_add_i32 s40, s40, -1
	s_delay_alu instid0(SALU_CYCLE_1) | instskip(SKIP_2) | instid1(VALU_DEP_1)
	s_cmp_lg_u32 s40, 0
	s_waitcnt lgkmcnt(0)
	v_mul_hi_u32 v2, s43, v1
	v_add_nc_u32_e32 v2, v1, v2
	s_delay_alu instid0(VALU_DEP_1) | instskip(NEXT) | instid1(VALU_DEP_1)
	v_lshrrev_b32_e32 v5, s39, v2
	v_mul_lo_u32 v2, v5, s42
	s_delay_alu instid0(VALU_DEP_1) | instskip(NEXT) | instid1(VALU_DEP_1)
	v_sub_nc_u32_e32 v1, v1, v2
	v_mad_u64_u32 v[2:3], null, v1, s44, v[6:7]
	v_mad_u64_u32 v[3:4], null, v1, s45, v[0:1]
	s_delay_alu instid0(VALU_DEP_2) | instskip(NEXT) | instid1(VALU_DEP_2)
	v_dual_mov_b32 v1, v5 :: v_dual_mov_b32 v6, v2
	v_mov_b32_e32 v0, v3
	s_cbranch_scc1 .LBB495_38
.LBB495_39:
	s_and_not1_b32 vcc_lo, exec_lo, s38
	s_cbranch_vccnz .LBB495_42
; %bb.40:
	s_waitcnt lgkmcnt(0)
	v_mul_hi_u32 v0, s17, v7
	s_and_not1_b32 vcc_lo, exec_lo, s33
	s_delay_alu instid0(VALU_DEP_1) | instskip(NEXT) | instid1(VALU_DEP_1)
	v_add_nc_u32_e32 v0, v7, v0
	v_lshrrev_b32_e32 v1, s18, v0
	s_delay_alu instid0(VALU_DEP_1) | instskip(NEXT) | instid1(VALU_DEP_1)
	v_mul_lo_u32 v0, v1, s16
	v_sub_nc_u32_e32 v0, v7, v0
	s_delay_alu instid0(VALU_DEP_1)
	v_mul_lo_u32 v6, v0, s12
	v_mul_lo_u32 v0, v0, s13
	s_cbranch_vccnz .LBB495_42
; %bb.41:
	v_mul_hi_u32 v2, s20, v1
	s_delay_alu instid0(VALU_DEP_1) | instskip(NEXT) | instid1(VALU_DEP_1)
	v_add_nc_u32_e32 v2, v1, v2
	v_lshrrev_b32_e32 v2, s21, v2
	s_delay_alu instid0(VALU_DEP_1) | instskip(NEXT) | instid1(VALU_DEP_1)
	v_mul_lo_u32 v2, v2, s19
	v_sub_nc_u32_e32 v4, v1, v2
	s_delay_alu instid0(VALU_DEP_1) | instskip(NEXT) | instid1(VALU_DEP_1)
	v_mad_u64_u32 v[1:2], null, v4, s14, v[6:7]
	v_mad_u64_u32 v[2:3], null, v4, s15, v[0:1]
	v_mov_b32_e32 v6, v1
	s_delay_alu instid0(VALU_DEP_2)
	v_mov_b32_e32 v0, v2
.LBB495_42:
	s_waitcnt lgkmcnt(0)
	global_load_b128 v[2:5], v0, s[6:7]
	v_dual_mov_b32 v0, s8 :: v_dual_mov_b32 v1, s9
	s_mov_b32 s24, exec_lo
	s_waitcnt vmcnt(0)
	v_cmpx_o_f64_e32 v[2:3], v[2:3]
	s_cbranch_execz .LBB495_46
; %bb.43:
	v_dual_mov_b32 v0, s10 :: v_dual_mov_b32 v1, s11
	s_mov_b32 s25, exec_lo
	v_cmpx_neq_f64_e32 0x7ff00000, v[2:3]
; %bb.44:
	v_cmp_eq_f64_e32 vcc_lo, 0xfff00000, v[2:3]
	v_cndmask_b32_e64 v1, v3, s3, vcc_lo
	v_cndmask_b32_e64 v0, v2, s2, vcc_lo
; %bb.45:
	s_or_b32 exec_lo, exec_lo, s25
.LBB495_46:
	s_delay_alu instid0(SALU_CYCLE_1)
	s_or_b32 exec_lo, exec_lo, s24
	v_dual_mov_b32 v2, s8 :: v_dual_mov_b32 v3, s9
	s_mov_b32 s24, exec_lo
	v_cmpx_o_f64_e32 v[4:5], v[4:5]
	s_cbranch_execz .LBB495_50
; %bb.47:
	v_dual_mov_b32 v2, s10 :: v_dual_mov_b32 v3, s11
	s_mov_b32 s25, exec_lo
	v_cmpx_neq_f64_e32 0x7ff00000, v[4:5]
; %bb.48:
	v_cmp_eq_f64_e32 vcc_lo, 0xfff00000, v[4:5]
	v_cndmask_b32_e64 v3, v5, s3, vcc_lo
	v_cndmask_b32_e64 v2, v4, s2, vcc_lo
; %bb.49:
	s_or_b32 exec_lo, exec_lo, s25
.LBB495_50:
	s_delay_alu instid0(SALU_CYCLE_1) | instskip(SKIP_3) | instid1(SALU_CYCLE_1)
	s_or_b32 exec_lo, exec_lo, s24
	v_add_nc_u32_e32 v7, 0x80, v7
	global_store_b128 v6, v[0:3], s[4:5]
	s_or_b32 exec_lo, exec_lo, s37
	s_mov_b32 s37, exec_lo
	v_cmpx_gt_i32_e64 s34, v7
	s_cbranch_execz .LBB495_73
.LBB495_51:
	s_and_not1_b32 vcc_lo, exec_lo, s30
	s_cbranch_vccnz .LBB495_56
; %bb.52:
	v_mov_b32_e32 v6, 0
	v_mov_b32_e32 v0, 0
	s_and_not1_b32 vcc_lo, exec_lo, s36
	s_mov_b32 s38, 0
	s_cbranch_vccnz .LBB495_61
; %bb.53:
	v_mov_b32_e32 v6, 0
	s_add_i32 s40, s35, 1
	s_cmp_eq_u32 s29, 2
	s_mov_b32 s39, 0
	s_cbranch_scc1 .LBB495_57
; %bb.54:
	v_dual_mov_b32 v0, 0 :: v_dual_mov_b32 v1, v7
	v_mov_b32_e32 v6, 0
	s_and_b32 s39, s40, 28
	s_mov_b32 s41, 0
	s_mov_b64 s[24:25], s[22:23]
	s_mov_b64 s[26:27], s[0:1]
.LBB495_55:                             ; =>This Inner Loop Header: Depth=1
	s_clause 0x1
	s_load_b256 s[44:51], s[26:27], 0x4
	s_load_b128 s[60:63], s[26:27], 0x24
	s_load_b256 s[52:59], s[24:25], 0x0
	s_add_u32 s26, s26, 48
	s_addc_u32 s27, s27, 0
	s_add_i32 s41, s41, 4
	s_add_u32 s24, s24, 32
	s_addc_u32 s25, s25, 0
	s_cmp_eq_u32 s39, s41
	s_waitcnt lgkmcnt(0)
	v_mul_hi_u32 v2, s45, v1
	s_delay_alu instid0(VALU_DEP_1) | instskip(NEXT) | instid1(VALU_DEP_1)
	v_add_nc_u32_e32 v2, v1, v2
	v_lshrrev_b32_e32 v2, s46, v2
	s_delay_alu instid0(VALU_DEP_1) | instskip(SKIP_1) | instid1(VALU_DEP_2)
	v_mul_hi_u32 v3, s48, v2
	v_mul_lo_u32 v5, v2, s44
	v_add_nc_u32_e32 v3, v2, v3
	s_delay_alu instid0(VALU_DEP_2) | instskip(NEXT) | instid1(VALU_DEP_2)
	v_sub_nc_u32_e32 v1, v1, v5
	v_lshrrev_b32_e32 v3, s49, v3
	s_delay_alu instid0(VALU_DEP_2) | instskip(SKIP_1) | instid1(VALU_DEP_3)
	v_mul_lo_u32 v5, v1, s52
	v_mul_lo_u32 v9, v1, s53
	v_mul_hi_u32 v4, s51, v3
	s_delay_alu instid0(VALU_DEP_1) | instskip(NEXT) | instid1(VALU_DEP_1)
	v_add_nc_u32_e32 v4, v3, v4
	v_lshrrev_b32_e32 v4, s60, v4
	s_delay_alu instid0(VALU_DEP_1) | instskip(SKIP_1) | instid1(VALU_DEP_2)
	v_mul_hi_u32 v8, s62, v4
	v_mul_lo_u32 v10, v4, s50
	v_add_nc_u32_e32 v1, v4, v8
	v_mul_lo_u32 v8, v3, s47
	s_delay_alu instid0(VALU_DEP_3) | instskip(NEXT) | instid1(VALU_DEP_3)
	v_sub_nc_u32_e32 v3, v3, v10
	v_lshrrev_b32_e32 v1, s63, v1
	s_delay_alu instid0(VALU_DEP_2) | instskip(SKIP_2) | instid1(VALU_DEP_4)
	v_mul_lo_u32 v10, v3, s56
	v_mul_lo_u32 v3, v3, s57
	v_sub_nc_u32_e32 v2, v2, v8
	v_mul_lo_u32 v11, v1, s61
	s_delay_alu instid0(VALU_DEP_2) | instskip(SKIP_1) | instid1(VALU_DEP_3)
	v_mul_lo_u32 v8, v2, s54
	v_mul_lo_u32 v2, v2, s55
	v_sub_nc_u32_e32 v4, v4, v11
	s_delay_alu instid0(VALU_DEP_3) | instskip(NEXT) | instid1(VALU_DEP_2)
	v_add3_u32 v5, v5, v6, v8
	v_mul_lo_u32 v11, v4, s58
	v_mul_lo_u32 v4, v4, s59
	v_add3_u32 v0, v9, v0, v2
	s_delay_alu instid0(VALU_DEP_3) | instskip(NEXT) | instid1(VALU_DEP_2)
	v_add3_u32 v6, v10, v5, v11
	v_add3_u32 v0, v3, v0, v4
	s_cbranch_scc0 .LBB495_55
	s_branch .LBB495_58
.LBB495_56:
	s_mov_b32 s38, -1
                                        ; implicit-def: $vgpr6
                                        ; implicit-def: $vgpr0
	s_branch .LBB495_61
.LBB495_57:
	v_dual_mov_b32 v1, v7 :: v_dual_mov_b32 v0, 0
.LBB495_58:
	s_and_b32 s40, s40, 3
	s_delay_alu instid0(SALU_CYCLE_1)
	s_cmp_eq_u32 s40, 0
	s_cbranch_scc1 .LBB495_61
; %bb.59:
	s_lshl_b32 s24, s39, 3
	s_mul_i32 s26, s39, 12
	s_add_u32 s24, s24, s0
	s_addc_u32 s25, s1, 0
	s_add_u32 s24, s24, 0xc4
	s_addc_u32 s25, s25, 0
	;; [unrolled: 2-line block ×3, first 2 shown]
	.p2align	6
.LBB495_60:                             ; =>This Inner Loop Header: Depth=1
	s_clause 0x1
	s_load_b64 s[42:43], s[26:27], 0x4
	s_load_b32 s39, s[26:27], 0xc
	s_load_b64 s[44:45], s[24:25], 0x0
	s_add_u32 s26, s26, 12
	s_addc_u32 s27, s27, 0
	s_add_u32 s24, s24, 8
	s_addc_u32 s25, s25, 0
	s_add_i32 s40, s40, -1
	s_delay_alu instid0(SALU_CYCLE_1) | instskip(SKIP_2) | instid1(VALU_DEP_1)
	s_cmp_lg_u32 s40, 0
	s_waitcnt lgkmcnt(0)
	v_mul_hi_u32 v2, s43, v1
	v_add_nc_u32_e32 v2, v1, v2
	s_delay_alu instid0(VALU_DEP_1) | instskip(NEXT) | instid1(VALU_DEP_1)
	v_lshrrev_b32_e32 v5, s39, v2
	v_mul_lo_u32 v2, v5, s42
	s_delay_alu instid0(VALU_DEP_1) | instskip(NEXT) | instid1(VALU_DEP_1)
	v_sub_nc_u32_e32 v1, v1, v2
	v_mad_u64_u32 v[2:3], null, v1, s44, v[6:7]
	v_mad_u64_u32 v[3:4], null, v1, s45, v[0:1]
	s_delay_alu instid0(VALU_DEP_2) | instskip(NEXT) | instid1(VALU_DEP_2)
	v_dual_mov_b32 v1, v5 :: v_dual_mov_b32 v6, v2
	v_mov_b32_e32 v0, v3
	s_cbranch_scc1 .LBB495_60
.LBB495_61:
	s_and_not1_b32 vcc_lo, exec_lo, s38
	s_cbranch_vccnz .LBB495_64
; %bb.62:
	s_waitcnt lgkmcnt(0)
	v_mul_hi_u32 v0, s17, v7
	s_and_not1_b32 vcc_lo, exec_lo, s33
	s_delay_alu instid0(VALU_DEP_1) | instskip(NEXT) | instid1(VALU_DEP_1)
	v_add_nc_u32_e32 v0, v7, v0
	v_lshrrev_b32_e32 v1, s18, v0
	s_delay_alu instid0(VALU_DEP_1) | instskip(NEXT) | instid1(VALU_DEP_1)
	v_mul_lo_u32 v0, v1, s16
	v_sub_nc_u32_e32 v0, v7, v0
	s_delay_alu instid0(VALU_DEP_1)
	v_mul_lo_u32 v6, v0, s12
	v_mul_lo_u32 v0, v0, s13
	s_cbranch_vccnz .LBB495_64
; %bb.63:
	v_mul_hi_u32 v2, s20, v1
	s_delay_alu instid0(VALU_DEP_1) | instskip(NEXT) | instid1(VALU_DEP_1)
	v_add_nc_u32_e32 v2, v1, v2
	v_lshrrev_b32_e32 v2, s21, v2
	s_delay_alu instid0(VALU_DEP_1) | instskip(NEXT) | instid1(VALU_DEP_1)
	v_mul_lo_u32 v2, v2, s19
	v_sub_nc_u32_e32 v4, v1, v2
	s_delay_alu instid0(VALU_DEP_1) | instskip(NEXT) | instid1(VALU_DEP_1)
	v_mad_u64_u32 v[1:2], null, v4, s14, v[6:7]
	v_mad_u64_u32 v[2:3], null, v4, s15, v[0:1]
	v_mov_b32_e32 v6, v1
	s_delay_alu instid0(VALU_DEP_2)
	v_mov_b32_e32 v0, v2
.LBB495_64:
	s_waitcnt lgkmcnt(0)
	global_load_b128 v[2:5], v0, s[6:7]
	v_dual_mov_b32 v0, s8 :: v_dual_mov_b32 v1, s9
	s_mov_b32 s24, exec_lo
	s_waitcnt vmcnt(0)
	v_cmpx_o_f64_e32 v[2:3], v[2:3]
	s_cbranch_execz .LBB495_68
; %bb.65:
	v_dual_mov_b32 v0, s10 :: v_dual_mov_b32 v1, s11
	s_mov_b32 s25, exec_lo
	v_cmpx_neq_f64_e32 0x7ff00000, v[2:3]
; %bb.66:
	v_cmp_eq_f64_e32 vcc_lo, 0xfff00000, v[2:3]
	v_cndmask_b32_e64 v1, v3, s3, vcc_lo
	v_cndmask_b32_e64 v0, v2, s2, vcc_lo
; %bb.67:
	s_or_b32 exec_lo, exec_lo, s25
.LBB495_68:
	s_delay_alu instid0(SALU_CYCLE_1)
	s_or_b32 exec_lo, exec_lo, s24
	v_dual_mov_b32 v2, s8 :: v_dual_mov_b32 v3, s9
	s_mov_b32 s24, exec_lo
	v_cmpx_o_f64_e32 v[4:5], v[4:5]
	s_cbranch_execz .LBB495_72
; %bb.69:
	v_dual_mov_b32 v2, s10 :: v_dual_mov_b32 v3, s11
	s_mov_b32 s25, exec_lo
	v_cmpx_neq_f64_e32 0x7ff00000, v[4:5]
; %bb.70:
	v_cmp_eq_f64_e32 vcc_lo, 0xfff00000, v[4:5]
	v_cndmask_b32_e64 v3, v5, s3, vcc_lo
	v_cndmask_b32_e64 v2, v4, s2, vcc_lo
; %bb.71:
	s_or_b32 exec_lo, exec_lo, s25
.LBB495_72:
	s_delay_alu instid0(SALU_CYCLE_1)
	s_or_b32 exec_lo, exec_lo, s24
	v_add_nc_u32_e32 v7, 0x80, v7
	global_store_b128 v6, v[0:3], s[4:5]
.LBB495_73:
	s_or_b32 exec_lo, exec_lo, s37
	s_mov_b32 s24, 0
	s_mov_b32 s26, exec_lo
                                        ; implicit-def: $vgpr12_vgpr13
                                        ; implicit-def: $vgpr14_vgpr15
	v_cmpx_gt_i32_e64 s34, v7
	s_cbranch_execz .LBB495_96
; %bb.74:
	s_and_not1_b32 vcc_lo, exec_lo, s30
	s_cbranch_vccnz .LBB495_79
; %bb.75:
	v_mov_b32_e32 v4, 0
	v_mov_b32_e32 v0, 0
	s_and_not1_b32 vcc_lo, exec_lo, s36
	s_mov_b32 s27, 0
	s_cbranch_vccnz .LBB495_84
; %bb.76:
	v_mov_b32_e32 v4, 0
	s_add_i32 s35, s35, 1
	s_cmp_eq_u32 s29, 2
	s_mov_b32 s34, 0
	s_cbranch_scc1 .LBB495_80
; %bb.77:
	v_dual_mov_b32 v0, 0 :: v_dual_mov_b32 v1, v7
	v_mov_b32_e32 v4, 0
	s_and_b32 s34, s35, 28
	s_mov_b32 s36, 0
	s_mov_b64 s[24:25], s[0:1]
.LBB495_78:                             ; =>This Inner Loop Header: Depth=1
	s_clause 0x1
	s_load_b256 s[40:47], s[24:25], 0x4
	s_load_b128 s[56:59], s[24:25], 0x24
	s_load_b256 s[48:55], s[22:23], 0x0
	s_add_u32 s24, s24, 48
	s_addc_u32 s25, s25, 0
	s_add_i32 s36, s36, 4
	s_add_u32 s22, s22, 32
	s_addc_u32 s23, s23, 0
	s_cmp_eq_u32 s34, s36
	s_waitcnt lgkmcnt(0)
	v_mul_hi_u32 v2, s41, v1
	s_delay_alu instid0(VALU_DEP_1) | instskip(NEXT) | instid1(VALU_DEP_1)
	v_add_nc_u32_e32 v2, v1, v2
	v_lshrrev_b32_e32 v2, s42, v2
	s_delay_alu instid0(VALU_DEP_1) | instskip(SKIP_1) | instid1(VALU_DEP_2)
	v_mul_hi_u32 v3, s44, v2
	v_mul_lo_u32 v6, v2, s40
	v_add_nc_u32_e32 v3, v2, v3
	s_delay_alu instid0(VALU_DEP_2) | instskip(NEXT) | instid1(VALU_DEP_2)
	v_sub_nc_u32_e32 v1, v1, v6
	v_lshrrev_b32_e32 v3, s45, v3
	s_delay_alu instid0(VALU_DEP_2) | instskip(SKIP_1) | instid1(VALU_DEP_3)
	v_mul_lo_u32 v6, v1, s48
	v_mul_lo_u32 v9, v1, s49
	v_mul_hi_u32 v5, s47, v3
	s_delay_alu instid0(VALU_DEP_1) | instskip(NEXT) | instid1(VALU_DEP_1)
	v_add_nc_u32_e32 v5, v3, v5
	v_lshrrev_b32_e32 v5, s56, v5
	s_delay_alu instid0(VALU_DEP_1) | instskip(SKIP_1) | instid1(VALU_DEP_2)
	v_mul_hi_u32 v8, s58, v5
	v_mul_lo_u32 v10, v5, s46
	v_add_nc_u32_e32 v1, v5, v8
	v_mul_lo_u32 v8, v3, s43
	s_delay_alu instid0(VALU_DEP_3) | instskip(NEXT) | instid1(VALU_DEP_3)
	v_sub_nc_u32_e32 v3, v3, v10
	v_lshrrev_b32_e32 v1, s59, v1
	s_delay_alu instid0(VALU_DEP_2) | instskip(SKIP_2) | instid1(VALU_DEP_4)
	v_mul_lo_u32 v10, v3, s52
	v_mul_lo_u32 v3, v3, s53
	v_sub_nc_u32_e32 v2, v2, v8
	v_mul_lo_u32 v11, v1, s57
	s_delay_alu instid0(VALU_DEP_2) | instskip(SKIP_1) | instid1(VALU_DEP_3)
	v_mul_lo_u32 v8, v2, s50
	v_mul_lo_u32 v2, v2, s51
	v_sub_nc_u32_e32 v5, v5, v11
	s_delay_alu instid0(VALU_DEP_3) | instskip(NEXT) | instid1(VALU_DEP_2)
	v_add3_u32 v4, v6, v4, v8
	v_mul_lo_u32 v11, v5, s54
	v_mul_lo_u32 v5, v5, s55
	v_add3_u32 v0, v9, v0, v2
	s_delay_alu instid0(VALU_DEP_3) | instskip(NEXT) | instid1(VALU_DEP_2)
	v_add3_u32 v4, v10, v4, v11
	v_add3_u32 v0, v3, v0, v5
	s_cbranch_scc0 .LBB495_78
	s_branch .LBB495_81
.LBB495_79:
	s_mov_b32 s27, -1
                                        ; implicit-def: $vgpr4
                                        ; implicit-def: $vgpr0
	s_branch .LBB495_84
.LBB495_80:
	v_dual_mov_b32 v1, v7 :: v_dual_mov_b32 v0, 0
.LBB495_81:
	s_and_b32 s35, s35, 3
	s_delay_alu instid0(SALU_CYCLE_1)
	s_cmp_eq_u32 s35, 0
	s_cbranch_scc1 .LBB495_84
; %bb.82:
	s_lshl_b32 s22, s34, 3
	s_mul_i32 s24, s34, 12
	s_add_u32 s22, s22, s0
	s_addc_u32 s23, s1, 0
	s_add_u32 s22, s22, 0xc4
	s_addc_u32 s23, s23, 0
	;; [unrolled: 2-line block ×3, first 2 shown]
	.p2align	6
.LBB495_83:                             ; =>This Inner Loop Header: Depth=1
	s_clause 0x1
	s_load_b64 s[36:37], s[24:25], 0x4
	s_load_b32 s34, s[24:25], 0xc
	s_load_b64 s[38:39], s[22:23], 0x0
	s_add_u32 s24, s24, 12
	s_addc_u32 s25, s25, 0
	s_add_u32 s22, s22, 8
	s_addc_u32 s23, s23, 0
	s_add_i32 s35, s35, -1
	s_delay_alu instid0(SALU_CYCLE_1) | instskip(SKIP_2) | instid1(VALU_DEP_1)
	s_cmp_lg_u32 s35, 0
	s_waitcnt lgkmcnt(0)
	v_mul_hi_u32 v2, s37, v1
	v_add_nc_u32_e32 v2, v1, v2
	s_delay_alu instid0(VALU_DEP_1) | instskip(NEXT) | instid1(VALU_DEP_1)
	v_lshrrev_b32_e32 v5, s34, v2
	v_mul_lo_u32 v2, v5, s36
	s_delay_alu instid0(VALU_DEP_1) | instskip(NEXT) | instid1(VALU_DEP_1)
	v_sub_nc_u32_e32 v1, v1, v2
	v_mad_u64_u32 v[2:3], null, v1, s38, v[4:5]
	v_mad_u64_u32 v[3:4], null, v1, s39, v[0:1]
	s_delay_alu instid0(VALU_DEP_2) | instskip(NEXT) | instid1(VALU_DEP_2)
	v_dual_mov_b32 v1, v5 :: v_dual_mov_b32 v4, v2
	v_mov_b32_e32 v0, v3
	s_cbranch_scc1 .LBB495_83
.LBB495_84:
	s_and_not1_b32 vcc_lo, exec_lo, s27
	s_cbranch_vccnz .LBB495_87
; %bb.85:
	s_waitcnt lgkmcnt(0)
	v_mul_hi_u32 v0, s17, v7
	s_and_not1_b32 vcc_lo, exec_lo, s33
	s_delay_alu instid0(VALU_DEP_1) | instskip(NEXT) | instid1(VALU_DEP_1)
	v_add_nc_u32_e32 v0, v7, v0
	v_lshrrev_b32_e32 v1, s18, v0
	s_delay_alu instid0(VALU_DEP_1) | instskip(NEXT) | instid1(VALU_DEP_1)
	v_mul_lo_u32 v0, v1, s16
	v_sub_nc_u32_e32 v0, v7, v0
	s_delay_alu instid0(VALU_DEP_1)
	v_mul_lo_u32 v4, v0, s12
	v_mul_lo_u32 v0, v0, s13
	s_cbranch_vccnz .LBB495_87
; %bb.86:
	v_mul_hi_u32 v2, s20, v1
	s_delay_alu instid0(VALU_DEP_1) | instskip(NEXT) | instid1(VALU_DEP_1)
	v_add_nc_u32_e32 v2, v1, v2
	v_lshrrev_b32_e32 v2, s21, v2
	s_delay_alu instid0(VALU_DEP_1) | instskip(NEXT) | instid1(VALU_DEP_1)
	v_mul_lo_u32 v2, v2, s19
	v_sub_nc_u32_e32 v5, v1, v2
	s_delay_alu instid0(VALU_DEP_1) | instskip(NEXT) | instid1(VALU_DEP_1)
	v_mad_u64_u32 v[1:2], null, v5, s14, v[4:5]
	v_mad_u64_u32 v[2:3], null, v5, s15, v[0:1]
	v_mov_b32_e32 v4, v1
	s_delay_alu instid0(VALU_DEP_2)
	v_mov_b32_e32 v0, v2
.LBB495_87:
	s_waitcnt lgkmcnt(0)
	global_load_b128 v[0:3], v0, s[6:7]
	v_dual_mov_b32 v5, s8 :: v_dual_mov_b32 v6, s9
	s_mov_b32 s6, exec_lo
	s_waitcnt vmcnt(0)
	v_cmpx_o_f64_e32 v[0:1], v[0:1]
	s_cbranch_execz .LBB495_91
; %bb.88:
	v_dual_mov_b32 v5, s10 :: v_dual_mov_b32 v6, s11
	s_mov_b32 s7, exec_lo
	v_cmpx_neq_f64_e32 0x7ff00000, v[0:1]
; %bb.89:
	v_cmp_eq_f64_e32 vcc_lo, 0xfff00000, v[0:1]
	v_cndmask_b32_e64 v6, v1, s3, vcc_lo
	v_cndmask_b32_e64 v5, v0, s2, vcc_lo
; %bb.90:
	s_or_b32 exec_lo, exec_lo, s7
.LBB495_91:
	s_delay_alu instid0(SALU_CYCLE_1)
	s_or_b32 exec_lo, exec_lo, s6
	v_dual_mov_b32 v13, s9 :: v_dual_mov_b32 v12, s8
	s_mov_b32 s6, exec_lo
	v_cmpx_o_f64_e32 v[2:3], v[2:3]
	s_cbranch_execz .LBB495_95
; %bb.92:
	v_dual_mov_b32 v13, s11 :: v_dual_mov_b32 v12, s10
	s_mov_b32 s7, exec_lo
	v_cmpx_neq_f64_e32 0x7ff00000, v[2:3]
; %bb.93:
	v_cmp_eq_f64_e32 vcc_lo, 0xfff00000, v[2:3]
	v_cndmask_b32_e64 v13, v3, s3, vcc_lo
	v_cndmask_b32_e64 v12, v2, s2, vcc_lo
; %bb.94:
	s_or_b32 exec_lo, exec_lo, s7
.LBB495_95:
	s_delay_alu instid0(SALU_CYCLE_1) | instskip(SKIP_1) | instid1(VALU_DEP_1)
	s_or_b32 exec_lo, exec_lo, s6
	v_add_co_u32 v14, s2, s4, v4
	v_add_co_ci_u32_e64 v15, null, s5, 0, s2
	s_mov_b32 s24, exec_lo
	global_store_b64 v4, v[5:6], s[4:5]
.LBB495_96:
	s_or_b32 exec_lo, exec_lo, s26
	s_waitcnt lgkmcnt(0)
	s_and_b32 s12, s24, exec_lo
                                        ; implicit-def: $vgpr1
                                        ; implicit-def: $vgpr7
	s_and_not1_saveexec_b32 s13, s31
	s_cbranch_execz .LBB495_2
.LBB495_97:
	v_cndmask_b32_e64 v2, 0, 1, s30
	s_and_not1_b32 vcc_lo, exec_lo, s30
	s_cbranch_vccnz .LBB495_103
; %bb.98:
	v_mov_b32_e32 v16, 0
	v_mov_b32_e32 v0, 0
	s_cmp_lg_u32 s28, 0
	s_mov_b32 s6, 0
	s_cbranch_scc0 .LBB495_107
; %bb.99:
	s_min_u32 s7, s29, 15
	v_mov_b32_e32 v16, 0
	s_add_i32 s7, s7, 1
	s_cmp_eq_u32 s29, 2
	s_mov_b32 s8, 0
	s_cbranch_scc1 .LBB495_104
; %bb.100:
	v_dual_mov_b32 v0, 0 :: v_dual_mov_b32 v3, v7
	v_mov_b32_e32 v16, 0
	s_add_u32 s2, s0, 0xc4
	s_addc_u32 s3, s1, 0
	s_and_b32 s8, s7, 28
	s_mov_b32 s9, 0
	s_mov_b64 s[4:5], s[0:1]
.LBB495_101:                            ; =>This Inner Loop Header: Depth=1
	s_clause 0x1
	s_load_b256 s[16:23], s[4:5], 0x4
	s_load_b128 s[24:27], s[4:5], 0x24
	s_load_b256 s[36:43], s[2:3], 0x0
	s_add_u32 s4, s4, 48
	s_addc_u32 s5, s5, 0
	s_add_i32 s9, s9, 4
	s_add_u32 s2, s2, 32
	s_addc_u32 s3, s3, 0
	s_cmp_lg_u32 s8, s9
	s_waitcnt lgkmcnt(0)
	v_mul_hi_u32 v4, s17, v3
	s_delay_alu instid0(VALU_DEP_1) | instskip(NEXT) | instid1(VALU_DEP_1)
	v_add_nc_u32_e32 v4, v3, v4
	v_lshrrev_b32_e32 v4, s18, v4
	s_delay_alu instid0(VALU_DEP_1) | instskip(SKIP_1) | instid1(VALU_DEP_2)
	v_mul_hi_u32 v5, s20, v4
	v_mul_lo_u32 v8, v4, s16
	v_add_nc_u32_e32 v5, v4, v5
	s_delay_alu instid0(VALU_DEP_2) | instskip(NEXT) | instid1(VALU_DEP_2)
	v_sub_nc_u32_e32 v3, v3, v8
	v_lshrrev_b32_e32 v5, s21, v5
	s_delay_alu instid0(VALU_DEP_2) | instskip(SKIP_1) | instid1(VALU_DEP_3)
	v_mul_lo_u32 v8, v3, s36
	v_mul_lo_u32 v10, v3, s37
	v_mul_hi_u32 v6, s23, v5
	s_delay_alu instid0(VALU_DEP_1) | instskip(NEXT) | instid1(VALU_DEP_1)
	v_add_nc_u32_e32 v6, v5, v6
	v_lshrrev_b32_e32 v6, s24, v6
	s_delay_alu instid0(VALU_DEP_1) | instskip(SKIP_1) | instid1(VALU_DEP_2)
	v_mul_hi_u32 v9, s26, v6
	v_mul_lo_u32 v11, v6, s22
	v_add_nc_u32_e32 v3, v6, v9
	v_mul_lo_u32 v9, v5, s19
	s_delay_alu instid0(VALU_DEP_3) | instskip(NEXT) | instid1(VALU_DEP_3)
	v_sub_nc_u32_e32 v5, v5, v11
	v_lshrrev_b32_e32 v3, s27, v3
	s_delay_alu instid0(VALU_DEP_2) | instskip(SKIP_2) | instid1(VALU_DEP_4)
	v_mul_lo_u32 v11, v5, s40
	v_mul_lo_u32 v5, v5, s41
	v_sub_nc_u32_e32 v4, v4, v9
	v_mul_lo_u32 v12, v3, s25
	s_delay_alu instid0(VALU_DEP_2) | instskip(SKIP_1) | instid1(VALU_DEP_3)
	v_mul_lo_u32 v9, v4, s38
	v_mul_lo_u32 v4, v4, s39
	v_sub_nc_u32_e32 v6, v6, v12
	s_delay_alu instid0(VALU_DEP_3) | instskip(NEXT) | instid1(VALU_DEP_2)
	v_add3_u32 v8, v8, v16, v9
	v_mul_lo_u32 v12, v6, s42
	v_mul_lo_u32 v6, v6, s43
	v_add3_u32 v0, v10, v0, v4
	s_delay_alu instid0(VALU_DEP_3) | instskip(NEXT) | instid1(VALU_DEP_2)
	v_add3_u32 v16, v11, v8, v12
	v_add3_u32 v0, v5, v0, v6
	s_cbranch_scc1 .LBB495_101
; %bb.102:
	s_and_b32 s7, s7, 3
	s_delay_alu instid0(SALU_CYCLE_1)
	s_cmp_eq_u32 s7, 0
	s_cbranch_scc0 .LBB495_105
	s_branch .LBB495_107
.LBB495_103:
	s_mov_b32 s6, -1
                                        ; implicit-def: $vgpr16
                                        ; implicit-def: $vgpr0
	s_branch .LBB495_107
.LBB495_104:
	v_dual_mov_b32 v3, v7 :: v_dual_mov_b32 v0, 0
	s_and_b32 s7, s7, 3
	s_delay_alu instid0(SALU_CYCLE_1)
	s_cmp_eq_u32 s7, 0
	s_cbranch_scc1 .LBB495_107
.LBB495_105:
	s_lshl_b32 s2, s8, 3
	s_mul_i32 s4, s8, 12
	s_add_u32 s2, s2, s0
	s_addc_u32 s3, 0, s1
	s_add_u32 s2, s2, 0xc4
	s_addc_u32 s3, s3, 0
	;; [unrolled: 2-line block ×3, first 2 shown]
	.p2align	6
.LBB495_106:                            ; =>This Inner Loop Header: Depth=1
	s_clause 0x1
	s_load_b64 s[8:9], s[4:5], 0x4
	s_load_b32 s14, s[4:5], 0xc
	s_load_b64 s[10:11], s[2:3], 0x0
	s_add_u32 s4, s4, 12
	s_addc_u32 s5, s5, 0
	s_add_u32 s2, s2, 8
	s_addc_u32 s3, s3, 0
	s_add_i32 s7, s7, -1
	s_delay_alu instid0(SALU_CYCLE_1) | instskip(SKIP_2) | instid1(VALU_DEP_1)
	s_cmp_lg_u32 s7, 0
	s_waitcnt lgkmcnt(0)
	v_mul_hi_u32 v4, s9, v3
	v_add_nc_u32_e32 v4, v3, v4
	s_delay_alu instid0(VALU_DEP_1) | instskip(NEXT) | instid1(VALU_DEP_1)
	v_lshrrev_b32_e32 v8, s14, v4
	v_mul_lo_u32 v4, v8, s8
	s_delay_alu instid0(VALU_DEP_1) | instskip(NEXT) | instid1(VALU_DEP_1)
	v_sub_nc_u32_e32 v3, v3, v4
	v_mad_u64_u32 v[4:5], null, v3, s10, v[16:17]
	v_mad_u64_u32 v[5:6], null, v3, s11, v[0:1]
	v_mov_b32_e32 v3, v8
	s_delay_alu instid0(VALU_DEP_3) | instskip(NEXT) | instid1(VALU_DEP_3)
	v_mov_b32_e32 v16, v4
	v_mov_b32_e32 v0, v5
	s_cbranch_scc1 .LBB495_106
.LBB495_107:
	s_and_not1_b32 vcc_lo, exec_lo, s6
	s_cbranch_vccnz .LBB495_110
; %bb.108:
	s_clause 0x1
	s_load_b128 s[4:7], s[0:1], 0x4
	s_load_b64 s[2:3], s[0:1], 0xc4
	s_cmp_lt_u32 s28, 2
	s_waitcnt lgkmcnt(0)
	v_mul_hi_u32 v0, s5, v7
	s_delay_alu instid0(VALU_DEP_1) | instskip(NEXT) | instid1(VALU_DEP_1)
	v_add_nc_u32_e32 v0, v7, v0
	v_lshrrev_b32_e32 v3, s6, v0
	s_delay_alu instid0(VALU_DEP_1) | instskip(NEXT) | instid1(VALU_DEP_1)
	v_mul_lo_u32 v0, v3, s4
	v_sub_nc_u32_e32 v0, v7, v0
	s_delay_alu instid0(VALU_DEP_1)
	v_mul_lo_u32 v16, v0, s2
	v_mul_lo_u32 v0, v0, s3
	s_cbranch_scc1 .LBB495_110
; %bb.109:
	s_clause 0x1
	s_load_b128 s[4:7], s[0:1], 0x10
	s_load_b64 s[2:3], s[0:1], 0xcc
	s_waitcnt lgkmcnt(0)
	v_mul_hi_u32 v4, s5, v3
	s_delay_alu instid0(VALU_DEP_1) | instskip(NEXT) | instid1(VALU_DEP_1)
	v_add_nc_u32_e32 v4, v3, v4
	v_lshrrev_b32_e32 v4, s6, v4
	s_delay_alu instid0(VALU_DEP_1) | instskip(NEXT) | instid1(VALU_DEP_1)
	v_mul_lo_u32 v4, v4, s4
	v_sub_nc_u32_e32 v6, v3, v4
	s_delay_alu instid0(VALU_DEP_1) | instskip(SKIP_1) | instid1(VALU_DEP_2)
	v_mad_u64_u32 v[3:4], null, v6, s2, v[16:17]
	v_mad_u64_u32 v[4:5], null, v6, s3, v[0:1]
	v_mov_b32_e32 v16, v3
	s_delay_alu instid0(VALU_DEP_2)
	v_mov_b32_e32 v0, v4
.LBB495_110:
	v_cmp_ne_u32_e32 vcc_lo, 1, v2
	v_add_nc_u32_e32 v3, 0x80, v7
	s_cbranch_vccnz .LBB495_116
; %bb.111:
	v_dual_mov_b32 v17, 0 :: v_dual_mov_b32 v6, 0
	s_cmp_lg_u32 s28, 0
	s_mov_b32 s6, 0
	s_cbranch_scc0 .LBB495_120
; %bb.112:
	s_min_u32 s7, s29, 15
	v_mov_b32_e32 v17, 0
	s_add_i32 s7, s7, 1
	s_cmp_eq_u32 s29, 2
	s_mov_b32 s8, 0
	s_cbranch_scc1 .LBB495_117
; %bb.113:
	v_dual_mov_b32 v6, 0 :: v_dual_mov_b32 v17, 0
	v_mov_b32_e32 v4, v3
	s_add_u32 s2, s0, 0xc4
	s_addc_u32 s3, s1, 0
	s_and_b32 s8, s7, 28
	s_mov_b32 s9, 0
	s_mov_b64 s[4:5], s[0:1]
.LBB495_114:                            ; =>This Inner Loop Header: Depth=1
	s_clause 0x1
	s_load_b256 s[16:23], s[4:5], 0x4
	s_load_b128 s[24:27], s[4:5], 0x24
	s_load_b256 s[36:43], s[2:3], 0x0
	s_add_u32 s4, s4, 48
	s_addc_u32 s5, s5, 0
	s_add_i32 s9, s9, 4
	s_add_u32 s2, s2, 32
	s_addc_u32 s3, s3, 0
	s_cmp_lg_u32 s8, s9
	s_waitcnt lgkmcnt(0)
	v_mul_hi_u32 v5, s17, v4
	s_delay_alu instid0(VALU_DEP_1) | instskip(NEXT) | instid1(VALU_DEP_1)
	v_add_nc_u32_e32 v5, v4, v5
	v_lshrrev_b32_e32 v5, s18, v5
	s_delay_alu instid0(VALU_DEP_1) | instskip(SKIP_1) | instid1(VALU_DEP_2)
	v_mul_hi_u32 v8, s20, v5
	v_mul_lo_u32 v10, v5, s16
	v_add_nc_u32_e32 v8, v5, v8
	s_delay_alu instid0(VALU_DEP_2) | instskip(NEXT) | instid1(VALU_DEP_2)
	v_sub_nc_u32_e32 v4, v4, v10
	v_lshrrev_b32_e32 v8, s21, v8
	s_delay_alu instid0(VALU_DEP_2) | instskip(SKIP_1) | instid1(VALU_DEP_3)
	v_mul_lo_u32 v10, v4, s36
	v_mul_lo_u32 v12, v4, s37
	v_mul_hi_u32 v9, s23, v8
	s_delay_alu instid0(VALU_DEP_1) | instskip(NEXT) | instid1(VALU_DEP_1)
	v_add_nc_u32_e32 v9, v8, v9
	v_lshrrev_b32_e32 v9, s24, v9
	s_delay_alu instid0(VALU_DEP_1) | instskip(SKIP_1) | instid1(VALU_DEP_2)
	v_mul_hi_u32 v11, s26, v9
	v_mul_lo_u32 v13, v9, s22
	v_add_nc_u32_e32 v4, v9, v11
	v_mul_lo_u32 v11, v8, s19
	s_delay_alu instid0(VALU_DEP_3) | instskip(NEXT) | instid1(VALU_DEP_3)
	v_sub_nc_u32_e32 v8, v8, v13
	v_lshrrev_b32_e32 v4, s27, v4
	s_delay_alu instid0(VALU_DEP_2) | instskip(SKIP_2) | instid1(VALU_DEP_4)
	v_mul_lo_u32 v13, v8, s40
	v_mul_lo_u32 v8, v8, s41
	v_sub_nc_u32_e32 v5, v5, v11
	v_mul_lo_u32 v14, v4, s25
	s_delay_alu instid0(VALU_DEP_2) | instskip(SKIP_1) | instid1(VALU_DEP_3)
	v_mul_lo_u32 v11, v5, s38
	v_mul_lo_u32 v5, v5, s39
	v_sub_nc_u32_e32 v9, v9, v14
	s_delay_alu instid0(VALU_DEP_3) | instskip(NEXT) | instid1(VALU_DEP_2)
	v_add3_u32 v10, v10, v17, v11
	v_mul_lo_u32 v14, v9, s42
	v_mul_lo_u32 v9, v9, s43
	v_add3_u32 v5, v12, v6, v5
	s_delay_alu instid0(VALU_DEP_3) | instskip(NEXT) | instid1(VALU_DEP_2)
	v_add3_u32 v17, v13, v10, v14
	v_add3_u32 v6, v8, v5, v9
	s_cbranch_scc1 .LBB495_114
; %bb.115:
	s_and_b32 s7, s7, 3
	s_delay_alu instid0(SALU_CYCLE_1)
	s_cmp_eq_u32 s7, 0
	s_cbranch_scc0 .LBB495_118
	s_branch .LBB495_120
.LBB495_116:
	s_mov_b32 s6, -1
                                        ; implicit-def: $vgpr17
                                        ; implicit-def: $vgpr6
	s_branch .LBB495_120
.LBB495_117:
	v_mov_b32_e32 v4, v3
	v_mov_b32_e32 v6, 0
	s_and_b32 s7, s7, 3
	s_delay_alu instid0(SALU_CYCLE_1)
	s_cmp_eq_u32 s7, 0
	s_cbranch_scc1 .LBB495_120
.LBB495_118:
	s_lshl_b32 s2, s8, 3
	s_mul_i32 s4, s8, 12
	s_add_u32 s2, s2, s0
	s_addc_u32 s3, 0, s1
	s_add_u32 s2, s2, 0xc4
	s_addc_u32 s3, s3, 0
	;; [unrolled: 2-line block ×3, first 2 shown]
	.p2align	6
.LBB495_119:                            ; =>This Inner Loop Header: Depth=1
	s_clause 0x1
	s_load_b64 s[8:9], s[4:5], 0x4
	s_load_b32 s14, s[4:5], 0xc
	s_load_b64 s[10:11], s[2:3], 0x0
	s_add_u32 s4, s4, 12
	s_addc_u32 s5, s5, 0
	s_add_u32 s2, s2, 8
	s_addc_u32 s3, s3, 0
	s_add_i32 s7, s7, -1
	s_delay_alu instid0(SALU_CYCLE_1) | instskip(SKIP_2) | instid1(VALU_DEP_1)
	s_cmp_lg_u32 s7, 0
	s_waitcnt lgkmcnt(0)
	v_mul_hi_u32 v5, s9, v4
	v_add_nc_u32_e32 v5, v4, v5
	s_delay_alu instid0(VALU_DEP_1) | instskip(NEXT) | instid1(VALU_DEP_1)
	v_lshrrev_b32_e32 v5, s14, v5
	v_mul_lo_u32 v8, v5, s8
	s_delay_alu instid0(VALU_DEP_1) | instskip(NEXT) | instid1(VALU_DEP_1)
	v_sub_nc_u32_e32 v4, v4, v8
	v_mad_u64_u32 v[8:9], null, v4, s10, v[17:18]
	v_mad_u64_u32 v[9:10], null, v4, s11, v[6:7]
	s_delay_alu instid0(VALU_DEP_2) | instskip(NEXT) | instid1(VALU_DEP_2)
	v_dual_mov_b32 v4, v5 :: v_dual_mov_b32 v17, v8
	v_mov_b32_e32 v6, v9
	s_cbranch_scc1 .LBB495_119
.LBB495_120:
	s_and_not1_b32 vcc_lo, exec_lo, s6
	s_cbranch_vccnz .LBB495_123
; %bb.121:
	s_clause 0x1
	s_load_b128 s[4:7], s[0:1], 0x4
	s_load_b64 s[2:3], s[0:1], 0xc4
	s_cmp_lt_u32 s28, 2
	s_waitcnt lgkmcnt(0)
	v_mul_hi_u32 v4, s5, v3
	s_delay_alu instid0(VALU_DEP_1) | instskip(NEXT) | instid1(VALU_DEP_1)
	v_add_nc_u32_e32 v4, v3, v4
	v_lshrrev_b32_e32 v4, s6, v4
	s_delay_alu instid0(VALU_DEP_1) | instskip(NEXT) | instid1(VALU_DEP_1)
	v_mul_lo_u32 v5, v4, s4
	v_sub_nc_u32_e32 v3, v3, v5
	s_delay_alu instid0(VALU_DEP_1)
	v_mul_lo_u32 v17, v3, s2
	v_mul_lo_u32 v6, v3, s3
	s_cbranch_scc1 .LBB495_123
; %bb.122:
	s_clause 0x1
	s_load_b128 s[4:7], s[0:1], 0x10
	s_load_b64 s[2:3], s[0:1], 0xcc
	s_waitcnt lgkmcnt(0)
	v_mul_hi_u32 v3, s5, v4
	s_delay_alu instid0(VALU_DEP_1) | instskip(NEXT) | instid1(VALU_DEP_1)
	v_add_nc_u32_e32 v3, v4, v3
	v_lshrrev_b32_e32 v3, s6, v3
	s_delay_alu instid0(VALU_DEP_1) | instskip(NEXT) | instid1(VALU_DEP_1)
	v_mul_lo_u32 v3, v3, s4
	v_sub_nc_u32_e32 v8, v4, v3
	s_delay_alu instid0(VALU_DEP_1) | instskip(SKIP_1) | instid1(VALU_DEP_1)
	v_mad_u64_u32 v[3:4], null, v8, s2, v[17:18]
	v_mad_u64_u32 v[4:5], null, v8, s3, v[6:7]
	v_dual_mov_b32 v17, v3 :: v_dual_mov_b32 v6, v4
.LBB495_123:
	v_cmp_ne_u32_e32 vcc_lo, 1, v2
	v_add_nc_u32_e32 v3, 0x100, v7
	s_cbranch_vccnz .LBB495_129
; %bb.124:
	v_mov_b32_e32 v18, 0
	v_mov_b32_e32 v10, 0
	s_cmp_lg_u32 s28, 0
	s_mov_b32 s6, 0
	s_cbranch_scc0 .LBB495_133
; %bb.125:
	s_min_u32 s7, s29, 15
	v_mov_b32_e32 v18, 0
	s_add_i32 s7, s7, 1
	s_cmp_eq_u32 s29, 2
	s_mov_b32 s8, 0
	s_cbranch_scc1 .LBB495_130
; %bb.126:
	v_mov_b32_e32 v10, 0
	v_mov_b32_e32 v18, 0
	;; [unrolled: 1-line block ×3, first 2 shown]
	s_add_u32 s2, s0, 0xc4
	s_addc_u32 s3, s1, 0
	s_and_b32 s8, s7, 28
	s_mov_b32 s9, 0
	s_mov_b64 s[4:5], s[0:1]
.LBB495_127:                            ; =>This Inner Loop Header: Depth=1
	s_clause 0x1
	s_load_b256 s[16:23], s[4:5], 0x4
	s_load_b128 s[24:27], s[4:5], 0x24
	s_load_b256 s[36:43], s[2:3], 0x0
	s_add_u32 s4, s4, 48
	s_addc_u32 s5, s5, 0
	s_add_i32 s9, s9, 4
	s_add_u32 s2, s2, 32
	s_addc_u32 s3, s3, 0
	s_cmp_lg_u32 s8, s9
	s_waitcnt lgkmcnt(0)
	v_mul_hi_u32 v5, s17, v4
	s_delay_alu instid0(VALU_DEP_1) | instskip(NEXT) | instid1(VALU_DEP_1)
	v_add_nc_u32_e32 v5, v4, v5
	v_lshrrev_b32_e32 v5, s18, v5
	s_delay_alu instid0(VALU_DEP_1) | instskip(SKIP_1) | instid1(VALU_DEP_2)
	v_mul_hi_u32 v7, s20, v5
	v_mul_lo_u32 v9, v5, s16
	v_add_nc_u32_e32 v7, v5, v7
	s_delay_alu instid0(VALU_DEP_2) | instskip(NEXT) | instid1(VALU_DEP_2)
	v_sub_nc_u32_e32 v4, v4, v9
	v_lshrrev_b32_e32 v7, s21, v7
	s_delay_alu instid0(VALU_DEP_2) | instskip(SKIP_1) | instid1(VALU_DEP_3)
	v_mul_lo_u32 v9, v4, s36
	v_mul_lo_u32 v12, v4, s37
	v_mul_hi_u32 v8, s23, v7
	s_delay_alu instid0(VALU_DEP_1) | instskip(NEXT) | instid1(VALU_DEP_1)
	v_add_nc_u32_e32 v8, v7, v8
	v_lshrrev_b32_e32 v8, s24, v8
	s_delay_alu instid0(VALU_DEP_1) | instskip(SKIP_1) | instid1(VALU_DEP_2)
	v_mul_hi_u32 v11, s26, v8
	v_mul_lo_u32 v13, v8, s22
	v_add_nc_u32_e32 v4, v8, v11
	v_mul_lo_u32 v11, v7, s19
	s_delay_alu instid0(VALU_DEP_3) | instskip(NEXT) | instid1(VALU_DEP_3)
	v_sub_nc_u32_e32 v7, v7, v13
	v_lshrrev_b32_e32 v4, s27, v4
	s_delay_alu instid0(VALU_DEP_2) | instskip(SKIP_2) | instid1(VALU_DEP_4)
	v_mul_lo_u32 v13, v7, s40
	v_mul_lo_u32 v7, v7, s41
	v_sub_nc_u32_e32 v5, v5, v11
	v_mul_lo_u32 v14, v4, s25
	s_delay_alu instid0(VALU_DEP_2) | instskip(SKIP_1) | instid1(VALU_DEP_3)
	v_mul_lo_u32 v11, v5, s38
	v_mul_lo_u32 v5, v5, s39
	v_sub_nc_u32_e32 v8, v8, v14
	s_delay_alu instid0(VALU_DEP_3) | instskip(NEXT) | instid1(VALU_DEP_2)
	v_add3_u32 v9, v9, v18, v11
	v_mul_lo_u32 v14, v8, s42
	v_mul_lo_u32 v8, v8, s43
	v_add3_u32 v5, v12, v10, v5
	s_delay_alu instid0(VALU_DEP_3) | instskip(NEXT) | instid1(VALU_DEP_2)
	v_add3_u32 v18, v13, v9, v14
	v_add3_u32 v10, v7, v5, v8
	s_cbranch_scc1 .LBB495_127
; %bb.128:
	s_and_b32 s7, s7, 3
	s_delay_alu instid0(SALU_CYCLE_1)
	s_cmp_eq_u32 s7, 0
	s_cbranch_scc0 .LBB495_131
	s_branch .LBB495_133
.LBB495_129:
	s_mov_b32 s6, -1
                                        ; implicit-def: $vgpr18
                                        ; implicit-def: $vgpr10
	s_branch .LBB495_133
.LBB495_130:
	v_mov_b32_e32 v4, v3
	v_mov_b32_e32 v10, 0
	s_and_b32 s7, s7, 3
	s_delay_alu instid0(SALU_CYCLE_1)
	s_cmp_eq_u32 s7, 0
	s_cbranch_scc1 .LBB495_133
.LBB495_131:
	s_lshl_b32 s2, s8, 3
	s_mul_i32 s4, s8, 12
	s_add_u32 s2, s2, s0
	s_addc_u32 s3, 0, s1
	s_add_u32 s2, s2, 0xc4
	s_addc_u32 s3, s3, 0
	;; [unrolled: 2-line block ×3, first 2 shown]
	.p2align	6
.LBB495_132:                            ; =>This Inner Loop Header: Depth=1
	s_clause 0x1
	s_load_b64 s[8:9], s[4:5], 0x4
	s_load_b32 s14, s[4:5], 0xc
	s_load_b64 s[10:11], s[2:3], 0x0
	s_add_u32 s4, s4, 12
	s_addc_u32 s5, s5, 0
	s_add_u32 s2, s2, 8
	s_addc_u32 s3, s3, 0
	s_add_i32 s7, s7, -1
	s_delay_alu instid0(SALU_CYCLE_1) | instskip(SKIP_2) | instid1(VALU_DEP_1)
	s_cmp_lg_u32 s7, 0
	s_waitcnt lgkmcnt(0)
	v_mul_hi_u32 v5, s9, v4
	v_add_nc_u32_e32 v5, v4, v5
	s_delay_alu instid0(VALU_DEP_1) | instskip(NEXT) | instid1(VALU_DEP_1)
	v_lshrrev_b32_e32 v5, s14, v5
	v_mul_lo_u32 v7, v5, s8
	s_delay_alu instid0(VALU_DEP_1) | instskip(NEXT) | instid1(VALU_DEP_1)
	v_sub_nc_u32_e32 v4, v4, v7
	v_mad_u64_u32 v[7:8], null, v4, s10, v[18:19]
	v_mad_u64_u32 v[8:9], null, v4, s11, v[10:11]
	v_mov_b32_e32 v4, v5
	s_delay_alu instid0(VALU_DEP_3) | instskip(NEXT) | instid1(VALU_DEP_3)
	v_mov_b32_e32 v18, v7
	v_mov_b32_e32 v10, v8
	s_cbranch_scc1 .LBB495_132
.LBB495_133:
	s_and_not1_b32 vcc_lo, exec_lo, s6
	s_cbranch_vccnz .LBB495_136
; %bb.134:
	s_clause 0x1
	s_load_b128 s[4:7], s[0:1], 0x4
	s_load_b64 s[2:3], s[0:1], 0xc4
	s_cmp_lt_u32 s28, 2
	s_waitcnt lgkmcnt(0)
	v_mul_hi_u32 v4, s5, v3
	s_delay_alu instid0(VALU_DEP_1) | instskip(NEXT) | instid1(VALU_DEP_1)
	v_add_nc_u32_e32 v4, v3, v4
	v_lshrrev_b32_e32 v4, s6, v4
	s_delay_alu instid0(VALU_DEP_1) | instskip(NEXT) | instid1(VALU_DEP_1)
	v_mul_lo_u32 v5, v4, s4
	v_sub_nc_u32_e32 v3, v3, v5
	s_delay_alu instid0(VALU_DEP_1)
	v_mul_lo_u32 v18, v3, s2
	v_mul_lo_u32 v10, v3, s3
	s_cbranch_scc1 .LBB495_136
; %bb.135:
	s_clause 0x1
	s_load_b128 s[4:7], s[0:1], 0x10
	s_load_b64 s[2:3], s[0:1], 0xcc
	s_waitcnt lgkmcnt(0)
	v_mul_hi_u32 v3, s5, v4
	s_delay_alu instid0(VALU_DEP_1) | instskip(NEXT) | instid1(VALU_DEP_1)
	v_add_nc_u32_e32 v3, v4, v3
	v_lshrrev_b32_e32 v3, s6, v3
	s_delay_alu instid0(VALU_DEP_1) | instskip(NEXT) | instid1(VALU_DEP_1)
	v_mul_lo_u32 v3, v3, s4
	v_sub_nc_u32_e32 v7, v4, v3
	s_delay_alu instid0(VALU_DEP_1) | instskip(SKIP_1) | instid1(VALU_DEP_2)
	v_mad_u64_u32 v[3:4], null, v7, s2, v[18:19]
	v_mad_u64_u32 v[4:5], null, v7, s3, v[10:11]
	v_mov_b32_e32 v18, v3
	s_delay_alu instid0(VALU_DEP_2)
	v_mov_b32_e32 v10, v4
.LBB495_136:
	v_cmp_ne_u32_e32 vcc_lo, 1, v2
	s_cbranch_vccnz .LBB495_142
; %bb.137:
	v_dual_mov_b32 v19, 0 :: v_dual_mov_b32 v14, 0
	s_cmp_lg_u32 s28, 0
	s_mov_b32 s6, 0
	s_cbranch_scc0 .LBB495_146
; %bb.138:
	s_min_u32 s7, s29, 15
	v_mov_b32_e32 v19, 0
	s_add_i32 s7, s7, 1
	s_cmp_eq_u32 s29, 2
	s_mov_b32 s8, 0
	s_cbranch_scc1 .LBB495_143
; %bb.139:
	v_dual_mov_b32 v14, 0 :: v_dual_mov_b32 v19, 0
	v_mov_b32_e32 v2, v1
	s_add_u32 s2, s0, 0xc4
	s_addc_u32 s3, s1, 0
	s_and_b32 s8, s7, 28
	s_mov_b32 s9, 0
	s_mov_b64 s[4:5], s[0:1]
.LBB495_140:                            ; =>This Inner Loop Header: Depth=1
	s_clause 0x1
	s_load_b256 s[16:23], s[4:5], 0x4
	s_load_b128 s[24:27], s[4:5], 0x24
	s_load_b256 s[36:43], s[2:3], 0x0
	s_add_u32 s4, s4, 48
	s_addc_u32 s5, s5, 0
	s_add_i32 s9, s9, 4
	s_add_u32 s2, s2, 32
	s_addc_u32 s3, s3, 0
	s_cmp_lg_u32 s8, s9
	s_waitcnt lgkmcnt(0)
	v_mul_hi_u32 v3, s17, v2
	s_delay_alu instid0(VALU_DEP_1) | instskip(NEXT) | instid1(VALU_DEP_1)
	v_add_nc_u32_e32 v3, v2, v3
	v_lshrrev_b32_e32 v3, s18, v3
	s_delay_alu instid0(VALU_DEP_1) | instskip(SKIP_1) | instid1(VALU_DEP_2)
	v_mul_hi_u32 v4, s20, v3
	v_mul_lo_u32 v7, v3, s16
	v_add_nc_u32_e32 v4, v3, v4
	s_delay_alu instid0(VALU_DEP_2) | instskip(NEXT) | instid1(VALU_DEP_2)
	v_sub_nc_u32_e32 v2, v2, v7
	v_lshrrev_b32_e32 v4, s21, v4
	s_delay_alu instid0(VALU_DEP_2) | instskip(SKIP_1) | instid1(VALU_DEP_3)
	v_mul_lo_u32 v7, v2, s36
	v_mul_lo_u32 v9, v2, s37
	v_mul_hi_u32 v5, s23, v4
	s_delay_alu instid0(VALU_DEP_1) | instskip(NEXT) | instid1(VALU_DEP_1)
	v_add_nc_u32_e32 v5, v4, v5
	v_lshrrev_b32_e32 v5, s24, v5
	s_delay_alu instid0(VALU_DEP_1) | instskip(SKIP_1) | instid1(VALU_DEP_2)
	v_mul_hi_u32 v8, s26, v5
	v_mul_lo_u32 v11, v5, s22
	v_add_nc_u32_e32 v2, v5, v8
	v_mul_lo_u32 v8, v4, s19
	s_delay_alu instid0(VALU_DEP_3) | instskip(NEXT) | instid1(VALU_DEP_3)
	v_sub_nc_u32_e32 v4, v4, v11
	v_lshrrev_b32_e32 v2, s27, v2
	s_delay_alu instid0(VALU_DEP_2) | instskip(SKIP_2) | instid1(VALU_DEP_4)
	v_mul_lo_u32 v11, v4, s40
	v_mul_lo_u32 v4, v4, s41
	v_sub_nc_u32_e32 v3, v3, v8
	v_mul_lo_u32 v12, v2, s25
	s_delay_alu instid0(VALU_DEP_2) | instskip(SKIP_1) | instid1(VALU_DEP_3)
	v_mul_lo_u32 v8, v3, s38
	v_mul_lo_u32 v3, v3, s39
	v_sub_nc_u32_e32 v5, v5, v12
	s_delay_alu instid0(VALU_DEP_3) | instskip(NEXT) | instid1(VALU_DEP_2)
	v_add3_u32 v7, v7, v19, v8
	v_mul_lo_u32 v12, v5, s42
	v_mul_lo_u32 v5, v5, s43
	v_add3_u32 v3, v9, v14, v3
	s_delay_alu instid0(VALU_DEP_3) | instskip(NEXT) | instid1(VALU_DEP_2)
	v_add3_u32 v19, v11, v7, v12
	v_add3_u32 v14, v4, v3, v5
	s_cbranch_scc1 .LBB495_140
; %bb.141:
	s_and_b32 s7, s7, 3
	s_delay_alu instid0(SALU_CYCLE_1)
	s_cmp_eq_u32 s7, 0
	s_cbranch_scc0 .LBB495_144
	s_branch .LBB495_146
.LBB495_142:
	s_mov_b32 s6, -1
                                        ; implicit-def: $vgpr19
                                        ; implicit-def: $vgpr14
	s_branch .LBB495_146
.LBB495_143:
	v_mov_b32_e32 v2, v1
	v_mov_b32_e32 v14, 0
	s_and_b32 s7, s7, 3
	s_delay_alu instid0(SALU_CYCLE_1)
	s_cmp_eq_u32 s7, 0
	s_cbranch_scc1 .LBB495_146
.LBB495_144:
	s_lshl_b32 s2, s8, 3
	s_mul_i32 s4, s8, 12
	s_add_u32 s2, s2, s0
	s_addc_u32 s3, 0, s1
	s_add_u32 s2, s2, 0xc4
	s_addc_u32 s3, s3, 0
	;; [unrolled: 2-line block ×3, first 2 shown]
	.p2align	6
.LBB495_145:                            ; =>This Inner Loop Header: Depth=1
	s_clause 0x1
	s_load_b64 s[8:9], s[4:5], 0x4
	s_load_b32 s14, s[4:5], 0xc
	s_load_b64 s[10:11], s[2:3], 0x0
	s_add_u32 s4, s4, 12
	s_addc_u32 s5, s5, 0
	s_add_u32 s2, s2, 8
	s_addc_u32 s3, s3, 0
	s_add_i32 s7, s7, -1
	s_delay_alu instid0(SALU_CYCLE_1) | instskip(SKIP_2) | instid1(VALU_DEP_1)
	s_cmp_lg_u32 s7, 0
	s_waitcnt lgkmcnt(0)
	v_mul_hi_u32 v3, s9, v2
	v_add_nc_u32_e32 v3, v2, v3
	s_delay_alu instid0(VALU_DEP_1) | instskip(NEXT) | instid1(VALU_DEP_1)
	v_lshrrev_b32_e32 v7, s14, v3
	v_mul_lo_u32 v3, v7, s8
	s_delay_alu instid0(VALU_DEP_1) | instskip(NEXT) | instid1(VALU_DEP_1)
	v_sub_nc_u32_e32 v2, v2, v3
	v_mad_u64_u32 v[3:4], null, v2, s10, v[19:20]
	v_mad_u64_u32 v[4:5], null, v2, s11, v[14:15]
	v_mov_b32_e32 v2, v7
	s_delay_alu instid0(VALU_DEP_2)
	v_dual_mov_b32 v19, v3 :: v_dual_mov_b32 v14, v4
	s_cbranch_scc1 .LBB495_145
.LBB495_146:
	s_and_not1_b32 vcc_lo, exec_lo, s6
	s_cbranch_vccnz .LBB495_149
; %bb.147:
	s_clause 0x1
	s_load_b128 s[4:7], s[0:1], 0x4
	s_load_b64 s[2:3], s[0:1], 0xc4
	s_cmp_lt_u32 s28, 2
	s_waitcnt lgkmcnt(0)
	v_mul_hi_u32 v2, s5, v1
	s_delay_alu instid0(VALU_DEP_1) | instskip(NEXT) | instid1(VALU_DEP_1)
	v_add_nc_u32_e32 v2, v1, v2
	v_lshrrev_b32_e32 v2, s6, v2
	s_delay_alu instid0(VALU_DEP_1) | instskip(NEXT) | instid1(VALU_DEP_1)
	v_mul_lo_u32 v3, v2, s4
	v_sub_nc_u32_e32 v1, v1, v3
	s_delay_alu instid0(VALU_DEP_1)
	v_mul_lo_u32 v19, v1, s2
	v_mul_lo_u32 v14, v1, s3
	s_cbranch_scc1 .LBB495_149
; %bb.148:
	s_clause 0x1
	s_load_b128 s[4:7], s[0:1], 0x10
	s_load_b64 s[2:3], s[0:1], 0xcc
	s_waitcnt lgkmcnt(0)
	v_mul_hi_u32 v1, s5, v2
	s_delay_alu instid0(VALU_DEP_1) | instskip(NEXT) | instid1(VALU_DEP_1)
	v_add_nc_u32_e32 v1, v2, v1
	v_lshrrev_b32_e32 v1, s6, v1
	s_delay_alu instid0(VALU_DEP_1) | instskip(NEXT) | instid1(VALU_DEP_1)
	v_mul_lo_u32 v1, v1, s4
	v_sub_nc_u32_e32 v4, v2, v1
	s_delay_alu instid0(VALU_DEP_1) | instskip(SKIP_1) | instid1(VALU_DEP_1)
	v_mad_u64_u32 v[1:2], null, v4, s2, v[19:20]
	v_mad_u64_u32 v[2:3], null, v4, s3, v[14:15]
	v_dual_mov_b32 v19, v1 :: v_dual_mov_b32 v14, v2
.LBB495_149:
	s_clause 0x1
	s_load_b256 s[4:11], s[0:1], 0x148
	s_load_b64 s[0:1], s[0:1], 0x168
	s_mov_b32 s2, exec_lo
	s_waitcnt lgkmcnt(0)
	global_load_b128 v[2:5], v0, s[6:7]
	v_dual_mov_b32 v0, s8 :: v_dual_mov_b32 v1, s9
	s_waitcnt vmcnt(0)
	v_cmpx_o_f64_e32 v[2:3], v[2:3]
	s_cbranch_execz .LBB495_153
; %bb.150:
	v_dual_mov_b32 v0, s10 :: v_dual_mov_b32 v1, s11
	s_mov_b32 s3, exec_lo
	v_cmpx_neq_f64_e32 0x7ff00000, v[2:3]
; %bb.151:
	v_cmp_eq_f64_e32 vcc_lo, 0xfff00000, v[2:3]
	v_cndmask_b32_e64 v1, v3, s1, vcc_lo
	v_cndmask_b32_e64 v0, v2, s0, vcc_lo
; %bb.152:
	s_or_b32 exec_lo, exec_lo, s3
.LBB495_153:
	s_delay_alu instid0(SALU_CYCLE_1)
	s_or_b32 exec_lo, exec_lo, s2
	v_dual_mov_b32 v2, s8 :: v_dual_mov_b32 v3, s9
	s_mov_b32 s2, exec_lo
	v_cmpx_o_f64_e32 v[4:5], v[4:5]
	s_cbranch_execz .LBB495_157
; %bb.154:
	v_dual_mov_b32 v2, s10 :: v_dual_mov_b32 v3, s11
	s_mov_b32 s3, exec_lo
	v_cmpx_neq_f64_e32 0x7ff00000, v[4:5]
; %bb.155:
	v_cmp_eq_f64_e32 vcc_lo, 0xfff00000, v[4:5]
	v_cndmask_b32_e64 v3, v5, s1, vcc_lo
	v_cndmask_b32_e64 v2, v4, s0, vcc_lo
; %bb.156:
	s_or_b32 exec_lo, exec_lo, s3
.LBB495_157:
	s_delay_alu instid0(SALU_CYCLE_1)
	s_or_b32 exec_lo, exec_lo, s2
	global_load_b128 v[6:9], v6, s[6:7]
	v_dual_mov_b32 v4, s8 :: v_dual_mov_b32 v5, s9
	s_mov_b32 s2, exec_lo
	s_waitcnt vmcnt(0)
	v_cmpx_o_f64_e32 v[6:7], v[6:7]
	s_cbranch_execz .LBB495_161
; %bb.158:
	v_dual_mov_b32 v4, s10 :: v_dual_mov_b32 v5, s11
	s_mov_b32 s3, exec_lo
	v_cmpx_neq_f64_e32 0x7ff00000, v[6:7]
; %bb.159:
	v_cmp_eq_f64_e32 vcc_lo, 0xfff00000, v[6:7]
	v_cndmask_b32_e64 v5, v7, s1, vcc_lo
	v_cndmask_b32_e64 v4, v6, s0, vcc_lo
; %bb.160:
	s_or_b32 exec_lo, exec_lo, s3
.LBB495_161:
	s_delay_alu instid0(SALU_CYCLE_1)
	s_or_b32 exec_lo, exec_lo, s2
	v_dual_mov_b32 v6, s8 :: v_dual_mov_b32 v7, s9
	s_mov_b32 s2, exec_lo
	v_cmpx_o_f64_e32 v[8:9], v[8:9]
	s_cbranch_execz .LBB495_165
; %bb.162:
	v_dual_mov_b32 v6, s10 :: v_dual_mov_b32 v7, s11
	s_mov_b32 s3, exec_lo
	v_cmpx_neq_f64_e32 0x7ff00000, v[8:9]
; %bb.163:
	v_cmp_eq_f64_e32 vcc_lo, 0xfff00000, v[8:9]
	v_cndmask_b32_e64 v7, v9, s1, vcc_lo
	v_cndmask_b32_e64 v6, v8, s0, vcc_lo
; %bb.164:
	s_or_b32 exec_lo, exec_lo, s3
.LBB495_165:
	s_delay_alu instid0(SALU_CYCLE_1)
	s_or_b32 exec_lo, exec_lo, s2
	global_load_b128 v[10:13], v10, s[6:7]
	v_dual_mov_b32 v8, s8 :: v_dual_mov_b32 v9, s9
	s_mov_b32 s2, exec_lo
	;; [unrolled: 36-line block ×3, first 2 shown]
	s_waitcnt vmcnt(0)
	v_cmpx_o_f64_e32 v[12:13], v[12:13]
	s_cbranch_execz .LBB495_177
; %bb.174:
	v_dual_mov_b32 v21, s11 :: v_dual_mov_b32 v20, s10
	s_mov_b32 s3, exec_lo
	v_cmpx_neq_f64_e32 0x7ff00000, v[12:13]
; %bb.175:
	v_cmp_eq_f64_e32 vcc_lo, 0xfff00000, v[12:13]
	v_cndmask_b32_e64 v21, v13, s1, vcc_lo
	v_cndmask_b32_e64 v20, v12, s0, vcc_lo
; %bb.176:
	s_or_b32 exec_lo, exec_lo, s3
.LBB495_177:
	s_delay_alu instid0(SALU_CYCLE_1)
	s_or_b32 exec_lo, exec_lo, s2
	v_dual_mov_b32 v13, s9 :: v_dual_mov_b32 v12, s8
	s_mov_b32 s2, exec_lo
	v_cmpx_o_f64_e32 v[14:15], v[14:15]
	s_cbranch_execz .LBB495_181
; %bb.178:
	v_dual_mov_b32 v13, s11 :: v_dual_mov_b32 v12, s10
	s_mov_b32 s3, exec_lo
	v_cmpx_neq_f64_e32 0x7ff00000, v[14:15]
; %bb.179:
	v_cmp_eq_f64_e32 vcc_lo, 0xfff00000, v[14:15]
	v_cndmask_b32_e64 v13, v15, s1, vcc_lo
	v_cndmask_b32_e64 v12, v14, s0, vcc_lo
; %bb.180:
	s_or_b32 exec_lo, exec_lo, s3
.LBB495_181:
	s_delay_alu instid0(SALU_CYCLE_1) | instskip(SKIP_1) | instid1(VALU_DEP_1)
	s_or_b32 exec_lo, exec_lo, s2
	v_add_co_u32 v14, s0, s4, v19
	v_add_co_ci_u32_e64 v15, null, s5, 0, s0
	s_or_b32 s12, s12, exec_lo
	s_clause 0x3
	global_store_b128 v16, v[0:3], s[4:5]
	global_store_b128 v17, v[4:7], s[4:5]
	;; [unrolled: 1-line block ×3, first 2 shown]
	global_store_b64 v19, v[20:21], s[4:5]
	s_or_b32 exec_lo, exec_lo, s13
	s_and_saveexec_b32 s0, s12
	s_cbranch_execz .LBB495_3
.LBB495_182:
	global_store_b64 v[14:15], v[12:13], off offset:8
	s_nop 0
	s_sendmsg sendmsg(MSG_DEALLOC_VGPRS)
	s_endpgm
	.section	.rodata,"a",@progbits
	.p2align	6, 0x0
	.amdhsa_kernel _ZN2at6native32elementwise_kernel_manual_unrollILi128ELi4EZNS0_22gpu_kernel_impl_nocastIZZZNS0_22nan_to_num_kernel_cudaERNS_18TensorIteratorBaseESt8optionalIdES6_S6_ENKUlvE_clEvENKUlvE_clEvEUlN3c107complexIdEEE_EEvS4_RKT_EUlibE_EEviT1_
		.amdhsa_group_segment_fixed_size 0
		.amdhsa_private_segment_fixed_size 0
		.amdhsa_kernarg_size 376
		.amdhsa_user_sgpr_count 15
		.amdhsa_user_sgpr_dispatch_ptr 0
		.amdhsa_user_sgpr_queue_ptr 0
		.amdhsa_user_sgpr_kernarg_segment_ptr 1
		.amdhsa_user_sgpr_dispatch_id 0
		.amdhsa_user_sgpr_private_segment_size 0
		.amdhsa_wavefront_size32 1
		.amdhsa_uses_dynamic_stack 0
		.amdhsa_enable_private_segment 0
		.amdhsa_system_sgpr_workgroup_id_x 1
		.amdhsa_system_sgpr_workgroup_id_y 0
		.amdhsa_system_sgpr_workgroup_id_z 0
		.amdhsa_system_sgpr_workgroup_info 0
		.amdhsa_system_vgpr_workitem_id 0
		.amdhsa_next_free_vgpr 22
		.amdhsa_next_free_sgpr 64
		.amdhsa_reserve_vcc 1
		.amdhsa_float_round_mode_32 0
		.amdhsa_float_round_mode_16_64 0
		.amdhsa_float_denorm_mode_32 3
		.amdhsa_float_denorm_mode_16_64 3
		.amdhsa_dx10_clamp 1
		.amdhsa_ieee_mode 1
		.amdhsa_fp16_overflow 0
		.amdhsa_workgroup_processor_mode 1
		.amdhsa_memory_ordered 1
		.amdhsa_forward_progress 0
		.amdhsa_shared_vgpr_count 0
		.amdhsa_exception_fp_ieee_invalid_op 0
		.amdhsa_exception_fp_denorm_src 0
		.amdhsa_exception_fp_ieee_div_zero 0
		.amdhsa_exception_fp_ieee_overflow 0
		.amdhsa_exception_fp_ieee_underflow 0
		.amdhsa_exception_fp_ieee_inexact 0
		.amdhsa_exception_int_div_zero 0
	.end_amdhsa_kernel
	.section	.text._ZN2at6native32elementwise_kernel_manual_unrollILi128ELi4EZNS0_22gpu_kernel_impl_nocastIZZZNS0_22nan_to_num_kernel_cudaERNS_18TensorIteratorBaseESt8optionalIdES6_S6_ENKUlvE_clEvENKUlvE_clEvEUlN3c107complexIdEEE_EEvS4_RKT_EUlibE_EEviT1_,"axG",@progbits,_ZN2at6native32elementwise_kernel_manual_unrollILi128ELi4EZNS0_22gpu_kernel_impl_nocastIZZZNS0_22nan_to_num_kernel_cudaERNS_18TensorIteratorBaseESt8optionalIdES6_S6_ENKUlvE_clEvENKUlvE_clEvEUlN3c107complexIdEEE_EEvS4_RKT_EUlibE_EEviT1_,comdat
.Lfunc_end495:
	.size	_ZN2at6native32elementwise_kernel_manual_unrollILi128ELi4EZNS0_22gpu_kernel_impl_nocastIZZZNS0_22nan_to_num_kernel_cudaERNS_18TensorIteratorBaseESt8optionalIdES6_S6_ENKUlvE_clEvENKUlvE_clEvEUlN3c107complexIdEEE_EEvS4_RKT_EUlibE_EEviT1_, .Lfunc_end495-_ZN2at6native32elementwise_kernel_manual_unrollILi128ELi4EZNS0_22gpu_kernel_impl_nocastIZZZNS0_22nan_to_num_kernel_cudaERNS_18TensorIteratorBaseESt8optionalIdES6_S6_ENKUlvE_clEvENKUlvE_clEvEUlN3c107complexIdEEE_EEvS4_RKT_EUlibE_EEviT1_
                                        ; -- End function
	.section	.AMDGPU.csdata,"",@progbits
; Kernel info:
; codeLenInByte = 8048
; NumSgprs: 66
; NumVgprs: 22
; ScratchSize: 0
; MemoryBound: 0
; FloatMode: 240
; IeeeMode: 1
; LDSByteSize: 0 bytes/workgroup (compile time only)
; SGPRBlocks: 8
; VGPRBlocks: 2
; NumSGPRsForWavesPerEU: 66
; NumVGPRsForWavesPerEU: 22
; Occupancy: 16
; WaveLimiterHint : 1
; COMPUTE_PGM_RSRC2:SCRATCH_EN: 0
; COMPUTE_PGM_RSRC2:USER_SGPR: 15
; COMPUTE_PGM_RSRC2:TRAP_HANDLER: 0
; COMPUTE_PGM_RSRC2:TGID_X_EN: 1
; COMPUTE_PGM_RSRC2:TGID_Y_EN: 0
; COMPUTE_PGM_RSRC2:TGID_Z_EN: 0
; COMPUTE_PGM_RSRC2:TIDIG_COMP_CNT: 0
	.section	.text._ZN2at6native32elementwise_kernel_manual_unrollILi128ELi4EZNS0_15gpu_kernel_implIZZZNS0_22nan_to_num_kernel_cudaERNS_18TensorIteratorBaseESt8optionalIdES6_S6_ENKUlvE_clEvENKUlvE_clEvEUlN3c107complexIdEEE_EEvS4_RKT_EUlibE_EEviT1_,"axG",@progbits,_ZN2at6native32elementwise_kernel_manual_unrollILi128ELi4EZNS0_15gpu_kernel_implIZZZNS0_22nan_to_num_kernel_cudaERNS_18TensorIteratorBaseESt8optionalIdES6_S6_ENKUlvE_clEvENKUlvE_clEvEUlN3c107complexIdEEE_EEvS4_RKT_EUlibE_EEviT1_,comdat
	.globl	_ZN2at6native32elementwise_kernel_manual_unrollILi128ELi4EZNS0_15gpu_kernel_implIZZZNS0_22nan_to_num_kernel_cudaERNS_18TensorIteratorBaseESt8optionalIdES6_S6_ENKUlvE_clEvENKUlvE_clEvEUlN3c107complexIdEEE_EEvS4_RKT_EUlibE_EEviT1_ ; -- Begin function _ZN2at6native32elementwise_kernel_manual_unrollILi128ELi4EZNS0_15gpu_kernel_implIZZZNS0_22nan_to_num_kernel_cudaERNS_18TensorIteratorBaseESt8optionalIdES6_S6_ENKUlvE_clEvENKUlvE_clEvEUlN3c107complexIdEEE_EEvS4_RKT_EUlibE_EEviT1_
	.p2align	8
	.type	_ZN2at6native32elementwise_kernel_manual_unrollILi128ELi4EZNS0_15gpu_kernel_implIZZZNS0_22nan_to_num_kernel_cudaERNS_18TensorIteratorBaseESt8optionalIdES6_S6_ENKUlvE_clEvENKUlvE_clEvEUlN3c107complexIdEEE_EEvS4_RKT_EUlibE_EEviT1_,@function
_ZN2at6native32elementwise_kernel_manual_unrollILi128ELi4EZNS0_15gpu_kernel_implIZZZNS0_22nan_to_num_kernel_cudaERNS_18TensorIteratorBaseESt8optionalIdES6_S6_ENKUlvE_clEvENKUlvE_clEvEUlN3c107complexIdEEE_EEvS4_RKT_EUlibE_EEviT1_: ; @_ZN2at6native32elementwise_kernel_manual_unrollILi128ELi4EZNS0_15gpu_kernel_implIZZZNS0_22nan_to_num_kernel_cudaERNS_18TensorIteratorBaseESt8optionalIdES6_S6_ENKUlvE_clEvENKUlvE_clEvEUlN3c107complexIdEEE_EEvS4_RKT_EUlibE_EEviT1_
; %bb.0:
	s_clause 0x5
	s_load_b32 s16, s[0:1], 0x38
	s_load_b32 s20, s[0:1], 0x0
	s_load_b64 s[12:13], s[0:1], 0x30
	s_load_b128 s[4:7], s[0:1], 0x8
	s_load_b64 s[2:3], s[0:1], 0x18
	s_load_b128 s[8:11], s[0:1], 0x20
	v_lshl_or_b32 v18, s15, 9, v0
	s_mov_b32 s17, 0
	s_mov_b32 s19, 0
	s_mov_b32 s0, exec_lo
	s_delay_alu instid0(VALU_DEP_1) | instskip(SKIP_2) | instid1(VALU_DEP_2)
	v_or_b32_e32 v0, 0x180, v18
	s_waitcnt lgkmcnt(0)
	v_lshrrev_b16 v19, 8, s16
	v_cmpx_le_i32_e64 s20, v0
	s_xor_b32 s18, exec_lo, s0
	s_cbranch_execz .LBB496_1085
; %bb.1:
	s_mov_b32 s1, -1
	s_mov_b32 s23, 0
	s_mov_b32 s21, 0
	s_mov_b32 s22, exec_lo
	v_cmpx_gt_i32_e64 s20, v18
	s_cbranch_execz .LBB496_265
; %bb.2:
	v_mul_lo_u32 v0, v18, s3
	v_cmp_gt_i16_e32 vcc_lo, 11, v19
	s_delay_alu instid0(VALU_DEP_2) | instskip(SKIP_1) | instid1(VALU_DEP_1)
	v_ashrrev_i32_e32 v1, 31, v0
	v_add_co_u32 v0, s0, s6, v0
	v_add_co_ci_u32_e64 v1, s0, s7, v1, s0
	s_cbranch_vccnz .LBB496_9
; %bb.3:
	v_cmp_lt_i16_e32 vcc_lo, 25, v19
	s_cbranch_vccz .LBB496_26
; %bb.4:
	v_cmp_lt_i16_e32 vcc_lo, 28, v19
	s_cbranch_vccz .LBB496_29
	;; [unrolled: 3-line block ×4, first 2 shown]
; %bb.7:
	v_cmp_eq_u16_e32 vcc_lo, 46, v19
	s_mov_b32 s0, 0
	s_cbranch_vccz .LBB496_35
; %bb.8:
	global_load_b32 v2, v[0:1], off
	s_mov_b32 s14, -1
	s_waitcnt vmcnt(0)
	v_lshlrev_b32_e32 v3, 16, v2
	v_and_b32_e32 v4, 0xffff0000, v2
	s_delay_alu instid0(VALU_DEP_2) | instskip(NEXT) | instid1(VALU_DEP_2)
	v_cvt_f64_f32_e32 v[2:3], v3
	v_cvt_f64_f32_e32 v[4:5], v4
	s_branch .LBB496_37
.LBB496_9:
	s_mov_b32 s14, 0
                                        ; implicit-def: $vgpr4_vgpr5
	s_cbranch_execnz .LBB496_213
.LBB496_10:
	s_and_not1_b32 vcc_lo, exec_lo, s14
	s_cbranch_vccnz .LBB496_262
.LBB496_11:
	v_dual_mov_b32 v0, s8 :: v_dual_mov_b32 v1, s9
	s_mov_b32 s0, exec_lo
	s_waitcnt vmcnt(0)
	s_delay_alu instid0(VALU_DEP_2)
	v_cmpx_o_f64_e32 v[2:3], v[2:3]
	s_cbranch_execz .LBB496_15
; %bb.12:
	v_dual_mov_b32 v0, s10 :: v_dual_mov_b32 v1, s11
	s_mov_b32 s1, exec_lo
	v_cmpx_neq_f64_e32 0x7ff00000, v[2:3]
; %bb.13:
	v_cmp_eq_f64_e32 vcc_lo, 0xfff00000, v[2:3]
	v_cndmask_b32_e64 v1, v3, s13, vcc_lo
	v_cndmask_b32_e64 v0, v2, s12, vcc_lo
; %bb.14:
	s_or_b32 exec_lo, exec_lo, s1
.LBB496_15:
	s_delay_alu instid0(SALU_CYCLE_1) | instskip(SKIP_2) | instid1(VALU_DEP_4)
	s_or_b32 exec_lo, exec_lo, s0
	v_dual_mov_b32 v2, s8 :: v_dual_mov_b32 v3, s9
	s_mov_b32 s0, exec_lo
	v_cmpx_o_f64_e32 v[4:5], v[4:5]
	s_cbranch_execz .LBB496_19
; %bb.16:
	v_dual_mov_b32 v2, s10 :: v_dual_mov_b32 v3, s11
	s_mov_b32 s1, exec_lo
	v_cmpx_neq_f64_e32 0x7ff00000, v[4:5]
; %bb.17:
	v_cmp_eq_f64_e32 vcc_lo, 0xfff00000, v[4:5]
	v_cndmask_b32_e64 v3, v5, s13, vcc_lo
	v_cndmask_b32_e64 v2, v4, s12, vcc_lo
; %bb.18:
	s_or_b32 exec_lo, exec_lo, s1
.LBB496_19:
	s_delay_alu instid0(SALU_CYCLE_1) | instskip(SKIP_2) | instid1(VALU_DEP_1)
	s_or_b32 exec_lo, exec_lo, s0
	v_mul_lo_u32 v4, v18, s2
	v_and_b32_e64 v6, 0xff, s16
	v_cmp_gt_i16_e32 vcc_lo, 11, v6
	s_delay_alu instid0(VALU_DEP_3) | instskip(SKIP_1) | instid1(VALU_DEP_1)
	v_ashrrev_i32_e32 v5, 31, v4
	v_add_co_u32 v4, s0, s4, v4
	v_add_co_ci_u32_e64 v5, s0, s5, v5, s0
	s_cbranch_vccnz .LBB496_27
; %bb.20:
	v_cmp_lt_i16_e32 vcc_lo, 25, v6
	s_cbranch_vccz .LBB496_30
; %bb.21:
	v_cmp_lt_i16_e32 vcc_lo, 28, v6
	s_cbranch_vccz .LBB496_32
	;; [unrolled: 3-line block ×4, first 2 shown]
; %bb.24:
	v_cmp_eq_u16_e32 vcc_lo, 46, v6
	s_mov_b32 s14, 0
	s_mov_b32 s0, -1
	s_mov_b32 s1, 0
	s_cbranch_vccz .LBB496_41
; %bb.25:
	v_cvt_f32_f64_e32 v7, v[2:3]
	v_cvt_f32_f64_e32 v8, v[0:1]
	s_mov_b32 s1, -1
	s_mov_b32 s0, 0
	s_delay_alu instid0(VALU_DEP_2) | instskip(NEXT) | instid1(VALU_DEP_2)
	v_bfe_u32 v9, v7, 16, 1
	v_bfe_u32 v10, v8, 16, 1
	v_cmp_o_f32_e32 vcc_lo, v7, v7
	s_delay_alu instid0(VALU_DEP_3) | instskip(NEXT) | instid1(VALU_DEP_3)
	v_add3_u32 v9, v7, v9, 0x7fff
	v_add3_u32 v10, v8, v10, 0x7fff
	s_delay_alu instid0(VALU_DEP_2) | instskip(NEXT) | instid1(VALU_DEP_2)
	v_and_b32_e32 v9, 0xffff0000, v9
	v_lshrrev_b32_e32 v10, 16, v10
	s_delay_alu instid0(VALU_DEP_2) | instskip(SKIP_1) | instid1(VALU_DEP_3)
	v_cndmask_b32_e32 v7, 0x7fc00000, v9, vcc_lo
	v_cmp_o_f32_e32 vcc_lo, v8, v8
	v_cndmask_b32_e32 v8, 0x7fc0, v10, vcc_lo
	s_delay_alu instid0(VALU_DEP_1)
	v_or_b32_e32 v7, v7, v8
	global_store_b32 v[4:5], v7, off
	s_branch .LBB496_41
.LBB496_26:
	s_mov_b32 s14, 0
                                        ; implicit-def: $vgpr4_vgpr5
	s_cbranch_execnz .LBB496_179
	s_branch .LBB496_212
.LBB496_27:
	s_mov_b32 s0, 0
	s_mov_b32 s1, 0
	s_cbranch_execnz .LBB496_110
.LBB496_28:
	s_and_not1_b32 vcc_lo, exec_lo, s1
	s_cbranch_vccnz .LBB496_263
	s_branch .LBB496_148
.LBB496_29:
	s_mov_b32 s0, -1
	s_mov_b32 s14, 0
                                        ; implicit-def: $vgpr4_vgpr5
	s_branch .LBB496_158
.LBB496_30:
	s_mov_b32 s14, -1
	s_mov_b32 s0, 0
	s_mov_b32 s1, 0
	s_branch .LBB496_68
.LBB496_31:
	s_mov_b32 s0, -1
	s_mov_b32 s14, 0
                                        ; implicit-def: $vgpr4_vgpr5
	s_branch .LBB496_152
.LBB496_32:
	s_mov_b32 s14, -1
	s_mov_b32 s0, 0
	s_mov_b32 s1, 0
	s_branch .LBB496_51
.LBB496_33:
	s_mov_b32 s0, -1
	s_branch .LBB496_36
.LBB496_34:
	s_mov_b32 s14, -1
	s_mov_b32 s0, 0
	s_mov_b32 s1, 0
	s_branch .LBB496_47
.LBB496_35:
	s_mov_b32 s21, -1
.LBB496_36:
	s_mov_b32 s14, 0
                                        ; implicit-def: $vgpr4_vgpr5
.LBB496_37:
	s_and_b32 vcc_lo, exec_lo, s0
	s_cbranch_vccz .LBB496_151
; %bb.38:
	v_cmp_eq_u16_e32 vcc_lo, 44, v19
	s_cbranch_vccz .LBB496_149
; %bb.39:
	global_load_u8 v4, v[0:1], off
	s_mov_b32 s21, 0
	s_mov_b32 s14, -1
	s_mov_b64 s[0:1], 0
	s_waitcnt vmcnt(0)
	v_cmp_ne_u32_e32 vcc_lo, 0xff, v4
	v_lshlrev_b32_e32 v2, 23, v4
	s_delay_alu instid0(VALU_DEP_1) | instskip(NEXT) | instid1(VALU_DEP_1)
	v_cvt_f64_f32_e32 v[2:3], v2
	v_cndmask_b32_e32 v3, 0x7ff80000, v3, vcc_lo
	s_delay_alu instid0(VALU_DEP_2) | instskip(SKIP_1) | instid1(VALU_DEP_3)
	v_cndmask_b32_e32 v2, 0x20000000, v2, vcc_lo
	v_cmp_ne_u32_e32 vcc_lo, 0, v4
	v_cndmask_b32_e32 v3, 0x38000000, v3, vcc_lo
	s_delay_alu instid0(VALU_DEP_3)
	v_cndmask_b32_e32 v2, 0, v2, vcc_lo
	s_branch .LBB496_150
.LBB496_40:
	s_mov_b32 s14, -1
	s_mov_b32 s0, 0
	s_mov_b32 s1, 0
.LBB496_41:
	s_and_b32 vcc_lo, exec_lo, s14
	s_cbranch_vccz .LBB496_46
; %bb.42:
	v_cmp_eq_u16_e32 vcc_lo, 44, v6
	s_mov_b32 s0, -1
	s_cbranch_vccz .LBB496_46
; %bb.43:
	v_cvt_f32_f64_e32 v7, v[0:1]
	v_mov_b32_e32 v8, 0xff
	s_mov_b32 s1, exec_lo
	s_delay_alu instid0(VALU_DEP_2) | instskip(NEXT) | instid1(VALU_DEP_1)
	v_bfe_u32 v9, v7, 23, 8
	v_cmpx_ne_u32_e32 0xff, v9
; %bb.44:
	v_and_b32_e32 v8, 0x400000, v7
	v_and_or_b32 v9, 0x3fffff, v7, v9
	v_lshrrev_b32_e32 v7, 23, v7
	s_delay_alu instid0(VALU_DEP_3) | instskip(NEXT) | instid1(VALU_DEP_3)
	v_cmp_ne_u32_e32 vcc_lo, 0, v8
	v_cmp_ne_u32_e64 s0, 0, v9
	s_delay_alu instid0(VALU_DEP_1) | instskip(NEXT) | instid1(SALU_CYCLE_1)
	s_and_b32 s0, vcc_lo, s0
	v_cndmask_b32_e64 v8, 0, 1, s0
	s_delay_alu instid0(VALU_DEP_1)
	v_add_nc_u32_e32 v8, v7, v8
; %bb.45:
	s_or_b32 exec_lo, exec_lo, s1
	s_mov_b32 s1, -1
	s_mov_b32 s0, 0
	global_store_b8 v[4:5], v8, off
.LBB496_46:
	s_mov_b32 s14, 0
.LBB496_47:
	s_delay_alu instid0(SALU_CYCLE_1)
	s_and_b32 vcc_lo, exec_lo, s14
	s_cbranch_vccz .LBB496_50
; %bb.48:
	v_cmp_eq_u16_e32 vcc_lo, 29, v6
	s_mov_b32 s0, -1
	s_cbranch_vccz .LBB496_50
; %bb.49:
	v_trunc_f64_e32 v[7:8], v[0:1]
	s_mov_b32 s1, -1
	s_mov_b32 s0, 0
	s_mov_b32 s14, 0
	s_delay_alu instid0(VALU_DEP_1) | instskip(NEXT) | instid1(VALU_DEP_1)
	v_ldexp_f64 v[9:10], v[7:8], 0xffffffe0
	v_floor_f64_e32 v[9:10], v[9:10]
	s_delay_alu instid0(VALU_DEP_1) | instskip(SKIP_1) | instid1(VALU_DEP_2)
	v_fma_f64 v[7:8], 0xc1f00000, v[9:10], v[7:8]
	v_cvt_u32_f64_e32 v9, v[9:10]
	v_cvt_u32_f64_e32 v8, v[7:8]
	global_store_b64 v[4:5], v[8:9], off
	s_branch .LBB496_51
.LBB496_50:
	s_mov_b32 s14, 0
.LBB496_51:
	s_delay_alu instid0(SALU_CYCLE_1)
	s_and_b32 vcc_lo, exec_lo, s14
	s_cbranch_vccz .LBB496_67
; %bb.52:
	v_cmp_gt_i16_e32 vcc_lo, 27, v6
	s_mov_b32 s1, -1
	s_cbranch_vccnz .LBB496_58
; %bb.53:
	v_cmp_lt_i16_e32 vcc_lo, 27, v6
	s_cbranch_vccz .LBB496_55
; %bb.54:
	v_cvt_u32_f64_e32 v7, v[0:1]
	s_mov_b32 s1, 0
	global_store_b32 v[4:5], v7, off
.LBB496_55:
	s_and_not1_b32 vcc_lo, exec_lo, s1
	s_cbranch_vccnz .LBB496_57
; %bb.56:
	v_cvt_u32_f64_e32 v7, v[0:1]
	global_store_b16 v[4:5], v7, off
.LBB496_57:
	s_mov_b32 s1, 0
.LBB496_58:
	s_delay_alu instid0(SALU_CYCLE_1)
	s_and_not1_b32 vcc_lo, exec_lo, s1
	s_cbranch_vccnz .LBB496_66
; %bb.59:
	v_cvt_f32_f64_e32 v7, v[0:1]
	v_mov_b32_e32 v9, 0x80
	s_mov_b32 s1, exec_lo
	s_delay_alu instid0(VALU_DEP_2) | instskip(NEXT) | instid1(VALU_DEP_1)
	v_and_b32_e32 v8, 0x7fffffff, v7
	v_cmpx_gt_u32_e32 0x43800000, v8
	s_cbranch_execz .LBB496_65
; %bb.60:
	v_cmp_lt_u32_e32 vcc_lo, 0x3bffffff, v8
	s_mov_b32 s14, 0
                                        ; implicit-def: $vgpr8
	s_and_saveexec_b32 s15, vcc_lo
	s_delay_alu instid0(SALU_CYCLE_1)
	s_xor_b32 s15, exec_lo, s15
	s_cbranch_execz .LBB496_297
; %bb.61:
	v_bfe_u32 v8, v7, 20, 1
	s_mov_b32 s14, exec_lo
	s_delay_alu instid0(VALU_DEP_1) | instskip(NEXT) | instid1(VALU_DEP_1)
	v_add3_u32 v8, v7, v8, 0x487ffff
	v_lshrrev_b32_e32 v8, 20, v8
	s_or_saveexec_b32 s15, s15
                                        ; implicit-def: $sgpr19
	s_delay_alu instid0(SALU_CYCLE_1)
	s_xor_b32 exec_lo, exec_lo, s15
	s_cbranch_execnz .LBB496_298
.LBB496_62:
	s_or_b32 exec_lo, exec_lo, s15
	v_mov_b32_e32 v9, s19
	s_and_saveexec_b32 s15, s14
.LBB496_63:
	v_lshrrev_b32_e32 v7, 24, v7
	s_delay_alu instid0(VALU_DEP_1)
	v_and_or_b32 v9, 0x80, v7, v8
.LBB496_64:
	s_or_b32 exec_lo, exec_lo, s15
.LBB496_65:
	s_delay_alu instid0(SALU_CYCLE_1)
	s_or_b32 exec_lo, exec_lo, s1
	global_store_b8 v[4:5], v9, off
.LBB496_66:
	s_mov_b32 s1, -1
.LBB496_67:
	s_mov_b32 s14, 0
.LBB496_68:
	s_delay_alu instid0(SALU_CYCLE_1)
	s_and_b32 vcc_lo, exec_lo, s14
	s_cbranch_vccz .LBB496_109
; %bb.69:
	v_cmp_lt_i16_e32 vcc_lo, 22, v6
	s_mov_b32 s14, -1
	s_cbranch_vccz .LBB496_101
; %bb.70:
	v_cmp_gt_i16_e32 vcc_lo, 24, v6
	s_mov_b32 s1, -1
	s_cbranch_vccnz .LBB496_90
; %bb.71:
	v_cmp_lt_i16_e32 vcc_lo, 24, v6
	s_cbranch_vccz .LBB496_79
; %bb.72:
	v_cvt_f32_f64_e32 v7, v[0:1]
	v_mov_b32_e32 v9, 0x80
	s_mov_b32 s1, exec_lo
	s_delay_alu instid0(VALU_DEP_2) | instskip(NEXT) | instid1(VALU_DEP_1)
	v_and_b32_e32 v8, 0x7fffffff, v7
	v_cmpx_gt_u32_e32 0x47800000, v8
	s_cbranch_execz .LBB496_78
; %bb.73:
	v_cmp_lt_u32_e32 vcc_lo, 0x37ffffff, v8
	s_mov_b32 s14, 0
                                        ; implicit-def: $vgpr8
	s_and_saveexec_b32 s15, vcc_lo
	s_delay_alu instid0(SALU_CYCLE_1)
	s_xor_b32 s15, exec_lo, s15
	s_cbranch_execz .LBB496_301
; %bb.74:
	v_bfe_u32 v8, v7, 21, 1
	s_mov_b32 s14, exec_lo
	s_delay_alu instid0(VALU_DEP_1) | instskip(NEXT) | instid1(VALU_DEP_1)
	v_add3_u32 v8, v7, v8, 0x88fffff
	v_lshrrev_b32_e32 v8, 21, v8
	s_or_saveexec_b32 s15, s15
                                        ; implicit-def: $sgpr19
	s_delay_alu instid0(SALU_CYCLE_1)
	s_xor_b32 exec_lo, exec_lo, s15
	s_cbranch_execnz .LBB496_302
.LBB496_75:
	s_or_b32 exec_lo, exec_lo, s15
	v_mov_b32_e32 v9, s19
	s_and_saveexec_b32 s15, s14
.LBB496_76:
	v_lshrrev_b32_e32 v7, 24, v7
	s_delay_alu instid0(VALU_DEP_1)
	v_and_or_b32 v9, 0x80, v7, v8
.LBB496_77:
	s_or_b32 exec_lo, exec_lo, s15
.LBB496_78:
	s_delay_alu instid0(SALU_CYCLE_1)
	s_or_b32 exec_lo, exec_lo, s1
	s_mov_b32 s1, 0
	global_store_b8 v[4:5], v9, off
.LBB496_79:
	s_and_b32 vcc_lo, exec_lo, s1
	s_cbranch_vccz .LBB496_89
; %bb.80:
	v_cvt_f32_f64_e32 v7, v[0:1]
	s_mov_b32 s1, exec_lo
                                        ; implicit-def: $vgpr8
	s_delay_alu instid0(VALU_DEP_1) | instskip(NEXT) | instid1(VALU_DEP_1)
	v_and_b32_e32 v9, 0x7fffffff, v7
	v_cmpx_gt_u32_e32 0x43f00000, v9
	s_xor_b32 s1, exec_lo, s1
	s_cbranch_execz .LBB496_86
; %bb.81:
	s_mov_b32 s14, exec_lo
                                        ; implicit-def: $vgpr8
	v_cmpx_lt_u32_e32 0x3c7fffff, v9
	s_xor_b32 s14, exec_lo, s14
; %bb.82:
	v_bfe_u32 v8, v7, 20, 1
	s_delay_alu instid0(VALU_DEP_1) | instskip(NEXT) | instid1(VALU_DEP_1)
	v_add3_u32 v8, v7, v8, 0x407ffff
	v_and_b32_e32 v9, 0xff00000, v8
	v_lshrrev_b32_e32 v8, 20, v8
	s_delay_alu instid0(VALU_DEP_2) | instskip(NEXT) | instid1(VALU_DEP_2)
	v_cmp_ne_u32_e32 vcc_lo, 0x7f00000, v9
	v_cndmask_b32_e32 v8, 0x7e, v8, vcc_lo
; %bb.83:
	s_and_not1_saveexec_b32 s14, s14
; %bb.84:
	v_add_f32_e64 v8, 0x46800000, |v7|
; %bb.85:
	s_or_b32 exec_lo, exec_lo, s14
                                        ; implicit-def: $vgpr9
.LBB496_86:
	s_and_not1_saveexec_b32 s1, s1
; %bb.87:
	v_mov_b32_e32 v8, 0x7f
	v_cmp_lt_u32_e32 vcc_lo, 0x7f800000, v9
	s_delay_alu instid0(VALU_DEP_2)
	v_cndmask_b32_e32 v8, 0x7e, v8, vcc_lo
; %bb.88:
	s_or_b32 exec_lo, exec_lo, s1
	v_lshrrev_b32_e32 v7, 24, v7
	s_delay_alu instid0(VALU_DEP_1)
	v_and_or_b32 v7, 0x80, v7, v8
	global_store_b8 v[4:5], v7, off
.LBB496_89:
	s_mov_b32 s1, 0
.LBB496_90:
	s_delay_alu instid0(SALU_CYCLE_1)
	s_and_not1_b32 vcc_lo, exec_lo, s1
	s_cbranch_vccnz .LBB496_100
; %bb.91:
	v_cvt_f32_f64_e32 v7, v[0:1]
	s_mov_b32 s1, exec_lo
                                        ; implicit-def: $vgpr8
	s_delay_alu instid0(VALU_DEP_1) | instskip(NEXT) | instid1(VALU_DEP_1)
	v_and_b32_e32 v9, 0x7fffffff, v7
	v_cmpx_gt_u32_e32 0x47800000, v9
	s_xor_b32 s1, exec_lo, s1
	s_cbranch_execz .LBB496_97
; %bb.92:
	s_mov_b32 s14, exec_lo
                                        ; implicit-def: $vgpr8
	v_cmpx_lt_u32_e32 0x387fffff, v9
	s_xor_b32 s14, exec_lo, s14
; %bb.93:
	v_bfe_u32 v8, v7, 21, 1
	s_delay_alu instid0(VALU_DEP_1) | instskip(NEXT) | instid1(VALU_DEP_1)
	v_add3_u32 v8, v7, v8, 0x80fffff
	v_lshrrev_b32_e32 v8, 21, v8
; %bb.94:
	s_and_not1_saveexec_b32 s14, s14
; %bb.95:
	v_add_f32_e64 v8, 0x43000000, |v7|
; %bb.96:
	s_or_b32 exec_lo, exec_lo, s14
                                        ; implicit-def: $vgpr9
.LBB496_97:
	s_and_not1_saveexec_b32 s1, s1
; %bb.98:
	v_mov_b32_e32 v8, 0x7f
	v_cmp_lt_u32_e32 vcc_lo, 0x7f800000, v9
	s_delay_alu instid0(VALU_DEP_2)
	v_cndmask_b32_e32 v8, 0x7c, v8, vcc_lo
; %bb.99:
	s_or_b32 exec_lo, exec_lo, s1
	v_lshrrev_b32_e32 v7, 24, v7
	s_delay_alu instid0(VALU_DEP_1)
	v_and_or_b32 v7, 0x80, v7, v8
	global_store_b8 v[4:5], v7, off
.LBB496_100:
	s_mov_b32 s14, 0
	s_mov_b32 s1, -1
.LBB496_101:
	s_and_not1_b32 vcc_lo, exec_lo, s14
	s_cbranch_vccnz .LBB496_109
; %bb.102:
	v_cmp_lt_i16_e32 vcc_lo, 14, v6
	s_mov_b32 s14, -1
	s_cbranch_vccz .LBB496_106
; %bb.103:
	v_cmp_eq_u16_e32 vcc_lo, 15, v6
	s_mov_b32 s0, -1
	s_cbranch_vccz .LBB496_105
; %bb.104:
	v_cvt_f32_f64_e32 v7, v[0:1]
	s_mov_b32 s1, -1
	s_mov_b32 s0, 0
	s_delay_alu instid0(VALU_DEP_1) | instskip(SKIP_1) | instid1(VALU_DEP_2)
	v_bfe_u32 v8, v7, 16, 1
	v_cmp_o_f32_e32 vcc_lo, v7, v7
	v_add3_u32 v8, v7, v8, 0x7fff
	s_delay_alu instid0(VALU_DEP_1) | instskip(NEXT) | instid1(VALU_DEP_1)
	v_lshrrev_b32_e32 v8, 16, v8
	v_cndmask_b32_e32 v7, 0x7fc0, v8, vcc_lo
	global_store_b16 v[4:5], v7, off
.LBB496_105:
	s_mov_b32 s14, 0
.LBB496_106:
	s_delay_alu instid0(SALU_CYCLE_1)
	s_and_b32 vcc_lo, exec_lo, s14
	s_cbranch_vccz .LBB496_109
; %bb.107:
	v_cmp_eq_u16_e32 vcc_lo, 11, v6
	s_mov_b32 s0, -1
	s_cbranch_vccz .LBB496_109
; %bb.108:
	v_cmp_neq_f64_e32 vcc_lo, 0, v[0:1]
	v_cmp_neq_f64_e64 s0, 0, v[2:3]
	s_mov_b32 s1, -1
	s_delay_alu instid0(VALU_DEP_1) | instskip(NEXT) | instid1(SALU_CYCLE_1)
	s_or_b32 s0, vcc_lo, s0
	v_cndmask_b32_e64 v7, 0, 1, s0
	s_mov_b32 s0, 0
	global_store_b8 v[4:5], v7, off
.LBB496_109:
	s_branch .LBB496_28
.LBB496_110:
	v_cmp_gt_i16_e32 vcc_lo, 5, v6
	s_mov_b32 s1, -1
	s_cbranch_vccnz .LBB496_131
; %bb.111:
	v_cmp_gt_i16_e32 vcc_lo, 8, v6
	s_cbranch_vccnz .LBB496_121
; %bb.112:
	v_cmp_gt_i16_e32 vcc_lo, 9, v6
	s_cbranch_vccnz .LBB496_118
; %bb.113:
	v_cmp_lt_i16_e32 vcc_lo, 9, v6
	s_cbranch_vccz .LBB496_115
; %bb.114:
	s_mov_b32 s1, 0
	global_store_b128 v[4:5], v[0:3], off
.LBB496_115:
	s_and_not1_b32 vcc_lo, exec_lo, s1
	s_cbranch_vccnz .LBB496_117
; %bb.116:
	v_cvt_f32_f64_e32 v7, v[0:1]
	v_cvt_f32_f64_e32 v8, v[2:3]
	global_store_b64 v[4:5], v[7:8], off
.LBB496_117:
	s_mov_b32 s1, 0
.LBB496_118:
	s_delay_alu instid0(SALU_CYCLE_1)
	s_and_not1_b32 vcc_lo, exec_lo, s1
	s_cbranch_vccnz .LBB496_120
; %bb.119:
	v_cvt_f32_f64_e32 v2, v[2:3]
	v_cvt_f32_f64_e32 v3, v[0:1]
	s_delay_alu instid0(VALU_DEP_2) | instskip(NEXT) | instid1(VALU_DEP_2)
	v_cvt_f16_f32_e32 v2, v2
	v_cvt_f16_f32_e32 v3, v3
	s_delay_alu instid0(VALU_DEP_2) | instskip(NEXT) | instid1(VALU_DEP_2)
	v_lshlrev_b32_e32 v2, 16, v2
	v_and_b32_e32 v3, 0xffff, v3
	s_delay_alu instid0(VALU_DEP_1)
	v_or_b32_e32 v2, v2, v3
	global_store_b32 v[4:5], v2, off
.LBB496_120:
	s_mov_b32 s1, 0
.LBB496_121:
	s_delay_alu instid0(SALU_CYCLE_1)
	s_and_not1_b32 vcc_lo, exec_lo, s1
	s_cbranch_vccnz .LBB496_130
; %bb.122:
	v_cmp_gt_i16_e32 vcc_lo, 6, v6
	s_mov_b32 s1, -1
	s_cbranch_vccnz .LBB496_128
; %bb.123:
	v_cmp_lt_i16_e32 vcc_lo, 6, v6
	s_cbranch_vccz .LBB496_125
; %bb.124:
	s_mov_b32 s1, 0
	global_store_b64 v[4:5], v[0:1], off
.LBB496_125:
	s_and_not1_b32 vcc_lo, exec_lo, s1
	s_cbranch_vccnz .LBB496_127
; %bb.126:
	v_cvt_f32_f64_e32 v2, v[0:1]
	global_store_b32 v[4:5], v2, off
.LBB496_127:
	s_mov_b32 s1, 0
.LBB496_128:
	s_delay_alu instid0(SALU_CYCLE_1)
	s_and_not1_b32 vcc_lo, exec_lo, s1
	s_cbranch_vccnz .LBB496_130
; %bb.129:
	v_cvt_f32_f64_e32 v2, v[0:1]
	s_delay_alu instid0(VALU_DEP_1)
	v_cvt_f16_f32_e32 v2, v2
	global_store_b16 v[4:5], v2, off
.LBB496_130:
	s_mov_b32 s1, 0
.LBB496_131:
	s_delay_alu instid0(SALU_CYCLE_1)
	s_and_not1_b32 vcc_lo, exec_lo, s1
	s_cbranch_vccnz .LBB496_147
; %bb.132:
	v_cmp_gt_i16_e32 vcc_lo, 2, v6
	s_mov_b32 s1, -1
	s_cbranch_vccnz .LBB496_142
; %bb.133:
	v_cmp_gt_i16_e32 vcc_lo, 3, v6
	s_cbranch_vccnz .LBB496_139
; %bb.134:
	v_cmp_lt_i16_e32 vcc_lo, 3, v6
	s_cbranch_vccz .LBB496_136
; %bb.135:
	v_trunc_f64_e32 v[2:3], v[0:1]
	s_mov_b32 s1, 0
	s_delay_alu instid0(VALU_DEP_1) | instskip(NEXT) | instid1(VALU_DEP_1)
	v_ldexp_f64 v[7:8], v[2:3], 0xffffffe0
	v_floor_f64_e32 v[7:8], v[7:8]
	s_delay_alu instid0(VALU_DEP_1) | instskip(SKIP_1) | instid1(VALU_DEP_2)
	v_fma_f64 v[2:3], 0xc1f00000, v[7:8], v[2:3]
	v_cvt_i32_f64_e32 v8, v[7:8]
	v_cvt_u32_f64_e32 v7, v[2:3]
	global_store_b64 v[4:5], v[7:8], off
.LBB496_136:
	s_and_not1_b32 vcc_lo, exec_lo, s1
	s_cbranch_vccnz .LBB496_138
; %bb.137:
	v_cvt_i32_f64_e32 v2, v[0:1]
	global_store_b32 v[4:5], v2, off
.LBB496_138:
	s_mov_b32 s1, 0
.LBB496_139:
	s_delay_alu instid0(SALU_CYCLE_1)
	s_and_not1_b32 vcc_lo, exec_lo, s1
	s_cbranch_vccnz .LBB496_141
; %bb.140:
	v_cvt_i32_f64_e32 v2, v[0:1]
	global_store_b16 v[4:5], v2, off
.LBB496_141:
	s_mov_b32 s1, 0
.LBB496_142:
	s_delay_alu instid0(SALU_CYCLE_1)
	s_and_not1_b32 vcc_lo, exec_lo, s1
	s_cbranch_vccnz .LBB496_147
; %bb.143:
	v_cmp_lt_i16_e32 vcc_lo, 0, v6
	s_mov_b32 s1, -1
	s_cbranch_vccz .LBB496_145
; %bb.144:
	v_cvt_i32_f64_e32 v2, v[0:1]
	s_mov_b32 s1, 0
	global_store_b8 v[4:5], v2, off
.LBB496_145:
	s_and_not1_b32 vcc_lo, exec_lo, s1
	s_cbranch_vccnz .LBB496_147
; %bb.146:
	v_trunc_f64_e32 v[0:1], v[0:1]
	s_delay_alu instid0(VALU_DEP_1) | instskip(NEXT) | instid1(VALU_DEP_1)
	v_ldexp_f64 v[2:3], v[0:1], 0xffffffe0
	v_floor_f64_e32 v[2:3], v[2:3]
	s_delay_alu instid0(VALU_DEP_1) | instskip(NEXT) | instid1(VALU_DEP_1)
	v_fma_f64 v[0:1], 0xc1f00000, v[2:3], v[0:1]
	v_cvt_u32_f64_e32 v0, v[0:1]
	global_store_b8 v[4:5], v0, off
.LBB496_147:
.LBB496_148:
	v_add_nc_u32_e32 v18, 0x80, v18
	s_mov_b32 s1, -1
	s_branch .LBB496_264
.LBB496_149:
	s_mov_b32 s21, -1
                                        ; implicit-def: $sgpr0_sgpr1
                                        ; implicit-def: $vgpr2_vgpr3
.LBB496_150:
	v_dual_mov_b32 v5, s1 :: v_dual_mov_b32 v4, s0
.LBB496_151:
	s_mov_b32 s0, 0
.LBB496_152:
	s_delay_alu instid0(SALU_CYCLE_1)
	s_and_b32 vcc_lo, exec_lo, s0
	s_cbranch_vccz .LBB496_157
; %bb.153:
	v_cmp_eq_u16_e32 vcc_lo, 29, v19
	s_cbranch_vccz .LBB496_155
; %bb.154:
	global_load_b64 v[2:3], v[0:1], off
	s_mov_b32 s14, -1
	s_mov_b32 s21, 0
	s_mov_b64 s[0:1], 0
	s_waitcnt vmcnt(0)
	v_cvt_f64_u32_e32 v[3:4], v3
	v_cvt_f64_u32_e32 v[5:6], v2
	s_delay_alu instid0(VALU_DEP_2) | instskip(NEXT) | instid1(VALU_DEP_1)
	v_ldexp_f64 v[3:4], v[3:4], 32
	v_add_f64 v[2:3], v[3:4], v[5:6]
	s_branch .LBB496_156
.LBB496_155:
	s_mov_b32 s21, -1
                                        ; implicit-def: $sgpr0_sgpr1
                                        ; implicit-def: $vgpr2_vgpr3
.LBB496_156:
	v_dual_mov_b32 v5, s1 :: v_dual_mov_b32 v4, s0
.LBB496_157:
	s_mov_b32 s0, 0
.LBB496_158:
	s_delay_alu instid0(SALU_CYCLE_1)
	s_and_b32 vcc_lo, exec_lo, s0
	s_cbranch_vccz .LBB496_178
; %bb.159:
	v_cmp_gt_i16_e32 vcc_lo, 27, v19
	s_cbranch_vccnz .LBB496_162
; %bb.160:
	v_cmp_lt_i16_e32 vcc_lo, 27, v19
	s_cbranch_vccz .LBB496_163
; %bb.161:
	global_load_b32 v2, v[0:1], off
	s_mov_b32 s14, 0
	s_mov_b64 s[0:1], 0
	s_waitcnt vmcnt(0)
	v_cvt_f64_u32_e32 v[2:3], v2
	s_branch .LBB496_164
.LBB496_162:
	s_mov_b32 s14, -1
                                        ; implicit-def: $sgpr0_sgpr1
                                        ; implicit-def: $vgpr2_vgpr3
	s_branch .LBB496_167
.LBB496_163:
	s_mov_b32 s14, -1
                                        ; implicit-def: $sgpr0_sgpr1
                                        ; implicit-def: $vgpr2_vgpr3
.LBB496_164:
	s_delay_alu instid0(SALU_CYCLE_1)
	s_and_not1_b32 vcc_lo, exec_lo, s14
	s_cbranch_vccnz .LBB496_166
; %bb.165:
	global_load_u16 v2, v[0:1], off
	s_mov_b64 s[0:1], 0
	s_waitcnt vmcnt(0)
	v_cvt_f64_u32_e32 v[2:3], v2
.LBB496_166:
	s_mov_b32 s14, 0
.LBB496_167:
	v_dual_mov_b32 v5, s1 :: v_dual_mov_b32 v4, s0
	s_and_not1_b32 vcc_lo, exec_lo, s14
	s_cbranch_vccnz .LBB496_177
; %bb.168:
	global_load_u8 v6, v[0:1], off
	s_mov_b32 s24, exec_lo
                                        ; implicit-def: $sgpr0_sgpr1
                                        ; implicit-def: $sgpr14_sgpr15
	s_waitcnt vmcnt(0)
	v_cmpx_lt_i16_e32 0x7f, v6
	s_xor_b32 s24, exec_lo, s24
	s_cbranch_execz .LBB496_172
; %bb.169:
	s_mov_b32 s19, -1
	s_mov_b32 s25, exec_lo
                                        ; implicit-def: $sgpr0_sgpr1
                                        ; implicit-def: $sgpr14_sgpr15
	v_cmpx_eq_u16_e32 0x80, v6
; %bb.170:
	s_mov_b64 s[0:1], 0
	s_mov_b32 s15, 0x7ff80000
	s_brev_b32 s14, 4
	s_xor_b32 s19, exec_lo, -1
; %bb.171:
	s_or_b32 exec_lo, exec_lo, s25
	s_delay_alu instid0(SALU_CYCLE_1)
	s_and_b32 s19, s19, exec_lo
.LBB496_172:
	s_or_saveexec_b32 s24, s24
	v_dual_mov_b32 v5, s1 :: v_dual_mov_b32 v4, s0
	v_dual_mov_b32 v2, s14 :: v_dual_mov_b32 v3, s15
	s_xor_b32 exec_lo, exec_lo, s24
; %bb.173:
	v_mov_b32_e32 v4, 0
	v_mov_b32_e32 v5, 0
	v_cmp_ne_u16_e32 vcc_lo, 0, v6
	s_delay_alu instid0(VALU_DEP_3) | instskip(SKIP_1) | instid1(VALU_DEP_3)
	v_mov_b32_e32 v2, v4
	s_and_not1_b32 s0, s19, exec_lo
	v_mov_b32_e32 v3, v5
	s_and_b32 s1, vcc_lo, exec_lo
	s_delay_alu instid0(SALU_CYCLE_1)
	s_or_b32 s19, s0, s1
; %bb.174:
	s_or_b32 exec_lo, exec_lo, s24
	s_and_saveexec_b32 s0, s19
	s_cbranch_execz .LBB496_176
; %bb.175:
	v_and_b32_e32 v2, 0xffff, v6
	v_lshlrev_b32_e32 v6, 24, v6
	s_delay_alu instid0(VALU_DEP_2) | instskip(NEXT) | instid1(VALU_DEP_1)
	v_and_b32_e32 v3, 7, v2
	v_clz_i32_u32_e32 v4, v3
	s_delay_alu instid0(VALU_DEP_1) | instskip(NEXT) | instid1(VALU_DEP_1)
	v_min_u32_e32 v4, 32, v4
	v_subrev_nc_u32_e32 v5, 28, v4
	v_sub_nc_u32_e32 v4, 29, v4
	s_delay_alu instid0(VALU_DEP_2) | instskip(SKIP_1) | instid1(VALU_DEP_2)
	v_lshlrev_b32_e32 v5, v5, v2
	v_bfe_u32 v2, v2, 3, 4
	v_and_b32_e32 v5, 7, v5
	s_delay_alu instid0(VALU_DEP_2) | instskip(NEXT) | instid1(VALU_DEP_2)
	v_cmp_eq_u32_e32 vcc_lo, 0, v2
	v_dual_cndmask_b32 v2, v2, v4 :: v_dual_cndmask_b32 v3, v3, v5
	v_and_b32_e32 v4, 0x80000000, v6
	s_delay_alu instid0(VALU_DEP_2) | instskip(NEXT) | instid1(VALU_DEP_3)
	v_lshl_add_u32 v2, v2, 23, 0x3b800000
	v_lshlrev_b32_e32 v3, 20, v3
	s_delay_alu instid0(VALU_DEP_1) | instskip(SKIP_2) | instid1(VALU_DEP_3)
	v_or3_b32 v2, v4, v2, v3
	v_mov_b32_e32 v4, 0
	v_mov_b32_e32 v5, 0
	v_cvt_f64_f32_e32 v[2:3], v2
.LBB496_176:
	s_or_b32 exec_lo, exec_lo, s0
.LBB496_177:
	s_mov_b32 s14, -1
.LBB496_178:
	s_branch .LBB496_212
.LBB496_179:
	v_cmp_lt_i16_e32 vcc_lo, 22, v19
	s_cbranch_vccz .LBB496_191
; %bb.180:
	v_cmp_gt_i16_e32 vcc_lo, 24, v19
	s_cbranch_vccnz .LBB496_192
; %bb.181:
	v_cmp_lt_i16_e32 vcc_lo, 24, v19
	s_cbranch_vccz .LBB496_193
; %bb.182:
	global_load_u8 v6, v[0:1], off
	s_mov_b32 s19, 0
	s_mov_b32 s24, exec_lo
                                        ; implicit-def: $sgpr0_sgpr1
                                        ; implicit-def: $sgpr14_sgpr15
	s_waitcnt vmcnt(0)
	v_cmpx_lt_i16_e32 0x7f, v6
	s_xor_b32 s24, exec_lo, s24
	s_cbranch_execz .LBB496_186
; %bb.183:
	s_mov_b32 s19, -1
	s_mov_b32 s25, exec_lo
                                        ; implicit-def: $sgpr0_sgpr1
                                        ; implicit-def: $sgpr14_sgpr15
	v_cmpx_eq_u16_e32 0x80, v6
; %bb.184:
	s_mov_b64 s[0:1], 0
	s_mov_b32 s15, 0x7ff80000
	s_brev_b32 s14, 4
	s_xor_b32 s19, exec_lo, -1
; %bb.185:
	s_or_b32 exec_lo, exec_lo, s25
	s_delay_alu instid0(SALU_CYCLE_1)
	s_and_b32 s19, s19, exec_lo
.LBB496_186:
	s_or_saveexec_b32 s24, s24
	v_dual_mov_b32 v5, s1 :: v_dual_mov_b32 v4, s0
	v_dual_mov_b32 v2, s14 :: v_dual_mov_b32 v3, s15
	s_xor_b32 exec_lo, exec_lo, s24
; %bb.187:
	v_mov_b32_e32 v4, 0
	v_mov_b32_e32 v5, 0
	v_cmp_ne_u16_e32 vcc_lo, 0, v6
	s_delay_alu instid0(VALU_DEP_3) | instskip(SKIP_1) | instid1(VALU_DEP_3)
	v_mov_b32_e32 v2, v4
	s_and_not1_b32 s0, s19, exec_lo
	v_mov_b32_e32 v3, v5
	s_and_b32 s1, vcc_lo, exec_lo
	s_delay_alu instid0(SALU_CYCLE_1)
	s_or_b32 s19, s0, s1
; %bb.188:
	s_or_b32 exec_lo, exec_lo, s24
	s_and_saveexec_b32 s0, s19
	s_cbranch_execz .LBB496_190
; %bb.189:
	v_and_b32_e32 v2, 0xffff, v6
	v_lshlrev_b32_e32 v6, 24, v6
	s_delay_alu instid0(VALU_DEP_2) | instskip(NEXT) | instid1(VALU_DEP_1)
	v_and_b32_e32 v3, 3, v2
	v_clz_i32_u32_e32 v4, v3
	s_delay_alu instid0(VALU_DEP_1) | instskip(NEXT) | instid1(VALU_DEP_1)
	v_min_u32_e32 v4, 32, v4
	v_subrev_nc_u32_e32 v5, 29, v4
	v_sub_nc_u32_e32 v4, 30, v4
	s_delay_alu instid0(VALU_DEP_2) | instskip(SKIP_1) | instid1(VALU_DEP_2)
	v_lshlrev_b32_e32 v5, v5, v2
	v_bfe_u32 v2, v2, 2, 5
	v_and_b32_e32 v5, 3, v5
	s_delay_alu instid0(VALU_DEP_2) | instskip(NEXT) | instid1(VALU_DEP_2)
	v_cmp_eq_u32_e32 vcc_lo, 0, v2
	v_dual_cndmask_b32 v2, v2, v4 :: v_dual_cndmask_b32 v3, v3, v5
	v_and_b32_e32 v4, 0x80000000, v6
	s_delay_alu instid0(VALU_DEP_2) | instskip(NEXT) | instid1(VALU_DEP_3)
	v_lshl_add_u32 v2, v2, 23, 0x37800000
	v_lshlrev_b32_e32 v3, 21, v3
	s_delay_alu instid0(VALU_DEP_1) | instskip(SKIP_2) | instid1(VALU_DEP_3)
	v_or3_b32 v2, v4, v2, v3
	v_mov_b32_e32 v4, 0
	v_mov_b32_e32 v5, 0
	v_cvt_f64_f32_e32 v[2:3], v2
.LBB496_190:
	s_or_b32 exec_lo, exec_lo, s0
	s_mov_b32 s0, 0
	s_branch .LBB496_194
.LBB496_191:
	s_mov_b32 s0, -1
                                        ; implicit-def: $vgpr4_vgpr5
	s_branch .LBB496_200
.LBB496_192:
	s_mov_b32 s0, -1
                                        ; implicit-def: $vgpr4_vgpr5
	s_branch .LBB496_197
.LBB496_193:
	s_mov_b32 s0, -1
                                        ; implicit-def: $vgpr4_vgpr5
.LBB496_194:
	s_delay_alu instid0(SALU_CYCLE_1)
	s_and_b32 vcc_lo, exec_lo, s0
	s_cbranch_vccz .LBB496_196
; %bb.195:
	global_load_u8 v2, v[0:1], off
	s_waitcnt vmcnt(0)
	v_lshlrev_b32_e32 v2, 24, v2
	s_delay_alu instid0(VALU_DEP_1) | instskip(NEXT) | instid1(VALU_DEP_1)
	v_and_b32_e32 v3, 0x7f000000, v2
	v_clz_i32_u32_e32 v4, v3
	v_add_nc_u32_e32 v6, 0x1000000, v3
	v_cmp_ne_u32_e32 vcc_lo, 0, v3
	s_delay_alu instid0(VALU_DEP_3) | instskip(NEXT) | instid1(VALU_DEP_1)
	v_min_u32_e32 v4, 32, v4
	v_sub_nc_u32_e64 v4, v4, 4 clamp
	s_delay_alu instid0(VALU_DEP_1) | instskip(SKIP_1) | instid1(VALU_DEP_2)
	v_lshlrev_b32_e32 v5, v4, v3
	v_lshlrev_b32_e32 v4, 23, v4
	v_lshrrev_b32_e32 v5, 4, v5
	s_delay_alu instid0(VALU_DEP_1) | instskip(SKIP_1) | instid1(VALU_DEP_2)
	v_sub_nc_u32_e32 v4, v5, v4
	v_ashrrev_i32_e32 v5, 8, v6
	v_add_nc_u32_e32 v4, 0x3c000000, v4
	s_delay_alu instid0(VALU_DEP_1) | instskip(NEXT) | instid1(VALU_DEP_1)
	v_and_or_b32 v4, 0x7f800000, v5, v4
	v_dual_cndmask_b32 v3, 0, v4 :: v_dual_mov_b32 v4, 0
	v_mov_b32_e32 v5, 0
	s_delay_alu instid0(VALU_DEP_2) | instskip(NEXT) | instid1(VALU_DEP_1)
	v_and_or_b32 v2, 0x80000000, v2, v3
	v_cvt_f64_f32_e32 v[2:3], v2
.LBB496_196:
	s_mov_b32 s0, 0
.LBB496_197:
	s_delay_alu instid0(SALU_CYCLE_1)
	s_and_not1_b32 vcc_lo, exec_lo, s0
	s_cbranch_vccnz .LBB496_199
; %bb.198:
	global_load_u8 v2, v[0:1], off
	s_waitcnt vmcnt(0)
	v_lshlrev_b32_e32 v3, 25, v2
	v_lshlrev_b16 v2, 8, v2
	s_delay_alu instid0(VALU_DEP_2) | instskip(NEXT) | instid1(VALU_DEP_2)
	v_lshrrev_b32_e32 v4, 4, v3
	v_and_or_b32 v5, 0x7f00, v2, 0.5
	v_bfe_i32 v2, v2, 0, 16
	s_delay_alu instid0(VALU_DEP_3) | instskip(NEXT) | instid1(VALU_DEP_1)
	v_or_b32_e32 v4, 0x70000000, v4
	v_dual_add_f32 v5, -0.5, v5 :: v_dual_mul_f32 v4, 0x7800000, v4
	v_cmp_gt_u32_e32 vcc_lo, 0x8000000, v3
	s_delay_alu instid0(VALU_DEP_2) | instskip(SKIP_1) | instid1(VALU_DEP_2)
	v_dual_cndmask_b32 v3, v4, v5 :: v_dual_mov_b32 v4, 0
	v_mov_b32_e32 v5, 0
	v_and_or_b32 v2, 0x80000000, v2, v3
	s_delay_alu instid0(VALU_DEP_1)
	v_cvt_f64_f32_e32 v[2:3], v2
.LBB496_199:
	s_mov_b32 s0, 0
	s_mov_b32 s14, -1
.LBB496_200:
	s_and_not1_b32 vcc_lo, exec_lo, s0
	s_cbranch_vccnz .LBB496_212
; %bb.201:
	v_cmp_lt_i16_e32 vcc_lo, 14, v19
	s_cbranch_vccz .LBB496_204
; %bb.202:
	v_cmp_eq_u16_e32 vcc_lo, 15, v19
	s_cbranch_vccz .LBB496_205
; %bb.203:
	global_load_u16 v2, v[0:1], off
	s_mov_b32 s14, -1
	s_mov_b32 s21, 0
	s_mov_b64 s[0:1], 0
	s_waitcnt vmcnt(0)
	v_lshlrev_b32_e32 v2, 16, v2
	s_delay_alu instid0(VALU_DEP_1)
	v_cvt_f64_f32_e32 v[2:3], v2
	s_branch .LBB496_206
.LBB496_204:
	s_mov_b32 s15, -1
                                        ; implicit-def: $sgpr0_sgpr1
                                        ; implicit-def: $vgpr2_vgpr3
	s_branch .LBB496_207
.LBB496_205:
	s_mov_b32 s21, -1
                                        ; implicit-def: $sgpr0_sgpr1
                                        ; implicit-def: $vgpr2_vgpr3
.LBB496_206:
	s_mov_b32 s15, 0
.LBB496_207:
	s_delay_alu instid0(SALU_CYCLE_1)
	s_and_b32 vcc_lo, exec_lo, s15
	s_cbranch_vccz .LBB496_211
; %bb.208:
	v_cmp_eq_u16_e32 vcc_lo, 11, v19
	s_cbranch_vccz .LBB496_210
; %bb.209:
	global_load_u8 v2, v[0:1], off
	s_mov_b32 s21, 0
	s_mov_b32 s14, -1
	s_mov_b64 s[0:1], 0
	s_waitcnt vmcnt(0)
	v_cmp_ne_u16_e32 vcc_lo, 0, v2
	v_mov_b32_e32 v2, 0
	v_cndmask_b32_e64 v3, 0, 0x3ff00000, vcc_lo
	s_branch .LBB496_211
.LBB496_210:
	s_mov_b32 s21, -1
                                        ; implicit-def: $sgpr0_sgpr1
                                        ; implicit-def: $vgpr2_vgpr3
.LBB496_211:
	v_dual_mov_b32 v5, s1 :: v_dual_mov_b32 v4, s0
.LBB496_212:
	s_branch .LBB496_10
.LBB496_213:
	v_cmp_gt_i16_e32 vcc_lo, 5, v19
	s_cbranch_vccnz .LBB496_218
; %bb.214:
	v_cmp_gt_i16_e32 vcc_lo, 8, v19
	s_cbranch_vccnz .LBB496_219
; %bb.215:
	;; [unrolled: 3-line block ×3, first 2 shown]
	v_cmp_lt_i16_e32 vcc_lo, 9, v19
	s_cbranch_vccz .LBB496_221
; %bb.217:
	global_load_b128 v[2:5], v[0:1], off
	s_mov_b32 s0, 0
	s_branch .LBB496_222
.LBB496_218:
                                        ; implicit-def: $vgpr4_vgpr5
	s_branch .LBB496_241
.LBB496_219:
	s_mov_b32 s0, -1
                                        ; implicit-def: $vgpr4_vgpr5
	s_branch .LBB496_228
.LBB496_220:
	s_mov_b32 s0, -1
                                        ; implicit-def: $vgpr4_vgpr5
	s_branch .LBB496_225
.LBB496_221:
	s_mov_b32 s0, -1
                                        ; implicit-def: $vgpr4_vgpr5
.LBB496_222:
	s_delay_alu instid0(SALU_CYCLE_1)
	s_and_not1_b32 vcc_lo, exec_lo, s0
	s_cbranch_vccnz .LBB496_224
; %bb.223:
	global_load_b64 v[3:4], v[0:1], off
	s_waitcnt vmcnt(0)
	v_cvt_f64_f32_e32 v[2:3], v3
	v_cvt_f64_f32_e32 v[4:5], v4
.LBB496_224:
	s_mov_b32 s0, 0
.LBB496_225:
	s_delay_alu instid0(SALU_CYCLE_1)
	s_and_not1_b32 vcc_lo, exec_lo, s0
	s_cbranch_vccnz .LBB496_227
; %bb.226:
	global_load_b32 v2, v[0:1], off
	s_waitcnt vmcnt(0)
	v_lshrrev_b32_e32 v3, 16, v2
	v_cvt_f32_f16_e32 v2, v2
	s_delay_alu instid0(VALU_DEP_2) | instskip(NEXT) | instid1(VALU_DEP_2)
	v_cvt_f32_f16_e32 v4, v3
	v_cvt_f64_f32_e32 v[2:3], v2
	s_delay_alu instid0(VALU_DEP_2)
	v_cvt_f64_f32_e32 v[4:5], v4
.LBB496_227:
	s_mov_b32 s0, 0
.LBB496_228:
	s_delay_alu instid0(SALU_CYCLE_1)
	s_and_not1_b32 vcc_lo, exec_lo, s0
	s_cbranch_vccnz .LBB496_240
; %bb.229:
	v_cmp_gt_i16_e32 vcc_lo, 6, v19
	s_cbranch_vccnz .LBB496_232
; %bb.230:
	v_cmp_lt_i16_e32 vcc_lo, 6, v19
	s_cbranch_vccz .LBB496_233
; %bb.231:
	global_load_b64 v[2:3], v[0:1], off
	s_mov_b32 s14, 0
	s_mov_b64 s[0:1], 0
	s_branch .LBB496_234
.LBB496_232:
	s_mov_b32 s14, -1
                                        ; implicit-def: $sgpr0_sgpr1
                                        ; implicit-def: $vgpr2_vgpr3
	s_branch .LBB496_237
.LBB496_233:
	s_mov_b32 s14, -1
                                        ; implicit-def: $sgpr0_sgpr1
                                        ; implicit-def: $vgpr2_vgpr3
.LBB496_234:
	s_delay_alu instid0(SALU_CYCLE_1)
	s_and_not1_b32 vcc_lo, exec_lo, s14
	s_cbranch_vccnz .LBB496_236
; %bb.235:
	global_load_b32 v2, v[0:1], off
	s_mov_b64 s[0:1], 0
	s_waitcnt vmcnt(0)
	v_cvt_f64_f32_e32 v[2:3], v2
.LBB496_236:
	s_mov_b32 s14, 0
.LBB496_237:
	s_delay_alu instid0(SALU_CYCLE_1)
	s_and_not1_b32 vcc_lo, exec_lo, s14
	s_cbranch_vccnz .LBB496_239
; %bb.238:
	global_load_u16 v2, v[0:1], off
	s_mov_b64 s[0:1], 0
	s_waitcnt vmcnt(0)
	v_cvt_f32_f16_e32 v2, v2
	s_delay_alu instid0(VALU_DEP_1)
	v_cvt_f64_f32_e32 v[2:3], v2
.LBB496_239:
	s_waitcnt vmcnt(0)
	v_dual_mov_b32 v5, s1 :: v_dual_mov_b32 v4, s0
.LBB496_240:
	s_cbranch_execnz .LBB496_261
.LBB496_241:
	v_cmp_gt_i16_e32 vcc_lo, 2, v19
	s_cbranch_vccnz .LBB496_245
; %bb.242:
	v_cmp_gt_i16_e32 vcc_lo, 3, v19
	s_cbranch_vccnz .LBB496_246
; %bb.243:
	v_cmp_lt_i16_e32 vcc_lo, 3, v19
	s_cbranch_vccz .LBB496_247
; %bb.244:
	global_load_b64 v[2:3], v[0:1], off
	s_mov_b32 s14, 0
	s_mov_b64 s[0:1], 0
	s_waitcnt vmcnt(0)
	v_cvt_f64_i32_e32 v[3:4], v3
	v_cvt_f64_u32_e32 v[5:6], v2
	s_delay_alu instid0(VALU_DEP_2) | instskip(NEXT) | instid1(VALU_DEP_1)
	v_ldexp_f64 v[3:4], v[3:4], 32
	v_add_f64 v[2:3], v[3:4], v[5:6]
	s_branch .LBB496_248
.LBB496_245:
	s_mov_b32 s14, -1
                                        ; implicit-def: $sgpr0_sgpr1
                                        ; implicit-def: $vgpr2_vgpr3
	s_branch .LBB496_254
.LBB496_246:
	s_mov_b32 s14, -1
                                        ; implicit-def: $sgpr0_sgpr1
                                        ; implicit-def: $vgpr2_vgpr3
	s_branch .LBB496_251
.LBB496_247:
	s_mov_b32 s14, -1
                                        ; implicit-def: $sgpr0_sgpr1
                                        ; implicit-def: $vgpr2_vgpr3
.LBB496_248:
	s_delay_alu instid0(SALU_CYCLE_1)
	s_and_not1_b32 vcc_lo, exec_lo, s14
	s_cbranch_vccnz .LBB496_250
; %bb.249:
	global_load_b32 v2, v[0:1], off
	s_mov_b64 s[0:1], 0
	s_waitcnt vmcnt(0)
	v_cvt_f64_i32_e32 v[2:3], v2
.LBB496_250:
	s_mov_b32 s14, 0
.LBB496_251:
	s_delay_alu instid0(SALU_CYCLE_1)
	s_and_not1_b32 vcc_lo, exec_lo, s14
	s_cbranch_vccnz .LBB496_253
; %bb.252:
	global_load_i16 v2, v[0:1], off
	s_mov_b64 s[0:1], 0
	s_waitcnt vmcnt(0)
	v_cvt_f64_i32_e32 v[2:3], v2
.LBB496_253:
	s_mov_b32 s14, 0
.LBB496_254:
	s_delay_alu instid0(SALU_CYCLE_1)
	s_and_not1_b32 vcc_lo, exec_lo, s14
	s_cbranch_vccnz .LBB496_260
; %bb.255:
	v_cmp_lt_i16_e32 vcc_lo, 0, v19
	s_mov_b32 s14, 0
	s_cbranch_vccz .LBB496_257
; %bb.256:
	global_load_i8 v2, v[0:1], off
	s_mov_b64 s[0:1], 0
	s_waitcnt vmcnt(0)
	v_cvt_f64_i32_e32 v[2:3], v2
	s_branch .LBB496_258
.LBB496_257:
	s_mov_b32 s14, -1
                                        ; implicit-def: $sgpr0_sgpr1
                                        ; implicit-def: $vgpr2_vgpr3
.LBB496_258:
	s_delay_alu instid0(SALU_CYCLE_1)
	s_and_not1_b32 vcc_lo, exec_lo, s14
	s_cbranch_vccnz .LBB496_260
; %bb.259:
	global_load_u8 v0, v[0:1], off
	s_mov_b64 s[0:1], 0
	s_waitcnt vmcnt(0)
	v_cvt_f64_u32_e32 v[2:3], v0
.LBB496_260:
	s_waitcnt vmcnt(0)
	v_dual_mov_b32 v5, s1 :: v_dual_mov_b32 v4, s0
.LBB496_261:
	s_branch .LBB496_11
.LBB496_262:
	s_mov_b32 s0, 0
.LBB496_263:
	s_mov_b32 s1, 0
                                        ; implicit-def: $vgpr18
.LBB496_264:
	s_and_b32 s19, s0, exec_lo
	s_and_b32 s21, s21, exec_lo
	s_or_not1_b32 s1, s1, exec_lo
.LBB496_265:
	s_or_b32 exec_lo, exec_lo, s22
	s_mov_b32 s0, 0
	s_mov_b32 s15, 0
                                        ; implicit-def: $vgpr0_vgpr1
                                        ; implicit-def: $vgpr6_vgpr7
	s_and_saveexec_b32 s22, s1
	s_cbranch_execz .LBB496_902
; %bb.266:
	s_mov_b32 s15, -1
	s_mov_b32 s23, s21
	s_mov_b32 s24, s19
	s_mov_b32 s25, exec_lo
	v_cmpx_gt_i32_e64 s20, v18
	s_cbranch_execz .LBB496_538
; %bb.267:
	v_mul_lo_u32 v0, v18, s3
	v_cmp_gt_i16_e32 vcc_lo, 11, v19
	s_delay_alu instid0(VALU_DEP_2) | instskip(SKIP_1) | instid1(VALU_DEP_1)
	v_ashrrev_i32_e32 v1, 31, v0
	v_add_co_u32 v0, s0, s6, v0
	v_add_co_ci_u32_e64 v1, s0, s7, v1, s0
	s_cbranch_vccnz .LBB496_274
; %bb.268:
	v_cmp_lt_i16_e32 vcc_lo, 25, v19
	s_cbranch_vccz .LBB496_291
; %bb.269:
	v_cmp_lt_i16_e32 vcc_lo, 28, v19
	s_cbranch_vccz .LBB496_293
	;; [unrolled: 3-line block ×4, first 2 shown]
; %bb.272:
	v_cmp_eq_u16_e32 vcc_lo, 46, v19
	s_mov_b32 s0, 0
	s_cbranch_vccz .LBB496_303
; %bb.273:
	global_load_b32 v2, v[0:1], off
	s_mov_b32 s14, -1
	s_mov_b32 s23, 0
	s_waitcnt vmcnt(0)
	v_lshlrev_b32_e32 v3, 16, v2
	v_and_b32_e32 v4, 0xffff0000, v2
	s_delay_alu instid0(VALU_DEP_2) | instskip(NEXT) | instid1(VALU_DEP_2)
	v_cvt_f64_f32_e32 v[2:3], v3
	v_cvt_f64_f32_e32 v[4:5], v4
	s_branch .LBB496_305
.LBB496_274:
	s_mov_b32 s14, 0
	s_mov_b32 s23, s21
                                        ; implicit-def: $vgpr4_vgpr5
	s_cbranch_execnz .LBB496_485
.LBB496_275:
	s_and_not1_b32 vcc_lo, exec_lo, s14
	s_cbranch_vccnz .LBB496_535
.LBB496_276:
	v_dual_mov_b32 v0, s8 :: v_dual_mov_b32 v1, s9
	s_mov_b32 s0, exec_lo
	s_waitcnt vmcnt(0)
	s_delay_alu instid0(VALU_DEP_2)
	v_cmpx_o_f64_e32 v[2:3], v[2:3]
	s_cbranch_execz .LBB496_280
; %bb.277:
	v_dual_mov_b32 v0, s10 :: v_dual_mov_b32 v1, s11
	s_mov_b32 s1, exec_lo
	v_cmpx_neq_f64_e32 0x7ff00000, v[2:3]
; %bb.278:
	v_cmp_eq_f64_e32 vcc_lo, 0xfff00000, v[2:3]
	v_cndmask_b32_e64 v1, v3, s13, vcc_lo
	v_cndmask_b32_e64 v0, v2, s12, vcc_lo
; %bb.279:
	s_or_b32 exec_lo, exec_lo, s1
.LBB496_280:
	s_delay_alu instid0(SALU_CYCLE_1) | instskip(SKIP_2) | instid1(VALU_DEP_4)
	s_or_b32 exec_lo, exec_lo, s0
	v_dual_mov_b32 v2, s8 :: v_dual_mov_b32 v3, s9
	s_mov_b32 s0, exec_lo
	v_cmpx_o_f64_e32 v[4:5], v[4:5]
	s_cbranch_execz .LBB496_284
; %bb.281:
	v_dual_mov_b32 v2, s10 :: v_dual_mov_b32 v3, s11
	s_mov_b32 s1, exec_lo
	v_cmpx_neq_f64_e32 0x7ff00000, v[4:5]
; %bb.282:
	v_cmp_eq_f64_e32 vcc_lo, 0xfff00000, v[4:5]
	v_cndmask_b32_e64 v3, v5, s13, vcc_lo
	v_cndmask_b32_e64 v2, v4, s12, vcc_lo
; %bb.283:
	s_or_b32 exec_lo, exec_lo, s1
.LBB496_284:
	s_delay_alu instid0(SALU_CYCLE_1) | instskip(SKIP_2) | instid1(VALU_DEP_1)
	s_or_b32 exec_lo, exec_lo, s0
	v_mul_lo_u32 v4, v18, s2
	v_and_b32_e64 v6, 0xff, s16
	v_cmp_gt_i16_e32 vcc_lo, 11, v6
	s_delay_alu instid0(VALU_DEP_3) | instskip(SKIP_1) | instid1(VALU_DEP_1)
	v_ashrrev_i32_e32 v5, 31, v4
	v_add_co_u32 v4, s0, s4, v4
	v_add_co_ci_u32_e64 v5, s0, s5, v5, s0
	s_cbranch_vccnz .LBB496_292
; %bb.285:
	v_cmp_lt_i16_e32 vcc_lo, 25, v6
	s_cbranch_vccz .LBB496_294
; %bb.286:
	v_cmp_lt_i16_e32 vcc_lo, 28, v6
	s_cbranch_vccz .LBB496_296
	;; [unrolled: 3-line block ×4, first 2 shown]
; %bb.289:
	v_cmp_eq_u16_e32 vcc_lo, 46, v6
	s_mov_b32 s14, 0
	s_mov_b32 s0, -1
	s_mov_b32 s1, 0
	s_cbranch_vccz .LBB496_309
; %bb.290:
	v_cvt_f32_f64_e32 v7, v[2:3]
	v_cvt_f32_f64_e32 v8, v[0:1]
	s_mov_b32 s1, -1
	s_mov_b32 s0, 0
	s_delay_alu instid0(VALU_DEP_2) | instskip(NEXT) | instid1(VALU_DEP_2)
	v_bfe_u32 v9, v7, 16, 1
	v_bfe_u32 v10, v8, 16, 1
	v_cmp_o_f32_e32 vcc_lo, v7, v7
	s_delay_alu instid0(VALU_DEP_3) | instskip(NEXT) | instid1(VALU_DEP_3)
	v_add3_u32 v9, v7, v9, 0x7fff
	v_add3_u32 v10, v8, v10, 0x7fff
	s_delay_alu instid0(VALU_DEP_2) | instskip(NEXT) | instid1(VALU_DEP_2)
	v_and_b32_e32 v9, 0xffff0000, v9
	v_lshrrev_b32_e32 v10, 16, v10
	s_delay_alu instid0(VALU_DEP_2) | instskip(SKIP_1) | instid1(VALU_DEP_3)
	v_cndmask_b32_e32 v7, 0x7fc00000, v9, vcc_lo
	v_cmp_o_f32_e32 vcc_lo, v8, v8
	v_cndmask_b32_e32 v8, 0x7fc0, v10, vcc_lo
	s_delay_alu instid0(VALU_DEP_1)
	v_or_b32_e32 v7, v7, v8
	global_store_b32 v[4:5], v7, off
	s_branch .LBB496_309
.LBB496_291:
	s_mov_b32 s0, -1
	s_mov_b32 s14, 0
	s_mov_b32 s23, s21
                                        ; implicit-def: $vgpr4_vgpr5
	s_branch .LBB496_450
.LBB496_292:
	s_mov_b32 s14, -1
	s_mov_b32 s1, 0
	s_mov_b32 s0, s19
	s_branch .LBB496_378
.LBB496_293:
	s_mov_b32 s0, -1
	s_mov_b32 s14, 0
	s_mov_b32 s23, s21
                                        ; implicit-def: $vgpr4_vgpr5
	s_branch .LBB496_429
.LBB496_294:
	s_mov_b32 s14, -1
	s_mov_b32 s1, 0
	s_mov_b32 s0, s19
	s_branch .LBB496_336
.LBB496_295:
	s_mov_b32 s0, -1
	s_mov_b32 s14, 0
	s_mov_b32 s23, s21
                                        ; implicit-def: $vgpr4_vgpr5
	s_branch .LBB496_423
.LBB496_296:
	s_mov_b32 s14, -1
	s_mov_b32 s1, 0
	s_mov_b32 s0, s19
	s_branch .LBB496_319
.LBB496_297:
	s_or_saveexec_b32 s15, s15
                                        ; implicit-def: $sgpr19
	s_delay_alu instid0(SALU_CYCLE_1)
	s_xor_b32 exec_lo, exec_lo, s15
	s_cbranch_execz .LBB496_62
.LBB496_298:
	v_add_f32_e64 v8, 0x46000000, |v7|
	s_and_not1_b32 s14, s14, exec_lo
	s_mov_b32 s19, 0
	s_delay_alu instid0(VALU_DEP_1) | instskip(NEXT) | instid1(VALU_DEP_1)
	v_and_b32_e32 v8, 0xff, v8
	v_cmp_ne_u32_e32 vcc_lo, 0, v8
	s_and_b32 s24, vcc_lo, exec_lo
	s_delay_alu instid0(SALU_CYCLE_1)
	s_or_b32 s14, s14, s24
	s_or_b32 exec_lo, exec_lo, s15
	v_mov_b32_e32 v9, s19
	s_and_saveexec_b32 s15, s14
	s_cbranch_execnz .LBB496_63
	s_branch .LBB496_64
.LBB496_299:
	s_mov_b32 s0, -1
	s_mov_b32 s14, 0
	s_mov_b32 s23, s21
	s_branch .LBB496_304
.LBB496_300:
	s_mov_b32 s14, -1
	s_mov_b32 s1, 0
	s_mov_b32 s0, s19
	s_branch .LBB496_315
.LBB496_301:
	s_or_saveexec_b32 s15, s15
                                        ; implicit-def: $sgpr19
	s_delay_alu instid0(SALU_CYCLE_1)
	s_xor_b32 exec_lo, exec_lo, s15
	s_cbranch_execz .LBB496_75
.LBB496_302:
	v_add_f32_e64 v8, 0x42800000, |v7|
	s_and_not1_b32 s14, s14, exec_lo
	s_mov_b32 s19, 0
	s_delay_alu instid0(VALU_DEP_1) | instskip(NEXT) | instid1(VALU_DEP_1)
	v_and_b32_e32 v8, 0xff, v8
	v_cmp_ne_u32_e32 vcc_lo, 0, v8
	s_and_b32 s24, vcc_lo, exec_lo
	s_delay_alu instid0(SALU_CYCLE_1)
	s_or_b32 s14, s14, s24
	s_or_b32 exec_lo, exec_lo, s15
	v_mov_b32_e32 v9, s19
	s_and_saveexec_b32 s15, s14
	s_cbranch_execnz .LBB496_76
	s_branch .LBB496_77
.LBB496_303:
	s_mov_b32 s23, -1
	s_mov_b32 s14, 0
.LBB496_304:
                                        ; implicit-def: $vgpr4_vgpr5
.LBB496_305:
	s_and_b32 vcc_lo, exec_lo, s0
	s_cbranch_vccz .LBB496_422
; %bb.306:
	v_cmp_eq_u16_e32 vcc_lo, 44, v19
	s_cbranch_vccz .LBB496_420
; %bb.307:
	global_load_u8 v4, v[0:1], off
	s_mov_b32 s23, 0
	s_mov_b32 s14, -1
	s_mov_b64 s[0:1], 0
	s_waitcnt vmcnt(0)
	v_cmp_ne_u32_e32 vcc_lo, 0xff, v4
	v_lshlrev_b32_e32 v2, 23, v4
	s_delay_alu instid0(VALU_DEP_1) | instskip(NEXT) | instid1(VALU_DEP_1)
	v_cvt_f64_f32_e32 v[2:3], v2
	v_cndmask_b32_e32 v3, 0x7ff80000, v3, vcc_lo
	s_delay_alu instid0(VALU_DEP_2) | instskip(SKIP_1) | instid1(VALU_DEP_3)
	v_cndmask_b32_e32 v2, 0x20000000, v2, vcc_lo
	v_cmp_ne_u32_e32 vcc_lo, 0, v4
	v_cndmask_b32_e32 v3, 0x38000000, v3, vcc_lo
	s_delay_alu instid0(VALU_DEP_3)
	v_cndmask_b32_e32 v2, 0, v2, vcc_lo
	s_branch .LBB496_421
.LBB496_308:
	s_mov_b32 s14, -1
	s_mov_b32 s1, 0
	s_mov_b32 s0, s19
.LBB496_309:
	s_and_b32 vcc_lo, exec_lo, s14
	s_cbranch_vccz .LBB496_314
; %bb.310:
	v_cmp_eq_u16_e32 vcc_lo, 44, v6
	s_mov_b32 s0, -1
	s_cbranch_vccz .LBB496_314
; %bb.311:
	v_cvt_f32_f64_e32 v7, v[0:1]
	v_mov_b32_e32 v8, 0xff
	s_mov_b32 s1, exec_lo
	s_delay_alu instid0(VALU_DEP_2) | instskip(NEXT) | instid1(VALU_DEP_1)
	v_bfe_u32 v9, v7, 23, 8
	v_cmpx_ne_u32_e32 0xff, v9
; %bb.312:
	v_and_b32_e32 v8, 0x400000, v7
	v_and_or_b32 v9, 0x3fffff, v7, v9
	v_lshrrev_b32_e32 v7, 23, v7
	s_delay_alu instid0(VALU_DEP_3) | instskip(NEXT) | instid1(VALU_DEP_3)
	v_cmp_ne_u32_e32 vcc_lo, 0, v8
	v_cmp_ne_u32_e64 s0, 0, v9
	s_delay_alu instid0(VALU_DEP_1) | instskip(NEXT) | instid1(SALU_CYCLE_1)
	s_and_b32 s0, vcc_lo, s0
	v_cndmask_b32_e64 v8, 0, 1, s0
	s_delay_alu instid0(VALU_DEP_1)
	v_add_nc_u32_e32 v8, v7, v8
; %bb.313:
	s_or_b32 exec_lo, exec_lo, s1
	s_mov_b32 s1, -1
	s_mov_b32 s0, 0
	global_store_b8 v[4:5], v8, off
.LBB496_314:
	s_mov_b32 s14, 0
.LBB496_315:
	s_delay_alu instid0(SALU_CYCLE_1)
	s_and_b32 vcc_lo, exec_lo, s14
	s_cbranch_vccz .LBB496_318
; %bb.316:
	v_cmp_eq_u16_e32 vcc_lo, 29, v6
	s_mov_b32 s0, -1
	s_cbranch_vccz .LBB496_318
; %bb.317:
	v_trunc_f64_e32 v[7:8], v[0:1]
	s_mov_b32 s1, -1
	s_mov_b32 s0, 0
	s_mov_b32 s14, 0
	s_delay_alu instid0(VALU_DEP_1) | instskip(NEXT) | instid1(VALU_DEP_1)
	v_ldexp_f64 v[9:10], v[7:8], 0xffffffe0
	v_floor_f64_e32 v[9:10], v[9:10]
	s_delay_alu instid0(VALU_DEP_1) | instskip(SKIP_1) | instid1(VALU_DEP_2)
	v_fma_f64 v[7:8], 0xc1f00000, v[9:10], v[7:8]
	v_cvt_u32_f64_e32 v9, v[9:10]
	v_cvt_u32_f64_e32 v8, v[7:8]
	global_store_b64 v[4:5], v[8:9], off
	s_branch .LBB496_319
.LBB496_318:
	s_mov_b32 s14, 0
.LBB496_319:
	s_delay_alu instid0(SALU_CYCLE_1)
	s_and_b32 vcc_lo, exec_lo, s14
	s_cbranch_vccz .LBB496_335
; %bb.320:
	v_cmp_gt_i16_e32 vcc_lo, 27, v6
	s_mov_b32 s1, -1
	s_cbranch_vccnz .LBB496_326
; %bb.321:
	v_cmp_lt_i16_e32 vcc_lo, 27, v6
	s_cbranch_vccz .LBB496_323
; %bb.322:
	v_cvt_u32_f64_e32 v7, v[0:1]
	s_mov_b32 s1, 0
	global_store_b32 v[4:5], v7, off
.LBB496_323:
	s_and_not1_b32 vcc_lo, exec_lo, s1
	s_cbranch_vccnz .LBB496_325
; %bb.324:
	v_cvt_u32_f64_e32 v7, v[0:1]
	global_store_b16 v[4:5], v7, off
.LBB496_325:
	s_mov_b32 s1, 0
.LBB496_326:
	s_delay_alu instid0(SALU_CYCLE_1)
	s_and_not1_b32 vcc_lo, exec_lo, s1
	s_cbranch_vccnz .LBB496_334
; %bb.327:
	v_cvt_f32_f64_e32 v7, v[0:1]
	v_mov_b32_e32 v9, 0x80
	s_mov_b32 s1, exec_lo
	s_delay_alu instid0(VALU_DEP_2) | instskip(NEXT) | instid1(VALU_DEP_1)
	v_and_b32_e32 v8, 0x7fffffff, v7
	v_cmpx_gt_u32_e32 0x43800000, v8
	s_cbranch_execz .LBB496_333
; %bb.328:
	v_cmp_lt_u32_e32 vcc_lo, 0x3bffffff, v8
	s_mov_b32 s14, 0
                                        ; implicit-def: $vgpr8
	s_and_saveexec_b32 s15, vcc_lo
	s_delay_alu instid0(SALU_CYCLE_1)
	s_xor_b32 s15, exec_lo, s15
	s_cbranch_execz .LBB496_551
; %bb.329:
	v_bfe_u32 v8, v7, 20, 1
	s_mov_b32 s14, exec_lo
	s_delay_alu instid0(VALU_DEP_1) | instskip(NEXT) | instid1(VALU_DEP_1)
	v_add3_u32 v8, v7, v8, 0x487ffff
	v_lshrrev_b32_e32 v8, 20, v8
	s_or_saveexec_b32 s15, s15
                                        ; implicit-def: $sgpr24
	s_delay_alu instid0(SALU_CYCLE_1)
	s_xor_b32 exec_lo, exec_lo, s15
	s_cbranch_execnz .LBB496_552
.LBB496_330:
	s_or_b32 exec_lo, exec_lo, s15
	v_mov_b32_e32 v9, s24
	s_and_saveexec_b32 s15, s14
.LBB496_331:
	v_lshrrev_b32_e32 v7, 24, v7
	s_delay_alu instid0(VALU_DEP_1)
	v_and_or_b32 v9, 0x80, v7, v8
.LBB496_332:
	s_or_b32 exec_lo, exec_lo, s15
.LBB496_333:
	s_delay_alu instid0(SALU_CYCLE_1)
	s_or_b32 exec_lo, exec_lo, s1
	global_store_b8 v[4:5], v9, off
.LBB496_334:
	s_mov_b32 s1, -1
.LBB496_335:
	s_mov_b32 s14, 0
.LBB496_336:
	s_delay_alu instid0(SALU_CYCLE_1)
	s_and_b32 vcc_lo, exec_lo, s14
	s_cbranch_vccz .LBB496_377
; %bb.337:
	v_cmp_lt_i16_e32 vcc_lo, 22, v6
	s_mov_b32 s14, -1
	s_cbranch_vccz .LBB496_369
; %bb.338:
	v_cmp_gt_i16_e32 vcc_lo, 24, v6
	s_mov_b32 s1, -1
	s_cbranch_vccnz .LBB496_358
; %bb.339:
	v_cmp_lt_i16_e32 vcc_lo, 24, v6
	s_cbranch_vccz .LBB496_347
; %bb.340:
	v_cvt_f32_f64_e32 v7, v[0:1]
	v_mov_b32_e32 v9, 0x80
	s_mov_b32 s1, exec_lo
	s_delay_alu instid0(VALU_DEP_2) | instskip(NEXT) | instid1(VALU_DEP_1)
	v_and_b32_e32 v8, 0x7fffffff, v7
	v_cmpx_gt_u32_e32 0x47800000, v8
	s_cbranch_execz .LBB496_346
; %bb.341:
	v_cmp_lt_u32_e32 vcc_lo, 0x37ffffff, v8
	s_mov_b32 s14, 0
                                        ; implicit-def: $vgpr8
	s_and_saveexec_b32 s15, vcc_lo
	s_delay_alu instid0(SALU_CYCLE_1)
	s_xor_b32 s15, exec_lo, s15
	s_cbranch_execz .LBB496_554
; %bb.342:
	v_bfe_u32 v8, v7, 21, 1
	s_mov_b32 s14, exec_lo
	s_delay_alu instid0(VALU_DEP_1) | instskip(NEXT) | instid1(VALU_DEP_1)
	v_add3_u32 v8, v7, v8, 0x88fffff
	v_lshrrev_b32_e32 v8, 21, v8
	s_or_saveexec_b32 s15, s15
                                        ; implicit-def: $sgpr24
	s_delay_alu instid0(SALU_CYCLE_1)
	s_xor_b32 exec_lo, exec_lo, s15
	s_cbranch_execnz .LBB496_555
.LBB496_343:
	s_or_b32 exec_lo, exec_lo, s15
	v_mov_b32_e32 v9, s24
	s_and_saveexec_b32 s15, s14
.LBB496_344:
	v_lshrrev_b32_e32 v7, 24, v7
	s_delay_alu instid0(VALU_DEP_1)
	v_and_or_b32 v9, 0x80, v7, v8
.LBB496_345:
	s_or_b32 exec_lo, exec_lo, s15
.LBB496_346:
	s_delay_alu instid0(SALU_CYCLE_1)
	s_or_b32 exec_lo, exec_lo, s1
	s_mov_b32 s1, 0
	global_store_b8 v[4:5], v9, off
.LBB496_347:
	s_and_b32 vcc_lo, exec_lo, s1
	s_cbranch_vccz .LBB496_357
; %bb.348:
	v_cvt_f32_f64_e32 v7, v[0:1]
	s_mov_b32 s1, exec_lo
                                        ; implicit-def: $vgpr8
	s_delay_alu instid0(VALU_DEP_1) | instskip(NEXT) | instid1(VALU_DEP_1)
	v_and_b32_e32 v9, 0x7fffffff, v7
	v_cmpx_gt_u32_e32 0x43f00000, v9
	s_xor_b32 s1, exec_lo, s1
	s_cbranch_execz .LBB496_354
; %bb.349:
	s_mov_b32 s14, exec_lo
                                        ; implicit-def: $vgpr8
	v_cmpx_lt_u32_e32 0x3c7fffff, v9
	s_xor_b32 s14, exec_lo, s14
; %bb.350:
	v_bfe_u32 v8, v7, 20, 1
	s_delay_alu instid0(VALU_DEP_1) | instskip(NEXT) | instid1(VALU_DEP_1)
	v_add3_u32 v8, v7, v8, 0x407ffff
	v_and_b32_e32 v9, 0xff00000, v8
	v_lshrrev_b32_e32 v8, 20, v8
	s_delay_alu instid0(VALU_DEP_2) | instskip(NEXT) | instid1(VALU_DEP_2)
	v_cmp_ne_u32_e32 vcc_lo, 0x7f00000, v9
	v_cndmask_b32_e32 v8, 0x7e, v8, vcc_lo
; %bb.351:
	s_and_not1_saveexec_b32 s14, s14
; %bb.352:
	v_add_f32_e64 v8, 0x46800000, |v7|
; %bb.353:
	s_or_b32 exec_lo, exec_lo, s14
                                        ; implicit-def: $vgpr9
.LBB496_354:
	s_and_not1_saveexec_b32 s1, s1
; %bb.355:
	v_mov_b32_e32 v8, 0x7f
	v_cmp_lt_u32_e32 vcc_lo, 0x7f800000, v9
	s_delay_alu instid0(VALU_DEP_2)
	v_cndmask_b32_e32 v8, 0x7e, v8, vcc_lo
; %bb.356:
	s_or_b32 exec_lo, exec_lo, s1
	v_lshrrev_b32_e32 v7, 24, v7
	s_delay_alu instid0(VALU_DEP_1)
	v_and_or_b32 v7, 0x80, v7, v8
	global_store_b8 v[4:5], v7, off
.LBB496_357:
	s_mov_b32 s1, 0
.LBB496_358:
	s_delay_alu instid0(SALU_CYCLE_1)
	s_and_not1_b32 vcc_lo, exec_lo, s1
	s_cbranch_vccnz .LBB496_368
; %bb.359:
	v_cvt_f32_f64_e32 v7, v[0:1]
	s_mov_b32 s1, exec_lo
                                        ; implicit-def: $vgpr8
	s_delay_alu instid0(VALU_DEP_1) | instskip(NEXT) | instid1(VALU_DEP_1)
	v_and_b32_e32 v9, 0x7fffffff, v7
	v_cmpx_gt_u32_e32 0x47800000, v9
	s_xor_b32 s1, exec_lo, s1
	s_cbranch_execz .LBB496_365
; %bb.360:
	s_mov_b32 s14, exec_lo
                                        ; implicit-def: $vgpr8
	v_cmpx_lt_u32_e32 0x387fffff, v9
	s_xor_b32 s14, exec_lo, s14
; %bb.361:
	v_bfe_u32 v8, v7, 21, 1
	s_delay_alu instid0(VALU_DEP_1) | instskip(NEXT) | instid1(VALU_DEP_1)
	v_add3_u32 v8, v7, v8, 0x80fffff
	v_lshrrev_b32_e32 v8, 21, v8
; %bb.362:
	s_and_not1_saveexec_b32 s14, s14
; %bb.363:
	v_add_f32_e64 v8, 0x43000000, |v7|
; %bb.364:
	s_or_b32 exec_lo, exec_lo, s14
                                        ; implicit-def: $vgpr9
.LBB496_365:
	s_and_not1_saveexec_b32 s1, s1
; %bb.366:
	v_mov_b32_e32 v8, 0x7f
	v_cmp_lt_u32_e32 vcc_lo, 0x7f800000, v9
	s_delay_alu instid0(VALU_DEP_2)
	v_cndmask_b32_e32 v8, 0x7c, v8, vcc_lo
; %bb.367:
	s_or_b32 exec_lo, exec_lo, s1
	v_lshrrev_b32_e32 v7, 24, v7
	s_delay_alu instid0(VALU_DEP_1)
	v_and_or_b32 v7, 0x80, v7, v8
	global_store_b8 v[4:5], v7, off
.LBB496_368:
	s_mov_b32 s14, 0
	s_mov_b32 s1, -1
.LBB496_369:
	s_and_not1_b32 vcc_lo, exec_lo, s14
	s_cbranch_vccnz .LBB496_377
; %bb.370:
	v_cmp_lt_i16_e32 vcc_lo, 14, v6
	s_mov_b32 s14, -1
	s_cbranch_vccz .LBB496_374
; %bb.371:
	v_cmp_eq_u16_e32 vcc_lo, 15, v6
	s_mov_b32 s0, -1
	s_cbranch_vccz .LBB496_373
; %bb.372:
	v_cvt_f32_f64_e32 v7, v[0:1]
	s_mov_b32 s1, -1
	s_mov_b32 s0, 0
	s_delay_alu instid0(VALU_DEP_1) | instskip(SKIP_1) | instid1(VALU_DEP_2)
	v_bfe_u32 v8, v7, 16, 1
	v_cmp_o_f32_e32 vcc_lo, v7, v7
	v_add3_u32 v8, v7, v8, 0x7fff
	s_delay_alu instid0(VALU_DEP_1) | instskip(NEXT) | instid1(VALU_DEP_1)
	v_lshrrev_b32_e32 v8, 16, v8
	v_cndmask_b32_e32 v7, 0x7fc0, v8, vcc_lo
	global_store_b16 v[4:5], v7, off
.LBB496_373:
	s_mov_b32 s14, 0
.LBB496_374:
	s_delay_alu instid0(SALU_CYCLE_1)
	s_and_b32 vcc_lo, exec_lo, s14
	s_cbranch_vccz .LBB496_377
; %bb.375:
	v_cmp_eq_u16_e32 vcc_lo, 11, v6
	s_mov_b32 s0, -1
	s_cbranch_vccz .LBB496_377
; %bb.376:
	v_cmp_neq_f64_e32 vcc_lo, 0, v[0:1]
	v_cmp_neq_f64_e64 s0, 0, v[2:3]
	s_mov_b32 s1, -1
	s_delay_alu instid0(VALU_DEP_1) | instskip(NEXT) | instid1(SALU_CYCLE_1)
	s_or_b32 s0, vcc_lo, s0
	v_cndmask_b32_e64 v7, 0, 1, s0
	s_mov_b32 s0, 0
	global_store_b8 v[4:5], v7, off
.LBB496_377:
	s_mov_b32 s14, 0
.LBB496_378:
	s_delay_alu instid0(SALU_CYCLE_1)
	s_and_b32 vcc_lo, exec_lo, s14
	s_cbranch_vccz .LBB496_417
; %bb.379:
	v_cmp_gt_i16_e32 vcc_lo, 5, v6
	s_mov_b32 s1, -1
	s_cbranch_vccnz .LBB496_400
; %bb.380:
	v_cmp_gt_i16_e32 vcc_lo, 8, v6
	s_cbranch_vccnz .LBB496_390
; %bb.381:
	v_cmp_gt_i16_e32 vcc_lo, 9, v6
	s_cbranch_vccnz .LBB496_387
; %bb.382:
	v_cmp_lt_i16_e32 vcc_lo, 9, v6
	s_cbranch_vccz .LBB496_384
; %bb.383:
	s_mov_b32 s1, 0
	global_store_b128 v[4:5], v[0:3], off
.LBB496_384:
	s_and_not1_b32 vcc_lo, exec_lo, s1
	s_cbranch_vccnz .LBB496_386
; %bb.385:
	v_cvt_f32_f64_e32 v7, v[0:1]
	v_cvt_f32_f64_e32 v8, v[2:3]
	global_store_b64 v[4:5], v[7:8], off
.LBB496_386:
	s_mov_b32 s1, 0
.LBB496_387:
	s_delay_alu instid0(SALU_CYCLE_1)
	s_and_not1_b32 vcc_lo, exec_lo, s1
	s_cbranch_vccnz .LBB496_389
; %bb.388:
	v_cvt_f32_f64_e32 v2, v[2:3]
	v_cvt_f32_f64_e32 v3, v[0:1]
	s_delay_alu instid0(VALU_DEP_2) | instskip(NEXT) | instid1(VALU_DEP_2)
	v_cvt_f16_f32_e32 v2, v2
	v_cvt_f16_f32_e32 v3, v3
	s_delay_alu instid0(VALU_DEP_2) | instskip(NEXT) | instid1(VALU_DEP_2)
	v_lshlrev_b32_e32 v2, 16, v2
	v_and_b32_e32 v3, 0xffff, v3
	s_delay_alu instid0(VALU_DEP_1)
	v_or_b32_e32 v2, v2, v3
	global_store_b32 v[4:5], v2, off
.LBB496_389:
	s_mov_b32 s1, 0
.LBB496_390:
	s_delay_alu instid0(SALU_CYCLE_1)
	s_and_not1_b32 vcc_lo, exec_lo, s1
	s_cbranch_vccnz .LBB496_399
; %bb.391:
	v_cmp_gt_i16_e32 vcc_lo, 6, v6
	s_mov_b32 s1, -1
	s_cbranch_vccnz .LBB496_397
; %bb.392:
	v_cmp_lt_i16_e32 vcc_lo, 6, v6
	s_cbranch_vccz .LBB496_394
; %bb.393:
	s_mov_b32 s1, 0
	global_store_b64 v[4:5], v[0:1], off
.LBB496_394:
	s_and_not1_b32 vcc_lo, exec_lo, s1
	s_cbranch_vccnz .LBB496_396
; %bb.395:
	v_cvt_f32_f64_e32 v2, v[0:1]
	global_store_b32 v[4:5], v2, off
.LBB496_396:
	s_mov_b32 s1, 0
.LBB496_397:
	s_delay_alu instid0(SALU_CYCLE_1)
	s_and_not1_b32 vcc_lo, exec_lo, s1
	s_cbranch_vccnz .LBB496_399
; %bb.398:
	v_cvt_f32_f64_e32 v2, v[0:1]
	s_delay_alu instid0(VALU_DEP_1)
	v_cvt_f16_f32_e32 v2, v2
	global_store_b16 v[4:5], v2, off
.LBB496_399:
	s_mov_b32 s1, 0
.LBB496_400:
	s_delay_alu instid0(SALU_CYCLE_1)
	s_and_not1_b32 vcc_lo, exec_lo, s1
	s_cbranch_vccnz .LBB496_416
; %bb.401:
	v_cmp_gt_i16_e32 vcc_lo, 2, v6
	s_mov_b32 s1, -1
	s_cbranch_vccnz .LBB496_411
; %bb.402:
	v_cmp_gt_i16_e32 vcc_lo, 3, v6
	s_cbranch_vccnz .LBB496_408
; %bb.403:
	v_cmp_lt_i16_e32 vcc_lo, 3, v6
	s_cbranch_vccz .LBB496_405
; %bb.404:
	v_trunc_f64_e32 v[2:3], v[0:1]
	s_mov_b32 s1, 0
	s_delay_alu instid0(VALU_DEP_1) | instskip(NEXT) | instid1(VALU_DEP_1)
	v_ldexp_f64 v[7:8], v[2:3], 0xffffffe0
	v_floor_f64_e32 v[7:8], v[7:8]
	s_delay_alu instid0(VALU_DEP_1) | instskip(SKIP_1) | instid1(VALU_DEP_2)
	v_fma_f64 v[2:3], 0xc1f00000, v[7:8], v[2:3]
	v_cvt_i32_f64_e32 v8, v[7:8]
	v_cvt_u32_f64_e32 v7, v[2:3]
	global_store_b64 v[4:5], v[7:8], off
.LBB496_405:
	s_and_not1_b32 vcc_lo, exec_lo, s1
	s_cbranch_vccnz .LBB496_407
; %bb.406:
	v_cvt_i32_f64_e32 v2, v[0:1]
	global_store_b32 v[4:5], v2, off
.LBB496_407:
	s_mov_b32 s1, 0
.LBB496_408:
	s_delay_alu instid0(SALU_CYCLE_1)
	s_and_not1_b32 vcc_lo, exec_lo, s1
	s_cbranch_vccnz .LBB496_410
; %bb.409:
	v_cvt_i32_f64_e32 v2, v[0:1]
	global_store_b16 v[4:5], v2, off
.LBB496_410:
	s_mov_b32 s1, 0
.LBB496_411:
	s_delay_alu instid0(SALU_CYCLE_1)
	s_and_not1_b32 vcc_lo, exec_lo, s1
	s_cbranch_vccnz .LBB496_416
; %bb.412:
	v_cmp_lt_i16_e32 vcc_lo, 0, v6
	s_mov_b32 s1, -1
	s_cbranch_vccz .LBB496_414
; %bb.413:
	v_cvt_i32_f64_e32 v2, v[0:1]
	s_mov_b32 s1, 0
	global_store_b8 v[4:5], v2, off
.LBB496_414:
	s_and_not1_b32 vcc_lo, exec_lo, s1
	s_cbranch_vccnz .LBB496_416
; %bb.415:
	v_trunc_f64_e32 v[0:1], v[0:1]
	s_delay_alu instid0(VALU_DEP_1) | instskip(NEXT) | instid1(VALU_DEP_1)
	v_ldexp_f64 v[2:3], v[0:1], 0xffffffe0
	v_floor_f64_e32 v[2:3], v[2:3]
	s_delay_alu instid0(VALU_DEP_1) | instskip(NEXT) | instid1(VALU_DEP_1)
	v_fma_f64 v[0:1], 0xc1f00000, v[2:3], v[0:1]
	v_cvt_u32_f64_e32 v0, v[0:1]
	global_store_b8 v[4:5], v0, off
.LBB496_416:
	s_mov_b32 s1, -1
.LBB496_417:
	s_delay_alu instid0(SALU_CYCLE_1)
	s_and_not1_b32 vcc_lo, exec_lo, s1
	s_cbranch_vccnz .LBB496_419
; %bb.418:
	v_add_nc_u32_e32 v18, 0x80, v18
	s_mov_b32 s1, -1
	s_branch .LBB496_537
.LBB496_419:
	s_mov_b32 s1, 0
	s_branch .LBB496_536
.LBB496_420:
	s_mov_b32 s23, -1
                                        ; implicit-def: $sgpr0_sgpr1
                                        ; implicit-def: $vgpr2_vgpr3
.LBB496_421:
	s_waitcnt vmcnt(0)
	v_dual_mov_b32 v5, s1 :: v_dual_mov_b32 v4, s0
.LBB496_422:
	s_mov_b32 s0, 0
.LBB496_423:
	s_delay_alu instid0(SALU_CYCLE_1)
	s_and_b32 vcc_lo, exec_lo, s0
	s_cbranch_vccz .LBB496_428
; %bb.424:
	v_cmp_eq_u16_e32 vcc_lo, 29, v19
	s_cbranch_vccz .LBB496_426
; %bb.425:
	global_load_b64 v[2:3], v[0:1], off
	s_mov_b32 s14, -1
	s_mov_b32 s23, 0
	s_mov_b64 s[0:1], 0
	s_waitcnt vmcnt(0)
	v_cvt_f64_u32_e32 v[3:4], v3
	v_cvt_f64_u32_e32 v[5:6], v2
	s_delay_alu instid0(VALU_DEP_2) | instskip(NEXT) | instid1(VALU_DEP_1)
	v_ldexp_f64 v[3:4], v[3:4], 32
	v_add_f64 v[2:3], v[3:4], v[5:6]
	s_branch .LBB496_427
.LBB496_426:
	s_mov_b32 s23, -1
                                        ; implicit-def: $sgpr0_sgpr1
                                        ; implicit-def: $vgpr2_vgpr3
.LBB496_427:
	s_waitcnt vmcnt(0)
	v_dual_mov_b32 v5, s1 :: v_dual_mov_b32 v4, s0
.LBB496_428:
	s_mov_b32 s0, 0
.LBB496_429:
	s_delay_alu instid0(SALU_CYCLE_1)
	s_and_b32 vcc_lo, exec_lo, s0
	s_cbranch_vccz .LBB496_449
; %bb.430:
	v_cmp_gt_i16_e32 vcc_lo, 27, v19
	s_cbranch_vccnz .LBB496_433
; %bb.431:
	v_cmp_lt_i16_e32 vcc_lo, 27, v19
	s_cbranch_vccz .LBB496_434
; %bb.432:
	global_load_b32 v2, v[0:1], off
	s_mov_b32 s14, 0
	s_mov_b64 s[0:1], 0
	s_waitcnt vmcnt(0)
	v_cvt_f64_u32_e32 v[2:3], v2
	s_branch .LBB496_435
.LBB496_433:
	s_mov_b32 s14, -1
                                        ; implicit-def: $sgpr0_sgpr1
                                        ; implicit-def: $vgpr2_vgpr3
	s_branch .LBB496_438
.LBB496_434:
	s_mov_b32 s14, -1
                                        ; implicit-def: $sgpr0_sgpr1
                                        ; implicit-def: $vgpr2_vgpr3
.LBB496_435:
	s_delay_alu instid0(SALU_CYCLE_1)
	s_and_not1_b32 vcc_lo, exec_lo, s14
	s_cbranch_vccnz .LBB496_437
; %bb.436:
	global_load_u16 v2, v[0:1], off
	s_mov_b64 s[0:1], 0
	s_waitcnt vmcnt(0)
	v_cvt_f64_u32_e32 v[2:3], v2
.LBB496_437:
	s_mov_b32 s14, 0
.LBB496_438:
	s_waitcnt vmcnt(0)
	v_dual_mov_b32 v5, s1 :: v_dual_mov_b32 v4, s0
	s_and_not1_b32 vcc_lo, exec_lo, s14
	s_cbranch_vccnz .LBB496_448
; %bb.439:
	global_load_u8 v6, v[0:1], off
	s_mov_b32 s24, 0
	s_mov_b32 s26, exec_lo
                                        ; implicit-def: $sgpr0_sgpr1
                                        ; implicit-def: $sgpr14_sgpr15
	s_waitcnt vmcnt(0)
	v_cmpx_lt_i16_e32 0x7f, v6
	s_xor_b32 s26, exec_lo, s26
	s_cbranch_execz .LBB496_443
; %bb.440:
	s_mov_b32 s24, -1
	s_mov_b32 s27, exec_lo
                                        ; implicit-def: $sgpr0_sgpr1
                                        ; implicit-def: $sgpr14_sgpr15
	v_cmpx_eq_u16_e32 0x80, v6
; %bb.441:
	s_mov_b64 s[0:1], 0
	s_mov_b32 s15, 0x7ff80000
	s_brev_b32 s14, 4
	s_xor_b32 s24, exec_lo, -1
; %bb.442:
	s_or_b32 exec_lo, exec_lo, s27
	s_delay_alu instid0(SALU_CYCLE_1)
	s_and_b32 s24, s24, exec_lo
.LBB496_443:
	s_or_saveexec_b32 s26, s26
	v_dual_mov_b32 v5, s1 :: v_dual_mov_b32 v4, s0
	v_dual_mov_b32 v2, s14 :: v_dual_mov_b32 v3, s15
	s_xor_b32 exec_lo, exec_lo, s26
; %bb.444:
	v_mov_b32_e32 v4, 0
	v_mov_b32_e32 v5, 0
	v_cmp_ne_u16_e32 vcc_lo, 0, v6
	s_delay_alu instid0(VALU_DEP_3) | instskip(SKIP_1) | instid1(VALU_DEP_3)
	v_mov_b32_e32 v2, v4
	s_and_not1_b32 s0, s24, exec_lo
	v_mov_b32_e32 v3, v5
	s_and_b32 s1, vcc_lo, exec_lo
	s_delay_alu instid0(SALU_CYCLE_1)
	s_or_b32 s24, s0, s1
; %bb.445:
	s_or_b32 exec_lo, exec_lo, s26
	s_and_saveexec_b32 s0, s24
	s_cbranch_execz .LBB496_447
; %bb.446:
	v_and_b32_e32 v2, 0xffff, v6
	v_lshlrev_b32_e32 v6, 24, v6
	s_delay_alu instid0(VALU_DEP_2) | instskip(NEXT) | instid1(VALU_DEP_1)
	v_and_b32_e32 v3, 7, v2
	v_clz_i32_u32_e32 v4, v3
	s_delay_alu instid0(VALU_DEP_1) | instskip(NEXT) | instid1(VALU_DEP_1)
	v_min_u32_e32 v4, 32, v4
	v_subrev_nc_u32_e32 v5, 28, v4
	v_sub_nc_u32_e32 v4, 29, v4
	s_delay_alu instid0(VALU_DEP_2) | instskip(SKIP_1) | instid1(VALU_DEP_2)
	v_lshlrev_b32_e32 v5, v5, v2
	v_bfe_u32 v2, v2, 3, 4
	v_and_b32_e32 v5, 7, v5
	s_delay_alu instid0(VALU_DEP_2) | instskip(NEXT) | instid1(VALU_DEP_2)
	v_cmp_eq_u32_e32 vcc_lo, 0, v2
	v_dual_cndmask_b32 v2, v2, v4 :: v_dual_cndmask_b32 v3, v3, v5
	v_and_b32_e32 v4, 0x80000000, v6
	s_delay_alu instid0(VALU_DEP_2) | instskip(NEXT) | instid1(VALU_DEP_3)
	v_lshl_add_u32 v2, v2, 23, 0x3b800000
	v_lshlrev_b32_e32 v3, 20, v3
	s_delay_alu instid0(VALU_DEP_1) | instskip(SKIP_2) | instid1(VALU_DEP_3)
	v_or3_b32 v2, v4, v2, v3
	v_mov_b32_e32 v4, 0
	v_mov_b32_e32 v5, 0
	v_cvt_f64_f32_e32 v[2:3], v2
.LBB496_447:
	s_or_b32 exec_lo, exec_lo, s0
.LBB496_448:
	s_mov_b32 s14, -1
.LBB496_449:
	s_mov_b32 s0, 0
.LBB496_450:
	s_delay_alu instid0(SALU_CYCLE_1)
	s_and_b32 vcc_lo, exec_lo, s0
	s_cbranch_vccz .LBB496_484
; %bb.451:
	v_cmp_lt_i16_e32 vcc_lo, 22, v19
	s_cbranch_vccz .LBB496_463
; %bb.452:
	v_cmp_gt_i16_e32 vcc_lo, 24, v19
	s_cbranch_vccnz .LBB496_464
; %bb.453:
	v_cmp_lt_i16_e32 vcc_lo, 24, v19
	s_cbranch_vccz .LBB496_465
; %bb.454:
	global_load_u8 v6, v[0:1], off
	s_mov_b32 s24, 0
	s_mov_b32 s26, exec_lo
                                        ; implicit-def: $sgpr0_sgpr1
                                        ; implicit-def: $sgpr14_sgpr15
	s_waitcnt vmcnt(0)
	v_cmpx_lt_i16_e32 0x7f, v6
	s_xor_b32 s26, exec_lo, s26
	s_cbranch_execz .LBB496_458
; %bb.455:
	s_mov_b32 s24, -1
	s_mov_b32 s27, exec_lo
                                        ; implicit-def: $sgpr0_sgpr1
                                        ; implicit-def: $sgpr14_sgpr15
	v_cmpx_eq_u16_e32 0x80, v6
; %bb.456:
	s_mov_b64 s[0:1], 0
	s_mov_b32 s15, 0x7ff80000
	s_brev_b32 s14, 4
	s_xor_b32 s24, exec_lo, -1
; %bb.457:
	s_or_b32 exec_lo, exec_lo, s27
	s_delay_alu instid0(SALU_CYCLE_1)
	s_and_b32 s24, s24, exec_lo
.LBB496_458:
	s_or_saveexec_b32 s26, s26
	v_dual_mov_b32 v5, s1 :: v_dual_mov_b32 v4, s0
	v_dual_mov_b32 v2, s14 :: v_dual_mov_b32 v3, s15
	s_xor_b32 exec_lo, exec_lo, s26
; %bb.459:
	v_mov_b32_e32 v4, 0
	v_mov_b32_e32 v5, 0
	v_cmp_ne_u16_e32 vcc_lo, 0, v6
	s_delay_alu instid0(VALU_DEP_3) | instskip(SKIP_1) | instid1(VALU_DEP_3)
	v_mov_b32_e32 v2, v4
	s_and_not1_b32 s0, s24, exec_lo
	v_mov_b32_e32 v3, v5
	s_and_b32 s1, vcc_lo, exec_lo
	s_delay_alu instid0(SALU_CYCLE_1)
	s_or_b32 s24, s0, s1
; %bb.460:
	s_or_b32 exec_lo, exec_lo, s26
	s_and_saveexec_b32 s0, s24
	s_cbranch_execz .LBB496_462
; %bb.461:
	v_and_b32_e32 v2, 0xffff, v6
	v_lshlrev_b32_e32 v6, 24, v6
	s_delay_alu instid0(VALU_DEP_2) | instskip(NEXT) | instid1(VALU_DEP_1)
	v_and_b32_e32 v3, 3, v2
	v_clz_i32_u32_e32 v4, v3
	s_delay_alu instid0(VALU_DEP_1) | instskip(NEXT) | instid1(VALU_DEP_1)
	v_min_u32_e32 v4, 32, v4
	v_subrev_nc_u32_e32 v5, 29, v4
	v_sub_nc_u32_e32 v4, 30, v4
	s_delay_alu instid0(VALU_DEP_2) | instskip(SKIP_1) | instid1(VALU_DEP_2)
	v_lshlrev_b32_e32 v5, v5, v2
	v_bfe_u32 v2, v2, 2, 5
	v_and_b32_e32 v5, 3, v5
	s_delay_alu instid0(VALU_DEP_2) | instskip(NEXT) | instid1(VALU_DEP_2)
	v_cmp_eq_u32_e32 vcc_lo, 0, v2
	v_dual_cndmask_b32 v2, v2, v4 :: v_dual_cndmask_b32 v3, v3, v5
	v_and_b32_e32 v4, 0x80000000, v6
	s_delay_alu instid0(VALU_DEP_2) | instskip(NEXT) | instid1(VALU_DEP_3)
	v_lshl_add_u32 v2, v2, 23, 0x37800000
	v_lshlrev_b32_e32 v3, 21, v3
	s_delay_alu instid0(VALU_DEP_1) | instskip(SKIP_2) | instid1(VALU_DEP_3)
	v_or3_b32 v2, v4, v2, v3
	v_mov_b32_e32 v4, 0
	v_mov_b32_e32 v5, 0
	v_cvt_f64_f32_e32 v[2:3], v2
.LBB496_462:
	s_or_b32 exec_lo, exec_lo, s0
	s_mov_b32 s0, 0
	s_branch .LBB496_466
.LBB496_463:
	s_mov_b32 s0, -1
                                        ; implicit-def: $vgpr4_vgpr5
	s_branch .LBB496_472
.LBB496_464:
	s_mov_b32 s0, -1
                                        ; implicit-def: $vgpr4_vgpr5
	s_branch .LBB496_469
.LBB496_465:
	s_mov_b32 s0, -1
                                        ; implicit-def: $vgpr4_vgpr5
.LBB496_466:
	s_delay_alu instid0(SALU_CYCLE_1)
	s_and_b32 vcc_lo, exec_lo, s0
	s_cbranch_vccz .LBB496_468
; %bb.467:
	global_load_u8 v2, v[0:1], off
	s_waitcnt vmcnt(0)
	v_lshlrev_b32_e32 v2, 24, v2
	s_delay_alu instid0(VALU_DEP_1) | instskip(NEXT) | instid1(VALU_DEP_1)
	v_and_b32_e32 v3, 0x7f000000, v2
	v_clz_i32_u32_e32 v4, v3
	v_add_nc_u32_e32 v6, 0x1000000, v3
	v_cmp_ne_u32_e32 vcc_lo, 0, v3
	s_delay_alu instid0(VALU_DEP_3) | instskip(NEXT) | instid1(VALU_DEP_1)
	v_min_u32_e32 v4, 32, v4
	v_sub_nc_u32_e64 v4, v4, 4 clamp
	s_delay_alu instid0(VALU_DEP_1) | instskip(SKIP_1) | instid1(VALU_DEP_2)
	v_lshlrev_b32_e32 v5, v4, v3
	v_lshlrev_b32_e32 v4, 23, v4
	v_lshrrev_b32_e32 v5, 4, v5
	s_delay_alu instid0(VALU_DEP_1) | instskip(SKIP_1) | instid1(VALU_DEP_2)
	v_sub_nc_u32_e32 v4, v5, v4
	v_ashrrev_i32_e32 v5, 8, v6
	v_add_nc_u32_e32 v4, 0x3c000000, v4
	s_delay_alu instid0(VALU_DEP_1) | instskip(NEXT) | instid1(VALU_DEP_1)
	v_and_or_b32 v4, 0x7f800000, v5, v4
	v_dual_cndmask_b32 v3, 0, v4 :: v_dual_mov_b32 v4, 0
	v_mov_b32_e32 v5, 0
	s_delay_alu instid0(VALU_DEP_2) | instskip(NEXT) | instid1(VALU_DEP_1)
	v_and_or_b32 v2, 0x80000000, v2, v3
	v_cvt_f64_f32_e32 v[2:3], v2
.LBB496_468:
	s_mov_b32 s0, 0
.LBB496_469:
	s_delay_alu instid0(SALU_CYCLE_1)
	s_and_not1_b32 vcc_lo, exec_lo, s0
	s_cbranch_vccnz .LBB496_471
; %bb.470:
	global_load_u8 v2, v[0:1], off
	s_waitcnt vmcnt(0)
	v_lshlrev_b32_e32 v3, 25, v2
	v_lshlrev_b16 v2, 8, v2
	s_delay_alu instid0(VALU_DEP_2) | instskip(NEXT) | instid1(VALU_DEP_2)
	v_lshrrev_b32_e32 v4, 4, v3
	v_and_or_b32 v5, 0x7f00, v2, 0.5
	v_bfe_i32 v2, v2, 0, 16
	s_delay_alu instid0(VALU_DEP_3) | instskip(NEXT) | instid1(VALU_DEP_1)
	v_or_b32_e32 v4, 0x70000000, v4
	v_dual_add_f32 v5, -0.5, v5 :: v_dual_mul_f32 v4, 0x7800000, v4
	v_cmp_gt_u32_e32 vcc_lo, 0x8000000, v3
	s_delay_alu instid0(VALU_DEP_2) | instskip(SKIP_1) | instid1(VALU_DEP_2)
	v_dual_cndmask_b32 v3, v4, v5 :: v_dual_mov_b32 v4, 0
	v_mov_b32_e32 v5, 0
	v_and_or_b32 v2, 0x80000000, v2, v3
	s_delay_alu instid0(VALU_DEP_1)
	v_cvt_f64_f32_e32 v[2:3], v2
.LBB496_471:
	s_mov_b32 s0, 0
	s_mov_b32 s14, -1
.LBB496_472:
	s_and_not1_b32 vcc_lo, exec_lo, s0
	s_cbranch_vccnz .LBB496_484
; %bb.473:
	v_cmp_lt_i16_e32 vcc_lo, 14, v19
	s_cbranch_vccz .LBB496_476
; %bb.474:
	v_cmp_eq_u16_e32 vcc_lo, 15, v19
	s_cbranch_vccz .LBB496_477
; %bb.475:
	global_load_u16 v2, v[0:1], off
	s_mov_b32 s14, -1
	s_mov_b32 s23, 0
	s_mov_b64 s[0:1], 0
	s_waitcnt vmcnt(0)
	v_lshlrev_b32_e32 v2, 16, v2
	s_delay_alu instid0(VALU_DEP_1)
	v_cvt_f64_f32_e32 v[2:3], v2
	s_branch .LBB496_478
.LBB496_476:
	s_mov_b32 s15, -1
                                        ; implicit-def: $sgpr0_sgpr1
                                        ; implicit-def: $vgpr2_vgpr3
	s_branch .LBB496_479
.LBB496_477:
	s_mov_b32 s23, -1
                                        ; implicit-def: $sgpr0_sgpr1
                                        ; implicit-def: $vgpr2_vgpr3
.LBB496_478:
	s_mov_b32 s15, 0
.LBB496_479:
	s_delay_alu instid0(SALU_CYCLE_1)
	s_and_b32 vcc_lo, exec_lo, s15
	s_cbranch_vccz .LBB496_483
; %bb.480:
	v_cmp_eq_u16_e32 vcc_lo, 11, v19
	s_cbranch_vccz .LBB496_482
; %bb.481:
	global_load_u8 v2, v[0:1], off
	s_mov_b32 s23, 0
	s_mov_b32 s14, -1
	s_mov_b64 s[0:1], 0
	s_waitcnt vmcnt(0)
	v_cmp_ne_u16_e32 vcc_lo, 0, v2
	v_mov_b32_e32 v2, 0
	v_cndmask_b32_e64 v3, 0, 0x3ff00000, vcc_lo
	s_branch .LBB496_483
.LBB496_482:
	s_mov_b32 s23, -1
                                        ; implicit-def: $sgpr0_sgpr1
                                        ; implicit-def: $vgpr2_vgpr3
.LBB496_483:
	s_waitcnt vmcnt(0)
	v_dual_mov_b32 v5, s1 :: v_dual_mov_b32 v4, s0
.LBB496_484:
	s_branch .LBB496_275
.LBB496_485:
	v_cmp_gt_i16_e32 vcc_lo, 5, v19
	s_cbranch_vccnz .LBB496_490
; %bb.486:
	v_cmp_gt_i16_e32 vcc_lo, 8, v19
	s_cbranch_vccnz .LBB496_491
; %bb.487:
	;; [unrolled: 3-line block ×3, first 2 shown]
	v_cmp_lt_i16_e32 vcc_lo, 9, v19
	s_cbranch_vccz .LBB496_493
; %bb.489:
	global_load_b128 v[2:5], v[0:1], off
	s_mov_b32 s0, 0
	s_branch .LBB496_494
.LBB496_490:
	s_mov_b32 s0, -1
                                        ; implicit-def: $vgpr4_vgpr5
	s_branch .LBB496_513
.LBB496_491:
	s_mov_b32 s0, -1
                                        ; implicit-def: $vgpr4_vgpr5
	s_branch .LBB496_500
.LBB496_492:
	s_mov_b32 s0, -1
                                        ; implicit-def: $vgpr4_vgpr5
	s_branch .LBB496_497
.LBB496_493:
	s_mov_b32 s0, -1
                                        ; implicit-def: $vgpr4_vgpr5
.LBB496_494:
	s_delay_alu instid0(SALU_CYCLE_1)
	s_and_not1_b32 vcc_lo, exec_lo, s0
	s_cbranch_vccnz .LBB496_496
; %bb.495:
	global_load_b64 v[3:4], v[0:1], off
	s_waitcnt vmcnt(0)
	v_cvt_f64_f32_e32 v[2:3], v3
	v_cvt_f64_f32_e32 v[4:5], v4
.LBB496_496:
	s_mov_b32 s0, 0
.LBB496_497:
	s_delay_alu instid0(SALU_CYCLE_1)
	s_and_not1_b32 vcc_lo, exec_lo, s0
	s_cbranch_vccnz .LBB496_499
; %bb.498:
	global_load_b32 v2, v[0:1], off
	s_waitcnt vmcnt(0)
	v_lshrrev_b32_e32 v3, 16, v2
	v_cvt_f32_f16_e32 v2, v2
	s_delay_alu instid0(VALU_DEP_2) | instskip(NEXT) | instid1(VALU_DEP_2)
	v_cvt_f32_f16_e32 v4, v3
	v_cvt_f64_f32_e32 v[2:3], v2
	s_delay_alu instid0(VALU_DEP_2)
	v_cvt_f64_f32_e32 v[4:5], v4
.LBB496_499:
	s_mov_b32 s0, 0
.LBB496_500:
	s_delay_alu instid0(SALU_CYCLE_1)
	s_and_not1_b32 vcc_lo, exec_lo, s0
	s_cbranch_vccnz .LBB496_512
; %bb.501:
	v_cmp_gt_i16_e32 vcc_lo, 6, v19
	s_cbranch_vccnz .LBB496_504
; %bb.502:
	v_cmp_lt_i16_e32 vcc_lo, 6, v19
	s_cbranch_vccz .LBB496_505
; %bb.503:
	global_load_b64 v[2:3], v[0:1], off
	s_mov_b32 s14, 0
	s_mov_b64 s[0:1], 0
	s_branch .LBB496_506
.LBB496_504:
	s_mov_b32 s14, -1
                                        ; implicit-def: $sgpr0_sgpr1
                                        ; implicit-def: $vgpr2_vgpr3
	s_branch .LBB496_509
.LBB496_505:
	s_mov_b32 s14, -1
                                        ; implicit-def: $sgpr0_sgpr1
                                        ; implicit-def: $vgpr2_vgpr3
.LBB496_506:
	s_delay_alu instid0(SALU_CYCLE_1)
	s_and_not1_b32 vcc_lo, exec_lo, s14
	s_cbranch_vccnz .LBB496_508
; %bb.507:
	global_load_b32 v2, v[0:1], off
	s_mov_b64 s[0:1], 0
	s_waitcnt vmcnt(0)
	v_cvt_f64_f32_e32 v[2:3], v2
.LBB496_508:
	s_mov_b32 s14, 0
.LBB496_509:
	s_delay_alu instid0(SALU_CYCLE_1)
	s_and_not1_b32 vcc_lo, exec_lo, s14
	s_cbranch_vccnz .LBB496_511
; %bb.510:
	global_load_u16 v2, v[0:1], off
	s_mov_b64 s[0:1], 0
	s_waitcnt vmcnt(0)
	v_cvt_f32_f16_e32 v2, v2
	s_delay_alu instid0(VALU_DEP_1)
	v_cvt_f64_f32_e32 v[2:3], v2
.LBB496_511:
	s_waitcnt vmcnt(0)
	v_dual_mov_b32 v5, s1 :: v_dual_mov_b32 v4, s0
.LBB496_512:
	s_mov_b32 s0, 0
.LBB496_513:
	s_delay_alu instid0(SALU_CYCLE_1)
	s_and_not1_b32 vcc_lo, exec_lo, s0
	s_cbranch_vccnz .LBB496_534
; %bb.514:
	v_cmp_gt_i16_e32 vcc_lo, 2, v19
	s_cbranch_vccnz .LBB496_518
; %bb.515:
	v_cmp_gt_i16_e32 vcc_lo, 3, v19
	s_cbranch_vccnz .LBB496_519
; %bb.516:
	v_cmp_lt_i16_e32 vcc_lo, 3, v19
	s_cbranch_vccz .LBB496_520
; %bb.517:
	global_load_b64 v[2:3], v[0:1], off
	s_mov_b32 s14, 0
	s_mov_b64 s[0:1], 0
	s_waitcnt vmcnt(0)
	v_cvt_f64_i32_e32 v[3:4], v3
	v_cvt_f64_u32_e32 v[5:6], v2
	s_delay_alu instid0(VALU_DEP_2) | instskip(NEXT) | instid1(VALU_DEP_1)
	v_ldexp_f64 v[3:4], v[3:4], 32
	v_add_f64 v[2:3], v[3:4], v[5:6]
	s_branch .LBB496_521
.LBB496_518:
	s_mov_b32 s14, -1
                                        ; implicit-def: $sgpr0_sgpr1
                                        ; implicit-def: $vgpr2_vgpr3
	s_branch .LBB496_527
.LBB496_519:
	s_mov_b32 s14, -1
                                        ; implicit-def: $sgpr0_sgpr1
                                        ; implicit-def: $vgpr2_vgpr3
	s_branch .LBB496_524
.LBB496_520:
	s_mov_b32 s14, -1
                                        ; implicit-def: $sgpr0_sgpr1
                                        ; implicit-def: $vgpr2_vgpr3
.LBB496_521:
	s_delay_alu instid0(SALU_CYCLE_1)
	s_and_not1_b32 vcc_lo, exec_lo, s14
	s_cbranch_vccnz .LBB496_523
; %bb.522:
	global_load_b32 v2, v[0:1], off
	s_mov_b64 s[0:1], 0
	s_waitcnt vmcnt(0)
	v_cvt_f64_i32_e32 v[2:3], v2
.LBB496_523:
	s_mov_b32 s14, 0
.LBB496_524:
	s_delay_alu instid0(SALU_CYCLE_1)
	s_and_not1_b32 vcc_lo, exec_lo, s14
	s_cbranch_vccnz .LBB496_526
; %bb.525:
	global_load_i16 v2, v[0:1], off
	s_mov_b64 s[0:1], 0
	s_waitcnt vmcnt(0)
	v_cvt_f64_i32_e32 v[2:3], v2
.LBB496_526:
	s_mov_b32 s14, 0
.LBB496_527:
	s_delay_alu instid0(SALU_CYCLE_1)
	s_and_not1_b32 vcc_lo, exec_lo, s14
	s_cbranch_vccnz .LBB496_533
; %bb.528:
	v_cmp_lt_i16_e32 vcc_lo, 0, v19
	s_mov_b32 s14, 0
	s_cbranch_vccz .LBB496_530
; %bb.529:
	global_load_i8 v2, v[0:1], off
	s_mov_b64 s[0:1], 0
	s_waitcnt vmcnt(0)
	v_cvt_f64_i32_e32 v[2:3], v2
	s_branch .LBB496_531
.LBB496_530:
	s_mov_b32 s14, -1
                                        ; implicit-def: $sgpr0_sgpr1
                                        ; implicit-def: $vgpr2_vgpr3
.LBB496_531:
	s_delay_alu instid0(SALU_CYCLE_1)
	s_and_not1_b32 vcc_lo, exec_lo, s14
	s_cbranch_vccnz .LBB496_533
; %bb.532:
	global_load_u8 v0, v[0:1], off
	s_mov_b64 s[0:1], 0
	s_waitcnt vmcnt(0)
	v_cvt_f64_u32_e32 v[2:3], v0
.LBB496_533:
	s_waitcnt vmcnt(0)
	v_dual_mov_b32 v5, s1 :: v_dual_mov_b32 v4, s0
.LBB496_534:
	s_branch .LBB496_276
.LBB496_535:
	s_mov_b32 s1, 0
	s_mov_b32 s0, s19
.LBB496_536:
                                        ; implicit-def: $vgpr18
.LBB496_537:
	s_and_not1_b32 s14, s19, exec_lo
	s_and_b32 s0, s0, exec_lo
	s_and_not1_b32 s15, s21, exec_lo
	s_and_b32 s23, s23, exec_lo
	s_or_b32 s24, s14, s0
	s_or_b32 s23, s15, s23
	s_or_not1_b32 s15, s1, exec_lo
.LBB496_538:
	s_or_b32 exec_lo, exec_lo, s25
	s_mov_b32 s1, 0
	s_mov_b32 s0, 0
	s_mov_b32 s14, 0
                                        ; implicit-def: $vgpr0_vgpr1
                                        ; implicit-def: $vgpr6_vgpr7
	s_and_saveexec_b32 s25, s15
	s_cbranch_execz .LBB496_901
; %bb.539:
	s_mov_b32 s15, -1
	s_mov_b32 s27, s23
	s_mov_b32 s28, s24
	s_mov_b32 s26, exec_lo
	v_cmpx_gt_i32_e64 s20, v18
	s_cbranch_execz .LBB496_812
; %bb.540:
	v_mul_lo_u32 v0, v18, s3
	v_cmp_gt_i16_e32 vcc_lo, 11, v19
	s_delay_alu instid0(VALU_DEP_2) | instskip(SKIP_1) | instid1(VALU_DEP_1)
	v_ashrrev_i32_e32 v1, 31, v0
	v_add_co_u32 v0, s0, s6, v0
	v_add_co_ci_u32_e64 v1, s0, s7, v1, s0
	s_cbranch_vccnz .LBB496_547
; %bb.541:
	v_cmp_lt_i16_e32 vcc_lo, 25, v19
	s_cbranch_vccz .LBB496_548
; %bb.542:
	v_cmp_lt_i16_e32 vcc_lo, 28, v19
	s_cbranch_vccz .LBB496_549
	;; [unrolled: 3-line block ×4, first 2 shown]
; %bb.545:
	v_cmp_eq_u16_e32 vcc_lo, 46, v19
	s_mov_b32 s0, 0
	s_cbranch_vccz .LBB496_556
; %bb.546:
	global_load_b32 v2, v[0:1], off
	s_mov_b32 s14, -1
	s_mov_b32 s27, 0
	s_waitcnt vmcnt(0)
	v_lshlrev_b32_e32 v3, 16, v2
	v_and_b32_e32 v4, 0xffff0000, v2
	s_delay_alu instid0(VALU_DEP_2) | instskip(NEXT) | instid1(VALU_DEP_2)
	v_cvt_f64_f32_e32 v[2:3], v3
	v_cvt_f64_f32_e32 v[4:5], v4
	s_branch .LBB496_558
.LBB496_547:
	s_mov_b32 s0, -1
	s_mov_b32 s27, s23
                                        ; implicit-def: $vgpr4_vgpr5
	s_branch .LBB496_626
.LBB496_548:
	s_mov_b32 s0, -1
	s_mov_b32 s27, s23
                                        ; implicit-def: $vgpr4_vgpr5
	s_branch .LBB496_591
.LBB496_549:
	s_mov_b32 s0, -1
	s_mov_b32 s27, s23
                                        ; implicit-def: $vgpr4_vgpr5
	s_branch .LBB496_570
.LBB496_550:
	s_mov_b32 s0, -1
	s_mov_b32 s27, s23
                                        ; implicit-def: $vgpr4_vgpr5
	s_branch .LBB496_564
.LBB496_551:
	s_or_saveexec_b32 s15, s15
                                        ; implicit-def: $sgpr24
	s_delay_alu instid0(SALU_CYCLE_1)
	s_xor_b32 exec_lo, exec_lo, s15
	s_cbranch_execz .LBB496_330
.LBB496_552:
	v_add_f32_e64 v8, 0x46000000, |v7|
	s_and_not1_b32 s14, s14, exec_lo
	s_mov_b32 s24, 0
	s_delay_alu instid0(VALU_DEP_1) | instskip(NEXT) | instid1(VALU_DEP_1)
	v_and_b32_e32 v8, 0xff, v8
	v_cmp_ne_u32_e32 vcc_lo, 0, v8
	s_and_b32 s26, vcc_lo, exec_lo
	s_delay_alu instid0(SALU_CYCLE_1)
	s_or_b32 s14, s14, s26
	s_or_b32 exec_lo, exec_lo, s15
	v_mov_b32_e32 v9, s24
	s_and_saveexec_b32 s15, s14
	s_cbranch_execnz .LBB496_331
	s_branch .LBB496_332
.LBB496_553:
	s_mov_b32 s0, -1
	s_mov_b32 s27, s23
	s_branch .LBB496_557
.LBB496_554:
	s_or_saveexec_b32 s15, s15
                                        ; implicit-def: $sgpr24
	s_delay_alu instid0(SALU_CYCLE_1)
	s_xor_b32 exec_lo, exec_lo, s15
	s_cbranch_execz .LBB496_343
.LBB496_555:
	v_add_f32_e64 v8, 0x42800000, |v7|
	s_and_not1_b32 s14, s14, exec_lo
	s_mov_b32 s24, 0
	s_delay_alu instid0(VALU_DEP_1) | instskip(NEXT) | instid1(VALU_DEP_1)
	v_and_b32_e32 v8, 0xff, v8
	v_cmp_ne_u32_e32 vcc_lo, 0, v8
	s_and_b32 s26, vcc_lo, exec_lo
	s_delay_alu instid0(SALU_CYCLE_1)
	s_or_b32 s14, s14, s26
	s_or_b32 exec_lo, exec_lo, s15
	v_mov_b32_e32 v9, s24
	s_and_saveexec_b32 s15, s14
	s_cbranch_execnz .LBB496_344
	s_branch .LBB496_345
.LBB496_556:
	s_mov_b32 s27, -1
.LBB496_557:
                                        ; implicit-def: $vgpr4_vgpr5
.LBB496_558:
	s_and_b32 vcc_lo, exec_lo, s0
	s_cbranch_vccz .LBB496_563
; %bb.559:
	v_cmp_eq_u16_e32 vcc_lo, 44, v19
	s_cbranch_vccz .LBB496_561
; %bb.560:
	global_load_u8 v4, v[0:1], off
	s_mov_b32 s27, 0
	s_mov_b32 s14, -1
	s_mov_b64 s[0:1], 0
	s_waitcnt vmcnt(0)
	v_cmp_ne_u32_e32 vcc_lo, 0xff, v4
	v_lshlrev_b32_e32 v2, 23, v4
	s_delay_alu instid0(VALU_DEP_1) | instskip(NEXT) | instid1(VALU_DEP_1)
	v_cvt_f64_f32_e32 v[2:3], v2
	v_cndmask_b32_e32 v3, 0x7ff80000, v3, vcc_lo
	s_delay_alu instid0(VALU_DEP_2) | instskip(SKIP_1) | instid1(VALU_DEP_3)
	v_cndmask_b32_e32 v2, 0x20000000, v2, vcc_lo
	v_cmp_ne_u32_e32 vcc_lo, 0, v4
	v_cndmask_b32_e32 v3, 0x38000000, v3, vcc_lo
	s_delay_alu instid0(VALU_DEP_3)
	v_cndmask_b32_e32 v2, 0, v2, vcc_lo
	s_branch .LBB496_562
.LBB496_561:
	s_mov_b32 s27, -1
                                        ; implicit-def: $sgpr0_sgpr1
                                        ; implicit-def: $vgpr2_vgpr3
.LBB496_562:
	s_waitcnt vmcnt(0)
	v_dual_mov_b32 v5, s1 :: v_dual_mov_b32 v4, s0
.LBB496_563:
	s_mov_b32 s0, 0
.LBB496_564:
	s_delay_alu instid0(SALU_CYCLE_1)
	s_and_b32 vcc_lo, exec_lo, s0
	s_cbranch_vccz .LBB496_569
; %bb.565:
	v_cmp_eq_u16_e32 vcc_lo, 29, v19
	s_cbranch_vccz .LBB496_567
; %bb.566:
	global_load_b64 v[2:3], v[0:1], off
	s_mov_b32 s14, -1
	s_mov_b32 s27, 0
	s_mov_b64 s[0:1], 0
	s_waitcnt vmcnt(0)
	v_cvt_f64_u32_e32 v[3:4], v3
	v_cvt_f64_u32_e32 v[5:6], v2
	s_delay_alu instid0(VALU_DEP_2) | instskip(NEXT) | instid1(VALU_DEP_1)
	v_ldexp_f64 v[3:4], v[3:4], 32
	v_add_f64 v[2:3], v[3:4], v[5:6]
	s_branch .LBB496_568
.LBB496_567:
	s_mov_b32 s27, -1
                                        ; implicit-def: $sgpr0_sgpr1
                                        ; implicit-def: $vgpr2_vgpr3
.LBB496_568:
	s_waitcnt vmcnt(0)
	v_dual_mov_b32 v5, s1 :: v_dual_mov_b32 v4, s0
.LBB496_569:
	s_mov_b32 s0, 0
.LBB496_570:
	s_delay_alu instid0(SALU_CYCLE_1)
	s_and_b32 vcc_lo, exec_lo, s0
	s_cbranch_vccz .LBB496_590
; %bb.571:
	v_cmp_gt_i16_e32 vcc_lo, 27, v19
	s_cbranch_vccnz .LBB496_574
; %bb.572:
	v_cmp_lt_i16_e32 vcc_lo, 27, v19
	s_cbranch_vccz .LBB496_575
; %bb.573:
	global_load_b32 v2, v[0:1], off
	s_mov_b32 s14, 0
	s_mov_b64 s[0:1], 0
	s_waitcnt vmcnt(0)
	v_cvt_f64_u32_e32 v[2:3], v2
	s_branch .LBB496_576
.LBB496_574:
	s_mov_b32 s14, -1
                                        ; implicit-def: $sgpr0_sgpr1
                                        ; implicit-def: $vgpr2_vgpr3
	s_branch .LBB496_579
.LBB496_575:
	s_mov_b32 s14, -1
                                        ; implicit-def: $sgpr0_sgpr1
                                        ; implicit-def: $vgpr2_vgpr3
.LBB496_576:
	s_delay_alu instid0(SALU_CYCLE_1)
	s_and_not1_b32 vcc_lo, exec_lo, s14
	s_cbranch_vccnz .LBB496_578
; %bb.577:
	global_load_u16 v2, v[0:1], off
	s_mov_b64 s[0:1], 0
	s_waitcnt vmcnt(0)
	v_cvt_f64_u32_e32 v[2:3], v2
.LBB496_578:
	s_mov_b32 s14, 0
.LBB496_579:
	s_waitcnt vmcnt(0)
	v_dual_mov_b32 v5, s1 :: v_dual_mov_b32 v4, s0
	s_and_not1_b32 vcc_lo, exec_lo, s14
	s_cbranch_vccnz .LBB496_589
; %bb.580:
	global_load_u8 v6, v[0:1], off
	s_mov_b32 s28, 0
	s_mov_b32 s29, exec_lo
                                        ; implicit-def: $sgpr0_sgpr1
                                        ; implicit-def: $sgpr14_sgpr15
	s_waitcnt vmcnt(0)
	v_cmpx_lt_i16_e32 0x7f, v6
	s_xor_b32 s29, exec_lo, s29
	s_cbranch_execz .LBB496_584
; %bb.581:
	s_mov_b32 s28, -1
	s_mov_b32 s30, exec_lo
                                        ; implicit-def: $sgpr0_sgpr1
                                        ; implicit-def: $sgpr14_sgpr15
	v_cmpx_eq_u16_e32 0x80, v6
; %bb.582:
	s_mov_b64 s[0:1], 0
	s_mov_b32 s15, 0x7ff80000
	s_brev_b32 s14, 4
	s_xor_b32 s28, exec_lo, -1
; %bb.583:
	s_or_b32 exec_lo, exec_lo, s30
	s_delay_alu instid0(SALU_CYCLE_1)
	s_and_b32 s28, s28, exec_lo
.LBB496_584:
	s_or_saveexec_b32 s29, s29
	v_dual_mov_b32 v5, s1 :: v_dual_mov_b32 v4, s0
	v_dual_mov_b32 v2, s14 :: v_dual_mov_b32 v3, s15
	s_xor_b32 exec_lo, exec_lo, s29
; %bb.585:
	v_mov_b32_e32 v4, 0
	v_mov_b32_e32 v5, 0
	v_cmp_ne_u16_e32 vcc_lo, 0, v6
	s_delay_alu instid0(VALU_DEP_3) | instskip(SKIP_1) | instid1(VALU_DEP_3)
	v_mov_b32_e32 v2, v4
	s_and_not1_b32 s0, s28, exec_lo
	v_mov_b32_e32 v3, v5
	s_and_b32 s1, vcc_lo, exec_lo
	s_delay_alu instid0(SALU_CYCLE_1)
	s_or_b32 s28, s0, s1
; %bb.586:
	s_or_b32 exec_lo, exec_lo, s29
	s_and_saveexec_b32 s0, s28
	s_cbranch_execz .LBB496_588
; %bb.587:
	v_and_b32_e32 v2, 0xffff, v6
	v_lshlrev_b32_e32 v6, 24, v6
	s_delay_alu instid0(VALU_DEP_2) | instskip(NEXT) | instid1(VALU_DEP_1)
	v_and_b32_e32 v3, 7, v2
	v_clz_i32_u32_e32 v4, v3
	s_delay_alu instid0(VALU_DEP_1) | instskip(NEXT) | instid1(VALU_DEP_1)
	v_min_u32_e32 v4, 32, v4
	v_subrev_nc_u32_e32 v5, 28, v4
	v_sub_nc_u32_e32 v4, 29, v4
	s_delay_alu instid0(VALU_DEP_2) | instskip(SKIP_1) | instid1(VALU_DEP_2)
	v_lshlrev_b32_e32 v5, v5, v2
	v_bfe_u32 v2, v2, 3, 4
	v_and_b32_e32 v5, 7, v5
	s_delay_alu instid0(VALU_DEP_2) | instskip(NEXT) | instid1(VALU_DEP_2)
	v_cmp_eq_u32_e32 vcc_lo, 0, v2
	v_dual_cndmask_b32 v2, v2, v4 :: v_dual_cndmask_b32 v3, v3, v5
	v_and_b32_e32 v4, 0x80000000, v6
	s_delay_alu instid0(VALU_DEP_2) | instskip(NEXT) | instid1(VALU_DEP_3)
	v_lshl_add_u32 v2, v2, 23, 0x3b800000
	v_lshlrev_b32_e32 v3, 20, v3
	s_delay_alu instid0(VALU_DEP_1) | instskip(SKIP_2) | instid1(VALU_DEP_3)
	v_or3_b32 v2, v4, v2, v3
	v_mov_b32_e32 v4, 0
	v_mov_b32_e32 v5, 0
	v_cvt_f64_f32_e32 v[2:3], v2
.LBB496_588:
	s_or_b32 exec_lo, exec_lo, s0
.LBB496_589:
	s_mov_b32 s14, -1
.LBB496_590:
	s_mov_b32 s0, 0
.LBB496_591:
	s_delay_alu instid0(SALU_CYCLE_1)
	s_and_b32 vcc_lo, exec_lo, s0
	s_cbranch_vccz .LBB496_625
; %bb.592:
	v_cmp_lt_i16_e32 vcc_lo, 22, v19
	s_cbranch_vccz .LBB496_604
; %bb.593:
	v_cmp_gt_i16_e32 vcc_lo, 24, v19
	s_cbranch_vccnz .LBB496_605
; %bb.594:
	v_cmp_lt_i16_e32 vcc_lo, 24, v19
	s_cbranch_vccz .LBB496_606
; %bb.595:
	global_load_u8 v6, v[0:1], off
	s_mov_b32 s28, 0
	s_mov_b32 s29, exec_lo
                                        ; implicit-def: $sgpr0_sgpr1
                                        ; implicit-def: $sgpr14_sgpr15
	s_waitcnt vmcnt(0)
	v_cmpx_lt_i16_e32 0x7f, v6
	s_xor_b32 s29, exec_lo, s29
	s_cbranch_execz .LBB496_599
; %bb.596:
	s_mov_b32 s28, -1
	s_mov_b32 s30, exec_lo
                                        ; implicit-def: $sgpr0_sgpr1
                                        ; implicit-def: $sgpr14_sgpr15
	v_cmpx_eq_u16_e32 0x80, v6
; %bb.597:
	s_mov_b64 s[0:1], 0
	s_mov_b32 s15, 0x7ff80000
	s_brev_b32 s14, 4
	s_xor_b32 s28, exec_lo, -1
; %bb.598:
	s_or_b32 exec_lo, exec_lo, s30
	s_delay_alu instid0(SALU_CYCLE_1)
	s_and_b32 s28, s28, exec_lo
.LBB496_599:
	s_or_saveexec_b32 s29, s29
	v_dual_mov_b32 v5, s1 :: v_dual_mov_b32 v4, s0
	v_dual_mov_b32 v2, s14 :: v_dual_mov_b32 v3, s15
	s_xor_b32 exec_lo, exec_lo, s29
; %bb.600:
	v_mov_b32_e32 v4, 0
	v_mov_b32_e32 v5, 0
	v_cmp_ne_u16_e32 vcc_lo, 0, v6
	s_delay_alu instid0(VALU_DEP_3) | instskip(SKIP_1) | instid1(VALU_DEP_3)
	v_mov_b32_e32 v2, v4
	s_and_not1_b32 s0, s28, exec_lo
	v_mov_b32_e32 v3, v5
	s_and_b32 s1, vcc_lo, exec_lo
	s_delay_alu instid0(SALU_CYCLE_1)
	s_or_b32 s28, s0, s1
; %bb.601:
	s_or_b32 exec_lo, exec_lo, s29
	s_and_saveexec_b32 s0, s28
	s_cbranch_execz .LBB496_603
; %bb.602:
	v_and_b32_e32 v2, 0xffff, v6
	v_lshlrev_b32_e32 v6, 24, v6
	s_delay_alu instid0(VALU_DEP_2) | instskip(NEXT) | instid1(VALU_DEP_1)
	v_and_b32_e32 v3, 3, v2
	v_clz_i32_u32_e32 v4, v3
	s_delay_alu instid0(VALU_DEP_1) | instskip(NEXT) | instid1(VALU_DEP_1)
	v_min_u32_e32 v4, 32, v4
	v_subrev_nc_u32_e32 v5, 29, v4
	v_sub_nc_u32_e32 v4, 30, v4
	s_delay_alu instid0(VALU_DEP_2) | instskip(SKIP_1) | instid1(VALU_DEP_2)
	v_lshlrev_b32_e32 v5, v5, v2
	v_bfe_u32 v2, v2, 2, 5
	v_and_b32_e32 v5, 3, v5
	s_delay_alu instid0(VALU_DEP_2) | instskip(NEXT) | instid1(VALU_DEP_2)
	v_cmp_eq_u32_e32 vcc_lo, 0, v2
	v_dual_cndmask_b32 v2, v2, v4 :: v_dual_cndmask_b32 v3, v3, v5
	v_and_b32_e32 v4, 0x80000000, v6
	s_delay_alu instid0(VALU_DEP_2) | instskip(NEXT) | instid1(VALU_DEP_3)
	v_lshl_add_u32 v2, v2, 23, 0x37800000
	v_lshlrev_b32_e32 v3, 21, v3
	s_delay_alu instid0(VALU_DEP_1) | instskip(SKIP_2) | instid1(VALU_DEP_3)
	v_or3_b32 v2, v4, v2, v3
	v_mov_b32_e32 v4, 0
	v_mov_b32_e32 v5, 0
	v_cvt_f64_f32_e32 v[2:3], v2
.LBB496_603:
	s_or_b32 exec_lo, exec_lo, s0
	s_mov_b32 s0, 0
	s_branch .LBB496_607
.LBB496_604:
	s_mov_b32 s0, -1
                                        ; implicit-def: $vgpr4_vgpr5
	s_branch .LBB496_613
.LBB496_605:
	s_mov_b32 s0, -1
                                        ; implicit-def: $vgpr4_vgpr5
	s_branch .LBB496_610
.LBB496_606:
	s_mov_b32 s0, -1
                                        ; implicit-def: $vgpr4_vgpr5
.LBB496_607:
	s_delay_alu instid0(SALU_CYCLE_1)
	s_and_b32 vcc_lo, exec_lo, s0
	s_cbranch_vccz .LBB496_609
; %bb.608:
	global_load_u8 v2, v[0:1], off
	s_waitcnt vmcnt(0)
	v_lshlrev_b32_e32 v2, 24, v2
	s_delay_alu instid0(VALU_DEP_1) | instskip(NEXT) | instid1(VALU_DEP_1)
	v_and_b32_e32 v3, 0x7f000000, v2
	v_clz_i32_u32_e32 v4, v3
	v_add_nc_u32_e32 v6, 0x1000000, v3
	v_cmp_ne_u32_e32 vcc_lo, 0, v3
	s_delay_alu instid0(VALU_DEP_3) | instskip(NEXT) | instid1(VALU_DEP_1)
	v_min_u32_e32 v4, 32, v4
	v_sub_nc_u32_e64 v4, v4, 4 clamp
	s_delay_alu instid0(VALU_DEP_1) | instskip(SKIP_1) | instid1(VALU_DEP_2)
	v_lshlrev_b32_e32 v5, v4, v3
	v_lshlrev_b32_e32 v4, 23, v4
	v_lshrrev_b32_e32 v5, 4, v5
	s_delay_alu instid0(VALU_DEP_1) | instskip(SKIP_1) | instid1(VALU_DEP_2)
	v_sub_nc_u32_e32 v4, v5, v4
	v_ashrrev_i32_e32 v5, 8, v6
	v_add_nc_u32_e32 v4, 0x3c000000, v4
	s_delay_alu instid0(VALU_DEP_1) | instskip(NEXT) | instid1(VALU_DEP_1)
	v_and_or_b32 v4, 0x7f800000, v5, v4
	v_dual_cndmask_b32 v3, 0, v4 :: v_dual_mov_b32 v4, 0
	v_mov_b32_e32 v5, 0
	s_delay_alu instid0(VALU_DEP_2) | instskip(NEXT) | instid1(VALU_DEP_1)
	v_and_or_b32 v2, 0x80000000, v2, v3
	v_cvt_f64_f32_e32 v[2:3], v2
.LBB496_609:
	s_mov_b32 s0, 0
.LBB496_610:
	s_delay_alu instid0(SALU_CYCLE_1)
	s_and_not1_b32 vcc_lo, exec_lo, s0
	s_cbranch_vccnz .LBB496_612
; %bb.611:
	global_load_u8 v2, v[0:1], off
	s_waitcnt vmcnt(0)
	v_lshlrev_b32_e32 v3, 25, v2
	v_lshlrev_b16 v2, 8, v2
	s_delay_alu instid0(VALU_DEP_2) | instskip(NEXT) | instid1(VALU_DEP_2)
	v_lshrrev_b32_e32 v4, 4, v3
	v_and_or_b32 v5, 0x7f00, v2, 0.5
	v_bfe_i32 v2, v2, 0, 16
	s_delay_alu instid0(VALU_DEP_3) | instskip(NEXT) | instid1(VALU_DEP_1)
	v_or_b32_e32 v4, 0x70000000, v4
	v_dual_add_f32 v5, -0.5, v5 :: v_dual_mul_f32 v4, 0x7800000, v4
	v_cmp_gt_u32_e32 vcc_lo, 0x8000000, v3
	s_delay_alu instid0(VALU_DEP_2) | instskip(SKIP_1) | instid1(VALU_DEP_2)
	v_dual_cndmask_b32 v3, v4, v5 :: v_dual_mov_b32 v4, 0
	v_mov_b32_e32 v5, 0
	v_and_or_b32 v2, 0x80000000, v2, v3
	s_delay_alu instid0(VALU_DEP_1)
	v_cvt_f64_f32_e32 v[2:3], v2
.LBB496_612:
	s_mov_b32 s0, 0
	s_mov_b32 s14, -1
.LBB496_613:
	s_and_not1_b32 vcc_lo, exec_lo, s0
	s_cbranch_vccnz .LBB496_625
; %bb.614:
	v_cmp_lt_i16_e32 vcc_lo, 14, v19
	s_cbranch_vccz .LBB496_617
; %bb.615:
	v_cmp_eq_u16_e32 vcc_lo, 15, v19
	s_cbranch_vccz .LBB496_618
; %bb.616:
	global_load_u16 v2, v[0:1], off
	s_mov_b32 s14, -1
	s_mov_b32 s27, 0
	s_mov_b64 s[0:1], 0
	s_waitcnt vmcnt(0)
	v_lshlrev_b32_e32 v2, 16, v2
	s_delay_alu instid0(VALU_DEP_1)
	v_cvt_f64_f32_e32 v[2:3], v2
	s_branch .LBB496_619
.LBB496_617:
	s_mov_b32 s15, -1
                                        ; implicit-def: $sgpr0_sgpr1
                                        ; implicit-def: $vgpr2_vgpr3
	s_branch .LBB496_620
.LBB496_618:
	s_mov_b32 s27, -1
                                        ; implicit-def: $sgpr0_sgpr1
                                        ; implicit-def: $vgpr2_vgpr3
.LBB496_619:
	s_mov_b32 s15, 0
.LBB496_620:
	s_delay_alu instid0(SALU_CYCLE_1)
	s_and_b32 vcc_lo, exec_lo, s15
	s_cbranch_vccz .LBB496_624
; %bb.621:
	v_cmp_eq_u16_e32 vcc_lo, 11, v19
	s_cbranch_vccz .LBB496_623
; %bb.622:
	global_load_u8 v2, v[0:1], off
	s_mov_b32 s27, 0
	s_mov_b32 s14, -1
	s_mov_b64 s[0:1], 0
	s_waitcnt vmcnt(0)
	v_cmp_ne_u16_e32 vcc_lo, 0, v2
	v_mov_b32_e32 v2, 0
	v_cndmask_b32_e64 v3, 0, 0x3ff00000, vcc_lo
	s_branch .LBB496_624
.LBB496_623:
	s_mov_b32 s27, -1
                                        ; implicit-def: $sgpr0_sgpr1
                                        ; implicit-def: $vgpr2_vgpr3
.LBB496_624:
	s_waitcnt vmcnt(0)
	v_dual_mov_b32 v5, s1 :: v_dual_mov_b32 v4, s0
.LBB496_625:
	s_mov_b32 s0, 0
.LBB496_626:
	s_delay_alu instid0(SALU_CYCLE_1)
	s_and_b32 vcc_lo, exec_lo, s0
	s_cbranch_vccz .LBB496_677
; %bb.627:
	v_cmp_gt_i16_e32 vcc_lo, 5, v19
	s_cbranch_vccnz .LBB496_632
; %bb.628:
	v_cmp_gt_i16_e32 vcc_lo, 8, v19
	s_cbranch_vccnz .LBB496_633
	;; [unrolled: 3-line block ×3, first 2 shown]
; %bb.630:
	v_cmp_lt_i16_e32 vcc_lo, 9, v19
	s_cbranch_vccz .LBB496_635
; %bb.631:
	global_load_b128 v[2:5], v[0:1], off
	s_mov_b32 s0, 0
	s_branch .LBB496_636
.LBB496_632:
	s_mov_b32 s0, -1
                                        ; implicit-def: $vgpr4_vgpr5
	s_branch .LBB496_655
.LBB496_633:
	s_mov_b32 s0, -1
                                        ; implicit-def: $vgpr4_vgpr5
	s_branch .LBB496_642
.LBB496_634:
	s_mov_b32 s0, -1
                                        ; implicit-def: $vgpr4_vgpr5
	s_branch .LBB496_639
.LBB496_635:
	s_mov_b32 s0, -1
                                        ; implicit-def: $vgpr4_vgpr5
.LBB496_636:
	s_delay_alu instid0(SALU_CYCLE_1)
	s_and_not1_b32 vcc_lo, exec_lo, s0
	s_cbranch_vccnz .LBB496_638
; %bb.637:
	global_load_b64 v[3:4], v[0:1], off
	s_waitcnt vmcnt(0)
	v_cvt_f64_f32_e32 v[2:3], v3
	v_cvt_f64_f32_e32 v[4:5], v4
.LBB496_638:
	s_mov_b32 s0, 0
.LBB496_639:
	s_delay_alu instid0(SALU_CYCLE_1)
	s_and_not1_b32 vcc_lo, exec_lo, s0
	s_cbranch_vccnz .LBB496_641
; %bb.640:
	global_load_b32 v2, v[0:1], off
	s_waitcnt vmcnt(0)
	v_lshrrev_b32_e32 v3, 16, v2
	v_cvt_f32_f16_e32 v2, v2
	s_delay_alu instid0(VALU_DEP_2) | instskip(NEXT) | instid1(VALU_DEP_2)
	v_cvt_f32_f16_e32 v4, v3
	v_cvt_f64_f32_e32 v[2:3], v2
	s_delay_alu instid0(VALU_DEP_2)
	v_cvt_f64_f32_e32 v[4:5], v4
.LBB496_641:
	s_mov_b32 s0, 0
.LBB496_642:
	s_delay_alu instid0(SALU_CYCLE_1)
	s_and_not1_b32 vcc_lo, exec_lo, s0
	s_cbranch_vccnz .LBB496_654
; %bb.643:
	v_cmp_gt_i16_e32 vcc_lo, 6, v19
	s_cbranch_vccnz .LBB496_646
; %bb.644:
	v_cmp_lt_i16_e32 vcc_lo, 6, v19
	s_cbranch_vccz .LBB496_647
; %bb.645:
	global_load_b64 v[2:3], v[0:1], off
	s_mov_b32 s14, 0
	s_mov_b64 s[0:1], 0
	s_branch .LBB496_648
.LBB496_646:
	s_mov_b32 s14, -1
                                        ; implicit-def: $sgpr0_sgpr1
                                        ; implicit-def: $vgpr2_vgpr3
	s_branch .LBB496_651
.LBB496_647:
	s_mov_b32 s14, -1
                                        ; implicit-def: $sgpr0_sgpr1
                                        ; implicit-def: $vgpr2_vgpr3
.LBB496_648:
	s_delay_alu instid0(SALU_CYCLE_1)
	s_and_not1_b32 vcc_lo, exec_lo, s14
	s_cbranch_vccnz .LBB496_650
; %bb.649:
	global_load_b32 v2, v[0:1], off
	s_mov_b64 s[0:1], 0
	s_waitcnt vmcnt(0)
	v_cvt_f64_f32_e32 v[2:3], v2
.LBB496_650:
	s_mov_b32 s14, 0
.LBB496_651:
	s_delay_alu instid0(SALU_CYCLE_1)
	s_and_not1_b32 vcc_lo, exec_lo, s14
	s_cbranch_vccnz .LBB496_653
; %bb.652:
	global_load_u16 v2, v[0:1], off
	s_mov_b64 s[0:1], 0
	s_waitcnt vmcnt(0)
	v_cvt_f32_f16_e32 v2, v2
	s_delay_alu instid0(VALU_DEP_1)
	v_cvt_f64_f32_e32 v[2:3], v2
.LBB496_653:
	s_waitcnt vmcnt(0)
	v_dual_mov_b32 v5, s1 :: v_dual_mov_b32 v4, s0
.LBB496_654:
	s_mov_b32 s0, 0
.LBB496_655:
	s_delay_alu instid0(SALU_CYCLE_1)
	s_and_not1_b32 vcc_lo, exec_lo, s0
	s_cbranch_vccnz .LBB496_676
; %bb.656:
	v_cmp_gt_i16_e32 vcc_lo, 2, v19
	s_cbranch_vccnz .LBB496_660
; %bb.657:
	v_cmp_gt_i16_e32 vcc_lo, 3, v19
	s_cbranch_vccnz .LBB496_661
; %bb.658:
	v_cmp_lt_i16_e32 vcc_lo, 3, v19
	s_cbranch_vccz .LBB496_662
; %bb.659:
	global_load_b64 v[2:3], v[0:1], off
	s_mov_b32 s14, 0
	s_mov_b64 s[0:1], 0
	s_waitcnt vmcnt(0)
	v_cvt_f64_i32_e32 v[3:4], v3
	v_cvt_f64_u32_e32 v[5:6], v2
	s_delay_alu instid0(VALU_DEP_2) | instskip(NEXT) | instid1(VALU_DEP_1)
	v_ldexp_f64 v[3:4], v[3:4], 32
	v_add_f64 v[2:3], v[3:4], v[5:6]
	s_branch .LBB496_663
.LBB496_660:
	s_mov_b32 s14, -1
                                        ; implicit-def: $sgpr0_sgpr1
                                        ; implicit-def: $vgpr2_vgpr3
	s_branch .LBB496_669
.LBB496_661:
	s_mov_b32 s14, -1
                                        ; implicit-def: $sgpr0_sgpr1
                                        ; implicit-def: $vgpr2_vgpr3
	s_branch .LBB496_666
.LBB496_662:
	s_mov_b32 s14, -1
                                        ; implicit-def: $sgpr0_sgpr1
                                        ; implicit-def: $vgpr2_vgpr3
.LBB496_663:
	s_delay_alu instid0(SALU_CYCLE_1)
	s_and_not1_b32 vcc_lo, exec_lo, s14
	s_cbranch_vccnz .LBB496_665
; %bb.664:
	global_load_b32 v2, v[0:1], off
	s_mov_b64 s[0:1], 0
	s_waitcnt vmcnt(0)
	v_cvt_f64_i32_e32 v[2:3], v2
.LBB496_665:
	s_mov_b32 s14, 0
.LBB496_666:
	s_delay_alu instid0(SALU_CYCLE_1)
	s_and_not1_b32 vcc_lo, exec_lo, s14
	s_cbranch_vccnz .LBB496_668
; %bb.667:
	global_load_i16 v2, v[0:1], off
	s_mov_b64 s[0:1], 0
	s_waitcnt vmcnt(0)
	v_cvt_f64_i32_e32 v[2:3], v2
.LBB496_668:
	s_mov_b32 s14, 0
.LBB496_669:
	s_delay_alu instid0(SALU_CYCLE_1)
	s_and_not1_b32 vcc_lo, exec_lo, s14
	s_cbranch_vccnz .LBB496_675
; %bb.670:
	v_cmp_lt_i16_e32 vcc_lo, 0, v19
	s_mov_b32 s14, 0
	s_cbranch_vccz .LBB496_672
; %bb.671:
	global_load_i8 v2, v[0:1], off
	s_mov_b64 s[0:1], 0
	s_waitcnt vmcnt(0)
	v_cvt_f64_i32_e32 v[2:3], v2
	s_branch .LBB496_673
.LBB496_672:
	s_mov_b32 s14, -1
                                        ; implicit-def: $sgpr0_sgpr1
                                        ; implicit-def: $vgpr2_vgpr3
.LBB496_673:
	s_delay_alu instid0(SALU_CYCLE_1)
	s_and_not1_b32 vcc_lo, exec_lo, s14
	s_cbranch_vccnz .LBB496_675
; %bb.674:
	global_load_u8 v0, v[0:1], off
	s_mov_b64 s[0:1], 0
	s_waitcnt vmcnt(0)
	v_cvt_f64_u32_e32 v[2:3], v0
.LBB496_675:
	s_waitcnt vmcnt(0)
	v_dual_mov_b32 v5, s1 :: v_dual_mov_b32 v4, s0
.LBB496_676:
	s_mov_b32 s14, -1
.LBB496_677:
	s_delay_alu instid0(SALU_CYCLE_1)
	s_and_not1_b32 vcc_lo, exec_lo, s14
	s_cbranch_vccnz .LBB496_693
; %bb.678:
	v_dual_mov_b32 v0, s8 :: v_dual_mov_b32 v1, s9
	s_mov_b32 s0, exec_lo
	s_waitcnt vmcnt(0)
	s_delay_alu instid0(VALU_DEP_2)
	v_cmpx_o_f64_e32 v[2:3], v[2:3]
	s_cbranch_execz .LBB496_682
; %bb.679:
	v_dual_mov_b32 v0, s10 :: v_dual_mov_b32 v1, s11
	s_mov_b32 s1, exec_lo
	v_cmpx_neq_f64_e32 0x7ff00000, v[2:3]
; %bb.680:
	v_cmp_eq_f64_e32 vcc_lo, 0xfff00000, v[2:3]
	v_cndmask_b32_e64 v1, v3, s13, vcc_lo
	v_cndmask_b32_e64 v0, v2, s12, vcc_lo
; %bb.681:
	s_or_b32 exec_lo, exec_lo, s1
.LBB496_682:
	s_delay_alu instid0(SALU_CYCLE_1) | instskip(SKIP_2) | instid1(VALU_DEP_4)
	s_or_b32 exec_lo, exec_lo, s0
	v_dual_mov_b32 v2, s8 :: v_dual_mov_b32 v3, s9
	s_mov_b32 s0, exec_lo
	v_cmpx_o_f64_e32 v[4:5], v[4:5]
	s_cbranch_execz .LBB496_686
; %bb.683:
	v_dual_mov_b32 v2, s10 :: v_dual_mov_b32 v3, s11
	s_mov_b32 s1, exec_lo
	v_cmpx_neq_f64_e32 0x7ff00000, v[4:5]
; %bb.684:
	v_cmp_eq_f64_e32 vcc_lo, 0xfff00000, v[4:5]
	v_cndmask_b32_e64 v3, v5, s13, vcc_lo
	v_cndmask_b32_e64 v2, v4, s12, vcc_lo
; %bb.685:
	s_or_b32 exec_lo, exec_lo, s1
.LBB496_686:
	s_delay_alu instid0(SALU_CYCLE_1) | instskip(SKIP_2) | instid1(VALU_DEP_1)
	s_or_b32 exec_lo, exec_lo, s0
	v_mul_lo_u32 v4, v18, s2
	v_and_b32_e64 v6, 0xff, s16
	v_cmp_gt_i16_e32 vcc_lo, 11, v6
	s_delay_alu instid0(VALU_DEP_3) | instskip(SKIP_1) | instid1(VALU_DEP_1)
	v_ashrrev_i32_e32 v5, 31, v4
	v_add_co_u32 v4, s0, s4, v4
	v_add_co_ci_u32_e64 v5, s0, s5, v5, s0
	s_cbranch_vccnz .LBB496_694
; %bb.687:
	v_cmp_lt_i16_e32 vcc_lo, 25, v6
	s_cbranch_vccz .LBB496_695
; %bb.688:
	v_cmp_lt_i16_e32 vcc_lo, 28, v6
	s_cbranch_vccz .LBB496_696
	;; [unrolled: 3-line block ×4, first 2 shown]
; %bb.691:
	v_cmp_eq_u16_e32 vcc_lo, 46, v6
	s_mov_b32 s14, 0
	s_mov_b32 s0, -1
	s_mov_b32 s1, 0
	s_cbranch_vccz .LBB496_699
; %bb.692:
	v_cvt_f32_f64_e32 v7, v[2:3]
	v_cvt_f32_f64_e32 v8, v[0:1]
	s_mov_b32 s1, -1
	s_mov_b32 s0, 0
	s_delay_alu instid0(VALU_DEP_2) | instskip(NEXT) | instid1(VALU_DEP_2)
	v_bfe_u32 v9, v7, 16, 1
	v_bfe_u32 v10, v8, 16, 1
	v_cmp_o_f32_e32 vcc_lo, v7, v7
	s_delay_alu instid0(VALU_DEP_3) | instskip(NEXT) | instid1(VALU_DEP_3)
	v_add3_u32 v9, v7, v9, 0x7fff
	v_add3_u32 v10, v8, v10, 0x7fff
	s_delay_alu instid0(VALU_DEP_2) | instskip(NEXT) | instid1(VALU_DEP_2)
	v_and_b32_e32 v9, 0xffff0000, v9
	v_lshrrev_b32_e32 v10, 16, v10
	s_delay_alu instid0(VALU_DEP_2) | instskip(SKIP_1) | instid1(VALU_DEP_3)
	v_cndmask_b32_e32 v7, 0x7fc00000, v9, vcc_lo
	v_cmp_o_f32_e32 vcc_lo, v8, v8
	v_cndmask_b32_e32 v8, 0x7fc0, v10, vcc_lo
	s_delay_alu instid0(VALU_DEP_1)
	v_or_b32_e32 v7, v7, v8
	global_store_b32 v[4:5], v7, off
	s_branch .LBB496_699
.LBB496_693:
	s_mov_b32 s1, 0
	s_mov_b32 s0, s24
	s_branch .LBB496_810
.LBB496_694:
	s_mov_b32 s14, -1
	s_mov_b32 s1, 0
	s_mov_b32 s0, s24
	s_branch .LBB496_768
.LBB496_695:
	s_mov_b32 s14, -1
	s_mov_b32 s1, 0
	s_mov_b32 s0, s24
	s_branch .LBB496_726
.LBB496_696:
	s_mov_b32 s14, -1
	s_mov_b32 s1, 0
	s_mov_b32 s0, s24
	s_branch .LBB496_709
.LBB496_697:
	s_mov_b32 s14, -1
	s_mov_b32 s1, 0
	s_mov_b32 s0, s24
	s_branch .LBB496_705
.LBB496_698:
	s_mov_b32 s14, -1
	s_mov_b32 s1, 0
	s_mov_b32 s0, s24
.LBB496_699:
	s_and_b32 vcc_lo, exec_lo, s14
	s_cbranch_vccz .LBB496_704
; %bb.700:
	v_cmp_eq_u16_e32 vcc_lo, 44, v6
	s_mov_b32 s0, -1
	s_cbranch_vccz .LBB496_704
; %bb.701:
	v_cvt_f32_f64_e32 v7, v[0:1]
	v_mov_b32_e32 v8, 0xff
	s_mov_b32 s1, exec_lo
	s_delay_alu instid0(VALU_DEP_2) | instskip(NEXT) | instid1(VALU_DEP_1)
	v_bfe_u32 v9, v7, 23, 8
	v_cmpx_ne_u32_e32 0xff, v9
; %bb.702:
	v_and_b32_e32 v8, 0x400000, v7
	v_and_or_b32 v9, 0x3fffff, v7, v9
	v_lshrrev_b32_e32 v7, 23, v7
	s_delay_alu instid0(VALU_DEP_3) | instskip(NEXT) | instid1(VALU_DEP_3)
	v_cmp_ne_u32_e32 vcc_lo, 0, v8
	v_cmp_ne_u32_e64 s0, 0, v9
	s_delay_alu instid0(VALU_DEP_1) | instskip(NEXT) | instid1(SALU_CYCLE_1)
	s_and_b32 s0, vcc_lo, s0
	v_cndmask_b32_e64 v8, 0, 1, s0
	s_delay_alu instid0(VALU_DEP_1)
	v_add_nc_u32_e32 v8, v7, v8
; %bb.703:
	s_or_b32 exec_lo, exec_lo, s1
	s_mov_b32 s1, -1
	s_mov_b32 s0, 0
	global_store_b8 v[4:5], v8, off
.LBB496_704:
	s_mov_b32 s14, 0
.LBB496_705:
	s_delay_alu instid0(SALU_CYCLE_1)
	s_and_b32 vcc_lo, exec_lo, s14
	s_cbranch_vccz .LBB496_708
; %bb.706:
	v_cmp_eq_u16_e32 vcc_lo, 29, v6
	s_mov_b32 s0, -1
	s_cbranch_vccz .LBB496_708
; %bb.707:
	v_trunc_f64_e32 v[7:8], v[0:1]
	s_mov_b32 s1, -1
	s_mov_b32 s0, 0
	s_mov_b32 s14, 0
	s_delay_alu instid0(VALU_DEP_1) | instskip(NEXT) | instid1(VALU_DEP_1)
	v_ldexp_f64 v[9:10], v[7:8], 0xffffffe0
	v_floor_f64_e32 v[9:10], v[9:10]
	s_delay_alu instid0(VALU_DEP_1) | instskip(SKIP_1) | instid1(VALU_DEP_2)
	v_fma_f64 v[7:8], 0xc1f00000, v[9:10], v[7:8]
	v_cvt_u32_f64_e32 v9, v[9:10]
	v_cvt_u32_f64_e32 v8, v[7:8]
	global_store_b64 v[4:5], v[8:9], off
	s_branch .LBB496_709
.LBB496_708:
	s_mov_b32 s14, 0
.LBB496_709:
	s_delay_alu instid0(SALU_CYCLE_1)
	s_and_b32 vcc_lo, exec_lo, s14
	s_cbranch_vccz .LBB496_725
; %bb.710:
	v_cmp_gt_i16_e32 vcc_lo, 27, v6
	s_mov_b32 s1, -1
	s_cbranch_vccnz .LBB496_716
; %bb.711:
	v_cmp_lt_i16_e32 vcc_lo, 27, v6
	s_cbranch_vccz .LBB496_713
; %bb.712:
	v_cvt_u32_f64_e32 v7, v[0:1]
	s_mov_b32 s1, 0
	global_store_b32 v[4:5], v7, off
.LBB496_713:
	s_and_not1_b32 vcc_lo, exec_lo, s1
	s_cbranch_vccnz .LBB496_715
; %bb.714:
	v_cvt_u32_f64_e32 v7, v[0:1]
	global_store_b16 v[4:5], v7, off
.LBB496_715:
	s_mov_b32 s1, 0
.LBB496_716:
	s_delay_alu instid0(SALU_CYCLE_1)
	s_and_not1_b32 vcc_lo, exec_lo, s1
	s_cbranch_vccnz .LBB496_724
; %bb.717:
	v_cvt_f32_f64_e32 v7, v[0:1]
	v_mov_b32_e32 v9, 0x80
	s_mov_b32 s1, exec_lo
	s_delay_alu instid0(VALU_DEP_2) | instskip(NEXT) | instid1(VALU_DEP_1)
	v_and_b32_e32 v8, 0x7fffffff, v7
	v_cmpx_gt_u32_e32 0x43800000, v8
	s_cbranch_execz .LBB496_723
; %bb.718:
	v_cmp_lt_u32_e32 vcc_lo, 0x3bffffff, v8
	s_mov_b32 s14, 0
                                        ; implicit-def: $vgpr8
	s_and_saveexec_b32 s15, vcc_lo
	s_delay_alu instid0(SALU_CYCLE_1)
	s_xor_b32 s15, exec_lo, s15
	s_cbranch_execz .LBB496_825
; %bb.719:
	v_bfe_u32 v8, v7, 20, 1
	s_mov_b32 s14, exec_lo
	s_delay_alu instid0(VALU_DEP_1) | instskip(NEXT) | instid1(VALU_DEP_1)
	v_add3_u32 v8, v7, v8, 0x487ffff
	v_lshrrev_b32_e32 v8, 20, v8
	s_or_saveexec_b32 s15, s15
                                        ; implicit-def: $sgpr28
	s_delay_alu instid0(SALU_CYCLE_1)
	s_xor_b32 exec_lo, exec_lo, s15
	s_cbranch_execnz .LBB496_826
.LBB496_720:
	s_or_b32 exec_lo, exec_lo, s15
	v_mov_b32_e32 v9, s28
	s_and_saveexec_b32 s15, s14
.LBB496_721:
	v_lshrrev_b32_e32 v7, 24, v7
	s_delay_alu instid0(VALU_DEP_1)
	v_and_or_b32 v9, 0x80, v7, v8
.LBB496_722:
	s_or_b32 exec_lo, exec_lo, s15
.LBB496_723:
	s_delay_alu instid0(SALU_CYCLE_1)
	s_or_b32 exec_lo, exec_lo, s1
	global_store_b8 v[4:5], v9, off
.LBB496_724:
	s_mov_b32 s1, -1
.LBB496_725:
	s_mov_b32 s14, 0
.LBB496_726:
	s_delay_alu instid0(SALU_CYCLE_1)
	s_and_b32 vcc_lo, exec_lo, s14
	s_cbranch_vccz .LBB496_767
; %bb.727:
	v_cmp_lt_i16_e32 vcc_lo, 22, v6
	s_mov_b32 s14, -1
	s_cbranch_vccz .LBB496_759
; %bb.728:
	v_cmp_gt_i16_e32 vcc_lo, 24, v6
	s_mov_b32 s1, -1
	s_cbranch_vccnz .LBB496_748
; %bb.729:
	v_cmp_lt_i16_e32 vcc_lo, 24, v6
	s_cbranch_vccz .LBB496_737
; %bb.730:
	v_cvt_f32_f64_e32 v7, v[0:1]
	v_mov_b32_e32 v9, 0x80
	s_mov_b32 s1, exec_lo
	s_delay_alu instid0(VALU_DEP_2) | instskip(NEXT) | instid1(VALU_DEP_1)
	v_and_b32_e32 v8, 0x7fffffff, v7
	v_cmpx_gt_u32_e32 0x47800000, v8
	s_cbranch_execz .LBB496_736
; %bb.731:
	v_cmp_lt_u32_e32 vcc_lo, 0x37ffffff, v8
	s_mov_b32 s14, 0
                                        ; implicit-def: $vgpr8
	s_and_saveexec_b32 s15, vcc_lo
	s_delay_alu instid0(SALU_CYCLE_1)
	s_xor_b32 s15, exec_lo, s15
	s_cbranch_execz .LBB496_828
; %bb.732:
	v_bfe_u32 v8, v7, 21, 1
	s_mov_b32 s14, exec_lo
	s_delay_alu instid0(VALU_DEP_1) | instskip(NEXT) | instid1(VALU_DEP_1)
	v_add3_u32 v8, v7, v8, 0x88fffff
	v_lshrrev_b32_e32 v8, 21, v8
	s_or_saveexec_b32 s15, s15
                                        ; implicit-def: $sgpr28
	s_delay_alu instid0(SALU_CYCLE_1)
	s_xor_b32 exec_lo, exec_lo, s15
	s_cbranch_execnz .LBB496_829
.LBB496_733:
	s_or_b32 exec_lo, exec_lo, s15
	v_mov_b32_e32 v9, s28
	s_and_saveexec_b32 s15, s14
.LBB496_734:
	v_lshrrev_b32_e32 v7, 24, v7
	s_delay_alu instid0(VALU_DEP_1)
	v_and_or_b32 v9, 0x80, v7, v8
.LBB496_735:
	s_or_b32 exec_lo, exec_lo, s15
.LBB496_736:
	s_delay_alu instid0(SALU_CYCLE_1)
	s_or_b32 exec_lo, exec_lo, s1
	s_mov_b32 s1, 0
	global_store_b8 v[4:5], v9, off
.LBB496_737:
	s_and_b32 vcc_lo, exec_lo, s1
	s_cbranch_vccz .LBB496_747
; %bb.738:
	v_cvt_f32_f64_e32 v7, v[0:1]
	s_mov_b32 s1, exec_lo
                                        ; implicit-def: $vgpr8
	s_delay_alu instid0(VALU_DEP_1) | instskip(NEXT) | instid1(VALU_DEP_1)
	v_and_b32_e32 v9, 0x7fffffff, v7
	v_cmpx_gt_u32_e32 0x43f00000, v9
	s_xor_b32 s1, exec_lo, s1
	s_cbranch_execz .LBB496_744
; %bb.739:
	s_mov_b32 s14, exec_lo
                                        ; implicit-def: $vgpr8
	v_cmpx_lt_u32_e32 0x3c7fffff, v9
	s_xor_b32 s14, exec_lo, s14
; %bb.740:
	v_bfe_u32 v8, v7, 20, 1
	s_delay_alu instid0(VALU_DEP_1) | instskip(NEXT) | instid1(VALU_DEP_1)
	v_add3_u32 v8, v7, v8, 0x407ffff
	v_and_b32_e32 v9, 0xff00000, v8
	v_lshrrev_b32_e32 v8, 20, v8
	s_delay_alu instid0(VALU_DEP_2) | instskip(NEXT) | instid1(VALU_DEP_2)
	v_cmp_ne_u32_e32 vcc_lo, 0x7f00000, v9
	v_cndmask_b32_e32 v8, 0x7e, v8, vcc_lo
; %bb.741:
	s_and_not1_saveexec_b32 s14, s14
; %bb.742:
	v_add_f32_e64 v8, 0x46800000, |v7|
; %bb.743:
	s_or_b32 exec_lo, exec_lo, s14
                                        ; implicit-def: $vgpr9
.LBB496_744:
	s_and_not1_saveexec_b32 s1, s1
; %bb.745:
	v_mov_b32_e32 v8, 0x7f
	v_cmp_lt_u32_e32 vcc_lo, 0x7f800000, v9
	s_delay_alu instid0(VALU_DEP_2)
	v_cndmask_b32_e32 v8, 0x7e, v8, vcc_lo
; %bb.746:
	s_or_b32 exec_lo, exec_lo, s1
	v_lshrrev_b32_e32 v7, 24, v7
	s_delay_alu instid0(VALU_DEP_1)
	v_and_or_b32 v7, 0x80, v7, v8
	global_store_b8 v[4:5], v7, off
.LBB496_747:
	s_mov_b32 s1, 0
.LBB496_748:
	s_delay_alu instid0(SALU_CYCLE_1)
	s_and_not1_b32 vcc_lo, exec_lo, s1
	s_cbranch_vccnz .LBB496_758
; %bb.749:
	v_cvt_f32_f64_e32 v7, v[0:1]
	s_mov_b32 s1, exec_lo
                                        ; implicit-def: $vgpr8
	s_delay_alu instid0(VALU_DEP_1) | instskip(NEXT) | instid1(VALU_DEP_1)
	v_and_b32_e32 v9, 0x7fffffff, v7
	v_cmpx_gt_u32_e32 0x47800000, v9
	s_xor_b32 s1, exec_lo, s1
	s_cbranch_execz .LBB496_755
; %bb.750:
	s_mov_b32 s14, exec_lo
                                        ; implicit-def: $vgpr8
	v_cmpx_lt_u32_e32 0x387fffff, v9
	s_xor_b32 s14, exec_lo, s14
; %bb.751:
	v_bfe_u32 v8, v7, 21, 1
	s_delay_alu instid0(VALU_DEP_1) | instskip(NEXT) | instid1(VALU_DEP_1)
	v_add3_u32 v8, v7, v8, 0x80fffff
	v_lshrrev_b32_e32 v8, 21, v8
; %bb.752:
	s_and_not1_saveexec_b32 s14, s14
; %bb.753:
	v_add_f32_e64 v8, 0x43000000, |v7|
; %bb.754:
	s_or_b32 exec_lo, exec_lo, s14
                                        ; implicit-def: $vgpr9
.LBB496_755:
	s_and_not1_saveexec_b32 s1, s1
; %bb.756:
	v_mov_b32_e32 v8, 0x7f
	v_cmp_lt_u32_e32 vcc_lo, 0x7f800000, v9
	s_delay_alu instid0(VALU_DEP_2)
	v_cndmask_b32_e32 v8, 0x7c, v8, vcc_lo
; %bb.757:
	s_or_b32 exec_lo, exec_lo, s1
	v_lshrrev_b32_e32 v7, 24, v7
	s_delay_alu instid0(VALU_DEP_1)
	v_and_or_b32 v7, 0x80, v7, v8
	global_store_b8 v[4:5], v7, off
.LBB496_758:
	s_mov_b32 s14, 0
	s_mov_b32 s1, -1
.LBB496_759:
	s_and_not1_b32 vcc_lo, exec_lo, s14
	s_cbranch_vccnz .LBB496_767
; %bb.760:
	v_cmp_lt_i16_e32 vcc_lo, 14, v6
	s_mov_b32 s14, -1
	s_cbranch_vccz .LBB496_764
; %bb.761:
	v_cmp_eq_u16_e32 vcc_lo, 15, v6
	s_mov_b32 s0, -1
	s_cbranch_vccz .LBB496_763
; %bb.762:
	v_cvt_f32_f64_e32 v7, v[0:1]
	s_mov_b32 s1, -1
	s_mov_b32 s0, 0
	s_delay_alu instid0(VALU_DEP_1) | instskip(SKIP_1) | instid1(VALU_DEP_2)
	v_bfe_u32 v8, v7, 16, 1
	v_cmp_o_f32_e32 vcc_lo, v7, v7
	v_add3_u32 v8, v7, v8, 0x7fff
	s_delay_alu instid0(VALU_DEP_1) | instskip(NEXT) | instid1(VALU_DEP_1)
	v_lshrrev_b32_e32 v8, 16, v8
	v_cndmask_b32_e32 v7, 0x7fc0, v8, vcc_lo
	global_store_b16 v[4:5], v7, off
.LBB496_763:
	s_mov_b32 s14, 0
.LBB496_764:
	s_delay_alu instid0(SALU_CYCLE_1)
	s_and_b32 vcc_lo, exec_lo, s14
	s_cbranch_vccz .LBB496_767
; %bb.765:
	v_cmp_eq_u16_e32 vcc_lo, 11, v6
	s_mov_b32 s0, -1
	s_cbranch_vccz .LBB496_767
; %bb.766:
	v_cmp_neq_f64_e32 vcc_lo, 0, v[0:1]
	v_cmp_neq_f64_e64 s0, 0, v[2:3]
	s_mov_b32 s1, -1
	s_delay_alu instid0(VALU_DEP_1) | instskip(NEXT) | instid1(SALU_CYCLE_1)
	s_or_b32 s0, vcc_lo, s0
	v_cndmask_b32_e64 v7, 0, 1, s0
	s_mov_b32 s0, 0
	global_store_b8 v[4:5], v7, off
.LBB496_767:
	s_mov_b32 s14, 0
.LBB496_768:
	s_delay_alu instid0(SALU_CYCLE_1)
	s_and_b32 vcc_lo, exec_lo, s14
	s_cbranch_vccz .LBB496_807
; %bb.769:
	v_cmp_gt_i16_e32 vcc_lo, 5, v6
	s_mov_b32 s1, -1
	s_cbranch_vccnz .LBB496_790
; %bb.770:
	v_cmp_gt_i16_e32 vcc_lo, 8, v6
	s_cbranch_vccnz .LBB496_780
; %bb.771:
	v_cmp_gt_i16_e32 vcc_lo, 9, v6
	s_cbranch_vccnz .LBB496_777
; %bb.772:
	v_cmp_lt_i16_e32 vcc_lo, 9, v6
	s_cbranch_vccz .LBB496_774
; %bb.773:
	s_mov_b32 s1, 0
	global_store_b128 v[4:5], v[0:3], off
.LBB496_774:
	s_and_not1_b32 vcc_lo, exec_lo, s1
	s_cbranch_vccnz .LBB496_776
; %bb.775:
	v_cvt_f32_f64_e32 v7, v[0:1]
	v_cvt_f32_f64_e32 v8, v[2:3]
	global_store_b64 v[4:5], v[7:8], off
.LBB496_776:
	s_mov_b32 s1, 0
.LBB496_777:
	s_delay_alu instid0(SALU_CYCLE_1)
	s_and_not1_b32 vcc_lo, exec_lo, s1
	s_cbranch_vccnz .LBB496_779
; %bb.778:
	v_cvt_f32_f64_e32 v2, v[2:3]
	v_cvt_f32_f64_e32 v3, v[0:1]
	s_delay_alu instid0(VALU_DEP_2) | instskip(NEXT) | instid1(VALU_DEP_2)
	v_cvt_f16_f32_e32 v2, v2
	v_cvt_f16_f32_e32 v3, v3
	s_delay_alu instid0(VALU_DEP_2) | instskip(NEXT) | instid1(VALU_DEP_2)
	v_lshlrev_b32_e32 v2, 16, v2
	v_and_b32_e32 v3, 0xffff, v3
	s_delay_alu instid0(VALU_DEP_1)
	v_or_b32_e32 v2, v2, v3
	global_store_b32 v[4:5], v2, off
.LBB496_779:
	s_mov_b32 s1, 0
.LBB496_780:
	s_delay_alu instid0(SALU_CYCLE_1)
	s_and_not1_b32 vcc_lo, exec_lo, s1
	s_cbranch_vccnz .LBB496_789
; %bb.781:
	v_cmp_gt_i16_e32 vcc_lo, 6, v6
	s_mov_b32 s1, -1
	s_cbranch_vccnz .LBB496_787
; %bb.782:
	v_cmp_lt_i16_e32 vcc_lo, 6, v6
	s_cbranch_vccz .LBB496_784
; %bb.783:
	s_mov_b32 s1, 0
	global_store_b64 v[4:5], v[0:1], off
.LBB496_784:
	s_and_not1_b32 vcc_lo, exec_lo, s1
	s_cbranch_vccnz .LBB496_786
; %bb.785:
	v_cvt_f32_f64_e32 v2, v[0:1]
	global_store_b32 v[4:5], v2, off
.LBB496_786:
	s_mov_b32 s1, 0
.LBB496_787:
	s_delay_alu instid0(SALU_CYCLE_1)
	s_and_not1_b32 vcc_lo, exec_lo, s1
	s_cbranch_vccnz .LBB496_789
; %bb.788:
	v_cvt_f32_f64_e32 v2, v[0:1]
	s_delay_alu instid0(VALU_DEP_1)
	v_cvt_f16_f32_e32 v2, v2
	global_store_b16 v[4:5], v2, off
.LBB496_789:
	s_mov_b32 s1, 0
.LBB496_790:
	s_delay_alu instid0(SALU_CYCLE_1)
	s_and_not1_b32 vcc_lo, exec_lo, s1
	s_cbranch_vccnz .LBB496_806
; %bb.791:
	v_cmp_gt_i16_e32 vcc_lo, 2, v6
	s_mov_b32 s1, -1
	s_cbranch_vccnz .LBB496_801
; %bb.792:
	v_cmp_gt_i16_e32 vcc_lo, 3, v6
	s_cbranch_vccnz .LBB496_798
; %bb.793:
	v_cmp_lt_i16_e32 vcc_lo, 3, v6
	s_cbranch_vccz .LBB496_795
; %bb.794:
	v_trunc_f64_e32 v[2:3], v[0:1]
	s_mov_b32 s1, 0
	s_delay_alu instid0(VALU_DEP_1) | instskip(NEXT) | instid1(VALU_DEP_1)
	v_ldexp_f64 v[7:8], v[2:3], 0xffffffe0
	v_floor_f64_e32 v[7:8], v[7:8]
	s_delay_alu instid0(VALU_DEP_1) | instskip(SKIP_1) | instid1(VALU_DEP_2)
	v_fma_f64 v[2:3], 0xc1f00000, v[7:8], v[2:3]
	v_cvt_i32_f64_e32 v8, v[7:8]
	v_cvt_u32_f64_e32 v7, v[2:3]
	global_store_b64 v[4:5], v[7:8], off
.LBB496_795:
	s_and_not1_b32 vcc_lo, exec_lo, s1
	s_cbranch_vccnz .LBB496_797
; %bb.796:
	v_cvt_i32_f64_e32 v2, v[0:1]
	global_store_b32 v[4:5], v2, off
.LBB496_797:
	s_mov_b32 s1, 0
.LBB496_798:
	s_delay_alu instid0(SALU_CYCLE_1)
	s_and_not1_b32 vcc_lo, exec_lo, s1
	s_cbranch_vccnz .LBB496_800
; %bb.799:
	v_cvt_i32_f64_e32 v2, v[0:1]
	global_store_b16 v[4:5], v2, off
.LBB496_800:
	s_mov_b32 s1, 0
.LBB496_801:
	s_delay_alu instid0(SALU_CYCLE_1)
	s_and_not1_b32 vcc_lo, exec_lo, s1
	s_cbranch_vccnz .LBB496_806
; %bb.802:
	v_cmp_lt_i16_e32 vcc_lo, 0, v6
	s_mov_b32 s1, -1
	s_cbranch_vccz .LBB496_804
; %bb.803:
	v_cvt_i32_f64_e32 v2, v[0:1]
	s_mov_b32 s1, 0
	global_store_b8 v[4:5], v2, off
.LBB496_804:
	s_and_not1_b32 vcc_lo, exec_lo, s1
	s_cbranch_vccnz .LBB496_806
; %bb.805:
	v_trunc_f64_e32 v[0:1], v[0:1]
	s_delay_alu instid0(VALU_DEP_1) | instskip(NEXT) | instid1(VALU_DEP_1)
	v_ldexp_f64 v[2:3], v[0:1], 0xffffffe0
	v_floor_f64_e32 v[2:3], v[2:3]
	s_delay_alu instid0(VALU_DEP_1) | instskip(NEXT) | instid1(VALU_DEP_1)
	v_fma_f64 v[0:1], 0xc1f00000, v[2:3], v[0:1]
	v_cvt_u32_f64_e32 v0, v[0:1]
	global_store_b8 v[4:5], v0, off
.LBB496_806:
	s_mov_b32 s1, -1
.LBB496_807:
	s_delay_alu instid0(SALU_CYCLE_1)
	s_and_not1_b32 vcc_lo, exec_lo, s1
	s_cbranch_vccnz .LBB496_809
; %bb.808:
	v_add_nc_u32_e32 v18, 0x80, v18
	s_mov_b32 s1, -1
	s_branch .LBB496_811
.LBB496_809:
	s_mov_b32 s1, 0
.LBB496_810:
                                        ; implicit-def: $vgpr18
.LBB496_811:
	s_and_not1_b32 s14, s24, exec_lo
	s_and_b32 s0, s0, exec_lo
	s_and_not1_b32 s15, s23, exec_lo
	s_and_b32 s27, s27, exec_lo
	s_or_b32 s28, s14, s0
	s_or_b32 s27, s15, s27
	s_or_not1_b32 s15, s1, exec_lo
.LBB496_812:
	s_or_b32 exec_lo, exec_lo, s26
	s_mov_b32 s1, 0
	s_mov_b32 s0, 0
	;; [unrolled: 1-line block ×3, first 2 shown]
                                        ; implicit-def: $vgpr0_vgpr1
                                        ; implicit-def: $vgpr6_vgpr7
	s_and_saveexec_b32 s26, s15
	s_cbranch_execz .LBB496_900
; %bb.813:
	v_cmp_gt_i32_e32 vcc_lo, s20, v18
	s_mov_b32 s15, s27
                                        ; implicit-def: $vgpr0_vgpr1
                                        ; implicit-def: $vgpr6_vgpr7
	s_and_saveexec_b32 s20, vcc_lo
	s_cbranch_execz .LBB496_899
; %bb.814:
	v_mul_lo_u32 v0, v18, s3
	v_cmp_gt_i16_e32 vcc_lo, 11, v19
	s_delay_alu instid0(VALU_DEP_2) | instskip(SKIP_1) | instid1(VALU_DEP_1)
	v_ashrrev_i32_e32 v1, 31, v0
	v_add_co_u32 v0, s0, s6, v0
	v_add_co_ci_u32_e64 v1, s0, s7, v1, s0
	s_cbranch_vccnz .LBB496_821
; %bb.815:
	v_cmp_lt_i16_e32 vcc_lo, 25, v19
	s_mov_b32 s30, 0
	s_cbranch_vccz .LBB496_822
; %bb.816:
	v_cmp_lt_i16_e32 vcc_lo, 28, v19
	s_cbranch_vccz .LBB496_823
; %bb.817:
	v_cmp_lt_i16_e32 vcc_lo, 43, v19
	;; [unrolled: 3-line block ×3, first 2 shown]
	s_cbranch_vccz .LBB496_827
; %bb.819:
	v_cmp_eq_u16_e32 vcc_lo, 46, v19
	s_mov_b32 s0, 0
	s_cbranch_vccz .LBB496_830
; %bb.820:
	global_load_b32 v2, v[0:1], off
	s_mov_b32 s29, 0
	s_mov_b32 s14, -1
	s_waitcnt vmcnt(0)
	v_lshlrev_b32_e32 v3, 16, v2
	v_and_b32_e32 v2, 0xffff0000, v2
	s_delay_alu instid0(VALU_DEP_2) | instskip(NEXT) | instid1(VALU_DEP_2)
	v_cvt_f64_f32_e32 v[4:5], v3
	v_cvt_f64_f32_e32 v[6:7], v2
	s_branch .LBB496_832
.LBB496_821:
	s_mov_b32 s0, -1
	s_mov_b32 s30, 0
	s_mov_b32 s29, s27
                                        ; implicit-def: $vgpr6_vgpr7
	s_branch .LBB496_898
.LBB496_822:
	s_mov_b32 s0, -1
	s_mov_b32 s29, s27
                                        ; implicit-def: $vgpr6_vgpr7
	s_branch .LBB496_865
.LBB496_823:
	s_mov_b32 s0, -1
	s_mov_b32 s29, s27
                                        ; implicit-def: $vgpr6_vgpr7
	s_branch .LBB496_844
.LBB496_824:
	s_mov_b32 s0, -1
	s_mov_b32 s29, s27
                                        ; implicit-def: $vgpr6_vgpr7
	s_branch .LBB496_838
.LBB496_825:
	s_or_saveexec_b32 s15, s15
                                        ; implicit-def: $sgpr28
	s_delay_alu instid0(SALU_CYCLE_1)
	s_xor_b32 exec_lo, exec_lo, s15
	s_cbranch_execz .LBB496_720
.LBB496_826:
	v_add_f32_e64 v8, 0x46000000, |v7|
	s_and_not1_b32 s14, s14, exec_lo
	s_mov_b32 s28, 0
	s_delay_alu instid0(VALU_DEP_1) | instskip(NEXT) | instid1(VALU_DEP_1)
	v_and_b32_e32 v8, 0xff, v8
	v_cmp_ne_u32_e32 vcc_lo, 0, v8
	s_and_b32 s29, vcc_lo, exec_lo
	s_delay_alu instid0(SALU_CYCLE_1)
	s_or_b32 s14, s14, s29
	s_or_b32 exec_lo, exec_lo, s15
	v_mov_b32_e32 v9, s28
	s_and_saveexec_b32 s15, s14
	s_cbranch_execnz .LBB496_721
	s_branch .LBB496_722
.LBB496_827:
	s_mov_b32 s0, -1
	s_mov_b32 s29, s27
	s_branch .LBB496_831
.LBB496_828:
	s_or_saveexec_b32 s15, s15
                                        ; implicit-def: $sgpr28
	s_delay_alu instid0(SALU_CYCLE_1)
	s_xor_b32 exec_lo, exec_lo, s15
	s_cbranch_execz .LBB496_733
.LBB496_829:
	v_add_f32_e64 v8, 0x42800000, |v7|
	s_and_not1_b32 s14, s14, exec_lo
	s_mov_b32 s28, 0
	s_delay_alu instid0(VALU_DEP_1) | instskip(NEXT) | instid1(VALU_DEP_1)
	v_and_b32_e32 v8, 0xff, v8
	v_cmp_ne_u32_e32 vcc_lo, 0, v8
	s_and_b32 s29, vcc_lo, exec_lo
	s_delay_alu instid0(SALU_CYCLE_1)
	s_or_b32 s14, s14, s29
	s_or_b32 exec_lo, exec_lo, s15
	v_mov_b32_e32 v9, s28
	s_and_saveexec_b32 s15, s14
	s_cbranch_execnz .LBB496_734
	s_branch .LBB496_735
.LBB496_830:
	s_mov_b32 s29, -1
.LBB496_831:
                                        ; implicit-def: $vgpr6_vgpr7
.LBB496_832:
	s_and_b32 vcc_lo, exec_lo, s0
	s_cbranch_vccz .LBB496_837
; %bb.833:
	v_cmp_eq_u16_e32 vcc_lo, 44, v19
	s_cbranch_vccz .LBB496_835
; %bb.834:
	global_load_u8 v4, v[0:1], off
	s_mov_b32 s29, 0
	s_mov_b32 s14, -1
	s_mov_b64 s[0:1], 0
	s_waitcnt vmcnt(0)
	v_cmp_ne_u32_e32 vcc_lo, 0xff, v4
	v_lshlrev_b32_e32 v2, 23, v4
	s_delay_alu instid0(VALU_DEP_1) | instskip(NEXT) | instid1(VALU_DEP_1)
	v_cvt_f64_f32_e32 v[2:3], v2
	v_cndmask_b32_e32 v3, 0x7ff80000, v3, vcc_lo
	s_delay_alu instid0(VALU_DEP_2) | instskip(SKIP_1) | instid1(VALU_DEP_3)
	v_cndmask_b32_e32 v2, 0x20000000, v2, vcc_lo
	v_cmp_ne_u32_e32 vcc_lo, 0, v4
	v_cndmask_b32_e32 v5, 0x38000000, v3, vcc_lo
	s_delay_alu instid0(VALU_DEP_3)
	v_cndmask_b32_e32 v4, 0, v2, vcc_lo
	s_branch .LBB496_836
.LBB496_835:
	s_mov_b32 s29, -1
                                        ; implicit-def: $sgpr0_sgpr1
                                        ; implicit-def: $vgpr4_vgpr5
.LBB496_836:
	v_dual_mov_b32 v7, s1 :: v_dual_mov_b32 v6, s0
.LBB496_837:
	s_mov_b32 s0, 0
.LBB496_838:
	s_delay_alu instid0(SALU_CYCLE_1)
	s_and_b32 vcc_lo, exec_lo, s0
	s_cbranch_vccz .LBB496_843
; %bb.839:
	v_cmp_eq_u16_e32 vcc_lo, 29, v19
	s_cbranch_vccz .LBB496_841
; %bb.840:
	global_load_b64 v[2:3], v[0:1], off
	s_mov_b32 s29, 0
	s_mov_b32 s14, -1
	s_mov_b64 s[0:1], 0
	s_waitcnt vmcnt(0)
	v_cvt_f64_u32_e32 v[3:4], v3
	v_cvt_f64_u32_e32 v[5:6], v2
	s_delay_alu instid0(VALU_DEP_2) | instskip(NEXT) | instid1(VALU_DEP_1)
	v_ldexp_f64 v[3:4], v[3:4], 32
	v_add_f64 v[4:5], v[3:4], v[5:6]
	s_branch .LBB496_842
.LBB496_841:
	s_mov_b32 s29, -1
                                        ; implicit-def: $sgpr0_sgpr1
                                        ; implicit-def: $vgpr4_vgpr5
.LBB496_842:
	v_dual_mov_b32 v7, s1 :: v_dual_mov_b32 v6, s0
.LBB496_843:
	s_mov_b32 s0, 0
.LBB496_844:
	s_delay_alu instid0(SALU_CYCLE_1)
	s_and_b32 vcc_lo, exec_lo, s0
	s_cbranch_vccz .LBB496_864
; %bb.845:
	v_cmp_gt_i16_e32 vcc_lo, 27, v19
	s_cbranch_vccnz .LBB496_848
; %bb.846:
	v_cmp_lt_i16_e32 vcc_lo, 27, v19
	s_cbranch_vccz .LBB496_849
; %bb.847:
	global_load_b32 v2, v[0:1], off
	s_mov_b32 s14, 0
	s_mov_b64 s[0:1], 0
	s_waitcnt vmcnt(0)
	v_cvt_f64_u32_e32 v[4:5], v2
	s_branch .LBB496_850
.LBB496_848:
	s_mov_b32 s14, -1
                                        ; implicit-def: $sgpr0_sgpr1
                                        ; implicit-def: $vgpr4_vgpr5
	s_branch .LBB496_853
.LBB496_849:
	s_mov_b32 s14, -1
                                        ; implicit-def: $sgpr0_sgpr1
                                        ; implicit-def: $vgpr4_vgpr5
.LBB496_850:
	s_delay_alu instid0(SALU_CYCLE_1)
	s_and_not1_b32 vcc_lo, exec_lo, s14
	s_cbranch_vccnz .LBB496_852
; %bb.851:
	global_load_u16 v2, v[0:1], off
	s_mov_b64 s[0:1], 0
	s_waitcnt vmcnt(0)
	v_cvt_f64_u32_e32 v[4:5], v2
.LBB496_852:
	s_mov_b32 s14, 0
.LBB496_853:
	v_dual_mov_b32 v7, s1 :: v_dual_mov_b32 v6, s0
	s_and_not1_b32 vcc_lo, exec_lo, s14
	s_cbranch_vccnz .LBB496_863
; %bb.854:
	global_load_u8 v2, v[0:1], off
	s_mov_b32 s31, 0
	s_mov_b32 s33, exec_lo
                                        ; implicit-def: $sgpr0_sgpr1
                                        ; implicit-def: $sgpr14_sgpr15
	s_waitcnt vmcnt(0)
	v_cmpx_lt_i16_e32 0x7f, v2
	s_xor_b32 s33, exec_lo, s33
	s_cbranch_execz .LBB496_858
; %bb.855:
	s_mov_b32 s31, -1
	s_mov_b32 s34, exec_lo
                                        ; implicit-def: $sgpr0_sgpr1
                                        ; implicit-def: $sgpr14_sgpr15
	v_cmpx_eq_u16_e32 0x80, v2
; %bb.856:
	s_mov_b64 s[0:1], 0
	s_mov_b32 s15, 0x7ff80000
	s_brev_b32 s14, 4
	s_xor_b32 s31, exec_lo, -1
; %bb.857:
	s_or_b32 exec_lo, exec_lo, s34
	s_delay_alu instid0(SALU_CYCLE_1)
	s_and_b32 s31, s31, exec_lo
.LBB496_858:
	s_or_saveexec_b32 s33, s33
	v_dual_mov_b32 v7, s1 :: v_dual_mov_b32 v6, s0
	v_dual_mov_b32 v4, s14 :: v_dual_mov_b32 v5, s15
	s_xor_b32 exec_lo, exec_lo, s33
; %bb.859:
	v_mov_b32_e32 v6, 0
	v_mov_b32_e32 v7, 0
	v_cmp_ne_u16_e32 vcc_lo, 0, v2
	s_delay_alu instid0(VALU_DEP_3) | instskip(SKIP_1) | instid1(VALU_DEP_3)
	v_mov_b32_e32 v4, v6
	s_and_not1_b32 s0, s31, exec_lo
	v_mov_b32_e32 v5, v7
	s_and_b32 s1, vcc_lo, exec_lo
	s_delay_alu instid0(SALU_CYCLE_1)
	s_or_b32 s31, s0, s1
; %bb.860:
	s_or_b32 exec_lo, exec_lo, s33
	s_and_saveexec_b32 s0, s31
	s_cbranch_execz .LBB496_862
; %bb.861:
	v_and_b32_e32 v3, 0xffff, v2
	v_lshlrev_b32_e32 v2, 24, v2
	s_delay_alu instid0(VALU_DEP_2) | instskip(NEXT) | instid1(VALU_DEP_1)
	v_and_b32_e32 v4, 7, v3
	v_clz_i32_u32_e32 v5, v4
	s_delay_alu instid0(VALU_DEP_1) | instskip(NEXT) | instid1(VALU_DEP_1)
	v_min_u32_e32 v5, 32, v5
	v_subrev_nc_u32_e32 v6, 28, v5
	v_sub_nc_u32_e32 v5, 29, v5
	s_delay_alu instid0(VALU_DEP_2) | instskip(SKIP_1) | instid1(VALU_DEP_2)
	v_lshlrev_b32_e32 v6, v6, v3
	v_bfe_u32 v3, v3, 3, 4
	v_and_b32_e32 v6, 7, v6
	s_delay_alu instid0(VALU_DEP_2) | instskip(NEXT) | instid1(VALU_DEP_2)
	v_cmp_eq_u32_e32 vcc_lo, 0, v3
	v_dual_cndmask_b32 v3, v3, v5 :: v_dual_cndmask_b32 v4, v4, v6
	v_mov_b32_e32 v6, 0
	v_dual_mov_b32 v7, 0 :: v_dual_and_b32 v2, 0x80000000, v2
	s_delay_alu instid0(VALU_DEP_3) | instskip(NEXT) | instid1(VALU_DEP_4)
	v_lshl_add_u32 v3, v3, 23, 0x3b800000
	v_lshlrev_b32_e32 v4, 20, v4
	s_delay_alu instid0(VALU_DEP_1) | instskip(NEXT) | instid1(VALU_DEP_1)
	v_or3_b32 v2, v2, v3, v4
	v_cvt_f64_f32_e32 v[4:5], v2
.LBB496_862:
	s_or_b32 exec_lo, exec_lo, s0
.LBB496_863:
	s_mov_b32 s14, -1
.LBB496_864:
	s_mov_b32 s0, 0
.LBB496_865:
	s_delay_alu instid0(SALU_CYCLE_1)
	s_and_b32 vcc_lo, exec_lo, s0
	s_cbranch_vccz .LBB496_897
; %bb.866:
	v_cmp_lt_i16_e32 vcc_lo, 22, v19
	s_cbranch_vccz .LBB496_878
; %bb.867:
	v_cmp_gt_i16_e32 vcc_lo, 24, v19
	s_cbranch_vccnz .LBB496_879
; %bb.868:
	v_cmp_lt_i16_e32 vcc_lo, 24, v19
	s_cbranch_vccz .LBB496_880
; %bb.869:
	global_load_u8 v2, v[0:1], off
	s_mov_b32 s31, exec_lo
                                        ; implicit-def: $sgpr0_sgpr1
                                        ; implicit-def: $sgpr14_sgpr15
	s_waitcnt vmcnt(0)
	v_cmpx_lt_i16_e32 0x7f, v2
	s_xor_b32 s31, exec_lo, s31
	s_cbranch_execz .LBB496_873
; %bb.870:
	s_mov_b32 s30, -1
	s_mov_b32 s33, exec_lo
                                        ; implicit-def: $sgpr0_sgpr1
                                        ; implicit-def: $sgpr14_sgpr15
	v_cmpx_eq_u16_e32 0x80, v2
; %bb.871:
	s_mov_b64 s[0:1], 0
	s_mov_b32 s15, 0x7ff80000
	s_brev_b32 s14, 4
	s_xor_b32 s30, exec_lo, -1
; %bb.872:
	s_or_b32 exec_lo, exec_lo, s33
	s_delay_alu instid0(SALU_CYCLE_1)
	s_and_b32 s30, s30, exec_lo
.LBB496_873:
	s_or_saveexec_b32 s31, s31
	v_dual_mov_b32 v7, s1 :: v_dual_mov_b32 v6, s0
	v_dual_mov_b32 v4, s14 :: v_dual_mov_b32 v5, s15
	s_xor_b32 exec_lo, exec_lo, s31
; %bb.874:
	v_mov_b32_e32 v6, 0
	v_mov_b32_e32 v7, 0
	v_cmp_ne_u16_e32 vcc_lo, 0, v2
	s_delay_alu instid0(VALU_DEP_3) | instskip(SKIP_1) | instid1(VALU_DEP_3)
	v_mov_b32_e32 v4, v6
	s_and_not1_b32 s0, s30, exec_lo
	v_mov_b32_e32 v5, v7
	s_and_b32 s1, vcc_lo, exec_lo
	s_delay_alu instid0(SALU_CYCLE_1)
	s_or_b32 s30, s0, s1
; %bb.875:
	s_or_b32 exec_lo, exec_lo, s31
	s_and_saveexec_b32 s0, s30
	s_cbranch_execz .LBB496_877
; %bb.876:
	v_and_b32_e32 v3, 0xffff, v2
	v_lshlrev_b32_e32 v2, 24, v2
	s_delay_alu instid0(VALU_DEP_2) | instskip(NEXT) | instid1(VALU_DEP_1)
	v_and_b32_e32 v4, 3, v3
	v_clz_i32_u32_e32 v5, v4
	s_delay_alu instid0(VALU_DEP_1) | instskip(NEXT) | instid1(VALU_DEP_1)
	v_min_u32_e32 v5, 32, v5
	v_subrev_nc_u32_e32 v6, 29, v5
	v_sub_nc_u32_e32 v5, 30, v5
	s_delay_alu instid0(VALU_DEP_2) | instskip(SKIP_1) | instid1(VALU_DEP_2)
	v_lshlrev_b32_e32 v6, v6, v3
	v_bfe_u32 v3, v3, 2, 5
	v_and_b32_e32 v6, 3, v6
	s_delay_alu instid0(VALU_DEP_2) | instskip(NEXT) | instid1(VALU_DEP_2)
	v_cmp_eq_u32_e32 vcc_lo, 0, v3
	v_dual_cndmask_b32 v3, v3, v5 :: v_dual_cndmask_b32 v4, v4, v6
	v_mov_b32_e32 v6, 0
	v_dual_mov_b32 v7, 0 :: v_dual_and_b32 v2, 0x80000000, v2
	s_delay_alu instid0(VALU_DEP_3) | instskip(NEXT) | instid1(VALU_DEP_4)
	v_lshl_add_u32 v3, v3, 23, 0x37800000
	v_lshlrev_b32_e32 v4, 21, v4
	s_delay_alu instid0(VALU_DEP_1) | instskip(NEXT) | instid1(VALU_DEP_1)
	v_or3_b32 v2, v2, v3, v4
	v_cvt_f64_f32_e32 v[4:5], v2
.LBB496_877:
	s_or_b32 exec_lo, exec_lo, s0
	s_mov_b32 s0, 0
	s_branch .LBB496_881
.LBB496_878:
	s_mov_b32 s0, -1
                                        ; implicit-def: $vgpr6_vgpr7
	s_branch .LBB496_887
.LBB496_879:
	s_mov_b32 s0, -1
                                        ; implicit-def: $vgpr6_vgpr7
	s_branch .LBB496_884
.LBB496_880:
	s_mov_b32 s0, -1
                                        ; implicit-def: $vgpr6_vgpr7
.LBB496_881:
	s_delay_alu instid0(SALU_CYCLE_1)
	s_and_b32 vcc_lo, exec_lo, s0
	s_cbranch_vccz .LBB496_883
; %bb.882:
	global_load_u8 v2, v[0:1], off
	s_waitcnt vmcnt(0)
	v_lshlrev_b32_e32 v2, 24, v2
	s_delay_alu instid0(VALU_DEP_1) | instskip(NEXT) | instid1(VALU_DEP_1)
	v_and_b32_e32 v3, 0x7f000000, v2
	v_clz_i32_u32_e32 v4, v3
	v_add_nc_u32_e32 v6, 0x1000000, v3
	s_delay_alu instid0(VALU_DEP_2) | instskip(NEXT) | instid1(VALU_DEP_1)
	v_min_u32_e32 v4, 32, v4
	v_sub_nc_u32_e64 v4, v4, 4 clamp
	s_delay_alu instid0(VALU_DEP_1) | instskip(SKIP_1) | instid1(VALU_DEP_2)
	v_lshlrev_b32_e32 v5, v4, v3
	v_lshlrev_b32_e32 v4, 23, v4
	v_lshrrev_b32_e32 v5, 4, v5
	s_delay_alu instid0(VALU_DEP_1)
	v_sub_nc_u32_e32 v4, v5, v4
	v_ashrrev_i32_e32 v5, 8, v6
	v_mov_b32_e32 v6, 0
	v_mov_b32_e32 v7, 0
	v_cmp_ne_u32_e32 vcc_lo, 0, v3
	v_add_nc_u32_e32 v4, 0x3c000000, v4
	s_delay_alu instid0(VALU_DEP_1) | instskip(NEXT) | instid1(VALU_DEP_1)
	v_and_or_b32 v4, 0x7f800000, v5, v4
	v_cndmask_b32_e32 v3, 0, v4, vcc_lo
	s_delay_alu instid0(VALU_DEP_1) | instskip(NEXT) | instid1(VALU_DEP_1)
	v_and_or_b32 v2, 0x80000000, v2, v3
	v_cvt_f64_f32_e32 v[4:5], v2
.LBB496_883:
	s_mov_b32 s0, 0
.LBB496_884:
	s_delay_alu instid0(SALU_CYCLE_1)
	s_and_not1_b32 vcc_lo, exec_lo, s0
	s_cbranch_vccnz .LBB496_886
; %bb.885:
	global_load_u8 v2, v[0:1], off
	v_mov_b32_e32 v6, 0
	v_mov_b32_e32 v7, 0
	s_waitcnt vmcnt(0)
	v_lshlrev_b32_e32 v3, 25, v2
	v_lshlrev_b16 v2, 8, v2
	s_delay_alu instid0(VALU_DEP_2) | instskip(NEXT) | instid1(VALU_DEP_2)
	v_lshrrev_b32_e32 v4, 4, v3
	v_and_or_b32 v5, 0x7f00, v2, 0.5
	v_bfe_i32 v2, v2, 0, 16
	s_delay_alu instid0(VALU_DEP_3) | instskip(NEXT) | instid1(VALU_DEP_1)
	v_or_b32_e32 v4, 0x70000000, v4
	v_dual_add_f32 v5, -0.5, v5 :: v_dual_mul_f32 v4, 0x7800000, v4
	v_cmp_gt_u32_e32 vcc_lo, 0x8000000, v3
	s_delay_alu instid0(VALU_DEP_2) | instskip(NEXT) | instid1(VALU_DEP_1)
	v_cndmask_b32_e32 v3, v4, v5, vcc_lo
	v_and_or_b32 v2, 0x80000000, v2, v3
	s_delay_alu instid0(VALU_DEP_1)
	v_cvt_f64_f32_e32 v[4:5], v2
.LBB496_886:
	s_mov_b32 s0, 0
	s_mov_b32 s14, -1
.LBB496_887:
	s_and_not1_b32 vcc_lo, exec_lo, s0
	s_mov_b32 s30, 0
	s_cbranch_vccnz .LBB496_897
; %bb.888:
	v_cmp_lt_i16_e32 vcc_lo, 14, v19
	s_cbranch_vccz .LBB496_891
; %bb.889:
	v_cmp_eq_u16_e32 vcc_lo, 15, v19
	s_cbranch_vccz .LBB496_892
; %bb.890:
	global_load_u16 v2, v[0:1], off
	s_mov_b32 s29, 0
	s_mov_b32 s14, -1
	s_mov_b64 s[0:1], 0
	s_waitcnt vmcnt(0)
	v_lshlrev_b32_e32 v2, 16, v2
	s_delay_alu instid0(VALU_DEP_1)
	v_cvt_f64_f32_e32 v[4:5], v2
	s_branch .LBB496_893
.LBB496_891:
	s_mov_b32 s15, -1
                                        ; implicit-def: $sgpr0_sgpr1
                                        ; implicit-def: $vgpr4_vgpr5
	s_branch .LBB496_894
.LBB496_892:
	s_mov_b32 s29, -1
                                        ; implicit-def: $sgpr0_sgpr1
                                        ; implicit-def: $vgpr4_vgpr5
.LBB496_893:
	s_mov_b32 s15, 0
.LBB496_894:
	s_delay_alu instid0(SALU_CYCLE_1)
	s_and_b32 vcc_lo, exec_lo, s15
	s_cbranch_vccz .LBB496_896
; %bb.895:
	v_cmp_ne_u16_e32 vcc_lo, 11, v19
	s_and_not1_b32 s0, s29, exec_lo
	s_mov_b32 s30, -1
                                        ; implicit-def: $vgpr4_vgpr5
	s_and_b32 s1, vcc_lo, exec_lo
	s_delay_alu instid0(SALU_CYCLE_1)
	s_or_b32 s29, s0, s1
                                        ; implicit-def: $sgpr0_sgpr1
.LBB496_896:
	v_dual_mov_b32 v7, s1 :: v_dual_mov_b32 v6, s0
.LBB496_897:
	s_mov_b32 s0, 0
.LBB496_898:
	s_and_not1_b32 s15, s27, exec_lo
	s_and_b32 s29, s29, exec_lo
	s_and_b32 s14, s14, exec_lo
	s_and_b32 s0, s0, exec_lo
	s_and_b32 s1, s30, exec_lo
	s_or_b32 s15, s15, s29
.LBB496_899:
	s_or_b32 exec_lo, exec_lo, s20
	s_delay_alu instid0(SALU_CYCLE_1)
	s_and_not1_b32 s20, s27, exec_lo
	s_and_b32 s15, s15, exec_lo
	s_and_b32 s14, s14, exec_lo
	;; [unrolled: 1-line block ×4, first 2 shown]
	s_or_b32 s27, s20, s15
.LBB496_900:
	s_or_b32 exec_lo, exec_lo, s26
	s_delay_alu instid0(SALU_CYCLE_1)
	s_and_not1_b32 s15, s24, exec_lo
	s_and_b32 s20, s28, exec_lo
	s_and_b32 s14, s14, exec_lo
	s_or_b32 s24, s15, s20
	s_and_not1_b32 s15, s23, exec_lo
	s_and_b32 s20, s27, exec_lo
	s_and_b32 s0, s0, exec_lo
	;; [unrolled: 1-line block ×3, first 2 shown]
	s_or_b32 s23, s15, s20
.LBB496_901:
	s_or_b32 exec_lo, exec_lo, s25
	s_delay_alu instid0(SALU_CYCLE_1)
	s_and_not1_b32 s15, s19, exec_lo
	s_and_b32 s19, s24, exec_lo
	s_and_b32 s20, s23, exec_lo
	s_or_b32 s19, s15, s19
	s_and_b32 s15, s14, exec_lo
	s_and_not1_b32 s14, s21, exec_lo
	s_and_b32 s0, s0, exec_lo
	s_and_b32 s23, s1, exec_lo
	s_or_b32 s21, s14, s20
.LBB496_902:
	s_or_b32 exec_lo, exec_lo, s22
	s_mov_b32 s14, 0
	s_and_saveexec_b32 s1, s21
	s_cbranch_execnz .LBB496_914
; %bb.903:
	s_or_b32 exec_lo, exec_lo, s1
	s_and_saveexec_b32 s1, s23
	s_delay_alu instid0(SALU_CYCLE_1)
	s_xor_b32 s1, exec_lo, s1
	s_cbranch_execz .LBB496_905
.LBB496_904:
	global_load_u8 v2, v[0:1], off
	v_mov_b32_e32 v6, 0
	s_waitcnt vmcnt(1)
	v_dual_mov_b32 v7, 0 :: v_dual_mov_b32 v4, 0
	s_or_b32 s15, s15, exec_lo
	s_waitcnt vmcnt(0)
	v_cmp_ne_u16_e32 vcc_lo, 0, v2
	v_cndmask_b32_e64 v5, 0, 0x3ff00000, vcc_lo
.LBB496_905:
	s_or_b32 exec_lo, exec_lo, s1
	s_and_saveexec_b32 s20, s0
	s_cbranch_execz .LBB496_955
; %bb.906:
	v_cmp_gt_i16_e32 vcc_lo, 5, v19
	s_cbranch_vccnz .LBB496_911
; %bb.907:
	v_cmp_gt_i16_e32 vcc_lo, 8, v19
	s_cbranch_vccnz .LBB496_912
	;; [unrolled: 3-line block ×3, first 2 shown]
; %bb.909:
	v_cmp_lt_i16_e32 vcc_lo, 9, v19
	s_cbranch_vccz .LBB496_916
; %bb.910:
	global_load_b128 v[4:7], v[0:1], off
	s_mov_b32 s0, 0
	s_branch .LBB496_917
.LBB496_911:
                                        ; implicit-def: $vgpr6_vgpr7
	s_branch .LBB496_935
.LBB496_912:
                                        ; implicit-def: $vgpr6_vgpr7
	s_branch .LBB496_923
.LBB496_913:
	s_mov_b32 s0, -1
                                        ; implicit-def: $vgpr6_vgpr7
	s_branch .LBB496_920
.LBB496_914:
	s_cbranch_execnz .LBB496_972
; %bb.915:
	s_mov_b32 s14, exec_lo
	s_and_not1_b32 s23, s23, exec_lo
                                        ; implicit-def: $vgpr6_vgpr7
	s_or_b32 exec_lo, exec_lo, s1
	s_and_saveexec_b32 s1, s23
	s_delay_alu instid0(SALU_CYCLE_1)
	s_xor_b32 s1, exec_lo, s1
	s_cbranch_execnz .LBB496_904
	s_branch .LBB496_905
.LBB496_916:
	s_mov_b32 s0, -1
                                        ; implicit-def: $vgpr6_vgpr7
.LBB496_917:
	s_delay_alu instid0(SALU_CYCLE_1)
	s_and_not1_b32 vcc_lo, exec_lo, s0
	s_cbranch_vccnz .LBB496_919
; %bb.918:
	global_load_b64 v[2:3], v[0:1], off
	s_waitcnt vmcnt(0)
	v_cvt_f64_f32_e32 v[4:5], v2
	v_cvt_f64_f32_e32 v[6:7], v3
.LBB496_919:
	s_mov_b32 s0, 0
.LBB496_920:
	s_delay_alu instid0(SALU_CYCLE_1)
	s_and_not1_b32 vcc_lo, exec_lo, s0
	s_cbranch_vccnz .LBB496_922
; %bb.921:
	global_load_b32 v2, v[0:1], off
	s_waitcnt vmcnt(0)
	v_lshrrev_b32_e32 v3, 16, v2
	v_cvt_f32_f16_e32 v2, v2
	s_delay_alu instid0(VALU_DEP_2) | instskip(NEXT) | instid1(VALU_DEP_2)
	v_cvt_f32_f16_e32 v3, v3
	v_cvt_f64_f32_e32 v[4:5], v2
	s_delay_alu instid0(VALU_DEP_2)
	v_cvt_f64_f32_e32 v[6:7], v3
.LBB496_922:
	s_cbranch_execnz .LBB496_934
.LBB496_923:
	v_cmp_gt_i16_e32 vcc_lo, 6, v19
	s_cbranch_vccnz .LBB496_926
; %bb.924:
	v_cmp_lt_i16_e32 vcc_lo, 6, v19
	s_cbranch_vccz .LBB496_927
; %bb.925:
	global_load_b64 v[4:5], v[0:1], off
	s_mov_b32 s21, 0
	s_mov_b64 s[0:1], 0
	s_branch .LBB496_928
.LBB496_926:
	s_mov_b32 s21, -1
                                        ; implicit-def: $sgpr0_sgpr1
                                        ; implicit-def: $vgpr4_vgpr5
	s_branch .LBB496_931
.LBB496_927:
	s_mov_b32 s21, -1
                                        ; implicit-def: $sgpr0_sgpr1
                                        ; implicit-def: $vgpr4_vgpr5
.LBB496_928:
	s_delay_alu instid0(SALU_CYCLE_1)
	s_and_not1_b32 vcc_lo, exec_lo, s21
	s_cbranch_vccnz .LBB496_930
; %bb.929:
	global_load_b32 v2, v[0:1], off
	s_mov_b64 s[0:1], 0
	s_waitcnt vmcnt(0)
	v_cvt_f64_f32_e32 v[4:5], v2
.LBB496_930:
	s_mov_b32 s21, 0
.LBB496_931:
	s_delay_alu instid0(SALU_CYCLE_1)
	s_and_not1_b32 vcc_lo, exec_lo, s21
	s_cbranch_vccnz .LBB496_933
; %bb.932:
	global_load_u16 v2, v[0:1], off
	s_mov_b64 s[0:1], 0
	s_waitcnt vmcnt(0)
	v_cvt_f32_f16_e32 v2, v2
	s_delay_alu instid0(VALU_DEP_1)
	v_cvt_f64_f32_e32 v[4:5], v2
.LBB496_933:
	s_waitcnt vmcnt(0)
	v_dual_mov_b32 v7, s1 :: v_dual_mov_b32 v6, s0
.LBB496_934:
	s_cbranch_execnz .LBB496_954
.LBB496_935:
	v_cmp_gt_i16_e32 vcc_lo, 2, v19
	s_cbranch_vccnz .LBB496_939
; %bb.936:
	v_cmp_gt_i16_e32 vcc_lo, 3, v19
	s_cbranch_vccnz .LBB496_940
; %bb.937:
	v_cmp_lt_i16_e32 vcc_lo, 3, v19
	s_cbranch_vccz .LBB496_941
; %bb.938:
	global_load_b64 v[2:3], v[0:1], off
	s_mov_b32 s21, 0
	s_mov_b64 s[0:1], 0
	s_waitcnt vmcnt(0)
	v_cvt_f64_i32_e32 v[3:4], v3
	v_cvt_f64_u32_e32 v[5:6], v2
	s_delay_alu instid0(VALU_DEP_2) | instskip(NEXT) | instid1(VALU_DEP_1)
	v_ldexp_f64 v[3:4], v[3:4], 32
	v_add_f64 v[4:5], v[3:4], v[5:6]
	s_branch .LBB496_942
.LBB496_939:
                                        ; implicit-def: $sgpr0_sgpr1
                                        ; implicit-def: $vgpr4_vgpr5
	s_branch .LBB496_948
.LBB496_940:
	s_mov_b32 s21, -1
                                        ; implicit-def: $sgpr0_sgpr1
                                        ; implicit-def: $vgpr4_vgpr5
	s_branch .LBB496_945
.LBB496_941:
	s_mov_b32 s21, -1
                                        ; implicit-def: $sgpr0_sgpr1
                                        ; implicit-def: $vgpr4_vgpr5
.LBB496_942:
	s_delay_alu instid0(SALU_CYCLE_1)
	s_and_not1_b32 vcc_lo, exec_lo, s21
	s_cbranch_vccnz .LBB496_944
; %bb.943:
	global_load_b32 v2, v[0:1], off
	s_mov_b64 s[0:1], 0
	s_waitcnt vmcnt(0)
	v_cvt_f64_i32_e32 v[4:5], v2
.LBB496_944:
	s_mov_b32 s21, 0
.LBB496_945:
	s_delay_alu instid0(SALU_CYCLE_1)
	s_and_not1_b32 vcc_lo, exec_lo, s21
	s_cbranch_vccnz .LBB496_947
; %bb.946:
	global_load_i16 v2, v[0:1], off
	s_mov_b64 s[0:1], 0
	s_waitcnt vmcnt(0)
	v_cvt_f64_i32_e32 v[4:5], v2
.LBB496_947:
	s_cbranch_execnz .LBB496_953
.LBB496_948:
	v_cmp_lt_i16_e32 vcc_lo, 0, v19
	s_mov_b32 s21, 0
	s_cbranch_vccz .LBB496_950
; %bb.949:
	global_load_i8 v2, v[0:1], off
	s_mov_b64 s[0:1], 0
	s_waitcnt vmcnt(0)
	v_cvt_f64_i32_e32 v[4:5], v2
	s_branch .LBB496_951
.LBB496_950:
	s_mov_b32 s21, -1
                                        ; implicit-def: $sgpr0_sgpr1
                                        ; implicit-def: $vgpr4_vgpr5
.LBB496_951:
	s_delay_alu instid0(SALU_CYCLE_1)
	s_and_not1_b32 vcc_lo, exec_lo, s21
	s_cbranch_vccnz .LBB496_953
; %bb.952:
	global_load_u8 v0, v[0:1], off
	s_mov_b64 s[0:1], 0
	s_waitcnt vmcnt(0)
	v_cvt_f64_u32_e32 v[4:5], v0
.LBB496_953:
	s_waitcnt vmcnt(0)
	v_dual_mov_b32 v7, s1 :: v_dual_mov_b32 v6, s0
.LBB496_954:
	s_or_b32 s15, s15, exec_lo
.LBB496_955:
	s_or_b32 exec_lo, exec_lo, s20
	s_mov_b32 s0, 0
	s_mov_b32 s20, 0
                                        ; implicit-def: $vgpr10
                                        ; implicit-def: $vgpr8_vgpr9
                                        ; implicit-def: $vgpr2_vgpr3
	s_and_saveexec_b32 s1, s15
	s_cbranch_execz .LBB496_1043
; %bb.956:
	v_dual_mov_b32 v0, s8 :: v_dual_mov_b32 v1, s9
	s_mov_b32 s0, exec_lo
	s_waitcnt vmcnt(0)
	s_delay_alu instid0(VALU_DEP_2)
	v_cmpx_o_f64_e32 v[4:5], v[4:5]
	s_cbranch_execz .LBB496_960
; %bb.957:
	v_dual_mov_b32 v0, s10 :: v_dual_mov_b32 v1, s11
	s_mov_b32 s15, exec_lo
	v_cmpx_neq_f64_e32 0x7ff00000, v[4:5]
; %bb.958:
	v_cmp_eq_f64_e32 vcc_lo, 0xfff00000, v[4:5]
	v_cndmask_b32_e64 v1, v5, s13, vcc_lo
	v_cndmask_b32_e64 v0, v4, s12, vcc_lo
; %bb.959:
	s_or_b32 exec_lo, exec_lo, s15
.LBB496_960:
	s_delay_alu instid0(SALU_CYCLE_1) | instskip(SKIP_2) | instid1(VALU_DEP_4)
	s_or_b32 exec_lo, exec_lo, s0
	v_dual_mov_b32 v2, s8 :: v_dual_mov_b32 v3, s9
	s_mov_b32 s0, exec_lo
	v_cmpx_o_f64_e32 v[6:7], v[6:7]
	s_cbranch_execz .LBB496_964
; %bb.961:
	v_dual_mov_b32 v2, s10 :: v_dual_mov_b32 v3, s11
	s_mov_b32 s15, exec_lo
	v_cmpx_neq_f64_e32 0x7ff00000, v[6:7]
; %bb.962:
	v_cmp_eq_f64_e32 vcc_lo, 0xfff00000, v[6:7]
	v_cndmask_b32_e64 v3, v7, s13, vcc_lo
	v_cndmask_b32_e64 v2, v6, s12, vcc_lo
; %bb.963:
	s_or_b32 exec_lo, exec_lo, s15
.LBB496_964:
	s_delay_alu instid0(SALU_CYCLE_1) | instskip(SKIP_2) | instid1(VALU_DEP_1)
	s_or_b32 exec_lo, exec_lo, s0
	v_mul_lo_u32 v4, v18, s2
	v_and_b32_e64 v10, 0xff, s16
	v_cmp_gt_i16_e32 vcc_lo, 11, v10
	s_delay_alu instid0(VALU_DEP_3) | instskip(SKIP_1) | instid1(VALU_DEP_1)
	v_ashrrev_i32_e32 v5, 31, v4
	v_add_co_u32 v8, s0, s4, v4
	v_add_co_ci_u32_e64 v9, s0, s5, v5, s0
	s_cbranch_vccnz .LBB496_971
; %bb.965:
	v_cmp_lt_i16_e32 vcc_lo, 25, v10
	s_mov_b32 s15, -1
	s_mov_b32 s0, s19
	s_cbranch_vccz .LBB496_1001
; %bb.966:
	v_cmp_lt_i16_e32 vcc_lo, 28, v10
	s_mov_b32 s0, s19
	s_cbranch_vccz .LBB496_985
; %bb.967:
	v_cmp_lt_i16_e32 vcc_lo, 43, v10
	;; [unrolled: 4-line block ×3, first 2 shown]
	s_mov_b32 s0, s19
	s_cbranch_vccz .LBB496_975
; %bb.969:
	v_cmp_eq_u16_e32 vcc_lo, 46, v10
	s_mov_b32 s0, -1
	s_cbranch_vccz .LBB496_974
; %bb.970:
	v_cvt_f32_f64_e32 v4, v[2:3]
	v_cvt_f32_f64_e32 v5, v[0:1]
	s_mov_b32 s0, 0
	s_mov_b32 s15, 0
	s_delay_alu instid0(VALU_DEP_2) | instskip(NEXT) | instid1(VALU_DEP_2)
	v_bfe_u32 v6, v4, 16, 1
	v_bfe_u32 v7, v5, 16, 1
	v_cmp_o_f32_e32 vcc_lo, v4, v4
	s_delay_alu instid0(VALU_DEP_3) | instskip(NEXT) | instid1(VALU_DEP_3)
	v_add3_u32 v6, v4, v6, 0x7fff
	v_add3_u32 v7, v5, v7, 0x7fff
	s_delay_alu instid0(VALU_DEP_2) | instskip(NEXT) | instid1(VALU_DEP_2)
	v_and_b32_e32 v6, 0xffff0000, v6
	v_lshrrev_b32_e32 v7, 16, v7
	s_delay_alu instid0(VALU_DEP_2) | instskip(SKIP_1) | instid1(VALU_DEP_3)
	v_cndmask_b32_e32 v4, 0x7fc00000, v6, vcc_lo
	v_cmp_o_f32_e32 vcc_lo, v5, v5
	v_cndmask_b32_e32 v5, 0x7fc0, v7, vcc_lo
	s_delay_alu instid0(VALU_DEP_1)
	v_or_b32_e32 v4, v4, v5
	global_store_b32 v[8:9], v4, off
	s_branch .LBB496_975
.LBB496_971:
	s_mov_b32 s21, 0
	s_mov_b32 s15, -1
	s_mov_b32 s0, s19
	s_branch .LBB496_1042
.LBB496_972:
	s_trap 2
	s_sendmsg_rtn_b32 s0, sendmsg(MSG_RTN_GET_DOORBELL)
	s_mov_b32 ttmp2, m0
	s_waitcnt lgkmcnt(0)
	s_and_b32 s0, s0, 0x3ff
	s_delay_alu instid0(SALU_CYCLE_1) | instskip(NEXT) | instid1(SALU_CYCLE_1)
	s_bitset1_b32 s0, 10
	s_mov_b32 m0, s0
	s_sendmsg sendmsg(MSG_INTERRUPT)
	s_mov_b32 m0, ttmp2
.LBB496_973:                            ; =>This Inner Loop Header: Depth=1
	s_sethalt 5
	s_branch .LBB496_973
.LBB496_974:
	s_mov_b32 s15, 0
.LBB496_975:
	s_delay_alu instid0(SALU_CYCLE_1)
	s_and_b32 vcc_lo, exec_lo, s15
	s_cbranch_vccz .LBB496_980
; %bb.976:
	v_cmp_eq_u16_e32 vcc_lo, 44, v10
	s_mov_b32 s0, -1
	s_cbranch_vccz .LBB496_980
; %bb.977:
	v_cvt_f32_f64_e32 v4, v[0:1]
	v_mov_b32_e32 v5, 0xff
	s_mov_b32 s15, exec_lo
	s_delay_alu instid0(VALU_DEP_2) | instskip(NEXT) | instid1(VALU_DEP_1)
	v_bfe_u32 v6, v4, 23, 8
	v_cmpx_ne_u32_e32 0xff, v6
; %bb.978:
	v_and_b32_e32 v5, 0x400000, v4
	v_and_or_b32 v6, 0x3fffff, v4, v6
	v_lshrrev_b32_e32 v4, 23, v4
	s_delay_alu instid0(VALU_DEP_3) | instskip(NEXT) | instid1(VALU_DEP_3)
	v_cmp_ne_u32_e32 vcc_lo, 0, v5
	v_cmp_ne_u32_e64 s0, 0, v6
	s_delay_alu instid0(VALU_DEP_1) | instskip(NEXT) | instid1(SALU_CYCLE_1)
	s_and_b32 s0, vcc_lo, s0
	v_cndmask_b32_e64 v5, 0, 1, s0
	s_delay_alu instid0(VALU_DEP_1)
	v_add_nc_u32_e32 v5, v4, v5
; %bb.979:
	s_or_b32 exec_lo, exec_lo, s15
	s_mov_b32 s0, 0
	global_store_b8 v[8:9], v5, off
.LBB496_980:
	s_mov_b32 s15, 0
.LBB496_981:
	s_delay_alu instid0(SALU_CYCLE_1)
	s_and_b32 vcc_lo, exec_lo, s15
	s_cbranch_vccz .LBB496_984
; %bb.982:
	v_cmp_eq_u16_e32 vcc_lo, 29, v10
	s_mov_b32 s0, -1
	s_cbranch_vccz .LBB496_984
; %bb.983:
	v_trunc_f64_e32 v[4:5], v[0:1]
	s_mov_b32 s0, 0
	s_mov_b32 s15, 0
	s_delay_alu instid0(VALU_DEP_1) | instskip(NEXT) | instid1(VALU_DEP_1)
	v_ldexp_f64 v[6:7], v[4:5], 0xffffffe0
	v_floor_f64_e32 v[6:7], v[6:7]
	s_delay_alu instid0(VALU_DEP_1) | instskip(SKIP_1) | instid1(VALU_DEP_2)
	v_fma_f64 v[4:5], 0xc1f00000, v[6:7], v[4:5]
	v_cvt_u32_f64_e32 v6, v[6:7]
	v_cvt_u32_f64_e32 v5, v[4:5]
	global_store_b64 v[8:9], v[5:6], off
	s_branch .LBB496_985
.LBB496_984:
	s_mov_b32 s15, 0
.LBB496_985:
	s_delay_alu instid0(SALU_CYCLE_1)
	s_and_b32 vcc_lo, exec_lo, s15
	s_cbranch_vccz .LBB496_1000
; %bb.986:
	v_cmp_gt_i16_e32 vcc_lo, 27, v10
	s_mov_b32 s15, -1
	s_cbranch_vccnz .LBB496_992
; %bb.987:
	v_cvt_u32_f64_e32 v4, v[0:1]
	v_cmp_lt_i16_e32 vcc_lo, 27, v10
	s_cbranch_vccz .LBB496_989
; %bb.988:
	s_mov_b32 s15, 0
	global_store_b32 v[8:9], v4, off
.LBB496_989:
	s_and_not1_b32 vcc_lo, exec_lo, s15
	s_cbranch_vccnz .LBB496_991
; %bb.990:
	global_store_b16 v[8:9], v4, off
.LBB496_991:
	s_mov_b32 s15, 0
.LBB496_992:
	s_delay_alu instid0(SALU_CYCLE_1)
	s_and_not1_b32 vcc_lo, exec_lo, s15
	s_cbranch_vccnz .LBB496_1000
; %bb.993:
	v_cvt_f32_f64_e32 v4, v[0:1]
	v_mov_b32_e32 v6, 0x80
	s_mov_b32 s15, exec_lo
	s_delay_alu instid0(VALU_DEP_2) | instskip(NEXT) | instid1(VALU_DEP_1)
	v_and_b32_e32 v5, 0x7fffffff, v4
	v_cmpx_gt_u32_e32 0x43800000, v5
	s_cbranch_execz .LBB496_999
; %bb.994:
	v_cmp_lt_u32_e32 vcc_lo, 0x3bffffff, v5
                                        ; implicit-def: $vgpr5
	s_and_saveexec_b32 s21, vcc_lo
	s_delay_alu instid0(SALU_CYCLE_1)
	s_xor_b32 s21, exec_lo, s21
	s_cbranch_execz .LBB496_1248
; %bb.995:
	v_bfe_u32 v5, v4, 20, 1
	s_mov_b32 s20, exec_lo
	s_delay_alu instid0(VALU_DEP_1) | instskip(NEXT) | instid1(VALU_DEP_1)
	v_add3_u32 v5, v4, v5, 0x487ffff
	v_lshrrev_b32_e32 v5, 20, v5
	s_or_saveexec_b32 s21, s21
                                        ; implicit-def: $sgpr22
	s_delay_alu instid0(SALU_CYCLE_1)
	s_xor_b32 exec_lo, exec_lo, s21
	s_cbranch_execnz .LBB496_1249
.LBB496_996:
	s_or_b32 exec_lo, exec_lo, s21
	v_mov_b32_e32 v6, s22
	s_and_saveexec_b32 s21, s20
.LBB496_997:
	v_lshrrev_b32_e32 v4, 24, v4
	s_delay_alu instid0(VALU_DEP_1)
	v_and_or_b32 v6, 0x80, v4, v5
.LBB496_998:
	s_or_b32 exec_lo, exec_lo, s21
.LBB496_999:
	s_delay_alu instid0(SALU_CYCLE_1)
	s_or_b32 exec_lo, exec_lo, s15
	global_store_b8 v[8:9], v6, off
.LBB496_1000:
	s_mov_b32 s15, 0
.LBB496_1001:
	s_delay_alu instid0(SALU_CYCLE_1)
	s_and_b32 vcc_lo, exec_lo, s15
	s_mov_b32 s15, 0
	s_cbranch_vccz .LBB496_1041
; %bb.1002:
	v_cmp_lt_i16_e32 vcc_lo, 22, v10
	s_mov_b32 s20, -1
	s_cbranch_vccz .LBB496_1034
; %bb.1003:
	v_cmp_gt_i16_e32 vcc_lo, 24, v10
	s_cbranch_vccnz .LBB496_1023
; %bb.1004:
	v_cmp_lt_i16_e32 vcc_lo, 24, v10
	s_cbranch_vccz .LBB496_1012
; %bb.1005:
	v_cvt_f32_f64_e32 v4, v[0:1]
	v_mov_b32_e32 v6, 0x80
	s_mov_b32 s20, exec_lo
	s_delay_alu instid0(VALU_DEP_2) | instskip(NEXT) | instid1(VALU_DEP_1)
	v_and_b32_e32 v5, 0x7fffffff, v4
	v_cmpx_gt_u32_e32 0x47800000, v5
	s_cbranch_execz .LBB496_1011
; %bb.1006:
	v_cmp_lt_u32_e32 vcc_lo, 0x37ffffff, v5
	s_mov_b32 s21, 0
                                        ; implicit-def: $vgpr5
	s_and_saveexec_b32 s22, vcc_lo
	s_delay_alu instid0(SALU_CYCLE_1)
	s_xor_b32 s22, exec_lo, s22
	s_cbranch_execz .LBB496_1293
; %bb.1007:
	v_bfe_u32 v5, v4, 21, 1
	s_mov_b32 s21, exec_lo
	s_delay_alu instid0(VALU_DEP_1) | instskip(NEXT) | instid1(VALU_DEP_1)
	v_add3_u32 v5, v4, v5, 0x88fffff
	v_lshrrev_b32_e32 v5, 21, v5
	s_or_saveexec_b32 s22, s22
                                        ; implicit-def: $sgpr23
	s_delay_alu instid0(SALU_CYCLE_1)
	s_xor_b32 exec_lo, exec_lo, s22
	s_cbranch_execnz .LBB496_1294
.LBB496_1008:
	s_or_b32 exec_lo, exec_lo, s22
	v_mov_b32_e32 v6, s23
	s_and_saveexec_b32 s22, s21
.LBB496_1009:
	v_lshrrev_b32_e32 v4, 24, v4
	s_delay_alu instid0(VALU_DEP_1)
	v_and_or_b32 v6, 0x80, v4, v5
.LBB496_1010:
	s_or_b32 exec_lo, exec_lo, s22
.LBB496_1011:
	s_delay_alu instid0(SALU_CYCLE_1)
	s_or_b32 exec_lo, exec_lo, s20
	s_mov_b32 s20, 0
	global_store_b8 v[8:9], v6, off
.LBB496_1012:
	s_and_b32 vcc_lo, exec_lo, s20
	s_cbranch_vccz .LBB496_1022
; %bb.1013:
	v_cvt_f32_f64_e32 v4, v[0:1]
	s_mov_b32 s20, exec_lo
                                        ; implicit-def: $vgpr5
	s_delay_alu instid0(VALU_DEP_1) | instskip(NEXT) | instid1(VALU_DEP_1)
	v_and_b32_e32 v6, 0x7fffffff, v4
	v_cmpx_gt_u32_e32 0x43f00000, v6
	s_xor_b32 s20, exec_lo, s20
	s_cbranch_execz .LBB496_1019
; %bb.1014:
	s_mov_b32 s21, exec_lo
                                        ; implicit-def: $vgpr5
	v_cmpx_lt_u32_e32 0x3c7fffff, v6
	s_xor_b32 s21, exec_lo, s21
; %bb.1015:
	v_bfe_u32 v5, v4, 20, 1
	s_delay_alu instid0(VALU_DEP_1) | instskip(NEXT) | instid1(VALU_DEP_1)
	v_add3_u32 v5, v4, v5, 0x407ffff
	v_and_b32_e32 v6, 0xff00000, v5
	v_lshrrev_b32_e32 v5, 20, v5
	s_delay_alu instid0(VALU_DEP_2) | instskip(NEXT) | instid1(VALU_DEP_2)
	v_cmp_ne_u32_e32 vcc_lo, 0x7f00000, v6
	v_cndmask_b32_e32 v5, 0x7e, v5, vcc_lo
; %bb.1016:
	s_and_not1_saveexec_b32 s21, s21
; %bb.1017:
	v_add_f32_e64 v5, 0x46800000, |v4|
; %bb.1018:
	s_or_b32 exec_lo, exec_lo, s21
                                        ; implicit-def: $vgpr6
.LBB496_1019:
	s_and_not1_saveexec_b32 s20, s20
; %bb.1020:
	v_mov_b32_e32 v5, 0x7f
	v_cmp_lt_u32_e32 vcc_lo, 0x7f800000, v6
	s_delay_alu instid0(VALU_DEP_2)
	v_cndmask_b32_e32 v5, 0x7e, v5, vcc_lo
; %bb.1021:
	s_or_b32 exec_lo, exec_lo, s20
	v_lshrrev_b32_e32 v4, 24, v4
	s_delay_alu instid0(VALU_DEP_1)
	v_and_or_b32 v4, 0x80, v4, v5
	global_store_b8 v[8:9], v4, off
.LBB496_1022:
	s_mov_b32 s20, 0
.LBB496_1023:
	s_delay_alu instid0(SALU_CYCLE_1)
	s_and_not1_b32 vcc_lo, exec_lo, s20
	s_cbranch_vccnz .LBB496_1033
; %bb.1024:
	v_cvt_f32_f64_e32 v4, v[0:1]
	s_mov_b32 s20, exec_lo
                                        ; implicit-def: $vgpr5
	s_delay_alu instid0(VALU_DEP_1) | instskip(NEXT) | instid1(VALU_DEP_1)
	v_and_b32_e32 v6, 0x7fffffff, v4
	v_cmpx_gt_u32_e32 0x47800000, v6
	s_xor_b32 s20, exec_lo, s20
	s_cbranch_execz .LBB496_1030
; %bb.1025:
	s_mov_b32 s21, exec_lo
                                        ; implicit-def: $vgpr5
	v_cmpx_lt_u32_e32 0x387fffff, v6
	s_xor_b32 s21, exec_lo, s21
; %bb.1026:
	v_bfe_u32 v5, v4, 21, 1
	s_delay_alu instid0(VALU_DEP_1) | instskip(NEXT) | instid1(VALU_DEP_1)
	v_add3_u32 v5, v4, v5, 0x80fffff
	v_lshrrev_b32_e32 v5, 21, v5
; %bb.1027:
	s_and_not1_saveexec_b32 s21, s21
; %bb.1028:
	v_add_f32_e64 v5, 0x43000000, |v4|
; %bb.1029:
	s_or_b32 exec_lo, exec_lo, s21
                                        ; implicit-def: $vgpr6
.LBB496_1030:
	s_and_not1_saveexec_b32 s20, s20
; %bb.1031:
	v_mov_b32_e32 v5, 0x7f
	v_cmp_lt_u32_e32 vcc_lo, 0x7f800000, v6
	s_delay_alu instid0(VALU_DEP_2)
	v_cndmask_b32_e32 v5, 0x7c, v5, vcc_lo
; %bb.1032:
	s_or_b32 exec_lo, exec_lo, s20
	v_lshrrev_b32_e32 v4, 24, v4
	s_delay_alu instid0(VALU_DEP_1)
	v_and_or_b32 v4, 0x80, v4, v5
	global_store_b8 v[8:9], v4, off
.LBB496_1033:
	s_mov_b32 s20, 0
.LBB496_1034:
	s_delay_alu instid0(SALU_CYCLE_1)
	s_and_not1_b32 vcc_lo, exec_lo, s20
	s_mov_b32 s21, 0
	s_cbranch_vccnz .LBB496_1042
; %bb.1035:
	v_cmp_lt_i16_e32 vcc_lo, 14, v10
	s_mov_b32 s20, -1
	s_cbranch_vccz .LBB496_1039
; %bb.1036:
	v_cmp_eq_u16_e32 vcc_lo, 15, v10
	s_mov_b32 s0, -1
	s_cbranch_vccz .LBB496_1038
; %bb.1037:
	v_cvt_f32_f64_e32 v4, v[0:1]
	s_mov_b32 s0, 0
	s_delay_alu instid0(VALU_DEP_1) | instskip(SKIP_1) | instid1(VALU_DEP_2)
	v_bfe_u32 v5, v4, 16, 1
	v_cmp_o_f32_e32 vcc_lo, v4, v4
	v_add3_u32 v5, v4, v5, 0x7fff
	s_delay_alu instid0(VALU_DEP_1) | instskip(NEXT) | instid1(VALU_DEP_1)
	v_lshrrev_b32_e32 v5, 16, v5
	v_cndmask_b32_e32 v4, 0x7fc0, v5, vcc_lo
	global_store_b16 v[8:9], v4, off
.LBB496_1038:
	s_mov_b32 s20, 0
.LBB496_1039:
	s_delay_alu instid0(SALU_CYCLE_1)
	s_and_b32 vcc_lo, exec_lo, s20
	s_cbranch_vccz .LBB496_1042
; %bb.1040:
	v_cmp_ne_u16_e32 vcc_lo, 11, v10
	s_and_not1_b32 s0, s0, exec_lo
	s_mov_b32 s21, -1
	s_and_b32 s20, vcc_lo, exec_lo
	s_delay_alu instid0(SALU_CYCLE_1)
	s_or_b32 s0, s0, s20
	s_branch .LBB496_1042
.LBB496_1041:
	s_mov_b32 s21, 0
.LBB496_1042:
	s_and_b32 s20, s15, exec_lo
	s_and_not1_b32 s15, s19, exec_lo
	s_and_b32 s19, s0, exec_lo
	s_and_b32 s0, s21, exec_lo
	s_or_b32 s19, s15, s19
.LBB496_1043:
	s_or_b32 exec_lo, exec_lo, s1
	s_and_saveexec_b32 s1, s19
	s_cbranch_execnz .LBB496_1106
; %bb.1044:
	s_or_b32 exec_lo, exec_lo, s1
	s_and_saveexec_b32 s1, s0
	s_delay_alu instid0(SALU_CYCLE_1)
	s_xor_b32 s1, exec_lo, s1
	s_cbranch_execz .LBB496_1046
.LBB496_1045:
	v_cmp_neq_f64_e32 vcc_lo, 0, v[0:1]
	s_waitcnt vmcnt(0)
	v_cmp_neq_f64_e64 s0, 0, v[2:3]
	s_delay_alu instid0(VALU_DEP_1) | instskip(NEXT) | instid1(SALU_CYCLE_1)
	s_or_b32 s0, vcc_lo, s0
	v_cndmask_b32_e64 v4, 0, 1, s0
	global_store_b8 v[8:9], v4, off
.LBB496_1046:
	s_or_b32 exec_lo, exec_lo, s1
	s_and_saveexec_b32 s0, s20
	s_delay_alu instid0(SALU_CYCLE_1)
	s_xor_b32 s0, exec_lo, s0
	s_cbranch_execz .LBB496_1084
; %bb.1047:
	v_cmp_gt_i16_e32 vcc_lo, 5, v10
	s_mov_b32 s1, -1
	s_cbranch_vccnz .LBB496_1068
; %bb.1048:
	v_cmp_gt_i16_e32 vcc_lo, 8, v10
	s_cbranch_vccnz .LBB496_1058
; %bb.1049:
	v_cmp_gt_i16_e32 vcc_lo, 9, v10
	s_cbranch_vccnz .LBB496_1055
; %bb.1050:
	v_cmp_lt_i16_e32 vcc_lo, 9, v10
	s_cbranch_vccz .LBB496_1052
; %bb.1051:
	s_mov_b32 s1, 0
	s_waitcnt vmcnt(0)
	global_store_b128 v[8:9], v[0:3], off
.LBB496_1052:
	s_and_not1_b32 vcc_lo, exec_lo, s1
	s_cbranch_vccnz .LBB496_1054
; %bb.1053:
	s_waitcnt vmcnt(0)
	v_cvt_f32_f64_e32 v4, v[0:1]
	v_cvt_f32_f64_e32 v5, v[2:3]
	global_store_b64 v[8:9], v[4:5], off
.LBB496_1054:
	s_mov_b32 s1, 0
.LBB496_1055:
	s_delay_alu instid0(SALU_CYCLE_1)
	s_and_not1_b32 vcc_lo, exec_lo, s1
	s_cbranch_vccnz .LBB496_1057
; %bb.1056:
	s_waitcnt vmcnt(0)
	v_cvt_f32_f64_e32 v2, v[2:3]
	v_cvt_f32_f64_e32 v3, v[0:1]
	s_delay_alu instid0(VALU_DEP_2) | instskip(NEXT) | instid1(VALU_DEP_2)
	v_cvt_f16_f32_e32 v2, v2
	v_cvt_f16_f32_e32 v3, v3
	s_delay_alu instid0(VALU_DEP_2) | instskip(NEXT) | instid1(VALU_DEP_2)
	v_lshlrev_b32_e32 v2, 16, v2
	v_and_b32_e32 v3, 0xffff, v3
	s_delay_alu instid0(VALU_DEP_1)
	v_or_b32_e32 v2, v2, v3
	global_store_b32 v[8:9], v2, off
.LBB496_1057:
	s_mov_b32 s1, 0
.LBB496_1058:
	s_delay_alu instid0(SALU_CYCLE_1)
	s_and_not1_b32 vcc_lo, exec_lo, s1
	s_cbranch_vccnz .LBB496_1067
; %bb.1059:
	v_cmp_gt_i16_e32 vcc_lo, 6, v10
	s_mov_b32 s1, -1
	s_cbranch_vccnz .LBB496_1065
; %bb.1060:
	v_cmp_lt_i16_e32 vcc_lo, 6, v10
	s_cbranch_vccz .LBB496_1062
; %bb.1061:
	s_mov_b32 s1, 0
	global_store_b64 v[8:9], v[0:1], off
.LBB496_1062:
	s_and_not1_b32 vcc_lo, exec_lo, s1
	s_cbranch_vccnz .LBB496_1064
; %bb.1063:
	s_waitcnt vmcnt(0)
	v_cvt_f32_f64_e32 v2, v[0:1]
	global_store_b32 v[8:9], v2, off
.LBB496_1064:
	s_mov_b32 s1, 0
.LBB496_1065:
	s_delay_alu instid0(SALU_CYCLE_1)
	s_and_not1_b32 vcc_lo, exec_lo, s1
	s_cbranch_vccnz .LBB496_1067
; %bb.1066:
	s_waitcnt vmcnt(0)
	v_cvt_f32_f64_e32 v2, v[0:1]
	s_delay_alu instid0(VALU_DEP_1)
	v_cvt_f16_f32_e32 v2, v2
	global_store_b16 v[8:9], v2, off
.LBB496_1067:
	s_mov_b32 s1, 0
.LBB496_1068:
	s_delay_alu instid0(SALU_CYCLE_1)
	s_and_not1_b32 vcc_lo, exec_lo, s1
	s_cbranch_vccnz .LBB496_1084
; %bb.1069:
	v_cmp_gt_i16_e32 vcc_lo, 2, v10
	s_mov_b32 s1, -1
	s_cbranch_vccnz .LBB496_1079
; %bb.1070:
	v_cmp_gt_i16_e32 vcc_lo, 3, v10
	s_cbranch_vccnz .LBB496_1076
; %bb.1071:
	v_cmp_lt_i16_e32 vcc_lo, 3, v10
	s_cbranch_vccz .LBB496_1073
; %bb.1072:
	s_waitcnt vmcnt(0)
	v_trunc_f64_e32 v[2:3], v[0:1]
	s_mov_b32 s1, 0
	s_delay_alu instid0(VALU_DEP_1) | instskip(NEXT) | instid1(VALU_DEP_1)
	v_ldexp_f64 v[4:5], v[2:3], 0xffffffe0
	v_floor_f64_e32 v[4:5], v[4:5]
	s_delay_alu instid0(VALU_DEP_1) | instskip(SKIP_1) | instid1(VALU_DEP_2)
	v_fma_f64 v[2:3], 0xc1f00000, v[4:5], v[2:3]
	v_cvt_i32_f64_e32 v4, v[4:5]
	v_cvt_u32_f64_e32 v3, v[2:3]
	global_store_b64 v[8:9], v[3:4], off
.LBB496_1073:
	s_and_not1_b32 vcc_lo, exec_lo, s1
	s_cbranch_vccnz .LBB496_1075
; %bb.1074:
	s_waitcnt vmcnt(0)
	v_cvt_i32_f64_e32 v2, v[0:1]
	global_store_b32 v[8:9], v2, off
.LBB496_1075:
	s_mov_b32 s1, 0
.LBB496_1076:
	s_delay_alu instid0(SALU_CYCLE_1)
	s_and_not1_b32 vcc_lo, exec_lo, s1
	s_cbranch_vccnz .LBB496_1078
; %bb.1077:
	s_waitcnt vmcnt(0)
	v_cvt_i32_f64_e32 v2, v[0:1]
	global_store_b16 v[8:9], v2, off
.LBB496_1078:
	s_mov_b32 s1, 0
.LBB496_1079:
	s_delay_alu instid0(SALU_CYCLE_1)
	s_and_not1_b32 vcc_lo, exec_lo, s1
	s_cbranch_vccnz .LBB496_1084
; %bb.1080:
	v_cmp_lt_i16_e32 vcc_lo, 0, v10
	s_mov_b32 s1, -1
	s_cbranch_vccz .LBB496_1082
; %bb.1081:
	s_waitcnt vmcnt(0)
	v_cvt_i32_f64_e32 v2, v[0:1]
	s_mov_b32 s1, 0
	global_store_b8 v[8:9], v2, off
.LBB496_1082:
	s_and_not1_b32 vcc_lo, exec_lo, s1
	s_cbranch_vccnz .LBB496_1084
; %bb.1083:
	v_trunc_f64_e32 v[0:1], v[0:1]
	s_waitcnt vmcnt(0)
	s_delay_alu instid0(VALU_DEP_1) | instskip(NEXT) | instid1(VALU_DEP_1)
	v_ldexp_f64 v[2:3], v[0:1], 0xffffffe0
	v_floor_f64_e32 v[2:3], v[2:3]
	s_delay_alu instid0(VALU_DEP_1) | instskip(NEXT) | instid1(VALU_DEP_1)
	v_fma_f64 v[0:1], 0xc1f00000, v[2:3], v[0:1]
	v_cvt_u32_f64_e32 v0, v[0:1]
	global_store_b8 v[8:9], v0, off
.LBB496_1084:
	s_or_b32 exec_lo, exec_lo, s0
	s_delay_alu instid0(SALU_CYCLE_1)
	s_and_b32 s19, s14, exec_lo
                                        ; implicit-def: $vgpr18
                                        ; implicit-def: $vgpr19
.LBB496_1085:
	s_or_saveexec_b32 s18, s18
	s_mov_b32 s14, 0
                                        ; implicit-def: $vgpr20
                                        ; implicit-def: $vgpr0_vgpr1
                                        ; implicit-def: $vgpr14_vgpr15
	s_xor_b32 exec_lo, exec_lo, s18
	s_cbranch_execz .LBB496_1747
; %bb.1086:
	s_waitcnt vmcnt(0)
	v_mul_lo_u32 v6, s3, v18
	v_cmp_gt_i16_e32 vcc_lo, 11, v19
	s_delay_alu instid0(VALU_DEP_2) | instskip(SKIP_1) | instid1(VALU_DEP_1)
	v_ashrrev_i32_e32 v1, 31, v6
	v_add_co_u32 v0, s0, s6, v6
	v_add_co_ci_u32_e64 v1, s0, s7, v1, s0
	s_cbranch_vccnz .LBB496_1093
; %bb.1087:
	v_cmp_lt_i16_e32 vcc_lo, 25, v19
	s_mov_b32 s20, 0
	s_cbranch_vccz .LBB496_1099
; %bb.1088:
	v_cmp_lt_i16_e32 vcc_lo, 28, v19
	s_cbranch_vccz .LBB496_1102
; %bb.1089:
	v_cmp_lt_i16_e32 vcc_lo, 43, v19
	;; [unrolled: 3-line block ×3, first 2 shown]
	s_cbranch_vccz .LBB496_1108
; %bb.1091:
	v_cmp_eq_u16_e32 vcc_lo, 46, v19
	s_mov_b32 s0, 0
	s_cbranch_vccz .LBB496_1149
; %bb.1092:
	global_load_b32 v2, v[0:1], off
	s_mov_b32 s14, -1
	s_waitcnt vmcnt(0)
	v_lshlrev_b32_e32 v3, 16, v2
	v_and_b32_e32 v4, 0xffff0000, v2
	s_delay_alu instid0(VALU_DEP_2) | instskip(NEXT) | instid1(VALU_DEP_2)
	v_cvt_f64_f32_e32 v[2:3], v3
	v_cvt_f64_f32_e32 v[4:5], v4
	s_branch .LBB496_1151
.LBB496_1093:
	s_mov_b32 s17, s19
                                        ; implicit-def: $vgpr4_vgpr5
	s_cbranch_execz .LBB496_1217
; %bb.1094:
	v_cmp_gt_i16_e32 vcc_lo, 5, v19
	s_cbranch_vccnz .LBB496_1100
; %bb.1095:
	v_cmp_gt_i16_e32 vcc_lo, 8, v19
	s_cbranch_vccnz .LBB496_1103
	;; [unrolled: 3-line block ×3, first 2 shown]
; %bb.1097:
	v_cmp_lt_i16_e32 vcc_lo, 9, v19
	s_cbranch_vccz .LBB496_1109
; %bb.1098:
	global_load_b128 v[2:5], v[0:1], off
	s_mov_b32 s0, 0
	s_branch .LBB496_1110
.LBB496_1099:
                                        ; implicit-def: $vgpr4_vgpr5
	s_cbranch_execnz .LBB496_1183
	s_branch .LBB496_1213
.LBB496_1100:
                                        ; implicit-def: $vgpr4_vgpr5
	s_branch .LBB496_1128
.LBB496_1101:
                                        ; implicit-def: $vgpr12_vgpr13
	s_branch .LBB496_1218
.LBB496_1102:
                                        ; implicit-def: $vgpr4_vgpr5
	s_cbranch_execnz .LBB496_1163
	s_branch .LBB496_1182
.LBB496_1103:
                                        ; implicit-def: $vgpr4_vgpr5
	s_branch .LBB496_1116
.LBB496_1104:
	s_mov_b32 s0, -1
                                        ; implicit-def: $vgpr4_vgpr5
	s_branch .LBB496_1157
.LBB496_1105:
	s_mov_b32 s0, -1
                                        ; implicit-def: $vgpr4_vgpr5
	s_branch .LBB496_1113
.LBB496_1106:
	s_cbranch_execnz .LBB496_1147
; %bb.1107:
	s_or_b32 s14, s14, exec_lo
	s_and_not1_b32 s0, s0, exec_lo
	s_or_b32 exec_lo, exec_lo, s1
	s_and_saveexec_b32 s1, s0
	s_delay_alu instid0(SALU_CYCLE_1)
	s_xor_b32 s1, exec_lo, s1
	s_cbranch_execnz .LBB496_1045
	s_branch .LBB496_1046
.LBB496_1108:
	s_mov_b32 s0, -1
	s_branch .LBB496_1150
.LBB496_1109:
	s_mov_b32 s0, -1
                                        ; implicit-def: $vgpr4_vgpr5
.LBB496_1110:
	s_delay_alu instid0(SALU_CYCLE_1)
	s_and_not1_b32 vcc_lo, exec_lo, s0
	s_cbranch_vccnz .LBB496_1112
; %bb.1111:
	global_load_b64 v[3:4], v[0:1], off
	s_waitcnt vmcnt(0)
	v_cvt_f64_f32_e32 v[2:3], v3
	v_cvt_f64_f32_e32 v[4:5], v4
.LBB496_1112:
	s_mov_b32 s0, 0
.LBB496_1113:
	s_delay_alu instid0(SALU_CYCLE_1)
	s_and_not1_b32 vcc_lo, exec_lo, s0
	s_cbranch_vccnz .LBB496_1115
; %bb.1114:
	global_load_b32 v2, v[0:1], off
	s_waitcnt vmcnt(0)
	v_lshrrev_b32_e32 v3, 16, v2
	v_cvt_f32_f16_e32 v2, v2
	s_delay_alu instid0(VALU_DEP_2) | instskip(NEXT) | instid1(VALU_DEP_2)
	v_cvt_f32_f16_e32 v4, v3
	v_cvt_f64_f32_e32 v[2:3], v2
	s_delay_alu instid0(VALU_DEP_2)
	v_cvt_f64_f32_e32 v[4:5], v4
.LBB496_1115:
	s_cbranch_execnz .LBB496_1127
.LBB496_1116:
	v_cmp_gt_i16_e32 vcc_lo, 6, v19
	s_cbranch_vccnz .LBB496_1119
; %bb.1117:
	v_cmp_lt_i16_e32 vcc_lo, 6, v19
	s_cbranch_vccz .LBB496_1120
; %bb.1118:
	global_load_b64 v[2:3], v[0:1], off
	s_mov_b32 s14, 0
	s_mov_b64 s[0:1], 0
	s_branch .LBB496_1121
.LBB496_1119:
	s_mov_b32 s14, -1
                                        ; implicit-def: $sgpr0_sgpr1
                                        ; implicit-def: $vgpr2_vgpr3
	s_branch .LBB496_1124
.LBB496_1120:
	s_mov_b32 s14, -1
                                        ; implicit-def: $sgpr0_sgpr1
                                        ; implicit-def: $vgpr2_vgpr3
.LBB496_1121:
	s_delay_alu instid0(SALU_CYCLE_1)
	s_and_not1_b32 vcc_lo, exec_lo, s14
	s_cbranch_vccnz .LBB496_1123
; %bb.1122:
	global_load_b32 v2, v[0:1], off
	s_mov_b64 s[0:1], 0
	s_waitcnt vmcnt(0)
	v_cvt_f64_f32_e32 v[2:3], v2
.LBB496_1123:
	s_mov_b32 s14, 0
.LBB496_1124:
	s_delay_alu instid0(SALU_CYCLE_1)
	s_and_not1_b32 vcc_lo, exec_lo, s14
	s_cbranch_vccnz .LBB496_1126
; %bb.1125:
	global_load_u16 v2, v[0:1], off
	s_mov_b64 s[0:1], 0
	s_waitcnt vmcnt(0)
	v_cvt_f32_f16_e32 v2, v2
	s_delay_alu instid0(VALU_DEP_1)
	v_cvt_f64_f32_e32 v[2:3], v2
.LBB496_1126:
	s_waitcnt vmcnt(0)
	v_dual_mov_b32 v5, s1 :: v_dual_mov_b32 v4, s0
.LBB496_1127:
	s_cbranch_execnz .LBB496_1101
.LBB496_1128:
	v_cmp_gt_i16_e32 vcc_lo, 2, v19
	s_cbranch_vccnz .LBB496_1132
; %bb.1129:
	v_cmp_gt_i16_e32 vcc_lo, 3, v19
	s_cbranch_vccnz .LBB496_1133
; %bb.1130:
	v_cmp_lt_i16_e32 vcc_lo, 3, v19
	s_cbranch_vccz .LBB496_1134
; %bb.1131:
	global_load_b64 v[2:3], v[0:1], off
	s_mov_b32 s14, 0
	s_mov_b64 s[0:1], 0
	s_waitcnt vmcnt(0)
	v_cvt_f64_i32_e32 v[3:4], v3
	v_cvt_f64_u32_e32 v[7:8], v2
	s_delay_alu instid0(VALU_DEP_2) | instskip(NEXT) | instid1(VALU_DEP_1)
	v_ldexp_f64 v[3:4], v[3:4], 32
	v_add_f64 v[2:3], v[3:4], v[7:8]
	s_branch .LBB496_1135
.LBB496_1132:
                                        ; implicit-def: $sgpr0_sgpr1
                                        ; implicit-def: $vgpr2_vgpr3
	s_branch .LBB496_1141
.LBB496_1133:
	s_mov_b32 s14, -1
                                        ; implicit-def: $sgpr0_sgpr1
                                        ; implicit-def: $vgpr2_vgpr3
	s_branch .LBB496_1138
.LBB496_1134:
	s_mov_b32 s14, -1
                                        ; implicit-def: $sgpr0_sgpr1
                                        ; implicit-def: $vgpr2_vgpr3
.LBB496_1135:
	s_delay_alu instid0(SALU_CYCLE_1)
	s_and_not1_b32 vcc_lo, exec_lo, s14
	s_cbranch_vccnz .LBB496_1137
; %bb.1136:
	global_load_b32 v2, v[0:1], off
	s_mov_b64 s[0:1], 0
	s_waitcnt vmcnt(0)
	v_cvt_f64_i32_e32 v[2:3], v2
.LBB496_1137:
	s_mov_b32 s14, 0
.LBB496_1138:
	s_delay_alu instid0(SALU_CYCLE_1)
	s_and_not1_b32 vcc_lo, exec_lo, s14
	s_cbranch_vccnz .LBB496_1140
; %bb.1139:
	global_load_i16 v2, v[0:1], off
	s_mov_b64 s[0:1], 0
	s_waitcnt vmcnt(0)
	v_cvt_f64_i32_e32 v[2:3], v2
.LBB496_1140:
	s_cbranch_execnz .LBB496_1146
.LBB496_1141:
	v_cmp_lt_i16_e32 vcc_lo, 0, v19
	s_mov_b32 s14, 0
	s_cbranch_vccz .LBB496_1143
; %bb.1142:
	global_load_i8 v2, v[0:1], off
	s_mov_b64 s[0:1], 0
	s_waitcnt vmcnt(0)
	v_cvt_f64_i32_e32 v[2:3], v2
	s_branch .LBB496_1144
.LBB496_1143:
	s_mov_b32 s14, -1
                                        ; implicit-def: $sgpr0_sgpr1
                                        ; implicit-def: $vgpr2_vgpr3
.LBB496_1144:
	s_delay_alu instid0(SALU_CYCLE_1)
	s_and_not1_b32 vcc_lo, exec_lo, s14
	s_cbranch_vccnz .LBB496_1146
; %bb.1145:
	global_load_u8 v0, v[0:1], off
	s_mov_b64 s[0:1], 0
	s_waitcnt vmcnt(0)
	v_cvt_f64_u32_e32 v[2:3], v0
.LBB496_1146:
	s_waitcnt vmcnt(0)
	v_dual_mov_b32 v5, s1 :: v_dual_mov_b32 v4, s0
                                        ; implicit-def: $vgpr12_vgpr13
	s_branch .LBB496_1218
.LBB496_1147:
	s_trap 2
	s_sendmsg_rtn_b32 s0, sendmsg(MSG_RTN_GET_DOORBELL)
	s_mov_b32 ttmp2, m0
	s_waitcnt lgkmcnt(0)
	s_and_b32 s0, s0, 0x3ff
	s_delay_alu instid0(SALU_CYCLE_1) | instskip(NEXT) | instid1(SALU_CYCLE_1)
	s_bitset1_b32 s0, 10
	s_mov_b32 m0, s0
	s_sendmsg sendmsg(MSG_INTERRUPT)
	s_mov_b32 m0, ttmp2
.LBB496_1148:                           ; =>This Inner Loop Header: Depth=1
	s_sethalt 5
	s_branch .LBB496_1148
.LBB496_1149:
	s_mov_b32 s17, -1
.LBB496_1150:
                                        ; implicit-def: $vgpr4_vgpr5
.LBB496_1151:
	s_and_b32 vcc_lo, exec_lo, s0
	s_cbranch_vccz .LBB496_1156
; %bb.1152:
	v_cmp_eq_u16_e32 vcc_lo, 44, v19
	s_cbranch_vccz .LBB496_1154
; %bb.1153:
	global_load_u8 v4, v[0:1], off
	s_mov_b32 s17, 0
	s_mov_b32 s14, -1
	s_mov_b64 s[0:1], 0
	s_waitcnt vmcnt(0)
	v_cmp_ne_u32_e32 vcc_lo, 0xff, v4
	v_lshlrev_b32_e32 v2, 23, v4
	s_delay_alu instid0(VALU_DEP_1) | instskip(NEXT) | instid1(VALU_DEP_1)
	v_cvt_f64_f32_e32 v[2:3], v2
	v_cndmask_b32_e32 v3, 0x7ff80000, v3, vcc_lo
	s_delay_alu instid0(VALU_DEP_2) | instskip(SKIP_1) | instid1(VALU_DEP_3)
	v_cndmask_b32_e32 v2, 0x20000000, v2, vcc_lo
	v_cmp_ne_u32_e32 vcc_lo, 0, v4
	v_cndmask_b32_e32 v3, 0x38000000, v3, vcc_lo
	s_delay_alu instid0(VALU_DEP_3)
	v_cndmask_b32_e32 v2, 0, v2, vcc_lo
	s_branch .LBB496_1155
.LBB496_1154:
	s_mov_b32 s17, -1
                                        ; implicit-def: $sgpr0_sgpr1
                                        ; implicit-def: $vgpr2_vgpr3
.LBB496_1155:
	v_dual_mov_b32 v5, s1 :: v_dual_mov_b32 v4, s0
.LBB496_1156:
	s_mov_b32 s0, 0
.LBB496_1157:
	s_delay_alu instid0(SALU_CYCLE_1)
	s_and_b32 vcc_lo, exec_lo, s0
	s_cbranch_vccz .LBB496_1162
; %bb.1158:
	v_cmp_eq_u16_e32 vcc_lo, 29, v19
	s_cbranch_vccz .LBB496_1160
; %bb.1159:
	global_load_b64 v[2:3], v[0:1], off
	s_mov_b32 s17, 0
	s_mov_b32 s14, -1
	s_mov_b64 s[0:1], 0
	s_waitcnt vmcnt(0)
	v_cvt_f64_u32_e32 v[3:4], v3
	v_cvt_f64_u32_e32 v[7:8], v2
	s_delay_alu instid0(VALU_DEP_2) | instskip(NEXT) | instid1(VALU_DEP_1)
	v_ldexp_f64 v[3:4], v[3:4], 32
	v_add_f64 v[2:3], v[3:4], v[7:8]
	s_branch .LBB496_1161
.LBB496_1160:
	s_mov_b32 s17, -1
                                        ; implicit-def: $sgpr0_sgpr1
                                        ; implicit-def: $vgpr2_vgpr3
.LBB496_1161:
	v_dual_mov_b32 v5, s1 :: v_dual_mov_b32 v4, s0
.LBB496_1162:
	s_branch .LBB496_1182
.LBB496_1163:
	v_cmp_gt_i16_e32 vcc_lo, 27, v19
	s_cbranch_vccnz .LBB496_1166
; %bb.1164:
	v_cmp_lt_i16_e32 vcc_lo, 27, v19
	s_cbranch_vccz .LBB496_1167
; %bb.1165:
	global_load_b32 v2, v[0:1], off
	s_mov_b32 s14, 0
	s_mov_b64 s[0:1], 0
	s_waitcnt vmcnt(0)
	v_cvt_f64_u32_e32 v[2:3], v2
	s_branch .LBB496_1168
.LBB496_1166:
	s_mov_b32 s14, -1
                                        ; implicit-def: $sgpr0_sgpr1
                                        ; implicit-def: $vgpr2_vgpr3
	s_branch .LBB496_1171
.LBB496_1167:
	s_mov_b32 s14, -1
                                        ; implicit-def: $sgpr0_sgpr1
                                        ; implicit-def: $vgpr2_vgpr3
.LBB496_1168:
	s_delay_alu instid0(SALU_CYCLE_1)
	s_and_not1_b32 vcc_lo, exec_lo, s14
	s_cbranch_vccnz .LBB496_1170
; %bb.1169:
	global_load_u16 v2, v[0:1], off
	s_mov_b64 s[0:1], 0
	s_waitcnt vmcnt(0)
	v_cvt_f64_u32_e32 v[2:3], v2
.LBB496_1170:
	s_mov_b32 s14, 0
.LBB496_1171:
	v_dual_mov_b32 v5, s1 :: v_dual_mov_b32 v4, s0
	s_and_not1_b32 vcc_lo, exec_lo, s14
	s_cbranch_vccnz .LBB496_1181
; %bb.1172:
	global_load_u8 v7, v[0:1], off
	s_mov_b32 s21, 0
	s_mov_b32 s22, exec_lo
                                        ; implicit-def: $sgpr0_sgpr1
                                        ; implicit-def: $sgpr14_sgpr15
	s_waitcnt vmcnt(0)
	v_cmpx_lt_i16_e32 0x7f, v7
	s_xor_b32 s22, exec_lo, s22
	s_cbranch_execz .LBB496_1176
; %bb.1173:
	s_mov_b32 s21, -1
	s_mov_b32 s23, exec_lo
                                        ; implicit-def: $sgpr0_sgpr1
                                        ; implicit-def: $sgpr14_sgpr15
	v_cmpx_eq_u16_e32 0x80, v7
; %bb.1174:
	s_mov_b64 s[0:1], 0
	s_mov_b32 s15, 0x7ff80000
	s_brev_b32 s14, 4
	s_xor_b32 s21, exec_lo, -1
; %bb.1175:
	s_or_b32 exec_lo, exec_lo, s23
	s_delay_alu instid0(SALU_CYCLE_1)
	s_and_b32 s21, s21, exec_lo
.LBB496_1176:
	s_or_saveexec_b32 s22, s22
	v_dual_mov_b32 v5, s1 :: v_dual_mov_b32 v4, s0
	v_dual_mov_b32 v2, s14 :: v_dual_mov_b32 v3, s15
	s_xor_b32 exec_lo, exec_lo, s22
; %bb.1177:
	v_mov_b32_e32 v4, 0
	v_mov_b32_e32 v5, 0
	v_cmp_ne_u16_e32 vcc_lo, 0, v7
	s_delay_alu instid0(VALU_DEP_3) | instskip(SKIP_1) | instid1(VALU_DEP_3)
	v_mov_b32_e32 v2, v4
	s_and_not1_b32 s0, s21, exec_lo
	v_mov_b32_e32 v3, v5
	s_and_b32 s1, vcc_lo, exec_lo
	s_delay_alu instid0(SALU_CYCLE_1)
	s_or_b32 s21, s0, s1
; %bb.1178:
	s_or_b32 exec_lo, exec_lo, s22
	s_and_saveexec_b32 s0, s21
	s_cbranch_execz .LBB496_1180
; %bb.1179:
	v_and_b32_e32 v2, 0xffff, v7
	v_lshlrev_b32_e32 v7, 24, v7
	s_delay_alu instid0(VALU_DEP_2) | instskip(NEXT) | instid1(VALU_DEP_1)
	v_and_b32_e32 v3, 7, v2
	v_clz_i32_u32_e32 v4, v3
	s_delay_alu instid0(VALU_DEP_1) | instskip(NEXT) | instid1(VALU_DEP_1)
	v_min_u32_e32 v4, 32, v4
	v_subrev_nc_u32_e32 v5, 28, v4
	v_sub_nc_u32_e32 v4, 29, v4
	s_delay_alu instid0(VALU_DEP_2) | instskip(SKIP_1) | instid1(VALU_DEP_2)
	v_lshlrev_b32_e32 v5, v5, v2
	v_bfe_u32 v2, v2, 3, 4
	v_and_b32_e32 v5, 7, v5
	s_delay_alu instid0(VALU_DEP_2) | instskip(NEXT) | instid1(VALU_DEP_2)
	v_cmp_eq_u32_e32 vcc_lo, 0, v2
	v_dual_cndmask_b32 v2, v2, v4 :: v_dual_cndmask_b32 v3, v3, v5
	v_and_b32_e32 v4, 0x80000000, v7
	s_delay_alu instid0(VALU_DEP_2) | instskip(NEXT) | instid1(VALU_DEP_3)
	v_lshl_add_u32 v2, v2, 23, 0x3b800000
	v_lshlrev_b32_e32 v3, 20, v3
	s_delay_alu instid0(VALU_DEP_1) | instskip(SKIP_2) | instid1(VALU_DEP_3)
	v_or3_b32 v2, v4, v2, v3
	v_mov_b32_e32 v4, 0
	v_mov_b32_e32 v5, 0
	v_cvt_f64_f32_e32 v[2:3], v2
.LBB496_1180:
	s_or_b32 exec_lo, exec_lo, s0
.LBB496_1181:
	s_mov_b32 s14, -1
.LBB496_1182:
	s_branch .LBB496_1213
.LBB496_1183:
	v_cmp_lt_i16_e32 vcc_lo, 22, v19
	s_cbranch_vccz .LBB496_1195
; %bb.1184:
	v_cmp_gt_i16_e32 vcc_lo, 24, v19
	s_cbranch_vccnz .LBB496_1196
; %bb.1185:
	v_cmp_lt_i16_e32 vcc_lo, 24, v19
	s_cbranch_vccz .LBB496_1197
; %bb.1186:
	global_load_u8 v7, v[0:1], off
	s_mov_b32 s21, exec_lo
                                        ; implicit-def: $sgpr0_sgpr1
                                        ; implicit-def: $sgpr14_sgpr15
	s_waitcnt vmcnt(0)
	v_cmpx_lt_i16_e32 0x7f, v7
	s_xor_b32 s21, exec_lo, s21
	s_cbranch_execz .LBB496_1190
; %bb.1187:
	s_mov_b32 s20, -1
	s_mov_b32 s22, exec_lo
                                        ; implicit-def: $sgpr0_sgpr1
                                        ; implicit-def: $sgpr14_sgpr15
	v_cmpx_eq_u16_e32 0x80, v7
; %bb.1188:
	s_mov_b64 s[0:1], 0
	s_mov_b32 s15, 0x7ff80000
	s_brev_b32 s14, 4
	s_xor_b32 s20, exec_lo, -1
; %bb.1189:
	s_or_b32 exec_lo, exec_lo, s22
	s_delay_alu instid0(SALU_CYCLE_1)
	s_and_b32 s20, s20, exec_lo
.LBB496_1190:
	s_or_saveexec_b32 s21, s21
	v_dual_mov_b32 v5, s1 :: v_dual_mov_b32 v4, s0
	v_dual_mov_b32 v2, s14 :: v_dual_mov_b32 v3, s15
	s_xor_b32 exec_lo, exec_lo, s21
; %bb.1191:
	v_mov_b32_e32 v4, 0
	v_mov_b32_e32 v5, 0
	v_cmp_ne_u16_e32 vcc_lo, 0, v7
	s_delay_alu instid0(VALU_DEP_3) | instskip(SKIP_1) | instid1(VALU_DEP_3)
	v_mov_b32_e32 v2, v4
	s_and_not1_b32 s0, s20, exec_lo
	v_mov_b32_e32 v3, v5
	s_and_b32 s1, vcc_lo, exec_lo
	s_delay_alu instid0(SALU_CYCLE_1)
	s_or_b32 s20, s0, s1
; %bb.1192:
	s_or_b32 exec_lo, exec_lo, s21
	s_and_saveexec_b32 s0, s20
	s_cbranch_execz .LBB496_1194
; %bb.1193:
	v_and_b32_e32 v2, 0xffff, v7
	v_lshlrev_b32_e32 v7, 24, v7
	s_delay_alu instid0(VALU_DEP_2) | instskip(NEXT) | instid1(VALU_DEP_1)
	v_and_b32_e32 v3, 3, v2
	v_clz_i32_u32_e32 v4, v3
	s_delay_alu instid0(VALU_DEP_1) | instskip(NEXT) | instid1(VALU_DEP_1)
	v_min_u32_e32 v4, 32, v4
	v_subrev_nc_u32_e32 v5, 29, v4
	v_sub_nc_u32_e32 v4, 30, v4
	s_delay_alu instid0(VALU_DEP_2) | instskip(SKIP_1) | instid1(VALU_DEP_2)
	v_lshlrev_b32_e32 v5, v5, v2
	v_bfe_u32 v2, v2, 2, 5
	v_and_b32_e32 v5, 3, v5
	s_delay_alu instid0(VALU_DEP_2) | instskip(NEXT) | instid1(VALU_DEP_2)
	v_cmp_eq_u32_e32 vcc_lo, 0, v2
	v_dual_cndmask_b32 v2, v2, v4 :: v_dual_cndmask_b32 v3, v3, v5
	v_and_b32_e32 v4, 0x80000000, v7
	s_delay_alu instid0(VALU_DEP_2) | instskip(NEXT) | instid1(VALU_DEP_3)
	v_lshl_add_u32 v2, v2, 23, 0x37800000
	v_lshlrev_b32_e32 v3, 21, v3
	s_delay_alu instid0(VALU_DEP_1) | instskip(SKIP_2) | instid1(VALU_DEP_3)
	v_or3_b32 v2, v4, v2, v3
	v_mov_b32_e32 v4, 0
	v_mov_b32_e32 v5, 0
	v_cvt_f64_f32_e32 v[2:3], v2
.LBB496_1194:
	s_or_b32 exec_lo, exec_lo, s0
	s_mov_b32 s0, 0
	s_branch .LBB496_1198
.LBB496_1195:
                                        ; implicit-def: $vgpr4_vgpr5
	s_mov_b32 s20, 0
	s_branch .LBB496_1204
.LBB496_1196:
	s_mov_b32 s0, -1
                                        ; implicit-def: $vgpr4_vgpr5
	s_branch .LBB496_1201
.LBB496_1197:
	s_mov_b32 s0, -1
                                        ; implicit-def: $vgpr4_vgpr5
.LBB496_1198:
	s_delay_alu instid0(SALU_CYCLE_1)
	s_and_b32 vcc_lo, exec_lo, s0
	s_cbranch_vccz .LBB496_1200
; %bb.1199:
	global_load_u8 v2, v[0:1], off
	s_waitcnt vmcnt(0)
	v_lshlrev_b32_e32 v2, 24, v2
	s_delay_alu instid0(VALU_DEP_1) | instskip(NEXT) | instid1(VALU_DEP_1)
	v_and_b32_e32 v3, 0x7f000000, v2
	v_clz_i32_u32_e32 v4, v3
	v_add_nc_u32_e32 v7, 0x1000000, v3
	v_cmp_ne_u32_e32 vcc_lo, 0, v3
	s_delay_alu instid0(VALU_DEP_3) | instskip(NEXT) | instid1(VALU_DEP_1)
	v_min_u32_e32 v4, 32, v4
	v_sub_nc_u32_e64 v4, v4, 4 clamp
	s_delay_alu instid0(VALU_DEP_1) | instskip(SKIP_1) | instid1(VALU_DEP_2)
	v_lshlrev_b32_e32 v5, v4, v3
	v_lshlrev_b32_e32 v4, 23, v4
	v_lshrrev_b32_e32 v5, 4, v5
	s_delay_alu instid0(VALU_DEP_1) | instskip(SKIP_1) | instid1(VALU_DEP_2)
	v_sub_nc_u32_e32 v4, v5, v4
	v_ashrrev_i32_e32 v5, 8, v7
	v_add_nc_u32_e32 v4, 0x3c000000, v4
	s_delay_alu instid0(VALU_DEP_1) | instskip(NEXT) | instid1(VALU_DEP_1)
	v_and_or_b32 v4, 0x7f800000, v5, v4
	v_dual_cndmask_b32 v3, 0, v4 :: v_dual_mov_b32 v4, 0
	v_mov_b32_e32 v5, 0
	s_delay_alu instid0(VALU_DEP_2) | instskip(NEXT) | instid1(VALU_DEP_1)
	v_and_or_b32 v2, 0x80000000, v2, v3
	v_cvt_f64_f32_e32 v[2:3], v2
.LBB496_1200:
	s_mov_b32 s0, 0
.LBB496_1201:
	s_delay_alu instid0(SALU_CYCLE_1)
	s_and_not1_b32 vcc_lo, exec_lo, s0
	s_cbranch_vccnz .LBB496_1203
; %bb.1202:
	global_load_u8 v2, v[0:1], off
	s_waitcnt vmcnt(0)
	v_lshlrev_b32_e32 v3, 25, v2
	v_lshlrev_b16 v2, 8, v2
	s_delay_alu instid0(VALU_DEP_2) | instskip(NEXT) | instid1(VALU_DEP_2)
	v_lshrrev_b32_e32 v4, 4, v3
	v_and_or_b32 v5, 0x7f00, v2, 0.5
	v_bfe_i32 v2, v2, 0, 16
	s_delay_alu instid0(VALU_DEP_3) | instskip(NEXT) | instid1(VALU_DEP_1)
	v_or_b32_e32 v4, 0x70000000, v4
	v_dual_add_f32 v5, -0.5, v5 :: v_dual_mul_f32 v4, 0x7800000, v4
	v_cmp_gt_u32_e32 vcc_lo, 0x8000000, v3
	s_delay_alu instid0(VALU_DEP_2) | instskip(SKIP_1) | instid1(VALU_DEP_2)
	v_dual_cndmask_b32 v3, v4, v5 :: v_dual_mov_b32 v4, 0
	v_mov_b32_e32 v5, 0
	v_and_or_b32 v2, 0x80000000, v2, v3
	s_delay_alu instid0(VALU_DEP_1)
	v_cvt_f64_f32_e32 v[2:3], v2
.LBB496_1203:
	s_mov_b32 s14, -1
	s_mov_b32 s20, 0
	s_cbranch_execnz .LBB496_1213
.LBB496_1204:
	v_cmp_lt_i16_e32 vcc_lo, 14, v19
	s_cbranch_vccz .LBB496_1207
; %bb.1205:
	v_cmp_eq_u16_e32 vcc_lo, 15, v19
	s_cbranch_vccz .LBB496_1208
; %bb.1206:
	global_load_u16 v2, v[0:1], off
	s_mov_b32 s17, 0
	s_mov_b32 s14, -1
	s_mov_b64 s[0:1], 0
	s_waitcnt vmcnt(0)
	v_lshlrev_b32_e32 v2, 16, v2
	s_delay_alu instid0(VALU_DEP_1)
	v_cvt_f64_f32_e32 v[2:3], v2
	s_branch .LBB496_1209
.LBB496_1207:
	s_mov_b32 s15, -1
                                        ; implicit-def: $sgpr0_sgpr1
                                        ; implicit-def: $vgpr2_vgpr3
	s_branch .LBB496_1210
.LBB496_1208:
	s_mov_b32 s17, -1
                                        ; implicit-def: $sgpr0_sgpr1
                                        ; implicit-def: $vgpr2_vgpr3
.LBB496_1209:
	s_mov_b32 s15, 0
.LBB496_1210:
	s_delay_alu instid0(SALU_CYCLE_1)
	s_and_b32 vcc_lo, exec_lo, s15
	s_cbranch_vccz .LBB496_1212
; %bb.1211:
	v_cmp_ne_u16_e64 s17, 11, v19
	s_mov_b32 s20, -1
                                        ; implicit-def: $sgpr0_sgpr1
                                        ; implicit-def: $vgpr2_vgpr3
.LBB496_1212:
	v_dual_mov_b32 v5, s1 :: v_dual_mov_b32 v4, s0
.LBB496_1213:
	s_delay_alu instid0(VALU_DEP_2)
	s_and_b32 vcc_lo, exec_lo, s17
	s_mov_b32 s17, s19
	s_cbranch_vccnz .LBB496_1246
; %bb.1214:
	s_and_not1_b32 vcc_lo, exec_lo, s20
	s_cbranch_vccnz .LBB496_1216
.LBB496_1215:
	global_load_u8 v2, v[0:1], off
	v_mov_b32_e32 v4, 0
	v_mov_b32_e32 v5, 0
	s_mov_b32 s14, -1
	s_waitcnt vmcnt(0)
	v_cmp_ne_u16_e32 vcc_lo, 0, v2
	v_mov_b32_e32 v2, 0
	v_cndmask_b32_e64 v3, 0, 0x3ff00000, vcc_lo
.LBB496_1216:
.LBB496_1217:
	s_and_not1_b32 vcc_lo, exec_lo, s14
                                        ; implicit-def: $vgpr12_vgpr13
	s_cbranch_vccnz .LBB496_1745
.LBB496_1218:
	v_dual_mov_b32 v0, s8 :: v_dual_mov_b32 v1, s9
	s_mov_b32 s0, exec_lo
	s_waitcnt vmcnt(0)
	s_delay_alu instid0(VALU_DEP_2)
	v_cmpx_o_f64_e32 v[2:3], v[2:3]
	s_cbranch_execz .LBB496_1222
; %bb.1219:
	v_dual_mov_b32 v0, s10 :: v_dual_mov_b32 v1, s11
	s_mov_b32 s1, exec_lo
	v_cmpx_neq_f64_e32 0x7ff00000, v[2:3]
; %bb.1220:
	v_cmp_eq_f64_e32 vcc_lo, 0xfff00000, v[2:3]
	v_cndmask_b32_e64 v1, v3, s13, vcc_lo
	v_cndmask_b32_e64 v0, v2, s12, vcc_lo
; %bb.1221:
	s_or_b32 exec_lo, exec_lo, s1
.LBB496_1222:
	s_delay_alu instid0(SALU_CYCLE_1) | instskip(SKIP_2) | instid1(VALU_DEP_4)
	s_or_b32 exec_lo, exec_lo, s0
	v_dual_mov_b32 v2, s8 :: v_dual_mov_b32 v3, s9
	s_mov_b32 s0, exec_lo
	v_cmpx_o_f64_e32 v[4:5], v[4:5]
	s_cbranch_execz .LBB496_1226
; %bb.1223:
	v_dual_mov_b32 v2, s10 :: v_dual_mov_b32 v3, s11
	s_mov_b32 s1, exec_lo
	v_cmpx_neq_f64_e32 0x7ff00000, v[4:5]
; %bb.1224:
	v_cmp_eq_f64_e32 vcc_lo, 0xfff00000, v[4:5]
	v_cndmask_b32_e64 v3, v5, s13, vcc_lo
	v_cndmask_b32_e64 v2, v4, s12, vcc_lo
; %bb.1225:
	s_or_b32 exec_lo, exec_lo, s1
.LBB496_1226:
	s_delay_alu instid0(SALU_CYCLE_1) | instskip(SKIP_3) | instid1(VALU_DEP_1)
	s_or_b32 exec_lo, exec_lo, s0
	s_lshl_b32 s3, s3, 7
	v_cmp_gt_i16_e32 vcc_lo, 11, v19
	v_add_nc_u32_e32 v10, s3, v6
	v_ashrrev_i32_e32 v5, 31, v10
	v_add_co_u32 v4, s0, s6, v10
	s_delay_alu instid0(VALU_DEP_1)
	v_add_co_ci_u32_e64 v5, s0, s7, v5, s0
	s_cbranch_vccnz .LBB496_1233
; %bb.1227:
	v_cmp_lt_i16_e32 vcc_lo, 25, v19
	s_mov_b32 s21, 0
	s_cbranch_vccz .LBB496_1239
; %bb.1228:
	v_cmp_lt_i16_e32 vcc_lo, 28, v19
	s_cbranch_vccz .LBB496_1242
; %bb.1229:
	v_cmp_lt_i16_e32 vcc_lo, 43, v19
	;; [unrolled: 3-line block ×3, first 2 shown]
	s_cbranch_vccz .LBB496_1250
; %bb.1231:
	v_cmp_eq_u16_e32 vcc_lo, 46, v19
	s_mov_b32 s0, 0
	s_cbranch_vccz .LBB496_1295
; %bb.1232:
	global_load_b32 v6, v[4:5], off
	s_mov_b32 s20, 0
	s_mov_b32 s14, -1
	s_waitcnt vmcnt(0)
	v_lshlrev_b32_e32 v7, 16, v6
	v_and_b32_e32 v8, 0xffff0000, v6
	s_delay_alu instid0(VALU_DEP_2) | instskip(NEXT) | instid1(VALU_DEP_2)
	v_cvt_f64_f32_e32 v[6:7], v7
	v_cvt_f64_f32_e32 v[8:9], v8
	s_branch .LBB496_1297
.LBB496_1233:
	s_mov_b32 s14, 0
                                        ; implicit-def: $vgpr8_vgpr9
	s_cbranch_execz .LBB496_1365
; %bb.1234:
	v_cmp_gt_i16_e32 vcc_lo, 5, v19
	s_cbranch_vccnz .LBB496_1240
; %bb.1235:
	v_cmp_gt_i16_e32 vcc_lo, 8, v19
	s_cbranch_vccnz .LBB496_1243
	;; [unrolled: 3-line block ×3, first 2 shown]
; %bb.1237:
	v_cmp_lt_i16_e32 vcc_lo, 9, v19
	s_cbranch_vccz .LBB496_1251
; %bb.1238:
	global_load_b128 v[6:9], v[4:5], off
	s_mov_b32 s0, 0
	s_branch .LBB496_1252
.LBB496_1239:
	s_mov_b32 s14, 0
	s_mov_b32 s20, 0
                                        ; implicit-def: $vgpr8_vgpr9
	s_cbranch_execnz .LBB496_1330
	s_branch .LBB496_1361
.LBB496_1240:
                                        ; implicit-def: $vgpr8_vgpr9
	s_branch .LBB496_1271
.LBB496_1241:
	s_branch .LBB496_1366
.LBB496_1242:
	s_mov_b32 s0, -1
	s_mov_b32 s14, 0
	s_mov_b32 s20, 0
                                        ; implicit-def: $vgpr8_vgpr9
	s_branch .LBB496_1309
.LBB496_1243:
	s_mov_b32 s0, -1
                                        ; implicit-def: $vgpr8_vgpr9
	s_branch .LBB496_1258
.LBB496_1244:
	s_mov_b32 s0, -1
	s_mov_b32 s14, 0
	s_mov_b32 s20, 0
                                        ; implicit-def: $vgpr8_vgpr9
	s_branch .LBB496_1303
.LBB496_1245:
	s_mov_b32 s0, -1
                                        ; implicit-def: $vgpr8_vgpr9
	s_branch .LBB496_1255
.LBB496_1246:
	s_cbranch_execnz .LBB496_1291
; %bb.1247:
	s_or_b32 s17, s19, exec_lo
                                        ; implicit-def: $vgpr4_vgpr5
	s_cbranch_execz .LBB496_1215
	s_branch .LBB496_1216
.LBB496_1248:
	s_or_saveexec_b32 s21, s21
                                        ; implicit-def: $sgpr22
	s_delay_alu instid0(SALU_CYCLE_1)
	s_xor_b32 exec_lo, exec_lo, s21
	s_cbranch_execz .LBB496_996
.LBB496_1249:
	v_add_f32_e64 v5, 0x46000000, |v4|
	s_and_not1_b32 s20, s20, exec_lo
	s_mov_b32 s22, 0
	s_delay_alu instid0(VALU_DEP_1) | instskip(NEXT) | instid1(VALU_DEP_1)
	v_and_b32_e32 v5, 0xff, v5
	v_cmp_ne_u32_e32 vcc_lo, 0, v5
	s_and_b32 s23, vcc_lo, exec_lo
	s_delay_alu instid0(SALU_CYCLE_1)
	s_or_b32 s20, s20, s23
	s_or_b32 exec_lo, exec_lo, s21
	v_mov_b32_e32 v6, s22
	s_and_saveexec_b32 s21, s20
	s_cbranch_execnz .LBB496_997
	s_branch .LBB496_998
.LBB496_1250:
	s_mov_b32 s0, -1
	s_mov_b32 s14, 0
	s_mov_b32 s20, 0
	s_branch .LBB496_1296
.LBB496_1251:
	s_mov_b32 s0, -1
                                        ; implicit-def: $vgpr8_vgpr9
.LBB496_1252:
	s_delay_alu instid0(SALU_CYCLE_1)
	s_and_not1_b32 vcc_lo, exec_lo, s0
	s_cbranch_vccnz .LBB496_1254
; %bb.1253:
	global_load_b64 v[7:8], v[4:5], off
	s_waitcnt vmcnt(0)
	v_cvt_f64_f32_e32 v[6:7], v7
	v_cvt_f64_f32_e32 v[8:9], v8
.LBB496_1254:
	s_mov_b32 s0, 0
.LBB496_1255:
	s_delay_alu instid0(SALU_CYCLE_1)
	s_and_not1_b32 vcc_lo, exec_lo, s0
	s_cbranch_vccnz .LBB496_1257
; %bb.1256:
	global_load_b32 v6, v[4:5], off
	s_waitcnt vmcnt(0)
	v_lshrrev_b32_e32 v7, 16, v6
	v_cvt_f32_f16_e32 v6, v6
	s_delay_alu instid0(VALU_DEP_2) | instskip(NEXT) | instid1(VALU_DEP_2)
	v_cvt_f32_f16_e32 v8, v7
	v_cvt_f64_f32_e32 v[6:7], v6
	s_delay_alu instid0(VALU_DEP_2)
	v_cvt_f64_f32_e32 v[8:9], v8
.LBB496_1257:
	s_mov_b32 s0, 0
.LBB496_1258:
	s_delay_alu instid0(SALU_CYCLE_1)
	s_and_not1_b32 vcc_lo, exec_lo, s0
	s_cbranch_vccnz .LBB496_1270
; %bb.1259:
	v_cmp_gt_i16_e32 vcc_lo, 6, v19
	s_cbranch_vccnz .LBB496_1262
; %bb.1260:
	v_cmp_lt_i16_e32 vcc_lo, 6, v19
	s_cbranch_vccz .LBB496_1263
; %bb.1261:
	global_load_b64 v[6:7], v[4:5], off
	s_mov_b32 s14, 0
	s_mov_b64 s[0:1], 0
	s_branch .LBB496_1264
.LBB496_1262:
	s_mov_b32 s14, -1
                                        ; implicit-def: $sgpr0_sgpr1
                                        ; implicit-def: $vgpr6_vgpr7
	s_branch .LBB496_1267
.LBB496_1263:
	s_mov_b32 s14, -1
                                        ; implicit-def: $sgpr0_sgpr1
                                        ; implicit-def: $vgpr6_vgpr7
.LBB496_1264:
	s_delay_alu instid0(SALU_CYCLE_1)
	s_and_not1_b32 vcc_lo, exec_lo, s14
	s_cbranch_vccnz .LBB496_1266
; %bb.1265:
	global_load_b32 v6, v[4:5], off
	s_mov_b64 s[0:1], 0
	s_waitcnt vmcnt(0)
	v_cvt_f64_f32_e32 v[6:7], v6
.LBB496_1266:
	s_mov_b32 s14, 0
.LBB496_1267:
	s_delay_alu instid0(SALU_CYCLE_1)
	s_and_not1_b32 vcc_lo, exec_lo, s14
	s_cbranch_vccnz .LBB496_1269
; %bb.1268:
	global_load_u16 v6, v[4:5], off
	s_mov_b64 s[0:1], 0
	s_waitcnt vmcnt(0)
	v_cvt_f32_f16_e32 v6, v6
	s_delay_alu instid0(VALU_DEP_1)
	v_cvt_f64_f32_e32 v[6:7], v6
.LBB496_1269:
	s_waitcnt vmcnt(0)
	v_dual_mov_b32 v9, s1 :: v_dual_mov_b32 v8, s0
.LBB496_1270:
	s_cbranch_execnz .LBB496_1241
.LBB496_1271:
	v_cmp_gt_i16_e32 vcc_lo, 2, v19
	s_cbranch_vccnz .LBB496_1275
; %bb.1272:
	v_cmp_gt_i16_e32 vcc_lo, 3, v19
	s_cbranch_vccnz .LBB496_1276
; %bb.1273:
	v_cmp_lt_i16_e32 vcc_lo, 3, v19
	s_cbranch_vccz .LBB496_1277
; %bb.1274:
	global_load_b64 v[6:7], v[4:5], off
	s_mov_b32 s14, 0
	s_mov_b64 s[0:1], 0
	s_waitcnt vmcnt(0)
	v_cvt_f64_i32_e32 v[7:8], v7
	v_cvt_f64_u32_e32 v[11:12], v6
	s_delay_alu instid0(VALU_DEP_2) | instskip(NEXT) | instid1(VALU_DEP_1)
	v_ldexp_f64 v[7:8], v[7:8], 32
	v_add_f64 v[6:7], v[7:8], v[11:12]
	s_branch .LBB496_1278
.LBB496_1275:
	s_mov_b32 s14, -1
                                        ; implicit-def: $sgpr0_sgpr1
                                        ; implicit-def: $vgpr6_vgpr7
	s_branch .LBB496_1284
.LBB496_1276:
	s_mov_b32 s14, -1
                                        ; implicit-def: $sgpr0_sgpr1
                                        ; implicit-def: $vgpr6_vgpr7
	s_branch .LBB496_1281
.LBB496_1277:
	s_mov_b32 s14, -1
                                        ; implicit-def: $sgpr0_sgpr1
                                        ; implicit-def: $vgpr6_vgpr7
.LBB496_1278:
	s_delay_alu instid0(SALU_CYCLE_1)
	s_and_not1_b32 vcc_lo, exec_lo, s14
	s_cbranch_vccnz .LBB496_1280
; %bb.1279:
	global_load_b32 v6, v[4:5], off
	s_mov_b64 s[0:1], 0
	s_waitcnt vmcnt(0)
	v_cvt_f64_i32_e32 v[6:7], v6
.LBB496_1280:
	s_mov_b32 s14, 0
.LBB496_1281:
	s_delay_alu instid0(SALU_CYCLE_1)
	s_and_not1_b32 vcc_lo, exec_lo, s14
	s_cbranch_vccnz .LBB496_1283
; %bb.1282:
	global_load_i16 v6, v[4:5], off
	s_mov_b64 s[0:1], 0
	s_waitcnt vmcnt(0)
	v_cvt_f64_i32_e32 v[6:7], v6
.LBB496_1283:
	s_mov_b32 s14, 0
.LBB496_1284:
	s_delay_alu instid0(SALU_CYCLE_1)
	s_and_not1_b32 vcc_lo, exec_lo, s14
	s_cbranch_vccnz .LBB496_1290
; %bb.1285:
	v_cmp_lt_i16_e32 vcc_lo, 0, v19
	s_mov_b32 s14, 0
	s_cbranch_vccz .LBB496_1287
; %bb.1286:
	global_load_i8 v6, v[4:5], off
	s_mov_b64 s[0:1], 0
	s_waitcnt vmcnt(0)
	v_cvt_f64_i32_e32 v[6:7], v6
	s_branch .LBB496_1288
.LBB496_1287:
	s_mov_b32 s14, -1
                                        ; implicit-def: $sgpr0_sgpr1
                                        ; implicit-def: $vgpr6_vgpr7
.LBB496_1288:
	s_delay_alu instid0(SALU_CYCLE_1)
	s_and_not1_b32 vcc_lo, exec_lo, s14
	s_cbranch_vccnz .LBB496_1290
; %bb.1289:
	global_load_u8 v4, v[4:5], off
	s_mov_b64 s[0:1], 0
	s_waitcnt vmcnt(0)
	v_cvt_f64_u32_e32 v[6:7], v4
.LBB496_1290:
	s_waitcnt vmcnt(0)
	v_dual_mov_b32 v9, s1 :: v_dual_mov_b32 v8, s0
	s_branch .LBB496_1366
.LBB496_1291:
	s_trap 2
	s_sendmsg_rtn_b32 s0, sendmsg(MSG_RTN_GET_DOORBELL)
	s_mov_b32 ttmp2, m0
	s_waitcnt lgkmcnt(0)
	s_and_b32 s0, s0, 0x3ff
	s_delay_alu instid0(SALU_CYCLE_1) | instskip(NEXT) | instid1(SALU_CYCLE_1)
	s_bitset1_b32 s0, 10
	s_mov_b32 m0, s0
	s_sendmsg sendmsg(MSG_INTERRUPT)
	s_mov_b32 m0, ttmp2
.LBB496_1292:                           ; =>This Inner Loop Header: Depth=1
	s_sethalt 5
	s_branch .LBB496_1292
.LBB496_1293:
	s_or_saveexec_b32 s22, s22
                                        ; implicit-def: $sgpr23
	s_delay_alu instid0(SALU_CYCLE_1)
	s_xor_b32 exec_lo, exec_lo, s22
	s_cbranch_execz .LBB496_1008
.LBB496_1294:
	v_add_f32_e64 v5, 0x42800000, |v4|
	s_and_not1_b32 s21, s21, exec_lo
	s_mov_b32 s23, 0
	s_delay_alu instid0(VALU_DEP_1) | instskip(NEXT) | instid1(VALU_DEP_1)
	v_and_b32_e32 v5, 0xff, v5
	v_cmp_ne_u32_e32 vcc_lo, 0, v5
	s_and_b32 s24, vcc_lo, exec_lo
	s_delay_alu instid0(SALU_CYCLE_1)
	s_or_b32 s21, s21, s24
	s_or_b32 exec_lo, exec_lo, s22
	v_mov_b32_e32 v6, s23
	s_and_saveexec_b32 s22, s21
	s_cbranch_execnz .LBB496_1009
	s_branch .LBB496_1010
.LBB496_1295:
	s_mov_b32 s20, -1
	s_mov_b32 s14, 0
.LBB496_1296:
                                        ; implicit-def: $vgpr8_vgpr9
.LBB496_1297:
	s_and_b32 vcc_lo, exec_lo, s0
	s_cbranch_vccz .LBB496_1302
; %bb.1298:
	v_cmp_eq_u16_e32 vcc_lo, 44, v19
	s_cbranch_vccz .LBB496_1300
; %bb.1299:
	global_load_u8 v8, v[4:5], off
	s_mov_b32 s20, 0
	s_mov_b32 s14, -1
	s_mov_b64 s[0:1], 0
	s_waitcnt vmcnt(0)
	v_cmp_ne_u32_e32 vcc_lo, 0xff, v8
	v_lshlrev_b32_e32 v6, 23, v8
	s_delay_alu instid0(VALU_DEP_1) | instskip(NEXT) | instid1(VALU_DEP_1)
	v_cvt_f64_f32_e32 v[6:7], v6
	v_cndmask_b32_e32 v7, 0x7ff80000, v7, vcc_lo
	s_delay_alu instid0(VALU_DEP_2) | instskip(SKIP_1) | instid1(VALU_DEP_3)
	v_cndmask_b32_e32 v6, 0x20000000, v6, vcc_lo
	v_cmp_ne_u32_e32 vcc_lo, 0, v8
	v_cndmask_b32_e32 v7, 0x38000000, v7, vcc_lo
	s_delay_alu instid0(VALU_DEP_3)
	v_cndmask_b32_e32 v6, 0, v6, vcc_lo
	s_branch .LBB496_1301
.LBB496_1300:
	s_mov_b32 s20, -1
                                        ; implicit-def: $sgpr0_sgpr1
                                        ; implicit-def: $vgpr6_vgpr7
.LBB496_1301:
	v_dual_mov_b32 v9, s1 :: v_dual_mov_b32 v8, s0
.LBB496_1302:
	s_mov_b32 s0, 0
.LBB496_1303:
	s_delay_alu instid0(SALU_CYCLE_1)
	s_and_b32 vcc_lo, exec_lo, s0
	s_cbranch_vccz .LBB496_1308
; %bb.1304:
	v_cmp_eq_u16_e32 vcc_lo, 29, v19
	s_cbranch_vccz .LBB496_1306
; %bb.1305:
	global_load_b64 v[6:7], v[4:5], off
	s_mov_b32 s20, 0
	s_mov_b32 s14, -1
	s_mov_b64 s[0:1], 0
	s_waitcnt vmcnt(0)
	v_cvt_f64_u32_e32 v[7:8], v7
	v_cvt_f64_u32_e32 v[11:12], v6
	s_delay_alu instid0(VALU_DEP_2) | instskip(NEXT) | instid1(VALU_DEP_1)
	v_ldexp_f64 v[7:8], v[7:8], 32
	v_add_f64 v[6:7], v[7:8], v[11:12]
	s_branch .LBB496_1307
.LBB496_1306:
	s_mov_b32 s20, -1
                                        ; implicit-def: $sgpr0_sgpr1
                                        ; implicit-def: $vgpr6_vgpr7
.LBB496_1307:
	v_dual_mov_b32 v9, s1 :: v_dual_mov_b32 v8, s0
.LBB496_1308:
	s_mov_b32 s0, 0
.LBB496_1309:
	s_delay_alu instid0(SALU_CYCLE_1)
	s_and_b32 vcc_lo, exec_lo, s0
	s_cbranch_vccz .LBB496_1329
; %bb.1310:
	v_cmp_gt_i16_e32 vcc_lo, 27, v19
	s_cbranch_vccnz .LBB496_1313
; %bb.1311:
	v_cmp_lt_i16_e32 vcc_lo, 27, v19
	s_cbranch_vccz .LBB496_1314
; %bb.1312:
	global_load_b32 v6, v[4:5], off
	s_mov_b32 s14, 0
	s_mov_b64 s[0:1], 0
	s_waitcnt vmcnt(0)
	v_cvt_f64_u32_e32 v[6:7], v6
	s_branch .LBB496_1315
.LBB496_1313:
	s_mov_b32 s14, -1
                                        ; implicit-def: $sgpr0_sgpr1
                                        ; implicit-def: $vgpr6_vgpr7
	s_branch .LBB496_1318
.LBB496_1314:
	s_mov_b32 s14, -1
                                        ; implicit-def: $sgpr0_sgpr1
                                        ; implicit-def: $vgpr6_vgpr7
.LBB496_1315:
	s_delay_alu instid0(SALU_CYCLE_1)
	s_and_not1_b32 vcc_lo, exec_lo, s14
	s_cbranch_vccnz .LBB496_1317
; %bb.1316:
	global_load_u16 v6, v[4:5], off
	s_mov_b64 s[0:1], 0
	s_waitcnt vmcnt(0)
	v_cvt_f64_u32_e32 v[6:7], v6
.LBB496_1317:
	s_mov_b32 s14, 0
.LBB496_1318:
	v_dual_mov_b32 v9, s1 :: v_dual_mov_b32 v8, s0
	s_and_not1_b32 vcc_lo, exec_lo, s14
	s_cbranch_vccnz .LBB496_1328
; %bb.1319:
	global_load_u8 v11, v[4:5], off
	s_mov_b32 s22, 0
	s_mov_b32 s23, exec_lo
                                        ; implicit-def: $sgpr0_sgpr1
                                        ; implicit-def: $sgpr14_sgpr15
	s_waitcnt vmcnt(0)
	v_cmpx_lt_i16_e32 0x7f, v11
	s_xor_b32 s23, exec_lo, s23
	s_cbranch_execz .LBB496_1323
; %bb.1320:
	s_mov_b32 s22, -1
	s_mov_b32 s24, exec_lo
                                        ; implicit-def: $sgpr0_sgpr1
                                        ; implicit-def: $sgpr14_sgpr15
	v_cmpx_eq_u16_e32 0x80, v11
; %bb.1321:
	s_mov_b64 s[0:1], 0
	s_mov_b32 s15, 0x7ff80000
	s_brev_b32 s14, 4
	s_xor_b32 s22, exec_lo, -1
; %bb.1322:
	s_or_b32 exec_lo, exec_lo, s24
	s_delay_alu instid0(SALU_CYCLE_1)
	s_and_b32 s22, s22, exec_lo
.LBB496_1323:
	s_or_saveexec_b32 s23, s23
	v_dual_mov_b32 v9, s1 :: v_dual_mov_b32 v8, s0
	v_dual_mov_b32 v6, s14 :: v_dual_mov_b32 v7, s15
	s_xor_b32 exec_lo, exec_lo, s23
; %bb.1324:
	v_mov_b32_e32 v8, 0
	v_mov_b32_e32 v9, 0
	v_cmp_ne_u16_e32 vcc_lo, 0, v11
	s_delay_alu instid0(VALU_DEP_3) | instskip(SKIP_1) | instid1(VALU_DEP_3)
	v_mov_b32_e32 v6, v8
	s_and_not1_b32 s0, s22, exec_lo
	v_mov_b32_e32 v7, v9
	s_and_b32 s1, vcc_lo, exec_lo
	s_delay_alu instid0(SALU_CYCLE_1)
	s_or_b32 s22, s0, s1
; %bb.1325:
	s_or_b32 exec_lo, exec_lo, s23
	s_and_saveexec_b32 s0, s22
	s_cbranch_execz .LBB496_1327
; %bb.1326:
	v_and_b32_e32 v6, 0xffff, v11
	v_lshlrev_b32_e32 v11, 24, v11
	s_delay_alu instid0(VALU_DEP_2) | instskip(NEXT) | instid1(VALU_DEP_1)
	v_and_b32_e32 v7, 7, v6
	v_clz_i32_u32_e32 v8, v7
	s_delay_alu instid0(VALU_DEP_1) | instskip(NEXT) | instid1(VALU_DEP_1)
	v_min_u32_e32 v8, 32, v8
	v_subrev_nc_u32_e32 v9, 28, v8
	v_sub_nc_u32_e32 v8, 29, v8
	s_delay_alu instid0(VALU_DEP_2) | instskip(SKIP_1) | instid1(VALU_DEP_2)
	v_lshlrev_b32_e32 v9, v9, v6
	v_bfe_u32 v6, v6, 3, 4
	v_and_b32_e32 v9, 7, v9
	s_delay_alu instid0(VALU_DEP_2) | instskip(NEXT) | instid1(VALU_DEP_2)
	v_cmp_eq_u32_e32 vcc_lo, 0, v6
	v_dual_cndmask_b32 v6, v6, v8 :: v_dual_cndmask_b32 v7, v7, v9
	v_and_b32_e32 v8, 0x80000000, v11
	s_delay_alu instid0(VALU_DEP_2) | instskip(NEXT) | instid1(VALU_DEP_3)
	v_lshl_add_u32 v6, v6, 23, 0x3b800000
	v_lshlrev_b32_e32 v7, 20, v7
	s_delay_alu instid0(VALU_DEP_1) | instskip(SKIP_2) | instid1(VALU_DEP_3)
	v_or3_b32 v6, v8, v6, v7
	v_mov_b32_e32 v8, 0
	v_mov_b32_e32 v9, 0
	v_cvt_f64_f32_e32 v[6:7], v6
.LBB496_1327:
	s_or_b32 exec_lo, exec_lo, s0
.LBB496_1328:
	s_mov_b32 s14, -1
.LBB496_1329:
	s_branch .LBB496_1361
.LBB496_1330:
	v_cmp_lt_i16_e32 vcc_lo, 22, v19
	s_cbranch_vccz .LBB496_1342
; %bb.1331:
	v_cmp_gt_i16_e32 vcc_lo, 24, v19
	s_cbranch_vccnz .LBB496_1343
; %bb.1332:
	v_cmp_lt_i16_e32 vcc_lo, 24, v19
	s_cbranch_vccz .LBB496_1344
; %bb.1333:
	global_load_u8 v11, v[4:5], off
	s_mov_b32 s22, exec_lo
                                        ; implicit-def: $sgpr0_sgpr1
                                        ; implicit-def: $sgpr14_sgpr15
	s_waitcnt vmcnt(0)
	v_cmpx_lt_i16_e32 0x7f, v11
	s_xor_b32 s22, exec_lo, s22
	s_cbranch_execz .LBB496_1337
; %bb.1334:
	s_mov_b32 s21, -1
	s_mov_b32 s23, exec_lo
                                        ; implicit-def: $sgpr0_sgpr1
                                        ; implicit-def: $sgpr14_sgpr15
	v_cmpx_eq_u16_e32 0x80, v11
; %bb.1335:
	s_mov_b64 s[0:1], 0
	s_mov_b32 s15, 0x7ff80000
	s_brev_b32 s14, 4
	s_xor_b32 s21, exec_lo, -1
; %bb.1336:
	s_or_b32 exec_lo, exec_lo, s23
	s_delay_alu instid0(SALU_CYCLE_1)
	s_and_b32 s21, s21, exec_lo
.LBB496_1337:
	s_or_saveexec_b32 s22, s22
	v_dual_mov_b32 v9, s1 :: v_dual_mov_b32 v8, s0
	v_dual_mov_b32 v6, s14 :: v_dual_mov_b32 v7, s15
	s_xor_b32 exec_lo, exec_lo, s22
; %bb.1338:
	v_mov_b32_e32 v8, 0
	v_mov_b32_e32 v9, 0
	v_cmp_ne_u16_e32 vcc_lo, 0, v11
	s_delay_alu instid0(VALU_DEP_3) | instskip(SKIP_1) | instid1(VALU_DEP_3)
	v_mov_b32_e32 v6, v8
	s_and_not1_b32 s0, s21, exec_lo
	v_mov_b32_e32 v7, v9
	s_and_b32 s1, vcc_lo, exec_lo
	s_delay_alu instid0(SALU_CYCLE_1)
	s_or_b32 s21, s0, s1
; %bb.1339:
	s_or_b32 exec_lo, exec_lo, s22
	s_and_saveexec_b32 s0, s21
	s_cbranch_execz .LBB496_1341
; %bb.1340:
	v_and_b32_e32 v6, 0xffff, v11
	v_lshlrev_b32_e32 v11, 24, v11
	s_delay_alu instid0(VALU_DEP_2) | instskip(NEXT) | instid1(VALU_DEP_1)
	v_and_b32_e32 v7, 3, v6
	v_clz_i32_u32_e32 v8, v7
	s_delay_alu instid0(VALU_DEP_1) | instskip(NEXT) | instid1(VALU_DEP_1)
	v_min_u32_e32 v8, 32, v8
	v_subrev_nc_u32_e32 v9, 29, v8
	v_sub_nc_u32_e32 v8, 30, v8
	s_delay_alu instid0(VALU_DEP_2) | instskip(SKIP_1) | instid1(VALU_DEP_2)
	v_lshlrev_b32_e32 v9, v9, v6
	v_bfe_u32 v6, v6, 2, 5
	v_and_b32_e32 v9, 3, v9
	s_delay_alu instid0(VALU_DEP_2) | instskip(NEXT) | instid1(VALU_DEP_2)
	v_cmp_eq_u32_e32 vcc_lo, 0, v6
	v_dual_cndmask_b32 v6, v6, v8 :: v_dual_cndmask_b32 v7, v7, v9
	v_and_b32_e32 v8, 0x80000000, v11
	s_delay_alu instid0(VALU_DEP_2) | instskip(NEXT) | instid1(VALU_DEP_3)
	v_lshl_add_u32 v6, v6, 23, 0x37800000
	v_lshlrev_b32_e32 v7, 21, v7
	s_delay_alu instid0(VALU_DEP_1) | instskip(SKIP_2) | instid1(VALU_DEP_3)
	v_or3_b32 v6, v8, v6, v7
	v_mov_b32_e32 v8, 0
	v_mov_b32_e32 v9, 0
	v_cvt_f64_f32_e32 v[6:7], v6
.LBB496_1341:
	s_or_b32 exec_lo, exec_lo, s0
	s_mov_b32 s0, 0
	s_branch .LBB496_1345
.LBB496_1342:
	s_mov_b32 s0, -1
                                        ; implicit-def: $vgpr8_vgpr9
	s_branch .LBB496_1351
.LBB496_1343:
	s_mov_b32 s0, -1
                                        ; implicit-def: $vgpr8_vgpr9
	s_branch .LBB496_1348
.LBB496_1344:
	s_mov_b32 s0, -1
                                        ; implicit-def: $vgpr8_vgpr9
.LBB496_1345:
	s_delay_alu instid0(SALU_CYCLE_1)
	s_and_b32 vcc_lo, exec_lo, s0
	s_cbranch_vccz .LBB496_1347
; %bb.1346:
	global_load_u8 v6, v[4:5], off
	s_waitcnt vmcnt(0)
	v_lshlrev_b32_e32 v6, 24, v6
	s_delay_alu instid0(VALU_DEP_1) | instskip(NEXT) | instid1(VALU_DEP_1)
	v_and_b32_e32 v7, 0x7f000000, v6
	v_clz_i32_u32_e32 v8, v7
	v_add_nc_u32_e32 v11, 0x1000000, v7
	v_cmp_ne_u32_e32 vcc_lo, 0, v7
	s_delay_alu instid0(VALU_DEP_3) | instskip(NEXT) | instid1(VALU_DEP_1)
	v_min_u32_e32 v8, 32, v8
	v_sub_nc_u32_e64 v8, v8, 4 clamp
	s_delay_alu instid0(VALU_DEP_1) | instskip(SKIP_1) | instid1(VALU_DEP_2)
	v_lshlrev_b32_e32 v9, v8, v7
	v_lshlrev_b32_e32 v8, 23, v8
	v_lshrrev_b32_e32 v9, 4, v9
	s_delay_alu instid0(VALU_DEP_1) | instskip(SKIP_1) | instid1(VALU_DEP_2)
	v_sub_nc_u32_e32 v8, v9, v8
	v_ashrrev_i32_e32 v9, 8, v11
	v_add_nc_u32_e32 v8, 0x3c000000, v8
	s_delay_alu instid0(VALU_DEP_1) | instskip(NEXT) | instid1(VALU_DEP_1)
	v_and_or_b32 v8, 0x7f800000, v9, v8
	v_dual_cndmask_b32 v7, 0, v8 :: v_dual_mov_b32 v8, 0
	v_mov_b32_e32 v9, 0
	s_delay_alu instid0(VALU_DEP_2) | instskip(NEXT) | instid1(VALU_DEP_1)
	v_and_or_b32 v6, 0x80000000, v6, v7
	v_cvt_f64_f32_e32 v[6:7], v6
.LBB496_1347:
	s_mov_b32 s0, 0
.LBB496_1348:
	s_delay_alu instid0(SALU_CYCLE_1)
	s_and_not1_b32 vcc_lo, exec_lo, s0
	s_cbranch_vccnz .LBB496_1350
; %bb.1349:
	global_load_u8 v6, v[4:5], off
	s_waitcnt vmcnt(0)
	v_lshlrev_b32_e32 v7, 25, v6
	v_lshlrev_b16 v6, 8, v6
	s_delay_alu instid0(VALU_DEP_2) | instskip(NEXT) | instid1(VALU_DEP_2)
	v_lshrrev_b32_e32 v8, 4, v7
	v_and_or_b32 v9, 0x7f00, v6, 0.5
	v_bfe_i32 v6, v6, 0, 16
	s_delay_alu instid0(VALU_DEP_3) | instskip(NEXT) | instid1(VALU_DEP_1)
	v_or_b32_e32 v8, 0x70000000, v8
	v_dual_add_f32 v9, -0.5, v9 :: v_dual_mul_f32 v8, 0x7800000, v8
	v_cmp_gt_u32_e32 vcc_lo, 0x8000000, v7
	s_delay_alu instid0(VALU_DEP_2) | instskip(SKIP_1) | instid1(VALU_DEP_2)
	v_dual_cndmask_b32 v7, v8, v9 :: v_dual_mov_b32 v8, 0
	v_mov_b32_e32 v9, 0
	v_and_or_b32 v6, 0x80000000, v6, v7
	s_delay_alu instid0(VALU_DEP_1)
	v_cvt_f64_f32_e32 v[6:7], v6
.LBB496_1350:
	s_mov_b32 s0, 0
	s_mov_b32 s14, -1
.LBB496_1351:
	s_and_not1_b32 vcc_lo, exec_lo, s0
	s_mov_b32 s21, 0
	s_cbranch_vccnz .LBB496_1361
; %bb.1352:
	v_cmp_lt_i16_e32 vcc_lo, 14, v19
	s_cbranch_vccz .LBB496_1355
; %bb.1353:
	v_cmp_eq_u16_e32 vcc_lo, 15, v19
	s_cbranch_vccz .LBB496_1356
; %bb.1354:
	global_load_u16 v6, v[4:5], off
	s_mov_b32 s20, 0
	s_mov_b32 s14, -1
	s_mov_b64 s[0:1], 0
	s_waitcnt vmcnt(0)
	v_lshlrev_b32_e32 v6, 16, v6
	s_delay_alu instid0(VALU_DEP_1)
	v_cvt_f64_f32_e32 v[6:7], v6
	s_branch .LBB496_1357
.LBB496_1355:
	s_mov_b32 s15, -1
                                        ; implicit-def: $sgpr0_sgpr1
                                        ; implicit-def: $vgpr6_vgpr7
	s_branch .LBB496_1358
.LBB496_1356:
	s_mov_b32 s20, -1
                                        ; implicit-def: $sgpr0_sgpr1
                                        ; implicit-def: $vgpr6_vgpr7
.LBB496_1357:
	s_mov_b32 s15, 0
.LBB496_1358:
	s_delay_alu instid0(SALU_CYCLE_1)
	s_and_b32 vcc_lo, exec_lo, s15
	s_cbranch_vccz .LBB496_1360
; %bb.1359:
	v_cmp_ne_u16_e64 s20, 11, v19
	s_mov_b32 s21, -1
                                        ; implicit-def: $sgpr0_sgpr1
                                        ; implicit-def: $vgpr6_vgpr7
.LBB496_1360:
	v_dual_mov_b32 v9, s1 :: v_dual_mov_b32 v8, s0
.LBB496_1361:
	s_delay_alu instid0(VALU_DEP_2)
	s_and_b32 vcc_lo, exec_lo, s20
	s_cbranch_vccnz .LBB496_1393
; %bb.1362:
	s_and_not1_b32 vcc_lo, exec_lo, s21
	s_cbranch_vccnz .LBB496_1364
.LBB496_1363:
	global_load_u8 v6, v[4:5], off
	v_mov_b32_e32 v8, 0
	v_mov_b32_e32 v9, 0
	s_mov_b32 s14, -1
	s_waitcnt vmcnt(0)
	v_cmp_ne_u16_e32 vcc_lo, 0, v6
	v_mov_b32_e32 v6, 0
	v_cndmask_b32_e64 v7, 0, 0x3ff00000, vcc_lo
.LBB496_1364:
.LBB496_1365:
	s_and_not1_b32 vcc_lo, exec_lo, s14
	s_cbranch_vccnz .LBB496_1745
.LBB496_1366:
	v_dual_mov_b32 v4, s8 :: v_dual_mov_b32 v5, s9
	s_mov_b32 s0, exec_lo
	s_waitcnt vmcnt(0)
	s_delay_alu instid0(VALU_DEP_2)
	v_cmpx_o_f64_e32 v[6:7], v[6:7]
	s_cbranch_execz .LBB496_1370
; %bb.1367:
	v_dual_mov_b32 v4, s10 :: v_dual_mov_b32 v5, s11
	s_mov_b32 s1, exec_lo
	v_cmpx_neq_f64_e32 0x7ff00000, v[6:7]
; %bb.1368:
	v_cmp_eq_f64_e32 vcc_lo, 0xfff00000, v[6:7]
	v_cndmask_b32_e64 v5, v7, s13, vcc_lo
	v_cndmask_b32_e64 v4, v6, s12, vcc_lo
; %bb.1369:
	s_or_b32 exec_lo, exec_lo, s1
.LBB496_1370:
	s_delay_alu instid0(SALU_CYCLE_1) | instskip(SKIP_2) | instid1(VALU_DEP_4)
	s_or_b32 exec_lo, exec_lo, s0
	v_dual_mov_b32 v6, s8 :: v_dual_mov_b32 v7, s9
	s_mov_b32 s0, exec_lo
	v_cmpx_o_f64_e32 v[8:9], v[8:9]
	s_cbranch_execz .LBB496_1374
; %bb.1371:
	v_dual_mov_b32 v6, s10 :: v_dual_mov_b32 v7, s11
	s_mov_b32 s1, exec_lo
	v_cmpx_neq_f64_e32 0x7ff00000, v[8:9]
; %bb.1372:
	v_cmp_eq_f64_e32 vcc_lo, 0xfff00000, v[8:9]
	v_cndmask_b32_e64 v7, v9, s13, vcc_lo
	v_cndmask_b32_e64 v6, v8, s12, vcc_lo
; %bb.1373:
	s_or_b32 exec_lo, exec_lo, s1
.LBB496_1374:
	s_delay_alu instid0(SALU_CYCLE_1) | instskip(SKIP_2) | instid1(VALU_DEP_2)
	s_or_b32 exec_lo, exec_lo, s0
	v_add_nc_u32_e32 v14, s3, v10
	v_cmp_gt_i16_e32 vcc_lo, 11, v19
	v_ashrrev_i32_e32 v9, 31, v14
	v_add_co_u32 v8, s0, s6, v14
	s_delay_alu instid0(VALU_DEP_1)
	v_add_co_ci_u32_e64 v9, s0, s7, v9, s0
	s_cbranch_vccnz .LBB496_1381
; %bb.1375:
	v_cmp_lt_i16_e32 vcc_lo, 25, v19
	s_mov_b32 s21, 0
	s_cbranch_vccz .LBB496_1387
; %bb.1376:
	v_cmp_lt_i16_e32 vcc_lo, 28, v19
	s_cbranch_vccz .LBB496_1389
; %bb.1377:
	v_cmp_lt_i16_e32 vcc_lo, 43, v19
	;; [unrolled: 3-line block ×3, first 2 shown]
	s_cbranch_vccz .LBB496_1395
; %bb.1379:
	v_cmp_eq_u16_e32 vcc_lo, 46, v19
	s_mov_b32 s0, 0
	s_cbranch_vccz .LBB496_1440
; %bb.1380:
	global_load_b32 v10, v[8:9], off
	s_mov_b32 s20, 0
	s_mov_b32 s14, -1
	s_waitcnt vmcnt(0)
	v_lshlrev_b32_e32 v11, 16, v10
	v_and_b32_e32 v12, 0xffff0000, v10
	s_delay_alu instid0(VALU_DEP_2) | instskip(NEXT) | instid1(VALU_DEP_2)
	v_cvt_f64_f32_e32 v[10:11], v11
	v_cvt_f64_f32_e32 v[12:13], v12
	s_branch .LBB496_1442
.LBB496_1381:
	s_mov_b32 s14, 0
                                        ; implicit-def: $vgpr12_vgpr13
	s_cbranch_execz .LBB496_1511
; %bb.1382:
	v_cmp_gt_i16_e32 vcc_lo, 5, v19
	s_cbranch_vccnz .LBB496_1388
; %bb.1383:
	v_cmp_gt_i16_e32 vcc_lo, 8, v19
	s_cbranch_vccnz .LBB496_1390
	;; [unrolled: 3-line block ×3, first 2 shown]
; %bb.1385:
	v_cmp_lt_i16_e32 vcc_lo, 9, v19
	s_cbranch_vccz .LBB496_1396
; %bb.1386:
	global_load_b128 v[10:13], v[8:9], off
	s_mov_b32 s0, 0
	s_branch .LBB496_1397
.LBB496_1387:
	s_mov_b32 s0, -1
	s_mov_b32 s14, 0
	s_mov_b32 s20, 0
                                        ; implicit-def: $vgpr12_vgpr13
	s_branch .LBB496_1475
.LBB496_1388:
	s_mov_b32 s0, -1
                                        ; implicit-def: $vgpr12_vgpr13
	s_branch .LBB496_1416
.LBB496_1389:
	s_mov_b32 s0, -1
	s_mov_b32 s14, 0
	s_mov_b32 s20, 0
                                        ; implicit-def: $vgpr12_vgpr13
	s_branch .LBB496_1454
.LBB496_1390:
	s_mov_b32 s0, -1
                                        ; implicit-def: $vgpr12_vgpr13
	s_branch .LBB496_1403
.LBB496_1391:
	s_mov_b32 s0, -1
	s_mov_b32 s14, 0
	s_mov_b32 s20, 0
                                        ; implicit-def: $vgpr12_vgpr13
	s_branch .LBB496_1448
.LBB496_1392:
	s_mov_b32 s0, -1
                                        ; implicit-def: $vgpr12_vgpr13
	s_branch .LBB496_1400
.LBB496_1393:
	s_cbranch_execnz .LBB496_1438
; %bb.1394:
	s_or_b32 s17, s17, exec_lo
                                        ; implicit-def: $vgpr8_vgpr9
	s_cbranch_execz .LBB496_1363
	s_branch .LBB496_1364
.LBB496_1395:
	s_mov_b32 s0, -1
	s_mov_b32 s14, 0
	s_mov_b32 s20, 0
	s_branch .LBB496_1441
.LBB496_1396:
	s_mov_b32 s0, -1
                                        ; implicit-def: $vgpr12_vgpr13
.LBB496_1397:
	s_delay_alu instid0(SALU_CYCLE_1)
	s_and_not1_b32 vcc_lo, exec_lo, s0
	s_cbranch_vccnz .LBB496_1399
; %bb.1398:
	global_load_b64 v[11:12], v[8:9], off
	s_waitcnt vmcnt(0)
	v_cvt_f64_f32_e32 v[10:11], v11
	v_cvt_f64_f32_e32 v[12:13], v12
.LBB496_1399:
	s_mov_b32 s0, 0
.LBB496_1400:
	s_delay_alu instid0(SALU_CYCLE_1)
	s_and_not1_b32 vcc_lo, exec_lo, s0
	s_cbranch_vccnz .LBB496_1402
; %bb.1401:
	global_load_b32 v10, v[8:9], off
	s_waitcnt vmcnt(0)
	v_lshrrev_b32_e32 v11, 16, v10
	v_cvt_f32_f16_e32 v10, v10
	s_delay_alu instid0(VALU_DEP_2) | instskip(NEXT) | instid1(VALU_DEP_2)
	v_cvt_f32_f16_e32 v12, v11
	v_cvt_f64_f32_e32 v[10:11], v10
	s_delay_alu instid0(VALU_DEP_2)
	v_cvt_f64_f32_e32 v[12:13], v12
.LBB496_1402:
	s_mov_b32 s0, 0
.LBB496_1403:
	s_delay_alu instid0(SALU_CYCLE_1)
	s_and_not1_b32 vcc_lo, exec_lo, s0
	s_cbranch_vccnz .LBB496_1415
; %bb.1404:
	v_cmp_gt_i16_e32 vcc_lo, 6, v19
	s_cbranch_vccnz .LBB496_1407
; %bb.1405:
	v_cmp_lt_i16_e32 vcc_lo, 6, v19
	s_cbranch_vccz .LBB496_1408
; %bb.1406:
	global_load_b64 v[10:11], v[8:9], off
	s_mov_b32 s14, 0
	s_mov_b64 s[0:1], 0
	s_branch .LBB496_1409
.LBB496_1407:
	s_mov_b32 s14, -1
                                        ; implicit-def: $sgpr0_sgpr1
                                        ; implicit-def: $vgpr10_vgpr11
	s_branch .LBB496_1412
.LBB496_1408:
	s_mov_b32 s14, -1
                                        ; implicit-def: $sgpr0_sgpr1
                                        ; implicit-def: $vgpr10_vgpr11
.LBB496_1409:
	s_delay_alu instid0(SALU_CYCLE_1)
	s_and_not1_b32 vcc_lo, exec_lo, s14
	s_cbranch_vccnz .LBB496_1411
; %bb.1410:
	global_load_b32 v10, v[8:9], off
	s_mov_b64 s[0:1], 0
	s_waitcnt vmcnt(0)
	v_cvt_f64_f32_e32 v[10:11], v10
.LBB496_1411:
	s_mov_b32 s14, 0
.LBB496_1412:
	s_delay_alu instid0(SALU_CYCLE_1)
	s_and_not1_b32 vcc_lo, exec_lo, s14
	s_cbranch_vccnz .LBB496_1414
; %bb.1413:
	global_load_u16 v10, v[8:9], off
	s_mov_b64 s[0:1], 0
	s_waitcnt vmcnt(0)
	v_cvt_f32_f16_e32 v10, v10
	s_delay_alu instid0(VALU_DEP_1)
	v_cvt_f64_f32_e32 v[10:11], v10
.LBB496_1414:
	s_waitcnt vmcnt(0)
	v_dual_mov_b32 v13, s1 :: v_dual_mov_b32 v12, s0
.LBB496_1415:
	s_mov_b32 s0, 0
.LBB496_1416:
	s_delay_alu instid0(SALU_CYCLE_1)
	s_and_not1_b32 vcc_lo, exec_lo, s0
	s_cbranch_vccnz .LBB496_1437
; %bb.1417:
	v_cmp_gt_i16_e32 vcc_lo, 2, v19
	s_cbranch_vccnz .LBB496_1421
; %bb.1418:
	v_cmp_gt_i16_e32 vcc_lo, 3, v19
	s_cbranch_vccnz .LBB496_1422
; %bb.1419:
	v_cmp_lt_i16_e32 vcc_lo, 3, v19
	s_cbranch_vccz .LBB496_1423
; %bb.1420:
	global_load_b64 v[10:11], v[8:9], off
	s_mov_b32 s14, 0
	s_mov_b64 s[0:1], 0
	s_waitcnt vmcnt(0)
	v_cvt_f64_i32_e32 v[11:12], v11
	v_cvt_f64_u32_e32 v[15:16], v10
	s_delay_alu instid0(VALU_DEP_2) | instskip(NEXT) | instid1(VALU_DEP_1)
	v_ldexp_f64 v[11:12], v[11:12], 32
	v_add_f64 v[10:11], v[11:12], v[15:16]
	s_branch .LBB496_1424
.LBB496_1421:
	s_mov_b32 s14, -1
                                        ; implicit-def: $sgpr0_sgpr1
                                        ; implicit-def: $vgpr10_vgpr11
	s_branch .LBB496_1430
.LBB496_1422:
	s_mov_b32 s14, -1
                                        ; implicit-def: $sgpr0_sgpr1
                                        ; implicit-def: $vgpr10_vgpr11
	s_branch .LBB496_1427
.LBB496_1423:
	s_mov_b32 s14, -1
                                        ; implicit-def: $sgpr0_sgpr1
                                        ; implicit-def: $vgpr10_vgpr11
.LBB496_1424:
	s_delay_alu instid0(SALU_CYCLE_1)
	s_and_not1_b32 vcc_lo, exec_lo, s14
	s_cbranch_vccnz .LBB496_1426
; %bb.1425:
	global_load_b32 v10, v[8:9], off
	s_mov_b64 s[0:1], 0
	s_waitcnt vmcnt(0)
	v_cvt_f64_i32_e32 v[10:11], v10
.LBB496_1426:
	s_mov_b32 s14, 0
.LBB496_1427:
	s_delay_alu instid0(SALU_CYCLE_1)
	s_and_not1_b32 vcc_lo, exec_lo, s14
	s_cbranch_vccnz .LBB496_1429
; %bb.1428:
	global_load_i16 v10, v[8:9], off
	s_mov_b64 s[0:1], 0
	s_waitcnt vmcnt(0)
	v_cvt_f64_i32_e32 v[10:11], v10
.LBB496_1429:
	s_mov_b32 s14, 0
.LBB496_1430:
	s_delay_alu instid0(SALU_CYCLE_1)
	s_and_not1_b32 vcc_lo, exec_lo, s14
	s_cbranch_vccnz .LBB496_1436
; %bb.1431:
	v_cmp_lt_i16_e32 vcc_lo, 0, v19
	s_mov_b32 s14, 0
	s_cbranch_vccz .LBB496_1433
; %bb.1432:
	global_load_i8 v10, v[8:9], off
	s_mov_b64 s[0:1], 0
	s_waitcnt vmcnt(0)
	v_cvt_f64_i32_e32 v[10:11], v10
	s_branch .LBB496_1434
.LBB496_1433:
	s_mov_b32 s14, -1
                                        ; implicit-def: $sgpr0_sgpr1
                                        ; implicit-def: $vgpr10_vgpr11
.LBB496_1434:
	s_delay_alu instid0(SALU_CYCLE_1)
	s_and_not1_b32 vcc_lo, exec_lo, s14
	s_cbranch_vccnz .LBB496_1436
; %bb.1435:
	global_load_u8 v8, v[8:9], off
	s_mov_b64 s[0:1], 0
	s_waitcnt vmcnt(0)
	v_cvt_f64_u32_e32 v[10:11], v8
.LBB496_1436:
	s_waitcnt vmcnt(0)
	v_dual_mov_b32 v13, s1 :: v_dual_mov_b32 v12, s0
.LBB496_1437:
	s_branch .LBB496_1512
.LBB496_1438:
	s_trap 2
	s_sendmsg_rtn_b32 s0, sendmsg(MSG_RTN_GET_DOORBELL)
	s_mov_b32 ttmp2, m0
	s_waitcnt lgkmcnt(0)
	s_and_b32 s0, s0, 0x3ff
	s_delay_alu instid0(SALU_CYCLE_1) | instskip(NEXT) | instid1(SALU_CYCLE_1)
	s_bitset1_b32 s0, 10
	s_mov_b32 m0, s0
	s_sendmsg sendmsg(MSG_INTERRUPT)
	s_mov_b32 m0, ttmp2
.LBB496_1439:                           ; =>This Inner Loop Header: Depth=1
	s_sethalt 5
	s_branch .LBB496_1439
.LBB496_1440:
	s_mov_b32 s20, -1
	s_mov_b32 s14, 0
.LBB496_1441:
                                        ; implicit-def: $vgpr12_vgpr13
.LBB496_1442:
	s_and_b32 vcc_lo, exec_lo, s0
	s_cbranch_vccz .LBB496_1447
; %bb.1443:
	v_cmp_eq_u16_e32 vcc_lo, 44, v19
	s_cbranch_vccz .LBB496_1445
; %bb.1444:
	global_load_u8 v12, v[8:9], off
	s_mov_b32 s20, 0
	s_mov_b32 s14, -1
	s_mov_b64 s[0:1], 0
	s_waitcnt vmcnt(0)
	v_cmp_ne_u32_e32 vcc_lo, 0xff, v12
	v_lshlrev_b32_e32 v10, 23, v12
	s_delay_alu instid0(VALU_DEP_1) | instskip(NEXT) | instid1(VALU_DEP_1)
	v_cvt_f64_f32_e32 v[10:11], v10
	v_cndmask_b32_e32 v11, 0x7ff80000, v11, vcc_lo
	s_delay_alu instid0(VALU_DEP_2) | instskip(SKIP_1) | instid1(VALU_DEP_3)
	v_cndmask_b32_e32 v10, 0x20000000, v10, vcc_lo
	v_cmp_ne_u32_e32 vcc_lo, 0, v12
	v_cndmask_b32_e32 v11, 0x38000000, v11, vcc_lo
	s_delay_alu instid0(VALU_DEP_3)
	v_cndmask_b32_e32 v10, 0, v10, vcc_lo
	s_branch .LBB496_1446
.LBB496_1445:
	s_mov_b32 s20, -1
                                        ; implicit-def: $sgpr0_sgpr1
                                        ; implicit-def: $vgpr10_vgpr11
.LBB496_1446:
	v_dual_mov_b32 v13, s1 :: v_dual_mov_b32 v12, s0
.LBB496_1447:
	s_mov_b32 s0, 0
.LBB496_1448:
	s_delay_alu instid0(SALU_CYCLE_1)
	s_and_b32 vcc_lo, exec_lo, s0
	s_cbranch_vccz .LBB496_1453
; %bb.1449:
	v_cmp_eq_u16_e32 vcc_lo, 29, v19
	s_cbranch_vccz .LBB496_1451
; %bb.1450:
	global_load_b64 v[10:11], v[8:9], off
	s_mov_b32 s20, 0
	s_mov_b32 s14, -1
	s_mov_b64 s[0:1], 0
	s_waitcnt vmcnt(0)
	v_cvt_f64_u32_e32 v[11:12], v11
	v_cvt_f64_u32_e32 v[15:16], v10
	s_delay_alu instid0(VALU_DEP_2) | instskip(NEXT) | instid1(VALU_DEP_1)
	v_ldexp_f64 v[11:12], v[11:12], 32
	v_add_f64 v[10:11], v[11:12], v[15:16]
	s_branch .LBB496_1452
.LBB496_1451:
	s_mov_b32 s20, -1
                                        ; implicit-def: $sgpr0_sgpr1
                                        ; implicit-def: $vgpr10_vgpr11
.LBB496_1452:
	v_dual_mov_b32 v13, s1 :: v_dual_mov_b32 v12, s0
.LBB496_1453:
	s_mov_b32 s0, 0
.LBB496_1454:
	s_delay_alu instid0(SALU_CYCLE_1)
	s_and_b32 vcc_lo, exec_lo, s0
	s_cbranch_vccz .LBB496_1474
; %bb.1455:
	v_cmp_gt_i16_e32 vcc_lo, 27, v19
	s_cbranch_vccnz .LBB496_1458
; %bb.1456:
	v_cmp_lt_i16_e32 vcc_lo, 27, v19
	s_cbranch_vccz .LBB496_1459
; %bb.1457:
	global_load_b32 v10, v[8:9], off
	s_mov_b32 s14, 0
	s_mov_b64 s[0:1], 0
	s_waitcnt vmcnt(0)
	v_cvt_f64_u32_e32 v[10:11], v10
	s_branch .LBB496_1460
.LBB496_1458:
	s_mov_b32 s14, -1
                                        ; implicit-def: $sgpr0_sgpr1
                                        ; implicit-def: $vgpr10_vgpr11
	s_branch .LBB496_1463
.LBB496_1459:
	s_mov_b32 s14, -1
                                        ; implicit-def: $sgpr0_sgpr1
                                        ; implicit-def: $vgpr10_vgpr11
.LBB496_1460:
	s_delay_alu instid0(SALU_CYCLE_1)
	s_and_not1_b32 vcc_lo, exec_lo, s14
	s_cbranch_vccnz .LBB496_1462
; %bb.1461:
	global_load_u16 v10, v[8:9], off
	s_mov_b64 s[0:1], 0
	s_waitcnt vmcnt(0)
	v_cvt_f64_u32_e32 v[10:11], v10
.LBB496_1462:
	s_mov_b32 s14, 0
.LBB496_1463:
	v_dual_mov_b32 v13, s1 :: v_dual_mov_b32 v12, s0
	s_and_not1_b32 vcc_lo, exec_lo, s14
	s_cbranch_vccnz .LBB496_1473
; %bb.1464:
	global_load_u8 v15, v[8:9], off
	s_mov_b32 s22, 0
	s_mov_b32 s23, exec_lo
                                        ; implicit-def: $sgpr0_sgpr1
                                        ; implicit-def: $sgpr14_sgpr15
	s_waitcnt vmcnt(0)
	v_cmpx_lt_i16_e32 0x7f, v15
	s_xor_b32 s23, exec_lo, s23
	s_cbranch_execz .LBB496_1468
; %bb.1465:
	s_mov_b32 s22, -1
	s_mov_b32 s24, exec_lo
                                        ; implicit-def: $sgpr0_sgpr1
                                        ; implicit-def: $sgpr14_sgpr15
	v_cmpx_eq_u16_e32 0x80, v15
; %bb.1466:
	s_mov_b64 s[0:1], 0
	s_mov_b32 s15, 0x7ff80000
	s_brev_b32 s14, 4
	s_xor_b32 s22, exec_lo, -1
; %bb.1467:
	s_or_b32 exec_lo, exec_lo, s24
	s_delay_alu instid0(SALU_CYCLE_1)
	s_and_b32 s22, s22, exec_lo
.LBB496_1468:
	s_or_saveexec_b32 s23, s23
	v_dual_mov_b32 v13, s1 :: v_dual_mov_b32 v12, s0
	v_dual_mov_b32 v10, s14 :: v_dual_mov_b32 v11, s15
	s_xor_b32 exec_lo, exec_lo, s23
; %bb.1469:
	v_mov_b32_e32 v12, 0
	v_mov_b32_e32 v13, 0
	v_cmp_ne_u16_e32 vcc_lo, 0, v15
	s_delay_alu instid0(VALU_DEP_3) | instskip(SKIP_1) | instid1(VALU_DEP_3)
	v_mov_b32_e32 v10, v12
	s_and_not1_b32 s0, s22, exec_lo
	v_mov_b32_e32 v11, v13
	s_and_b32 s1, vcc_lo, exec_lo
	s_delay_alu instid0(SALU_CYCLE_1)
	s_or_b32 s22, s0, s1
; %bb.1470:
	s_or_b32 exec_lo, exec_lo, s23
	s_and_saveexec_b32 s0, s22
	s_cbranch_execz .LBB496_1472
; %bb.1471:
	v_and_b32_e32 v10, 0xffff, v15
	v_lshlrev_b32_e32 v15, 24, v15
	s_delay_alu instid0(VALU_DEP_2) | instskip(NEXT) | instid1(VALU_DEP_1)
	v_and_b32_e32 v11, 7, v10
	v_clz_i32_u32_e32 v12, v11
	s_delay_alu instid0(VALU_DEP_1) | instskip(NEXT) | instid1(VALU_DEP_1)
	v_min_u32_e32 v12, 32, v12
	v_subrev_nc_u32_e32 v13, 28, v12
	v_sub_nc_u32_e32 v12, 29, v12
	s_delay_alu instid0(VALU_DEP_2) | instskip(SKIP_1) | instid1(VALU_DEP_2)
	v_lshlrev_b32_e32 v13, v13, v10
	v_bfe_u32 v10, v10, 3, 4
	v_and_b32_e32 v13, 7, v13
	s_delay_alu instid0(VALU_DEP_2) | instskip(NEXT) | instid1(VALU_DEP_2)
	v_cmp_eq_u32_e32 vcc_lo, 0, v10
	v_dual_cndmask_b32 v10, v10, v12 :: v_dual_cndmask_b32 v11, v11, v13
	v_and_b32_e32 v12, 0x80000000, v15
	s_delay_alu instid0(VALU_DEP_2) | instskip(NEXT) | instid1(VALU_DEP_3)
	v_lshl_add_u32 v10, v10, 23, 0x3b800000
	v_lshlrev_b32_e32 v11, 20, v11
	s_delay_alu instid0(VALU_DEP_1) | instskip(SKIP_2) | instid1(VALU_DEP_3)
	v_or3_b32 v10, v12, v10, v11
	v_mov_b32_e32 v12, 0
	v_mov_b32_e32 v13, 0
	v_cvt_f64_f32_e32 v[10:11], v10
.LBB496_1472:
	s_or_b32 exec_lo, exec_lo, s0
.LBB496_1473:
	s_mov_b32 s14, -1
.LBB496_1474:
	s_mov_b32 s0, 0
.LBB496_1475:
	s_delay_alu instid0(SALU_CYCLE_1)
	s_and_b32 vcc_lo, exec_lo, s0
	s_cbranch_vccz .LBB496_1507
; %bb.1476:
	v_cmp_lt_i16_e32 vcc_lo, 22, v19
	s_cbranch_vccz .LBB496_1488
; %bb.1477:
	v_cmp_gt_i16_e32 vcc_lo, 24, v19
	s_cbranch_vccnz .LBB496_1489
; %bb.1478:
	v_cmp_lt_i16_e32 vcc_lo, 24, v19
	s_cbranch_vccz .LBB496_1490
; %bb.1479:
	global_load_u8 v15, v[8:9], off
	s_mov_b32 s22, exec_lo
                                        ; implicit-def: $sgpr0_sgpr1
                                        ; implicit-def: $sgpr14_sgpr15
	s_waitcnt vmcnt(0)
	v_cmpx_lt_i16_e32 0x7f, v15
	s_xor_b32 s22, exec_lo, s22
	s_cbranch_execz .LBB496_1483
; %bb.1480:
	s_mov_b32 s21, -1
	s_mov_b32 s23, exec_lo
                                        ; implicit-def: $sgpr0_sgpr1
                                        ; implicit-def: $sgpr14_sgpr15
	v_cmpx_eq_u16_e32 0x80, v15
; %bb.1481:
	s_mov_b64 s[0:1], 0
	s_mov_b32 s15, 0x7ff80000
	s_brev_b32 s14, 4
	s_xor_b32 s21, exec_lo, -1
; %bb.1482:
	s_or_b32 exec_lo, exec_lo, s23
	s_delay_alu instid0(SALU_CYCLE_1)
	s_and_b32 s21, s21, exec_lo
.LBB496_1483:
	s_or_saveexec_b32 s22, s22
	v_dual_mov_b32 v13, s1 :: v_dual_mov_b32 v12, s0
	v_dual_mov_b32 v10, s14 :: v_dual_mov_b32 v11, s15
	s_xor_b32 exec_lo, exec_lo, s22
; %bb.1484:
	v_mov_b32_e32 v12, 0
	v_mov_b32_e32 v13, 0
	v_cmp_ne_u16_e32 vcc_lo, 0, v15
	s_delay_alu instid0(VALU_DEP_3) | instskip(SKIP_1) | instid1(VALU_DEP_3)
	v_mov_b32_e32 v10, v12
	s_and_not1_b32 s0, s21, exec_lo
	v_mov_b32_e32 v11, v13
	s_and_b32 s1, vcc_lo, exec_lo
	s_delay_alu instid0(SALU_CYCLE_1)
	s_or_b32 s21, s0, s1
; %bb.1485:
	s_or_b32 exec_lo, exec_lo, s22
	s_and_saveexec_b32 s0, s21
	s_cbranch_execz .LBB496_1487
; %bb.1486:
	v_and_b32_e32 v10, 0xffff, v15
	v_lshlrev_b32_e32 v15, 24, v15
	s_delay_alu instid0(VALU_DEP_2) | instskip(NEXT) | instid1(VALU_DEP_1)
	v_and_b32_e32 v11, 3, v10
	v_clz_i32_u32_e32 v12, v11
	s_delay_alu instid0(VALU_DEP_1) | instskip(NEXT) | instid1(VALU_DEP_1)
	v_min_u32_e32 v12, 32, v12
	v_subrev_nc_u32_e32 v13, 29, v12
	v_sub_nc_u32_e32 v12, 30, v12
	s_delay_alu instid0(VALU_DEP_2) | instskip(SKIP_1) | instid1(VALU_DEP_2)
	v_lshlrev_b32_e32 v13, v13, v10
	v_bfe_u32 v10, v10, 2, 5
	v_and_b32_e32 v13, 3, v13
	s_delay_alu instid0(VALU_DEP_2) | instskip(NEXT) | instid1(VALU_DEP_2)
	v_cmp_eq_u32_e32 vcc_lo, 0, v10
	v_dual_cndmask_b32 v10, v10, v12 :: v_dual_cndmask_b32 v11, v11, v13
	v_and_b32_e32 v12, 0x80000000, v15
	s_delay_alu instid0(VALU_DEP_2) | instskip(NEXT) | instid1(VALU_DEP_3)
	v_lshl_add_u32 v10, v10, 23, 0x37800000
	v_lshlrev_b32_e32 v11, 21, v11
	s_delay_alu instid0(VALU_DEP_1) | instskip(SKIP_2) | instid1(VALU_DEP_3)
	v_or3_b32 v10, v12, v10, v11
	v_mov_b32_e32 v12, 0
	v_mov_b32_e32 v13, 0
	v_cvt_f64_f32_e32 v[10:11], v10
.LBB496_1487:
	s_or_b32 exec_lo, exec_lo, s0
	s_mov_b32 s0, 0
	s_branch .LBB496_1491
.LBB496_1488:
	s_mov_b32 s0, -1
                                        ; implicit-def: $vgpr12_vgpr13
	s_branch .LBB496_1497
.LBB496_1489:
	s_mov_b32 s0, -1
                                        ; implicit-def: $vgpr12_vgpr13
	s_branch .LBB496_1494
.LBB496_1490:
	s_mov_b32 s0, -1
                                        ; implicit-def: $vgpr12_vgpr13
.LBB496_1491:
	s_delay_alu instid0(SALU_CYCLE_1)
	s_and_b32 vcc_lo, exec_lo, s0
	s_cbranch_vccz .LBB496_1493
; %bb.1492:
	global_load_u8 v10, v[8:9], off
	s_waitcnt vmcnt(0)
	v_lshlrev_b32_e32 v10, 24, v10
	s_delay_alu instid0(VALU_DEP_1) | instskip(NEXT) | instid1(VALU_DEP_1)
	v_and_b32_e32 v11, 0x7f000000, v10
	v_clz_i32_u32_e32 v12, v11
	v_add_nc_u32_e32 v15, 0x1000000, v11
	v_cmp_ne_u32_e32 vcc_lo, 0, v11
	s_delay_alu instid0(VALU_DEP_3) | instskip(NEXT) | instid1(VALU_DEP_1)
	v_min_u32_e32 v12, 32, v12
	v_sub_nc_u32_e64 v12, v12, 4 clamp
	s_delay_alu instid0(VALU_DEP_1) | instskip(SKIP_1) | instid1(VALU_DEP_2)
	v_lshlrev_b32_e32 v13, v12, v11
	v_lshlrev_b32_e32 v12, 23, v12
	v_lshrrev_b32_e32 v13, 4, v13
	s_delay_alu instid0(VALU_DEP_1) | instskip(SKIP_1) | instid1(VALU_DEP_2)
	v_sub_nc_u32_e32 v12, v13, v12
	v_ashrrev_i32_e32 v13, 8, v15
	v_add_nc_u32_e32 v12, 0x3c000000, v12
	s_delay_alu instid0(VALU_DEP_1) | instskip(NEXT) | instid1(VALU_DEP_1)
	v_and_or_b32 v12, 0x7f800000, v13, v12
	v_dual_cndmask_b32 v11, 0, v12 :: v_dual_mov_b32 v12, 0
	v_mov_b32_e32 v13, 0
	s_delay_alu instid0(VALU_DEP_2) | instskip(NEXT) | instid1(VALU_DEP_1)
	v_and_or_b32 v10, 0x80000000, v10, v11
	v_cvt_f64_f32_e32 v[10:11], v10
.LBB496_1493:
	s_mov_b32 s0, 0
.LBB496_1494:
	s_delay_alu instid0(SALU_CYCLE_1)
	s_and_not1_b32 vcc_lo, exec_lo, s0
	s_cbranch_vccnz .LBB496_1496
; %bb.1495:
	global_load_u8 v10, v[8:9], off
	s_waitcnt vmcnt(0)
	v_lshlrev_b32_e32 v11, 25, v10
	v_lshlrev_b16 v10, 8, v10
	s_delay_alu instid0(VALU_DEP_2) | instskip(NEXT) | instid1(VALU_DEP_2)
	v_lshrrev_b32_e32 v12, 4, v11
	v_and_or_b32 v13, 0x7f00, v10, 0.5
	v_bfe_i32 v10, v10, 0, 16
	s_delay_alu instid0(VALU_DEP_3) | instskip(NEXT) | instid1(VALU_DEP_1)
	v_or_b32_e32 v12, 0x70000000, v12
	v_dual_add_f32 v13, -0.5, v13 :: v_dual_mul_f32 v12, 0x7800000, v12
	v_cmp_gt_u32_e32 vcc_lo, 0x8000000, v11
	s_delay_alu instid0(VALU_DEP_2) | instskip(SKIP_1) | instid1(VALU_DEP_2)
	v_dual_cndmask_b32 v11, v12, v13 :: v_dual_mov_b32 v12, 0
	v_mov_b32_e32 v13, 0
	v_and_or_b32 v10, 0x80000000, v10, v11
	s_delay_alu instid0(VALU_DEP_1)
	v_cvt_f64_f32_e32 v[10:11], v10
.LBB496_1496:
	s_mov_b32 s0, 0
	s_mov_b32 s14, -1
.LBB496_1497:
	s_and_not1_b32 vcc_lo, exec_lo, s0
	s_mov_b32 s21, 0
	s_cbranch_vccnz .LBB496_1507
; %bb.1498:
	v_cmp_lt_i16_e32 vcc_lo, 14, v19
	s_cbranch_vccz .LBB496_1501
; %bb.1499:
	v_cmp_eq_u16_e32 vcc_lo, 15, v19
	s_cbranch_vccz .LBB496_1502
; %bb.1500:
	global_load_u16 v10, v[8:9], off
	s_mov_b32 s20, 0
	s_mov_b32 s14, -1
	s_mov_b64 s[0:1], 0
	s_waitcnt vmcnt(0)
	v_lshlrev_b32_e32 v10, 16, v10
	s_delay_alu instid0(VALU_DEP_1)
	v_cvt_f64_f32_e32 v[10:11], v10
	s_branch .LBB496_1503
.LBB496_1501:
	s_mov_b32 s15, -1
                                        ; implicit-def: $sgpr0_sgpr1
                                        ; implicit-def: $vgpr10_vgpr11
	s_branch .LBB496_1504
.LBB496_1502:
	s_mov_b32 s20, -1
                                        ; implicit-def: $sgpr0_sgpr1
                                        ; implicit-def: $vgpr10_vgpr11
.LBB496_1503:
	s_mov_b32 s15, 0
.LBB496_1504:
	s_delay_alu instid0(SALU_CYCLE_1)
	s_and_b32 vcc_lo, exec_lo, s15
	s_cbranch_vccz .LBB496_1506
; %bb.1505:
	v_cmp_ne_u16_e64 s20, 11, v19
	s_mov_b32 s21, -1
                                        ; implicit-def: $sgpr0_sgpr1
                                        ; implicit-def: $vgpr10_vgpr11
.LBB496_1506:
	v_dual_mov_b32 v13, s1 :: v_dual_mov_b32 v12, s0
.LBB496_1507:
	s_delay_alu instid0(VALU_DEP_2)
	s_and_b32 vcc_lo, exec_lo, s20
	s_cbranch_vccnz .LBB496_1531
; %bb.1508:
	s_and_not1_b32 vcc_lo, exec_lo, s21
	s_cbranch_vccnz .LBB496_1510
.LBB496_1509:
	global_load_u8 v10, v[8:9], off
	v_mov_b32_e32 v12, 0
	v_mov_b32_e32 v13, 0
	s_mov_b32 s14, -1
	s_waitcnt vmcnt(0)
	v_cmp_ne_u16_e32 vcc_lo, 0, v10
	v_mov_b32_e32 v10, 0
	v_cndmask_b32_e64 v11, 0, 0x3ff00000, vcc_lo
.LBB496_1510:
.LBB496_1511:
	s_and_not1_b32 vcc_lo, exec_lo, s14
	s_cbranch_vccnz .LBB496_1745
.LBB496_1512:
	v_dual_mov_b32 v8, s8 :: v_dual_mov_b32 v9, s9
	s_mov_b32 s0, exec_lo
	s_waitcnt vmcnt(0)
	s_delay_alu instid0(VALU_DEP_2)
	v_cmpx_o_f64_e32 v[10:11], v[10:11]
	s_cbranch_execz .LBB496_1516
; %bb.1513:
	v_dual_mov_b32 v8, s10 :: v_dual_mov_b32 v9, s11
	s_mov_b32 s1, exec_lo
	v_cmpx_neq_f64_e32 0x7ff00000, v[10:11]
; %bb.1514:
	v_cmp_eq_f64_e32 vcc_lo, 0xfff00000, v[10:11]
	v_cndmask_b32_e64 v9, v11, s13, vcc_lo
	v_cndmask_b32_e64 v8, v10, s12, vcc_lo
; %bb.1515:
	s_or_b32 exec_lo, exec_lo, s1
.LBB496_1516:
	s_delay_alu instid0(SALU_CYCLE_1) | instskip(SKIP_2) | instid1(VALU_DEP_4)
	s_or_b32 exec_lo, exec_lo, s0
	v_dual_mov_b32 v11, s9 :: v_dual_mov_b32 v10, s8
	s_mov_b32 s0, exec_lo
	v_cmpx_o_f64_e32 v[12:13], v[12:13]
	s_cbranch_execz .LBB496_1520
; %bb.1517:
	v_dual_mov_b32 v10, s10 :: v_dual_mov_b32 v11, s11
	s_mov_b32 s1, exec_lo
	v_cmpx_neq_f64_e32 0x7ff00000, v[12:13]
; %bb.1518:
	v_cmp_eq_f64_e32 vcc_lo, 0xfff00000, v[12:13]
	v_cndmask_b32_e64 v11, v13, s13, vcc_lo
	v_cndmask_b32_e64 v10, v12, s12, vcc_lo
; %bb.1519:
	s_or_b32 exec_lo, exec_lo, s1
.LBB496_1520:
	s_delay_alu instid0(SALU_CYCLE_1) | instskip(SKIP_2) | instid1(VALU_DEP_2)
	s_or_b32 exec_lo, exec_lo, s0
	v_add_nc_u32_e32 v12, s3, v14
	v_cmp_gt_i16_e32 vcc_lo, 11, v19
	v_ashrrev_i32_e32 v13, 31, v12
	v_add_co_u32 v12, s0, s6, v12
	s_delay_alu instid0(VALU_DEP_1)
	v_add_co_ci_u32_e64 v13, s0, s7, v13, s0
	s_cbranch_vccnz .LBB496_1527
; %bb.1521:
	v_cmp_lt_i16_e32 vcc_lo, 25, v19
	s_mov_b32 s14, 0
	s_cbranch_vccz .LBB496_1528
; %bb.1522:
	v_cmp_lt_i16_e32 vcc_lo, 28, v19
	s_cbranch_vccz .LBB496_1529
; %bb.1523:
	v_cmp_lt_i16_e32 vcc_lo, 43, v19
	;; [unrolled: 3-line block ×3, first 2 shown]
	s_cbranch_vccz .LBB496_1533
; %bb.1525:
	v_cmp_eq_u16_e32 vcc_lo, 46, v19
	s_mov_b32 s0, 0
	s_cbranch_vccz .LBB496_1536
; %bb.1526:
	global_load_b32 v14, v[12:13], off
	s_mov_b32 s3, 0
	s_mov_b32 s6, -1
	s_waitcnt vmcnt(0)
	v_lshlrev_b32_e32 v15, 16, v14
	v_and_b32_e32 v16, 0xffff0000, v14
	s_delay_alu instid0(VALU_DEP_2) | instskip(NEXT) | instid1(VALU_DEP_2)
	v_cvt_f64_f32_e32 v[14:15], v15
	v_cvt_f64_f32_e32 v[16:17], v16
	s_branch .LBB496_1538
.LBB496_1527:
	s_mov_b32 s0, -1
	s_mov_b32 s6, 0
                                        ; implicit-def: $vgpr16_vgpr17
	s_branch .LBB496_1607
.LBB496_1528:
	s_mov_b32 s0, -1
	s_mov_b32 s6, 0
	s_mov_b32 s3, 0
                                        ; implicit-def: $vgpr16_vgpr17
	s_branch .LBB496_1571
.LBB496_1529:
	s_mov_b32 s0, -1
	s_mov_b32 s6, 0
	s_mov_b32 s3, 0
                                        ; implicit-def: $vgpr16_vgpr17
	s_branch .LBB496_1550
.LBB496_1530:
	s_mov_b32 s0, -1
	s_mov_b32 s6, 0
	s_mov_b32 s3, 0
                                        ; implicit-def: $vgpr16_vgpr17
	s_branch .LBB496_1544
.LBB496_1531:
	s_cbranch_execnz .LBB496_1534
; %bb.1532:
	s_or_b32 s17, s17, exec_lo
                                        ; implicit-def: $vgpr12_vgpr13
	s_cbranch_execz .LBB496_1509
	s_branch .LBB496_1510
.LBB496_1533:
	s_mov_b32 s0, -1
	s_mov_b32 s6, 0
	s_mov_b32 s3, 0
	s_branch .LBB496_1537
.LBB496_1534:
	s_trap 2
	s_sendmsg_rtn_b32 s0, sendmsg(MSG_RTN_GET_DOORBELL)
	s_mov_b32 ttmp2, m0
	s_waitcnt lgkmcnt(0)
	s_and_b32 s0, s0, 0x3ff
	s_delay_alu instid0(SALU_CYCLE_1) | instskip(NEXT) | instid1(SALU_CYCLE_1)
	s_bitset1_b32 s0, 10
	s_mov_b32 m0, s0
	s_sendmsg sendmsg(MSG_INTERRUPT)
	s_mov_b32 m0, ttmp2
.LBB496_1535:                           ; =>This Inner Loop Header: Depth=1
	s_sethalt 5
	s_branch .LBB496_1535
.LBB496_1536:
	s_mov_b32 s3, -1
	s_mov_b32 s6, 0
.LBB496_1537:
                                        ; implicit-def: $vgpr16_vgpr17
.LBB496_1538:
	s_and_b32 vcc_lo, exec_lo, s0
	s_cbranch_vccz .LBB496_1543
; %bb.1539:
	v_cmp_eq_u16_e32 vcc_lo, 44, v19
	s_cbranch_vccz .LBB496_1541
; %bb.1540:
	global_load_u8 v16, v[12:13], off
	s_mov_b32 s3, 0
	s_mov_b32 s6, -1
	s_mov_b64 s[0:1], 0
	s_waitcnt vmcnt(0)
	v_cmp_ne_u32_e32 vcc_lo, 0xff, v16
	v_lshlrev_b32_e32 v14, 23, v16
	s_delay_alu instid0(VALU_DEP_1) | instskip(NEXT) | instid1(VALU_DEP_1)
	v_cvt_f64_f32_e32 v[14:15], v14
	v_cndmask_b32_e32 v15, 0x7ff80000, v15, vcc_lo
	s_delay_alu instid0(VALU_DEP_2) | instskip(SKIP_1) | instid1(VALU_DEP_3)
	v_cndmask_b32_e32 v14, 0x20000000, v14, vcc_lo
	v_cmp_ne_u32_e32 vcc_lo, 0, v16
	v_cndmask_b32_e32 v15, 0x38000000, v15, vcc_lo
	s_delay_alu instid0(VALU_DEP_3)
	v_cndmask_b32_e32 v14, 0, v14, vcc_lo
	s_branch .LBB496_1542
.LBB496_1541:
	s_mov_b32 s3, -1
                                        ; implicit-def: $sgpr0_sgpr1
                                        ; implicit-def: $vgpr14_vgpr15
.LBB496_1542:
	v_dual_mov_b32 v17, s1 :: v_dual_mov_b32 v16, s0
.LBB496_1543:
	s_mov_b32 s0, 0
.LBB496_1544:
	s_delay_alu instid0(SALU_CYCLE_1)
	s_and_b32 vcc_lo, exec_lo, s0
	s_cbranch_vccz .LBB496_1549
; %bb.1545:
	v_cmp_eq_u16_e32 vcc_lo, 29, v19
	s_cbranch_vccz .LBB496_1547
; %bb.1546:
	global_load_b64 v[14:15], v[12:13], off
	s_mov_b32 s3, 0
	s_mov_b32 s6, -1
	s_mov_b64 s[0:1], 0
	s_waitcnt vmcnt(0)
	v_cvt_f64_u32_e32 v[15:16], v15
	v_cvt_f64_u32_e32 v[20:21], v14
	s_delay_alu instid0(VALU_DEP_2) | instskip(NEXT) | instid1(VALU_DEP_1)
	v_ldexp_f64 v[15:16], v[15:16], 32
	v_add_f64 v[14:15], v[15:16], v[20:21]
	s_branch .LBB496_1548
.LBB496_1547:
	s_mov_b32 s3, -1
                                        ; implicit-def: $sgpr0_sgpr1
                                        ; implicit-def: $vgpr14_vgpr15
.LBB496_1548:
	v_dual_mov_b32 v17, s1 :: v_dual_mov_b32 v16, s0
.LBB496_1549:
	s_mov_b32 s0, 0
.LBB496_1550:
	s_delay_alu instid0(SALU_CYCLE_1)
	s_and_b32 vcc_lo, exec_lo, s0
	s_cbranch_vccz .LBB496_1570
; %bb.1551:
	v_cmp_gt_i16_e32 vcc_lo, 27, v19
	s_cbranch_vccnz .LBB496_1554
; %bb.1552:
	v_cmp_lt_i16_e32 vcc_lo, 27, v19
	s_cbranch_vccz .LBB496_1555
; %bb.1553:
	global_load_b32 v14, v[12:13], off
	s_mov_b32 s6, 0
	s_mov_b64 s[0:1], 0
	s_waitcnt vmcnt(0)
	v_cvt_f64_u32_e32 v[14:15], v14
	s_branch .LBB496_1556
.LBB496_1554:
	s_mov_b32 s6, -1
                                        ; implicit-def: $sgpr0_sgpr1
                                        ; implicit-def: $vgpr14_vgpr15
	s_branch .LBB496_1559
.LBB496_1555:
	s_mov_b32 s6, -1
                                        ; implicit-def: $sgpr0_sgpr1
                                        ; implicit-def: $vgpr14_vgpr15
.LBB496_1556:
	s_delay_alu instid0(SALU_CYCLE_1)
	s_and_not1_b32 vcc_lo, exec_lo, s6
	s_cbranch_vccnz .LBB496_1558
; %bb.1557:
	global_load_u16 v14, v[12:13], off
	s_mov_b64 s[0:1], 0
	s_waitcnt vmcnt(0)
	v_cvt_f64_u32_e32 v[14:15], v14
.LBB496_1558:
	s_mov_b32 s6, 0
.LBB496_1559:
	v_dual_mov_b32 v17, s1 :: v_dual_mov_b32 v16, s0
	s_and_not1_b32 vcc_lo, exec_lo, s6
	s_cbranch_vccnz .LBB496_1569
; %bb.1560:
	global_load_u8 v20, v[12:13], off
	s_mov_b32 s15, 0
	s_mov_b32 s20, exec_lo
                                        ; implicit-def: $sgpr0_sgpr1
                                        ; implicit-def: $sgpr6_sgpr7
	s_waitcnt vmcnt(0)
	v_cmpx_lt_i16_e32 0x7f, v20
	s_xor_b32 s20, exec_lo, s20
	s_cbranch_execz .LBB496_1564
; %bb.1561:
	s_mov_b32 s15, -1
	s_mov_b32 s21, exec_lo
                                        ; implicit-def: $sgpr0_sgpr1
                                        ; implicit-def: $sgpr6_sgpr7
	v_cmpx_eq_u16_e32 0x80, v20
; %bb.1562:
	s_mov_b64 s[0:1], 0
	s_mov_b32 s7, 0x7ff80000
	s_brev_b32 s6, 4
	s_xor_b32 s15, exec_lo, -1
; %bb.1563:
	s_or_b32 exec_lo, exec_lo, s21
	s_delay_alu instid0(SALU_CYCLE_1)
	s_and_b32 s15, s15, exec_lo
.LBB496_1564:
	s_or_saveexec_b32 s20, s20
	v_dual_mov_b32 v17, s1 :: v_dual_mov_b32 v16, s0
	v_dual_mov_b32 v15, s7 :: v_dual_mov_b32 v14, s6
	s_xor_b32 exec_lo, exec_lo, s20
; %bb.1565:
	v_mov_b32_e32 v16, 0
	v_mov_b32_e32 v17, 0
	v_cmp_ne_u16_e32 vcc_lo, 0, v20
	s_delay_alu instid0(VALU_DEP_3) | instskip(SKIP_1) | instid1(VALU_DEP_3)
	v_mov_b32_e32 v14, v16
	s_and_not1_b32 s0, s15, exec_lo
	v_mov_b32_e32 v15, v17
	s_and_b32 s1, vcc_lo, exec_lo
	s_delay_alu instid0(SALU_CYCLE_1)
	s_or_b32 s15, s0, s1
; %bb.1566:
	s_or_b32 exec_lo, exec_lo, s20
	s_and_saveexec_b32 s0, s15
	s_cbranch_execz .LBB496_1568
; %bb.1567:
	v_and_b32_e32 v14, 0xffff, v20
	v_lshlrev_b32_e32 v20, 24, v20
	s_delay_alu instid0(VALU_DEP_2) | instskip(NEXT) | instid1(VALU_DEP_1)
	v_and_b32_e32 v15, 7, v14
	v_clz_i32_u32_e32 v16, v15
	s_delay_alu instid0(VALU_DEP_1) | instskip(NEXT) | instid1(VALU_DEP_1)
	v_min_u32_e32 v16, 32, v16
	v_subrev_nc_u32_e32 v17, 28, v16
	v_sub_nc_u32_e32 v16, 29, v16
	s_delay_alu instid0(VALU_DEP_2) | instskip(SKIP_1) | instid1(VALU_DEP_2)
	v_lshlrev_b32_e32 v17, v17, v14
	v_bfe_u32 v14, v14, 3, 4
	v_and_b32_e32 v17, 7, v17
	s_delay_alu instid0(VALU_DEP_2) | instskip(NEXT) | instid1(VALU_DEP_2)
	v_cmp_eq_u32_e32 vcc_lo, 0, v14
	v_dual_cndmask_b32 v14, v14, v16 :: v_dual_cndmask_b32 v15, v15, v17
	v_and_b32_e32 v16, 0x80000000, v20
	s_delay_alu instid0(VALU_DEP_2) | instskip(NEXT) | instid1(VALU_DEP_3)
	v_lshl_add_u32 v14, v14, 23, 0x3b800000
	v_lshlrev_b32_e32 v15, 20, v15
	s_delay_alu instid0(VALU_DEP_1) | instskip(SKIP_2) | instid1(VALU_DEP_3)
	v_or3_b32 v14, v16, v14, v15
	v_mov_b32_e32 v16, 0
	v_mov_b32_e32 v17, 0
	v_cvt_f64_f32_e32 v[14:15], v14
.LBB496_1568:
	s_or_b32 exec_lo, exec_lo, s0
.LBB496_1569:
	s_mov_b32 s6, -1
.LBB496_1570:
	s_mov_b32 s0, 0
.LBB496_1571:
	s_delay_alu instid0(SALU_CYCLE_1)
	s_and_b32 vcc_lo, exec_lo, s0
	s_cbranch_vccz .LBB496_1603
; %bb.1572:
	v_cmp_lt_i16_e32 vcc_lo, 22, v19
	s_cbranch_vccz .LBB496_1584
; %bb.1573:
	v_cmp_gt_i16_e32 vcc_lo, 24, v19
	s_cbranch_vccnz .LBB496_1585
; %bb.1574:
	v_cmp_lt_i16_e32 vcc_lo, 24, v19
	s_cbranch_vccz .LBB496_1586
; %bb.1575:
	global_load_u8 v20, v[12:13], off
	s_mov_b32 s15, exec_lo
                                        ; implicit-def: $sgpr0_sgpr1
                                        ; implicit-def: $sgpr6_sgpr7
	s_waitcnt vmcnt(0)
	v_cmpx_lt_i16_e32 0x7f, v20
	s_xor_b32 s15, exec_lo, s15
	s_cbranch_execz .LBB496_1579
; %bb.1576:
	s_mov_b32 s14, -1
	s_mov_b32 s20, exec_lo
                                        ; implicit-def: $sgpr0_sgpr1
                                        ; implicit-def: $sgpr6_sgpr7
	v_cmpx_eq_u16_e32 0x80, v20
; %bb.1577:
	s_mov_b64 s[0:1], 0
	s_mov_b32 s7, 0x7ff80000
	s_brev_b32 s6, 4
	s_xor_b32 s14, exec_lo, -1
; %bb.1578:
	s_or_b32 exec_lo, exec_lo, s20
	s_delay_alu instid0(SALU_CYCLE_1)
	s_and_b32 s14, s14, exec_lo
.LBB496_1579:
	s_or_saveexec_b32 s15, s15
	v_dual_mov_b32 v17, s1 :: v_dual_mov_b32 v16, s0
	v_dual_mov_b32 v15, s7 :: v_dual_mov_b32 v14, s6
	s_xor_b32 exec_lo, exec_lo, s15
; %bb.1580:
	v_mov_b32_e32 v16, 0
	v_mov_b32_e32 v17, 0
	v_cmp_ne_u16_e32 vcc_lo, 0, v20
	s_delay_alu instid0(VALU_DEP_3) | instskip(SKIP_1) | instid1(VALU_DEP_3)
	v_mov_b32_e32 v14, v16
	s_and_not1_b32 s0, s14, exec_lo
	v_mov_b32_e32 v15, v17
	s_and_b32 s1, vcc_lo, exec_lo
	s_delay_alu instid0(SALU_CYCLE_1)
	s_or_b32 s14, s0, s1
; %bb.1581:
	s_or_b32 exec_lo, exec_lo, s15
	s_and_saveexec_b32 s0, s14
	s_cbranch_execz .LBB496_1583
; %bb.1582:
	v_and_b32_e32 v14, 0xffff, v20
	v_lshlrev_b32_e32 v20, 24, v20
	s_delay_alu instid0(VALU_DEP_2) | instskip(NEXT) | instid1(VALU_DEP_1)
	v_and_b32_e32 v15, 3, v14
	v_clz_i32_u32_e32 v16, v15
	s_delay_alu instid0(VALU_DEP_1) | instskip(NEXT) | instid1(VALU_DEP_1)
	v_min_u32_e32 v16, 32, v16
	v_subrev_nc_u32_e32 v17, 29, v16
	v_sub_nc_u32_e32 v16, 30, v16
	s_delay_alu instid0(VALU_DEP_2) | instskip(SKIP_1) | instid1(VALU_DEP_2)
	v_lshlrev_b32_e32 v17, v17, v14
	v_bfe_u32 v14, v14, 2, 5
	v_and_b32_e32 v17, 3, v17
	s_delay_alu instid0(VALU_DEP_2) | instskip(NEXT) | instid1(VALU_DEP_2)
	v_cmp_eq_u32_e32 vcc_lo, 0, v14
	v_dual_cndmask_b32 v14, v14, v16 :: v_dual_cndmask_b32 v15, v15, v17
	v_and_b32_e32 v16, 0x80000000, v20
	s_delay_alu instid0(VALU_DEP_2) | instskip(NEXT) | instid1(VALU_DEP_3)
	v_lshl_add_u32 v14, v14, 23, 0x37800000
	v_lshlrev_b32_e32 v15, 21, v15
	s_delay_alu instid0(VALU_DEP_1) | instskip(SKIP_2) | instid1(VALU_DEP_3)
	v_or3_b32 v14, v16, v14, v15
	v_mov_b32_e32 v16, 0
	v_mov_b32_e32 v17, 0
	v_cvt_f64_f32_e32 v[14:15], v14
.LBB496_1583:
	s_or_b32 exec_lo, exec_lo, s0
	s_mov_b32 s0, 0
	s_branch .LBB496_1587
.LBB496_1584:
	s_mov_b32 s0, -1
                                        ; implicit-def: $vgpr16_vgpr17
	s_branch .LBB496_1593
.LBB496_1585:
	s_mov_b32 s0, -1
                                        ; implicit-def: $vgpr16_vgpr17
	s_branch .LBB496_1590
.LBB496_1586:
	s_mov_b32 s0, -1
                                        ; implicit-def: $vgpr16_vgpr17
.LBB496_1587:
	s_delay_alu instid0(SALU_CYCLE_1)
	s_and_b32 vcc_lo, exec_lo, s0
	s_cbranch_vccz .LBB496_1589
; %bb.1588:
	global_load_u8 v14, v[12:13], off
	s_waitcnt vmcnt(0)
	v_lshlrev_b32_e32 v14, 24, v14
	s_delay_alu instid0(VALU_DEP_1) | instskip(NEXT) | instid1(VALU_DEP_1)
	v_and_b32_e32 v15, 0x7f000000, v14
	v_clz_i32_u32_e32 v16, v15
	v_add_nc_u32_e32 v20, 0x1000000, v15
	v_cmp_ne_u32_e32 vcc_lo, 0, v15
	s_delay_alu instid0(VALU_DEP_3) | instskip(NEXT) | instid1(VALU_DEP_1)
	v_min_u32_e32 v16, 32, v16
	v_sub_nc_u32_e64 v16, v16, 4 clamp
	s_delay_alu instid0(VALU_DEP_1) | instskip(SKIP_1) | instid1(VALU_DEP_2)
	v_lshlrev_b32_e32 v17, v16, v15
	v_lshlrev_b32_e32 v16, 23, v16
	v_lshrrev_b32_e32 v17, 4, v17
	s_delay_alu instid0(VALU_DEP_1) | instskip(SKIP_1) | instid1(VALU_DEP_2)
	v_sub_nc_u32_e32 v16, v17, v16
	v_ashrrev_i32_e32 v17, 8, v20
	v_add_nc_u32_e32 v16, 0x3c000000, v16
	s_delay_alu instid0(VALU_DEP_1) | instskip(NEXT) | instid1(VALU_DEP_1)
	v_and_or_b32 v16, 0x7f800000, v17, v16
	v_dual_cndmask_b32 v15, 0, v16 :: v_dual_mov_b32 v16, 0
	v_mov_b32_e32 v17, 0
	s_delay_alu instid0(VALU_DEP_2) | instskip(NEXT) | instid1(VALU_DEP_1)
	v_and_or_b32 v14, 0x80000000, v14, v15
	v_cvt_f64_f32_e32 v[14:15], v14
.LBB496_1589:
	s_mov_b32 s0, 0
.LBB496_1590:
	s_delay_alu instid0(SALU_CYCLE_1)
	s_and_not1_b32 vcc_lo, exec_lo, s0
	s_cbranch_vccnz .LBB496_1592
; %bb.1591:
	global_load_u8 v14, v[12:13], off
	s_waitcnt vmcnt(0)
	v_lshlrev_b32_e32 v15, 25, v14
	v_lshlrev_b16 v14, 8, v14
	s_delay_alu instid0(VALU_DEP_2) | instskip(NEXT) | instid1(VALU_DEP_2)
	v_lshrrev_b32_e32 v16, 4, v15
	v_and_or_b32 v17, 0x7f00, v14, 0.5
	v_bfe_i32 v14, v14, 0, 16
	s_delay_alu instid0(VALU_DEP_3) | instskip(NEXT) | instid1(VALU_DEP_1)
	v_or_b32_e32 v16, 0x70000000, v16
	v_dual_add_f32 v17, -0.5, v17 :: v_dual_mul_f32 v16, 0x7800000, v16
	v_cmp_gt_u32_e32 vcc_lo, 0x8000000, v15
	s_delay_alu instid0(VALU_DEP_2) | instskip(SKIP_1) | instid1(VALU_DEP_2)
	v_dual_cndmask_b32 v15, v16, v17 :: v_dual_mov_b32 v16, 0
	v_mov_b32_e32 v17, 0
	v_and_or_b32 v14, 0x80000000, v14, v15
	s_delay_alu instid0(VALU_DEP_1)
	v_cvt_f64_f32_e32 v[14:15], v14
.LBB496_1592:
	s_mov_b32 s0, 0
	s_mov_b32 s6, -1
.LBB496_1593:
	s_and_not1_b32 vcc_lo, exec_lo, s0
	s_mov_b32 s14, 0
	s_cbranch_vccnz .LBB496_1603
; %bb.1594:
	v_cmp_lt_i16_e32 vcc_lo, 14, v19
	s_cbranch_vccz .LBB496_1597
; %bb.1595:
	v_cmp_eq_u16_e32 vcc_lo, 15, v19
	s_cbranch_vccz .LBB496_1598
; %bb.1596:
	global_load_u16 v14, v[12:13], off
	s_mov_b32 s3, 0
	s_mov_b32 s6, -1
	s_mov_b64 s[0:1], 0
	s_waitcnt vmcnt(0)
	v_lshlrev_b32_e32 v14, 16, v14
	s_delay_alu instid0(VALU_DEP_1)
	v_cvt_f64_f32_e32 v[14:15], v14
	s_branch .LBB496_1599
.LBB496_1597:
	s_mov_b32 s7, -1
                                        ; implicit-def: $sgpr0_sgpr1
                                        ; implicit-def: $vgpr14_vgpr15
	s_branch .LBB496_1600
.LBB496_1598:
	s_mov_b32 s3, -1
                                        ; implicit-def: $sgpr0_sgpr1
                                        ; implicit-def: $vgpr14_vgpr15
.LBB496_1599:
	s_mov_b32 s7, 0
.LBB496_1600:
	s_delay_alu instid0(SALU_CYCLE_1)
	s_and_b32 vcc_lo, exec_lo, s7
	s_cbranch_vccz .LBB496_1602
; %bb.1601:
	v_cmp_ne_u16_e64 s3, 11, v19
	s_mov_b32 s14, -1
                                        ; implicit-def: $sgpr0_sgpr1
                                        ; implicit-def: $vgpr14_vgpr15
.LBB496_1602:
	v_dual_mov_b32 v17, s1 :: v_dual_mov_b32 v16, s0
.LBB496_1603:
	s_delay_alu instid0(VALU_DEP_2)
	s_and_b32 vcc_lo, exec_lo, s3
	s_cbranch_vccnz .LBB496_2147
; %bb.1604:
	s_and_not1_b32 vcc_lo, exec_lo, s14
	s_cbranch_vccnz .LBB496_1606
.LBB496_1605:
	global_load_u8 v14, v[12:13], off
	v_mov_b32_e32 v16, 0
	v_mov_b32_e32 v17, 0
	s_mov_b32 s6, -1
	s_waitcnt vmcnt(0)
	v_cmp_ne_u16_e32 vcc_lo, 0, v14
	v_mov_b32_e32 v14, 0
	v_cndmask_b32_e64 v15, 0, 0x3ff00000, vcc_lo
.LBB496_1606:
	s_mov_b32 s0, 0
.LBB496_1607:
	s_delay_alu instid0(SALU_CYCLE_1)
	s_and_b32 vcc_lo, exec_lo, s0
	s_cbranch_vccz .LBB496_1658
; %bb.1608:
	v_cmp_gt_i16_e32 vcc_lo, 5, v19
	s_cbranch_vccnz .LBB496_1613
; %bb.1609:
	v_cmp_gt_i16_e32 vcc_lo, 8, v19
	s_cbranch_vccnz .LBB496_1614
	;; [unrolled: 3-line block ×3, first 2 shown]
; %bb.1611:
	v_cmp_lt_i16_e32 vcc_lo, 9, v19
	s_cbranch_vccz .LBB496_1616
; %bb.1612:
	global_load_b128 v[14:17], v[12:13], off
	s_mov_b32 s0, 0
	s_branch .LBB496_1617
.LBB496_1613:
	s_mov_b32 s0, -1
                                        ; implicit-def: $vgpr16_vgpr17
	s_branch .LBB496_1636
.LBB496_1614:
	s_mov_b32 s0, -1
                                        ; implicit-def: $vgpr16_vgpr17
	s_branch .LBB496_1623
.LBB496_1615:
	s_mov_b32 s0, -1
                                        ; implicit-def: $vgpr16_vgpr17
	s_branch .LBB496_1620
.LBB496_1616:
	s_mov_b32 s0, -1
                                        ; implicit-def: $vgpr16_vgpr17
.LBB496_1617:
	s_delay_alu instid0(SALU_CYCLE_1)
	s_and_not1_b32 vcc_lo, exec_lo, s0
	s_cbranch_vccnz .LBB496_1619
; %bb.1618:
	global_load_b64 v[15:16], v[12:13], off
	s_waitcnt vmcnt(0)
	v_cvt_f64_f32_e32 v[14:15], v15
	v_cvt_f64_f32_e32 v[16:17], v16
.LBB496_1619:
	s_mov_b32 s0, 0
.LBB496_1620:
	s_delay_alu instid0(SALU_CYCLE_1)
	s_and_not1_b32 vcc_lo, exec_lo, s0
	s_cbranch_vccnz .LBB496_1622
; %bb.1621:
	global_load_b32 v14, v[12:13], off
	s_waitcnt vmcnt(0)
	v_lshrrev_b32_e32 v15, 16, v14
	v_cvt_f32_f16_e32 v14, v14
	s_delay_alu instid0(VALU_DEP_2) | instskip(NEXT) | instid1(VALU_DEP_2)
	v_cvt_f32_f16_e32 v16, v15
	v_cvt_f64_f32_e32 v[14:15], v14
	s_delay_alu instid0(VALU_DEP_2)
	v_cvt_f64_f32_e32 v[16:17], v16
.LBB496_1622:
	s_mov_b32 s0, 0
.LBB496_1623:
	s_delay_alu instid0(SALU_CYCLE_1)
	s_and_not1_b32 vcc_lo, exec_lo, s0
	s_cbranch_vccnz .LBB496_1635
; %bb.1624:
	v_cmp_gt_i16_e32 vcc_lo, 6, v19
	s_cbranch_vccnz .LBB496_1627
; %bb.1625:
	v_cmp_lt_i16_e32 vcc_lo, 6, v19
	s_cbranch_vccz .LBB496_1628
; %bb.1626:
	global_load_b64 v[14:15], v[12:13], off
	s_mov_b32 s3, 0
	s_mov_b64 s[0:1], 0
	s_branch .LBB496_1629
.LBB496_1627:
	s_mov_b32 s3, -1
                                        ; implicit-def: $sgpr0_sgpr1
                                        ; implicit-def: $vgpr14_vgpr15
	s_branch .LBB496_1632
.LBB496_1628:
	s_mov_b32 s3, -1
                                        ; implicit-def: $sgpr0_sgpr1
                                        ; implicit-def: $vgpr14_vgpr15
.LBB496_1629:
	s_delay_alu instid0(SALU_CYCLE_1)
	s_and_not1_b32 vcc_lo, exec_lo, s3
	s_cbranch_vccnz .LBB496_1631
; %bb.1630:
	global_load_b32 v14, v[12:13], off
	s_mov_b64 s[0:1], 0
	s_waitcnt vmcnt(0)
	v_cvt_f64_f32_e32 v[14:15], v14
.LBB496_1631:
	s_mov_b32 s3, 0
.LBB496_1632:
	s_delay_alu instid0(SALU_CYCLE_1)
	s_and_not1_b32 vcc_lo, exec_lo, s3
	s_cbranch_vccnz .LBB496_1634
; %bb.1633:
	global_load_u16 v14, v[12:13], off
	s_mov_b64 s[0:1], 0
	s_waitcnt vmcnt(0)
	v_cvt_f32_f16_e32 v14, v14
	s_delay_alu instid0(VALU_DEP_1)
	v_cvt_f64_f32_e32 v[14:15], v14
.LBB496_1634:
	s_waitcnt vmcnt(0)
	v_dual_mov_b32 v17, s1 :: v_dual_mov_b32 v16, s0
.LBB496_1635:
	s_mov_b32 s0, 0
.LBB496_1636:
	s_delay_alu instid0(SALU_CYCLE_1)
	s_and_not1_b32 vcc_lo, exec_lo, s0
	s_cbranch_vccnz .LBB496_1657
; %bb.1637:
	v_cmp_gt_i16_e32 vcc_lo, 2, v19
	s_cbranch_vccnz .LBB496_1641
; %bb.1638:
	v_cmp_gt_i16_e32 vcc_lo, 3, v19
	s_cbranch_vccnz .LBB496_1642
; %bb.1639:
	v_cmp_lt_i16_e32 vcc_lo, 3, v19
	s_cbranch_vccz .LBB496_1643
; %bb.1640:
	global_load_b64 v[14:15], v[12:13], off
	s_mov_b32 s3, 0
	s_mov_b64 s[0:1], 0
	s_waitcnt vmcnt(0)
	v_cvt_f64_i32_e32 v[15:16], v15
	v_cvt_f64_u32_e32 v[20:21], v14
	s_delay_alu instid0(VALU_DEP_2) | instskip(NEXT) | instid1(VALU_DEP_1)
	v_ldexp_f64 v[15:16], v[15:16], 32
	v_add_f64 v[14:15], v[15:16], v[20:21]
	s_branch .LBB496_1644
.LBB496_1641:
	s_mov_b32 s3, -1
                                        ; implicit-def: $sgpr0_sgpr1
                                        ; implicit-def: $vgpr14_vgpr15
	s_branch .LBB496_1650
.LBB496_1642:
	s_mov_b32 s3, -1
                                        ; implicit-def: $sgpr0_sgpr1
                                        ; implicit-def: $vgpr14_vgpr15
	s_branch .LBB496_1647
.LBB496_1643:
	s_mov_b32 s3, -1
                                        ; implicit-def: $sgpr0_sgpr1
                                        ; implicit-def: $vgpr14_vgpr15
.LBB496_1644:
	s_delay_alu instid0(SALU_CYCLE_1)
	s_and_not1_b32 vcc_lo, exec_lo, s3
	s_cbranch_vccnz .LBB496_1646
; %bb.1645:
	global_load_b32 v14, v[12:13], off
	s_mov_b64 s[0:1], 0
	s_waitcnt vmcnt(0)
	v_cvt_f64_i32_e32 v[14:15], v14
.LBB496_1646:
	s_mov_b32 s3, 0
.LBB496_1647:
	s_delay_alu instid0(SALU_CYCLE_1)
	s_and_not1_b32 vcc_lo, exec_lo, s3
	s_cbranch_vccnz .LBB496_1649
; %bb.1648:
	global_load_i16 v14, v[12:13], off
	s_mov_b64 s[0:1], 0
	s_waitcnt vmcnt(0)
	v_cvt_f64_i32_e32 v[14:15], v14
.LBB496_1649:
	s_mov_b32 s3, 0
.LBB496_1650:
	s_delay_alu instid0(SALU_CYCLE_1)
	s_and_not1_b32 vcc_lo, exec_lo, s3
	s_cbranch_vccnz .LBB496_1656
; %bb.1651:
	v_cmp_lt_i16_e32 vcc_lo, 0, v19
	s_mov_b32 s3, 0
	s_cbranch_vccz .LBB496_1653
; %bb.1652:
	global_load_i8 v14, v[12:13], off
	s_mov_b64 s[0:1], 0
	s_waitcnt vmcnt(0)
	v_cvt_f64_i32_e32 v[14:15], v14
	s_branch .LBB496_1654
.LBB496_1653:
	s_mov_b32 s3, -1
                                        ; implicit-def: $sgpr0_sgpr1
                                        ; implicit-def: $vgpr14_vgpr15
.LBB496_1654:
	s_delay_alu instid0(SALU_CYCLE_1)
	s_and_not1_b32 vcc_lo, exec_lo, s3
	s_cbranch_vccnz .LBB496_1656
; %bb.1655:
	global_load_u8 v12, v[12:13], off
	s_mov_b64 s[0:1], 0
	s_waitcnt vmcnt(0)
	v_cvt_f64_u32_e32 v[14:15], v12
.LBB496_1656:
	s_waitcnt vmcnt(0)
	v_dual_mov_b32 v17, s1 :: v_dual_mov_b32 v16, s0
.LBB496_1657:
	s_mov_b32 s6, -1
.LBB496_1658:
	s_delay_alu instid0(SALU_CYCLE_1)
	s_and_not1_b32 vcc_lo, exec_lo, s6
	s_cbranch_vccnz .LBB496_1745
; %bb.1659:
	v_dual_mov_b32 v13, s9 :: v_dual_mov_b32 v12, s8
	s_mov_b32 s0, exec_lo
	s_waitcnt vmcnt(0)
	s_delay_alu instid0(VALU_DEP_2)
	v_cmpx_o_f64_e32 v[14:15], v[14:15]
	s_cbranch_execz .LBB496_1663
; %bb.1660:
	v_dual_mov_b32 v13, s11 :: v_dual_mov_b32 v12, s10
	s_mov_b32 s1, exec_lo
	v_cmpx_neq_f64_e32 0x7ff00000, v[14:15]
; %bb.1661:
	v_cmp_eq_f64_e32 vcc_lo, 0xfff00000, v[14:15]
	v_cndmask_b32_e64 v13, v15, s13, vcc_lo
	v_cndmask_b32_e64 v12, v14, s12, vcc_lo
; %bb.1662:
	s_or_b32 exec_lo, exec_lo, s1
.LBB496_1663:
	s_delay_alu instid0(SALU_CYCLE_1) | instskip(SKIP_2) | instid1(VALU_DEP_4)
	s_or_b32 exec_lo, exec_lo, s0
	v_dual_mov_b32 v15, s9 :: v_dual_mov_b32 v14, s8
	s_mov_b32 s0, exec_lo
	v_cmpx_o_f64_e32 v[16:17], v[16:17]
	s_cbranch_execz .LBB496_1667
; %bb.1664:
	v_dual_mov_b32 v15, s11 :: v_dual_mov_b32 v14, s10
	s_mov_b32 s1, exec_lo
	v_cmpx_neq_f64_e32 0x7ff00000, v[16:17]
; %bb.1665:
	v_cmp_eq_f64_e32 vcc_lo, 0xfff00000, v[16:17]
	v_cndmask_b32_e64 v15, v17, s13, vcc_lo
	v_cndmask_b32_e64 v14, v16, s12, vcc_lo
; %bb.1666:
	s_or_b32 exec_lo, exec_lo, s1
.LBB496_1667:
	s_delay_alu instid0(SALU_CYCLE_1) | instskip(SKIP_2) | instid1(VALU_DEP_1)
	s_or_b32 exec_lo, exec_lo, s0
	v_mul_lo_u32 v18, s2, v18
	v_and_b32_e64 v20, 0xff, s16
	v_cmp_gt_i16_e32 vcc_lo, 11, v20
	s_delay_alu instid0(VALU_DEP_3) | instskip(SKIP_1) | instid1(VALU_DEP_1)
	v_ashrrev_i32_e32 v17, 31, v18
	v_add_co_u32 v16, s0, s4, v18
	v_add_co_ci_u32_e64 v17, s0, s5, v17, s0
	s_cbranch_vccnz .LBB496_1790
; %bb.1668:
	v_cmp_lt_i16_e32 vcc_lo, 25, v20
	s_mov_b32 s6, -1
	s_mov_b32 s1, 0
	s_mov_b32 s3, 0
	s_mov_b32 s0, 0
	s_cbranch_vccz .LBB496_1701
; %bb.1669:
	v_cmp_lt_i16_e32 vcc_lo, 28, v20
	s_cbranch_vccz .LBB496_1684
; %bb.1670:
	v_cmp_lt_i16_e32 vcc_lo, 43, v20
	;; [unrolled: 3-line block ×3, first 2 shown]
	s_cbranch_vccz .LBB496_1674
; %bb.1672:
	v_cmp_eq_u16_e32 vcc_lo, 46, v20
	s_mov_b32 s0, -1
	s_mov_b32 s6, 0
	s_cbranch_vccz .LBB496_1674
; %bb.1673:
	v_cvt_f32_f64_e32 v19, v[2:3]
	v_cvt_f32_f64_e32 v21, v[0:1]
	s_mov_b32 s0, 0
	s_mov_b32 s3, -1
	s_delay_alu instid0(VALU_DEP_2) | instskip(NEXT) | instid1(VALU_DEP_2)
	v_bfe_u32 v22, v19, 16, 1
	v_bfe_u32 v23, v21, 16, 1
	v_cmp_o_f32_e32 vcc_lo, v19, v19
	s_delay_alu instid0(VALU_DEP_3) | instskip(NEXT) | instid1(VALU_DEP_3)
	v_add3_u32 v22, v19, v22, 0x7fff
	v_add3_u32 v23, v21, v23, 0x7fff
	s_delay_alu instid0(VALU_DEP_2) | instskip(NEXT) | instid1(VALU_DEP_2)
	v_and_b32_e32 v22, 0xffff0000, v22
	v_lshrrev_b32_e32 v23, 16, v23
	s_delay_alu instid0(VALU_DEP_2) | instskip(SKIP_1) | instid1(VALU_DEP_3)
	v_cndmask_b32_e32 v19, 0x7fc00000, v22, vcc_lo
	v_cmp_o_f32_e32 vcc_lo, v21, v21
	v_cndmask_b32_e32 v21, 0x7fc0, v23, vcc_lo
	s_delay_alu instid0(VALU_DEP_1)
	v_or_b32_e32 v19, v19, v21
	global_store_b32 v[16:17], v19, off
.LBB496_1674:
	s_and_b32 vcc_lo, exec_lo, s6
	s_cbranch_vccz .LBB496_1679
; %bb.1675:
	v_cmp_eq_u16_e32 vcc_lo, 44, v20
	s_mov_b32 s0, -1
	s_cbranch_vccz .LBB496_1679
; %bb.1676:
	v_cvt_f32_f64_e32 v19, v[0:1]
	v_mov_b32_e32 v21, 0xff
	s_mov_b32 s3, exec_lo
	s_delay_alu instid0(VALU_DEP_2) | instskip(NEXT) | instid1(VALU_DEP_1)
	v_bfe_u32 v22, v19, 23, 8
	v_cmpx_ne_u32_e32 0xff, v22
; %bb.1677:
	v_and_b32_e32 v21, 0x400000, v19
	v_and_or_b32 v22, 0x3fffff, v19, v22
	v_lshrrev_b32_e32 v19, 23, v19
	s_delay_alu instid0(VALU_DEP_3) | instskip(NEXT) | instid1(VALU_DEP_3)
	v_cmp_ne_u32_e32 vcc_lo, 0, v21
	v_cmp_ne_u32_e64 s0, 0, v22
	s_delay_alu instid0(VALU_DEP_1) | instskip(NEXT) | instid1(SALU_CYCLE_1)
	s_and_b32 s0, vcc_lo, s0
	v_cndmask_b32_e64 v21, 0, 1, s0
	s_delay_alu instid0(VALU_DEP_1)
	v_add_nc_u32_e32 v21, v19, v21
; %bb.1678:
	s_or_b32 exec_lo, exec_lo, s3
	s_mov_b32 s0, 0
	s_mov_b32 s3, -1
	global_store_b8 v[16:17], v21, off
.LBB496_1679:
	s_mov_b32 s6, 0
.LBB496_1680:
	s_delay_alu instid0(SALU_CYCLE_1)
	s_and_b32 vcc_lo, exec_lo, s6
	s_cbranch_vccz .LBB496_1683
; %bb.1681:
	v_cmp_eq_u16_e32 vcc_lo, 29, v20
	s_mov_b32 s0, -1
	s_cbranch_vccz .LBB496_1683
; %bb.1682:
	v_trunc_f64_e32 v[21:22], v[0:1]
	s_mov_b32 s0, 0
	s_mov_b32 s3, -1
	s_delay_alu instid0(VALU_DEP_1) | instskip(NEXT) | instid1(VALU_DEP_1)
	v_ldexp_f64 v[23:24], v[21:22], 0xffffffe0
	v_floor_f64_e32 v[23:24], v[23:24]
	s_delay_alu instid0(VALU_DEP_1) | instskip(SKIP_1) | instid1(VALU_DEP_2)
	v_fma_f64 v[21:22], 0xc1f00000, v[23:24], v[21:22]
	v_cvt_u32_f64_e32 v23, v[23:24]
	v_cvt_u32_f64_e32 v22, v[21:22]
	global_store_b64 v[16:17], v[22:23], off
.LBB496_1683:
	s_mov_b32 s6, 0
.LBB496_1684:
	s_delay_alu instid0(SALU_CYCLE_1)
	s_and_b32 vcc_lo, exec_lo, s6
	s_cbranch_vccz .LBB496_1700
; %bb.1685:
	v_cmp_gt_i16_e32 vcc_lo, 27, v20
	s_mov_b32 s3, -1
	s_cbranch_vccnz .LBB496_1691
; %bb.1686:
	v_cvt_u32_f64_e32 v19, v[0:1]
	v_cmp_lt_i16_e32 vcc_lo, 27, v20
	s_cbranch_vccz .LBB496_1688
; %bb.1687:
	s_mov_b32 s3, 0
	global_store_b32 v[16:17], v19, off
.LBB496_1688:
	s_and_not1_b32 vcc_lo, exec_lo, s3
	s_cbranch_vccnz .LBB496_1690
; %bb.1689:
	global_store_b16 v[16:17], v19, off
.LBB496_1690:
	s_mov_b32 s3, 0
.LBB496_1691:
	s_delay_alu instid0(SALU_CYCLE_1)
	s_and_not1_b32 vcc_lo, exec_lo, s3
	s_cbranch_vccnz .LBB496_1699
; %bb.1692:
	v_cvt_f32_f64_e32 v19, v[0:1]
	v_mov_b32_e32 v22, 0x80
	s_mov_b32 s3, exec_lo
	s_delay_alu instid0(VALU_DEP_2) | instskip(NEXT) | instid1(VALU_DEP_1)
	v_and_b32_e32 v21, 0x7fffffff, v19
	v_cmpx_gt_u32_e32 0x43800000, v21
	s_cbranch_execz .LBB496_1698
; %bb.1693:
	v_cmp_lt_u32_e32 vcc_lo, 0x3bffffff, v21
	s_mov_b32 s6, 0
                                        ; implicit-def: $vgpr21
	s_and_saveexec_b32 s7, vcc_lo
	s_delay_alu instid0(SALU_CYCLE_1)
	s_xor_b32 s7, exec_lo, s7
	s_cbranch_execz .LBB496_2149
; %bb.1694:
	v_bfe_u32 v21, v19, 20, 1
	s_mov_b32 s6, exec_lo
	s_delay_alu instid0(VALU_DEP_1) | instskip(NEXT) | instid1(VALU_DEP_1)
	v_add3_u32 v21, v19, v21, 0x487ffff
	v_lshrrev_b32_e32 v21, 20, v21
	s_or_saveexec_b32 s7, s7
                                        ; implicit-def: $sgpr8
	s_delay_alu instid0(SALU_CYCLE_1)
	s_xor_b32 exec_lo, exec_lo, s7
	s_cbranch_execnz .LBB496_2150
.LBB496_1695:
	s_or_b32 exec_lo, exec_lo, s7
	v_mov_b32_e32 v22, s8
	s_and_saveexec_b32 s7, s6
.LBB496_1696:
	v_lshrrev_b32_e32 v19, 24, v19
	s_delay_alu instid0(VALU_DEP_1)
	v_and_or_b32 v22, 0x80, v19, v21
.LBB496_1697:
	s_or_b32 exec_lo, exec_lo, s7
.LBB496_1698:
	s_delay_alu instid0(SALU_CYCLE_1)
	s_or_b32 exec_lo, exec_lo, s3
	global_store_b8 v[16:17], v22, off
.LBB496_1699:
	s_mov_b32 s3, -1
.LBB496_1700:
	s_mov_b32 s6, 0
.LBB496_1701:
	s_delay_alu instid0(SALU_CYCLE_1)
	s_and_b32 vcc_lo, exec_lo, s6
	s_cbranch_vccz .LBB496_1741
; %bb.1702:
	v_cmp_lt_i16_e32 vcc_lo, 22, v20
	s_mov_b32 s1, -1
	s_cbranch_vccz .LBB496_1734
; %bb.1703:
	v_cmp_gt_i16_e32 vcc_lo, 24, v20
	s_cbranch_vccnz .LBB496_1723
; %bb.1704:
	v_cmp_lt_i16_e32 vcc_lo, 24, v20
	s_cbranch_vccz .LBB496_1712
; %bb.1705:
	v_cvt_f32_f64_e32 v19, v[0:1]
	v_mov_b32_e32 v22, 0x80
	s_mov_b32 s1, exec_lo
	s_delay_alu instid0(VALU_DEP_2) | instskip(NEXT) | instid1(VALU_DEP_1)
	v_and_b32_e32 v21, 0x7fffffff, v19
	v_cmpx_gt_u32_e32 0x47800000, v21
	s_cbranch_execz .LBB496_1711
; %bb.1706:
	v_cmp_lt_u32_e32 vcc_lo, 0x37ffffff, v21
	s_mov_b32 s3, 0
                                        ; implicit-def: $vgpr21
	s_and_saveexec_b32 s6, vcc_lo
	s_delay_alu instid0(SALU_CYCLE_1)
	s_xor_b32 s6, exec_lo, s6
	s_cbranch_execz .LBB496_2155
; %bb.1707:
	v_bfe_u32 v21, v19, 21, 1
	s_mov_b32 s3, exec_lo
	s_delay_alu instid0(VALU_DEP_1) | instskip(NEXT) | instid1(VALU_DEP_1)
	v_add3_u32 v21, v19, v21, 0x88fffff
	v_lshrrev_b32_e32 v21, 21, v21
	s_or_saveexec_b32 s6, s6
                                        ; implicit-def: $sgpr7
	s_delay_alu instid0(SALU_CYCLE_1)
	s_xor_b32 exec_lo, exec_lo, s6
	s_cbranch_execnz .LBB496_2156
.LBB496_1708:
	s_or_b32 exec_lo, exec_lo, s6
	v_mov_b32_e32 v22, s7
	s_and_saveexec_b32 s6, s3
.LBB496_1709:
	v_lshrrev_b32_e32 v19, 24, v19
	s_delay_alu instid0(VALU_DEP_1)
	v_and_or_b32 v22, 0x80, v19, v21
.LBB496_1710:
	s_or_b32 exec_lo, exec_lo, s6
.LBB496_1711:
	s_delay_alu instid0(SALU_CYCLE_1)
	s_or_b32 exec_lo, exec_lo, s1
	s_mov_b32 s1, 0
	global_store_b8 v[16:17], v22, off
.LBB496_1712:
	s_and_b32 vcc_lo, exec_lo, s1
	s_cbranch_vccz .LBB496_1722
; %bb.1713:
	v_cvt_f32_f64_e32 v19, v[0:1]
	s_mov_b32 s1, exec_lo
                                        ; implicit-def: $vgpr21
	s_delay_alu instid0(VALU_DEP_1) | instskip(NEXT) | instid1(VALU_DEP_1)
	v_and_b32_e32 v22, 0x7fffffff, v19
	v_cmpx_gt_u32_e32 0x43f00000, v22
	s_xor_b32 s1, exec_lo, s1
	s_cbranch_execz .LBB496_1719
; %bb.1714:
	s_mov_b32 s3, exec_lo
                                        ; implicit-def: $vgpr21
	v_cmpx_lt_u32_e32 0x3c7fffff, v22
	s_xor_b32 s3, exec_lo, s3
; %bb.1715:
	v_bfe_u32 v21, v19, 20, 1
	s_delay_alu instid0(VALU_DEP_1) | instskip(NEXT) | instid1(VALU_DEP_1)
	v_add3_u32 v21, v19, v21, 0x407ffff
	v_and_b32_e32 v22, 0xff00000, v21
	v_lshrrev_b32_e32 v21, 20, v21
	s_delay_alu instid0(VALU_DEP_2) | instskip(NEXT) | instid1(VALU_DEP_2)
	v_cmp_ne_u32_e32 vcc_lo, 0x7f00000, v22
	v_cndmask_b32_e32 v21, 0x7e, v21, vcc_lo
; %bb.1716:
	s_and_not1_saveexec_b32 s3, s3
; %bb.1717:
	v_add_f32_e64 v21, 0x46800000, |v19|
; %bb.1718:
	s_or_b32 exec_lo, exec_lo, s3
                                        ; implicit-def: $vgpr22
.LBB496_1719:
	s_and_not1_saveexec_b32 s1, s1
; %bb.1720:
	v_mov_b32_e32 v21, 0x7f
	v_cmp_lt_u32_e32 vcc_lo, 0x7f800000, v22
	s_delay_alu instid0(VALU_DEP_2)
	v_cndmask_b32_e32 v21, 0x7e, v21, vcc_lo
; %bb.1721:
	s_or_b32 exec_lo, exec_lo, s1
	v_lshrrev_b32_e32 v19, 24, v19
	s_delay_alu instid0(VALU_DEP_1)
	v_and_or_b32 v19, 0x80, v19, v21
	global_store_b8 v[16:17], v19, off
.LBB496_1722:
	s_mov_b32 s1, 0
.LBB496_1723:
	s_delay_alu instid0(SALU_CYCLE_1)
	s_and_not1_b32 vcc_lo, exec_lo, s1
	s_cbranch_vccnz .LBB496_1733
; %bb.1724:
	v_cvt_f32_f64_e32 v19, v[0:1]
	s_mov_b32 s1, exec_lo
                                        ; implicit-def: $vgpr21
	s_delay_alu instid0(VALU_DEP_1) | instskip(NEXT) | instid1(VALU_DEP_1)
	v_and_b32_e32 v22, 0x7fffffff, v19
	v_cmpx_gt_u32_e32 0x47800000, v22
	s_xor_b32 s1, exec_lo, s1
	s_cbranch_execz .LBB496_1730
; %bb.1725:
	s_mov_b32 s3, exec_lo
                                        ; implicit-def: $vgpr21
	v_cmpx_lt_u32_e32 0x387fffff, v22
	s_xor_b32 s3, exec_lo, s3
; %bb.1726:
	v_bfe_u32 v21, v19, 21, 1
	s_delay_alu instid0(VALU_DEP_1) | instskip(NEXT) | instid1(VALU_DEP_1)
	v_add3_u32 v21, v19, v21, 0x80fffff
	v_lshrrev_b32_e32 v21, 21, v21
; %bb.1727:
	s_and_not1_saveexec_b32 s3, s3
; %bb.1728:
	v_add_f32_e64 v21, 0x43000000, |v19|
; %bb.1729:
	s_or_b32 exec_lo, exec_lo, s3
                                        ; implicit-def: $vgpr22
.LBB496_1730:
	s_and_not1_saveexec_b32 s1, s1
; %bb.1731:
	v_mov_b32_e32 v21, 0x7f
	v_cmp_lt_u32_e32 vcc_lo, 0x7f800000, v22
	s_delay_alu instid0(VALU_DEP_2)
	v_cndmask_b32_e32 v21, 0x7c, v21, vcc_lo
; %bb.1732:
	s_or_b32 exec_lo, exec_lo, s1
	v_lshrrev_b32_e32 v19, 24, v19
	s_delay_alu instid0(VALU_DEP_1)
	v_and_or_b32 v19, 0x80, v19, v21
	global_store_b8 v[16:17], v19, off
.LBB496_1733:
	s_mov_b32 s1, 0
	s_mov_b32 s3, -1
.LBB496_1734:
	s_and_not1_b32 vcc_lo, exec_lo, s1
	s_mov_b32 s1, 0
	s_cbranch_vccnz .LBB496_1741
; %bb.1735:
	v_cmp_lt_i16_e32 vcc_lo, 14, v20
	s_mov_b32 s1, -1
	s_cbranch_vccz .LBB496_1739
; %bb.1736:
	v_cmp_eq_u16_e32 vcc_lo, 15, v20
	s_mov_b32 s0, -1
	s_cbranch_vccz .LBB496_1738
; %bb.1737:
	v_cvt_f32_f64_e32 v19, v[0:1]
	s_mov_b32 s0, 0
	s_mov_b32 s3, -1
	s_delay_alu instid0(VALU_DEP_1) | instskip(SKIP_1) | instid1(VALU_DEP_2)
	v_bfe_u32 v21, v19, 16, 1
	v_cmp_o_f32_e32 vcc_lo, v19, v19
	v_add3_u32 v21, v19, v21, 0x7fff
	s_delay_alu instid0(VALU_DEP_1) | instskip(NEXT) | instid1(VALU_DEP_1)
	v_lshrrev_b32_e32 v21, 16, v21
	v_cndmask_b32_e32 v19, 0x7fc0, v21, vcc_lo
	global_store_b16 v[16:17], v19, off
.LBB496_1738:
	s_mov_b32 s1, 0
.LBB496_1739:
	s_delay_alu instid0(SALU_CYCLE_1)
	s_and_b32 vcc_lo, exec_lo, s1
	s_mov_b32 s1, 0
	s_cbranch_vccz .LBB496_1741
; %bb.1740:
	v_cmp_ne_u16_e64 s0, 11, v20
	s_mov_b32 s1, -1
.LBB496_1741:
	s_delay_alu instid0(VALU_DEP_1)
	s_and_b32 vcc_lo, exec_lo, s0
	s_cbranch_vccnz .LBB496_2153
; %bb.1742:
	s_and_not1_b32 vcc_lo, exec_lo, s1
	s_cbranch_vccnz .LBB496_1744
.LBB496_1743:
	v_cmp_neq_f64_e32 vcc_lo, 0, v[0:1]
	v_cmp_neq_f64_e64 s0, 0, v[2:3]
	s_mov_b32 s3, -1
	s_delay_alu instid0(VALU_DEP_1) | instskip(NEXT) | instid1(SALU_CYCLE_1)
	s_or_b32 s0, vcc_lo, s0
	v_cndmask_b32_e64 v19, 0, 1, s0
	global_store_b8 v[16:17], v19, off
.LBB496_1744:
	s_mov_b32 s0, 0
	s_branch .LBB496_1791
.LBB496_1745:
	s_mov_b32 s0, 0
	s_mov_b32 s1, 0
                                        ; implicit-def: $vgpr20
                                        ; implicit-def: $vgpr0_vgpr1
                                        ; implicit-def: $vgpr14_vgpr15
.LBB496_1746:
	s_and_b32 s14, s0, exec_lo
	s_and_not1_b32 s0, s19, exec_lo
	s_and_b32 s2, s17, exec_lo
	s_and_b32 s17, s1, exec_lo
	s_or_b32 s19, s0, s2
.LBB496_1747:
	s_or_b32 exec_lo, exec_lo, s18
	s_and_saveexec_b32 s0, s19
	s_cbranch_execz .LBB496_1750
; %bb.1748:
	; divergent unreachable
	s_or_b32 exec_lo, exec_lo, s0
	s_and_saveexec_b32 s0, s17
	s_delay_alu instid0(SALU_CYCLE_1)
	s_xor_b32 s1, exec_lo, s0
	s_cbranch_execnz .LBB496_1751
.LBB496_1749:
	s_or_b32 exec_lo, exec_lo, s1
	s_and_saveexec_b32 s0, s14
	s_cbranch_execnz .LBB496_1752
	s_branch .LBB496_1789
.LBB496_1750:
	s_or_b32 exec_lo, exec_lo, s0
	s_and_saveexec_b32 s0, s17
	s_delay_alu instid0(SALU_CYCLE_1)
	s_xor_b32 s1, exec_lo, s0
	s_cbranch_execz .LBB496_1749
.LBB496_1751:
	s_waitcnt vmcnt(0)
	s_delay_alu instid0(VALU_DEP_1) | instskip(NEXT) | instid1(VALU_DEP_2)
	v_cmp_neq_f64_e32 vcc_lo, 0, v[12:13]
	v_cmp_neq_f64_e64 s0, 0, v[14:15]
	s_delay_alu instid0(VALU_DEP_1) | instskip(NEXT) | instid1(SALU_CYCLE_1)
	s_or_b32 s0, vcc_lo, s0
	v_cndmask_b32_e64 v2, 0, 1, s0
	global_store_b8 v[0:1], v2, off
	s_or_b32 exec_lo, exec_lo, s1
	s_and_saveexec_b32 s0, s14
	s_cbranch_execz .LBB496_1789
.LBB496_1752:
	v_cmp_gt_i16_e32 vcc_lo, 5, v20
	s_mov_b32 s0, -1
	s_cbranch_vccnz .LBB496_1773
; %bb.1753:
	v_cmp_gt_i16_e32 vcc_lo, 8, v20
	s_cbranch_vccnz .LBB496_1763
; %bb.1754:
	v_cmp_gt_i16_e32 vcc_lo, 9, v20
	s_cbranch_vccnz .LBB496_1760
; %bb.1755:
	v_cmp_lt_i16_e32 vcc_lo, 9, v20
	s_cbranch_vccz .LBB496_1757
; %bb.1756:
	s_mov_b32 s0, 0
	s_waitcnt vmcnt(0)
	global_store_b128 v[0:1], v[12:15], off
.LBB496_1757:
	s_and_not1_b32 vcc_lo, exec_lo, s0
	s_cbranch_vccnz .LBB496_1759
; %bb.1758:
	s_waitcnt vmcnt(0)
	v_cvt_f32_f64_e32 v2, v[12:13]
	v_cvt_f32_f64_e32 v3, v[14:15]
	global_store_b64 v[0:1], v[2:3], off
.LBB496_1759:
	s_mov_b32 s0, 0
.LBB496_1760:
	s_delay_alu instid0(SALU_CYCLE_1)
	s_and_not1_b32 vcc_lo, exec_lo, s0
	s_cbranch_vccnz .LBB496_1762
; %bb.1761:
	s_waitcnt vmcnt(0)
	s_delay_alu instid0(VALU_DEP_4) | instskip(SKIP_1) | instid1(VALU_DEP_2)
	v_cvt_f32_f64_e32 v2, v[14:15]
	v_cvt_f32_f64_e32 v3, v[12:13]
	v_cvt_f16_f32_e32 v2, v2
	s_delay_alu instid0(VALU_DEP_2) | instskip(NEXT) | instid1(VALU_DEP_2)
	v_cvt_f16_f32_e32 v3, v3
	v_lshlrev_b32_e32 v2, 16, v2
	s_delay_alu instid0(VALU_DEP_2) | instskip(NEXT) | instid1(VALU_DEP_1)
	v_and_b32_e32 v3, 0xffff, v3
	v_or_b32_e32 v2, v2, v3
	global_store_b32 v[0:1], v2, off
.LBB496_1762:
	s_mov_b32 s0, 0
.LBB496_1763:
	s_delay_alu instid0(SALU_CYCLE_1)
	s_and_not1_b32 vcc_lo, exec_lo, s0
	s_cbranch_vccnz .LBB496_1772
; %bb.1764:
	v_cmp_gt_i16_e32 vcc_lo, 6, v20
	s_mov_b32 s0, -1
	s_cbranch_vccnz .LBB496_1770
; %bb.1765:
	v_cmp_lt_i16_e32 vcc_lo, 6, v20
	s_cbranch_vccz .LBB496_1767
; %bb.1766:
	s_mov_b32 s0, 0
	s_waitcnt vmcnt(0)
	global_store_b64 v[0:1], v[12:13], off
.LBB496_1767:
	s_and_not1_b32 vcc_lo, exec_lo, s0
	s_cbranch_vccnz .LBB496_1769
; %bb.1768:
	s_waitcnt vmcnt(0)
	v_cvt_f32_f64_e32 v2, v[12:13]
	global_store_b32 v[0:1], v2, off
.LBB496_1769:
	s_mov_b32 s0, 0
.LBB496_1770:
	s_delay_alu instid0(SALU_CYCLE_1)
	s_and_not1_b32 vcc_lo, exec_lo, s0
	s_cbranch_vccnz .LBB496_1772
; %bb.1771:
	s_waitcnt vmcnt(0)
	v_cvt_f32_f64_e32 v2, v[12:13]
	s_delay_alu instid0(VALU_DEP_1)
	v_cvt_f16_f32_e32 v2, v2
	global_store_b16 v[0:1], v2, off
.LBB496_1772:
	s_mov_b32 s0, 0
.LBB496_1773:
	s_delay_alu instid0(SALU_CYCLE_1)
	s_and_not1_b32 vcc_lo, exec_lo, s0
	s_cbranch_vccnz .LBB496_1789
; %bb.1774:
	v_cmp_gt_i16_e32 vcc_lo, 2, v20
	s_mov_b32 s0, -1
	s_cbranch_vccnz .LBB496_1784
; %bb.1775:
	v_cmp_gt_i16_e32 vcc_lo, 3, v20
	s_cbranch_vccnz .LBB496_1781
; %bb.1776:
	v_cmp_lt_i16_e32 vcc_lo, 3, v20
	s_cbranch_vccz .LBB496_1778
; %bb.1777:
	s_waitcnt vmcnt(0)
	v_trunc_f64_e32 v[2:3], v[12:13]
	s_mov_b32 s0, 0
	s_delay_alu instid0(VALU_DEP_1) | instskip(NEXT) | instid1(VALU_DEP_1)
	v_ldexp_f64 v[4:5], v[2:3], 0xffffffe0
	v_floor_f64_e32 v[4:5], v[4:5]
	s_delay_alu instid0(VALU_DEP_1) | instskip(SKIP_1) | instid1(VALU_DEP_2)
	v_fma_f64 v[2:3], 0xc1f00000, v[4:5], v[2:3]
	v_cvt_i32_f64_e32 v4, v[4:5]
	v_cvt_u32_f64_e32 v3, v[2:3]
	global_store_b64 v[0:1], v[3:4], off
.LBB496_1778:
	s_and_not1_b32 vcc_lo, exec_lo, s0
	s_cbranch_vccnz .LBB496_1780
; %bb.1779:
	s_waitcnt vmcnt(0)
	v_cvt_i32_f64_e32 v2, v[12:13]
	global_store_b32 v[0:1], v2, off
.LBB496_1780:
	s_mov_b32 s0, 0
.LBB496_1781:
	s_delay_alu instid0(SALU_CYCLE_1)
	s_and_not1_b32 vcc_lo, exec_lo, s0
	s_cbranch_vccnz .LBB496_1783
; %bb.1782:
	s_waitcnt vmcnt(0)
	v_cvt_i32_f64_e32 v2, v[12:13]
	global_store_b16 v[0:1], v2, off
.LBB496_1783:
	s_mov_b32 s0, 0
.LBB496_1784:
	s_delay_alu instid0(SALU_CYCLE_1)
	s_and_not1_b32 vcc_lo, exec_lo, s0
	s_cbranch_vccnz .LBB496_1789
; %bb.1785:
	v_cmp_lt_i16_e32 vcc_lo, 0, v20
	s_mov_b32 s0, -1
	s_cbranch_vccz .LBB496_1787
; %bb.1786:
	s_waitcnt vmcnt(0)
	v_cvt_i32_f64_e32 v2, v[12:13]
	s_mov_b32 s0, 0
	global_store_b8 v[0:1], v2, off
.LBB496_1787:
	s_and_not1_b32 vcc_lo, exec_lo, s0
	s_cbranch_vccnz .LBB496_1789
; %bb.1788:
	s_waitcnt vmcnt(0)
	v_trunc_f64_e32 v[2:3], v[12:13]
	s_delay_alu instid0(VALU_DEP_1) | instskip(NEXT) | instid1(VALU_DEP_1)
	v_ldexp_f64 v[4:5], v[2:3], 0xffffffe0
	v_floor_f64_e32 v[4:5], v[4:5]
	s_delay_alu instid0(VALU_DEP_1) | instskip(NEXT) | instid1(VALU_DEP_1)
	v_fma_f64 v[2:3], 0xc1f00000, v[4:5], v[2:3]
	v_cvt_u32_f64_e32 v2, v[2:3]
	global_store_b8 v[0:1], v2, off
	s_nop 0
	s_sendmsg sendmsg(MSG_DEALLOC_VGPRS)
	s_endpgm
.LBB496_1789:
	s_nop 0
	s_sendmsg sendmsg(MSG_DEALLOC_VGPRS)
	s_endpgm
.LBB496_1790:
	s_mov_b32 s0, -1
	s_mov_b32 s3, 0
.LBB496_1791:
	s_and_b32 vcc_lo, exec_lo, s0
	s_cbranch_vccz .LBB496_1830
; %bb.1792:
	v_cmp_gt_i16_e32 vcc_lo, 5, v20
	s_mov_b32 s0, -1
	s_cbranch_vccnz .LBB496_1813
; %bb.1793:
	v_cmp_gt_i16_e32 vcc_lo, 8, v20
	s_cbranch_vccnz .LBB496_1803
; %bb.1794:
	v_cmp_gt_i16_e32 vcc_lo, 9, v20
	s_cbranch_vccnz .LBB496_1800
; %bb.1795:
	v_cmp_lt_i16_e32 vcc_lo, 9, v20
	s_cbranch_vccz .LBB496_1797
; %bb.1796:
	s_mov_b32 s0, 0
	global_store_b128 v[16:17], v[0:3], off
.LBB496_1797:
	s_and_not1_b32 vcc_lo, exec_lo, s0
	s_cbranch_vccnz .LBB496_1799
; %bb.1798:
	v_cvt_f32_f64_e32 v21, v[0:1]
	v_cvt_f32_f64_e32 v22, v[2:3]
	global_store_b64 v[16:17], v[21:22], off
.LBB496_1799:
	s_mov_b32 s0, 0
.LBB496_1800:
	s_delay_alu instid0(SALU_CYCLE_1)
	s_and_not1_b32 vcc_lo, exec_lo, s0
	s_cbranch_vccnz .LBB496_1802
; %bb.1801:
	v_cvt_f32_f64_e32 v2, v[2:3]
	v_cvt_f32_f64_e32 v3, v[0:1]
	s_delay_alu instid0(VALU_DEP_2) | instskip(NEXT) | instid1(VALU_DEP_2)
	v_cvt_f16_f32_e32 v2, v2
	v_cvt_f16_f32_e32 v3, v3
	s_delay_alu instid0(VALU_DEP_2) | instskip(NEXT) | instid1(VALU_DEP_2)
	v_lshlrev_b32_e32 v2, 16, v2
	v_and_b32_e32 v3, 0xffff, v3
	s_delay_alu instid0(VALU_DEP_1)
	v_or_b32_e32 v2, v2, v3
	global_store_b32 v[16:17], v2, off
.LBB496_1802:
	s_mov_b32 s0, 0
.LBB496_1803:
	s_delay_alu instid0(SALU_CYCLE_1)
	s_and_not1_b32 vcc_lo, exec_lo, s0
	s_cbranch_vccnz .LBB496_1812
; %bb.1804:
	v_cmp_gt_i16_e32 vcc_lo, 6, v20
	s_mov_b32 s0, -1
	s_cbranch_vccnz .LBB496_1810
; %bb.1805:
	v_cmp_lt_i16_e32 vcc_lo, 6, v20
	s_cbranch_vccz .LBB496_1807
; %bb.1806:
	s_mov_b32 s0, 0
	global_store_b64 v[16:17], v[0:1], off
.LBB496_1807:
	s_and_not1_b32 vcc_lo, exec_lo, s0
	s_cbranch_vccnz .LBB496_1809
; %bb.1808:
	v_cvt_f32_f64_e32 v2, v[0:1]
	global_store_b32 v[16:17], v2, off
.LBB496_1809:
	s_mov_b32 s0, 0
.LBB496_1810:
	s_delay_alu instid0(SALU_CYCLE_1)
	s_and_not1_b32 vcc_lo, exec_lo, s0
	s_cbranch_vccnz .LBB496_1812
; %bb.1811:
	v_cvt_f32_f64_e32 v2, v[0:1]
	s_delay_alu instid0(VALU_DEP_1)
	v_cvt_f16_f32_e32 v2, v2
	global_store_b16 v[16:17], v2, off
.LBB496_1812:
	s_mov_b32 s0, 0
.LBB496_1813:
	s_delay_alu instid0(SALU_CYCLE_1)
	s_and_not1_b32 vcc_lo, exec_lo, s0
	s_cbranch_vccnz .LBB496_1829
; %bb.1814:
	v_cmp_gt_i16_e32 vcc_lo, 2, v20
	s_mov_b32 s0, -1
	s_cbranch_vccnz .LBB496_1824
; %bb.1815:
	v_cmp_gt_i16_e32 vcc_lo, 3, v20
	s_cbranch_vccnz .LBB496_1821
; %bb.1816:
	v_cmp_lt_i16_e32 vcc_lo, 3, v20
	s_cbranch_vccz .LBB496_1818
; %bb.1817:
	v_trunc_f64_e32 v[2:3], v[0:1]
	s_mov_b32 s0, 0
	s_delay_alu instid0(VALU_DEP_1) | instskip(NEXT) | instid1(VALU_DEP_1)
	v_ldexp_f64 v[21:22], v[2:3], 0xffffffe0
	v_floor_f64_e32 v[21:22], v[21:22]
	s_delay_alu instid0(VALU_DEP_1) | instskip(SKIP_1) | instid1(VALU_DEP_2)
	v_fma_f64 v[2:3], 0xc1f00000, v[21:22], v[2:3]
	v_cvt_i32_f64_e32 v22, v[21:22]
	v_cvt_u32_f64_e32 v21, v[2:3]
	global_store_b64 v[16:17], v[21:22], off
.LBB496_1818:
	s_and_not1_b32 vcc_lo, exec_lo, s0
	s_cbranch_vccnz .LBB496_1820
; %bb.1819:
	v_cvt_i32_f64_e32 v2, v[0:1]
	global_store_b32 v[16:17], v2, off
.LBB496_1820:
	s_mov_b32 s0, 0
.LBB496_1821:
	s_delay_alu instid0(SALU_CYCLE_1)
	s_and_not1_b32 vcc_lo, exec_lo, s0
	s_cbranch_vccnz .LBB496_1823
; %bb.1822:
	v_cvt_i32_f64_e32 v2, v[0:1]
	global_store_b16 v[16:17], v2, off
.LBB496_1823:
	s_mov_b32 s0, 0
.LBB496_1824:
	s_delay_alu instid0(SALU_CYCLE_1)
	s_and_not1_b32 vcc_lo, exec_lo, s0
	s_cbranch_vccnz .LBB496_1829
; %bb.1825:
	v_cmp_lt_i16_e32 vcc_lo, 0, v20
	s_mov_b32 s0, -1
	s_cbranch_vccz .LBB496_1827
; %bb.1826:
	v_cvt_i32_f64_e32 v2, v[0:1]
	s_mov_b32 s0, 0
	global_store_b8 v[16:17], v2, off
.LBB496_1827:
	s_and_not1_b32 vcc_lo, exec_lo, s0
	s_cbranch_vccnz .LBB496_1829
; %bb.1828:
	v_trunc_f64_e32 v[0:1], v[0:1]
	s_delay_alu instid0(VALU_DEP_1) | instskip(NEXT) | instid1(VALU_DEP_1)
	v_ldexp_f64 v[2:3], v[0:1], 0xffffffe0
	v_floor_f64_e32 v[2:3], v[2:3]
	s_delay_alu instid0(VALU_DEP_1) | instskip(NEXT) | instid1(VALU_DEP_1)
	v_fma_f64 v[0:1], 0xc1f00000, v[2:3], v[0:1]
	v_cvt_u32_f64_e32 v0, v[0:1]
	global_store_b8 v[16:17], v0, off
.LBB496_1829:
	s_mov_b32 s3, -1
.LBB496_1830:
	s_delay_alu instid0(SALU_CYCLE_1)
	s_and_not1_b32 vcc_lo, exec_lo, s3
	s_cbranch_vccnz .LBB496_2145
; %bb.1831:
	s_lshl_b32 s1, s2, 7
	v_cmp_gt_i16_e32 vcc_lo, 11, v20
	v_add_nc_u32_e32 v2, s1, v18
	s_delay_alu instid0(VALU_DEP_1) | instskip(SKIP_1) | instid1(VALU_DEP_1)
	v_ashrrev_i32_e32 v1, 31, v2
	v_add_co_u32 v0, s0, s4, v2
	v_add_co_ci_u32_e64 v1, s0, s5, v1, s0
	s_cbranch_vccnz .LBB496_1909
; %bb.1832:
	v_cmp_lt_i16_e32 vcc_lo, 25, v20
	s_mov_b32 s6, -1
	s_mov_b32 s2, 0
	s_mov_b32 s3, 0
	;; [unrolled: 1-line block ×3, first 2 shown]
	s_cbranch_vccz .LBB496_1865
; %bb.1833:
	v_cmp_lt_i16_e32 vcc_lo, 28, v20
	s_cbranch_vccz .LBB496_1848
; %bb.1834:
	v_cmp_lt_i16_e32 vcc_lo, 43, v20
	;; [unrolled: 3-line block ×3, first 2 shown]
	s_cbranch_vccz .LBB496_1838
; %bb.1836:
	v_cmp_eq_u16_e32 vcc_lo, 46, v20
	s_mov_b32 s0, -1
	s_mov_b32 s6, 0
	s_cbranch_vccz .LBB496_1838
; %bb.1837:
	v_cvt_f32_f64_e32 v3, v[6:7]
	v_cvt_f32_f64_e32 v16, v[4:5]
	s_mov_b32 s0, 0
	s_mov_b32 s3, -1
	s_delay_alu instid0(VALU_DEP_2) | instskip(NEXT) | instid1(VALU_DEP_2)
	v_bfe_u32 v17, v3, 16, 1
	v_bfe_u32 v18, v16, 16, 1
	v_cmp_o_f32_e32 vcc_lo, v3, v3
	s_delay_alu instid0(VALU_DEP_3) | instskip(NEXT) | instid1(VALU_DEP_3)
	v_add3_u32 v17, v3, v17, 0x7fff
	v_add3_u32 v18, v16, v18, 0x7fff
	s_delay_alu instid0(VALU_DEP_2) | instskip(NEXT) | instid1(VALU_DEP_2)
	v_and_b32_e32 v17, 0xffff0000, v17
	v_lshrrev_b32_e32 v18, 16, v18
	s_delay_alu instid0(VALU_DEP_2) | instskip(SKIP_1) | instid1(VALU_DEP_3)
	v_cndmask_b32_e32 v3, 0x7fc00000, v17, vcc_lo
	v_cmp_o_f32_e32 vcc_lo, v16, v16
	v_cndmask_b32_e32 v16, 0x7fc0, v18, vcc_lo
	s_delay_alu instid0(VALU_DEP_1)
	v_or_b32_e32 v3, v3, v16
	global_store_b32 v[0:1], v3, off
.LBB496_1838:
	s_and_b32 vcc_lo, exec_lo, s6
	s_cbranch_vccz .LBB496_1843
; %bb.1839:
	v_cmp_eq_u16_e32 vcc_lo, 44, v20
	s_mov_b32 s0, -1
	s_cbranch_vccz .LBB496_1843
; %bb.1840:
	v_cvt_f32_f64_e32 v3, v[4:5]
	v_mov_b32_e32 v16, 0xff
	s_mov_b32 s3, exec_lo
	s_delay_alu instid0(VALU_DEP_2) | instskip(NEXT) | instid1(VALU_DEP_1)
	v_bfe_u32 v17, v3, 23, 8
	v_cmpx_ne_u32_e32 0xff, v17
; %bb.1841:
	v_and_b32_e32 v16, 0x400000, v3
	v_and_or_b32 v17, 0x3fffff, v3, v17
	v_lshrrev_b32_e32 v3, 23, v3
	s_delay_alu instid0(VALU_DEP_3) | instskip(NEXT) | instid1(VALU_DEP_3)
	v_cmp_ne_u32_e32 vcc_lo, 0, v16
	v_cmp_ne_u32_e64 s0, 0, v17
	s_delay_alu instid0(VALU_DEP_1) | instskip(NEXT) | instid1(SALU_CYCLE_1)
	s_and_b32 s0, vcc_lo, s0
	v_cndmask_b32_e64 v16, 0, 1, s0
	s_delay_alu instid0(VALU_DEP_1)
	v_add_nc_u32_e32 v16, v3, v16
; %bb.1842:
	s_or_b32 exec_lo, exec_lo, s3
	s_mov_b32 s0, 0
	s_mov_b32 s3, -1
	global_store_b8 v[0:1], v16, off
.LBB496_1843:
	s_mov_b32 s6, 0
.LBB496_1844:
	s_delay_alu instid0(SALU_CYCLE_1)
	s_and_b32 vcc_lo, exec_lo, s6
	s_cbranch_vccz .LBB496_1847
; %bb.1845:
	v_cmp_eq_u16_e32 vcc_lo, 29, v20
	s_mov_b32 s0, -1
	s_cbranch_vccz .LBB496_1847
; %bb.1846:
	v_trunc_f64_e32 v[16:17], v[4:5]
	s_mov_b32 s0, 0
	s_mov_b32 s3, -1
	s_delay_alu instid0(VALU_DEP_1) | instskip(NEXT) | instid1(VALU_DEP_1)
	v_ldexp_f64 v[18:19], v[16:17], 0xffffffe0
	v_floor_f64_e32 v[18:19], v[18:19]
	s_delay_alu instid0(VALU_DEP_1) | instskip(SKIP_1) | instid1(VALU_DEP_2)
	v_fma_f64 v[16:17], 0xc1f00000, v[18:19], v[16:17]
	v_cvt_u32_f64_e32 v18, v[18:19]
	v_cvt_u32_f64_e32 v17, v[16:17]
	global_store_b64 v[0:1], v[17:18], off
.LBB496_1847:
	s_mov_b32 s6, 0
.LBB496_1848:
	s_delay_alu instid0(SALU_CYCLE_1)
	s_and_b32 vcc_lo, exec_lo, s6
	s_cbranch_vccz .LBB496_1864
; %bb.1849:
	v_cmp_gt_i16_e32 vcc_lo, 27, v20
	s_mov_b32 s3, -1
	s_cbranch_vccnz .LBB496_1855
; %bb.1850:
	v_cvt_u32_f64_e32 v3, v[4:5]
	v_cmp_lt_i16_e32 vcc_lo, 27, v20
	s_cbranch_vccz .LBB496_1852
; %bb.1851:
	s_mov_b32 s3, 0
	global_store_b32 v[0:1], v3, off
.LBB496_1852:
	s_and_not1_b32 vcc_lo, exec_lo, s3
	s_cbranch_vccnz .LBB496_1854
; %bb.1853:
	global_store_b16 v[0:1], v3, off
.LBB496_1854:
	s_mov_b32 s3, 0
.LBB496_1855:
	s_delay_alu instid0(SALU_CYCLE_1)
	s_and_not1_b32 vcc_lo, exec_lo, s3
	s_cbranch_vccnz .LBB496_1863
; %bb.1856:
	v_cvt_f32_f64_e32 v3, v[4:5]
	v_mov_b32_e32 v17, 0x80
	s_mov_b32 s3, exec_lo
	s_delay_alu instid0(VALU_DEP_2) | instskip(NEXT) | instid1(VALU_DEP_1)
	v_and_b32_e32 v16, 0x7fffffff, v3
	v_cmpx_gt_u32_e32 0x43800000, v16
	s_cbranch_execz .LBB496_1862
; %bb.1857:
	v_cmp_lt_u32_e32 vcc_lo, 0x3bffffff, v16
	s_mov_b32 s6, 0
                                        ; implicit-def: $vgpr16
	s_and_saveexec_b32 s7, vcc_lo
	s_delay_alu instid0(SALU_CYCLE_1)
	s_xor_b32 s7, exec_lo, s7
	s_cbranch_execz .LBB496_2157
; %bb.1858:
	v_bfe_u32 v16, v3, 20, 1
	s_mov_b32 s6, exec_lo
	s_delay_alu instid0(VALU_DEP_1) | instskip(NEXT) | instid1(VALU_DEP_1)
	v_add3_u32 v16, v3, v16, 0x487ffff
	v_lshrrev_b32_e32 v16, 20, v16
	s_or_saveexec_b32 s7, s7
                                        ; implicit-def: $sgpr8
	s_delay_alu instid0(SALU_CYCLE_1)
	s_xor_b32 exec_lo, exec_lo, s7
	s_cbranch_execnz .LBB496_2158
.LBB496_1859:
	s_or_b32 exec_lo, exec_lo, s7
	v_mov_b32_e32 v17, s8
	s_and_saveexec_b32 s7, s6
.LBB496_1860:
	v_lshrrev_b32_e32 v3, 24, v3
	s_delay_alu instid0(VALU_DEP_1)
	v_and_or_b32 v17, 0x80, v3, v16
.LBB496_1861:
	s_or_b32 exec_lo, exec_lo, s7
.LBB496_1862:
	s_delay_alu instid0(SALU_CYCLE_1)
	s_or_b32 exec_lo, exec_lo, s3
	global_store_b8 v[0:1], v17, off
.LBB496_1863:
	s_mov_b32 s3, -1
.LBB496_1864:
	s_mov_b32 s6, 0
.LBB496_1865:
	s_delay_alu instid0(SALU_CYCLE_1)
	s_and_b32 vcc_lo, exec_lo, s6
	s_cbranch_vccz .LBB496_1905
; %bb.1866:
	v_cmp_lt_i16_e32 vcc_lo, 22, v20
	s_mov_b32 s2, -1
	s_cbranch_vccz .LBB496_1898
; %bb.1867:
	v_cmp_gt_i16_e32 vcc_lo, 24, v20
	s_cbranch_vccnz .LBB496_1887
; %bb.1868:
	v_cmp_lt_i16_e32 vcc_lo, 24, v20
	s_cbranch_vccz .LBB496_1876
; %bb.1869:
	v_cvt_f32_f64_e32 v3, v[4:5]
	v_mov_b32_e32 v17, 0x80
	s_mov_b32 s2, exec_lo
	s_delay_alu instid0(VALU_DEP_2) | instskip(NEXT) | instid1(VALU_DEP_1)
	v_and_b32_e32 v16, 0x7fffffff, v3
	v_cmpx_gt_u32_e32 0x47800000, v16
	s_cbranch_execz .LBB496_1875
; %bb.1870:
	v_cmp_lt_u32_e32 vcc_lo, 0x37ffffff, v16
	s_mov_b32 s3, 0
                                        ; implicit-def: $vgpr16
	s_and_saveexec_b32 s6, vcc_lo
	s_delay_alu instid0(SALU_CYCLE_1)
	s_xor_b32 s6, exec_lo, s6
	s_cbranch_execz .LBB496_2163
; %bb.1871:
	v_bfe_u32 v16, v3, 21, 1
	s_mov_b32 s3, exec_lo
	s_delay_alu instid0(VALU_DEP_1) | instskip(NEXT) | instid1(VALU_DEP_1)
	v_add3_u32 v16, v3, v16, 0x88fffff
	v_lshrrev_b32_e32 v16, 21, v16
	s_or_saveexec_b32 s6, s6
                                        ; implicit-def: $sgpr7
	s_delay_alu instid0(SALU_CYCLE_1)
	s_xor_b32 exec_lo, exec_lo, s6
	s_cbranch_execnz .LBB496_2164
.LBB496_1872:
	s_or_b32 exec_lo, exec_lo, s6
	v_mov_b32_e32 v17, s7
	s_and_saveexec_b32 s6, s3
.LBB496_1873:
	v_lshrrev_b32_e32 v3, 24, v3
	s_delay_alu instid0(VALU_DEP_1)
	v_and_or_b32 v17, 0x80, v3, v16
.LBB496_1874:
	s_or_b32 exec_lo, exec_lo, s6
.LBB496_1875:
	s_delay_alu instid0(SALU_CYCLE_1)
	s_or_b32 exec_lo, exec_lo, s2
	s_mov_b32 s2, 0
	global_store_b8 v[0:1], v17, off
.LBB496_1876:
	s_and_b32 vcc_lo, exec_lo, s2
	s_cbranch_vccz .LBB496_1886
; %bb.1877:
	v_cvt_f32_f64_e32 v3, v[4:5]
	s_mov_b32 s2, exec_lo
                                        ; implicit-def: $vgpr16
	s_delay_alu instid0(VALU_DEP_1) | instskip(NEXT) | instid1(VALU_DEP_1)
	v_and_b32_e32 v17, 0x7fffffff, v3
	v_cmpx_gt_u32_e32 0x43f00000, v17
	s_xor_b32 s2, exec_lo, s2
	s_cbranch_execz .LBB496_1883
; %bb.1878:
	s_mov_b32 s3, exec_lo
                                        ; implicit-def: $vgpr16
	v_cmpx_lt_u32_e32 0x3c7fffff, v17
	s_xor_b32 s3, exec_lo, s3
; %bb.1879:
	v_bfe_u32 v16, v3, 20, 1
	s_delay_alu instid0(VALU_DEP_1) | instskip(NEXT) | instid1(VALU_DEP_1)
	v_add3_u32 v16, v3, v16, 0x407ffff
	v_and_b32_e32 v17, 0xff00000, v16
	v_lshrrev_b32_e32 v16, 20, v16
	s_delay_alu instid0(VALU_DEP_2) | instskip(NEXT) | instid1(VALU_DEP_2)
	v_cmp_ne_u32_e32 vcc_lo, 0x7f00000, v17
	v_cndmask_b32_e32 v16, 0x7e, v16, vcc_lo
; %bb.1880:
	s_and_not1_saveexec_b32 s3, s3
; %bb.1881:
	v_add_f32_e64 v16, 0x46800000, |v3|
; %bb.1882:
	s_or_b32 exec_lo, exec_lo, s3
                                        ; implicit-def: $vgpr17
.LBB496_1883:
	s_and_not1_saveexec_b32 s2, s2
; %bb.1884:
	v_mov_b32_e32 v16, 0x7f
	v_cmp_lt_u32_e32 vcc_lo, 0x7f800000, v17
	s_delay_alu instid0(VALU_DEP_2)
	v_cndmask_b32_e32 v16, 0x7e, v16, vcc_lo
; %bb.1885:
	s_or_b32 exec_lo, exec_lo, s2
	v_lshrrev_b32_e32 v3, 24, v3
	s_delay_alu instid0(VALU_DEP_1)
	v_and_or_b32 v3, 0x80, v3, v16
	global_store_b8 v[0:1], v3, off
.LBB496_1886:
	s_mov_b32 s2, 0
.LBB496_1887:
	s_delay_alu instid0(SALU_CYCLE_1)
	s_and_not1_b32 vcc_lo, exec_lo, s2
	s_cbranch_vccnz .LBB496_1897
; %bb.1888:
	v_cvt_f32_f64_e32 v3, v[4:5]
	s_mov_b32 s2, exec_lo
                                        ; implicit-def: $vgpr16
	s_delay_alu instid0(VALU_DEP_1) | instskip(NEXT) | instid1(VALU_DEP_1)
	v_and_b32_e32 v17, 0x7fffffff, v3
	v_cmpx_gt_u32_e32 0x47800000, v17
	s_xor_b32 s2, exec_lo, s2
	s_cbranch_execz .LBB496_1894
; %bb.1889:
	s_mov_b32 s3, exec_lo
                                        ; implicit-def: $vgpr16
	v_cmpx_lt_u32_e32 0x387fffff, v17
	s_xor_b32 s3, exec_lo, s3
; %bb.1890:
	v_bfe_u32 v16, v3, 21, 1
	s_delay_alu instid0(VALU_DEP_1) | instskip(NEXT) | instid1(VALU_DEP_1)
	v_add3_u32 v16, v3, v16, 0x80fffff
	v_lshrrev_b32_e32 v16, 21, v16
; %bb.1891:
	s_and_not1_saveexec_b32 s3, s3
; %bb.1892:
	v_add_f32_e64 v16, 0x43000000, |v3|
; %bb.1893:
	s_or_b32 exec_lo, exec_lo, s3
                                        ; implicit-def: $vgpr17
.LBB496_1894:
	s_and_not1_saveexec_b32 s2, s2
; %bb.1895:
	v_mov_b32_e32 v16, 0x7f
	v_cmp_lt_u32_e32 vcc_lo, 0x7f800000, v17
	s_delay_alu instid0(VALU_DEP_2)
	v_cndmask_b32_e32 v16, 0x7c, v16, vcc_lo
; %bb.1896:
	s_or_b32 exec_lo, exec_lo, s2
	v_lshrrev_b32_e32 v3, 24, v3
	s_delay_alu instid0(VALU_DEP_1)
	v_and_or_b32 v3, 0x80, v3, v16
	global_store_b8 v[0:1], v3, off
.LBB496_1897:
	s_mov_b32 s2, 0
	s_mov_b32 s3, -1
.LBB496_1898:
	s_and_not1_b32 vcc_lo, exec_lo, s2
	s_mov_b32 s2, 0
	s_cbranch_vccnz .LBB496_1905
; %bb.1899:
	v_cmp_lt_i16_e32 vcc_lo, 14, v20
	s_mov_b32 s2, -1
	s_cbranch_vccz .LBB496_1903
; %bb.1900:
	v_cmp_eq_u16_e32 vcc_lo, 15, v20
	s_mov_b32 s0, -1
	s_cbranch_vccz .LBB496_1902
; %bb.1901:
	v_cvt_f32_f64_e32 v3, v[4:5]
	s_mov_b32 s0, 0
	s_mov_b32 s3, -1
	s_delay_alu instid0(VALU_DEP_1) | instskip(SKIP_1) | instid1(VALU_DEP_2)
	v_bfe_u32 v16, v3, 16, 1
	v_cmp_o_f32_e32 vcc_lo, v3, v3
	v_add3_u32 v16, v3, v16, 0x7fff
	s_delay_alu instid0(VALU_DEP_1) | instskip(NEXT) | instid1(VALU_DEP_1)
	v_lshrrev_b32_e32 v16, 16, v16
	v_cndmask_b32_e32 v3, 0x7fc0, v16, vcc_lo
	global_store_b16 v[0:1], v3, off
.LBB496_1902:
	s_mov_b32 s2, 0
.LBB496_1903:
	s_delay_alu instid0(SALU_CYCLE_1)
	s_and_b32 vcc_lo, exec_lo, s2
	s_mov_b32 s2, 0
	s_cbranch_vccz .LBB496_1905
; %bb.1904:
	v_cmp_ne_u16_e64 s0, 11, v20
	s_mov_b32 s2, -1
.LBB496_1905:
	s_delay_alu instid0(VALU_DEP_1)
	s_and_b32 vcc_lo, exec_lo, s0
	s_cbranch_vccnz .LBB496_2161
; %bb.1906:
	s_and_not1_b32 vcc_lo, exec_lo, s2
	s_cbranch_vccnz .LBB496_1908
.LBB496_1907:
	v_cmp_neq_f64_e32 vcc_lo, 0, v[4:5]
	v_cmp_neq_f64_e64 s0, 0, v[6:7]
	s_mov_b32 s3, -1
	s_delay_alu instid0(VALU_DEP_1) | instskip(NEXT) | instid1(SALU_CYCLE_1)
	s_or_b32 s0, vcc_lo, s0
	v_cndmask_b32_e64 v3, 0, 1, s0
	global_store_b8 v[0:1], v3, off
.LBB496_1908:
	s_mov_b32 s0, 0
	s_branch .LBB496_1910
.LBB496_1909:
	s_mov_b32 s0, -1
	s_mov_b32 s3, 0
.LBB496_1910:
	s_and_b32 vcc_lo, exec_lo, s0
	s_cbranch_vccz .LBB496_1949
; %bb.1911:
	v_cmp_gt_i16_e32 vcc_lo, 5, v20
	s_mov_b32 s0, -1
	s_cbranch_vccnz .LBB496_1932
; %bb.1912:
	v_cmp_gt_i16_e32 vcc_lo, 8, v20
	s_cbranch_vccnz .LBB496_1922
; %bb.1913:
	v_cmp_gt_i16_e32 vcc_lo, 9, v20
	s_cbranch_vccnz .LBB496_1919
; %bb.1914:
	v_cmp_lt_i16_e32 vcc_lo, 9, v20
	s_cbranch_vccz .LBB496_1916
; %bb.1915:
	s_mov_b32 s0, 0
	global_store_b128 v[0:1], v[4:7], off
.LBB496_1916:
	s_and_not1_b32 vcc_lo, exec_lo, s0
	s_cbranch_vccnz .LBB496_1918
; %bb.1917:
	v_cvt_f32_f64_e32 v16, v[4:5]
	v_cvt_f32_f64_e32 v17, v[6:7]
	global_store_b64 v[0:1], v[16:17], off
.LBB496_1918:
	s_mov_b32 s0, 0
.LBB496_1919:
	s_delay_alu instid0(SALU_CYCLE_1)
	s_and_not1_b32 vcc_lo, exec_lo, s0
	s_cbranch_vccnz .LBB496_1921
; %bb.1920:
	v_cvt_f32_f64_e32 v3, v[6:7]
	v_cvt_f32_f64_e32 v6, v[4:5]
	s_delay_alu instid0(VALU_DEP_2) | instskip(NEXT) | instid1(VALU_DEP_2)
	v_cvt_f16_f32_e32 v3, v3
	v_cvt_f16_f32_e32 v6, v6
	s_delay_alu instid0(VALU_DEP_2) | instskip(NEXT) | instid1(VALU_DEP_2)
	v_lshlrev_b32_e32 v3, 16, v3
	v_and_b32_e32 v6, 0xffff, v6
	s_delay_alu instid0(VALU_DEP_1)
	v_or_b32_e32 v3, v3, v6
	global_store_b32 v[0:1], v3, off
.LBB496_1921:
	s_mov_b32 s0, 0
.LBB496_1922:
	s_delay_alu instid0(SALU_CYCLE_1)
	s_and_not1_b32 vcc_lo, exec_lo, s0
	s_cbranch_vccnz .LBB496_1931
; %bb.1923:
	v_cmp_gt_i16_e32 vcc_lo, 6, v20
	s_mov_b32 s0, -1
	s_cbranch_vccnz .LBB496_1929
; %bb.1924:
	v_cmp_lt_i16_e32 vcc_lo, 6, v20
	s_cbranch_vccz .LBB496_1926
; %bb.1925:
	s_mov_b32 s0, 0
	global_store_b64 v[0:1], v[4:5], off
.LBB496_1926:
	s_and_not1_b32 vcc_lo, exec_lo, s0
	s_cbranch_vccnz .LBB496_1928
; %bb.1927:
	v_cvt_f32_f64_e32 v3, v[4:5]
	global_store_b32 v[0:1], v3, off
.LBB496_1928:
	s_mov_b32 s0, 0
.LBB496_1929:
	s_delay_alu instid0(SALU_CYCLE_1)
	s_and_not1_b32 vcc_lo, exec_lo, s0
	s_cbranch_vccnz .LBB496_1931
; %bb.1930:
	v_cvt_f32_f64_e32 v3, v[4:5]
	s_delay_alu instid0(VALU_DEP_1)
	v_cvt_f16_f32_e32 v3, v3
	global_store_b16 v[0:1], v3, off
.LBB496_1931:
	s_mov_b32 s0, 0
.LBB496_1932:
	s_delay_alu instid0(SALU_CYCLE_1)
	s_and_not1_b32 vcc_lo, exec_lo, s0
	s_cbranch_vccnz .LBB496_1948
; %bb.1933:
	v_cmp_gt_i16_e32 vcc_lo, 2, v20
	s_mov_b32 s0, -1
	s_cbranch_vccnz .LBB496_1943
; %bb.1934:
	v_cmp_gt_i16_e32 vcc_lo, 3, v20
	s_cbranch_vccnz .LBB496_1940
; %bb.1935:
	v_cmp_lt_i16_e32 vcc_lo, 3, v20
	s_cbranch_vccz .LBB496_1937
; %bb.1936:
	v_trunc_f64_e32 v[6:7], v[4:5]
	s_mov_b32 s0, 0
	s_delay_alu instid0(VALU_DEP_1) | instskip(NEXT) | instid1(VALU_DEP_1)
	v_ldexp_f64 v[16:17], v[6:7], 0xffffffe0
	v_floor_f64_e32 v[16:17], v[16:17]
	s_delay_alu instid0(VALU_DEP_1) | instskip(SKIP_1) | instid1(VALU_DEP_2)
	v_fma_f64 v[6:7], 0xc1f00000, v[16:17], v[6:7]
	v_cvt_i32_f64_e32 v17, v[16:17]
	v_cvt_u32_f64_e32 v16, v[6:7]
	global_store_b64 v[0:1], v[16:17], off
.LBB496_1937:
	s_and_not1_b32 vcc_lo, exec_lo, s0
	s_cbranch_vccnz .LBB496_1939
; %bb.1938:
	v_cvt_i32_f64_e32 v3, v[4:5]
	global_store_b32 v[0:1], v3, off
.LBB496_1939:
	s_mov_b32 s0, 0
.LBB496_1940:
	s_delay_alu instid0(SALU_CYCLE_1)
	s_and_not1_b32 vcc_lo, exec_lo, s0
	s_cbranch_vccnz .LBB496_1942
; %bb.1941:
	v_cvt_i32_f64_e32 v3, v[4:5]
	global_store_b16 v[0:1], v3, off
.LBB496_1942:
	s_mov_b32 s0, 0
.LBB496_1943:
	s_delay_alu instid0(SALU_CYCLE_1)
	s_and_not1_b32 vcc_lo, exec_lo, s0
	s_cbranch_vccnz .LBB496_1948
; %bb.1944:
	v_cmp_lt_i16_e32 vcc_lo, 0, v20
	s_mov_b32 s0, -1
	s_cbranch_vccz .LBB496_1946
; %bb.1945:
	v_cvt_i32_f64_e32 v3, v[4:5]
	s_mov_b32 s0, 0
	global_store_b8 v[0:1], v3, off
.LBB496_1946:
	s_and_not1_b32 vcc_lo, exec_lo, s0
	s_cbranch_vccnz .LBB496_1948
; %bb.1947:
	v_trunc_f64_e32 v[3:4], v[4:5]
	s_delay_alu instid0(VALU_DEP_1) | instskip(NEXT) | instid1(VALU_DEP_1)
	v_ldexp_f64 v[5:6], v[3:4], 0xffffffe0
	v_floor_f64_e32 v[5:6], v[5:6]
	s_delay_alu instid0(VALU_DEP_1) | instskip(NEXT) | instid1(VALU_DEP_1)
	v_fma_f64 v[3:4], 0xc1f00000, v[5:6], v[3:4]
	v_cvt_u32_f64_e32 v3, v[3:4]
	global_store_b8 v[0:1], v3, off
.LBB496_1948:
	s_mov_b32 s3, -1
.LBB496_1949:
	s_delay_alu instid0(SALU_CYCLE_1)
	s_and_not1_b32 vcc_lo, exec_lo, s3
	s_cbranch_vccnz .LBB496_2145
; %bb.1950:
	v_add_nc_u32_e32 v2, s1, v2
	v_cmp_gt_i16_e32 vcc_lo, 11, v20
	s_delay_alu instid0(VALU_DEP_2) | instskip(SKIP_1) | instid1(VALU_DEP_1)
	v_ashrrev_i32_e32 v1, 31, v2
	v_add_co_u32 v0, s0, s4, v2
	v_add_co_ci_u32_e64 v1, s0, s5, v1, s0
	s_cbranch_vccnz .LBB496_2028
; %bb.1951:
	v_cmp_lt_i16_e32 vcc_lo, 25, v20
	s_mov_b32 s6, -1
	s_mov_b32 s2, 0
	s_mov_b32 s3, 0
	;; [unrolled: 1-line block ×3, first 2 shown]
	s_cbranch_vccz .LBB496_1984
; %bb.1952:
	v_cmp_lt_i16_e32 vcc_lo, 28, v20
	s_cbranch_vccz .LBB496_1967
; %bb.1953:
	v_cmp_lt_i16_e32 vcc_lo, 43, v20
	;; [unrolled: 3-line block ×3, first 2 shown]
	s_cbranch_vccz .LBB496_1957
; %bb.1955:
	v_cmp_eq_u16_e32 vcc_lo, 46, v20
	s_mov_b32 s0, -1
	s_mov_b32 s6, 0
	s_cbranch_vccz .LBB496_1957
; %bb.1956:
	v_cvt_f32_f64_e32 v3, v[10:11]
	v_cvt_f32_f64_e32 v4, v[8:9]
	s_mov_b32 s0, 0
	s_mov_b32 s3, -1
	s_delay_alu instid0(VALU_DEP_2) | instskip(NEXT) | instid1(VALU_DEP_2)
	v_bfe_u32 v5, v3, 16, 1
	v_bfe_u32 v6, v4, 16, 1
	v_cmp_o_f32_e32 vcc_lo, v3, v3
	s_delay_alu instid0(VALU_DEP_3) | instskip(NEXT) | instid1(VALU_DEP_3)
	v_add3_u32 v5, v3, v5, 0x7fff
	v_add3_u32 v6, v4, v6, 0x7fff
	s_delay_alu instid0(VALU_DEP_2) | instskip(NEXT) | instid1(VALU_DEP_2)
	v_and_b32_e32 v5, 0xffff0000, v5
	v_lshrrev_b32_e32 v6, 16, v6
	s_delay_alu instid0(VALU_DEP_2) | instskip(SKIP_1) | instid1(VALU_DEP_3)
	v_cndmask_b32_e32 v3, 0x7fc00000, v5, vcc_lo
	v_cmp_o_f32_e32 vcc_lo, v4, v4
	v_cndmask_b32_e32 v4, 0x7fc0, v6, vcc_lo
	s_delay_alu instid0(VALU_DEP_1)
	v_or_b32_e32 v3, v3, v4
	global_store_b32 v[0:1], v3, off
.LBB496_1957:
	s_and_b32 vcc_lo, exec_lo, s6
	s_cbranch_vccz .LBB496_1962
; %bb.1958:
	v_cmp_eq_u16_e32 vcc_lo, 44, v20
	s_mov_b32 s0, -1
	s_cbranch_vccz .LBB496_1962
; %bb.1959:
	v_cvt_f32_f64_e32 v3, v[8:9]
	v_mov_b32_e32 v4, 0xff
	s_mov_b32 s3, exec_lo
	s_delay_alu instid0(VALU_DEP_2) | instskip(NEXT) | instid1(VALU_DEP_1)
	v_bfe_u32 v5, v3, 23, 8
	v_cmpx_ne_u32_e32 0xff, v5
; %bb.1960:
	v_and_b32_e32 v4, 0x400000, v3
	v_and_or_b32 v5, 0x3fffff, v3, v5
	v_lshrrev_b32_e32 v3, 23, v3
	s_delay_alu instid0(VALU_DEP_3) | instskip(NEXT) | instid1(VALU_DEP_3)
	v_cmp_ne_u32_e32 vcc_lo, 0, v4
	v_cmp_ne_u32_e64 s0, 0, v5
	s_delay_alu instid0(VALU_DEP_1) | instskip(NEXT) | instid1(SALU_CYCLE_1)
	s_and_b32 s0, vcc_lo, s0
	v_cndmask_b32_e64 v4, 0, 1, s0
	s_delay_alu instid0(VALU_DEP_1)
	v_add_nc_u32_e32 v4, v3, v4
; %bb.1961:
	s_or_b32 exec_lo, exec_lo, s3
	s_mov_b32 s0, 0
	s_mov_b32 s3, -1
	global_store_b8 v[0:1], v4, off
.LBB496_1962:
	s_mov_b32 s6, 0
.LBB496_1963:
	s_delay_alu instid0(SALU_CYCLE_1)
	s_and_b32 vcc_lo, exec_lo, s6
	s_cbranch_vccz .LBB496_1966
; %bb.1964:
	v_cmp_eq_u16_e32 vcc_lo, 29, v20
	s_mov_b32 s0, -1
	s_cbranch_vccz .LBB496_1966
; %bb.1965:
	v_trunc_f64_e32 v[3:4], v[8:9]
	s_mov_b32 s0, 0
	s_mov_b32 s3, -1
	s_delay_alu instid0(VALU_DEP_1) | instskip(NEXT) | instid1(VALU_DEP_1)
	v_ldexp_f64 v[5:6], v[3:4], 0xffffffe0
	v_floor_f64_e32 v[5:6], v[5:6]
	s_delay_alu instid0(VALU_DEP_1) | instskip(SKIP_1) | instid1(VALU_DEP_2)
	v_fma_f64 v[3:4], 0xc1f00000, v[5:6], v[3:4]
	v_cvt_u32_f64_e32 v5, v[5:6]
	v_cvt_u32_f64_e32 v4, v[3:4]
	global_store_b64 v[0:1], v[4:5], off
.LBB496_1966:
	s_mov_b32 s6, 0
.LBB496_1967:
	s_delay_alu instid0(SALU_CYCLE_1)
	s_and_b32 vcc_lo, exec_lo, s6
	s_cbranch_vccz .LBB496_1983
; %bb.1968:
	v_cmp_gt_i16_e32 vcc_lo, 27, v20
	s_mov_b32 s3, -1
	s_cbranch_vccnz .LBB496_1974
; %bb.1969:
	v_cvt_u32_f64_e32 v3, v[8:9]
	v_cmp_lt_i16_e32 vcc_lo, 27, v20
	s_cbranch_vccz .LBB496_1971
; %bb.1970:
	s_mov_b32 s3, 0
	global_store_b32 v[0:1], v3, off
.LBB496_1971:
	s_and_not1_b32 vcc_lo, exec_lo, s3
	s_cbranch_vccnz .LBB496_1973
; %bb.1972:
	global_store_b16 v[0:1], v3, off
.LBB496_1973:
	s_mov_b32 s3, 0
.LBB496_1974:
	s_delay_alu instid0(SALU_CYCLE_1)
	s_and_not1_b32 vcc_lo, exec_lo, s3
	s_cbranch_vccnz .LBB496_1982
; %bb.1975:
	v_cvt_f32_f64_e32 v3, v[8:9]
	v_mov_b32_e32 v5, 0x80
	s_mov_b32 s3, exec_lo
	s_delay_alu instid0(VALU_DEP_2) | instskip(NEXT) | instid1(VALU_DEP_1)
	v_and_b32_e32 v4, 0x7fffffff, v3
	v_cmpx_gt_u32_e32 0x43800000, v4
	s_cbranch_execz .LBB496_1981
; %bb.1976:
	v_cmp_lt_u32_e32 vcc_lo, 0x3bffffff, v4
	s_mov_b32 s6, 0
                                        ; implicit-def: $vgpr4
	s_and_saveexec_b32 s7, vcc_lo
	s_delay_alu instid0(SALU_CYCLE_1)
	s_xor_b32 s7, exec_lo, s7
	s_cbranch_execz .LBB496_2165
; %bb.1977:
	v_bfe_u32 v4, v3, 20, 1
	s_mov_b32 s6, exec_lo
	s_delay_alu instid0(VALU_DEP_1) | instskip(NEXT) | instid1(VALU_DEP_1)
	v_add3_u32 v4, v3, v4, 0x487ffff
	v_lshrrev_b32_e32 v4, 20, v4
	s_or_saveexec_b32 s7, s7
                                        ; implicit-def: $sgpr8
	s_delay_alu instid0(SALU_CYCLE_1)
	s_xor_b32 exec_lo, exec_lo, s7
	s_cbranch_execnz .LBB496_2166
.LBB496_1978:
	s_or_b32 exec_lo, exec_lo, s7
	v_mov_b32_e32 v5, s8
	s_and_saveexec_b32 s7, s6
.LBB496_1979:
	v_lshrrev_b32_e32 v3, 24, v3
	s_delay_alu instid0(VALU_DEP_1)
	v_and_or_b32 v5, 0x80, v3, v4
.LBB496_1980:
	s_or_b32 exec_lo, exec_lo, s7
.LBB496_1981:
	s_delay_alu instid0(SALU_CYCLE_1)
	s_or_b32 exec_lo, exec_lo, s3
	global_store_b8 v[0:1], v5, off
.LBB496_1982:
	s_mov_b32 s3, -1
.LBB496_1983:
	s_mov_b32 s6, 0
.LBB496_1984:
	s_delay_alu instid0(SALU_CYCLE_1)
	s_and_b32 vcc_lo, exec_lo, s6
	s_cbranch_vccz .LBB496_2024
; %bb.1985:
	v_cmp_lt_i16_e32 vcc_lo, 22, v20
	s_mov_b32 s2, -1
	s_cbranch_vccz .LBB496_2017
; %bb.1986:
	v_cmp_gt_i16_e32 vcc_lo, 24, v20
	s_cbranch_vccnz .LBB496_2006
; %bb.1987:
	v_cmp_lt_i16_e32 vcc_lo, 24, v20
	s_cbranch_vccz .LBB496_1995
; %bb.1988:
	v_cvt_f32_f64_e32 v3, v[8:9]
	v_mov_b32_e32 v5, 0x80
	s_mov_b32 s2, exec_lo
	s_delay_alu instid0(VALU_DEP_2) | instskip(NEXT) | instid1(VALU_DEP_1)
	v_and_b32_e32 v4, 0x7fffffff, v3
	v_cmpx_gt_u32_e32 0x47800000, v4
	s_cbranch_execz .LBB496_1994
; %bb.1989:
	v_cmp_lt_u32_e32 vcc_lo, 0x37ffffff, v4
	s_mov_b32 s3, 0
                                        ; implicit-def: $vgpr4
	s_and_saveexec_b32 s6, vcc_lo
	s_delay_alu instid0(SALU_CYCLE_1)
	s_xor_b32 s6, exec_lo, s6
	s_cbranch_execz .LBB496_2171
; %bb.1990:
	v_bfe_u32 v4, v3, 21, 1
	s_mov_b32 s3, exec_lo
	s_delay_alu instid0(VALU_DEP_1) | instskip(NEXT) | instid1(VALU_DEP_1)
	v_add3_u32 v4, v3, v4, 0x88fffff
	v_lshrrev_b32_e32 v4, 21, v4
	s_or_saveexec_b32 s6, s6
                                        ; implicit-def: $sgpr7
	s_delay_alu instid0(SALU_CYCLE_1)
	s_xor_b32 exec_lo, exec_lo, s6
	s_cbranch_execnz .LBB496_2172
.LBB496_1991:
	s_or_b32 exec_lo, exec_lo, s6
	v_mov_b32_e32 v5, s7
	s_and_saveexec_b32 s6, s3
.LBB496_1992:
	v_lshrrev_b32_e32 v3, 24, v3
	s_delay_alu instid0(VALU_DEP_1)
	v_and_or_b32 v5, 0x80, v3, v4
.LBB496_1993:
	s_or_b32 exec_lo, exec_lo, s6
.LBB496_1994:
	s_delay_alu instid0(SALU_CYCLE_1)
	s_or_b32 exec_lo, exec_lo, s2
	s_mov_b32 s2, 0
	global_store_b8 v[0:1], v5, off
.LBB496_1995:
	s_and_b32 vcc_lo, exec_lo, s2
	s_cbranch_vccz .LBB496_2005
; %bb.1996:
	v_cvt_f32_f64_e32 v3, v[8:9]
	s_mov_b32 s2, exec_lo
                                        ; implicit-def: $vgpr4
	s_delay_alu instid0(VALU_DEP_1) | instskip(NEXT) | instid1(VALU_DEP_1)
	v_and_b32_e32 v5, 0x7fffffff, v3
	v_cmpx_gt_u32_e32 0x43f00000, v5
	s_xor_b32 s2, exec_lo, s2
	s_cbranch_execz .LBB496_2002
; %bb.1997:
	s_mov_b32 s3, exec_lo
                                        ; implicit-def: $vgpr4
	v_cmpx_lt_u32_e32 0x3c7fffff, v5
	s_xor_b32 s3, exec_lo, s3
; %bb.1998:
	v_bfe_u32 v4, v3, 20, 1
	s_delay_alu instid0(VALU_DEP_1) | instskip(NEXT) | instid1(VALU_DEP_1)
	v_add3_u32 v4, v3, v4, 0x407ffff
	v_and_b32_e32 v5, 0xff00000, v4
	v_lshrrev_b32_e32 v4, 20, v4
	s_delay_alu instid0(VALU_DEP_2) | instskip(NEXT) | instid1(VALU_DEP_2)
	v_cmp_ne_u32_e32 vcc_lo, 0x7f00000, v5
	v_cndmask_b32_e32 v4, 0x7e, v4, vcc_lo
; %bb.1999:
	s_and_not1_saveexec_b32 s3, s3
; %bb.2000:
	v_add_f32_e64 v4, 0x46800000, |v3|
; %bb.2001:
	s_or_b32 exec_lo, exec_lo, s3
                                        ; implicit-def: $vgpr5
.LBB496_2002:
	s_and_not1_saveexec_b32 s2, s2
; %bb.2003:
	v_mov_b32_e32 v4, 0x7f
	v_cmp_lt_u32_e32 vcc_lo, 0x7f800000, v5
	s_delay_alu instid0(VALU_DEP_2)
	v_cndmask_b32_e32 v4, 0x7e, v4, vcc_lo
; %bb.2004:
	s_or_b32 exec_lo, exec_lo, s2
	v_lshrrev_b32_e32 v3, 24, v3
	s_delay_alu instid0(VALU_DEP_1)
	v_and_or_b32 v3, 0x80, v3, v4
	global_store_b8 v[0:1], v3, off
.LBB496_2005:
	s_mov_b32 s2, 0
.LBB496_2006:
	s_delay_alu instid0(SALU_CYCLE_1)
	s_and_not1_b32 vcc_lo, exec_lo, s2
	s_cbranch_vccnz .LBB496_2016
; %bb.2007:
	v_cvt_f32_f64_e32 v3, v[8:9]
	s_mov_b32 s2, exec_lo
                                        ; implicit-def: $vgpr4
	s_delay_alu instid0(VALU_DEP_1) | instskip(NEXT) | instid1(VALU_DEP_1)
	v_and_b32_e32 v5, 0x7fffffff, v3
	v_cmpx_gt_u32_e32 0x47800000, v5
	s_xor_b32 s2, exec_lo, s2
	s_cbranch_execz .LBB496_2013
; %bb.2008:
	s_mov_b32 s3, exec_lo
                                        ; implicit-def: $vgpr4
	v_cmpx_lt_u32_e32 0x387fffff, v5
	s_xor_b32 s3, exec_lo, s3
; %bb.2009:
	v_bfe_u32 v4, v3, 21, 1
	s_delay_alu instid0(VALU_DEP_1) | instskip(NEXT) | instid1(VALU_DEP_1)
	v_add3_u32 v4, v3, v4, 0x80fffff
	v_lshrrev_b32_e32 v4, 21, v4
; %bb.2010:
	s_and_not1_saveexec_b32 s3, s3
; %bb.2011:
	v_add_f32_e64 v4, 0x43000000, |v3|
; %bb.2012:
	s_or_b32 exec_lo, exec_lo, s3
                                        ; implicit-def: $vgpr5
.LBB496_2013:
	s_and_not1_saveexec_b32 s2, s2
; %bb.2014:
	v_mov_b32_e32 v4, 0x7f
	v_cmp_lt_u32_e32 vcc_lo, 0x7f800000, v5
	s_delay_alu instid0(VALU_DEP_2)
	v_cndmask_b32_e32 v4, 0x7c, v4, vcc_lo
; %bb.2015:
	s_or_b32 exec_lo, exec_lo, s2
	v_lshrrev_b32_e32 v3, 24, v3
	s_delay_alu instid0(VALU_DEP_1)
	v_and_or_b32 v3, 0x80, v3, v4
	global_store_b8 v[0:1], v3, off
.LBB496_2016:
	s_mov_b32 s2, 0
	s_mov_b32 s3, -1
.LBB496_2017:
	s_and_not1_b32 vcc_lo, exec_lo, s2
	s_mov_b32 s2, 0
	s_cbranch_vccnz .LBB496_2024
; %bb.2018:
	v_cmp_lt_i16_e32 vcc_lo, 14, v20
	s_mov_b32 s2, -1
	s_cbranch_vccz .LBB496_2022
; %bb.2019:
	v_cmp_eq_u16_e32 vcc_lo, 15, v20
	s_mov_b32 s0, -1
	s_cbranch_vccz .LBB496_2021
; %bb.2020:
	v_cvt_f32_f64_e32 v3, v[8:9]
	s_mov_b32 s0, 0
	s_mov_b32 s3, -1
	s_delay_alu instid0(VALU_DEP_1) | instskip(SKIP_1) | instid1(VALU_DEP_2)
	v_bfe_u32 v4, v3, 16, 1
	v_cmp_o_f32_e32 vcc_lo, v3, v3
	v_add3_u32 v4, v3, v4, 0x7fff
	s_delay_alu instid0(VALU_DEP_1) | instskip(NEXT) | instid1(VALU_DEP_1)
	v_lshrrev_b32_e32 v4, 16, v4
	v_cndmask_b32_e32 v3, 0x7fc0, v4, vcc_lo
	global_store_b16 v[0:1], v3, off
.LBB496_2021:
	s_mov_b32 s2, 0
.LBB496_2022:
	s_delay_alu instid0(SALU_CYCLE_1)
	s_and_b32 vcc_lo, exec_lo, s2
	s_mov_b32 s2, 0
	s_cbranch_vccz .LBB496_2024
; %bb.2023:
	v_cmp_ne_u16_e64 s0, 11, v20
	s_mov_b32 s2, -1
.LBB496_2024:
	s_delay_alu instid0(VALU_DEP_1)
	s_and_b32 vcc_lo, exec_lo, s0
	s_cbranch_vccnz .LBB496_2169
; %bb.2025:
	s_and_not1_b32 vcc_lo, exec_lo, s2
	s_cbranch_vccnz .LBB496_2027
.LBB496_2026:
	v_cmp_neq_f64_e32 vcc_lo, 0, v[8:9]
	v_cmp_neq_f64_e64 s0, 0, v[10:11]
	s_mov_b32 s3, -1
	s_delay_alu instid0(VALU_DEP_1) | instskip(NEXT) | instid1(SALU_CYCLE_1)
	s_or_b32 s0, vcc_lo, s0
	v_cndmask_b32_e64 v3, 0, 1, s0
	global_store_b8 v[0:1], v3, off
.LBB496_2027:
	s_mov_b32 s0, 0
	s_branch .LBB496_2029
.LBB496_2028:
	s_mov_b32 s0, -1
	s_mov_b32 s3, 0
.LBB496_2029:
	s_and_b32 vcc_lo, exec_lo, s0
	s_cbranch_vccz .LBB496_2068
; %bb.2030:
	v_cmp_gt_i16_e32 vcc_lo, 5, v20
	s_mov_b32 s0, -1
	s_cbranch_vccnz .LBB496_2051
; %bb.2031:
	v_cmp_gt_i16_e32 vcc_lo, 8, v20
	s_cbranch_vccnz .LBB496_2041
; %bb.2032:
	v_cmp_gt_i16_e32 vcc_lo, 9, v20
	s_cbranch_vccnz .LBB496_2038
; %bb.2033:
	v_cmp_lt_i16_e32 vcc_lo, 9, v20
	s_cbranch_vccz .LBB496_2035
; %bb.2034:
	s_mov_b32 s0, 0
	global_store_b128 v[0:1], v[8:11], off
.LBB496_2035:
	s_and_not1_b32 vcc_lo, exec_lo, s0
	s_cbranch_vccnz .LBB496_2037
; %bb.2036:
	v_cvt_f32_f64_e32 v3, v[8:9]
	v_cvt_f32_f64_e32 v4, v[10:11]
	global_store_b64 v[0:1], v[3:4], off
.LBB496_2037:
	s_mov_b32 s0, 0
.LBB496_2038:
	s_delay_alu instid0(SALU_CYCLE_1)
	s_and_not1_b32 vcc_lo, exec_lo, s0
	s_cbranch_vccnz .LBB496_2040
; %bb.2039:
	v_cvt_f32_f64_e32 v3, v[10:11]
	v_cvt_f32_f64_e32 v4, v[8:9]
	s_delay_alu instid0(VALU_DEP_2) | instskip(NEXT) | instid1(VALU_DEP_2)
	v_cvt_f16_f32_e32 v3, v3
	v_cvt_f16_f32_e32 v4, v4
	s_delay_alu instid0(VALU_DEP_2) | instskip(NEXT) | instid1(VALU_DEP_2)
	v_lshlrev_b32_e32 v3, 16, v3
	v_and_b32_e32 v4, 0xffff, v4
	s_delay_alu instid0(VALU_DEP_1)
	v_or_b32_e32 v3, v3, v4
	global_store_b32 v[0:1], v3, off
.LBB496_2040:
	s_mov_b32 s0, 0
.LBB496_2041:
	s_delay_alu instid0(SALU_CYCLE_1)
	s_and_not1_b32 vcc_lo, exec_lo, s0
	s_cbranch_vccnz .LBB496_2050
; %bb.2042:
	v_cmp_gt_i16_e32 vcc_lo, 6, v20
	s_mov_b32 s0, -1
	s_cbranch_vccnz .LBB496_2048
; %bb.2043:
	v_cmp_lt_i16_e32 vcc_lo, 6, v20
	s_cbranch_vccz .LBB496_2045
; %bb.2044:
	s_mov_b32 s0, 0
	global_store_b64 v[0:1], v[8:9], off
.LBB496_2045:
	s_and_not1_b32 vcc_lo, exec_lo, s0
	s_cbranch_vccnz .LBB496_2047
; %bb.2046:
	v_cvt_f32_f64_e32 v3, v[8:9]
	global_store_b32 v[0:1], v3, off
.LBB496_2047:
	s_mov_b32 s0, 0
.LBB496_2048:
	s_delay_alu instid0(SALU_CYCLE_1)
	s_and_not1_b32 vcc_lo, exec_lo, s0
	s_cbranch_vccnz .LBB496_2050
; %bb.2049:
	v_cvt_f32_f64_e32 v3, v[8:9]
	s_delay_alu instid0(VALU_DEP_1)
	v_cvt_f16_f32_e32 v3, v3
	global_store_b16 v[0:1], v3, off
.LBB496_2050:
	s_mov_b32 s0, 0
.LBB496_2051:
	s_delay_alu instid0(SALU_CYCLE_1)
	s_and_not1_b32 vcc_lo, exec_lo, s0
	s_cbranch_vccnz .LBB496_2067
; %bb.2052:
	v_cmp_gt_i16_e32 vcc_lo, 2, v20
	s_mov_b32 s0, -1
	s_cbranch_vccnz .LBB496_2062
; %bb.2053:
	v_cmp_gt_i16_e32 vcc_lo, 3, v20
	s_cbranch_vccnz .LBB496_2059
; %bb.2054:
	v_cmp_lt_i16_e32 vcc_lo, 3, v20
	s_cbranch_vccz .LBB496_2056
; %bb.2055:
	v_trunc_f64_e32 v[3:4], v[8:9]
	s_mov_b32 s0, 0
	s_delay_alu instid0(VALU_DEP_1) | instskip(NEXT) | instid1(VALU_DEP_1)
	v_ldexp_f64 v[5:6], v[3:4], 0xffffffe0
	v_floor_f64_e32 v[5:6], v[5:6]
	s_delay_alu instid0(VALU_DEP_1) | instskip(SKIP_1) | instid1(VALU_DEP_2)
	v_fma_f64 v[3:4], 0xc1f00000, v[5:6], v[3:4]
	v_cvt_i32_f64_e32 v5, v[5:6]
	v_cvt_u32_f64_e32 v4, v[3:4]
	global_store_b64 v[0:1], v[4:5], off
.LBB496_2056:
	s_and_not1_b32 vcc_lo, exec_lo, s0
	s_cbranch_vccnz .LBB496_2058
; %bb.2057:
	v_cvt_i32_f64_e32 v3, v[8:9]
	global_store_b32 v[0:1], v3, off
.LBB496_2058:
	s_mov_b32 s0, 0
.LBB496_2059:
	s_delay_alu instid0(SALU_CYCLE_1)
	s_and_not1_b32 vcc_lo, exec_lo, s0
	s_cbranch_vccnz .LBB496_2061
; %bb.2060:
	v_cvt_i32_f64_e32 v3, v[8:9]
	global_store_b16 v[0:1], v3, off
.LBB496_2061:
	s_mov_b32 s0, 0
.LBB496_2062:
	s_delay_alu instid0(SALU_CYCLE_1)
	s_and_not1_b32 vcc_lo, exec_lo, s0
	s_cbranch_vccnz .LBB496_2067
; %bb.2063:
	v_cmp_lt_i16_e32 vcc_lo, 0, v20
	s_mov_b32 s0, -1
	s_cbranch_vccz .LBB496_2065
; %bb.2064:
	v_cvt_i32_f64_e32 v3, v[8:9]
	s_mov_b32 s0, 0
	global_store_b8 v[0:1], v3, off
.LBB496_2065:
	s_and_not1_b32 vcc_lo, exec_lo, s0
	s_cbranch_vccnz .LBB496_2067
; %bb.2066:
	v_trunc_f64_e32 v[3:4], v[8:9]
	s_delay_alu instid0(VALU_DEP_1) | instskip(NEXT) | instid1(VALU_DEP_1)
	v_ldexp_f64 v[5:6], v[3:4], 0xffffffe0
	v_floor_f64_e32 v[5:6], v[5:6]
	s_delay_alu instid0(VALU_DEP_1) | instskip(NEXT) | instid1(VALU_DEP_1)
	v_fma_f64 v[3:4], 0xc1f00000, v[5:6], v[3:4]
	v_cvt_u32_f64_e32 v3, v[3:4]
	global_store_b8 v[0:1], v3, off
.LBB496_2067:
	s_mov_b32 s3, -1
.LBB496_2068:
	s_delay_alu instid0(SALU_CYCLE_1)
	s_and_not1_b32 vcc_lo, exec_lo, s3
	s_cbranch_vccnz .LBB496_2145
; %bb.2069:
	v_add_nc_u32_e32 v0, s1, v2
	v_cmp_gt_i16_e32 vcc_lo, 11, v20
	s_delay_alu instid0(VALU_DEP_2) | instskip(SKIP_1) | instid1(VALU_DEP_1)
	v_ashrrev_i32_e32 v1, 31, v0
	v_add_co_u32 v0, s0, s4, v0
	v_add_co_ci_u32_e64 v1, s0, s5, v1, s0
	s_cbranch_vccnz .LBB496_2146
; %bb.2070:
	v_cmp_lt_i16_e32 vcc_lo, 25, v20
	s_mov_b32 s2, -1
	s_mov_b32 s1, 0
	s_mov_b32 s0, 0
	s_cbranch_vccz .LBB496_2103
; %bb.2071:
	v_cmp_lt_i16_e32 vcc_lo, 28, v20
	s_cbranch_vccz .LBB496_2087
; %bb.2072:
	v_cmp_lt_i16_e32 vcc_lo, 43, v20
	;; [unrolled: 3-line block ×3, first 2 shown]
	s_cbranch_vccz .LBB496_2077
; %bb.2074:
	v_cmp_eq_u16_e32 vcc_lo, 46, v20
	s_mov_b32 s0, -1
	s_cbranch_vccz .LBB496_2076
; %bb.2075:
	v_cvt_f32_f64_e32 v2, v[14:15]
	v_cvt_f32_f64_e32 v3, v[12:13]
	s_mov_b32 s0, 0
	s_delay_alu instid0(VALU_DEP_2) | instskip(NEXT) | instid1(VALU_DEP_2)
	v_bfe_u32 v4, v2, 16, 1
	v_bfe_u32 v5, v3, 16, 1
	v_cmp_o_f32_e32 vcc_lo, v2, v2
	s_delay_alu instid0(VALU_DEP_3) | instskip(NEXT) | instid1(VALU_DEP_3)
	v_add3_u32 v4, v2, v4, 0x7fff
	v_add3_u32 v5, v3, v5, 0x7fff
	s_delay_alu instid0(VALU_DEP_2) | instskip(NEXT) | instid1(VALU_DEP_2)
	v_and_b32_e32 v4, 0xffff0000, v4
	v_lshrrev_b32_e32 v5, 16, v5
	s_delay_alu instid0(VALU_DEP_2) | instskip(SKIP_1) | instid1(VALU_DEP_3)
	v_cndmask_b32_e32 v2, 0x7fc00000, v4, vcc_lo
	v_cmp_o_f32_e32 vcc_lo, v3, v3
	v_cndmask_b32_e32 v3, 0x7fc0, v5, vcc_lo
	s_delay_alu instid0(VALU_DEP_1)
	v_or_b32_e32 v2, v2, v3
	global_store_b32 v[0:1], v2, off
.LBB496_2076:
	s_mov_b32 s2, 0
.LBB496_2077:
	s_delay_alu instid0(SALU_CYCLE_1)
	s_and_b32 vcc_lo, exec_lo, s2
	s_cbranch_vccz .LBB496_2082
; %bb.2078:
	v_cmp_eq_u16_e32 vcc_lo, 44, v20
	s_mov_b32 s0, -1
	s_cbranch_vccz .LBB496_2082
; %bb.2079:
	v_cvt_f32_f64_e32 v2, v[12:13]
	v_mov_b32_e32 v3, 0xff
	s_mov_b32 s2, exec_lo
	s_delay_alu instid0(VALU_DEP_2) | instskip(NEXT) | instid1(VALU_DEP_1)
	v_bfe_u32 v4, v2, 23, 8
	v_cmpx_ne_u32_e32 0xff, v4
; %bb.2080:
	v_and_b32_e32 v3, 0x400000, v2
	v_and_or_b32 v4, 0x3fffff, v2, v4
	v_lshrrev_b32_e32 v2, 23, v2
	s_delay_alu instid0(VALU_DEP_3) | instskip(NEXT) | instid1(VALU_DEP_3)
	v_cmp_ne_u32_e32 vcc_lo, 0, v3
	v_cmp_ne_u32_e64 s0, 0, v4
	s_delay_alu instid0(VALU_DEP_1) | instskip(NEXT) | instid1(SALU_CYCLE_1)
	s_and_b32 s0, vcc_lo, s0
	v_cndmask_b32_e64 v3, 0, 1, s0
	s_delay_alu instid0(VALU_DEP_1)
	v_add_nc_u32_e32 v3, v2, v3
; %bb.2081:
	s_or_b32 exec_lo, exec_lo, s2
	s_mov_b32 s0, 0
	global_store_b8 v[0:1], v3, off
.LBB496_2082:
	s_mov_b32 s2, 0
.LBB496_2083:
	s_delay_alu instid0(SALU_CYCLE_1)
	s_and_b32 vcc_lo, exec_lo, s2
	s_cbranch_vccz .LBB496_2086
; %bb.2084:
	v_cmp_eq_u16_e32 vcc_lo, 29, v20
	s_mov_b32 s0, -1
	s_cbranch_vccz .LBB496_2086
; %bb.2085:
	v_trunc_f64_e32 v[2:3], v[12:13]
	s_mov_b32 s0, 0
	s_delay_alu instid0(VALU_DEP_1) | instskip(NEXT) | instid1(VALU_DEP_1)
	v_ldexp_f64 v[4:5], v[2:3], 0xffffffe0
	v_floor_f64_e32 v[4:5], v[4:5]
	s_delay_alu instid0(VALU_DEP_1) | instskip(SKIP_1) | instid1(VALU_DEP_2)
	v_fma_f64 v[2:3], 0xc1f00000, v[4:5], v[2:3]
	v_cvt_u32_f64_e32 v4, v[4:5]
	v_cvt_u32_f64_e32 v3, v[2:3]
	global_store_b64 v[0:1], v[3:4], off
.LBB496_2086:
	s_mov_b32 s2, 0
.LBB496_2087:
	s_delay_alu instid0(SALU_CYCLE_1)
	s_and_b32 vcc_lo, exec_lo, s2
	s_cbranch_vccz .LBB496_2102
; %bb.2088:
	v_cmp_gt_i16_e32 vcc_lo, 27, v20
	s_mov_b32 s2, -1
	s_cbranch_vccnz .LBB496_2094
; %bb.2089:
	v_cvt_u32_f64_e32 v2, v[12:13]
	v_cmp_lt_i16_e32 vcc_lo, 27, v20
	s_cbranch_vccz .LBB496_2091
; %bb.2090:
	s_mov_b32 s2, 0
	global_store_b32 v[0:1], v2, off
.LBB496_2091:
	s_and_not1_b32 vcc_lo, exec_lo, s2
	s_cbranch_vccnz .LBB496_2093
; %bb.2092:
	global_store_b16 v[0:1], v2, off
.LBB496_2093:
	s_mov_b32 s2, 0
.LBB496_2094:
	s_delay_alu instid0(SALU_CYCLE_1)
	s_and_not1_b32 vcc_lo, exec_lo, s2
	s_cbranch_vccnz .LBB496_2102
; %bb.2095:
	v_cvt_f32_f64_e32 v2, v[12:13]
	v_mov_b32_e32 v4, 0x80
	s_mov_b32 s2, exec_lo
	s_delay_alu instid0(VALU_DEP_2) | instskip(NEXT) | instid1(VALU_DEP_1)
	v_and_b32_e32 v3, 0x7fffffff, v2
	v_cmpx_gt_u32_e32 0x43800000, v3
	s_cbranch_execz .LBB496_2101
; %bb.2096:
	v_cmp_lt_u32_e32 vcc_lo, 0x3bffffff, v3
	s_mov_b32 s3, 0
                                        ; implicit-def: $vgpr3
	s_and_saveexec_b32 s4, vcc_lo
	s_delay_alu instid0(SALU_CYCLE_1)
	s_xor_b32 s4, exec_lo, s4
	s_cbranch_execz .LBB496_2173
; %bb.2097:
	v_bfe_u32 v3, v2, 20, 1
	s_mov_b32 s3, exec_lo
	s_delay_alu instid0(VALU_DEP_1) | instskip(NEXT) | instid1(VALU_DEP_1)
	v_add3_u32 v3, v2, v3, 0x487ffff
	v_lshrrev_b32_e32 v3, 20, v3
	s_or_saveexec_b32 s4, s4
                                        ; implicit-def: $sgpr5
	s_delay_alu instid0(SALU_CYCLE_1)
	s_xor_b32 exec_lo, exec_lo, s4
	s_cbranch_execnz .LBB496_2174
.LBB496_2098:
	s_or_b32 exec_lo, exec_lo, s4
	v_mov_b32_e32 v4, s5
	s_and_saveexec_b32 s4, s3
.LBB496_2099:
	v_lshrrev_b32_e32 v2, 24, v2
	s_delay_alu instid0(VALU_DEP_1)
	v_and_or_b32 v4, 0x80, v2, v3
.LBB496_2100:
	s_or_b32 exec_lo, exec_lo, s4
.LBB496_2101:
	s_delay_alu instid0(SALU_CYCLE_1)
	s_or_b32 exec_lo, exec_lo, s2
	global_store_b8 v[0:1], v4, off
.LBB496_2102:
	s_mov_b32 s2, 0
.LBB496_2103:
	s_delay_alu instid0(SALU_CYCLE_1)
	s_and_b32 vcc_lo, exec_lo, s2
	s_cbranch_vccz .LBB496_2143
; %bb.2104:
	v_cmp_lt_i16_e32 vcc_lo, 22, v20
	s_mov_b32 s1, -1
	s_cbranch_vccz .LBB496_2136
; %bb.2105:
	v_cmp_gt_i16_e32 vcc_lo, 24, v20
	s_cbranch_vccnz .LBB496_2125
; %bb.2106:
	v_cmp_lt_i16_e32 vcc_lo, 24, v20
	s_cbranch_vccz .LBB496_2114
; %bb.2107:
	v_cvt_f32_f64_e32 v2, v[12:13]
	v_mov_b32_e32 v4, 0x80
	s_mov_b32 s1, exec_lo
	s_delay_alu instid0(VALU_DEP_2) | instskip(NEXT) | instid1(VALU_DEP_1)
	v_and_b32_e32 v3, 0x7fffffff, v2
	v_cmpx_gt_u32_e32 0x47800000, v3
	s_cbranch_execz .LBB496_2113
; %bb.2108:
	v_cmp_lt_u32_e32 vcc_lo, 0x37ffffff, v3
	s_mov_b32 s2, 0
                                        ; implicit-def: $vgpr3
	s_and_saveexec_b32 s3, vcc_lo
	s_delay_alu instid0(SALU_CYCLE_1)
	s_xor_b32 s3, exec_lo, s3
	s_cbranch_execz .LBB496_2179
; %bb.2109:
	v_bfe_u32 v3, v2, 21, 1
	s_mov_b32 s2, exec_lo
	s_delay_alu instid0(VALU_DEP_1) | instskip(NEXT) | instid1(VALU_DEP_1)
	v_add3_u32 v3, v2, v3, 0x88fffff
	v_lshrrev_b32_e32 v3, 21, v3
	s_or_saveexec_b32 s3, s3
                                        ; implicit-def: $sgpr4
	s_delay_alu instid0(SALU_CYCLE_1)
	s_xor_b32 exec_lo, exec_lo, s3
	s_cbranch_execnz .LBB496_2180
.LBB496_2110:
	s_or_b32 exec_lo, exec_lo, s3
	v_mov_b32_e32 v4, s4
	s_and_saveexec_b32 s3, s2
.LBB496_2111:
	v_lshrrev_b32_e32 v2, 24, v2
	s_delay_alu instid0(VALU_DEP_1)
	v_and_or_b32 v4, 0x80, v2, v3
.LBB496_2112:
	s_or_b32 exec_lo, exec_lo, s3
.LBB496_2113:
	s_delay_alu instid0(SALU_CYCLE_1)
	s_or_b32 exec_lo, exec_lo, s1
	s_mov_b32 s1, 0
	global_store_b8 v[0:1], v4, off
.LBB496_2114:
	s_and_b32 vcc_lo, exec_lo, s1
	s_cbranch_vccz .LBB496_2124
; %bb.2115:
	v_cvt_f32_f64_e32 v2, v[12:13]
	s_mov_b32 s1, exec_lo
                                        ; implicit-def: $vgpr3
	s_delay_alu instid0(VALU_DEP_1) | instskip(NEXT) | instid1(VALU_DEP_1)
	v_and_b32_e32 v4, 0x7fffffff, v2
	v_cmpx_gt_u32_e32 0x43f00000, v4
	s_xor_b32 s1, exec_lo, s1
	s_cbranch_execz .LBB496_2121
; %bb.2116:
	s_mov_b32 s2, exec_lo
                                        ; implicit-def: $vgpr3
	v_cmpx_lt_u32_e32 0x3c7fffff, v4
	s_xor_b32 s2, exec_lo, s2
; %bb.2117:
	v_bfe_u32 v3, v2, 20, 1
	s_delay_alu instid0(VALU_DEP_1) | instskip(NEXT) | instid1(VALU_DEP_1)
	v_add3_u32 v3, v2, v3, 0x407ffff
	v_and_b32_e32 v4, 0xff00000, v3
	v_lshrrev_b32_e32 v3, 20, v3
	s_delay_alu instid0(VALU_DEP_2) | instskip(NEXT) | instid1(VALU_DEP_2)
	v_cmp_ne_u32_e32 vcc_lo, 0x7f00000, v4
	v_cndmask_b32_e32 v3, 0x7e, v3, vcc_lo
; %bb.2118:
	s_and_not1_saveexec_b32 s2, s2
; %bb.2119:
	v_add_f32_e64 v3, 0x46800000, |v2|
; %bb.2120:
	s_or_b32 exec_lo, exec_lo, s2
                                        ; implicit-def: $vgpr4
.LBB496_2121:
	s_and_not1_saveexec_b32 s1, s1
; %bb.2122:
	v_mov_b32_e32 v3, 0x7f
	v_cmp_lt_u32_e32 vcc_lo, 0x7f800000, v4
	s_delay_alu instid0(VALU_DEP_2)
	v_cndmask_b32_e32 v3, 0x7e, v3, vcc_lo
; %bb.2123:
	s_or_b32 exec_lo, exec_lo, s1
	v_lshrrev_b32_e32 v2, 24, v2
	s_delay_alu instid0(VALU_DEP_1)
	v_and_or_b32 v2, 0x80, v2, v3
	global_store_b8 v[0:1], v2, off
.LBB496_2124:
	s_mov_b32 s1, 0
.LBB496_2125:
	s_delay_alu instid0(SALU_CYCLE_1)
	s_and_not1_b32 vcc_lo, exec_lo, s1
	s_cbranch_vccnz .LBB496_2135
; %bb.2126:
	v_cvt_f32_f64_e32 v2, v[12:13]
	s_mov_b32 s1, exec_lo
                                        ; implicit-def: $vgpr3
	s_delay_alu instid0(VALU_DEP_1) | instskip(NEXT) | instid1(VALU_DEP_1)
	v_and_b32_e32 v4, 0x7fffffff, v2
	v_cmpx_gt_u32_e32 0x47800000, v4
	s_xor_b32 s1, exec_lo, s1
	s_cbranch_execz .LBB496_2132
; %bb.2127:
	s_mov_b32 s2, exec_lo
                                        ; implicit-def: $vgpr3
	v_cmpx_lt_u32_e32 0x387fffff, v4
	s_xor_b32 s2, exec_lo, s2
; %bb.2128:
	v_bfe_u32 v3, v2, 21, 1
	s_delay_alu instid0(VALU_DEP_1) | instskip(NEXT) | instid1(VALU_DEP_1)
	v_add3_u32 v3, v2, v3, 0x80fffff
	v_lshrrev_b32_e32 v3, 21, v3
; %bb.2129:
	s_and_not1_saveexec_b32 s2, s2
; %bb.2130:
	v_add_f32_e64 v3, 0x43000000, |v2|
; %bb.2131:
	s_or_b32 exec_lo, exec_lo, s2
                                        ; implicit-def: $vgpr4
.LBB496_2132:
	s_and_not1_saveexec_b32 s1, s1
; %bb.2133:
	v_mov_b32_e32 v3, 0x7f
	v_cmp_lt_u32_e32 vcc_lo, 0x7f800000, v4
	s_delay_alu instid0(VALU_DEP_2)
	v_cndmask_b32_e32 v3, 0x7c, v3, vcc_lo
; %bb.2134:
	s_or_b32 exec_lo, exec_lo, s1
	v_lshrrev_b32_e32 v2, 24, v2
	s_delay_alu instid0(VALU_DEP_1)
	v_and_or_b32 v2, 0x80, v2, v3
	global_store_b8 v[0:1], v2, off
.LBB496_2135:
	s_mov_b32 s1, 0
.LBB496_2136:
	s_delay_alu instid0(SALU_CYCLE_1)
	s_and_not1_b32 vcc_lo, exec_lo, s1
	s_mov_b32 s1, 0
	s_cbranch_vccnz .LBB496_2143
; %bb.2137:
	v_cmp_lt_i16_e32 vcc_lo, 14, v20
	s_mov_b32 s1, -1
	s_cbranch_vccz .LBB496_2141
; %bb.2138:
	v_cmp_eq_u16_e32 vcc_lo, 15, v20
	s_mov_b32 s0, -1
	s_cbranch_vccz .LBB496_2140
; %bb.2139:
	v_cvt_f32_f64_e32 v2, v[12:13]
	s_mov_b32 s0, 0
	s_delay_alu instid0(VALU_DEP_1) | instskip(SKIP_1) | instid1(VALU_DEP_2)
	v_bfe_u32 v3, v2, 16, 1
	v_cmp_o_f32_e32 vcc_lo, v2, v2
	v_add3_u32 v3, v2, v3, 0x7fff
	s_delay_alu instid0(VALU_DEP_1) | instskip(NEXT) | instid1(VALU_DEP_1)
	v_lshrrev_b32_e32 v3, 16, v3
	v_cndmask_b32_e32 v2, 0x7fc0, v3, vcc_lo
	global_store_b16 v[0:1], v2, off
.LBB496_2140:
	s_mov_b32 s1, 0
.LBB496_2141:
	s_delay_alu instid0(SALU_CYCLE_1)
	s_and_b32 vcc_lo, exec_lo, s1
	s_mov_b32 s1, 0
	s_cbranch_vccz .LBB496_2143
; %bb.2142:
	v_cmp_ne_u16_e64 s0, 11, v20
	s_mov_b32 s1, -1
.LBB496_2143:
	s_delay_alu instid0(VALU_DEP_1)
	s_and_b32 vcc_lo, exec_lo, s0
	s_cbranch_vccnz .LBB496_2177
.LBB496_2144:
	s_mov_b32 s0, 0
	s_branch .LBB496_1746
.LBB496_2145:
	s_mov_b32 s0, 0
	s_mov_b32 s1, 0
                                        ; implicit-def: $vgpr20
                                        ; implicit-def: $vgpr0_vgpr1
	s_branch .LBB496_1746
.LBB496_2146:
	s_mov_b32 s1, 0
	s_mov_b32 s0, -1
	s_branch .LBB496_1746
.LBB496_2147:
	s_cbranch_execnz .LBB496_2151
; %bb.2148:
	s_or_b32 s17, s17, exec_lo
                                        ; implicit-def: $vgpr16_vgpr17
	s_cbranch_execz .LBB496_1605
	s_branch .LBB496_1606
.LBB496_2149:
	s_or_saveexec_b32 s7, s7
                                        ; implicit-def: $sgpr8
	s_delay_alu instid0(SALU_CYCLE_1)
	s_xor_b32 exec_lo, exec_lo, s7
	s_cbranch_execz .LBB496_1695
.LBB496_2150:
	v_add_f32_e64 v21, 0x46000000, |v19|
	s_and_not1_b32 s6, s6, exec_lo
	s_mov_b32 s8, 0
	s_delay_alu instid0(VALU_DEP_1) | instskip(NEXT) | instid1(VALU_DEP_1)
	v_and_b32_e32 v21, 0xff, v21
	v_cmp_ne_u32_e32 vcc_lo, 0, v21
	s_and_b32 s9, vcc_lo, exec_lo
	s_delay_alu instid0(SALU_CYCLE_1)
	s_or_b32 s6, s6, s9
	s_or_b32 exec_lo, exec_lo, s7
	v_mov_b32_e32 v22, s8
	s_and_saveexec_b32 s7, s6
	s_cbranch_execnz .LBB496_1696
	s_branch .LBB496_1697
.LBB496_2151:
	s_trap 2
	s_sendmsg_rtn_b32 s0, sendmsg(MSG_RTN_GET_DOORBELL)
	s_mov_b32 ttmp2, m0
	s_waitcnt lgkmcnt(0)
	s_and_b32 s0, s0, 0x3ff
	s_delay_alu instid0(SALU_CYCLE_1) | instskip(NEXT) | instid1(SALU_CYCLE_1)
	s_bitset1_b32 s0, 10
	s_mov_b32 m0, s0
	s_sendmsg sendmsg(MSG_INTERRUPT)
	s_mov_b32 m0, ttmp2
.LBB496_2152:                           ; =>This Inner Loop Header: Depth=1
	s_sethalt 5
	s_branch .LBB496_2152
.LBB496_2153:
	s_cbranch_execnz .LBB496_2159
; %bb.2154:
	s_or_b32 s17, s17, exec_lo
	s_cbranch_execz .LBB496_1743
	s_branch .LBB496_1744
.LBB496_2155:
	s_or_saveexec_b32 s6, s6
                                        ; implicit-def: $sgpr7
	s_delay_alu instid0(SALU_CYCLE_1)
	s_xor_b32 exec_lo, exec_lo, s6
	s_cbranch_execz .LBB496_1708
.LBB496_2156:
	v_add_f32_e64 v21, 0x42800000, |v19|
	s_and_not1_b32 s3, s3, exec_lo
	s_mov_b32 s7, 0
	s_delay_alu instid0(VALU_DEP_1) | instskip(NEXT) | instid1(VALU_DEP_1)
	v_and_b32_e32 v21, 0xff, v21
	v_cmp_ne_u32_e32 vcc_lo, 0, v21
	s_and_b32 s8, vcc_lo, exec_lo
	s_delay_alu instid0(SALU_CYCLE_1)
	s_or_b32 s3, s3, s8
	s_or_b32 exec_lo, exec_lo, s6
	v_mov_b32_e32 v22, s7
	s_and_saveexec_b32 s6, s3
	s_cbranch_execnz .LBB496_1709
	s_branch .LBB496_1710
.LBB496_2157:
	s_or_saveexec_b32 s7, s7
                                        ; implicit-def: $sgpr8
	s_delay_alu instid0(SALU_CYCLE_1)
	s_xor_b32 exec_lo, exec_lo, s7
	s_cbranch_execz .LBB496_1859
.LBB496_2158:
	v_add_f32_e64 v16, 0x46000000, |v3|
	s_and_not1_b32 s6, s6, exec_lo
	s_mov_b32 s8, 0
	s_delay_alu instid0(VALU_DEP_1) | instskip(NEXT) | instid1(VALU_DEP_1)
	v_and_b32_e32 v16, 0xff, v16
	v_cmp_ne_u32_e32 vcc_lo, 0, v16
	s_and_b32 s9, vcc_lo, exec_lo
	s_delay_alu instid0(SALU_CYCLE_1)
	s_or_b32 s6, s6, s9
	s_or_b32 exec_lo, exec_lo, s7
	v_mov_b32_e32 v17, s8
	s_and_saveexec_b32 s7, s6
	s_cbranch_execnz .LBB496_1860
	s_branch .LBB496_1861
.LBB496_2159:
	s_trap 2
	s_sendmsg_rtn_b32 s0, sendmsg(MSG_RTN_GET_DOORBELL)
	s_mov_b32 ttmp2, m0
	s_waitcnt lgkmcnt(0)
	s_and_b32 s0, s0, 0x3ff
	s_delay_alu instid0(SALU_CYCLE_1) | instskip(NEXT) | instid1(SALU_CYCLE_1)
	s_bitset1_b32 s0, 10
	s_mov_b32 m0, s0
	s_sendmsg sendmsg(MSG_INTERRUPT)
	s_mov_b32 m0, ttmp2
.LBB496_2160:                           ; =>This Inner Loop Header: Depth=1
	s_sethalt 5
	s_branch .LBB496_2160
.LBB496_2161:
	s_cbranch_execnz .LBB496_2167
; %bb.2162:
	s_or_b32 s17, s17, exec_lo
	s_cbranch_execz .LBB496_1907
	s_branch .LBB496_1908
.LBB496_2163:
	s_or_saveexec_b32 s6, s6
                                        ; implicit-def: $sgpr7
	s_delay_alu instid0(SALU_CYCLE_1)
	s_xor_b32 exec_lo, exec_lo, s6
	s_cbranch_execz .LBB496_1872
.LBB496_2164:
	v_add_f32_e64 v16, 0x42800000, |v3|
	s_and_not1_b32 s3, s3, exec_lo
	s_mov_b32 s7, 0
	s_delay_alu instid0(VALU_DEP_1) | instskip(NEXT) | instid1(VALU_DEP_1)
	v_and_b32_e32 v16, 0xff, v16
	v_cmp_ne_u32_e32 vcc_lo, 0, v16
	s_and_b32 s8, vcc_lo, exec_lo
	s_delay_alu instid0(SALU_CYCLE_1)
	s_or_b32 s3, s3, s8
	s_or_b32 exec_lo, exec_lo, s6
	v_mov_b32_e32 v17, s7
	s_and_saveexec_b32 s6, s3
	s_cbranch_execnz .LBB496_1873
	s_branch .LBB496_1874
.LBB496_2165:
	s_or_saveexec_b32 s7, s7
                                        ; implicit-def: $sgpr8
	s_delay_alu instid0(SALU_CYCLE_1)
	s_xor_b32 exec_lo, exec_lo, s7
	s_cbranch_execz .LBB496_1978
.LBB496_2166:
	v_add_f32_e64 v4, 0x46000000, |v3|
	s_and_not1_b32 s6, s6, exec_lo
	s_mov_b32 s8, 0
	s_delay_alu instid0(VALU_DEP_1) | instskip(NEXT) | instid1(VALU_DEP_1)
	v_and_b32_e32 v4, 0xff, v4
	v_cmp_ne_u32_e32 vcc_lo, 0, v4
	s_and_b32 s9, vcc_lo, exec_lo
	s_delay_alu instid0(SALU_CYCLE_1)
	s_or_b32 s6, s6, s9
	s_or_b32 exec_lo, exec_lo, s7
	v_mov_b32_e32 v5, s8
	s_and_saveexec_b32 s7, s6
	s_cbranch_execnz .LBB496_1979
	s_branch .LBB496_1980
.LBB496_2167:
	s_trap 2
	s_sendmsg_rtn_b32 s0, sendmsg(MSG_RTN_GET_DOORBELL)
	s_mov_b32 ttmp2, m0
	s_waitcnt lgkmcnt(0)
	s_and_b32 s0, s0, 0x3ff
	s_delay_alu instid0(SALU_CYCLE_1) | instskip(NEXT) | instid1(SALU_CYCLE_1)
	s_bitset1_b32 s0, 10
	s_mov_b32 m0, s0
	s_sendmsg sendmsg(MSG_INTERRUPT)
	s_mov_b32 m0, ttmp2
.LBB496_2168:                           ; =>This Inner Loop Header: Depth=1
	s_sethalt 5
	s_branch .LBB496_2168
.LBB496_2169:
	s_cbranch_execnz .LBB496_2175
; %bb.2170:
	s_or_b32 s17, s17, exec_lo
	s_cbranch_execz .LBB496_2026
	s_branch .LBB496_2027
.LBB496_2171:
	s_or_saveexec_b32 s6, s6
                                        ; implicit-def: $sgpr7
	s_delay_alu instid0(SALU_CYCLE_1)
	s_xor_b32 exec_lo, exec_lo, s6
	s_cbranch_execz .LBB496_1991
.LBB496_2172:
	v_add_f32_e64 v4, 0x42800000, |v3|
	s_and_not1_b32 s3, s3, exec_lo
	s_mov_b32 s7, 0
	s_delay_alu instid0(VALU_DEP_1) | instskip(NEXT) | instid1(VALU_DEP_1)
	v_and_b32_e32 v4, 0xff, v4
	v_cmp_ne_u32_e32 vcc_lo, 0, v4
	s_and_b32 s8, vcc_lo, exec_lo
	s_delay_alu instid0(SALU_CYCLE_1)
	s_or_b32 s3, s3, s8
	s_or_b32 exec_lo, exec_lo, s6
	v_mov_b32_e32 v5, s7
	s_and_saveexec_b32 s6, s3
	s_cbranch_execnz .LBB496_1992
	s_branch .LBB496_1993
.LBB496_2173:
	s_or_saveexec_b32 s4, s4
                                        ; implicit-def: $sgpr5
	s_delay_alu instid0(SALU_CYCLE_1)
	s_xor_b32 exec_lo, exec_lo, s4
	s_cbranch_execz .LBB496_2098
.LBB496_2174:
	v_add_f32_e64 v3, 0x46000000, |v2|
	s_and_not1_b32 s3, s3, exec_lo
	s_mov_b32 s5, 0
	s_delay_alu instid0(VALU_DEP_1) | instskip(NEXT) | instid1(VALU_DEP_1)
	v_and_b32_e32 v3, 0xff, v3
	v_cmp_ne_u32_e32 vcc_lo, 0, v3
	s_and_b32 s6, vcc_lo, exec_lo
	s_delay_alu instid0(SALU_CYCLE_1)
	s_or_b32 s3, s3, s6
	s_or_b32 exec_lo, exec_lo, s4
	v_mov_b32_e32 v4, s5
	s_and_saveexec_b32 s4, s3
	s_cbranch_execnz .LBB496_2099
	s_branch .LBB496_2100
.LBB496_2175:
	s_trap 2
	s_sendmsg_rtn_b32 s0, sendmsg(MSG_RTN_GET_DOORBELL)
	s_mov_b32 ttmp2, m0
	s_waitcnt lgkmcnt(0)
	s_and_b32 s0, s0, 0x3ff
	s_delay_alu instid0(SALU_CYCLE_1) | instskip(NEXT) | instid1(SALU_CYCLE_1)
	s_bitset1_b32 s0, 10
	s_mov_b32 m0, s0
	s_sendmsg sendmsg(MSG_INTERRUPT)
	s_mov_b32 m0, ttmp2
.LBB496_2176:                           ; =>This Inner Loop Header: Depth=1
	s_sethalt 5
	s_branch .LBB496_2176
.LBB496_2177:
	s_cbranch_execnz .LBB496_2181
; %bb.2178:
	s_mov_b32 s1, 0
	s_or_b32 s17, s17, exec_lo
	s_branch .LBB496_2144
.LBB496_2179:
	s_or_saveexec_b32 s3, s3
                                        ; implicit-def: $sgpr4
	s_delay_alu instid0(SALU_CYCLE_1)
	s_xor_b32 exec_lo, exec_lo, s3
	s_cbranch_execz .LBB496_2110
.LBB496_2180:
	v_add_f32_e64 v3, 0x42800000, |v2|
	s_and_not1_b32 s2, s2, exec_lo
	s_mov_b32 s4, 0
	s_delay_alu instid0(VALU_DEP_1) | instskip(NEXT) | instid1(VALU_DEP_1)
	v_and_b32_e32 v3, 0xff, v3
	v_cmp_ne_u32_e32 vcc_lo, 0, v3
	s_and_b32 s5, vcc_lo, exec_lo
	s_delay_alu instid0(SALU_CYCLE_1)
	s_or_b32 s2, s2, s5
	s_or_b32 exec_lo, exec_lo, s3
	v_mov_b32_e32 v4, s4
	s_and_saveexec_b32 s3, s2
	s_cbranch_execnz .LBB496_2111
	s_branch .LBB496_2112
.LBB496_2181:
	s_trap 2
	s_sendmsg_rtn_b32 s0, sendmsg(MSG_RTN_GET_DOORBELL)
	s_mov_b32 ttmp2, m0
	s_waitcnt lgkmcnt(0)
	s_and_b32 s0, s0, 0x3ff
	s_delay_alu instid0(SALU_CYCLE_1) | instskip(NEXT) | instid1(SALU_CYCLE_1)
	s_bitset1_b32 s0, 10
	s_mov_b32 m0, s0
	s_sendmsg sendmsg(MSG_INTERRUPT)
	s_mov_b32 m0, ttmp2
.LBB496_2182:                           ; =>This Inner Loop Header: Depth=1
	s_sethalt 5
	s_branch .LBB496_2182
	.section	.rodata,"a",@progbits
	.p2align	6, 0x0
	.amdhsa_kernel _ZN2at6native32elementwise_kernel_manual_unrollILi128ELi4EZNS0_15gpu_kernel_implIZZZNS0_22nan_to_num_kernel_cudaERNS_18TensorIteratorBaseESt8optionalIdES6_S6_ENKUlvE_clEvENKUlvE_clEvEUlN3c107complexIdEEE_EEvS4_RKT_EUlibE_EEviT1_
		.amdhsa_group_segment_fixed_size 0
		.amdhsa_private_segment_fixed_size 0
		.amdhsa_kernarg_size 64
		.amdhsa_user_sgpr_count 15
		.amdhsa_user_sgpr_dispatch_ptr 0
		.amdhsa_user_sgpr_queue_ptr 0
		.amdhsa_user_sgpr_kernarg_segment_ptr 1
		.amdhsa_user_sgpr_dispatch_id 0
		.amdhsa_user_sgpr_private_segment_size 0
		.amdhsa_wavefront_size32 1
		.amdhsa_uses_dynamic_stack 0
		.amdhsa_enable_private_segment 0
		.amdhsa_system_sgpr_workgroup_id_x 1
		.amdhsa_system_sgpr_workgroup_id_y 0
		.amdhsa_system_sgpr_workgroup_id_z 0
		.amdhsa_system_sgpr_workgroup_info 0
		.amdhsa_system_vgpr_workitem_id 0
		.amdhsa_next_free_vgpr 25
		.amdhsa_next_free_sgpr 35
		.amdhsa_reserve_vcc 1
		.amdhsa_float_round_mode_32 0
		.amdhsa_float_round_mode_16_64 0
		.amdhsa_float_denorm_mode_32 3
		.amdhsa_float_denorm_mode_16_64 3
		.amdhsa_dx10_clamp 1
		.amdhsa_ieee_mode 1
		.amdhsa_fp16_overflow 0
		.amdhsa_workgroup_processor_mode 1
		.amdhsa_memory_ordered 1
		.amdhsa_forward_progress 0
		.amdhsa_shared_vgpr_count 0
		.amdhsa_exception_fp_ieee_invalid_op 0
		.amdhsa_exception_fp_denorm_src 0
		.amdhsa_exception_fp_ieee_div_zero 0
		.amdhsa_exception_fp_ieee_overflow 0
		.amdhsa_exception_fp_ieee_underflow 0
		.amdhsa_exception_fp_ieee_inexact 0
		.amdhsa_exception_int_div_zero 0
	.end_amdhsa_kernel
	.section	.text._ZN2at6native32elementwise_kernel_manual_unrollILi128ELi4EZNS0_15gpu_kernel_implIZZZNS0_22nan_to_num_kernel_cudaERNS_18TensorIteratorBaseESt8optionalIdES6_S6_ENKUlvE_clEvENKUlvE_clEvEUlN3c107complexIdEEE_EEvS4_RKT_EUlibE_EEviT1_,"axG",@progbits,_ZN2at6native32elementwise_kernel_manual_unrollILi128ELi4EZNS0_15gpu_kernel_implIZZZNS0_22nan_to_num_kernel_cudaERNS_18TensorIteratorBaseESt8optionalIdES6_S6_ENKUlvE_clEvENKUlvE_clEvEUlN3c107complexIdEEE_EEvS4_RKT_EUlibE_EEviT1_,comdat
.Lfunc_end496:
	.size	_ZN2at6native32elementwise_kernel_manual_unrollILi128ELi4EZNS0_15gpu_kernel_implIZZZNS0_22nan_to_num_kernel_cudaERNS_18TensorIteratorBaseESt8optionalIdES6_S6_ENKUlvE_clEvENKUlvE_clEvEUlN3c107complexIdEEE_EEvS4_RKT_EUlibE_EEviT1_, .Lfunc_end496-_ZN2at6native32elementwise_kernel_manual_unrollILi128ELi4EZNS0_15gpu_kernel_implIZZZNS0_22nan_to_num_kernel_cudaERNS_18TensorIteratorBaseESt8optionalIdES6_S6_ENKUlvE_clEvENKUlvE_clEvEUlN3c107complexIdEEE_EEvS4_RKT_EUlibE_EEviT1_
                                        ; -- End function
	.section	.AMDGPU.csdata,"",@progbits
; Kernel info:
; codeLenInByte = 38908
; NumSgprs: 37
; NumVgprs: 25
; ScratchSize: 0
; MemoryBound: 1
; FloatMode: 240
; IeeeMode: 1
; LDSByteSize: 0 bytes/workgroup (compile time only)
; SGPRBlocks: 4
; VGPRBlocks: 3
; NumSGPRsForWavesPerEU: 37
; NumVGPRsForWavesPerEU: 25
; Occupancy: 16
; WaveLimiterHint : 0
; COMPUTE_PGM_RSRC2:SCRATCH_EN: 0
; COMPUTE_PGM_RSRC2:USER_SGPR: 15
; COMPUTE_PGM_RSRC2:TRAP_HANDLER: 0
; COMPUTE_PGM_RSRC2:TGID_X_EN: 1
; COMPUTE_PGM_RSRC2:TGID_Y_EN: 0
; COMPUTE_PGM_RSRC2:TGID_Z_EN: 0
; COMPUTE_PGM_RSRC2:TIDIG_COMP_CNT: 0
	.section	.text._ZN2at6native32elementwise_kernel_manual_unrollILi128ELi4EZNS0_15gpu_kernel_implIZZZNS0_22nan_to_num_kernel_cudaERNS_18TensorIteratorBaseESt8optionalIdES6_S6_ENKUlvE_clEvENKUlvE_clEvEUlN3c107complexIdEEE_EEvS4_RKT_EUlibE0_EEviT1_,"axG",@progbits,_ZN2at6native32elementwise_kernel_manual_unrollILi128ELi4EZNS0_15gpu_kernel_implIZZZNS0_22nan_to_num_kernel_cudaERNS_18TensorIteratorBaseESt8optionalIdES6_S6_ENKUlvE_clEvENKUlvE_clEvEUlN3c107complexIdEEE_EEvS4_RKT_EUlibE0_EEviT1_,comdat
	.globl	_ZN2at6native32elementwise_kernel_manual_unrollILi128ELi4EZNS0_15gpu_kernel_implIZZZNS0_22nan_to_num_kernel_cudaERNS_18TensorIteratorBaseESt8optionalIdES6_S6_ENKUlvE_clEvENKUlvE_clEvEUlN3c107complexIdEEE_EEvS4_RKT_EUlibE0_EEviT1_ ; -- Begin function _ZN2at6native32elementwise_kernel_manual_unrollILi128ELi4EZNS0_15gpu_kernel_implIZZZNS0_22nan_to_num_kernel_cudaERNS_18TensorIteratorBaseESt8optionalIdES6_S6_ENKUlvE_clEvENKUlvE_clEvEUlN3c107complexIdEEE_EEvS4_RKT_EUlibE0_EEviT1_
	.p2align	8
	.type	_ZN2at6native32elementwise_kernel_manual_unrollILi128ELi4EZNS0_15gpu_kernel_implIZZZNS0_22nan_to_num_kernel_cudaERNS_18TensorIteratorBaseESt8optionalIdES6_S6_ENKUlvE_clEvENKUlvE_clEvEUlN3c107complexIdEEE_EEvS4_RKT_EUlibE0_EEviT1_,@function
_ZN2at6native32elementwise_kernel_manual_unrollILi128ELi4EZNS0_15gpu_kernel_implIZZZNS0_22nan_to_num_kernel_cudaERNS_18TensorIteratorBaseESt8optionalIdES6_S6_ENKUlvE_clEvENKUlvE_clEvEUlN3c107complexIdEEE_EEvS4_RKT_EUlibE0_EEviT1_: ; @_ZN2at6native32elementwise_kernel_manual_unrollILi128ELi4EZNS0_15gpu_kernel_implIZZZNS0_22nan_to_num_kernel_cudaERNS_18TensorIteratorBaseESt8optionalIdES6_S6_ENKUlvE_clEvENKUlvE_clEvEUlN3c107complexIdEEE_EEvS4_RKT_EUlibE0_EEviT1_
; %bb.0:
	s_clause 0x1
	s_load_b32 s30, s[0:1], 0x8
	s_load_b32 s38, s[0:1], 0x0
	v_lshl_or_b32 v10, s15, 9, v0
	s_or_b32 s20, s0, 8
	s_mov_b32 s3, -1
	s_mov_b32 s33, 0
	s_mov_b32 s21, s1
	v_or_b32_e32 v2, 0x180, v10
	s_mov_b32 s14, 0
	s_mov_b32 s2, exec_lo
	s_waitcnt lgkmcnt(0)
	s_add_i32 s31, s30, -1
	s_delay_alu instid0(SALU_CYCLE_1)
	s_cmp_gt_u32 s31, 1
	s_cselect_b32 s34, -1, 0
	v_cmpx_le_i32_e64 s38, v2
	s_xor_b32 s35, exec_lo, s2
	s_cbranch_execz .LBB497_1128
; %bb.1:
	s_clause 0x5
	s_load_b32 s36, s[20:21], 0x170
	s_load_b64 s[22:23], s[20:21], 0x168
	s_load_b128 s[16:19], s[20:21], 0x4
	s_load_b64 s[24:25], s[20:21], 0x14
	s_load_b128 s[12:15], s[20:21], 0xc4
	s_load_b256 s[4:11], s[20:21], 0x148
	s_cmp_lg_u32 s30, 0
	s_mov_b32 s44, 0
	s_cselect_b32 s40, -1, 0
	s_add_u32 s26, s20, 0xc4
	s_addc_u32 s27, s21, 0
	s_min_u32 s39, s31, 15
	s_cmp_gt_u32 s30, 1
	s_mov_b32 s42, 0
	s_cselect_b32 s37, -1, 0
	s_mov_b32 s41, 0
	s_mov_b32 s43, exec_lo
	s_waitcnt lgkmcnt(0)
	v_lshrrev_b16 v9, 8, s36
	v_cmpx_gt_i32_e64 s38, v10
	s_cbranch_execz .LBB497_276
; %bb.2:
	s_and_not1_b32 vcc_lo, exec_lo, s34
	s_cbranch_vccnz .LBB497_7
; %bb.3:
	v_mov_b32_e32 v6, 0
	v_mov_b32_e32 v0, 0
	s_and_not1_b32 vcc_lo, exec_lo, s40
	s_cbranch_vccnz .LBB497_12
; %bb.4:
	v_mov_b32_e32 v6, 0
	s_add_i32 s45, s39, 1
	s_cmp_eq_u32 s31, 2
	s_cbranch_scc1 .LBB497_8
; %bb.5:
	v_dual_mov_b32 v0, 0 :: v_dual_mov_b32 v1, v10
	v_mov_b32_e32 v6, 0
	s_and_b32 s42, s45, 28
	s_mov_b32 s46, 0
	s_mov_b64 s[2:3], s[26:27]
	s_mov_b64 s[28:29], s[20:21]
.LBB497_6:                              ; =>This Inner Loop Header: Depth=1
	s_clause 0x1
	s_load_b256 s[48:55], s[28:29], 0x4
	s_load_b128 s[64:67], s[28:29], 0x24
	s_load_b256 s[56:63], s[2:3], 0x0
	s_add_u32 s28, s28, 48
	s_addc_u32 s29, s29, 0
	s_add_i32 s46, s46, 4
	s_add_u32 s2, s2, 32
	s_addc_u32 s3, s3, 0
	s_cmp_lg_u32 s42, s46
	s_waitcnt lgkmcnt(0)
	v_mul_hi_u32 v2, s49, v1
	s_delay_alu instid0(VALU_DEP_1) | instskip(NEXT) | instid1(VALU_DEP_1)
	v_add_nc_u32_e32 v2, v1, v2
	v_lshrrev_b32_e32 v2, s50, v2
	s_delay_alu instid0(VALU_DEP_1) | instskip(SKIP_1) | instid1(VALU_DEP_2)
	v_mul_hi_u32 v3, s52, v2
	v_mul_lo_u32 v5, v2, s48
	v_add_nc_u32_e32 v3, v2, v3
	s_delay_alu instid0(VALU_DEP_2) | instskip(NEXT) | instid1(VALU_DEP_2)
	v_sub_nc_u32_e32 v1, v1, v5
	v_lshrrev_b32_e32 v3, s53, v3
	s_delay_alu instid0(VALU_DEP_2) | instskip(SKIP_1) | instid1(VALU_DEP_3)
	v_mul_lo_u32 v5, v1, s56
	v_mul_lo_u32 v8, v1, s57
	v_mul_hi_u32 v4, s55, v3
	s_delay_alu instid0(VALU_DEP_1) | instskip(NEXT) | instid1(VALU_DEP_1)
	v_add_nc_u32_e32 v4, v3, v4
	v_lshrrev_b32_e32 v4, s64, v4
	s_delay_alu instid0(VALU_DEP_1) | instskip(SKIP_1) | instid1(VALU_DEP_2)
	v_mul_hi_u32 v7, s66, v4
	v_mul_lo_u32 v11, v4, s54
	v_add_nc_u32_e32 v1, v4, v7
	v_mul_lo_u32 v7, v3, s51
	s_delay_alu instid0(VALU_DEP_3) | instskip(NEXT) | instid1(VALU_DEP_3)
	v_sub_nc_u32_e32 v3, v3, v11
	v_lshrrev_b32_e32 v1, s67, v1
	s_delay_alu instid0(VALU_DEP_2) | instskip(SKIP_2) | instid1(VALU_DEP_4)
	v_mul_lo_u32 v11, v3, s60
	v_mul_lo_u32 v3, v3, s61
	v_sub_nc_u32_e32 v2, v2, v7
	v_mul_lo_u32 v12, v1, s65
	s_delay_alu instid0(VALU_DEP_2) | instskip(SKIP_1) | instid1(VALU_DEP_3)
	v_mul_lo_u32 v7, v2, s58
	v_mul_lo_u32 v2, v2, s59
	v_sub_nc_u32_e32 v4, v4, v12
	s_delay_alu instid0(VALU_DEP_3) | instskip(NEXT) | instid1(VALU_DEP_2)
	v_add3_u32 v5, v5, v6, v7
	v_mul_lo_u32 v12, v4, s62
	v_mul_lo_u32 v4, v4, s63
	v_add3_u32 v0, v8, v0, v2
	s_delay_alu instid0(VALU_DEP_3) | instskip(NEXT) | instid1(VALU_DEP_2)
	v_add3_u32 v6, v11, v5, v12
	v_add3_u32 v0, v3, v0, v4
	s_cbranch_scc1 .LBB497_6
	s_branch .LBB497_9
.LBB497_7:
	s_mov_b32 s41, -1
                                        ; implicit-def: $vgpr6
                                        ; implicit-def: $vgpr0
	s_branch .LBB497_12
.LBB497_8:
	v_dual_mov_b32 v1, v10 :: v_dual_mov_b32 v0, 0
.LBB497_9:
	s_and_b32 s45, s45, 3
	s_delay_alu instid0(SALU_CYCLE_1)
	s_cmp_eq_u32 s45, 0
	s_cbranch_scc1 .LBB497_12
; %bb.10:
	s_lshl_b32 s2, s42, 3
	s_mul_i32 s28, s42, 12
	s_add_u32 s2, s2, s20
	s_addc_u32 s3, s21, 0
	s_add_u32 s2, s2, 0xc4
	s_addc_u32 s3, s3, 0
	;; [unrolled: 2-line block ×3, first 2 shown]
	.p2align	6
.LBB497_11:                             ; =>This Inner Loop Header: Depth=1
	s_clause 0x1
	s_load_b64 s[46:47], s[28:29], 0x4
	s_load_b32 s42, s[28:29], 0xc
	s_load_b64 s[48:49], s[2:3], 0x0
	s_add_u32 s28, s28, 12
	s_addc_u32 s29, s29, 0
	s_add_u32 s2, s2, 8
	s_addc_u32 s3, s3, 0
	s_add_i32 s45, s45, -1
	s_delay_alu instid0(SALU_CYCLE_1) | instskip(SKIP_2) | instid1(VALU_DEP_1)
	s_cmp_lg_u32 s45, 0
	s_waitcnt lgkmcnt(0)
	v_mul_hi_u32 v2, s47, v1
	v_add_nc_u32_e32 v2, v1, v2
	s_delay_alu instid0(VALU_DEP_1) | instskip(NEXT) | instid1(VALU_DEP_1)
	v_lshrrev_b32_e32 v5, s42, v2
	v_mul_lo_u32 v2, v5, s46
	s_delay_alu instid0(VALU_DEP_1) | instskip(NEXT) | instid1(VALU_DEP_1)
	v_sub_nc_u32_e32 v1, v1, v2
	v_mad_u64_u32 v[2:3], null, v1, s48, v[6:7]
	v_mad_u64_u32 v[3:4], null, v1, s49, v[0:1]
	s_delay_alu instid0(VALU_DEP_2) | instskip(NEXT) | instid1(VALU_DEP_2)
	v_dual_mov_b32 v1, v5 :: v_dual_mov_b32 v6, v2
	v_mov_b32_e32 v0, v3
	s_cbranch_scc1 .LBB497_11
.LBB497_12:
	s_and_not1_b32 vcc_lo, exec_lo, s41
	s_cbranch_vccnz .LBB497_15
; %bb.13:
	v_mul_hi_u32 v0, s17, v10
	s_and_not1_b32 vcc_lo, exec_lo, s37
	s_delay_alu instid0(VALU_DEP_1) | instskip(NEXT) | instid1(VALU_DEP_1)
	v_add_nc_u32_e32 v0, v10, v0
	v_lshrrev_b32_e32 v1, s18, v0
	s_delay_alu instid0(VALU_DEP_1) | instskip(NEXT) | instid1(VALU_DEP_1)
	v_mul_lo_u32 v0, v1, s16
	v_sub_nc_u32_e32 v0, v10, v0
	s_delay_alu instid0(VALU_DEP_1)
	v_mul_lo_u32 v6, v0, s12
	v_mul_lo_u32 v0, v0, s13
	s_cbranch_vccnz .LBB497_15
; %bb.14:
	v_mul_hi_u32 v2, s24, v1
	s_delay_alu instid0(VALU_DEP_1) | instskip(NEXT) | instid1(VALU_DEP_1)
	v_add_nc_u32_e32 v2, v1, v2
	v_lshrrev_b32_e32 v2, s25, v2
	s_delay_alu instid0(VALU_DEP_1) | instskip(NEXT) | instid1(VALU_DEP_1)
	v_mul_lo_u32 v2, v2, s19
	v_sub_nc_u32_e32 v4, v1, v2
	s_delay_alu instid0(VALU_DEP_1) | instskip(NEXT) | instid1(VALU_DEP_1)
	v_mad_u64_u32 v[1:2], null, v4, s14, v[6:7]
	v_mad_u64_u32 v[2:3], null, v4, s15, v[0:1]
	v_mov_b32_e32 v6, v1
	s_delay_alu instid0(VALU_DEP_2)
	v_mov_b32_e32 v0, v2
.LBB497_15:
	v_cmp_gt_i16_e32 vcc_lo, 11, v9
	s_delay_alu instid0(VALU_DEP_2) | instskip(NEXT) | instid1(VALU_DEP_1)
	v_add_co_u32 v0, s2, s6, v0
	v_add_co_ci_u32_e64 v1, null, s7, 0, s2
	s_mov_b32 s42, 0
	s_cbranch_vccnz .LBB497_22
; %bb.16:
	v_cmp_lt_i16_e32 vcc_lo, 25, v9
	s_cbranch_vccz .LBB497_149
; %bb.17:
	v_cmp_lt_i16_e32 vcc_lo, 28, v9
	s_cbranch_vccz .LBB497_150
	;; [unrolled: 3-line block ×4, first 2 shown]
; %bb.20:
	v_cmp_eq_u16_e32 vcc_lo, 46, v9
	s_mov_b32 s2, 0
	s_cbranch_vccz .LBB497_153
; %bb.21:
	global_load_b32 v2, v[0:1], off
	s_mov_b32 s28, -1
	s_waitcnt vmcnt(0)
	v_lshlrev_b32_e32 v3, 16, v2
	v_and_b32_e32 v4, 0xffff0000, v2
	s_delay_alu instid0(VALU_DEP_2) | instskip(NEXT) | instid1(VALU_DEP_2)
	v_cvt_f64_f32_e32 v[2:3], v3
	v_cvt_f64_f32_e32 v[4:5], v4
	s_branch .LBB497_155
.LBB497_22:
	s_mov_b32 s28, 0
                                        ; implicit-def: $vgpr4_vgpr5
	s_cbranch_execnz .LBB497_224
.LBB497_23:
	s_and_not1_b32 vcc_lo, exec_lo, s28
	s_cbranch_vccnz .LBB497_273
.LBB497_24:
	v_dual_mov_b32 v0, s8 :: v_dual_mov_b32 v1, s9
	s_mov_b32 s2, exec_lo
	s_waitcnt vmcnt(0)
	s_delay_alu instid0(VALU_DEP_2)
	v_cmpx_o_f64_e32 v[2:3], v[2:3]
	s_cbranch_execz .LBB497_28
; %bb.25:
	v_dual_mov_b32 v0, s10 :: v_dual_mov_b32 v1, s11
	s_mov_b32 s3, exec_lo
	v_cmpx_neq_f64_e32 0x7ff00000, v[2:3]
; %bb.26:
	v_cmp_eq_f64_e32 vcc_lo, 0xfff00000, v[2:3]
	v_cndmask_b32_e64 v1, v3, s23, vcc_lo
	v_cndmask_b32_e64 v0, v2, s22, vcc_lo
; %bb.27:
	s_or_b32 exec_lo, exec_lo, s3
.LBB497_28:
	s_delay_alu instid0(SALU_CYCLE_1) | instskip(SKIP_2) | instid1(VALU_DEP_4)
	s_or_b32 exec_lo, exec_lo, s2
	v_dual_mov_b32 v2, s8 :: v_dual_mov_b32 v3, s9
	s_mov_b32 s2, exec_lo
	v_cmpx_o_f64_e32 v[4:5], v[4:5]
	s_cbranch_execz .LBB497_32
; %bb.29:
	v_dual_mov_b32 v2, s10 :: v_dual_mov_b32 v3, s11
	s_mov_b32 s3, exec_lo
	v_cmpx_neq_f64_e32 0x7ff00000, v[4:5]
; %bb.30:
	v_cmp_eq_f64_e32 vcc_lo, 0xfff00000, v[4:5]
	v_cndmask_b32_e64 v3, v5, s23, vcc_lo
	v_cndmask_b32_e64 v2, v4, s22, vcc_lo
; %bb.31:
	s_or_b32 exec_lo, exec_lo, s3
.LBB497_32:
	s_delay_alu instid0(SALU_CYCLE_1) | instskip(SKIP_2) | instid1(VALU_DEP_1)
	s_or_b32 exec_lo, exec_lo, s2
	v_and_b32_e64 v7, 0xff, s36
	v_add_co_u32 v4, s3, s4, v6
	v_add_co_ci_u32_e64 v5, null, s5, 0, s3
	s_delay_alu instid0(VALU_DEP_3)
	v_cmp_gt_i16_e32 vcc_lo, 11, v7
	s_mov_b32 s2, 0
	s_mov_b32 s28, -1
	s_mov_b32 s3, 0
	s_cbranch_vccnz .LBB497_109
; %bb.33:
	v_cmp_lt_i16_e32 vcc_lo, 25, v7
	s_cbranch_vccz .LBB497_66
; %bb.34:
	v_cmp_lt_i16_e32 vcc_lo, 28, v7
	s_cbranch_vccz .LBB497_49
	;; [unrolled: 3-line block ×4, first 2 shown]
; %bb.37:
	v_cmp_eq_u16_e32 vcc_lo, 46, v7
	s_mov_b32 s28, 0
	s_mov_b32 s2, -1
	s_cbranch_vccz .LBB497_39
; %bb.38:
	v_cvt_f32_f64_e32 v6, v[2:3]
	v_cvt_f32_f64_e32 v8, v[0:1]
	s_mov_b32 s3, -1
	s_mov_b32 s2, 0
	s_delay_alu instid0(VALU_DEP_2) | instskip(NEXT) | instid1(VALU_DEP_2)
	v_bfe_u32 v11, v6, 16, 1
	v_bfe_u32 v12, v8, 16, 1
	v_cmp_o_f32_e32 vcc_lo, v6, v6
	s_delay_alu instid0(VALU_DEP_3) | instskip(NEXT) | instid1(VALU_DEP_3)
	v_add3_u32 v11, v6, v11, 0x7fff
	v_add3_u32 v12, v8, v12, 0x7fff
	s_delay_alu instid0(VALU_DEP_2) | instskip(NEXT) | instid1(VALU_DEP_2)
	v_and_b32_e32 v11, 0xffff0000, v11
	v_lshrrev_b32_e32 v12, 16, v12
	s_delay_alu instid0(VALU_DEP_2) | instskip(SKIP_1) | instid1(VALU_DEP_3)
	v_cndmask_b32_e32 v6, 0x7fc00000, v11, vcc_lo
	v_cmp_o_f32_e32 vcc_lo, v8, v8
	v_cndmask_b32_e32 v8, 0x7fc0, v12, vcc_lo
	s_delay_alu instid0(VALU_DEP_1)
	v_or_b32_e32 v6, v6, v8
	global_store_b32 v[4:5], v6, off
.LBB497_39:
	s_and_b32 vcc_lo, exec_lo, s28
	s_cbranch_vccz .LBB497_44
; %bb.40:
	v_cmp_eq_u16_e32 vcc_lo, 44, v7
	s_mov_b32 s2, -1
	s_cbranch_vccz .LBB497_44
; %bb.41:
	v_cvt_f32_f64_e32 v6, v[0:1]
	v_mov_b32_e32 v8, 0xff
	s_mov_b32 s3, exec_lo
	s_delay_alu instid0(VALU_DEP_2) | instskip(NEXT) | instid1(VALU_DEP_1)
	v_bfe_u32 v11, v6, 23, 8
	v_cmpx_ne_u32_e32 0xff, v11
; %bb.42:
	v_and_b32_e32 v8, 0x400000, v6
	v_and_or_b32 v11, 0x3fffff, v6, v11
	v_lshrrev_b32_e32 v6, 23, v6
	s_delay_alu instid0(VALU_DEP_3) | instskip(NEXT) | instid1(VALU_DEP_3)
	v_cmp_ne_u32_e32 vcc_lo, 0, v8
	v_cmp_ne_u32_e64 s2, 0, v11
	s_delay_alu instid0(VALU_DEP_1) | instskip(NEXT) | instid1(SALU_CYCLE_1)
	s_and_b32 s2, vcc_lo, s2
	v_cndmask_b32_e64 v8, 0, 1, s2
	s_delay_alu instid0(VALU_DEP_1)
	v_add_nc_u32_e32 v8, v6, v8
; %bb.43:
	s_or_b32 exec_lo, exec_lo, s3
	s_mov_b32 s3, -1
	s_mov_b32 s2, 0
	global_store_b8 v[4:5], v8, off
.LBB497_44:
	s_mov_b32 s28, 0
.LBB497_45:
	s_delay_alu instid0(SALU_CYCLE_1)
	s_and_b32 vcc_lo, exec_lo, s28
	s_cbranch_vccz .LBB497_48
; %bb.46:
	v_cmp_eq_u16_e32 vcc_lo, 29, v7
	s_mov_b32 s2, -1
	s_cbranch_vccz .LBB497_48
; %bb.47:
	v_trunc_f64_e32 v[11:12], v[0:1]
	s_mov_b32 s3, -1
	s_mov_b32 s2, 0
	s_delay_alu instid0(VALU_DEP_1) | instskip(NEXT) | instid1(VALU_DEP_1)
	v_ldexp_f64 v[13:14], v[11:12], 0xffffffe0
	v_floor_f64_e32 v[13:14], v[13:14]
	s_delay_alu instid0(VALU_DEP_1) | instskip(SKIP_1) | instid1(VALU_DEP_2)
	v_fma_f64 v[11:12], 0xc1f00000, v[13:14], v[11:12]
	v_cvt_u32_f64_e32 v13, v[13:14]
	v_cvt_u32_f64_e32 v12, v[11:12]
	global_store_b64 v[4:5], v[12:13], off
.LBB497_48:
	s_mov_b32 s28, 0
.LBB497_49:
	s_delay_alu instid0(SALU_CYCLE_1)
	s_and_b32 vcc_lo, exec_lo, s28
	s_cbranch_vccz .LBB497_65
; %bb.50:
	v_cmp_gt_i16_e32 vcc_lo, 27, v7
	s_mov_b32 s3, -1
	s_cbranch_vccnz .LBB497_56
; %bb.51:
	v_cmp_lt_i16_e32 vcc_lo, 27, v7
	s_cbranch_vccz .LBB497_53
; %bb.52:
	v_cvt_u32_f64_e32 v6, v[0:1]
	s_mov_b32 s3, 0
	global_store_b32 v[4:5], v6, off
.LBB497_53:
	s_and_not1_b32 vcc_lo, exec_lo, s3
	s_cbranch_vccnz .LBB497_55
; %bb.54:
	v_cvt_u32_f64_e32 v6, v[0:1]
	global_store_b16 v[4:5], v6, off
.LBB497_55:
	s_mov_b32 s3, 0
.LBB497_56:
	s_delay_alu instid0(SALU_CYCLE_1)
	s_and_not1_b32 vcc_lo, exec_lo, s3
	s_cbranch_vccnz .LBB497_64
; %bb.57:
	v_cvt_f32_f64_e32 v6, v[0:1]
	v_mov_b32_e32 v11, 0x80
	s_mov_b32 s3, exec_lo
	s_delay_alu instid0(VALU_DEP_2) | instskip(NEXT) | instid1(VALU_DEP_1)
	v_and_b32_e32 v8, 0x7fffffff, v6
	v_cmpx_gt_u32_e32 0x43800000, v8
	s_cbranch_execz .LBB497_63
; %bb.58:
	v_cmp_lt_u32_e32 vcc_lo, 0x3bffffff, v8
	s_mov_b32 s28, 0
                                        ; implicit-def: $vgpr8
	s_and_saveexec_b32 s29, vcc_lo
	s_delay_alu instid0(SALU_CYCLE_1)
	s_xor_b32 s29, exec_lo, s29
	s_cbranch_execz .LBB497_158
; %bb.59:
	v_bfe_u32 v8, v6, 20, 1
	s_mov_b32 s28, exec_lo
	s_delay_alu instid0(VALU_DEP_1) | instskip(NEXT) | instid1(VALU_DEP_1)
	v_add3_u32 v8, v6, v8, 0x487ffff
	v_lshrrev_b32_e32 v8, 20, v8
	s_or_saveexec_b32 s29, s29
                                        ; implicit-def: $sgpr41
	s_delay_alu instid0(SALU_CYCLE_1)
	s_xor_b32 exec_lo, exec_lo, s29
	s_cbranch_execnz .LBB497_159
.LBB497_60:
	s_or_b32 exec_lo, exec_lo, s29
	v_mov_b32_e32 v11, s41
	s_and_saveexec_b32 s29, s28
.LBB497_61:
	v_lshrrev_b32_e32 v6, 24, v6
	s_delay_alu instid0(VALU_DEP_1)
	v_and_or_b32 v11, 0x80, v6, v8
.LBB497_62:
	s_or_b32 exec_lo, exec_lo, s29
.LBB497_63:
	s_delay_alu instid0(SALU_CYCLE_1)
	s_or_b32 exec_lo, exec_lo, s3
	global_store_b8 v[4:5], v11, off
.LBB497_64:
	s_mov_b32 s3, -1
.LBB497_65:
	s_mov_b32 s28, 0
.LBB497_66:
	s_delay_alu instid0(SALU_CYCLE_1)
	s_and_b32 vcc_lo, exec_lo, s28
	s_cbranch_vccz .LBB497_107
; %bb.67:
	v_cmp_lt_i16_e32 vcc_lo, 22, v7
	s_mov_b32 s28, -1
	s_cbranch_vccz .LBB497_99
; %bb.68:
	v_cmp_gt_i16_e32 vcc_lo, 24, v7
	s_mov_b32 s3, -1
	s_cbranch_vccnz .LBB497_88
; %bb.69:
	v_cmp_lt_i16_e32 vcc_lo, 24, v7
	s_cbranch_vccz .LBB497_77
; %bb.70:
	v_cvt_f32_f64_e32 v6, v[0:1]
	v_mov_b32_e32 v11, 0x80
	s_mov_b32 s3, exec_lo
	s_delay_alu instid0(VALU_DEP_2) | instskip(NEXT) | instid1(VALU_DEP_1)
	v_and_b32_e32 v8, 0x7fffffff, v6
	v_cmpx_gt_u32_e32 0x47800000, v8
	s_cbranch_execz .LBB497_76
; %bb.71:
	v_cmp_lt_u32_e32 vcc_lo, 0x37ffffff, v8
	s_mov_b32 s28, 0
                                        ; implicit-def: $vgpr8
	s_and_saveexec_b32 s29, vcc_lo
	s_delay_alu instid0(SALU_CYCLE_1)
	s_xor_b32 s29, exec_lo, s29
	s_cbranch_execz .LBB497_362
; %bb.72:
	v_bfe_u32 v8, v6, 21, 1
	s_mov_b32 s28, exec_lo
	s_delay_alu instid0(VALU_DEP_1) | instskip(NEXT) | instid1(VALU_DEP_1)
	v_add3_u32 v8, v6, v8, 0x88fffff
	v_lshrrev_b32_e32 v8, 21, v8
	s_or_saveexec_b32 s29, s29
                                        ; implicit-def: $sgpr41
	s_delay_alu instid0(SALU_CYCLE_1)
	s_xor_b32 exec_lo, exec_lo, s29
	s_cbranch_execnz .LBB497_363
.LBB497_73:
	s_or_b32 exec_lo, exec_lo, s29
	v_mov_b32_e32 v11, s41
	s_and_saveexec_b32 s29, s28
.LBB497_74:
	v_lshrrev_b32_e32 v6, 24, v6
	s_delay_alu instid0(VALU_DEP_1)
	v_and_or_b32 v11, 0x80, v6, v8
.LBB497_75:
	s_or_b32 exec_lo, exec_lo, s29
.LBB497_76:
	s_delay_alu instid0(SALU_CYCLE_1)
	s_or_b32 exec_lo, exec_lo, s3
	s_mov_b32 s3, 0
	global_store_b8 v[4:5], v11, off
.LBB497_77:
	s_and_b32 vcc_lo, exec_lo, s3
	s_cbranch_vccz .LBB497_87
; %bb.78:
	v_cvt_f32_f64_e32 v6, v[0:1]
	s_mov_b32 s3, exec_lo
                                        ; implicit-def: $vgpr8
	s_delay_alu instid0(VALU_DEP_1) | instskip(NEXT) | instid1(VALU_DEP_1)
	v_and_b32_e32 v11, 0x7fffffff, v6
	v_cmpx_gt_u32_e32 0x43f00000, v11
	s_xor_b32 s3, exec_lo, s3
	s_cbranch_execz .LBB497_84
; %bb.79:
	s_mov_b32 s28, exec_lo
                                        ; implicit-def: $vgpr8
	v_cmpx_lt_u32_e32 0x3c7fffff, v11
	s_xor_b32 s28, exec_lo, s28
; %bb.80:
	v_bfe_u32 v8, v6, 20, 1
	s_delay_alu instid0(VALU_DEP_1) | instskip(NEXT) | instid1(VALU_DEP_1)
	v_add3_u32 v8, v6, v8, 0x407ffff
	v_and_b32_e32 v11, 0xff00000, v8
	v_lshrrev_b32_e32 v8, 20, v8
	s_delay_alu instid0(VALU_DEP_2) | instskip(NEXT) | instid1(VALU_DEP_2)
	v_cmp_ne_u32_e32 vcc_lo, 0x7f00000, v11
	v_cndmask_b32_e32 v8, 0x7e, v8, vcc_lo
; %bb.81:
	s_and_not1_saveexec_b32 s28, s28
; %bb.82:
	v_add_f32_e64 v8, 0x46800000, |v6|
; %bb.83:
	s_or_b32 exec_lo, exec_lo, s28
                                        ; implicit-def: $vgpr11
.LBB497_84:
	s_and_not1_saveexec_b32 s3, s3
; %bb.85:
	v_mov_b32_e32 v8, 0x7f
	v_cmp_lt_u32_e32 vcc_lo, 0x7f800000, v11
	s_delay_alu instid0(VALU_DEP_2)
	v_cndmask_b32_e32 v8, 0x7e, v8, vcc_lo
; %bb.86:
	s_or_b32 exec_lo, exec_lo, s3
	v_lshrrev_b32_e32 v6, 24, v6
	s_delay_alu instid0(VALU_DEP_1)
	v_and_or_b32 v6, 0x80, v6, v8
	global_store_b8 v[4:5], v6, off
.LBB497_87:
	s_mov_b32 s3, 0
.LBB497_88:
	s_delay_alu instid0(SALU_CYCLE_1)
	s_and_not1_b32 vcc_lo, exec_lo, s3
	s_cbranch_vccnz .LBB497_98
; %bb.89:
	v_cvt_f32_f64_e32 v6, v[0:1]
	s_mov_b32 s3, exec_lo
                                        ; implicit-def: $vgpr8
	s_delay_alu instid0(VALU_DEP_1) | instskip(NEXT) | instid1(VALU_DEP_1)
	v_and_b32_e32 v11, 0x7fffffff, v6
	v_cmpx_gt_u32_e32 0x47800000, v11
	s_xor_b32 s3, exec_lo, s3
	s_cbranch_execz .LBB497_95
; %bb.90:
	s_mov_b32 s28, exec_lo
                                        ; implicit-def: $vgpr8
	v_cmpx_lt_u32_e32 0x387fffff, v11
	s_xor_b32 s28, exec_lo, s28
; %bb.91:
	v_bfe_u32 v8, v6, 21, 1
	s_delay_alu instid0(VALU_DEP_1) | instskip(NEXT) | instid1(VALU_DEP_1)
	v_add3_u32 v8, v6, v8, 0x80fffff
	v_lshrrev_b32_e32 v8, 21, v8
; %bb.92:
	s_and_not1_saveexec_b32 s28, s28
; %bb.93:
	v_add_f32_e64 v8, 0x43000000, |v6|
; %bb.94:
	s_or_b32 exec_lo, exec_lo, s28
                                        ; implicit-def: $vgpr11
.LBB497_95:
	s_and_not1_saveexec_b32 s3, s3
; %bb.96:
	v_mov_b32_e32 v8, 0x7f
	v_cmp_lt_u32_e32 vcc_lo, 0x7f800000, v11
	s_delay_alu instid0(VALU_DEP_2)
	v_cndmask_b32_e32 v8, 0x7c, v8, vcc_lo
; %bb.97:
	s_or_b32 exec_lo, exec_lo, s3
	v_lshrrev_b32_e32 v6, 24, v6
	s_delay_alu instid0(VALU_DEP_1)
	v_and_or_b32 v6, 0x80, v6, v8
	global_store_b8 v[4:5], v6, off
.LBB497_98:
	s_mov_b32 s28, 0
	s_mov_b32 s3, -1
.LBB497_99:
	s_and_not1_b32 vcc_lo, exec_lo, s28
	s_cbranch_vccnz .LBB497_107
; %bb.100:
	v_cmp_lt_i16_e32 vcc_lo, 14, v7
	s_mov_b32 s28, -1
	s_cbranch_vccz .LBB497_104
; %bb.101:
	v_cmp_eq_u16_e32 vcc_lo, 15, v7
	s_mov_b32 s2, -1
	s_cbranch_vccz .LBB497_103
; %bb.102:
	v_cvt_f32_f64_e32 v6, v[0:1]
	s_mov_b32 s3, -1
	s_mov_b32 s2, 0
	s_delay_alu instid0(VALU_DEP_1) | instskip(SKIP_1) | instid1(VALU_DEP_2)
	v_bfe_u32 v8, v6, 16, 1
	v_cmp_o_f32_e32 vcc_lo, v6, v6
	v_add3_u32 v8, v6, v8, 0x7fff
	s_delay_alu instid0(VALU_DEP_1) | instskip(NEXT) | instid1(VALU_DEP_1)
	v_lshrrev_b32_e32 v8, 16, v8
	v_cndmask_b32_e32 v6, 0x7fc0, v8, vcc_lo
	global_store_b16 v[4:5], v6, off
.LBB497_103:
	s_mov_b32 s28, 0
.LBB497_104:
	s_delay_alu instid0(SALU_CYCLE_1)
	s_and_b32 vcc_lo, exec_lo, s28
	s_cbranch_vccz .LBB497_107
; %bb.105:
	v_cmp_eq_u16_e32 vcc_lo, 11, v7
	s_mov_b32 s2, -1
	s_cbranch_vccz .LBB497_107
; %bb.106:
	v_cmp_neq_f64_e32 vcc_lo, 0, v[0:1]
	v_cmp_neq_f64_e64 s2, 0, v[2:3]
	s_mov_b32 s3, -1
	s_delay_alu instid0(VALU_DEP_1) | instskip(NEXT) | instid1(SALU_CYCLE_1)
	s_or_b32 s2, vcc_lo, s2
	v_cndmask_b32_e64 v6, 0, 1, s2
	s_mov_b32 s2, 0
	global_store_b8 v[4:5], v6, off
.LBB497_107:
.LBB497_108:
	s_and_not1_b32 vcc_lo, exec_lo, s3
	s_cbranch_vccz .LBB497_148
	s_branch .LBB497_274
.LBB497_109:
	s_and_b32 vcc_lo, exec_lo, s28
	s_cbranch_vccz .LBB497_108
; %bb.110:
	v_cmp_gt_i16_e32 vcc_lo, 5, v7
	s_mov_b32 s3, -1
	s_cbranch_vccnz .LBB497_131
; %bb.111:
	v_cmp_gt_i16_e32 vcc_lo, 8, v7
	s_cbranch_vccnz .LBB497_121
; %bb.112:
	v_cmp_gt_i16_e32 vcc_lo, 9, v7
	s_cbranch_vccnz .LBB497_118
; %bb.113:
	v_cmp_lt_i16_e32 vcc_lo, 9, v7
	s_cbranch_vccz .LBB497_115
; %bb.114:
	s_mov_b32 s3, 0
	global_store_b128 v[4:5], v[0:3], off
.LBB497_115:
	s_and_not1_b32 vcc_lo, exec_lo, s3
	s_cbranch_vccnz .LBB497_117
; %bb.116:
	v_cvt_f32_f64_e32 v11, v[0:1]
	v_cvt_f32_f64_e32 v12, v[2:3]
	global_store_b64 v[4:5], v[11:12], off
.LBB497_117:
	s_mov_b32 s3, 0
.LBB497_118:
	s_delay_alu instid0(SALU_CYCLE_1)
	s_and_not1_b32 vcc_lo, exec_lo, s3
	s_cbranch_vccnz .LBB497_120
; %bb.119:
	v_cvt_f32_f64_e32 v2, v[2:3]
	v_cvt_f32_f64_e32 v3, v[0:1]
	s_delay_alu instid0(VALU_DEP_2) | instskip(NEXT) | instid1(VALU_DEP_2)
	v_cvt_f16_f32_e32 v2, v2
	v_cvt_f16_f32_e32 v3, v3
	s_delay_alu instid0(VALU_DEP_2) | instskip(NEXT) | instid1(VALU_DEP_2)
	v_lshlrev_b32_e32 v2, 16, v2
	v_and_b32_e32 v3, 0xffff, v3
	s_delay_alu instid0(VALU_DEP_1)
	v_or_b32_e32 v2, v2, v3
	global_store_b32 v[4:5], v2, off
.LBB497_120:
	s_mov_b32 s3, 0
.LBB497_121:
	s_delay_alu instid0(SALU_CYCLE_1)
	s_and_not1_b32 vcc_lo, exec_lo, s3
	s_cbranch_vccnz .LBB497_130
; %bb.122:
	v_cmp_gt_i16_e32 vcc_lo, 6, v7
	s_mov_b32 s3, -1
	s_cbranch_vccnz .LBB497_128
; %bb.123:
	v_cmp_lt_i16_e32 vcc_lo, 6, v7
	s_cbranch_vccz .LBB497_125
; %bb.124:
	s_mov_b32 s3, 0
	global_store_b64 v[4:5], v[0:1], off
.LBB497_125:
	s_and_not1_b32 vcc_lo, exec_lo, s3
	s_cbranch_vccnz .LBB497_127
; %bb.126:
	v_cvt_f32_f64_e32 v2, v[0:1]
	global_store_b32 v[4:5], v2, off
.LBB497_127:
	s_mov_b32 s3, 0
.LBB497_128:
	s_delay_alu instid0(SALU_CYCLE_1)
	s_and_not1_b32 vcc_lo, exec_lo, s3
	s_cbranch_vccnz .LBB497_130
; %bb.129:
	v_cvt_f32_f64_e32 v2, v[0:1]
	s_delay_alu instid0(VALU_DEP_1)
	v_cvt_f16_f32_e32 v2, v2
	global_store_b16 v[4:5], v2, off
.LBB497_130:
	s_mov_b32 s3, 0
.LBB497_131:
	s_delay_alu instid0(SALU_CYCLE_1)
	s_and_not1_b32 vcc_lo, exec_lo, s3
	s_cbranch_vccnz .LBB497_147
; %bb.132:
	v_cmp_gt_i16_e32 vcc_lo, 2, v7
	s_mov_b32 s3, -1
	s_cbranch_vccnz .LBB497_142
; %bb.133:
	v_cmp_gt_i16_e32 vcc_lo, 3, v7
	s_cbranch_vccnz .LBB497_139
; %bb.134:
	v_cmp_lt_i16_e32 vcc_lo, 3, v7
	s_cbranch_vccz .LBB497_136
; %bb.135:
	v_trunc_f64_e32 v[2:3], v[0:1]
	s_mov_b32 s3, 0
	s_delay_alu instid0(VALU_DEP_1) | instskip(NEXT) | instid1(VALU_DEP_1)
	v_ldexp_f64 v[11:12], v[2:3], 0xffffffe0
	v_floor_f64_e32 v[11:12], v[11:12]
	s_delay_alu instid0(VALU_DEP_1) | instskip(SKIP_1) | instid1(VALU_DEP_2)
	v_fma_f64 v[2:3], 0xc1f00000, v[11:12], v[2:3]
	v_cvt_i32_f64_e32 v12, v[11:12]
	v_cvt_u32_f64_e32 v11, v[2:3]
	global_store_b64 v[4:5], v[11:12], off
.LBB497_136:
	s_and_not1_b32 vcc_lo, exec_lo, s3
	s_cbranch_vccnz .LBB497_138
; %bb.137:
	v_cvt_i32_f64_e32 v2, v[0:1]
	global_store_b32 v[4:5], v2, off
.LBB497_138:
	s_mov_b32 s3, 0
.LBB497_139:
	s_delay_alu instid0(SALU_CYCLE_1)
	s_and_not1_b32 vcc_lo, exec_lo, s3
	s_cbranch_vccnz .LBB497_141
; %bb.140:
	v_cvt_i32_f64_e32 v2, v[0:1]
	global_store_b16 v[4:5], v2, off
.LBB497_141:
	s_mov_b32 s3, 0
.LBB497_142:
	s_delay_alu instid0(SALU_CYCLE_1)
	s_and_not1_b32 vcc_lo, exec_lo, s3
	s_cbranch_vccnz .LBB497_147
; %bb.143:
	v_cmp_lt_i16_e32 vcc_lo, 0, v7
	s_mov_b32 s3, -1
	s_cbranch_vccz .LBB497_145
; %bb.144:
	v_cvt_i32_f64_e32 v2, v[0:1]
	s_mov_b32 s3, 0
	global_store_b8 v[4:5], v2, off
.LBB497_145:
	s_and_not1_b32 vcc_lo, exec_lo, s3
	s_cbranch_vccnz .LBB497_147
; %bb.146:
	v_trunc_f64_e32 v[0:1], v[0:1]
	s_delay_alu instid0(VALU_DEP_1) | instskip(NEXT) | instid1(VALU_DEP_1)
	v_ldexp_f64 v[2:3], v[0:1], 0xffffffe0
	v_floor_f64_e32 v[2:3], v[2:3]
	s_delay_alu instid0(VALU_DEP_1) | instskip(NEXT) | instid1(VALU_DEP_1)
	v_fma_f64 v[0:1], 0xc1f00000, v[2:3], v[0:1]
	v_cvt_u32_f64_e32 v0, v[0:1]
	global_store_b8 v[4:5], v0, off
.LBB497_147:
.LBB497_148:
	v_add_nc_u32_e32 v10, 0x80, v10
	s_mov_b32 s3, -1
	s_branch .LBB497_275
.LBB497_149:
	s_mov_b32 s28, 0
                                        ; implicit-def: $vgpr4_vgpr5
	s_cbranch_execnz .LBB497_190
	s_branch .LBB497_223
.LBB497_150:
	s_mov_b32 s2, -1
	s_mov_b32 s28, 0
                                        ; implicit-def: $vgpr4_vgpr5
	s_branch .LBB497_169
.LBB497_151:
	s_mov_b32 s2, -1
	s_mov_b32 s28, 0
                                        ; implicit-def: $vgpr4_vgpr5
	s_branch .LBB497_163
.LBB497_152:
	s_mov_b32 s2, -1
	s_branch .LBB497_154
.LBB497_153:
	s_mov_b32 s42, -1
.LBB497_154:
	s_mov_b32 s28, 0
                                        ; implicit-def: $vgpr4_vgpr5
.LBB497_155:
	s_and_b32 vcc_lo, exec_lo, s2
	s_cbranch_vccz .LBB497_162
; %bb.156:
	v_cmp_eq_u16_e32 vcc_lo, 44, v9
	s_cbranch_vccz .LBB497_160
; %bb.157:
	global_load_u8 v4, v[0:1], off
	s_mov_b32 s42, 0
	s_mov_b32 s28, -1
	s_mov_b64 s[2:3], 0
	s_waitcnt vmcnt(0)
	v_cmp_ne_u32_e32 vcc_lo, 0xff, v4
	v_lshlrev_b32_e32 v2, 23, v4
	s_delay_alu instid0(VALU_DEP_1) | instskip(NEXT) | instid1(VALU_DEP_1)
	v_cvt_f64_f32_e32 v[2:3], v2
	v_cndmask_b32_e32 v3, 0x7ff80000, v3, vcc_lo
	s_delay_alu instid0(VALU_DEP_2) | instskip(SKIP_1) | instid1(VALU_DEP_3)
	v_cndmask_b32_e32 v2, 0x20000000, v2, vcc_lo
	v_cmp_ne_u32_e32 vcc_lo, 0, v4
	v_cndmask_b32_e32 v3, 0x38000000, v3, vcc_lo
	s_delay_alu instid0(VALU_DEP_3)
	v_cndmask_b32_e32 v2, 0, v2, vcc_lo
	s_branch .LBB497_161
.LBB497_158:
	s_or_saveexec_b32 s29, s29
                                        ; implicit-def: $sgpr41
	s_delay_alu instid0(SALU_CYCLE_1)
	s_xor_b32 exec_lo, exec_lo, s29
	s_cbranch_execz .LBB497_60
.LBB497_159:
	v_add_f32_e64 v8, 0x46000000, |v6|
	s_and_not1_b32 s28, s28, exec_lo
	s_mov_b32 s41, 0
	s_delay_alu instid0(VALU_DEP_1) | instskip(NEXT) | instid1(VALU_DEP_1)
	v_and_b32_e32 v8, 0xff, v8
	v_cmp_ne_u32_e32 vcc_lo, 0, v8
	s_and_b32 s45, vcc_lo, exec_lo
	s_delay_alu instid0(SALU_CYCLE_1)
	s_or_b32 s28, s28, s45
	s_or_b32 exec_lo, exec_lo, s29
	v_mov_b32_e32 v11, s41
	s_and_saveexec_b32 s29, s28
	s_cbranch_execnz .LBB497_61
	s_branch .LBB497_62
.LBB497_160:
	s_mov_b32 s42, -1
                                        ; implicit-def: $sgpr2_sgpr3
                                        ; implicit-def: $vgpr2_vgpr3
.LBB497_161:
	v_dual_mov_b32 v5, s3 :: v_dual_mov_b32 v4, s2
.LBB497_162:
	s_mov_b32 s2, 0
.LBB497_163:
	s_delay_alu instid0(SALU_CYCLE_1)
	s_and_b32 vcc_lo, exec_lo, s2
	s_cbranch_vccz .LBB497_168
; %bb.164:
	v_cmp_eq_u16_e32 vcc_lo, 29, v9
	s_cbranch_vccz .LBB497_166
; %bb.165:
	global_load_b64 v[2:3], v[0:1], off
	s_mov_b32 s28, -1
	s_mov_b32 s42, 0
	s_mov_b64 s[2:3], 0
	s_waitcnt vmcnt(0)
	v_cvt_f64_u32_e32 v[3:4], v3
	v_cvt_f64_u32_e32 v[7:8], v2
	s_delay_alu instid0(VALU_DEP_2) | instskip(NEXT) | instid1(VALU_DEP_1)
	v_ldexp_f64 v[3:4], v[3:4], 32
	v_add_f64 v[2:3], v[3:4], v[7:8]
	s_branch .LBB497_167
.LBB497_166:
	s_mov_b32 s42, -1
                                        ; implicit-def: $sgpr2_sgpr3
                                        ; implicit-def: $vgpr2_vgpr3
.LBB497_167:
	v_dual_mov_b32 v5, s3 :: v_dual_mov_b32 v4, s2
.LBB497_168:
	s_mov_b32 s2, 0
.LBB497_169:
	s_delay_alu instid0(SALU_CYCLE_1)
	s_and_b32 vcc_lo, exec_lo, s2
	s_cbranch_vccz .LBB497_189
; %bb.170:
	v_cmp_gt_i16_e32 vcc_lo, 27, v9
	s_cbranch_vccnz .LBB497_173
; %bb.171:
	v_cmp_lt_i16_e32 vcc_lo, 27, v9
	s_cbranch_vccz .LBB497_174
; %bb.172:
	global_load_b32 v2, v[0:1], off
	s_mov_b32 s28, 0
	s_mov_b64 s[2:3], 0
	s_waitcnt vmcnt(0)
	v_cvt_f64_u32_e32 v[2:3], v2
	s_branch .LBB497_175
.LBB497_173:
	s_mov_b32 s28, -1
                                        ; implicit-def: $sgpr2_sgpr3
                                        ; implicit-def: $vgpr2_vgpr3
	s_branch .LBB497_178
.LBB497_174:
	s_mov_b32 s28, -1
                                        ; implicit-def: $sgpr2_sgpr3
                                        ; implicit-def: $vgpr2_vgpr3
.LBB497_175:
	s_delay_alu instid0(SALU_CYCLE_1)
	s_and_not1_b32 vcc_lo, exec_lo, s28
	s_cbranch_vccnz .LBB497_177
; %bb.176:
	global_load_u16 v2, v[0:1], off
	s_mov_b64 s[2:3], 0
	s_waitcnt vmcnt(0)
	v_cvt_f64_u32_e32 v[2:3], v2
.LBB497_177:
	s_mov_b32 s28, 0
.LBB497_178:
	v_dual_mov_b32 v5, s3 :: v_dual_mov_b32 v4, s2
	s_and_not1_b32 vcc_lo, exec_lo, s28
	s_cbranch_vccnz .LBB497_188
; %bb.179:
	global_load_u8 v7, v[0:1], off
	s_mov_b32 s41, 0
	s_mov_b32 s45, exec_lo
                                        ; implicit-def: $sgpr2_sgpr3
                                        ; implicit-def: $sgpr28_sgpr29
	s_waitcnt vmcnt(0)
	v_cmpx_lt_i16_e32 0x7f, v7
	s_xor_b32 s45, exec_lo, s45
	s_cbranch_execz .LBB497_183
; %bb.180:
	s_mov_b32 s41, -1
	s_mov_b32 s46, exec_lo
                                        ; implicit-def: $sgpr2_sgpr3
                                        ; implicit-def: $sgpr28_sgpr29
	v_cmpx_eq_u16_e32 0x80, v7
; %bb.181:
	s_mov_b64 s[2:3], 0
	s_mov_b32 s29, 0x7ff80000
	s_brev_b32 s28, 4
	s_xor_b32 s41, exec_lo, -1
; %bb.182:
	s_or_b32 exec_lo, exec_lo, s46
	s_delay_alu instid0(SALU_CYCLE_1)
	s_and_b32 s41, s41, exec_lo
.LBB497_183:
	s_or_saveexec_b32 s45, s45
	v_dual_mov_b32 v5, s3 :: v_dual_mov_b32 v4, s2
	v_dual_mov_b32 v2, s28 :: v_dual_mov_b32 v3, s29
	s_xor_b32 exec_lo, exec_lo, s45
; %bb.184:
	v_mov_b32_e32 v4, 0
	v_mov_b32_e32 v5, 0
	v_cmp_ne_u16_e32 vcc_lo, 0, v7
	s_delay_alu instid0(VALU_DEP_3) | instskip(SKIP_1) | instid1(VALU_DEP_3)
	v_mov_b32_e32 v2, v4
	s_and_not1_b32 s2, s41, exec_lo
	v_mov_b32_e32 v3, v5
	s_and_b32 s3, vcc_lo, exec_lo
	s_delay_alu instid0(SALU_CYCLE_1)
	s_or_b32 s41, s2, s3
; %bb.185:
	s_or_b32 exec_lo, exec_lo, s45
	s_and_saveexec_b32 s2, s41
	s_cbranch_execz .LBB497_187
; %bb.186:
	v_and_b32_e32 v2, 0xffff, v7
	v_lshlrev_b32_e32 v7, 24, v7
	s_delay_alu instid0(VALU_DEP_2) | instskip(NEXT) | instid1(VALU_DEP_1)
	v_and_b32_e32 v3, 7, v2
	v_clz_i32_u32_e32 v4, v3
	s_delay_alu instid0(VALU_DEP_1) | instskip(NEXT) | instid1(VALU_DEP_1)
	v_min_u32_e32 v4, 32, v4
	v_subrev_nc_u32_e32 v5, 28, v4
	v_sub_nc_u32_e32 v4, 29, v4
	s_delay_alu instid0(VALU_DEP_2) | instskip(SKIP_1) | instid1(VALU_DEP_2)
	v_lshlrev_b32_e32 v5, v5, v2
	v_bfe_u32 v2, v2, 3, 4
	v_and_b32_e32 v5, 7, v5
	s_delay_alu instid0(VALU_DEP_2) | instskip(NEXT) | instid1(VALU_DEP_2)
	v_cmp_eq_u32_e32 vcc_lo, 0, v2
	v_dual_cndmask_b32 v2, v2, v4 :: v_dual_cndmask_b32 v3, v3, v5
	v_and_b32_e32 v4, 0x80000000, v7
	s_delay_alu instid0(VALU_DEP_2) | instskip(NEXT) | instid1(VALU_DEP_3)
	v_lshl_add_u32 v2, v2, 23, 0x3b800000
	v_lshlrev_b32_e32 v3, 20, v3
	s_delay_alu instid0(VALU_DEP_1) | instskip(SKIP_2) | instid1(VALU_DEP_3)
	v_or3_b32 v2, v4, v2, v3
	v_mov_b32_e32 v4, 0
	v_mov_b32_e32 v5, 0
	v_cvt_f64_f32_e32 v[2:3], v2
.LBB497_187:
	s_or_b32 exec_lo, exec_lo, s2
.LBB497_188:
	s_mov_b32 s28, -1
.LBB497_189:
	s_branch .LBB497_223
.LBB497_190:
	v_cmp_lt_i16_e32 vcc_lo, 22, v9
	s_cbranch_vccz .LBB497_202
; %bb.191:
	v_cmp_gt_i16_e32 vcc_lo, 24, v9
	s_cbranch_vccnz .LBB497_203
; %bb.192:
	v_cmp_lt_i16_e32 vcc_lo, 24, v9
	s_cbranch_vccz .LBB497_204
; %bb.193:
	global_load_u8 v7, v[0:1], off
	s_mov_b32 s41, 0
	s_mov_b32 s45, exec_lo
                                        ; implicit-def: $sgpr2_sgpr3
                                        ; implicit-def: $sgpr28_sgpr29
	s_waitcnt vmcnt(0)
	v_cmpx_lt_i16_e32 0x7f, v7
	s_xor_b32 s45, exec_lo, s45
	s_cbranch_execz .LBB497_197
; %bb.194:
	s_mov_b32 s41, -1
	s_mov_b32 s46, exec_lo
                                        ; implicit-def: $sgpr2_sgpr3
                                        ; implicit-def: $sgpr28_sgpr29
	v_cmpx_eq_u16_e32 0x80, v7
; %bb.195:
	s_mov_b64 s[2:3], 0
	s_mov_b32 s29, 0x7ff80000
	s_brev_b32 s28, 4
	s_xor_b32 s41, exec_lo, -1
; %bb.196:
	s_or_b32 exec_lo, exec_lo, s46
	s_delay_alu instid0(SALU_CYCLE_1)
	s_and_b32 s41, s41, exec_lo
.LBB497_197:
	s_or_saveexec_b32 s45, s45
	v_dual_mov_b32 v5, s3 :: v_dual_mov_b32 v4, s2
	v_dual_mov_b32 v2, s28 :: v_dual_mov_b32 v3, s29
	s_xor_b32 exec_lo, exec_lo, s45
; %bb.198:
	v_mov_b32_e32 v4, 0
	v_mov_b32_e32 v5, 0
	v_cmp_ne_u16_e32 vcc_lo, 0, v7
	s_delay_alu instid0(VALU_DEP_3) | instskip(SKIP_1) | instid1(VALU_DEP_3)
	v_mov_b32_e32 v2, v4
	s_and_not1_b32 s2, s41, exec_lo
	v_mov_b32_e32 v3, v5
	s_and_b32 s3, vcc_lo, exec_lo
	s_delay_alu instid0(SALU_CYCLE_1)
	s_or_b32 s41, s2, s3
; %bb.199:
	s_or_b32 exec_lo, exec_lo, s45
	s_and_saveexec_b32 s2, s41
	s_cbranch_execz .LBB497_201
; %bb.200:
	v_and_b32_e32 v2, 0xffff, v7
	v_lshlrev_b32_e32 v7, 24, v7
	s_delay_alu instid0(VALU_DEP_2) | instskip(NEXT) | instid1(VALU_DEP_1)
	v_and_b32_e32 v3, 3, v2
	v_clz_i32_u32_e32 v4, v3
	s_delay_alu instid0(VALU_DEP_1) | instskip(NEXT) | instid1(VALU_DEP_1)
	v_min_u32_e32 v4, 32, v4
	v_subrev_nc_u32_e32 v5, 29, v4
	v_sub_nc_u32_e32 v4, 30, v4
	s_delay_alu instid0(VALU_DEP_2) | instskip(SKIP_1) | instid1(VALU_DEP_2)
	v_lshlrev_b32_e32 v5, v5, v2
	v_bfe_u32 v2, v2, 2, 5
	v_and_b32_e32 v5, 3, v5
	s_delay_alu instid0(VALU_DEP_2) | instskip(NEXT) | instid1(VALU_DEP_2)
	v_cmp_eq_u32_e32 vcc_lo, 0, v2
	v_dual_cndmask_b32 v2, v2, v4 :: v_dual_cndmask_b32 v3, v3, v5
	v_and_b32_e32 v4, 0x80000000, v7
	s_delay_alu instid0(VALU_DEP_2) | instskip(NEXT) | instid1(VALU_DEP_3)
	v_lshl_add_u32 v2, v2, 23, 0x37800000
	v_lshlrev_b32_e32 v3, 21, v3
	s_delay_alu instid0(VALU_DEP_1) | instskip(SKIP_2) | instid1(VALU_DEP_3)
	v_or3_b32 v2, v4, v2, v3
	v_mov_b32_e32 v4, 0
	v_mov_b32_e32 v5, 0
	v_cvt_f64_f32_e32 v[2:3], v2
.LBB497_201:
	s_or_b32 exec_lo, exec_lo, s2
	s_mov_b32 s2, 0
	s_branch .LBB497_205
.LBB497_202:
	s_mov_b32 s2, -1
                                        ; implicit-def: $vgpr4_vgpr5
	s_branch .LBB497_211
.LBB497_203:
	s_mov_b32 s2, -1
                                        ; implicit-def: $vgpr4_vgpr5
	s_branch .LBB497_208
.LBB497_204:
	s_mov_b32 s2, -1
                                        ; implicit-def: $vgpr4_vgpr5
.LBB497_205:
	s_delay_alu instid0(SALU_CYCLE_1)
	s_and_b32 vcc_lo, exec_lo, s2
	s_cbranch_vccz .LBB497_207
; %bb.206:
	global_load_u8 v2, v[0:1], off
	s_waitcnt vmcnt(0)
	v_lshlrev_b32_e32 v2, 24, v2
	s_delay_alu instid0(VALU_DEP_1) | instskip(NEXT) | instid1(VALU_DEP_1)
	v_and_b32_e32 v3, 0x7f000000, v2
	v_clz_i32_u32_e32 v4, v3
	v_add_nc_u32_e32 v7, 0x1000000, v3
	v_cmp_ne_u32_e32 vcc_lo, 0, v3
	s_delay_alu instid0(VALU_DEP_3) | instskip(NEXT) | instid1(VALU_DEP_1)
	v_min_u32_e32 v4, 32, v4
	v_sub_nc_u32_e64 v4, v4, 4 clamp
	s_delay_alu instid0(VALU_DEP_1) | instskip(SKIP_1) | instid1(VALU_DEP_2)
	v_lshlrev_b32_e32 v5, v4, v3
	v_lshlrev_b32_e32 v4, 23, v4
	v_lshrrev_b32_e32 v5, 4, v5
	s_delay_alu instid0(VALU_DEP_1) | instskip(SKIP_1) | instid1(VALU_DEP_2)
	v_sub_nc_u32_e32 v4, v5, v4
	v_ashrrev_i32_e32 v5, 8, v7
	v_add_nc_u32_e32 v4, 0x3c000000, v4
	s_delay_alu instid0(VALU_DEP_1) | instskip(NEXT) | instid1(VALU_DEP_1)
	v_and_or_b32 v4, 0x7f800000, v5, v4
	v_dual_cndmask_b32 v3, 0, v4 :: v_dual_mov_b32 v4, 0
	v_mov_b32_e32 v5, 0
	s_delay_alu instid0(VALU_DEP_2) | instskip(NEXT) | instid1(VALU_DEP_1)
	v_and_or_b32 v2, 0x80000000, v2, v3
	v_cvt_f64_f32_e32 v[2:3], v2
.LBB497_207:
	s_mov_b32 s2, 0
.LBB497_208:
	s_delay_alu instid0(SALU_CYCLE_1)
	s_and_not1_b32 vcc_lo, exec_lo, s2
	s_cbranch_vccnz .LBB497_210
; %bb.209:
	global_load_u8 v2, v[0:1], off
	s_waitcnt vmcnt(0)
	v_lshlrev_b32_e32 v3, 25, v2
	v_lshlrev_b16 v2, 8, v2
	s_delay_alu instid0(VALU_DEP_2) | instskip(NEXT) | instid1(VALU_DEP_2)
	v_lshrrev_b32_e32 v4, 4, v3
	v_and_or_b32 v5, 0x7f00, v2, 0.5
	v_bfe_i32 v2, v2, 0, 16
	s_delay_alu instid0(VALU_DEP_3) | instskip(NEXT) | instid1(VALU_DEP_1)
	v_or_b32_e32 v4, 0x70000000, v4
	v_dual_add_f32 v5, -0.5, v5 :: v_dual_mul_f32 v4, 0x7800000, v4
	v_cmp_gt_u32_e32 vcc_lo, 0x8000000, v3
	s_delay_alu instid0(VALU_DEP_2) | instskip(SKIP_1) | instid1(VALU_DEP_2)
	v_dual_cndmask_b32 v3, v4, v5 :: v_dual_mov_b32 v4, 0
	v_mov_b32_e32 v5, 0
	v_and_or_b32 v2, 0x80000000, v2, v3
	s_delay_alu instid0(VALU_DEP_1)
	v_cvt_f64_f32_e32 v[2:3], v2
.LBB497_210:
	s_mov_b32 s2, 0
	s_mov_b32 s28, -1
.LBB497_211:
	s_and_not1_b32 vcc_lo, exec_lo, s2
	s_cbranch_vccnz .LBB497_223
; %bb.212:
	v_cmp_lt_i16_e32 vcc_lo, 14, v9
	s_cbranch_vccz .LBB497_215
; %bb.213:
	v_cmp_eq_u16_e32 vcc_lo, 15, v9
	s_cbranch_vccz .LBB497_216
; %bb.214:
	global_load_u16 v2, v[0:1], off
	s_mov_b32 s28, -1
	s_mov_b32 s42, 0
	s_mov_b64 s[2:3], 0
	s_waitcnt vmcnt(0)
	v_lshlrev_b32_e32 v2, 16, v2
	s_delay_alu instid0(VALU_DEP_1)
	v_cvt_f64_f32_e32 v[2:3], v2
	s_branch .LBB497_217
.LBB497_215:
	s_mov_b32 s29, -1
                                        ; implicit-def: $sgpr2_sgpr3
                                        ; implicit-def: $vgpr2_vgpr3
	s_branch .LBB497_218
.LBB497_216:
	s_mov_b32 s42, -1
                                        ; implicit-def: $sgpr2_sgpr3
                                        ; implicit-def: $vgpr2_vgpr3
.LBB497_217:
	s_mov_b32 s29, 0
.LBB497_218:
	s_delay_alu instid0(SALU_CYCLE_1)
	s_and_b32 vcc_lo, exec_lo, s29
	s_cbranch_vccz .LBB497_222
; %bb.219:
	v_cmp_eq_u16_e32 vcc_lo, 11, v9
	s_cbranch_vccz .LBB497_221
; %bb.220:
	global_load_u8 v2, v[0:1], off
	s_mov_b32 s42, 0
	s_mov_b32 s28, -1
	s_mov_b64 s[2:3], 0
	s_waitcnt vmcnt(0)
	v_cmp_ne_u16_e32 vcc_lo, 0, v2
	v_mov_b32_e32 v2, 0
	v_cndmask_b32_e64 v3, 0, 0x3ff00000, vcc_lo
	s_branch .LBB497_222
.LBB497_221:
	s_mov_b32 s42, -1
                                        ; implicit-def: $sgpr2_sgpr3
                                        ; implicit-def: $vgpr2_vgpr3
.LBB497_222:
	v_dual_mov_b32 v5, s3 :: v_dual_mov_b32 v4, s2
.LBB497_223:
	s_branch .LBB497_23
.LBB497_224:
	v_cmp_gt_i16_e32 vcc_lo, 5, v9
	s_cbranch_vccnz .LBB497_229
; %bb.225:
	v_cmp_gt_i16_e32 vcc_lo, 8, v9
	s_cbranch_vccnz .LBB497_230
; %bb.226:
	;; [unrolled: 3-line block ×3, first 2 shown]
	v_cmp_lt_i16_e32 vcc_lo, 9, v9
	s_cbranch_vccz .LBB497_232
; %bb.228:
	global_load_b128 v[2:5], v[0:1], off
	s_mov_b32 s2, 0
	s_branch .LBB497_233
.LBB497_229:
                                        ; implicit-def: $vgpr4_vgpr5
	s_branch .LBB497_252
.LBB497_230:
	s_mov_b32 s2, -1
                                        ; implicit-def: $vgpr4_vgpr5
	s_branch .LBB497_239
.LBB497_231:
	s_mov_b32 s2, -1
                                        ; implicit-def: $vgpr4_vgpr5
	s_branch .LBB497_236
.LBB497_232:
	s_mov_b32 s2, -1
                                        ; implicit-def: $vgpr4_vgpr5
.LBB497_233:
	s_delay_alu instid0(SALU_CYCLE_1)
	s_and_not1_b32 vcc_lo, exec_lo, s2
	s_cbranch_vccnz .LBB497_235
; %bb.234:
	global_load_b64 v[3:4], v[0:1], off
	s_waitcnt vmcnt(0)
	v_cvt_f64_f32_e32 v[2:3], v3
	v_cvt_f64_f32_e32 v[4:5], v4
.LBB497_235:
	s_mov_b32 s2, 0
.LBB497_236:
	s_delay_alu instid0(SALU_CYCLE_1)
	s_and_not1_b32 vcc_lo, exec_lo, s2
	s_cbranch_vccnz .LBB497_238
; %bb.237:
	global_load_b32 v2, v[0:1], off
	s_waitcnt vmcnt(0)
	v_lshrrev_b32_e32 v3, 16, v2
	v_cvt_f32_f16_e32 v2, v2
	s_delay_alu instid0(VALU_DEP_2) | instskip(NEXT) | instid1(VALU_DEP_2)
	v_cvt_f32_f16_e32 v4, v3
	v_cvt_f64_f32_e32 v[2:3], v2
	s_delay_alu instid0(VALU_DEP_2)
	v_cvt_f64_f32_e32 v[4:5], v4
.LBB497_238:
	s_mov_b32 s2, 0
.LBB497_239:
	s_delay_alu instid0(SALU_CYCLE_1)
	s_and_not1_b32 vcc_lo, exec_lo, s2
	s_cbranch_vccnz .LBB497_251
; %bb.240:
	v_cmp_gt_i16_e32 vcc_lo, 6, v9
	s_cbranch_vccnz .LBB497_243
; %bb.241:
	v_cmp_lt_i16_e32 vcc_lo, 6, v9
	s_cbranch_vccz .LBB497_244
; %bb.242:
	global_load_b64 v[2:3], v[0:1], off
	s_mov_b32 s28, 0
	s_mov_b64 s[2:3], 0
	s_branch .LBB497_245
.LBB497_243:
	s_mov_b32 s28, -1
                                        ; implicit-def: $sgpr2_sgpr3
                                        ; implicit-def: $vgpr2_vgpr3
	s_branch .LBB497_248
.LBB497_244:
	s_mov_b32 s28, -1
                                        ; implicit-def: $sgpr2_sgpr3
                                        ; implicit-def: $vgpr2_vgpr3
.LBB497_245:
	s_delay_alu instid0(SALU_CYCLE_1)
	s_and_not1_b32 vcc_lo, exec_lo, s28
	s_cbranch_vccnz .LBB497_247
; %bb.246:
	global_load_b32 v2, v[0:1], off
	s_mov_b64 s[2:3], 0
	s_waitcnt vmcnt(0)
	v_cvt_f64_f32_e32 v[2:3], v2
.LBB497_247:
	s_mov_b32 s28, 0
.LBB497_248:
	s_delay_alu instid0(SALU_CYCLE_1)
	s_and_not1_b32 vcc_lo, exec_lo, s28
	s_cbranch_vccnz .LBB497_250
; %bb.249:
	global_load_u16 v2, v[0:1], off
	s_mov_b64 s[2:3], 0
	s_waitcnt vmcnt(0)
	v_cvt_f32_f16_e32 v2, v2
	s_delay_alu instid0(VALU_DEP_1)
	v_cvt_f64_f32_e32 v[2:3], v2
.LBB497_250:
	s_waitcnt vmcnt(0)
	v_dual_mov_b32 v5, s3 :: v_dual_mov_b32 v4, s2
.LBB497_251:
	s_cbranch_execnz .LBB497_272
.LBB497_252:
	v_cmp_gt_i16_e32 vcc_lo, 2, v9
	s_cbranch_vccnz .LBB497_256
; %bb.253:
	v_cmp_gt_i16_e32 vcc_lo, 3, v9
	s_cbranch_vccnz .LBB497_257
; %bb.254:
	v_cmp_lt_i16_e32 vcc_lo, 3, v9
	s_cbranch_vccz .LBB497_258
; %bb.255:
	global_load_b64 v[2:3], v[0:1], off
	s_mov_b32 s28, 0
	s_mov_b64 s[2:3], 0
	s_waitcnt vmcnt(0)
	v_cvt_f64_i32_e32 v[3:4], v3
	v_cvt_f64_u32_e32 v[7:8], v2
	s_delay_alu instid0(VALU_DEP_2) | instskip(NEXT) | instid1(VALU_DEP_1)
	v_ldexp_f64 v[3:4], v[3:4], 32
	v_add_f64 v[2:3], v[3:4], v[7:8]
	s_branch .LBB497_259
.LBB497_256:
	s_mov_b32 s28, -1
                                        ; implicit-def: $sgpr2_sgpr3
                                        ; implicit-def: $vgpr2_vgpr3
	s_branch .LBB497_265
.LBB497_257:
	s_mov_b32 s28, -1
                                        ; implicit-def: $sgpr2_sgpr3
                                        ; implicit-def: $vgpr2_vgpr3
	s_branch .LBB497_262
.LBB497_258:
	s_mov_b32 s28, -1
                                        ; implicit-def: $sgpr2_sgpr3
                                        ; implicit-def: $vgpr2_vgpr3
.LBB497_259:
	s_delay_alu instid0(SALU_CYCLE_1)
	s_and_not1_b32 vcc_lo, exec_lo, s28
	s_cbranch_vccnz .LBB497_261
; %bb.260:
	global_load_b32 v2, v[0:1], off
	s_mov_b64 s[2:3], 0
	s_waitcnt vmcnt(0)
	v_cvt_f64_i32_e32 v[2:3], v2
.LBB497_261:
	s_mov_b32 s28, 0
.LBB497_262:
	s_delay_alu instid0(SALU_CYCLE_1)
	s_and_not1_b32 vcc_lo, exec_lo, s28
	s_cbranch_vccnz .LBB497_264
; %bb.263:
	global_load_i16 v2, v[0:1], off
	s_mov_b64 s[2:3], 0
	s_waitcnt vmcnt(0)
	v_cvt_f64_i32_e32 v[2:3], v2
.LBB497_264:
	s_mov_b32 s28, 0
.LBB497_265:
	s_delay_alu instid0(SALU_CYCLE_1)
	s_and_not1_b32 vcc_lo, exec_lo, s28
	s_cbranch_vccnz .LBB497_271
; %bb.266:
	v_cmp_lt_i16_e32 vcc_lo, 0, v9
	s_mov_b32 s28, 0
	s_cbranch_vccz .LBB497_268
; %bb.267:
	global_load_i8 v2, v[0:1], off
	s_mov_b64 s[2:3], 0
	s_waitcnt vmcnt(0)
	v_cvt_f64_i32_e32 v[2:3], v2
	s_branch .LBB497_269
.LBB497_268:
	s_mov_b32 s28, -1
                                        ; implicit-def: $sgpr2_sgpr3
                                        ; implicit-def: $vgpr2_vgpr3
.LBB497_269:
	s_delay_alu instid0(SALU_CYCLE_1)
	s_and_not1_b32 vcc_lo, exec_lo, s28
	s_cbranch_vccnz .LBB497_271
; %bb.270:
	global_load_u8 v0, v[0:1], off
	s_mov_b64 s[2:3], 0
	s_waitcnt vmcnt(0)
	v_cvt_f64_u32_e32 v[2:3], v0
.LBB497_271:
	s_waitcnt vmcnt(0)
	v_dual_mov_b32 v5, s3 :: v_dual_mov_b32 v4, s2
.LBB497_272:
	s_branch .LBB497_24
.LBB497_273:
	s_mov_b32 s2, 0
.LBB497_274:
	s_mov_b32 s3, 0
                                        ; implicit-def: $vgpr10
.LBB497_275:
	s_and_b32 s41, s2, exec_lo
	s_and_b32 s42, s42, exec_lo
	s_or_not1_b32 s3, s3, exec_lo
.LBB497_276:
	s_or_b32 exec_lo, exec_lo, s43
	s_mov_b32 s2, 0
	s_mov_b32 s28, 0
                                        ; implicit-def: $vgpr0_vgpr1
                                        ; implicit-def: $vgpr8
                                        ; implicit-def: $vgpr6_vgpr7
	s_and_saveexec_b32 s43, s3
	s_cbranch_execz .LBB497_948
; %bb.277:
	s_mov_b32 s28, -1
	s_mov_b32 s44, s42
	s_mov_b32 s45, s41
	s_mov_b32 s46, exec_lo
	v_cmpx_gt_i32_e64 s38, v10
	s_cbranch_execz .LBB497_559
; %bb.278:
	s_and_not1_b32 vcc_lo, exec_lo, s34
	s_cbranch_vccnz .LBB497_283
; %bb.279:
	v_mov_b32_e32 v6, 0
	v_mov_b32_e32 v0, 0
	s_and_not1_b32 vcc_lo, exec_lo, s40
	s_mov_b32 s44, 0
	s_cbranch_vccnz .LBB497_288
; %bb.280:
	v_mov_b32_e32 v6, 0
	s_add_i32 s47, s39, 1
	s_cmp_eq_u32 s31, 2
	s_mov_b32 s45, 0
	s_cbranch_scc1 .LBB497_284
; %bb.281:
	v_dual_mov_b32 v0, 0 :: v_dual_mov_b32 v1, v10
	v_mov_b32_e32 v6, 0
	s_and_b32 s45, s47, 28
	s_mov_b32 s48, 0
	s_mov_b64 s[2:3], s[26:27]
	s_mov_b64 s[28:29], s[20:21]
.LBB497_282:                            ; =>This Inner Loop Header: Depth=1
	s_clause 0x1
	s_load_b256 s[52:59], s[28:29], 0x4
	s_load_b128 s[68:71], s[28:29], 0x24
	s_load_b256 s[60:67], s[2:3], 0x0
	s_add_u32 s28, s28, 48
	s_addc_u32 s29, s29, 0
	s_add_i32 s48, s48, 4
	s_add_u32 s2, s2, 32
	s_addc_u32 s3, s3, 0
	s_cmp_eq_u32 s45, s48
	s_waitcnt vmcnt(0) lgkmcnt(0)
	v_mul_hi_u32 v2, s53, v1
	s_delay_alu instid0(VALU_DEP_1) | instskip(NEXT) | instid1(VALU_DEP_1)
	v_add_nc_u32_e32 v2, v1, v2
	v_lshrrev_b32_e32 v2, s54, v2
	s_delay_alu instid0(VALU_DEP_1) | instskip(SKIP_1) | instid1(VALU_DEP_2)
	v_mul_hi_u32 v3, s56, v2
	v_mul_lo_u32 v5, v2, s52
	v_add_nc_u32_e32 v3, v2, v3
	s_delay_alu instid0(VALU_DEP_2) | instskip(NEXT) | instid1(VALU_DEP_2)
	v_sub_nc_u32_e32 v1, v1, v5
	v_lshrrev_b32_e32 v3, s57, v3
	s_delay_alu instid0(VALU_DEP_2) | instskip(SKIP_1) | instid1(VALU_DEP_3)
	v_mul_lo_u32 v5, v1, s60
	v_mul_lo_u32 v8, v1, s61
	v_mul_hi_u32 v4, s59, v3
	s_delay_alu instid0(VALU_DEP_1) | instskip(NEXT) | instid1(VALU_DEP_1)
	v_add_nc_u32_e32 v4, v3, v4
	v_lshrrev_b32_e32 v4, s68, v4
	s_delay_alu instid0(VALU_DEP_1) | instskip(SKIP_1) | instid1(VALU_DEP_2)
	v_mul_hi_u32 v7, s70, v4
	v_mul_lo_u32 v11, v4, s58
	v_add_nc_u32_e32 v1, v4, v7
	v_mul_lo_u32 v7, v3, s55
	s_delay_alu instid0(VALU_DEP_3) | instskip(NEXT) | instid1(VALU_DEP_3)
	v_sub_nc_u32_e32 v3, v3, v11
	v_lshrrev_b32_e32 v1, s71, v1
	s_delay_alu instid0(VALU_DEP_2) | instskip(SKIP_2) | instid1(VALU_DEP_4)
	v_mul_lo_u32 v11, v3, s64
	v_mul_lo_u32 v3, v3, s65
	v_sub_nc_u32_e32 v2, v2, v7
	v_mul_lo_u32 v12, v1, s69
	s_delay_alu instid0(VALU_DEP_2) | instskip(SKIP_1) | instid1(VALU_DEP_3)
	v_mul_lo_u32 v7, v2, s62
	v_mul_lo_u32 v2, v2, s63
	v_sub_nc_u32_e32 v4, v4, v12
	s_delay_alu instid0(VALU_DEP_3) | instskip(NEXT) | instid1(VALU_DEP_2)
	v_add3_u32 v5, v5, v6, v7
	v_mul_lo_u32 v12, v4, s66
	v_mul_lo_u32 v4, v4, s67
	v_add3_u32 v0, v8, v0, v2
	s_delay_alu instid0(VALU_DEP_3) | instskip(NEXT) | instid1(VALU_DEP_2)
	v_add3_u32 v6, v11, v5, v12
	v_add3_u32 v0, v3, v0, v4
	s_cbranch_scc0 .LBB497_282
	s_branch .LBB497_285
.LBB497_283:
	s_mov_b32 s44, -1
                                        ; implicit-def: $vgpr6
                                        ; implicit-def: $vgpr0
	s_branch .LBB497_288
.LBB497_284:
	v_dual_mov_b32 v1, v10 :: v_dual_mov_b32 v0, 0
.LBB497_285:
	s_and_b32 s47, s47, 3
	s_delay_alu instid0(SALU_CYCLE_1)
	s_cmp_eq_u32 s47, 0
	s_cbranch_scc1 .LBB497_288
; %bb.286:
	s_lshl_b32 s2, s45, 3
	s_mul_i32 s28, s45, 12
	s_add_u32 s2, s2, s20
	s_addc_u32 s3, s21, 0
	s_add_u32 s2, s2, 0xc4
	s_addc_u32 s3, s3, 0
	;; [unrolled: 2-line block ×3, first 2 shown]
	.p2align	6
.LBB497_287:                            ; =>This Inner Loop Header: Depth=1
	s_clause 0x1
	s_load_b64 s[48:49], s[28:29], 0x4
	s_load_b32 s45, s[28:29], 0xc
	s_load_b64 s[50:51], s[2:3], 0x0
	s_add_u32 s28, s28, 12
	s_addc_u32 s29, s29, 0
	s_add_u32 s2, s2, 8
	s_addc_u32 s3, s3, 0
	s_add_i32 s47, s47, -1
	s_delay_alu instid0(SALU_CYCLE_1) | instskip(SKIP_2) | instid1(VALU_DEP_1)
	s_cmp_lg_u32 s47, 0
	s_waitcnt vmcnt(0) lgkmcnt(0)
	v_mul_hi_u32 v2, s49, v1
	v_add_nc_u32_e32 v2, v1, v2
	s_delay_alu instid0(VALU_DEP_1) | instskip(NEXT) | instid1(VALU_DEP_1)
	v_lshrrev_b32_e32 v5, s45, v2
	v_mul_lo_u32 v2, v5, s48
	s_delay_alu instid0(VALU_DEP_1) | instskip(NEXT) | instid1(VALU_DEP_1)
	v_sub_nc_u32_e32 v1, v1, v2
	v_mad_u64_u32 v[2:3], null, v1, s50, v[6:7]
	v_mad_u64_u32 v[3:4], null, v1, s51, v[0:1]
	s_delay_alu instid0(VALU_DEP_2) | instskip(NEXT) | instid1(VALU_DEP_2)
	v_dual_mov_b32 v1, v5 :: v_dual_mov_b32 v6, v2
	v_mov_b32_e32 v0, v3
	s_cbranch_scc1 .LBB497_287
.LBB497_288:
	s_and_not1_b32 vcc_lo, exec_lo, s44
	s_cbranch_vccnz .LBB497_291
; %bb.289:
	v_mul_hi_u32 v0, s17, v10
	s_and_not1_b32 vcc_lo, exec_lo, s37
	s_delay_alu instid0(VALU_DEP_1) | instskip(NEXT) | instid1(VALU_DEP_1)
	v_add_nc_u32_e32 v0, v10, v0
	v_lshrrev_b32_e32 v1, s18, v0
	s_delay_alu instid0(VALU_DEP_1) | instskip(NEXT) | instid1(VALU_DEP_1)
	v_mul_lo_u32 v0, v1, s16
	v_sub_nc_u32_e32 v0, v10, v0
	s_delay_alu instid0(VALU_DEP_1)
	v_mul_lo_u32 v6, v0, s12
	v_mul_lo_u32 v0, v0, s13
	s_cbranch_vccnz .LBB497_291
; %bb.290:
	s_waitcnt vmcnt(0)
	v_mul_hi_u32 v2, s24, v1
	s_delay_alu instid0(VALU_DEP_1) | instskip(NEXT) | instid1(VALU_DEP_1)
	v_add_nc_u32_e32 v2, v1, v2
	v_lshrrev_b32_e32 v2, s25, v2
	s_delay_alu instid0(VALU_DEP_1) | instskip(NEXT) | instid1(VALU_DEP_1)
	v_mul_lo_u32 v2, v2, s19
	v_sub_nc_u32_e32 v4, v1, v2
	s_delay_alu instid0(VALU_DEP_1) | instskip(NEXT) | instid1(VALU_DEP_1)
	v_mad_u64_u32 v[1:2], null, v4, s14, v[6:7]
	v_mad_u64_u32 v[2:3], null, v4, s15, v[0:1]
	v_mov_b32_e32 v6, v1
	s_delay_alu instid0(VALU_DEP_2)
	v_mov_b32_e32 v0, v2
.LBB497_291:
	v_cmp_gt_i16_e32 vcc_lo, 11, v9
	s_delay_alu instid0(VALU_DEP_2) | instskip(NEXT) | instid1(VALU_DEP_1)
	v_add_co_u32 v0, s2, s6, v0
	v_add_co_ci_u32_e64 v1, null, s7, 0, s2
	s_mov_b32 s28, 0
	s_cbranch_vccnz .LBB497_298
; %bb.292:
	v_cmp_lt_i16_e32 vcc_lo, 25, v9
	s_cbranch_vccz .LBB497_355
; %bb.293:
	v_cmp_lt_i16_e32 vcc_lo, 28, v9
	s_cbranch_vccz .LBB497_356
	;; [unrolled: 3-line block ×4, first 2 shown]
; %bb.296:
	v_cmp_eq_u16_e32 vcc_lo, 46, v9
	s_mov_b32 s2, 0
	s_cbranch_vccz .LBB497_364
; %bb.297:
	global_load_b32 v2, v[0:1], off
	s_mov_b32 s28, -1
	s_mov_b32 s44, 0
	s_waitcnt vmcnt(0)
	v_lshlrev_b32_e32 v3, 16, v2
	v_and_b32_e32 v4, 0xffff0000, v2
	s_delay_alu instid0(VALU_DEP_2) | instskip(NEXT) | instid1(VALU_DEP_2)
	v_cvt_f64_f32_e32 v[2:3], v3
	v_cvt_f64_f32_e32 v[4:5], v4
	s_branch .LBB497_366
.LBB497_298:
	s_mov_b32 s44, s42
                                        ; implicit-def: $vgpr4_vgpr5
	s_cbranch_execnz .LBB497_506
.LBB497_299:
	s_and_not1_b32 vcc_lo, exec_lo, s28
	s_cbranch_vccnz .LBB497_556
.LBB497_300:
	v_dual_mov_b32 v0, s8 :: v_dual_mov_b32 v1, s9
	s_mov_b32 s2, exec_lo
	s_waitcnt vmcnt(0)
	s_delay_alu instid0(VALU_DEP_2)
	v_cmpx_o_f64_e32 v[2:3], v[2:3]
	s_cbranch_execz .LBB497_304
; %bb.301:
	v_dual_mov_b32 v0, s10 :: v_dual_mov_b32 v1, s11
	s_mov_b32 s3, exec_lo
	v_cmpx_neq_f64_e32 0x7ff00000, v[2:3]
; %bb.302:
	v_cmp_eq_f64_e32 vcc_lo, 0xfff00000, v[2:3]
	v_cndmask_b32_e64 v1, v3, s23, vcc_lo
	v_cndmask_b32_e64 v0, v2, s22, vcc_lo
; %bb.303:
	s_or_b32 exec_lo, exec_lo, s3
.LBB497_304:
	s_delay_alu instid0(SALU_CYCLE_1) | instskip(SKIP_2) | instid1(VALU_DEP_4)
	s_or_b32 exec_lo, exec_lo, s2
	v_dual_mov_b32 v2, s8 :: v_dual_mov_b32 v3, s9
	s_mov_b32 s2, exec_lo
	v_cmpx_o_f64_e32 v[4:5], v[4:5]
	s_cbranch_execz .LBB497_308
; %bb.305:
	v_dual_mov_b32 v2, s10 :: v_dual_mov_b32 v3, s11
	s_mov_b32 s3, exec_lo
	v_cmpx_neq_f64_e32 0x7ff00000, v[4:5]
; %bb.306:
	v_cmp_eq_f64_e32 vcc_lo, 0xfff00000, v[4:5]
	v_cndmask_b32_e64 v3, v5, s23, vcc_lo
	v_cndmask_b32_e64 v2, v4, s22, vcc_lo
; %bb.307:
	s_or_b32 exec_lo, exec_lo, s3
.LBB497_308:
	s_delay_alu instid0(SALU_CYCLE_1) | instskip(SKIP_2) | instid1(VALU_DEP_1)
	s_or_b32 exec_lo, exec_lo, s2
	v_and_b32_e64 v7, 0xff, s36
	v_add_co_u32 v4, s2, s4, v6
	v_add_co_ci_u32_e64 v5, null, s5, 0, s2
	s_delay_alu instid0(VALU_DEP_3)
	v_cmp_gt_i16_e32 vcc_lo, 11, v7
	s_mov_b32 s3, 0
	s_mov_b32 s28, -1
	s_mov_b32 s2, s41
	s_cbranch_vccnz .LBB497_315
; %bb.309:
	v_cmp_lt_i16_e32 vcc_lo, 25, v7
	s_cbranch_vccz .LBB497_357
; %bb.310:
	v_cmp_lt_i16_e32 vcc_lo, 28, v7
	s_cbranch_vccz .LBB497_359
; %bb.311:
	v_cmp_lt_i16_e32 vcc_lo, 43, v7
	s_cbranch_vccz .LBB497_361
; %bb.312:
	v_cmp_lt_i16_e32 vcc_lo, 45, v7
	s_cbranch_vccz .LBB497_369
; %bb.313:
	v_cmp_eq_u16_e32 vcc_lo, 46, v7
	s_mov_b32 s28, 0
	s_mov_b32 s2, -1
	s_cbranch_vccz .LBB497_370
; %bb.314:
	v_cvt_f32_f64_e32 v6, v[2:3]
	v_cvt_f32_f64_e32 v8, v[0:1]
	s_mov_b32 s3, -1
	s_mov_b32 s2, 0
	s_delay_alu instid0(VALU_DEP_2) | instskip(NEXT) | instid1(VALU_DEP_2)
	v_bfe_u32 v11, v6, 16, 1
	v_bfe_u32 v12, v8, 16, 1
	v_cmp_o_f32_e32 vcc_lo, v6, v6
	s_delay_alu instid0(VALU_DEP_3) | instskip(NEXT) | instid1(VALU_DEP_3)
	v_add3_u32 v11, v6, v11, 0x7fff
	v_add3_u32 v12, v8, v12, 0x7fff
	s_delay_alu instid0(VALU_DEP_2) | instskip(NEXT) | instid1(VALU_DEP_2)
	v_and_b32_e32 v11, 0xffff0000, v11
	v_lshrrev_b32_e32 v12, 16, v12
	s_delay_alu instid0(VALU_DEP_2) | instskip(SKIP_1) | instid1(VALU_DEP_3)
	v_cndmask_b32_e32 v6, 0x7fc00000, v11, vcc_lo
	v_cmp_o_f32_e32 vcc_lo, v8, v8
	v_cndmask_b32_e32 v8, 0x7fc0, v12, vcc_lo
	s_delay_alu instid0(VALU_DEP_1)
	v_or_b32_e32 v6, v6, v8
	global_store_b32 v[4:5], v6, off
	s_branch .LBB497_370
.LBB497_315:
	s_and_b32 vcc_lo, exec_lo, s28
	s_cbranch_vccz .LBB497_439
; %bb.316:
	v_cmp_gt_i16_e32 vcc_lo, 5, v7
	s_mov_b32 s3, -1
	s_cbranch_vccnz .LBB497_337
; %bb.317:
	v_cmp_gt_i16_e32 vcc_lo, 8, v7
	s_cbranch_vccnz .LBB497_327
; %bb.318:
	v_cmp_gt_i16_e32 vcc_lo, 9, v7
	s_cbranch_vccnz .LBB497_324
; %bb.319:
	v_cmp_lt_i16_e32 vcc_lo, 9, v7
	s_cbranch_vccz .LBB497_321
; %bb.320:
	s_mov_b32 s3, 0
	global_store_b128 v[4:5], v[0:3], off
.LBB497_321:
	s_and_not1_b32 vcc_lo, exec_lo, s3
	s_cbranch_vccnz .LBB497_323
; %bb.322:
	v_cvt_f32_f64_e32 v11, v[0:1]
	v_cvt_f32_f64_e32 v12, v[2:3]
	global_store_b64 v[4:5], v[11:12], off
.LBB497_323:
	s_mov_b32 s3, 0
.LBB497_324:
	s_delay_alu instid0(SALU_CYCLE_1)
	s_and_not1_b32 vcc_lo, exec_lo, s3
	s_cbranch_vccnz .LBB497_326
; %bb.325:
	v_cvt_f32_f64_e32 v2, v[2:3]
	v_cvt_f32_f64_e32 v3, v[0:1]
	s_delay_alu instid0(VALU_DEP_2) | instskip(NEXT) | instid1(VALU_DEP_2)
	v_cvt_f16_f32_e32 v2, v2
	v_cvt_f16_f32_e32 v3, v3
	s_delay_alu instid0(VALU_DEP_2) | instskip(NEXT) | instid1(VALU_DEP_2)
	v_lshlrev_b32_e32 v2, 16, v2
	v_and_b32_e32 v3, 0xffff, v3
	s_delay_alu instid0(VALU_DEP_1)
	v_or_b32_e32 v2, v2, v3
	global_store_b32 v[4:5], v2, off
.LBB497_326:
	s_mov_b32 s3, 0
.LBB497_327:
	s_delay_alu instid0(SALU_CYCLE_1)
	s_and_not1_b32 vcc_lo, exec_lo, s3
	s_cbranch_vccnz .LBB497_336
; %bb.328:
	v_cmp_gt_i16_e32 vcc_lo, 6, v7
	s_mov_b32 s3, -1
	s_cbranch_vccnz .LBB497_334
; %bb.329:
	v_cmp_lt_i16_e32 vcc_lo, 6, v7
	s_cbranch_vccz .LBB497_331
; %bb.330:
	s_mov_b32 s3, 0
	global_store_b64 v[4:5], v[0:1], off
.LBB497_331:
	s_and_not1_b32 vcc_lo, exec_lo, s3
	s_cbranch_vccnz .LBB497_333
; %bb.332:
	v_cvt_f32_f64_e32 v2, v[0:1]
	global_store_b32 v[4:5], v2, off
.LBB497_333:
	s_mov_b32 s3, 0
.LBB497_334:
	s_delay_alu instid0(SALU_CYCLE_1)
	s_and_not1_b32 vcc_lo, exec_lo, s3
	s_cbranch_vccnz .LBB497_336
; %bb.335:
	v_cvt_f32_f64_e32 v2, v[0:1]
	s_delay_alu instid0(VALU_DEP_1)
	v_cvt_f16_f32_e32 v2, v2
	global_store_b16 v[4:5], v2, off
.LBB497_336:
	s_mov_b32 s3, 0
.LBB497_337:
	s_delay_alu instid0(SALU_CYCLE_1)
	s_and_not1_b32 vcc_lo, exec_lo, s3
	s_cbranch_vccnz .LBB497_353
; %bb.338:
	v_cmp_gt_i16_e32 vcc_lo, 2, v7
	s_mov_b32 s3, -1
	s_cbranch_vccnz .LBB497_348
; %bb.339:
	v_cmp_gt_i16_e32 vcc_lo, 3, v7
	s_cbranch_vccnz .LBB497_345
; %bb.340:
	v_cmp_lt_i16_e32 vcc_lo, 3, v7
	s_cbranch_vccz .LBB497_342
; %bb.341:
	v_trunc_f64_e32 v[2:3], v[0:1]
	s_mov_b32 s3, 0
	s_delay_alu instid0(VALU_DEP_1) | instskip(NEXT) | instid1(VALU_DEP_1)
	v_ldexp_f64 v[11:12], v[2:3], 0xffffffe0
	v_floor_f64_e32 v[11:12], v[11:12]
	s_delay_alu instid0(VALU_DEP_1) | instskip(SKIP_1) | instid1(VALU_DEP_2)
	v_fma_f64 v[2:3], 0xc1f00000, v[11:12], v[2:3]
	v_cvt_i32_f64_e32 v12, v[11:12]
	v_cvt_u32_f64_e32 v11, v[2:3]
	global_store_b64 v[4:5], v[11:12], off
.LBB497_342:
	s_and_not1_b32 vcc_lo, exec_lo, s3
	s_cbranch_vccnz .LBB497_344
; %bb.343:
	v_cvt_i32_f64_e32 v2, v[0:1]
	global_store_b32 v[4:5], v2, off
.LBB497_344:
	s_mov_b32 s3, 0
.LBB497_345:
	s_delay_alu instid0(SALU_CYCLE_1)
	s_and_not1_b32 vcc_lo, exec_lo, s3
	s_cbranch_vccnz .LBB497_347
; %bb.346:
	v_cvt_i32_f64_e32 v2, v[0:1]
	global_store_b16 v[4:5], v2, off
.LBB497_347:
	s_mov_b32 s3, 0
.LBB497_348:
	s_delay_alu instid0(SALU_CYCLE_1)
	s_and_not1_b32 vcc_lo, exec_lo, s3
	s_cbranch_vccnz .LBB497_353
; %bb.349:
	v_cmp_lt_i16_e32 vcc_lo, 0, v7
	s_mov_b32 s3, -1
	s_cbranch_vccz .LBB497_351
; %bb.350:
	v_cvt_i32_f64_e32 v2, v[0:1]
	s_mov_b32 s3, 0
	global_store_b8 v[4:5], v2, off
.LBB497_351:
	s_and_not1_b32 vcc_lo, exec_lo, s3
	s_cbranch_vccnz .LBB497_353
; %bb.352:
	v_trunc_f64_e32 v[0:1], v[0:1]
	s_delay_alu instid0(VALU_DEP_1) | instskip(NEXT) | instid1(VALU_DEP_1)
	v_ldexp_f64 v[2:3], v[0:1], 0xffffffe0
	v_floor_f64_e32 v[2:3], v[2:3]
	s_delay_alu instid0(VALU_DEP_1) | instskip(NEXT) | instid1(VALU_DEP_1)
	v_fma_f64 v[0:1], 0xc1f00000, v[2:3], v[0:1]
	v_cvt_u32_f64_e32 v0, v[0:1]
	global_store_b8 v[4:5], v0, off
.LBB497_353:
	s_branch .LBB497_440
.LBB497_354:
	s_mov_b32 s3, 0
	s_branch .LBB497_557
.LBB497_355:
	s_mov_b32 s2, -1
	s_mov_b32 s44, s42
                                        ; implicit-def: $vgpr4_vgpr5
	s_branch .LBB497_471
.LBB497_356:
	s_mov_b32 s2, -1
	s_mov_b32 s44, s42
                                        ; implicit-def: $vgpr4_vgpr5
	s_branch .LBB497_450
.LBB497_357:
	s_mov_b32 s2, s41
	s_branch .LBB497_397
.LBB497_358:
	s_mov_b32 s2, -1
	s_mov_b32 s44, s42
                                        ; implicit-def: $vgpr4_vgpr5
	s_branch .LBB497_444
.LBB497_359:
	s_mov_b32 s2, s41
	s_branch .LBB497_380
.LBB497_360:
	s_mov_b32 s2, -1
	s_mov_b32 s44, s42
	s_branch .LBB497_365
.LBB497_361:
	s_mov_b32 s2, s41
	s_branch .LBB497_376
.LBB497_362:
	s_or_saveexec_b32 s29, s29
                                        ; implicit-def: $sgpr41
	s_delay_alu instid0(SALU_CYCLE_1)
	s_xor_b32 exec_lo, exec_lo, s29
	s_cbranch_execz .LBB497_73
.LBB497_363:
	v_add_f32_e64 v8, 0x42800000, |v6|
	s_and_not1_b32 s28, s28, exec_lo
	s_mov_b32 s41, 0
	s_delay_alu instid0(VALU_DEP_1) | instskip(NEXT) | instid1(VALU_DEP_1)
	v_and_b32_e32 v8, 0xff, v8
	v_cmp_ne_u32_e32 vcc_lo, 0, v8
	s_and_b32 s45, vcc_lo, exec_lo
	s_delay_alu instid0(SALU_CYCLE_1)
	s_or_b32 s28, s28, s45
	s_or_b32 exec_lo, exec_lo, s29
	v_mov_b32_e32 v11, s41
	s_and_saveexec_b32 s29, s28
	s_cbranch_execnz .LBB497_74
	s_branch .LBB497_75
.LBB497_364:
	s_mov_b32 s44, -1
.LBB497_365:
                                        ; implicit-def: $vgpr4_vgpr5
.LBB497_366:
	s_and_b32 vcc_lo, exec_lo, s2
	s_cbranch_vccz .LBB497_443
; %bb.367:
	v_cmp_eq_u16_e32 vcc_lo, 44, v9
	s_cbranch_vccz .LBB497_441
; %bb.368:
	global_load_u8 v4, v[0:1], off
	s_mov_b32 s44, 0
	s_mov_b32 s28, -1
	s_mov_b64 s[2:3], 0
	s_waitcnt vmcnt(0)
	v_cmp_ne_u32_e32 vcc_lo, 0xff, v4
	v_lshlrev_b32_e32 v2, 23, v4
	s_delay_alu instid0(VALU_DEP_1) | instskip(NEXT) | instid1(VALU_DEP_1)
	v_cvt_f64_f32_e32 v[2:3], v2
	v_cndmask_b32_e32 v3, 0x7ff80000, v3, vcc_lo
	s_delay_alu instid0(VALU_DEP_2) | instskip(SKIP_1) | instid1(VALU_DEP_3)
	v_cndmask_b32_e32 v2, 0x20000000, v2, vcc_lo
	v_cmp_ne_u32_e32 vcc_lo, 0, v4
	v_cndmask_b32_e32 v3, 0x38000000, v3, vcc_lo
	s_delay_alu instid0(VALU_DEP_3)
	v_cndmask_b32_e32 v2, 0, v2, vcc_lo
	s_branch .LBB497_442
.LBB497_369:
	s_mov_b32 s2, s41
.LBB497_370:
	s_and_b32 vcc_lo, exec_lo, s28
	s_cbranch_vccz .LBB497_375
; %bb.371:
	v_cmp_eq_u16_e32 vcc_lo, 44, v7
	s_mov_b32 s2, -1
	s_cbranch_vccz .LBB497_375
; %bb.372:
	v_cvt_f32_f64_e32 v6, v[0:1]
	v_mov_b32_e32 v8, 0xff
	s_mov_b32 s3, exec_lo
	s_delay_alu instid0(VALU_DEP_2) | instskip(NEXT) | instid1(VALU_DEP_1)
	v_bfe_u32 v11, v6, 23, 8
	v_cmpx_ne_u32_e32 0xff, v11
; %bb.373:
	v_and_b32_e32 v8, 0x400000, v6
	v_and_or_b32 v11, 0x3fffff, v6, v11
	v_lshrrev_b32_e32 v6, 23, v6
	s_delay_alu instid0(VALU_DEP_3) | instskip(NEXT) | instid1(VALU_DEP_3)
	v_cmp_ne_u32_e32 vcc_lo, 0, v8
	v_cmp_ne_u32_e64 s2, 0, v11
	s_delay_alu instid0(VALU_DEP_1) | instskip(NEXT) | instid1(SALU_CYCLE_1)
	s_and_b32 s2, vcc_lo, s2
	v_cndmask_b32_e64 v8, 0, 1, s2
	s_delay_alu instid0(VALU_DEP_1)
	v_add_nc_u32_e32 v8, v6, v8
; %bb.374:
	s_or_b32 exec_lo, exec_lo, s3
	s_mov_b32 s3, -1
	s_mov_b32 s2, 0
	global_store_b8 v[4:5], v8, off
.LBB497_375:
	s_mov_b32 s28, 0
.LBB497_376:
	s_delay_alu instid0(SALU_CYCLE_1)
	s_and_b32 vcc_lo, exec_lo, s28
	s_cbranch_vccz .LBB497_379
; %bb.377:
	v_cmp_eq_u16_e32 vcc_lo, 29, v7
	s_mov_b32 s2, -1
	s_cbranch_vccz .LBB497_379
; %bb.378:
	v_trunc_f64_e32 v[11:12], v[0:1]
	s_mov_b32 s3, -1
	s_mov_b32 s2, 0
	s_mov_b32 s28, 0
	s_delay_alu instid0(VALU_DEP_1) | instskip(NEXT) | instid1(VALU_DEP_1)
	v_ldexp_f64 v[13:14], v[11:12], 0xffffffe0
	v_floor_f64_e32 v[13:14], v[13:14]
	s_delay_alu instid0(VALU_DEP_1) | instskip(SKIP_1) | instid1(VALU_DEP_2)
	v_fma_f64 v[11:12], 0xc1f00000, v[13:14], v[11:12]
	v_cvt_u32_f64_e32 v13, v[13:14]
	v_cvt_u32_f64_e32 v12, v[11:12]
	global_store_b64 v[4:5], v[12:13], off
	s_branch .LBB497_380
.LBB497_379:
	s_mov_b32 s28, 0
.LBB497_380:
	s_delay_alu instid0(SALU_CYCLE_1)
	s_and_b32 vcc_lo, exec_lo, s28
	s_cbranch_vccz .LBB497_396
; %bb.381:
	v_cmp_gt_i16_e32 vcc_lo, 27, v7
	s_mov_b32 s3, -1
	s_cbranch_vccnz .LBB497_387
; %bb.382:
	v_cmp_lt_i16_e32 vcc_lo, 27, v7
	s_cbranch_vccz .LBB497_384
; %bb.383:
	v_cvt_u32_f64_e32 v6, v[0:1]
	s_mov_b32 s3, 0
	global_store_b32 v[4:5], v6, off
.LBB497_384:
	s_and_not1_b32 vcc_lo, exec_lo, s3
	s_cbranch_vccnz .LBB497_386
; %bb.385:
	v_cvt_u32_f64_e32 v6, v[0:1]
	global_store_b16 v[4:5], v6, off
.LBB497_386:
	s_mov_b32 s3, 0
.LBB497_387:
	s_delay_alu instid0(SALU_CYCLE_1)
	s_and_not1_b32 vcc_lo, exec_lo, s3
	s_cbranch_vccnz .LBB497_395
; %bb.388:
	v_cvt_f32_f64_e32 v6, v[0:1]
	v_mov_b32_e32 v11, 0x80
	s_mov_b32 s3, exec_lo
	s_delay_alu instid0(VALU_DEP_2) | instskip(NEXT) | instid1(VALU_DEP_1)
	v_and_b32_e32 v8, 0x7fffffff, v6
	v_cmpx_gt_u32_e32 0x43800000, v8
	s_cbranch_execz .LBB497_394
; %bb.389:
	v_cmp_lt_u32_e32 vcc_lo, 0x3bffffff, v8
	s_mov_b32 s28, 0
                                        ; implicit-def: $vgpr8
	s_and_saveexec_b32 s29, vcc_lo
	s_delay_alu instid0(SALU_CYCLE_1)
	s_xor_b32 s29, exec_lo, s29
	s_cbranch_execz .LBB497_585
; %bb.390:
	v_bfe_u32 v8, v6, 20, 1
	s_mov_b32 s28, exec_lo
	s_delay_alu instid0(VALU_DEP_1) | instskip(NEXT) | instid1(VALU_DEP_1)
	v_add3_u32 v8, v6, v8, 0x487ffff
	v_lshrrev_b32_e32 v8, 20, v8
	s_or_saveexec_b32 s29, s29
                                        ; implicit-def: $sgpr45
	s_delay_alu instid0(SALU_CYCLE_1)
	s_xor_b32 exec_lo, exec_lo, s29
	s_cbranch_execnz .LBB497_586
.LBB497_391:
	s_or_b32 exec_lo, exec_lo, s29
	v_mov_b32_e32 v11, s45
	s_and_saveexec_b32 s29, s28
.LBB497_392:
	v_lshrrev_b32_e32 v6, 24, v6
	s_delay_alu instid0(VALU_DEP_1)
	v_and_or_b32 v11, 0x80, v6, v8
.LBB497_393:
	s_or_b32 exec_lo, exec_lo, s29
.LBB497_394:
	s_delay_alu instid0(SALU_CYCLE_1)
	s_or_b32 exec_lo, exec_lo, s3
	global_store_b8 v[4:5], v11, off
.LBB497_395:
	s_mov_b32 s3, -1
.LBB497_396:
	s_mov_b32 s28, 0
.LBB497_397:
	s_delay_alu instid0(SALU_CYCLE_1)
	s_and_b32 vcc_lo, exec_lo, s28
	s_cbranch_vccz .LBB497_438
; %bb.398:
	v_cmp_lt_i16_e32 vcc_lo, 22, v7
	s_mov_b32 s28, -1
	s_cbranch_vccz .LBB497_430
; %bb.399:
	v_cmp_gt_i16_e32 vcc_lo, 24, v7
	s_mov_b32 s3, -1
	s_cbranch_vccnz .LBB497_419
; %bb.400:
	v_cmp_lt_i16_e32 vcc_lo, 24, v7
	s_cbranch_vccz .LBB497_408
; %bb.401:
	v_cvt_f32_f64_e32 v6, v[0:1]
	v_mov_b32_e32 v11, 0x80
	s_mov_b32 s3, exec_lo
	s_delay_alu instid0(VALU_DEP_2) | instskip(NEXT) | instid1(VALU_DEP_1)
	v_and_b32_e32 v8, 0x7fffffff, v6
	v_cmpx_gt_u32_e32 0x47800000, v8
	s_cbranch_execz .LBB497_407
; %bb.402:
	v_cmp_lt_u32_e32 vcc_lo, 0x37ffffff, v8
	s_mov_b32 s28, 0
                                        ; implicit-def: $vgpr8
	s_and_saveexec_b32 s29, vcc_lo
	s_delay_alu instid0(SALU_CYCLE_1)
	s_xor_b32 s29, exec_lo, s29
	s_cbranch_execz .LBB497_588
; %bb.403:
	v_bfe_u32 v8, v6, 21, 1
	s_mov_b32 s28, exec_lo
	s_delay_alu instid0(VALU_DEP_1) | instskip(NEXT) | instid1(VALU_DEP_1)
	v_add3_u32 v8, v6, v8, 0x88fffff
	v_lshrrev_b32_e32 v8, 21, v8
	s_or_saveexec_b32 s29, s29
                                        ; implicit-def: $sgpr45
	s_delay_alu instid0(SALU_CYCLE_1)
	s_xor_b32 exec_lo, exec_lo, s29
	s_cbranch_execnz .LBB497_589
.LBB497_404:
	s_or_b32 exec_lo, exec_lo, s29
	v_mov_b32_e32 v11, s45
	s_and_saveexec_b32 s29, s28
.LBB497_405:
	v_lshrrev_b32_e32 v6, 24, v6
	s_delay_alu instid0(VALU_DEP_1)
	v_and_or_b32 v11, 0x80, v6, v8
.LBB497_406:
	s_or_b32 exec_lo, exec_lo, s29
.LBB497_407:
	s_delay_alu instid0(SALU_CYCLE_1)
	s_or_b32 exec_lo, exec_lo, s3
	s_mov_b32 s3, 0
	global_store_b8 v[4:5], v11, off
.LBB497_408:
	s_and_b32 vcc_lo, exec_lo, s3
	s_cbranch_vccz .LBB497_418
; %bb.409:
	v_cvt_f32_f64_e32 v6, v[0:1]
	s_mov_b32 s3, exec_lo
                                        ; implicit-def: $vgpr8
	s_delay_alu instid0(VALU_DEP_1) | instskip(NEXT) | instid1(VALU_DEP_1)
	v_and_b32_e32 v11, 0x7fffffff, v6
	v_cmpx_gt_u32_e32 0x43f00000, v11
	s_xor_b32 s3, exec_lo, s3
	s_cbranch_execz .LBB497_415
; %bb.410:
	s_mov_b32 s28, exec_lo
                                        ; implicit-def: $vgpr8
	v_cmpx_lt_u32_e32 0x3c7fffff, v11
	s_xor_b32 s28, exec_lo, s28
; %bb.411:
	v_bfe_u32 v8, v6, 20, 1
	s_delay_alu instid0(VALU_DEP_1) | instskip(NEXT) | instid1(VALU_DEP_1)
	v_add3_u32 v8, v6, v8, 0x407ffff
	v_and_b32_e32 v11, 0xff00000, v8
	v_lshrrev_b32_e32 v8, 20, v8
	s_delay_alu instid0(VALU_DEP_2) | instskip(NEXT) | instid1(VALU_DEP_2)
	v_cmp_ne_u32_e32 vcc_lo, 0x7f00000, v11
	v_cndmask_b32_e32 v8, 0x7e, v8, vcc_lo
; %bb.412:
	s_and_not1_saveexec_b32 s28, s28
; %bb.413:
	v_add_f32_e64 v8, 0x46800000, |v6|
; %bb.414:
	s_or_b32 exec_lo, exec_lo, s28
                                        ; implicit-def: $vgpr11
.LBB497_415:
	s_and_not1_saveexec_b32 s3, s3
; %bb.416:
	v_mov_b32_e32 v8, 0x7f
	v_cmp_lt_u32_e32 vcc_lo, 0x7f800000, v11
	s_delay_alu instid0(VALU_DEP_2)
	v_cndmask_b32_e32 v8, 0x7e, v8, vcc_lo
; %bb.417:
	s_or_b32 exec_lo, exec_lo, s3
	v_lshrrev_b32_e32 v6, 24, v6
	s_delay_alu instid0(VALU_DEP_1)
	v_and_or_b32 v6, 0x80, v6, v8
	global_store_b8 v[4:5], v6, off
.LBB497_418:
	s_mov_b32 s3, 0
.LBB497_419:
	s_delay_alu instid0(SALU_CYCLE_1)
	s_and_not1_b32 vcc_lo, exec_lo, s3
	s_cbranch_vccnz .LBB497_429
; %bb.420:
	v_cvt_f32_f64_e32 v6, v[0:1]
	s_mov_b32 s3, exec_lo
                                        ; implicit-def: $vgpr8
	s_delay_alu instid0(VALU_DEP_1) | instskip(NEXT) | instid1(VALU_DEP_1)
	v_and_b32_e32 v11, 0x7fffffff, v6
	v_cmpx_gt_u32_e32 0x47800000, v11
	s_xor_b32 s3, exec_lo, s3
	s_cbranch_execz .LBB497_426
; %bb.421:
	s_mov_b32 s28, exec_lo
                                        ; implicit-def: $vgpr8
	v_cmpx_lt_u32_e32 0x387fffff, v11
	s_xor_b32 s28, exec_lo, s28
; %bb.422:
	v_bfe_u32 v8, v6, 21, 1
	s_delay_alu instid0(VALU_DEP_1) | instskip(NEXT) | instid1(VALU_DEP_1)
	v_add3_u32 v8, v6, v8, 0x80fffff
	v_lshrrev_b32_e32 v8, 21, v8
; %bb.423:
	s_and_not1_saveexec_b32 s28, s28
; %bb.424:
	v_add_f32_e64 v8, 0x43000000, |v6|
; %bb.425:
	s_or_b32 exec_lo, exec_lo, s28
                                        ; implicit-def: $vgpr11
.LBB497_426:
	s_and_not1_saveexec_b32 s3, s3
; %bb.427:
	v_mov_b32_e32 v8, 0x7f
	v_cmp_lt_u32_e32 vcc_lo, 0x7f800000, v11
	s_delay_alu instid0(VALU_DEP_2)
	v_cndmask_b32_e32 v8, 0x7c, v8, vcc_lo
; %bb.428:
	s_or_b32 exec_lo, exec_lo, s3
	v_lshrrev_b32_e32 v6, 24, v6
	s_delay_alu instid0(VALU_DEP_1)
	v_and_or_b32 v6, 0x80, v6, v8
	global_store_b8 v[4:5], v6, off
.LBB497_429:
	s_mov_b32 s28, 0
	s_mov_b32 s3, -1
.LBB497_430:
	s_and_not1_b32 vcc_lo, exec_lo, s28
	s_cbranch_vccnz .LBB497_438
; %bb.431:
	v_cmp_lt_i16_e32 vcc_lo, 14, v7
	s_mov_b32 s28, -1
	s_cbranch_vccz .LBB497_435
; %bb.432:
	v_cmp_eq_u16_e32 vcc_lo, 15, v7
	s_mov_b32 s2, -1
	s_cbranch_vccz .LBB497_434
; %bb.433:
	v_cvt_f32_f64_e32 v6, v[0:1]
	s_mov_b32 s3, -1
	s_mov_b32 s2, 0
	s_delay_alu instid0(VALU_DEP_1) | instskip(SKIP_1) | instid1(VALU_DEP_2)
	v_bfe_u32 v8, v6, 16, 1
	v_cmp_o_f32_e32 vcc_lo, v6, v6
	v_add3_u32 v8, v6, v8, 0x7fff
	s_delay_alu instid0(VALU_DEP_1) | instskip(NEXT) | instid1(VALU_DEP_1)
	v_lshrrev_b32_e32 v8, 16, v8
	v_cndmask_b32_e32 v6, 0x7fc0, v8, vcc_lo
	global_store_b16 v[4:5], v6, off
.LBB497_434:
	s_mov_b32 s28, 0
.LBB497_435:
	s_delay_alu instid0(SALU_CYCLE_1)
	s_and_b32 vcc_lo, exec_lo, s28
	s_cbranch_vccz .LBB497_438
; %bb.436:
	v_cmp_eq_u16_e32 vcc_lo, 11, v7
	s_mov_b32 s2, -1
	s_cbranch_vccz .LBB497_438
; %bb.437:
	v_cmp_neq_f64_e32 vcc_lo, 0, v[0:1]
	v_cmp_neq_f64_e64 s2, 0, v[2:3]
	s_mov_b32 s3, -1
	s_delay_alu instid0(VALU_DEP_1) | instskip(NEXT) | instid1(SALU_CYCLE_1)
	s_or_b32 s2, vcc_lo, s2
	v_cndmask_b32_e64 v6, 0, 1, s2
	s_mov_b32 s2, 0
	global_store_b8 v[4:5], v6, off
.LBB497_438:
.LBB497_439:
	s_and_not1_b32 vcc_lo, exec_lo, s3
	s_cbranch_vccnz .LBB497_354
.LBB497_440:
	v_add_nc_u32_e32 v10, 0x80, v10
	s_mov_b32 s3, -1
	s_branch .LBB497_558
.LBB497_441:
	s_mov_b32 s44, -1
                                        ; implicit-def: $sgpr2_sgpr3
                                        ; implicit-def: $vgpr2_vgpr3
.LBB497_442:
	s_waitcnt vmcnt(0)
	v_dual_mov_b32 v5, s3 :: v_dual_mov_b32 v4, s2
.LBB497_443:
	s_mov_b32 s2, 0
.LBB497_444:
	s_delay_alu instid0(SALU_CYCLE_1)
	s_and_b32 vcc_lo, exec_lo, s2
	s_cbranch_vccz .LBB497_449
; %bb.445:
	v_cmp_eq_u16_e32 vcc_lo, 29, v9
	s_cbranch_vccz .LBB497_447
; %bb.446:
	global_load_b64 v[2:3], v[0:1], off
	s_mov_b32 s28, -1
	s_mov_b32 s44, 0
	s_mov_b64 s[2:3], 0
	s_waitcnt vmcnt(0)
	v_cvt_f64_u32_e32 v[3:4], v3
	v_cvt_f64_u32_e32 v[7:8], v2
	s_delay_alu instid0(VALU_DEP_2) | instskip(NEXT) | instid1(VALU_DEP_1)
	v_ldexp_f64 v[3:4], v[3:4], 32
	v_add_f64 v[2:3], v[3:4], v[7:8]
	s_branch .LBB497_448
.LBB497_447:
	s_mov_b32 s44, -1
                                        ; implicit-def: $sgpr2_sgpr3
                                        ; implicit-def: $vgpr2_vgpr3
.LBB497_448:
	s_waitcnt vmcnt(0)
	v_dual_mov_b32 v5, s3 :: v_dual_mov_b32 v4, s2
.LBB497_449:
	s_mov_b32 s2, 0
.LBB497_450:
	s_delay_alu instid0(SALU_CYCLE_1)
	s_and_b32 vcc_lo, exec_lo, s2
	s_cbranch_vccz .LBB497_470
; %bb.451:
	v_cmp_gt_i16_e32 vcc_lo, 27, v9
	s_cbranch_vccnz .LBB497_454
; %bb.452:
	v_cmp_lt_i16_e32 vcc_lo, 27, v9
	s_cbranch_vccz .LBB497_455
; %bb.453:
	global_load_b32 v2, v[0:1], off
	s_mov_b32 s28, 0
	s_mov_b64 s[2:3], 0
	s_waitcnt vmcnt(0)
	v_cvt_f64_u32_e32 v[2:3], v2
	s_branch .LBB497_456
.LBB497_454:
	s_mov_b32 s28, -1
                                        ; implicit-def: $sgpr2_sgpr3
                                        ; implicit-def: $vgpr2_vgpr3
	s_branch .LBB497_459
.LBB497_455:
	s_mov_b32 s28, -1
                                        ; implicit-def: $sgpr2_sgpr3
                                        ; implicit-def: $vgpr2_vgpr3
.LBB497_456:
	s_delay_alu instid0(SALU_CYCLE_1)
	s_and_not1_b32 vcc_lo, exec_lo, s28
	s_cbranch_vccnz .LBB497_458
; %bb.457:
	global_load_u16 v2, v[0:1], off
	s_mov_b64 s[2:3], 0
	s_waitcnt vmcnt(0)
	v_cvt_f64_u32_e32 v[2:3], v2
.LBB497_458:
	s_mov_b32 s28, 0
.LBB497_459:
	s_waitcnt vmcnt(0)
	v_dual_mov_b32 v5, s3 :: v_dual_mov_b32 v4, s2
	s_and_not1_b32 vcc_lo, exec_lo, s28
	s_cbranch_vccnz .LBB497_469
; %bb.460:
	global_load_u8 v7, v[0:1], off
	s_mov_b32 s45, 0
	s_mov_b32 s47, exec_lo
                                        ; implicit-def: $sgpr2_sgpr3
                                        ; implicit-def: $sgpr28_sgpr29
	s_waitcnt vmcnt(0)
	v_cmpx_lt_i16_e32 0x7f, v7
	s_xor_b32 s47, exec_lo, s47
	s_cbranch_execz .LBB497_464
; %bb.461:
	s_mov_b32 s45, -1
	s_mov_b32 s48, exec_lo
                                        ; implicit-def: $sgpr2_sgpr3
                                        ; implicit-def: $sgpr28_sgpr29
	v_cmpx_eq_u16_e32 0x80, v7
; %bb.462:
	s_mov_b64 s[2:3], 0
	s_mov_b32 s29, 0x7ff80000
	s_brev_b32 s28, 4
	s_xor_b32 s45, exec_lo, -1
; %bb.463:
	s_or_b32 exec_lo, exec_lo, s48
	s_delay_alu instid0(SALU_CYCLE_1)
	s_and_b32 s45, s45, exec_lo
.LBB497_464:
	s_or_saveexec_b32 s47, s47
	v_dual_mov_b32 v5, s3 :: v_dual_mov_b32 v4, s2
	v_dual_mov_b32 v2, s28 :: v_dual_mov_b32 v3, s29
	s_xor_b32 exec_lo, exec_lo, s47
; %bb.465:
	v_mov_b32_e32 v4, 0
	v_mov_b32_e32 v5, 0
	v_cmp_ne_u16_e32 vcc_lo, 0, v7
	s_delay_alu instid0(VALU_DEP_3) | instskip(SKIP_1) | instid1(VALU_DEP_3)
	v_mov_b32_e32 v2, v4
	s_and_not1_b32 s2, s45, exec_lo
	v_mov_b32_e32 v3, v5
	s_and_b32 s3, vcc_lo, exec_lo
	s_delay_alu instid0(SALU_CYCLE_1)
	s_or_b32 s45, s2, s3
; %bb.466:
	s_or_b32 exec_lo, exec_lo, s47
	s_and_saveexec_b32 s2, s45
	s_cbranch_execz .LBB497_468
; %bb.467:
	v_and_b32_e32 v2, 0xffff, v7
	v_lshlrev_b32_e32 v7, 24, v7
	s_delay_alu instid0(VALU_DEP_2) | instskip(NEXT) | instid1(VALU_DEP_1)
	v_and_b32_e32 v3, 7, v2
	v_clz_i32_u32_e32 v4, v3
	s_delay_alu instid0(VALU_DEP_1) | instskip(NEXT) | instid1(VALU_DEP_1)
	v_min_u32_e32 v4, 32, v4
	v_subrev_nc_u32_e32 v5, 28, v4
	v_sub_nc_u32_e32 v4, 29, v4
	s_delay_alu instid0(VALU_DEP_2) | instskip(SKIP_1) | instid1(VALU_DEP_2)
	v_lshlrev_b32_e32 v5, v5, v2
	v_bfe_u32 v2, v2, 3, 4
	v_and_b32_e32 v5, 7, v5
	s_delay_alu instid0(VALU_DEP_2) | instskip(NEXT) | instid1(VALU_DEP_2)
	v_cmp_eq_u32_e32 vcc_lo, 0, v2
	v_dual_cndmask_b32 v2, v2, v4 :: v_dual_cndmask_b32 v3, v3, v5
	v_and_b32_e32 v4, 0x80000000, v7
	s_delay_alu instid0(VALU_DEP_2) | instskip(NEXT) | instid1(VALU_DEP_3)
	v_lshl_add_u32 v2, v2, 23, 0x3b800000
	v_lshlrev_b32_e32 v3, 20, v3
	s_delay_alu instid0(VALU_DEP_1) | instskip(SKIP_2) | instid1(VALU_DEP_3)
	v_or3_b32 v2, v4, v2, v3
	v_mov_b32_e32 v4, 0
	v_mov_b32_e32 v5, 0
	v_cvt_f64_f32_e32 v[2:3], v2
.LBB497_468:
	s_or_b32 exec_lo, exec_lo, s2
.LBB497_469:
	s_mov_b32 s28, -1
.LBB497_470:
	s_mov_b32 s2, 0
.LBB497_471:
	s_delay_alu instid0(SALU_CYCLE_1)
	s_and_b32 vcc_lo, exec_lo, s2
	s_cbranch_vccz .LBB497_505
; %bb.472:
	v_cmp_lt_i16_e32 vcc_lo, 22, v9
	s_cbranch_vccz .LBB497_484
; %bb.473:
	v_cmp_gt_i16_e32 vcc_lo, 24, v9
	s_cbranch_vccnz .LBB497_485
; %bb.474:
	v_cmp_lt_i16_e32 vcc_lo, 24, v9
	s_cbranch_vccz .LBB497_486
; %bb.475:
	global_load_u8 v7, v[0:1], off
	s_mov_b32 s45, 0
	s_mov_b32 s47, exec_lo
                                        ; implicit-def: $sgpr2_sgpr3
                                        ; implicit-def: $sgpr28_sgpr29
	s_waitcnt vmcnt(0)
	v_cmpx_lt_i16_e32 0x7f, v7
	s_xor_b32 s47, exec_lo, s47
	s_cbranch_execz .LBB497_479
; %bb.476:
	s_mov_b32 s45, -1
	s_mov_b32 s48, exec_lo
                                        ; implicit-def: $sgpr2_sgpr3
                                        ; implicit-def: $sgpr28_sgpr29
	v_cmpx_eq_u16_e32 0x80, v7
; %bb.477:
	s_mov_b64 s[2:3], 0
	s_mov_b32 s29, 0x7ff80000
	s_brev_b32 s28, 4
	s_xor_b32 s45, exec_lo, -1
; %bb.478:
	s_or_b32 exec_lo, exec_lo, s48
	s_delay_alu instid0(SALU_CYCLE_1)
	s_and_b32 s45, s45, exec_lo
.LBB497_479:
	s_or_saveexec_b32 s47, s47
	v_dual_mov_b32 v5, s3 :: v_dual_mov_b32 v4, s2
	v_dual_mov_b32 v2, s28 :: v_dual_mov_b32 v3, s29
	s_xor_b32 exec_lo, exec_lo, s47
; %bb.480:
	v_mov_b32_e32 v4, 0
	v_mov_b32_e32 v5, 0
	v_cmp_ne_u16_e32 vcc_lo, 0, v7
	s_delay_alu instid0(VALU_DEP_3) | instskip(SKIP_1) | instid1(VALU_DEP_3)
	v_mov_b32_e32 v2, v4
	s_and_not1_b32 s2, s45, exec_lo
	v_mov_b32_e32 v3, v5
	s_and_b32 s3, vcc_lo, exec_lo
	s_delay_alu instid0(SALU_CYCLE_1)
	s_or_b32 s45, s2, s3
; %bb.481:
	s_or_b32 exec_lo, exec_lo, s47
	s_and_saveexec_b32 s2, s45
	s_cbranch_execz .LBB497_483
; %bb.482:
	v_and_b32_e32 v2, 0xffff, v7
	v_lshlrev_b32_e32 v7, 24, v7
	s_delay_alu instid0(VALU_DEP_2) | instskip(NEXT) | instid1(VALU_DEP_1)
	v_and_b32_e32 v3, 3, v2
	v_clz_i32_u32_e32 v4, v3
	s_delay_alu instid0(VALU_DEP_1) | instskip(NEXT) | instid1(VALU_DEP_1)
	v_min_u32_e32 v4, 32, v4
	v_subrev_nc_u32_e32 v5, 29, v4
	v_sub_nc_u32_e32 v4, 30, v4
	s_delay_alu instid0(VALU_DEP_2) | instskip(SKIP_1) | instid1(VALU_DEP_2)
	v_lshlrev_b32_e32 v5, v5, v2
	v_bfe_u32 v2, v2, 2, 5
	v_and_b32_e32 v5, 3, v5
	s_delay_alu instid0(VALU_DEP_2) | instskip(NEXT) | instid1(VALU_DEP_2)
	v_cmp_eq_u32_e32 vcc_lo, 0, v2
	v_dual_cndmask_b32 v2, v2, v4 :: v_dual_cndmask_b32 v3, v3, v5
	v_and_b32_e32 v4, 0x80000000, v7
	s_delay_alu instid0(VALU_DEP_2) | instskip(NEXT) | instid1(VALU_DEP_3)
	v_lshl_add_u32 v2, v2, 23, 0x37800000
	v_lshlrev_b32_e32 v3, 21, v3
	s_delay_alu instid0(VALU_DEP_1) | instskip(SKIP_2) | instid1(VALU_DEP_3)
	v_or3_b32 v2, v4, v2, v3
	v_mov_b32_e32 v4, 0
	v_mov_b32_e32 v5, 0
	v_cvt_f64_f32_e32 v[2:3], v2
.LBB497_483:
	s_or_b32 exec_lo, exec_lo, s2
	s_mov_b32 s2, 0
	s_branch .LBB497_487
.LBB497_484:
	s_mov_b32 s2, -1
                                        ; implicit-def: $vgpr4_vgpr5
	s_branch .LBB497_493
.LBB497_485:
	s_mov_b32 s2, -1
                                        ; implicit-def: $vgpr4_vgpr5
	s_branch .LBB497_490
.LBB497_486:
	s_mov_b32 s2, -1
                                        ; implicit-def: $vgpr4_vgpr5
.LBB497_487:
	s_delay_alu instid0(SALU_CYCLE_1)
	s_and_b32 vcc_lo, exec_lo, s2
	s_cbranch_vccz .LBB497_489
; %bb.488:
	global_load_u8 v2, v[0:1], off
	s_waitcnt vmcnt(0)
	v_lshlrev_b32_e32 v2, 24, v2
	s_delay_alu instid0(VALU_DEP_1) | instskip(NEXT) | instid1(VALU_DEP_1)
	v_and_b32_e32 v3, 0x7f000000, v2
	v_clz_i32_u32_e32 v4, v3
	v_add_nc_u32_e32 v7, 0x1000000, v3
	v_cmp_ne_u32_e32 vcc_lo, 0, v3
	s_delay_alu instid0(VALU_DEP_3) | instskip(NEXT) | instid1(VALU_DEP_1)
	v_min_u32_e32 v4, 32, v4
	v_sub_nc_u32_e64 v4, v4, 4 clamp
	s_delay_alu instid0(VALU_DEP_1) | instskip(SKIP_1) | instid1(VALU_DEP_2)
	v_lshlrev_b32_e32 v5, v4, v3
	v_lshlrev_b32_e32 v4, 23, v4
	v_lshrrev_b32_e32 v5, 4, v5
	s_delay_alu instid0(VALU_DEP_1) | instskip(SKIP_1) | instid1(VALU_DEP_2)
	v_sub_nc_u32_e32 v4, v5, v4
	v_ashrrev_i32_e32 v5, 8, v7
	v_add_nc_u32_e32 v4, 0x3c000000, v4
	s_delay_alu instid0(VALU_DEP_1) | instskip(NEXT) | instid1(VALU_DEP_1)
	v_and_or_b32 v4, 0x7f800000, v5, v4
	v_dual_cndmask_b32 v3, 0, v4 :: v_dual_mov_b32 v4, 0
	v_mov_b32_e32 v5, 0
	s_delay_alu instid0(VALU_DEP_2) | instskip(NEXT) | instid1(VALU_DEP_1)
	v_and_or_b32 v2, 0x80000000, v2, v3
	v_cvt_f64_f32_e32 v[2:3], v2
.LBB497_489:
	s_mov_b32 s2, 0
.LBB497_490:
	s_delay_alu instid0(SALU_CYCLE_1)
	s_and_not1_b32 vcc_lo, exec_lo, s2
	s_cbranch_vccnz .LBB497_492
; %bb.491:
	global_load_u8 v2, v[0:1], off
	s_waitcnt vmcnt(0)
	v_lshlrev_b32_e32 v3, 25, v2
	v_lshlrev_b16 v2, 8, v2
	s_delay_alu instid0(VALU_DEP_2) | instskip(NEXT) | instid1(VALU_DEP_2)
	v_lshrrev_b32_e32 v4, 4, v3
	v_and_or_b32 v5, 0x7f00, v2, 0.5
	v_bfe_i32 v2, v2, 0, 16
	s_delay_alu instid0(VALU_DEP_3) | instskip(NEXT) | instid1(VALU_DEP_1)
	v_or_b32_e32 v4, 0x70000000, v4
	v_dual_add_f32 v5, -0.5, v5 :: v_dual_mul_f32 v4, 0x7800000, v4
	v_cmp_gt_u32_e32 vcc_lo, 0x8000000, v3
	s_delay_alu instid0(VALU_DEP_2) | instskip(SKIP_1) | instid1(VALU_DEP_2)
	v_dual_cndmask_b32 v3, v4, v5 :: v_dual_mov_b32 v4, 0
	v_mov_b32_e32 v5, 0
	v_and_or_b32 v2, 0x80000000, v2, v3
	s_delay_alu instid0(VALU_DEP_1)
	v_cvt_f64_f32_e32 v[2:3], v2
.LBB497_492:
	s_mov_b32 s2, 0
	s_mov_b32 s28, -1
.LBB497_493:
	s_and_not1_b32 vcc_lo, exec_lo, s2
	s_cbranch_vccnz .LBB497_505
; %bb.494:
	v_cmp_lt_i16_e32 vcc_lo, 14, v9
	s_cbranch_vccz .LBB497_497
; %bb.495:
	v_cmp_eq_u16_e32 vcc_lo, 15, v9
	s_cbranch_vccz .LBB497_498
; %bb.496:
	global_load_u16 v2, v[0:1], off
	s_mov_b32 s28, -1
	s_mov_b32 s44, 0
	s_mov_b64 s[2:3], 0
	s_waitcnt vmcnt(0)
	v_lshlrev_b32_e32 v2, 16, v2
	s_delay_alu instid0(VALU_DEP_1)
	v_cvt_f64_f32_e32 v[2:3], v2
	s_branch .LBB497_499
.LBB497_497:
	s_mov_b32 s29, -1
                                        ; implicit-def: $sgpr2_sgpr3
                                        ; implicit-def: $vgpr2_vgpr3
	s_branch .LBB497_500
.LBB497_498:
	s_mov_b32 s44, -1
                                        ; implicit-def: $sgpr2_sgpr3
                                        ; implicit-def: $vgpr2_vgpr3
.LBB497_499:
	s_mov_b32 s29, 0
.LBB497_500:
	s_delay_alu instid0(SALU_CYCLE_1)
	s_and_b32 vcc_lo, exec_lo, s29
	s_cbranch_vccz .LBB497_504
; %bb.501:
	v_cmp_eq_u16_e32 vcc_lo, 11, v9
	s_cbranch_vccz .LBB497_503
; %bb.502:
	global_load_u8 v2, v[0:1], off
	s_mov_b32 s44, 0
	s_mov_b32 s28, -1
	s_mov_b64 s[2:3], 0
	s_waitcnt vmcnt(0)
	v_cmp_ne_u16_e32 vcc_lo, 0, v2
	v_mov_b32_e32 v2, 0
	v_cndmask_b32_e64 v3, 0, 0x3ff00000, vcc_lo
	s_branch .LBB497_504
.LBB497_503:
	s_mov_b32 s44, -1
                                        ; implicit-def: $sgpr2_sgpr3
                                        ; implicit-def: $vgpr2_vgpr3
.LBB497_504:
	s_waitcnt vmcnt(0)
	v_dual_mov_b32 v5, s3 :: v_dual_mov_b32 v4, s2
.LBB497_505:
	s_branch .LBB497_299
.LBB497_506:
	v_cmp_gt_i16_e32 vcc_lo, 5, v9
	s_cbranch_vccnz .LBB497_511
; %bb.507:
	v_cmp_gt_i16_e32 vcc_lo, 8, v9
	s_cbranch_vccnz .LBB497_512
; %bb.508:
	;; [unrolled: 3-line block ×3, first 2 shown]
	v_cmp_lt_i16_e32 vcc_lo, 9, v9
	s_cbranch_vccz .LBB497_514
; %bb.510:
	global_load_b128 v[2:5], v[0:1], off
	s_mov_b32 s2, 0
	s_branch .LBB497_515
.LBB497_511:
	s_mov_b32 s2, -1
                                        ; implicit-def: $vgpr4_vgpr5
	s_branch .LBB497_534
.LBB497_512:
	s_mov_b32 s2, -1
                                        ; implicit-def: $vgpr4_vgpr5
	s_branch .LBB497_521
.LBB497_513:
	s_mov_b32 s2, -1
                                        ; implicit-def: $vgpr4_vgpr5
	s_branch .LBB497_518
.LBB497_514:
	s_mov_b32 s2, -1
                                        ; implicit-def: $vgpr4_vgpr5
.LBB497_515:
	s_delay_alu instid0(SALU_CYCLE_1)
	s_and_not1_b32 vcc_lo, exec_lo, s2
	s_cbranch_vccnz .LBB497_517
; %bb.516:
	global_load_b64 v[3:4], v[0:1], off
	s_waitcnt vmcnt(0)
	v_cvt_f64_f32_e32 v[2:3], v3
	v_cvt_f64_f32_e32 v[4:5], v4
.LBB497_517:
	s_mov_b32 s2, 0
.LBB497_518:
	s_delay_alu instid0(SALU_CYCLE_1)
	s_and_not1_b32 vcc_lo, exec_lo, s2
	s_cbranch_vccnz .LBB497_520
; %bb.519:
	global_load_b32 v2, v[0:1], off
	s_waitcnt vmcnt(0)
	v_lshrrev_b32_e32 v3, 16, v2
	v_cvt_f32_f16_e32 v2, v2
	s_delay_alu instid0(VALU_DEP_2) | instskip(NEXT) | instid1(VALU_DEP_2)
	v_cvt_f32_f16_e32 v4, v3
	v_cvt_f64_f32_e32 v[2:3], v2
	s_delay_alu instid0(VALU_DEP_2)
	v_cvt_f64_f32_e32 v[4:5], v4
.LBB497_520:
	s_mov_b32 s2, 0
.LBB497_521:
	s_delay_alu instid0(SALU_CYCLE_1)
	s_and_not1_b32 vcc_lo, exec_lo, s2
	s_cbranch_vccnz .LBB497_533
; %bb.522:
	v_cmp_gt_i16_e32 vcc_lo, 6, v9
	s_cbranch_vccnz .LBB497_525
; %bb.523:
	v_cmp_lt_i16_e32 vcc_lo, 6, v9
	s_cbranch_vccz .LBB497_526
; %bb.524:
	global_load_b64 v[2:3], v[0:1], off
	s_mov_b32 s28, 0
	s_mov_b64 s[2:3], 0
	s_branch .LBB497_527
.LBB497_525:
	s_mov_b32 s28, -1
                                        ; implicit-def: $sgpr2_sgpr3
                                        ; implicit-def: $vgpr2_vgpr3
	s_branch .LBB497_530
.LBB497_526:
	s_mov_b32 s28, -1
                                        ; implicit-def: $sgpr2_sgpr3
                                        ; implicit-def: $vgpr2_vgpr3
.LBB497_527:
	s_delay_alu instid0(SALU_CYCLE_1)
	s_and_not1_b32 vcc_lo, exec_lo, s28
	s_cbranch_vccnz .LBB497_529
; %bb.528:
	global_load_b32 v2, v[0:1], off
	s_mov_b64 s[2:3], 0
	s_waitcnt vmcnt(0)
	v_cvt_f64_f32_e32 v[2:3], v2
.LBB497_529:
	s_mov_b32 s28, 0
.LBB497_530:
	s_delay_alu instid0(SALU_CYCLE_1)
	s_and_not1_b32 vcc_lo, exec_lo, s28
	s_cbranch_vccnz .LBB497_532
; %bb.531:
	global_load_u16 v2, v[0:1], off
	s_mov_b64 s[2:3], 0
	s_waitcnt vmcnt(0)
	v_cvt_f32_f16_e32 v2, v2
	s_delay_alu instid0(VALU_DEP_1)
	v_cvt_f64_f32_e32 v[2:3], v2
.LBB497_532:
	s_waitcnt vmcnt(0)
	v_dual_mov_b32 v5, s3 :: v_dual_mov_b32 v4, s2
.LBB497_533:
	s_mov_b32 s2, 0
.LBB497_534:
	s_delay_alu instid0(SALU_CYCLE_1)
	s_and_not1_b32 vcc_lo, exec_lo, s2
	s_cbranch_vccnz .LBB497_555
; %bb.535:
	v_cmp_gt_i16_e32 vcc_lo, 2, v9
	s_cbranch_vccnz .LBB497_539
; %bb.536:
	v_cmp_gt_i16_e32 vcc_lo, 3, v9
	s_cbranch_vccnz .LBB497_540
; %bb.537:
	v_cmp_lt_i16_e32 vcc_lo, 3, v9
	s_cbranch_vccz .LBB497_541
; %bb.538:
	global_load_b64 v[2:3], v[0:1], off
	s_mov_b32 s28, 0
	s_mov_b64 s[2:3], 0
	s_waitcnt vmcnt(0)
	v_cvt_f64_i32_e32 v[3:4], v3
	v_cvt_f64_u32_e32 v[7:8], v2
	s_delay_alu instid0(VALU_DEP_2) | instskip(NEXT) | instid1(VALU_DEP_1)
	v_ldexp_f64 v[3:4], v[3:4], 32
	v_add_f64 v[2:3], v[3:4], v[7:8]
	s_branch .LBB497_542
.LBB497_539:
	s_mov_b32 s28, -1
                                        ; implicit-def: $sgpr2_sgpr3
                                        ; implicit-def: $vgpr2_vgpr3
	s_branch .LBB497_548
.LBB497_540:
	s_mov_b32 s28, -1
                                        ; implicit-def: $sgpr2_sgpr3
                                        ; implicit-def: $vgpr2_vgpr3
	s_branch .LBB497_545
.LBB497_541:
	s_mov_b32 s28, -1
                                        ; implicit-def: $sgpr2_sgpr3
                                        ; implicit-def: $vgpr2_vgpr3
.LBB497_542:
	s_delay_alu instid0(SALU_CYCLE_1)
	s_and_not1_b32 vcc_lo, exec_lo, s28
	s_cbranch_vccnz .LBB497_544
; %bb.543:
	global_load_b32 v2, v[0:1], off
	s_mov_b64 s[2:3], 0
	s_waitcnt vmcnt(0)
	v_cvt_f64_i32_e32 v[2:3], v2
.LBB497_544:
	s_mov_b32 s28, 0
.LBB497_545:
	s_delay_alu instid0(SALU_CYCLE_1)
	s_and_not1_b32 vcc_lo, exec_lo, s28
	s_cbranch_vccnz .LBB497_547
; %bb.546:
	global_load_i16 v2, v[0:1], off
	s_mov_b64 s[2:3], 0
	s_waitcnt vmcnt(0)
	v_cvt_f64_i32_e32 v[2:3], v2
.LBB497_547:
	s_mov_b32 s28, 0
.LBB497_548:
	s_delay_alu instid0(SALU_CYCLE_1)
	s_and_not1_b32 vcc_lo, exec_lo, s28
	s_cbranch_vccnz .LBB497_554
; %bb.549:
	v_cmp_lt_i16_e32 vcc_lo, 0, v9
	s_mov_b32 s28, 0
	s_cbranch_vccz .LBB497_551
; %bb.550:
	global_load_i8 v2, v[0:1], off
	s_mov_b64 s[2:3], 0
	s_waitcnt vmcnt(0)
	v_cvt_f64_i32_e32 v[2:3], v2
	s_branch .LBB497_552
.LBB497_551:
	s_mov_b32 s28, -1
                                        ; implicit-def: $sgpr2_sgpr3
                                        ; implicit-def: $vgpr2_vgpr3
.LBB497_552:
	s_delay_alu instid0(SALU_CYCLE_1)
	s_and_not1_b32 vcc_lo, exec_lo, s28
	s_cbranch_vccnz .LBB497_554
; %bb.553:
	global_load_u8 v0, v[0:1], off
	s_mov_b64 s[2:3], 0
	s_waitcnt vmcnt(0)
	v_cvt_f64_u32_e32 v[2:3], v0
.LBB497_554:
	s_waitcnt vmcnt(0)
	v_dual_mov_b32 v5, s3 :: v_dual_mov_b32 v4, s2
.LBB497_555:
	s_branch .LBB497_300
.LBB497_556:
	s_mov_b32 s3, 0
	s_mov_b32 s2, s41
.LBB497_557:
                                        ; implicit-def: $vgpr10
.LBB497_558:
	s_and_not1_b32 s28, s41, exec_lo
	s_and_b32 s2, s2, exec_lo
	s_and_not1_b32 s29, s42, exec_lo
	s_and_b32 s44, s44, exec_lo
	s_or_b32 s45, s28, s2
	s_or_b32 s44, s29, s44
	s_or_not1_b32 s28, s3, exec_lo
.LBB497_559:
	s_or_b32 exec_lo, exec_lo, s46
	s_mov_b32 s3, 0
	s_mov_b32 s2, 0
	s_mov_b32 s29, 0
                                        ; implicit-def: $vgpr0_vgpr1
                                        ; implicit-def: $vgpr8
                                        ; implicit-def: $vgpr6_vgpr7
	s_and_saveexec_b32 s46, s28
	s_cbranch_execz .LBB497_947
; %bb.560:
	s_mov_b32 s49, -1
	s_mov_b32 s28, s44
	s_mov_b32 s29, s45
	s_mov_b32 s47, exec_lo
	v_cmpx_gt_i32_e64 s38, v10
	s_cbranch_execz .LBB497_845
; %bb.561:
	s_and_not1_b32 vcc_lo, exec_lo, s34
	s_cbranch_vccnz .LBB497_566
; %bb.562:
	v_mov_b32_e32 v6, 0
	v_mov_b32_e32 v0, 0
	s_and_not1_b32 vcc_lo, exec_lo, s40
	s_mov_b32 s48, 0
	s_cbranch_vccnz .LBB497_571
; %bb.563:
	v_mov_b32_e32 v6, 0
	s_add_i32 s50, s39, 1
	s_cmp_eq_u32 s31, 2
	s_mov_b32 s49, 0
	s_cbranch_scc1 .LBB497_567
; %bb.564:
	v_dual_mov_b32 v0, 0 :: v_dual_mov_b32 v1, v10
	v_mov_b32_e32 v6, 0
	s_and_b32 s49, s50, 28
	s_mov_b32 s51, 0
	s_mov_b64 s[2:3], s[26:27]
	s_mov_b64 s[28:29], s[20:21]
.LBB497_565:                            ; =>This Inner Loop Header: Depth=1
	s_clause 0x1
	s_load_b256 s[52:59], s[28:29], 0x4
	s_load_b128 s[68:71], s[28:29], 0x24
	s_load_b256 s[60:67], s[2:3], 0x0
	s_add_u32 s28, s28, 48
	s_addc_u32 s29, s29, 0
	s_add_i32 s51, s51, 4
	s_add_u32 s2, s2, 32
	s_addc_u32 s3, s3, 0
	s_cmp_eq_u32 s49, s51
	s_waitcnt vmcnt(0) lgkmcnt(0)
	v_mul_hi_u32 v2, s53, v1
	s_delay_alu instid0(VALU_DEP_1) | instskip(NEXT) | instid1(VALU_DEP_1)
	v_add_nc_u32_e32 v2, v1, v2
	v_lshrrev_b32_e32 v2, s54, v2
	s_delay_alu instid0(VALU_DEP_1) | instskip(SKIP_1) | instid1(VALU_DEP_2)
	v_mul_hi_u32 v3, s56, v2
	v_mul_lo_u32 v5, v2, s52
	v_add_nc_u32_e32 v3, v2, v3
	s_delay_alu instid0(VALU_DEP_2) | instskip(NEXT) | instid1(VALU_DEP_2)
	v_sub_nc_u32_e32 v1, v1, v5
	v_lshrrev_b32_e32 v3, s57, v3
	s_delay_alu instid0(VALU_DEP_2) | instskip(SKIP_1) | instid1(VALU_DEP_3)
	v_mul_lo_u32 v5, v1, s60
	v_mul_lo_u32 v8, v1, s61
	v_mul_hi_u32 v4, s59, v3
	s_delay_alu instid0(VALU_DEP_1) | instskip(NEXT) | instid1(VALU_DEP_1)
	v_add_nc_u32_e32 v4, v3, v4
	v_lshrrev_b32_e32 v4, s68, v4
	s_delay_alu instid0(VALU_DEP_1) | instskip(SKIP_1) | instid1(VALU_DEP_2)
	v_mul_hi_u32 v7, s70, v4
	v_mul_lo_u32 v11, v4, s58
	v_add_nc_u32_e32 v1, v4, v7
	v_mul_lo_u32 v7, v3, s55
	s_delay_alu instid0(VALU_DEP_3) | instskip(NEXT) | instid1(VALU_DEP_3)
	v_sub_nc_u32_e32 v3, v3, v11
	v_lshrrev_b32_e32 v1, s71, v1
	s_delay_alu instid0(VALU_DEP_2) | instskip(SKIP_2) | instid1(VALU_DEP_4)
	v_mul_lo_u32 v11, v3, s64
	v_mul_lo_u32 v3, v3, s65
	v_sub_nc_u32_e32 v2, v2, v7
	v_mul_lo_u32 v12, v1, s69
	s_delay_alu instid0(VALU_DEP_2) | instskip(SKIP_1) | instid1(VALU_DEP_3)
	v_mul_lo_u32 v7, v2, s62
	v_mul_lo_u32 v2, v2, s63
	v_sub_nc_u32_e32 v4, v4, v12
	s_delay_alu instid0(VALU_DEP_3) | instskip(NEXT) | instid1(VALU_DEP_2)
	v_add3_u32 v5, v5, v6, v7
	v_mul_lo_u32 v12, v4, s66
	v_mul_lo_u32 v4, v4, s67
	v_add3_u32 v0, v8, v0, v2
	s_delay_alu instid0(VALU_DEP_3) | instskip(NEXT) | instid1(VALU_DEP_2)
	v_add3_u32 v6, v11, v5, v12
	v_add3_u32 v0, v3, v0, v4
	s_cbranch_scc0 .LBB497_565
	s_branch .LBB497_568
.LBB497_566:
	s_mov_b32 s48, -1
                                        ; implicit-def: $vgpr6
                                        ; implicit-def: $vgpr0
	s_branch .LBB497_571
.LBB497_567:
	v_dual_mov_b32 v1, v10 :: v_dual_mov_b32 v0, 0
.LBB497_568:
	s_and_b32 s50, s50, 3
	s_delay_alu instid0(SALU_CYCLE_1)
	s_cmp_eq_u32 s50, 0
	s_cbranch_scc1 .LBB497_571
; %bb.569:
	s_lshl_b32 s2, s49, 3
	s_mul_i32 s28, s49, 12
	s_add_u32 s2, s2, s20
	s_addc_u32 s3, s21, 0
	s_add_u32 s2, s2, 0xc4
	s_addc_u32 s3, s3, 0
	;; [unrolled: 2-line block ×3, first 2 shown]
	.p2align	6
.LBB497_570:                            ; =>This Inner Loop Header: Depth=1
	s_clause 0x1
	s_load_b64 s[52:53], s[28:29], 0x4
	s_load_b32 s49, s[28:29], 0xc
	s_load_b64 s[54:55], s[2:3], 0x0
	s_add_u32 s28, s28, 12
	s_addc_u32 s29, s29, 0
	s_add_u32 s2, s2, 8
	s_addc_u32 s3, s3, 0
	s_add_i32 s50, s50, -1
	s_delay_alu instid0(SALU_CYCLE_1) | instskip(SKIP_2) | instid1(VALU_DEP_1)
	s_cmp_lg_u32 s50, 0
	s_waitcnt vmcnt(0) lgkmcnt(0)
	v_mul_hi_u32 v2, s53, v1
	v_add_nc_u32_e32 v2, v1, v2
	s_delay_alu instid0(VALU_DEP_1) | instskip(NEXT) | instid1(VALU_DEP_1)
	v_lshrrev_b32_e32 v5, s49, v2
	v_mul_lo_u32 v2, v5, s52
	s_delay_alu instid0(VALU_DEP_1) | instskip(NEXT) | instid1(VALU_DEP_1)
	v_sub_nc_u32_e32 v1, v1, v2
	v_mad_u64_u32 v[2:3], null, v1, s54, v[6:7]
	v_mad_u64_u32 v[3:4], null, v1, s55, v[0:1]
	s_delay_alu instid0(VALU_DEP_2) | instskip(NEXT) | instid1(VALU_DEP_2)
	v_dual_mov_b32 v1, v5 :: v_dual_mov_b32 v6, v2
	v_mov_b32_e32 v0, v3
	s_cbranch_scc1 .LBB497_570
.LBB497_571:
	s_and_not1_b32 vcc_lo, exec_lo, s48
	s_cbranch_vccnz .LBB497_574
; %bb.572:
	v_mul_hi_u32 v0, s17, v10
	s_and_not1_b32 vcc_lo, exec_lo, s37
	s_delay_alu instid0(VALU_DEP_1) | instskip(NEXT) | instid1(VALU_DEP_1)
	v_add_nc_u32_e32 v0, v10, v0
	v_lshrrev_b32_e32 v1, s18, v0
	s_delay_alu instid0(VALU_DEP_1) | instskip(NEXT) | instid1(VALU_DEP_1)
	v_mul_lo_u32 v0, v1, s16
	v_sub_nc_u32_e32 v0, v10, v0
	s_delay_alu instid0(VALU_DEP_1)
	v_mul_lo_u32 v6, v0, s12
	v_mul_lo_u32 v0, v0, s13
	s_cbranch_vccnz .LBB497_574
; %bb.573:
	s_waitcnt vmcnt(0)
	v_mul_hi_u32 v2, s24, v1
	s_delay_alu instid0(VALU_DEP_1) | instskip(NEXT) | instid1(VALU_DEP_1)
	v_add_nc_u32_e32 v2, v1, v2
	v_lshrrev_b32_e32 v2, s25, v2
	s_delay_alu instid0(VALU_DEP_1) | instskip(NEXT) | instid1(VALU_DEP_1)
	v_mul_lo_u32 v2, v2, s19
	v_sub_nc_u32_e32 v4, v1, v2
	s_delay_alu instid0(VALU_DEP_1) | instskip(NEXT) | instid1(VALU_DEP_1)
	v_mad_u64_u32 v[1:2], null, v4, s14, v[6:7]
	v_mad_u64_u32 v[2:3], null, v4, s15, v[0:1]
	v_mov_b32_e32 v6, v1
	s_delay_alu instid0(VALU_DEP_2)
	v_mov_b32_e32 v0, v2
.LBB497_574:
	v_cmp_gt_i16_e32 vcc_lo, 11, v9
	s_delay_alu instid0(VALU_DEP_2) | instskip(NEXT) | instid1(VALU_DEP_1)
	v_add_co_u32 v0, s2, s6, v0
	v_add_co_ci_u32_e64 v1, null, s7, 0, s2
	s_mov_b32 s28, 0
	s_cbranch_vccnz .LBB497_581
; %bb.575:
	v_cmp_lt_i16_e32 vcc_lo, 25, v9
	s_cbranch_vccz .LBB497_582
; %bb.576:
	v_cmp_lt_i16_e32 vcc_lo, 28, v9
	s_cbranch_vccz .LBB497_583
; %bb.577:
	v_cmp_lt_i16_e32 vcc_lo, 43, v9
	s_cbranch_vccz .LBB497_584
; %bb.578:
	v_cmp_lt_i16_e32 vcc_lo, 45, v9
	s_cbranch_vccz .LBB497_587
; %bb.579:
	v_cmp_eq_u16_e32 vcc_lo, 46, v9
	s_mov_b32 s2, 0
	s_cbranch_vccz .LBB497_590
; %bb.580:
	global_load_b32 v2, v[0:1], off
	s_mov_b32 s28, -1
	s_mov_b32 s48, 0
	s_waitcnt vmcnt(0)
	v_lshlrev_b32_e32 v3, 16, v2
	v_and_b32_e32 v4, 0xffff0000, v2
	s_delay_alu instid0(VALU_DEP_2) | instskip(NEXT) | instid1(VALU_DEP_2)
	v_cvt_f64_f32_e32 v[2:3], v3
	v_cvt_f64_f32_e32 v[4:5], v4
	s_branch .LBB497_592
.LBB497_581:
	s_mov_b32 s2, -1
	s_mov_b32 s48, s44
                                        ; implicit-def: $vgpr4_vgpr5
	s_branch .LBB497_660
.LBB497_582:
	s_mov_b32 s2, -1
	s_mov_b32 s48, s44
                                        ; implicit-def: $vgpr4_vgpr5
	s_branch .LBB497_625
.LBB497_583:
	s_mov_b32 s2, -1
	s_mov_b32 s48, s44
                                        ; implicit-def: $vgpr4_vgpr5
	s_branch .LBB497_604
.LBB497_584:
	s_mov_b32 s2, -1
	s_mov_b32 s48, s44
                                        ; implicit-def: $vgpr4_vgpr5
	s_branch .LBB497_598
.LBB497_585:
	s_or_saveexec_b32 s29, s29
                                        ; implicit-def: $sgpr45
	s_delay_alu instid0(SALU_CYCLE_1)
	s_xor_b32 exec_lo, exec_lo, s29
	s_cbranch_execz .LBB497_391
.LBB497_586:
	v_add_f32_e64 v8, 0x46000000, |v6|
	s_and_not1_b32 s28, s28, exec_lo
	s_mov_b32 s45, 0
	s_delay_alu instid0(VALU_DEP_1) | instskip(NEXT) | instid1(VALU_DEP_1)
	v_and_b32_e32 v8, 0xff, v8
	v_cmp_ne_u32_e32 vcc_lo, 0, v8
	s_and_b32 s47, vcc_lo, exec_lo
	s_delay_alu instid0(SALU_CYCLE_1)
	s_or_b32 s28, s28, s47
	s_or_b32 exec_lo, exec_lo, s29
	v_mov_b32_e32 v11, s45
	s_and_saveexec_b32 s29, s28
	s_cbranch_execnz .LBB497_392
	s_branch .LBB497_393
.LBB497_587:
	s_mov_b32 s2, -1
	s_mov_b32 s48, s44
	s_branch .LBB497_591
.LBB497_588:
	s_or_saveexec_b32 s29, s29
                                        ; implicit-def: $sgpr45
	s_delay_alu instid0(SALU_CYCLE_1)
	s_xor_b32 exec_lo, exec_lo, s29
	s_cbranch_execz .LBB497_404
.LBB497_589:
	v_add_f32_e64 v8, 0x42800000, |v6|
	s_and_not1_b32 s28, s28, exec_lo
	s_mov_b32 s45, 0
	s_delay_alu instid0(VALU_DEP_1) | instskip(NEXT) | instid1(VALU_DEP_1)
	v_and_b32_e32 v8, 0xff, v8
	v_cmp_ne_u32_e32 vcc_lo, 0, v8
	s_and_b32 s47, vcc_lo, exec_lo
	s_delay_alu instid0(SALU_CYCLE_1)
	s_or_b32 s28, s28, s47
	s_or_b32 exec_lo, exec_lo, s29
	v_mov_b32_e32 v11, s45
	s_and_saveexec_b32 s29, s28
	s_cbranch_execnz .LBB497_405
	s_branch .LBB497_406
.LBB497_590:
	s_mov_b32 s48, -1
.LBB497_591:
                                        ; implicit-def: $vgpr4_vgpr5
.LBB497_592:
	s_and_b32 vcc_lo, exec_lo, s2
	s_cbranch_vccz .LBB497_597
; %bb.593:
	v_cmp_eq_u16_e32 vcc_lo, 44, v9
	s_cbranch_vccz .LBB497_595
; %bb.594:
	global_load_u8 v4, v[0:1], off
	s_mov_b32 s48, 0
	s_mov_b32 s28, -1
	s_mov_b64 s[2:3], 0
	s_waitcnt vmcnt(0)
	v_cmp_ne_u32_e32 vcc_lo, 0xff, v4
	v_lshlrev_b32_e32 v2, 23, v4
	s_delay_alu instid0(VALU_DEP_1) | instskip(NEXT) | instid1(VALU_DEP_1)
	v_cvt_f64_f32_e32 v[2:3], v2
	v_cndmask_b32_e32 v3, 0x7ff80000, v3, vcc_lo
	s_delay_alu instid0(VALU_DEP_2) | instskip(SKIP_1) | instid1(VALU_DEP_3)
	v_cndmask_b32_e32 v2, 0x20000000, v2, vcc_lo
	v_cmp_ne_u32_e32 vcc_lo, 0, v4
	v_cndmask_b32_e32 v3, 0x38000000, v3, vcc_lo
	s_delay_alu instid0(VALU_DEP_3)
	v_cndmask_b32_e32 v2, 0, v2, vcc_lo
	s_branch .LBB497_596
.LBB497_595:
	s_mov_b32 s48, -1
                                        ; implicit-def: $sgpr2_sgpr3
                                        ; implicit-def: $vgpr2_vgpr3
.LBB497_596:
	s_waitcnt vmcnt(0)
	v_dual_mov_b32 v5, s3 :: v_dual_mov_b32 v4, s2
.LBB497_597:
	s_mov_b32 s2, 0
.LBB497_598:
	s_delay_alu instid0(SALU_CYCLE_1)
	s_and_b32 vcc_lo, exec_lo, s2
	s_cbranch_vccz .LBB497_603
; %bb.599:
	v_cmp_eq_u16_e32 vcc_lo, 29, v9
	s_cbranch_vccz .LBB497_601
; %bb.600:
	global_load_b64 v[2:3], v[0:1], off
	s_mov_b32 s28, -1
	s_mov_b32 s48, 0
	s_mov_b64 s[2:3], 0
	s_waitcnt vmcnt(0)
	v_cvt_f64_u32_e32 v[3:4], v3
	v_cvt_f64_u32_e32 v[7:8], v2
	s_delay_alu instid0(VALU_DEP_2) | instskip(NEXT) | instid1(VALU_DEP_1)
	v_ldexp_f64 v[3:4], v[3:4], 32
	v_add_f64 v[2:3], v[3:4], v[7:8]
	s_branch .LBB497_602
.LBB497_601:
	s_mov_b32 s48, -1
                                        ; implicit-def: $sgpr2_sgpr3
                                        ; implicit-def: $vgpr2_vgpr3
.LBB497_602:
	s_waitcnt vmcnt(0)
	v_dual_mov_b32 v5, s3 :: v_dual_mov_b32 v4, s2
.LBB497_603:
	s_mov_b32 s2, 0
.LBB497_604:
	s_delay_alu instid0(SALU_CYCLE_1)
	s_and_b32 vcc_lo, exec_lo, s2
	s_cbranch_vccz .LBB497_624
; %bb.605:
	v_cmp_gt_i16_e32 vcc_lo, 27, v9
	s_cbranch_vccnz .LBB497_608
; %bb.606:
	v_cmp_lt_i16_e32 vcc_lo, 27, v9
	s_cbranch_vccz .LBB497_609
; %bb.607:
	global_load_b32 v2, v[0:1], off
	s_mov_b32 s28, 0
	s_mov_b64 s[2:3], 0
	s_waitcnt vmcnt(0)
	v_cvt_f64_u32_e32 v[2:3], v2
	s_branch .LBB497_610
.LBB497_608:
	s_mov_b32 s28, -1
                                        ; implicit-def: $sgpr2_sgpr3
                                        ; implicit-def: $vgpr2_vgpr3
	s_branch .LBB497_613
.LBB497_609:
	s_mov_b32 s28, -1
                                        ; implicit-def: $sgpr2_sgpr3
                                        ; implicit-def: $vgpr2_vgpr3
.LBB497_610:
	s_delay_alu instid0(SALU_CYCLE_1)
	s_and_not1_b32 vcc_lo, exec_lo, s28
	s_cbranch_vccnz .LBB497_612
; %bb.611:
	global_load_u16 v2, v[0:1], off
	s_mov_b64 s[2:3], 0
	s_waitcnt vmcnt(0)
	v_cvt_f64_u32_e32 v[2:3], v2
.LBB497_612:
	s_mov_b32 s28, 0
.LBB497_613:
	s_waitcnt vmcnt(0)
	v_dual_mov_b32 v5, s3 :: v_dual_mov_b32 v4, s2
	s_and_not1_b32 vcc_lo, exec_lo, s28
	s_cbranch_vccnz .LBB497_623
; %bb.614:
	global_load_u8 v7, v[0:1], off
	s_mov_b32 s49, 0
	s_mov_b32 s50, exec_lo
                                        ; implicit-def: $sgpr2_sgpr3
                                        ; implicit-def: $sgpr28_sgpr29
	s_waitcnt vmcnt(0)
	v_cmpx_lt_i16_e32 0x7f, v7
	s_xor_b32 s50, exec_lo, s50
	s_cbranch_execz .LBB497_618
; %bb.615:
	s_mov_b32 s49, -1
	s_mov_b32 s51, exec_lo
                                        ; implicit-def: $sgpr2_sgpr3
                                        ; implicit-def: $sgpr28_sgpr29
	v_cmpx_eq_u16_e32 0x80, v7
; %bb.616:
	s_mov_b64 s[2:3], 0
	s_mov_b32 s29, 0x7ff80000
	s_brev_b32 s28, 4
	s_xor_b32 s49, exec_lo, -1
; %bb.617:
	s_or_b32 exec_lo, exec_lo, s51
	s_delay_alu instid0(SALU_CYCLE_1)
	s_and_b32 s49, s49, exec_lo
.LBB497_618:
	s_or_saveexec_b32 s50, s50
	v_dual_mov_b32 v5, s3 :: v_dual_mov_b32 v4, s2
	v_dual_mov_b32 v2, s28 :: v_dual_mov_b32 v3, s29
	s_xor_b32 exec_lo, exec_lo, s50
; %bb.619:
	v_mov_b32_e32 v4, 0
	v_mov_b32_e32 v5, 0
	v_cmp_ne_u16_e32 vcc_lo, 0, v7
	s_delay_alu instid0(VALU_DEP_3) | instskip(SKIP_1) | instid1(VALU_DEP_3)
	v_mov_b32_e32 v2, v4
	s_and_not1_b32 s2, s49, exec_lo
	v_mov_b32_e32 v3, v5
	s_and_b32 s3, vcc_lo, exec_lo
	s_delay_alu instid0(SALU_CYCLE_1)
	s_or_b32 s49, s2, s3
; %bb.620:
	s_or_b32 exec_lo, exec_lo, s50
	s_and_saveexec_b32 s2, s49
	s_cbranch_execz .LBB497_622
; %bb.621:
	v_and_b32_e32 v2, 0xffff, v7
	v_lshlrev_b32_e32 v7, 24, v7
	s_delay_alu instid0(VALU_DEP_2) | instskip(NEXT) | instid1(VALU_DEP_1)
	v_and_b32_e32 v3, 7, v2
	v_clz_i32_u32_e32 v4, v3
	s_delay_alu instid0(VALU_DEP_1) | instskip(NEXT) | instid1(VALU_DEP_1)
	v_min_u32_e32 v4, 32, v4
	v_subrev_nc_u32_e32 v5, 28, v4
	v_sub_nc_u32_e32 v4, 29, v4
	s_delay_alu instid0(VALU_DEP_2) | instskip(SKIP_1) | instid1(VALU_DEP_2)
	v_lshlrev_b32_e32 v5, v5, v2
	v_bfe_u32 v2, v2, 3, 4
	v_and_b32_e32 v5, 7, v5
	s_delay_alu instid0(VALU_DEP_2) | instskip(NEXT) | instid1(VALU_DEP_2)
	v_cmp_eq_u32_e32 vcc_lo, 0, v2
	v_dual_cndmask_b32 v2, v2, v4 :: v_dual_cndmask_b32 v3, v3, v5
	v_and_b32_e32 v4, 0x80000000, v7
	s_delay_alu instid0(VALU_DEP_2) | instskip(NEXT) | instid1(VALU_DEP_3)
	v_lshl_add_u32 v2, v2, 23, 0x3b800000
	v_lshlrev_b32_e32 v3, 20, v3
	s_delay_alu instid0(VALU_DEP_1) | instskip(SKIP_2) | instid1(VALU_DEP_3)
	v_or3_b32 v2, v4, v2, v3
	v_mov_b32_e32 v4, 0
	v_mov_b32_e32 v5, 0
	v_cvt_f64_f32_e32 v[2:3], v2
.LBB497_622:
	s_or_b32 exec_lo, exec_lo, s2
.LBB497_623:
	s_mov_b32 s28, -1
.LBB497_624:
	s_mov_b32 s2, 0
.LBB497_625:
	s_delay_alu instid0(SALU_CYCLE_1)
	s_and_b32 vcc_lo, exec_lo, s2
	s_cbranch_vccz .LBB497_659
; %bb.626:
	v_cmp_lt_i16_e32 vcc_lo, 22, v9
	s_cbranch_vccz .LBB497_638
; %bb.627:
	v_cmp_gt_i16_e32 vcc_lo, 24, v9
	s_cbranch_vccnz .LBB497_639
; %bb.628:
	v_cmp_lt_i16_e32 vcc_lo, 24, v9
	s_cbranch_vccz .LBB497_640
; %bb.629:
	global_load_u8 v7, v[0:1], off
	s_mov_b32 s49, 0
	s_mov_b32 s50, exec_lo
                                        ; implicit-def: $sgpr2_sgpr3
                                        ; implicit-def: $sgpr28_sgpr29
	s_waitcnt vmcnt(0)
	v_cmpx_lt_i16_e32 0x7f, v7
	s_xor_b32 s50, exec_lo, s50
	s_cbranch_execz .LBB497_633
; %bb.630:
	s_mov_b32 s49, -1
	s_mov_b32 s51, exec_lo
                                        ; implicit-def: $sgpr2_sgpr3
                                        ; implicit-def: $sgpr28_sgpr29
	v_cmpx_eq_u16_e32 0x80, v7
; %bb.631:
	s_mov_b64 s[2:3], 0
	s_mov_b32 s29, 0x7ff80000
	s_brev_b32 s28, 4
	s_xor_b32 s49, exec_lo, -1
; %bb.632:
	s_or_b32 exec_lo, exec_lo, s51
	s_delay_alu instid0(SALU_CYCLE_1)
	s_and_b32 s49, s49, exec_lo
.LBB497_633:
	s_or_saveexec_b32 s50, s50
	v_dual_mov_b32 v5, s3 :: v_dual_mov_b32 v4, s2
	v_dual_mov_b32 v2, s28 :: v_dual_mov_b32 v3, s29
	s_xor_b32 exec_lo, exec_lo, s50
; %bb.634:
	v_mov_b32_e32 v4, 0
	v_mov_b32_e32 v5, 0
	v_cmp_ne_u16_e32 vcc_lo, 0, v7
	s_delay_alu instid0(VALU_DEP_3) | instskip(SKIP_1) | instid1(VALU_DEP_3)
	v_mov_b32_e32 v2, v4
	s_and_not1_b32 s2, s49, exec_lo
	v_mov_b32_e32 v3, v5
	s_and_b32 s3, vcc_lo, exec_lo
	s_delay_alu instid0(SALU_CYCLE_1)
	s_or_b32 s49, s2, s3
; %bb.635:
	s_or_b32 exec_lo, exec_lo, s50
	s_and_saveexec_b32 s2, s49
	s_cbranch_execz .LBB497_637
; %bb.636:
	v_and_b32_e32 v2, 0xffff, v7
	v_lshlrev_b32_e32 v7, 24, v7
	s_delay_alu instid0(VALU_DEP_2) | instskip(NEXT) | instid1(VALU_DEP_1)
	v_and_b32_e32 v3, 3, v2
	v_clz_i32_u32_e32 v4, v3
	s_delay_alu instid0(VALU_DEP_1) | instskip(NEXT) | instid1(VALU_DEP_1)
	v_min_u32_e32 v4, 32, v4
	v_subrev_nc_u32_e32 v5, 29, v4
	v_sub_nc_u32_e32 v4, 30, v4
	s_delay_alu instid0(VALU_DEP_2) | instskip(SKIP_1) | instid1(VALU_DEP_2)
	v_lshlrev_b32_e32 v5, v5, v2
	v_bfe_u32 v2, v2, 2, 5
	v_and_b32_e32 v5, 3, v5
	s_delay_alu instid0(VALU_DEP_2) | instskip(NEXT) | instid1(VALU_DEP_2)
	v_cmp_eq_u32_e32 vcc_lo, 0, v2
	v_dual_cndmask_b32 v2, v2, v4 :: v_dual_cndmask_b32 v3, v3, v5
	v_and_b32_e32 v4, 0x80000000, v7
	s_delay_alu instid0(VALU_DEP_2) | instskip(NEXT) | instid1(VALU_DEP_3)
	v_lshl_add_u32 v2, v2, 23, 0x37800000
	v_lshlrev_b32_e32 v3, 21, v3
	s_delay_alu instid0(VALU_DEP_1) | instskip(SKIP_2) | instid1(VALU_DEP_3)
	v_or3_b32 v2, v4, v2, v3
	v_mov_b32_e32 v4, 0
	v_mov_b32_e32 v5, 0
	v_cvt_f64_f32_e32 v[2:3], v2
.LBB497_637:
	s_or_b32 exec_lo, exec_lo, s2
	s_mov_b32 s2, 0
	s_branch .LBB497_641
.LBB497_638:
	s_mov_b32 s2, -1
                                        ; implicit-def: $vgpr4_vgpr5
	s_branch .LBB497_647
.LBB497_639:
	s_mov_b32 s2, -1
                                        ; implicit-def: $vgpr4_vgpr5
	s_branch .LBB497_644
.LBB497_640:
	s_mov_b32 s2, -1
                                        ; implicit-def: $vgpr4_vgpr5
.LBB497_641:
	s_delay_alu instid0(SALU_CYCLE_1)
	s_and_b32 vcc_lo, exec_lo, s2
	s_cbranch_vccz .LBB497_643
; %bb.642:
	global_load_u8 v2, v[0:1], off
	s_waitcnt vmcnt(0)
	v_lshlrev_b32_e32 v2, 24, v2
	s_delay_alu instid0(VALU_DEP_1) | instskip(NEXT) | instid1(VALU_DEP_1)
	v_and_b32_e32 v3, 0x7f000000, v2
	v_clz_i32_u32_e32 v4, v3
	v_add_nc_u32_e32 v7, 0x1000000, v3
	v_cmp_ne_u32_e32 vcc_lo, 0, v3
	s_delay_alu instid0(VALU_DEP_3) | instskip(NEXT) | instid1(VALU_DEP_1)
	v_min_u32_e32 v4, 32, v4
	v_sub_nc_u32_e64 v4, v4, 4 clamp
	s_delay_alu instid0(VALU_DEP_1) | instskip(SKIP_1) | instid1(VALU_DEP_2)
	v_lshlrev_b32_e32 v5, v4, v3
	v_lshlrev_b32_e32 v4, 23, v4
	v_lshrrev_b32_e32 v5, 4, v5
	s_delay_alu instid0(VALU_DEP_1) | instskip(SKIP_1) | instid1(VALU_DEP_2)
	v_sub_nc_u32_e32 v4, v5, v4
	v_ashrrev_i32_e32 v5, 8, v7
	v_add_nc_u32_e32 v4, 0x3c000000, v4
	s_delay_alu instid0(VALU_DEP_1) | instskip(NEXT) | instid1(VALU_DEP_1)
	v_and_or_b32 v4, 0x7f800000, v5, v4
	v_dual_cndmask_b32 v3, 0, v4 :: v_dual_mov_b32 v4, 0
	v_mov_b32_e32 v5, 0
	s_delay_alu instid0(VALU_DEP_2) | instskip(NEXT) | instid1(VALU_DEP_1)
	v_and_or_b32 v2, 0x80000000, v2, v3
	v_cvt_f64_f32_e32 v[2:3], v2
.LBB497_643:
	s_mov_b32 s2, 0
.LBB497_644:
	s_delay_alu instid0(SALU_CYCLE_1)
	s_and_not1_b32 vcc_lo, exec_lo, s2
	s_cbranch_vccnz .LBB497_646
; %bb.645:
	global_load_u8 v2, v[0:1], off
	s_waitcnt vmcnt(0)
	v_lshlrev_b32_e32 v3, 25, v2
	v_lshlrev_b16 v2, 8, v2
	s_delay_alu instid0(VALU_DEP_2) | instskip(NEXT) | instid1(VALU_DEP_2)
	v_lshrrev_b32_e32 v4, 4, v3
	v_and_or_b32 v5, 0x7f00, v2, 0.5
	v_bfe_i32 v2, v2, 0, 16
	s_delay_alu instid0(VALU_DEP_3) | instskip(NEXT) | instid1(VALU_DEP_1)
	v_or_b32_e32 v4, 0x70000000, v4
	v_dual_add_f32 v5, -0.5, v5 :: v_dual_mul_f32 v4, 0x7800000, v4
	v_cmp_gt_u32_e32 vcc_lo, 0x8000000, v3
	s_delay_alu instid0(VALU_DEP_2) | instskip(SKIP_1) | instid1(VALU_DEP_2)
	v_dual_cndmask_b32 v3, v4, v5 :: v_dual_mov_b32 v4, 0
	v_mov_b32_e32 v5, 0
	v_and_or_b32 v2, 0x80000000, v2, v3
	s_delay_alu instid0(VALU_DEP_1)
	v_cvt_f64_f32_e32 v[2:3], v2
.LBB497_646:
	s_mov_b32 s2, 0
	s_mov_b32 s28, -1
.LBB497_647:
	s_and_not1_b32 vcc_lo, exec_lo, s2
	s_cbranch_vccnz .LBB497_659
; %bb.648:
	v_cmp_lt_i16_e32 vcc_lo, 14, v9
	s_cbranch_vccz .LBB497_651
; %bb.649:
	v_cmp_eq_u16_e32 vcc_lo, 15, v9
	s_cbranch_vccz .LBB497_652
; %bb.650:
	global_load_u16 v2, v[0:1], off
	s_mov_b32 s28, -1
	s_mov_b32 s48, 0
	s_mov_b64 s[2:3], 0
	s_waitcnt vmcnt(0)
	v_lshlrev_b32_e32 v2, 16, v2
	s_delay_alu instid0(VALU_DEP_1)
	v_cvt_f64_f32_e32 v[2:3], v2
	s_branch .LBB497_653
.LBB497_651:
	s_mov_b32 s29, -1
                                        ; implicit-def: $sgpr2_sgpr3
                                        ; implicit-def: $vgpr2_vgpr3
	s_branch .LBB497_654
.LBB497_652:
	s_mov_b32 s48, -1
                                        ; implicit-def: $sgpr2_sgpr3
                                        ; implicit-def: $vgpr2_vgpr3
.LBB497_653:
	s_mov_b32 s29, 0
.LBB497_654:
	s_delay_alu instid0(SALU_CYCLE_1)
	s_and_b32 vcc_lo, exec_lo, s29
	s_cbranch_vccz .LBB497_658
; %bb.655:
	v_cmp_eq_u16_e32 vcc_lo, 11, v9
	s_cbranch_vccz .LBB497_657
; %bb.656:
	global_load_u8 v2, v[0:1], off
	s_mov_b32 s48, 0
	s_mov_b32 s28, -1
	s_mov_b64 s[2:3], 0
	s_waitcnt vmcnt(0)
	v_cmp_ne_u16_e32 vcc_lo, 0, v2
	v_mov_b32_e32 v2, 0
	v_cndmask_b32_e64 v3, 0, 0x3ff00000, vcc_lo
	s_branch .LBB497_658
.LBB497_657:
	s_mov_b32 s48, -1
                                        ; implicit-def: $sgpr2_sgpr3
                                        ; implicit-def: $vgpr2_vgpr3
.LBB497_658:
	s_waitcnt vmcnt(0)
	v_dual_mov_b32 v5, s3 :: v_dual_mov_b32 v4, s2
.LBB497_659:
	s_mov_b32 s2, 0
.LBB497_660:
	s_delay_alu instid0(SALU_CYCLE_1)
	s_and_b32 vcc_lo, exec_lo, s2
	s_cbranch_vccz .LBB497_711
; %bb.661:
	v_cmp_gt_i16_e32 vcc_lo, 5, v9
	s_cbranch_vccnz .LBB497_666
; %bb.662:
	v_cmp_gt_i16_e32 vcc_lo, 8, v9
	s_cbranch_vccnz .LBB497_667
; %bb.663:
	v_cmp_gt_i16_e32 vcc_lo, 9, v9
	s_cbranch_vccnz .LBB497_668
; %bb.664:
	v_cmp_lt_i16_e32 vcc_lo, 9, v9
	s_cbranch_vccz .LBB497_669
; %bb.665:
	global_load_b128 v[2:5], v[0:1], off
	s_mov_b32 s2, 0
	s_branch .LBB497_670
.LBB497_666:
	s_mov_b32 s2, -1
                                        ; implicit-def: $vgpr4_vgpr5
	s_branch .LBB497_689
.LBB497_667:
	s_mov_b32 s2, -1
                                        ; implicit-def: $vgpr4_vgpr5
	s_branch .LBB497_676
.LBB497_668:
	s_mov_b32 s2, -1
                                        ; implicit-def: $vgpr4_vgpr5
	s_branch .LBB497_673
.LBB497_669:
	s_mov_b32 s2, -1
                                        ; implicit-def: $vgpr4_vgpr5
.LBB497_670:
	s_delay_alu instid0(SALU_CYCLE_1)
	s_and_not1_b32 vcc_lo, exec_lo, s2
	s_cbranch_vccnz .LBB497_672
; %bb.671:
	global_load_b64 v[3:4], v[0:1], off
	s_waitcnt vmcnt(0)
	v_cvt_f64_f32_e32 v[2:3], v3
	v_cvt_f64_f32_e32 v[4:5], v4
.LBB497_672:
	s_mov_b32 s2, 0
.LBB497_673:
	s_delay_alu instid0(SALU_CYCLE_1)
	s_and_not1_b32 vcc_lo, exec_lo, s2
	s_cbranch_vccnz .LBB497_675
; %bb.674:
	global_load_b32 v2, v[0:1], off
	s_waitcnt vmcnt(0)
	v_lshrrev_b32_e32 v3, 16, v2
	v_cvt_f32_f16_e32 v2, v2
	s_delay_alu instid0(VALU_DEP_2) | instskip(NEXT) | instid1(VALU_DEP_2)
	v_cvt_f32_f16_e32 v4, v3
	v_cvt_f64_f32_e32 v[2:3], v2
	s_delay_alu instid0(VALU_DEP_2)
	v_cvt_f64_f32_e32 v[4:5], v4
.LBB497_675:
	s_mov_b32 s2, 0
.LBB497_676:
	s_delay_alu instid0(SALU_CYCLE_1)
	s_and_not1_b32 vcc_lo, exec_lo, s2
	s_cbranch_vccnz .LBB497_688
; %bb.677:
	v_cmp_gt_i16_e32 vcc_lo, 6, v9
	s_cbranch_vccnz .LBB497_680
; %bb.678:
	v_cmp_lt_i16_e32 vcc_lo, 6, v9
	s_cbranch_vccz .LBB497_681
; %bb.679:
	global_load_b64 v[2:3], v[0:1], off
	s_mov_b32 s28, 0
	s_mov_b64 s[2:3], 0
	s_branch .LBB497_682
.LBB497_680:
	s_mov_b32 s28, -1
                                        ; implicit-def: $sgpr2_sgpr3
                                        ; implicit-def: $vgpr2_vgpr3
	s_branch .LBB497_685
.LBB497_681:
	s_mov_b32 s28, -1
                                        ; implicit-def: $sgpr2_sgpr3
                                        ; implicit-def: $vgpr2_vgpr3
.LBB497_682:
	s_delay_alu instid0(SALU_CYCLE_1)
	s_and_not1_b32 vcc_lo, exec_lo, s28
	s_cbranch_vccnz .LBB497_684
; %bb.683:
	global_load_b32 v2, v[0:1], off
	s_mov_b64 s[2:3], 0
	s_waitcnt vmcnt(0)
	v_cvt_f64_f32_e32 v[2:3], v2
.LBB497_684:
	s_mov_b32 s28, 0
.LBB497_685:
	s_delay_alu instid0(SALU_CYCLE_1)
	s_and_not1_b32 vcc_lo, exec_lo, s28
	s_cbranch_vccnz .LBB497_687
; %bb.686:
	global_load_u16 v2, v[0:1], off
	s_mov_b64 s[2:3], 0
	s_waitcnt vmcnt(0)
	v_cvt_f32_f16_e32 v2, v2
	s_delay_alu instid0(VALU_DEP_1)
	v_cvt_f64_f32_e32 v[2:3], v2
.LBB497_687:
	s_waitcnt vmcnt(0)
	v_dual_mov_b32 v5, s3 :: v_dual_mov_b32 v4, s2
.LBB497_688:
	s_mov_b32 s2, 0
.LBB497_689:
	s_delay_alu instid0(SALU_CYCLE_1)
	s_and_not1_b32 vcc_lo, exec_lo, s2
	s_cbranch_vccnz .LBB497_710
; %bb.690:
	v_cmp_gt_i16_e32 vcc_lo, 2, v9
	s_cbranch_vccnz .LBB497_694
; %bb.691:
	v_cmp_gt_i16_e32 vcc_lo, 3, v9
	s_cbranch_vccnz .LBB497_695
; %bb.692:
	v_cmp_lt_i16_e32 vcc_lo, 3, v9
	s_cbranch_vccz .LBB497_696
; %bb.693:
	global_load_b64 v[2:3], v[0:1], off
	s_mov_b32 s28, 0
	s_mov_b64 s[2:3], 0
	s_waitcnt vmcnt(0)
	v_cvt_f64_i32_e32 v[3:4], v3
	v_cvt_f64_u32_e32 v[7:8], v2
	s_delay_alu instid0(VALU_DEP_2) | instskip(NEXT) | instid1(VALU_DEP_1)
	v_ldexp_f64 v[3:4], v[3:4], 32
	v_add_f64 v[2:3], v[3:4], v[7:8]
	s_branch .LBB497_697
.LBB497_694:
	s_mov_b32 s28, -1
                                        ; implicit-def: $sgpr2_sgpr3
                                        ; implicit-def: $vgpr2_vgpr3
	s_branch .LBB497_703
.LBB497_695:
	s_mov_b32 s28, -1
                                        ; implicit-def: $sgpr2_sgpr3
                                        ; implicit-def: $vgpr2_vgpr3
	s_branch .LBB497_700
.LBB497_696:
	s_mov_b32 s28, -1
                                        ; implicit-def: $sgpr2_sgpr3
                                        ; implicit-def: $vgpr2_vgpr3
.LBB497_697:
	s_delay_alu instid0(SALU_CYCLE_1)
	s_and_not1_b32 vcc_lo, exec_lo, s28
	s_cbranch_vccnz .LBB497_699
; %bb.698:
	global_load_b32 v2, v[0:1], off
	s_mov_b64 s[2:3], 0
	s_waitcnt vmcnt(0)
	v_cvt_f64_i32_e32 v[2:3], v2
.LBB497_699:
	s_mov_b32 s28, 0
.LBB497_700:
	s_delay_alu instid0(SALU_CYCLE_1)
	s_and_not1_b32 vcc_lo, exec_lo, s28
	s_cbranch_vccnz .LBB497_702
; %bb.701:
	global_load_i16 v2, v[0:1], off
	s_mov_b64 s[2:3], 0
	s_waitcnt vmcnt(0)
	v_cvt_f64_i32_e32 v[2:3], v2
.LBB497_702:
	s_mov_b32 s28, 0
.LBB497_703:
	s_delay_alu instid0(SALU_CYCLE_1)
	s_and_not1_b32 vcc_lo, exec_lo, s28
	s_cbranch_vccnz .LBB497_709
; %bb.704:
	v_cmp_lt_i16_e32 vcc_lo, 0, v9
	s_mov_b32 s28, 0
	s_cbranch_vccz .LBB497_706
; %bb.705:
	global_load_i8 v2, v[0:1], off
	s_mov_b64 s[2:3], 0
	s_waitcnt vmcnt(0)
	v_cvt_f64_i32_e32 v[2:3], v2
	s_branch .LBB497_707
.LBB497_706:
	s_mov_b32 s28, -1
                                        ; implicit-def: $sgpr2_sgpr3
                                        ; implicit-def: $vgpr2_vgpr3
.LBB497_707:
	s_delay_alu instid0(SALU_CYCLE_1)
	s_and_not1_b32 vcc_lo, exec_lo, s28
	s_cbranch_vccnz .LBB497_709
; %bb.708:
	global_load_u8 v0, v[0:1], off
	s_mov_b64 s[2:3], 0
	s_waitcnt vmcnt(0)
	v_cvt_f64_u32_e32 v[2:3], v0
.LBB497_709:
	s_waitcnt vmcnt(0)
	v_dual_mov_b32 v5, s3 :: v_dual_mov_b32 v4, s2
.LBB497_710:
	s_mov_b32 s28, -1
.LBB497_711:
	s_delay_alu instid0(SALU_CYCLE_1)
	s_and_not1_b32 vcc_lo, exec_lo, s28
	s_cbranch_vccnz .LBB497_727
; %bb.712:
	v_dual_mov_b32 v0, s8 :: v_dual_mov_b32 v1, s9
	s_mov_b32 s2, exec_lo
	s_waitcnt vmcnt(0)
	s_delay_alu instid0(VALU_DEP_2)
	v_cmpx_o_f64_e32 v[2:3], v[2:3]
	s_cbranch_execz .LBB497_716
; %bb.713:
	v_dual_mov_b32 v0, s10 :: v_dual_mov_b32 v1, s11
	s_mov_b32 s3, exec_lo
	v_cmpx_neq_f64_e32 0x7ff00000, v[2:3]
; %bb.714:
	v_cmp_eq_f64_e32 vcc_lo, 0xfff00000, v[2:3]
	v_cndmask_b32_e64 v1, v3, s23, vcc_lo
	v_cndmask_b32_e64 v0, v2, s22, vcc_lo
; %bb.715:
	s_or_b32 exec_lo, exec_lo, s3
.LBB497_716:
	s_delay_alu instid0(SALU_CYCLE_1) | instskip(SKIP_2) | instid1(VALU_DEP_4)
	s_or_b32 exec_lo, exec_lo, s2
	v_dual_mov_b32 v2, s8 :: v_dual_mov_b32 v3, s9
	s_mov_b32 s2, exec_lo
	v_cmpx_o_f64_e32 v[4:5], v[4:5]
	s_cbranch_execz .LBB497_720
; %bb.717:
	v_dual_mov_b32 v2, s10 :: v_dual_mov_b32 v3, s11
	s_mov_b32 s3, exec_lo
	v_cmpx_neq_f64_e32 0x7ff00000, v[4:5]
; %bb.718:
	v_cmp_eq_f64_e32 vcc_lo, 0xfff00000, v[4:5]
	v_cndmask_b32_e64 v3, v5, s23, vcc_lo
	v_cndmask_b32_e64 v2, v4, s22, vcc_lo
; %bb.719:
	s_or_b32 exec_lo, exec_lo, s3
.LBB497_720:
	s_delay_alu instid0(SALU_CYCLE_1) | instskip(SKIP_2) | instid1(VALU_DEP_1)
	s_or_b32 exec_lo, exec_lo, s2
	v_and_b32_e64 v7, 0xff, s36
	v_add_co_u32 v4, s2, s4, v6
	v_add_co_ci_u32_e64 v5, null, s5, 0, s2
	s_delay_alu instid0(VALU_DEP_3)
	v_cmp_gt_i16_e32 vcc_lo, 11, v7
	s_mov_b32 s3, 0
	s_mov_b32 s28, -1
	s_mov_b32 s2, s45
	s_cbranch_vccnz .LBB497_728
; %bb.721:
	v_cmp_lt_i16_e32 vcc_lo, 25, v7
	s_cbranch_vccz .LBB497_769
; %bb.722:
	v_cmp_lt_i16_e32 vcc_lo, 28, v7
	s_cbranch_vccz .LBB497_770
	;; [unrolled: 3-line block ×4, first 2 shown]
; %bb.725:
	v_cmp_eq_u16_e32 vcc_lo, 46, v7
	s_mov_b32 s28, 0
	s_mov_b32 s2, -1
	s_cbranch_vccz .LBB497_773
; %bb.726:
	v_cvt_f32_f64_e32 v6, v[2:3]
	v_cvt_f32_f64_e32 v8, v[0:1]
	s_mov_b32 s3, -1
	s_mov_b32 s2, 0
	s_delay_alu instid0(VALU_DEP_2) | instskip(NEXT) | instid1(VALU_DEP_2)
	v_bfe_u32 v11, v6, 16, 1
	v_bfe_u32 v12, v8, 16, 1
	v_cmp_o_f32_e32 vcc_lo, v6, v6
	s_delay_alu instid0(VALU_DEP_3) | instskip(NEXT) | instid1(VALU_DEP_3)
	v_add3_u32 v11, v6, v11, 0x7fff
	v_add3_u32 v12, v8, v12, 0x7fff
	s_delay_alu instid0(VALU_DEP_2) | instskip(NEXT) | instid1(VALU_DEP_2)
	v_and_b32_e32 v11, 0xffff0000, v11
	v_lshrrev_b32_e32 v12, 16, v12
	s_delay_alu instid0(VALU_DEP_2) | instskip(SKIP_1) | instid1(VALU_DEP_3)
	v_cndmask_b32_e32 v6, 0x7fc00000, v11, vcc_lo
	v_cmp_o_f32_e32 vcc_lo, v8, v8
	v_cndmask_b32_e32 v8, 0x7fc0, v12, vcc_lo
	s_delay_alu instid0(VALU_DEP_1)
	v_or_b32_e32 v6, v6, v8
	global_store_b32 v[4:5], v6, off
	s_branch .LBB497_773
.LBB497_727:
	s_mov_b32 s3, 0
	s_mov_b32 s2, s45
	s_branch .LBB497_768
.LBB497_728:
	s_and_b32 vcc_lo, exec_lo, s28
	s_cbranch_vccz .LBB497_842
; %bb.729:
	v_cmp_gt_i16_e32 vcc_lo, 5, v7
	s_mov_b32 s3, -1
	s_cbranch_vccnz .LBB497_750
; %bb.730:
	v_cmp_gt_i16_e32 vcc_lo, 8, v7
	s_cbranch_vccnz .LBB497_740
; %bb.731:
	v_cmp_gt_i16_e32 vcc_lo, 9, v7
	s_cbranch_vccnz .LBB497_737
; %bb.732:
	v_cmp_lt_i16_e32 vcc_lo, 9, v7
	s_cbranch_vccz .LBB497_734
; %bb.733:
	s_mov_b32 s3, 0
	global_store_b128 v[4:5], v[0:3], off
.LBB497_734:
	s_and_not1_b32 vcc_lo, exec_lo, s3
	s_cbranch_vccnz .LBB497_736
; %bb.735:
	v_cvt_f32_f64_e32 v11, v[0:1]
	v_cvt_f32_f64_e32 v12, v[2:3]
	global_store_b64 v[4:5], v[11:12], off
.LBB497_736:
	s_mov_b32 s3, 0
.LBB497_737:
	s_delay_alu instid0(SALU_CYCLE_1)
	s_and_not1_b32 vcc_lo, exec_lo, s3
	s_cbranch_vccnz .LBB497_739
; %bb.738:
	v_cvt_f32_f64_e32 v2, v[2:3]
	v_cvt_f32_f64_e32 v3, v[0:1]
	s_delay_alu instid0(VALU_DEP_2) | instskip(NEXT) | instid1(VALU_DEP_2)
	v_cvt_f16_f32_e32 v2, v2
	v_cvt_f16_f32_e32 v3, v3
	s_delay_alu instid0(VALU_DEP_2) | instskip(NEXT) | instid1(VALU_DEP_2)
	v_lshlrev_b32_e32 v2, 16, v2
	v_and_b32_e32 v3, 0xffff, v3
	s_delay_alu instid0(VALU_DEP_1)
	v_or_b32_e32 v2, v2, v3
	global_store_b32 v[4:5], v2, off
.LBB497_739:
	s_mov_b32 s3, 0
.LBB497_740:
	s_delay_alu instid0(SALU_CYCLE_1)
	s_and_not1_b32 vcc_lo, exec_lo, s3
	s_cbranch_vccnz .LBB497_749
; %bb.741:
	v_cmp_gt_i16_e32 vcc_lo, 6, v7
	s_mov_b32 s3, -1
	s_cbranch_vccnz .LBB497_747
; %bb.742:
	v_cmp_lt_i16_e32 vcc_lo, 6, v7
	s_cbranch_vccz .LBB497_744
; %bb.743:
	s_mov_b32 s3, 0
	global_store_b64 v[4:5], v[0:1], off
.LBB497_744:
	s_and_not1_b32 vcc_lo, exec_lo, s3
	s_cbranch_vccnz .LBB497_746
; %bb.745:
	v_cvt_f32_f64_e32 v2, v[0:1]
	global_store_b32 v[4:5], v2, off
.LBB497_746:
	s_mov_b32 s3, 0
.LBB497_747:
	s_delay_alu instid0(SALU_CYCLE_1)
	s_and_not1_b32 vcc_lo, exec_lo, s3
	s_cbranch_vccnz .LBB497_749
; %bb.748:
	v_cvt_f32_f64_e32 v2, v[0:1]
	s_delay_alu instid0(VALU_DEP_1)
	v_cvt_f16_f32_e32 v2, v2
	global_store_b16 v[4:5], v2, off
.LBB497_749:
	s_mov_b32 s3, 0
.LBB497_750:
	s_delay_alu instid0(SALU_CYCLE_1)
	s_and_not1_b32 vcc_lo, exec_lo, s3
	s_cbranch_vccnz .LBB497_766
; %bb.751:
	v_cmp_gt_i16_e32 vcc_lo, 2, v7
	s_mov_b32 s3, -1
	s_cbranch_vccnz .LBB497_761
; %bb.752:
	v_cmp_gt_i16_e32 vcc_lo, 3, v7
	s_cbranch_vccnz .LBB497_758
; %bb.753:
	v_cmp_lt_i16_e32 vcc_lo, 3, v7
	s_cbranch_vccz .LBB497_755
; %bb.754:
	v_trunc_f64_e32 v[2:3], v[0:1]
	s_mov_b32 s3, 0
	s_delay_alu instid0(VALU_DEP_1) | instskip(NEXT) | instid1(VALU_DEP_1)
	v_ldexp_f64 v[11:12], v[2:3], 0xffffffe0
	v_floor_f64_e32 v[11:12], v[11:12]
	s_delay_alu instid0(VALU_DEP_1) | instskip(SKIP_1) | instid1(VALU_DEP_2)
	v_fma_f64 v[2:3], 0xc1f00000, v[11:12], v[2:3]
	v_cvt_i32_f64_e32 v12, v[11:12]
	v_cvt_u32_f64_e32 v11, v[2:3]
	global_store_b64 v[4:5], v[11:12], off
.LBB497_755:
	s_and_not1_b32 vcc_lo, exec_lo, s3
	s_cbranch_vccnz .LBB497_757
; %bb.756:
	v_cvt_i32_f64_e32 v2, v[0:1]
	global_store_b32 v[4:5], v2, off
.LBB497_757:
	s_mov_b32 s3, 0
.LBB497_758:
	s_delay_alu instid0(SALU_CYCLE_1)
	s_and_not1_b32 vcc_lo, exec_lo, s3
	s_cbranch_vccnz .LBB497_760
; %bb.759:
	v_cvt_i32_f64_e32 v2, v[0:1]
	global_store_b16 v[4:5], v2, off
.LBB497_760:
	s_mov_b32 s3, 0
.LBB497_761:
	s_delay_alu instid0(SALU_CYCLE_1)
	s_and_not1_b32 vcc_lo, exec_lo, s3
	s_cbranch_vccnz .LBB497_766
; %bb.762:
	v_cmp_lt_i16_e32 vcc_lo, 0, v7
	s_mov_b32 s3, -1
	s_cbranch_vccz .LBB497_764
; %bb.763:
	v_cvt_i32_f64_e32 v2, v[0:1]
	s_mov_b32 s3, 0
	global_store_b8 v[4:5], v2, off
.LBB497_764:
	s_and_not1_b32 vcc_lo, exec_lo, s3
	s_cbranch_vccnz .LBB497_766
; %bb.765:
	v_trunc_f64_e32 v[0:1], v[0:1]
	s_delay_alu instid0(VALU_DEP_1) | instskip(NEXT) | instid1(VALU_DEP_1)
	v_ldexp_f64 v[2:3], v[0:1], 0xffffffe0
	v_floor_f64_e32 v[2:3], v[2:3]
	s_delay_alu instid0(VALU_DEP_1) | instskip(NEXT) | instid1(VALU_DEP_1)
	v_fma_f64 v[0:1], 0xc1f00000, v[2:3], v[0:1]
	v_cvt_u32_f64_e32 v0, v[0:1]
	global_store_b8 v[4:5], v0, off
.LBB497_766:
	s_branch .LBB497_843
.LBB497_767:
	s_mov_b32 s3, 0
.LBB497_768:
                                        ; implicit-def: $vgpr10
	s_branch .LBB497_844
.LBB497_769:
	s_mov_b32 s2, s45
	s_branch .LBB497_800
.LBB497_770:
	s_mov_b32 s2, s45
	s_branch .LBB497_783
.LBB497_771:
	s_mov_b32 s2, s45
	s_branch .LBB497_779
.LBB497_772:
	s_mov_b32 s2, s45
.LBB497_773:
	s_and_b32 vcc_lo, exec_lo, s28
	s_cbranch_vccz .LBB497_778
; %bb.774:
	v_cmp_eq_u16_e32 vcc_lo, 44, v7
	s_mov_b32 s2, -1
	s_cbranch_vccz .LBB497_778
; %bb.775:
	v_cvt_f32_f64_e32 v6, v[0:1]
	v_mov_b32_e32 v8, 0xff
	s_mov_b32 s3, exec_lo
	s_delay_alu instid0(VALU_DEP_2) | instskip(NEXT) | instid1(VALU_DEP_1)
	v_bfe_u32 v11, v6, 23, 8
	v_cmpx_ne_u32_e32 0xff, v11
; %bb.776:
	v_and_b32_e32 v8, 0x400000, v6
	v_and_or_b32 v11, 0x3fffff, v6, v11
	v_lshrrev_b32_e32 v6, 23, v6
	s_delay_alu instid0(VALU_DEP_3) | instskip(NEXT) | instid1(VALU_DEP_3)
	v_cmp_ne_u32_e32 vcc_lo, 0, v8
	v_cmp_ne_u32_e64 s2, 0, v11
	s_delay_alu instid0(VALU_DEP_1) | instskip(NEXT) | instid1(SALU_CYCLE_1)
	s_and_b32 s2, vcc_lo, s2
	v_cndmask_b32_e64 v8, 0, 1, s2
	s_delay_alu instid0(VALU_DEP_1)
	v_add_nc_u32_e32 v8, v6, v8
; %bb.777:
	s_or_b32 exec_lo, exec_lo, s3
	s_mov_b32 s3, -1
	s_mov_b32 s2, 0
	global_store_b8 v[4:5], v8, off
.LBB497_778:
	s_mov_b32 s28, 0
.LBB497_779:
	s_delay_alu instid0(SALU_CYCLE_1)
	s_and_b32 vcc_lo, exec_lo, s28
	s_cbranch_vccz .LBB497_782
; %bb.780:
	v_cmp_eq_u16_e32 vcc_lo, 29, v7
	s_mov_b32 s2, -1
	s_cbranch_vccz .LBB497_782
; %bb.781:
	v_trunc_f64_e32 v[11:12], v[0:1]
	s_mov_b32 s3, -1
	s_mov_b32 s2, 0
	s_mov_b32 s28, 0
	s_delay_alu instid0(VALU_DEP_1) | instskip(NEXT) | instid1(VALU_DEP_1)
	v_ldexp_f64 v[13:14], v[11:12], 0xffffffe0
	v_floor_f64_e32 v[13:14], v[13:14]
	s_delay_alu instid0(VALU_DEP_1) | instskip(SKIP_1) | instid1(VALU_DEP_2)
	v_fma_f64 v[11:12], 0xc1f00000, v[13:14], v[11:12]
	v_cvt_u32_f64_e32 v13, v[13:14]
	v_cvt_u32_f64_e32 v12, v[11:12]
	global_store_b64 v[4:5], v[12:13], off
	s_branch .LBB497_783
.LBB497_782:
	s_mov_b32 s28, 0
.LBB497_783:
	s_delay_alu instid0(SALU_CYCLE_1)
	s_and_b32 vcc_lo, exec_lo, s28
	s_cbranch_vccz .LBB497_799
; %bb.784:
	v_cmp_gt_i16_e32 vcc_lo, 27, v7
	s_mov_b32 s3, -1
	s_cbranch_vccnz .LBB497_790
; %bb.785:
	v_cmp_lt_i16_e32 vcc_lo, 27, v7
	s_cbranch_vccz .LBB497_787
; %bb.786:
	v_cvt_u32_f64_e32 v6, v[0:1]
	s_mov_b32 s3, 0
	global_store_b32 v[4:5], v6, off
.LBB497_787:
	s_and_not1_b32 vcc_lo, exec_lo, s3
	s_cbranch_vccnz .LBB497_789
; %bb.788:
	v_cvt_u32_f64_e32 v6, v[0:1]
	global_store_b16 v[4:5], v6, off
.LBB497_789:
	s_mov_b32 s3, 0
.LBB497_790:
	s_delay_alu instid0(SALU_CYCLE_1)
	s_and_not1_b32 vcc_lo, exec_lo, s3
	s_cbranch_vccnz .LBB497_798
; %bb.791:
	v_cvt_f32_f64_e32 v6, v[0:1]
	v_mov_b32_e32 v11, 0x80
	s_mov_b32 s3, exec_lo
	s_delay_alu instid0(VALU_DEP_2) | instskip(NEXT) | instid1(VALU_DEP_1)
	v_and_b32_e32 v8, 0x7fffffff, v6
	v_cmpx_gt_u32_e32 0x43800000, v8
	s_cbranch_execz .LBB497_797
; %bb.792:
	v_cmp_lt_u32_e32 vcc_lo, 0x3bffffff, v8
	s_mov_b32 s28, 0
                                        ; implicit-def: $vgpr8
	s_and_saveexec_b32 s29, vcc_lo
	s_delay_alu instid0(SALU_CYCLE_1)
	s_xor_b32 s29, exec_lo, s29
	s_cbranch_execz .LBB497_871
; %bb.793:
	v_bfe_u32 v8, v6, 20, 1
	s_mov_b32 s28, exec_lo
	s_delay_alu instid0(VALU_DEP_1) | instskip(NEXT) | instid1(VALU_DEP_1)
	v_add3_u32 v8, v6, v8, 0x487ffff
	v_lshrrev_b32_e32 v8, 20, v8
	s_or_saveexec_b32 s29, s29
                                        ; implicit-def: $sgpr49
	s_delay_alu instid0(SALU_CYCLE_1)
	s_xor_b32 exec_lo, exec_lo, s29
	s_cbranch_execnz .LBB497_872
.LBB497_794:
	s_or_b32 exec_lo, exec_lo, s29
	v_mov_b32_e32 v11, s49
	s_and_saveexec_b32 s29, s28
.LBB497_795:
	v_lshrrev_b32_e32 v6, 24, v6
	s_delay_alu instid0(VALU_DEP_1)
	v_and_or_b32 v11, 0x80, v6, v8
.LBB497_796:
	s_or_b32 exec_lo, exec_lo, s29
.LBB497_797:
	s_delay_alu instid0(SALU_CYCLE_1)
	s_or_b32 exec_lo, exec_lo, s3
	global_store_b8 v[4:5], v11, off
.LBB497_798:
	s_mov_b32 s3, -1
.LBB497_799:
	s_mov_b32 s28, 0
.LBB497_800:
	s_delay_alu instid0(SALU_CYCLE_1)
	s_and_b32 vcc_lo, exec_lo, s28
	s_cbranch_vccz .LBB497_841
; %bb.801:
	v_cmp_lt_i16_e32 vcc_lo, 22, v7
	s_mov_b32 s28, -1
	s_cbranch_vccz .LBB497_833
; %bb.802:
	v_cmp_gt_i16_e32 vcc_lo, 24, v7
	s_mov_b32 s3, -1
	s_cbranch_vccnz .LBB497_822
; %bb.803:
	v_cmp_lt_i16_e32 vcc_lo, 24, v7
	s_cbranch_vccz .LBB497_811
; %bb.804:
	v_cvt_f32_f64_e32 v6, v[0:1]
	v_mov_b32_e32 v11, 0x80
	s_mov_b32 s3, exec_lo
	s_delay_alu instid0(VALU_DEP_2) | instskip(NEXT) | instid1(VALU_DEP_1)
	v_and_b32_e32 v8, 0x7fffffff, v6
	v_cmpx_gt_u32_e32 0x47800000, v8
	s_cbranch_execz .LBB497_810
; %bb.805:
	v_cmp_lt_u32_e32 vcc_lo, 0x37ffffff, v8
	s_mov_b32 s28, 0
                                        ; implicit-def: $vgpr8
	s_and_saveexec_b32 s29, vcc_lo
	s_delay_alu instid0(SALU_CYCLE_1)
	s_xor_b32 s29, exec_lo, s29
	s_cbranch_execz .LBB497_874
; %bb.806:
	v_bfe_u32 v8, v6, 21, 1
	s_mov_b32 s28, exec_lo
	s_delay_alu instid0(VALU_DEP_1) | instskip(NEXT) | instid1(VALU_DEP_1)
	v_add3_u32 v8, v6, v8, 0x88fffff
	v_lshrrev_b32_e32 v8, 21, v8
	s_or_saveexec_b32 s29, s29
                                        ; implicit-def: $sgpr49
	s_delay_alu instid0(SALU_CYCLE_1)
	s_xor_b32 exec_lo, exec_lo, s29
	s_cbranch_execnz .LBB497_875
.LBB497_807:
	s_or_b32 exec_lo, exec_lo, s29
	v_mov_b32_e32 v11, s49
	s_and_saveexec_b32 s29, s28
.LBB497_808:
	v_lshrrev_b32_e32 v6, 24, v6
	s_delay_alu instid0(VALU_DEP_1)
	v_and_or_b32 v11, 0x80, v6, v8
.LBB497_809:
	s_or_b32 exec_lo, exec_lo, s29
.LBB497_810:
	s_delay_alu instid0(SALU_CYCLE_1)
	s_or_b32 exec_lo, exec_lo, s3
	s_mov_b32 s3, 0
	global_store_b8 v[4:5], v11, off
.LBB497_811:
	s_and_b32 vcc_lo, exec_lo, s3
	s_cbranch_vccz .LBB497_821
; %bb.812:
	v_cvt_f32_f64_e32 v6, v[0:1]
	s_mov_b32 s3, exec_lo
                                        ; implicit-def: $vgpr8
	s_delay_alu instid0(VALU_DEP_1) | instskip(NEXT) | instid1(VALU_DEP_1)
	v_and_b32_e32 v11, 0x7fffffff, v6
	v_cmpx_gt_u32_e32 0x43f00000, v11
	s_xor_b32 s3, exec_lo, s3
	s_cbranch_execz .LBB497_818
; %bb.813:
	s_mov_b32 s28, exec_lo
                                        ; implicit-def: $vgpr8
	v_cmpx_lt_u32_e32 0x3c7fffff, v11
	s_xor_b32 s28, exec_lo, s28
; %bb.814:
	v_bfe_u32 v8, v6, 20, 1
	s_delay_alu instid0(VALU_DEP_1) | instskip(NEXT) | instid1(VALU_DEP_1)
	v_add3_u32 v8, v6, v8, 0x407ffff
	v_and_b32_e32 v11, 0xff00000, v8
	v_lshrrev_b32_e32 v8, 20, v8
	s_delay_alu instid0(VALU_DEP_2) | instskip(NEXT) | instid1(VALU_DEP_2)
	v_cmp_ne_u32_e32 vcc_lo, 0x7f00000, v11
	v_cndmask_b32_e32 v8, 0x7e, v8, vcc_lo
; %bb.815:
	s_and_not1_saveexec_b32 s28, s28
; %bb.816:
	v_add_f32_e64 v8, 0x46800000, |v6|
; %bb.817:
	s_or_b32 exec_lo, exec_lo, s28
                                        ; implicit-def: $vgpr11
.LBB497_818:
	s_and_not1_saveexec_b32 s3, s3
; %bb.819:
	v_mov_b32_e32 v8, 0x7f
	v_cmp_lt_u32_e32 vcc_lo, 0x7f800000, v11
	s_delay_alu instid0(VALU_DEP_2)
	v_cndmask_b32_e32 v8, 0x7e, v8, vcc_lo
; %bb.820:
	s_or_b32 exec_lo, exec_lo, s3
	v_lshrrev_b32_e32 v6, 24, v6
	s_delay_alu instid0(VALU_DEP_1)
	v_and_or_b32 v6, 0x80, v6, v8
	global_store_b8 v[4:5], v6, off
.LBB497_821:
	s_mov_b32 s3, 0
.LBB497_822:
	s_delay_alu instid0(SALU_CYCLE_1)
	s_and_not1_b32 vcc_lo, exec_lo, s3
	s_cbranch_vccnz .LBB497_832
; %bb.823:
	v_cvt_f32_f64_e32 v6, v[0:1]
	s_mov_b32 s3, exec_lo
                                        ; implicit-def: $vgpr8
	s_delay_alu instid0(VALU_DEP_1) | instskip(NEXT) | instid1(VALU_DEP_1)
	v_and_b32_e32 v11, 0x7fffffff, v6
	v_cmpx_gt_u32_e32 0x47800000, v11
	s_xor_b32 s3, exec_lo, s3
	s_cbranch_execz .LBB497_829
; %bb.824:
	s_mov_b32 s28, exec_lo
                                        ; implicit-def: $vgpr8
	v_cmpx_lt_u32_e32 0x387fffff, v11
	s_xor_b32 s28, exec_lo, s28
; %bb.825:
	v_bfe_u32 v8, v6, 21, 1
	s_delay_alu instid0(VALU_DEP_1) | instskip(NEXT) | instid1(VALU_DEP_1)
	v_add3_u32 v8, v6, v8, 0x80fffff
	v_lshrrev_b32_e32 v8, 21, v8
; %bb.826:
	s_and_not1_saveexec_b32 s28, s28
; %bb.827:
	v_add_f32_e64 v8, 0x43000000, |v6|
; %bb.828:
	s_or_b32 exec_lo, exec_lo, s28
                                        ; implicit-def: $vgpr11
.LBB497_829:
	s_and_not1_saveexec_b32 s3, s3
; %bb.830:
	v_mov_b32_e32 v8, 0x7f
	v_cmp_lt_u32_e32 vcc_lo, 0x7f800000, v11
	s_delay_alu instid0(VALU_DEP_2)
	v_cndmask_b32_e32 v8, 0x7c, v8, vcc_lo
; %bb.831:
	s_or_b32 exec_lo, exec_lo, s3
	v_lshrrev_b32_e32 v6, 24, v6
	s_delay_alu instid0(VALU_DEP_1)
	v_and_or_b32 v6, 0x80, v6, v8
	global_store_b8 v[4:5], v6, off
.LBB497_832:
	s_mov_b32 s28, 0
	s_mov_b32 s3, -1
.LBB497_833:
	s_and_not1_b32 vcc_lo, exec_lo, s28
	s_cbranch_vccnz .LBB497_841
; %bb.834:
	v_cmp_lt_i16_e32 vcc_lo, 14, v7
	s_mov_b32 s28, -1
	s_cbranch_vccz .LBB497_838
; %bb.835:
	v_cmp_eq_u16_e32 vcc_lo, 15, v7
	s_mov_b32 s2, -1
	s_cbranch_vccz .LBB497_837
; %bb.836:
	v_cvt_f32_f64_e32 v6, v[0:1]
	s_mov_b32 s3, -1
	s_mov_b32 s2, 0
	s_delay_alu instid0(VALU_DEP_1) | instskip(SKIP_1) | instid1(VALU_DEP_2)
	v_bfe_u32 v8, v6, 16, 1
	v_cmp_o_f32_e32 vcc_lo, v6, v6
	v_add3_u32 v8, v6, v8, 0x7fff
	s_delay_alu instid0(VALU_DEP_1) | instskip(NEXT) | instid1(VALU_DEP_1)
	v_lshrrev_b32_e32 v8, 16, v8
	v_cndmask_b32_e32 v6, 0x7fc0, v8, vcc_lo
	global_store_b16 v[4:5], v6, off
.LBB497_837:
	s_mov_b32 s28, 0
.LBB497_838:
	s_delay_alu instid0(SALU_CYCLE_1)
	s_and_b32 vcc_lo, exec_lo, s28
	s_cbranch_vccz .LBB497_841
; %bb.839:
	v_cmp_eq_u16_e32 vcc_lo, 11, v7
	s_mov_b32 s2, -1
	s_cbranch_vccz .LBB497_841
; %bb.840:
	v_cmp_neq_f64_e32 vcc_lo, 0, v[0:1]
	v_cmp_neq_f64_e64 s2, 0, v[2:3]
	s_mov_b32 s3, -1
	s_delay_alu instid0(VALU_DEP_1) | instskip(NEXT) | instid1(SALU_CYCLE_1)
	s_or_b32 s2, vcc_lo, s2
	v_cndmask_b32_e64 v6, 0, 1, s2
	s_mov_b32 s2, 0
	global_store_b8 v[4:5], v6, off
.LBB497_841:
.LBB497_842:
	s_and_not1_b32 vcc_lo, exec_lo, s3
	s_cbranch_vccnz .LBB497_767
.LBB497_843:
	v_add_nc_u32_e32 v10, 0x80, v10
	s_mov_b32 s3, -1
.LBB497_844:
	s_and_not1_b32 s28, s45, exec_lo
	s_and_b32 s2, s2, exec_lo
	s_and_not1_b32 s49, s44, exec_lo
	s_and_b32 s48, s48, exec_lo
	s_or_b32 s29, s28, s2
	s_or_b32 s28, s49, s48
	s_or_not1_b32 s49, s3, exec_lo
.LBB497_845:
	s_or_b32 exec_lo, exec_lo, s47
	s_mov_b32 s3, 0
	s_mov_b32 s2, 0
	s_mov_b32 s48, 0
                                        ; implicit-def: $vgpr0_vgpr1
                                        ; implicit-def: $vgpr8
                                        ; implicit-def: $vgpr6_vgpr7
	s_and_saveexec_b32 s47, s49
	s_cbranch_execz .LBB497_946
; %bb.846:
	v_cmp_gt_i32_e32 vcc_lo, s38, v10
	s_mov_b32 s49, s28
                                        ; implicit-def: $vgpr0_vgpr1
                                        ; implicit-def: $vgpr8
                                        ; implicit-def: $vgpr6_vgpr7
	s_and_saveexec_b32 s38, vcc_lo
	s_cbranch_execz .LBB497_945
; %bb.847:
	s_and_not1_b32 vcc_lo, exec_lo, s34
	s_cbranch_vccnz .LBB497_852
; %bb.848:
	v_mov_b32_e32 v8, 0
	v_mov_b32_e32 v0, 0
	s_and_not1_b32 vcc_lo, exec_lo, s40
	s_mov_b32 s40, 0
	s_cbranch_vccnz .LBB497_857
; %bb.849:
	v_mov_b32_e32 v8, 0
	s_add_i32 s48, s39, 1
	s_cmp_eq_u32 s31, 2
	s_mov_b32 s39, 0
	s_cbranch_scc1 .LBB497_853
; %bb.850:
	v_dual_mov_b32 v0, 0 :: v_dual_mov_b32 v1, v10
	v_mov_b32_e32 v8, 0
	s_and_b32 s39, s48, 28
	s_mov_b32 s49, 0
	s_mov_b64 s[2:3], s[20:21]
.LBB497_851:                            ; =>This Inner Loop Header: Depth=1
	s_clause 0x1
	s_load_b256 s[52:59], s[2:3], 0x4
	s_load_b128 s[68:71], s[2:3], 0x24
	s_load_b256 s[60:67], s[26:27], 0x0
	s_add_u32 s2, s2, 48
	s_addc_u32 s3, s3, 0
	s_add_i32 s49, s49, 4
	s_add_u32 s26, s26, 32
	s_addc_u32 s27, s27, 0
	s_cmp_eq_u32 s39, s49
	s_waitcnt vmcnt(0) lgkmcnt(0)
	v_mul_hi_u32 v2, s53, v1
	s_delay_alu instid0(VALU_DEP_1) | instskip(NEXT) | instid1(VALU_DEP_1)
	v_add_nc_u32_e32 v2, v1, v2
	v_lshrrev_b32_e32 v2, s54, v2
	s_delay_alu instid0(VALU_DEP_1) | instskip(SKIP_1) | instid1(VALU_DEP_2)
	v_mul_hi_u32 v3, s56, v2
	v_mul_lo_u32 v5, v2, s52
	v_add_nc_u32_e32 v3, v2, v3
	s_delay_alu instid0(VALU_DEP_2) | instskip(NEXT) | instid1(VALU_DEP_2)
	v_sub_nc_u32_e32 v1, v1, v5
	v_lshrrev_b32_e32 v3, s57, v3
	s_delay_alu instid0(VALU_DEP_2) | instskip(SKIP_1) | instid1(VALU_DEP_3)
	v_mul_lo_u32 v5, v1, s60
	v_mul_lo_u32 v7, v1, s61
	v_mul_hi_u32 v4, s59, v3
	s_delay_alu instid0(VALU_DEP_1) | instskip(NEXT) | instid1(VALU_DEP_1)
	v_add_nc_u32_e32 v4, v3, v4
	v_lshrrev_b32_e32 v4, s68, v4
	s_delay_alu instid0(VALU_DEP_1) | instskip(SKIP_1) | instid1(VALU_DEP_2)
	v_mul_hi_u32 v6, s70, v4
	v_mul_lo_u32 v11, v4, s58
	v_add_nc_u32_e32 v1, v4, v6
	v_mul_lo_u32 v6, v3, s55
	s_delay_alu instid0(VALU_DEP_3) | instskip(NEXT) | instid1(VALU_DEP_3)
	v_sub_nc_u32_e32 v3, v3, v11
	v_lshrrev_b32_e32 v1, s71, v1
	s_delay_alu instid0(VALU_DEP_2) | instskip(SKIP_2) | instid1(VALU_DEP_4)
	v_mul_lo_u32 v11, v3, s64
	v_mul_lo_u32 v3, v3, s65
	v_sub_nc_u32_e32 v2, v2, v6
	v_mul_lo_u32 v12, v1, s69
	s_delay_alu instid0(VALU_DEP_2) | instskip(SKIP_1) | instid1(VALU_DEP_3)
	v_mul_lo_u32 v6, v2, s62
	v_mul_lo_u32 v2, v2, s63
	v_sub_nc_u32_e32 v4, v4, v12
	s_delay_alu instid0(VALU_DEP_3) | instskip(NEXT) | instid1(VALU_DEP_2)
	v_add3_u32 v5, v5, v8, v6
	v_mul_lo_u32 v12, v4, s66
	v_mul_lo_u32 v4, v4, s67
	v_add3_u32 v0, v7, v0, v2
	s_delay_alu instid0(VALU_DEP_3) | instskip(NEXT) | instid1(VALU_DEP_2)
	v_add3_u32 v8, v11, v5, v12
	v_add3_u32 v0, v3, v0, v4
	s_cbranch_scc0 .LBB497_851
	s_branch .LBB497_854
.LBB497_852:
	s_mov_b32 s40, -1
                                        ; implicit-def: $vgpr8
                                        ; implicit-def: $vgpr0
	s_branch .LBB497_857
.LBB497_853:
	v_dual_mov_b32 v1, v10 :: v_dual_mov_b32 v0, 0
.LBB497_854:
	s_and_b32 s48, s48, 3
	s_delay_alu instid0(SALU_CYCLE_1)
	s_cmp_eq_u32 s48, 0
	s_cbranch_scc1 .LBB497_857
; %bb.855:
	s_lshl_b32 s2, s39, 3
	s_mul_i32 s26, s39, 12
	s_add_u32 s2, s2, s20
	s_addc_u32 s3, s21, 0
	s_add_u32 s2, s2, 0xc4
	s_addc_u32 s3, s3, 0
	;; [unrolled: 2-line block ×3, first 2 shown]
.LBB497_856:                            ; =>This Inner Loop Header: Depth=1
	s_clause 0x1
	s_load_b64 s[50:51], s[26:27], 0x4
	s_load_b32 s39, s[26:27], 0xc
	s_load_b64 s[52:53], s[2:3], 0x0
	s_add_u32 s26, s26, 12
	s_addc_u32 s27, s27, 0
	s_add_u32 s2, s2, 8
	s_addc_u32 s3, s3, 0
	s_add_i32 s48, s48, -1
	s_delay_alu instid0(SALU_CYCLE_1) | instskip(SKIP_2) | instid1(VALU_DEP_1)
	s_cmp_lg_u32 s48, 0
	s_waitcnt vmcnt(0) lgkmcnt(0)
	v_mul_hi_u32 v2, s51, v1
	v_add_nc_u32_e32 v2, v1, v2
	s_delay_alu instid0(VALU_DEP_1) | instskip(NEXT) | instid1(VALU_DEP_1)
	v_lshrrev_b32_e32 v5, s39, v2
	v_mul_lo_u32 v2, v5, s50
	s_delay_alu instid0(VALU_DEP_1) | instskip(NEXT) | instid1(VALU_DEP_1)
	v_sub_nc_u32_e32 v1, v1, v2
	v_mad_u64_u32 v[2:3], null, v1, s52, v[8:9]
	v_mad_u64_u32 v[3:4], null, v1, s53, v[0:1]
	s_delay_alu instid0(VALU_DEP_2) | instskip(NEXT) | instid1(VALU_DEP_2)
	v_dual_mov_b32 v1, v5 :: v_dual_mov_b32 v8, v2
	v_mov_b32_e32 v0, v3
	s_cbranch_scc1 .LBB497_856
.LBB497_857:
	s_and_not1_b32 vcc_lo, exec_lo, s40
	s_cbranch_vccnz .LBB497_860
; %bb.858:
	v_mul_hi_u32 v0, s17, v10
	s_and_not1_b32 vcc_lo, exec_lo, s37
	s_delay_alu instid0(VALU_DEP_1) | instskip(NEXT) | instid1(VALU_DEP_1)
	v_add_nc_u32_e32 v0, v10, v0
	v_lshrrev_b32_e32 v1, s18, v0
	s_delay_alu instid0(VALU_DEP_1) | instskip(NEXT) | instid1(VALU_DEP_1)
	v_mul_lo_u32 v0, v1, s16
	v_sub_nc_u32_e32 v0, v10, v0
	s_delay_alu instid0(VALU_DEP_1)
	v_mul_lo_u32 v8, v0, s12
	v_mul_lo_u32 v0, v0, s13
	s_cbranch_vccnz .LBB497_860
; %bb.859:
	s_waitcnt vmcnt(0)
	v_mul_hi_u32 v2, s24, v1
	s_delay_alu instid0(VALU_DEP_1) | instskip(NEXT) | instid1(VALU_DEP_1)
	v_add_nc_u32_e32 v2, v1, v2
	v_lshrrev_b32_e32 v2, s25, v2
	s_delay_alu instid0(VALU_DEP_1) | instskip(NEXT) | instid1(VALU_DEP_1)
	v_mul_lo_u32 v2, v2, s19
	v_sub_nc_u32_e32 v4, v1, v2
	s_delay_alu instid0(VALU_DEP_1) | instskip(NEXT) | instid1(VALU_DEP_1)
	v_mad_u64_u32 v[1:2], null, v4, s14, v[8:9]
	v_mad_u64_u32 v[2:3], null, v4, s15, v[0:1]
	v_mov_b32_e32 v8, v1
	s_delay_alu instid0(VALU_DEP_2)
	v_mov_b32_e32 v0, v2
.LBB497_860:
	v_cmp_gt_i16_e32 vcc_lo, 11, v9
	s_delay_alu instid0(VALU_DEP_2) | instskip(NEXT) | instid1(VALU_DEP_1)
	v_add_co_u32 v0, s2, s6, v0
	v_add_co_ci_u32_e64 v1, null, s7, 0, s2
	s_mov_b32 s6, 0
	s_cbranch_vccnz .LBB497_867
; %bb.861:
	v_cmp_lt_i16_e32 vcc_lo, 25, v9
	s_mov_b32 s13, 0
	s_cbranch_vccz .LBB497_868
; %bb.862:
	v_cmp_lt_i16_e32 vcc_lo, 28, v9
	s_cbranch_vccz .LBB497_869
; %bb.863:
	v_cmp_lt_i16_e32 vcc_lo, 43, v9
	;; [unrolled: 3-line block ×3, first 2 shown]
	s_cbranch_vccz .LBB497_873
; %bb.865:
	v_cmp_eq_u16_e32 vcc_lo, 46, v9
	s_mov_b32 s2, 0
	s_cbranch_vccz .LBB497_876
; %bb.866:
	global_load_b32 v2, v[0:1], off
	s_mov_b32 s12, 0
	s_mov_b32 s6, -1
	s_waitcnt vmcnt(0)
	v_lshlrev_b32_e32 v3, 16, v2
	v_and_b32_e32 v2, 0xffff0000, v2
	s_delay_alu instid0(VALU_DEP_2) | instskip(NEXT) | instid1(VALU_DEP_2)
	v_cvt_f64_f32_e32 v[4:5], v3
	v_cvt_f64_f32_e32 v[6:7], v2
	s_branch .LBB497_878
.LBB497_867:
	s_mov_b32 s2, -1
	s_mov_b32 s13, 0
	s_mov_b32 s12, s28
                                        ; implicit-def: $vgpr6_vgpr7
	s_branch .LBB497_944
.LBB497_868:
	s_mov_b32 s2, -1
	s_mov_b32 s12, s28
                                        ; implicit-def: $vgpr6_vgpr7
	s_branch .LBB497_911
.LBB497_869:
	s_mov_b32 s2, -1
	s_mov_b32 s12, s28
                                        ; implicit-def: $vgpr6_vgpr7
	s_branch .LBB497_890
.LBB497_870:
	s_mov_b32 s2, -1
	s_mov_b32 s12, s28
                                        ; implicit-def: $vgpr6_vgpr7
	s_branch .LBB497_884
.LBB497_871:
	s_or_saveexec_b32 s29, s29
                                        ; implicit-def: $sgpr49
	s_delay_alu instid0(SALU_CYCLE_1)
	s_xor_b32 exec_lo, exec_lo, s29
	s_cbranch_execz .LBB497_794
.LBB497_872:
	v_add_f32_e64 v8, 0x46000000, |v6|
	s_and_not1_b32 s28, s28, exec_lo
	s_mov_b32 s49, 0
	s_delay_alu instid0(VALU_DEP_1) | instskip(NEXT) | instid1(VALU_DEP_1)
	v_and_b32_e32 v8, 0xff, v8
	v_cmp_ne_u32_e32 vcc_lo, 0, v8
	s_and_b32 s50, vcc_lo, exec_lo
	s_delay_alu instid0(SALU_CYCLE_1)
	s_or_b32 s28, s28, s50
	s_or_b32 exec_lo, exec_lo, s29
	v_mov_b32_e32 v11, s49
	s_and_saveexec_b32 s29, s28
	s_cbranch_execnz .LBB497_795
	s_branch .LBB497_796
.LBB497_873:
	s_mov_b32 s2, -1
	s_mov_b32 s12, s28
	s_branch .LBB497_877
.LBB497_874:
	s_or_saveexec_b32 s29, s29
                                        ; implicit-def: $sgpr49
	s_delay_alu instid0(SALU_CYCLE_1)
	s_xor_b32 exec_lo, exec_lo, s29
	s_cbranch_execz .LBB497_807
.LBB497_875:
	v_add_f32_e64 v8, 0x42800000, |v6|
	s_and_not1_b32 s28, s28, exec_lo
	s_mov_b32 s49, 0
	s_delay_alu instid0(VALU_DEP_1) | instskip(NEXT) | instid1(VALU_DEP_1)
	v_and_b32_e32 v8, 0xff, v8
	v_cmp_ne_u32_e32 vcc_lo, 0, v8
	s_and_b32 s50, vcc_lo, exec_lo
	s_delay_alu instid0(SALU_CYCLE_1)
	s_or_b32 s28, s28, s50
	s_or_b32 exec_lo, exec_lo, s29
	v_mov_b32_e32 v11, s49
	s_and_saveexec_b32 s29, s28
	s_cbranch_execnz .LBB497_808
	s_branch .LBB497_809
.LBB497_876:
	s_mov_b32 s12, -1
.LBB497_877:
                                        ; implicit-def: $vgpr6_vgpr7
.LBB497_878:
	s_and_b32 vcc_lo, exec_lo, s2
	s_cbranch_vccz .LBB497_883
; %bb.879:
	v_cmp_eq_u16_e32 vcc_lo, 44, v9
	s_cbranch_vccz .LBB497_881
; %bb.880:
	global_load_u8 v4, v[0:1], off
	s_mov_b32 s12, 0
	s_mov_b32 s6, -1
	s_mov_b64 s[2:3], 0
	s_waitcnt vmcnt(0)
	v_cmp_ne_u32_e32 vcc_lo, 0xff, v4
	v_lshlrev_b32_e32 v2, 23, v4
	s_delay_alu instid0(VALU_DEP_1) | instskip(NEXT) | instid1(VALU_DEP_1)
	v_cvt_f64_f32_e32 v[2:3], v2
	v_cndmask_b32_e32 v3, 0x7ff80000, v3, vcc_lo
	s_delay_alu instid0(VALU_DEP_2) | instskip(SKIP_1) | instid1(VALU_DEP_3)
	v_cndmask_b32_e32 v2, 0x20000000, v2, vcc_lo
	v_cmp_ne_u32_e32 vcc_lo, 0, v4
	v_cndmask_b32_e32 v5, 0x38000000, v3, vcc_lo
	s_delay_alu instid0(VALU_DEP_3)
	v_cndmask_b32_e32 v4, 0, v2, vcc_lo
	s_branch .LBB497_882
.LBB497_881:
	s_mov_b32 s12, -1
                                        ; implicit-def: $sgpr2_sgpr3
                                        ; implicit-def: $vgpr4_vgpr5
.LBB497_882:
	v_dual_mov_b32 v7, s3 :: v_dual_mov_b32 v6, s2
.LBB497_883:
	s_mov_b32 s2, 0
.LBB497_884:
	s_delay_alu instid0(SALU_CYCLE_1)
	s_and_b32 vcc_lo, exec_lo, s2
	s_cbranch_vccz .LBB497_889
; %bb.885:
	v_cmp_eq_u16_e32 vcc_lo, 29, v9
	s_cbranch_vccz .LBB497_887
; %bb.886:
	global_load_b64 v[2:3], v[0:1], off
	s_mov_b32 s12, 0
	s_mov_b32 s6, -1
	s_mov_b64 s[2:3], 0
	s_waitcnt vmcnt(0)
	v_cvt_f64_u32_e32 v[3:4], v3
	v_cvt_f64_u32_e32 v[5:6], v2
	s_delay_alu instid0(VALU_DEP_2) | instskip(NEXT) | instid1(VALU_DEP_1)
	v_ldexp_f64 v[3:4], v[3:4], 32
	v_add_f64 v[4:5], v[3:4], v[5:6]
	s_branch .LBB497_888
.LBB497_887:
	s_mov_b32 s12, -1
                                        ; implicit-def: $sgpr2_sgpr3
                                        ; implicit-def: $vgpr4_vgpr5
.LBB497_888:
	v_dual_mov_b32 v7, s3 :: v_dual_mov_b32 v6, s2
.LBB497_889:
	s_mov_b32 s2, 0
.LBB497_890:
	s_delay_alu instid0(SALU_CYCLE_1)
	s_and_b32 vcc_lo, exec_lo, s2
	s_cbranch_vccz .LBB497_910
; %bb.891:
	v_cmp_gt_i16_e32 vcc_lo, 27, v9
	s_cbranch_vccnz .LBB497_894
; %bb.892:
	v_cmp_lt_i16_e32 vcc_lo, 27, v9
	s_cbranch_vccz .LBB497_895
; %bb.893:
	global_load_b32 v2, v[0:1], off
	s_mov_b32 s6, 0
	s_mov_b64 s[2:3], 0
	s_waitcnt vmcnt(0)
	v_cvt_f64_u32_e32 v[4:5], v2
	s_branch .LBB497_896
.LBB497_894:
	s_mov_b32 s6, -1
                                        ; implicit-def: $sgpr2_sgpr3
                                        ; implicit-def: $vgpr4_vgpr5
	s_branch .LBB497_899
.LBB497_895:
	s_mov_b32 s6, -1
                                        ; implicit-def: $sgpr2_sgpr3
                                        ; implicit-def: $vgpr4_vgpr5
.LBB497_896:
	s_delay_alu instid0(SALU_CYCLE_1)
	s_and_not1_b32 vcc_lo, exec_lo, s6
	s_cbranch_vccnz .LBB497_898
; %bb.897:
	global_load_u16 v2, v[0:1], off
	s_mov_b64 s[2:3], 0
	s_waitcnt vmcnt(0)
	v_cvt_f64_u32_e32 v[4:5], v2
.LBB497_898:
	s_mov_b32 s6, 0
.LBB497_899:
	v_dual_mov_b32 v7, s3 :: v_dual_mov_b32 v6, s2
	s_and_not1_b32 vcc_lo, exec_lo, s6
	s_cbranch_vccnz .LBB497_909
; %bb.900:
	global_load_u8 v2, v[0:1], off
	s_mov_b32 s14, 0
	s_mov_b32 s15, exec_lo
                                        ; implicit-def: $sgpr2_sgpr3
                                        ; implicit-def: $sgpr6_sgpr7
	s_waitcnt vmcnt(0)
	v_cmpx_lt_i16_e32 0x7f, v2
	s_xor_b32 s15, exec_lo, s15
	s_cbranch_execz .LBB497_904
; %bb.901:
	s_mov_b32 s14, -1
	s_mov_b32 s16, exec_lo
                                        ; implicit-def: $sgpr2_sgpr3
                                        ; implicit-def: $sgpr6_sgpr7
	v_cmpx_eq_u16_e32 0x80, v2
; %bb.902:
	s_mov_b64 s[2:3], 0
	s_mov_b32 s7, 0x7ff80000
	s_brev_b32 s6, 4
	s_xor_b32 s14, exec_lo, -1
; %bb.903:
	s_or_b32 exec_lo, exec_lo, s16
	s_delay_alu instid0(SALU_CYCLE_1)
	s_and_b32 s14, s14, exec_lo
.LBB497_904:
	s_or_saveexec_b32 s15, s15
	v_dual_mov_b32 v7, s3 :: v_dual_mov_b32 v6, s2
	v_dual_mov_b32 v4, s6 :: v_dual_mov_b32 v5, s7
	s_xor_b32 exec_lo, exec_lo, s15
; %bb.905:
	v_mov_b32_e32 v6, 0
	v_mov_b32_e32 v7, 0
	v_cmp_ne_u16_e32 vcc_lo, 0, v2
	s_delay_alu instid0(VALU_DEP_3) | instskip(SKIP_1) | instid1(VALU_DEP_3)
	v_mov_b32_e32 v4, v6
	s_and_not1_b32 s2, s14, exec_lo
	v_mov_b32_e32 v5, v7
	s_and_b32 s3, vcc_lo, exec_lo
	s_delay_alu instid0(SALU_CYCLE_1)
	s_or_b32 s14, s2, s3
; %bb.906:
	s_or_b32 exec_lo, exec_lo, s15
	s_and_saveexec_b32 s2, s14
	s_cbranch_execz .LBB497_908
; %bb.907:
	v_and_b32_e32 v3, 0xffff, v2
	v_lshlrev_b32_e32 v2, 24, v2
	s_delay_alu instid0(VALU_DEP_2) | instskip(NEXT) | instid1(VALU_DEP_1)
	v_and_b32_e32 v4, 7, v3
	v_clz_i32_u32_e32 v5, v4
	s_delay_alu instid0(VALU_DEP_1) | instskip(NEXT) | instid1(VALU_DEP_1)
	v_min_u32_e32 v5, 32, v5
	v_subrev_nc_u32_e32 v6, 28, v5
	v_sub_nc_u32_e32 v5, 29, v5
	s_delay_alu instid0(VALU_DEP_2) | instskip(SKIP_1) | instid1(VALU_DEP_2)
	v_lshlrev_b32_e32 v6, v6, v3
	v_bfe_u32 v3, v3, 3, 4
	v_and_b32_e32 v6, 7, v6
	s_delay_alu instid0(VALU_DEP_2) | instskip(NEXT) | instid1(VALU_DEP_2)
	v_cmp_eq_u32_e32 vcc_lo, 0, v3
	v_dual_cndmask_b32 v3, v3, v5 :: v_dual_cndmask_b32 v4, v4, v6
	v_mov_b32_e32 v6, 0
	v_dual_mov_b32 v7, 0 :: v_dual_and_b32 v2, 0x80000000, v2
	s_delay_alu instid0(VALU_DEP_3) | instskip(NEXT) | instid1(VALU_DEP_4)
	v_lshl_add_u32 v3, v3, 23, 0x3b800000
	v_lshlrev_b32_e32 v4, 20, v4
	s_delay_alu instid0(VALU_DEP_1) | instskip(NEXT) | instid1(VALU_DEP_1)
	v_or3_b32 v2, v2, v3, v4
	v_cvt_f64_f32_e32 v[4:5], v2
.LBB497_908:
	s_or_b32 exec_lo, exec_lo, s2
.LBB497_909:
	s_mov_b32 s6, -1
.LBB497_910:
	s_mov_b32 s2, 0
.LBB497_911:
	s_delay_alu instid0(SALU_CYCLE_1)
	s_and_b32 vcc_lo, exec_lo, s2
	s_cbranch_vccz .LBB497_943
; %bb.912:
	v_cmp_lt_i16_e32 vcc_lo, 22, v9
	s_cbranch_vccz .LBB497_924
; %bb.913:
	v_cmp_gt_i16_e32 vcc_lo, 24, v9
	s_cbranch_vccnz .LBB497_925
; %bb.914:
	v_cmp_lt_i16_e32 vcc_lo, 24, v9
	s_cbranch_vccz .LBB497_926
; %bb.915:
	global_load_u8 v2, v[0:1], off
	s_mov_b32 s14, exec_lo
                                        ; implicit-def: $sgpr2_sgpr3
                                        ; implicit-def: $sgpr6_sgpr7
	s_waitcnt vmcnt(0)
	v_cmpx_lt_i16_e32 0x7f, v2
	s_xor_b32 s14, exec_lo, s14
	s_cbranch_execz .LBB497_919
; %bb.916:
	s_mov_b32 s13, -1
	s_mov_b32 s15, exec_lo
                                        ; implicit-def: $sgpr2_sgpr3
                                        ; implicit-def: $sgpr6_sgpr7
	v_cmpx_eq_u16_e32 0x80, v2
; %bb.917:
	s_mov_b64 s[2:3], 0
	s_mov_b32 s7, 0x7ff80000
	s_brev_b32 s6, 4
	s_xor_b32 s13, exec_lo, -1
; %bb.918:
	s_or_b32 exec_lo, exec_lo, s15
	s_delay_alu instid0(SALU_CYCLE_1)
	s_and_b32 s13, s13, exec_lo
.LBB497_919:
	s_or_saveexec_b32 s14, s14
	v_dual_mov_b32 v7, s3 :: v_dual_mov_b32 v6, s2
	v_dual_mov_b32 v4, s6 :: v_dual_mov_b32 v5, s7
	s_xor_b32 exec_lo, exec_lo, s14
; %bb.920:
	v_mov_b32_e32 v6, 0
	v_mov_b32_e32 v7, 0
	v_cmp_ne_u16_e32 vcc_lo, 0, v2
	s_delay_alu instid0(VALU_DEP_3) | instskip(SKIP_1) | instid1(VALU_DEP_3)
	v_mov_b32_e32 v4, v6
	s_and_not1_b32 s2, s13, exec_lo
	v_mov_b32_e32 v5, v7
	s_and_b32 s3, vcc_lo, exec_lo
	s_delay_alu instid0(SALU_CYCLE_1)
	s_or_b32 s13, s2, s3
; %bb.921:
	s_or_b32 exec_lo, exec_lo, s14
	s_and_saveexec_b32 s2, s13
	s_cbranch_execz .LBB497_923
; %bb.922:
	v_and_b32_e32 v3, 0xffff, v2
	v_lshlrev_b32_e32 v2, 24, v2
	s_delay_alu instid0(VALU_DEP_2) | instskip(NEXT) | instid1(VALU_DEP_1)
	v_and_b32_e32 v4, 3, v3
	v_clz_i32_u32_e32 v5, v4
	s_delay_alu instid0(VALU_DEP_1) | instskip(NEXT) | instid1(VALU_DEP_1)
	v_min_u32_e32 v5, 32, v5
	v_subrev_nc_u32_e32 v6, 29, v5
	v_sub_nc_u32_e32 v5, 30, v5
	s_delay_alu instid0(VALU_DEP_2) | instskip(SKIP_1) | instid1(VALU_DEP_2)
	v_lshlrev_b32_e32 v6, v6, v3
	v_bfe_u32 v3, v3, 2, 5
	v_and_b32_e32 v6, 3, v6
	s_delay_alu instid0(VALU_DEP_2) | instskip(NEXT) | instid1(VALU_DEP_2)
	v_cmp_eq_u32_e32 vcc_lo, 0, v3
	v_dual_cndmask_b32 v3, v3, v5 :: v_dual_cndmask_b32 v4, v4, v6
	v_mov_b32_e32 v6, 0
	v_dual_mov_b32 v7, 0 :: v_dual_and_b32 v2, 0x80000000, v2
	s_delay_alu instid0(VALU_DEP_3) | instskip(NEXT) | instid1(VALU_DEP_4)
	v_lshl_add_u32 v3, v3, 23, 0x37800000
	v_lshlrev_b32_e32 v4, 21, v4
	s_delay_alu instid0(VALU_DEP_1) | instskip(NEXT) | instid1(VALU_DEP_1)
	v_or3_b32 v2, v2, v3, v4
	v_cvt_f64_f32_e32 v[4:5], v2
.LBB497_923:
	s_or_b32 exec_lo, exec_lo, s2
	s_mov_b32 s2, 0
	s_branch .LBB497_927
.LBB497_924:
	s_mov_b32 s2, -1
                                        ; implicit-def: $vgpr6_vgpr7
	s_branch .LBB497_933
.LBB497_925:
	s_mov_b32 s2, -1
                                        ; implicit-def: $vgpr6_vgpr7
	s_branch .LBB497_930
.LBB497_926:
	s_mov_b32 s2, -1
                                        ; implicit-def: $vgpr6_vgpr7
.LBB497_927:
	s_delay_alu instid0(SALU_CYCLE_1)
	s_and_b32 vcc_lo, exec_lo, s2
	s_cbranch_vccz .LBB497_929
; %bb.928:
	global_load_u8 v2, v[0:1], off
	s_waitcnt vmcnt(0)
	v_lshlrev_b32_e32 v2, 24, v2
	s_delay_alu instid0(VALU_DEP_1) | instskip(NEXT) | instid1(VALU_DEP_1)
	v_and_b32_e32 v3, 0x7f000000, v2
	v_clz_i32_u32_e32 v4, v3
	v_add_nc_u32_e32 v6, 0x1000000, v3
	s_delay_alu instid0(VALU_DEP_2) | instskip(NEXT) | instid1(VALU_DEP_1)
	v_min_u32_e32 v4, 32, v4
	v_sub_nc_u32_e64 v4, v4, 4 clamp
	s_delay_alu instid0(VALU_DEP_1) | instskip(SKIP_1) | instid1(VALU_DEP_2)
	v_lshlrev_b32_e32 v5, v4, v3
	v_lshlrev_b32_e32 v4, 23, v4
	v_lshrrev_b32_e32 v5, 4, v5
	s_delay_alu instid0(VALU_DEP_1)
	v_sub_nc_u32_e32 v4, v5, v4
	v_ashrrev_i32_e32 v5, 8, v6
	v_mov_b32_e32 v6, 0
	v_mov_b32_e32 v7, 0
	v_cmp_ne_u32_e32 vcc_lo, 0, v3
	v_add_nc_u32_e32 v4, 0x3c000000, v4
	s_delay_alu instid0(VALU_DEP_1) | instskip(NEXT) | instid1(VALU_DEP_1)
	v_and_or_b32 v4, 0x7f800000, v5, v4
	v_cndmask_b32_e32 v3, 0, v4, vcc_lo
	s_delay_alu instid0(VALU_DEP_1) | instskip(NEXT) | instid1(VALU_DEP_1)
	v_and_or_b32 v2, 0x80000000, v2, v3
	v_cvt_f64_f32_e32 v[4:5], v2
.LBB497_929:
	s_mov_b32 s2, 0
.LBB497_930:
	s_delay_alu instid0(SALU_CYCLE_1)
	s_and_not1_b32 vcc_lo, exec_lo, s2
	s_cbranch_vccnz .LBB497_932
; %bb.931:
	global_load_u8 v2, v[0:1], off
	v_mov_b32_e32 v6, 0
	v_mov_b32_e32 v7, 0
	s_waitcnt vmcnt(0)
	v_lshlrev_b32_e32 v3, 25, v2
	v_lshlrev_b16 v2, 8, v2
	s_delay_alu instid0(VALU_DEP_2) | instskip(NEXT) | instid1(VALU_DEP_2)
	v_lshrrev_b32_e32 v4, 4, v3
	v_and_or_b32 v5, 0x7f00, v2, 0.5
	v_bfe_i32 v2, v2, 0, 16
	s_delay_alu instid0(VALU_DEP_3) | instskip(NEXT) | instid1(VALU_DEP_1)
	v_or_b32_e32 v4, 0x70000000, v4
	v_dual_add_f32 v5, -0.5, v5 :: v_dual_mul_f32 v4, 0x7800000, v4
	v_cmp_gt_u32_e32 vcc_lo, 0x8000000, v3
	s_delay_alu instid0(VALU_DEP_2) | instskip(NEXT) | instid1(VALU_DEP_1)
	v_cndmask_b32_e32 v3, v4, v5, vcc_lo
	v_and_or_b32 v2, 0x80000000, v2, v3
	s_delay_alu instid0(VALU_DEP_1)
	v_cvt_f64_f32_e32 v[4:5], v2
.LBB497_932:
	s_mov_b32 s2, 0
	s_mov_b32 s6, -1
.LBB497_933:
	s_and_not1_b32 vcc_lo, exec_lo, s2
	s_mov_b32 s13, 0
	s_cbranch_vccnz .LBB497_943
; %bb.934:
	v_cmp_lt_i16_e32 vcc_lo, 14, v9
	s_cbranch_vccz .LBB497_937
; %bb.935:
	v_cmp_eq_u16_e32 vcc_lo, 15, v9
	s_cbranch_vccz .LBB497_938
; %bb.936:
	global_load_u16 v2, v[0:1], off
	s_mov_b32 s12, 0
	s_mov_b32 s6, -1
	s_mov_b64 s[2:3], 0
	s_waitcnt vmcnt(0)
	v_lshlrev_b32_e32 v2, 16, v2
	s_delay_alu instid0(VALU_DEP_1)
	v_cvt_f64_f32_e32 v[4:5], v2
	s_branch .LBB497_939
.LBB497_937:
	s_mov_b32 s7, -1
                                        ; implicit-def: $sgpr2_sgpr3
                                        ; implicit-def: $vgpr4_vgpr5
	s_branch .LBB497_940
.LBB497_938:
	s_mov_b32 s12, -1
                                        ; implicit-def: $sgpr2_sgpr3
                                        ; implicit-def: $vgpr4_vgpr5
.LBB497_939:
	s_mov_b32 s7, 0
.LBB497_940:
	s_delay_alu instid0(SALU_CYCLE_1)
	s_and_b32 vcc_lo, exec_lo, s7
	s_cbranch_vccz .LBB497_942
; %bb.941:
	v_cmp_ne_u16_e32 vcc_lo, 11, v9
	s_and_not1_b32 s2, s12, exec_lo
	s_mov_b32 s13, -1
                                        ; implicit-def: $vgpr4_vgpr5
	s_and_b32 s3, vcc_lo, exec_lo
	s_delay_alu instid0(SALU_CYCLE_1)
	s_or_b32 s12, s2, s3
                                        ; implicit-def: $sgpr2_sgpr3
.LBB497_942:
	v_dual_mov_b32 v7, s3 :: v_dual_mov_b32 v6, s2
.LBB497_943:
	s_mov_b32 s2, 0
.LBB497_944:
	s_and_b32 s48, s6, exec_lo
	s_and_not1_b32 s6, s28, exec_lo
	s_and_b32 s7, s12, exec_lo
	s_and_b32 s2, s2, exec_lo
	;; [unrolled: 1-line block ×3, first 2 shown]
	s_or_b32 s49, s6, s7
.LBB497_945:
	s_or_b32 exec_lo, exec_lo, s38
	s_delay_alu instid0(SALU_CYCLE_1)
	s_and_not1_b32 s6, s28, exec_lo
	s_and_b32 s7, s49, exec_lo
	s_and_b32 s48, s48, exec_lo
	;; [unrolled: 1-line block ×4, first 2 shown]
	s_or_b32 s28, s6, s7
.LBB497_946:
	s_or_b32 exec_lo, exec_lo, s47
	s_delay_alu instid0(SALU_CYCLE_1)
	s_and_not1_b32 s6, s45, exec_lo
	s_and_b32 s7, s29, exec_lo
	s_and_b32 s29, s48, exec_lo
	s_or_b32 s45, s6, s7
	s_and_not1_b32 s6, s44, exec_lo
	s_and_b32 s7, s28, exec_lo
	s_and_b32 s2, s2, exec_lo
	;; [unrolled: 1-line block ×3, first 2 shown]
	s_or_b32 s44, s6, s7
.LBB497_947:
	s_or_b32 exec_lo, exec_lo, s46
	s_delay_alu instid0(SALU_CYCLE_1)
	s_and_not1_b32 s6, s41, exec_lo
	s_and_b32 s7, s45, exec_lo
	s_and_b32 s28, s29, exec_lo
	s_or_b32 s41, s6, s7
	s_and_not1_b32 s6, s42, exec_lo
	s_and_b32 s7, s44, exec_lo
	s_and_b32 s2, s2, exec_lo
	;; [unrolled: 1-line block ×3, first 2 shown]
	s_or_b32 s42, s6, s7
.LBB497_948:
	s_or_b32 exec_lo, exec_lo, s43
	s_mov_b32 s6, 0
	s_and_saveexec_b32 s3, s42
	s_cbranch_execnz .LBB497_960
; %bb.949:
	s_or_b32 exec_lo, exec_lo, s3
	s_and_saveexec_b32 s3, s44
	s_delay_alu instid0(SALU_CYCLE_1)
	s_xor_b32 s3, exec_lo, s3
	s_cbranch_execz .LBB497_951
.LBB497_950:
	global_load_u8 v2, v[0:1], off
	v_mov_b32_e32 v6, 0
	s_waitcnt vmcnt(1)
	v_dual_mov_b32 v7, 0 :: v_dual_mov_b32 v4, 0
	s_or_b32 s28, s28, exec_lo
	s_waitcnt vmcnt(0)
	v_cmp_ne_u16_e32 vcc_lo, 0, v2
	v_cndmask_b32_e64 v5, 0, 0x3ff00000, vcc_lo
.LBB497_951:
	s_or_b32 exec_lo, exec_lo, s3
	s_and_saveexec_b32 s7, s2
	s_cbranch_execz .LBB497_1001
; %bb.952:
	v_cmp_gt_i16_e32 vcc_lo, 5, v9
	s_cbranch_vccnz .LBB497_957
; %bb.953:
	v_cmp_gt_i16_e32 vcc_lo, 8, v9
	s_cbranch_vccnz .LBB497_958
; %bb.954:
	v_cmp_gt_i16_e32 vcc_lo, 9, v9
	s_cbranch_vccnz .LBB497_959
; %bb.955:
	v_cmp_lt_i16_e32 vcc_lo, 9, v9
	s_cbranch_vccz .LBB497_962
; %bb.956:
	global_load_b128 v[4:7], v[0:1], off
	s_mov_b32 s2, 0
	s_branch .LBB497_963
.LBB497_957:
                                        ; implicit-def: $vgpr6_vgpr7
	s_branch .LBB497_981
.LBB497_958:
                                        ; implicit-def: $vgpr6_vgpr7
	s_branch .LBB497_969
.LBB497_959:
	s_mov_b32 s2, -1
                                        ; implicit-def: $vgpr6_vgpr7
	s_branch .LBB497_966
.LBB497_960:
	s_cbranch_execnz .LBB497_1242
; %bb.961:
	s_mov_b32 s6, exec_lo
	s_and_not1_b32 s44, s44, exec_lo
                                        ; implicit-def: $vgpr6_vgpr7
	s_or_b32 exec_lo, exec_lo, s3
	s_and_saveexec_b32 s3, s44
	s_delay_alu instid0(SALU_CYCLE_1)
	s_xor_b32 s3, exec_lo, s3
	s_cbranch_execnz .LBB497_950
	s_branch .LBB497_951
.LBB497_962:
	s_mov_b32 s2, -1
                                        ; implicit-def: $vgpr6_vgpr7
.LBB497_963:
	s_delay_alu instid0(SALU_CYCLE_1)
	s_and_not1_b32 vcc_lo, exec_lo, s2
	s_cbranch_vccnz .LBB497_965
; %bb.964:
	global_load_b64 v[2:3], v[0:1], off
	s_waitcnt vmcnt(0)
	v_cvt_f64_f32_e32 v[4:5], v2
	v_cvt_f64_f32_e32 v[6:7], v3
.LBB497_965:
	s_mov_b32 s2, 0
.LBB497_966:
	s_delay_alu instid0(SALU_CYCLE_1)
	s_and_not1_b32 vcc_lo, exec_lo, s2
	s_cbranch_vccnz .LBB497_968
; %bb.967:
	global_load_b32 v2, v[0:1], off
	s_waitcnt vmcnt(0)
	v_lshrrev_b32_e32 v3, 16, v2
	v_cvt_f32_f16_e32 v2, v2
	s_delay_alu instid0(VALU_DEP_2) | instskip(NEXT) | instid1(VALU_DEP_2)
	v_cvt_f32_f16_e32 v3, v3
	v_cvt_f64_f32_e32 v[4:5], v2
	s_delay_alu instid0(VALU_DEP_2)
	v_cvt_f64_f32_e32 v[6:7], v3
.LBB497_968:
	s_cbranch_execnz .LBB497_980
.LBB497_969:
	v_cmp_gt_i16_e32 vcc_lo, 6, v9
	s_cbranch_vccnz .LBB497_972
; %bb.970:
	v_cmp_lt_i16_e32 vcc_lo, 6, v9
	s_cbranch_vccz .LBB497_973
; %bb.971:
	global_load_b64 v[4:5], v[0:1], off
	s_mov_b32 s12, 0
	s_mov_b64 s[2:3], 0
	s_branch .LBB497_974
.LBB497_972:
	s_mov_b32 s12, -1
                                        ; implicit-def: $sgpr2_sgpr3
                                        ; implicit-def: $vgpr4_vgpr5
	s_branch .LBB497_977
.LBB497_973:
	s_mov_b32 s12, -1
                                        ; implicit-def: $sgpr2_sgpr3
                                        ; implicit-def: $vgpr4_vgpr5
.LBB497_974:
	s_delay_alu instid0(SALU_CYCLE_1)
	s_and_not1_b32 vcc_lo, exec_lo, s12
	s_cbranch_vccnz .LBB497_976
; %bb.975:
	global_load_b32 v2, v[0:1], off
	s_mov_b64 s[2:3], 0
	s_waitcnt vmcnt(0)
	v_cvt_f64_f32_e32 v[4:5], v2
.LBB497_976:
	s_mov_b32 s12, 0
.LBB497_977:
	s_delay_alu instid0(SALU_CYCLE_1)
	s_and_not1_b32 vcc_lo, exec_lo, s12
	s_cbranch_vccnz .LBB497_979
; %bb.978:
	global_load_u16 v2, v[0:1], off
	s_mov_b64 s[2:3], 0
	s_waitcnt vmcnt(0)
	v_cvt_f32_f16_e32 v2, v2
	s_delay_alu instid0(VALU_DEP_1)
	v_cvt_f64_f32_e32 v[4:5], v2
.LBB497_979:
	s_waitcnt vmcnt(0)
	v_dual_mov_b32 v7, s3 :: v_dual_mov_b32 v6, s2
.LBB497_980:
	s_cbranch_execnz .LBB497_1000
.LBB497_981:
	v_cmp_gt_i16_e32 vcc_lo, 2, v9
	s_cbranch_vccnz .LBB497_985
; %bb.982:
	v_cmp_gt_i16_e32 vcc_lo, 3, v9
	s_cbranch_vccnz .LBB497_986
; %bb.983:
	v_cmp_lt_i16_e32 vcc_lo, 3, v9
	s_cbranch_vccz .LBB497_987
; %bb.984:
	global_load_b64 v[2:3], v[0:1], off
	s_mov_b32 s12, 0
	s_mov_b64 s[2:3], 0
	s_waitcnt vmcnt(0)
	v_cvt_f64_i32_e32 v[3:4], v3
	v_cvt_f64_u32_e32 v[5:6], v2
	s_delay_alu instid0(VALU_DEP_2) | instskip(NEXT) | instid1(VALU_DEP_1)
	v_ldexp_f64 v[3:4], v[3:4], 32
	v_add_f64 v[4:5], v[3:4], v[5:6]
	s_branch .LBB497_988
.LBB497_985:
                                        ; implicit-def: $sgpr2_sgpr3
                                        ; implicit-def: $vgpr4_vgpr5
	s_branch .LBB497_994
.LBB497_986:
	s_mov_b32 s12, -1
                                        ; implicit-def: $sgpr2_sgpr3
                                        ; implicit-def: $vgpr4_vgpr5
	s_branch .LBB497_991
.LBB497_987:
	s_mov_b32 s12, -1
                                        ; implicit-def: $sgpr2_sgpr3
                                        ; implicit-def: $vgpr4_vgpr5
.LBB497_988:
	s_delay_alu instid0(SALU_CYCLE_1)
	s_and_not1_b32 vcc_lo, exec_lo, s12
	s_cbranch_vccnz .LBB497_990
; %bb.989:
	global_load_b32 v2, v[0:1], off
	s_mov_b64 s[2:3], 0
	s_waitcnt vmcnt(0)
	v_cvt_f64_i32_e32 v[4:5], v2
.LBB497_990:
	s_mov_b32 s12, 0
.LBB497_991:
	s_delay_alu instid0(SALU_CYCLE_1)
	s_and_not1_b32 vcc_lo, exec_lo, s12
	s_cbranch_vccnz .LBB497_993
; %bb.992:
	global_load_i16 v2, v[0:1], off
	s_mov_b64 s[2:3], 0
	s_waitcnt vmcnt(0)
	v_cvt_f64_i32_e32 v[4:5], v2
.LBB497_993:
	s_cbranch_execnz .LBB497_999
.LBB497_994:
	v_cmp_lt_i16_e32 vcc_lo, 0, v9
	s_mov_b32 s12, 0
	s_cbranch_vccz .LBB497_996
; %bb.995:
	global_load_i8 v2, v[0:1], off
	s_mov_b64 s[2:3], 0
	s_waitcnt vmcnt(0)
	v_cvt_f64_i32_e32 v[4:5], v2
	s_branch .LBB497_997
.LBB497_996:
	s_mov_b32 s12, -1
                                        ; implicit-def: $sgpr2_sgpr3
                                        ; implicit-def: $vgpr4_vgpr5
.LBB497_997:
	s_delay_alu instid0(SALU_CYCLE_1)
	s_and_not1_b32 vcc_lo, exec_lo, s12
	s_cbranch_vccnz .LBB497_999
; %bb.998:
	global_load_u8 v0, v[0:1], off
	s_mov_b64 s[2:3], 0
	s_waitcnt vmcnt(0)
	v_cvt_f64_u32_e32 v[4:5], v0
.LBB497_999:
	s_waitcnt vmcnt(0)
	v_dual_mov_b32 v7, s3 :: v_dual_mov_b32 v6, s2
.LBB497_1000:
	s_or_b32 s28, s28, exec_lo
.LBB497_1001:
	s_or_b32 exec_lo, exec_lo, s7
	s_mov_b32 s2, 0
	s_mov_b32 s7, 0
                                        ; implicit-def: $vgpr11
                                        ; implicit-def: $vgpr9_vgpr10
                                        ; implicit-def: $vgpr2_vgpr3
	s_and_saveexec_b32 s3, s28
	s_cbranch_execz .LBB497_1086
; %bb.1002:
	v_dual_mov_b32 v0, s8 :: v_dual_mov_b32 v1, s9
	s_mov_b32 s2, exec_lo
	s_waitcnt vmcnt(0)
	s_delay_alu instid0(VALU_DEP_2)
	v_cmpx_o_f64_e32 v[4:5], v[4:5]
	s_cbranch_execz .LBB497_1006
; %bb.1003:
	v_dual_mov_b32 v0, s10 :: v_dual_mov_b32 v1, s11
	s_mov_b32 s7, exec_lo
	v_cmpx_neq_f64_e32 0x7ff00000, v[4:5]
; %bb.1004:
	v_cmp_eq_f64_e32 vcc_lo, 0xfff00000, v[4:5]
	v_cndmask_b32_e64 v1, v5, s23, vcc_lo
	v_cndmask_b32_e64 v0, v4, s22, vcc_lo
; %bb.1005:
	s_or_b32 exec_lo, exec_lo, s7
.LBB497_1006:
	s_delay_alu instid0(SALU_CYCLE_1) | instskip(SKIP_2) | instid1(VALU_DEP_4)
	s_or_b32 exec_lo, exec_lo, s2
	v_dual_mov_b32 v2, s8 :: v_dual_mov_b32 v3, s9
	s_mov_b32 s2, exec_lo
	v_cmpx_o_f64_e32 v[6:7], v[6:7]
	s_cbranch_execz .LBB497_1010
; %bb.1007:
	v_dual_mov_b32 v2, s10 :: v_dual_mov_b32 v3, s11
	s_mov_b32 s7, exec_lo
	v_cmpx_neq_f64_e32 0x7ff00000, v[6:7]
; %bb.1008:
	v_cmp_eq_f64_e32 vcc_lo, 0xfff00000, v[6:7]
	v_cndmask_b32_e64 v3, v7, s23, vcc_lo
	v_cndmask_b32_e64 v2, v6, s22, vcc_lo
; %bb.1009:
	s_or_b32 exec_lo, exec_lo, s7
.LBB497_1010:
	s_delay_alu instid0(SALU_CYCLE_1) | instskip(SKIP_2) | instid1(VALU_DEP_1)
	s_or_b32 exec_lo, exec_lo, s2
	v_and_b32_e64 v11, 0xff, s36
	v_add_co_u32 v9, s2, s4, v8
	v_add_co_ci_u32_e64 v10, null, s5, 0, s2
	s_delay_alu instid0(VALU_DEP_3)
	v_cmp_gt_i16_e32 vcc_lo, 11, v11
	s_mov_b32 s8, 0
	s_mov_b32 s4, -1
	s_mov_b32 s2, s41
	s_cbranch_vccnz .LBB497_1085
; %bb.1011:
	v_cmp_lt_i16_e32 vcc_lo, 25, v11
	s_mov_b32 s2, s41
	s_cbranch_vccz .LBB497_1044
; %bb.1012:
	v_cmp_lt_i16_e32 vcc_lo, 28, v11
	s_mov_b32 s2, s41
	s_cbranch_vccz .LBB497_1028
	;; [unrolled: 4-line block ×4, first 2 shown]
; %bb.1015:
	v_cmp_eq_u16_e32 vcc_lo, 46, v11
	s_mov_b32 s2, -1
	s_cbranch_vccz .LBB497_1017
; %bb.1016:
	v_cvt_f32_f64_e32 v4, v[2:3]
	v_cvt_f32_f64_e32 v5, v[0:1]
	s_mov_b32 s2, 0
	s_delay_alu instid0(VALU_DEP_2) | instskip(NEXT) | instid1(VALU_DEP_2)
	v_bfe_u32 v6, v4, 16, 1
	v_bfe_u32 v7, v5, 16, 1
	v_cmp_o_f32_e32 vcc_lo, v4, v4
	s_delay_alu instid0(VALU_DEP_3) | instskip(NEXT) | instid1(VALU_DEP_3)
	v_add3_u32 v6, v4, v6, 0x7fff
	v_add3_u32 v7, v5, v7, 0x7fff
	s_delay_alu instid0(VALU_DEP_2) | instskip(NEXT) | instid1(VALU_DEP_2)
	v_and_b32_e32 v6, 0xffff0000, v6
	v_lshrrev_b32_e32 v7, 16, v7
	s_delay_alu instid0(VALU_DEP_2) | instskip(SKIP_1) | instid1(VALU_DEP_3)
	v_cndmask_b32_e32 v4, 0x7fc00000, v6, vcc_lo
	v_cmp_o_f32_e32 vcc_lo, v5, v5
	v_cndmask_b32_e32 v5, 0x7fc0, v7, vcc_lo
	s_delay_alu instid0(VALU_DEP_1)
	v_or_b32_e32 v4, v4, v5
	global_store_b32 v[9:10], v4, off
.LBB497_1017:
	s_mov_b32 s4, 0
.LBB497_1018:
	s_delay_alu instid0(SALU_CYCLE_1)
	s_and_b32 vcc_lo, exec_lo, s4
	s_cbranch_vccz .LBB497_1023
; %bb.1019:
	v_cmp_eq_u16_e32 vcc_lo, 44, v11
	s_mov_b32 s2, -1
	s_cbranch_vccz .LBB497_1023
; %bb.1020:
	v_cvt_f32_f64_e32 v4, v[0:1]
	v_mov_b32_e32 v5, 0xff
	s_mov_b32 s4, exec_lo
	s_delay_alu instid0(VALU_DEP_2) | instskip(NEXT) | instid1(VALU_DEP_1)
	v_bfe_u32 v6, v4, 23, 8
	v_cmpx_ne_u32_e32 0xff, v6
; %bb.1021:
	v_and_b32_e32 v5, 0x400000, v4
	v_and_or_b32 v6, 0x3fffff, v4, v6
	v_lshrrev_b32_e32 v4, 23, v4
	s_delay_alu instid0(VALU_DEP_3) | instskip(NEXT) | instid1(VALU_DEP_3)
	v_cmp_ne_u32_e32 vcc_lo, 0, v5
	v_cmp_ne_u32_e64 s2, 0, v6
	s_delay_alu instid0(VALU_DEP_1) | instskip(NEXT) | instid1(SALU_CYCLE_1)
	s_and_b32 s2, vcc_lo, s2
	v_cndmask_b32_e64 v5, 0, 1, s2
	s_delay_alu instid0(VALU_DEP_1)
	v_add_nc_u32_e32 v5, v4, v5
; %bb.1022:
	s_or_b32 exec_lo, exec_lo, s4
	s_mov_b32 s2, 0
	global_store_b8 v[9:10], v5, off
.LBB497_1023:
	s_mov_b32 s4, 0
.LBB497_1024:
	s_delay_alu instid0(SALU_CYCLE_1)
	s_and_b32 vcc_lo, exec_lo, s4
	s_cbranch_vccz .LBB497_1027
; %bb.1025:
	v_cmp_eq_u16_e32 vcc_lo, 29, v11
	s_mov_b32 s2, -1
	s_cbranch_vccz .LBB497_1027
; %bb.1026:
	v_trunc_f64_e32 v[4:5], v[0:1]
	s_mov_b32 s2, 0
	s_delay_alu instid0(VALU_DEP_1) | instskip(NEXT) | instid1(VALU_DEP_1)
	v_ldexp_f64 v[6:7], v[4:5], 0xffffffe0
	v_floor_f64_e32 v[6:7], v[6:7]
	s_delay_alu instid0(VALU_DEP_1) | instskip(SKIP_1) | instid1(VALU_DEP_2)
	v_fma_f64 v[4:5], 0xc1f00000, v[6:7], v[4:5]
	v_cvt_u32_f64_e32 v6, v[6:7]
	v_cvt_u32_f64_e32 v5, v[4:5]
	global_store_b64 v[9:10], v[5:6], off
.LBB497_1027:
	s_mov_b32 s4, 0
.LBB497_1028:
	s_delay_alu instid0(SALU_CYCLE_1)
	s_and_b32 vcc_lo, exec_lo, s4
	s_cbranch_vccz .LBB497_1043
; %bb.1029:
	v_cmp_gt_i16_e32 vcc_lo, 27, v11
	s_mov_b32 s4, -1
	s_cbranch_vccnz .LBB497_1035
; %bb.1030:
	v_cvt_u32_f64_e32 v4, v[0:1]
	v_cmp_lt_i16_e32 vcc_lo, 27, v11
	s_cbranch_vccz .LBB497_1032
; %bb.1031:
	s_mov_b32 s4, 0
	global_store_b32 v[9:10], v4, off
.LBB497_1032:
	s_and_not1_b32 vcc_lo, exec_lo, s4
	s_cbranch_vccnz .LBB497_1034
; %bb.1033:
	global_store_b16 v[9:10], v4, off
.LBB497_1034:
	s_mov_b32 s4, 0
.LBB497_1035:
	s_delay_alu instid0(SALU_CYCLE_1)
	s_and_not1_b32 vcc_lo, exec_lo, s4
	s_cbranch_vccnz .LBB497_1043
; %bb.1036:
	v_cvt_f32_f64_e32 v4, v[0:1]
	v_mov_b32_e32 v6, 0x80
	s_mov_b32 s4, exec_lo
	s_delay_alu instid0(VALU_DEP_2) | instskip(NEXT) | instid1(VALU_DEP_1)
	v_and_b32_e32 v5, 0x7fffffff, v4
	v_cmpx_gt_u32_e32 0x43800000, v5
	s_cbranch_execz .LBB497_1042
; %bb.1037:
	v_cmp_lt_u32_e32 vcc_lo, 0x3bffffff, v5
	s_mov_b32 s5, 0
                                        ; implicit-def: $vgpr5
	s_and_saveexec_b32 s7, vcc_lo
	s_delay_alu instid0(SALU_CYCLE_1)
	s_xor_b32 s7, exec_lo, s7
	s_cbranch_execz .LBB497_1345
; %bb.1038:
	v_bfe_u32 v5, v4, 20, 1
	s_mov_b32 s5, exec_lo
	s_delay_alu instid0(VALU_DEP_1) | instskip(NEXT) | instid1(VALU_DEP_1)
	v_add3_u32 v5, v4, v5, 0x487ffff
	v_lshrrev_b32_e32 v5, 20, v5
	s_or_saveexec_b32 s7, s7
                                        ; implicit-def: $sgpr8
	s_delay_alu instid0(SALU_CYCLE_1)
	s_xor_b32 exec_lo, exec_lo, s7
	s_cbranch_execnz .LBB497_1346
.LBB497_1039:
	s_or_b32 exec_lo, exec_lo, s7
	v_mov_b32_e32 v6, s8
	s_and_saveexec_b32 s7, s5
.LBB497_1040:
	v_lshrrev_b32_e32 v4, 24, v4
	s_delay_alu instid0(VALU_DEP_1)
	v_and_or_b32 v6, 0x80, v4, v5
.LBB497_1041:
	s_or_b32 exec_lo, exec_lo, s7
.LBB497_1042:
	s_delay_alu instid0(SALU_CYCLE_1)
	s_or_b32 exec_lo, exec_lo, s4
	global_store_b8 v[9:10], v6, off
.LBB497_1043:
	s_mov_b32 s4, 0
.LBB497_1044:
	s_delay_alu instid0(SALU_CYCLE_1)
	s_and_b32 vcc_lo, exec_lo, s4
	s_mov_b32 s4, 0
	s_cbranch_vccz .LBB497_1084
; %bb.1045:
	v_cmp_lt_i16_e32 vcc_lo, 22, v11
	s_mov_b32 s5, -1
	s_cbranch_vccz .LBB497_1077
; %bb.1046:
	v_cmp_gt_i16_e32 vcc_lo, 24, v11
	s_cbranch_vccnz .LBB497_1066
; %bb.1047:
	v_cmp_lt_i16_e32 vcc_lo, 24, v11
	s_cbranch_vccz .LBB497_1055
; %bb.1048:
	v_cvt_f32_f64_e32 v4, v[0:1]
	v_mov_b32_e32 v6, 0x80
	s_mov_b32 s5, exec_lo
	s_delay_alu instid0(VALU_DEP_2) | instskip(NEXT) | instid1(VALU_DEP_1)
	v_and_b32_e32 v5, 0x7fffffff, v4
	v_cmpx_gt_u32_e32 0x47800000, v5
	s_cbranch_execz .LBB497_1054
; %bb.1049:
	v_cmp_lt_u32_e32 vcc_lo, 0x37ffffff, v5
	s_mov_b32 s7, 0
                                        ; implicit-def: $vgpr5
	s_and_saveexec_b32 s8, vcc_lo
	s_delay_alu instid0(SALU_CYCLE_1)
	s_xor_b32 s8, exec_lo, s8
	s_cbranch_execz .LBB497_1390
; %bb.1050:
	v_bfe_u32 v5, v4, 21, 1
	s_mov_b32 s7, exec_lo
	s_delay_alu instid0(VALU_DEP_1) | instskip(NEXT) | instid1(VALU_DEP_1)
	v_add3_u32 v5, v4, v5, 0x88fffff
	v_lshrrev_b32_e32 v5, 21, v5
	s_or_saveexec_b32 s8, s8
                                        ; implicit-def: $sgpr9
	s_delay_alu instid0(SALU_CYCLE_1)
	s_xor_b32 exec_lo, exec_lo, s8
	s_cbranch_execnz .LBB497_1391
.LBB497_1051:
	s_or_b32 exec_lo, exec_lo, s8
	v_mov_b32_e32 v6, s9
	s_and_saveexec_b32 s8, s7
.LBB497_1052:
	v_lshrrev_b32_e32 v4, 24, v4
	s_delay_alu instid0(VALU_DEP_1)
	v_and_or_b32 v6, 0x80, v4, v5
.LBB497_1053:
	s_or_b32 exec_lo, exec_lo, s8
.LBB497_1054:
	s_delay_alu instid0(SALU_CYCLE_1)
	s_or_b32 exec_lo, exec_lo, s5
	s_mov_b32 s5, 0
	global_store_b8 v[9:10], v6, off
.LBB497_1055:
	s_and_b32 vcc_lo, exec_lo, s5
	s_cbranch_vccz .LBB497_1065
; %bb.1056:
	v_cvt_f32_f64_e32 v4, v[0:1]
	s_mov_b32 s5, exec_lo
                                        ; implicit-def: $vgpr5
	s_delay_alu instid0(VALU_DEP_1) | instskip(NEXT) | instid1(VALU_DEP_1)
	v_and_b32_e32 v6, 0x7fffffff, v4
	v_cmpx_gt_u32_e32 0x43f00000, v6
	s_xor_b32 s5, exec_lo, s5
	s_cbranch_execz .LBB497_1062
; %bb.1057:
	s_mov_b32 s7, exec_lo
                                        ; implicit-def: $vgpr5
	v_cmpx_lt_u32_e32 0x3c7fffff, v6
	s_xor_b32 s7, exec_lo, s7
; %bb.1058:
	v_bfe_u32 v5, v4, 20, 1
	s_delay_alu instid0(VALU_DEP_1) | instskip(NEXT) | instid1(VALU_DEP_1)
	v_add3_u32 v5, v4, v5, 0x407ffff
	v_and_b32_e32 v6, 0xff00000, v5
	v_lshrrev_b32_e32 v5, 20, v5
	s_delay_alu instid0(VALU_DEP_2) | instskip(NEXT) | instid1(VALU_DEP_2)
	v_cmp_ne_u32_e32 vcc_lo, 0x7f00000, v6
	v_cndmask_b32_e32 v5, 0x7e, v5, vcc_lo
; %bb.1059:
	s_and_not1_saveexec_b32 s7, s7
; %bb.1060:
	v_add_f32_e64 v5, 0x46800000, |v4|
; %bb.1061:
	s_or_b32 exec_lo, exec_lo, s7
                                        ; implicit-def: $vgpr6
.LBB497_1062:
	s_and_not1_saveexec_b32 s5, s5
; %bb.1063:
	v_mov_b32_e32 v5, 0x7f
	v_cmp_lt_u32_e32 vcc_lo, 0x7f800000, v6
	s_delay_alu instid0(VALU_DEP_2)
	v_cndmask_b32_e32 v5, 0x7e, v5, vcc_lo
; %bb.1064:
	s_or_b32 exec_lo, exec_lo, s5
	v_lshrrev_b32_e32 v4, 24, v4
	s_delay_alu instid0(VALU_DEP_1)
	v_and_or_b32 v4, 0x80, v4, v5
	global_store_b8 v[9:10], v4, off
.LBB497_1065:
	s_mov_b32 s5, 0
.LBB497_1066:
	s_delay_alu instid0(SALU_CYCLE_1)
	s_and_not1_b32 vcc_lo, exec_lo, s5
	s_cbranch_vccnz .LBB497_1076
; %bb.1067:
	v_cvt_f32_f64_e32 v4, v[0:1]
	s_mov_b32 s5, exec_lo
                                        ; implicit-def: $vgpr5
	s_delay_alu instid0(VALU_DEP_1) | instskip(NEXT) | instid1(VALU_DEP_1)
	v_and_b32_e32 v6, 0x7fffffff, v4
	v_cmpx_gt_u32_e32 0x47800000, v6
	s_xor_b32 s5, exec_lo, s5
	s_cbranch_execz .LBB497_1073
; %bb.1068:
	s_mov_b32 s7, exec_lo
                                        ; implicit-def: $vgpr5
	v_cmpx_lt_u32_e32 0x387fffff, v6
	s_xor_b32 s7, exec_lo, s7
; %bb.1069:
	v_bfe_u32 v5, v4, 21, 1
	s_delay_alu instid0(VALU_DEP_1) | instskip(NEXT) | instid1(VALU_DEP_1)
	v_add3_u32 v5, v4, v5, 0x80fffff
	v_lshrrev_b32_e32 v5, 21, v5
; %bb.1070:
	s_and_not1_saveexec_b32 s7, s7
; %bb.1071:
	v_add_f32_e64 v5, 0x43000000, |v4|
; %bb.1072:
	s_or_b32 exec_lo, exec_lo, s7
                                        ; implicit-def: $vgpr6
.LBB497_1073:
	s_and_not1_saveexec_b32 s5, s5
; %bb.1074:
	v_mov_b32_e32 v5, 0x7f
	v_cmp_lt_u32_e32 vcc_lo, 0x7f800000, v6
	s_delay_alu instid0(VALU_DEP_2)
	v_cndmask_b32_e32 v5, 0x7c, v5, vcc_lo
; %bb.1075:
	s_or_b32 exec_lo, exec_lo, s5
	v_lshrrev_b32_e32 v4, 24, v4
	s_delay_alu instid0(VALU_DEP_1)
	v_and_or_b32 v4, 0x80, v4, v5
	global_store_b8 v[9:10], v4, off
.LBB497_1076:
	s_mov_b32 s5, 0
.LBB497_1077:
	s_delay_alu instid0(SALU_CYCLE_1)
	s_and_not1_b32 vcc_lo, exec_lo, s5
	s_mov_b32 s8, 0
	s_cbranch_vccnz .LBB497_1085
; %bb.1078:
	v_cmp_lt_i16_e32 vcc_lo, 14, v11
	s_mov_b32 s5, -1
	s_cbranch_vccz .LBB497_1082
; %bb.1079:
	v_cmp_eq_u16_e32 vcc_lo, 15, v11
	s_mov_b32 s2, -1
	s_cbranch_vccz .LBB497_1081
; %bb.1080:
	v_cvt_f32_f64_e32 v4, v[0:1]
	s_mov_b32 s2, 0
	s_delay_alu instid0(VALU_DEP_1) | instskip(SKIP_1) | instid1(VALU_DEP_2)
	v_bfe_u32 v5, v4, 16, 1
	v_cmp_o_f32_e32 vcc_lo, v4, v4
	v_add3_u32 v5, v4, v5, 0x7fff
	s_delay_alu instid0(VALU_DEP_1) | instskip(NEXT) | instid1(VALU_DEP_1)
	v_lshrrev_b32_e32 v5, 16, v5
	v_cndmask_b32_e32 v4, 0x7fc0, v5, vcc_lo
	global_store_b16 v[9:10], v4, off
.LBB497_1081:
	s_mov_b32 s5, 0
.LBB497_1082:
	s_delay_alu instid0(SALU_CYCLE_1)
	s_and_b32 vcc_lo, exec_lo, s5
	s_cbranch_vccz .LBB497_1085
; %bb.1083:
	v_cmp_ne_u16_e32 vcc_lo, 11, v11
	s_and_not1_b32 s2, s2, exec_lo
	s_mov_b32 s8, -1
	s_and_b32 s5, vcc_lo, exec_lo
	s_delay_alu instid0(SALU_CYCLE_1)
	s_or_b32 s2, s2, s5
	s_branch .LBB497_1085
.LBB497_1084:
	s_mov_b32 s8, 0
.LBB497_1085:
	s_and_b32 s7, s4, exec_lo
	s_and_not1_b32 s4, s41, exec_lo
	s_and_b32 s5, s2, exec_lo
	s_and_b32 s2, s8, exec_lo
	s_or_b32 s41, s4, s5
.LBB497_1086:
	s_or_b32 exec_lo, exec_lo, s3
	s_and_saveexec_b32 s3, s41
	s_cbranch_execnz .LBB497_1201
; %bb.1087:
	s_or_b32 exec_lo, exec_lo, s3
	s_and_saveexec_b32 s3, s2
	s_delay_alu instid0(SALU_CYCLE_1)
	s_xor_b32 s3, exec_lo, s3
	s_cbranch_execz .LBB497_1089
.LBB497_1088:
	v_cmp_neq_f64_e32 vcc_lo, 0, v[0:1]
	s_waitcnt vmcnt(0)
	v_cmp_neq_f64_e64 s2, 0, v[2:3]
	s_delay_alu instid0(VALU_DEP_1) | instskip(NEXT) | instid1(SALU_CYCLE_1)
	s_or_b32 s2, vcc_lo, s2
	v_cndmask_b32_e64 v4, 0, 1, s2
	global_store_b8 v[9:10], v4, off
.LBB497_1089:
	s_or_b32 exec_lo, exec_lo, s3
	s_and_saveexec_b32 s2, s7
	s_delay_alu instid0(SALU_CYCLE_1)
	s_xor_b32 s2, exec_lo, s2
	s_cbranch_execz .LBB497_1127
; %bb.1090:
	v_cmp_gt_i16_e32 vcc_lo, 5, v11
	s_mov_b32 s3, -1
	s_cbranch_vccnz .LBB497_1111
; %bb.1091:
	v_cmp_gt_i16_e32 vcc_lo, 8, v11
	s_cbranch_vccnz .LBB497_1101
; %bb.1092:
	v_cmp_gt_i16_e32 vcc_lo, 9, v11
	s_cbranch_vccnz .LBB497_1098
; %bb.1093:
	v_cmp_lt_i16_e32 vcc_lo, 9, v11
	s_cbranch_vccz .LBB497_1095
; %bb.1094:
	s_mov_b32 s3, 0
	s_waitcnt vmcnt(0)
	global_store_b128 v[9:10], v[0:3], off
.LBB497_1095:
	s_and_not1_b32 vcc_lo, exec_lo, s3
	s_cbranch_vccnz .LBB497_1097
; %bb.1096:
	s_waitcnt vmcnt(0)
	v_cvt_f32_f64_e32 v4, v[0:1]
	v_cvt_f32_f64_e32 v5, v[2:3]
	global_store_b64 v[9:10], v[4:5], off
.LBB497_1097:
	s_mov_b32 s3, 0
.LBB497_1098:
	s_delay_alu instid0(SALU_CYCLE_1)
	s_and_not1_b32 vcc_lo, exec_lo, s3
	s_cbranch_vccnz .LBB497_1100
; %bb.1099:
	s_waitcnt vmcnt(0)
	v_cvt_f32_f64_e32 v2, v[2:3]
	v_cvt_f32_f64_e32 v3, v[0:1]
	s_delay_alu instid0(VALU_DEP_2) | instskip(NEXT) | instid1(VALU_DEP_2)
	v_cvt_f16_f32_e32 v2, v2
	v_cvt_f16_f32_e32 v3, v3
	s_delay_alu instid0(VALU_DEP_2) | instskip(NEXT) | instid1(VALU_DEP_2)
	v_lshlrev_b32_e32 v2, 16, v2
	v_and_b32_e32 v3, 0xffff, v3
	s_delay_alu instid0(VALU_DEP_1)
	v_or_b32_e32 v2, v2, v3
	global_store_b32 v[9:10], v2, off
.LBB497_1100:
	s_mov_b32 s3, 0
.LBB497_1101:
	s_delay_alu instid0(SALU_CYCLE_1)
	s_and_not1_b32 vcc_lo, exec_lo, s3
	s_cbranch_vccnz .LBB497_1110
; %bb.1102:
	v_cmp_gt_i16_e32 vcc_lo, 6, v11
	s_mov_b32 s3, -1
	s_cbranch_vccnz .LBB497_1108
; %bb.1103:
	v_cmp_lt_i16_e32 vcc_lo, 6, v11
	s_cbranch_vccz .LBB497_1105
; %bb.1104:
	s_mov_b32 s3, 0
	global_store_b64 v[9:10], v[0:1], off
.LBB497_1105:
	s_and_not1_b32 vcc_lo, exec_lo, s3
	s_cbranch_vccnz .LBB497_1107
; %bb.1106:
	s_waitcnt vmcnt(0)
	v_cvt_f32_f64_e32 v2, v[0:1]
	global_store_b32 v[9:10], v2, off
.LBB497_1107:
	s_mov_b32 s3, 0
.LBB497_1108:
	s_delay_alu instid0(SALU_CYCLE_1)
	s_and_not1_b32 vcc_lo, exec_lo, s3
	s_cbranch_vccnz .LBB497_1110
; %bb.1109:
	s_waitcnt vmcnt(0)
	v_cvt_f32_f64_e32 v2, v[0:1]
	s_delay_alu instid0(VALU_DEP_1)
	v_cvt_f16_f32_e32 v2, v2
	global_store_b16 v[9:10], v2, off
.LBB497_1110:
	s_mov_b32 s3, 0
.LBB497_1111:
	s_delay_alu instid0(SALU_CYCLE_1)
	s_and_not1_b32 vcc_lo, exec_lo, s3
	s_cbranch_vccnz .LBB497_1127
; %bb.1112:
	v_cmp_gt_i16_e32 vcc_lo, 2, v11
	s_mov_b32 s3, -1
	s_cbranch_vccnz .LBB497_1122
; %bb.1113:
	v_cmp_gt_i16_e32 vcc_lo, 3, v11
	s_cbranch_vccnz .LBB497_1119
; %bb.1114:
	v_cmp_lt_i16_e32 vcc_lo, 3, v11
	s_cbranch_vccz .LBB497_1116
; %bb.1115:
	s_waitcnt vmcnt(0)
	v_trunc_f64_e32 v[2:3], v[0:1]
	s_mov_b32 s3, 0
	s_delay_alu instid0(VALU_DEP_1) | instskip(NEXT) | instid1(VALU_DEP_1)
	v_ldexp_f64 v[4:5], v[2:3], 0xffffffe0
	v_floor_f64_e32 v[4:5], v[4:5]
	s_delay_alu instid0(VALU_DEP_1) | instskip(SKIP_1) | instid1(VALU_DEP_2)
	v_fma_f64 v[2:3], 0xc1f00000, v[4:5], v[2:3]
	v_cvt_i32_f64_e32 v4, v[4:5]
	v_cvt_u32_f64_e32 v3, v[2:3]
	global_store_b64 v[9:10], v[3:4], off
.LBB497_1116:
	s_and_not1_b32 vcc_lo, exec_lo, s3
	s_cbranch_vccnz .LBB497_1118
; %bb.1117:
	s_waitcnt vmcnt(0)
	v_cvt_i32_f64_e32 v2, v[0:1]
	global_store_b32 v[9:10], v2, off
.LBB497_1118:
	s_mov_b32 s3, 0
.LBB497_1119:
	s_delay_alu instid0(SALU_CYCLE_1)
	s_and_not1_b32 vcc_lo, exec_lo, s3
	s_cbranch_vccnz .LBB497_1121
; %bb.1120:
	s_waitcnt vmcnt(0)
	v_cvt_i32_f64_e32 v2, v[0:1]
	global_store_b16 v[9:10], v2, off
.LBB497_1121:
	s_mov_b32 s3, 0
.LBB497_1122:
	s_delay_alu instid0(SALU_CYCLE_1)
	s_and_not1_b32 vcc_lo, exec_lo, s3
	s_cbranch_vccnz .LBB497_1127
; %bb.1123:
	v_cmp_lt_i16_e32 vcc_lo, 0, v11
	s_mov_b32 s3, -1
	s_cbranch_vccz .LBB497_1125
; %bb.1124:
	s_waitcnt vmcnt(0)
	v_cvt_i32_f64_e32 v2, v[0:1]
	s_mov_b32 s3, 0
	global_store_b8 v[9:10], v2, off
.LBB497_1125:
	s_and_not1_b32 vcc_lo, exec_lo, s3
	s_cbranch_vccnz .LBB497_1127
; %bb.1126:
	v_trunc_f64_e32 v[0:1], v[0:1]
	s_waitcnt vmcnt(0)
	s_delay_alu instid0(VALU_DEP_1) | instskip(NEXT) | instid1(VALU_DEP_1)
	v_ldexp_f64 v[2:3], v[0:1], 0xffffffe0
	v_floor_f64_e32 v[2:3], v[2:3]
	s_delay_alu instid0(VALU_DEP_1) | instskip(NEXT) | instid1(VALU_DEP_1)
	v_fma_f64 v[0:1], 0xc1f00000, v[2:3], v[0:1]
	v_cvt_u32_f64_e32 v0, v[0:1]
	global_store_b8 v[9:10], v0, off
.LBB497_1127:
	s_or_b32 exec_lo, exec_lo, s2
	s_delay_alu instid0(SALU_CYCLE_1)
	s_and_b32 s14, s6, exec_lo
                                        ; implicit-def: $vgpr2
                                        ; implicit-def: $vgpr10
.LBB497_1128:
	s_or_saveexec_b32 s15, s35
	s_mov_b32 s3, 0
                                        ; implicit-def: $vgpr0_vgpr1
                                        ; implicit-def: $sgpr2
                                        ; implicit-def: $vgpr14_vgpr15
	s_xor_b32 exec_lo, exec_lo, s15
	s_cbranch_execz .LBB497_1773
; %bb.1129:
	v_cndmask_b32_e64 v1, 0, 1, s34
	s_and_not1_b32 vcc_lo, exec_lo, s34
	s_cbranch_vccnz .LBB497_1135
; %bb.1130:
	v_dual_mov_b32 v21, 0 :: v_dual_mov_b32 v0, 0
	s_cmp_lg_u32 s30, 0
	s_mov_b32 s6, 0
	s_cbranch_scc0 .LBB497_1139
; %bb.1131:
	s_min_u32 s7, s31, 15
	v_mov_b32_e32 v21, 0
	s_add_i32 s7, s7, 1
	s_cmp_eq_u32 s31, 2
	s_mov_b32 s8, 0
	s_cbranch_scc1 .LBB497_1136
; %bb.1132:
	v_dual_mov_b32 v0, 0 :: v_dual_mov_b32 v21, 0
	s_waitcnt vmcnt(0)
	v_mov_b32_e32 v3, v10
	s_add_u32 s2, s20, 0xc4
	s_addc_u32 s3, s21, 0
	s_and_b32 s8, s7, 28
	s_mov_b32 s9, 0
	s_mov_b64 s[4:5], s[20:21]
.LBB497_1133:                           ; =>This Inner Loop Header: Depth=1
	s_clause 0x1
	s_load_b256 s[36:43], s[4:5], 0x4
	s_load_b128 s[16:19], s[4:5], 0x24
	s_load_b256 s[44:51], s[2:3], 0x0
	s_add_u32 s4, s4, 48
	s_addc_u32 s5, s5, 0
	s_add_i32 s9, s9, 4
	s_add_u32 s2, s2, 32
	s_addc_u32 s3, s3, 0
	s_cmp_lg_u32 s8, s9
	s_waitcnt lgkmcnt(0)
	v_mul_hi_u32 v4, s37, v3
	s_delay_alu instid0(VALU_DEP_1) | instskip(NEXT) | instid1(VALU_DEP_1)
	v_add_nc_u32_e32 v4, v3, v4
	v_lshrrev_b32_e32 v4, s38, v4
	s_delay_alu instid0(VALU_DEP_1) | instskip(SKIP_1) | instid1(VALU_DEP_2)
	v_mul_hi_u32 v5, s40, v4
	v_mul_lo_u32 v7, v4, s36
	v_add_nc_u32_e32 v5, v4, v5
	s_delay_alu instid0(VALU_DEP_2) | instskip(NEXT) | instid1(VALU_DEP_2)
	v_sub_nc_u32_e32 v3, v3, v7
	v_lshrrev_b32_e32 v5, s41, v5
	s_delay_alu instid0(VALU_DEP_2) | instskip(SKIP_1) | instid1(VALU_DEP_3)
	v_mul_lo_u32 v7, v3, s44
	v_mul_lo_u32 v9, v3, s45
	v_mul_hi_u32 v6, s43, v5
	s_delay_alu instid0(VALU_DEP_1) | instskip(NEXT) | instid1(VALU_DEP_1)
	v_add_nc_u32_e32 v6, v5, v6
	v_lshrrev_b32_e32 v6, s16, v6
	s_delay_alu instid0(VALU_DEP_1) | instskip(SKIP_1) | instid1(VALU_DEP_2)
	v_mul_hi_u32 v8, s18, v6
	v_mul_lo_u32 v11, v6, s42
	v_add_nc_u32_e32 v3, v6, v8
	v_mul_lo_u32 v8, v5, s39
	s_delay_alu instid0(VALU_DEP_3) | instskip(NEXT) | instid1(VALU_DEP_3)
	v_sub_nc_u32_e32 v5, v5, v11
	v_lshrrev_b32_e32 v3, s19, v3
	s_delay_alu instid0(VALU_DEP_2) | instskip(SKIP_2) | instid1(VALU_DEP_4)
	v_mul_lo_u32 v11, v5, s48
	v_mul_lo_u32 v5, v5, s49
	v_sub_nc_u32_e32 v4, v4, v8
	v_mul_lo_u32 v12, v3, s17
	s_delay_alu instid0(VALU_DEP_2) | instskip(SKIP_1) | instid1(VALU_DEP_3)
	v_mul_lo_u32 v8, v4, s46
	v_mul_lo_u32 v4, v4, s47
	v_sub_nc_u32_e32 v6, v6, v12
	s_delay_alu instid0(VALU_DEP_3) | instskip(NEXT) | instid1(VALU_DEP_2)
	v_add3_u32 v7, v7, v21, v8
	v_mul_lo_u32 v12, v6, s50
	v_mul_lo_u32 v6, v6, s51
	v_add3_u32 v0, v9, v0, v4
	s_delay_alu instid0(VALU_DEP_3) | instskip(NEXT) | instid1(VALU_DEP_2)
	v_add3_u32 v21, v11, v7, v12
	v_add3_u32 v0, v5, v0, v6
	s_cbranch_scc1 .LBB497_1133
; %bb.1134:
	s_and_b32 s7, s7, 3
	s_delay_alu instid0(SALU_CYCLE_1)
	s_cmp_eq_u32 s7, 0
	s_cbranch_scc0 .LBB497_1137
	s_branch .LBB497_1139
.LBB497_1135:
	s_mov_b32 s6, -1
                                        ; implicit-def: $vgpr21
                                        ; implicit-def: $vgpr0
	s_branch .LBB497_1139
.LBB497_1136:
	s_waitcnt vmcnt(0)
	v_dual_mov_b32 v3, v10 :: v_dual_mov_b32 v0, 0
	s_and_b32 s7, s7, 3
	s_delay_alu instid0(SALU_CYCLE_1)
	s_cmp_eq_u32 s7, 0
	s_cbranch_scc1 .LBB497_1139
.LBB497_1137:
	s_lshl_b32 s2, s8, 3
	s_mul_i32 s4, s8, 12
	s_add_u32 s2, s2, s20
	s_addc_u32 s3, 0, s21
	s_add_u32 s2, s2, 0xc4
	s_addc_u32 s3, s3, 0
	;; [unrolled: 2-line block ×3, first 2 shown]
	.p2align	6
.LBB497_1138:                           ; =>This Inner Loop Header: Depth=1
	s_clause 0x1
	s_load_b64 s[8:9], s[4:5], 0x4
	s_load_b32 s12, s[4:5], 0xc
	s_load_b64 s[10:11], s[2:3], 0x0
	s_add_u32 s4, s4, 12
	s_addc_u32 s5, s5, 0
	s_add_u32 s2, s2, 8
	s_addc_u32 s3, s3, 0
	s_add_i32 s7, s7, -1
	s_delay_alu instid0(SALU_CYCLE_1) | instskip(SKIP_2) | instid1(VALU_DEP_1)
	s_cmp_lg_u32 s7, 0
	s_waitcnt lgkmcnt(0)
	v_mul_hi_u32 v4, s9, v3
	v_add_nc_u32_e32 v4, v3, v4
	s_delay_alu instid0(VALU_DEP_1) | instskip(NEXT) | instid1(VALU_DEP_1)
	v_lshrrev_b32_e32 v7, s12, v4
	v_mul_lo_u32 v4, v7, s8
	s_delay_alu instid0(VALU_DEP_1) | instskip(NEXT) | instid1(VALU_DEP_1)
	v_sub_nc_u32_e32 v3, v3, v4
	v_mad_u64_u32 v[4:5], null, v3, s10, v[21:22]
	v_mad_u64_u32 v[5:6], null, v3, s11, v[0:1]
	v_mov_b32_e32 v3, v7
	s_delay_alu instid0(VALU_DEP_2)
	v_dual_mov_b32 v21, v4 :: v_dual_mov_b32 v0, v5
	s_cbranch_scc1 .LBB497_1138
.LBB497_1139:
	s_and_not1_b32 vcc_lo, exec_lo, s6
	s_cbranch_vccnz .LBB497_1142
; %bb.1140:
	s_clause 0x1
	s_load_b128 s[4:7], s[20:21], 0x4
	s_load_b64 s[2:3], s[20:21], 0xc4
	s_cmp_lt_u32 s30, 2
	s_waitcnt lgkmcnt(0)
	v_mul_hi_u32 v0, s5, v10
	s_delay_alu instid0(VALU_DEP_1) | instskip(SKIP_1) | instid1(VALU_DEP_1)
	v_add_nc_u32_e32 v0, v10, v0
	s_waitcnt vmcnt(0)
	v_lshrrev_b32_e32 v3, s6, v0
	s_delay_alu instid0(VALU_DEP_1) | instskip(NEXT) | instid1(VALU_DEP_1)
	v_mul_lo_u32 v0, v3, s4
	v_sub_nc_u32_e32 v0, v10, v0
	s_delay_alu instid0(VALU_DEP_1)
	v_mul_lo_u32 v21, v0, s2
	v_mul_lo_u32 v0, v0, s3
	s_cbranch_scc1 .LBB497_1142
; %bb.1141:
	s_clause 0x1
	s_load_b128 s[4:7], s[20:21], 0x10
	s_load_b64 s[2:3], s[20:21], 0xcc
	s_waitcnt lgkmcnt(0)
	v_mul_hi_u32 v4, s5, v3
	s_delay_alu instid0(VALU_DEP_1) | instskip(NEXT) | instid1(VALU_DEP_1)
	v_add_nc_u32_e32 v4, v3, v4
	v_lshrrev_b32_e32 v4, s6, v4
	s_delay_alu instid0(VALU_DEP_1) | instskip(NEXT) | instid1(VALU_DEP_1)
	v_mul_lo_u32 v4, v4, s4
	v_sub_nc_u32_e32 v6, v3, v4
	s_delay_alu instid0(VALU_DEP_1) | instskip(SKIP_1) | instid1(VALU_DEP_1)
	v_mad_u64_u32 v[3:4], null, v6, s2, v[21:22]
	v_mad_u64_u32 v[4:5], null, v6, s3, v[0:1]
	v_dual_mov_b32 v21, v3 :: v_dual_mov_b32 v0, v4
.LBB497_1142:
	v_cmp_ne_u32_e32 vcc_lo, 1, v1
	s_waitcnt vmcnt(0)
	v_add_nc_u32_e32 v3, 0x80, v10
	s_cbranch_vccnz .LBB497_1148
; %bb.1143:
	v_mov_b32_e32 v20, 0
	v_mov_b32_e32 v6, 0
	s_cmp_lg_u32 s30, 0
	s_mov_b32 s6, 0
	s_cbranch_scc0 .LBB497_1152
; %bb.1144:
	s_min_u32 s7, s31, 15
	v_mov_b32_e32 v20, 0
	s_add_i32 s7, s7, 1
	s_cmp_eq_u32 s31, 2
	s_mov_b32 s8, 0
	s_cbranch_scc1 .LBB497_1149
; %bb.1145:
	v_mov_b32_e32 v6, 0
	v_mov_b32_e32 v20, 0
	;; [unrolled: 1-line block ×3, first 2 shown]
	s_add_u32 s2, s20, 0xc4
	s_addc_u32 s3, s21, 0
	s_and_b32 s8, s7, 28
	s_mov_b32 s9, 0
	s_mov_b64 s[4:5], s[20:21]
.LBB497_1146:                           ; =>This Inner Loop Header: Depth=1
	s_clause 0x1
	s_load_b256 s[36:43], s[4:5], 0x4
	s_load_b128 s[16:19], s[4:5], 0x24
	s_load_b256 s[44:51], s[2:3], 0x0
	s_add_u32 s4, s4, 48
	s_addc_u32 s5, s5, 0
	s_add_i32 s9, s9, 4
	s_add_u32 s2, s2, 32
	s_addc_u32 s3, s3, 0
	s_cmp_lg_u32 s8, s9
	s_waitcnt lgkmcnt(0)
	v_mul_hi_u32 v5, s37, v4
	s_delay_alu instid0(VALU_DEP_1) | instskip(NEXT) | instid1(VALU_DEP_1)
	v_add_nc_u32_e32 v5, v4, v5
	v_lshrrev_b32_e32 v5, s38, v5
	s_delay_alu instid0(VALU_DEP_1) | instskip(SKIP_1) | instid1(VALU_DEP_2)
	v_mul_hi_u32 v7, s40, v5
	v_mul_lo_u32 v9, v5, s36
	v_add_nc_u32_e32 v7, v5, v7
	s_delay_alu instid0(VALU_DEP_2) | instskip(NEXT) | instid1(VALU_DEP_2)
	v_sub_nc_u32_e32 v4, v4, v9
	v_lshrrev_b32_e32 v7, s41, v7
	s_delay_alu instid0(VALU_DEP_2) | instskip(SKIP_1) | instid1(VALU_DEP_3)
	v_mul_lo_u32 v9, v4, s44
	v_mul_lo_u32 v12, v4, s45
	v_mul_hi_u32 v8, s43, v7
	s_delay_alu instid0(VALU_DEP_1) | instskip(NEXT) | instid1(VALU_DEP_1)
	v_add_nc_u32_e32 v8, v7, v8
	v_lshrrev_b32_e32 v8, s16, v8
	s_delay_alu instid0(VALU_DEP_1) | instskip(SKIP_1) | instid1(VALU_DEP_2)
	v_mul_hi_u32 v11, s18, v8
	v_mul_lo_u32 v13, v8, s42
	v_add_nc_u32_e32 v4, v8, v11
	v_mul_lo_u32 v11, v7, s39
	s_delay_alu instid0(VALU_DEP_3) | instskip(NEXT) | instid1(VALU_DEP_3)
	v_sub_nc_u32_e32 v7, v7, v13
	v_lshrrev_b32_e32 v4, s19, v4
	s_delay_alu instid0(VALU_DEP_2) | instskip(SKIP_2) | instid1(VALU_DEP_4)
	v_mul_lo_u32 v13, v7, s48
	v_mul_lo_u32 v7, v7, s49
	v_sub_nc_u32_e32 v5, v5, v11
	v_mul_lo_u32 v14, v4, s17
	s_delay_alu instid0(VALU_DEP_2) | instskip(SKIP_1) | instid1(VALU_DEP_3)
	v_mul_lo_u32 v11, v5, s46
	v_mul_lo_u32 v5, v5, s47
	v_sub_nc_u32_e32 v8, v8, v14
	s_delay_alu instid0(VALU_DEP_3) | instskip(NEXT) | instid1(VALU_DEP_2)
	v_add3_u32 v9, v9, v20, v11
	v_mul_lo_u32 v14, v8, s50
	v_mul_lo_u32 v8, v8, s51
	v_add3_u32 v5, v12, v6, v5
	s_delay_alu instid0(VALU_DEP_3) | instskip(NEXT) | instid1(VALU_DEP_2)
	v_add3_u32 v20, v13, v9, v14
	v_add3_u32 v6, v7, v5, v8
	s_cbranch_scc1 .LBB497_1146
; %bb.1147:
	s_and_b32 s7, s7, 3
	s_delay_alu instid0(SALU_CYCLE_1)
	s_cmp_eq_u32 s7, 0
	s_cbranch_scc0 .LBB497_1150
	s_branch .LBB497_1152
.LBB497_1148:
	s_mov_b32 s6, -1
                                        ; implicit-def: $vgpr20
                                        ; implicit-def: $vgpr6
	s_branch .LBB497_1152
.LBB497_1149:
	v_mov_b32_e32 v4, v3
	v_mov_b32_e32 v6, 0
	s_and_b32 s7, s7, 3
	s_delay_alu instid0(SALU_CYCLE_1)
	s_cmp_eq_u32 s7, 0
	s_cbranch_scc1 .LBB497_1152
.LBB497_1150:
	s_lshl_b32 s2, s8, 3
	s_mul_i32 s4, s8, 12
	s_add_u32 s2, s2, s20
	s_addc_u32 s3, 0, s21
	s_add_u32 s2, s2, 0xc4
	s_addc_u32 s3, s3, 0
	s_add_u32 s4, s20, s4
	s_addc_u32 s5, 0, s21
	.p2align	6
.LBB497_1151:                           ; =>This Inner Loop Header: Depth=1
	s_clause 0x1
	s_load_b64 s[8:9], s[4:5], 0x4
	s_load_b32 s12, s[4:5], 0xc
	s_load_b64 s[10:11], s[2:3], 0x0
	s_add_u32 s4, s4, 12
	s_addc_u32 s5, s5, 0
	s_add_u32 s2, s2, 8
	s_addc_u32 s3, s3, 0
	s_add_i32 s7, s7, -1
	s_delay_alu instid0(SALU_CYCLE_1) | instskip(SKIP_2) | instid1(VALU_DEP_1)
	s_cmp_lg_u32 s7, 0
	s_waitcnt lgkmcnt(0)
	v_mul_hi_u32 v5, s9, v4
	v_add_nc_u32_e32 v5, v4, v5
	s_delay_alu instid0(VALU_DEP_1) | instskip(NEXT) | instid1(VALU_DEP_1)
	v_lshrrev_b32_e32 v5, s12, v5
	v_mul_lo_u32 v7, v5, s8
	s_delay_alu instid0(VALU_DEP_1) | instskip(NEXT) | instid1(VALU_DEP_1)
	v_sub_nc_u32_e32 v4, v4, v7
	v_mad_u64_u32 v[7:8], null, v4, s10, v[20:21]
	s_delay_alu instid0(VALU_DEP_1) | instskip(SKIP_2) | instid1(VALU_DEP_2)
	v_mov_b32_e32 v20, v7
	v_mad_u64_u32 v[8:9], null, v4, s11, v[6:7]
	v_mov_b32_e32 v4, v5
	v_mov_b32_e32 v6, v8
	s_cbranch_scc1 .LBB497_1151
.LBB497_1152:
	s_and_not1_b32 vcc_lo, exec_lo, s6
	s_cbranch_vccnz .LBB497_1155
; %bb.1153:
	s_clause 0x1
	s_load_b128 s[4:7], s[20:21], 0x4
	s_load_b64 s[2:3], s[20:21], 0xc4
	s_cmp_lt_u32 s30, 2
	s_waitcnt lgkmcnt(0)
	v_mul_hi_u32 v4, s5, v3
	s_delay_alu instid0(VALU_DEP_1) | instskip(NEXT) | instid1(VALU_DEP_1)
	v_add_nc_u32_e32 v4, v3, v4
	v_lshrrev_b32_e32 v4, s6, v4
	s_delay_alu instid0(VALU_DEP_1) | instskip(NEXT) | instid1(VALU_DEP_1)
	v_mul_lo_u32 v5, v4, s4
	v_sub_nc_u32_e32 v3, v3, v5
	s_delay_alu instid0(VALU_DEP_1)
	v_mul_lo_u32 v20, v3, s2
	v_mul_lo_u32 v6, v3, s3
	s_cbranch_scc1 .LBB497_1155
; %bb.1154:
	s_clause 0x1
	s_load_b128 s[4:7], s[20:21], 0x10
	s_load_b64 s[2:3], s[20:21], 0xcc
	s_waitcnt lgkmcnt(0)
	v_mul_hi_u32 v3, s5, v4
	s_delay_alu instid0(VALU_DEP_1) | instskip(NEXT) | instid1(VALU_DEP_1)
	v_add_nc_u32_e32 v3, v4, v3
	v_lshrrev_b32_e32 v3, s6, v3
	s_delay_alu instid0(VALU_DEP_1) | instskip(NEXT) | instid1(VALU_DEP_1)
	v_mul_lo_u32 v3, v3, s4
	v_sub_nc_u32_e32 v7, v4, v3
	s_delay_alu instid0(VALU_DEP_1) | instskip(SKIP_1) | instid1(VALU_DEP_2)
	v_mad_u64_u32 v[3:4], null, v7, s2, v[20:21]
	v_mad_u64_u32 v[4:5], null, v7, s3, v[6:7]
	v_mov_b32_e32 v20, v3
	s_delay_alu instid0(VALU_DEP_2)
	v_mov_b32_e32 v6, v4
.LBB497_1155:
	v_cmp_ne_u32_e32 vcc_lo, 1, v1
	v_add_nc_u32_e32 v3, 0x100, v10
	s_cbranch_vccnz .LBB497_1161
; %bb.1156:
	v_dual_mov_b32 v19, 0 :: v_dual_mov_b32 v10, 0
	s_cmp_lg_u32 s30, 0
	s_mov_b32 s6, 0
	s_cbranch_scc0 .LBB497_1165
; %bb.1157:
	s_min_u32 s7, s31, 15
	v_mov_b32_e32 v19, 0
	s_add_i32 s7, s7, 1
	s_cmp_eq_u32 s31, 2
	s_mov_b32 s8, 0
	s_cbranch_scc1 .LBB497_1162
; %bb.1158:
	v_dual_mov_b32 v10, 0 :: v_dual_mov_b32 v19, 0
	v_mov_b32_e32 v4, v3
	s_add_u32 s2, s20, 0xc4
	s_addc_u32 s3, s21, 0
	s_and_b32 s8, s7, 28
	s_mov_b32 s9, 0
	s_mov_b64 s[4:5], s[20:21]
.LBB497_1159:                           ; =>This Inner Loop Header: Depth=1
	s_clause 0x1
	s_load_b256 s[36:43], s[4:5], 0x4
	s_load_b128 s[16:19], s[4:5], 0x24
	s_load_b256 s[44:51], s[2:3], 0x0
	s_add_u32 s4, s4, 48
	s_addc_u32 s5, s5, 0
	s_add_i32 s9, s9, 4
	s_add_u32 s2, s2, 32
	s_addc_u32 s3, s3, 0
	s_cmp_lg_u32 s8, s9
	s_waitcnt lgkmcnt(0)
	v_mul_hi_u32 v5, s37, v4
	s_delay_alu instid0(VALU_DEP_1) | instskip(NEXT) | instid1(VALU_DEP_1)
	v_add_nc_u32_e32 v5, v4, v5
	v_lshrrev_b32_e32 v5, s38, v5
	s_delay_alu instid0(VALU_DEP_1) | instskip(SKIP_1) | instid1(VALU_DEP_2)
	v_mul_hi_u32 v7, s40, v5
	v_mul_lo_u32 v9, v5, s36
	v_add_nc_u32_e32 v7, v5, v7
	s_delay_alu instid0(VALU_DEP_2) | instskip(NEXT) | instid1(VALU_DEP_2)
	v_sub_nc_u32_e32 v4, v4, v9
	v_lshrrev_b32_e32 v7, s41, v7
	s_delay_alu instid0(VALU_DEP_2) | instskip(SKIP_1) | instid1(VALU_DEP_3)
	v_mul_lo_u32 v9, v4, s44
	v_mul_lo_u32 v12, v4, s45
	v_mul_hi_u32 v8, s43, v7
	s_delay_alu instid0(VALU_DEP_1) | instskip(NEXT) | instid1(VALU_DEP_1)
	v_add_nc_u32_e32 v8, v7, v8
	v_lshrrev_b32_e32 v8, s16, v8
	s_delay_alu instid0(VALU_DEP_1) | instskip(SKIP_1) | instid1(VALU_DEP_2)
	v_mul_hi_u32 v11, s18, v8
	v_mul_lo_u32 v13, v8, s42
	v_add_nc_u32_e32 v4, v8, v11
	v_mul_lo_u32 v11, v7, s39
	s_delay_alu instid0(VALU_DEP_3) | instskip(NEXT) | instid1(VALU_DEP_3)
	v_sub_nc_u32_e32 v7, v7, v13
	v_lshrrev_b32_e32 v4, s19, v4
	s_delay_alu instid0(VALU_DEP_2) | instskip(SKIP_2) | instid1(VALU_DEP_4)
	v_mul_lo_u32 v13, v7, s48
	v_mul_lo_u32 v7, v7, s49
	v_sub_nc_u32_e32 v5, v5, v11
	v_mul_lo_u32 v14, v4, s17
	s_delay_alu instid0(VALU_DEP_2) | instskip(SKIP_1) | instid1(VALU_DEP_3)
	v_mul_lo_u32 v11, v5, s46
	v_mul_lo_u32 v5, v5, s47
	v_sub_nc_u32_e32 v8, v8, v14
	s_delay_alu instid0(VALU_DEP_3) | instskip(NEXT) | instid1(VALU_DEP_2)
	v_add3_u32 v9, v9, v19, v11
	v_mul_lo_u32 v14, v8, s50
	v_mul_lo_u32 v8, v8, s51
	v_add3_u32 v5, v12, v10, v5
	s_delay_alu instid0(VALU_DEP_3) | instskip(NEXT) | instid1(VALU_DEP_2)
	v_add3_u32 v19, v13, v9, v14
	v_add3_u32 v10, v7, v5, v8
	s_cbranch_scc1 .LBB497_1159
; %bb.1160:
	s_and_b32 s7, s7, 3
	s_delay_alu instid0(SALU_CYCLE_1)
	s_cmp_eq_u32 s7, 0
	s_cbranch_scc0 .LBB497_1163
	s_branch .LBB497_1165
.LBB497_1161:
	s_mov_b32 s6, -1
                                        ; implicit-def: $vgpr19
                                        ; implicit-def: $vgpr10
	s_branch .LBB497_1165
.LBB497_1162:
	v_mov_b32_e32 v4, v3
	v_mov_b32_e32 v10, 0
	s_and_b32 s7, s7, 3
	s_delay_alu instid0(SALU_CYCLE_1)
	s_cmp_eq_u32 s7, 0
	s_cbranch_scc1 .LBB497_1165
.LBB497_1163:
	s_lshl_b32 s2, s8, 3
	s_mul_i32 s4, s8, 12
	s_add_u32 s2, s2, s20
	s_addc_u32 s3, 0, s21
	s_add_u32 s2, s2, 0xc4
	s_addc_u32 s3, s3, 0
	;; [unrolled: 2-line block ×3, first 2 shown]
	.p2align	6
.LBB497_1164:                           ; =>This Inner Loop Header: Depth=1
	s_clause 0x1
	s_load_b64 s[8:9], s[4:5], 0x4
	s_load_b32 s12, s[4:5], 0xc
	s_load_b64 s[10:11], s[2:3], 0x0
	s_add_u32 s4, s4, 12
	s_addc_u32 s5, s5, 0
	s_add_u32 s2, s2, 8
	s_addc_u32 s3, s3, 0
	s_add_i32 s7, s7, -1
	s_delay_alu instid0(SALU_CYCLE_1) | instskip(SKIP_2) | instid1(VALU_DEP_1)
	s_cmp_lg_u32 s7, 0
	s_waitcnt lgkmcnt(0)
	v_mul_hi_u32 v5, s9, v4
	v_add_nc_u32_e32 v5, v4, v5
	s_delay_alu instid0(VALU_DEP_1) | instskip(NEXT) | instid1(VALU_DEP_1)
	v_lshrrev_b32_e32 v5, s12, v5
	v_mul_lo_u32 v7, v5, s8
	s_delay_alu instid0(VALU_DEP_1) | instskip(NEXT) | instid1(VALU_DEP_1)
	v_sub_nc_u32_e32 v4, v4, v7
	v_mad_u64_u32 v[7:8], null, v4, s10, v[19:20]
	v_mad_u64_u32 v[8:9], null, v4, s11, v[10:11]
	s_delay_alu instid0(VALU_DEP_2) | instskip(NEXT) | instid1(VALU_DEP_2)
	v_dual_mov_b32 v4, v5 :: v_dual_mov_b32 v19, v7
	v_mov_b32_e32 v10, v8
	s_cbranch_scc1 .LBB497_1164
.LBB497_1165:
	s_and_not1_b32 vcc_lo, exec_lo, s6
	s_cbranch_vccnz .LBB497_1168
; %bb.1166:
	s_clause 0x1
	s_load_b128 s[4:7], s[20:21], 0x4
	s_load_b64 s[2:3], s[20:21], 0xc4
	s_cmp_lt_u32 s30, 2
	s_waitcnt lgkmcnt(0)
	v_mul_hi_u32 v4, s5, v3
	s_delay_alu instid0(VALU_DEP_1) | instskip(NEXT) | instid1(VALU_DEP_1)
	v_add_nc_u32_e32 v4, v3, v4
	v_lshrrev_b32_e32 v4, s6, v4
	s_delay_alu instid0(VALU_DEP_1) | instskip(NEXT) | instid1(VALU_DEP_1)
	v_mul_lo_u32 v5, v4, s4
	v_sub_nc_u32_e32 v3, v3, v5
	s_delay_alu instid0(VALU_DEP_1)
	v_mul_lo_u32 v19, v3, s2
	v_mul_lo_u32 v10, v3, s3
	s_cbranch_scc1 .LBB497_1168
; %bb.1167:
	s_clause 0x1
	s_load_b128 s[4:7], s[20:21], 0x10
	s_load_b64 s[2:3], s[20:21], 0xcc
	s_waitcnt lgkmcnt(0)
	v_mul_hi_u32 v3, s5, v4
	s_delay_alu instid0(VALU_DEP_1) | instskip(NEXT) | instid1(VALU_DEP_1)
	v_add_nc_u32_e32 v3, v4, v3
	v_lshrrev_b32_e32 v3, s6, v3
	s_delay_alu instid0(VALU_DEP_1) | instskip(NEXT) | instid1(VALU_DEP_1)
	v_mul_lo_u32 v3, v3, s4
	v_sub_nc_u32_e32 v7, v4, v3
	s_delay_alu instid0(VALU_DEP_1) | instskip(SKIP_1) | instid1(VALU_DEP_1)
	v_mad_u64_u32 v[3:4], null, v7, s2, v[19:20]
	v_mad_u64_u32 v[4:5], null, v7, s3, v[10:11]
	v_dual_mov_b32 v19, v3 :: v_dual_mov_b32 v10, v4
.LBB497_1168:
	v_cmp_ne_u32_e32 vcc_lo, 1, v1
	s_cbranch_vccnz .LBB497_1174
; %bb.1169:
	v_mov_b32_e32 v18, 0
	v_mov_b32_e32 v14, 0
	s_cmp_lg_u32 s30, 0
	s_mov_b32 s6, 0
	s_cbranch_scc0 .LBB497_1178
; %bb.1170:
	s_min_u32 s7, s31, 15
	v_mov_b32_e32 v18, 0
	s_add_i32 s7, s7, 1
	s_cmp_eq_u32 s31, 2
	s_mov_b32 s8, 0
	s_cbranch_scc1 .LBB497_1175
; %bb.1171:
	v_dual_mov_b32 v14, 0 :: v_dual_mov_b32 v1, v2
	v_mov_b32_e32 v18, 0
	s_add_u32 s2, s20, 0xc4
	s_addc_u32 s3, s21, 0
	s_and_b32 s8, s7, 28
	s_mov_b32 s9, 0
	s_mov_b64 s[4:5], s[20:21]
.LBB497_1172:                           ; =>This Inner Loop Header: Depth=1
	s_clause 0x1
	s_load_b256 s[36:43], s[4:5], 0x4
	s_load_b128 s[16:19], s[4:5], 0x24
	s_load_b256 s[44:51], s[2:3], 0x0
	s_add_u32 s4, s4, 48
	s_addc_u32 s5, s5, 0
	s_add_i32 s9, s9, 4
	s_add_u32 s2, s2, 32
	s_addc_u32 s3, s3, 0
	s_cmp_lg_u32 s8, s9
	s_waitcnt lgkmcnt(0)
	v_mul_hi_u32 v3, s37, v1
	s_delay_alu instid0(VALU_DEP_1) | instskip(NEXT) | instid1(VALU_DEP_1)
	v_add_nc_u32_e32 v3, v1, v3
	v_lshrrev_b32_e32 v3, s38, v3
	s_delay_alu instid0(VALU_DEP_1) | instskip(SKIP_1) | instid1(VALU_DEP_2)
	v_mul_hi_u32 v4, s40, v3
	v_mul_lo_u32 v7, v3, s36
	v_add_nc_u32_e32 v4, v3, v4
	s_delay_alu instid0(VALU_DEP_2) | instskip(NEXT) | instid1(VALU_DEP_2)
	v_sub_nc_u32_e32 v1, v1, v7
	v_lshrrev_b32_e32 v4, s41, v4
	s_delay_alu instid0(VALU_DEP_2) | instskip(SKIP_1) | instid1(VALU_DEP_3)
	v_mul_lo_u32 v7, v1, s44
	v_mul_lo_u32 v9, v1, s45
	v_mul_hi_u32 v5, s43, v4
	s_delay_alu instid0(VALU_DEP_1) | instskip(NEXT) | instid1(VALU_DEP_1)
	v_add_nc_u32_e32 v5, v4, v5
	v_lshrrev_b32_e32 v5, s16, v5
	s_delay_alu instid0(VALU_DEP_1) | instskip(SKIP_1) | instid1(VALU_DEP_2)
	v_mul_hi_u32 v8, s18, v5
	v_mul_lo_u32 v11, v5, s42
	v_add_nc_u32_e32 v1, v5, v8
	v_mul_lo_u32 v8, v4, s39
	s_delay_alu instid0(VALU_DEP_3) | instskip(NEXT) | instid1(VALU_DEP_3)
	v_sub_nc_u32_e32 v4, v4, v11
	v_lshrrev_b32_e32 v1, s19, v1
	s_delay_alu instid0(VALU_DEP_2) | instskip(SKIP_2) | instid1(VALU_DEP_4)
	v_mul_lo_u32 v11, v4, s48
	v_mul_lo_u32 v4, v4, s49
	v_sub_nc_u32_e32 v3, v3, v8
	v_mul_lo_u32 v12, v1, s17
	s_delay_alu instid0(VALU_DEP_2) | instskip(SKIP_1) | instid1(VALU_DEP_3)
	v_mul_lo_u32 v8, v3, s46
	v_mul_lo_u32 v3, v3, s47
	v_sub_nc_u32_e32 v5, v5, v12
	s_delay_alu instid0(VALU_DEP_3) | instskip(NEXT) | instid1(VALU_DEP_2)
	v_add3_u32 v7, v7, v18, v8
	v_mul_lo_u32 v12, v5, s50
	v_mul_lo_u32 v5, v5, s51
	v_add3_u32 v3, v9, v14, v3
	s_delay_alu instid0(VALU_DEP_3) | instskip(NEXT) | instid1(VALU_DEP_2)
	v_add3_u32 v18, v11, v7, v12
	v_add3_u32 v14, v4, v3, v5
	s_cbranch_scc1 .LBB497_1172
; %bb.1173:
	s_and_b32 s7, s7, 3
	s_delay_alu instid0(SALU_CYCLE_1)
	s_cmp_eq_u32 s7, 0
	s_cbranch_scc0 .LBB497_1176
	s_branch .LBB497_1178
.LBB497_1174:
	s_mov_b32 s6, -1
                                        ; implicit-def: $vgpr18
                                        ; implicit-def: $vgpr14
	s_branch .LBB497_1178
.LBB497_1175:
	v_dual_mov_b32 v1, v2 :: v_dual_mov_b32 v14, 0
	s_and_b32 s7, s7, 3
	s_delay_alu instid0(SALU_CYCLE_1)
	s_cmp_eq_u32 s7, 0
	s_cbranch_scc1 .LBB497_1178
.LBB497_1176:
	s_lshl_b32 s2, s8, 3
	s_mul_i32 s4, s8, 12
	s_add_u32 s2, s2, s20
	s_addc_u32 s3, 0, s21
	s_add_u32 s2, s2, 0xc4
	s_addc_u32 s3, s3, 0
	;; [unrolled: 2-line block ×3, first 2 shown]
	.p2align	6
.LBB497_1177:                           ; =>This Inner Loop Header: Depth=1
	s_clause 0x1
	s_load_b64 s[8:9], s[4:5], 0x4
	s_load_b32 s12, s[4:5], 0xc
	s_load_b64 s[10:11], s[2:3], 0x0
	s_add_u32 s4, s4, 12
	s_addc_u32 s5, s5, 0
	s_add_u32 s2, s2, 8
	s_addc_u32 s3, s3, 0
	s_add_i32 s7, s7, -1
	s_delay_alu instid0(SALU_CYCLE_1) | instskip(SKIP_2) | instid1(VALU_DEP_1)
	s_cmp_lg_u32 s7, 0
	s_waitcnt lgkmcnt(0)
	v_mul_hi_u32 v3, s9, v1
	v_add_nc_u32_e32 v3, v1, v3
	s_delay_alu instid0(VALU_DEP_1) | instskip(NEXT) | instid1(VALU_DEP_1)
	v_lshrrev_b32_e32 v7, s12, v3
	v_mul_lo_u32 v3, v7, s8
	s_delay_alu instid0(VALU_DEP_1) | instskip(NEXT) | instid1(VALU_DEP_1)
	v_sub_nc_u32_e32 v1, v1, v3
	v_mad_u64_u32 v[3:4], null, v1, s10, v[18:19]
	v_mad_u64_u32 v[4:5], null, v1, s11, v[14:15]
	v_mov_b32_e32 v1, v7
	s_delay_alu instid0(VALU_DEP_3) | instskip(NEXT) | instid1(VALU_DEP_3)
	v_mov_b32_e32 v18, v3
	v_mov_b32_e32 v14, v4
	s_cbranch_scc1 .LBB497_1177
.LBB497_1178:
	s_and_not1_b32 vcc_lo, exec_lo, s6
	s_cbranch_vccnz .LBB497_1181
; %bb.1179:
	s_clause 0x1
	s_load_b128 s[4:7], s[20:21], 0x4
	s_load_b64 s[2:3], s[20:21], 0xc4
	s_cmp_lt_u32 s30, 2
	s_waitcnt lgkmcnt(0)
	v_mul_hi_u32 v1, s5, v2
	s_delay_alu instid0(VALU_DEP_1) | instskip(NEXT) | instid1(VALU_DEP_1)
	v_add_nc_u32_e32 v1, v2, v1
	v_lshrrev_b32_e32 v1, s6, v1
	s_delay_alu instid0(VALU_DEP_1) | instskip(NEXT) | instid1(VALU_DEP_1)
	v_mul_lo_u32 v3, v1, s4
	v_sub_nc_u32_e32 v2, v2, v3
	s_delay_alu instid0(VALU_DEP_1)
	v_mul_lo_u32 v18, v2, s2
	v_mul_lo_u32 v14, v2, s3
	s_cbranch_scc1 .LBB497_1181
; %bb.1180:
	s_clause 0x1
	s_load_b128 s[4:7], s[20:21], 0x10
	s_load_b64 s[2:3], s[20:21], 0xcc
	s_waitcnt lgkmcnt(0)
	v_mul_hi_u32 v2, s5, v1
	s_delay_alu instid0(VALU_DEP_1) | instskip(NEXT) | instid1(VALU_DEP_1)
	v_add_nc_u32_e32 v2, v1, v2
	v_lshrrev_b32_e32 v2, s6, v2
	s_delay_alu instid0(VALU_DEP_1) | instskip(NEXT) | instid1(VALU_DEP_1)
	v_mul_lo_u32 v2, v2, s4
	v_sub_nc_u32_e32 v4, v1, v2
	s_delay_alu instid0(VALU_DEP_1) | instskip(SKIP_1) | instid1(VALU_DEP_2)
	v_mad_u64_u32 v[1:2], null, v4, s2, v[18:19]
	v_mad_u64_u32 v[2:3], null, v4, s3, v[14:15]
	v_mov_b32_e32 v18, v1
	s_delay_alu instid0(VALU_DEP_2)
	v_mov_b32_e32 v14, v2
.LBB497_1181:
	s_clause 0x1
	s_load_b32 s0, s[0:1], 0x178
	s_load_b128 s[4:7], s[20:21], 0x148
	s_mov_b32 s2, 0
	s_waitcnt lgkmcnt(0)
	s_lshr_b32 s0, s0, 8
	s_delay_alu instid0(SALU_CYCLE_1) | instskip(SKIP_1) | instid1(VALU_DEP_1)
	v_and_b32_e64 v22, 0xff, s0
	v_add_co_u32 v0, s0, s6, v0
	v_add_co_ci_u32_e64 v1, null, s7, 0, s0
	s_delay_alu instid0(VALU_DEP_3)
	v_cmp_gt_i16_e32 vcc_lo, 11, v22
	s_cbranch_vccnz .LBB497_1188
; %bb.1182:
	v_cmp_lt_i16_e32 vcc_lo, 25, v22
	s_mov_b32 s9, 0
	s_cbranch_vccz .LBB497_1194
; %bb.1183:
	v_cmp_lt_i16_e32 vcc_lo, 28, v22
	s_cbranch_vccz .LBB497_1197
; %bb.1184:
	v_cmp_lt_i16_e32 vcc_lo, 43, v22
	;; [unrolled: 3-line block ×3, first 2 shown]
	s_cbranch_vccz .LBB497_1203
; %bb.1186:
	v_cmp_eq_u16_e32 vcc_lo, 46, v22
	s_mov_b32 s0, 0
	s_cbranch_vccz .LBB497_1246
; %bb.1187:
	global_load_b32 v2, v[0:1], off
	s_mov_b32 s8, 0
	s_mov_b32 s2, -1
	s_waitcnt vmcnt(0)
	v_lshlrev_b32_e32 v3, 16, v2
	v_and_b32_e32 v4, 0xffff0000, v2
	s_delay_alu instid0(VALU_DEP_2) | instskip(NEXT) | instid1(VALU_DEP_2)
	v_cvt_f64_f32_e32 v[2:3], v3
	v_cvt_f64_f32_e32 v[4:5], v4
	s_branch .LBB497_1248
.LBB497_1188:
	s_mov_b32 s16, s14
                                        ; implicit-def: $vgpr4_vgpr5
	s_cbranch_execz .LBB497_1314
; %bb.1189:
	v_cmp_gt_i16_e32 vcc_lo, 5, v22
	s_cbranch_vccnz .LBB497_1195
; %bb.1190:
	v_cmp_gt_i16_e32 vcc_lo, 8, v22
	s_cbranch_vccnz .LBB497_1198
	;; [unrolled: 3-line block ×3, first 2 shown]
; %bb.1192:
	v_cmp_lt_i16_e32 vcc_lo, 9, v22
	s_cbranch_vccz .LBB497_1204
; %bb.1193:
	global_load_b128 v[2:5], v[0:1], off
	s_mov_b32 s0, 0
	s_branch .LBB497_1205
.LBB497_1194:
	s_mov_b32 s8, 0
                                        ; implicit-def: $vgpr4_vgpr5
	s_cbranch_execnz .LBB497_1280
	s_branch .LBB497_1310
.LBB497_1195:
                                        ; implicit-def: $vgpr4_vgpr5
	s_branch .LBB497_1223
.LBB497_1196:
                                        ; implicit-def: $vgpr12_vgpr13
	s_branch .LBB497_1315
.LBB497_1197:
	s_mov_b32 s8, 0
                                        ; implicit-def: $vgpr4_vgpr5
	s_cbranch_execnz .LBB497_1260
	s_branch .LBB497_1279
.LBB497_1198:
                                        ; implicit-def: $vgpr4_vgpr5
	s_branch .LBB497_1211
.LBB497_1199:
	s_mov_b32 s0, -1
	s_mov_b32 s8, 0
                                        ; implicit-def: $vgpr4_vgpr5
	s_branch .LBB497_1254
.LBB497_1200:
	s_mov_b32 s0, -1
                                        ; implicit-def: $vgpr4_vgpr5
	s_branch .LBB497_1208
.LBB497_1201:
	s_cbranch_execnz .LBB497_1244
; %bb.1202:
	s_or_b32 s6, s6, exec_lo
	s_and_not1_b32 s2, s2, exec_lo
	s_or_b32 exec_lo, exec_lo, s3
	s_and_saveexec_b32 s3, s2
	s_delay_alu instid0(SALU_CYCLE_1)
	s_xor_b32 s3, exec_lo, s3
	s_cbranch_execnz .LBB497_1088
	s_branch .LBB497_1089
.LBB497_1203:
	s_mov_b32 s0, -1
	s_mov_b32 s8, 0
	s_branch .LBB497_1247
.LBB497_1204:
	s_mov_b32 s0, -1
                                        ; implicit-def: $vgpr4_vgpr5
.LBB497_1205:
	s_delay_alu instid0(SALU_CYCLE_1)
	s_and_not1_b32 vcc_lo, exec_lo, s0
	s_cbranch_vccnz .LBB497_1207
; %bb.1206:
	global_load_b64 v[3:4], v[0:1], off
	s_waitcnt vmcnt(0)
	v_cvt_f64_f32_e32 v[2:3], v3
	v_cvt_f64_f32_e32 v[4:5], v4
.LBB497_1207:
	s_mov_b32 s0, 0
.LBB497_1208:
	s_delay_alu instid0(SALU_CYCLE_1)
	s_and_not1_b32 vcc_lo, exec_lo, s0
	s_cbranch_vccnz .LBB497_1210
; %bb.1209:
	global_load_b32 v2, v[0:1], off
	s_waitcnt vmcnt(0)
	v_lshrrev_b32_e32 v3, 16, v2
	v_cvt_f32_f16_e32 v2, v2
	s_delay_alu instid0(VALU_DEP_2) | instskip(NEXT) | instid1(VALU_DEP_2)
	v_cvt_f32_f16_e32 v4, v3
	v_cvt_f64_f32_e32 v[2:3], v2
	s_delay_alu instid0(VALU_DEP_2)
	v_cvt_f64_f32_e32 v[4:5], v4
.LBB497_1210:
	s_cbranch_execnz .LBB497_1222
.LBB497_1211:
	v_cmp_gt_i16_e32 vcc_lo, 6, v22
	s_cbranch_vccnz .LBB497_1214
; %bb.1212:
	v_cmp_lt_i16_e32 vcc_lo, 6, v22
	s_cbranch_vccz .LBB497_1215
; %bb.1213:
	global_load_b64 v[2:3], v[0:1], off
	s_mov_b32 s2, 0
	s_mov_b64 s[0:1], 0
	s_branch .LBB497_1216
.LBB497_1214:
	s_mov_b32 s2, -1
                                        ; implicit-def: $sgpr0_sgpr1
                                        ; implicit-def: $vgpr2_vgpr3
	s_branch .LBB497_1219
.LBB497_1215:
	s_mov_b32 s2, -1
                                        ; implicit-def: $sgpr0_sgpr1
                                        ; implicit-def: $vgpr2_vgpr3
.LBB497_1216:
	s_delay_alu instid0(SALU_CYCLE_1)
	s_and_not1_b32 vcc_lo, exec_lo, s2
	s_cbranch_vccnz .LBB497_1218
; %bb.1217:
	global_load_b32 v2, v[0:1], off
	s_mov_b64 s[0:1], 0
	s_waitcnt vmcnt(0)
	v_cvt_f64_f32_e32 v[2:3], v2
.LBB497_1218:
	s_mov_b32 s2, 0
.LBB497_1219:
	s_delay_alu instid0(SALU_CYCLE_1)
	s_and_not1_b32 vcc_lo, exec_lo, s2
	s_cbranch_vccnz .LBB497_1221
; %bb.1220:
	global_load_u16 v2, v[0:1], off
	s_mov_b64 s[0:1], 0
	s_waitcnt vmcnt(0)
	v_cvt_f32_f16_e32 v2, v2
	s_delay_alu instid0(VALU_DEP_1)
	v_cvt_f64_f32_e32 v[2:3], v2
.LBB497_1221:
	s_waitcnt vmcnt(0)
	v_dual_mov_b32 v5, s1 :: v_dual_mov_b32 v4, s0
.LBB497_1222:
	s_cbranch_execnz .LBB497_1196
.LBB497_1223:
	v_cmp_gt_i16_e32 vcc_lo, 2, v22
	s_cbranch_vccnz .LBB497_1227
; %bb.1224:
	v_cmp_gt_i16_e32 vcc_lo, 3, v22
	s_cbranch_vccnz .LBB497_1228
; %bb.1225:
	v_cmp_lt_i16_e32 vcc_lo, 3, v22
	s_cbranch_vccz .LBB497_1229
; %bb.1226:
	global_load_b64 v[2:3], v[0:1], off
	s_mov_b32 s2, 0
	s_mov_b64 s[0:1], 0
	s_waitcnt vmcnt(0)
	v_cvt_f64_i32_e32 v[3:4], v3
	v_cvt_f64_u32_e32 v[7:8], v2
	s_delay_alu instid0(VALU_DEP_2) | instskip(NEXT) | instid1(VALU_DEP_1)
	v_ldexp_f64 v[3:4], v[3:4], 32
	v_add_f64 v[2:3], v[3:4], v[7:8]
	s_branch .LBB497_1230
.LBB497_1227:
                                        ; implicit-def: $sgpr0_sgpr1
                                        ; implicit-def: $vgpr2_vgpr3
	s_branch .LBB497_1236
.LBB497_1228:
	s_mov_b32 s2, -1
                                        ; implicit-def: $sgpr0_sgpr1
                                        ; implicit-def: $vgpr2_vgpr3
	s_branch .LBB497_1233
.LBB497_1229:
	s_mov_b32 s2, -1
                                        ; implicit-def: $sgpr0_sgpr1
                                        ; implicit-def: $vgpr2_vgpr3
.LBB497_1230:
	s_delay_alu instid0(SALU_CYCLE_1)
	s_and_not1_b32 vcc_lo, exec_lo, s2
	s_cbranch_vccnz .LBB497_1232
; %bb.1231:
	global_load_b32 v2, v[0:1], off
	s_mov_b64 s[0:1], 0
	s_waitcnt vmcnt(0)
	v_cvt_f64_i32_e32 v[2:3], v2
.LBB497_1232:
	s_mov_b32 s2, 0
.LBB497_1233:
	s_delay_alu instid0(SALU_CYCLE_1)
	s_and_not1_b32 vcc_lo, exec_lo, s2
	s_cbranch_vccnz .LBB497_1235
; %bb.1234:
	global_load_i16 v2, v[0:1], off
	s_mov_b64 s[0:1], 0
	s_waitcnt vmcnt(0)
	v_cvt_f64_i32_e32 v[2:3], v2
.LBB497_1235:
	s_cbranch_execnz .LBB497_1241
.LBB497_1236:
	v_cmp_lt_i16_e32 vcc_lo, 0, v22
	s_mov_b32 s2, 0
	s_cbranch_vccz .LBB497_1238
; %bb.1237:
	global_load_i8 v2, v[0:1], off
	s_mov_b64 s[0:1], 0
	s_waitcnt vmcnt(0)
	v_cvt_f64_i32_e32 v[2:3], v2
	s_branch .LBB497_1239
.LBB497_1238:
	s_mov_b32 s2, -1
                                        ; implicit-def: $sgpr0_sgpr1
                                        ; implicit-def: $vgpr2_vgpr3
.LBB497_1239:
	s_delay_alu instid0(SALU_CYCLE_1)
	s_and_not1_b32 vcc_lo, exec_lo, s2
	s_cbranch_vccnz .LBB497_1241
; %bb.1240:
	global_load_u8 v0, v[0:1], off
	s_mov_b64 s[0:1], 0
	s_waitcnt vmcnt(0)
	v_cvt_f64_u32_e32 v[2:3], v0
.LBB497_1241:
	s_waitcnt vmcnt(0)
	v_dual_mov_b32 v5, s1 :: v_dual_mov_b32 v4, s0
                                        ; implicit-def: $vgpr12_vgpr13
	s_branch .LBB497_1315
.LBB497_1242:
	s_trap 2
	s_sendmsg_rtn_b32 s0, sendmsg(MSG_RTN_GET_DOORBELL)
	s_mov_b32 ttmp2, m0
	s_waitcnt lgkmcnt(0)
	s_and_b32 s0, s0, 0x3ff
	s_delay_alu instid0(SALU_CYCLE_1) | instskip(NEXT) | instid1(SALU_CYCLE_1)
	s_bitset1_b32 s0, 10
	s_mov_b32 m0, s0
	s_sendmsg sendmsg(MSG_INTERRUPT)
	s_mov_b32 m0, ttmp2
.LBB497_1243:                           ; =>This Inner Loop Header: Depth=1
	s_sethalt 5
	s_branch .LBB497_1243
.LBB497_1244:
	s_trap 2
	s_sendmsg_rtn_b32 s0, sendmsg(MSG_RTN_GET_DOORBELL)
	s_mov_b32 ttmp2, m0
	s_waitcnt lgkmcnt(0)
	s_and_b32 s0, s0, 0x3ff
	s_delay_alu instid0(SALU_CYCLE_1) | instskip(NEXT) | instid1(SALU_CYCLE_1)
	s_bitset1_b32 s0, 10
	s_mov_b32 m0, s0
	s_sendmsg sendmsg(MSG_INTERRUPT)
	s_mov_b32 m0, ttmp2
.LBB497_1245:                           ; =>This Inner Loop Header: Depth=1
	s_sethalt 5
	s_branch .LBB497_1245
.LBB497_1246:
	s_mov_b32 s8, -1
.LBB497_1247:
                                        ; implicit-def: $vgpr4_vgpr5
.LBB497_1248:
	s_and_b32 vcc_lo, exec_lo, s0
	s_cbranch_vccz .LBB497_1253
; %bb.1249:
	v_cmp_eq_u16_e32 vcc_lo, 44, v22
	s_cbranch_vccz .LBB497_1251
; %bb.1250:
	global_load_u8 v4, v[0:1], off
	s_mov_b32 s8, 0
	s_mov_b32 s2, -1
	s_mov_b64 s[0:1], 0
	s_waitcnt vmcnt(0)
	v_cmp_ne_u32_e32 vcc_lo, 0xff, v4
	v_lshlrev_b32_e32 v2, 23, v4
	s_delay_alu instid0(VALU_DEP_1) | instskip(NEXT) | instid1(VALU_DEP_1)
	v_cvt_f64_f32_e32 v[2:3], v2
	v_cndmask_b32_e32 v3, 0x7ff80000, v3, vcc_lo
	s_delay_alu instid0(VALU_DEP_2) | instskip(SKIP_1) | instid1(VALU_DEP_3)
	v_cndmask_b32_e32 v2, 0x20000000, v2, vcc_lo
	v_cmp_ne_u32_e32 vcc_lo, 0, v4
	v_cndmask_b32_e32 v3, 0x38000000, v3, vcc_lo
	s_delay_alu instid0(VALU_DEP_3)
	v_cndmask_b32_e32 v2, 0, v2, vcc_lo
	s_branch .LBB497_1252
.LBB497_1251:
	s_mov_b32 s8, -1
                                        ; implicit-def: $sgpr0_sgpr1
                                        ; implicit-def: $vgpr2_vgpr3
.LBB497_1252:
	v_dual_mov_b32 v5, s1 :: v_dual_mov_b32 v4, s0
.LBB497_1253:
	s_mov_b32 s0, 0
.LBB497_1254:
	s_delay_alu instid0(SALU_CYCLE_1)
	s_and_b32 vcc_lo, exec_lo, s0
	s_cbranch_vccz .LBB497_1259
; %bb.1255:
	v_cmp_eq_u16_e32 vcc_lo, 29, v22
	s_cbranch_vccz .LBB497_1257
; %bb.1256:
	global_load_b64 v[2:3], v[0:1], off
	s_mov_b32 s8, 0
	s_mov_b32 s2, -1
	s_mov_b64 s[0:1], 0
	s_waitcnt vmcnt(0)
	v_cvt_f64_u32_e32 v[3:4], v3
	v_cvt_f64_u32_e32 v[7:8], v2
	s_delay_alu instid0(VALU_DEP_2) | instskip(NEXT) | instid1(VALU_DEP_1)
	v_ldexp_f64 v[3:4], v[3:4], 32
	v_add_f64 v[2:3], v[3:4], v[7:8]
	s_branch .LBB497_1258
.LBB497_1257:
	s_mov_b32 s8, -1
                                        ; implicit-def: $sgpr0_sgpr1
                                        ; implicit-def: $vgpr2_vgpr3
.LBB497_1258:
	v_dual_mov_b32 v5, s1 :: v_dual_mov_b32 v4, s0
.LBB497_1259:
	s_branch .LBB497_1279
.LBB497_1260:
	v_cmp_gt_i16_e32 vcc_lo, 27, v22
	s_cbranch_vccnz .LBB497_1263
; %bb.1261:
	v_cmp_lt_i16_e32 vcc_lo, 27, v22
	s_cbranch_vccz .LBB497_1264
; %bb.1262:
	global_load_b32 v2, v[0:1], off
	s_mov_b32 s2, 0
	s_mov_b64 s[0:1], 0
	s_waitcnt vmcnt(0)
	v_cvt_f64_u32_e32 v[2:3], v2
	s_branch .LBB497_1265
.LBB497_1263:
	s_mov_b32 s2, -1
                                        ; implicit-def: $sgpr0_sgpr1
                                        ; implicit-def: $vgpr2_vgpr3
	s_branch .LBB497_1268
.LBB497_1264:
	s_mov_b32 s2, -1
                                        ; implicit-def: $sgpr0_sgpr1
                                        ; implicit-def: $vgpr2_vgpr3
.LBB497_1265:
	s_delay_alu instid0(SALU_CYCLE_1)
	s_and_not1_b32 vcc_lo, exec_lo, s2
	s_cbranch_vccnz .LBB497_1267
; %bb.1266:
	global_load_u16 v2, v[0:1], off
	s_mov_b64 s[0:1], 0
	s_waitcnt vmcnt(0)
	v_cvt_f64_u32_e32 v[2:3], v2
.LBB497_1267:
	s_mov_b32 s2, 0
.LBB497_1268:
	v_dual_mov_b32 v5, s1 :: v_dual_mov_b32 v4, s0
	s_and_not1_b32 vcc_lo, exec_lo, s2
	s_cbranch_vccnz .LBB497_1278
; %bb.1269:
	global_load_u8 v7, v[0:1], off
	s_mov_b32 s10, 0
	s_mov_b32 s11, exec_lo
                                        ; implicit-def: $sgpr0_sgpr1
                                        ; implicit-def: $sgpr2_sgpr3
	s_waitcnt vmcnt(0)
	v_cmpx_lt_i16_e32 0x7f, v7
	s_xor_b32 s11, exec_lo, s11
	s_cbranch_execz .LBB497_1273
; %bb.1270:
	s_mov_b32 s10, -1
	s_mov_b32 s12, exec_lo
                                        ; implicit-def: $sgpr0_sgpr1
                                        ; implicit-def: $sgpr2_sgpr3
	v_cmpx_eq_u16_e32 0x80, v7
; %bb.1271:
	s_mov_b64 s[0:1], 0
	s_mov_b32 s3, 0x7ff80000
	s_brev_b32 s2, 4
	s_xor_b32 s10, exec_lo, -1
; %bb.1272:
	s_or_b32 exec_lo, exec_lo, s12
	s_delay_alu instid0(SALU_CYCLE_1)
	s_and_b32 s10, s10, exec_lo
.LBB497_1273:
	s_or_saveexec_b32 s11, s11
	v_dual_mov_b32 v5, s1 :: v_dual_mov_b32 v4, s0
	v_dual_mov_b32 v2, s2 :: v_dual_mov_b32 v3, s3
	s_xor_b32 exec_lo, exec_lo, s11
; %bb.1274:
	v_mov_b32_e32 v4, 0
	v_mov_b32_e32 v5, 0
	v_cmp_ne_u16_e32 vcc_lo, 0, v7
	s_delay_alu instid0(VALU_DEP_3) | instskip(SKIP_1) | instid1(VALU_DEP_3)
	v_mov_b32_e32 v2, v4
	s_and_not1_b32 s0, s10, exec_lo
	v_mov_b32_e32 v3, v5
	s_and_b32 s1, vcc_lo, exec_lo
	s_delay_alu instid0(SALU_CYCLE_1)
	s_or_b32 s10, s0, s1
; %bb.1275:
	s_or_b32 exec_lo, exec_lo, s11
	s_and_saveexec_b32 s0, s10
	s_cbranch_execz .LBB497_1277
; %bb.1276:
	v_and_b32_e32 v2, 0xffff, v7
	v_lshlrev_b32_e32 v7, 24, v7
	s_delay_alu instid0(VALU_DEP_2) | instskip(NEXT) | instid1(VALU_DEP_1)
	v_and_b32_e32 v3, 7, v2
	v_clz_i32_u32_e32 v4, v3
	s_delay_alu instid0(VALU_DEP_1) | instskip(NEXT) | instid1(VALU_DEP_1)
	v_min_u32_e32 v4, 32, v4
	v_subrev_nc_u32_e32 v5, 28, v4
	v_sub_nc_u32_e32 v4, 29, v4
	s_delay_alu instid0(VALU_DEP_2) | instskip(SKIP_1) | instid1(VALU_DEP_2)
	v_lshlrev_b32_e32 v5, v5, v2
	v_bfe_u32 v2, v2, 3, 4
	v_and_b32_e32 v5, 7, v5
	s_delay_alu instid0(VALU_DEP_2) | instskip(NEXT) | instid1(VALU_DEP_2)
	v_cmp_eq_u32_e32 vcc_lo, 0, v2
	v_dual_cndmask_b32 v2, v2, v4 :: v_dual_cndmask_b32 v3, v3, v5
	v_and_b32_e32 v4, 0x80000000, v7
	s_delay_alu instid0(VALU_DEP_2) | instskip(NEXT) | instid1(VALU_DEP_3)
	v_lshl_add_u32 v2, v2, 23, 0x3b800000
	v_lshlrev_b32_e32 v3, 20, v3
	s_delay_alu instid0(VALU_DEP_1) | instskip(SKIP_2) | instid1(VALU_DEP_3)
	v_or3_b32 v2, v4, v2, v3
	v_mov_b32_e32 v4, 0
	v_mov_b32_e32 v5, 0
	v_cvt_f64_f32_e32 v[2:3], v2
.LBB497_1277:
	s_or_b32 exec_lo, exec_lo, s0
.LBB497_1278:
	s_mov_b32 s2, -1
.LBB497_1279:
	s_branch .LBB497_1310
.LBB497_1280:
	v_cmp_lt_i16_e32 vcc_lo, 22, v22
	s_cbranch_vccz .LBB497_1292
; %bb.1281:
	v_cmp_gt_i16_e32 vcc_lo, 24, v22
	s_cbranch_vccnz .LBB497_1293
; %bb.1282:
	v_cmp_lt_i16_e32 vcc_lo, 24, v22
	s_cbranch_vccz .LBB497_1294
; %bb.1283:
	global_load_u8 v7, v[0:1], off
	s_mov_b32 s10, exec_lo
                                        ; implicit-def: $sgpr0_sgpr1
                                        ; implicit-def: $sgpr2_sgpr3
	s_waitcnt vmcnt(0)
	v_cmpx_lt_i16_e32 0x7f, v7
	s_xor_b32 s10, exec_lo, s10
	s_cbranch_execz .LBB497_1287
; %bb.1284:
	s_mov_b32 s9, -1
	s_mov_b32 s11, exec_lo
                                        ; implicit-def: $sgpr0_sgpr1
                                        ; implicit-def: $sgpr2_sgpr3
	v_cmpx_eq_u16_e32 0x80, v7
; %bb.1285:
	s_mov_b64 s[0:1], 0
	s_mov_b32 s3, 0x7ff80000
	s_brev_b32 s2, 4
	s_xor_b32 s9, exec_lo, -1
; %bb.1286:
	s_or_b32 exec_lo, exec_lo, s11
	s_delay_alu instid0(SALU_CYCLE_1)
	s_and_b32 s9, s9, exec_lo
.LBB497_1287:
	s_or_saveexec_b32 s10, s10
	v_dual_mov_b32 v5, s1 :: v_dual_mov_b32 v4, s0
	v_dual_mov_b32 v2, s2 :: v_dual_mov_b32 v3, s3
	s_xor_b32 exec_lo, exec_lo, s10
; %bb.1288:
	v_mov_b32_e32 v4, 0
	v_mov_b32_e32 v5, 0
	v_cmp_ne_u16_e32 vcc_lo, 0, v7
	s_delay_alu instid0(VALU_DEP_3) | instskip(SKIP_1) | instid1(VALU_DEP_3)
	v_mov_b32_e32 v2, v4
	s_and_not1_b32 s0, s9, exec_lo
	v_mov_b32_e32 v3, v5
	s_and_b32 s1, vcc_lo, exec_lo
	s_delay_alu instid0(SALU_CYCLE_1)
	s_or_b32 s9, s0, s1
; %bb.1289:
	s_or_b32 exec_lo, exec_lo, s10
	s_and_saveexec_b32 s0, s9
	s_cbranch_execz .LBB497_1291
; %bb.1290:
	v_and_b32_e32 v2, 0xffff, v7
	v_lshlrev_b32_e32 v7, 24, v7
	s_delay_alu instid0(VALU_DEP_2) | instskip(NEXT) | instid1(VALU_DEP_1)
	v_and_b32_e32 v3, 3, v2
	v_clz_i32_u32_e32 v4, v3
	s_delay_alu instid0(VALU_DEP_1) | instskip(NEXT) | instid1(VALU_DEP_1)
	v_min_u32_e32 v4, 32, v4
	v_subrev_nc_u32_e32 v5, 29, v4
	v_sub_nc_u32_e32 v4, 30, v4
	s_delay_alu instid0(VALU_DEP_2) | instskip(SKIP_1) | instid1(VALU_DEP_2)
	v_lshlrev_b32_e32 v5, v5, v2
	v_bfe_u32 v2, v2, 2, 5
	v_and_b32_e32 v5, 3, v5
	s_delay_alu instid0(VALU_DEP_2) | instskip(NEXT) | instid1(VALU_DEP_2)
	v_cmp_eq_u32_e32 vcc_lo, 0, v2
	v_dual_cndmask_b32 v2, v2, v4 :: v_dual_cndmask_b32 v3, v3, v5
	v_and_b32_e32 v4, 0x80000000, v7
	s_delay_alu instid0(VALU_DEP_2) | instskip(NEXT) | instid1(VALU_DEP_3)
	v_lshl_add_u32 v2, v2, 23, 0x37800000
	v_lshlrev_b32_e32 v3, 21, v3
	s_delay_alu instid0(VALU_DEP_1) | instskip(SKIP_2) | instid1(VALU_DEP_3)
	v_or3_b32 v2, v4, v2, v3
	v_mov_b32_e32 v4, 0
	v_mov_b32_e32 v5, 0
	v_cvt_f64_f32_e32 v[2:3], v2
.LBB497_1291:
	s_or_b32 exec_lo, exec_lo, s0
	s_mov_b32 s0, 0
	s_branch .LBB497_1295
.LBB497_1292:
                                        ; implicit-def: $vgpr4_vgpr5
	s_mov_b32 s9, 0
	s_branch .LBB497_1301
.LBB497_1293:
	s_mov_b32 s0, -1
                                        ; implicit-def: $vgpr4_vgpr5
	s_branch .LBB497_1298
.LBB497_1294:
	s_mov_b32 s0, -1
                                        ; implicit-def: $vgpr4_vgpr5
.LBB497_1295:
	s_delay_alu instid0(SALU_CYCLE_1)
	s_and_b32 vcc_lo, exec_lo, s0
	s_cbranch_vccz .LBB497_1297
; %bb.1296:
	global_load_u8 v2, v[0:1], off
	s_waitcnt vmcnt(0)
	v_lshlrev_b32_e32 v2, 24, v2
	s_delay_alu instid0(VALU_DEP_1) | instskip(NEXT) | instid1(VALU_DEP_1)
	v_and_b32_e32 v3, 0x7f000000, v2
	v_clz_i32_u32_e32 v4, v3
	v_add_nc_u32_e32 v7, 0x1000000, v3
	v_cmp_ne_u32_e32 vcc_lo, 0, v3
	s_delay_alu instid0(VALU_DEP_3) | instskip(NEXT) | instid1(VALU_DEP_1)
	v_min_u32_e32 v4, 32, v4
	v_sub_nc_u32_e64 v4, v4, 4 clamp
	s_delay_alu instid0(VALU_DEP_1) | instskip(SKIP_1) | instid1(VALU_DEP_2)
	v_lshlrev_b32_e32 v5, v4, v3
	v_lshlrev_b32_e32 v4, 23, v4
	v_lshrrev_b32_e32 v5, 4, v5
	s_delay_alu instid0(VALU_DEP_1) | instskip(SKIP_1) | instid1(VALU_DEP_2)
	v_sub_nc_u32_e32 v4, v5, v4
	v_ashrrev_i32_e32 v5, 8, v7
	v_add_nc_u32_e32 v4, 0x3c000000, v4
	s_delay_alu instid0(VALU_DEP_1) | instskip(NEXT) | instid1(VALU_DEP_1)
	v_and_or_b32 v4, 0x7f800000, v5, v4
	v_dual_cndmask_b32 v3, 0, v4 :: v_dual_mov_b32 v4, 0
	v_mov_b32_e32 v5, 0
	s_delay_alu instid0(VALU_DEP_2) | instskip(NEXT) | instid1(VALU_DEP_1)
	v_and_or_b32 v2, 0x80000000, v2, v3
	v_cvt_f64_f32_e32 v[2:3], v2
.LBB497_1297:
	s_mov_b32 s0, 0
.LBB497_1298:
	s_delay_alu instid0(SALU_CYCLE_1)
	s_and_not1_b32 vcc_lo, exec_lo, s0
	s_cbranch_vccnz .LBB497_1300
; %bb.1299:
	global_load_u8 v2, v[0:1], off
	s_waitcnt vmcnt(0)
	v_lshlrev_b32_e32 v3, 25, v2
	v_lshlrev_b16 v2, 8, v2
	s_delay_alu instid0(VALU_DEP_2) | instskip(NEXT) | instid1(VALU_DEP_2)
	v_lshrrev_b32_e32 v4, 4, v3
	v_and_or_b32 v5, 0x7f00, v2, 0.5
	v_bfe_i32 v2, v2, 0, 16
	s_delay_alu instid0(VALU_DEP_3) | instskip(NEXT) | instid1(VALU_DEP_1)
	v_or_b32_e32 v4, 0x70000000, v4
	v_dual_add_f32 v5, -0.5, v5 :: v_dual_mul_f32 v4, 0x7800000, v4
	v_cmp_gt_u32_e32 vcc_lo, 0x8000000, v3
	s_delay_alu instid0(VALU_DEP_2) | instskip(SKIP_1) | instid1(VALU_DEP_2)
	v_dual_cndmask_b32 v3, v4, v5 :: v_dual_mov_b32 v4, 0
	v_mov_b32_e32 v5, 0
	v_and_or_b32 v2, 0x80000000, v2, v3
	s_delay_alu instid0(VALU_DEP_1)
	v_cvt_f64_f32_e32 v[2:3], v2
.LBB497_1300:
	s_mov_b32 s2, -1
	s_mov_b32 s9, 0
	s_cbranch_execnz .LBB497_1310
.LBB497_1301:
	v_cmp_lt_i16_e32 vcc_lo, 14, v22
	s_cbranch_vccz .LBB497_1304
; %bb.1302:
	v_cmp_eq_u16_e32 vcc_lo, 15, v22
	s_cbranch_vccz .LBB497_1305
; %bb.1303:
	global_load_u16 v2, v[0:1], off
	s_mov_b32 s8, 0
	s_mov_b32 s2, -1
	s_mov_b64 s[0:1], 0
	s_waitcnt vmcnt(0)
	v_lshlrev_b32_e32 v2, 16, v2
	s_delay_alu instid0(VALU_DEP_1)
	v_cvt_f64_f32_e32 v[2:3], v2
	s_branch .LBB497_1306
.LBB497_1304:
	s_mov_b32 s3, -1
                                        ; implicit-def: $sgpr0_sgpr1
                                        ; implicit-def: $vgpr2_vgpr3
	s_branch .LBB497_1307
.LBB497_1305:
	s_mov_b32 s8, -1
                                        ; implicit-def: $sgpr0_sgpr1
                                        ; implicit-def: $vgpr2_vgpr3
.LBB497_1306:
	s_mov_b32 s3, 0
.LBB497_1307:
	s_delay_alu instid0(SALU_CYCLE_1)
	s_and_b32 vcc_lo, exec_lo, s3
	s_cbranch_vccz .LBB497_1309
; %bb.1308:
	v_cmp_ne_u16_e64 s8, 11, v22
	s_mov_b32 s9, -1
                                        ; implicit-def: $sgpr0_sgpr1
                                        ; implicit-def: $vgpr2_vgpr3
.LBB497_1309:
	v_dual_mov_b32 v5, s1 :: v_dual_mov_b32 v4, s0
.LBB497_1310:
	s_delay_alu instid0(VALU_DEP_2)
	s_and_b32 vcc_lo, exec_lo, s8
	s_mov_b32 s16, s14
	s_cbranch_vccnz .LBB497_1343
; %bb.1311:
	s_and_not1_b32 vcc_lo, exec_lo, s9
	s_cbranch_vccnz .LBB497_1313
.LBB497_1312:
	global_load_u8 v2, v[0:1], off
	v_mov_b32_e32 v4, 0
	v_mov_b32_e32 v5, 0
	s_mov_b32 s2, -1
	s_waitcnt vmcnt(0)
	v_cmp_ne_u16_e32 vcc_lo, 0, v2
	v_mov_b32_e32 v2, 0
	v_cndmask_b32_e64 v3, 0, 0x3ff00000, vcc_lo
.LBB497_1313:
.LBB497_1314:
	s_and_not1_b32 vcc_lo, exec_lo, s2
                                        ; implicit-def: $vgpr12_vgpr13
	s_cbranch_vccnz .LBB497_1771
.LBB497_1315:
	s_clause 0x1
	s_load_b128 s[0:3], s[20:21], 0x158
	s_load_b64 s[8:9], s[20:21], 0x168
	s_mov_b32 s10, exec_lo
	s_waitcnt lgkmcnt(0)
	v_dual_mov_b32 v0, s0 :: v_dual_mov_b32 v1, s1
	s_waitcnt vmcnt(0)
	s_delay_alu instid0(VALU_DEP_2)
	v_cmpx_o_f64_e32 v[2:3], v[2:3]
	s_cbranch_execz .LBB497_1319
; %bb.1316:
	v_dual_mov_b32 v0, s2 :: v_dual_mov_b32 v1, s3
	s_mov_b32 s11, exec_lo
	v_cmpx_neq_f64_e32 0x7ff00000, v[2:3]
; %bb.1317:
	v_cmp_eq_f64_e32 vcc_lo, 0xfff00000, v[2:3]
	v_cndmask_b32_e64 v1, v3, s9, vcc_lo
	v_cndmask_b32_e64 v0, v2, s8, vcc_lo
; %bb.1318:
	s_or_b32 exec_lo, exec_lo, s11
.LBB497_1319:
	s_delay_alu instid0(SALU_CYCLE_1) | instskip(SKIP_2) | instid1(VALU_DEP_4)
	s_or_b32 exec_lo, exec_lo, s10
	v_dual_mov_b32 v3, s1 :: v_dual_mov_b32 v2, s0
	s_mov_b32 s10, exec_lo
	v_cmpx_o_f64_e32 v[4:5], v[4:5]
	s_cbranch_execz .LBB497_1323
; %bb.1320:
	v_dual_mov_b32 v2, s2 :: v_dual_mov_b32 v3, s3
	s_mov_b32 s11, exec_lo
	v_cmpx_neq_f64_e32 0x7ff00000, v[4:5]
; %bb.1321:
	v_cmp_eq_f64_e32 vcc_lo, 0xfff00000, v[4:5]
	v_cndmask_b32_e64 v3, v5, s9, vcc_lo
	v_cndmask_b32_e64 v2, v4, s8, vcc_lo
; %bb.1322:
	s_or_b32 exec_lo, exec_lo, s11
.LBB497_1323:
	s_delay_alu instid0(SALU_CYCLE_1) | instskip(SKIP_2) | instid1(VALU_DEP_1)
	s_or_b32 exec_lo, exec_lo, s10
	v_cmp_gt_i16_e32 vcc_lo, 11, v22
	v_add_co_u32 v4, s10, s6, v6
	v_add_co_ci_u32_e64 v5, null, s7, 0, s10
	s_mov_b32 s12, 0
	s_cbranch_vccnz .LBB497_1330
; %bb.1324:
	v_cmp_lt_i16_e32 vcc_lo, 25, v22
	s_mov_b32 s18, 0
	s_cbranch_vccz .LBB497_1336
; %bb.1325:
	v_cmp_lt_i16_e32 vcc_lo, 28, v22
	s_cbranch_vccz .LBB497_1339
; %bb.1326:
	v_cmp_lt_i16_e32 vcc_lo, 43, v22
	s_cbranch_vccz .LBB497_1341
; %bb.1327:
	v_cmp_lt_i16_e32 vcc_lo, 45, v22
	s_cbranch_vccz .LBB497_1347
; %bb.1328:
	v_cmp_eq_u16_e32 vcc_lo, 46, v22
	s_mov_b32 s10, 0
	s_cbranch_vccz .LBB497_1392
; %bb.1329:
	global_load_b32 v6, v[4:5], off
	s_mov_b32 s17, 0
	s_mov_b32 s12, -1
	s_waitcnt vmcnt(0)
	v_lshlrev_b32_e32 v7, 16, v6
	v_and_b32_e32 v8, 0xffff0000, v6
	s_delay_alu instid0(VALU_DEP_2) | instskip(NEXT) | instid1(VALU_DEP_2)
	v_cvt_f64_f32_e32 v[6:7], v7
	v_cvt_f64_f32_e32 v[8:9], v8
	s_branch .LBB497_1394
.LBB497_1330:
                                        ; implicit-def: $vgpr8_vgpr9
	s_cbranch_execz .LBB497_1462
; %bb.1331:
	v_cmp_gt_i16_e32 vcc_lo, 5, v22
	s_cbranch_vccnz .LBB497_1337
; %bb.1332:
	v_cmp_gt_i16_e32 vcc_lo, 8, v22
	s_cbranch_vccnz .LBB497_1340
	;; [unrolled: 3-line block ×3, first 2 shown]
; %bb.1334:
	v_cmp_lt_i16_e32 vcc_lo, 9, v22
	s_cbranch_vccz .LBB497_1348
; %bb.1335:
	global_load_b128 v[6:9], v[4:5], off
	s_mov_b32 s10, 0
	s_branch .LBB497_1349
.LBB497_1336:
	s_mov_b32 s17, 0
                                        ; implicit-def: $vgpr8_vgpr9
	s_cbranch_execnz .LBB497_1427
	s_branch .LBB497_1458
.LBB497_1337:
                                        ; implicit-def: $vgpr8_vgpr9
	s_branch .LBB497_1368
.LBB497_1338:
	s_branch .LBB497_1463
.LBB497_1339:
	s_mov_b32 s10, -1
	s_mov_b32 s17, 0
                                        ; implicit-def: $vgpr8_vgpr9
	s_branch .LBB497_1406
.LBB497_1340:
	s_mov_b32 s10, -1
                                        ; implicit-def: $vgpr8_vgpr9
	s_branch .LBB497_1355
.LBB497_1341:
	s_mov_b32 s10, -1
	s_mov_b32 s17, 0
                                        ; implicit-def: $vgpr8_vgpr9
	s_branch .LBB497_1400
.LBB497_1342:
	s_mov_b32 s10, -1
                                        ; implicit-def: $vgpr8_vgpr9
	s_branch .LBB497_1352
.LBB497_1343:
	s_cbranch_execnz .LBB497_1388
; %bb.1344:
	s_or_b32 s16, s14, exec_lo
                                        ; implicit-def: $vgpr4_vgpr5
	s_cbranch_execz .LBB497_1312
	s_branch .LBB497_1313
.LBB497_1345:
	s_or_saveexec_b32 s7, s7
                                        ; implicit-def: $sgpr8
	s_delay_alu instid0(SALU_CYCLE_1)
	s_xor_b32 exec_lo, exec_lo, s7
	s_cbranch_execz .LBB497_1039
.LBB497_1346:
	v_add_f32_e64 v5, 0x46000000, |v4|
	s_and_not1_b32 s5, s5, exec_lo
	s_mov_b32 s8, 0
	s_delay_alu instid0(VALU_DEP_1) | instskip(NEXT) | instid1(VALU_DEP_1)
	v_and_b32_e32 v5, 0xff, v5
	v_cmp_ne_u32_e32 vcc_lo, 0, v5
	s_and_b32 s9, vcc_lo, exec_lo
	s_delay_alu instid0(SALU_CYCLE_1)
	s_or_b32 s5, s5, s9
	s_or_b32 exec_lo, exec_lo, s7
	v_mov_b32_e32 v6, s8
	s_and_saveexec_b32 s7, s5
	s_cbranch_execnz .LBB497_1040
	s_branch .LBB497_1041
.LBB497_1347:
	s_mov_b32 s10, -1
	s_mov_b32 s17, 0
	s_branch .LBB497_1393
.LBB497_1348:
	s_mov_b32 s10, -1
                                        ; implicit-def: $vgpr8_vgpr9
.LBB497_1349:
	s_delay_alu instid0(SALU_CYCLE_1)
	s_and_not1_b32 vcc_lo, exec_lo, s10
	s_cbranch_vccnz .LBB497_1351
; %bb.1350:
	global_load_b64 v[7:8], v[4:5], off
	s_waitcnt vmcnt(0)
	v_cvt_f64_f32_e32 v[6:7], v7
	v_cvt_f64_f32_e32 v[8:9], v8
.LBB497_1351:
	s_mov_b32 s10, 0
.LBB497_1352:
	s_delay_alu instid0(SALU_CYCLE_1)
	s_and_not1_b32 vcc_lo, exec_lo, s10
	s_cbranch_vccnz .LBB497_1354
; %bb.1353:
	global_load_b32 v6, v[4:5], off
	s_waitcnt vmcnt(0)
	v_lshrrev_b32_e32 v7, 16, v6
	v_cvt_f32_f16_e32 v6, v6
	s_delay_alu instid0(VALU_DEP_2) | instskip(NEXT) | instid1(VALU_DEP_2)
	v_cvt_f32_f16_e32 v8, v7
	v_cvt_f64_f32_e32 v[6:7], v6
	s_delay_alu instid0(VALU_DEP_2)
	v_cvt_f64_f32_e32 v[8:9], v8
.LBB497_1354:
	s_mov_b32 s10, 0
.LBB497_1355:
	s_delay_alu instid0(SALU_CYCLE_1)
	s_and_not1_b32 vcc_lo, exec_lo, s10
	s_cbranch_vccnz .LBB497_1367
; %bb.1356:
	v_cmp_gt_i16_e32 vcc_lo, 6, v22
	s_cbranch_vccnz .LBB497_1359
; %bb.1357:
	v_cmp_lt_i16_e32 vcc_lo, 6, v22
	s_cbranch_vccz .LBB497_1360
; %bb.1358:
	global_load_b64 v[6:7], v[4:5], off
	s_mov_b32 s12, 0
	s_mov_b64 s[10:11], 0
	s_branch .LBB497_1361
.LBB497_1359:
	s_mov_b32 s12, -1
                                        ; implicit-def: $sgpr10_sgpr11
                                        ; implicit-def: $vgpr6_vgpr7
	s_branch .LBB497_1364
.LBB497_1360:
	s_mov_b32 s12, -1
                                        ; implicit-def: $sgpr10_sgpr11
                                        ; implicit-def: $vgpr6_vgpr7
.LBB497_1361:
	s_delay_alu instid0(SALU_CYCLE_1)
	s_and_not1_b32 vcc_lo, exec_lo, s12
	s_cbranch_vccnz .LBB497_1363
; %bb.1362:
	global_load_b32 v6, v[4:5], off
	s_mov_b64 s[10:11], 0
	s_waitcnt vmcnt(0)
	v_cvt_f64_f32_e32 v[6:7], v6
.LBB497_1363:
	s_mov_b32 s12, 0
.LBB497_1364:
	s_delay_alu instid0(SALU_CYCLE_1)
	s_and_not1_b32 vcc_lo, exec_lo, s12
	s_cbranch_vccnz .LBB497_1366
; %bb.1365:
	global_load_u16 v6, v[4:5], off
	s_mov_b64 s[10:11], 0
	s_waitcnt vmcnt(0)
	v_cvt_f32_f16_e32 v6, v6
	s_delay_alu instid0(VALU_DEP_1)
	v_cvt_f64_f32_e32 v[6:7], v6
.LBB497_1366:
	s_waitcnt vmcnt(0)
	v_dual_mov_b32 v8, s10 :: v_dual_mov_b32 v9, s11
.LBB497_1367:
	s_cbranch_execnz .LBB497_1338
.LBB497_1368:
	v_cmp_gt_i16_e32 vcc_lo, 2, v22
	s_cbranch_vccnz .LBB497_1372
; %bb.1369:
	v_cmp_gt_i16_e32 vcc_lo, 3, v22
	s_cbranch_vccnz .LBB497_1373
; %bb.1370:
	v_cmp_lt_i16_e32 vcc_lo, 3, v22
	s_cbranch_vccz .LBB497_1374
; %bb.1371:
	global_load_b64 v[6:7], v[4:5], off
	s_mov_b32 s12, 0
	s_mov_b64 s[10:11], 0
	s_waitcnt vmcnt(0)
	v_cvt_f64_i32_e32 v[7:8], v7
	v_cvt_f64_u32_e32 v[11:12], v6
	s_delay_alu instid0(VALU_DEP_2) | instskip(NEXT) | instid1(VALU_DEP_1)
	v_ldexp_f64 v[7:8], v[7:8], 32
	v_add_f64 v[6:7], v[7:8], v[11:12]
	s_branch .LBB497_1375
.LBB497_1372:
	s_mov_b32 s12, -1
                                        ; implicit-def: $sgpr10_sgpr11
                                        ; implicit-def: $vgpr6_vgpr7
	s_branch .LBB497_1381
.LBB497_1373:
	s_mov_b32 s12, -1
                                        ; implicit-def: $sgpr10_sgpr11
                                        ; implicit-def: $vgpr6_vgpr7
	s_branch .LBB497_1378
.LBB497_1374:
	s_mov_b32 s12, -1
                                        ; implicit-def: $sgpr10_sgpr11
                                        ; implicit-def: $vgpr6_vgpr7
.LBB497_1375:
	s_delay_alu instid0(SALU_CYCLE_1)
	s_and_not1_b32 vcc_lo, exec_lo, s12
	s_cbranch_vccnz .LBB497_1377
; %bb.1376:
	global_load_b32 v6, v[4:5], off
	s_mov_b64 s[10:11], 0
	s_waitcnt vmcnt(0)
	v_cvt_f64_i32_e32 v[6:7], v6
.LBB497_1377:
	s_mov_b32 s12, 0
.LBB497_1378:
	s_delay_alu instid0(SALU_CYCLE_1)
	s_and_not1_b32 vcc_lo, exec_lo, s12
	s_cbranch_vccnz .LBB497_1380
; %bb.1379:
	global_load_i16 v6, v[4:5], off
	s_mov_b64 s[10:11], 0
	s_waitcnt vmcnt(0)
	v_cvt_f64_i32_e32 v[6:7], v6
.LBB497_1380:
	s_mov_b32 s12, 0
.LBB497_1381:
	s_delay_alu instid0(SALU_CYCLE_1)
	s_and_not1_b32 vcc_lo, exec_lo, s12
	s_cbranch_vccnz .LBB497_1387
; %bb.1382:
	v_cmp_lt_i16_e32 vcc_lo, 0, v22
	s_mov_b32 s12, 0
	s_cbranch_vccz .LBB497_1384
; %bb.1383:
	global_load_i8 v6, v[4:5], off
	s_mov_b64 s[10:11], 0
	s_waitcnt vmcnt(0)
	v_cvt_f64_i32_e32 v[6:7], v6
	s_branch .LBB497_1385
.LBB497_1384:
	s_mov_b32 s12, -1
                                        ; implicit-def: $sgpr10_sgpr11
                                        ; implicit-def: $vgpr6_vgpr7
.LBB497_1385:
	s_delay_alu instid0(SALU_CYCLE_1)
	s_and_not1_b32 vcc_lo, exec_lo, s12
	s_cbranch_vccnz .LBB497_1387
; %bb.1386:
	global_load_u8 v4, v[4:5], off
	s_mov_b64 s[10:11], 0
	s_waitcnt vmcnt(0)
	v_cvt_f64_u32_e32 v[6:7], v4
.LBB497_1387:
	s_waitcnt vmcnt(0)
	v_dual_mov_b32 v8, s10 :: v_dual_mov_b32 v9, s11
	s_branch .LBB497_1463
.LBB497_1388:
	s_trap 2
	s_sendmsg_rtn_b32 s0, sendmsg(MSG_RTN_GET_DOORBELL)
	s_mov_b32 ttmp2, m0
	s_waitcnt lgkmcnt(0)
	s_and_b32 s0, s0, 0x3ff
	s_delay_alu instid0(SALU_CYCLE_1) | instskip(NEXT) | instid1(SALU_CYCLE_1)
	s_bitset1_b32 s0, 10
	s_mov_b32 m0, s0
	s_sendmsg sendmsg(MSG_INTERRUPT)
	s_mov_b32 m0, ttmp2
.LBB497_1389:                           ; =>This Inner Loop Header: Depth=1
	s_sethalt 5
	s_branch .LBB497_1389
.LBB497_1390:
	s_or_saveexec_b32 s8, s8
                                        ; implicit-def: $sgpr9
	s_delay_alu instid0(SALU_CYCLE_1)
	s_xor_b32 exec_lo, exec_lo, s8
	s_cbranch_execz .LBB497_1051
.LBB497_1391:
	v_add_f32_e64 v5, 0x42800000, |v4|
	s_and_not1_b32 s7, s7, exec_lo
	s_mov_b32 s9, 0
	s_delay_alu instid0(VALU_DEP_1) | instskip(NEXT) | instid1(VALU_DEP_1)
	v_and_b32_e32 v5, 0xff, v5
	v_cmp_ne_u32_e32 vcc_lo, 0, v5
	s_and_b32 s10, vcc_lo, exec_lo
	s_delay_alu instid0(SALU_CYCLE_1)
	s_or_b32 s7, s7, s10
	s_or_b32 exec_lo, exec_lo, s8
	v_mov_b32_e32 v6, s9
	s_and_saveexec_b32 s8, s7
	s_cbranch_execnz .LBB497_1052
	s_branch .LBB497_1053
.LBB497_1392:
	s_mov_b32 s17, -1
.LBB497_1393:
                                        ; implicit-def: $vgpr8_vgpr9
.LBB497_1394:
	s_and_b32 vcc_lo, exec_lo, s10
	s_cbranch_vccz .LBB497_1399
; %bb.1395:
	v_cmp_eq_u16_e32 vcc_lo, 44, v22
	s_cbranch_vccz .LBB497_1397
; %bb.1396:
	global_load_u8 v8, v[4:5], off
	s_mov_b32 s17, 0
	s_mov_b32 s12, -1
	s_mov_b64 s[10:11], 0
	s_waitcnt vmcnt(0)
	v_cmp_ne_u32_e32 vcc_lo, 0xff, v8
	v_lshlrev_b32_e32 v6, 23, v8
	s_delay_alu instid0(VALU_DEP_1) | instskip(NEXT) | instid1(VALU_DEP_1)
	v_cvt_f64_f32_e32 v[6:7], v6
	v_cndmask_b32_e32 v7, 0x7ff80000, v7, vcc_lo
	s_delay_alu instid0(VALU_DEP_2) | instskip(SKIP_1) | instid1(VALU_DEP_3)
	v_cndmask_b32_e32 v6, 0x20000000, v6, vcc_lo
	v_cmp_ne_u32_e32 vcc_lo, 0, v8
	v_cndmask_b32_e32 v7, 0x38000000, v7, vcc_lo
	s_delay_alu instid0(VALU_DEP_3)
	v_cndmask_b32_e32 v6, 0, v6, vcc_lo
	s_branch .LBB497_1398
.LBB497_1397:
	s_mov_b32 s17, -1
                                        ; implicit-def: $sgpr10_sgpr11
                                        ; implicit-def: $vgpr6_vgpr7
.LBB497_1398:
	v_dual_mov_b32 v8, s10 :: v_dual_mov_b32 v9, s11
.LBB497_1399:
	s_mov_b32 s10, 0
.LBB497_1400:
	s_delay_alu instid0(SALU_CYCLE_1)
	s_and_b32 vcc_lo, exec_lo, s10
	s_cbranch_vccz .LBB497_1405
; %bb.1401:
	v_cmp_eq_u16_e32 vcc_lo, 29, v22
	s_cbranch_vccz .LBB497_1403
; %bb.1402:
	global_load_b64 v[6:7], v[4:5], off
	s_mov_b32 s17, 0
	s_mov_b32 s12, -1
	s_mov_b64 s[10:11], 0
	s_waitcnt vmcnt(0)
	v_cvt_f64_u32_e32 v[7:8], v7
	v_cvt_f64_u32_e32 v[11:12], v6
	s_delay_alu instid0(VALU_DEP_2) | instskip(NEXT) | instid1(VALU_DEP_1)
	v_ldexp_f64 v[7:8], v[7:8], 32
	v_add_f64 v[6:7], v[7:8], v[11:12]
	s_branch .LBB497_1404
.LBB497_1403:
	s_mov_b32 s17, -1
                                        ; implicit-def: $sgpr10_sgpr11
                                        ; implicit-def: $vgpr6_vgpr7
.LBB497_1404:
	v_dual_mov_b32 v8, s10 :: v_dual_mov_b32 v9, s11
.LBB497_1405:
	s_mov_b32 s10, 0
.LBB497_1406:
	s_delay_alu instid0(SALU_CYCLE_1)
	s_and_b32 vcc_lo, exec_lo, s10
	s_cbranch_vccz .LBB497_1426
; %bb.1407:
	v_cmp_gt_i16_e32 vcc_lo, 27, v22
	s_cbranch_vccnz .LBB497_1410
; %bb.1408:
	v_cmp_lt_i16_e32 vcc_lo, 27, v22
	s_cbranch_vccz .LBB497_1411
; %bb.1409:
	global_load_b32 v6, v[4:5], off
	s_mov_b32 s12, 0
	s_mov_b64 s[10:11], 0
	s_waitcnt vmcnt(0)
	v_cvt_f64_u32_e32 v[6:7], v6
	s_branch .LBB497_1412
.LBB497_1410:
	s_mov_b32 s12, -1
                                        ; implicit-def: $sgpr10_sgpr11
                                        ; implicit-def: $vgpr6_vgpr7
	s_branch .LBB497_1415
.LBB497_1411:
	s_mov_b32 s12, -1
                                        ; implicit-def: $sgpr10_sgpr11
                                        ; implicit-def: $vgpr6_vgpr7
.LBB497_1412:
	s_delay_alu instid0(SALU_CYCLE_1)
	s_and_not1_b32 vcc_lo, exec_lo, s12
	s_cbranch_vccnz .LBB497_1414
; %bb.1413:
	global_load_u16 v6, v[4:5], off
	s_mov_b64 s[10:11], 0
	s_waitcnt vmcnt(0)
	v_cvt_f64_u32_e32 v[6:7], v6
.LBB497_1414:
	s_mov_b32 s12, 0
.LBB497_1415:
	v_dual_mov_b32 v8, s10 :: v_dual_mov_b32 v9, s11
	s_and_not1_b32 vcc_lo, exec_lo, s12
	s_cbranch_vccnz .LBB497_1425
; %bb.1416:
	global_load_u8 v11, v[4:5], off
	s_mov_b32 s19, 0
	s_mov_b32 s22, exec_lo
                                        ; implicit-def: $sgpr10_sgpr11
                                        ; implicit-def: $sgpr12_sgpr13
	s_waitcnt vmcnt(0)
	v_cmpx_lt_i16_e32 0x7f, v11
	s_xor_b32 s22, exec_lo, s22
	s_cbranch_execz .LBB497_1420
; %bb.1417:
	s_mov_b32 s19, -1
	s_mov_b32 s23, exec_lo
                                        ; implicit-def: $sgpr10_sgpr11
                                        ; implicit-def: $sgpr12_sgpr13
	v_cmpx_eq_u16_e32 0x80, v11
; %bb.1418:
	s_mov_b64 s[10:11], 0
	s_mov_b32 s13, 0x7ff80000
	s_brev_b32 s12, 4
	s_xor_b32 s19, exec_lo, -1
; %bb.1419:
	s_or_b32 exec_lo, exec_lo, s23
	s_delay_alu instid0(SALU_CYCLE_1)
	s_and_b32 s19, s19, exec_lo
.LBB497_1420:
	s_or_saveexec_b32 s22, s22
	v_dual_mov_b32 v8, s10 :: v_dual_mov_b32 v9, s11
	v_dual_mov_b32 v6, s12 :: v_dual_mov_b32 v7, s13
	s_xor_b32 exec_lo, exec_lo, s22
; %bb.1421:
	v_mov_b32_e32 v8, 0
	v_mov_b32_e32 v9, 0
	v_cmp_ne_u16_e32 vcc_lo, 0, v11
	s_delay_alu instid0(VALU_DEP_3) | instskip(SKIP_1) | instid1(VALU_DEP_3)
	v_mov_b32_e32 v6, v8
	s_and_not1_b32 s10, s19, exec_lo
	v_mov_b32_e32 v7, v9
	s_and_b32 s11, vcc_lo, exec_lo
	s_delay_alu instid0(SALU_CYCLE_1)
	s_or_b32 s19, s10, s11
; %bb.1422:
	s_or_b32 exec_lo, exec_lo, s22
	s_and_saveexec_b32 s10, s19
	s_cbranch_execz .LBB497_1424
; %bb.1423:
	v_and_b32_e32 v6, 0xffff, v11
	v_lshlrev_b32_e32 v11, 24, v11
	s_delay_alu instid0(VALU_DEP_2) | instskip(NEXT) | instid1(VALU_DEP_1)
	v_and_b32_e32 v7, 7, v6
	v_clz_i32_u32_e32 v8, v7
	s_delay_alu instid0(VALU_DEP_1) | instskip(NEXT) | instid1(VALU_DEP_1)
	v_min_u32_e32 v8, 32, v8
	v_subrev_nc_u32_e32 v9, 28, v8
	v_sub_nc_u32_e32 v8, 29, v8
	s_delay_alu instid0(VALU_DEP_2) | instskip(SKIP_1) | instid1(VALU_DEP_2)
	v_lshlrev_b32_e32 v9, v9, v6
	v_bfe_u32 v6, v6, 3, 4
	v_and_b32_e32 v9, 7, v9
	s_delay_alu instid0(VALU_DEP_2) | instskip(NEXT) | instid1(VALU_DEP_2)
	v_cmp_eq_u32_e32 vcc_lo, 0, v6
	v_dual_cndmask_b32 v6, v6, v8 :: v_dual_cndmask_b32 v7, v7, v9
	v_and_b32_e32 v8, 0x80000000, v11
	s_delay_alu instid0(VALU_DEP_2) | instskip(NEXT) | instid1(VALU_DEP_3)
	v_lshl_add_u32 v6, v6, 23, 0x3b800000
	v_lshlrev_b32_e32 v7, 20, v7
	s_delay_alu instid0(VALU_DEP_1) | instskip(SKIP_2) | instid1(VALU_DEP_3)
	v_or3_b32 v6, v8, v6, v7
	v_mov_b32_e32 v8, 0
	v_mov_b32_e32 v9, 0
	v_cvt_f64_f32_e32 v[6:7], v6
.LBB497_1424:
	s_or_b32 exec_lo, exec_lo, s10
.LBB497_1425:
	s_mov_b32 s12, -1
.LBB497_1426:
	s_branch .LBB497_1458
.LBB497_1427:
	v_cmp_lt_i16_e32 vcc_lo, 22, v22
	s_cbranch_vccz .LBB497_1439
; %bb.1428:
	v_cmp_gt_i16_e32 vcc_lo, 24, v22
	s_cbranch_vccnz .LBB497_1440
; %bb.1429:
	v_cmp_lt_i16_e32 vcc_lo, 24, v22
	s_cbranch_vccz .LBB497_1441
; %bb.1430:
	global_load_u8 v11, v[4:5], off
	s_mov_b32 s19, exec_lo
                                        ; implicit-def: $sgpr10_sgpr11
                                        ; implicit-def: $sgpr12_sgpr13
	s_waitcnt vmcnt(0)
	v_cmpx_lt_i16_e32 0x7f, v11
	s_xor_b32 s19, exec_lo, s19
	s_cbranch_execz .LBB497_1434
; %bb.1431:
	s_mov_b32 s18, -1
	s_mov_b32 s22, exec_lo
                                        ; implicit-def: $sgpr10_sgpr11
                                        ; implicit-def: $sgpr12_sgpr13
	v_cmpx_eq_u16_e32 0x80, v11
; %bb.1432:
	s_mov_b64 s[10:11], 0
	s_mov_b32 s13, 0x7ff80000
	s_brev_b32 s12, 4
	s_xor_b32 s18, exec_lo, -1
; %bb.1433:
	s_or_b32 exec_lo, exec_lo, s22
	s_delay_alu instid0(SALU_CYCLE_1)
	s_and_b32 s18, s18, exec_lo
.LBB497_1434:
	s_or_saveexec_b32 s19, s19
	v_dual_mov_b32 v8, s10 :: v_dual_mov_b32 v9, s11
	v_dual_mov_b32 v6, s12 :: v_dual_mov_b32 v7, s13
	s_xor_b32 exec_lo, exec_lo, s19
; %bb.1435:
	v_mov_b32_e32 v8, 0
	v_mov_b32_e32 v9, 0
	v_cmp_ne_u16_e32 vcc_lo, 0, v11
	s_delay_alu instid0(VALU_DEP_3) | instskip(SKIP_1) | instid1(VALU_DEP_3)
	v_mov_b32_e32 v6, v8
	s_and_not1_b32 s10, s18, exec_lo
	v_mov_b32_e32 v7, v9
	s_and_b32 s11, vcc_lo, exec_lo
	s_delay_alu instid0(SALU_CYCLE_1)
	s_or_b32 s18, s10, s11
; %bb.1436:
	s_or_b32 exec_lo, exec_lo, s19
	s_and_saveexec_b32 s10, s18
	s_cbranch_execz .LBB497_1438
; %bb.1437:
	v_and_b32_e32 v6, 0xffff, v11
	v_lshlrev_b32_e32 v11, 24, v11
	s_delay_alu instid0(VALU_DEP_2) | instskip(NEXT) | instid1(VALU_DEP_1)
	v_and_b32_e32 v7, 3, v6
	v_clz_i32_u32_e32 v8, v7
	s_delay_alu instid0(VALU_DEP_1) | instskip(NEXT) | instid1(VALU_DEP_1)
	v_min_u32_e32 v8, 32, v8
	v_subrev_nc_u32_e32 v9, 29, v8
	v_sub_nc_u32_e32 v8, 30, v8
	s_delay_alu instid0(VALU_DEP_2) | instskip(SKIP_1) | instid1(VALU_DEP_2)
	v_lshlrev_b32_e32 v9, v9, v6
	v_bfe_u32 v6, v6, 2, 5
	v_and_b32_e32 v9, 3, v9
	s_delay_alu instid0(VALU_DEP_2) | instskip(NEXT) | instid1(VALU_DEP_2)
	v_cmp_eq_u32_e32 vcc_lo, 0, v6
	v_dual_cndmask_b32 v6, v6, v8 :: v_dual_cndmask_b32 v7, v7, v9
	v_and_b32_e32 v8, 0x80000000, v11
	s_delay_alu instid0(VALU_DEP_2) | instskip(NEXT) | instid1(VALU_DEP_3)
	v_lshl_add_u32 v6, v6, 23, 0x37800000
	v_lshlrev_b32_e32 v7, 21, v7
	s_delay_alu instid0(VALU_DEP_1) | instskip(SKIP_2) | instid1(VALU_DEP_3)
	v_or3_b32 v6, v8, v6, v7
	v_mov_b32_e32 v8, 0
	v_mov_b32_e32 v9, 0
	v_cvt_f64_f32_e32 v[6:7], v6
.LBB497_1438:
	s_or_b32 exec_lo, exec_lo, s10
	s_mov_b32 s10, 0
	s_branch .LBB497_1442
.LBB497_1439:
	s_mov_b32 s10, -1
                                        ; implicit-def: $vgpr8_vgpr9
	s_branch .LBB497_1448
.LBB497_1440:
	s_mov_b32 s10, -1
                                        ; implicit-def: $vgpr8_vgpr9
	s_branch .LBB497_1445
.LBB497_1441:
	s_mov_b32 s10, -1
                                        ; implicit-def: $vgpr8_vgpr9
.LBB497_1442:
	s_delay_alu instid0(SALU_CYCLE_1)
	s_and_b32 vcc_lo, exec_lo, s10
	s_cbranch_vccz .LBB497_1444
; %bb.1443:
	global_load_u8 v6, v[4:5], off
	s_waitcnt vmcnt(0)
	v_lshlrev_b32_e32 v6, 24, v6
	s_delay_alu instid0(VALU_DEP_1) | instskip(NEXT) | instid1(VALU_DEP_1)
	v_and_b32_e32 v7, 0x7f000000, v6
	v_clz_i32_u32_e32 v8, v7
	v_add_nc_u32_e32 v11, 0x1000000, v7
	v_cmp_ne_u32_e32 vcc_lo, 0, v7
	s_delay_alu instid0(VALU_DEP_3) | instskip(NEXT) | instid1(VALU_DEP_1)
	v_min_u32_e32 v8, 32, v8
	v_sub_nc_u32_e64 v8, v8, 4 clamp
	s_delay_alu instid0(VALU_DEP_1) | instskip(SKIP_1) | instid1(VALU_DEP_2)
	v_lshlrev_b32_e32 v9, v8, v7
	v_lshlrev_b32_e32 v8, 23, v8
	v_lshrrev_b32_e32 v9, 4, v9
	s_delay_alu instid0(VALU_DEP_1) | instskip(SKIP_1) | instid1(VALU_DEP_2)
	v_sub_nc_u32_e32 v8, v9, v8
	v_ashrrev_i32_e32 v9, 8, v11
	v_add_nc_u32_e32 v8, 0x3c000000, v8
	s_delay_alu instid0(VALU_DEP_1) | instskip(NEXT) | instid1(VALU_DEP_1)
	v_and_or_b32 v8, 0x7f800000, v9, v8
	v_dual_cndmask_b32 v7, 0, v8 :: v_dual_mov_b32 v8, 0
	v_mov_b32_e32 v9, 0
	s_delay_alu instid0(VALU_DEP_2) | instskip(NEXT) | instid1(VALU_DEP_1)
	v_and_or_b32 v6, 0x80000000, v6, v7
	v_cvt_f64_f32_e32 v[6:7], v6
.LBB497_1444:
	s_mov_b32 s10, 0
.LBB497_1445:
	s_delay_alu instid0(SALU_CYCLE_1)
	s_and_not1_b32 vcc_lo, exec_lo, s10
	s_cbranch_vccnz .LBB497_1447
; %bb.1446:
	global_load_u8 v6, v[4:5], off
	s_waitcnt vmcnt(0)
	v_lshlrev_b32_e32 v7, 25, v6
	v_lshlrev_b16 v6, 8, v6
	s_delay_alu instid0(VALU_DEP_2) | instskip(NEXT) | instid1(VALU_DEP_2)
	v_lshrrev_b32_e32 v8, 4, v7
	v_and_or_b32 v9, 0x7f00, v6, 0.5
	v_bfe_i32 v6, v6, 0, 16
	s_delay_alu instid0(VALU_DEP_3) | instskip(NEXT) | instid1(VALU_DEP_1)
	v_or_b32_e32 v8, 0x70000000, v8
	v_dual_add_f32 v9, -0.5, v9 :: v_dual_mul_f32 v8, 0x7800000, v8
	v_cmp_gt_u32_e32 vcc_lo, 0x8000000, v7
	s_delay_alu instid0(VALU_DEP_2) | instskip(SKIP_1) | instid1(VALU_DEP_2)
	v_dual_cndmask_b32 v7, v8, v9 :: v_dual_mov_b32 v8, 0
	v_mov_b32_e32 v9, 0
	v_and_or_b32 v6, 0x80000000, v6, v7
	s_delay_alu instid0(VALU_DEP_1)
	v_cvt_f64_f32_e32 v[6:7], v6
.LBB497_1447:
	s_mov_b32 s10, 0
	s_mov_b32 s12, -1
.LBB497_1448:
	s_and_not1_b32 vcc_lo, exec_lo, s10
	s_mov_b32 s18, 0
	s_cbranch_vccnz .LBB497_1458
; %bb.1449:
	v_cmp_lt_i16_e32 vcc_lo, 14, v22
	s_cbranch_vccz .LBB497_1452
; %bb.1450:
	v_cmp_eq_u16_e32 vcc_lo, 15, v22
	s_cbranch_vccz .LBB497_1453
; %bb.1451:
	global_load_u16 v6, v[4:5], off
	s_mov_b32 s17, 0
	s_mov_b32 s12, -1
	s_mov_b64 s[10:11], 0
	s_waitcnt vmcnt(0)
	v_lshlrev_b32_e32 v6, 16, v6
	s_delay_alu instid0(VALU_DEP_1)
	v_cvt_f64_f32_e32 v[6:7], v6
	s_branch .LBB497_1454
.LBB497_1452:
	s_mov_b32 s13, -1
                                        ; implicit-def: $sgpr10_sgpr11
                                        ; implicit-def: $vgpr6_vgpr7
	s_branch .LBB497_1455
.LBB497_1453:
	s_mov_b32 s17, -1
                                        ; implicit-def: $sgpr10_sgpr11
                                        ; implicit-def: $vgpr6_vgpr7
.LBB497_1454:
	s_mov_b32 s13, 0
.LBB497_1455:
	s_delay_alu instid0(SALU_CYCLE_1)
	s_and_b32 vcc_lo, exec_lo, s13
	s_cbranch_vccz .LBB497_1457
; %bb.1456:
	v_cmp_ne_u16_e64 s17, 11, v22
	s_mov_b32 s18, -1
                                        ; implicit-def: $sgpr10_sgpr11
                                        ; implicit-def: $vgpr6_vgpr7
.LBB497_1457:
	v_dual_mov_b32 v8, s10 :: v_dual_mov_b32 v9, s11
.LBB497_1458:
	s_delay_alu instid0(VALU_DEP_2)
	s_and_b32 vcc_lo, exec_lo, s17
	s_cbranch_vccnz .LBB497_1490
; %bb.1459:
	s_and_not1_b32 vcc_lo, exec_lo, s18
	s_cbranch_vccnz .LBB497_1461
.LBB497_1460:
	global_load_u8 v6, v[4:5], off
	v_mov_b32_e32 v8, 0
	v_mov_b32_e32 v9, 0
	s_mov_b32 s12, -1
	s_waitcnt vmcnt(0)
	v_cmp_ne_u16_e32 vcc_lo, 0, v6
	v_mov_b32_e32 v6, 0
	v_cndmask_b32_e64 v7, 0, 0x3ff00000, vcc_lo
.LBB497_1461:
.LBB497_1462:
	s_and_not1_b32 vcc_lo, exec_lo, s12
	s_cbranch_vccnz .LBB497_1771
.LBB497_1463:
	v_dual_mov_b32 v5, s1 :: v_dual_mov_b32 v4, s0
	s_mov_b32 s10, exec_lo
	s_waitcnt vmcnt(0)
	s_delay_alu instid0(VALU_DEP_2)
	v_cmpx_o_f64_e32 v[6:7], v[6:7]
	s_cbranch_execz .LBB497_1467
; %bb.1464:
	v_dual_mov_b32 v5, s3 :: v_dual_mov_b32 v4, s2
	s_mov_b32 s11, exec_lo
	v_cmpx_neq_f64_e32 0x7ff00000, v[6:7]
; %bb.1465:
	v_cmp_eq_f64_e32 vcc_lo, 0xfff00000, v[6:7]
	v_cndmask_b32_e64 v5, v7, s9, vcc_lo
	v_cndmask_b32_e64 v4, v6, s8, vcc_lo
; %bb.1466:
	s_or_b32 exec_lo, exec_lo, s11
.LBB497_1467:
	s_delay_alu instid0(SALU_CYCLE_1) | instskip(SKIP_2) | instid1(VALU_DEP_4)
	s_or_b32 exec_lo, exec_lo, s10
	v_dual_mov_b32 v7, s1 :: v_dual_mov_b32 v6, s0
	s_mov_b32 s10, exec_lo
	v_cmpx_o_f64_e32 v[8:9], v[8:9]
	s_cbranch_execz .LBB497_1471
; %bb.1468:
	v_dual_mov_b32 v7, s3 :: v_dual_mov_b32 v6, s2
	s_mov_b32 s11, exec_lo
	v_cmpx_neq_f64_e32 0x7ff00000, v[8:9]
; %bb.1469:
	v_cmp_eq_f64_e32 vcc_lo, 0xfff00000, v[8:9]
	v_cndmask_b32_e64 v7, v9, s9, vcc_lo
	v_cndmask_b32_e64 v6, v8, s8, vcc_lo
; %bb.1470:
	s_or_b32 exec_lo, exec_lo, s11
.LBB497_1471:
	s_delay_alu instid0(SALU_CYCLE_1) | instskip(SKIP_2) | instid1(VALU_DEP_1)
	s_or_b32 exec_lo, exec_lo, s10
	v_cmp_gt_i16_e32 vcc_lo, 11, v22
	v_add_co_u32 v8, s10, s6, v10
	v_add_co_ci_u32_e64 v9, null, s7, 0, s10
	s_mov_b32 s12, 0
	s_cbranch_vccnz .LBB497_1478
; %bb.1472:
	v_cmp_lt_i16_e32 vcc_lo, 25, v22
	s_mov_b32 s18, 0
	s_cbranch_vccz .LBB497_1484
; %bb.1473:
	v_cmp_lt_i16_e32 vcc_lo, 28, v22
	s_cbranch_vccz .LBB497_1486
; %bb.1474:
	v_cmp_lt_i16_e32 vcc_lo, 43, v22
	;; [unrolled: 3-line block ×3, first 2 shown]
	s_cbranch_vccz .LBB497_1492
; %bb.1476:
	v_cmp_eq_u16_e32 vcc_lo, 46, v22
	s_mov_b32 s10, 0
	s_cbranch_vccz .LBB497_1537
; %bb.1477:
	global_load_b32 v10, v[8:9], off
	s_mov_b32 s17, 0
	s_mov_b32 s12, -1
	s_waitcnt vmcnt(0)
	v_lshlrev_b32_e32 v11, 16, v10
	v_and_b32_e32 v12, 0xffff0000, v10
	s_delay_alu instid0(VALU_DEP_2) | instskip(NEXT) | instid1(VALU_DEP_2)
	v_cvt_f64_f32_e32 v[10:11], v11
	v_cvt_f64_f32_e32 v[12:13], v12
	s_branch .LBB497_1539
.LBB497_1478:
                                        ; implicit-def: $vgpr12_vgpr13
	s_cbranch_execz .LBB497_1608
; %bb.1479:
	v_cmp_gt_i16_e32 vcc_lo, 5, v22
	s_cbranch_vccnz .LBB497_1485
; %bb.1480:
	v_cmp_gt_i16_e32 vcc_lo, 8, v22
	s_cbranch_vccnz .LBB497_1487
	;; [unrolled: 3-line block ×3, first 2 shown]
; %bb.1482:
	v_cmp_lt_i16_e32 vcc_lo, 9, v22
	s_cbranch_vccz .LBB497_1493
; %bb.1483:
	global_load_b128 v[10:13], v[8:9], off
	s_mov_b32 s10, 0
	s_branch .LBB497_1494
.LBB497_1484:
	s_mov_b32 s10, -1
	s_mov_b32 s17, 0
                                        ; implicit-def: $vgpr12_vgpr13
	s_branch .LBB497_1572
.LBB497_1485:
	s_mov_b32 s10, -1
                                        ; implicit-def: $vgpr12_vgpr13
	s_branch .LBB497_1513
.LBB497_1486:
	s_mov_b32 s10, -1
	s_mov_b32 s17, 0
                                        ; implicit-def: $vgpr12_vgpr13
	s_branch .LBB497_1551
.LBB497_1487:
	s_mov_b32 s10, -1
                                        ; implicit-def: $vgpr12_vgpr13
	s_branch .LBB497_1500
.LBB497_1488:
	s_mov_b32 s10, -1
	s_mov_b32 s17, 0
                                        ; implicit-def: $vgpr12_vgpr13
	s_branch .LBB497_1545
.LBB497_1489:
	s_mov_b32 s10, -1
                                        ; implicit-def: $vgpr12_vgpr13
	s_branch .LBB497_1497
.LBB497_1490:
	s_cbranch_execnz .LBB497_1535
; %bb.1491:
	s_or_b32 s16, s16, exec_lo
                                        ; implicit-def: $vgpr8_vgpr9
	s_cbranch_execz .LBB497_1460
	s_branch .LBB497_1461
.LBB497_1492:
	s_mov_b32 s10, -1
	s_mov_b32 s17, 0
	s_branch .LBB497_1538
.LBB497_1493:
	s_mov_b32 s10, -1
                                        ; implicit-def: $vgpr12_vgpr13
.LBB497_1494:
	s_delay_alu instid0(SALU_CYCLE_1)
	s_and_not1_b32 vcc_lo, exec_lo, s10
	s_cbranch_vccnz .LBB497_1496
; %bb.1495:
	global_load_b64 v[11:12], v[8:9], off
	s_waitcnt vmcnt(0)
	v_cvt_f64_f32_e32 v[10:11], v11
	v_cvt_f64_f32_e32 v[12:13], v12
.LBB497_1496:
	s_mov_b32 s10, 0
.LBB497_1497:
	s_delay_alu instid0(SALU_CYCLE_1)
	s_and_not1_b32 vcc_lo, exec_lo, s10
	s_cbranch_vccnz .LBB497_1499
; %bb.1498:
	global_load_b32 v10, v[8:9], off
	s_waitcnt vmcnt(0)
	v_lshrrev_b32_e32 v11, 16, v10
	v_cvt_f32_f16_e32 v10, v10
	s_delay_alu instid0(VALU_DEP_2) | instskip(NEXT) | instid1(VALU_DEP_2)
	v_cvt_f32_f16_e32 v12, v11
	v_cvt_f64_f32_e32 v[10:11], v10
	s_delay_alu instid0(VALU_DEP_2)
	v_cvt_f64_f32_e32 v[12:13], v12
.LBB497_1499:
	s_mov_b32 s10, 0
.LBB497_1500:
	s_delay_alu instid0(SALU_CYCLE_1)
	s_and_not1_b32 vcc_lo, exec_lo, s10
	s_cbranch_vccnz .LBB497_1512
; %bb.1501:
	v_cmp_gt_i16_e32 vcc_lo, 6, v22
	s_cbranch_vccnz .LBB497_1504
; %bb.1502:
	v_cmp_lt_i16_e32 vcc_lo, 6, v22
	s_cbranch_vccz .LBB497_1505
; %bb.1503:
	global_load_b64 v[10:11], v[8:9], off
	s_mov_b32 s12, 0
	s_mov_b64 s[10:11], 0
	s_branch .LBB497_1506
.LBB497_1504:
	s_mov_b32 s12, -1
                                        ; implicit-def: $sgpr10_sgpr11
                                        ; implicit-def: $vgpr10_vgpr11
	s_branch .LBB497_1509
.LBB497_1505:
	s_mov_b32 s12, -1
                                        ; implicit-def: $sgpr10_sgpr11
                                        ; implicit-def: $vgpr10_vgpr11
.LBB497_1506:
	s_delay_alu instid0(SALU_CYCLE_1)
	s_and_not1_b32 vcc_lo, exec_lo, s12
	s_cbranch_vccnz .LBB497_1508
; %bb.1507:
	global_load_b32 v10, v[8:9], off
	s_mov_b64 s[10:11], 0
	s_waitcnt vmcnt(0)
	v_cvt_f64_f32_e32 v[10:11], v10
.LBB497_1508:
	s_mov_b32 s12, 0
.LBB497_1509:
	s_delay_alu instid0(SALU_CYCLE_1)
	s_and_not1_b32 vcc_lo, exec_lo, s12
	s_cbranch_vccnz .LBB497_1511
; %bb.1510:
	global_load_u16 v10, v[8:9], off
	s_mov_b64 s[10:11], 0
	s_waitcnt vmcnt(0)
	v_cvt_f32_f16_e32 v10, v10
	s_delay_alu instid0(VALU_DEP_1)
	v_cvt_f64_f32_e32 v[10:11], v10
.LBB497_1511:
	s_waitcnt vmcnt(0)
	v_dual_mov_b32 v13, s11 :: v_dual_mov_b32 v12, s10
.LBB497_1512:
	s_mov_b32 s10, 0
.LBB497_1513:
	s_delay_alu instid0(SALU_CYCLE_1)
	s_and_not1_b32 vcc_lo, exec_lo, s10
	s_cbranch_vccnz .LBB497_1534
; %bb.1514:
	v_cmp_gt_i16_e32 vcc_lo, 2, v22
	s_cbranch_vccnz .LBB497_1518
; %bb.1515:
	v_cmp_gt_i16_e32 vcc_lo, 3, v22
	s_cbranch_vccnz .LBB497_1519
; %bb.1516:
	v_cmp_lt_i16_e32 vcc_lo, 3, v22
	s_cbranch_vccz .LBB497_1520
; %bb.1517:
	global_load_b64 v[10:11], v[8:9], off
	s_mov_b32 s12, 0
	s_mov_b64 s[10:11], 0
	s_waitcnt vmcnt(0)
	v_cvt_f64_i32_e32 v[11:12], v11
	v_cvt_f64_u32_e32 v[15:16], v10
	s_delay_alu instid0(VALU_DEP_2) | instskip(NEXT) | instid1(VALU_DEP_1)
	v_ldexp_f64 v[11:12], v[11:12], 32
	v_add_f64 v[10:11], v[11:12], v[15:16]
	s_branch .LBB497_1521
.LBB497_1518:
	s_mov_b32 s12, -1
                                        ; implicit-def: $sgpr10_sgpr11
                                        ; implicit-def: $vgpr10_vgpr11
	s_branch .LBB497_1527
.LBB497_1519:
	s_mov_b32 s12, -1
                                        ; implicit-def: $sgpr10_sgpr11
                                        ; implicit-def: $vgpr10_vgpr11
	s_branch .LBB497_1524
.LBB497_1520:
	s_mov_b32 s12, -1
                                        ; implicit-def: $sgpr10_sgpr11
                                        ; implicit-def: $vgpr10_vgpr11
.LBB497_1521:
	s_delay_alu instid0(SALU_CYCLE_1)
	s_and_not1_b32 vcc_lo, exec_lo, s12
	s_cbranch_vccnz .LBB497_1523
; %bb.1522:
	global_load_b32 v10, v[8:9], off
	s_mov_b64 s[10:11], 0
	s_waitcnt vmcnt(0)
	v_cvt_f64_i32_e32 v[10:11], v10
.LBB497_1523:
	s_mov_b32 s12, 0
.LBB497_1524:
	s_delay_alu instid0(SALU_CYCLE_1)
	s_and_not1_b32 vcc_lo, exec_lo, s12
	s_cbranch_vccnz .LBB497_1526
; %bb.1525:
	global_load_i16 v10, v[8:9], off
	s_mov_b64 s[10:11], 0
	s_waitcnt vmcnt(0)
	v_cvt_f64_i32_e32 v[10:11], v10
.LBB497_1526:
	s_mov_b32 s12, 0
.LBB497_1527:
	s_delay_alu instid0(SALU_CYCLE_1)
	s_and_not1_b32 vcc_lo, exec_lo, s12
	s_cbranch_vccnz .LBB497_1533
; %bb.1528:
	v_cmp_lt_i16_e32 vcc_lo, 0, v22
	s_mov_b32 s12, 0
	s_cbranch_vccz .LBB497_1530
; %bb.1529:
	global_load_i8 v10, v[8:9], off
	s_mov_b64 s[10:11], 0
	s_waitcnt vmcnt(0)
	v_cvt_f64_i32_e32 v[10:11], v10
	s_branch .LBB497_1531
.LBB497_1530:
	s_mov_b32 s12, -1
                                        ; implicit-def: $sgpr10_sgpr11
                                        ; implicit-def: $vgpr10_vgpr11
.LBB497_1531:
	s_delay_alu instid0(SALU_CYCLE_1)
	s_and_not1_b32 vcc_lo, exec_lo, s12
	s_cbranch_vccnz .LBB497_1533
; %bb.1532:
	global_load_u8 v8, v[8:9], off
	s_mov_b64 s[10:11], 0
	s_waitcnt vmcnt(0)
	v_cvt_f64_u32_e32 v[10:11], v8
.LBB497_1533:
	s_waitcnt vmcnt(0)
	v_dual_mov_b32 v13, s11 :: v_dual_mov_b32 v12, s10
.LBB497_1534:
	s_branch .LBB497_1609
.LBB497_1535:
	s_trap 2
	s_sendmsg_rtn_b32 s0, sendmsg(MSG_RTN_GET_DOORBELL)
	s_mov_b32 ttmp2, m0
	s_waitcnt lgkmcnt(0)
	s_and_b32 s0, s0, 0x3ff
	s_delay_alu instid0(SALU_CYCLE_1) | instskip(NEXT) | instid1(SALU_CYCLE_1)
	s_bitset1_b32 s0, 10
	s_mov_b32 m0, s0
	s_sendmsg sendmsg(MSG_INTERRUPT)
	s_mov_b32 m0, ttmp2
.LBB497_1536:                           ; =>This Inner Loop Header: Depth=1
	s_sethalt 5
	s_branch .LBB497_1536
.LBB497_1537:
	s_mov_b32 s17, -1
.LBB497_1538:
                                        ; implicit-def: $vgpr12_vgpr13
.LBB497_1539:
	s_and_b32 vcc_lo, exec_lo, s10
	s_cbranch_vccz .LBB497_1544
; %bb.1540:
	v_cmp_eq_u16_e32 vcc_lo, 44, v22
	s_cbranch_vccz .LBB497_1542
; %bb.1541:
	global_load_u8 v12, v[8:9], off
	s_mov_b32 s17, 0
	s_mov_b32 s12, -1
	s_mov_b64 s[10:11], 0
	s_waitcnt vmcnt(0)
	v_cmp_ne_u32_e32 vcc_lo, 0xff, v12
	v_lshlrev_b32_e32 v10, 23, v12
	s_delay_alu instid0(VALU_DEP_1) | instskip(NEXT) | instid1(VALU_DEP_1)
	v_cvt_f64_f32_e32 v[10:11], v10
	v_cndmask_b32_e32 v11, 0x7ff80000, v11, vcc_lo
	s_delay_alu instid0(VALU_DEP_2) | instskip(SKIP_1) | instid1(VALU_DEP_3)
	v_cndmask_b32_e32 v10, 0x20000000, v10, vcc_lo
	v_cmp_ne_u32_e32 vcc_lo, 0, v12
	v_cndmask_b32_e32 v11, 0x38000000, v11, vcc_lo
	s_delay_alu instid0(VALU_DEP_3)
	v_cndmask_b32_e32 v10, 0, v10, vcc_lo
	s_branch .LBB497_1543
.LBB497_1542:
	s_mov_b32 s17, -1
                                        ; implicit-def: $sgpr10_sgpr11
                                        ; implicit-def: $vgpr10_vgpr11
.LBB497_1543:
	v_dual_mov_b32 v13, s11 :: v_dual_mov_b32 v12, s10
.LBB497_1544:
	s_mov_b32 s10, 0
.LBB497_1545:
	s_delay_alu instid0(SALU_CYCLE_1)
	s_and_b32 vcc_lo, exec_lo, s10
	s_cbranch_vccz .LBB497_1550
; %bb.1546:
	v_cmp_eq_u16_e32 vcc_lo, 29, v22
	s_cbranch_vccz .LBB497_1548
; %bb.1547:
	global_load_b64 v[10:11], v[8:9], off
	s_mov_b32 s17, 0
	s_mov_b32 s12, -1
	s_mov_b64 s[10:11], 0
	s_waitcnt vmcnt(0)
	v_cvt_f64_u32_e32 v[11:12], v11
	v_cvt_f64_u32_e32 v[15:16], v10
	s_delay_alu instid0(VALU_DEP_2) | instskip(NEXT) | instid1(VALU_DEP_1)
	v_ldexp_f64 v[11:12], v[11:12], 32
	v_add_f64 v[10:11], v[11:12], v[15:16]
	s_branch .LBB497_1549
.LBB497_1548:
	s_mov_b32 s17, -1
                                        ; implicit-def: $sgpr10_sgpr11
                                        ; implicit-def: $vgpr10_vgpr11
.LBB497_1549:
	v_dual_mov_b32 v13, s11 :: v_dual_mov_b32 v12, s10
.LBB497_1550:
	s_mov_b32 s10, 0
.LBB497_1551:
	s_delay_alu instid0(SALU_CYCLE_1)
	s_and_b32 vcc_lo, exec_lo, s10
	s_cbranch_vccz .LBB497_1571
; %bb.1552:
	v_cmp_gt_i16_e32 vcc_lo, 27, v22
	s_cbranch_vccnz .LBB497_1555
; %bb.1553:
	v_cmp_lt_i16_e32 vcc_lo, 27, v22
	s_cbranch_vccz .LBB497_1556
; %bb.1554:
	global_load_b32 v10, v[8:9], off
	s_mov_b32 s12, 0
	s_mov_b64 s[10:11], 0
	s_waitcnt vmcnt(0)
	v_cvt_f64_u32_e32 v[10:11], v10
	s_branch .LBB497_1557
.LBB497_1555:
	s_mov_b32 s12, -1
                                        ; implicit-def: $sgpr10_sgpr11
                                        ; implicit-def: $vgpr10_vgpr11
	s_branch .LBB497_1560
.LBB497_1556:
	s_mov_b32 s12, -1
                                        ; implicit-def: $sgpr10_sgpr11
                                        ; implicit-def: $vgpr10_vgpr11
.LBB497_1557:
	s_delay_alu instid0(SALU_CYCLE_1)
	s_and_not1_b32 vcc_lo, exec_lo, s12
	s_cbranch_vccnz .LBB497_1559
; %bb.1558:
	global_load_u16 v10, v[8:9], off
	s_mov_b64 s[10:11], 0
	s_waitcnt vmcnt(0)
	v_cvt_f64_u32_e32 v[10:11], v10
.LBB497_1559:
	s_mov_b32 s12, 0
.LBB497_1560:
	v_dual_mov_b32 v13, s11 :: v_dual_mov_b32 v12, s10
	s_and_not1_b32 vcc_lo, exec_lo, s12
	s_cbranch_vccnz .LBB497_1570
; %bb.1561:
	global_load_u8 v15, v[8:9], off
	s_mov_b32 s19, 0
	s_mov_b32 s22, exec_lo
                                        ; implicit-def: $sgpr10_sgpr11
                                        ; implicit-def: $sgpr12_sgpr13
	s_waitcnt vmcnt(0)
	v_cmpx_lt_i16_e32 0x7f, v15
	s_xor_b32 s22, exec_lo, s22
	s_cbranch_execz .LBB497_1565
; %bb.1562:
	s_mov_b32 s19, -1
	s_mov_b32 s23, exec_lo
                                        ; implicit-def: $sgpr10_sgpr11
                                        ; implicit-def: $sgpr12_sgpr13
	v_cmpx_eq_u16_e32 0x80, v15
; %bb.1563:
	s_mov_b64 s[10:11], 0
	s_mov_b32 s13, 0x7ff80000
	s_brev_b32 s12, 4
	s_xor_b32 s19, exec_lo, -1
; %bb.1564:
	s_or_b32 exec_lo, exec_lo, s23
	s_delay_alu instid0(SALU_CYCLE_1)
	s_and_b32 s19, s19, exec_lo
.LBB497_1565:
	s_or_saveexec_b32 s22, s22
	v_dual_mov_b32 v13, s11 :: v_dual_mov_b32 v12, s10
	v_dual_mov_b32 v10, s12 :: v_dual_mov_b32 v11, s13
	s_xor_b32 exec_lo, exec_lo, s22
; %bb.1566:
	v_mov_b32_e32 v12, 0
	v_mov_b32_e32 v13, 0
	v_cmp_ne_u16_e32 vcc_lo, 0, v15
	s_delay_alu instid0(VALU_DEP_3) | instskip(SKIP_1) | instid1(VALU_DEP_3)
	v_mov_b32_e32 v10, v12
	s_and_not1_b32 s10, s19, exec_lo
	v_mov_b32_e32 v11, v13
	s_and_b32 s11, vcc_lo, exec_lo
	s_delay_alu instid0(SALU_CYCLE_1)
	s_or_b32 s19, s10, s11
; %bb.1567:
	s_or_b32 exec_lo, exec_lo, s22
	s_and_saveexec_b32 s10, s19
	s_cbranch_execz .LBB497_1569
; %bb.1568:
	v_and_b32_e32 v10, 0xffff, v15
	v_lshlrev_b32_e32 v15, 24, v15
	s_delay_alu instid0(VALU_DEP_2) | instskip(NEXT) | instid1(VALU_DEP_1)
	v_and_b32_e32 v11, 7, v10
	v_clz_i32_u32_e32 v12, v11
	s_delay_alu instid0(VALU_DEP_1) | instskip(NEXT) | instid1(VALU_DEP_1)
	v_min_u32_e32 v12, 32, v12
	v_subrev_nc_u32_e32 v13, 28, v12
	v_sub_nc_u32_e32 v12, 29, v12
	s_delay_alu instid0(VALU_DEP_2) | instskip(SKIP_1) | instid1(VALU_DEP_2)
	v_lshlrev_b32_e32 v13, v13, v10
	v_bfe_u32 v10, v10, 3, 4
	v_and_b32_e32 v13, 7, v13
	s_delay_alu instid0(VALU_DEP_2) | instskip(NEXT) | instid1(VALU_DEP_2)
	v_cmp_eq_u32_e32 vcc_lo, 0, v10
	v_dual_cndmask_b32 v10, v10, v12 :: v_dual_cndmask_b32 v11, v11, v13
	v_and_b32_e32 v12, 0x80000000, v15
	s_delay_alu instid0(VALU_DEP_2) | instskip(NEXT) | instid1(VALU_DEP_3)
	v_lshl_add_u32 v10, v10, 23, 0x3b800000
	v_lshlrev_b32_e32 v11, 20, v11
	s_delay_alu instid0(VALU_DEP_1) | instskip(SKIP_2) | instid1(VALU_DEP_3)
	v_or3_b32 v10, v12, v10, v11
	v_mov_b32_e32 v12, 0
	v_mov_b32_e32 v13, 0
	v_cvt_f64_f32_e32 v[10:11], v10
.LBB497_1569:
	s_or_b32 exec_lo, exec_lo, s10
.LBB497_1570:
	s_mov_b32 s12, -1
.LBB497_1571:
	s_mov_b32 s10, 0
.LBB497_1572:
	s_delay_alu instid0(SALU_CYCLE_1)
	s_and_b32 vcc_lo, exec_lo, s10
	s_cbranch_vccz .LBB497_1604
; %bb.1573:
	v_cmp_lt_i16_e32 vcc_lo, 22, v22
	s_cbranch_vccz .LBB497_1585
; %bb.1574:
	v_cmp_gt_i16_e32 vcc_lo, 24, v22
	s_cbranch_vccnz .LBB497_1586
; %bb.1575:
	v_cmp_lt_i16_e32 vcc_lo, 24, v22
	s_cbranch_vccz .LBB497_1587
; %bb.1576:
	global_load_u8 v15, v[8:9], off
	s_mov_b32 s19, exec_lo
                                        ; implicit-def: $sgpr10_sgpr11
                                        ; implicit-def: $sgpr12_sgpr13
	s_waitcnt vmcnt(0)
	v_cmpx_lt_i16_e32 0x7f, v15
	s_xor_b32 s19, exec_lo, s19
	s_cbranch_execz .LBB497_1580
; %bb.1577:
	s_mov_b32 s18, -1
	s_mov_b32 s22, exec_lo
                                        ; implicit-def: $sgpr10_sgpr11
                                        ; implicit-def: $sgpr12_sgpr13
	v_cmpx_eq_u16_e32 0x80, v15
; %bb.1578:
	s_mov_b64 s[10:11], 0
	s_mov_b32 s13, 0x7ff80000
	s_brev_b32 s12, 4
	s_xor_b32 s18, exec_lo, -1
; %bb.1579:
	s_or_b32 exec_lo, exec_lo, s22
	s_delay_alu instid0(SALU_CYCLE_1)
	s_and_b32 s18, s18, exec_lo
.LBB497_1580:
	s_or_saveexec_b32 s19, s19
	v_dual_mov_b32 v13, s11 :: v_dual_mov_b32 v12, s10
	v_dual_mov_b32 v10, s12 :: v_dual_mov_b32 v11, s13
	s_xor_b32 exec_lo, exec_lo, s19
; %bb.1581:
	v_mov_b32_e32 v12, 0
	v_mov_b32_e32 v13, 0
	v_cmp_ne_u16_e32 vcc_lo, 0, v15
	s_delay_alu instid0(VALU_DEP_3) | instskip(SKIP_1) | instid1(VALU_DEP_3)
	v_mov_b32_e32 v10, v12
	s_and_not1_b32 s10, s18, exec_lo
	v_mov_b32_e32 v11, v13
	s_and_b32 s11, vcc_lo, exec_lo
	s_delay_alu instid0(SALU_CYCLE_1)
	s_or_b32 s18, s10, s11
; %bb.1582:
	s_or_b32 exec_lo, exec_lo, s19
	s_and_saveexec_b32 s10, s18
	s_cbranch_execz .LBB497_1584
; %bb.1583:
	v_and_b32_e32 v10, 0xffff, v15
	v_lshlrev_b32_e32 v15, 24, v15
	s_delay_alu instid0(VALU_DEP_2) | instskip(NEXT) | instid1(VALU_DEP_1)
	v_and_b32_e32 v11, 3, v10
	v_clz_i32_u32_e32 v12, v11
	s_delay_alu instid0(VALU_DEP_1) | instskip(NEXT) | instid1(VALU_DEP_1)
	v_min_u32_e32 v12, 32, v12
	v_subrev_nc_u32_e32 v13, 29, v12
	v_sub_nc_u32_e32 v12, 30, v12
	s_delay_alu instid0(VALU_DEP_2) | instskip(SKIP_1) | instid1(VALU_DEP_2)
	v_lshlrev_b32_e32 v13, v13, v10
	v_bfe_u32 v10, v10, 2, 5
	v_and_b32_e32 v13, 3, v13
	s_delay_alu instid0(VALU_DEP_2) | instskip(NEXT) | instid1(VALU_DEP_2)
	v_cmp_eq_u32_e32 vcc_lo, 0, v10
	v_dual_cndmask_b32 v10, v10, v12 :: v_dual_cndmask_b32 v11, v11, v13
	v_and_b32_e32 v12, 0x80000000, v15
	s_delay_alu instid0(VALU_DEP_2) | instskip(NEXT) | instid1(VALU_DEP_3)
	v_lshl_add_u32 v10, v10, 23, 0x37800000
	v_lshlrev_b32_e32 v11, 21, v11
	s_delay_alu instid0(VALU_DEP_1) | instskip(SKIP_2) | instid1(VALU_DEP_3)
	v_or3_b32 v10, v12, v10, v11
	v_mov_b32_e32 v12, 0
	v_mov_b32_e32 v13, 0
	v_cvt_f64_f32_e32 v[10:11], v10
.LBB497_1584:
	s_or_b32 exec_lo, exec_lo, s10
	s_mov_b32 s10, 0
	s_branch .LBB497_1588
.LBB497_1585:
	s_mov_b32 s10, -1
                                        ; implicit-def: $vgpr12_vgpr13
	s_branch .LBB497_1594
.LBB497_1586:
	s_mov_b32 s10, -1
                                        ; implicit-def: $vgpr12_vgpr13
	s_branch .LBB497_1591
.LBB497_1587:
	s_mov_b32 s10, -1
                                        ; implicit-def: $vgpr12_vgpr13
.LBB497_1588:
	s_delay_alu instid0(SALU_CYCLE_1)
	s_and_b32 vcc_lo, exec_lo, s10
	s_cbranch_vccz .LBB497_1590
; %bb.1589:
	global_load_u8 v10, v[8:9], off
	s_waitcnt vmcnt(0)
	v_lshlrev_b32_e32 v10, 24, v10
	s_delay_alu instid0(VALU_DEP_1) | instskip(NEXT) | instid1(VALU_DEP_1)
	v_and_b32_e32 v11, 0x7f000000, v10
	v_clz_i32_u32_e32 v12, v11
	v_add_nc_u32_e32 v15, 0x1000000, v11
	v_cmp_ne_u32_e32 vcc_lo, 0, v11
	s_delay_alu instid0(VALU_DEP_3) | instskip(NEXT) | instid1(VALU_DEP_1)
	v_min_u32_e32 v12, 32, v12
	v_sub_nc_u32_e64 v12, v12, 4 clamp
	s_delay_alu instid0(VALU_DEP_1) | instskip(SKIP_1) | instid1(VALU_DEP_2)
	v_lshlrev_b32_e32 v13, v12, v11
	v_lshlrev_b32_e32 v12, 23, v12
	v_lshrrev_b32_e32 v13, 4, v13
	s_delay_alu instid0(VALU_DEP_1) | instskip(SKIP_1) | instid1(VALU_DEP_2)
	v_sub_nc_u32_e32 v12, v13, v12
	v_ashrrev_i32_e32 v13, 8, v15
	v_add_nc_u32_e32 v12, 0x3c000000, v12
	s_delay_alu instid0(VALU_DEP_1) | instskip(NEXT) | instid1(VALU_DEP_1)
	v_and_or_b32 v12, 0x7f800000, v13, v12
	v_dual_cndmask_b32 v11, 0, v12 :: v_dual_mov_b32 v12, 0
	v_mov_b32_e32 v13, 0
	s_delay_alu instid0(VALU_DEP_2) | instskip(NEXT) | instid1(VALU_DEP_1)
	v_and_or_b32 v10, 0x80000000, v10, v11
	v_cvt_f64_f32_e32 v[10:11], v10
.LBB497_1590:
	s_mov_b32 s10, 0
.LBB497_1591:
	s_delay_alu instid0(SALU_CYCLE_1)
	s_and_not1_b32 vcc_lo, exec_lo, s10
	s_cbranch_vccnz .LBB497_1593
; %bb.1592:
	global_load_u8 v10, v[8:9], off
	s_waitcnt vmcnt(0)
	v_lshlrev_b32_e32 v11, 25, v10
	v_lshlrev_b16 v10, 8, v10
	s_delay_alu instid0(VALU_DEP_2) | instskip(NEXT) | instid1(VALU_DEP_2)
	v_lshrrev_b32_e32 v12, 4, v11
	v_and_or_b32 v13, 0x7f00, v10, 0.5
	v_bfe_i32 v10, v10, 0, 16
	s_delay_alu instid0(VALU_DEP_3) | instskip(NEXT) | instid1(VALU_DEP_1)
	v_or_b32_e32 v12, 0x70000000, v12
	v_dual_add_f32 v13, -0.5, v13 :: v_dual_mul_f32 v12, 0x7800000, v12
	v_cmp_gt_u32_e32 vcc_lo, 0x8000000, v11
	s_delay_alu instid0(VALU_DEP_2) | instskip(SKIP_1) | instid1(VALU_DEP_2)
	v_dual_cndmask_b32 v11, v12, v13 :: v_dual_mov_b32 v12, 0
	v_mov_b32_e32 v13, 0
	v_and_or_b32 v10, 0x80000000, v10, v11
	s_delay_alu instid0(VALU_DEP_1)
	v_cvt_f64_f32_e32 v[10:11], v10
.LBB497_1593:
	s_mov_b32 s10, 0
	s_mov_b32 s12, -1
.LBB497_1594:
	s_and_not1_b32 vcc_lo, exec_lo, s10
	s_mov_b32 s18, 0
	s_cbranch_vccnz .LBB497_1604
; %bb.1595:
	v_cmp_lt_i16_e32 vcc_lo, 14, v22
	s_cbranch_vccz .LBB497_1598
; %bb.1596:
	v_cmp_eq_u16_e32 vcc_lo, 15, v22
	s_cbranch_vccz .LBB497_1599
; %bb.1597:
	global_load_u16 v10, v[8:9], off
	s_mov_b32 s17, 0
	s_mov_b32 s12, -1
	s_mov_b64 s[10:11], 0
	s_waitcnt vmcnt(0)
	v_lshlrev_b32_e32 v10, 16, v10
	s_delay_alu instid0(VALU_DEP_1)
	v_cvt_f64_f32_e32 v[10:11], v10
	s_branch .LBB497_1600
.LBB497_1598:
	s_mov_b32 s13, -1
                                        ; implicit-def: $sgpr10_sgpr11
                                        ; implicit-def: $vgpr10_vgpr11
	s_branch .LBB497_1601
.LBB497_1599:
	s_mov_b32 s17, -1
                                        ; implicit-def: $sgpr10_sgpr11
                                        ; implicit-def: $vgpr10_vgpr11
.LBB497_1600:
	s_mov_b32 s13, 0
.LBB497_1601:
	s_delay_alu instid0(SALU_CYCLE_1)
	s_and_b32 vcc_lo, exec_lo, s13
	s_cbranch_vccz .LBB497_1603
; %bb.1602:
	v_cmp_ne_u16_e64 s17, 11, v22
	s_mov_b32 s18, -1
                                        ; implicit-def: $sgpr10_sgpr11
                                        ; implicit-def: $vgpr10_vgpr11
.LBB497_1603:
	v_dual_mov_b32 v13, s11 :: v_dual_mov_b32 v12, s10
.LBB497_1604:
	s_delay_alu instid0(VALU_DEP_2)
	s_and_b32 vcc_lo, exec_lo, s17
	s_cbranch_vccnz .LBB497_1628
; %bb.1605:
	s_and_not1_b32 vcc_lo, exec_lo, s18
	s_cbranch_vccnz .LBB497_1607
.LBB497_1606:
	global_load_u8 v10, v[8:9], off
	v_mov_b32_e32 v12, 0
	v_mov_b32_e32 v13, 0
	s_mov_b32 s12, -1
	s_waitcnt vmcnt(0)
	v_cmp_ne_u16_e32 vcc_lo, 0, v10
	v_mov_b32_e32 v10, 0
	v_cndmask_b32_e64 v11, 0, 0x3ff00000, vcc_lo
.LBB497_1607:
.LBB497_1608:
	s_and_not1_b32 vcc_lo, exec_lo, s12
	s_cbranch_vccnz .LBB497_1771
.LBB497_1609:
	v_dual_mov_b32 v9, s1 :: v_dual_mov_b32 v8, s0
	s_mov_b32 s10, exec_lo
	s_waitcnt vmcnt(0)
	s_delay_alu instid0(VALU_DEP_2)
	v_cmpx_o_f64_e32 v[10:11], v[10:11]
	s_cbranch_execz .LBB497_1613
; %bb.1610:
	v_dual_mov_b32 v9, s3 :: v_dual_mov_b32 v8, s2
	s_mov_b32 s11, exec_lo
	v_cmpx_neq_f64_e32 0x7ff00000, v[10:11]
; %bb.1611:
	v_cmp_eq_f64_e32 vcc_lo, 0xfff00000, v[10:11]
	v_cndmask_b32_e64 v9, v11, s9, vcc_lo
	v_cndmask_b32_e64 v8, v10, s8, vcc_lo
; %bb.1612:
	s_or_b32 exec_lo, exec_lo, s11
.LBB497_1613:
	s_delay_alu instid0(SALU_CYCLE_1) | instskip(SKIP_2) | instid1(VALU_DEP_4)
	s_or_b32 exec_lo, exec_lo, s10
	v_dual_mov_b32 v11, s1 :: v_dual_mov_b32 v10, s0
	s_mov_b32 s10, exec_lo
	v_cmpx_o_f64_e32 v[12:13], v[12:13]
	s_cbranch_execz .LBB497_1617
; %bb.1614:
	v_dual_mov_b32 v11, s3 :: v_dual_mov_b32 v10, s2
	s_mov_b32 s11, exec_lo
	v_cmpx_neq_f64_e32 0x7ff00000, v[12:13]
; %bb.1615:
	v_cmp_eq_f64_e32 vcc_lo, 0xfff00000, v[12:13]
	v_cndmask_b32_e64 v11, v13, s9, vcc_lo
	v_cndmask_b32_e64 v10, v12, s8, vcc_lo
; %bb.1616:
	s_or_b32 exec_lo, exec_lo, s11
.LBB497_1617:
	s_delay_alu instid0(SALU_CYCLE_1) | instskip(SKIP_2) | instid1(VALU_DEP_1)
	s_or_b32 exec_lo, exec_lo, s10
	v_cmp_gt_i16_e32 vcc_lo, 11, v22
	v_add_co_u32 v12, s6, s6, v14
	v_add_co_ci_u32_e64 v13, null, s7, 0, s6
	s_mov_b32 s10, 0
	s_cbranch_vccnz .LBB497_1624
; %bb.1618:
	v_cmp_lt_i16_e32 vcc_lo, 25, v22
	s_mov_b32 s13, 0
	s_cbranch_vccz .LBB497_1625
; %bb.1619:
	v_cmp_lt_i16_e32 vcc_lo, 28, v22
	s_cbranch_vccz .LBB497_1626
; %bb.1620:
	v_cmp_lt_i16_e32 vcc_lo, 43, v22
	;; [unrolled: 3-line block ×3, first 2 shown]
	s_cbranch_vccz .LBB497_1630
; %bb.1622:
	v_cmp_eq_u16_e32 vcc_lo, 46, v22
	s_mov_b32 s6, 0
	s_cbranch_vccz .LBB497_1633
; %bb.1623:
	global_load_b32 v14, v[12:13], off
	s_mov_b32 s12, 0
	s_mov_b32 s10, -1
	s_waitcnt vmcnt(0)
	v_lshlrev_b32_e32 v15, 16, v14
	v_and_b32_e32 v16, 0xffff0000, v14
	s_delay_alu instid0(VALU_DEP_2) | instskip(NEXT) | instid1(VALU_DEP_2)
	v_cvt_f64_f32_e32 v[14:15], v15
	v_cvt_f64_f32_e32 v[16:17], v16
	s_branch .LBB497_1635
.LBB497_1624:
	s_mov_b32 s6, -1
                                        ; implicit-def: $vgpr16_vgpr17
	s_branch .LBB497_1704
.LBB497_1625:
	s_mov_b32 s6, -1
	s_mov_b32 s12, 0
                                        ; implicit-def: $vgpr16_vgpr17
	s_branch .LBB497_1668
.LBB497_1626:
	s_mov_b32 s6, -1
	s_mov_b32 s12, 0
                                        ; implicit-def: $vgpr16_vgpr17
	s_branch .LBB497_1647
.LBB497_1627:
	s_mov_b32 s6, -1
	s_mov_b32 s12, 0
                                        ; implicit-def: $vgpr16_vgpr17
	s_branch .LBB497_1641
.LBB497_1628:
	s_cbranch_execnz .LBB497_1631
; %bb.1629:
	s_or_b32 s16, s16, exec_lo
                                        ; implicit-def: $vgpr12_vgpr13
	s_cbranch_execz .LBB497_1606
	s_branch .LBB497_1607
.LBB497_1630:
	s_mov_b32 s6, -1
	s_mov_b32 s12, 0
	s_branch .LBB497_1634
.LBB497_1631:
	s_trap 2
	s_sendmsg_rtn_b32 s0, sendmsg(MSG_RTN_GET_DOORBELL)
	s_mov_b32 ttmp2, m0
	s_waitcnt lgkmcnt(0)
	s_and_b32 s0, s0, 0x3ff
	s_delay_alu instid0(SALU_CYCLE_1) | instskip(NEXT) | instid1(SALU_CYCLE_1)
	s_bitset1_b32 s0, 10
	s_mov_b32 m0, s0
	s_sendmsg sendmsg(MSG_INTERRUPT)
	s_mov_b32 m0, ttmp2
.LBB497_1632:                           ; =>This Inner Loop Header: Depth=1
	s_sethalt 5
	s_branch .LBB497_1632
.LBB497_1633:
	s_mov_b32 s12, -1
.LBB497_1634:
                                        ; implicit-def: $vgpr16_vgpr17
.LBB497_1635:
	s_and_b32 vcc_lo, exec_lo, s6
	s_cbranch_vccz .LBB497_1640
; %bb.1636:
	v_cmp_eq_u16_e32 vcc_lo, 44, v22
	s_cbranch_vccz .LBB497_1638
; %bb.1637:
	global_load_u8 v16, v[12:13], off
	s_mov_b32 s12, 0
	s_mov_b32 s10, -1
	s_mov_b64 s[6:7], 0
	s_waitcnt vmcnt(0)
	v_cmp_ne_u32_e32 vcc_lo, 0xff, v16
	v_lshlrev_b32_e32 v14, 23, v16
	s_delay_alu instid0(VALU_DEP_1) | instskip(NEXT) | instid1(VALU_DEP_1)
	v_cvt_f64_f32_e32 v[14:15], v14
	v_cndmask_b32_e32 v15, 0x7ff80000, v15, vcc_lo
	s_delay_alu instid0(VALU_DEP_2) | instskip(SKIP_1) | instid1(VALU_DEP_3)
	v_cndmask_b32_e32 v14, 0x20000000, v14, vcc_lo
	v_cmp_ne_u32_e32 vcc_lo, 0, v16
	v_cndmask_b32_e32 v15, 0x38000000, v15, vcc_lo
	s_delay_alu instid0(VALU_DEP_3)
	v_cndmask_b32_e32 v14, 0, v14, vcc_lo
	s_branch .LBB497_1639
.LBB497_1638:
	s_mov_b32 s12, -1
                                        ; implicit-def: $sgpr6_sgpr7
                                        ; implicit-def: $vgpr14_vgpr15
.LBB497_1639:
	v_dual_mov_b32 v17, s7 :: v_dual_mov_b32 v16, s6
.LBB497_1640:
	s_mov_b32 s6, 0
.LBB497_1641:
	s_delay_alu instid0(SALU_CYCLE_1)
	s_and_b32 vcc_lo, exec_lo, s6
	s_cbranch_vccz .LBB497_1646
; %bb.1642:
	v_cmp_eq_u16_e32 vcc_lo, 29, v22
	s_cbranch_vccz .LBB497_1644
; %bb.1643:
	global_load_b64 v[14:15], v[12:13], off
	s_mov_b32 s12, 0
	s_mov_b32 s10, -1
	s_mov_b64 s[6:7], 0
	s_waitcnt vmcnt(0)
	v_cvt_f64_u32_e32 v[15:16], v15
	v_cvt_f64_u32_e32 v[23:24], v14
	s_delay_alu instid0(VALU_DEP_2) | instskip(NEXT) | instid1(VALU_DEP_1)
	v_ldexp_f64 v[15:16], v[15:16], 32
	v_add_f64 v[14:15], v[15:16], v[23:24]
	s_branch .LBB497_1645
.LBB497_1644:
	s_mov_b32 s12, -1
                                        ; implicit-def: $sgpr6_sgpr7
                                        ; implicit-def: $vgpr14_vgpr15
.LBB497_1645:
	v_dual_mov_b32 v17, s7 :: v_dual_mov_b32 v16, s6
.LBB497_1646:
	s_mov_b32 s6, 0
.LBB497_1647:
	s_delay_alu instid0(SALU_CYCLE_1)
	s_and_b32 vcc_lo, exec_lo, s6
	s_cbranch_vccz .LBB497_1667
; %bb.1648:
	v_cmp_gt_i16_e32 vcc_lo, 27, v22
	s_cbranch_vccnz .LBB497_1651
; %bb.1649:
	v_cmp_lt_i16_e32 vcc_lo, 27, v22
	s_cbranch_vccz .LBB497_1652
; %bb.1650:
	global_load_b32 v14, v[12:13], off
	s_mov_b32 s10, 0
	s_mov_b64 s[6:7], 0
	s_waitcnt vmcnt(0)
	v_cvt_f64_u32_e32 v[14:15], v14
	s_branch .LBB497_1653
.LBB497_1651:
	s_mov_b32 s10, -1
                                        ; implicit-def: $sgpr6_sgpr7
                                        ; implicit-def: $vgpr14_vgpr15
	s_branch .LBB497_1656
.LBB497_1652:
	s_mov_b32 s10, -1
                                        ; implicit-def: $sgpr6_sgpr7
                                        ; implicit-def: $vgpr14_vgpr15
.LBB497_1653:
	s_delay_alu instid0(SALU_CYCLE_1)
	s_and_not1_b32 vcc_lo, exec_lo, s10
	s_cbranch_vccnz .LBB497_1655
; %bb.1654:
	global_load_u16 v14, v[12:13], off
	s_mov_b64 s[6:7], 0
	s_waitcnt vmcnt(0)
	v_cvt_f64_u32_e32 v[14:15], v14
.LBB497_1655:
	s_mov_b32 s10, 0
.LBB497_1656:
	v_dual_mov_b32 v17, s7 :: v_dual_mov_b32 v16, s6
	s_and_not1_b32 vcc_lo, exec_lo, s10
	s_cbranch_vccnz .LBB497_1666
; %bb.1657:
	global_load_u8 v23, v[12:13], off
	s_mov_b32 s17, 0
	s_mov_b32 s18, exec_lo
                                        ; implicit-def: $sgpr6_sgpr7
                                        ; implicit-def: $sgpr10_sgpr11
	s_waitcnt vmcnt(0)
	v_cmpx_lt_i16_e32 0x7f, v23
	s_xor_b32 s18, exec_lo, s18
	s_cbranch_execz .LBB497_1661
; %bb.1658:
	s_mov_b32 s17, -1
	s_mov_b32 s19, exec_lo
                                        ; implicit-def: $sgpr6_sgpr7
                                        ; implicit-def: $sgpr10_sgpr11
	v_cmpx_eq_u16_e32 0x80, v23
; %bb.1659:
	s_mov_b64 s[6:7], 0
	s_mov_b32 s11, 0x7ff80000
	s_brev_b32 s10, 4
	s_xor_b32 s17, exec_lo, -1
; %bb.1660:
	s_or_b32 exec_lo, exec_lo, s19
	s_delay_alu instid0(SALU_CYCLE_1)
	s_and_b32 s17, s17, exec_lo
.LBB497_1661:
	s_or_saveexec_b32 s18, s18
	v_dual_mov_b32 v17, s7 :: v_dual_mov_b32 v16, s6
	v_dual_mov_b32 v15, s11 :: v_dual_mov_b32 v14, s10
	s_xor_b32 exec_lo, exec_lo, s18
; %bb.1662:
	v_mov_b32_e32 v16, 0
	v_mov_b32_e32 v17, 0
	v_cmp_ne_u16_e32 vcc_lo, 0, v23
	s_delay_alu instid0(VALU_DEP_3) | instskip(SKIP_1) | instid1(VALU_DEP_3)
	v_mov_b32_e32 v14, v16
	s_and_not1_b32 s6, s17, exec_lo
	v_mov_b32_e32 v15, v17
	s_and_b32 s7, vcc_lo, exec_lo
	s_delay_alu instid0(SALU_CYCLE_1)
	s_or_b32 s17, s6, s7
; %bb.1663:
	s_or_b32 exec_lo, exec_lo, s18
	s_and_saveexec_b32 s6, s17
	s_cbranch_execz .LBB497_1665
; %bb.1664:
	v_and_b32_e32 v14, 0xffff, v23
	v_lshlrev_b32_e32 v23, 24, v23
	s_delay_alu instid0(VALU_DEP_2) | instskip(NEXT) | instid1(VALU_DEP_1)
	v_and_b32_e32 v15, 7, v14
	v_clz_i32_u32_e32 v16, v15
	s_delay_alu instid0(VALU_DEP_1) | instskip(NEXT) | instid1(VALU_DEP_1)
	v_min_u32_e32 v16, 32, v16
	v_subrev_nc_u32_e32 v17, 28, v16
	v_sub_nc_u32_e32 v16, 29, v16
	s_delay_alu instid0(VALU_DEP_2) | instskip(SKIP_1) | instid1(VALU_DEP_2)
	v_lshlrev_b32_e32 v17, v17, v14
	v_bfe_u32 v14, v14, 3, 4
	v_and_b32_e32 v17, 7, v17
	s_delay_alu instid0(VALU_DEP_2) | instskip(NEXT) | instid1(VALU_DEP_2)
	v_cmp_eq_u32_e32 vcc_lo, 0, v14
	v_dual_cndmask_b32 v14, v14, v16 :: v_dual_cndmask_b32 v15, v15, v17
	v_and_b32_e32 v16, 0x80000000, v23
	s_delay_alu instid0(VALU_DEP_2) | instskip(NEXT) | instid1(VALU_DEP_3)
	v_lshl_add_u32 v14, v14, 23, 0x3b800000
	v_lshlrev_b32_e32 v15, 20, v15
	s_delay_alu instid0(VALU_DEP_1) | instskip(SKIP_2) | instid1(VALU_DEP_3)
	v_or3_b32 v14, v16, v14, v15
	v_mov_b32_e32 v16, 0
	v_mov_b32_e32 v17, 0
	v_cvt_f64_f32_e32 v[14:15], v14
.LBB497_1665:
	s_or_b32 exec_lo, exec_lo, s6
.LBB497_1666:
	s_mov_b32 s10, -1
.LBB497_1667:
	s_mov_b32 s6, 0
.LBB497_1668:
	s_delay_alu instid0(SALU_CYCLE_1)
	s_and_b32 vcc_lo, exec_lo, s6
	s_cbranch_vccz .LBB497_1700
; %bb.1669:
	v_cmp_lt_i16_e32 vcc_lo, 22, v22
	s_cbranch_vccz .LBB497_1681
; %bb.1670:
	v_cmp_gt_i16_e32 vcc_lo, 24, v22
	s_cbranch_vccnz .LBB497_1682
; %bb.1671:
	v_cmp_lt_i16_e32 vcc_lo, 24, v22
	s_cbranch_vccz .LBB497_1683
; %bb.1672:
	global_load_u8 v23, v[12:13], off
	s_mov_b32 s17, exec_lo
                                        ; implicit-def: $sgpr6_sgpr7
                                        ; implicit-def: $sgpr10_sgpr11
	s_waitcnt vmcnt(0)
	v_cmpx_lt_i16_e32 0x7f, v23
	s_xor_b32 s17, exec_lo, s17
	s_cbranch_execz .LBB497_1676
; %bb.1673:
	s_mov_b32 s13, -1
	s_mov_b32 s18, exec_lo
                                        ; implicit-def: $sgpr6_sgpr7
                                        ; implicit-def: $sgpr10_sgpr11
	v_cmpx_eq_u16_e32 0x80, v23
; %bb.1674:
	s_mov_b64 s[6:7], 0
	s_mov_b32 s11, 0x7ff80000
	s_brev_b32 s10, 4
	s_xor_b32 s13, exec_lo, -1
; %bb.1675:
	s_or_b32 exec_lo, exec_lo, s18
	s_delay_alu instid0(SALU_CYCLE_1)
	s_and_b32 s13, s13, exec_lo
.LBB497_1676:
	s_or_saveexec_b32 s17, s17
	v_dual_mov_b32 v17, s7 :: v_dual_mov_b32 v16, s6
	v_dual_mov_b32 v15, s11 :: v_dual_mov_b32 v14, s10
	s_xor_b32 exec_lo, exec_lo, s17
; %bb.1677:
	v_mov_b32_e32 v16, 0
	v_mov_b32_e32 v17, 0
	v_cmp_ne_u16_e32 vcc_lo, 0, v23
	s_delay_alu instid0(VALU_DEP_3) | instskip(SKIP_1) | instid1(VALU_DEP_3)
	v_mov_b32_e32 v14, v16
	s_and_not1_b32 s6, s13, exec_lo
	v_mov_b32_e32 v15, v17
	s_and_b32 s7, vcc_lo, exec_lo
	s_delay_alu instid0(SALU_CYCLE_1)
	s_or_b32 s13, s6, s7
; %bb.1678:
	s_or_b32 exec_lo, exec_lo, s17
	s_and_saveexec_b32 s6, s13
	s_cbranch_execz .LBB497_1680
; %bb.1679:
	v_and_b32_e32 v14, 0xffff, v23
	v_lshlrev_b32_e32 v23, 24, v23
	s_delay_alu instid0(VALU_DEP_2) | instskip(NEXT) | instid1(VALU_DEP_1)
	v_and_b32_e32 v15, 3, v14
	v_clz_i32_u32_e32 v16, v15
	s_delay_alu instid0(VALU_DEP_1) | instskip(NEXT) | instid1(VALU_DEP_1)
	v_min_u32_e32 v16, 32, v16
	v_subrev_nc_u32_e32 v17, 29, v16
	v_sub_nc_u32_e32 v16, 30, v16
	s_delay_alu instid0(VALU_DEP_2) | instskip(SKIP_1) | instid1(VALU_DEP_2)
	v_lshlrev_b32_e32 v17, v17, v14
	v_bfe_u32 v14, v14, 2, 5
	v_and_b32_e32 v17, 3, v17
	s_delay_alu instid0(VALU_DEP_2) | instskip(NEXT) | instid1(VALU_DEP_2)
	v_cmp_eq_u32_e32 vcc_lo, 0, v14
	v_dual_cndmask_b32 v14, v14, v16 :: v_dual_cndmask_b32 v15, v15, v17
	v_and_b32_e32 v16, 0x80000000, v23
	s_delay_alu instid0(VALU_DEP_2) | instskip(NEXT) | instid1(VALU_DEP_3)
	v_lshl_add_u32 v14, v14, 23, 0x37800000
	v_lshlrev_b32_e32 v15, 21, v15
	s_delay_alu instid0(VALU_DEP_1) | instskip(SKIP_2) | instid1(VALU_DEP_3)
	v_or3_b32 v14, v16, v14, v15
	v_mov_b32_e32 v16, 0
	v_mov_b32_e32 v17, 0
	v_cvt_f64_f32_e32 v[14:15], v14
.LBB497_1680:
	s_or_b32 exec_lo, exec_lo, s6
	s_mov_b32 s6, 0
	s_branch .LBB497_1684
.LBB497_1681:
	s_mov_b32 s6, -1
                                        ; implicit-def: $vgpr16_vgpr17
	s_branch .LBB497_1690
.LBB497_1682:
	s_mov_b32 s6, -1
                                        ; implicit-def: $vgpr16_vgpr17
	s_branch .LBB497_1687
.LBB497_1683:
	s_mov_b32 s6, -1
                                        ; implicit-def: $vgpr16_vgpr17
.LBB497_1684:
	s_delay_alu instid0(SALU_CYCLE_1)
	s_and_b32 vcc_lo, exec_lo, s6
	s_cbranch_vccz .LBB497_1686
; %bb.1685:
	global_load_u8 v14, v[12:13], off
	s_waitcnt vmcnt(0)
	v_lshlrev_b32_e32 v14, 24, v14
	s_delay_alu instid0(VALU_DEP_1) | instskip(NEXT) | instid1(VALU_DEP_1)
	v_and_b32_e32 v15, 0x7f000000, v14
	v_clz_i32_u32_e32 v16, v15
	v_add_nc_u32_e32 v23, 0x1000000, v15
	v_cmp_ne_u32_e32 vcc_lo, 0, v15
	s_delay_alu instid0(VALU_DEP_3) | instskip(NEXT) | instid1(VALU_DEP_1)
	v_min_u32_e32 v16, 32, v16
	v_sub_nc_u32_e64 v16, v16, 4 clamp
	s_delay_alu instid0(VALU_DEP_1) | instskip(SKIP_1) | instid1(VALU_DEP_2)
	v_lshlrev_b32_e32 v17, v16, v15
	v_lshlrev_b32_e32 v16, 23, v16
	v_lshrrev_b32_e32 v17, 4, v17
	s_delay_alu instid0(VALU_DEP_1) | instskip(SKIP_1) | instid1(VALU_DEP_2)
	v_sub_nc_u32_e32 v16, v17, v16
	v_ashrrev_i32_e32 v17, 8, v23
	v_add_nc_u32_e32 v16, 0x3c000000, v16
	s_delay_alu instid0(VALU_DEP_1) | instskip(NEXT) | instid1(VALU_DEP_1)
	v_and_or_b32 v16, 0x7f800000, v17, v16
	v_dual_cndmask_b32 v15, 0, v16 :: v_dual_mov_b32 v16, 0
	v_mov_b32_e32 v17, 0
	s_delay_alu instid0(VALU_DEP_2) | instskip(NEXT) | instid1(VALU_DEP_1)
	v_and_or_b32 v14, 0x80000000, v14, v15
	v_cvt_f64_f32_e32 v[14:15], v14
.LBB497_1686:
	s_mov_b32 s6, 0
.LBB497_1687:
	s_delay_alu instid0(SALU_CYCLE_1)
	s_and_not1_b32 vcc_lo, exec_lo, s6
	s_cbranch_vccnz .LBB497_1689
; %bb.1688:
	global_load_u8 v14, v[12:13], off
	s_waitcnt vmcnt(0)
	v_lshlrev_b32_e32 v15, 25, v14
	v_lshlrev_b16 v14, 8, v14
	s_delay_alu instid0(VALU_DEP_2) | instskip(NEXT) | instid1(VALU_DEP_2)
	v_lshrrev_b32_e32 v16, 4, v15
	v_and_or_b32 v17, 0x7f00, v14, 0.5
	v_bfe_i32 v14, v14, 0, 16
	s_delay_alu instid0(VALU_DEP_3) | instskip(NEXT) | instid1(VALU_DEP_1)
	v_or_b32_e32 v16, 0x70000000, v16
	v_dual_add_f32 v17, -0.5, v17 :: v_dual_mul_f32 v16, 0x7800000, v16
	v_cmp_gt_u32_e32 vcc_lo, 0x8000000, v15
	s_delay_alu instid0(VALU_DEP_2) | instskip(SKIP_1) | instid1(VALU_DEP_2)
	v_dual_cndmask_b32 v15, v16, v17 :: v_dual_mov_b32 v16, 0
	v_mov_b32_e32 v17, 0
	v_and_or_b32 v14, 0x80000000, v14, v15
	s_delay_alu instid0(VALU_DEP_1)
	v_cvt_f64_f32_e32 v[14:15], v14
.LBB497_1689:
	s_mov_b32 s6, 0
	s_mov_b32 s10, -1
.LBB497_1690:
	s_and_not1_b32 vcc_lo, exec_lo, s6
	s_mov_b32 s13, 0
	s_cbranch_vccnz .LBB497_1700
; %bb.1691:
	v_cmp_lt_i16_e32 vcc_lo, 14, v22
	s_cbranch_vccz .LBB497_1694
; %bb.1692:
	v_cmp_eq_u16_e32 vcc_lo, 15, v22
	s_cbranch_vccz .LBB497_1695
; %bb.1693:
	global_load_u16 v14, v[12:13], off
	s_mov_b32 s12, 0
	s_mov_b32 s10, -1
	s_mov_b64 s[6:7], 0
	s_waitcnt vmcnt(0)
	v_lshlrev_b32_e32 v14, 16, v14
	s_delay_alu instid0(VALU_DEP_1)
	v_cvt_f64_f32_e32 v[14:15], v14
	s_branch .LBB497_1696
.LBB497_1694:
	s_mov_b32 s11, -1
                                        ; implicit-def: $sgpr6_sgpr7
                                        ; implicit-def: $vgpr14_vgpr15
	s_branch .LBB497_1697
.LBB497_1695:
	s_mov_b32 s12, -1
                                        ; implicit-def: $sgpr6_sgpr7
                                        ; implicit-def: $vgpr14_vgpr15
.LBB497_1696:
	s_mov_b32 s11, 0
.LBB497_1697:
	s_delay_alu instid0(SALU_CYCLE_1)
	s_and_b32 vcc_lo, exec_lo, s11
	s_cbranch_vccz .LBB497_1699
; %bb.1698:
	v_cmp_ne_u16_e64 s12, 11, v22
	s_mov_b32 s13, -1
                                        ; implicit-def: $sgpr6_sgpr7
                                        ; implicit-def: $vgpr14_vgpr15
.LBB497_1699:
	v_dual_mov_b32 v17, s7 :: v_dual_mov_b32 v16, s6
.LBB497_1700:
	s_delay_alu instid0(VALU_DEP_2)
	s_and_b32 vcc_lo, exec_lo, s12
	s_cbranch_vccnz .LBB497_1818
; %bb.1701:
	s_and_not1_b32 vcc_lo, exec_lo, s13
	s_cbranch_vccnz .LBB497_1703
.LBB497_1702:
	global_load_u8 v14, v[12:13], off
	v_mov_b32_e32 v16, 0
	v_mov_b32_e32 v17, 0
	s_mov_b32 s10, -1
	s_waitcnt vmcnt(0)
	v_cmp_ne_u16_e32 vcc_lo, 0, v14
	v_mov_b32_e32 v14, 0
	v_cndmask_b32_e64 v15, 0, 0x3ff00000, vcc_lo
.LBB497_1703:
	s_mov_b32 s6, 0
.LBB497_1704:
	s_delay_alu instid0(SALU_CYCLE_1)
	s_and_b32 vcc_lo, exec_lo, s6
	s_cbranch_vccz .LBB497_1755
; %bb.1705:
	v_cmp_gt_i16_e32 vcc_lo, 5, v22
	s_cbranch_vccnz .LBB497_1710
; %bb.1706:
	v_cmp_gt_i16_e32 vcc_lo, 8, v22
	s_cbranch_vccnz .LBB497_1711
	;; [unrolled: 3-line block ×3, first 2 shown]
; %bb.1708:
	v_cmp_lt_i16_e32 vcc_lo, 9, v22
	s_cbranch_vccz .LBB497_1713
; %bb.1709:
	global_load_b128 v[14:17], v[12:13], off
	s_mov_b32 s6, 0
	s_branch .LBB497_1714
.LBB497_1710:
	s_mov_b32 s6, -1
                                        ; implicit-def: $vgpr16_vgpr17
	s_branch .LBB497_1733
.LBB497_1711:
	s_mov_b32 s6, -1
                                        ; implicit-def: $vgpr16_vgpr17
	s_branch .LBB497_1720
.LBB497_1712:
	s_mov_b32 s6, -1
                                        ; implicit-def: $vgpr16_vgpr17
	s_branch .LBB497_1717
.LBB497_1713:
	s_mov_b32 s6, -1
                                        ; implicit-def: $vgpr16_vgpr17
.LBB497_1714:
	s_delay_alu instid0(SALU_CYCLE_1)
	s_and_not1_b32 vcc_lo, exec_lo, s6
	s_cbranch_vccnz .LBB497_1716
; %bb.1715:
	global_load_b64 v[15:16], v[12:13], off
	s_waitcnt vmcnt(0)
	v_cvt_f64_f32_e32 v[14:15], v15
	v_cvt_f64_f32_e32 v[16:17], v16
.LBB497_1716:
	s_mov_b32 s6, 0
.LBB497_1717:
	s_delay_alu instid0(SALU_CYCLE_1)
	s_and_not1_b32 vcc_lo, exec_lo, s6
	s_cbranch_vccnz .LBB497_1719
; %bb.1718:
	global_load_b32 v14, v[12:13], off
	s_waitcnt vmcnt(0)
	v_lshrrev_b32_e32 v15, 16, v14
	v_cvt_f32_f16_e32 v14, v14
	s_delay_alu instid0(VALU_DEP_2) | instskip(NEXT) | instid1(VALU_DEP_2)
	v_cvt_f32_f16_e32 v16, v15
	v_cvt_f64_f32_e32 v[14:15], v14
	s_delay_alu instid0(VALU_DEP_2)
	v_cvt_f64_f32_e32 v[16:17], v16
.LBB497_1719:
	s_mov_b32 s6, 0
.LBB497_1720:
	s_delay_alu instid0(SALU_CYCLE_1)
	s_and_not1_b32 vcc_lo, exec_lo, s6
	s_cbranch_vccnz .LBB497_1732
; %bb.1721:
	v_cmp_gt_i16_e32 vcc_lo, 6, v22
	s_cbranch_vccnz .LBB497_1724
; %bb.1722:
	v_cmp_lt_i16_e32 vcc_lo, 6, v22
	s_cbranch_vccz .LBB497_1725
; %bb.1723:
	global_load_b64 v[14:15], v[12:13], off
	s_mov_b32 s10, 0
	s_mov_b64 s[6:7], 0
	s_branch .LBB497_1726
.LBB497_1724:
	s_mov_b32 s10, -1
                                        ; implicit-def: $sgpr6_sgpr7
                                        ; implicit-def: $vgpr14_vgpr15
	s_branch .LBB497_1729
.LBB497_1725:
	s_mov_b32 s10, -1
                                        ; implicit-def: $sgpr6_sgpr7
                                        ; implicit-def: $vgpr14_vgpr15
.LBB497_1726:
	s_delay_alu instid0(SALU_CYCLE_1)
	s_and_not1_b32 vcc_lo, exec_lo, s10
	s_cbranch_vccnz .LBB497_1728
; %bb.1727:
	global_load_b32 v14, v[12:13], off
	s_mov_b64 s[6:7], 0
	s_waitcnt vmcnt(0)
	v_cvt_f64_f32_e32 v[14:15], v14
.LBB497_1728:
	s_mov_b32 s10, 0
.LBB497_1729:
	s_delay_alu instid0(SALU_CYCLE_1)
	s_and_not1_b32 vcc_lo, exec_lo, s10
	s_cbranch_vccnz .LBB497_1731
; %bb.1730:
	global_load_u16 v14, v[12:13], off
	s_mov_b64 s[6:7], 0
	s_waitcnt vmcnt(0)
	v_cvt_f32_f16_e32 v14, v14
	s_delay_alu instid0(VALU_DEP_1)
	v_cvt_f64_f32_e32 v[14:15], v14
.LBB497_1731:
	s_waitcnt vmcnt(0)
	v_dual_mov_b32 v17, s7 :: v_dual_mov_b32 v16, s6
.LBB497_1732:
	s_mov_b32 s6, 0
.LBB497_1733:
	s_delay_alu instid0(SALU_CYCLE_1)
	s_and_not1_b32 vcc_lo, exec_lo, s6
	s_cbranch_vccnz .LBB497_1754
; %bb.1734:
	v_cmp_gt_i16_e32 vcc_lo, 2, v22
	s_cbranch_vccnz .LBB497_1738
; %bb.1735:
	v_cmp_gt_i16_e32 vcc_lo, 3, v22
	s_cbranch_vccnz .LBB497_1739
; %bb.1736:
	v_cmp_lt_i16_e32 vcc_lo, 3, v22
	s_cbranch_vccz .LBB497_1740
; %bb.1737:
	global_load_b64 v[14:15], v[12:13], off
	s_mov_b32 s10, 0
	s_mov_b64 s[6:7], 0
	s_waitcnt vmcnt(0)
	v_cvt_f64_i32_e32 v[15:16], v15
	v_cvt_f64_u32_e32 v[23:24], v14
	s_delay_alu instid0(VALU_DEP_2) | instskip(NEXT) | instid1(VALU_DEP_1)
	v_ldexp_f64 v[15:16], v[15:16], 32
	v_add_f64 v[14:15], v[15:16], v[23:24]
	s_branch .LBB497_1741
.LBB497_1738:
	s_mov_b32 s10, -1
                                        ; implicit-def: $sgpr6_sgpr7
                                        ; implicit-def: $vgpr14_vgpr15
	s_branch .LBB497_1747
.LBB497_1739:
	s_mov_b32 s10, -1
                                        ; implicit-def: $sgpr6_sgpr7
                                        ; implicit-def: $vgpr14_vgpr15
	s_branch .LBB497_1744
.LBB497_1740:
	s_mov_b32 s10, -1
                                        ; implicit-def: $sgpr6_sgpr7
                                        ; implicit-def: $vgpr14_vgpr15
.LBB497_1741:
	s_delay_alu instid0(SALU_CYCLE_1)
	s_and_not1_b32 vcc_lo, exec_lo, s10
	s_cbranch_vccnz .LBB497_1743
; %bb.1742:
	global_load_b32 v14, v[12:13], off
	s_mov_b64 s[6:7], 0
	s_waitcnt vmcnt(0)
	v_cvt_f64_i32_e32 v[14:15], v14
.LBB497_1743:
	s_mov_b32 s10, 0
.LBB497_1744:
	s_delay_alu instid0(SALU_CYCLE_1)
	s_and_not1_b32 vcc_lo, exec_lo, s10
	s_cbranch_vccnz .LBB497_1746
; %bb.1745:
	global_load_i16 v14, v[12:13], off
	s_mov_b64 s[6:7], 0
	s_waitcnt vmcnt(0)
	v_cvt_f64_i32_e32 v[14:15], v14
.LBB497_1746:
	s_mov_b32 s10, 0
.LBB497_1747:
	s_delay_alu instid0(SALU_CYCLE_1)
	s_and_not1_b32 vcc_lo, exec_lo, s10
	s_cbranch_vccnz .LBB497_1753
; %bb.1748:
	v_cmp_lt_i16_e32 vcc_lo, 0, v22
	s_mov_b32 s10, 0
	s_cbranch_vccz .LBB497_1750
; %bb.1749:
	global_load_i8 v14, v[12:13], off
	s_mov_b64 s[6:7], 0
	s_waitcnt vmcnt(0)
	v_cvt_f64_i32_e32 v[14:15], v14
	s_branch .LBB497_1751
.LBB497_1750:
	s_mov_b32 s10, -1
                                        ; implicit-def: $sgpr6_sgpr7
                                        ; implicit-def: $vgpr14_vgpr15
.LBB497_1751:
	s_delay_alu instid0(SALU_CYCLE_1)
	s_and_not1_b32 vcc_lo, exec_lo, s10
	s_cbranch_vccnz .LBB497_1753
; %bb.1752:
	global_load_u8 v12, v[12:13], off
	s_mov_b64 s[6:7], 0
	s_waitcnt vmcnt(0)
	v_cvt_f64_u32_e32 v[14:15], v12
.LBB497_1753:
	s_waitcnt vmcnt(0)
	v_dual_mov_b32 v17, s7 :: v_dual_mov_b32 v16, s6
.LBB497_1754:
	s_mov_b32 s10, -1
.LBB497_1755:
	s_delay_alu instid0(SALU_CYCLE_1)
	s_and_not1_b32 vcc_lo, exec_lo, s10
	s_cbranch_vccnz .LBB497_1771
; %bb.1756:
	v_dual_mov_b32 v13, s1 :: v_dual_mov_b32 v12, s0
	s_mov_b32 s6, exec_lo
	s_waitcnt vmcnt(0)
	s_delay_alu instid0(VALU_DEP_2)
	v_cmpx_o_f64_e32 v[14:15], v[14:15]
	s_cbranch_execz .LBB497_1760
; %bb.1757:
	v_dual_mov_b32 v13, s3 :: v_dual_mov_b32 v12, s2
	s_mov_b32 s7, exec_lo
	v_cmpx_neq_f64_e32 0x7ff00000, v[14:15]
; %bb.1758:
	v_cmp_eq_f64_e32 vcc_lo, 0xfff00000, v[14:15]
	v_cndmask_b32_e64 v13, v15, s9, vcc_lo
	v_cndmask_b32_e64 v12, v14, s8, vcc_lo
; %bb.1759:
	s_or_b32 exec_lo, exec_lo, s7
.LBB497_1760:
	s_delay_alu instid0(SALU_CYCLE_1) | instskip(SKIP_2) | instid1(VALU_DEP_4)
	s_or_b32 exec_lo, exec_lo, s6
	v_dual_mov_b32 v15, s1 :: v_dual_mov_b32 v14, s0
	s_mov_b32 s0, exec_lo
	v_cmpx_o_f64_e32 v[16:17], v[16:17]
	s_cbranch_execz .LBB497_1764
; %bb.1761:
	v_dual_mov_b32 v15, s3 :: v_dual_mov_b32 v14, s2
	s_mov_b32 s1, exec_lo
	v_cmpx_neq_f64_e32 0x7ff00000, v[16:17]
; %bb.1762:
	v_cmp_eq_f64_e32 vcc_lo, 0xfff00000, v[16:17]
	v_cndmask_b32_e64 v15, v17, s9, vcc_lo
	v_cndmask_b32_e64 v14, v16, s8, vcc_lo
; %bb.1763:
	s_or_b32 exec_lo, exec_lo, s1
.LBB497_1764:
	s_delay_alu instid0(SALU_CYCLE_1) | instskip(SKIP_2) | instid1(VALU_DEP_1)
	s_or_b32 exec_lo, exec_lo, s0
	s_load_b32 s0, s[20:21], 0x170
	v_add_co_u32 v16, s1, s4, v21
	v_add_co_ci_u32_e64 v17, null, s5, 0, s1
	s_mov_b32 s3, 0
	s_waitcnt lgkmcnt(0)
	s_and_b32 s2, s0, 0xff
	s_delay_alu instid0(SALU_CYCLE_1) | instskip(NEXT) | instid1(VALU_DEP_1)
	v_cmp_lt_i16_e64 s0, s2, 11
	s_and_b32 vcc_lo, exec_lo, s0
	s_mov_b32 s0, -1
	s_cbranch_vccnz .LBB497_1892
; %bb.1765:
	v_cmp_gt_i16_e64 s0, s2, 25
	s_mov_b32 s6, -1
	s_mov_b32 s1, 0
	s_delay_alu instid0(VALU_DEP_1)
	s_and_b32 vcc_lo, exec_lo, s0
	s_mov_b32 s0, 0
	s_cbranch_vccz .LBB497_1848
; %bb.1766:
	v_cmp_gt_i16_e64 s0, s2, 28
	s_delay_alu instid0(VALU_DEP_1)
	s_and_b32 vcc_lo, exec_lo, s0
	s_cbranch_vccz .LBB497_1816
; %bb.1767:
	v_cmp_gt_i16_e64 s0, s2, 43
	s_delay_alu instid0(VALU_DEP_1)
	s_and_b32 vcc_lo, exec_lo, s0
	;; [unrolled: 5-line block ×3, first 2 shown]
	s_cbranch_vccz .LBB497_1820
; %bb.1769:
	v_cmp_eq_u16_e64 s3, s2, 46
	s_mov_b32 s0, -1
	s_mov_b32 s6, 0
	s_delay_alu instid0(VALU_DEP_1)
	s_and_b32 vcc_lo, exec_lo, s3
	s_mov_b32 s3, 0
	s_cbranch_vccz .LBB497_1821
; %bb.1770:
	v_cvt_f32_f64_e32 v21, v[2:3]
	v_cvt_f32_f64_e32 v22, v[0:1]
	s_mov_b32 s0, 0
	s_mov_b32 s3, -1
	s_delay_alu instid0(VALU_DEP_2) | instskip(NEXT) | instid1(VALU_DEP_2)
	v_bfe_u32 v23, v21, 16, 1
	v_bfe_u32 v24, v22, 16, 1
	v_cmp_o_f32_e32 vcc_lo, v21, v21
	s_delay_alu instid0(VALU_DEP_3) | instskip(NEXT) | instid1(VALU_DEP_3)
	v_add3_u32 v23, v21, v23, 0x7fff
	v_add3_u32 v24, v22, v24, 0x7fff
	s_delay_alu instid0(VALU_DEP_2) | instskip(NEXT) | instid1(VALU_DEP_2)
	v_and_b32_e32 v23, 0xffff0000, v23
	v_lshrrev_b32_e32 v24, 16, v24
	s_delay_alu instid0(VALU_DEP_2) | instskip(SKIP_1) | instid1(VALU_DEP_3)
	v_cndmask_b32_e32 v21, 0x7fc00000, v23, vcc_lo
	v_cmp_o_f32_e32 vcc_lo, v22, v22
	v_cndmask_b32_e32 v22, 0x7fc0, v24, vcc_lo
	s_delay_alu instid0(VALU_DEP_1)
	v_or_b32_e32 v21, v21, v22
	global_store_b32 v[16:17], v21, off
	s_branch .LBB497_1821
.LBB497_1771:
	s_mov_b32 s0, 0
	s_mov_b32 s1, 0
                                        ; implicit-def: $vgpr0_vgpr1
                                        ; implicit-def: $sgpr2
                                        ; implicit-def: $vgpr14_vgpr15
.LBB497_1772:
	s_and_b32 s3, s0, exec_lo
	s_and_not1_b32 s0, s14, exec_lo
	s_and_b32 s4, s16, exec_lo
	s_and_b32 s33, s1, exec_lo
	s_or_b32 s14, s0, s4
.LBB497_1773:
	s_or_b32 exec_lo, exec_lo, s15
	s_and_saveexec_b32 s0, s14
	s_cbranch_execz .LBB497_1776
; %bb.1774:
	; divergent unreachable
	s_or_b32 exec_lo, exec_lo, s0
	s_and_saveexec_b32 s0, s33
	s_delay_alu instid0(SALU_CYCLE_1)
	s_xor_b32 s1, exec_lo, s0
	s_cbranch_execnz .LBB497_1777
.LBB497_1775:
	s_or_b32 exec_lo, exec_lo, s1
	s_and_saveexec_b32 s0, s3
	s_cbranch_execnz .LBB497_1778
	s_branch .LBB497_1815
.LBB497_1776:
	s_or_b32 exec_lo, exec_lo, s0
	s_and_saveexec_b32 s0, s33
	s_delay_alu instid0(SALU_CYCLE_1)
	s_xor_b32 s1, exec_lo, s0
	s_cbranch_execz .LBB497_1775
.LBB497_1777:
	s_waitcnt vmcnt(0)
	s_delay_alu instid0(VALU_DEP_1) | instskip(NEXT) | instid1(VALU_DEP_2)
	v_cmp_neq_f64_e32 vcc_lo, 0, v[12:13]
	v_cmp_neq_f64_e64 s0, 0, v[14:15]
	s_delay_alu instid0(VALU_DEP_1) | instskip(NEXT) | instid1(SALU_CYCLE_1)
	s_or_b32 s0, vcc_lo, s0
	v_cndmask_b32_e64 v2, 0, 1, s0
	global_store_b8 v[0:1], v2, off
	s_or_b32 exec_lo, exec_lo, s1
	s_and_saveexec_b32 s0, s3
	s_cbranch_execz .LBB497_1815
.LBB497_1778:
	v_cmp_lt_i16_e64 s0, s2, 5
	s_delay_alu instid0(VALU_DEP_1)
	s_and_b32 vcc_lo, exec_lo, s0
	s_mov_b32 s0, -1
	s_cbranch_vccnz .LBB497_1799
; %bb.1779:
	v_cmp_lt_i16_e64 s0, s2, 8
	s_delay_alu instid0(VALU_DEP_1)
	s_and_b32 vcc_lo, exec_lo, s0
	s_mov_b32 s0, -1
	s_cbranch_vccnz .LBB497_1789
; %bb.1780:
	;; [unrolled: 6-line block ×3, first 2 shown]
	v_cmp_gt_i16_e64 s0, s2, 9
	s_delay_alu instid0(VALU_DEP_1)
	s_and_b32 vcc_lo, exec_lo, s0
	s_mov_b32 s0, -1
	s_cbranch_vccz .LBB497_1783
; %bb.1782:
	s_mov_b32 s0, 0
	s_waitcnt vmcnt(0)
	global_store_b128 v[0:1], v[12:15], off
.LBB497_1783:
	s_and_not1_b32 vcc_lo, exec_lo, s0
	s_cbranch_vccnz .LBB497_1785
; %bb.1784:
	s_waitcnt vmcnt(0)
	v_cvt_f32_f64_e32 v2, v[12:13]
	v_cvt_f32_f64_e32 v3, v[14:15]
	global_store_b64 v[0:1], v[2:3], off
.LBB497_1785:
	s_mov_b32 s0, 0
.LBB497_1786:
	s_delay_alu instid0(SALU_CYCLE_1)
	s_and_not1_b32 vcc_lo, exec_lo, s0
	s_cbranch_vccnz .LBB497_1788
; %bb.1787:
	s_waitcnt vmcnt(0)
	v_cvt_f32_f64_e32 v2, v[14:15]
	v_cvt_f32_f64_e32 v3, v[12:13]
	s_delay_alu instid0(VALU_DEP_2) | instskip(NEXT) | instid1(VALU_DEP_2)
	v_cvt_f16_f32_e32 v2, v2
	v_cvt_f16_f32_e32 v3, v3
	s_delay_alu instid0(VALU_DEP_2) | instskip(NEXT) | instid1(VALU_DEP_2)
	v_lshlrev_b32_e32 v2, 16, v2
	v_and_b32_e32 v3, 0xffff, v3
	s_delay_alu instid0(VALU_DEP_1)
	v_or_b32_e32 v2, v2, v3
	global_store_b32 v[0:1], v2, off
.LBB497_1788:
	s_mov_b32 s0, 0
.LBB497_1789:
	s_delay_alu instid0(SALU_CYCLE_1)
	s_and_not1_b32 vcc_lo, exec_lo, s0
	s_cbranch_vccnz .LBB497_1798
; %bb.1790:
	v_cmp_lt_i16_e64 s0, s2, 6
	s_delay_alu instid0(VALU_DEP_1)
	s_and_b32 vcc_lo, exec_lo, s0
	s_mov_b32 s0, -1
	s_cbranch_vccnz .LBB497_1796
; %bb.1791:
	v_cmp_gt_i16_e64 s0, s2, 6
	s_delay_alu instid0(VALU_DEP_1)
	s_and_b32 vcc_lo, exec_lo, s0
	s_mov_b32 s0, -1
	s_cbranch_vccz .LBB497_1793
; %bb.1792:
	s_mov_b32 s0, 0
	s_waitcnt vmcnt(0)
	global_store_b64 v[0:1], v[12:13], off
.LBB497_1793:
	s_and_not1_b32 vcc_lo, exec_lo, s0
	s_cbranch_vccnz .LBB497_1795
; %bb.1794:
	s_waitcnt vmcnt(0)
	v_cvt_f32_f64_e32 v2, v[12:13]
	global_store_b32 v[0:1], v2, off
.LBB497_1795:
	s_mov_b32 s0, 0
.LBB497_1796:
	s_delay_alu instid0(SALU_CYCLE_1)
	s_and_not1_b32 vcc_lo, exec_lo, s0
	s_cbranch_vccnz .LBB497_1798
; %bb.1797:
	s_waitcnt vmcnt(0)
	v_cvt_f32_f64_e32 v2, v[12:13]
	s_delay_alu instid0(VALU_DEP_1)
	v_cvt_f16_f32_e32 v2, v2
	global_store_b16 v[0:1], v2, off
.LBB497_1798:
	s_mov_b32 s0, 0
.LBB497_1799:
	s_delay_alu instid0(SALU_CYCLE_1)
	s_and_not1_b32 vcc_lo, exec_lo, s0
	s_cbranch_vccnz .LBB497_1815
; %bb.1800:
	v_cmp_lt_i16_e64 s0, s2, 2
	s_delay_alu instid0(VALU_DEP_1)
	s_and_b32 vcc_lo, exec_lo, s0
	s_mov_b32 s0, -1
	s_cbranch_vccnz .LBB497_1810
; %bb.1801:
	v_cmp_lt_i16_e64 s0, s2, 3
	s_delay_alu instid0(VALU_DEP_1)
	s_and_b32 vcc_lo, exec_lo, s0
	s_mov_b32 s0, -1
	s_cbranch_vccnz .LBB497_1807
; %bb.1802:
	v_cmp_gt_i16_e64 s0, s2, 3
	s_delay_alu instid0(VALU_DEP_1)
	s_and_b32 vcc_lo, exec_lo, s0
	s_mov_b32 s0, -1
	s_cbranch_vccz .LBB497_1804
; %bb.1803:
	s_waitcnt vmcnt(0)
	v_trunc_f64_e32 v[2:3], v[12:13]
	s_mov_b32 s0, 0
	s_delay_alu instid0(VALU_DEP_1) | instskip(NEXT) | instid1(VALU_DEP_1)
	v_ldexp_f64 v[4:5], v[2:3], 0xffffffe0
	v_floor_f64_e32 v[4:5], v[4:5]
	s_delay_alu instid0(VALU_DEP_1) | instskip(SKIP_1) | instid1(VALU_DEP_2)
	v_fma_f64 v[2:3], 0xc1f00000, v[4:5], v[2:3]
	v_cvt_i32_f64_e32 v4, v[4:5]
	v_cvt_u32_f64_e32 v3, v[2:3]
	global_store_b64 v[0:1], v[3:4], off
.LBB497_1804:
	s_and_not1_b32 vcc_lo, exec_lo, s0
	s_cbranch_vccnz .LBB497_1806
; %bb.1805:
	s_waitcnt vmcnt(0)
	v_cvt_i32_f64_e32 v2, v[12:13]
	global_store_b32 v[0:1], v2, off
.LBB497_1806:
	s_mov_b32 s0, 0
.LBB497_1807:
	s_delay_alu instid0(SALU_CYCLE_1)
	s_and_not1_b32 vcc_lo, exec_lo, s0
	s_cbranch_vccnz .LBB497_1809
; %bb.1808:
	s_waitcnt vmcnt(0)
	v_cvt_i32_f64_e32 v2, v[12:13]
	global_store_b16 v[0:1], v2, off
.LBB497_1809:
	s_mov_b32 s0, 0
.LBB497_1810:
	s_delay_alu instid0(SALU_CYCLE_1)
	s_and_not1_b32 vcc_lo, exec_lo, s0
	s_cbranch_vccnz .LBB497_1815
; %bb.1811:
	v_cmp_gt_i16_e64 s0, s2, 0
	s_delay_alu instid0(VALU_DEP_1)
	s_and_b32 vcc_lo, exec_lo, s0
	s_mov_b32 s0, -1
	s_cbranch_vccz .LBB497_1813
; %bb.1812:
	s_waitcnt vmcnt(0)
	v_cvt_i32_f64_e32 v2, v[12:13]
	s_mov_b32 s0, 0
	global_store_b8 v[0:1], v2, off
.LBB497_1813:
	s_and_not1_b32 vcc_lo, exec_lo, s0
	s_cbranch_vccnz .LBB497_1815
; %bb.1814:
	s_waitcnt vmcnt(0)
	v_trunc_f64_e32 v[2:3], v[12:13]
	s_delay_alu instid0(VALU_DEP_1) | instskip(NEXT) | instid1(VALU_DEP_1)
	v_ldexp_f64 v[4:5], v[2:3], 0xffffffe0
	v_floor_f64_e32 v[4:5], v[4:5]
	s_delay_alu instid0(VALU_DEP_1) | instskip(NEXT) | instid1(VALU_DEP_1)
	v_fma_f64 v[2:3], 0xc1f00000, v[4:5], v[2:3]
	v_cvt_u32_f64_e32 v2, v[2:3]
	global_store_b8 v[0:1], v2, off
	s_nop 0
	s_sendmsg sendmsg(MSG_DEALLOC_VGPRS)
	s_endpgm
.LBB497_1815:
	s_nop 0
	s_sendmsg sendmsg(MSG_DEALLOC_VGPRS)
	s_endpgm
.LBB497_1816:
	s_mov_b32 s0, 0
	s_branch .LBB497_1831
.LBB497_1817:
	s_mov_b32 s0, 0
	s_branch .LBB497_1827
.LBB497_1818:
	s_cbranch_execnz .LBB497_1943
; %bb.1819:
	s_or_b32 s16, s16, exec_lo
                                        ; implicit-def: $vgpr16_vgpr17
	s_cbranch_execz .LBB497_1702
	s_branch .LBB497_1703
.LBB497_1820:
	s_mov_b32 s0, 0
.LBB497_1821:
	s_and_b32 vcc_lo, exec_lo, s6
	s_cbranch_vccz .LBB497_1826
; %bb.1822:
	v_cmp_eq_u16_e64 s0, s2, 44
	s_delay_alu instid0(VALU_DEP_1)
	s_and_b32 vcc_lo, exec_lo, s0
	s_mov_b32 s0, -1
	s_cbranch_vccz .LBB497_1826
; %bb.1823:
	v_cvt_f32_f64_e32 v21, v[0:1]
	v_mov_b32_e32 v22, 0xff
	s_mov_b32 s3, exec_lo
	s_delay_alu instid0(VALU_DEP_2) | instskip(NEXT) | instid1(VALU_DEP_1)
	v_bfe_u32 v23, v21, 23, 8
	v_cmpx_ne_u32_e32 0xff, v23
; %bb.1824:
	v_and_b32_e32 v22, 0x400000, v21
	v_and_or_b32 v23, 0x3fffff, v21, v23
	v_lshrrev_b32_e32 v21, 23, v21
	s_delay_alu instid0(VALU_DEP_3) | instskip(NEXT) | instid1(VALU_DEP_3)
	v_cmp_ne_u32_e32 vcc_lo, 0, v22
	v_cmp_ne_u32_e64 s0, 0, v23
	s_delay_alu instid0(VALU_DEP_1) | instskip(NEXT) | instid1(SALU_CYCLE_1)
	s_and_b32 s0, vcc_lo, s0
	v_cndmask_b32_e64 v22, 0, 1, s0
	s_delay_alu instid0(VALU_DEP_1)
	v_add_nc_u32_e32 v22, v21, v22
; %bb.1825:
	s_or_b32 exec_lo, exec_lo, s3
	s_mov_b32 s0, 0
	s_mov_b32 s3, -1
	global_store_b8 v[16:17], v22, off
.LBB497_1826:
	s_mov_b32 s6, 0
.LBB497_1827:
	s_delay_alu instid0(SALU_CYCLE_1)
	s_and_b32 vcc_lo, exec_lo, s6
	s_cbranch_vccz .LBB497_1830
; %bb.1828:
	v_cmp_eq_u16_e64 s0, s2, 29
	s_delay_alu instid0(VALU_DEP_1)
	s_and_b32 vcc_lo, exec_lo, s0
	s_mov_b32 s0, -1
	s_cbranch_vccz .LBB497_1830
; %bb.1829:
	v_trunc_f64_e32 v[21:22], v[0:1]
	s_mov_b32 s0, 0
	s_mov_b32 s3, -1
	s_mov_b32 s6, 0
	s_delay_alu instid0(VALU_DEP_1) | instskip(NEXT) | instid1(VALU_DEP_1)
	v_ldexp_f64 v[23:24], v[21:22], 0xffffffe0
	v_floor_f64_e32 v[23:24], v[23:24]
	s_delay_alu instid0(VALU_DEP_1) | instskip(SKIP_1) | instid1(VALU_DEP_2)
	v_fma_f64 v[21:22], 0xc1f00000, v[23:24], v[21:22]
	v_cvt_u32_f64_e32 v23, v[23:24]
	v_cvt_u32_f64_e32 v22, v[21:22]
	global_store_b64 v[16:17], v[22:23], off
	s_branch .LBB497_1831
.LBB497_1830:
	s_mov_b32 s6, 0
.LBB497_1831:
	s_delay_alu instid0(SALU_CYCLE_1)
	s_and_b32 vcc_lo, exec_lo, s6
	s_cbranch_vccz .LBB497_1847
; %bb.1832:
	v_cmp_lt_i16_e64 s3, s2, 27
	s_delay_alu instid0(VALU_DEP_1)
	s_and_b32 vcc_lo, exec_lo, s3
	s_mov_b32 s3, -1
	s_cbranch_vccnz .LBB497_1838
; %bb.1833:
	v_cvt_u32_f64_e32 v21, v[0:1]
	v_cmp_gt_i16_e64 s3, s2, 27
	s_delay_alu instid0(VALU_DEP_1)
	s_and_b32 vcc_lo, exec_lo, s3
	s_mov_b32 s3, -1
	s_cbranch_vccz .LBB497_1835
; %bb.1834:
	s_mov_b32 s3, 0
	global_store_b32 v[16:17], v21, off
.LBB497_1835:
	s_and_not1_b32 vcc_lo, exec_lo, s3
	s_cbranch_vccnz .LBB497_1837
; %bb.1836:
	global_store_b16 v[16:17], v21, off
.LBB497_1837:
	s_mov_b32 s3, 0
.LBB497_1838:
	s_delay_alu instid0(SALU_CYCLE_1)
	s_and_not1_b32 vcc_lo, exec_lo, s3
	s_cbranch_vccnz .LBB497_1846
; %bb.1839:
	v_cvt_f32_f64_e32 v21, v[0:1]
	v_mov_b32_e32 v23, 0x80
	s_mov_b32 s3, exec_lo
	s_delay_alu instid0(VALU_DEP_2) | instskip(NEXT) | instid1(VALU_DEP_1)
	v_and_b32_e32 v22, 0x7fffffff, v21
	v_cmpx_gt_u32_e32 0x43800000, v22
	s_cbranch_execz .LBB497_1845
; %bb.1840:
	v_cmp_lt_u32_e32 vcc_lo, 0x3bffffff, v22
	s_mov_b32 s6, 0
                                        ; implicit-def: $vgpr22
	s_and_saveexec_b32 s7, vcc_lo
	s_delay_alu instid0(SALU_CYCLE_1)
	s_xor_b32 s7, exec_lo, s7
	s_cbranch_execz .LBB497_1940
; %bb.1841:
	v_bfe_u32 v22, v21, 20, 1
	s_mov_b32 s6, exec_lo
	s_delay_alu instid0(VALU_DEP_1) | instskip(NEXT) | instid1(VALU_DEP_1)
	v_add3_u32 v22, v21, v22, 0x487ffff
	v_lshrrev_b32_e32 v22, 20, v22
	s_or_saveexec_b32 s7, s7
                                        ; implicit-def: $sgpr8
	s_delay_alu instid0(SALU_CYCLE_1)
	s_xor_b32 exec_lo, exec_lo, s7
	s_cbranch_execnz .LBB497_1941
.LBB497_1842:
	s_or_b32 exec_lo, exec_lo, s7
	v_mov_b32_e32 v23, s8
	s_and_saveexec_b32 s7, s6
.LBB497_1843:
	v_lshrrev_b32_e32 v21, 24, v21
	s_delay_alu instid0(VALU_DEP_1)
	v_and_or_b32 v23, 0x80, v21, v22
.LBB497_1844:
	s_or_b32 exec_lo, exec_lo, s7
.LBB497_1845:
	s_delay_alu instid0(SALU_CYCLE_1)
	s_or_b32 exec_lo, exec_lo, s3
	global_store_b8 v[16:17], v23, off
.LBB497_1846:
	s_mov_b32 s3, -1
.LBB497_1847:
	s_mov_b32 s6, 0
.LBB497_1848:
	s_delay_alu instid0(SALU_CYCLE_1)
	s_and_b32 vcc_lo, exec_lo, s6
	s_cbranch_vccz .LBB497_1888
; %bb.1849:
	v_cmp_gt_i16_e64 s1, s2, 22
	s_delay_alu instid0(VALU_DEP_1)
	s_and_b32 vcc_lo, exec_lo, s1
	s_mov_b32 s1, -1
	s_cbranch_vccz .LBB497_1881
; %bb.1850:
	v_cmp_lt_i16_e64 s1, s2, 24
	s_delay_alu instid0(VALU_DEP_1)
	s_and_b32 vcc_lo, exec_lo, s1
	s_mov_b32 s1, -1
	s_cbranch_vccnz .LBB497_1870
; %bb.1851:
	v_cmp_gt_i16_e64 s1, s2, 24
	s_delay_alu instid0(VALU_DEP_1)
	s_and_b32 vcc_lo, exec_lo, s1
	s_mov_b32 s1, -1
	s_cbranch_vccz .LBB497_1859
; %bb.1852:
	v_cvt_f32_f64_e32 v21, v[0:1]
	v_mov_b32_e32 v23, 0x80
	s_mov_b32 s1, exec_lo
	s_delay_alu instid0(VALU_DEP_2) | instskip(NEXT) | instid1(VALU_DEP_1)
	v_and_b32_e32 v22, 0x7fffffff, v21
	v_cmpx_gt_u32_e32 0x47800000, v22
	s_cbranch_execz .LBB497_1858
; %bb.1853:
	v_cmp_lt_u32_e32 vcc_lo, 0x37ffffff, v22
	s_mov_b32 s3, 0
                                        ; implicit-def: $vgpr22
	s_and_saveexec_b32 s6, vcc_lo
	s_delay_alu instid0(SALU_CYCLE_1)
	s_xor_b32 s6, exec_lo, s6
	s_cbranch_execz .LBB497_1947
; %bb.1854:
	v_bfe_u32 v22, v21, 21, 1
	s_mov_b32 s3, exec_lo
	s_delay_alu instid0(VALU_DEP_1) | instskip(NEXT) | instid1(VALU_DEP_1)
	v_add3_u32 v22, v21, v22, 0x88fffff
	v_lshrrev_b32_e32 v22, 21, v22
	s_or_saveexec_b32 s6, s6
                                        ; implicit-def: $sgpr7
	s_delay_alu instid0(SALU_CYCLE_1)
	s_xor_b32 exec_lo, exec_lo, s6
	s_cbranch_execnz .LBB497_1948
.LBB497_1855:
	s_or_b32 exec_lo, exec_lo, s6
	v_mov_b32_e32 v23, s7
	s_and_saveexec_b32 s6, s3
.LBB497_1856:
	v_lshrrev_b32_e32 v21, 24, v21
	s_delay_alu instid0(VALU_DEP_1)
	v_and_or_b32 v23, 0x80, v21, v22
.LBB497_1857:
	s_or_b32 exec_lo, exec_lo, s6
.LBB497_1858:
	s_delay_alu instid0(SALU_CYCLE_1)
	s_or_b32 exec_lo, exec_lo, s1
	s_mov_b32 s1, 0
	global_store_b8 v[16:17], v23, off
.LBB497_1859:
	s_and_b32 vcc_lo, exec_lo, s1
	s_cbranch_vccz .LBB497_1869
; %bb.1860:
	v_cvt_f32_f64_e32 v21, v[0:1]
	s_mov_b32 s1, exec_lo
                                        ; implicit-def: $vgpr22
	s_delay_alu instid0(VALU_DEP_1) | instskip(NEXT) | instid1(VALU_DEP_1)
	v_and_b32_e32 v23, 0x7fffffff, v21
	v_cmpx_gt_u32_e32 0x43f00000, v23
	s_xor_b32 s1, exec_lo, s1
	s_cbranch_execz .LBB497_1866
; %bb.1861:
	s_mov_b32 s3, exec_lo
                                        ; implicit-def: $vgpr22
	v_cmpx_lt_u32_e32 0x3c7fffff, v23
	s_xor_b32 s3, exec_lo, s3
; %bb.1862:
	v_bfe_u32 v22, v21, 20, 1
	s_delay_alu instid0(VALU_DEP_1) | instskip(NEXT) | instid1(VALU_DEP_1)
	v_add3_u32 v22, v21, v22, 0x407ffff
	v_and_b32_e32 v23, 0xff00000, v22
	v_lshrrev_b32_e32 v22, 20, v22
	s_delay_alu instid0(VALU_DEP_2) | instskip(NEXT) | instid1(VALU_DEP_2)
	v_cmp_ne_u32_e32 vcc_lo, 0x7f00000, v23
	v_cndmask_b32_e32 v22, 0x7e, v22, vcc_lo
; %bb.1863:
	s_and_not1_saveexec_b32 s3, s3
; %bb.1864:
	v_add_f32_e64 v22, 0x46800000, |v21|
; %bb.1865:
	s_or_b32 exec_lo, exec_lo, s3
                                        ; implicit-def: $vgpr23
.LBB497_1866:
	s_and_not1_saveexec_b32 s1, s1
; %bb.1867:
	v_mov_b32_e32 v22, 0x7f
	v_cmp_lt_u32_e32 vcc_lo, 0x7f800000, v23
	s_delay_alu instid0(VALU_DEP_2)
	v_cndmask_b32_e32 v22, 0x7e, v22, vcc_lo
; %bb.1868:
	s_or_b32 exec_lo, exec_lo, s1
	v_lshrrev_b32_e32 v21, 24, v21
	s_delay_alu instid0(VALU_DEP_1)
	v_and_or_b32 v21, 0x80, v21, v22
	global_store_b8 v[16:17], v21, off
.LBB497_1869:
	s_mov_b32 s1, 0
.LBB497_1870:
	s_delay_alu instid0(SALU_CYCLE_1)
	s_and_not1_b32 vcc_lo, exec_lo, s1
	s_cbranch_vccnz .LBB497_1880
; %bb.1871:
	v_cvt_f32_f64_e32 v21, v[0:1]
	s_mov_b32 s1, exec_lo
                                        ; implicit-def: $vgpr22
	s_delay_alu instid0(VALU_DEP_1) | instskip(NEXT) | instid1(VALU_DEP_1)
	v_and_b32_e32 v23, 0x7fffffff, v21
	v_cmpx_gt_u32_e32 0x47800000, v23
	s_xor_b32 s1, exec_lo, s1
	s_cbranch_execz .LBB497_1877
; %bb.1872:
	s_mov_b32 s3, exec_lo
                                        ; implicit-def: $vgpr22
	v_cmpx_lt_u32_e32 0x387fffff, v23
	s_xor_b32 s3, exec_lo, s3
; %bb.1873:
	v_bfe_u32 v22, v21, 21, 1
	s_delay_alu instid0(VALU_DEP_1) | instskip(NEXT) | instid1(VALU_DEP_1)
	v_add3_u32 v22, v21, v22, 0x80fffff
	v_lshrrev_b32_e32 v22, 21, v22
; %bb.1874:
	s_and_not1_saveexec_b32 s3, s3
; %bb.1875:
	v_add_f32_e64 v22, 0x43000000, |v21|
; %bb.1876:
	s_or_b32 exec_lo, exec_lo, s3
                                        ; implicit-def: $vgpr23
.LBB497_1877:
	s_and_not1_saveexec_b32 s1, s1
; %bb.1878:
	v_mov_b32_e32 v22, 0x7f
	v_cmp_lt_u32_e32 vcc_lo, 0x7f800000, v23
	s_delay_alu instid0(VALU_DEP_2)
	v_cndmask_b32_e32 v22, 0x7c, v22, vcc_lo
; %bb.1879:
	s_or_b32 exec_lo, exec_lo, s1
	v_lshrrev_b32_e32 v21, 24, v21
	s_delay_alu instid0(VALU_DEP_1)
	v_and_or_b32 v21, 0x80, v21, v22
	global_store_b8 v[16:17], v21, off
.LBB497_1880:
	s_mov_b32 s1, 0
	s_mov_b32 s3, -1
.LBB497_1881:
	s_and_not1_b32 vcc_lo, exec_lo, s1
	s_mov_b32 s1, 0
	s_cbranch_vccnz .LBB497_1888
; %bb.1882:
	v_cmp_gt_i16_e64 s1, s2, 14
	s_delay_alu instid0(VALU_DEP_1)
	s_and_b32 vcc_lo, exec_lo, s1
	s_mov_b32 s1, -1
	s_cbranch_vccz .LBB497_1886
; %bb.1883:
	v_cmp_eq_u16_e64 s0, s2, 15
	s_delay_alu instid0(VALU_DEP_1)
	s_and_b32 vcc_lo, exec_lo, s0
	s_mov_b32 s0, -1
	s_cbranch_vccz .LBB497_1885
; %bb.1884:
	v_cvt_f32_f64_e32 v21, v[0:1]
	s_mov_b32 s0, 0
	s_mov_b32 s3, -1
	s_delay_alu instid0(VALU_DEP_1) | instskip(SKIP_1) | instid1(VALU_DEP_2)
	v_bfe_u32 v22, v21, 16, 1
	v_cmp_o_f32_e32 vcc_lo, v21, v21
	v_add3_u32 v22, v21, v22, 0x7fff
	s_delay_alu instid0(VALU_DEP_1) | instskip(NEXT) | instid1(VALU_DEP_1)
	v_lshrrev_b32_e32 v22, 16, v22
	v_cndmask_b32_e32 v21, 0x7fc0, v22, vcc_lo
	global_store_b16 v[16:17], v21, off
.LBB497_1885:
	s_mov_b32 s1, 0
.LBB497_1886:
	s_delay_alu instid0(SALU_CYCLE_1)
	s_and_b32 vcc_lo, exec_lo, s1
	s_mov_b32 s1, 0
	s_cbranch_vccz .LBB497_1888
; %bb.1887:
	v_cmp_ne_u16_e64 s0, s2, 11
	s_mov_b32 s1, -1
.LBB497_1888:
	s_delay_alu instid0(VALU_DEP_1)
	s_and_b32 vcc_lo, exec_lo, s0
	s_cbranch_vccnz .LBB497_1945
; %bb.1889:
	s_and_not1_b32 vcc_lo, exec_lo, s1
	s_cbranch_vccnz .LBB497_1891
.LBB497_1890:
	v_cmp_neq_f64_e32 vcc_lo, 0, v[0:1]
	v_cmp_neq_f64_e64 s0, 0, v[2:3]
	s_mov_b32 s3, -1
	s_delay_alu instid0(VALU_DEP_1) | instskip(NEXT) | instid1(SALU_CYCLE_1)
	s_or_b32 s0, vcc_lo, s0
	v_cndmask_b32_e64 v21, 0, 1, s0
	global_store_b8 v[16:17], v21, off
.LBB497_1891:
	s_mov_b32 s0, 0
.LBB497_1892:
	s_delay_alu instid0(SALU_CYCLE_1)
	s_and_b32 vcc_lo, exec_lo, s0
	s_cbranch_vccz .LBB497_1931
; %bb.1893:
	v_cmp_lt_i16_e64 s0, s2, 5
	s_delay_alu instid0(VALU_DEP_1)
	s_and_b32 vcc_lo, exec_lo, s0
	s_mov_b32 s0, -1
	s_cbranch_vccnz .LBB497_1914
; %bb.1894:
	v_cmp_lt_i16_e64 s0, s2, 8
	s_delay_alu instid0(VALU_DEP_1)
	s_and_b32 vcc_lo, exec_lo, s0
	s_mov_b32 s0, -1
	s_cbranch_vccnz .LBB497_1904
	;; [unrolled: 6-line block ×3, first 2 shown]
; %bb.1896:
	v_cmp_gt_i16_e64 s0, s2, 9
	s_delay_alu instid0(VALU_DEP_1)
	s_and_b32 vcc_lo, exec_lo, s0
	s_mov_b32 s0, -1
	s_cbranch_vccz .LBB497_1898
; %bb.1897:
	s_mov_b32 s0, 0
	global_store_b128 v[16:17], v[0:3], off
.LBB497_1898:
	s_and_not1_b32 vcc_lo, exec_lo, s0
	s_cbranch_vccnz .LBB497_1900
; %bb.1899:
	v_cvt_f32_f64_e32 v21, v[0:1]
	v_cvt_f32_f64_e32 v22, v[2:3]
	global_store_b64 v[16:17], v[21:22], off
.LBB497_1900:
	s_mov_b32 s0, 0
.LBB497_1901:
	s_delay_alu instid0(SALU_CYCLE_1)
	s_and_not1_b32 vcc_lo, exec_lo, s0
	s_cbranch_vccnz .LBB497_1903
; %bb.1902:
	v_cvt_f32_f64_e32 v2, v[2:3]
	v_cvt_f32_f64_e32 v3, v[0:1]
	s_delay_alu instid0(VALU_DEP_2) | instskip(NEXT) | instid1(VALU_DEP_2)
	v_cvt_f16_f32_e32 v2, v2
	v_cvt_f16_f32_e32 v3, v3
	s_delay_alu instid0(VALU_DEP_2) | instskip(NEXT) | instid1(VALU_DEP_2)
	v_lshlrev_b32_e32 v2, 16, v2
	v_and_b32_e32 v3, 0xffff, v3
	s_delay_alu instid0(VALU_DEP_1)
	v_or_b32_e32 v2, v2, v3
	global_store_b32 v[16:17], v2, off
.LBB497_1903:
	s_mov_b32 s0, 0
.LBB497_1904:
	s_delay_alu instid0(SALU_CYCLE_1)
	s_and_not1_b32 vcc_lo, exec_lo, s0
	s_cbranch_vccnz .LBB497_1913
; %bb.1905:
	v_cmp_lt_i16_e64 s0, s2, 6
	s_delay_alu instid0(VALU_DEP_1)
	s_and_b32 vcc_lo, exec_lo, s0
	s_mov_b32 s0, -1
	s_cbranch_vccnz .LBB497_1911
; %bb.1906:
	v_cmp_gt_i16_e64 s0, s2, 6
	s_delay_alu instid0(VALU_DEP_1)
	s_and_b32 vcc_lo, exec_lo, s0
	s_mov_b32 s0, -1
	s_cbranch_vccz .LBB497_1908
; %bb.1907:
	s_mov_b32 s0, 0
	global_store_b64 v[16:17], v[0:1], off
.LBB497_1908:
	s_and_not1_b32 vcc_lo, exec_lo, s0
	s_cbranch_vccnz .LBB497_1910
; %bb.1909:
	v_cvt_f32_f64_e32 v2, v[0:1]
	global_store_b32 v[16:17], v2, off
.LBB497_1910:
	s_mov_b32 s0, 0
.LBB497_1911:
	s_delay_alu instid0(SALU_CYCLE_1)
	s_and_not1_b32 vcc_lo, exec_lo, s0
	s_cbranch_vccnz .LBB497_1913
; %bb.1912:
	v_cvt_f32_f64_e32 v2, v[0:1]
	s_delay_alu instid0(VALU_DEP_1)
	v_cvt_f16_f32_e32 v2, v2
	global_store_b16 v[16:17], v2, off
.LBB497_1913:
	s_mov_b32 s0, 0
.LBB497_1914:
	s_delay_alu instid0(SALU_CYCLE_1)
	s_and_not1_b32 vcc_lo, exec_lo, s0
	s_cbranch_vccnz .LBB497_1930
; %bb.1915:
	v_cmp_lt_i16_e64 s0, s2, 2
	s_delay_alu instid0(VALU_DEP_1)
	s_and_b32 vcc_lo, exec_lo, s0
	s_mov_b32 s0, -1
	s_cbranch_vccnz .LBB497_1925
; %bb.1916:
	v_cmp_lt_i16_e64 s0, s2, 3
	s_delay_alu instid0(VALU_DEP_1)
	s_and_b32 vcc_lo, exec_lo, s0
	s_mov_b32 s0, -1
	s_cbranch_vccnz .LBB497_1922
; %bb.1917:
	v_cmp_gt_i16_e64 s0, s2, 3
	s_delay_alu instid0(VALU_DEP_1)
	s_and_b32 vcc_lo, exec_lo, s0
	s_mov_b32 s0, -1
	s_cbranch_vccz .LBB497_1919
; %bb.1918:
	v_trunc_f64_e32 v[2:3], v[0:1]
	s_mov_b32 s0, 0
	s_delay_alu instid0(VALU_DEP_1) | instskip(NEXT) | instid1(VALU_DEP_1)
	v_ldexp_f64 v[21:22], v[2:3], 0xffffffe0
	v_floor_f64_e32 v[21:22], v[21:22]
	s_delay_alu instid0(VALU_DEP_1) | instskip(SKIP_1) | instid1(VALU_DEP_2)
	v_fma_f64 v[2:3], 0xc1f00000, v[21:22], v[2:3]
	v_cvt_i32_f64_e32 v22, v[21:22]
	v_cvt_u32_f64_e32 v21, v[2:3]
	global_store_b64 v[16:17], v[21:22], off
.LBB497_1919:
	s_and_not1_b32 vcc_lo, exec_lo, s0
	s_cbranch_vccnz .LBB497_1921
; %bb.1920:
	v_cvt_i32_f64_e32 v2, v[0:1]
	global_store_b32 v[16:17], v2, off
.LBB497_1921:
	s_mov_b32 s0, 0
.LBB497_1922:
	s_delay_alu instid0(SALU_CYCLE_1)
	s_and_not1_b32 vcc_lo, exec_lo, s0
	s_cbranch_vccnz .LBB497_1924
; %bb.1923:
	v_cvt_i32_f64_e32 v2, v[0:1]
	global_store_b16 v[16:17], v2, off
.LBB497_1924:
	s_mov_b32 s0, 0
.LBB497_1925:
	s_delay_alu instid0(SALU_CYCLE_1)
	s_and_not1_b32 vcc_lo, exec_lo, s0
	s_cbranch_vccnz .LBB497_1930
; %bb.1926:
	v_cmp_gt_i16_e64 s0, s2, 0
	s_delay_alu instid0(VALU_DEP_1)
	s_and_b32 vcc_lo, exec_lo, s0
	s_mov_b32 s0, -1
	s_cbranch_vccz .LBB497_1928
; %bb.1927:
	v_cvt_i32_f64_e32 v2, v[0:1]
	s_mov_b32 s0, 0
	global_store_b8 v[16:17], v2, off
.LBB497_1928:
	s_and_not1_b32 vcc_lo, exec_lo, s0
	s_cbranch_vccnz .LBB497_1930
; %bb.1929:
	v_trunc_f64_e32 v[0:1], v[0:1]
	s_delay_alu instid0(VALU_DEP_1) | instskip(NEXT) | instid1(VALU_DEP_1)
	v_ldexp_f64 v[2:3], v[0:1], 0xffffffe0
	v_floor_f64_e32 v[2:3], v[2:3]
	s_delay_alu instid0(VALU_DEP_1) | instskip(NEXT) | instid1(VALU_DEP_1)
	v_fma_f64 v[0:1], 0xc1f00000, v[2:3], v[0:1]
	v_cvt_u32_f64_e32 v0, v[0:1]
	global_store_b8 v[16:17], v0, off
.LBB497_1930:
	s_mov_b32 s3, -1
.LBB497_1931:
	s_delay_alu instid0(SALU_CYCLE_1)
	s_and_not1_b32 vcc_lo, exec_lo, s3
	s_cbranch_vccnz .LBB497_2198
; %bb.1932:
	v_cmp_lt_i16_e64 s0, s2, 11
	v_add_co_u32 v0, s1, s4, v20
	s_delay_alu instid0(VALU_DEP_1) | instskip(SKIP_1) | instid1(VALU_DEP_3)
	v_add_co_ci_u32_e64 v1, null, s5, 0, s1
	s_mov_b32 s3, 0
	s_and_b32 vcc_lo, exec_lo, s0
	s_mov_b32 s0, -1
	s_cbranch_vccnz .LBB497_2021
; %bb.1933:
	v_cmp_gt_i16_e64 s0, s2, 25
	s_mov_b32 s6, -1
	s_mov_b32 s1, 0
	s_delay_alu instid0(VALU_DEP_1)
	s_and_b32 vcc_lo, exec_lo, s0
	s_mov_b32 s0, 0
	s_cbranch_vccz .LBB497_1977
; %bb.1934:
	v_cmp_gt_i16_e64 s0, s2, 28
	s_delay_alu instid0(VALU_DEP_1)
	s_and_b32 vcc_lo, exec_lo, s0
	s_cbranch_vccz .LBB497_1939
; %bb.1935:
	v_cmp_gt_i16_e64 s0, s2, 43
	s_delay_alu instid0(VALU_DEP_1)
	s_and_b32 vcc_lo, exec_lo, s0
	;; [unrolled: 5-line block ×3, first 2 shown]
	s_cbranch_vccz .LBB497_1949
; %bb.1937:
	v_cmp_eq_u16_e64 s3, s2, 46
	s_mov_b32 s0, -1
	s_mov_b32 s6, 0
	s_delay_alu instid0(VALU_DEP_1)
	s_and_b32 vcc_lo, exec_lo, s3
	s_mov_b32 s3, 0
	s_cbranch_vccz .LBB497_1950
; %bb.1938:
	v_cvt_f32_f64_e32 v2, v[6:7]
	v_cvt_f32_f64_e32 v3, v[4:5]
	s_mov_b32 s0, 0
	s_mov_b32 s3, -1
	s_delay_alu instid0(VALU_DEP_2) | instskip(NEXT) | instid1(VALU_DEP_2)
	v_bfe_u32 v16, v2, 16, 1
	v_bfe_u32 v17, v3, 16, 1
	v_cmp_o_f32_e32 vcc_lo, v2, v2
	s_delay_alu instid0(VALU_DEP_3) | instskip(NEXT) | instid1(VALU_DEP_3)
	v_add3_u32 v16, v2, v16, 0x7fff
	v_add3_u32 v17, v3, v17, 0x7fff
	s_delay_alu instid0(VALU_DEP_2) | instskip(NEXT) | instid1(VALU_DEP_2)
	v_and_b32_e32 v16, 0xffff0000, v16
	v_lshrrev_b32_e32 v17, 16, v17
	s_delay_alu instid0(VALU_DEP_2) | instskip(SKIP_1) | instid1(VALU_DEP_3)
	v_cndmask_b32_e32 v2, 0x7fc00000, v16, vcc_lo
	v_cmp_o_f32_e32 vcc_lo, v3, v3
	v_cndmask_b32_e32 v3, 0x7fc0, v17, vcc_lo
	s_delay_alu instid0(VALU_DEP_1)
	v_or_b32_e32 v2, v2, v3
	global_store_b32 v[0:1], v2, off
	s_branch .LBB497_1950
.LBB497_1939:
	s_mov_b32 s0, 0
	s_branch .LBB497_1960
.LBB497_1940:
	s_or_saveexec_b32 s7, s7
                                        ; implicit-def: $sgpr8
	s_delay_alu instid0(SALU_CYCLE_1)
	s_xor_b32 exec_lo, exec_lo, s7
	s_cbranch_execz .LBB497_1842
.LBB497_1941:
	v_add_f32_e64 v22, 0x46000000, |v21|
	s_and_not1_b32 s6, s6, exec_lo
	s_mov_b32 s8, 0
	s_delay_alu instid0(VALU_DEP_1) | instskip(NEXT) | instid1(VALU_DEP_1)
	v_and_b32_e32 v22, 0xff, v22
	v_cmp_ne_u32_e32 vcc_lo, 0, v22
	s_and_b32 s9, vcc_lo, exec_lo
	s_delay_alu instid0(SALU_CYCLE_1)
	s_or_b32 s6, s6, s9
	s_or_b32 exec_lo, exec_lo, s7
	v_mov_b32_e32 v23, s8
	s_and_saveexec_b32 s7, s6
	s_cbranch_execnz .LBB497_1843
	s_branch .LBB497_1844
.LBB497_1942:
	s_mov_b32 s0, 0
	s_branch .LBB497_1956
.LBB497_1943:
	s_trap 2
	s_sendmsg_rtn_b32 s0, sendmsg(MSG_RTN_GET_DOORBELL)
	s_mov_b32 ttmp2, m0
	s_waitcnt lgkmcnt(0)
	s_and_b32 s0, s0, 0x3ff
	s_delay_alu instid0(SALU_CYCLE_1) | instskip(NEXT) | instid1(SALU_CYCLE_1)
	s_bitset1_b32 s0, 10
	s_mov_b32 m0, s0
	s_sendmsg sendmsg(MSG_INTERRUPT)
	s_mov_b32 m0, ttmp2
.LBB497_1944:                           ; =>This Inner Loop Header: Depth=1
	s_sethalt 5
	s_branch .LBB497_1944
.LBB497_1945:
	s_cbranch_execnz .LBB497_2072
; %bb.1946:
	s_or_b32 s16, s16, exec_lo
	s_cbranch_execz .LBB497_1890
	s_branch .LBB497_1891
.LBB497_1947:
	s_or_saveexec_b32 s6, s6
                                        ; implicit-def: $sgpr7
	s_delay_alu instid0(SALU_CYCLE_1)
	s_xor_b32 exec_lo, exec_lo, s6
	s_cbranch_execz .LBB497_1855
.LBB497_1948:
	v_add_f32_e64 v22, 0x42800000, |v21|
	s_and_not1_b32 s3, s3, exec_lo
	s_mov_b32 s7, 0
	s_delay_alu instid0(VALU_DEP_1) | instskip(NEXT) | instid1(VALU_DEP_1)
	v_and_b32_e32 v22, 0xff, v22
	v_cmp_ne_u32_e32 vcc_lo, 0, v22
	s_and_b32 s8, vcc_lo, exec_lo
	s_delay_alu instid0(SALU_CYCLE_1)
	s_or_b32 s3, s3, s8
	s_or_b32 exec_lo, exec_lo, s6
	v_mov_b32_e32 v23, s7
	s_and_saveexec_b32 s6, s3
	s_cbranch_execnz .LBB497_1856
	s_branch .LBB497_1857
.LBB497_1949:
	s_mov_b32 s0, 0
.LBB497_1950:
	s_and_b32 vcc_lo, exec_lo, s6
	s_cbranch_vccz .LBB497_1955
; %bb.1951:
	v_cmp_eq_u16_e64 s0, s2, 44
	s_delay_alu instid0(VALU_DEP_1)
	s_and_b32 vcc_lo, exec_lo, s0
	s_mov_b32 s0, -1
	s_cbranch_vccz .LBB497_1955
; %bb.1952:
	v_cvt_f32_f64_e32 v2, v[4:5]
	v_mov_b32_e32 v3, 0xff
	s_mov_b32 s3, exec_lo
	s_delay_alu instid0(VALU_DEP_2) | instskip(NEXT) | instid1(VALU_DEP_1)
	v_bfe_u32 v16, v2, 23, 8
	v_cmpx_ne_u32_e32 0xff, v16
; %bb.1953:
	v_and_b32_e32 v3, 0x400000, v2
	v_and_or_b32 v16, 0x3fffff, v2, v16
	v_lshrrev_b32_e32 v2, 23, v2
	s_delay_alu instid0(VALU_DEP_3) | instskip(NEXT) | instid1(VALU_DEP_3)
	v_cmp_ne_u32_e32 vcc_lo, 0, v3
	v_cmp_ne_u32_e64 s0, 0, v16
	s_delay_alu instid0(VALU_DEP_1) | instskip(NEXT) | instid1(SALU_CYCLE_1)
	s_and_b32 s0, vcc_lo, s0
	v_cndmask_b32_e64 v3, 0, 1, s0
	s_delay_alu instid0(VALU_DEP_1)
	v_add_nc_u32_e32 v3, v2, v3
; %bb.1954:
	s_or_b32 exec_lo, exec_lo, s3
	s_mov_b32 s0, 0
	s_mov_b32 s3, -1
	global_store_b8 v[0:1], v3, off
.LBB497_1955:
	s_mov_b32 s6, 0
.LBB497_1956:
	s_delay_alu instid0(SALU_CYCLE_1)
	s_and_b32 vcc_lo, exec_lo, s6
	s_cbranch_vccz .LBB497_1959
; %bb.1957:
	v_cmp_eq_u16_e64 s0, s2, 29
	s_delay_alu instid0(VALU_DEP_1)
	s_and_b32 vcc_lo, exec_lo, s0
	s_mov_b32 s0, -1
	s_cbranch_vccz .LBB497_1959
; %bb.1958:
	v_trunc_f64_e32 v[2:3], v[4:5]
	s_mov_b32 s0, 0
	s_mov_b32 s3, -1
	s_mov_b32 s6, 0
	s_delay_alu instid0(VALU_DEP_1) | instskip(NEXT) | instid1(VALU_DEP_1)
	v_ldexp_f64 v[16:17], v[2:3], 0xffffffe0
	v_floor_f64_e32 v[16:17], v[16:17]
	s_delay_alu instid0(VALU_DEP_1) | instskip(SKIP_1) | instid1(VALU_DEP_2)
	v_fma_f64 v[2:3], 0xc1f00000, v[16:17], v[2:3]
	v_cvt_u32_f64_e32 v17, v[16:17]
	v_cvt_u32_f64_e32 v16, v[2:3]
	global_store_b64 v[0:1], v[16:17], off
	s_branch .LBB497_1960
.LBB497_1959:
	s_mov_b32 s6, 0
.LBB497_1960:
	s_delay_alu instid0(SALU_CYCLE_1)
	s_and_b32 vcc_lo, exec_lo, s6
	s_cbranch_vccz .LBB497_1976
; %bb.1961:
	v_cmp_lt_i16_e64 s3, s2, 27
	s_delay_alu instid0(VALU_DEP_1)
	s_and_b32 vcc_lo, exec_lo, s3
	s_mov_b32 s3, -1
	s_cbranch_vccnz .LBB497_1967
; %bb.1962:
	v_cvt_u32_f64_e32 v2, v[4:5]
	v_cmp_gt_i16_e64 s3, s2, 27
	s_delay_alu instid0(VALU_DEP_1)
	s_and_b32 vcc_lo, exec_lo, s3
	s_mov_b32 s3, -1
	s_cbranch_vccz .LBB497_1964
; %bb.1963:
	s_mov_b32 s3, 0
	global_store_b32 v[0:1], v2, off
.LBB497_1964:
	s_and_not1_b32 vcc_lo, exec_lo, s3
	s_cbranch_vccnz .LBB497_1966
; %bb.1965:
	global_store_b16 v[0:1], v2, off
.LBB497_1966:
	s_mov_b32 s3, 0
.LBB497_1967:
	s_delay_alu instid0(SALU_CYCLE_1)
	s_and_not1_b32 vcc_lo, exec_lo, s3
	s_cbranch_vccnz .LBB497_1975
; %bb.1968:
	v_cvt_f32_f64_e32 v2, v[4:5]
	v_mov_b32_e32 v16, 0x80
	s_mov_b32 s3, exec_lo
	s_delay_alu instid0(VALU_DEP_2) | instskip(NEXT) | instid1(VALU_DEP_1)
	v_and_b32_e32 v3, 0x7fffffff, v2
	v_cmpx_gt_u32_e32 0x43800000, v3
	s_cbranch_execz .LBB497_1974
; %bb.1969:
	v_cmp_lt_u32_e32 vcc_lo, 0x3bffffff, v3
	s_mov_b32 s6, 0
                                        ; implicit-def: $vgpr3
	s_and_saveexec_b32 s7, vcc_lo
	s_delay_alu instid0(SALU_CYCLE_1)
	s_xor_b32 s7, exec_lo, s7
	s_cbranch_execz .LBB497_2069
; %bb.1970:
	v_bfe_u32 v3, v2, 20, 1
	s_mov_b32 s6, exec_lo
	s_delay_alu instid0(VALU_DEP_1) | instskip(NEXT) | instid1(VALU_DEP_1)
	v_add3_u32 v3, v2, v3, 0x487ffff
	v_lshrrev_b32_e32 v3, 20, v3
	s_or_saveexec_b32 s7, s7
                                        ; implicit-def: $sgpr8
	s_delay_alu instid0(SALU_CYCLE_1)
	s_xor_b32 exec_lo, exec_lo, s7
	s_cbranch_execnz .LBB497_2070
.LBB497_1971:
	s_or_b32 exec_lo, exec_lo, s7
	v_mov_b32_e32 v16, s8
	s_and_saveexec_b32 s7, s6
.LBB497_1972:
	v_lshrrev_b32_e32 v2, 24, v2
	s_delay_alu instid0(VALU_DEP_1)
	v_and_or_b32 v16, 0x80, v2, v3
.LBB497_1973:
	s_or_b32 exec_lo, exec_lo, s7
.LBB497_1974:
	s_delay_alu instid0(SALU_CYCLE_1)
	s_or_b32 exec_lo, exec_lo, s3
	global_store_b8 v[0:1], v16, off
.LBB497_1975:
	s_mov_b32 s3, -1
.LBB497_1976:
	s_mov_b32 s6, 0
.LBB497_1977:
	s_delay_alu instid0(SALU_CYCLE_1)
	s_and_b32 vcc_lo, exec_lo, s6
	s_cbranch_vccz .LBB497_2017
; %bb.1978:
	v_cmp_gt_i16_e64 s1, s2, 22
	s_delay_alu instid0(VALU_DEP_1)
	s_and_b32 vcc_lo, exec_lo, s1
	s_mov_b32 s1, -1
	s_cbranch_vccz .LBB497_2010
; %bb.1979:
	v_cmp_lt_i16_e64 s1, s2, 24
	s_delay_alu instid0(VALU_DEP_1)
	s_and_b32 vcc_lo, exec_lo, s1
	s_mov_b32 s1, -1
	s_cbranch_vccnz .LBB497_1999
; %bb.1980:
	v_cmp_gt_i16_e64 s1, s2, 24
	s_delay_alu instid0(VALU_DEP_1)
	s_and_b32 vcc_lo, exec_lo, s1
	s_mov_b32 s1, -1
	s_cbranch_vccz .LBB497_1988
; %bb.1981:
	v_cvt_f32_f64_e32 v2, v[4:5]
	v_mov_b32_e32 v16, 0x80
	s_mov_b32 s1, exec_lo
	s_delay_alu instid0(VALU_DEP_2) | instskip(NEXT) | instid1(VALU_DEP_1)
	v_and_b32_e32 v3, 0x7fffffff, v2
	v_cmpx_gt_u32_e32 0x47800000, v3
	s_cbranch_execz .LBB497_1987
; %bb.1982:
	v_cmp_lt_u32_e32 vcc_lo, 0x37ffffff, v3
	s_mov_b32 s3, 0
                                        ; implicit-def: $vgpr3
	s_and_saveexec_b32 s6, vcc_lo
	s_delay_alu instid0(SALU_CYCLE_1)
	s_xor_b32 s6, exec_lo, s6
	s_cbranch_execz .LBB497_2076
; %bb.1983:
	v_bfe_u32 v3, v2, 21, 1
	s_mov_b32 s3, exec_lo
	s_delay_alu instid0(VALU_DEP_1) | instskip(NEXT) | instid1(VALU_DEP_1)
	v_add3_u32 v3, v2, v3, 0x88fffff
	v_lshrrev_b32_e32 v3, 21, v3
	s_or_saveexec_b32 s6, s6
                                        ; implicit-def: $sgpr7
	s_delay_alu instid0(SALU_CYCLE_1)
	s_xor_b32 exec_lo, exec_lo, s6
	s_cbranch_execnz .LBB497_2077
.LBB497_1984:
	s_or_b32 exec_lo, exec_lo, s6
	v_mov_b32_e32 v16, s7
	s_and_saveexec_b32 s6, s3
.LBB497_1985:
	v_lshrrev_b32_e32 v2, 24, v2
	s_delay_alu instid0(VALU_DEP_1)
	v_and_or_b32 v16, 0x80, v2, v3
.LBB497_1986:
	s_or_b32 exec_lo, exec_lo, s6
.LBB497_1987:
	s_delay_alu instid0(SALU_CYCLE_1)
	s_or_b32 exec_lo, exec_lo, s1
	s_mov_b32 s1, 0
	global_store_b8 v[0:1], v16, off
.LBB497_1988:
	s_and_b32 vcc_lo, exec_lo, s1
	s_cbranch_vccz .LBB497_1998
; %bb.1989:
	v_cvt_f32_f64_e32 v2, v[4:5]
	s_mov_b32 s1, exec_lo
                                        ; implicit-def: $vgpr3
	s_delay_alu instid0(VALU_DEP_1) | instskip(NEXT) | instid1(VALU_DEP_1)
	v_and_b32_e32 v16, 0x7fffffff, v2
	v_cmpx_gt_u32_e32 0x43f00000, v16
	s_xor_b32 s1, exec_lo, s1
	s_cbranch_execz .LBB497_1995
; %bb.1990:
	s_mov_b32 s3, exec_lo
                                        ; implicit-def: $vgpr3
	v_cmpx_lt_u32_e32 0x3c7fffff, v16
	s_xor_b32 s3, exec_lo, s3
; %bb.1991:
	v_bfe_u32 v3, v2, 20, 1
	s_delay_alu instid0(VALU_DEP_1) | instskip(NEXT) | instid1(VALU_DEP_1)
	v_add3_u32 v3, v2, v3, 0x407ffff
	v_and_b32_e32 v16, 0xff00000, v3
	v_lshrrev_b32_e32 v3, 20, v3
	s_delay_alu instid0(VALU_DEP_2) | instskip(NEXT) | instid1(VALU_DEP_2)
	v_cmp_ne_u32_e32 vcc_lo, 0x7f00000, v16
	v_cndmask_b32_e32 v3, 0x7e, v3, vcc_lo
; %bb.1992:
	s_and_not1_saveexec_b32 s3, s3
; %bb.1993:
	v_add_f32_e64 v3, 0x46800000, |v2|
; %bb.1994:
	s_or_b32 exec_lo, exec_lo, s3
                                        ; implicit-def: $vgpr16
.LBB497_1995:
	s_and_not1_saveexec_b32 s1, s1
; %bb.1996:
	v_mov_b32_e32 v3, 0x7f
	v_cmp_lt_u32_e32 vcc_lo, 0x7f800000, v16
	s_delay_alu instid0(VALU_DEP_2)
	v_cndmask_b32_e32 v3, 0x7e, v3, vcc_lo
; %bb.1997:
	s_or_b32 exec_lo, exec_lo, s1
	v_lshrrev_b32_e32 v2, 24, v2
	s_delay_alu instid0(VALU_DEP_1)
	v_and_or_b32 v2, 0x80, v2, v3
	global_store_b8 v[0:1], v2, off
.LBB497_1998:
	s_mov_b32 s1, 0
.LBB497_1999:
	s_delay_alu instid0(SALU_CYCLE_1)
	s_and_not1_b32 vcc_lo, exec_lo, s1
	s_cbranch_vccnz .LBB497_2009
; %bb.2000:
	v_cvt_f32_f64_e32 v2, v[4:5]
	s_mov_b32 s1, exec_lo
                                        ; implicit-def: $vgpr3
	s_delay_alu instid0(VALU_DEP_1) | instskip(NEXT) | instid1(VALU_DEP_1)
	v_and_b32_e32 v16, 0x7fffffff, v2
	v_cmpx_gt_u32_e32 0x47800000, v16
	s_xor_b32 s1, exec_lo, s1
	s_cbranch_execz .LBB497_2006
; %bb.2001:
	s_mov_b32 s3, exec_lo
                                        ; implicit-def: $vgpr3
	v_cmpx_lt_u32_e32 0x387fffff, v16
	s_xor_b32 s3, exec_lo, s3
; %bb.2002:
	v_bfe_u32 v3, v2, 21, 1
	s_delay_alu instid0(VALU_DEP_1) | instskip(NEXT) | instid1(VALU_DEP_1)
	v_add3_u32 v3, v2, v3, 0x80fffff
	v_lshrrev_b32_e32 v3, 21, v3
; %bb.2003:
	s_and_not1_saveexec_b32 s3, s3
; %bb.2004:
	v_add_f32_e64 v3, 0x43000000, |v2|
; %bb.2005:
	s_or_b32 exec_lo, exec_lo, s3
                                        ; implicit-def: $vgpr16
.LBB497_2006:
	s_and_not1_saveexec_b32 s1, s1
; %bb.2007:
	v_mov_b32_e32 v3, 0x7f
	v_cmp_lt_u32_e32 vcc_lo, 0x7f800000, v16
	s_delay_alu instid0(VALU_DEP_2)
	v_cndmask_b32_e32 v3, 0x7c, v3, vcc_lo
; %bb.2008:
	s_or_b32 exec_lo, exec_lo, s1
	v_lshrrev_b32_e32 v2, 24, v2
	s_delay_alu instid0(VALU_DEP_1)
	v_and_or_b32 v2, 0x80, v2, v3
	global_store_b8 v[0:1], v2, off
.LBB497_2009:
	s_mov_b32 s1, 0
	s_mov_b32 s3, -1
.LBB497_2010:
	s_and_not1_b32 vcc_lo, exec_lo, s1
	s_mov_b32 s1, 0
	s_cbranch_vccnz .LBB497_2017
; %bb.2011:
	v_cmp_gt_i16_e64 s1, s2, 14
	s_delay_alu instid0(VALU_DEP_1)
	s_and_b32 vcc_lo, exec_lo, s1
	s_mov_b32 s1, -1
	s_cbranch_vccz .LBB497_2015
; %bb.2012:
	v_cmp_eq_u16_e64 s0, s2, 15
	s_delay_alu instid0(VALU_DEP_1)
	s_and_b32 vcc_lo, exec_lo, s0
	s_mov_b32 s0, -1
	s_cbranch_vccz .LBB497_2014
; %bb.2013:
	v_cvt_f32_f64_e32 v2, v[4:5]
	s_mov_b32 s0, 0
	s_mov_b32 s3, -1
	s_delay_alu instid0(VALU_DEP_1) | instskip(SKIP_1) | instid1(VALU_DEP_2)
	v_bfe_u32 v3, v2, 16, 1
	v_cmp_o_f32_e32 vcc_lo, v2, v2
	v_add3_u32 v3, v2, v3, 0x7fff
	s_delay_alu instid0(VALU_DEP_1) | instskip(NEXT) | instid1(VALU_DEP_1)
	v_lshrrev_b32_e32 v3, 16, v3
	v_cndmask_b32_e32 v2, 0x7fc0, v3, vcc_lo
	global_store_b16 v[0:1], v2, off
.LBB497_2014:
	s_mov_b32 s1, 0
.LBB497_2015:
	s_delay_alu instid0(SALU_CYCLE_1)
	s_and_b32 vcc_lo, exec_lo, s1
	s_mov_b32 s1, 0
	s_cbranch_vccz .LBB497_2017
; %bb.2016:
	v_cmp_ne_u16_e64 s0, s2, 11
	s_mov_b32 s1, -1
.LBB497_2017:
	s_delay_alu instid0(VALU_DEP_1)
	s_and_b32 vcc_lo, exec_lo, s0
	s_cbranch_vccnz .LBB497_2074
; %bb.2018:
	s_and_not1_b32 vcc_lo, exec_lo, s1
	s_cbranch_vccnz .LBB497_2020
.LBB497_2019:
	v_cmp_neq_f64_e32 vcc_lo, 0, v[4:5]
	v_cmp_neq_f64_e64 s0, 0, v[6:7]
	s_mov_b32 s3, -1
	s_delay_alu instid0(VALU_DEP_1) | instskip(NEXT) | instid1(SALU_CYCLE_1)
	s_or_b32 s0, vcc_lo, s0
	v_cndmask_b32_e64 v2, 0, 1, s0
	global_store_b8 v[0:1], v2, off
.LBB497_2020:
	s_mov_b32 s0, 0
.LBB497_2021:
	s_delay_alu instid0(SALU_CYCLE_1)
	s_and_b32 vcc_lo, exec_lo, s0
	s_cbranch_vccz .LBB497_2060
; %bb.2022:
	v_cmp_lt_i16_e64 s0, s2, 5
	s_delay_alu instid0(VALU_DEP_1)
	s_and_b32 vcc_lo, exec_lo, s0
	s_mov_b32 s0, -1
	s_cbranch_vccnz .LBB497_2043
; %bb.2023:
	v_cmp_lt_i16_e64 s0, s2, 8
	s_delay_alu instid0(VALU_DEP_1)
	s_and_b32 vcc_lo, exec_lo, s0
	s_mov_b32 s0, -1
	s_cbranch_vccnz .LBB497_2033
	;; [unrolled: 6-line block ×3, first 2 shown]
; %bb.2025:
	v_cmp_gt_i16_e64 s0, s2, 9
	s_delay_alu instid0(VALU_DEP_1)
	s_and_b32 vcc_lo, exec_lo, s0
	s_mov_b32 s0, -1
	s_cbranch_vccz .LBB497_2027
; %bb.2026:
	s_mov_b32 s0, 0
	global_store_b128 v[0:1], v[4:7], off
.LBB497_2027:
	s_and_not1_b32 vcc_lo, exec_lo, s0
	s_cbranch_vccnz .LBB497_2029
; %bb.2028:
	v_cvt_f32_f64_e32 v2, v[4:5]
	v_cvt_f32_f64_e32 v3, v[6:7]
	global_store_b64 v[0:1], v[2:3], off
.LBB497_2029:
	s_mov_b32 s0, 0
.LBB497_2030:
	s_delay_alu instid0(SALU_CYCLE_1)
	s_and_not1_b32 vcc_lo, exec_lo, s0
	s_cbranch_vccnz .LBB497_2032
; %bb.2031:
	v_cvt_f32_f64_e32 v2, v[6:7]
	v_cvt_f32_f64_e32 v3, v[4:5]
	s_delay_alu instid0(VALU_DEP_2) | instskip(NEXT) | instid1(VALU_DEP_2)
	v_cvt_f16_f32_e32 v2, v2
	v_cvt_f16_f32_e32 v3, v3
	s_delay_alu instid0(VALU_DEP_2) | instskip(NEXT) | instid1(VALU_DEP_2)
	v_lshlrev_b32_e32 v2, 16, v2
	v_and_b32_e32 v3, 0xffff, v3
	s_delay_alu instid0(VALU_DEP_1)
	v_or_b32_e32 v2, v2, v3
	global_store_b32 v[0:1], v2, off
.LBB497_2032:
	s_mov_b32 s0, 0
.LBB497_2033:
	s_delay_alu instid0(SALU_CYCLE_1)
	s_and_not1_b32 vcc_lo, exec_lo, s0
	s_cbranch_vccnz .LBB497_2042
; %bb.2034:
	v_cmp_lt_i16_e64 s0, s2, 6
	s_delay_alu instid0(VALU_DEP_1)
	s_and_b32 vcc_lo, exec_lo, s0
	s_mov_b32 s0, -1
	s_cbranch_vccnz .LBB497_2040
; %bb.2035:
	v_cmp_gt_i16_e64 s0, s2, 6
	s_delay_alu instid0(VALU_DEP_1)
	s_and_b32 vcc_lo, exec_lo, s0
	s_mov_b32 s0, -1
	s_cbranch_vccz .LBB497_2037
; %bb.2036:
	s_mov_b32 s0, 0
	global_store_b64 v[0:1], v[4:5], off
.LBB497_2037:
	s_and_not1_b32 vcc_lo, exec_lo, s0
	s_cbranch_vccnz .LBB497_2039
; %bb.2038:
	v_cvt_f32_f64_e32 v2, v[4:5]
	global_store_b32 v[0:1], v2, off
.LBB497_2039:
	s_mov_b32 s0, 0
.LBB497_2040:
	s_delay_alu instid0(SALU_CYCLE_1)
	s_and_not1_b32 vcc_lo, exec_lo, s0
	s_cbranch_vccnz .LBB497_2042
; %bb.2041:
	v_cvt_f32_f64_e32 v2, v[4:5]
	s_delay_alu instid0(VALU_DEP_1)
	v_cvt_f16_f32_e32 v2, v2
	global_store_b16 v[0:1], v2, off
.LBB497_2042:
	s_mov_b32 s0, 0
.LBB497_2043:
	s_delay_alu instid0(SALU_CYCLE_1)
	s_and_not1_b32 vcc_lo, exec_lo, s0
	s_cbranch_vccnz .LBB497_2059
; %bb.2044:
	v_cmp_lt_i16_e64 s0, s2, 2
	s_delay_alu instid0(VALU_DEP_1)
	s_and_b32 vcc_lo, exec_lo, s0
	s_mov_b32 s0, -1
	s_cbranch_vccnz .LBB497_2054
; %bb.2045:
	v_cmp_lt_i16_e64 s0, s2, 3
	s_delay_alu instid0(VALU_DEP_1)
	s_and_b32 vcc_lo, exec_lo, s0
	s_mov_b32 s0, -1
	s_cbranch_vccnz .LBB497_2051
; %bb.2046:
	v_cmp_gt_i16_e64 s0, s2, 3
	s_delay_alu instid0(VALU_DEP_1)
	s_and_b32 vcc_lo, exec_lo, s0
	s_mov_b32 s0, -1
	s_cbranch_vccz .LBB497_2048
; %bb.2047:
	v_trunc_f64_e32 v[2:3], v[4:5]
	s_mov_b32 s0, 0
	s_delay_alu instid0(VALU_DEP_1) | instskip(NEXT) | instid1(VALU_DEP_1)
	v_ldexp_f64 v[6:7], v[2:3], 0xffffffe0
	v_floor_f64_e32 v[6:7], v[6:7]
	s_delay_alu instid0(VALU_DEP_1) | instskip(SKIP_1) | instid1(VALU_DEP_2)
	v_fma_f64 v[2:3], 0xc1f00000, v[6:7], v[2:3]
	v_cvt_i32_f64_e32 v7, v[6:7]
	v_cvt_u32_f64_e32 v6, v[2:3]
	global_store_b64 v[0:1], v[6:7], off
.LBB497_2048:
	s_and_not1_b32 vcc_lo, exec_lo, s0
	s_cbranch_vccnz .LBB497_2050
; %bb.2049:
	v_cvt_i32_f64_e32 v2, v[4:5]
	global_store_b32 v[0:1], v2, off
.LBB497_2050:
	s_mov_b32 s0, 0
.LBB497_2051:
	s_delay_alu instid0(SALU_CYCLE_1)
	s_and_not1_b32 vcc_lo, exec_lo, s0
	s_cbranch_vccnz .LBB497_2053
; %bb.2052:
	v_cvt_i32_f64_e32 v2, v[4:5]
	global_store_b16 v[0:1], v2, off
.LBB497_2053:
	s_mov_b32 s0, 0
.LBB497_2054:
	s_delay_alu instid0(SALU_CYCLE_1)
	s_and_not1_b32 vcc_lo, exec_lo, s0
	s_cbranch_vccnz .LBB497_2059
; %bb.2055:
	v_cmp_gt_i16_e64 s0, s2, 0
	s_delay_alu instid0(VALU_DEP_1)
	s_and_b32 vcc_lo, exec_lo, s0
	s_mov_b32 s0, -1
	s_cbranch_vccz .LBB497_2057
; %bb.2056:
	v_cvt_i32_f64_e32 v2, v[4:5]
	s_mov_b32 s0, 0
	global_store_b8 v[0:1], v2, off
.LBB497_2057:
	s_and_not1_b32 vcc_lo, exec_lo, s0
	s_cbranch_vccnz .LBB497_2059
; %bb.2058:
	v_trunc_f64_e32 v[2:3], v[4:5]
	s_delay_alu instid0(VALU_DEP_1) | instskip(NEXT) | instid1(VALU_DEP_1)
	v_ldexp_f64 v[4:5], v[2:3], 0xffffffe0
	v_floor_f64_e32 v[4:5], v[4:5]
	s_delay_alu instid0(VALU_DEP_1) | instskip(NEXT) | instid1(VALU_DEP_1)
	v_fma_f64 v[2:3], 0xc1f00000, v[4:5], v[2:3]
	v_cvt_u32_f64_e32 v2, v[2:3]
	global_store_b8 v[0:1], v2, off
.LBB497_2059:
	s_mov_b32 s3, -1
.LBB497_2060:
	s_delay_alu instid0(SALU_CYCLE_1)
	s_and_not1_b32 vcc_lo, exec_lo, s3
	s_cbranch_vccnz .LBB497_2198
; %bb.2061:
	v_cmp_lt_i16_e64 s0, s2, 11
	v_add_co_u32 v0, s1, s4, v19
	s_delay_alu instid0(VALU_DEP_1) | instskip(SKIP_1) | instid1(VALU_DEP_3)
	v_add_co_ci_u32_e64 v1, null, s5, 0, s1
	s_mov_b32 s3, 0
	s_and_b32 vcc_lo, exec_lo, s0
	s_mov_b32 s0, -1
	s_cbranch_vccnz .LBB497_2150
; %bb.2062:
	v_cmp_gt_i16_e64 s0, s2, 25
	s_mov_b32 s6, -1
	s_mov_b32 s1, 0
	s_delay_alu instid0(VALU_DEP_1)
	s_and_b32 vcc_lo, exec_lo, s0
	s_mov_b32 s0, 0
	s_cbranch_vccz .LBB497_2106
; %bb.2063:
	v_cmp_gt_i16_e64 s0, s2, 28
	s_delay_alu instid0(VALU_DEP_1)
	s_and_b32 vcc_lo, exec_lo, s0
	s_cbranch_vccz .LBB497_2068
; %bb.2064:
	v_cmp_gt_i16_e64 s0, s2, 43
	s_delay_alu instid0(VALU_DEP_1)
	s_and_b32 vcc_lo, exec_lo, s0
	;; [unrolled: 5-line block ×3, first 2 shown]
	s_cbranch_vccz .LBB497_2078
; %bb.2066:
	v_cmp_eq_u16_e64 s3, s2, 46
	s_mov_b32 s0, -1
	s_mov_b32 s6, 0
	s_delay_alu instid0(VALU_DEP_1)
	s_and_b32 vcc_lo, exec_lo, s3
	s_mov_b32 s3, 0
	s_cbranch_vccz .LBB497_2079
; %bb.2067:
	v_cvt_f32_f64_e32 v2, v[10:11]
	v_cvt_f32_f64_e32 v3, v[8:9]
	s_mov_b32 s0, 0
	s_mov_b32 s3, -1
	s_delay_alu instid0(VALU_DEP_2) | instskip(NEXT) | instid1(VALU_DEP_2)
	v_bfe_u32 v4, v2, 16, 1
	v_bfe_u32 v5, v3, 16, 1
	v_cmp_o_f32_e32 vcc_lo, v2, v2
	s_delay_alu instid0(VALU_DEP_3) | instskip(NEXT) | instid1(VALU_DEP_3)
	v_add3_u32 v4, v2, v4, 0x7fff
	v_add3_u32 v5, v3, v5, 0x7fff
	s_delay_alu instid0(VALU_DEP_2) | instskip(NEXT) | instid1(VALU_DEP_2)
	v_and_b32_e32 v4, 0xffff0000, v4
	v_lshrrev_b32_e32 v5, 16, v5
	s_delay_alu instid0(VALU_DEP_2) | instskip(SKIP_1) | instid1(VALU_DEP_3)
	v_cndmask_b32_e32 v2, 0x7fc00000, v4, vcc_lo
	v_cmp_o_f32_e32 vcc_lo, v3, v3
	v_cndmask_b32_e32 v3, 0x7fc0, v5, vcc_lo
	s_delay_alu instid0(VALU_DEP_1)
	v_or_b32_e32 v2, v2, v3
	global_store_b32 v[0:1], v2, off
	s_branch .LBB497_2079
.LBB497_2068:
	s_mov_b32 s0, 0
	s_branch .LBB497_2089
.LBB497_2069:
	s_or_saveexec_b32 s7, s7
                                        ; implicit-def: $sgpr8
	s_delay_alu instid0(SALU_CYCLE_1)
	s_xor_b32 exec_lo, exec_lo, s7
	s_cbranch_execz .LBB497_1971
.LBB497_2070:
	v_add_f32_e64 v3, 0x46000000, |v2|
	s_and_not1_b32 s6, s6, exec_lo
	s_mov_b32 s8, 0
	s_delay_alu instid0(VALU_DEP_1) | instskip(NEXT) | instid1(VALU_DEP_1)
	v_and_b32_e32 v3, 0xff, v3
	v_cmp_ne_u32_e32 vcc_lo, 0, v3
	s_and_b32 s9, vcc_lo, exec_lo
	s_delay_alu instid0(SALU_CYCLE_1)
	s_or_b32 s6, s6, s9
	s_or_b32 exec_lo, exec_lo, s7
	v_mov_b32_e32 v16, s8
	s_and_saveexec_b32 s7, s6
	s_cbranch_execnz .LBB497_1972
	s_branch .LBB497_1973
.LBB497_2071:
	s_mov_b32 s0, 0
	s_branch .LBB497_2085
.LBB497_2072:
	s_trap 2
	s_sendmsg_rtn_b32 s0, sendmsg(MSG_RTN_GET_DOORBELL)
	s_mov_b32 ttmp2, m0
	s_waitcnt lgkmcnt(0)
	s_and_b32 s0, s0, 0x3ff
	s_delay_alu instid0(SALU_CYCLE_1) | instskip(NEXT) | instid1(SALU_CYCLE_1)
	s_bitset1_b32 s0, 10
	s_mov_b32 m0, s0
	s_sendmsg sendmsg(MSG_INTERRUPT)
	s_mov_b32 m0, ttmp2
.LBB497_2073:                           ; =>This Inner Loop Header: Depth=1
	s_sethalt 5
	s_branch .LBB497_2073
.LBB497_2074:
	s_cbranch_execnz .LBB497_2203
; %bb.2075:
	s_or_b32 s16, s16, exec_lo
	s_cbranch_execz .LBB497_2019
	s_branch .LBB497_2020
.LBB497_2076:
	s_or_saveexec_b32 s6, s6
                                        ; implicit-def: $sgpr7
	s_delay_alu instid0(SALU_CYCLE_1)
	s_xor_b32 exec_lo, exec_lo, s6
	s_cbranch_execz .LBB497_1984
.LBB497_2077:
	v_add_f32_e64 v3, 0x42800000, |v2|
	s_and_not1_b32 s3, s3, exec_lo
	s_mov_b32 s7, 0
	s_delay_alu instid0(VALU_DEP_1) | instskip(NEXT) | instid1(VALU_DEP_1)
	v_and_b32_e32 v3, 0xff, v3
	v_cmp_ne_u32_e32 vcc_lo, 0, v3
	s_and_b32 s8, vcc_lo, exec_lo
	s_delay_alu instid0(SALU_CYCLE_1)
	s_or_b32 s3, s3, s8
	s_or_b32 exec_lo, exec_lo, s6
	v_mov_b32_e32 v16, s7
	s_and_saveexec_b32 s6, s3
	s_cbranch_execnz .LBB497_1985
	s_branch .LBB497_1986
.LBB497_2078:
	s_mov_b32 s0, 0
.LBB497_2079:
	s_and_b32 vcc_lo, exec_lo, s6
	s_cbranch_vccz .LBB497_2084
; %bb.2080:
	v_cmp_eq_u16_e64 s0, s2, 44
	s_delay_alu instid0(VALU_DEP_1)
	s_and_b32 vcc_lo, exec_lo, s0
	s_mov_b32 s0, -1
	s_cbranch_vccz .LBB497_2084
; %bb.2081:
	v_cvt_f32_f64_e32 v2, v[8:9]
	v_mov_b32_e32 v3, 0xff
	s_mov_b32 s3, exec_lo
	s_delay_alu instid0(VALU_DEP_2) | instskip(NEXT) | instid1(VALU_DEP_1)
	v_bfe_u32 v4, v2, 23, 8
	v_cmpx_ne_u32_e32 0xff, v4
; %bb.2082:
	v_and_b32_e32 v3, 0x400000, v2
	v_and_or_b32 v4, 0x3fffff, v2, v4
	v_lshrrev_b32_e32 v2, 23, v2
	s_delay_alu instid0(VALU_DEP_3) | instskip(NEXT) | instid1(VALU_DEP_3)
	v_cmp_ne_u32_e32 vcc_lo, 0, v3
	v_cmp_ne_u32_e64 s0, 0, v4
	s_delay_alu instid0(VALU_DEP_1) | instskip(NEXT) | instid1(SALU_CYCLE_1)
	s_and_b32 s0, vcc_lo, s0
	v_cndmask_b32_e64 v3, 0, 1, s0
	s_delay_alu instid0(VALU_DEP_1)
	v_add_nc_u32_e32 v3, v2, v3
; %bb.2083:
	s_or_b32 exec_lo, exec_lo, s3
	s_mov_b32 s0, 0
	s_mov_b32 s3, -1
	global_store_b8 v[0:1], v3, off
.LBB497_2084:
	s_mov_b32 s6, 0
.LBB497_2085:
	s_delay_alu instid0(SALU_CYCLE_1)
	s_and_b32 vcc_lo, exec_lo, s6
	s_cbranch_vccz .LBB497_2088
; %bb.2086:
	v_cmp_eq_u16_e64 s0, s2, 29
	s_delay_alu instid0(VALU_DEP_1)
	s_and_b32 vcc_lo, exec_lo, s0
	s_mov_b32 s0, -1
	s_cbranch_vccz .LBB497_2088
; %bb.2087:
	v_trunc_f64_e32 v[2:3], v[8:9]
	s_mov_b32 s0, 0
	s_mov_b32 s3, -1
	s_mov_b32 s6, 0
	s_delay_alu instid0(VALU_DEP_1) | instskip(NEXT) | instid1(VALU_DEP_1)
	v_ldexp_f64 v[4:5], v[2:3], 0xffffffe0
	v_floor_f64_e32 v[4:5], v[4:5]
	s_delay_alu instid0(VALU_DEP_1) | instskip(SKIP_1) | instid1(VALU_DEP_2)
	v_fma_f64 v[2:3], 0xc1f00000, v[4:5], v[2:3]
	v_cvt_u32_f64_e32 v4, v[4:5]
	v_cvt_u32_f64_e32 v3, v[2:3]
	global_store_b64 v[0:1], v[3:4], off
	s_branch .LBB497_2089
.LBB497_2088:
	s_mov_b32 s6, 0
.LBB497_2089:
	s_delay_alu instid0(SALU_CYCLE_1)
	s_and_b32 vcc_lo, exec_lo, s6
	s_cbranch_vccz .LBB497_2105
; %bb.2090:
	v_cmp_lt_i16_e64 s3, s2, 27
	s_delay_alu instid0(VALU_DEP_1)
	s_and_b32 vcc_lo, exec_lo, s3
	s_mov_b32 s3, -1
	s_cbranch_vccnz .LBB497_2096
; %bb.2091:
	v_cvt_u32_f64_e32 v2, v[8:9]
	v_cmp_gt_i16_e64 s3, s2, 27
	s_delay_alu instid0(VALU_DEP_1)
	s_and_b32 vcc_lo, exec_lo, s3
	s_mov_b32 s3, -1
	s_cbranch_vccz .LBB497_2093
; %bb.2092:
	s_mov_b32 s3, 0
	global_store_b32 v[0:1], v2, off
.LBB497_2093:
	s_and_not1_b32 vcc_lo, exec_lo, s3
	s_cbranch_vccnz .LBB497_2095
; %bb.2094:
	global_store_b16 v[0:1], v2, off
.LBB497_2095:
	s_mov_b32 s3, 0
.LBB497_2096:
	s_delay_alu instid0(SALU_CYCLE_1)
	s_and_not1_b32 vcc_lo, exec_lo, s3
	s_cbranch_vccnz .LBB497_2104
; %bb.2097:
	v_cvt_f32_f64_e32 v2, v[8:9]
	v_mov_b32_e32 v4, 0x80
	s_mov_b32 s3, exec_lo
	s_delay_alu instid0(VALU_DEP_2) | instskip(NEXT) | instid1(VALU_DEP_1)
	v_and_b32_e32 v3, 0x7fffffff, v2
	v_cmpx_gt_u32_e32 0x43800000, v3
	s_cbranch_execz .LBB497_2103
; %bb.2098:
	v_cmp_lt_u32_e32 vcc_lo, 0x3bffffff, v3
	s_mov_b32 s6, 0
                                        ; implicit-def: $vgpr3
	s_and_saveexec_b32 s7, vcc_lo
	s_delay_alu instid0(SALU_CYCLE_1)
	s_xor_b32 s7, exec_lo, s7
	s_cbranch_execz .LBB497_2200
; %bb.2099:
	v_bfe_u32 v3, v2, 20, 1
	s_mov_b32 s6, exec_lo
	s_delay_alu instid0(VALU_DEP_1) | instskip(NEXT) | instid1(VALU_DEP_1)
	v_add3_u32 v3, v2, v3, 0x487ffff
	v_lshrrev_b32_e32 v3, 20, v3
	s_or_saveexec_b32 s7, s7
                                        ; implicit-def: $sgpr8
	s_delay_alu instid0(SALU_CYCLE_1)
	s_xor_b32 exec_lo, exec_lo, s7
	s_cbranch_execnz .LBB497_2201
.LBB497_2100:
	s_or_b32 exec_lo, exec_lo, s7
	v_mov_b32_e32 v4, s8
	s_and_saveexec_b32 s7, s6
.LBB497_2101:
	v_lshrrev_b32_e32 v2, 24, v2
	s_delay_alu instid0(VALU_DEP_1)
	v_and_or_b32 v4, 0x80, v2, v3
.LBB497_2102:
	s_or_b32 exec_lo, exec_lo, s7
.LBB497_2103:
	s_delay_alu instid0(SALU_CYCLE_1)
	s_or_b32 exec_lo, exec_lo, s3
	global_store_b8 v[0:1], v4, off
.LBB497_2104:
	s_mov_b32 s3, -1
.LBB497_2105:
	s_mov_b32 s6, 0
.LBB497_2106:
	s_delay_alu instid0(SALU_CYCLE_1)
	s_and_b32 vcc_lo, exec_lo, s6
	s_cbranch_vccz .LBB497_2146
; %bb.2107:
	v_cmp_gt_i16_e64 s1, s2, 22
	s_delay_alu instid0(VALU_DEP_1)
	s_and_b32 vcc_lo, exec_lo, s1
	s_mov_b32 s1, -1
	s_cbranch_vccz .LBB497_2139
; %bb.2108:
	v_cmp_lt_i16_e64 s1, s2, 24
	s_delay_alu instid0(VALU_DEP_1)
	s_and_b32 vcc_lo, exec_lo, s1
	s_mov_b32 s1, -1
	s_cbranch_vccnz .LBB497_2128
; %bb.2109:
	v_cmp_gt_i16_e64 s1, s2, 24
	s_delay_alu instid0(VALU_DEP_1)
	s_and_b32 vcc_lo, exec_lo, s1
	s_mov_b32 s1, -1
	s_cbranch_vccz .LBB497_2117
; %bb.2110:
	v_cvt_f32_f64_e32 v2, v[8:9]
	v_mov_b32_e32 v4, 0x80
	s_mov_b32 s1, exec_lo
	s_delay_alu instid0(VALU_DEP_2) | instskip(NEXT) | instid1(VALU_DEP_1)
	v_and_b32_e32 v3, 0x7fffffff, v2
	v_cmpx_gt_u32_e32 0x47800000, v3
	s_cbranch_execz .LBB497_2116
; %bb.2111:
	v_cmp_lt_u32_e32 vcc_lo, 0x37ffffff, v3
	s_mov_b32 s3, 0
                                        ; implicit-def: $vgpr3
	s_and_saveexec_b32 s6, vcc_lo
	s_delay_alu instid0(SALU_CYCLE_1)
	s_xor_b32 s6, exec_lo, s6
	s_cbranch_execz .LBB497_2207
; %bb.2112:
	v_bfe_u32 v3, v2, 21, 1
	s_mov_b32 s3, exec_lo
	s_delay_alu instid0(VALU_DEP_1) | instskip(NEXT) | instid1(VALU_DEP_1)
	v_add3_u32 v3, v2, v3, 0x88fffff
	v_lshrrev_b32_e32 v3, 21, v3
	s_or_saveexec_b32 s6, s6
                                        ; implicit-def: $sgpr7
	s_delay_alu instid0(SALU_CYCLE_1)
	s_xor_b32 exec_lo, exec_lo, s6
	s_cbranch_execnz .LBB497_2208
.LBB497_2113:
	s_or_b32 exec_lo, exec_lo, s6
	v_mov_b32_e32 v4, s7
	s_and_saveexec_b32 s6, s3
.LBB497_2114:
	v_lshrrev_b32_e32 v2, 24, v2
	s_delay_alu instid0(VALU_DEP_1)
	v_and_or_b32 v4, 0x80, v2, v3
.LBB497_2115:
	s_or_b32 exec_lo, exec_lo, s6
.LBB497_2116:
	s_delay_alu instid0(SALU_CYCLE_1)
	s_or_b32 exec_lo, exec_lo, s1
	s_mov_b32 s1, 0
	global_store_b8 v[0:1], v4, off
.LBB497_2117:
	s_and_b32 vcc_lo, exec_lo, s1
	s_cbranch_vccz .LBB497_2127
; %bb.2118:
	v_cvt_f32_f64_e32 v2, v[8:9]
	s_mov_b32 s1, exec_lo
                                        ; implicit-def: $vgpr3
	s_delay_alu instid0(VALU_DEP_1) | instskip(NEXT) | instid1(VALU_DEP_1)
	v_and_b32_e32 v4, 0x7fffffff, v2
	v_cmpx_gt_u32_e32 0x43f00000, v4
	s_xor_b32 s1, exec_lo, s1
	s_cbranch_execz .LBB497_2124
; %bb.2119:
	s_mov_b32 s3, exec_lo
                                        ; implicit-def: $vgpr3
	v_cmpx_lt_u32_e32 0x3c7fffff, v4
	s_xor_b32 s3, exec_lo, s3
; %bb.2120:
	v_bfe_u32 v3, v2, 20, 1
	s_delay_alu instid0(VALU_DEP_1) | instskip(NEXT) | instid1(VALU_DEP_1)
	v_add3_u32 v3, v2, v3, 0x407ffff
	v_and_b32_e32 v4, 0xff00000, v3
	v_lshrrev_b32_e32 v3, 20, v3
	s_delay_alu instid0(VALU_DEP_2) | instskip(NEXT) | instid1(VALU_DEP_2)
	v_cmp_ne_u32_e32 vcc_lo, 0x7f00000, v4
	v_cndmask_b32_e32 v3, 0x7e, v3, vcc_lo
; %bb.2121:
	s_and_not1_saveexec_b32 s3, s3
; %bb.2122:
	v_add_f32_e64 v3, 0x46800000, |v2|
; %bb.2123:
	s_or_b32 exec_lo, exec_lo, s3
                                        ; implicit-def: $vgpr4
.LBB497_2124:
	s_and_not1_saveexec_b32 s1, s1
; %bb.2125:
	v_mov_b32_e32 v3, 0x7f
	v_cmp_lt_u32_e32 vcc_lo, 0x7f800000, v4
	s_delay_alu instid0(VALU_DEP_2)
	v_cndmask_b32_e32 v3, 0x7e, v3, vcc_lo
; %bb.2126:
	s_or_b32 exec_lo, exec_lo, s1
	v_lshrrev_b32_e32 v2, 24, v2
	s_delay_alu instid0(VALU_DEP_1)
	v_and_or_b32 v2, 0x80, v2, v3
	global_store_b8 v[0:1], v2, off
.LBB497_2127:
	s_mov_b32 s1, 0
.LBB497_2128:
	s_delay_alu instid0(SALU_CYCLE_1)
	s_and_not1_b32 vcc_lo, exec_lo, s1
	s_cbranch_vccnz .LBB497_2138
; %bb.2129:
	v_cvt_f32_f64_e32 v2, v[8:9]
	s_mov_b32 s1, exec_lo
                                        ; implicit-def: $vgpr3
	s_delay_alu instid0(VALU_DEP_1) | instskip(NEXT) | instid1(VALU_DEP_1)
	v_and_b32_e32 v4, 0x7fffffff, v2
	v_cmpx_gt_u32_e32 0x47800000, v4
	s_xor_b32 s1, exec_lo, s1
	s_cbranch_execz .LBB497_2135
; %bb.2130:
	s_mov_b32 s3, exec_lo
                                        ; implicit-def: $vgpr3
	v_cmpx_lt_u32_e32 0x387fffff, v4
	s_xor_b32 s3, exec_lo, s3
; %bb.2131:
	v_bfe_u32 v3, v2, 21, 1
	s_delay_alu instid0(VALU_DEP_1) | instskip(NEXT) | instid1(VALU_DEP_1)
	v_add3_u32 v3, v2, v3, 0x80fffff
	v_lshrrev_b32_e32 v3, 21, v3
; %bb.2132:
	s_and_not1_saveexec_b32 s3, s3
; %bb.2133:
	v_add_f32_e64 v3, 0x43000000, |v2|
; %bb.2134:
	s_or_b32 exec_lo, exec_lo, s3
                                        ; implicit-def: $vgpr4
.LBB497_2135:
	s_and_not1_saveexec_b32 s1, s1
; %bb.2136:
	v_mov_b32_e32 v3, 0x7f
	v_cmp_lt_u32_e32 vcc_lo, 0x7f800000, v4
	s_delay_alu instid0(VALU_DEP_2)
	v_cndmask_b32_e32 v3, 0x7c, v3, vcc_lo
; %bb.2137:
	s_or_b32 exec_lo, exec_lo, s1
	v_lshrrev_b32_e32 v2, 24, v2
	s_delay_alu instid0(VALU_DEP_1)
	v_and_or_b32 v2, 0x80, v2, v3
	global_store_b8 v[0:1], v2, off
.LBB497_2138:
	s_mov_b32 s1, 0
	s_mov_b32 s3, -1
.LBB497_2139:
	s_and_not1_b32 vcc_lo, exec_lo, s1
	s_mov_b32 s1, 0
	s_cbranch_vccnz .LBB497_2146
; %bb.2140:
	v_cmp_gt_i16_e64 s1, s2, 14
	s_delay_alu instid0(VALU_DEP_1)
	s_and_b32 vcc_lo, exec_lo, s1
	s_mov_b32 s1, -1
	s_cbranch_vccz .LBB497_2144
; %bb.2141:
	v_cmp_eq_u16_e64 s0, s2, 15
	s_delay_alu instid0(VALU_DEP_1)
	s_and_b32 vcc_lo, exec_lo, s0
	s_mov_b32 s0, -1
	s_cbranch_vccz .LBB497_2143
; %bb.2142:
	v_cvt_f32_f64_e32 v2, v[8:9]
	s_mov_b32 s0, 0
	s_mov_b32 s3, -1
	s_delay_alu instid0(VALU_DEP_1) | instskip(SKIP_1) | instid1(VALU_DEP_2)
	v_bfe_u32 v3, v2, 16, 1
	v_cmp_o_f32_e32 vcc_lo, v2, v2
	v_add3_u32 v3, v2, v3, 0x7fff
	s_delay_alu instid0(VALU_DEP_1) | instskip(NEXT) | instid1(VALU_DEP_1)
	v_lshrrev_b32_e32 v3, 16, v3
	v_cndmask_b32_e32 v2, 0x7fc0, v3, vcc_lo
	global_store_b16 v[0:1], v2, off
.LBB497_2143:
	s_mov_b32 s1, 0
.LBB497_2144:
	s_delay_alu instid0(SALU_CYCLE_1)
	s_and_b32 vcc_lo, exec_lo, s1
	s_mov_b32 s1, 0
	s_cbranch_vccz .LBB497_2146
; %bb.2145:
	v_cmp_ne_u16_e64 s0, s2, 11
	s_mov_b32 s1, -1
.LBB497_2146:
	s_delay_alu instid0(VALU_DEP_1)
	s_and_b32 vcc_lo, exec_lo, s0
	s_cbranch_vccnz .LBB497_2205
; %bb.2147:
	s_and_not1_b32 vcc_lo, exec_lo, s1
	s_cbranch_vccnz .LBB497_2149
.LBB497_2148:
	v_cmp_neq_f64_e32 vcc_lo, 0, v[8:9]
	v_cmp_neq_f64_e64 s0, 0, v[10:11]
	s_mov_b32 s3, -1
	s_delay_alu instid0(VALU_DEP_1) | instskip(NEXT) | instid1(SALU_CYCLE_1)
	s_or_b32 s0, vcc_lo, s0
	v_cndmask_b32_e64 v2, 0, 1, s0
	global_store_b8 v[0:1], v2, off
.LBB497_2149:
	s_mov_b32 s0, 0
.LBB497_2150:
	s_delay_alu instid0(SALU_CYCLE_1)
	s_and_b32 vcc_lo, exec_lo, s0
	s_cbranch_vccz .LBB497_2189
; %bb.2151:
	v_cmp_lt_i16_e64 s0, s2, 5
	s_delay_alu instid0(VALU_DEP_1)
	s_and_b32 vcc_lo, exec_lo, s0
	s_mov_b32 s0, -1
	s_cbranch_vccnz .LBB497_2172
; %bb.2152:
	v_cmp_lt_i16_e64 s0, s2, 8
	s_delay_alu instid0(VALU_DEP_1)
	s_and_b32 vcc_lo, exec_lo, s0
	s_mov_b32 s0, -1
	s_cbranch_vccnz .LBB497_2162
	;; [unrolled: 6-line block ×3, first 2 shown]
; %bb.2154:
	v_cmp_gt_i16_e64 s0, s2, 9
	s_delay_alu instid0(VALU_DEP_1)
	s_and_b32 vcc_lo, exec_lo, s0
	s_mov_b32 s0, -1
	s_cbranch_vccz .LBB497_2156
; %bb.2155:
	s_mov_b32 s0, 0
	global_store_b128 v[0:1], v[8:11], off
.LBB497_2156:
	s_and_not1_b32 vcc_lo, exec_lo, s0
	s_cbranch_vccnz .LBB497_2158
; %bb.2157:
	v_cvt_f32_f64_e32 v2, v[8:9]
	v_cvt_f32_f64_e32 v3, v[10:11]
	global_store_b64 v[0:1], v[2:3], off
.LBB497_2158:
	s_mov_b32 s0, 0
.LBB497_2159:
	s_delay_alu instid0(SALU_CYCLE_1)
	s_and_not1_b32 vcc_lo, exec_lo, s0
	s_cbranch_vccnz .LBB497_2161
; %bb.2160:
	v_cvt_f32_f64_e32 v2, v[10:11]
	v_cvt_f32_f64_e32 v3, v[8:9]
	s_delay_alu instid0(VALU_DEP_2) | instskip(NEXT) | instid1(VALU_DEP_2)
	v_cvt_f16_f32_e32 v2, v2
	v_cvt_f16_f32_e32 v3, v3
	s_delay_alu instid0(VALU_DEP_2) | instskip(NEXT) | instid1(VALU_DEP_2)
	v_lshlrev_b32_e32 v2, 16, v2
	v_and_b32_e32 v3, 0xffff, v3
	s_delay_alu instid0(VALU_DEP_1)
	v_or_b32_e32 v2, v2, v3
	global_store_b32 v[0:1], v2, off
.LBB497_2161:
	s_mov_b32 s0, 0
.LBB497_2162:
	s_delay_alu instid0(SALU_CYCLE_1)
	s_and_not1_b32 vcc_lo, exec_lo, s0
	s_cbranch_vccnz .LBB497_2171
; %bb.2163:
	v_cmp_lt_i16_e64 s0, s2, 6
	s_delay_alu instid0(VALU_DEP_1)
	s_and_b32 vcc_lo, exec_lo, s0
	s_mov_b32 s0, -1
	s_cbranch_vccnz .LBB497_2169
; %bb.2164:
	v_cmp_gt_i16_e64 s0, s2, 6
	s_delay_alu instid0(VALU_DEP_1)
	s_and_b32 vcc_lo, exec_lo, s0
	s_mov_b32 s0, -1
	s_cbranch_vccz .LBB497_2166
; %bb.2165:
	s_mov_b32 s0, 0
	global_store_b64 v[0:1], v[8:9], off
.LBB497_2166:
	s_and_not1_b32 vcc_lo, exec_lo, s0
	s_cbranch_vccnz .LBB497_2168
; %bb.2167:
	v_cvt_f32_f64_e32 v2, v[8:9]
	global_store_b32 v[0:1], v2, off
.LBB497_2168:
	s_mov_b32 s0, 0
.LBB497_2169:
	s_delay_alu instid0(SALU_CYCLE_1)
	s_and_not1_b32 vcc_lo, exec_lo, s0
	s_cbranch_vccnz .LBB497_2171
; %bb.2170:
	v_cvt_f32_f64_e32 v2, v[8:9]
	s_delay_alu instid0(VALU_DEP_1)
	v_cvt_f16_f32_e32 v2, v2
	global_store_b16 v[0:1], v2, off
.LBB497_2171:
	s_mov_b32 s0, 0
.LBB497_2172:
	s_delay_alu instid0(SALU_CYCLE_1)
	s_and_not1_b32 vcc_lo, exec_lo, s0
	s_cbranch_vccnz .LBB497_2188
; %bb.2173:
	v_cmp_lt_i16_e64 s0, s2, 2
	s_delay_alu instid0(VALU_DEP_1)
	s_and_b32 vcc_lo, exec_lo, s0
	s_mov_b32 s0, -1
	s_cbranch_vccnz .LBB497_2183
; %bb.2174:
	v_cmp_lt_i16_e64 s0, s2, 3
	s_delay_alu instid0(VALU_DEP_1)
	s_and_b32 vcc_lo, exec_lo, s0
	s_mov_b32 s0, -1
	s_cbranch_vccnz .LBB497_2180
; %bb.2175:
	v_cmp_gt_i16_e64 s0, s2, 3
	s_delay_alu instid0(VALU_DEP_1)
	s_and_b32 vcc_lo, exec_lo, s0
	s_mov_b32 s0, -1
	s_cbranch_vccz .LBB497_2177
; %bb.2176:
	v_trunc_f64_e32 v[2:3], v[8:9]
	s_mov_b32 s0, 0
	s_delay_alu instid0(VALU_DEP_1) | instskip(NEXT) | instid1(VALU_DEP_1)
	v_ldexp_f64 v[4:5], v[2:3], 0xffffffe0
	v_floor_f64_e32 v[4:5], v[4:5]
	s_delay_alu instid0(VALU_DEP_1) | instskip(SKIP_1) | instid1(VALU_DEP_2)
	v_fma_f64 v[2:3], 0xc1f00000, v[4:5], v[2:3]
	v_cvt_i32_f64_e32 v4, v[4:5]
	v_cvt_u32_f64_e32 v3, v[2:3]
	global_store_b64 v[0:1], v[3:4], off
.LBB497_2177:
	s_and_not1_b32 vcc_lo, exec_lo, s0
	s_cbranch_vccnz .LBB497_2179
; %bb.2178:
	v_cvt_i32_f64_e32 v2, v[8:9]
	global_store_b32 v[0:1], v2, off
.LBB497_2179:
	s_mov_b32 s0, 0
.LBB497_2180:
	s_delay_alu instid0(SALU_CYCLE_1)
	s_and_not1_b32 vcc_lo, exec_lo, s0
	s_cbranch_vccnz .LBB497_2182
; %bb.2181:
	v_cvt_i32_f64_e32 v2, v[8:9]
	global_store_b16 v[0:1], v2, off
.LBB497_2182:
	s_mov_b32 s0, 0
.LBB497_2183:
	s_delay_alu instid0(SALU_CYCLE_1)
	s_and_not1_b32 vcc_lo, exec_lo, s0
	s_cbranch_vccnz .LBB497_2188
; %bb.2184:
	v_cmp_gt_i16_e64 s0, s2, 0
	s_delay_alu instid0(VALU_DEP_1)
	s_and_b32 vcc_lo, exec_lo, s0
	s_mov_b32 s0, -1
	s_cbranch_vccz .LBB497_2186
; %bb.2185:
	v_cvt_i32_f64_e32 v2, v[8:9]
	s_mov_b32 s0, 0
	global_store_b8 v[0:1], v2, off
.LBB497_2186:
	s_and_not1_b32 vcc_lo, exec_lo, s0
	s_cbranch_vccnz .LBB497_2188
; %bb.2187:
	v_trunc_f64_e32 v[2:3], v[8:9]
	s_delay_alu instid0(VALU_DEP_1) | instskip(NEXT) | instid1(VALU_DEP_1)
	v_ldexp_f64 v[4:5], v[2:3], 0xffffffe0
	v_floor_f64_e32 v[4:5], v[4:5]
	s_delay_alu instid0(VALU_DEP_1) | instskip(NEXT) | instid1(VALU_DEP_1)
	v_fma_f64 v[2:3], 0xc1f00000, v[4:5], v[2:3]
	v_cvt_u32_f64_e32 v2, v[2:3]
	global_store_b8 v[0:1], v2, off
.LBB497_2188:
	s_mov_b32 s3, -1
.LBB497_2189:
	s_delay_alu instid0(SALU_CYCLE_1)
	s_and_not1_b32 vcc_lo, exec_lo, s3
	s_cbranch_vccnz .LBB497_2198
; %bb.2190:
	v_cmp_lt_i16_e64 s0, s2, 11
	v_add_co_u32 v0, s3, s4, v18
	s_delay_alu instid0(VALU_DEP_1) | instskip(SKIP_1) | instid1(VALU_DEP_3)
	v_add_co_ci_u32_e64 v1, null, s5, 0, s3
	s_mov_b32 s1, 0
	s_and_b32 vcc_lo, exec_lo, s0
	s_mov_b32 s0, -1
	s_cbranch_vccnz .LBB497_1772
; %bb.2191:
	v_cmp_gt_i16_e64 s0, s2, 25
	s_mov_b32 s3, -1
	s_delay_alu instid0(VALU_DEP_1)
	s_and_b32 vcc_lo, exec_lo, s0
	s_mov_b32 s0, 0
	s_cbranch_vccz .LBB497_2236
; %bb.2192:
	v_cmp_gt_i16_e64 s0, s2, 28
	s_delay_alu instid0(VALU_DEP_1)
	s_and_b32 vcc_lo, exec_lo, s0
	s_cbranch_vccz .LBB497_2199
; %bb.2193:
	v_cmp_gt_i16_e64 s0, s2, 43
	s_delay_alu instid0(VALU_DEP_1)
	s_and_b32 vcc_lo, exec_lo, s0
	s_cbranch_vccz .LBB497_2202
; %bb.2194:
	v_cmp_gt_i16_e64 s0, s2, 45
	s_delay_alu instid0(VALU_DEP_1)
	s_and_b32 vcc_lo, exec_lo, s0
	s_cbranch_vccz .LBB497_2209
; %bb.2195:
	v_cmp_eq_u16_e64 s0, s2, 46
	s_delay_alu instid0(VALU_DEP_1)
	s_and_b32 vcc_lo, exec_lo, s0
	s_mov_b32 s0, -1
	s_cbranch_vccz .LBB497_2197
; %bb.2196:
	v_cvt_f32_f64_e32 v2, v[14:15]
	v_cvt_f32_f64_e32 v3, v[12:13]
	s_mov_b32 s0, 0
	s_delay_alu instid0(VALU_DEP_2) | instskip(NEXT) | instid1(VALU_DEP_2)
	v_bfe_u32 v4, v2, 16, 1
	v_bfe_u32 v5, v3, 16, 1
	v_cmp_o_f32_e32 vcc_lo, v2, v2
	s_delay_alu instid0(VALU_DEP_3) | instskip(NEXT) | instid1(VALU_DEP_3)
	v_add3_u32 v4, v2, v4, 0x7fff
	v_add3_u32 v5, v3, v5, 0x7fff
	s_delay_alu instid0(VALU_DEP_2) | instskip(NEXT) | instid1(VALU_DEP_2)
	v_and_b32_e32 v4, 0xffff0000, v4
	v_lshrrev_b32_e32 v5, 16, v5
	s_delay_alu instid0(VALU_DEP_2) | instskip(SKIP_1) | instid1(VALU_DEP_3)
	v_cndmask_b32_e32 v2, 0x7fc00000, v4, vcc_lo
	v_cmp_o_f32_e32 vcc_lo, v3, v3
	v_cndmask_b32_e32 v3, 0x7fc0, v5, vcc_lo
	s_delay_alu instid0(VALU_DEP_1)
	v_or_b32_e32 v2, v2, v3
	global_store_b32 v[0:1], v2, off
.LBB497_2197:
	s_mov_b32 s3, 0
	s_branch .LBB497_2210
.LBB497_2198:
	s_mov_b32 s0, 0
	s_mov_b32 s1, 0
                                        ; implicit-def: $vgpr0_vgpr1
                                        ; implicit-def: $sgpr2
	s_branch .LBB497_1772
.LBB497_2199:
	s_mov_b32 s0, 0
	s_branch .LBB497_2220
.LBB497_2200:
	s_or_saveexec_b32 s7, s7
                                        ; implicit-def: $sgpr8
	s_delay_alu instid0(SALU_CYCLE_1)
	s_xor_b32 exec_lo, exec_lo, s7
	s_cbranch_execz .LBB497_2100
.LBB497_2201:
	v_add_f32_e64 v3, 0x46000000, |v2|
	s_and_not1_b32 s6, s6, exec_lo
	s_mov_b32 s8, 0
	s_delay_alu instid0(VALU_DEP_1) | instskip(NEXT) | instid1(VALU_DEP_1)
	v_and_b32_e32 v3, 0xff, v3
	v_cmp_ne_u32_e32 vcc_lo, 0, v3
	s_and_b32 s9, vcc_lo, exec_lo
	s_delay_alu instid0(SALU_CYCLE_1)
	s_or_b32 s6, s6, s9
	s_or_b32 exec_lo, exec_lo, s7
	v_mov_b32_e32 v4, s8
	s_and_saveexec_b32 s7, s6
	s_cbranch_execnz .LBB497_2101
	s_branch .LBB497_2102
.LBB497_2202:
	s_mov_b32 s0, 0
	s_branch .LBB497_2216
.LBB497_2203:
	s_trap 2
	s_sendmsg_rtn_b32 s0, sendmsg(MSG_RTN_GET_DOORBELL)
	s_mov_b32 ttmp2, m0
	s_waitcnt lgkmcnt(0)
	s_and_b32 s0, s0, 0x3ff
	s_delay_alu instid0(SALU_CYCLE_1) | instskip(NEXT) | instid1(SALU_CYCLE_1)
	s_bitset1_b32 s0, 10
	s_mov_b32 m0, s0
	s_sendmsg sendmsg(MSG_INTERRUPT)
	s_mov_b32 m0, ttmp2
.LBB497_2204:                           ; =>This Inner Loop Header: Depth=1
	s_sethalt 5
	s_branch .LBB497_2204
.LBB497_2205:
	s_cbranch_execnz .LBB497_2280
; %bb.2206:
	s_or_b32 s16, s16, exec_lo
	s_cbranch_execz .LBB497_2148
	s_branch .LBB497_2149
.LBB497_2207:
	s_or_saveexec_b32 s6, s6
                                        ; implicit-def: $sgpr7
	s_delay_alu instid0(SALU_CYCLE_1)
	s_xor_b32 exec_lo, exec_lo, s6
	s_cbranch_execz .LBB497_2113
.LBB497_2208:
	v_add_f32_e64 v3, 0x42800000, |v2|
	s_and_not1_b32 s3, s3, exec_lo
	s_mov_b32 s7, 0
	s_delay_alu instid0(VALU_DEP_1) | instskip(NEXT) | instid1(VALU_DEP_1)
	v_and_b32_e32 v3, 0xff, v3
	v_cmp_ne_u32_e32 vcc_lo, 0, v3
	s_and_b32 s8, vcc_lo, exec_lo
	s_delay_alu instid0(SALU_CYCLE_1)
	s_or_b32 s3, s3, s8
	s_or_b32 exec_lo, exec_lo, s6
	v_mov_b32_e32 v4, s7
	s_and_saveexec_b32 s6, s3
	s_cbranch_execnz .LBB497_2114
	s_branch .LBB497_2115
.LBB497_2209:
	s_mov_b32 s0, 0
.LBB497_2210:
	s_and_b32 vcc_lo, exec_lo, s3
	s_cbranch_vccz .LBB497_2215
; %bb.2211:
	v_cmp_eq_u16_e64 s0, s2, 44
	s_delay_alu instid0(VALU_DEP_1)
	s_and_b32 vcc_lo, exec_lo, s0
	s_mov_b32 s0, -1
	s_cbranch_vccz .LBB497_2215
; %bb.2212:
	v_cvt_f32_f64_e32 v2, v[12:13]
	v_mov_b32_e32 v3, 0xff
	s_mov_b32 s3, exec_lo
	s_delay_alu instid0(VALU_DEP_2) | instskip(NEXT) | instid1(VALU_DEP_1)
	v_bfe_u32 v4, v2, 23, 8
	v_cmpx_ne_u32_e32 0xff, v4
; %bb.2213:
	v_and_b32_e32 v3, 0x400000, v2
	v_and_or_b32 v4, 0x3fffff, v2, v4
	v_lshrrev_b32_e32 v2, 23, v2
	s_delay_alu instid0(VALU_DEP_3) | instskip(NEXT) | instid1(VALU_DEP_3)
	v_cmp_ne_u32_e32 vcc_lo, 0, v3
	v_cmp_ne_u32_e64 s0, 0, v4
	s_delay_alu instid0(VALU_DEP_1) | instskip(NEXT) | instid1(SALU_CYCLE_1)
	s_and_b32 s0, vcc_lo, s0
	v_cndmask_b32_e64 v3, 0, 1, s0
	s_delay_alu instid0(VALU_DEP_1)
	v_add_nc_u32_e32 v3, v2, v3
; %bb.2214:
	s_or_b32 exec_lo, exec_lo, s3
	s_mov_b32 s0, 0
	global_store_b8 v[0:1], v3, off
.LBB497_2215:
	s_mov_b32 s3, 0
.LBB497_2216:
	s_delay_alu instid0(SALU_CYCLE_1)
	s_and_b32 vcc_lo, exec_lo, s3
	s_cbranch_vccz .LBB497_2219
; %bb.2217:
	v_cmp_eq_u16_e64 s0, s2, 29
	s_delay_alu instid0(VALU_DEP_1)
	s_and_b32 vcc_lo, exec_lo, s0
	s_mov_b32 s0, -1
	s_cbranch_vccz .LBB497_2219
; %bb.2218:
	v_trunc_f64_e32 v[2:3], v[12:13]
	s_mov_b32 s0, 0
	s_delay_alu instid0(VALU_DEP_1) | instskip(NEXT) | instid1(VALU_DEP_1)
	v_ldexp_f64 v[4:5], v[2:3], 0xffffffe0
	v_floor_f64_e32 v[4:5], v[4:5]
	s_delay_alu instid0(VALU_DEP_1) | instskip(SKIP_1) | instid1(VALU_DEP_2)
	v_fma_f64 v[2:3], 0xc1f00000, v[4:5], v[2:3]
	v_cvt_u32_f64_e32 v4, v[4:5]
	v_cvt_u32_f64_e32 v3, v[2:3]
	global_store_b64 v[0:1], v[3:4], off
.LBB497_2219:
	s_mov_b32 s3, 0
.LBB497_2220:
	s_delay_alu instid0(SALU_CYCLE_1)
	s_and_b32 vcc_lo, exec_lo, s3
	s_cbranch_vccz .LBB497_2235
; %bb.2221:
	v_cmp_lt_i16_e64 s3, s2, 27
	s_delay_alu instid0(VALU_DEP_1)
	s_and_b32 vcc_lo, exec_lo, s3
	s_mov_b32 s3, -1
	s_cbranch_vccnz .LBB497_2227
; %bb.2222:
	v_cvt_u32_f64_e32 v2, v[12:13]
	v_cmp_gt_i16_e64 s3, s2, 27
	s_delay_alu instid0(VALU_DEP_1)
	s_and_b32 vcc_lo, exec_lo, s3
	s_mov_b32 s3, -1
	s_cbranch_vccz .LBB497_2224
; %bb.2223:
	s_mov_b32 s3, 0
	global_store_b32 v[0:1], v2, off
.LBB497_2224:
	s_and_not1_b32 vcc_lo, exec_lo, s3
	s_cbranch_vccnz .LBB497_2226
; %bb.2225:
	global_store_b16 v[0:1], v2, off
.LBB497_2226:
	s_mov_b32 s3, 0
.LBB497_2227:
	s_delay_alu instid0(SALU_CYCLE_1)
	s_and_not1_b32 vcc_lo, exec_lo, s3
	s_cbranch_vccnz .LBB497_2235
; %bb.2228:
	v_cvt_f32_f64_e32 v2, v[12:13]
	v_mov_b32_e32 v4, 0x80
	s_mov_b32 s3, exec_lo
	s_delay_alu instid0(VALU_DEP_2) | instskip(NEXT) | instid1(VALU_DEP_1)
	v_and_b32_e32 v3, 0x7fffffff, v2
	v_cmpx_gt_u32_e32 0x43800000, v3
	s_cbranch_execz .LBB497_2234
; %bb.2229:
	v_cmp_lt_u32_e32 vcc_lo, 0x3bffffff, v3
	s_mov_b32 s4, 0
                                        ; implicit-def: $vgpr3
	s_and_saveexec_b32 s5, vcc_lo
	s_delay_alu instid0(SALU_CYCLE_1)
	s_xor_b32 s5, exec_lo, s5
	s_cbranch_execz .LBB497_2278
; %bb.2230:
	v_bfe_u32 v3, v2, 20, 1
	s_mov_b32 s4, exec_lo
	s_delay_alu instid0(VALU_DEP_1) | instskip(NEXT) | instid1(VALU_DEP_1)
	v_add3_u32 v3, v2, v3, 0x487ffff
	v_lshrrev_b32_e32 v3, 20, v3
	s_or_saveexec_b32 s5, s5
                                        ; implicit-def: $sgpr6
	s_delay_alu instid0(SALU_CYCLE_1)
	s_xor_b32 exec_lo, exec_lo, s5
	s_cbranch_execnz .LBB497_2279
.LBB497_2231:
	s_or_b32 exec_lo, exec_lo, s5
	v_mov_b32_e32 v4, s6
	s_and_saveexec_b32 s5, s4
.LBB497_2232:
	v_lshrrev_b32_e32 v2, 24, v2
	s_delay_alu instid0(VALU_DEP_1)
	v_and_or_b32 v4, 0x80, v2, v3
.LBB497_2233:
	s_or_b32 exec_lo, exec_lo, s5
.LBB497_2234:
	s_delay_alu instid0(SALU_CYCLE_1)
	s_or_b32 exec_lo, exec_lo, s3
	global_store_b8 v[0:1], v4, off
.LBB497_2235:
	s_mov_b32 s3, 0
.LBB497_2236:
	s_delay_alu instid0(SALU_CYCLE_1)
	s_and_b32 vcc_lo, exec_lo, s3
	s_cbranch_vccz .LBB497_2276
; %bb.2237:
	v_cmp_gt_i16_e64 s1, s2, 22
	s_delay_alu instid0(VALU_DEP_1)
	s_and_b32 vcc_lo, exec_lo, s1
	s_mov_b32 s1, -1
	s_cbranch_vccz .LBB497_2269
; %bb.2238:
	v_cmp_lt_i16_e64 s1, s2, 24
	s_delay_alu instid0(VALU_DEP_1)
	s_and_b32 vcc_lo, exec_lo, s1
	s_mov_b32 s1, -1
	s_cbranch_vccnz .LBB497_2258
; %bb.2239:
	v_cmp_gt_i16_e64 s1, s2, 24
	s_delay_alu instid0(VALU_DEP_1)
	s_and_b32 vcc_lo, exec_lo, s1
	s_mov_b32 s1, -1
	s_cbranch_vccz .LBB497_2247
; %bb.2240:
	v_cvt_f32_f64_e32 v2, v[12:13]
	v_mov_b32_e32 v4, 0x80
	s_mov_b32 s1, exec_lo
	s_delay_alu instid0(VALU_DEP_2) | instskip(NEXT) | instid1(VALU_DEP_1)
	v_and_b32_e32 v3, 0x7fffffff, v2
	v_cmpx_gt_u32_e32 0x47800000, v3
	s_cbranch_execz .LBB497_2246
; %bb.2241:
	v_cmp_lt_u32_e32 vcc_lo, 0x37ffffff, v3
	s_mov_b32 s3, 0
                                        ; implicit-def: $vgpr3
	s_and_saveexec_b32 s4, vcc_lo
	s_delay_alu instid0(SALU_CYCLE_1)
	s_xor_b32 s4, exec_lo, s4
	s_cbranch_execz .LBB497_2284
; %bb.2242:
	v_bfe_u32 v3, v2, 21, 1
	s_mov_b32 s3, exec_lo
	s_delay_alu instid0(VALU_DEP_1) | instskip(NEXT) | instid1(VALU_DEP_1)
	v_add3_u32 v3, v2, v3, 0x88fffff
	v_lshrrev_b32_e32 v3, 21, v3
	s_or_saveexec_b32 s4, s4
                                        ; implicit-def: $sgpr5
	s_delay_alu instid0(SALU_CYCLE_1)
	s_xor_b32 exec_lo, exec_lo, s4
	s_cbranch_execnz .LBB497_2285
.LBB497_2243:
	s_or_b32 exec_lo, exec_lo, s4
	v_mov_b32_e32 v4, s5
	s_and_saveexec_b32 s4, s3
.LBB497_2244:
	v_lshrrev_b32_e32 v2, 24, v2
	s_delay_alu instid0(VALU_DEP_1)
	v_and_or_b32 v4, 0x80, v2, v3
.LBB497_2245:
	s_or_b32 exec_lo, exec_lo, s4
.LBB497_2246:
	s_delay_alu instid0(SALU_CYCLE_1)
	s_or_b32 exec_lo, exec_lo, s1
	s_mov_b32 s1, 0
	global_store_b8 v[0:1], v4, off
.LBB497_2247:
	s_and_b32 vcc_lo, exec_lo, s1
	s_cbranch_vccz .LBB497_2257
; %bb.2248:
	v_cvt_f32_f64_e32 v2, v[12:13]
	s_mov_b32 s1, exec_lo
                                        ; implicit-def: $vgpr3
	s_delay_alu instid0(VALU_DEP_1) | instskip(NEXT) | instid1(VALU_DEP_1)
	v_and_b32_e32 v4, 0x7fffffff, v2
	v_cmpx_gt_u32_e32 0x43f00000, v4
	s_xor_b32 s1, exec_lo, s1
	s_cbranch_execz .LBB497_2254
; %bb.2249:
	s_mov_b32 s3, exec_lo
                                        ; implicit-def: $vgpr3
	v_cmpx_lt_u32_e32 0x3c7fffff, v4
	s_xor_b32 s3, exec_lo, s3
; %bb.2250:
	v_bfe_u32 v3, v2, 20, 1
	s_delay_alu instid0(VALU_DEP_1) | instskip(NEXT) | instid1(VALU_DEP_1)
	v_add3_u32 v3, v2, v3, 0x407ffff
	v_and_b32_e32 v4, 0xff00000, v3
	v_lshrrev_b32_e32 v3, 20, v3
	s_delay_alu instid0(VALU_DEP_2) | instskip(NEXT) | instid1(VALU_DEP_2)
	v_cmp_ne_u32_e32 vcc_lo, 0x7f00000, v4
	v_cndmask_b32_e32 v3, 0x7e, v3, vcc_lo
; %bb.2251:
	s_and_not1_saveexec_b32 s3, s3
; %bb.2252:
	v_add_f32_e64 v3, 0x46800000, |v2|
; %bb.2253:
	s_or_b32 exec_lo, exec_lo, s3
                                        ; implicit-def: $vgpr4
.LBB497_2254:
	s_and_not1_saveexec_b32 s1, s1
; %bb.2255:
	v_mov_b32_e32 v3, 0x7f
	v_cmp_lt_u32_e32 vcc_lo, 0x7f800000, v4
	s_delay_alu instid0(VALU_DEP_2)
	v_cndmask_b32_e32 v3, 0x7e, v3, vcc_lo
; %bb.2256:
	s_or_b32 exec_lo, exec_lo, s1
	v_lshrrev_b32_e32 v2, 24, v2
	s_delay_alu instid0(VALU_DEP_1)
	v_and_or_b32 v2, 0x80, v2, v3
	global_store_b8 v[0:1], v2, off
.LBB497_2257:
	s_mov_b32 s1, 0
.LBB497_2258:
	s_delay_alu instid0(SALU_CYCLE_1)
	s_and_not1_b32 vcc_lo, exec_lo, s1
	s_cbranch_vccnz .LBB497_2268
; %bb.2259:
	v_cvt_f32_f64_e32 v2, v[12:13]
	s_mov_b32 s1, exec_lo
                                        ; implicit-def: $vgpr3
	s_delay_alu instid0(VALU_DEP_1) | instskip(NEXT) | instid1(VALU_DEP_1)
	v_and_b32_e32 v4, 0x7fffffff, v2
	v_cmpx_gt_u32_e32 0x47800000, v4
	s_xor_b32 s1, exec_lo, s1
	s_cbranch_execz .LBB497_2265
; %bb.2260:
	s_mov_b32 s3, exec_lo
                                        ; implicit-def: $vgpr3
	v_cmpx_lt_u32_e32 0x387fffff, v4
	s_xor_b32 s3, exec_lo, s3
; %bb.2261:
	v_bfe_u32 v3, v2, 21, 1
	s_delay_alu instid0(VALU_DEP_1) | instskip(NEXT) | instid1(VALU_DEP_1)
	v_add3_u32 v3, v2, v3, 0x80fffff
	v_lshrrev_b32_e32 v3, 21, v3
; %bb.2262:
	s_and_not1_saveexec_b32 s3, s3
; %bb.2263:
	v_add_f32_e64 v3, 0x43000000, |v2|
; %bb.2264:
	s_or_b32 exec_lo, exec_lo, s3
                                        ; implicit-def: $vgpr4
.LBB497_2265:
	s_and_not1_saveexec_b32 s1, s1
; %bb.2266:
	v_mov_b32_e32 v3, 0x7f
	v_cmp_lt_u32_e32 vcc_lo, 0x7f800000, v4
	s_delay_alu instid0(VALU_DEP_2)
	v_cndmask_b32_e32 v3, 0x7c, v3, vcc_lo
; %bb.2267:
	s_or_b32 exec_lo, exec_lo, s1
	v_lshrrev_b32_e32 v2, 24, v2
	s_delay_alu instid0(VALU_DEP_1)
	v_and_or_b32 v2, 0x80, v2, v3
	global_store_b8 v[0:1], v2, off
.LBB497_2268:
	s_mov_b32 s1, 0
.LBB497_2269:
	s_delay_alu instid0(SALU_CYCLE_1)
	s_and_not1_b32 vcc_lo, exec_lo, s1
	s_mov_b32 s1, 0
	s_cbranch_vccnz .LBB497_2276
; %bb.2270:
	v_cmp_gt_i16_e64 s1, s2, 14
	s_delay_alu instid0(VALU_DEP_1)
	s_and_b32 vcc_lo, exec_lo, s1
	s_mov_b32 s1, -1
	s_cbranch_vccz .LBB497_2274
; %bb.2271:
	v_cmp_eq_u16_e64 s0, s2, 15
	s_delay_alu instid0(VALU_DEP_1)
	s_and_b32 vcc_lo, exec_lo, s0
	s_mov_b32 s0, -1
	s_cbranch_vccz .LBB497_2273
; %bb.2272:
	v_cvt_f32_f64_e32 v2, v[12:13]
	s_mov_b32 s0, 0
	s_delay_alu instid0(VALU_DEP_1) | instskip(SKIP_1) | instid1(VALU_DEP_2)
	v_bfe_u32 v3, v2, 16, 1
	v_cmp_o_f32_e32 vcc_lo, v2, v2
	v_add3_u32 v3, v2, v3, 0x7fff
	s_delay_alu instid0(VALU_DEP_1) | instskip(NEXT) | instid1(VALU_DEP_1)
	v_lshrrev_b32_e32 v3, 16, v3
	v_cndmask_b32_e32 v2, 0x7fc0, v3, vcc_lo
	global_store_b16 v[0:1], v2, off
.LBB497_2273:
	s_mov_b32 s1, 0
.LBB497_2274:
	s_delay_alu instid0(SALU_CYCLE_1)
	s_and_b32 vcc_lo, exec_lo, s1
	s_mov_b32 s1, 0
	s_cbranch_vccz .LBB497_2276
; %bb.2275:
	v_cmp_ne_u16_e64 s0, s2, 11
	s_mov_b32 s1, -1
.LBB497_2276:
	s_delay_alu instid0(VALU_DEP_1)
	s_and_b32 vcc_lo, exec_lo, s0
	s_cbranch_vccnz .LBB497_2282
.LBB497_2277:
	s_mov_b32 s0, 0
	s_branch .LBB497_1772
.LBB497_2278:
	s_or_saveexec_b32 s5, s5
                                        ; implicit-def: $sgpr6
	s_delay_alu instid0(SALU_CYCLE_1)
	s_xor_b32 exec_lo, exec_lo, s5
	s_cbranch_execz .LBB497_2231
.LBB497_2279:
	v_add_f32_e64 v3, 0x46000000, |v2|
	s_and_not1_b32 s4, s4, exec_lo
	s_mov_b32 s6, 0
	s_delay_alu instid0(VALU_DEP_1) | instskip(NEXT) | instid1(VALU_DEP_1)
	v_and_b32_e32 v3, 0xff, v3
	v_cmp_ne_u32_e32 vcc_lo, 0, v3
	s_and_b32 s7, vcc_lo, exec_lo
	s_delay_alu instid0(SALU_CYCLE_1)
	s_or_b32 s4, s4, s7
	s_or_b32 exec_lo, exec_lo, s5
	v_mov_b32_e32 v4, s6
	s_and_saveexec_b32 s5, s4
	s_cbranch_execnz .LBB497_2232
	s_branch .LBB497_2233
.LBB497_2280:
	s_trap 2
	s_sendmsg_rtn_b32 s0, sendmsg(MSG_RTN_GET_DOORBELL)
	s_mov_b32 ttmp2, m0
	s_waitcnt lgkmcnt(0)
	s_and_b32 s0, s0, 0x3ff
	s_delay_alu instid0(SALU_CYCLE_1) | instskip(NEXT) | instid1(SALU_CYCLE_1)
	s_bitset1_b32 s0, 10
	s_mov_b32 m0, s0
	s_sendmsg sendmsg(MSG_INTERRUPT)
	s_mov_b32 m0, ttmp2
.LBB497_2281:                           ; =>This Inner Loop Header: Depth=1
	s_sethalt 5
	s_branch .LBB497_2281
.LBB497_2282:
	s_cbranch_execnz .LBB497_2286
; %bb.2283:
	s_mov_b32 s1, 0
	s_or_b32 s16, s16, exec_lo
	s_branch .LBB497_2277
.LBB497_2284:
	s_or_saveexec_b32 s4, s4
                                        ; implicit-def: $sgpr5
	s_delay_alu instid0(SALU_CYCLE_1)
	s_xor_b32 exec_lo, exec_lo, s4
	s_cbranch_execz .LBB497_2243
.LBB497_2285:
	v_add_f32_e64 v3, 0x42800000, |v2|
	s_and_not1_b32 s3, s3, exec_lo
	s_mov_b32 s5, 0
	s_delay_alu instid0(VALU_DEP_1) | instskip(NEXT) | instid1(VALU_DEP_1)
	v_and_b32_e32 v3, 0xff, v3
	v_cmp_ne_u32_e32 vcc_lo, 0, v3
	s_and_b32 s6, vcc_lo, exec_lo
	s_delay_alu instid0(SALU_CYCLE_1)
	s_or_b32 s3, s3, s6
	s_or_b32 exec_lo, exec_lo, s4
	v_mov_b32_e32 v4, s5
	s_and_saveexec_b32 s4, s3
	s_cbranch_execnz .LBB497_2244
	s_branch .LBB497_2245
.LBB497_2286:
	s_trap 2
	s_sendmsg_rtn_b32 s0, sendmsg(MSG_RTN_GET_DOORBELL)
	s_mov_b32 ttmp2, m0
	s_waitcnt lgkmcnt(0)
	s_and_b32 s0, s0, 0x3ff
	s_delay_alu instid0(SALU_CYCLE_1) | instskip(NEXT) | instid1(SALU_CYCLE_1)
	s_bitset1_b32 s0, 10
	s_mov_b32 m0, s0
	s_sendmsg sendmsg(MSG_INTERRUPT)
	s_mov_b32 m0, ttmp2
.LBB497_2287:                           ; =>This Inner Loop Header: Depth=1
	s_sethalt 5
	s_branch .LBB497_2287
	.section	.rodata,"a",@progbits
	.p2align	6, 0x0
	.amdhsa_kernel _ZN2at6native32elementwise_kernel_manual_unrollILi128ELi4EZNS0_15gpu_kernel_implIZZZNS0_22nan_to_num_kernel_cudaERNS_18TensorIteratorBaseESt8optionalIdES6_S6_ENKUlvE_clEvENKUlvE_clEvEUlN3c107complexIdEEE_EEvS4_RKT_EUlibE0_EEviT1_
		.amdhsa_group_segment_fixed_size 0
		.amdhsa_private_segment_fixed_size 0
		.amdhsa_kernarg_size 384
		.amdhsa_user_sgpr_count 15
		.amdhsa_user_sgpr_dispatch_ptr 0
		.amdhsa_user_sgpr_queue_ptr 0
		.amdhsa_user_sgpr_kernarg_segment_ptr 1
		.amdhsa_user_sgpr_dispatch_id 0
		.amdhsa_user_sgpr_private_segment_size 0
		.amdhsa_wavefront_size32 1
		.amdhsa_uses_dynamic_stack 0
		.amdhsa_enable_private_segment 0
		.amdhsa_system_sgpr_workgroup_id_x 1
		.amdhsa_system_sgpr_workgroup_id_y 0
		.amdhsa_system_sgpr_workgroup_id_z 0
		.amdhsa_system_sgpr_workgroup_info 0
		.amdhsa_system_vgpr_workitem_id 0
		.amdhsa_next_free_vgpr 25
		.amdhsa_next_free_sgpr 72
		.amdhsa_reserve_vcc 1
		.amdhsa_float_round_mode_32 0
		.amdhsa_float_round_mode_16_64 0
		.amdhsa_float_denorm_mode_32 3
		.amdhsa_float_denorm_mode_16_64 3
		.amdhsa_dx10_clamp 1
		.amdhsa_ieee_mode 1
		.amdhsa_fp16_overflow 0
		.amdhsa_workgroup_processor_mode 1
		.amdhsa_memory_ordered 1
		.amdhsa_forward_progress 0
		.amdhsa_shared_vgpr_count 0
		.amdhsa_exception_fp_ieee_invalid_op 0
		.amdhsa_exception_fp_denorm_src 0
		.amdhsa_exception_fp_ieee_div_zero 0
		.amdhsa_exception_fp_ieee_overflow 0
		.amdhsa_exception_fp_ieee_underflow 0
		.amdhsa_exception_fp_ieee_inexact 0
		.amdhsa_exception_int_div_zero 0
	.end_amdhsa_kernel
	.section	.text._ZN2at6native32elementwise_kernel_manual_unrollILi128ELi4EZNS0_15gpu_kernel_implIZZZNS0_22nan_to_num_kernel_cudaERNS_18TensorIteratorBaseESt8optionalIdES6_S6_ENKUlvE_clEvENKUlvE_clEvEUlN3c107complexIdEEE_EEvS4_RKT_EUlibE0_EEviT1_,"axG",@progbits,_ZN2at6native32elementwise_kernel_manual_unrollILi128ELi4EZNS0_15gpu_kernel_implIZZZNS0_22nan_to_num_kernel_cudaERNS_18TensorIteratorBaseESt8optionalIdES6_S6_ENKUlvE_clEvENKUlvE_clEvEUlN3c107complexIdEEE_EEvS4_RKT_EUlibE0_EEviT1_,comdat
.Lfunc_end497:
	.size	_ZN2at6native32elementwise_kernel_manual_unrollILi128ELi4EZNS0_15gpu_kernel_implIZZZNS0_22nan_to_num_kernel_cudaERNS_18TensorIteratorBaseESt8optionalIdES6_S6_ENKUlvE_clEvENKUlvE_clEvEUlN3c107complexIdEEE_EEvS4_RKT_EUlibE0_EEviT1_, .Lfunc_end497-_ZN2at6native32elementwise_kernel_manual_unrollILi128ELi4EZNS0_15gpu_kernel_implIZZZNS0_22nan_to_num_kernel_cudaERNS_18TensorIteratorBaseESt8optionalIdES6_S6_ENKUlvE_clEvENKUlvE_clEvEUlN3c107complexIdEEE_EEvS4_RKT_EUlibE0_EEviT1_
                                        ; -- End function
	.section	.AMDGPU.csdata,"",@progbits
; Kernel info:
; codeLenInByte = 46264
; NumSgprs: 74
; NumVgprs: 25
; ScratchSize: 0
; MemoryBound: 1
; FloatMode: 240
; IeeeMode: 1
; LDSByteSize: 0 bytes/workgroup (compile time only)
; SGPRBlocks: 9
; VGPRBlocks: 3
; NumSGPRsForWavesPerEU: 74
; NumVGPRsForWavesPerEU: 25
; Occupancy: 16
; WaveLimiterHint : 1
; COMPUTE_PGM_RSRC2:SCRATCH_EN: 0
; COMPUTE_PGM_RSRC2:USER_SGPR: 15
; COMPUTE_PGM_RSRC2:TRAP_HANDLER: 0
; COMPUTE_PGM_RSRC2:TGID_X_EN: 1
; COMPUTE_PGM_RSRC2:TGID_Y_EN: 0
; COMPUTE_PGM_RSRC2:TGID_Z_EN: 0
; COMPUTE_PGM_RSRC2:TIDIG_COMP_CNT: 0
	.section	.text._ZN2at6native29vectorized_elementwise_kernelILi16EZZZNS0_22nan_to_num_kernel_cudaERNS_18TensorIteratorBaseESt8optionalIdES5_S5_ENKUlvE_clEvENKUlvE0_clEvEUlN3c107complexIfEEE_St5arrayIPcLm2EEEEviT0_T1_,"axG",@progbits,_ZN2at6native29vectorized_elementwise_kernelILi16EZZZNS0_22nan_to_num_kernel_cudaERNS_18TensorIteratorBaseESt8optionalIdES5_S5_ENKUlvE_clEvENKUlvE0_clEvEUlN3c107complexIfEEE_St5arrayIPcLm2EEEEviT0_T1_,comdat
	.globl	_ZN2at6native29vectorized_elementwise_kernelILi16EZZZNS0_22nan_to_num_kernel_cudaERNS_18TensorIteratorBaseESt8optionalIdES5_S5_ENKUlvE_clEvENKUlvE0_clEvEUlN3c107complexIfEEE_St5arrayIPcLm2EEEEviT0_T1_ ; -- Begin function _ZN2at6native29vectorized_elementwise_kernelILi16EZZZNS0_22nan_to_num_kernel_cudaERNS_18TensorIteratorBaseESt8optionalIdES5_S5_ENKUlvE_clEvENKUlvE0_clEvEUlN3c107complexIfEEE_St5arrayIPcLm2EEEEviT0_T1_
	.p2align	8
	.type	_ZN2at6native29vectorized_elementwise_kernelILi16EZZZNS0_22nan_to_num_kernel_cudaERNS_18TensorIteratorBaseESt8optionalIdES5_S5_ENKUlvE_clEvENKUlvE0_clEvEUlN3c107complexIfEEE_St5arrayIPcLm2EEEEviT0_T1_,@function
_ZN2at6native29vectorized_elementwise_kernelILi16EZZZNS0_22nan_to_num_kernel_cudaERNS_18TensorIteratorBaseESt8optionalIdES5_S5_ENKUlvE_clEvENKUlvE0_clEvEUlN3c107complexIfEEE_St5arrayIPcLm2EEEEviT0_T1_: ; @_ZN2at6native29vectorized_elementwise_kernelILi16EZZZNS0_22nan_to_num_kernel_cudaERNS_18TensorIteratorBaseESt8optionalIdES5_S5_ENKUlvE_clEvENKUlvE0_clEvEUlN3c107complexIfEEE_St5arrayIPcLm2EEEEviT0_T1_
; %bb.0:
	s_load_b256 s[0:7], s[0:1], 0x0
	s_lshl_b32 s8, s15, 10
	s_waitcnt lgkmcnt(0)
	s_sub_i32 s12, s0, s8
	s_mov_b32 s0, -1
	s_cmpk_gt_i32 s12, 0x3ff
	s_cbranch_scc0 .LBB498_34
; %bb.1:
	s_ashr_i32 s9, s8, 31
	v_lshlrev_b32_e32 v13, 5, v0
	s_lshl_b64 s[10:11], s[8:9], 3
	v_mov_b32_e32 v1, s1
	s_add_u32 s14, s6, s10
	s_addc_u32 s15, s7, s11
	s_mov_b32 s0, exec_lo
	s_clause 0x1
	global_load_b128 v[9:12], v13, s[14:15]
	global_load_b128 v[5:8], v13, s[14:15] offset:16
	s_waitcnt vmcnt(1)
	v_cmpx_o_f32_e32 v9, v9
	s_cbranch_execz .LBB498_5
; %bb.2:
	v_mov_b32_e32 v1, s2
	s_mov_b32 s9, exec_lo
	v_cmpx_neq_f32_e32 0x7f800000, v9
; %bb.3:
	v_cmp_eq_f32_e32 vcc_lo, 0xff800000, v9
	v_cndmask_b32_e64 v1, v9, s3, vcc_lo
; %bb.4:
	s_or_b32 exec_lo, exec_lo, s9
.LBB498_5:
	s_delay_alu instid0(SALU_CYCLE_1)
	s_or_b32 exec_lo, exec_lo, s0
	v_mov_b32_e32 v2, s1
	s_mov_b32 s0, exec_lo
	v_cmpx_o_f32_e32 v10, v10
	s_cbranch_execz .LBB498_9
; %bb.6:
	v_mov_b32_e32 v2, s2
	s_mov_b32 s9, exec_lo
	v_cmpx_neq_f32_e32 0x7f800000, v10
; %bb.7:
	v_cmp_eq_f32_e32 vcc_lo, 0xff800000, v10
	v_cndmask_b32_e64 v2, v10, s3, vcc_lo
; %bb.8:
	s_or_b32 exec_lo, exec_lo, s9
.LBB498_9:
	s_delay_alu instid0(SALU_CYCLE_1)
	s_or_b32 exec_lo, exec_lo, s0
	v_mov_b32_e32 v3, s1
	s_mov_b32 s0, exec_lo
	;; [unrolled: 16-line block ×4, first 2 shown]
	s_waitcnt vmcnt(0)
	v_cmpx_o_f32_e32 v5, v5
	s_cbranch_execz .LBB498_21
; %bb.18:
	v_mov_b32_e32 v9, s2
	s_mov_b32 s9, exec_lo
	v_cmpx_neq_f32_e32 0x7f800000, v5
; %bb.19:
	v_cmp_eq_f32_e32 vcc_lo, 0xff800000, v5
	v_cndmask_b32_e64 v9, v5, s3, vcc_lo
; %bb.20:
	s_or_b32 exec_lo, exec_lo, s9
.LBB498_21:
	s_delay_alu instid0(SALU_CYCLE_1)
	s_or_b32 exec_lo, exec_lo, s0
	v_mov_b32_e32 v10, s1
	s_mov_b32 s0, exec_lo
	v_cmpx_o_f32_e32 v6, v6
	s_cbranch_execz .LBB498_25
; %bb.22:
	v_mov_b32_e32 v10, s2
	s_mov_b32 s9, exec_lo
	v_cmpx_neq_f32_e32 0x7f800000, v6
; %bb.23:
	v_cmp_eq_f32_e32 vcc_lo, 0xff800000, v6
	v_cndmask_b32_e64 v10, v6, s3, vcc_lo
; %bb.24:
	s_or_b32 exec_lo, exec_lo, s9
.LBB498_25:
	s_delay_alu instid0(SALU_CYCLE_1)
	s_or_b32 exec_lo, exec_lo, s0
	v_mov_b32_e32 v11, s1
	s_mov_b32 s0, exec_lo
	;; [unrolled: 16-line block ×3, first 2 shown]
	v_cmpx_o_f32_e32 v8, v8
	s_cbranch_execz .LBB498_33
; %bb.30:
	v_mov_b32_e32 v12, s2
	s_mov_b32 s9, exec_lo
	v_cmpx_neq_f32_e32 0x7f800000, v8
; %bb.31:
	v_cmp_eq_f32_e32 vcc_lo, 0xff800000, v8
	v_cndmask_b32_e64 v12, v8, s3, vcc_lo
; %bb.32:
	s_or_b32 exec_lo, exec_lo, s9
.LBB498_33:
	s_delay_alu instid0(SALU_CYCLE_1)
	s_or_b32 exec_lo, exec_lo, s0
	s_add_u32 s10, s4, s10
	s_addc_u32 s11, s5, s11
	s_mov_b32 s0, 0
	s_clause 0x1
	global_store_b128 v13, v[1:4], s[10:11]
	global_store_b128 v13, v[9:12], s[10:11] offset:16
.LBB498_34:
	s_and_b32 vcc_lo, exec_lo, s0
	s_cbranch_vccz .LBB498_79
; %bb.35:
	v_cmp_gt_i32_e32 vcc_lo, s12, v0
	v_dual_mov_b32 v11, 0 :: v_dual_mov_b32 v6, 0
	v_or_b32_e32 v1, s8, v0
	v_or_b32_e32 v12, 0x100, v0
	v_dual_mov_b32 v7, 0 :: v_dual_mov_b32 v4, v0
	s_and_saveexec_b32 s9, vcc_lo
	s_cbranch_execz .LBB498_37
; %bb.36:
	v_mov_b32_e32 v2, 0
	v_or_b32_e32 v4, 0x100, v0
	s_delay_alu instid0(VALU_DEP_2) | instskip(NEXT) | instid1(VALU_DEP_1)
	v_lshlrev_b64 v[2:3], 3, v[1:2]
	v_add_co_u32 v2, s0, s6, v2
	s_delay_alu instid0(VALU_DEP_1)
	v_add_co_ci_u32_e64 v3, s0, s7, v3, s0
	global_load_b64 v[6:7], v[2:3], off
.LBB498_37:
	s_or_b32 exec_lo, exec_lo, s9
	v_mov_b32_e32 v10, 0
	s_mov_b32 s9, exec_lo
	v_cmpx_gt_i32_e64 s12, v4
	s_cbranch_execz .LBB498_39
; %bb.38:
	v_dual_mov_b32 v3, 0 :: v_dual_add_nc_u32 v2, s8, v4
	v_add_nc_u32_e32 v4, 0x100, v4
	s_delay_alu instid0(VALU_DEP_2) | instskip(NEXT) | instid1(VALU_DEP_1)
	v_lshlrev_b64 v[2:3], 3, v[2:3]
	v_add_co_u32 v2, s0, s6, v2
	s_delay_alu instid0(VALU_DEP_1)
	v_add_co_ci_u32_e64 v3, s0, s7, v3, s0
	global_load_b64 v[10:11], v[2:3], off
.LBB498_39:
	s_or_b32 exec_lo, exec_lo, s9
	v_dual_mov_b32 v3, 0 :: v_dual_mov_b32 v8, 0
	v_mov_b32_e32 v9, 0
	s_mov_b32 s9, exec_lo
	v_cmpx_gt_i32_e64 s12, v4
	s_cbranch_execz .LBB498_41
; %bb.40:
	v_dual_mov_b32 v9, 0 :: v_dual_add_nc_u32 v8, s8, v4
	v_add_nc_u32_e32 v4, 0x100, v4
	s_delay_alu instid0(VALU_DEP_2) | instskip(NEXT) | instid1(VALU_DEP_1)
	v_lshlrev_b64 v[8:9], 3, v[8:9]
	v_add_co_u32 v8, s0, s6, v8
	s_delay_alu instid0(VALU_DEP_1)
	v_add_co_ci_u32_e64 v9, s0, s7, v9, s0
	global_load_b64 v[8:9], v[8:9], off
.LBB498_41:
	s_or_b32 exec_lo, exec_lo, s9
	v_mov_b32_e32 v2, 0
	s_mov_b32 s9, exec_lo
	v_cmpx_gt_i32_e64 s12, v4
	s_cbranch_execz .LBB498_43
; %bb.42:
	v_dual_mov_b32 v3, 0 :: v_dual_add_nc_u32 v2, s8, v4
	s_delay_alu instid0(VALU_DEP_1) | instskip(NEXT) | instid1(VALU_DEP_1)
	v_lshlrev_b64 v[2:3], 3, v[2:3]
	v_add_co_u32 v2, s0, s6, v2
	s_delay_alu instid0(VALU_DEP_1)
	v_add_co_ci_u32_e64 v3, s0, s7, v3, s0
	global_load_b64 v[2:3], v[2:3], off
.LBB498_43:
	s_or_b32 exec_lo, exec_lo, s9
	v_dual_mov_b32 v4, 0 :: v_dual_mov_b32 v5, 0
	s_and_saveexec_b32 s6, vcc_lo
	s_cbranch_execz .LBB498_53
; %bb.44:
	v_mov_b32_e32 v4, s1
	s_mov_b32 s7, exec_lo
	s_waitcnt vmcnt(0)
	v_cmpx_o_f32_e32 v6, v6
	s_cbranch_execz .LBB498_48
; %bb.45:
	v_mov_b32_e32 v4, s2
	s_mov_b32 s9, exec_lo
	v_cmpx_neq_f32_e32 0x7f800000, v6
; %bb.46:
	v_cmp_eq_f32_e64 s0, 0xff800000, v6
	s_delay_alu instid0(VALU_DEP_1)
	v_cndmask_b32_e64 v4, v6, s3, s0
; %bb.47:
	s_or_b32 exec_lo, exec_lo, s9
.LBB498_48:
	s_delay_alu instid0(SALU_CYCLE_1)
	s_or_b32 exec_lo, exec_lo, s7
	v_mov_b32_e32 v5, s1
	s_mov_b32 s7, exec_lo
	v_cmpx_o_f32_e32 v7, v7
	s_cbranch_execz .LBB498_52
; %bb.49:
	v_mov_b32_e32 v5, s2
	s_mov_b32 s9, exec_lo
	v_cmpx_neq_f32_e32 0x7f800000, v7
; %bb.50:
	v_cmp_eq_f32_e64 s0, 0xff800000, v7
	s_delay_alu instid0(VALU_DEP_1)
	v_cndmask_b32_e64 v5, v7, s3, s0
; %bb.51:
	s_or_b32 exec_lo, exec_lo, s9
.LBB498_52:
	s_delay_alu instid0(SALU_CYCLE_1)
	s_or_b32 exec_lo, exec_lo, s7
.LBB498_53:
	s_delay_alu instid0(SALU_CYCLE_1)
	s_or_b32 exec_lo, exec_lo, s6
	s_waitcnt vmcnt(0)
	v_dual_mov_b32 v6, 0 :: v_dual_mov_b32 v7, 0
	s_mov_b32 s6, exec_lo
	v_cmpx_gt_i32_e64 s12, v12
	s_cbranch_execz .LBB498_63
; %bb.54:
	v_mov_b32_e32 v6, s1
	s_mov_b32 s7, exec_lo
	v_cmpx_o_f32_e32 v10, v10
	s_cbranch_execz .LBB498_58
; %bb.55:
	v_mov_b32_e32 v6, s2
	s_mov_b32 s9, exec_lo
	v_cmpx_neq_f32_e32 0x7f800000, v10
; %bb.56:
	v_cmp_eq_f32_e64 s0, 0xff800000, v10
	s_delay_alu instid0(VALU_DEP_1)
	v_cndmask_b32_e64 v6, v10, s3, s0
; %bb.57:
	s_or_b32 exec_lo, exec_lo, s9
.LBB498_58:
	s_delay_alu instid0(SALU_CYCLE_1)
	s_or_b32 exec_lo, exec_lo, s7
	v_mov_b32_e32 v7, s1
	s_mov_b32 s7, exec_lo
	v_cmpx_o_f32_e32 v11, v11
	s_cbranch_execz .LBB498_62
; %bb.59:
	v_mov_b32_e32 v7, s2
	s_mov_b32 s9, exec_lo
	v_cmpx_neq_f32_e32 0x7f800000, v11
; %bb.60:
	v_cmp_eq_f32_e64 s0, 0xff800000, v11
	s_delay_alu instid0(VALU_DEP_1)
	v_cndmask_b32_e64 v7, v11, s3, s0
; %bb.61:
	s_or_b32 exec_lo, exec_lo, s9
.LBB498_62:
	s_delay_alu instid0(SALU_CYCLE_1)
	s_or_b32 exec_lo, exec_lo, s7
.LBB498_63:
	s_delay_alu instid0(SALU_CYCLE_1) | instskip(SKIP_2) | instid1(VALU_DEP_2)
	s_or_b32 exec_lo, exec_lo, s6
	v_or_b32_e32 v11, 0x200, v0
	v_mov_b32_e32 v10, 0
	v_cmp_gt_i32_e64 s0, s12, v11
	v_mov_b32_e32 v11, 0
	s_delay_alu instid0(VALU_DEP_2)
	s_and_saveexec_b32 s6, s0
	s_cbranch_execz .LBB498_73
; %bb.64:
	v_mov_b32_e32 v10, s1
	s_mov_b32 s7, exec_lo
	v_cmpx_o_f32_e32 v8, v8
	s_cbranch_execz .LBB498_68
; %bb.65:
	v_mov_b32_e32 v10, s2
	s_mov_b32 s9, exec_lo
	v_cmpx_neq_f32_e32 0x7f800000, v8
; %bb.66:
	v_cmp_eq_f32_e64 s0, 0xff800000, v8
	s_delay_alu instid0(VALU_DEP_1)
	v_cndmask_b32_e64 v10, v8, s3, s0
; %bb.67:
	s_or_b32 exec_lo, exec_lo, s9
.LBB498_68:
	s_delay_alu instid0(SALU_CYCLE_1)
	s_or_b32 exec_lo, exec_lo, s7
	v_mov_b32_e32 v11, s1
	s_mov_b32 s7, exec_lo
	v_cmpx_o_f32_e32 v9, v9
	s_cbranch_execz .LBB498_72
; %bb.69:
	v_mov_b32_e32 v11, s2
	s_mov_b32 s9, exec_lo
	v_cmpx_neq_f32_e32 0x7f800000, v9
; %bb.70:
	v_cmp_eq_f32_e64 s0, 0xff800000, v9
	s_delay_alu instid0(VALU_DEP_1)
	v_cndmask_b32_e64 v11, v9, s3, s0
; %bb.71:
	s_or_b32 exec_lo, exec_lo, s9
.LBB498_72:
	s_delay_alu instid0(SALU_CYCLE_1)
	s_or_b32 exec_lo, exec_lo, s7
.LBB498_73:
	s_delay_alu instid0(SALU_CYCLE_1) | instskip(SKIP_2) | instid1(VALU_DEP_2)
	s_or_b32 exec_lo, exec_lo, s6
	v_or_b32_e32 v9, 0x300, v0
	v_mov_b32_e32 v8, 0
	v_cmp_gt_i32_e64 s0, s12, v9
	v_mov_b32_e32 v9, 0
	s_delay_alu instid0(VALU_DEP_2)
	s_and_saveexec_b32 s6, s0
	s_cbranch_execnz .LBB498_80
; %bb.74:
	s_or_b32 exec_lo, exec_lo, s6
	s_and_saveexec_b32 s0, vcc_lo
	s_delay_alu instid0(SALU_CYCLE_1)
	s_xor_b32 s0, exec_lo, s0
	s_cbranch_execnz .LBB498_89
.LBB498_75:
	s_or_b32 exec_lo, exec_lo, s0
	s_delay_alu instid0(SALU_CYCLE_1)
	s_mov_b32 s0, exec_lo
	v_cmpx_gt_i32_e64 s12, v0
	s_cbranch_execnz .LBB498_90
.LBB498_76:
	s_or_b32 exec_lo, exec_lo, s0
	s_delay_alu instid0(SALU_CYCLE_1)
	s_mov_b32 s0, exec_lo
	v_cmpx_gt_i32_e64 s12, v0
	s_cbranch_execnz .LBB498_91
.LBB498_77:
	s_or_b32 exec_lo, exec_lo, s0
	s_delay_alu instid0(SALU_CYCLE_1)
	s_mov_b32 s0, exec_lo
	v_cmpx_gt_i32_e64 s12, v0
	s_cbranch_execz .LBB498_79
.LBB498_78:
	v_dual_mov_b32 v1, 0 :: v_dual_add_nc_u32 v0, s8, v0
	s_delay_alu instid0(VALU_DEP_1) | instskip(NEXT) | instid1(VALU_DEP_1)
	v_lshlrev_b64 v[0:1], 3, v[0:1]
	v_add_co_u32 v0, vcc_lo, s4, v0
	s_delay_alu instid0(VALU_DEP_2)
	v_add_co_ci_u32_e32 v1, vcc_lo, s5, v1, vcc_lo
	global_store_b64 v[0:1], v[8:9], off
.LBB498_79:
	s_nop 0
	s_sendmsg sendmsg(MSG_DEALLOC_VGPRS)
	s_endpgm
.LBB498_80:
	v_mov_b32_e32 v8, s1
	s_mov_b32 s7, exec_lo
	v_cmpx_o_f32_e32 v2, v2
	s_cbranch_execz .LBB498_84
; %bb.81:
	v_mov_b32_e32 v8, s2
	s_mov_b32 s9, exec_lo
	v_cmpx_neq_f32_e32 0x7f800000, v2
; %bb.82:
	v_cmp_eq_f32_e64 s0, 0xff800000, v2
	s_delay_alu instid0(VALU_DEP_1)
	v_cndmask_b32_e64 v8, v2, s3, s0
; %bb.83:
	s_or_b32 exec_lo, exec_lo, s9
.LBB498_84:
	s_delay_alu instid0(SALU_CYCLE_1)
	s_or_b32 exec_lo, exec_lo, s7
	v_mov_b32_e32 v9, s1
	s_mov_b32 s1, exec_lo
	v_cmpx_o_f32_e32 v3, v3
	s_cbranch_execz .LBB498_88
; %bb.85:
	v_mov_b32_e32 v9, s2
	s_mov_b32 s2, exec_lo
	v_cmpx_neq_f32_e32 0x7f800000, v3
; %bb.86:
	v_cmp_eq_f32_e64 s0, 0xff800000, v3
	s_delay_alu instid0(VALU_DEP_1)
	v_cndmask_b32_e64 v9, v3, s3, s0
; %bb.87:
	s_or_b32 exec_lo, exec_lo, s2
.LBB498_88:
	s_delay_alu instid0(SALU_CYCLE_1) | instskip(NEXT) | instid1(SALU_CYCLE_1)
	s_or_b32 exec_lo, exec_lo, s1
	s_or_b32 exec_lo, exec_lo, s6
	s_and_saveexec_b32 s0, vcc_lo
	s_delay_alu instid0(SALU_CYCLE_1)
	s_xor_b32 s0, exec_lo, s0
	s_cbranch_execz .LBB498_75
.LBB498_89:
	v_mov_b32_e32 v2, 0
	s_delay_alu instid0(VALU_DEP_1) | instskip(NEXT) | instid1(VALU_DEP_1)
	v_lshlrev_b64 v[0:1], 3, v[1:2]
	v_add_co_u32 v2, vcc_lo, s4, v0
	s_delay_alu instid0(VALU_DEP_2) | instskip(SKIP_3) | instid1(SALU_CYCLE_1)
	v_add_co_ci_u32_e32 v3, vcc_lo, s5, v1, vcc_lo
	v_mov_b32_e32 v0, v12
	global_store_b64 v[2:3], v[4:5], off
	s_or_b32 exec_lo, exec_lo, s0
	s_mov_b32 s0, exec_lo
	v_cmpx_gt_i32_e64 s12, v0
	s_cbranch_execz .LBB498_76
.LBB498_90:
	v_dual_mov_b32 v2, 0 :: v_dual_add_nc_u32 v1, s8, v0
	v_add_nc_u32_e32 v0, 0x100, v0
	s_delay_alu instid0(VALU_DEP_2) | instskip(NEXT) | instid1(VALU_DEP_1)
	v_lshlrev_b64 v[1:2], 3, v[1:2]
	v_add_co_u32 v1, vcc_lo, s4, v1
	s_delay_alu instid0(VALU_DEP_2) | instskip(SKIP_2) | instid1(SALU_CYCLE_1)
	v_add_co_ci_u32_e32 v2, vcc_lo, s5, v2, vcc_lo
	global_store_b64 v[1:2], v[6:7], off
	s_or_b32 exec_lo, exec_lo, s0
	s_mov_b32 s0, exec_lo
	v_cmpx_gt_i32_e64 s12, v0
	s_cbranch_execz .LBB498_77
.LBB498_91:
	v_dual_mov_b32 v2, 0 :: v_dual_add_nc_u32 v1, s8, v0
	v_add_nc_u32_e32 v0, 0x100, v0
	s_delay_alu instid0(VALU_DEP_2) | instskip(NEXT) | instid1(VALU_DEP_1)
	v_lshlrev_b64 v[1:2], 3, v[1:2]
	v_add_co_u32 v1, vcc_lo, s4, v1
	s_delay_alu instid0(VALU_DEP_2) | instskip(SKIP_2) | instid1(SALU_CYCLE_1)
	v_add_co_ci_u32_e32 v2, vcc_lo, s5, v2, vcc_lo
	global_store_b64 v[1:2], v[10:11], off
	s_or_b32 exec_lo, exec_lo, s0
	s_mov_b32 s0, exec_lo
	v_cmpx_gt_i32_e64 s12, v0
	s_cbranch_execnz .LBB498_78
	s_branch .LBB498_79
	.section	.rodata,"a",@progbits
	.p2align	6, 0x0
	.amdhsa_kernel _ZN2at6native29vectorized_elementwise_kernelILi16EZZZNS0_22nan_to_num_kernel_cudaERNS_18TensorIteratorBaseESt8optionalIdES5_S5_ENKUlvE_clEvENKUlvE0_clEvEUlN3c107complexIfEEE_St5arrayIPcLm2EEEEviT0_T1_
		.amdhsa_group_segment_fixed_size 0
		.amdhsa_private_segment_fixed_size 0
		.amdhsa_kernarg_size 32
		.amdhsa_user_sgpr_count 15
		.amdhsa_user_sgpr_dispatch_ptr 0
		.amdhsa_user_sgpr_queue_ptr 0
		.amdhsa_user_sgpr_kernarg_segment_ptr 1
		.amdhsa_user_sgpr_dispatch_id 0
		.amdhsa_user_sgpr_private_segment_size 0
		.amdhsa_wavefront_size32 1
		.amdhsa_uses_dynamic_stack 0
		.amdhsa_enable_private_segment 0
		.amdhsa_system_sgpr_workgroup_id_x 1
		.amdhsa_system_sgpr_workgroup_id_y 0
		.amdhsa_system_sgpr_workgroup_id_z 0
		.amdhsa_system_sgpr_workgroup_info 0
		.amdhsa_system_vgpr_workitem_id 0
		.amdhsa_next_free_vgpr 14
		.amdhsa_next_free_sgpr 16
		.amdhsa_reserve_vcc 1
		.amdhsa_float_round_mode_32 0
		.amdhsa_float_round_mode_16_64 0
		.amdhsa_float_denorm_mode_32 3
		.amdhsa_float_denorm_mode_16_64 3
		.amdhsa_dx10_clamp 1
		.amdhsa_ieee_mode 1
		.amdhsa_fp16_overflow 0
		.amdhsa_workgroup_processor_mode 1
		.amdhsa_memory_ordered 1
		.amdhsa_forward_progress 0
		.amdhsa_shared_vgpr_count 0
		.amdhsa_exception_fp_ieee_invalid_op 0
		.amdhsa_exception_fp_denorm_src 0
		.amdhsa_exception_fp_ieee_div_zero 0
		.amdhsa_exception_fp_ieee_overflow 0
		.amdhsa_exception_fp_ieee_underflow 0
		.amdhsa_exception_fp_ieee_inexact 0
		.amdhsa_exception_int_div_zero 0
	.end_amdhsa_kernel
	.section	.text._ZN2at6native29vectorized_elementwise_kernelILi16EZZZNS0_22nan_to_num_kernel_cudaERNS_18TensorIteratorBaseESt8optionalIdES5_S5_ENKUlvE_clEvENKUlvE0_clEvEUlN3c107complexIfEEE_St5arrayIPcLm2EEEEviT0_T1_,"axG",@progbits,_ZN2at6native29vectorized_elementwise_kernelILi16EZZZNS0_22nan_to_num_kernel_cudaERNS_18TensorIteratorBaseESt8optionalIdES5_S5_ENKUlvE_clEvENKUlvE0_clEvEUlN3c107complexIfEEE_St5arrayIPcLm2EEEEviT0_T1_,comdat
.Lfunc_end498:
	.size	_ZN2at6native29vectorized_elementwise_kernelILi16EZZZNS0_22nan_to_num_kernel_cudaERNS_18TensorIteratorBaseESt8optionalIdES5_S5_ENKUlvE_clEvENKUlvE0_clEvEUlN3c107complexIfEEE_St5arrayIPcLm2EEEEviT0_T1_, .Lfunc_end498-_ZN2at6native29vectorized_elementwise_kernelILi16EZZZNS0_22nan_to_num_kernel_cudaERNS_18TensorIteratorBaseESt8optionalIdES5_S5_ENKUlvE_clEvENKUlvE0_clEvEUlN3c107complexIfEEE_St5arrayIPcLm2EEEEviT0_T1_
                                        ; -- End function
	.section	.AMDGPU.csdata,"",@progbits
; Kernel info:
; codeLenInByte = 2004
; NumSgprs: 18
; NumVgprs: 14
; ScratchSize: 0
; MemoryBound: 1
; FloatMode: 240
; IeeeMode: 1
; LDSByteSize: 0 bytes/workgroup (compile time only)
; SGPRBlocks: 2
; VGPRBlocks: 1
; NumSGPRsForWavesPerEU: 18
; NumVGPRsForWavesPerEU: 14
; Occupancy: 16
; WaveLimiterHint : 0
; COMPUTE_PGM_RSRC2:SCRATCH_EN: 0
; COMPUTE_PGM_RSRC2:USER_SGPR: 15
; COMPUTE_PGM_RSRC2:TRAP_HANDLER: 0
; COMPUTE_PGM_RSRC2:TGID_X_EN: 1
; COMPUTE_PGM_RSRC2:TGID_Y_EN: 0
; COMPUTE_PGM_RSRC2:TGID_Z_EN: 0
; COMPUTE_PGM_RSRC2:TIDIG_COMP_CNT: 0
	.section	.text._ZN2at6native29vectorized_elementwise_kernelILi8EZZZNS0_22nan_to_num_kernel_cudaERNS_18TensorIteratorBaseESt8optionalIdES5_S5_ENKUlvE_clEvENKUlvE0_clEvEUlN3c107complexIfEEE_St5arrayIPcLm2EEEEviT0_T1_,"axG",@progbits,_ZN2at6native29vectorized_elementwise_kernelILi8EZZZNS0_22nan_to_num_kernel_cudaERNS_18TensorIteratorBaseESt8optionalIdES5_S5_ENKUlvE_clEvENKUlvE0_clEvEUlN3c107complexIfEEE_St5arrayIPcLm2EEEEviT0_T1_,comdat
	.globl	_ZN2at6native29vectorized_elementwise_kernelILi8EZZZNS0_22nan_to_num_kernel_cudaERNS_18TensorIteratorBaseESt8optionalIdES5_S5_ENKUlvE_clEvENKUlvE0_clEvEUlN3c107complexIfEEE_St5arrayIPcLm2EEEEviT0_T1_ ; -- Begin function _ZN2at6native29vectorized_elementwise_kernelILi8EZZZNS0_22nan_to_num_kernel_cudaERNS_18TensorIteratorBaseESt8optionalIdES5_S5_ENKUlvE_clEvENKUlvE0_clEvEUlN3c107complexIfEEE_St5arrayIPcLm2EEEEviT0_T1_
	.p2align	8
	.type	_ZN2at6native29vectorized_elementwise_kernelILi8EZZZNS0_22nan_to_num_kernel_cudaERNS_18TensorIteratorBaseESt8optionalIdES5_S5_ENKUlvE_clEvENKUlvE0_clEvEUlN3c107complexIfEEE_St5arrayIPcLm2EEEEviT0_T1_,@function
_ZN2at6native29vectorized_elementwise_kernelILi8EZZZNS0_22nan_to_num_kernel_cudaERNS_18TensorIteratorBaseESt8optionalIdES5_S5_ENKUlvE_clEvENKUlvE0_clEvEUlN3c107complexIfEEE_St5arrayIPcLm2EEEEviT0_T1_: ; @_ZN2at6native29vectorized_elementwise_kernelILi8EZZZNS0_22nan_to_num_kernel_cudaERNS_18TensorIteratorBaseESt8optionalIdES5_S5_ENKUlvE_clEvENKUlvE0_clEvEUlN3c107complexIfEEE_St5arrayIPcLm2EEEEviT0_T1_
; %bb.0:
	s_load_b256 s[0:7], s[0:1], 0x0
	s_lshl_b32 s8, s15, 10
	s_waitcnt lgkmcnt(0)
	s_sub_i32 s12, s0, s8
	s_mov_b32 s0, -1
	s_cmpk_gt_i32 s12, 0x3ff
	s_cbranch_scc0 .LBB499_34
; %bb.1:
	s_ashr_i32 s9, s8, 31
	v_lshlrev_b32_e32 v13, 5, v0
	s_lshl_b64 s[10:11], s[8:9], 3
	v_mov_b32_e32 v1, s1
	s_add_u32 s14, s6, s10
	s_addc_u32 s15, s7, s11
	s_mov_b32 s0, exec_lo
	s_clause 0x1
	global_load_b128 v[9:12], v13, s[14:15]
	global_load_b128 v[5:8], v13, s[14:15] offset:16
	s_waitcnt vmcnt(1)
	v_cmpx_o_f32_e32 v9, v9
	s_cbranch_execz .LBB499_5
; %bb.2:
	v_mov_b32_e32 v1, s2
	s_mov_b32 s9, exec_lo
	v_cmpx_neq_f32_e32 0x7f800000, v9
; %bb.3:
	v_cmp_eq_f32_e32 vcc_lo, 0xff800000, v9
	v_cndmask_b32_e64 v1, v9, s3, vcc_lo
; %bb.4:
	s_or_b32 exec_lo, exec_lo, s9
.LBB499_5:
	s_delay_alu instid0(SALU_CYCLE_1)
	s_or_b32 exec_lo, exec_lo, s0
	v_mov_b32_e32 v2, s1
	s_mov_b32 s0, exec_lo
	v_cmpx_o_f32_e32 v10, v10
	s_cbranch_execz .LBB499_9
; %bb.6:
	v_mov_b32_e32 v2, s2
	s_mov_b32 s9, exec_lo
	v_cmpx_neq_f32_e32 0x7f800000, v10
; %bb.7:
	v_cmp_eq_f32_e32 vcc_lo, 0xff800000, v10
	v_cndmask_b32_e64 v2, v10, s3, vcc_lo
; %bb.8:
	s_or_b32 exec_lo, exec_lo, s9
.LBB499_9:
	s_delay_alu instid0(SALU_CYCLE_1)
	s_or_b32 exec_lo, exec_lo, s0
	v_mov_b32_e32 v3, s1
	s_mov_b32 s0, exec_lo
	;; [unrolled: 16-line block ×4, first 2 shown]
	s_waitcnt vmcnt(0)
	v_cmpx_o_f32_e32 v5, v5
	s_cbranch_execz .LBB499_21
; %bb.18:
	v_mov_b32_e32 v9, s2
	s_mov_b32 s9, exec_lo
	v_cmpx_neq_f32_e32 0x7f800000, v5
; %bb.19:
	v_cmp_eq_f32_e32 vcc_lo, 0xff800000, v5
	v_cndmask_b32_e64 v9, v5, s3, vcc_lo
; %bb.20:
	s_or_b32 exec_lo, exec_lo, s9
.LBB499_21:
	s_delay_alu instid0(SALU_CYCLE_1)
	s_or_b32 exec_lo, exec_lo, s0
	v_mov_b32_e32 v10, s1
	s_mov_b32 s0, exec_lo
	v_cmpx_o_f32_e32 v6, v6
	s_cbranch_execz .LBB499_25
; %bb.22:
	v_mov_b32_e32 v10, s2
	s_mov_b32 s9, exec_lo
	v_cmpx_neq_f32_e32 0x7f800000, v6
; %bb.23:
	v_cmp_eq_f32_e32 vcc_lo, 0xff800000, v6
	v_cndmask_b32_e64 v10, v6, s3, vcc_lo
; %bb.24:
	s_or_b32 exec_lo, exec_lo, s9
.LBB499_25:
	s_delay_alu instid0(SALU_CYCLE_1)
	s_or_b32 exec_lo, exec_lo, s0
	v_mov_b32_e32 v11, s1
	s_mov_b32 s0, exec_lo
	;; [unrolled: 16-line block ×3, first 2 shown]
	v_cmpx_o_f32_e32 v8, v8
	s_cbranch_execz .LBB499_33
; %bb.30:
	v_mov_b32_e32 v12, s2
	s_mov_b32 s9, exec_lo
	v_cmpx_neq_f32_e32 0x7f800000, v8
; %bb.31:
	v_cmp_eq_f32_e32 vcc_lo, 0xff800000, v8
	v_cndmask_b32_e64 v12, v8, s3, vcc_lo
; %bb.32:
	s_or_b32 exec_lo, exec_lo, s9
.LBB499_33:
	s_delay_alu instid0(SALU_CYCLE_1)
	s_or_b32 exec_lo, exec_lo, s0
	s_add_u32 s10, s4, s10
	s_addc_u32 s11, s5, s11
	s_mov_b32 s0, 0
	s_clause 0x1
	global_store_b128 v13, v[1:4], s[10:11]
	global_store_b128 v13, v[9:12], s[10:11] offset:16
.LBB499_34:
	s_and_b32 vcc_lo, exec_lo, s0
	s_cbranch_vccz .LBB499_79
; %bb.35:
	v_cmp_gt_i32_e32 vcc_lo, s12, v0
	v_dual_mov_b32 v11, 0 :: v_dual_mov_b32 v6, 0
	v_or_b32_e32 v1, s8, v0
	v_or_b32_e32 v12, 0x100, v0
	v_dual_mov_b32 v7, 0 :: v_dual_mov_b32 v4, v0
	s_and_saveexec_b32 s9, vcc_lo
	s_cbranch_execz .LBB499_37
; %bb.36:
	v_mov_b32_e32 v2, 0
	v_or_b32_e32 v4, 0x100, v0
	s_delay_alu instid0(VALU_DEP_2) | instskip(NEXT) | instid1(VALU_DEP_1)
	v_lshlrev_b64 v[2:3], 3, v[1:2]
	v_add_co_u32 v2, s0, s6, v2
	s_delay_alu instid0(VALU_DEP_1)
	v_add_co_ci_u32_e64 v3, s0, s7, v3, s0
	global_load_b64 v[6:7], v[2:3], off
.LBB499_37:
	s_or_b32 exec_lo, exec_lo, s9
	v_mov_b32_e32 v10, 0
	s_mov_b32 s9, exec_lo
	v_cmpx_gt_i32_e64 s12, v4
	s_cbranch_execz .LBB499_39
; %bb.38:
	v_dual_mov_b32 v3, 0 :: v_dual_add_nc_u32 v2, s8, v4
	v_add_nc_u32_e32 v4, 0x100, v4
	s_delay_alu instid0(VALU_DEP_2) | instskip(NEXT) | instid1(VALU_DEP_1)
	v_lshlrev_b64 v[2:3], 3, v[2:3]
	v_add_co_u32 v2, s0, s6, v2
	s_delay_alu instid0(VALU_DEP_1)
	v_add_co_ci_u32_e64 v3, s0, s7, v3, s0
	global_load_b64 v[10:11], v[2:3], off
.LBB499_39:
	s_or_b32 exec_lo, exec_lo, s9
	v_dual_mov_b32 v3, 0 :: v_dual_mov_b32 v8, 0
	v_mov_b32_e32 v9, 0
	s_mov_b32 s9, exec_lo
	v_cmpx_gt_i32_e64 s12, v4
	s_cbranch_execz .LBB499_41
; %bb.40:
	v_dual_mov_b32 v9, 0 :: v_dual_add_nc_u32 v8, s8, v4
	v_add_nc_u32_e32 v4, 0x100, v4
	s_delay_alu instid0(VALU_DEP_2) | instskip(NEXT) | instid1(VALU_DEP_1)
	v_lshlrev_b64 v[8:9], 3, v[8:9]
	v_add_co_u32 v8, s0, s6, v8
	s_delay_alu instid0(VALU_DEP_1)
	v_add_co_ci_u32_e64 v9, s0, s7, v9, s0
	global_load_b64 v[8:9], v[8:9], off
.LBB499_41:
	s_or_b32 exec_lo, exec_lo, s9
	v_mov_b32_e32 v2, 0
	s_mov_b32 s9, exec_lo
	v_cmpx_gt_i32_e64 s12, v4
	s_cbranch_execz .LBB499_43
; %bb.42:
	v_dual_mov_b32 v3, 0 :: v_dual_add_nc_u32 v2, s8, v4
	s_delay_alu instid0(VALU_DEP_1) | instskip(NEXT) | instid1(VALU_DEP_1)
	v_lshlrev_b64 v[2:3], 3, v[2:3]
	v_add_co_u32 v2, s0, s6, v2
	s_delay_alu instid0(VALU_DEP_1)
	v_add_co_ci_u32_e64 v3, s0, s7, v3, s0
	global_load_b64 v[2:3], v[2:3], off
.LBB499_43:
	s_or_b32 exec_lo, exec_lo, s9
	v_dual_mov_b32 v4, 0 :: v_dual_mov_b32 v5, 0
	s_and_saveexec_b32 s6, vcc_lo
	s_cbranch_execz .LBB499_53
; %bb.44:
	v_mov_b32_e32 v4, s1
	s_mov_b32 s7, exec_lo
	s_waitcnt vmcnt(0)
	v_cmpx_o_f32_e32 v6, v6
	s_cbranch_execz .LBB499_48
; %bb.45:
	v_mov_b32_e32 v4, s2
	s_mov_b32 s9, exec_lo
	v_cmpx_neq_f32_e32 0x7f800000, v6
; %bb.46:
	v_cmp_eq_f32_e64 s0, 0xff800000, v6
	s_delay_alu instid0(VALU_DEP_1)
	v_cndmask_b32_e64 v4, v6, s3, s0
; %bb.47:
	s_or_b32 exec_lo, exec_lo, s9
.LBB499_48:
	s_delay_alu instid0(SALU_CYCLE_1)
	s_or_b32 exec_lo, exec_lo, s7
	v_mov_b32_e32 v5, s1
	s_mov_b32 s7, exec_lo
	v_cmpx_o_f32_e32 v7, v7
	s_cbranch_execz .LBB499_52
; %bb.49:
	v_mov_b32_e32 v5, s2
	s_mov_b32 s9, exec_lo
	v_cmpx_neq_f32_e32 0x7f800000, v7
; %bb.50:
	v_cmp_eq_f32_e64 s0, 0xff800000, v7
	s_delay_alu instid0(VALU_DEP_1)
	v_cndmask_b32_e64 v5, v7, s3, s0
; %bb.51:
	s_or_b32 exec_lo, exec_lo, s9
.LBB499_52:
	s_delay_alu instid0(SALU_CYCLE_1)
	s_or_b32 exec_lo, exec_lo, s7
.LBB499_53:
	s_delay_alu instid0(SALU_CYCLE_1)
	s_or_b32 exec_lo, exec_lo, s6
	s_waitcnt vmcnt(0)
	v_dual_mov_b32 v6, 0 :: v_dual_mov_b32 v7, 0
	s_mov_b32 s6, exec_lo
	v_cmpx_gt_i32_e64 s12, v12
	s_cbranch_execz .LBB499_63
; %bb.54:
	v_mov_b32_e32 v6, s1
	s_mov_b32 s7, exec_lo
	v_cmpx_o_f32_e32 v10, v10
	s_cbranch_execz .LBB499_58
; %bb.55:
	v_mov_b32_e32 v6, s2
	s_mov_b32 s9, exec_lo
	v_cmpx_neq_f32_e32 0x7f800000, v10
; %bb.56:
	v_cmp_eq_f32_e64 s0, 0xff800000, v10
	s_delay_alu instid0(VALU_DEP_1)
	v_cndmask_b32_e64 v6, v10, s3, s0
; %bb.57:
	s_or_b32 exec_lo, exec_lo, s9
.LBB499_58:
	s_delay_alu instid0(SALU_CYCLE_1)
	s_or_b32 exec_lo, exec_lo, s7
	v_mov_b32_e32 v7, s1
	s_mov_b32 s7, exec_lo
	v_cmpx_o_f32_e32 v11, v11
	s_cbranch_execz .LBB499_62
; %bb.59:
	v_mov_b32_e32 v7, s2
	s_mov_b32 s9, exec_lo
	v_cmpx_neq_f32_e32 0x7f800000, v11
; %bb.60:
	v_cmp_eq_f32_e64 s0, 0xff800000, v11
	s_delay_alu instid0(VALU_DEP_1)
	v_cndmask_b32_e64 v7, v11, s3, s0
; %bb.61:
	s_or_b32 exec_lo, exec_lo, s9
.LBB499_62:
	s_delay_alu instid0(SALU_CYCLE_1)
	s_or_b32 exec_lo, exec_lo, s7
.LBB499_63:
	s_delay_alu instid0(SALU_CYCLE_1) | instskip(SKIP_2) | instid1(VALU_DEP_2)
	s_or_b32 exec_lo, exec_lo, s6
	v_or_b32_e32 v11, 0x200, v0
	v_mov_b32_e32 v10, 0
	v_cmp_gt_i32_e64 s0, s12, v11
	v_mov_b32_e32 v11, 0
	s_delay_alu instid0(VALU_DEP_2)
	s_and_saveexec_b32 s6, s0
	s_cbranch_execz .LBB499_73
; %bb.64:
	v_mov_b32_e32 v10, s1
	s_mov_b32 s7, exec_lo
	v_cmpx_o_f32_e32 v8, v8
	s_cbranch_execz .LBB499_68
; %bb.65:
	v_mov_b32_e32 v10, s2
	s_mov_b32 s9, exec_lo
	v_cmpx_neq_f32_e32 0x7f800000, v8
; %bb.66:
	v_cmp_eq_f32_e64 s0, 0xff800000, v8
	s_delay_alu instid0(VALU_DEP_1)
	v_cndmask_b32_e64 v10, v8, s3, s0
; %bb.67:
	s_or_b32 exec_lo, exec_lo, s9
.LBB499_68:
	s_delay_alu instid0(SALU_CYCLE_1)
	s_or_b32 exec_lo, exec_lo, s7
	v_mov_b32_e32 v11, s1
	s_mov_b32 s7, exec_lo
	v_cmpx_o_f32_e32 v9, v9
	s_cbranch_execz .LBB499_72
; %bb.69:
	v_mov_b32_e32 v11, s2
	s_mov_b32 s9, exec_lo
	v_cmpx_neq_f32_e32 0x7f800000, v9
; %bb.70:
	v_cmp_eq_f32_e64 s0, 0xff800000, v9
	s_delay_alu instid0(VALU_DEP_1)
	v_cndmask_b32_e64 v11, v9, s3, s0
; %bb.71:
	s_or_b32 exec_lo, exec_lo, s9
.LBB499_72:
	s_delay_alu instid0(SALU_CYCLE_1)
	s_or_b32 exec_lo, exec_lo, s7
.LBB499_73:
	s_delay_alu instid0(SALU_CYCLE_1) | instskip(SKIP_2) | instid1(VALU_DEP_2)
	s_or_b32 exec_lo, exec_lo, s6
	v_or_b32_e32 v9, 0x300, v0
	v_mov_b32_e32 v8, 0
	v_cmp_gt_i32_e64 s0, s12, v9
	v_mov_b32_e32 v9, 0
	s_delay_alu instid0(VALU_DEP_2)
	s_and_saveexec_b32 s6, s0
	s_cbranch_execnz .LBB499_80
; %bb.74:
	s_or_b32 exec_lo, exec_lo, s6
	s_and_saveexec_b32 s0, vcc_lo
	s_delay_alu instid0(SALU_CYCLE_1)
	s_xor_b32 s0, exec_lo, s0
	s_cbranch_execnz .LBB499_89
.LBB499_75:
	s_or_b32 exec_lo, exec_lo, s0
	s_delay_alu instid0(SALU_CYCLE_1)
	s_mov_b32 s0, exec_lo
	v_cmpx_gt_i32_e64 s12, v0
	s_cbranch_execnz .LBB499_90
.LBB499_76:
	s_or_b32 exec_lo, exec_lo, s0
	s_delay_alu instid0(SALU_CYCLE_1)
	s_mov_b32 s0, exec_lo
	v_cmpx_gt_i32_e64 s12, v0
	s_cbranch_execnz .LBB499_91
.LBB499_77:
	s_or_b32 exec_lo, exec_lo, s0
	s_delay_alu instid0(SALU_CYCLE_1)
	s_mov_b32 s0, exec_lo
	v_cmpx_gt_i32_e64 s12, v0
	s_cbranch_execz .LBB499_79
.LBB499_78:
	v_dual_mov_b32 v1, 0 :: v_dual_add_nc_u32 v0, s8, v0
	s_delay_alu instid0(VALU_DEP_1) | instskip(NEXT) | instid1(VALU_DEP_1)
	v_lshlrev_b64 v[0:1], 3, v[0:1]
	v_add_co_u32 v0, vcc_lo, s4, v0
	s_delay_alu instid0(VALU_DEP_2)
	v_add_co_ci_u32_e32 v1, vcc_lo, s5, v1, vcc_lo
	global_store_b64 v[0:1], v[8:9], off
.LBB499_79:
	s_nop 0
	s_sendmsg sendmsg(MSG_DEALLOC_VGPRS)
	s_endpgm
.LBB499_80:
	v_mov_b32_e32 v8, s1
	s_mov_b32 s7, exec_lo
	v_cmpx_o_f32_e32 v2, v2
	s_cbranch_execz .LBB499_84
; %bb.81:
	v_mov_b32_e32 v8, s2
	s_mov_b32 s9, exec_lo
	v_cmpx_neq_f32_e32 0x7f800000, v2
; %bb.82:
	v_cmp_eq_f32_e64 s0, 0xff800000, v2
	s_delay_alu instid0(VALU_DEP_1)
	v_cndmask_b32_e64 v8, v2, s3, s0
; %bb.83:
	s_or_b32 exec_lo, exec_lo, s9
.LBB499_84:
	s_delay_alu instid0(SALU_CYCLE_1)
	s_or_b32 exec_lo, exec_lo, s7
	v_mov_b32_e32 v9, s1
	s_mov_b32 s1, exec_lo
	v_cmpx_o_f32_e32 v3, v3
	s_cbranch_execz .LBB499_88
; %bb.85:
	v_mov_b32_e32 v9, s2
	s_mov_b32 s2, exec_lo
	v_cmpx_neq_f32_e32 0x7f800000, v3
; %bb.86:
	v_cmp_eq_f32_e64 s0, 0xff800000, v3
	s_delay_alu instid0(VALU_DEP_1)
	v_cndmask_b32_e64 v9, v3, s3, s0
; %bb.87:
	s_or_b32 exec_lo, exec_lo, s2
.LBB499_88:
	s_delay_alu instid0(SALU_CYCLE_1) | instskip(NEXT) | instid1(SALU_CYCLE_1)
	s_or_b32 exec_lo, exec_lo, s1
	s_or_b32 exec_lo, exec_lo, s6
	s_and_saveexec_b32 s0, vcc_lo
	s_delay_alu instid0(SALU_CYCLE_1)
	s_xor_b32 s0, exec_lo, s0
	s_cbranch_execz .LBB499_75
.LBB499_89:
	v_mov_b32_e32 v2, 0
	s_delay_alu instid0(VALU_DEP_1) | instskip(NEXT) | instid1(VALU_DEP_1)
	v_lshlrev_b64 v[0:1], 3, v[1:2]
	v_add_co_u32 v2, vcc_lo, s4, v0
	s_delay_alu instid0(VALU_DEP_2) | instskip(SKIP_3) | instid1(SALU_CYCLE_1)
	v_add_co_ci_u32_e32 v3, vcc_lo, s5, v1, vcc_lo
	v_mov_b32_e32 v0, v12
	global_store_b64 v[2:3], v[4:5], off
	s_or_b32 exec_lo, exec_lo, s0
	s_mov_b32 s0, exec_lo
	v_cmpx_gt_i32_e64 s12, v0
	s_cbranch_execz .LBB499_76
.LBB499_90:
	v_dual_mov_b32 v2, 0 :: v_dual_add_nc_u32 v1, s8, v0
	v_add_nc_u32_e32 v0, 0x100, v0
	s_delay_alu instid0(VALU_DEP_2) | instskip(NEXT) | instid1(VALU_DEP_1)
	v_lshlrev_b64 v[1:2], 3, v[1:2]
	v_add_co_u32 v1, vcc_lo, s4, v1
	s_delay_alu instid0(VALU_DEP_2) | instskip(SKIP_2) | instid1(SALU_CYCLE_1)
	v_add_co_ci_u32_e32 v2, vcc_lo, s5, v2, vcc_lo
	global_store_b64 v[1:2], v[6:7], off
	s_or_b32 exec_lo, exec_lo, s0
	s_mov_b32 s0, exec_lo
	v_cmpx_gt_i32_e64 s12, v0
	s_cbranch_execz .LBB499_77
.LBB499_91:
	v_dual_mov_b32 v2, 0 :: v_dual_add_nc_u32 v1, s8, v0
	v_add_nc_u32_e32 v0, 0x100, v0
	s_delay_alu instid0(VALU_DEP_2) | instskip(NEXT) | instid1(VALU_DEP_1)
	v_lshlrev_b64 v[1:2], 3, v[1:2]
	v_add_co_u32 v1, vcc_lo, s4, v1
	s_delay_alu instid0(VALU_DEP_2) | instskip(SKIP_2) | instid1(SALU_CYCLE_1)
	v_add_co_ci_u32_e32 v2, vcc_lo, s5, v2, vcc_lo
	global_store_b64 v[1:2], v[10:11], off
	s_or_b32 exec_lo, exec_lo, s0
	s_mov_b32 s0, exec_lo
	v_cmpx_gt_i32_e64 s12, v0
	s_cbranch_execnz .LBB499_78
	s_branch .LBB499_79
	.section	.rodata,"a",@progbits
	.p2align	6, 0x0
	.amdhsa_kernel _ZN2at6native29vectorized_elementwise_kernelILi8EZZZNS0_22nan_to_num_kernel_cudaERNS_18TensorIteratorBaseESt8optionalIdES5_S5_ENKUlvE_clEvENKUlvE0_clEvEUlN3c107complexIfEEE_St5arrayIPcLm2EEEEviT0_T1_
		.amdhsa_group_segment_fixed_size 0
		.amdhsa_private_segment_fixed_size 0
		.amdhsa_kernarg_size 32
		.amdhsa_user_sgpr_count 15
		.amdhsa_user_sgpr_dispatch_ptr 0
		.amdhsa_user_sgpr_queue_ptr 0
		.amdhsa_user_sgpr_kernarg_segment_ptr 1
		.amdhsa_user_sgpr_dispatch_id 0
		.amdhsa_user_sgpr_private_segment_size 0
		.amdhsa_wavefront_size32 1
		.amdhsa_uses_dynamic_stack 0
		.amdhsa_enable_private_segment 0
		.amdhsa_system_sgpr_workgroup_id_x 1
		.amdhsa_system_sgpr_workgroup_id_y 0
		.amdhsa_system_sgpr_workgroup_id_z 0
		.amdhsa_system_sgpr_workgroup_info 0
		.amdhsa_system_vgpr_workitem_id 0
		.amdhsa_next_free_vgpr 14
		.amdhsa_next_free_sgpr 16
		.amdhsa_reserve_vcc 1
		.amdhsa_float_round_mode_32 0
		.amdhsa_float_round_mode_16_64 0
		.amdhsa_float_denorm_mode_32 3
		.amdhsa_float_denorm_mode_16_64 3
		.amdhsa_dx10_clamp 1
		.amdhsa_ieee_mode 1
		.amdhsa_fp16_overflow 0
		.amdhsa_workgroup_processor_mode 1
		.amdhsa_memory_ordered 1
		.amdhsa_forward_progress 0
		.amdhsa_shared_vgpr_count 0
		.amdhsa_exception_fp_ieee_invalid_op 0
		.amdhsa_exception_fp_denorm_src 0
		.amdhsa_exception_fp_ieee_div_zero 0
		.amdhsa_exception_fp_ieee_overflow 0
		.amdhsa_exception_fp_ieee_underflow 0
		.amdhsa_exception_fp_ieee_inexact 0
		.amdhsa_exception_int_div_zero 0
	.end_amdhsa_kernel
	.section	.text._ZN2at6native29vectorized_elementwise_kernelILi8EZZZNS0_22nan_to_num_kernel_cudaERNS_18TensorIteratorBaseESt8optionalIdES5_S5_ENKUlvE_clEvENKUlvE0_clEvEUlN3c107complexIfEEE_St5arrayIPcLm2EEEEviT0_T1_,"axG",@progbits,_ZN2at6native29vectorized_elementwise_kernelILi8EZZZNS0_22nan_to_num_kernel_cudaERNS_18TensorIteratorBaseESt8optionalIdES5_S5_ENKUlvE_clEvENKUlvE0_clEvEUlN3c107complexIfEEE_St5arrayIPcLm2EEEEviT0_T1_,comdat
.Lfunc_end499:
	.size	_ZN2at6native29vectorized_elementwise_kernelILi8EZZZNS0_22nan_to_num_kernel_cudaERNS_18TensorIteratorBaseESt8optionalIdES5_S5_ENKUlvE_clEvENKUlvE0_clEvEUlN3c107complexIfEEE_St5arrayIPcLm2EEEEviT0_T1_, .Lfunc_end499-_ZN2at6native29vectorized_elementwise_kernelILi8EZZZNS0_22nan_to_num_kernel_cudaERNS_18TensorIteratorBaseESt8optionalIdES5_S5_ENKUlvE_clEvENKUlvE0_clEvEUlN3c107complexIfEEE_St5arrayIPcLm2EEEEviT0_T1_
                                        ; -- End function
	.section	.AMDGPU.csdata,"",@progbits
; Kernel info:
; codeLenInByte = 2004
; NumSgprs: 18
; NumVgprs: 14
; ScratchSize: 0
; MemoryBound: 1
; FloatMode: 240
; IeeeMode: 1
; LDSByteSize: 0 bytes/workgroup (compile time only)
; SGPRBlocks: 2
; VGPRBlocks: 1
; NumSGPRsForWavesPerEU: 18
; NumVGPRsForWavesPerEU: 14
; Occupancy: 16
; WaveLimiterHint : 0
; COMPUTE_PGM_RSRC2:SCRATCH_EN: 0
; COMPUTE_PGM_RSRC2:USER_SGPR: 15
; COMPUTE_PGM_RSRC2:TRAP_HANDLER: 0
; COMPUTE_PGM_RSRC2:TGID_X_EN: 1
; COMPUTE_PGM_RSRC2:TGID_Y_EN: 0
; COMPUTE_PGM_RSRC2:TGID_Z_EN: 0
; COMPUTE_PGM_RSRC2:TIDIG_COMP_CNT: 0
	.section	.text._ZN2at6native29vectorized_elementwise_kernelILi4EZZZNS0_22nan_to_num_kernel_cudaERNS_18TensorIteratorBaseESt8optionalIdES5_S5_ENKUlvE_clEvENKUlvE0_clEvEUlN3c107complexIfEEE_St5arrayIPcLm2EEEEviT0_T1_,"axG",@progbits,_ZN2at6native29vectorized_elementwise_kernelILi4EZZZNS0_22nan_to_num_kernel_cudaERNS_18TensorIteratorBaseESt8optionalIdES5_S5_ENKUlvE_clEvENKUlvE0_clEvEUlN3c107complexIfEEE_St5arrayIPcLm2EEEEviT0_T1_,comdat
	.globl	_ZN2at6native29vectorized_elementwise_kernelILi4EZZZNS0_22nan_to_num_kernel_cudaERNS_18TensorIteratorBaseESt8optionalIdES5_S5_ENKUlvE_clEvENKUlvE0_clEvEUlN3c107complexIfEEE_St5arrayIPcLm2EEEEviT0_T1_ ; -- Begin function _ZN2at6native29vectorized_elementwise_kernelILi4EZZZNS0_22nan_to_num_kernel_cudaERNS_18TensorIteratorBaseESt8optionalIdES5_S5_ENKUlvE_clEvENKUlvE0_clEvEUlN3c107complexIfEEE_St5arrayIPcLm2EEEEviT0_T1_
	.p2align	8
	.type	_ZN2at6native29vectorized_elementwise_kernelILi4EZZZNS0_22nan_to_num_kernel_cudaERNS_18TensorIteratorBaseESt8optionalIdES5_S5_ENKUlvE_clEvENKUlvE0_clEvEUlN3c107complexIfEEE_St5arrayIPcLm2EEEEviT0_T1_,@function
_ZN2at6native29vectorized_elementwise_kernelILi4EZZZNS0_22nan_to_num_kernel_cudaERNS_18TensorIteratorBaseESt8optionalIdES5_S5_ENKUlvE_clEvENKUlvE0_clEvEUlN3c107complexIfEEE_St5arrayIPcLm2EEEEviT0_T1_: ; @_ZN2at6native29vectorized_elementwise_kernelILi4EZZZNS0_22nan_to_num_kernel_cudaERNS_18TensorIteratorBaseESt8optionalIdES5_S5_ENKUlvE_clEvENKUlvE0_clEvEUlN3c107complexIfEEE_St5arrayIPcLm2EEEEviT0_T1_
; %bb.0:
	s_load_b256 s[0:7], s[0:1], 0x0
	s_lshl_b32 s8, s15, 10
	s_waitcnt lgkmcnt(0)
	s_sub_i32 s12, s0, s8
	s_mov_b32 s0, -1
	s_cmpk_gt_i32 s12, 0x3ff
	s_cbranch_scc0 .LBB500_34
; %bb.1:
	s_ashr_i32 s9, s8, 31
	v_lshlrev_b32_e32 v13, 5, v0
	s_lshl_b64 s[10:11], s[8:9], 3
	v_mov_b32_e32 v1, s1
	s_add_u32 s14, s6, s10
	s_addc_u32 s15, s7, s11
	s_mov_b32 s0, exec_lo
	s_clause 0x1
	global_load_b128 v[9:12], v13, s[14:15]
	global_load_b128 v[5:8], v13, s[14:15] offset:16
	s_waitcnt vmcnt(1)
	v_cmpx_o_f32_e32 v9, v9
	s_cbranch_execz .LBB500_5
; %bb.2:
	v_mov_b32_e32 v1, s2
	s_mov_b32 s9, exec_lo
	v_cmpx_neq_f32_e32 0x7f800000, v9
; %bb.3:
	v_cmp_eq_f32_e32 vcc_lo, 0xff800000, v9
	v_cndmask_b32_e64 v1, v9, s3, vcc_lo
; %bb.4:
	s_or_b32 exec_lo, exec_lo, s9
.LBB500_5:
	s_delay_alu instid0(SALU_CYCLE_1)
	s_or_b32 exec_lo, exec_lo, s0
	v_mov_b32_e32 v2, s1
	s_mov_b32 s0, exec_lo
	v_cmpx_o_f32_e32 v10, v10
	s_cbranch_execz .LBB500_9
; %bb.6:
	v_mov_b32_e32 v2, s2
	s_mov_b32 s9, exec_lo
	v_cmpx_neq_f32_e32 0x7f800000, v10
; %bb.7:
	v_cmp_eq_f32_e32 vcc_lo, 0xff800000, v10
	v_cndmask_b32_e64 v2, v10, s3, vcc_lo
; %bb.8:
	s_or_b32 exec_lo, exec_lo, s9
.LBB500_9:
	s_delay_alu instid0(SALU_CYCLE_1)
	s_or_b32 exec_lo, exec_lo, s0
	v_mov_b32_e32 v3, s1
	s_mov_b32 s0, exec_lo
	;; [unrolled: 16-line block ×4, first 2 shown]
	s_waitcnt vmcnt(0)
	v_cmpx_o_f32_e32 v5, v5
	s_cbranch_execz .LBB500_21
; %bb.18:
	v_mov_b32_e32 v9, s2
	s_mov_b32 s9, exec_lo
	v_cmpx_neq_f32_e32 0x7f800000, v5
; %bb.19:
	v_cmp_eq_f32_e32 vcc_lo, 0xff800000, v5
	v_cndmask_b32_e64 v9, v5, s3, vcc_lo
; %bb.20:
	s_or_b32 exec_lo, exec_lo, s9
.LBB500_21:
	s_delay_alu instid0(SALU_CYCLE_1)
	s_or_b32 exec_lo, exec_lo, s0
	v_mov_b32_e32 v10, s1
	s_mov_b32 s0, exec_lo
	v_cmpx_o_f32_e32 v6, v6
	s_cbranch_execz .LBB500_25
; %bb.22:
	v_mov_b32_e32 v10, s2
	s_mov_b32 s9, exec_lo
	v_cmpx_neq_f32_e32 0x7f800000, v6
; %bb.23:
	v_cmp_eq_f32_e32 vcc_lo, 0xff800000, v6
	v_cndmask_b32_e64 v10, v6, s3, vcc_lo
; %bb.24:
	s_or_b32 exec_lo, exec_lo, s9
.LBB500_25:
	s_delay_alu instid0(SALU_CYCLE_1)
	s_or_b32 exec_lo, exec_lo, s0
	v_mov_b32_e32 v11, s1
	s_mov_b32 s0, exec_lo
	;; [unrolled: 16-line block ×3, first 2 shown]
	v_cmpx_o_f32_e32 v8, v8
	s_cbranch_execz .LBB500_33
; %bb.30:
	v_mov_b32_e32 v12, s2
	s_mov_b32 s9, exec_lo
	v_cmpx_neq_f32_e32 0x7f800000, v8
; %bb.31:
	v_cmp_eq_f32_e32 vcc_lo, 0xff800000, v8
	v_cndmask_b32_e64 v12, v8, s3, vcc_lo
; %bb.32:
	s_or_b32 exec_lo, exec_lo, s9
.LBB500_33:
	s_delay_alu instid0(SALU_CYCLE_1)
	s_or_b32 exec_lo, exec_lo, s0
	s_add_u32 s10, s4, s10
	s_addc_u32 s11, s5, s11
	s_mov_b32 s0, 0
	s_clause 0x1
	global_store_b128 v13, v[1:4], s[10:11]
	global_store_b128 v13, v[9:12], s[10:11] offset:16
.LBB500_34:
	s_and_b32 vcc_lo, exec_lo, s0
	s_cbranch_vccz .LBB500_79
; %bb.35:
	v_cmp_gt_i32_e32 vcc_lo, s12, v0
	v_dual_mov_b32 v11, 0 :: v_dual_mov_b32 v6, 0
	v_or_b32_e32 v1, s8, v0
	v_or_b32_e32 v12, 0x100, v0
	v_dual_mov_b32 v7, 0 :: v_dual_mov_b32 v4, v0
	s_and_saveexec_b32 s9, vcc_lo
	s_cbranch_execz .LBB500_37
; %bb.36:
	v_mov_b32_e32 v2, 0
	v_or_b32_e32 v4, 0x100, v0
	s_delay_alu instid0(VALU_DEP_2) | instskip(NEXT) | instid1(VALU_DEP_1)
	v_lshlrev_b64 v[2:3], 3, v[1:2]
	v_add_co_u32 v2, s0, s6, v2
	s_delay_alu instid0(VALU_DEP_1)
	v_add_co_ci_u32_e64 v3, s0, s7, v3, s0
	global_load_b64 v[6:7], v[2:3], off
.LBB500_37:
	s_or_b32 exec_lo, exec_lo, s9
	v_mov_b32_e32 v10, 0
	s_mov_b32 s9, exec_lo
	v_cmpx_gt_i32_e64 s12, v4
	s_cbranch_execz .LBB500_39
; %bb.38:
	v_dual_mov_b32 v3, 0 :: v_dual_add_nc_u32 v2, s8, v4
	v_add_nc_u32_e32 v4, 0x100, v4
	s_delay_alu instid0(VALU_DEP_2) | instskip(NEXT) | instid1(VALU_DEP_1)
	v_lshlrev_b64 v[2:3], 3, v[2:3]
	v_add_co_u32 v2, s0, s6, v2
	s_delay_alu instid0(VALU_DEP_1)
	v_add_co_ci_u32_e64 v3, s0, s7, v3, s0
	global_load_b64 v[10:11], v[2:3], off
.LBB500_39:
	s_or_b32 exec_lo, exec_lo, s9
	v_dual_mov_b32 v3, 0 :: v_dual_mov_b32 v8, 0
	v_mov_b32_e32 v9, 0
	s_mov_b32 s9, exec_lo
	v_cmpx_gt_i32_e64 s12, v4
	s_cbranch_execz .LBB500_41
; %bb.40:
	v_dual_mov_b32 v9, 0 :: v_dual_add_nc_u32 v8, s8, v4
	v_add_nc_u32_e32 v4, 0x100, v4
	s_delay_alu instid0(VALU_DEP_2) | instskip(NEXT) | instid1(VALU_DEP_1)
	v_lshlrev_b64 v[8:9], 3, v[8:9]
	v_add_co_u32 v8, s0, s6, v8
	s_delay_alu instid0(VALU_DEP_1)
	v_add_co_ci_u32_e64 v9, s0, s7, v9, s0
	global_load_b64 v[8:9], v[8:9], off
.LBB500_41:
	s_or_b32 exec_lo, exec_lo, s9
	v_mov_b32_e32 v2, 0
	s_mov_b32 s9, exec_lo
	v_cmpx_gt_i32_e64 s12, v4
	s_cbranch_execz .LBB500_43
; %bb.42:
	v_dual_mov_b32 v3, 0 :: v_dual_add_nc_u32 v2, s8, v4
	s_delay_alu instid0(VALU_DEP_1) | instskip(NEXT) | instid1(VALU_DEP_1)
	v_lshlrev_b64 v[2:3], 3, v[2:3]
	v_add_co_u32 v2, s0, s6, v2
	s_delay_alu instid0(VALU_DEP_1)
	v_add_co_ci_u32_e64 v3, s0, s7, v3, s0
	global_load_b64 v[2:3], v[2:3], off
.LBB500_43:
	s_or_b32 exec_lo, exec_lo, s9
	v_dual_mov_b32 v4, 0 :: v_dual_mov_b32 v5, 0
	s_and_saveexec_b32 s6, vcc_lo
	s_cbranch_execz .LBB500_53
; %bb.44:
	v_mov_b32_e32 v4, s1
	s_mov_b32 s7, exec_lo
	s_waitcnt vmcnt(0)
	v_cmpx_o_f32_e32 v6, v6
	s_cbranch_execz .LBB500_48
; %bb.45:
	v_mov_b32_e32 v4, s2
	s_mov_b32 s9, exec_lo
	v_cmpx_neq_f32_e32 0x7f800000, v6
; %bb.46:
	v_cmp_eq_f32_e64 s0, 0xff800000, v6
	s_delay_alu instid0(VALU_DEP_1)
	v_cndmask_b32_e64 v4, v6, s3, s0
; %bb.47:
	s_or_b32 exec_lo, exec_lo, s9
.LBB500_48:
	s_delay_alu instid0(SALU_CYCLE_1)
	s_or_b32 exec_lo, exec_lo, s7
	v_mov_b32_e32 v5, s1
	s_mov_b32 s7, exec_lo
	v_cmpx_o_f32_e32 v7, v7
	s_cbranch_execz .LBB500_52
; %bb.49:
	v_mov_b32_e32 v5, s2
	s_mov_b32 s9, exec_lo
	v_cmpx_neq_f32_e32 0x7f800000, v7
; %bb.50:
	v_cmp_eq_f32_e64 s0, 0xff800000, v7
	s_delay_alu instid0(VALU_DEP_1)
	v_cndmask_b32_e64 v5, v7, s3, s0
; %bb.51:
	s_or_b32 exec_lo, exec_lo, s9
.LBB500_52:
	s_delay_alu instid0(SALU_CYCLE_1)
	s_or_b32 exec_lo, exec_lo, s7
.LBB500_53:
	s_delay_alu instid0(SALU_CYCLE_1)
	s_or_b32 exec_lo, exec_lo, s6
	s_waitcnt vmcnt(0)
	v_dual_mov_b32 v6, 0 :: v_dual_mov_b32 v7, 0
	s_mov_b32 s6, exec_lo
	v_cmpx_gt_i32_e64 s12, v12
	s_cbranch_execz .LBB500_63
; %bb.54:
	v_mov_b32_e32 v6, s1
	s_mov_b32 s7, exec_lo
	v_cmpx_o_f32_e32 v10, v10
	s_cbranch_execz .LBB500_58
; %bb.55:
	v_mov_b32_e32 v6, s2
	s_mov_b32 s9, exec_lo
	v_cmpx_neq_f32_e32 0x7f800000, v10
; %bb.56:
	v_cmp_eq_f32_e64 s0, 0xff800000, v10
	s_delay_alu instid0(VALU_DEP_1)
	v_cndmask_b32_e64 v6, v10, s3, s0
; %bb.57:
	s_or_b32 exec_lo, exec_lo, s9
.LBB500_58:
	s_delay_alu instid0(SALU_CYCLE_1)
	s_or_b32 exec_lo, exec_lo, s7
	v_mov_b32_e32 v7, s1
	s_mov_b32 s7, exec_lo
	v_cmpx_o_f32_e32 v11, v11
	s_cbranch_execz .LBB500_62
; %bb.59:
	v_mov_b32_e32 v7, s2
	s_mov_b32 s9, exec_lo
	v_cmpx_neq_f32_e32 0x7f800000, v11
; %bb.60:
	v_cmp_eq_f32_e64 s0, 0xff800000, v11
	s_delay_alu instid0(VALU_DEP_1)
	v_cndmask_b32_e64 v7, v11, s3, s0
; %bb.61:
	s_or_b32 exec_lo, exec_lo, s9
.LBB500_62:
	s_delay_alu instid0(SALU_CYCLE_1)
	s_or_b32 exec_lo, exec_lo, s7
.LBB500_63:
	s_delay_alu instid0(SALU_CYCLE_1) | instskip(SKIP_2) | instid1(VALU_DEP_2)
	s_or_b32 exec_lo, exec_lo, s6
	v_or_b32_e32 v11, 0x200, v0
	v_mov_b32_e32 v10, 0
	v_cmp_gt_i32_e64 s0, s12, v11
	v_mov_b32_e32 v11, 0
	s_delay_alu instid0(VALU_DEP_2)
	s_and_saveexec_b32 s6, s0
	s_cbranch_execz .LBB500_73
; %bb.64:
	v_mov_b32_e32 v10, s1
	s_mov_b32 s7, exec_lo
	v_cmpx_o_f32_e32 v8, v8
	s_cbranch_execz .LBB500_68
; %bb.65:
	v_mov_b32_e32 v10, s2
	s_mov_b32 s9, exec_lo
	v_cmpx_neq_f32_e32 0x7f800000, v8
; %bb.66:
	v_cmp_eq_f32_e64 s0, 0xff800000, v8
	s_delay_alu instid0(VALU_DEP_1)
	v_cndmask_b32_e64 v10, v8, s3, s0
; %bb.67:
	s_or_b32 exec_lo, exec_lo, s9
.LBB500_68:
	s_delay_alu instid0(SALU_CYCLE_1)
	s_or_b32 exec_lo, exec_lo, s7
	v_mov_b32_e32 v11, s1
	s_mov_b32 s7, exec_lo
	v_cmpx_o_f32_e32 v9, v9
	s_cbranch_execz .LBB500_72
; %bb.69:
	v_mov_b32_e32 v11, s2
	s_mov_b32 s9, exec_lo
	v_cmpx_neq_f32_e32 0x7f800000, v9
; %bb.70:
	v_cmp_eq_f32_e64 s0, 0xff800000, v9
	s_delay_alu instid0(VALU_DEP_1)
	v_cndmask_b32_e64 v11, v9, s3, s0
; %bb.71:
	s_or_b32 exec_lo, exec_lo, s9
.LBB500_72:
	s_delay_alu instid0(SALU_CYCLE_1)
	s_or_b32 exec_lo, exec_lo, s7
.LBB500_73:
	s_delay_alu instid0(SALU_CYCLE_1) | instskip(SKIP_2) | instid1(VALU_DEP_2)
	s_or_b32 exec_lo, exec_lo, s6
	v_or_b32_e32 v9, 0x300, v0
	v_mov_b32_e32 v8, 0
	v_cmp_gt_i32_e64 s0, s12, v9
	v_mov_b32_e32 v9, 0
	s_delay_alu instid0(VALU_DEP_2)
	s_and_saveexec_b32 s6, s0
	s_cbranch_execnz .LBB500_80
; %bb.74:
	s_or_b32 exec_lo, exec_lo, s6
	s_and_saveexec_b32 s0, vcc_lo
	s_delay_alu instid0(SALU_CYCLE_1)
	s_xor_b32 s0, exec_lo, s0
	s_cbranch_execnz .LBB500_89
.LBB500_75:
	s_or_b32 exec_lo, exec_lo, s0
	s_delay_alu instid0(SALU_CYCLE_1)
	s_mov_b32 s0, exec_lo
	v_cmpx_gt_i32_e64 s12, v0
	s_cbranch_execnz .LBB500_90
.LBB500_76:
	s_or_b32 exec_lo, exec_lo, s0
	s_delay_alu instid0(SALU_CYCLE_1)
	s_mov_b32 s0, exec_lo
	v_cmpx_gt_i32_e64 s12, v0
	s_cbranch_execnz .LBB500_91
.LBB500_77:
	s_or_b32 exec_lo, exec_lo, s0
	s_delay_alu instid0(SALU_CYCLE_1)
	s_mov_b32 s0, exec_lo
	v_cmpx_gt_i32_e64 s12, v0
	s_cbranch_execz .LBB500_79
.LBB500_78:
	v_dual_mov_b32 v1, 0 :: v_dual_add_nc_u32 v0, s8, v0
	s_delay_alu instid0(VALU_DEP_1) | instskip(NEXT) | instid1(VALU_DEP_1)
	v_lshlrev_b64 v[0:1], 3, v[0:1]
	v_add_co_u32 v0, vcc_lo, s4, v0
	s_delay_alu instid0(VALU_DEP_2)
	v_add_co_ci_u32_e32 v1, vcc_lo, s5, v1, vcc_lo
	global_store_b64 v[0:1], v[8:9], off
.LBB500_79:
	s_nop 0
	s_sendmsg sendmsg(MSG_DEALLOC_VGPRS)
	s_endpgm
.LBB500_80:
	v_mov_b32_e32 v8, s1
	s_mov_b32 s7, exec_lo
	v_cmpx_o_f32_e32 v2, v2
	s_cbranch_execz .LBB500_84
; %bb.81:
	v_mov_b32_e32 v8, s2
	s_mov_b32 s9, exec_lo
	v_cmpx_neq_f32_e32 0x7f800000, v2
; %bb.82:
	v_cmp_eq_f32_e64 s0, 0xff800000, v2
	s_delay_alu instid0(VALU_DEP_1)
	v_cndmask_b32_e64 v8, v2, s3, s0
; %bb.83:
	s_or_b32 exec_lo, exec_lo, s9
.LBB500_84:
	s_delay_alu instid0(SALU_CYCLE_1)
	s_or_b32 exec_lo, exec_lo, s7
	v_mov_b32_e32 v9, s1
	s_mov_b32 s1, exec_lo
	v_cmpx_o_f32_e32 v3, v3
	s_cbranch_execz .LBB500_88
; %bb.85:
	v_mov_b32_e32 v9, s2
	s_mov_b32 s2, exec_lo
	v_cmpx_neq_f32_e32 0x7f800000, v3
; %bb.86:
	v_cmp_eq_f32_e64 s0, 0xff800000, v3
	s_delay_alu instid0(VALU_DEP_1)
	v_cndmask_b32_e64 v9, v3, s3, s0
; %bb.87:
	s_or_b32 exec_lo, exec_lo, s2
.LBB500_88:
	s_delay_alu instid0(SALU_CYCLE_1) | instskip(NEXT) | instid1(SALU_CYCLE_1)
	s_or_b32 exec_lo, exec_lo, s1
	s_or_b32 exec_lo, exec_lo, s6
	s_and_saveexec_b32 s0, vcc_lo
	s_delay_alu instid0(SALU_CYCLE_1)
	s_xor_b32 s0, exec_lo, s0
	s_cbranch_execz .LBB500_75
.LBB500_89:
	v_mov_b32_e32 v2, 0
	s_delay_alu instid0(VALU_DEP_1) | instskip(NEXT) | instid1(VALU_DEP_1)
	v_lshlrev_b64 v[0:1], 3, v[1:2]
	v_add_co_u32 v2, vcc_lo, s4, v0
	s_delay_alu instid0(VALU_DEP_2) | instskip(SKIP_3) | instid1(SALU_CYCLE_1)
	v_add_co_ci_u32_e32 v3, vcc_lo, s5, v1, vcc_lo
	v_mov_b32_e32 v0, v12
	global_store_b64 v[2:3], v[4:5], off
	s_or_b32 exec_lo, exec_lo, s0
	s_mov_b32 s0, exec_lo
	v_cmpx_gt_i32_e64 s12, v0
	s_cbranch_execz .LBB500_76
.LBB500_90:
	v_dual_mov_b32 v2, 0 :: v_dual_add_nc_u32 v1, s8, v0
	v_add_nc_u32_e32 v0, 0x100, v0
	s_delay_alu instid0(VALU_DEP_2) | instskip(NEXT) | instid1(VALU_DEP_1)
	v_lshlrev_b64 v[1:2], 3, v[1:2]
	v_add_co_u32 v1, vcc_lo, s4, v1
	s_delay_alu instid0(VALU_DEP_2) | instskip(SKIP_2) | instid1(SALU_CYCLE_1)
	v_add_co_ci_u32_e32 v2, vcc_lo, s5, v2, vcc_lo
	global_store_b64 v[1:2], v[6:7], off
	s_or_b32 exec_lo, exec_lo, s0
	s_mov_b32 s0, exec_lo
	v_cmpx_gt_i32_e64 s12, v0
	s_cbranch_execz .LBB500_77
.LBB500_91:
	v_dual_mov_b32 v2, 0 :: v_dual_add_nc_u32 v1, s8, v0
	v_add_nc_u32_e32 v0, 0x100, v0
	s_delay_alu instid0(VALU_DEP_2) | instskip(NEXT) | instid1(VALU_DEP_1)
	v_lshlrev_b64 v[1:2], 3, v[1:2]
	v_add_co_u32 v1, vcc_lo, s4, v1
	s_delay_alu instid0(VALU_DEP_2) | instskip(SKIP_2) | instid1(SALU_CYCLE_1)
	v_add_co_ci_u32_e32 v2, vcc_lo, s5, v2, vcc_lo
	global_store_b64 v[1:2], v[10:11], off
	s_or_b32 exec_lo, exec_lo, s0
	s_mov_b32 s0, exec_lo
	v_cmpx_gt_i32_e64 s12, v0
	s_cbranch_execnz .LBB500_78
	s_branch .LBB500_79
	.section	.rodata,"a",@progbits
	.p2align	6, 0x0
	.amdhsa_kernel _ZN2at6native29vectorized_elementwise_kernelILi4EZZZNS0_22nan_to_num_kernel_cudaERNS_18TensorIteratorBaseESt8optionalIdES5_S5_ENKUlvE_clEvENKUlvE0_clEvEUlN3c107complexIfEEE_St5arrayIPcLm2EEEEviT0_T1_
		.amdhsa_group_segment_fixed_size 0
		.amdhsa_private_segment_fixed_size 0
		.amdhsa_kernarg_size 32
		.amdhsa_user_sgpr_count 15
		.amdhsa_user_sgpr_dispatch_ptr 0
		.amdhsa_user_sgpr_queue_ptr 0
		.amdhsa_user_sgpr_kernarg_segment_ptr 1
		.amdhsa_user_sgpr_dispatch_id 0
		.amdhsa_user_sgpr_private_segment_size 0
		.amdhsa_wavefront_size32 1
		.amdhsa_uses_dynamic_stack 0
		.amdhsa_enable_private_segment 0
		.amdhsa_system_sgpr_workgroup_id_x 1
		.amdhsa_system_sgpr_workgroup_id_y 0
		.amdhsa_system_sgpr_workgroup_id_z 0
		.amdhsa_system_sgpr_workgroup_info 0
		.amdhsa_system_vgpr_workitem_id 0
		.amdhsa_next_free_vgpr 14
		.amdhsa_next_free_sgpr 16
		.amdhsa_reserve_vcc 1
		.amdhsa_float_round_mode_32 0
		.amdhsa_float_round_mode_16_64 0
		.amdhsa_float_denorm_mode_32 3
		.amdhsa_float_denorm_mode_16_64 3
		.amdhsa_dx10_clamp 1
		.amdhsa_ieee_mode 1
		.amdhsa_fp16_overflow 0
		.amdhsa_workgroup_processor_mode 1
		.amdhsa_memory_ordered 1
		.amdhsa_forward_progress 0
		.amdhsa_shared_vgpr_count 0
		.amdhsa_exception_fp_ieee_invalid_op 0
		.amdhsa_exception_fp_denorm_src 0
		.amdhsa_exception_fp_ieee_div_zero 0
		.amdhsa_exception_fp_ieee_overflow 0
		.amdhsa_exception_fp_ieee_underflow 0
		.amdhsa_exception_fp_ieee_inexact 0
		.amdhsa_exception_int_div_zero 0
	.end_amdhsa_kernel
	.section	.text._ZN2at6native29vectorized_elementwise_kernelILi4EZZZNS0_22nan_to_num_kernel_cudaERNS_18TensorIteratorBaseESt8optionalIdES5_S5_ENKUlvE_clEvENKUlvE0_clEvEUlN3c107complexIfEEE_St5arrayIPcLm2EEEEviT0_T1_,"axG",@progbits,_ZN2at6native29vectorized_elementwise_kernelILi4EZZZNS0_22nan_to_num_kernel_cudaERNS_18TensorIteratorBaseESt8optionalIdES5_S5_ENKUlvE_clEvENKUlvE0_clEvEUlN3c107complexIfEEE_St5arrayIPcLm2EEEEviT0_T1_,comdat
.Lfunc_end500:
	.size	_ZN2at6native29vectorized_elementwise_kernelILi4EZZZNS0_22nan_to_num_kernel_cudaERNS_18TensorIteratorBaseESt8optionalIdES5_S5_ENKUlvE_clEvENKUlvE0_clEvEUlN3c107complexIfEEE_St5arrayIPcLm2EEEEviT0_T1_, .Lfunc_end500-_ZN2at6native29vectorized_elementwise_kernelILi4EZZZNS0_22nan_to_num_kernel_cudaERNS_18TensorIteratorBaseESt8optionalIdES5_S5_ENKUlvE_clEvENKUlvE0_clEvEUlN3c107complexIfEEE_St5arrayIPcLm2EEEEviT0_T1_
                                        ; -- End function
	.section	.AMDGPU.csdata,"",@progbits
; Kernel info:
; codeLenInByte = 2004
; NumSgprs: 18
; NumVgprs: 14
; ScratchSize: 0
; MemoryBound: 1
; FloatMode: 240
; IeeeMode: 1
; LDSByteSize: 0 bytes/workgroup (compile time only)
; SGPRBlocks: 2
; VGPRBlocks: 1
; NumSGPRsForWavesPerEU: 18
; NumVGPRsForWavesPerEU: 14
; Occupancy: 16
; WaveLimiterHint : 0
; COMPUTE_PGM_RSRC2:SCRATCH_EN: 0
; COMPUTE_PGM_RSRC2:USER_SGPR: 15
; COMPUTE_PGM_RSRC2:TRAP_HANDLER: 0
; COMPUTE_PGM_RSRC2:TGID_X_EN: 1
; COMPUTE_PGM_RSRC2:TGID_Y_EN: 0
; COMPUTE_PGM_RSRC2:TGID_Z_EN: 0
; COMPUTE_PGM_RSRC2:TIDIG_COMP_CNT: 0
	.section	.text._ZN2at6native29vectorized_elementwise_kernelILi2EZZZNS0_22nan_to_num_kernel_cudaERNS_18TensorIteratorBaseESt8optionalIdES5_S5_ENKUlvE_clEvENKUlvE0_clEvEUlN3c107complexIfEEE_St5arrayIPcLm2EEEEviT0_T1_,"axG",@progbits,_ZN2at6native29vectorized_elementwise_kernelILi2EZZZNS0_22nan_to_num_kernel_cudaERNS_18TensorIteratorBaseESt8optionalIdES5_S5_ENKUlvE_clEvENKUlvE0_clEvEUlN3c107complexIfEEE_St5arrayIPcLm2EEEEviT0_T1_,comdat
	.globl	_ZN2at6native29vectorized_elementwise_kernelILi2EZZZNS0_22nan_to_num_kernel_cudaERNS_18TensorIteratorBaseESt8optionalIdES5_S5_ENKUlvE_clEvENKUlvE0_clEvEUlN3c107complexIfEEE_St5arrayIPcLm2EEEEviT0_T1_ ; -- Begin function _ZN2at6native29vectorized_elementwise_kernelILi2EZZZNS0_22nan_to_num_kernel_cudaERNS_18TensorIteratorBaseESt8optionalIdES5_S5_ENKUlvE_clEvENKUlvE0_clEvEUlN3c107complexIfEEE_St5arrayIPcLm2EEEEviT0_T1_
	.p2align	8
	.type	_ZN2at6native29vectorized_elementwise_kernelILi2EZZZNS0_22nan_to_num_kernel_cudaERNS_18TensorIteratorBaseESt8optionalIdES5_S5_ENKUlvE_clEvENKUlvE0_clEvEUlN3c107complexIfEEE_St5arrayIPcLm2EEEEviT0_T1_,@function
_ZN2at6native29vectorized_elementwise_kernelILi2EZZZNS0_22nan_to_num_kernel_cudaERNS_18TensorIteratorBaseESt8optionalIdES5_S5_ENKUlvE_clEvENKUlvE0_clEvEUlN3c107complexIfEEE_St5arrayIPcLm2EEEEviT0_T1_: ; @_ZN2at6native29vectorized_elementwise_kernelILi2EZZZNS0_22nan_to_num_kernel_cudaERNS_18TensorIteratorBaseESt8optionalIdES5_S5_ENKUlvE_clEvENKUlvE0_clEvEUlN3c107complexIfEEE_St5arrayIPcLm2EEEEviT0_T1_
; %bb.0:
	s_load_b256 s[0:7], s[0:1], 0x0
	s_lshl_b32 s8, s15, 10
	s_waitcnt lgkmcnt(0)
	s_sub_i32 s12, s0, s8
	s_mov_b32 s0, -1
	s_cmpk_gt_i32 s12, 0x3ff
	s_cbranch_scc0 .LBB501_34
; %bb.1:
	s_ashr_i32 s9, s8, 31
	v_lshlrev_b32_e32 v13, 4, v0
	s_lshl_b64 s[10:11], s[8:9], 3
	s_delay_alu instid0(SALU_CYCLE_1) | instskip(SKIP_1) | instid1(VALU_DEP_1)
	s_add_u32 s14, s6, s10
	s_addc_u32 s15, s7, s11
	v_add_co_u32 v1, s0, s14, v13
	s_delay_alu instid0(VALU_DEP_1)
	v_add_co_ci_u32_e64 v2, null, s15, 0, s0
	global_load_b128 v[9:12], v13, s[14:15]
	v_add_co_u32 v1, vcc_lo, 0x1000, v1
	v_add_co_ci_u32_e32 v2, vcc_lo, 0, v2, vcc_lo
	s_mov_b32 s0, exec_lo
	global_load_b128 v[5:8], v[1:2], off
	v_mov_b32_e32 v1, s1
	s_waitcnt vmcnt(1)
	v_cmpx_o_f32_e32 v9, v9
	s_cbranch_execz .LBB501_5
; %bb.2:
	v_mov_b32_e32 v1, s2
	s_mov_b32 s9, exec_lo
	v_cmpx_neq_f32_e32 0x7f800000, v9
; %bb.3:
	v_cmp_eq_f32_e32 vcc_lo, 0xff800000, v9
	v_cndmask_b32_e64 v1, v9, s3, vcc_lo
; %bb.4:
	s_or_b32 exec_lo, exec_lo, s9
.LBB501_5:
	s_delay_alu instid0(SALU_CYCLE_1)
	s_or_b32 exec_lo, exec_lo, s0
	v_mov_b32_e32 v2, s1
	s_mov_b32 s0, exec_lo
	v_cmpx_o_f32_e32 v10, v10
	s_cbranch_execz .LBB501_9
; %bb.6:
	v_mov_b32_e32 v2, s2
	s_mov_b32 s9, exec_lo
	v_cmpx_neq_f32_e32 0x7f800000, v10
; %bb.7:
	v_cmp_eq_f32_e32 vcc_lo, 0xff800000, v10
	v_cndmask_b32_e64 v2, v10, s3, vcc_lo
; %bb.8:
	s_or_b32 exec_lo, exec_lo, s9
.LBB501_9:
	s_delay_alu instid0(SALU_CYCLE_1)
	s_or_b32 exec_lo, exec_lo, s0
	v_mov_b32_e32 v3, s1
	s_mov_b32 s0, exec_lo
	;; [unrolled: 16-line block ×4, first 2 shown]
	s_waitcnt vmcnt(0)
	v_cmpx_o_f32_e32 v5, v5
	s_cbranch_execz .LBB501_21
; %bb.18:
	v_mov_b32_e32 v9, s2
	s_mov_b32 s9, exec_lo
	v_cmpx_neq_f32_e32 0x7f800000, v5
; %bb.19:
	v_cmp_eq_f32_e32 vcc_lo, 0xff800000, v5
	v_cndmask_b32_e64 v9, v5, s3, vcc_lo
; %bb.20:
	s_or_b32 exec_lo, exec_lo, s9
.LBB501_21:
	s_delay_alu instid0(SALU_CYCLE_1)
	s_or_b32 exec_lo, exec_lo, s0
	v_mov_b32_e32 v10, s1
	s_mov_b32 s0, exec_lo
	v_cmpx_o_f32_e32 v6, v6
	s_cbranch_execz .LBB501_25
; %bb.22:
	v_mov_b32_e32 v10, s2
	s_mov_b32 s9, exec_lo
	v_cmpx_neq_f32_e32 0x7f800000, v6
; %bb.23:
	v_cmp_eq_f32_e32 vcc_lo, 0xff800000, v6
	v_cndmask_b32_e64 v10, v6, s3, vcc_lo
; %bb.24:
	s_or_b32 exec_lo, exec_lo, s9
.LBB501_25:
	s_delay_alu instid0(SALU_CYCLE_1)
	s_or_b32 exec_lo, exec_lo, s0
	v_mov_b32_e32 v11, s1
	s_mov_b32 s0, exec_lo
	;; [unrolled: 16-line block ×3, first 2 shown]
	v_cmpx_o_f32_e32 v8, v8
	s_cbranch_execz .LBB501_33
; %bb.30:
	v_mov_b32_e32 v12, s2
	s_mov_b32 s9, exec_lo
	v_cmpx_neq_f32_e32 0x7f800000, v8
; %bb.31:
	v_cmp_eq_f32_e32 vcc_lo, 0xff800000, v8
	v_cndmask_b32_e64 v12, v8, s3, vcc_lo
; %bb.32:
	s_or_b32 exec_lo, exec_lo, s9
.LBB501_33:
	s_delay_alu instid0(SALU_CYCLE_1) | instskip(SKIP_3) | instid1(VALU_DEP_1)
	s_or_b32 exec_lo, exec_lo, s0
	s_add_u32 s10, s4, s10
	s_addc_u32 s11, s5, s11
	v_add_co_u32 v5, s0, s10, v13
	v_add_co_ci_u32_e64 v6, null, s11, 0, s0
	s_mov_b32 s0, 0
	s_delay_alu instid0(VALU_DEP_2) | instskip(NEXT) | instid1(VALU_DEP_2)
	v_add_co_u32 v5, vcc_lo, 0x1000, v5
	v_add_co_ci_u32_e32 v6, vcc_lo, 0, v6, vcc_lo
	s_clause 0x1
	global_store_b128 v13, v[1:4], s[10:11]
	global_store_b128 v[5:6], v[9:12], off
.LBB501_34:
	s_and_b32 vcc_lo, exec_lo, s0
	s_cbranch_vccz .LBB501_79
; %bb.35:
	v_cmp_gt_i32_e32 vcc_lo, s12, v0
	v_dual_mov_b32 v11, 0 :: v_dual_mov_b32 v6, 0
	v_or_b32_e32 v1, s8, v0
	v_or_b32_e32 v12, 0x100, v0
	v_dual_mov_b32 v7, 0 :: v_dual_mov_b32 v4, v0
	s_and_saveexec_b32 s9, vcc_lo
	s_cbranch_execz .LBB501_37
; %bb.36:
	v_mov_b32_e32 v2, 0
	v_or_b32_e32 v4, 0x100, v0
	s_delay_alu instid0(VALU_DEP_2) | instskip(NEXT) | instid1(VALU_DEP_1)
	v_lshlrev_b64 v[2:3], 3, v[1:2]
	v_add_co_u32 v2, s0, s6, v2
	s_delay_alu instid0(VALU_DEP_1)
	v_add_co_ci_u32_e64 v3, s0, s7, v3, s0
	global_load_b64 v[6:7], v[2:3], off
.LBB501_37:
	s_or_b32 exec_lo, exec_lo, s9
	v_mov_b32_e32 v10, 0
	s_mov_b32 s9, exec_lo
	v_cmpx_gt_i32_e64 s12, v4
	s_cbranch_execz .LBB501_39
; %bb.38:
	v_dual_mov_b32 v3, 0 :: v_dual_add_nc_u32 v2, s8, v4
	v_add_nc_u32_e32 v4, 0x100, v4
	s_delay_alu instid0(VALU_DEP_2) | instskip(NEXT) | instid1(VALU_DEP_1)
	v_lshlrev_b64 v[2:3], 3, v[2:3]
	v_add_co_u32 v2, s0, s6, v2
	s_delay_alu instid0(VALU_DEP_1)
	v_add_co_ci_u32_e64 v3, s0, s7, v3, s0
	global_load_b64 v[10:11], v[2:3], off
.LBB501_39:
	s_or_b32 exec_lo, exec_lo, s9
	v_dual_mov_b32 v3, 0 :: v_dual_mov_b32 v8, 0
	v_mov_b32_e32 v9, 0
	s_mov_b32 s9, exec_lo
	v_cmpx_gt_i32_e64 s12, v4
	s_cbranch_execz .LBB501_41
; %bb.40:
	v_dual_mov_b32 v9, 0 :: v_dual_add_nc_u32 v8, s8, v4
	v_add_nc_u32_e32 v4, 0x100, v4
	s_delay_alu instid0(VALU_DEP_2) | instskip(NEXT) | instid1(VALU_DEP_1)
	v_lshlrev_b64 v[8:9], 3, v[8:9]
	v_add_co_u32 v8, s0, s6, v8
	s_delay_alu instid0(VALU_DEP_1)
	v_add_co_ci_u32_e64 v9, s0, s7, v9, s0
	global_load_b64 v[8:9], v[8:9], off
.LBB501_41:
	s_or_b32 exec_lo, exec_lo, s9
	v_mov_b32_e32 v2, 0
	s_mov_b32 s9, exec_lo
	v_cmpx_gt_i32_e64 s12, v4
	s_cbranch_execz .LBB501_43
; %bb.42:
	v_dual_mov_b32 v3, 0 :: v_dual_add_nc_u32 v2, s8, v4
	s_delay_alu instid0(VALU_DEP_1) | instskip(NEXT) | instid1(VALU_DEP_1)
	v_lshlrev_b64 v[2:3], 3, v[2:3]
	v_add_co_u32 v2, s0, s6, v2
	s_delay_alu instid0(VALU_DEP_1)
	v_add_co_ci_u32_e64 v3, s0, s7, v3, s0
	global_load_b64 v[2:3], v[2:3], off
.LBB501_43:
	s_or_b32 exec_lo, exec_lo, s9
	v_dual_mov_b32 v4, 0 :: v_dual_mov_b32 v5, 0
	s_and_saveexec_b32 s6, vcc_lo
	s_cbranch_execz .LBB501_53
; %bb.44:
	v_mov_b32_e32 v4, s1
	s_mov_b32 s7, exec_lo
	s_waitcnt vmcnt(0)
	v_cmpx_o_f32_e32 v6, v6
	s_cbranch_execz .LBB501_48
; %bb.45:
	v_mov_b32_e32 v4, s2
	s_mov_b32 s9, exec_lo
	v_cmpx_neq_f32_e32 0x7f800000, v6
; %bb.46:
	v_cmp_eq_f32_e64 s0, 0xff800000, v6
	s_delay_alu instid0(VALU_DEP_1)
	v_cndmask_b32_e64 v4, v6, s3, s0
; %bb.47:
	s_or_b32 exec_lo, exec_lo, s9
.LBB501_48:
	s_delay_alu instid0(SALU_CYCLE_1)
	s_or_b32 exec_lo, exec_lo, s7
	v_mov_b32_e32 v5, s1
	s_mov_b32 s7, exec_lo
	v_cmpx_o_f32_e32 v7, v7
	s_cbranch_execz .LBB501_52
; %bb.49:
	v_mov_b32_e32 v5, s2
	s_mov_b32 s9, exec_lo
	v_cmpx_neq_f32_e32 0x7f800000, v7
; %bb.50:
	v_cmp_eq_f32_e64 s0, 0xff800000, v7
	s_delay_alu instid0(VALU_DEP_1)
	v_cndmask_b32_e64 v5, v7, s3, s0
; %bb.51:
	s_or_b32 exec_lo, exec_lo, s9
.LBB501_52:
	s_delay_alu instid0(SALU_CYCLE_1)
	s_or_b32 exec_lo, exec_lo, s7
.LBB501_53:
	s_delay_alu instid0(SALU_CYCLE_1)
	s_or_b32 exec_lo, exec_lo, s6
	s_waitcnt vmcnt(0)
	v_dual_mov_b32 v6, 0 :: v_dual_mov_b32 v7, 0
	s_mov_b32 s6, exec_lo
	v_cmpx_gt_i32_e64 s12, v12
	s_cbranch_execz .LBB501_63
; %bb.54:
	v_mov_b32_e32 v6, s1
	s_mov_b32 s7, exec_lo
	v_cmpx_o_f32_e32 v10, v10
	s_cbranch_execz .LBB501_58
; %bb.55:
	v_mov_b32_e32 v6, s2
	s_mov_b32 s9, exec_lo
	v_cmpx_neq_f32_e32 0x7f800000, v10
; %bb.56:
	v_cmp_eq_f32_e64 s0, 0xff800000, v10
	s_delay_alu instid0(VALU_DEP_1)
	v_cndmask_b32_e64 v6, v10, s3, s0
; %bb.57:
	s_or_b32 exec_lo, exec_lo, s9
.LBB501_58:
	s_delay_alu instid0(SALU_CYCLE_1)
	s_or_b32 exec_lo, exec_lo, s7
	v_mov_b32_e32 v7, s1
	s_mov_b32 s7, exec_lo
	v_cmpx_o_f32_e32 v11, v11
	s_cbranch_execz .LBB501_62
; %bb.59:
	v_mov_b32_e32 v7, s2
	s_mov_b32 s9, exec_lo
	v_cmpx_neq_f32_e32 0x7f800000, v11
; %bb.60:
	v_cmp_eq_f32_e64 s0, 0xff800000, v11
	s_delay_alu instid0(VALU_DEP_1)
	v_cndmask_b32_e64 v7, v11, s3, s0
; %bb.61:
	s_or_b32 exec_lo, exec_lo, s9
.LBB501_62:
	s_delay_alu instid0(SALU_CYCLE_1)
	s_or_b32 exec_lo, exec_lo, s7
.LBB501_63:
	s_delay_alu instid0(SALU_CYCLE_1) | instskip(SKIP_2) | instid1(VALU_DEP_2)
	s_or_b32 exec_lo, exec_lo, s6
	v_or_b32_e32 v11, 0x200, v0
	v_mov_b32_e32 v10, 0
	v_cmp_gt_i32_e64 s0, s12, v11
	v_mov_b32_e32 v11, 0
	s_delay_alu instid0(VALU_DEP_2)
	s_and_saveexec_b32 s6, s0
	s_cbranch_execz .LBB501_73
; %bb.64:
	v_mov_b32_e32 v10, s1
	s_mov_b32 s7, exec_lo
	v_cmpx_o_f32_e32 v8, v8
	s_cbranch_execz .LBB501_68
; %bb.65:
	v_mov_b32_e32 v10, s2
	s_mov_b32 s9, exec_lo
	v_cmpx_neq_f32_e32 0x7f800000, v8
; %bb.66:
	v_cmp_eq_f32_e64 s0, 0xff800000, v8
	s_delay_alu instid0(VALU_DEP_1)
	v_cndmask_b32_e64 v10, v8, s3, s0
; %bb.67:
	s_or_b32 exec_lo, exec_lo, s9
.LBB501_68:
	s_delay_alu instid0(SALU_CYCLE_1)
	s_or_b32 exec_lo, exec_lo, s7
	v_mov_b32_e32 v11, s1
	s_mov_b32 s7, exec_lo
	v_cmpx_o_f32_e32 v9, v9
	s_cbranch_execz .LBB501_72
; %bb.69:
	v_mov_b32_e32 v11, s2
	s_mov_b32 s9, exec_lo
	v_cmpx_neq_f32_e32 0x7f800000, v9
; %bb.70:
	v_cmp_eq_f32_e64 s0, 0xff800000, v9
	s_delay_alu instid0(VALU_DEP_1)
	v_cndmask_b32_e64 v11, v9, s3, s0
; %bb.71:
	s_or_b32 exec_lo, exec_lo, s9
.LBB501_72:
	s_delay_alu instid0(SALU_CYCLE_1)
	s_or_b32 exec_lo, exec_lo, s7
.LBB501_73:
	s_delay_alu instid0(SALU_CYCLE_1) | instskip(SKIP_2) | instid1(VALU_DEP_2)
	s_or_b32 exec_lo, exec_lo, s6
	v_or_b32_e32 v9, 0x300, v0
	v_mov_b32_e32 v8, 0
	v_cmp_gt_i32_e64 s0, s12, v9
	v_mov_b32_e32 v9, 0
	s_delay_alu instid0(VALU_DEP_2)
	s_and_saveexec_b32 s6, s0
	s_cbranch_execnz .LBB501_80
; %bb.74:
	s_or_b32 exec_lo, exec_lo, s6
	s_and_saveexec_b32 s0, vcc_lo
	s_delay_alu instid0(SALU_CYCLE_1)
	s_xor_b32 s0, exec_lo, s0
	s_cbranch_execnz .LBB501_89
.LBB501_75:
	s_or_b32 exec_lo, exec_lo, s0
	s_delay_alu instid0(SALU_CYCLE_1)
	s_mov_b32 s0, exec_lo
	v_cmpx_gt_i32_e64 s12, v0
	s_cbranch_execnz .LBB501_90
.LBB501_76:
	s_or_b32 exec_lo, exec_lo, s0
	s_delay_alu instid0(SALU_CYCLE_1)
	s_mov_b32 s0, exec_lo
	v_cmpx_gt_i32_e64 s12, v0
	s_cbranch_execnz .LBB501_91
.LBB501_77:
	s_or_b32 exec_lo, exec_lo, s0
	s_delay_alu instid0(SALU_CYCLE_1)
	s_mov_b32 s0, exec_lo
	v_cmpx_gt_i32_e64 s12, v0
	s_cbranch_execz .LBB501_79
.LBB501_78:
	v_dual_mov_b32 v1, 0 :: v_dual_add_nc_u32 v0, s8, v0
	s_delay_alu instid0(VALU_DEP_1) | instskip(NEXT) | instid1(VALU_DEP_1)
	v_lshlrev_b64 v[0:1], 3, v[0:1]
	v_add_co_u32 v0, vcc_lo, s4, v0
	s_delay_alu instid0(VALU_DEP_2)
	v_add_co_ci_u32_e32 v1, vcc_lo, s5, v1, vcc_lo
	global_store_b64 v[0:1], v[8:9], off
.LBB501_79:
	s_nop 0
	s_sendmsg sendmsg(MSG_DEALLOC_VGPRS)
	s_endpgm
.LBB501_80:
	v_mov_b32_e32 v8, s1
	s_mov_b32 s7, exec_lo
	v_cmpx_o_f32_e32 v2, v2
	s_cbranch_execz .LBB501_84
; %bb.81:
	v_mov_b32_e32 v8, s2
	s_mov_b32 s9, exec_lo
	v_cmpx_neq_f32_e32 0x7f800000, v2
; %bb.82:
	v_cmp_eq_f32_e64 s0, 0xff800000, v2
	s_delay_alu instid0(VALU_DEP_1)
	v_cndmask_b32_e64 v8, v2, s3, s0
; %bb.83:
	s_or_b32 exec_lo, exec_lo, s9
.LBB501_84:
	s_delay_alu instid0(SALU_CYCLE_1)
	s_or_b32 exec_lo, exec_lo, s7
	v_mov_b32_e32 v9, s1
	s_mov_b32 s1, exec_lo
	v_cmpx_o_f32_e32 v3, v3
	s_cbranch_execz .LBB501_88
; %bb.85:
	v_mov_b32_e32 v9, s2
	s_mov_b32 s2, exec_lo
	v_cmpx_neq_f32_e32 0x7f800000, v3
; %bb.86:
	v_cmp_eq_f32_e64 s0, 0xff800000, v3
	s_delay_alu instid0(VALU_DEP_1)
	v_cndmask_b32_e64 v9, v3, s3, s0
; %bb.87:
	s_or_b32 exec_lo, exec_lo, s2
.LBB501_88:
	s_delay_alu instid0(SALU_CYCLE_1) | instskip(NEXT) | instid1(SALU_CYCLE_1)
	s_or_b32 exec_lo, exec_lo, s1
	s_or_b32 exec_lo, exec_lo, s6
	s_and_saveexec_b32 s0, vcc_lo
	s_delay_alu instid0(SALU_CYCLE_1)
	s_xor_b32 s0, exec_lo, s0
	s_cbranch_execz .LBB501_75
.LBB501_89:
	v_mov_b32_e32 v2, 0
	s_delay_alu instid0(VALU_DEP_1) | instskip(NEXT) | instid1(VALU_DEP_1)
	v_lshlrev_b64 v[0:1], 3, v[1:2]
	v_add_co_u32 v2, vcc_lo, s4, v0
	s_delay_alu instid0(VALU_DEP_2) | instskip(SKIP_3) | instid1(SALU_CYCLE_1)
	v_add_co_ci_u32_e32 v3, vcc_lo, s5, v1, vcc_lo
	v_mov_b32_e32 v0, v12
	global_store_b64 v[2:3], v[4:5], off
	s_or_b32 exec_lo, exec_lo, s0
	s_mov_b32 s0, exec_lo
	v_cmpx_gt_i32_e64 s12, v0
	s_cbranch_execz .LBB501_76
.LBB501_90:
	v_dual_mov_b32 v2, 0 :: v_dual_add_nc_u32 v1, s8, v0
	v_add_nc_u32_e32 v0, 0x100, v0
	s_delay_alu instid0(VALU_DEP_2) | instskip(NEXT) | instid1(VALU_DEP_1)
	v_lshlrev_b64 v[1:2], 3, v[1:2]
	v_add_co_u32 v1, vcc_lo, s4, v1
	s_delay_alu instid0(VALU_DEP_2) | instskip(SKIP_2) | instid1(SALU_CYCLE_1)
	v_add_co_ci_u32_e32 v2, vcc_lo, s5, v2, vcc_lo
	global_store_b64 v[1:2], v[6:7], off
	s_or_b32 exec_lo, exec_lo, s0
	s_mov_b32 s0, exec_lo
	v_cmpx_gt_i32_e64 s12, v0
	s_cbranch_execz .LBB501_77
.LBB501_91:
	v_dual_mov_b32 v2, 0 :: v_dual_add_nc_u32 v1, s8, v0
	v_add_nc_u32_e32 v0, 0x100, v0
	s_delay_alu instid0(VALU_DEP_2) | instskip(NEXT) | instid1(VALU_DEP_1)
	v_lshlrev_b64 v[1:2], 3, v[1:2]
	v_add_co_u32 v1, vcc_lo, s4, v1
	s_delay_alu instid0(VALU_DEP_2) | instskip(SKIP_2) | instid1(SALU_CYCLE_1)
	v_add_co_ci_u32_e32 v2, vcc_lo, s5, v2, vcc_lo
	global_store_b64 v[1:2], v[10:11], off
	s_or_b32 exec_lo, exec_lo, s0
	s_mov_b32 s0, exec_lo
	v_cmpx_gt_i32_e64 s12, v0
	s_cbranch_execnz .LBB501_78
	s_branch .LBB501_79
	.section	.rodata,"a",@progbits
	.p2align	6, 0x0
	.amdhsa_kernel _ZN2at6native29vectorized_elementwise_kernelILi2EZZZNS0_22nan_to_num_kernel_cudaERNS_18TensorIteratorBaseESt8optionalIdES5_S5_ENKUlvE_clEvENKUlvE0_clEvEUlN3c107complexIfEEE_St5arrayIPcLm2EEEEviT0_T1_
		.amdhsa_group_segment_fixed_size 0
		.amdhsa_private_segment_fixed_size 0
		.amdhsa_kernarg_size 32
		.amdhsa_user_sgpr_count 15
		.amdhsa_user_sgpr_dispatch_ptr 0
		.amdhsa_user_sgpr_queue_ptr 0
		.amdhsa_user_sgpr_kernarg_segment_ptr 1
		.amdhsa_user_sgpr_dispatch_id 0
		.amdhsa_user_sgpr_private_segment_size 0
		.amdhsa_wavefront_size32 1
		.amdhsa_uses_dynamic_stack 0
		.amdhsa_enable_private_segment 0
		.amdhsa_system_sgpr_workgroup_id_x 1
		.amdhsa_system_sgpr_workgroup_id_y 0
		.amdhsa_system_sgpr_workgroup_id_z 0
		.amdhsa_system_sgpr_workgroup_info 0
		.amdhsa_system_vgpr_workitem_id 0
		.amdhsa_next_free_vgpr 14
		.amdhsa_next_free_sgpr 16
		.amdhsa_reserve_vcc 1
		.amdhsa_float_round_mode_32 0
		.amdhsa_float_round_mode_16_64 0
		.amdhsa_float_denorm_mode_32 3
		.amdhsa_float_denorm_mode_16_64 3
		.amdhsa_dx10_clamp 1
		.amdhsa_ieee_mode 1
		.amdhsa_fp16_overflow 0
		.amdhsa_workgroup_processor_mode 1
		.amdhsa_memory_ordered 1
		.amdhsa_forward_progress 0
		.amdhsa_shared_vgpr_count 0
		.amdhsa_exception_fp_ieee_invalid_op 0
		.amdhsa_exception_fp_denorm_src 0
		.amdhsa_exception_fp_ieee_div_zero 0
		.amdhsa_exception_fp_ieee_overflow 0
		.amdhsa_exception_fp_ieee_underflow 0
		.amdhsa_exception_fp_ieee_inexact 0
		.amdhsa_exception_int_div_zero 0
	.end_amdhsa_kernel
	.section	.text._ZN2at6native29vectorized_elementwise_kernelILi2EZZZNS0_22nan_to_num_kernel_cudaERNS_18TensorIteratorBaseESt8optionalIdES5_S5_ENKUlvE_clEvENKUlvE0_clEvEUlN3c107complexIfEEE_St5arrayIPcLm2EEEEviT0_T1_,"axG",@progbits,_ZN2at6native29vectorized_elementwise_kernelILi2EZZZNS0_22nan_to_num_kernel_cudaERNS_18TensorIteratorBaseESt8optionalIdES5_S5_ENKUlvE_clEvENKUlvE0_clEvEUlN3c107complexIfEEE_St5arrayIPcLm2EEEEviT0_T1_,comdat
.Lfunc_end501:
	.size	_ZN2at6native29vectorized_elementwise_kernelILi2EZZZNS0_22nan_to_num_kernel_cudaERNS_18TensorIteratorBaseESt8optionalIdES5_S5_ENKUlvE_clEvENKUlvE0_clEvEUlN3c107complexIfEEE_St5arrayIPcLm2EEEEviT0_T1_, .Lfunc_end501-_ZN2at6native29vectorized_elementwise_kernelILi2EZZZNS0_22nan_to_num_kernel_cudaERNS_18TensorIteratorBaseESt8optionalIdES5_S5_ENKUlvE_clEvENKUlvE0_clEvEUlN3c107complexIfEEE_St5arrayIPcLm2EEEEviT0_T1_
                                        ; -- End function
	.section	.AMDGPU.csdata,"",@progbits
; Kernel info:
; codeLenInByte = 2076
; NumSgprs: 18
; NumVgprs: 14
; ScratchSize: 0
; MemoryBound: 0
; FloatMode: 240
; IeeeMode: 1
; LDSByteSize: 0 bytes/workgroup (compile time only)
; SGPRBlocks: 2
; VGPRBlocks: 1
; NumSGPRsForWavesPerEU: 18
; NumVGPRsForWavesPerEU: 14
; Occupancy: 16
; WaveLimiterHint : 1
; COMPUTE_PGM_RSRC2:SCRATCH_EN: 0
; COMPUTE_PGM_RSRC2:USER_SGPR: 15
; COMPUTE_PGM_RSRC2:TRAP_HANDLER: 0
; COMPUTE_PGM_RSRC2:TGID_X_EN: 1
; COMPUTE_PGM_RSRC2:TGID_Y_EN: 0
; COMPUTE_PGM_RSRC2:TGID_Z_EN: 0
; COMPUTE_PGM_RSRC2:TIDIG_COMP_CNT: 0
	.section	.text._ZN2at6native27unrolled_elementwise_kernelIZZZNS0_22nan_to_num_kernel_cudaERNS_18TensorIteratorBaseESt8optionalIdES5_S5_ENKUlvE_clEvENKUlvE0_clEvEUlN3c107complexIfEEE_St5arrayIPcLm2EELi4E23TrivialOffsetCalculatorILi1EjESG_NS0_6memory15LoadWithoutCastENSH_16StoreWithoutCastEEEviT_T0_T2_T3_T4_T5_,"axG",@progbits,_ZN2at6native27unrolled_elementwise_kernelIZZZNS0_22nan_to_num_kernel_cudaERNS_18TensorIteratorBaseESt8optionalIdES5_S5_ENKUlvE_clEvENKUlvE0_clEvEUlN3c107complexIfEEE_St5arrayIPcLm2EELi4E23TrivialOffsetCalculatorILi1EjESG_NS0_6memory15LoadWithoutCastENSH_16StoreWithoutCastEEEviT_T0_T2_T3_T4_T5_,comdat
	.globl	_ZN2at6native27unrolled_elementwise_kernelIZZZNS0_22nan_to_num_kernel_cudaERNS_18TensorIteratorBaseESt8optionalIdES5_S5_ENKUlvE_clEvENKUlvE0_clEvEUlN3c107complexIfEEE_St5arrayIPcLm2EELi4E23TrivialOffsetCalculatorILi1EjESG_NS0_6memory15LoadWithoutCastENSH_16StoreWithoutCastEEEviT_T0_T2_T3_T4_T5_ ; -- Begin function _ZN2at6native27unrolled_elementwise_kernelIZZZNS0_22nan_to_num_kernel_cudaERNS_18TensorIteratorBaseESt8optionalIdES5_S5_ENKUlvE_clEvENKUlvE0_clEvEUlN3c107complexIfEEE_St5arrayIPcLm2EELi4E23TrivialOffsetCalculatorILi1EjESG_NS0_6memory15LoadWithoutCastENSH_16StoreWithoutCastEEEviT_T0_T2_T3_T4_T5_
	.p2align	8
	.type	_ZN2at6native27unrolled_elementwise_kernelIZZZNS0_22nan_to_num_kernel_cudaERNS_18TensorIteratorBaseESt8optionalIdES5_S5_ENKUlvE_clEvENKUlvE0_clEvEUlN3c107complexIfEEE_St5arrayIPcLm2EELi4E23TrivialOffsetCalculatorILi1EjESG_NS0_6memory15LoadWithoutCastENSH_16StoreWithoutCastEEEviT_T0_T2_T3_T4_T5_,@function
_ZN2at6native27unrolled_elementwise_kernelIZZZNS0_22nan_to_num_kernel_cudaERNS_18TensorIteratorBaseESt8optionalIdES5_S5_ENKUlvE_clEvENKUlvE0_clEvEUlN3c107complexIfEEE_St5arrayIPcLm2EELi4E23TrivialOffsetCalculatorILi1EjESG_NS0_6memory15LoadWithoutCastENSH_16StoreWithoutCastEEEviT_T0_T2_T3_T4_T5_: ; @_ZN2at6native27unrolled_elementwise_kernelIZZZNS0_22nan_to_num_kernel_cudaERNS_18TensorIteratorBaseESt8optionalIdES5_S5_ENKUlvE_clEvENKUlvE0_clEvEUlN3c107complexIfEEE_St5arrayIPcLm2EELi4E23TrivialOffsetCalculatorILi1EjESG_NS0_6memory15LoadWithoutCastENSH_16StoreWithoutCastEEEviT_T0_T2_T3_T4_T5_
; %bb.0:
	s_load_b256 s[0:7], s[0:1], 0x0
	s_lshl_b32 s8, s15, 10
	v_dual_mov_b32 v11, 0 :: v_dual_mov_b32 v6, 0
	v_dual_mov_b32 v7, 0 :: v_dual_mov_b32 v4, v0
	v_or_b32_e32 v1, s8, v0
	v_or_b32_e32 v12, 0x100, v0
	s_waitcnt lgkmcnt(0)
	s_sub_i32 s9, s0, s8
	s_delay_alu instid0(SALU_CYCLE_1)
	v_cmp_gt_i32_e32 vcc_lo, s9, v0
	s_and_saveexec_b32 s10, vcc_lo
	s_cbranch_execz .LBB502_2
; %bb.1:
	v_mov_b32_e32 v2, 0
	v_or_b32_e32 v4, 0x100, v0
	s_delay_alu instid0(VALU_DEP_2) | instskip(NEXT) | instid1(VALU_DEP_1)
	v_lshlrev_b64 v[2:3], 3, v[1:2]
	v_add_co_u32 v2, s0, s6, v2
	s_delay_alu instid0(VALU_DEP_1)
	v_add_co_ci_u32_e64 v3, s0, s7, v3, s0
	global_load_b64 v[6:7], v[2:3], off
.LBB502_2:
	s_or_b32 exec_lo, exec_lo, s10
	v_mov_b32_e32 v10, 0
	s_mov_b32 s10, exec_lo
	v_cmpx_gt_i32_e64 s9, v4
	s_cbranch_execz .LBB502_4
; %bb.3:
	v_dual_mov_b32 v3, 0 :: v_dual_add_nc_u32 v2, s8, v4
	v_add_nc_u32_e32 v4, 0x100, v4
	s_delay_alu instid0(VALU_DEP_2) | instskip(NEXT) | instid1(VALU_DEP_1)
	v_lshlrev_b64 v[2:3], 3, v[2:3]
	v_add_co_u32 v2, s0, s6, v2
	s_delay_alu instid0(VALU_DEP_1)
	v_add_co_ci_u32_e64 v3, s0, s7, v3, s0
	global_load_b64 v[10:11], v[2:3], off
.LBB502_4:
	s_or_b32 exec_lo, exec_lo, s10
	v_dual_mov_b32 v3, 0 :: v_dual_mov_b32 v8, 0
	v_mov_b32_e32 v9, 0
	s_mov_b32 s10, exec_lo
	v_cmpx_gt_i32_e64 s9, v4
	s_cbranch_execz .LBB502_6
; %bb.5:
	v_dual_mov_b32 v9, 0 :: v_dual_add_nc_u32 v8, s8, v4
	v_add_nc_u32_e32 v4, 0x100, v4
	s_delay_alu instid0(VALU_DEP_2) | instskip(NEXT) | instid1(VALU_DEP_1)
	v_lshlrev_b64 v[8:9], 3, v[8:9]
	v_add_co_u32 v8, s0, s6, v8
	s_delay_alu instid0(VALU_DEP_1)
	v_add_co_ci_u32_e64 v9, s0, s7, v9, s0
	global_load_b64 v[8:9], v[8:9], off
.LBB502_6:
	s_or_b32 exec_lo, exec_lo, s10
	v_mov_b32_e32 v2, 0
	s_mov_b32 s10, exec_lo
	v_cmpx_gt_i32_e64 s9, v4
	s_cbranch_execz .LBB502_8
; %bb.7:
	v_dual_mov_b32 v3, 0 :: v_dual_add_nc_u32 v2, s8, v4
	s_delay_alu instid0(VALU_DEP_1) | instskip(NEXT) | instid1(VALU_DEP_1)
	v_lshlrev_b64 v[2:3], 3, v[2:3]
	v_add_co_u32 v2, s0, s6, v2
	s_delay_alu instid0(VALU_DEP_1)
	v_add_co_ci_u32_e64 v3, s0, s7, v3, s0
	global_load_b64 v[2:3], v[2:3], off
.LBB502_8:
	s_or_b32 exec_lo, exec_lo, s10
	v_dual_mov_b32 v4, 0 :: v_dual_mov_b32 v5, 0
	s_and_saveexec_b32 s6, vcc_lo
	s_cbranch_execz .LBB502_18
; %bb.9:
	v_mov_b32_e32 v4, s1
	s_mov_b32 s7, exec_lo
	s_waitcnt vmcnt(0)
	v_cmpx_o_f32_e32 v6, v6
	s_cbranch_execz .LBB502_13
; %bb.10:
	v_mov_b32_e32 v4, s2
	s_mov_b32 s10, exec_lo
	v_cmpx_neq_f32_e32 0x7f800000, v6
; %bb.11:
	v_cmp_eq_f32_e64 s0, 0xff800000, v6
	s_delay_alu instid0(VALU_DEP_1)
	v_cndmask_b32_e64 v4, v6, s3, s0
; %bb.12:
	s_or_b32 exec_lo, exec_lo, s10
.LBB502_13:
	s_delay_alu instid0(SALU_CYCLE_1)
	s_or_b32 exec_lo, exec_lo, s7
	v_mov_b32_e32 v5, s1
	s_mov_b32 s7, exec_lo
	v_cmpx_o_f32_e32 v7, v7
	s_cbranch_execz .LBB502_17
; %bb.14:
	v_mov_b32_e32 v5, s2
	s_mov_b32 s10, exec_lo
	v_cmpx_neq_f32_e32 0x7f800000, v7
; %bb.15:
	v_cmp_eq_f32_e64 s0, 0xff800000, v7
	s_delay_alu instid0(VALU_DEP_1)
	v_cndmask_b32_e64 v5, v7, s3, s0
; %bb.16:
	s_or_b32 exec_lo, exec_lo, s10
.LBB502_17:
	s_delay_alu instid0(SALU_CYCLE_1)
	s_or_b32 exec_lo, exec_lo, s7
.LBB502_18:
	s_delay_alu instid0(SALU_CYCLE_1)
	s_or_b32 exec_lo, exec_lo, s6
	s_waitcnt vmcnt(0)
	v_dual_mov_b32 v6, 0 :: v_dual_mov_b32 v7, 0
	s_mov_b32 s6, exec_lo
	v_cmpx_gt_i32_e64 s9, v12
	s_cbranch_execz .LBB502_28
; %bb.19:
	v_mov_b32_e32 v6, s1
	s_mov_b32 s7, exec_lo
	v_cmpx_o_f32_e32 v10, v10
	s_cbranch_execz .LBB502_23
; %bb.20:
	v_mov_b32_e32 v6, s2
	s_mov_b32 s10, exec_lo
	v_cmpx_neq_f32_e32 0x7f800000, v10
; %bb.21:
	v_cmp_eq_f32_e64 s0, 0xff800000, v10
	s_delay_alu instid0(VALU_DEP_1)
	v_cndmask_b32_e64 v6, v10, s3, s0
; %bb.22:
	s_or_b32 exec_lo, exec_lo, s10
.LBB502_23:
	s_delay_alu instid0(SALU_CYCLE_1)
	s_or_b32 exec_lo, exec_lo, s7
	v_mov_b32_e32 v7, s1
	s_mov_b32 s7, exec_lo
	v_cmpx_o_f32_e32 v11, v11
	s_cbranch_execz .LBB502_27
; %bb.24:
	v_mov_b32_e32 v7, s2
	s_mov_b32 s10, exec_lo
	v_cmpx_neq_f32_e32 0x7f800000, v11
; %bb.25:
	v_cmp_eq_f32_e64 s0, 0xff800000, v11
	s_delay_alu instid0(VALU_DEP_1)
	v_cndmask_b32_e64 v7, v11, s3, s0
; %bb.26:
	s_or_b32 exec_lo, exec_lo, s10
.LBB502_27:
	s_delay_alu instid0(SALU_CYCLE_1)
	s_or_b32 exec_lo, exec_lo, s7
.LBB502_28:
	s_delay_alu instid0(SALU_CYCLE_1) | instskip(SKIP_2) | instid1(VALU_DEP_2)
	s_or_b32 exec_lo, exec_lo, s6
	v_or_b32_e32 v11, 0x200, v0
	v_mov_b32_e32 v10, 0
	v_cmp_gt_i32_e64 s0, s9, v11
	v_mov_b32_e32 v11, 0
	s_delay_alu instid0(VALU_DEP_2)
	s_and_saveexec_b32 s6, s0
	s_cbranch_execz .LBB502_38
; %bb.29:
	v_mov_b32_e32 v10, s1
	s_mov_b32 s7, exec_lo
	v_cmpx_o_f32_e32 v8, v8
	s_cbranch_execz .LBB502_33
; %bb.30:
	v_mov_b32_e32 v10, s2
	s_mov_b32 s10, exec_lo
	v_cmpx_neq_f32_e32 0x7f800000, v8
; %bb.31:
	v_cmp_eq_f32_e64 s0, 0xff800000, v8
	s_delay_alu instid0(VALU_DEP_1)
	v_cndmask_b32_e64 v10, v8, s3, s0
; %bb.32:
	s_or_b32 exec_lo, exec_lo, s10
.LBB502_33:
	s_delay_alu instid0(SALU_CYCLE_1)
	s_or_b32 exec_lo, exec_lo, s7
	v_mov_b32_e32 v11, s1
	s_mov_b32 s7, exec_lo
	v_cmpx_o_f32_e32 v9, v9
	s_cbranch_execz .LBB502_37
; %bb.34:
	v_mov_b32_e32 v11, s2
	s_mov_b32 s10, exec_lo
	v_cmpx_neq_f32_e32 0x7f800000, v9
; %bb.35:
	v_cmp_eq_f32_e64 s0, 0xff800000, v9
	s_delay_alu instid0(VALU_DEP_1)
	v_cndmask_b32_e64 v11, v9, s3, s0
; %bb.36:
	s_or_b32 exec_lo, exec_lo, s10
.LBB502_37:
	s_delay_alu instid0(SALU_CYCLE_1)
	s_or_b32 exec_lo, exec_lo, s7
.LBB502_38:
	s_delay_alu instid0(SALU_CYCLE_1) | instskip(SKIP_2) | instid1(VALU_DEP_2)
	s_or_b32 exec_lo, exec_lo, s6
	v_or_b32_e32 v9, 0x300, v0
	v_mov_b32_e32 v8, 0
	v_cmp_gt_i32_e64 s0, s9, v9
	v_mov_b32_e32 v9, 0
	s_delay_alu instid0(VALU_DEP_2)
	s_and_saveexec_b32 s6, s0
	s_cbranch_execnz .LBB502_44
; %bb.39:
	s_or_b32 exec_lo, exec_lo, s6
	s_and_saveexec_b32 s0, vcc_lo
	s_delay_alu instid0(SALU_CYCLE_1)
	s_xor_b32 s0, exec_lo, s0
	s_cbranch_execnz .LBB502_53
.LBB502_40:
	s_or_b32 exec_lo, exec_lo, s0
	s_delay_alu instid0(SALU_CYCLE_1)
	s_mov_b32 s0, exec_lo
	v_cmpx_gt_i32_e64 s9, v0
	s_cbranch_execnz .LBB502_54
.LBB502_41:
	s_or_b32 exec_lo, exec_lo, s0
	s_delay_alu instid0(SALU_CYCLE_1)
	s_mov_b32 s0, exec_lo
	v_cmpx_gt_i32_e64 s9, v0
	s_cbranch_execnz .LBB502_55
.LBB502_42:
	s_or_b32 exec_lo, exec_lo, s0
	s_delay_alu instid0(SALU_CYCLE_1)
	s_mov_b32 s0, exec_lo
	v_cmpx_gt_i32_e64 s9, v0
	s_cbranch_execnz .LBB502_56
.LBB502_43:
	s_nop 0
	s_sendmsg sendmsg(MSG_DEALLOC_VGPRS)
	s_endpgm
.LBB502_44:
	v_mov_b32_e32 v8, s1
	s_mov_b32 s7, exec_lo
	v_cmpx_o_f32_e32 v2, v2
	s_cbranch_execz .LBB502_48
; %bb.45:
	v_mov_b32_e32 v8, s2
	s_mov_b32 s10, exec_lo
	v_cmpx_neq_f32_e32 0x7f800000, v2
; %bb.46:
	v_cmp_eq_f32_e64 s0, 0xff800000, v2
	s_delay_alu instid0(VALU_DEP_1)
	v_cndmask_b32_e64 v8, v2, s3, s0
; %bb.47:
	s_or_b32 exec_lo, exec_lo, s10
.LBB502_48:
	s_delay_alu instid0(SALU_CYCLE_1)
	s_or_b32 exec_lo, exec_lo, s7
	v_mov_b32_e32 v9, s1
	s_mov_b32 s1, exec_lo
	v_cmpx_o_f32_e32 v3, v3
	s_cbranch_execz .LBB502_52
; %bb.49:
	v_mov_b32_e32 v9, s2
	s_mov_b32 s2, exec_lo
	v_cmpx_neq_f32_e32 0x7f800000, v3
; %bb.50:
	v_cmp_eq_f32_e64 s0, 0xff800000, v3
	s_delay_alu instid0(VALU_DEP_1)
	v_cndmask_b32_e64 v9, v3, s3, s0
; %bb.51:
	s_or_b32 exec_lo, exec_lo, s2
.LBB502_52:
	s_delay_alu instid0(SALU_CYCLE_1) | instskip(NEXT) | instid1(SALU_CYCLE_1)
	s_or_b32 exec_lo, exec_lo, s1
	s_or_b32 exec_lo, exec_lo, s6
	s_and_saveexec_b32 s0, vcc_lo
	s_delay_alu instid0(SALU_CYCLE_1)
	s_xor_b32 s0, exec_lo, s0
	s_cbranch_execz .LBB502_40
.LBB502_53:
	v_mov_b32_e32 v2, 0
	s_delay_alu instid0(VALU_DEP_1) | instskip(NEXT) | instid1(VALU_DEP_1)
	v_lshlrev_b64 v[0:1], 3, v[1:2]
	v_add_co_u32 v2, vcc_lo, s4, v0
	s_delay_alu instid0(VALU_DEP_2) | instskip(SKIP_3) | instid1(SALU_CYCLE_1)
	v_add_co_ci_u32_e32 v3, vcc_lo, s5, v1, vcc_lo
	v_mov_b32_e32 v0, v12
	global_store_b64 v[2:3], v[4:5], off
	s_or_b32 exec_lo, exec_lo, s0
	s_mov_b32 s0, exec_lo
	v_cmpx_gt_i32_e64 s9, v0
	s_cbranch_execz .LBB502_41
.LBB502_54:
	v_dual_mov_b32 v2, 0 :: v_dual_add_nc_u32 v1, s8, v0
	v_add_nc_u32_e32 v0, 0x100, v0
	s_delay_alu instid0(VALU_DEP_2) | instskip(NEXT) | instid1(VALU_DEP_1)
	v_lshlrev_b64 v[1:2], 3, v[1:2]
	v_add_co_u32 v1, vcc_lo, s4, v1
	s_delay_alu instid0(VALU_DEP_2) | instskip(SKIP_2) | instid1(SALU_CYCLE_1)
	v_add_co_ci_u32_e32 v2, vcc_lo, s5, v2, vcc_lo
	global_store_b64 v[1:2], v[6:7], off
	s_or_b32 exec_lo, exec_lo, s0
	s_mov_b32 s0, exec_lo
	v_cmpx_gt_i32_e64 s9, v0
	s_cbranch_execz .LBB502_42
.LBB502_55:
	v_dual_mov_b32 v2, 0 :: v_dual_add_nc_u32 v1, s8, v0
	v_add_nc_u32_e32 v0, 0x100, v0
	s_delay_alu instid0(VALU_DEP_2) | instskip(NEXT) | instid1(VALU_DEP_1)
	v_lshlrev_b64 v[1:2], 3, v[1:2]
	v_add_co_u32 v1, vcc_lo, s4, v1
	s_delay_alu instid0(VALU_DEP_2) | instskip(SKIP_2) | instid1(SALU_CYCLE_1)
	v_add_co_ci_u32_e32 v2, vcc_lo, s5, v2, vcc_lo
	global_store_b64 v[1:2], v[10:11], off
	s_or_b32 exec_lo, exec_lo, s0
	s_mov_b32 s0, exec_lo
	v_cmpx_gt_i32_e64 s9, v0
	s_cbranch_execz .LBB502_43
.LBB502_56:
	v_dual_mov_b32 v1, 0 :: v_dual_add_nc_u32 v0, s8, v0
	s_delay_alu instid0(VALU_DEP_1) | instskip(NEXT) | instid1(VALU_DEP_1)
	v_lshlrev_b64 v[0:1], 3, v[0:1]
	v_add_co_u32 v0, vcc_lo, s4, v0
	s_delay_alu instid0(VALU_DEP_2)
	v_add_co_ci_u32_e32 v1, vcc_lo, s5, v1, vcc_lo
	global_store_b64 v[0:1], v[8:9], off
	s_nop 0
	s_sendmsg sendmsg(MSG_DEALLOC_VGPRS)
	s_endpgm
	.section	.rodata,"a",@progbits
	.p2align	6, 0x0
	.amdhsa_kernel _ZN2at6native27unrolled_elementwise_kernelIZZZNS0_22nan_to_num_kernel_cudaERNS_18TensorIteratorBaseESt8optionalIdES5_S5_ENKUlvE_clEvENKUlvE0_clEvEUlN3c107complexIfEEE_St5arrayIPcLm2EELi4E23TrivialOffsetCalculatorILi1EjESG_NS0_6memory15LoadWithoutCastENSH_16StoreWithoutCastEEEviT_T0_T2_T3_T4_T5_
		.amdhsa_group_segment_fixed_size 0
		.amdhsa_private_segment_fixed_size 0
		.amdhsa_kernarg_size 36
		.amdhsa_user_sgpr_count 15
		.amdhsa_user_sgpr_dispatch_ptr 0
		.amdhsa_user_sgpr_queue_ptr 0
		.amdhsa_user_sgpr_kernarg_segment_ptr 1
		.amdhsa_user_sgpr_dispatch_id 0
		.amdhsa_user_sgpr_private_segment_size 0
		.amdhsa_wavefront_size32 1
		.amdhsa_uses_dynamic_stack 0
		.amdhsa_enable_private_segment 0
		.amdhsa_system_sgpr_workgroup_id_x 1
		.amdhsa_system_sgpr_workgroup_id_y 0
		.amdhsa_system_sgpr_workgroup_id_z 0
		.amdhsa_system_sgpr_workgroup_info 0
		.amdhsa_system_vgpr_workitem_id 0
		.amdhsa_next_free_vgpr 13
		.amdhsa_next_free_sgpr 16
		.amdhsa_reserve_vcc 1
		.amdhsa_float_round_mode_32 0
		.amdhsa_float_round_mode_16_64 0
		.amdhsa_float_denorm_mode_32 3
		.amdhsa_float_denorm_mode_16_64 3
		.amdhsa_dx10_clamp 1
		.amdhsa_ieee_mode 1
		.amdhsa_fp16_overflow 0
		.amdhsa_workgroup_processor_mode 1
		.amdhsa_memory_ordered 1
		.amdhsa_forward_progress 0
		.amdhsa_shared_vgpr_count 0
		.amdhsa_exception_fp_ieee_invalid_op 0
		.amdhsa_exception_fp_denorm_src 0
		.amdhsa_exception_fp_ieee_div_zero 0
		.amdhsa_exception_fp_ieee_overflow 0
		.amdhsa_exception_fp_ieee_underflow 0
		.amdhsa_exception_fp_ieee_inexact 0
		.amdhsa_exception_int_div_zero 0
	.end_amdhsa_kernel
	.section	.text._ZN2at6native27unrolled_elementwise_kernelIZZZNS0_22nan_to_num_kernel_cudaERNS_18TensorIteratorBaseESt8optionalIdES5_S5_ENKUlvE_clEvENKUlvE0_clEvEUlN3c107complexIfEEE_St5arrayIPcLm2EELi4E23TrivialOffsetCalculatorILi1EjESG_NS0_6memory15LoadWithoutCastENSH_16StoreWithoutCastEEEviT_T0_T2_T3_T4_T5_,"axG",@progbits,_ZN2at6native27unrolled_elementwise_kernelIZZZNS0_22nan_to_num_kernel_cudaERNS_18TensorIteratorBaseESt8optionalIdES5_S5_ENKUlvE_clEvENKUlvE0_clEvEUlN3c107complexIfEEE_St5arrayIPcLm2EELi4E23TrivialOffsetCalculatorILi1EjESG_NS0_6memory15LoadWithoutCastENSH_16StoreWithoutCastEEEviT_T0_T2_T3_T4_T5_,comdat
.Lfunc_end502:
	.size	_ZN2at6native27unrolled_elementwise_kernelIZZZNS0_22nan_to_num_kernel_cudaERNS_18TensorIteratorBaseESt8optionalIdES5_S5_ENKUlvE_clEvENKUlvE0_clEvEUlN3c107complexIfEEE_St5arrayIPcLm2EELi4E23TrivialOffsetCalculatorILi1EjESG_NS0_6memory15LoadWithoutCastENSH_16StoreWithoutCastEEEviT_T0_T2_T3_T4_T5_, .Lfunc_end502-_ZN2at6native27unrolled_elementwise_kernelIZZZNS0_22nan_to_num_kernel_cudaERNS_18TensorIteratorBaseESt8optionalIdES5_S5_ENKUlvE_clEvENKUlvE0_clEvEUlN3c107complexIfEEE_St5arrayIPcLm2EELi4E23TrivialOffsetCalculatorILi1EjESG_NS0_6memory15LoadWithoutCastENSH_16StoreWithoutCastEEEviT_T0_T2_T3_T4_T5_
                                        ; -- End function
	.section	.AMDGPU.csdata,"",@progbits
; Kernel info:
; codeLenInByte = 1436
; NumSgprs: 18
; NumVgprs: 13
; ScratchSize: 0
; MemoryBound: 0
; FloatMode: 240
; IeeeMode: 1
; LDSByteSize: 0 bytes/workgroup (compile time only)
; SGPRBlocks: 2
; VGPRBlocks: 1
; NumSGPRsForWavesPerEU: 18
; NumVGPRsForWavesPerEU: 13
; Occupancy: 16
; WaveLimiterHint : 0
; COMPUTE_PGM_RSRC2:SCRATCH_EN: 0
; COMPUTE_PGM_RSRC2:USER_SGPR: 15
; COMPUTE_PGM_RSRC2:TRAP_HANDLER: 0
; COMPUTE_PGM_RSRC2:TGID_X_EN: 1
; COMPUTE_PGM_RSRC2:TGID_Y_EN: 0
; COMPUTE_PGM_RSRC2:TGID_Z_EN: 0
; COMPUTE_PGM_RSRC2:TIDIG_COMP_CNT: 0
	.section	.text._ZN2at6native32elementwise_kernel_manual_unrollILi128ELi4EZNS0_22gpu_kernel_impl_nocastIZZZNS0_22nan_to_num_kernel_cudaERNS_18TensorIteratorBaseESt8optionalIdES6_S6_ENKUlvE_clEvENKUlvE0_clEvEUlN3c107complexIfEEE_EEvS4_RKT_EUlibE_EEviT1_,"axG",@progbits,_ZN2at6native32elementwise_kernel_manual_unrollILi128ELi4EZNS0_22gpu_kernel_impl_nocastIZZZNS0_22nan_to_num_kernel_cudaERNS_18TensorIteratorBaseESt8optionalIdES6_S6_ENKUlvE_clEvENKUlvE0_clEvEUlN3c107complexIfEEE_EEvS4_RKT_EUlibE_EEviT1_,comdat
	.globl	_ZN2at6native32elementwise_kernel_manual_unrollILi128ELi4EZNS0_22gpu_kernel_impl_nocastIZZZNS0_22nan_to_num_kernel_cudaERNS_18TensorIteratorBaseESt8optionalIdES6_S6_ENKUlvE_clEvENKUlvE0_clEvEUlN3c107complexIfEEE_EEvS4_RKT_EUlibE_EEviT1_ ; -- Begin function _ZN2at6native32elementwise_kernel_manual_unrollILi128ELi4EZNS0_22gpu_kernel_impl_nocastIZZZNS0_22nan_to_num_kernel_cudaERNS_18TensorIteratorBaseESt8optionalIdES6_S6_ENKUlvE_clEvENKUlvE0_clEvEUlN3c107complexIfEEE_EEvS4_RKT_EUlibE_EEviT1_
	.p2align	8
	.type	_ZN2at6native32elementwise_kernel_manual_unrollILi128ELi4EZNS0_22gpu_kernel_impl_nocastIZZZNS0_22nan_to_num_kernel_cudaERNS_18TensorIteratorBaseESt8optionalIdES6_S6_ENKUlvE_clEvENKUlvE0_clEvEUlN3c107complexIfEEE_EEvS4_RKT_EUlibE_EEviT1_,@function
_ZN2at6native32elementwise_kernel_manual_unrollILi128ELi4EZNS0_22gpu_kernel_impl_nocastIZZZNS0_22nan_to_num_kernel_cudaERNS_18TensorIteratorBaseESt8optionalIdES6_S6_ENKUlvE_clEvENKUlvE0_clEvEUlN3c107complexIfEEE_EEvS4_RKT_EUlibE_EEviT1_: ; @_ZN2at6native32elementwise_kernel_manual_unrollILi128ELi4EZNS0_22gpu_kernel_impl_nocastIZZZNS0_22nan_to_num_kernel_cudaERNS_18TensorIteratorBaseESt8optionalIdES6_S6_ENKUlvE_clEvENKUlvE0_clEvEUlN3c107complexIfEEE_EEvS4_RKT_EUlibE_EEviT1_
; %bb.0:
	s_clause 0x1
	s_load_b32 s26, s[0:1], 0x8
	s_load_b32 s30, s[0:1], 0x0
	v_lshl_or_b32 v4, s15, 9, v0
	s_or_b32 s0, s0, 8
	s_mov_b32 s8, 0
                                        ; implicit-def: $vgpr1
                                        ; implicit-def: $vgpr14_vgpr15
	s_mov_b32 s2, exec_lo
	s_delay_alu instid0(VALU_DEP_1) | instskip(SKIP_2) | instid1(SALU_CYCLE_1)
	v_or_b32_e32 v8, 0x180, v4
	s_waitcnt lgkmcnt(0)
	s_add_i32 s27, s26, -1
	s_cmp_gt_u32 s27, 1
	s_cselect_b32 s28, -1, 0
	v_cmpx_le_i32_e64 s30, v8
	s_xor_b32 s29, exec_lo, s2
	s_cbranch_execnz .LBB503_4
; %bb.1:
	s_and_not1_saveexec_b32 s9, s29
	s_cbranch_execnz .LBB503_97
.LBB503_2:
	s_or_b32 exec_lo, exec_lo, s9
	s_and_saveexec_b32 s0, s8
	s_cbranch_execnz .LBB503_182
.LBB503_3:
	s_nop 0
	s_sendmsg sendmsg(MSG_DEALLOC_VGPRS)
	s_endpgm
.LBB503_4:
	s_clause 0x3
	s_load_b128 s[16:19], s[0:1], 0x4
	s_load_b64 s[2:3], s[0:1], 0x14
	s_load_b128 s[12:15], s[0:1], 0xc4
	s_load_b256 s[4:11], s[0:1], 0x148
	s_cmp_lg_u32 s26, 0
	s_mov_b32 s34, exec_lo
	s_cselect_b32 s33, -1, 0
	s_add_u32 s20, s0, 0xc4
	s_addc_u32 s21, s1, 0
	s_min_u32 s31, s27, 15
	s_cmp_gt_u32 s26, 1
	s_waitcnt lgkmcnt(0)
	s_cselect_b32 s11, -1, 0
	v_cmpx_gt_i32_e64 s30, v4
	s_cbranch_execnz .LBB503_7
; %bb.5:
	s_or_b32 exec_lo, exec_lo, s34
	s_delay_alu instid0(SALU_CYCLE_1)
	s_mov_b32 s34, exec_lo
	v_cmpx_gt_i32_e64 s30, v4
	s_cbranch_execnz .LBB503_29
.LBB503_6:
	s_or_b32 exec_lo, exec_lo, s34
	s_delay_alu instid0(SALU_CYCLE_1)
	s_mov_b32 s34, exec_lo
	v_cmpx_gt_i32_e64 s30, v4
	s_cbranch_execnz .LBB503_51
	s_branch .LBB503_73
.LBB503_7:
	s_and_not1_b32 vcc_lo, exec_lo, s28
	s_cbranch_vccnz .LBB503_12
; %bb.8:
	v_dual_mov_b32 v0, 0 :: v_dual_mov_b32 v1, 0
	s_and_not1_b32 vcc_lo, exec_lo, s33
	s_mov_b32 s35, 0
	s_cbranch_vccnz .LBB503_17
; %bb.9:
	v_mov_b32_e32 v0, 0
	s_add_i32 s37, s31, 1
	s_cmp_eq_u32 s27, 2
	s_mov_b32 s36, 0
	s_cbranch_scc1 .LBB503_13
; %bb.10:
	v_dual_mov_b32 v1, 0 :: v_dual_mov_b32 v0, 0
	v_mov_b32_e32 v2, v4
	s_and_b32 s36, s37, 28
	s_mov_b32 s38, 0
	s_mov_b64 s[22:23], s[20:21]
	s_mov_b64 s[24:25], s[0:1]
.LBB503_11:                             ; =>This Inner Loop Header: Depth=1
	s_clause 0x1
	s_load_b256 s[40:47], s[24:25], 0x4
	s_load_b128 s[56:59], s[24:25], 0x24
	s_load_b256 s[48:55], s[22:23], 0x0
	s_add_u32 s24, s24, 48
	s_addc_u32 s25, s25, 0
	s_add_i32 s38, s38, 4
	s_add_u32 s22, s22, 32
	s_addc_u32 s23, s23, 0
	s_cmp_lg_u32 s36, s38
	s_waitcnt lgkmcnt(0)
	v_mul_hi_u32 v3, s41, v2
	s_delay_alu instid0(VALU_DEP_1) | instskip(NEXT) | instid1(VALU_DEP_1)
	v_add_nc_u32_e32 v3, v2, v3
	v_lshrrev_b32_e32 v3, s42, v3
	s_delay_alu instid0(VALU_DEP_1) | instskip(SKIP_1) | instid1(VALU_DEP_2)
	v_mul_hi_u32 v5, s44, v3
	v_mul_lo_u32 v7, v3, s40
	v_add_nc_u32_e32 v5, v3, v5
	s_delay_alu instid0(VALU_DEP_2) | instskip(NEXT) | instid1(VALU_DEP_2)
	v_sub_nc_u32_e32 v2, v2, v7
	v_lshrrev_b32_e32 v5, s45, v5
	s_delay_alu instid0(VALU_DEP_2) | instskip(SKIP_1) | instid1(VALU_DEP_3)
	v_mul_lo_u32 v7, v2, s48
	v_mul_lo_u32 v9, v2, s49
	v_mul_hi_u32 v6, s47, v5
	s_delay_alu instid0(VALU_DEP_1) | instskip(NEXT) | instid1(VALU_DEP_1)
	v_add_nc_u32_e32 v6, v5, v6
	v_lshrrev_b32_e32 v6, s56, v6
	s_delay_alu instid0(VALU_DEP_1) | instskip(SKIP_1) | instid1(VALU_DEP_2)
	v_mul_hi_u32 v8, s58, v6
	v_mul_lo_u32 v10, v6, s46
	v_add_nc_u32_e32 v2, v6, v8
	v_mul_lo_u32 v8, v5, s43
	s_delay_alu instid0(VALU_DEP_3) | instskip(NEXT) | instid1(VALU_DEP_3)
	v_sub_nc_u32_e32 v5, v5, v10
	v_lshrrev_b32_e32 v2, s59, v2
	s_delay_alu instid0(VALU_DEP_2) | instskip(SKIP_2) | instid1(VALU_DEP_4)
	v_mul_lo_u32 v10, v5, s52
	v_mul_lo_u32 v5, v5, s53
	v_sub_nc_u32_e32 v3, v3, v8
	v_mul_lo_u32 v11, v2, s57
	s_delay_alu instid0(VALU_DEP_2) | instskip(SKIP_1) | instid1(VALU_DEP_3)
	v_mul_lo_u32 v8, v3, s50
	v_mul_lo_u32 v3, v3, s51
	v_sub_nc_u32_e32 v6, v6, v11
	s_delay_alu instid0(VALU_DEP_3) | instskip(NEXT) | instid1(VALU_DEP_2)
	v_add3_u32 v0, v7, v0, v8
	v_mul_lo_u32 v11, v6, s54
	v_mul_lo_u32 v6, v6, s55
	v_add3_u32 v1, v9, v1, v3
	s_delay_alu instid0(VALU_DEP_3) | instskip(NEXT) | instid1(VALU_DEP_2)
	v_add3_u32 v0, v10, v0, v11
	v_add3_u32 v1, v5, v1, v6
	s_cbranch_scc1 .LBB503_11
	s_branch .LBB503_14
.LBB503_12:
	s_mov_b32 s35, -1
                                        ; implicit-def: $vgpr0
                                        ; implicit-def: $vgpr1
	s_branch .LBB503_17
.LBB503_13:
	v_dual_mov_b32 v2, v4 :: v_dual_mov_b32 v1, 0
.LBB503_14:
	s_and_b32 s37, s37, 3
	s_delay_alu instid0(SALU_CYCLE_1)
	s_cmp_eq_u32 s37, 0
	s_cbranch_scc1 .LBB503_17
; %bb.15:
	s_lshl_b32 s22, s36, 3
	s_mul_i32 s24, s36, 12
	s_add_u32 s22, s22, s0
	s_addc_u32 s23, s1, 0
	s_add_u32 s22, s22, 0xc4
	s_addc_u32 s23, s23, 0
	;; [unrolled: 2-line block ×3, first 2 shown]
	.p2align	6
.LBB503_16:                             ; =>This Inner Loop Header: Depth=1
	s_clause 0x1
	s_load_b64 s[38:39], s[24:25], 0x4
	s_load_b32 s36, s[24:25], 0xc
	s_load_b64 s[40:41], s[22:23], 0x0
	s_add_u32 s24, s24, 12
	s_addc_u32 s25, s25, 0
	s_add_u32 s22, s22, 8
	s_addc_u32 s23, s23, 0
	s_add_i32 s37, s37, -1
	s_delay_alu instid0(SALU_CYCLE_1) | instskip(SKIP_2) | instid1(VALU_DEP_1)
	s_cmp_lg_u32 s37, 0
	s_waitcnt lgkmcnt(0)
	v_mul_hi_u32 v3, s39, v2
	v_add_nc_u32_e32 v3, v2, v3
	s_delay_alu instid0(VALU_DEP_1) | instskip(NEXT) | instid1(VALU_DEP_1)
	v_lshrrev_b32_e32 v3, s36, v3
	v_mul_lo_u32 v5, v3, s38
	s_delay_alu instid0(VALU_DEP_1) | instskip(NEXT) | instid1(VALU_DEP_1)
	v_sub_nc_u32_e32 v2, v2, v5
	v_mad_u64_u32 v[5:6], null, v2, s40, v[0:1]
	v_mad_u64_u32 v[6:7], null, v2, s41, v[1:2]
	v_mov_b32_e32 v2, v3
	s_delay_alu instid0(VALU_DEP_2)
	v_dual_mov_b32 v0, v5 :: v_dual_mov_b32 v1, v6
	s_cbranch_scc1 .LBB503_16
.LBB503_17:
	s_and_not1_b32 vcc_lo, exec_lo, s35
	s_cbranch_vccnz .LBB503_20
; %bb.18:
	v_mul_hi_u32 v0, s17, v4
	s_and_not1_b32 vcc_lo, exec_lo, s11
	s_delay_alu instid0(VALU_DEP_1) | instskip(NEXT) | instid1(VALU_DEP_1)
	v_add_nc_u32_e32 v0, v4, v0
	v_lshrrev_b32_e32 v2, s18, v0
	s_delay_alu instid0(VALU_DEP_1) | instskip(NEXT) | instid1(VALU_DEP_1)
	v_mul_lo_u32 v0, v2, s16
	v_sub_nc_u32_e32 v1, v4, v0
	s_delay_alu instid0(VALU_DEP_1)
	v_mul_lo_u32 v0, v1, s12
	v_mul_lo_u32 v1, v1, s13
	s_cbranch_vccnz .LBB503_20
; %bb.19:
	v_mul_hi_u32 v3, s2, v2
	s_delay_alu instid0(VALU_DEP_1) | instskip(NEXT) | instid1(VALU_DEP_1)
	v_add_nc_u32_e32 v3, v2, v3
	v_lshrrev_b32_e32 v3, s3, v3
	s_delay_alu instid0(VALU_DEP_1) | instskip(NEXT) | instid1(VALU_DEP_1)
	v_mul_lo_u32 v3, v3, s19
	v_sub_nc_u32_e32 v7, v2, v3
	s_delay_alu instid0(VALU_DEP_1) | instskip(NEXT) | instid1(VALU_DEP_1)
	v_mad_u64_u32 v[2:3], null, v7, s14, v[0:1]
	v_mad_u64_u32 v[5:6], null, v7, s15, v[1:2]
	s_delay_alu instid0(VALU_DEP_1)
	v_dual_mov_b32 v0, v2 :: v_dual_mov_b32 v1, v5
.LBB503_20:
	global_load_b64 v[2:3], v1, s[6:7]
	v_mov_b32_e32 v1, s8
	s_mov_b32 s22, exec_lo
	s_waitcnt vmcnt(0)
	v_cmpx_o_f32_e32 v2, v2
	s_cbranch_execz .LBB503_24
; %bb.21:
	v_mov_b32_e32 v1, s9
	s_mov_b32 s23, exec_lo
	v_cmpx_neq_f32_e32 0x7f800000, v2
; %bb.22:
	v_cmp_eq_f32_e32 vcc_lo, 0xff800000, v2
	v_cndmask_b32_e64 v1, v2, s10, vcc_lo
; %bb.23:
	s_or_b32 exec_lo, exec_lo, s23
.LBB503_24:
	s_delay_alu instid0(SALU_CYCLE_1)
	s_or_b32 exec_lo, exec_lo, s22
	v_mov_b32_e32 v2, s8
	s_mov_b32 s22, exec_lo
	v_cmpx_o_f32_e32 v3, v3
	s_cbranch_execz .LBB503_28
; %bb.25:
	v_mov_b32_e32 v2, s9
	s_mov_b32 s23, exec_lo
	v_cmpx_neq_f32_e32 0x7f800000, v3
; %bb.26:
	v_cmp_eq_f32_e32 vcc_lo, 0xff800000, v3
	v_cndmask_b32_e64 v2, v3, s10, vcc_lo
; %bb.27:
	s_or_b32 exec_lo, exec_lo, s23
.LBB503_28:
	s_delay_alu instid0(SALU_CYCLE_1) | instskip(SKIP_3) | instid1(SALU_CYCLE_1)
	s_or_b32 exec_lo, exec_lo, s22
	v_add_nc_u32_e32 v4, 0x80, v4
	global_store_b64 v0, v[1:2], s[4:5]
	s_or_b32 exec_lo, exec_lo, s34
	s_mov_b32 s34, exec_lo
	v_cmpx_gt_i32_e64 s30, v4
	s_cbranch_execz .LBB503_6
.LBB503_29:
	s_and_not1_b32 vcc_lo, exec_lo, s28
	s_cbranch_vccnz .LBB503_34
; %bb.30:
	v_dual_mov_b32 v0, 0 :: v_dual_mov_b32 v1, 0
	s_and_not1_b32 vcc_lo, exec_lo, s33
	s_mov_b32 s35, 0
	s_cbranch_vccnz .LBB503_39
; %bb.31:
	v_mov_b32_e32 v0, 0
	s_add_i32 s37, s31, 1
	s_cmp_eq_u32 s27, 2
	s_mov_b32 s36, 0
	s_cbranch_scc1 .LBB503_35
; %bb.32:
	v_dual_mov_b32 v1, 0 :: v_dual_mov_b32 v0, 0
	v_mov_b32_e32 v2, v4
	s_and_b32 s36, s37, 28
	s_mov_b32 s38, 0
	s_mov_b64 s[22:23], s[20:21]
	s_mov_b64 s[24:25], s[0:1]
.LBB503_33:                             ; =>This Inner Loop Header: Depth=1
	s_clause 0x1
	s_load_b256 s[40:47], s[24:25], 0x4
	s_load_b128 s[56:59], s[24:25], 0x24
	s_load_b256 s[48:55], s[22:23], 0x0
	s_add_u32 s24, s24, 48
	s_addc_u32 s25, s25, 0
	s_add_i32 s38, s38, 4
	s_add_u32 s22, s22, 32
	s_addc_u32 s23, s23, 0
	s_cmp_eq_u32 s36, s38
	s_waitcnt lgkmcnt(0)
	v_mul_hi_u32 v3, s41, v2
	s_delay_alu instid0(VALU_DEP_1) | instskip(NEXT) | instid1(VALU_DEP_1)
	v_add_nc_u32_e32 v3, v2, v3
	v_lshrrev_b32_e32 v3, s42, v3
	s_delay_alu instid0(VALU_DEP_1) | instskip(SKIP_1) | instid1(VALU_DEP_2)
	v_mul_hi_u32 v5, s44, v3
	v_mul_lo_u32 v7, v3, s40
	v_add_nc_u32_e32 v5, v3, v5
	s_delay_alu instid0(VALU_DEP_2) | instskip(NEXT) | instid1(VALU_DEP_2)
	v_sub_nc_u32_e32 v2, v2, v7
	v_lshrrev_b32_e32 v5, s45, v5
	s_delay_alu instid0(VALU_DEP_2) | instskip(SKIP_1) | instid1(VALU_DEP_3)
	v_mul_lo_u32 v7, v2, s48
	v_mul_lo_u32 v9, v2, s49
	v_mul_hi_u32 v6, s47, v5
	s_delay_alu instid0(VALU_DEP_1) | instskip(NEXT) | instid1(VALU_DEP_1)
	v_add_nc_u32_e32 v6, v5, v6
	v_lshrrev_b32_e32 v6, s56, v6
	s_delay_alu instid0(VALU_DEP_1) | instskip(SKIP_1) | instid1(VALU_DEP_2)
	v_mul_hi_u32 v8, s58, v6
	v_mul_lo_u32 v10, v6, s46
	v_add_nc_u32_e32 v2, v6, v8
	v_mul_lo_u32 v8, v5, s43
	s_delay_alu instid0(VALU_DEP_3) | instskip(NEXT) | instid1(VALU_DEP_3)
	v_sub_nc_u32_e32 v5, v5, v10
	v_lshrrev_b32_e32 v2, s59, v2
	s_delay_alu instid0(VALU_DEP_2) | instskip(SKIP_2) | instid1(VALU_DEP_4)
	v_mul_lo_u32 v10, v5, s52
	v_mul_lo_u32 v5, v5, s53
	v_sub_nc_u32_e32 v3, v3, v8
	v_mul_lo_u32 v11, v2, s57
	s_delay_alu instid0(VALU_DEP_2) | instskip(SKIP_1) | instid1(VALU_DEP_3)
	v_mul_lo_u32 v8, v3, s50
	v_mul_lo_u32 v3, v3, s51
	v_sub_nc_u32_e32 v6, v6, v11
	s_delay_alu instid0(VALU_DEP_3) | instskip(NEXT) | instid1(VALU_DEP_2)
	v_add3_u32 v0, v7, v0, v8
	v_mul_lo_u32 v11, v6, s54
	v_mul_lo_u32 v6, v6, s55
	v_add3_u32 v1, v9, v1, v3
	s_delay_alu instid0(VALU_DEP_3) | instskip(NEXT) | instid1(VALU_DEP_2)
	v_add3_u32 v0, v10, v0, v11
	v_add3_u32 v1, v5, v1, v6
	s_cbranch_scc0 .LBB503_33
	s_branch .LBB503_36
.LBB503_34:
	s_mov_b32 s35, -1
                                        ; implicit-def: $vgpr0
                                        ; implicit-def: $vgpr1
	s_branch .LBB503_39
.LBB503_35:
	v_dual_mov_b32 v2, v4 :: v_dual_mov_b32 v1, 0
.LBB503_36:
	s_and_b32 s37, s37, 3
	s_delay_alu instid0(SALU_CYCLE_1)
	s_cmp_eq_u32 s37, 0
	s_cbranch_scc1 .LBB503_39
; %bb.37:
	s_lshl_b32 s22, s36, 3
	s_mul_i32 s24, s36, 12
	s_add_u32 s22, s22, s0
	s_addc_u32 s23, s1, 0
	s_add_u32 s22, s22, 0xc4
	s_addc_u32 s23, s23, 0
	;; [unrolled: 2-line block ×3, first 2 shown]
	.p2align	6
.LBB503_38:                             ; =>This Inner Loop Header: Depth=1
	s_clause 0x1
	s_load_b64 s[38:39], s[24:25], 0x4
	s_load_b32 s36, s[24:25], 0xc
	s_load_b64 s[40:41], s[22:23], 0x0
	s_add_u32 s24, s24, 12
	s_addc_u32 s25, s25, 0
	s_add_u32 s22, s22, 8
	s_addc_u32 s23, s23, 0
	s_add_i32 s37, s37, -1
	s_delay_alu instid0(SALU_CYCLE_1) | instskip(SKIP_2) | instid1(VALU_DEP_1)
	s_cmp_lg_u32 s37, 0
	s_waitcnt lgkmcnt(0)
	v_mul_hi_u32 v3, s39, v2
	v_add_nc_u32_e32 v3, v2, v3
	s_delay_alu instid0(VALU_DEP_1) | instskip(NEXT) | instid1(VALU_DEP_1)
	v_lshrrev_b32_e32 v3, s36, v3
	v_mul_lo_u32 v5, v3, s38
	s_delay_alu instid0(VALU_DEP_1) | instskip(NEXT) | instid1(VALU_DEP_1)
	v_sub_nc_u32_e32 v2, v2, v5
	v_mad_u64_u32 v[5:6], null, v2, s40, v[0:1]
	v_mad_u64_u32 v[6:7], null, v2, s41, v[1:2]
	v_mov_b32_e32 v2, v3
	s_delay_alu instid0(VALU_DEP_2)
	v_dual_mov_b32 v0, v5 :: v_dual_mov_b32 v1, v6
	s_cbranch_scc1 .LBB503_38
.LBB503_39:
	s_and_not1_b32 vcc_lo, exec_lo, s35
	s_cbranch_vccnz .LBB503_42
; %bb.40:
	v_mul_hi_u32 v0, s17, v4
	s_and_not1_b32 vcc_lo, exec_lo, s11
	s_delay_alu instid0(VALU_DEP_1) | instskip(NEXT) | instid1(VALU_DEP_1)
	v_add_nc_u32_e32 v0, v4, v0
	v_lshrrev_b32_e32 v2, s18, v0
	s_delay_alu instid0(VALU_DEP_1) | instskip(NEXT) | instid1(VALU_DEP_1)
	v_mul_lo_u32 v0, v2, s16
	v_sub_nc_u32_e32 v1, v4, v0
	s_delay_alu instid0(VALU_DEP_1)
	v_mul_lo_u32 v0, v1, s12
	v_mul_lo_u32 v1, v1, s13
	s_cbranch_vccnz .LBB503_42
; %bb.41:
	v_mul_hi_u32 v3, s2, v2
	s_delay_alu instid0(VALU_DEP_1) | instskip(NEXT) | instid1(VALU_DEP_1)
	v_add_nc_u32_e32 v3, v2, v3
	v_lshrrev_b32_e32 v3, s3, v3
	s_delay_alu instid0(VALU_DEP_1) | instskip(NEXT) | instid1(VALU_DEP_1)
	v_mul_lo_u32 v3, v3, s19
	v_sub_nc_u32_e32 v7, v2, v3
	s_delay_alu instid0(VALU_DEP_1) | instskip(NEXT) | instid1(VALU_DEP_1)
	v_mad_u64_u32 v[2:3], null, v7, s14, v[0:1]
	v_mad_u64_u32 v[5:6], null, v7, s15, v[1:2]
	s_delay_alu instid0(VALU_DEP_1)
	v_dual_mov_b32 v0, v2 :: v_dual_mov_b32 v1, v5
.LBB503_42:
	global_load_b64 v[2:3], v1, s[6:7]
	v_mov_b32_e32 v1, s8
	s_mov_b32 s22, exec_lo
	s_waitcnt vmcnt(0)
	v_cmpx_o_f32_e32 v2, v2
	s_cbranch_execz .LBB503_46
; %bb.43:
	v_mov_b32_e32 v1, s9
	s_mov_b32 s23, exec_lo
	v_cmpx_neq_f32_e32 0x7f800000, v2
; %bb.44:
	v_cmp_eq_f32_e32 vcc_lo, 0xff800000, v2
	v_cndmask_b32_e64 v1, v2, s10, vcc_lo
; %bb.45:
	s_or_b32 exec_lo, exec_lo, s23
.LBB503_46:
	s_delay_alu instid0(SALU_CYCLE_1)
	s_or_b32 exec_lo, exec_lo, s22
	v_mov_b32_e32 v2, s8
	s_mov_b32 s22, exec_lo
	v_cmpx_o_f32_e32 v3, v3
	s_cbranch_execz .LBB503_50
; %bb.47:
	v_mov_b32_e32 v2, s9
	s_mov_b32 s23, exec_lo
	v_cmpx_neq_f32_e32 0x7f800000, v3
; %bb.48:
	v_cmp_eq_f32_e32 vcc_lo, 0xff800000, v3
	v_cndmask_b32_e64 v2, v3, s10, vcc_lo
; %bb.49:
	s_or_b32 exec_lo, exec_lo, s23
.LBB503_50:
	s_delay_alu instid0(SALU_CYCLE_1) | instskip(SKIP_3) | instid1(SALU_CYCLE_1)
	s_or_b32 exec_lo, exec_lo, s22
	v_add_nc_u32_e32 v4, 0x80, v4
	global_store_b64 v0, v[1:2], s[4:5]
	s_or_b32 exec_lo, exec_lo, s34
	s_mov_b32 s34, exec_lo
	v_cmpx_gt_i32_e64 s30, v4
	s_cbranch_execz .LBB503_73
.LBB503_51:
	s_and_not1_b32 vcc_lo, exec_lo, s28
	s_cbranch_vccnz .LBB503_56
; %bb.52:
	v_dual_mov_b32 v0, 0 :: v_dual_mov_b32 v1, 0
	s_and_not1_b32 vcc_lo, exec_lo, s33
	s_mov_b32 s35, 0
	s_cbranch_vccnz .LBB503_61
; %bb.53:
	v_mov_b32_e32 v0, 0
	s_add_i32 s37, s31, 1
	s_cmp_eq_u32 s27, 2
	s_mov_b32 s36, 0
	s_cbranch_scc1 .LBB503_57
; %bb.54:
	v_dual_mov_b32 v1, 0 :: v_dual_mov_b32 v0, 0
	v_mov_b32_e32 v2, v4
	s_and_b32 s36, s37, 28
	s_mov_b32 s38, 0
	s_mov_b64 s[22:23], s[20:21]
	s_mov_b64 s[24:25], s[0:1]
.LBB503_55:                             ; =>This Inner Loop Header: Depth=1
	s_clause 0x1
	s_load_b256 s[40:47], s[24:25], 0x4
	s_load_b128 s[56:59], s[24:25], 0x24
	s_load_b256 s[48:55], s[22:23], 0x0
	s_add_u32 s24, s24, 48
	s_addc_u32 s25, s25, 0
	s_add_i32 s38, s38, 4
	s_add_u32 s22, s22, 32
	s_addc_u32 s23, s23, 0
	s_cmp_eq_u32 s36, s38
	s_waitcnt lgkmcnt(0)
	v_mul_hi_u32 v3, s41, v2
	s_delay_alu instid0(VALU_DEP_1) | instskip(NEXT) | instid1(VALU_DEP_1)
	v_add_nc_u32_e32 v3, v2, v3
	v_lshrrev_b32_e32 v3, s42, v3
	s_delay_alu instid0(VALU_DEP_1) | instskip(SKIP_1) | instid1(VALU_DEP_2)
	v_mul_hi_u32 v5, s44, v3
	v_mul_lo_u32 v7, v3, s40
	v_add_nc_u32_e32 v5, v3, v5
	s_delay_alu instid0(VALU_DEP_2) | instskip(NEXT) | instid1(VALU_DEP_2)
	v_sub_nc_u32_e32 v2, v2, v7
	v_lshrrev_b32_e32 v5, s45, v5
	s_delay_alu instid0(VALU_DEP_2) | instskip(SKIP_1) | instid1(VALU_DEP_3)
	v_mul_lo_u32 v7, v2, s48
	v_mul_lo_u32 v9, v2, s49
	v_mul_hi_u32 v6, s47, v5
	s_delay_alu instid0(VALU_DEP_1) | instskip(NEXT) | instid1(VALU_DEP_1)
	v_add_nc_u32_e32 v6, v5, v6
	v_lshrrev_b32_e32 v6, s56, v6
	s_delay_alu instid0(VALU_DEP_1) | instskip(SKIP_1) | instid1(VALU_DEP_2)
	v_mul_hi_u32 v8, s58, v6
	v_mul_lo_u32 v10, v6, s46
	v_add_nc_u32_e32 v2, v6, v8
	v_mul_lo_u32 v8, v5, s43
	s_delay_alu instid0(VALU_DEP_3) | instskip(NEXT) | instid1(VALU_DEP_3)
	v_sub_nc_u32_e32 v5, v5, v10
	v_lshrrev_b32_e32 v2, s59, v2
	s_delay_alu instid0(VALU_DEP_2) | instskip(SKIP_2) | instid1(VALU_DEP_4)
	v_mul_lo_u32 v10, v5, s52
	v_mul_lo_u32 v5, v5, s53
	v_sub_nc_u32_e32 v3, v3, v8
	v_mul_lo_u32 v11, v2, s57
	s_delay_alu instid0(VALU_DEP_2) | instskip(SKIP_1) | instid1(VALU_DEP_3)
	v_mul_lo_u32 v8, v3, s50
	v_mul_lo_u32 v3, v3, s51
	v_sub_nc_u32_e32 v6, v6, v11
	s_delay_alu instid0(VALU_DEP_3) | instskip(NEXT) | instid1(VALU_DEP_2)
	v_add3_u32 v0, v7, v0, v8
	v_mul_lo_u32 v11, v6, s54
	v_mul_lo_u32 v6, v6, s55
	v_add3_u32 v1, v9, v1, v3
	s_delay_alu instid0(VALU_DEP_3) | instskip(NEXT) | instid1(VALU_DEP_2)
	v_add3_u32 v0, v10, v0, v11
	v_add3_u32 v1, v5, v1, v6
	s_cbranch_scc0 .LBB503_55
	s_branch .LBB503_58
.LBB503_56:
	s_mov_b32 s35, -1
                                        ; implicit-def: $vgpr0
                                        ; implicit-def: $vgpr1
	s_branch .LBB503_61
.LBB503_57:
	v_dual_mov_b32 v2, v4 :: v_dual_mov_b32 v1, 0
.LBB503_58:
	s_and_b32 s37, s37, 3
	s_delay_alu instid0(SALU_CYCLE_1)
	s_cmp_eq_u32 s37, 0
	s_cbranch_scc1 .LBB503_61
; %bb.59:
	s_lshl_b32 s22, s36, 3
	s_mul_i32 s24, s36, 12
	s_add_u32 s22, s22, s0
	s_addc_u32 s23, s1, 0
	s_add_u32 s22, s22, 0xc4
	s_addc_u32 s23, s23, 0
	;; [unrolled: 2-line block ×3, first 2 shown]
	.p2align	6
.LBB503_60:                             ; =>This Inner Loop Header: Depth=1
	s_clause 0x1
	s_load_b64 s[38:39], s[24:25], 0x4
	s_load_b32 s36, s[24:25], 0xc
	s_load_b64 s[40:41], s[22:23], 0x0
	s_add_u32 s24, s24, 12
	s_addc_u32 s25, s25, 0
	s_add_u32 s22, s22, 8
	s_addc_u32 s23, s23, 0
	s_add_i32 s37, s37, -1
	s_delay_alu instid0(SALU_CYCLE_1) | instskip(SKIP_2) | instid1(VALU_DEP_1)
	s_cmp_lg_u32 s37, 0
	s_waitcnt lgkmcnt(0)
	v_mul_hi_u32 v3, s39, v2
	v_add_nc_u32_e32 v3, v2, v3
	s_delay_alu instid0(VALU_DEP_1) | instskip(NEXT) | instid1(VALU_DEP_1)
	v_lshrrev_b32_e32 v3, s36, v3
	v_mul_lo_u32 v5, v3, s38
	s_delay_alu instid0(VALU_DEP_1) | instskip(NEXT) | instid1(VALU_DEP_1)
	v_sub_nc_u32_e32 v2, v2, v5
	v_mad_u64_u32 v[5:6], null, v2, s40, v[0:1]
	v_mad_u64_u32 v[6:7], null, v2, s41, v[1:2]
	v_mov_b32_e32 v2, v3
	s_delay_alu instid0(VALU_DEP_2)
	v_dual_mov_b32 v0, v5 :: v_dual_mov_b32 v1, v6
	s_cbranch_scc1 .LBB503_60
.LBB503_61:
	s_and_not1_b32 vcc_lo, exec_lo, s35
	s_cbranch_vccnz .LBB503_64
; %bb.62:
	v_mul_hi_u32 v0, s17, v4
	s_and_not1_b32 vcc_lo, exec_lo, s11
	s_delay_alu instid0(VALU_DEP_1) | instskip(NEXT) | instid1(VALU_DEP_1)
	v_add_nc_u32_e32 v0, v4, v0
	v_lshrrev_b32_e32 v2, s18, v0
	s_delay_alu instid0(VALU_DEP_1) | instskip(NEXT) | instid1(VALU_DEP_1)
	v_mul_lo_u32 v0, v2, s16
	v_sub_nc_u32_e32 v1, v4, v0
	s_delay_alu instid0(VALU_DEP_1)
	v_mul_lo_u32 v0, v1, s12
	v_mul_lo_u32 v1, v1, s13
	s_cbranch_vccnz .LBB503_64
; %bb.63:
	v_mul_hi_u32 v3, s2, v2
	s_delay_alu instid0(VALU_DEP_1) | instskip(NEXT) | instid1(VALU_DEP_1)
	v_add_nc_u32_e32 v3, v2, v3
	v_lshrrev_b32_e32 v3, s3, v3
	s_delay_alu instid0(VALU_DEP_1) | instskip(NEXT) | instid1(VALU_DEP_1)
	v_mul_lo_u32 v3, v3, s19
	v_sub_nc_u32_e32 v7, v2, v3
	s_delay_alu instid0(VALU_DEP_1) | instskip(NEXT) | instid1(VALU_DEP_1)
	v_mad_u64_u32 v[2:3], null, v7, s14, v[0:1]
	v_mad_u64_u32 v[5:6], null, v7, s15, v[1:2]
	s_delay_alu instid0(VALU_DEP_1)
	v_dual_mov_b32 v0, v2 :: v_dual_mov_b32 v1, v5
.LBB503_64:
	global_load_b64 v[2:3], v1, s[6:7]
	v_mov_b32_e32 v1, s8
	s_mov_b32 s22, exec_lo
	s_waitcnt vmcnt(0)
	v_cmpx_o_f32_e32 v2, v2
	s_cbranch_execz .LBB503_68
; %bb.65:
	v_mov_b32_e32 v1, s9
	s_mov_b32 s23, exec_lo
	v_cmpx_neq_f32_e32 0x7f800000, v2
; %bb.66:
	v_cmp_eq_f32_e32 vcc_lo, 0xff800000, v2
	v_cndmask_b32_e64 v1, v2, s10, vcc_lo
; %bb.67:
	s_or_b32 exec_lo, exec_lo, s23
.LBB503_68:
	s_delay_alu instid0(SALU_CYCLE_1)
	s_or_b32 exec_lo, exec_lo, s22
	v_mov_b32_e32 v2, s8
	s_mov_b32 s22, exec_lo
	v_cmpx_o_f32_e32 v3, v3
	s_cbranch_execz .LBB503_72
; %bb.69:
	v_mov_b32_e32 v2, s9
	s_mov_b32 s23, exec_lo
	v_cmpx_neq_f32_e32 0x7f800000, v3
; %bb.70:
	v_cmp_eq_f32_e32 vcc_lo, 0xff800000, v3
	v_cndmask_b32_e64 v2, v3, s10, vcc_lo
; %bb.71:
	s_or_b32 exec_lo, exec_lo, s23
.LBB503_72:
	s_delay_alu instid0(SALU_CYCLE_1)
	s_or_b32 exec_lo, exec_lo, s22
	v_add_nc_u32_e32 v4, 0x80, v4
	global_store_b64 v0, v[1:2], s[4:5]
.LBB503_73:
	s_or_b32 exec_lo, exec_lo, s34
	s_mov_b32 s22, 0
	s_mov_b32 s24, exec_lo
                                        ; implicit-def: $vgpr1
                                        ; implicit-def: $vgpr14_vgpr15
	v_cmpx_gt_i32_e64 s30, v4
	s_cbranch_execz .LBB503_96
; %bb.74:
	s_and_not1_b32 vcc_lo, exec_lo, s28
	s_cbranch_vccnz .LBB503_79
; %bb.75:
	v_dual_mov_b32 v0, 0 :: v_dual_mov_b32 v1, 0
	s_and_not1_b32 vcc_lo, exec_lo, s33
	s_mov_b32 s25, 0
	s_cbranch_vccnz .LBB503_84
; %bb.76:
	v_mov_b32_e32 v0, 0
	s_add_i32 s31, s31, 1
	s_cmp_eq_u32 s27, 2
	s_mov_b32 s30, 0
	s_cbranch_scc1 .LBB503_80
; %bb.77:
	v_dual_mov_b32 v1, 0 :: v_dual_mov_b32 v0, 0
	v_mov_b32_e32 v2, v4
	s_and_b32 s30, s31, 28
	s_mov_b32 s33, 0
	s_mov_b64 s[22:23], s[0:1]
.LBB503_78:                             ; =>This Inner Loop Header: Depth=1
	s_clause 0x1
	s_load_b256 s[36:43], s[22:23], 0x4
	s_load_b128 s[52:55], s[22:23], 0x24
	s_load_b256 s[44:51], s[20:21], 0x0
	s_add_u32 s22, s22, 48
	s_addc_u32 s23, s23, 0
	s_add_i32 s33, s33, 4
	s_add_u32 s20, s20, 32
	s_addc_u32 s21, s21, 0
	s_cmp_eq_u32 s30, s33
	s_waitcnt lgkmcnt(0)
	v_mul_hi_u32 v3, s37, v2
	s_delay_alu instid0(VALU_DEP_1) | instskip(NEXT) | instid1(VALU_DEP_1)
	v_add_nc_u32_e32 v3, v2, v3
	v_lshrrev_b32_e32 v3, s38, v3
	s_delay_alu instid0(VALU_DEP_1) | instskip(SKIP_1) | instid1(VALU_DEP_2)
	v_mul_hi_u32 v5, s40, v3
	v_mul_lo_u32 v7, v3, s36
	v_add_nc_u32_e32 v5, v3, v5
	s_delay_alu instid0(VALU_DEP_2) | instskip(NEXT) | instid1(VALU_DEP_2)
	v_sub_nc_u32_e32 v2, v2, v7
	v_lshrrev_b32_e32 v5, s41, v5
	s_delay_alu instid0(VALU_DEP_2) | instskip(SKIP_1) | instid1(VALU_DEP_3)
	v_mul_lo_u32 v7, v2, s44
	v_mul_lo_u32 v9, v2, s45
	v_mul_hi_u32 v6, s43, v5
	s_delay_alu instid0(VALU_DEP_1) | instskip(NEXT) | instid1(VALU_DEP_1)
	v_add_nc_u32_e32 v6, v5, v6
	v_lshrrev_b32_e32 v6, s52, v6
	s_delay_alu instid0(VALU_DEP_1) | instskip(SKIP_1) | instid1(VALU_DEP_2)
	v_mul_hi_u32 v8, s54, v6
	v_mul_lo_u32 v10, v6, s42
	v_add_nc_u32_e32 v2, v6, v8
	v_mul_lo_u32 v8, v5, s39
	s_delay_alu instid0(VALU_DEP_3) | instskip(NEXT) | instid1(VALU_DEP_3)
	v_sub_nc_u32_e32 v5, v5, v10
	v_lshrrev_b32_e32 v2, s55, v2
	s_delay_alu instid0(VALU_DEP_2) | instskip(SKIP_2) | instid1(VALU_DEP_4)
	v_mul_lo_u32 v10, v5, s48
	v_mul_lo_u32 v5, v5, s49
	v_sub_nc_u32_e32 v3, v3, v8
	v_mul_lo_u32 v11, v2, s53
	s_delay_alu instid0(VALU_DEP_2) | instskip(SKIP_1) | instid1(VALU_DEP_3)
	v_mul_lo_u32 v8, v3, s46
	v_mul_lo_u32 v3, v3, s47
	v_sub_nc_u32_e32 v6, v6, v11
	s_delay_alu instid0(VALU_DEP_3) | instskip(NEXT) | instid1(VALU_DEP_2)
	v_add3_u32 v0, v7, v0, v8
	v_mul_lo_u32 v11, v6, s50
	v_mul_lo_u32 v6, v6, s51
	v_add3_u32 v1, v9, v1, v3
	s_delay_alu instid0(VALU_DEP_3) | instskip(NEXT) | instid1(VALU_DEP_2)
	v_add3_u32 v0, v10, v0, v11
	v_add3_u32 v1, v5, v1, v6
	s_cbranch_scc0 .LBB503_78
	s_branch .LBB503_81
.LBB503_79:
	s_mov_b32 s25, -1
                                        ; implicit-def: $vgpr0
                                        ; implicit-def: $vgpr1
	s_branch .LBB503_84
.LBB503_80:
	v_dual_mov_b32 v2, v4 :: v_dual_mov_b32 v1, 0
.LBB503_81:
	s_and_b32 s31, s31, 3
	s_delay_alu instid0(SALU_CYCLE_1)
	s_cmp_eq_u32 s31, 0
	s_cbranch_scc1 .LBB503_84
; %bb.82:
	s_lshl_b32 s20, s30, 3
	s_mul_i32 s22, s30, 12
	s_add_u32 s20, s20, s0
	s_addc_u32 s21, s1, 0
	s_add_u32 s20, s20, 0xc4
	s_addc_u32 s21, s21, 0
	;; [unrolled: 2-line block ×3, first 2 shown]
	.p2align	6
.LBB503_83:                             ; =>This Inner Loop Header: Depth=1
	s_clause 0x1
	s_load_b64 s[34:35], s[22:23], 0x4
	s_load_b32 s30, s[22:23], 0xc
	s_load_b64 s[36:37], s[20:21], 0x0
	s_add_u32 s22, s22, 12
	s_addc_u32 s23, s23, 0
	s_add_u32 s20, s20, 8
	s_addc_u32 s21, s21, 0
	s_add_i32 s31, s31, -1
	s_delay_alu instid0(SALU_CYCLE_1) | instskip(SKIP_2) | instid1(VALU_DEP_1)
	s_cmp_lg_u32 s31, 0
	s_waitcnt lgkmcnt(0)
	v_mul_hi_u32 v3, s35, v2
	v_add_nc_u32_e32 v3, v2, v3
	s_delay_alu instid0(VALU_DEP_1) | instskip(NEXT) | instid1(VALU_DEP_1)
	v_lshrrev_b32_e32 v3, s30, v3
	v_mul_lo_u32 v5, v3, s34
	s_delay_alu instid0(VALU_DEP_1) | instskip(NEXT) | instid1(VALU_DEP_1)
	v_sub_nc_u32_e32 v2, v2, v5
	v_mad_u64_u32 v[5:6], null, v2, s36, v[0:1]
	v_mad_u64_u32 v[6:7], null, v2, s37, v[1:2]
	v_mov_b32_e32 v2, v3
	s_delay_alu instid0(VALU_DEP_2)
	v_dual_mov_b32 v0, v5 :: v_dual_mov_b32 v1, v6
	s_cbranch_scc1 .LBB503_83
.LBB503_84:
	s_and_not1_b32 vcc_lo, exec_lo, s25
	s_cbranch_vccnz .LBB503_87
; %bb.85:
	v_mul_hi_u32 v0, s17, v4
	s_and_not1_b32 vcc_lo, exec_lo, s11
	s_delay_alu instid0(VALU_DEP_1) | instskip(NEXT) | instid1(VALU_DEP_1)
	v_add_nc_u32_e32 v0, v4, v0
	v_lshrrev_b32_e32 v2, s18, v0
	s_delay_alu instid0(VALU_DEP_1) | instskip(NEXT) | instid1(VALU_DEP_1)
	v_mul_lo_u32 v0, v2, s16
	v_sub_nc_u32_e32 v1, v4, v0
	s_delay_alu instid0(VALU_DEP_1)
	v_mul_lo_u32 v0, v1, s12
	v_mul_lo_u32 v1, v1, s13
	s_cbranch_vccnz .LBB503_87
; %bb.86:
	v_mul_hi_u32 v3, s2, v2
	s_delay_alu instid0(VALU_DEP_1) | instskip(NEXT) | instid1(VALU_DEP_1)
	v_add_nc_u32_e32 v3, v2, v3
	v_lshrrev_b32_e32 v3, s3, v3
	s_delay_alu instid0(VALU_DEP_1) | instskip(NEXT) | instid1(VALU_DEP_1)
	v_mul_lo_u32 v3, v3, s19
	v_sub_nc_u32_e32 v5, v2, v3
	s_delay_alu instid0(VALU_DEP_1) | instskip(NEXT) | instid1(VALU_DEP_1)
	v_mad_u64_u32 v[2:3], null, v5, s14, v[0:1]
	v_mad_u64_u32 v[3:4], null, v5, s15, v[1:2]
	s_delay_alu instid0(VALU_DEP_1)
	v_dual_mov_b32 v0, v2 :: v_dual_mov_b32 v1, v3
.LBB503_87:
	global_load_b64 v[1:2], v1, s[6:7]
	v_mov_b32_e32 v3, s8
	s_mov_b32 s2, exec_lo
	s_waitcnt vmcnt(0)
	v_cmpx_o_f32_e32 v1, v1
	s_cbranch_execz .LBB503_91
; %bb.88:
	v_mov_b32_e32 v3, s9
	s_mov_b32 s3, exec_lo
	v_cmpx_neq_f32_e32 0x7f800000, v1
; %bb.89:
	v_cmp_eq_f32_e32 vcc_lo, 0xff800000, v1
	v_cndmask_b32_e64 v3, v1, s10, vcc_lo
; %bb.90:
	s_or_b32 exec_lo, exec_lo, s3
.LBB503_91:
	s_delay_alu instid0(SALU_CYCLE_1)
	s_or_b32 exec_lo, exec_lo, s2
	v_mov_b32_e32 v1, s8
	s_mov_b32 s2, exec_lo
	v_cmpx_o_f32_e32 v2, v2
	s_cbranch_execz .LBB503_95
; %bb.92:
	v_mov_b32_e32 v1, s9
	s_mov_b32 s3, exec_lo
	v_cmpx_neq_f32_e32 0x7f800000, v2
; %bb.93:
	v_cmp_eq_f32_e32 vcc_lo, 0xff800000, v2
	v_cndmask_b32_e64 v1, v2, s10, vcc_lo
; %bb.94:
	s_or_b32 exec_lo, exec_lo, s3
.LBB503_95:
	s_delay_alu instid0(SALU_CYCLE_1) | instskip(SKIP_1) | instid1(VALU_DEP_1)
	s_or_b32 exec_lo, exec_lo, s2
	v_add_co_u32 v14, s2, s4, v0
	v_add_co_ci_u32_e64 v15, null, s5, 0, s2
	s_mov_b32 s22, exec_lo
	global_store_b32 v0, v3, s[4:5]
.LBB503_96:
	s_or_b32 exec_lo, exec_lo, s24
	s_delay_alu instid0(SALU_CYCLE_1)
	s_and_b32 s8, s22, exec_lo
                                        ; implicit-def: $vgpr8
                                        ; implicit-def: $vgpr4
	s_and_not1_saveexec_b32 s9, s29
	s_cbranch_execz .LBB503_2
.LBB503_97:
	v_cndmask_b32_e64 v6, 0, 1, s28
	s_and_not1_b32 vcc_lo, exec_lo, s28
	s_cbranch_vccnz .LBB503_103
; %bb.98:
	v_dual_mov_b32 v0, 0 :: v_dual_mov_b32 v1, 0
	s_cmp_lg_u32 s26, 0
	s_mov_b32 s6, 0
	s_cbranch_scc0 .LBB503_107
; %bb.99:
	s_min_u32 s7, s27, 15
	v_mov_b32_e32 v0, 0
	s_add_i32 s7, s7, 1
	s_cmp_eq_u32 s27, 2
	s_mov_b32 s10, 0
	s_cbranch_scc1 .LBB503_104
; %bb.100:
	v_dual_mov_b32 v1, 0 :: v_dual_mov_b32 v0, 0
	v_mov_b32_e32 v2, v4
	s_add_u32 s2, s0, 0xc4
	s_addc_u32 s3, s1, 0
	s_and_b32 s10, s7, 28
	s_mov_b32 s11, 0
	s_mov_b64 s[4:5], s[0:1]
.LBB503_101:                            ; =>This Inner Loop Header: Depth=1
	s_clause 0x1
	s_load_b256 s[12:19], s[4:5], 0x4
	s_load_b128 s[20:23], s[4:5], 0x24
	s_load_b256 s[36:43], s[2:3], 0x0
	s_add_u32 s4, s4, 48
	s_addc_u32 s5, s5, 0
	s_add_i32 s11, s11, 4
	s_add_u32 s2, s2, 32
	s_addc_u32 s3, s3, 0
	s_cmp_lg_u32 s10, s11
	s_waitcnt lgkmcnt(0)
	v_mul_hi_u32 v3, s13, v2
	s_delay_alu instid0(VALU_DEP_1) | instskip(NEXT) | instid1(VALU_DEP_1)
	v_add_nc_u32_e32 v3, v2, v3
	v_lshrrev_b32_e32 v3, s14, v3
	s_delay_alu instid0(VALU_DEP_1) | instskip(SKIP_1) | instid1(VALU_DEP_2)
	v_mul_hi_u32 v5, s16, v3
	v_mul_lo_u32 v9, v3, s12
	v_add_nc_u32_e32 v5, v3, v5
	s_delay_alu instid0(VALU_DEP_2) | instskip(NEXT) | instid1(VALU_DEP_2)
	v_sub_nc_u32_e32 v2, v2, v9
	v_lshrrev_b32_e32 v5, s17, v5
	s_delay_alu instid0(VALU_DEP_2) | instskip(SKIP_1) | instid1(VALU_DEP_3)
	v_mul_lo_u32 v9, v2, s36
	v_mul_lo_u32 v11, v2, s37
	v_mul_hi_u32 v7, s19, v5
	s_delay_alu instid0(VALU_DEP_1) | instskip(NEXT) | instid1(VALU_DEP_1)
	v_add_nc_u32_e32 v7, v5, v7
	v_lshrrev_b32_e32 v7, s20, v7
	s_delay_alu instid0(VALU_DEP_1) | instskip(SKIP_1) | instid1(VALU_DEP_2)
	v_mul_hi_u32 v10, s22, v7
	v_mul_lo_u32 v12, v7, s18
	v_add_nc_u32_e32 v2, v7, v10
	v_mul_lo_u32 v10, v5, s15
	s_delay_alu instid0(VALU_DEP_3) | instskip(NEXT) | instid1(VALU_DEP_3)
	v_sub_nc_u32_e32 v5, v5, v12
	v_lshrrev_b32_e32 v2, s23, v2
	s_delay_alu instid0(VALU_DEP_2) | instskip(SKIP_2) | instid1(VALU_DEP_4)
	v_mul_lo_u32 v12, v5, s40
	v_mul_lo_u32 v5, v5, s41
	v_sub_nc_u32_e32 v3, v3, v10
	v_mul_lo_u32 v13, v2, s21
	s_delay_alu instid0(VALU_DEP_2) | instskip(SKIP_1) | instid1(VALU_DEP_3)
	v_mul_lo_u32 v10, v3, s38
	v_mul_lo_u32 v3, v3, s39
	v_sub_nc_u32_e32 v7, v7, v13
	s_delay_alu instid0(VALU_DEP_3) | instskip(NEXT) | instid1(VALU_DEP_2)
	v_add3_u32 v0, v9, v0, v10
	v_mul_lo_u32 v13, v7, s42
	v_mul_lo_u32 v7, v7, s43
	v_add3_u32 v1, v11, v1, v3
	s_delay_alu instid0(VALU_DEP_3) | instskip(NEXT) | instid1(VALU_DEP_2)
	v_add3_u32 v0, v12, v0, v13
	v_add3_u32 v1, v5, v1, v7
	s_cbranch_scc1 .LBB503_101
; %bb.102:
	s_and_b32 s7, s7, 3
	s_delay_alu instid0(SALU_CYCLE_1)
	s_cmp_eq_u32 s7, 0
	s_cbranch_scc0 .LBB503_105
	s_branch .LBB503_107
.LBB503_103:
	s_mov_b32 s6, -1
                                        ; implicit-def: $vgpr0
                                        ; implicit-def: $vgpr1
	s_branch .LBB503_107
.LBB503_104:
	v_dual_mov_b32 v2, v4 :: v_dual_mov_b32 v1, 0
	s_and_b32 s7, s7, 3
	s_delay_alu instid0(SALU_CYCLE_1)
	s_cmp_eq_u32 s7, 0
	s_cbranch_scc1 .LBB503_107
.LBB503_105:
	s_lshl_b32 s2, s10, 3
	s_mul_i32 s4, s10, 12
	s_add_u32 s2, s2, s0
	s_addc_u32 s3, 0, s1
	s_add_u32 s2, s2, 0xc4
	s_addc_u32 s3, s3, 0
	;; [unrolled: 2-line block ×3, first 2 shown]
	.p2align	6
.LBB503_106:                            ; =>This Inner Loop Header: Depth=1
	s_clause 0x1
	s_load_b64 s[10:11], s[4:5], 0x4
	s_load_b32 s14, s[4:5], 0xc
	s_load_b64 s[12:13], s[2:3], 0x0
	s_add_u32 s4, s4, 12
	s_addc_u32 s5, s5, 0
	s_add_u32 s2, s2, 8
	s_addc_u32 s3, s3, 0
	s_add_i32 s7, s7, -1
	s_delay_alu instid0(SALU_CYCLE_1) | instskip(SKIP_2) | instid1(VALU_DEP_1)
	s_cmp_lg_u32 s7, 0
	s_waitcnt lgkmcnt(0)
	v_mul_hi_u32 v3, s11, v2
	v_add_nc_u32_e32 v3, v2, v3
	s_delay_alu instid0(VALU_DEP_1) | instskip(NEXT) | instid1(VALU_DEP_1)
	v_lshrrev_b32_e32 v3, s14, v3
	v_mul_lo_u32 v5, v3, s10
	s_delay_alu instid0(VALU_DEP_1) | instskip(NEXT) | instid1(VALU_DEP_1)
	v_sub_nc_u32_e32 v2, v2, v5
	v_mad_u64_u32 v[9:10], null, v2, s12, v[0:1]
	v_mad_u64_u32 v[10:11], null, v2, s13, v[1:2]
	v_mov_b32_e32 v2, v3
	s_delay_alu instid0(VALU_DEP_2)
	v_dual_mov_b32 v0, v9 :: v_dual_mov_b32 v1, v10
	s_cbranch_scc1 .LBB503_106
.LBB503_107:
	s_and_not1_b32 vcc_lo, exec_lo, s6
	s_cbranch_vccnz .LBB503_110
; %bb.108:
	s_clause 0x1
	s_load_b128 s[4:7], s[0:1], 0x4
	s_load_b64 s[2:3], s[0:1], 0xc4
	s_cmp_lt_u32 s26, 2
	s_waitcnt lgkmcnt(0)
	v_mul_hi_u32 v0, s5, v4
	s_delay_alu instid0(VALU_DEP_1) | instskip(NEXT) | instid1(VALU_DEP_1)
	v_add_nc_u32_e32 v0, v4, v0
	v_lshrrev_b32_e32 v2, s6, v0
	s_delay_alu instid0(VALU_DEP_1) | instskip(NEXT) | instid1(VALU_DEP_1)
	v_mul_lo_u32 v0, v2, s4
	v_sub_nc_u32_e32 v1, v4, v0
	s_delay_alu instid0(VALU_DEP_1)
	v_mul_lo_u32 v0, v1, s2
	v_mul_lo_u32 v1, v1, s3
	s_cbranch_scc1 .LBB503_110
; %bb.109:
	s_clause 0x1
	s_load_b128 s[4:7], s[0:1], 0x10
	s_load_b64 s[2:3], s[0:1], 0xcc
	s_waitcnt lgkmcnt(0)
	v_mul_hi_u32 v3, s5, v2
	s_delay_alu instid0(VALU_DEP_1) | instskip(NEXT) | instid1(VALU_DEP_1)
	v_add_nc_u32_e32 v3, v2, v3
	v_lshrrev_b32_e32 v3, s6, v3
	s_delay_alu instid0(VALU_DEP_1) | instskip(NEXT) | instid1(VALU_DEP_1)
	v_mul_lo_u32 v3, v3, s4
	v_sub_nc_u32_e32 v5, v2, v3
	s_delay_alu instid0(VALU_DEP_1) | instskip(NEXT) | instid1(VALU_DEP_1)
	v_mad_u64_u32 v[2:3], null, v5, s2, v[0:1]
	v_mad_u64_u32 v[9:10], null, v5, s3, v[1:2]
	s_delay_alu instid0(VALU_DEP_1)
	v_dual_mov_b32 v0, v2 :: v_dual_mov_b32 v1, v9
.LBB503_110:
	v_cmp_ne_u32_e32 vcc_lo, 1, v6
	v_add_nc_u32_e32 v5, 0x80, v4
	s_cbranch_vccnz .LBB503_116
; %bb.111:
	v_dual_mov_b32 v2, 0 :: v_dual_mov_b32 v3, 0
	s_cmp_lg_u32 s26, 0
	s_mov_b32 s6, 0
	s_cbranch_scc0 .LBB503_120
; %bb.112:
	s_min_u32 s7, s27, 15
	v_mov_b32_e32 v2, 0
	s_add_i32 s7, s7, 1
	s_cmp_eq_u32 s27, 2
	s_mov_b32 s10, 0
	s_cbranch_scc1 .LBB503_117
; %bb.113:
	v_dual_mov_b32 v3, 0 :: v_dual_mov_b32 v2, 0
	v_mov_b32_e32 v7, v5
	s_add_u32 s2, s0, 0xc4
	s_addc_u32 s3, s1, 0
	s_and_b32 s10, s7, 28
	s_mov_b32 s11, 0
	s_mov_b64 s[4:5], s[0:1]
.LBB503_114:                            ; =>This Inner Loop Header: Depth=1
	s_clause 0x1
	s_load_b256 s[12:19], s[4:5], 0x4
	s_load_b128 s[20:23], s[4:5], 0x24
	s_load_b256 s[36:43], s[2:3], 0x0
	s_add_u32 s4, s4, 48
	s_addc_u32 s5, s5, 0
	s_add_i32 s11, s11, 4
	s_add_u32 s2, s2, 32
	s_addc_u32 s3, s3, 0
	s_cmp_lg_u32 s10, s11
	s_waitcnt lgkmcnt(0)
	v_mul_hi_u32 v9, s13, v7
	s_delay_alu instid0(VALU_DEP_1) | instskip(NEXT) | instid1(VALU_DEP_1)
	v_add_nc_u32_e32 v9, v7, v9
	v_lshrrev_b32_e32 v9, s14, v9
	s_delay_alu instid0(VALU_DEP_1) | instskip(SKIP_1) | instid1(VALU_DEP_2)
	v_mul_hi_u32 v10, s16, v9
	v_mul_lo_u32 v12, v9, s12
	v_add_nc_u32_e32 v10, v9, v10
	s_delay_alu instid0(VALU_DEP_2) | instskip(NEXT) | instid1(VALU_DEP_2)
	v_sub_nc_u32_e32 v7, v7, v12
	v_lshrrev_b32_e32 v10, s17, v10
	s_delay_alu instid0(VALU_DEP_2) | instskip(SKIP_1) | instid1(VALU_DEP_3)
	v_mul_lo_u32 v12, v7, s36
	v_mul_lo_u32 v14, v7, s37
	v_mul_hi_u32 v11, s19, v10
	s_delay_alu instid0(VALU_DEP_1) | instskip(NEXT) | instid1(VALU_DEP_1)
	v_add_nc_u32_e32 v11, v10, v11
	v_lshrrev_b32_e32 v11, s20, v11
	s_delay_alu instid0(VALU_DEP_1) | instskip(SKIP_1) | instid1(VALU_DEP_2)
	v_mul_hi_u32 v13, s22, v11
	v_mul_lo_u32 v15, v11, s18
	v_add_nc_u32_e32 v7, v11, v13
	v_mul_lo_u32 v13, v10, s15
	s_delay_alu instid0(VALU_DEP_3) | instskip(NEXT) | instid1(VALU_DEP_3)
	v_sub_nc_u32_e32 v10, v10, v15
	v_lshrrev_b32_e32 v7, s23, v7
	s_delay_alu instid0(VALU_DEP_2) | instskip(SKIP_2) | instid1(VALU_DEP_4)
	v_mul_lo_u32 v15, v10, s40
	v_mul_lo_u32 v10, v10, s41
	v_sub_nc_u32_e32 v9, v9, v13
	v_mul_lo_u32 v16, v7, s21
	s_delay_alu instid0(VALU_DEP_2) | instskip(SKIP_1) | instid1(VALU_DEP_3)
	v_mul_lo_u32 v13, v9, s38
	v_mul_lo_u32 v9, v9, s39
	v_sub_nc_u32_e32 v11, v11, v16
	s_delay_alu instid0(VALU_DEP_3) | instskip(NEXT) | instid1(VALU_DEP_2)
	v_add3_u32 v2, v12, v2, v13
	v_mul_lo_u32 v16, v11, s42
	v_mul_lo_u32 v11, v11, s43
	v_add3_u32 v3, v14, v3, v9
	s_delay_alu instid0(VALU_DEP_3) | instskip(NEXT) | instid1(VALU_DEP_2)
	v_add3_u32 v2, v15, v2, v16
	v_add3_u32 v3, v10, v3, v11
	s_cbranch_scc1 .LBB503_114
; %bb.115:
	s_and_b32 s7, s7, 3
	s_delay_alu instid0(SALU_CYCLE_1)
	s_cmp_eq_u32 s7, 0
	s_cbranch_scc0 .LBB503_118
	s_branch .LBB503_120
.LBB503_116:
	s_mov_b32 s6, -1
                                        ; implicit-def: $vgpr2
                                        ; implicit-def: $vgpr3
	s_branch .LBB503_120
.LBB503_117:
	v_mov_b32_e32 v7, v5
	v_mov_b32_e32 v3, 0
	s_and_b32 s7, s7, 3
	s_delay_alu instid0(SALU_CYCLE_1)
	s_cmp_eq_u32 s7, 0
	s_cbranch_scc1 .LBB503_120
.LBB503_118:
	s_lshl_b32 s2, s10, 3
	s_mul_i32 s4, s10, 12
	s_add_u32 s2, s2, s0
	s_addc_u32 s3, 0, s1
	s_add_u32 s2, s2, 0xc4
	s_addc_u32 s3, s3, 0
	;; [unrolled: 2-line block ×3, first 2 shown]
	.p2align	6
.LBB503_119:                            ; =>This Inner Loop Header: Depth=1
	s_clause 0x1
	s_load_b64 s[10:11], s[4:5], 0x4
	s_load_b32 s14, s[4:5], 0xc
	s_load_b64 s[12:13], s[2:3], 0x0
	s_add_u32 s4, s4, 12
	s_addc_u32 s5, s5, 0
	s_add_u32 s2, s2, 8
	s_addc_u32 s3, s3, 0
	s_add_i32 s7, s7, -1
	s_delay_alu instid0(SALU_CYCLE_1) | instskip(SKIP_2) | instid1(VALU_DEP_1)
	s_cmp_lg_u32 s7, 0
	s_waitcnt lgkmcnt(0)
	v_mul_hi_u32 v9, s11, v7
	v_add_nc_u32_e32 v9, v7, v9
	s_delay_alu instid0(VALU_DEP_1) | instskip(NEXT) | instid1(VALU_DEP_1)
	v_lshrrev_b32_e32 v12, s14, v9
	v_mul_lo_u32 v9, v12, s10
	s_delay_alu instid0(VALU_DEP_1) | instskip(NEXT) | instid1(VALU_DEP_1)
	v_sub_nc_u32_e32 v7, v7, v9
	v_mad_u64_u32 v[9:10], null, v7, s12, v[2:3]
	v_mad_u64_u32 v[10:11], null, v7, s13, v[3:4]
	s_delay_alu instid0(VALU_DEP_2) | instskip(NEXT) | instid1(VALU_DEP_2)
	v_dual_mov_b32 v7, v12 :: v_dual_mov_b32 v2, v9
	v_mov_b32_e32 v3, v10
	s_cbranch_scc1 .LBB503_119
.LBB503_120:
	s_and_not1_b32 vcc_lo, exec_lo, s6
	s_cbranch_vccnz .LBB503_123
; %bb.121:
	s_clause 0x1
	s_load_b128 s[4:7], s[0:1], 0x4
	s_load_b64 s[2:3], s[0:1], 0xc4
	s_cmp_lt_u32 s26, 2
	s_waitcnt lgkmcnt(0)
	v_mul_hi_u32 v2, s5, v5
	s_delay_alu instid0(VALU_DEP_1) | instskip(NEXT) | instid1(VALU_DEP_1)
	v_add_nc_u32_e32 v2, v5, v2
	v_lshrrev_b32_e32 v7, s6, v2
	s_delay_alu instid0(VALU_DEP_1) | instskip(NEXT) | instid1(VALU_DEP_1)
	v_mul_lo_u32 v2, v7, s4
	v_sub_nc_u32_e32 v3, v5, v2
	s_delay_alu instid0(VALU_DEP_1)
	v_mul_lo_u32 v2, v3, s2
	v_mul_lo_u32 v3, v3, s3
	s_cbranch_scc1 .LBB503_123
; %bb.122:
	s_clause 0x1
	s_load_b128 s[4:7], s[0:1], 0x10
	s_load_b64 s[2:3], s[0:1], 0xcc
	s_waitcnt lgkmcnt(0)
	v_mul_hi_u32 v5, s5, v7
	s_delay_alu instid0(VALU_DEP_1) | instskip(NEXT) | instid1(VALU_DEP_1)
	v_add_nc_u32_e32 v5, v7, v5
	v_lshrrev_b32_e32 v5, s6, v5
	s_delay_alu instid0(VALU_DEP_1) | instskip(NEXT) | instid1(VALU_DEP_1)
	v_mul_lo_u32 v5, v5, s4
	v_sub_nc_u32_e32 v5, v7, v5
	s_delay_alu instid0(VALU_DEP_1) | instskip(SKIP_1) | instid1(VALU_DEP_1)
	v_mad_u64_u32 v[9:10], null, v5, s2, v[2:3]
	v_mad_u64_u32 v[10:11], null, v5, s3, v[3:4]
	v_dual_mov_b32 v2, v9 :: v_dual_mov_b32 v3, v10
.LBB503_123:
	v_cmp_ne_u32_e32 vcc_lo, 1, v6
	v_add_nc_u32_e32 v7, 0x100, v4
	s_cbranch_vccnz .LBB503_129
; %bb.124:
	v_dual_mov_b32 v4, 0 :: v_dual_mov_b32 v5, 0
	s_cmp_lg_u32 s26, 0
	s_mov_b32 s6, 0
	s_cbranch_scc0 .LBB503_133
; %bb.125:
	s_min_u32 s7, s27, 15
	v_mov_b32_e32 v4, 0
	s_add_i32 s7, s7, 1
	s_cmp_eq_u32 s27, 2
	s_mov_b32 s10, 0
	s_cbranch_scc1 .LBB503_130
; %bb.126:
	v_dual_mov_b32 v5, 0 :: v_dual_mov_b32 v4, 0
	v_mov_b32_e32 v9, v7
	s_add_u32 s2, s0, 0xc4
	s_addc_u32 s3, s1, 0
	s_and_b32 s10, s7, 28
	s_mov_b32 s11, 0
	s_mov_b64 s[4:5], s[0:1]
.LBB503_127:                            ; =>This Inner Loop Header: Depth=1
	s_clause 0x1
	s_load_b256 s[12:19], s[4:5], 0x4
	s_load_b128 s[20:23], s[4:5], 0x24
	s_load_b256 s[36:43], s[2:3], 0x0
	s_add_u32 s4, s4, 48
	s_addc_u32 s5, s5, 0
	s_add_i32 s11, s11, 4
	s_add_u32 s2, s2, 32
	s_addc_u32 s3, s3, 0
	s_cmp_lg_u32 s10, s11
	s_waitcnt lgkmcnt(0)
	v_mul_hi_u32 v10, s13, v9
	s_delay_alu instid0(VALU_DEP_1) | instskip(NEXT) | instid1(VALU_DEP_1)
	v_add_nc_u32_e32 v10, v9, v10
	v_lshrrev_b32_e32 v10, s14, v10
	s_delay_alu instid0(VALU_DEP_1) | instskip(SKIP_1) | instid1(VALU_DEP_2)
	v_mul_hi_u32 v11, s16, v10
	v_mul_lo_u32 v13, v10, s12
	v_add_nc_u32_e32 v11, v10, v11
	s_delay_alu instid0(VALU_DEP_2) | instskip(NEXT) | instid1(VALU_DEP_2)
	v_sub_nc_u32_e32 v9, v9, v13
	v_lshrrev_b32_e32 v11, s17, v11
	s_delay_alu instid0(VALU_DEP_2) | instskip(SKIP_1) | instid1(VALU_DEP_3)
	v_mul_lo_u32 v13, v9, s36
	v_mul_lo_u32 v15, v9, s37
	v_mul_hi_u32 v12, s19, v11
	s_delay_alu instid0(VALU_DEP_1) | instskip(NEXT) | instid1(VALU_DEP_1)
	v_add_nc_u32_e32 v12, v11, v12
	v_lshrrev_b32_e32 v12, s20, v12
	s_delay_alu instid0(VALU_DEP_1) | instskip(SKIP_1) | instid1(VALU_DEP_2)
	v_mul_hi_u32 v14, s22, v12
	v_mul_lo_u32 v16, v12, s18
	v_add_nc_u32_e32 v9, v12, v14
	v_mul_lo_u32 v14, v11, s15
	s_delay_alu instid0(VALU_DEP_3) | instskip(NEXT) | instid1(VALU_DEP_3)
	v_sub_nc_u32_e32 v11, v11, v16
	v_lshrrev_b32_e32 v9, s23, v9
	s_delay_alu instid0(VALU_DEP_2) | instskip(SKIP_2) | instid1(VALU_DEP_4)
	v_mul_lo_u32 v16, v11, s40
	v_mul_lo_u32 v11, v11, s41
	v_sub_nc_u32_e32 v10, v10, v14
	v_mul_lo_u32 v17, v9, s21
	s_delay_alu instid0(VALU_DEP_2) | instskip(SKIP_1) | instid1(VALU_DEP_3)
	v_mul_lo_u32 v14, v10, s38
	v_mul_lo_u32 v10, v10, s39
	v_sub_nc_u32_e32 v12, v12, v17
	s_delay_alu instid0(VALU_DEP_3) | instskip(NEXT) | instid1(VALU_DEP_2)
	v_add3_u32 v4, v13, v4, v14
	v_mul_lo_u32 v17, v12, s42
	v_mul_lo_u32 v12, v12, s43
	v_add3_u32 v5, v15, v5, v10
	s_delay_alu instid0(VALU_DEP_3) | instskip(NEXT) | instid1(VALU_DEP_2)
	v_add3_u32 v4, v16, v4, v17
	v_add3_u32 v5, v11, v5, v12
	s_cbranch_scc1 .LBB503_127
; %bb.128:
	s_and_b32 s7, s7, 3
	s_delay_alu instid0(SALU_CYCLE_1)
	s_cmp_eq_u32 s7, 0
	s_cbranch_scc0 .LBB503_131
	s_branch .LBB503_133
.LBB503_129:
	s_mov_b32 s6, -1
                                        ; implicit-def: $vgpr4
                                        ; implicit-def: $vgpr5
	s_branch .LBB503_133
.LBB503_130:
	v_mov_b32_e32 v9, v7
	v_mov_b32_e32 v5, 0
	s_and_b32 s7, s7, 3
	s_delay_alu instid0(SALU_CYCLE_1)
	s_cmp_eq_u32 s7, 0
	s_cbranch_scc1 .LBB503_133
.LBB503_131:
	s_lshl_b32 s2, s10, 3
	s_mul_i32 s4, s10, 12
	s_add_u32 s2, s2, s0
	s_addc_u32 s3, 0, s1
	s_add_u32 s2, s2, 0xc4
	s_addc_u32 s3, s3, 0
	;; [unrolled: 2-line block ×3, first 2 shown]
	.p2align	6
.LBB503_132:                            ; =>This Inner Loop Header: Depth=1
	s_clause 0x1
	s_load_b64 s[10:11], s[4:5], 0x4
	s_load_b32 s14, s[4:5], 0xc
	s_load_b64 s[12:13], s[2:3], 0x0
	s_add_u32 s4, s4, 12
	s_addc_u32 s5, s5, 0
	s_add_u32 s2, s2, 8
	s_addc_u32 s3, s3, 0
	s_add_i32 s7, s7, -1
	s_delay_alu instid0(SALU_CYCLE_1) | instskip(SKIP_2) | instid1(VALU_DEP_1)
	s_cmp_lg_u32 s7, 0
	s_waitcnt lgkmcnt(0)
	v_mul_hi_u32 v10, s11, v9
	v_add_nc_u32_e32 v10, v9, v10
	s_delay_alu instid0(VALU_DEP_1) | instskip(NEXT) | instid1(VALU_DEP_1)
	v_lshrrev_b32_e32 v13, s14, v10
	v_mul_lo_u32 v10, v13, s10
	s_delay_alu instid0(VALU_DEP_1) | instskip(NEXT) | instid1(VALU_DEP_1)
	v_sub_nc_u32_e32 v9, v9, v10
	v_mad_u64_u32 v[10:11], null, v9, s12, v[4:5]
	v_mad_u64_u32 v[11:12], null, v9, s13, v[5:6]
	s_delay_alu instid0(VALU_DEP_2) | instskip(NEXT) | instid1(VALU_DEP_2)
	v_dual_mov_b32 v9, v13 :: v_dual_mov_b32 v4, v10
	v_mov_b32_e32 v5, v11
	s_cbranch_scc1 .LBB503_132
.LBB503_133:
	s_and_not1_b32 vcc_lo, exec_lo, s6
	s_cbranch_vccnz .LBB503_136
; %bb.134:
	s_clause 0x1
	s_load_b128 s[4:7], s[0:1], 0x4
	s_load_b64 s[2:3], s[0:1], 0xc4
	s_cmp_lt_u32 s26, 2
	s_waitcnt lgkmcnt(0)
	v_mul_hi_u32 v4, s5, v7
	s_delay_alu instid0(VALU_DEP_1) | instskip(NEXT) | instid1(VALU_DEP_1)
	v_add_nc_u32_e32 v4, v7, v4
	v_lshrrev_b32_e32 v9, s6, v4
	s_delay_alu instid0(VALU_DEP_1) | instskip(NEXT) | instid1(VALU_DEP_1)
	v_mul_lo_u32 v4, v9, s4
	v_sub_nc_u32_e32 v5, v7, v4
	s_delay_alu instid0(VALU_DEP_1)
	v_mul_lo_u32 v4, v5, s2
	v_mul_lo_u32 v5, v5, s3
	s_cbranch_scc1 .LBB503_136
; %bb.135:
	s_clause 0x1
	s_load_b128 s[4:7], s[0:1], 0x10
	s_load_b64 s[2:3], s[0:1], 0xcc
	s_waitcnt lgkmcnt(0)
	v_mul_hi_u32 v7, s5, v9
	s_delay_alu instid0(VALU_DEP_1) | instskip(NEXT) | instid1(VALU_DEP_1)
	v_add_nc_u32_e32 v7, v9, v7
	v_lshrrev_b32_e32 v7, s6, v7
	s_delay_alu instid0(VALU_DEP_1) | instskip(NEXT) | instid1(VALU_DEP_1)
	v_mul_lo_u32 v7, v7, s4
	v_sub_nc_u32_e32 v7, v9, v7
	s_delay_alu instid0(VALU_DEP_1) | instskip(SKIP_1) | instid1(VALU_DEP_1)
	v_mad_u64_u32 v[9:10], null, v7, s2, v[4:5]
	v_mad_u64_u32 v[10:11], null, v7, s3, v[5:6]
	v_dual_mov_b32 v4, v9 :: v_dual_mov_b32 v5, v10
.LBB503_136:
	v_cmp_ne_u32_e32 vcc_lo, 1, v6
	s_cbranch_vccnz .LBB503_142
; %bb.137:
	v_dual_mov_b32 v6, 0 :: v_dual_mov_b32 v7, 0
	s_cmp_lg_u32 s26, 0
	s_mov_b32 s6, 0
	s_cbranch_scc0 .LBB503_146
; %bb.138:
	s_min_u32 s7, s27, 15
	v_mov_b32_e32 v6, 0
	s_add_i32 s7, s7, 1
	s_cmp_eq_u32 s27, 2
	s_mov_b32 s10, 0
	s_cbranch_scc1 .LBB503_143
; %bb.139:
	v_dual_mov_b32 v7, 0 :: v_dual_mov_b32 v6, 0
	v_mov_b32_e32 v9, v8
	s_add_u32 s2, s0, 0xc4
	s_addc_u32 s3, s1, 0
	s_and_b32 s10, s7, 28
	s_mov_b32 s11, 0
	s_mov_b64 s[4:5], s[0:1]
.LBB503_140:                            ; =>This Inner Loop Header: Depth=1
	s_clause 0x1
	s_load_b256 s[12:19], s[4:5], 0x4
	s_load_b128 s[20:23], s[4:5], 0x24
	s_load_b256 s[36:43], s[2:3], 0x0
	s_add_u32 s4, s4, 48
	s_addc_u32 s5, s5, 0
	s_add_i32 s11, s11, 4
	s_add_u32 s2, s2, 32
	s_addc_u32 s3, s3, 0
	s_cmp_lg_u32 s10, s11
	s_waitcnt lgkmcnt(0)
	v_mul_hi_u32 v10, s13, v9
	s_delay_alu instid0(VALU_DEP_1) | instskip(NEXT) | instid1(VALU_DEP_1)
	v_add_nc_u32_e32 v10, v9, v10
	v_lshrrev_b32_e32 v10, s14, v10
	s_delay_alu instid0(VALU_DEP_1) | instskip(SKIP_1) | instid1(VALU_DEP_2)
	v_mul_hi_u32 v11, s16, v10
	v_mul_lo_u32 v13, v10, s12
	v_add_nc_u32_e32 v11, v10, v11
	s_delay_alu instid0(VALU_DEP_2) | instskip(NEXT) | instid1(VALU_DEP_2)
	v_sub_nc_u32_e32 v9, v9, v13
	v_lshrrev_b32_e32 v11, s17, v11
	s_delay_alu instid0(VALU_DEP_2) | instskip(SKIP_1) | instid1(VALU_DEP_3)
	v_mul_lo_u32 v13, v9, s36
	v_mul_lo_u32 v15, v9, s37
	v_mul_hi_u32 v12, s19, v11
	s_delay_alu instid0(VALU_DEP_1) | instskip(NEXT) | instid1(VALU_DEP_1)
	v_add_nc_u32_e32 v12, v11, v12
	v_lshrrev_b32_e32 v12, s20, v12
	s_delay_alu instid0(VALU_DEP_1) | instskip(SKIP_1) | instid1(VALU_DEP_2)
	v_mul_hi_u32 v14, s22, v12
	v_mul_lo_u32 v16, v12, s18
	v_add_nc_u32_e32 v9, v12, v14
	v_mul_lo_u32 v14, v11, s15
	s_delay_alu instid0(VALU_DEP_3) | instskip(NEXT) | instid1(VALU_DEP_3)
	v_sub_nc_u32_e32 v11, v11, v16
	v_lshrrev_b32_e32 v9, s23, v9
	s_delay_alu instid0(VALU_DEP_2) | instskip(SKIP_2) | instid1(VALU_DEP_4)
	v_mul_lo_u32 v16, v11, s40
	v_mul_lo_u32 v11, v11, s41
	v_sub_nc_u32_e32 v10, v10, v14
	v_mul_lo_u32 v17, v9, s21
	s_delay_alu instid0(VALU_DEP_2) | instskip(SKIP_1) | instid1(VALU_DEP_3)
	v_mul_lo_u32 v14, v10, s38
	v_mul_lo_u32 v10, v10, s39
	v_sub_nc_u32_e32 v12, v12, v17
	s_delay_alu instid0(VALU_DEP_3) | instskip(NEXT) | instid1(VALU_DEP_2)
	v_add3_u32 v6, v13, v6, v14
	v_mul_lo_u32 v17, v12, s42
	v_mul_lo_u32 v12, v12, s43
	v_add3_u32 v7, v15, v7, v10
	s_delay_alu instid0(VALU_DEP_3) | instskip(NEXT) | instid1(VALU_DEP_2)
	v_add3_u32 v6, v16, v6, v17
	v_add3_u32 v7, v11, v7, v12
	s_cbranch_scc1 .LBB503_140
; %bb.141:
	s_and_b32 s7, s7, 3
	s_delay_alu instid0(SALU_CYCLE_1)
	s_cmp_eq_u32 s7, 0
	s_cbranch_scc0 .LBB503_144
	s_branch .LBB503_146
.LBB503_142:
	s_mov_b32 s6, -1
                                        ; implicit-def: $vgpr6
                                        ; implicit-def: $vgpr7
	s_branch .LBB503_146
.LBB503_143:
	v_mov_b32_e32 v9, v8
	v_mov_b32_e32 v7, 0
	s_and_b32 s7, s7, 3
	s_delay_alu instid0(SALU_CYCLE_1)
	s_cmp_eq_u32 s7, 0
	s_cbranch_scc1 .LBB503_146
.LBB503_144:
	s_lshl_b32 s2, s10, 3
	s_mul_i32 s4, s10, 12
	s_add_u32 s2, s2, s0
	s_addc_u32 s3, 0, s1
	s_add_u32 s2, s2, 0xc4
	s_addc_u32 s3, s3, 0
	;; [unrolled: 2-line block ×3, first 2 shown]
	.p2align	6
.LBB503_145:                            ; =>This Inner Loop Header: Depth=1
	s_clause 0x1
	s_load_b64 s[10:11], s[4:5], 0x4
	s_load_b32 s14, s[4:5], 0xc
	s_load_b64 s[12:13], s[2:3], 0x0
	s_add_u32 s4, s4, 12
	s_addc_u32 s5, s5, 0
	s_add_u32 s2, s2, 8
	s_addc_u32 s3, s3, 0
	s_add_i32 s7, s7, -1
	s_delay_alu instid0(SALU_CYCLE_1) | instskip(SKIP_2) | instid1(VALU_DEP_1)
	s_cmp_lg_u32 s7, 0
	s_waitcnt lgkmcnt(0)
	v_mul_hi_u32 v10, s11, v9
	v_add_nc_u32_e32 v10, v9, v10
	s_delay_alu instid0(VALU_DEP_1) | instskip(NEXT) | instid1(VALU_DEP_1)
	v_lshrrev_b32_e32 v13, s14, v10
	v_mul_lo_u32 v10, v13, s10
	s_delay_alu instid0(VALU_DEP_1) | instskip(NEXT) | instid1(VALU_DEP_1)
	v_sub_nc_u32_e32 v9, v9, v10
	v_mad_u64_u32 v[10:11], null, v9, s12, v[6:7]
	v_mad_u64_u32 v[11:12], null, v9, s13, v[7:8]
	s_delay_alu instid0(VALU_DEP_2) | instskip(NEXT) | instid1(VALU_DEP_2)
	v_dual_mov_b32 v9, v13 :: v_dual_mov_b32 v6, v10
	v_mov_b32_e32 v7, v11
	s_cbranch_scc1 .LBB503_145
.LBB503_146:
	s_and_not1_b32 vcc_lo, exec_lo, s6
	s_cbranch_vccnz .LBB503_149
; %bb.147:
	s_clause 0x1
	s_load_b128 s[4:7], s[0:1], 0x4
	s_load_b64 s[2:3], s[0:1], 0xc4
	s_cmp_lt_u32 s26, 2
	s_waitcnt lgkmcnt(0)
	v_mul_hi_u32 v6, s5, v8
	s_delay_alu instid0(VALU_DEP_1) | instskip(NEXT) | instid1(VALU_DEP_1)
	v_add_nc_u32_e32 v6, v8, v6
	v_lshrrev_b32_e32 v9, s6, v6
	s_delay_alu instid0(VALU_DEP_1) | instskip(NEXT) | instid1(VALU_DEP_1)
	v_mul_lo_u32 v6, v9, s4
	v_sub_nc_u32_e32 v7, v8, v6
	s_delay_alu instid0(VALU_DEP_1)
	v_mul_lo_u32 v6, v7, s2
	v_mul_lo_u32 v7, v7, s3
	s_cbranch_scc1 .LBB503_149
; %bb.148:
	s_clause 0x1
	s_load_b128 s[4:7], s[0:1], 0x10
	s_load_b64 s[2:3], s[0:1], 0xcc
	s_waitcnt lgkmcnt(0)
	v_mul_hi_u32 v8, s5, v9
	s_delay_alu instid0(VALU_DEP_1) | instskip(NEXT) | instid1(VALU_DEP_1)
	v_add_nc_u32_e32 v8, v9, v8
	v_lshrrev_b32_e32 v8, s6, v8
	s_delay_alu instid0(VALU_DEP_1) | instskip(NEXT) | instid1(VALU_DEP_1)
	v_mul_lo_u32 v8, v8, s4
	v_sub_nc_u32_e32 v11, v9, v8
	s_delay_alu instid0(VALU_DEP_1) | instskip(NEXT) | instid1(VALU_DEP_1)
	v_mad_u64_u32 v[8:9], null, v11, s2, v[6:7]
	v_mad_u64_u32 v[9:10], null, v11, s3, v[7:8]
	s_delay_alu instid0(VALU_DEP_1)
	v_dual_mov_b32 v6, v8 :: v_dual_mov_b32 v7, v9
.LBB503_149:
	s_load_b256 s[0:7], s[0:1], 0x148
	s_waitcnt lgkmcnt(0)
	s_mov_b32 s7, exec_lo
	global_load_b64 v[9:10], v1, s[2:3]
	v_mov_b32_e32 v8, s4
	s_waitcnt vmcnt(0)
	v_cmpx_o_f32_e32 v9, v9
	s_cbranch_execz .LBB503_153
; %bb.150:
	v_mov_b32_e32 v8, s5
	s_mov_b32 s10, exec_lo
	v_cmpx_neq_f32_e32 0x7f800000, v9
; %bb.151:
	v_cmp_eq_f32_e32 vcc_lo, 0xff800000, v9
	v_cndmask_b32_e64 v8, v9, s6, vcc_lo
; %bb.152:
	s_or_b32 exec_lo, exec_lo, s10
.LBB503_153:
	s_delay_alu instid0(SALU_CYCLE_1)
	s_or_b32 exec_lo, exec_lo, s7
	v_mov_b32_e32 v9, s4
	s_mov_b32 s7, exec_lo
	v_cmpx_o_f32_e32 v10, v10
	s_cbranch_execz .LBB503_157
; %bb.154:
	v_mov_b32_e32 v9, s5
	s_mov_b32 s10, exec_lo
	v_cmpx_neq_f32_e32 0x7f800000, v10
; %bb.155:
	v_cmp_eq_f32_e32 vcc_lo, 0xff800000, v10
	v_cndmask_b32_e64 v9, v10, s6, vcc_lo
; %bb.156:
	s_or_b32 exec_lo, exec_lo, s10
.LBB503_157:
	s_delay_alu instid0(SALU_CYCLE_1)
	s_or_b32 exec_lo, exec_lo, s7
	global_load_b64 v[11:12], v3, s[2:3]
	v_mov_b32_e32 v10, s4
	s_mov_b32 s7, exec_lo
	s_waitcnt vmcnt(0)
	v_cmpx_o_f32_e32 v11, v11
	s_cbranch_execz .LBB503_161
; %bb.158:
	v_mov_b32_e32 v10, s5
	s_mov_b32 s10, exec_lo
	v_cmpx_neq_f32_e32 0x7f800000, v11
; %bb.159:
	v_cmp_eq_f32_e32 vcc_lo, 0xff800000, v11
	v_cndmask_b32_e64 v10, v11, s6, vcc_lo
; %bb.160:
	s_or_b32 exec_lo, exec_lo, s10
.LBB503_161:
	s_delay_alu instid0(SALU_CYCLE_1)
	s_or_b32 exec_lo, exec_lo, s7
	v_mov_b32_e32 v11, s4
	s_mov_b32 s7, exec_lo
	v_cmpx_o_f32_e32 v12, v12
	s_cbranch_execz .LBB503_165
; %bb.162:
	v_mov_b32_e32 v11, s5
	s_mov_b32 s10, exec_lo
	v_cmpx_neq_f32_e32 0x7f800000, v12
; %bb.163:
	v_cmp_eq_f32_e32 vcc_lo, 0xff800000, v12
	v_cndmask_b32_e64 v11, v12, s6, vcc_lo
; %bb.164:
	s_or_b32 exec_lo, exec_lo, s10
.LBB503_165:
	s_delay_alu instid0(SALU_CYCLE_1)
	s_or_b32 exec_lo, exec_lo, s7
	global_load_b64 v[13:14], v5, s[2:3]
	v_mov_b32_e32 v12, s4
	s_mov_b32 s7, exec_lo
	;; [unrolled: 34-line block ×3, first 2 shown]
	s_waitcnt vmcnt(0)
	v_cmpx_o_f32_e32 v14, v14
	s_cbranch_execz .LBB503_177
; %bb.174:
	v_mov_b32_e32 v3, s5
	s_mov_b32 s3, exec_lo
	v_cmpx_neq_f32_e32 0x7f800000, v14
; %bb.175:
	v_cmp_eq_f32_e32 vcc_lo, 0xff800000, v14
	v_cndmask_b32_e64 v3, v14, s6, vcc_lo
; %bb.176:
	s_or_b32 exec_lo, exec_lo, s3
.LBB503_177:
	s_delay_alu instid0(SALU_CYCLE_1)
	s_or_b32 exec_lo, exec_lo, s2
	v_mov_b32_e32 v1, s4
	s_mov_b32 s2, exec_lo
	v_cmpx_o_f32_e32 v15, v15
	s_cbranch_execz .LBB503_181
; %bb.178:
	v_mov_b32_e32 v1, s5
	s_mov_b32 s3, exec_lo
	v_cmpx_neq_f32_e32 0x7f800000, v15
; %bb.179:
	v_cmp_eq_f32_e32 vcc_lo, 0xff800000, v15
	v_cndmask_b32_e64 v1, v15, s6, vcc_lo
; %bb.180:
	s_or_b32 exec_lo, exec_lo, s3
.LBB503_181:
	s_delay_alu instid0(SALU_CYCLE_1) | instskip(SKIP_1) | instid1(VALU_DEP_1)
	s_or_b32 exec_lo, exec_lo, s2
	v_add_co_u32 v14, s2, s0, v6
	v_add_co_ci_u32_e64 v15, null, s1, 0, s2
	s_or_b32 s8, s8, exec_lo
	s_clause 0x3
	global_store_b64 v0, v[8:9], s[0:1]
	global_store_b64 v2, v[10:11], s[0:1]
	;; [unrolled: 1-line block ×3, first 2 shown]
	global_store_b32 v6, v3, s[0:1]
	s_or_b32 exec_lo, exec_lo, s9
	s_and_saveexec_b32 s0, s8
	s_cbranch_execz .LBB503_3
.LBB503_182:
	global_store_b32 v[14:15], v1, off offset:4
	s_nop 0
	s_sendmsg sendmsg(MSG_DEALLOC_VGPRS)
	s_endpgm
	.section	.rodata,"a",@progbits
	.p2align	6, 0x0
	.amdhsa_kernel _ZN2at6native32elementwise_kernel_manual_unrollILi128ELi4EZNS0_22gpu_kernel_impl_nocastIZZZNS0_22nan_to_num_kernel_cudaERNS_18TensorIteratorBaseESt8optionalIdES6_S6_ENKUlvE_clEvENKUlvE0_clEvEUlN3c107complexIfEEE_EEvS4_RKT_EUlibE_EEviT1_
		.amdhsa_group_segment_fixed_size 0
		.amdhsa_private_segment_fixed_size 0
		.amdhsa_kernarg_size 368
		.amdhsa_user_sgpr_count 15
		.amdhsa_user_sgpr_dispatch_ptr 0
		.amdhsa_user_sgpr_queue_ptr 0
		.amdhsa_user_sgpr_kernarg_segment_ptr 1
		.amdhsa_user_sgpr_dispatch_id 0
		.amdhsa_user_sgpr_private_segment_size 0
		.amdhsa_wavefront_size32 1
		.amdhsa_uses_dynamic_stack 0
		.amdhsa_enable_private_segment 0
		.amdhsa_system_sgpr_workgroup_id_x 1
		.amdhsa_system_sgpr_workgroup_id_y 0
		.amdhsa_system_sgpr_workgroup_id_z 0
		.amdhsa_system_sgpr_workgroup_info 0
		.amdhsa_system_vgpr_workitem_id 0
		.amdhsa_next_free_vgpr 18
		.amdhsa_next_free_sgpr 60
		.amdhsa_reserve_vcc 1
		.amdhsa_float_round_mode_32 0
		.amdhsa_float_round_mode_16_64 0
		.amdhsa_float_denorm_mode_32 3
		.amdhsa_float_denorm_mode_16_64 3
		.amdhsa_dx10_clamp 1
		.amdhsa_ieee_mode 1
		.amdhsa_fp16_overflow 0
		.amdhsa_workgroup_processor_mode 1
		.amdhsa_memory_ordered 1
		.amdhsa_forward_progress 0
		.amdhsa_shared_vgpr_count 0
		.amdhsa_exception_fp_ieee_invalid_op 0
		.amdhsa_exception_fp_denorm_src 0
		.amdhsa_exception_fp_ieee_div_zero 0
		.amdhsa_exception_fp_ieee_overflow 0
		.amdhsa_exception_fp_ieee_underflow 0
		.amdhsa_exception_fp_ieee_inexact 0
		.amdhsa_exception_int_div_zero 0
	.end_amdhsa_kernel
	.section	.text._ZN2at6native32elementwise_kernel_manual_unrollILi128ELi4EZNS0_22gpu_kernel_impl_nocastIZZZNS0_22nan_to_num_kernel_cudaERNS_18TensorIteratorBaseESt8optionalIdES6_S6_ENKUlvE_clEvENKUlvE0_clEvEUlN3c107complexIfEEE_EEvS4_RKT_EUlibE_EEviT1_,"axG",@progbits,_ZN2at6native32elementwise_kernel_manual_unrollILi128ELi4EZNS0_22gpu_kernel_impl_nocastIZZZNS0_22nan_to_num_kernel_cudaERNS_18TensorIteratorBaseESt8optionalIdES6_S6_ENKUlvE_clEvENKUlvE0_clEvEUlN3c107complexIfEEE_EEvS4_RKT_EUlibE_EEviT1_,comdat
.Lfunc_end503:
	.size	_ZN2at6native32elementwise_kernel_manual_unrollILi128ELi4EZNS0_22gpu_kernel_impl_nocastIZZZNS0_22nan_to_num_kernel_cudaERNS_18TensorIteratorBaseESt8optionalIdES6_S6_ENKUlvE_clEvENKUlvE0_clEvEUlN3c107complexIfEEE_EEvS4_RKT_EUlibE_EEviT1_, .Lfunc_end503-_ZN2at6native32elementwise_kernel_manual_unrollILi128ELi4EZNS0_22gpu_kernel_impl_nocastIZZZNS0_22nan_to_num_kernel_cudaERNS_18TensorIteratorBaseESt8optionalIdES6_S6_ENKUlvE_clEvENKUlvE0_clEvEUlN3c107complexIfEEE_EEvS4_RKT_EUlibE_EEviT1_
                                        ; -- End function
	.section	.AMDGPU.csdata,"",@progbits
; Kernel info:
; codeLenInByte = 7744
; NumSgprs: 62
; NumVgprs: 18
; ScratchSize: 0
; MemoryBound: 0
; FloatMode: 240
; IeeeMode: 1
; LDSByteSize: 0 bytes/workgroup (compile time only)
; SGPRBlocks: 7
; VGPRBlocks: 2
; NumSGPRsForWavesPerEU: 62
; NumVGPRsForWavesPerEU: 18
; Occupancy: 16
; WaveLimiterHint : 1
; COMPUTE_PGM_RSRC2:SCRATCH_EN: 0
; COMPUTE_PGM_RSRC2:USER_SGPR: 15
; COMPUTE_PGM_RSRC2:TRAP_HANDLER: 0
; COMPUTE_PGM_RSRC2:TGID_X_EN: 1
; COMPUTE_PGM_RSRC2:TGID_Y_EN: 0
; COMPUTE_PGM_RSRC2:TGID_Z_EN: 0
; COMPUTE_PGM_RSRC2:TIDIG_COMP_CNT: 0
	.section	.text._ZN2at6native32elementwise_kernel_manual_unrollILi128ELi4EZNS0_15gpu_kernel_implIZZZNS0_22nan_to_num_kernel_cudaERNS_18TensorIteratorBaseESt8optionalIdES6_S6_ENKUlvE_clEvENKUlvE0_clEvEUlN3c107complexIfEEE_EEvS4_RKT_EUlibE_EEviT1_,"axG",@progbits,_ZN2at6native32elementwise_kernel_manual_unrollILi128ELi4EZNS0_15gpu_kernel_implIZZZNS0_22nan_to_num_kernel_cudaERNS_18TensorIteratorBaseESt8optionalIdES6_S6_ENKUlvE_clEvENKUlvE0_clEvEUlN3c107complexIfEEE_EEvS4_RKT_EUlibE_EEviT1_,comdat
	.globl	_ZN2at6native32elementwise_kernel_manual_unrollILi128ELi4EZNS0_15gpu_kernel_implIZZZNS0_22nan_to_num_kernel_cudaERNS_18TensorIteratorBaseESt8optionalIdES6_S6_ENKUlvE_clEvENKUlvE0_clEvEUlN3c107complexIfEEE_EEvS4_RKT_EUlibE_EEviT1_ ; -- Begin function _ZN2at6native32elementwise_kernel_manual_unrollILi128ELi4EZNS0_15gpu_kernel_implIZZZNS0_22nan_to_num_kernel_cudaERNS_18TensorIteratorBaseESt8optionalIdES6_S6_ENKUlvE_clEvENKUlvE0_clEvEUlN3c107complexIfEEE_EEvS4_RKT_EUlibE_EEviT1_
	.p2align	8
	.type	_ZN2at6native32elementwise_kernel_manual_unrollILi128ELi4EZNS0_15gpu_kernel_implIZZZNS0_22nan_to_num_kernel_cudaERNS_18TensorIteratorBaseESt8optionalIdES6_S6_ENKUlvE_clEvENKUlvE0_clEvEUlN3c107complexIfEEE_EEvS4_RKT_EUlibE_EEviT1_,@function
_ZN2at6native32elementwise_kernel_manual_unrollILi128ELi4EZNS0_15gpu_kernel_implIZZZNS0_22nan_to_num_kernel_cudaERNS_18TensorIteratorBaseESt8optionalIdES6_S6_ENKUlvE_clEvENKUlvE0_clEvEUlN3c107complexIfEEE_EEvS4_RKT_EUlibE_EEviT1_: ; @_ZN2at6native32elementwise_kernel_manual_unrollILi128ELi4EZNS0_15gpu_kernel_implIZZZNS0_22nan_to_num_kernel_cudaERNS_18TensorIteratorBaseESt8optionalIdES6_S6_ENKUlvE_clEvENKUlvE0_clEvEUlN3c107complexIfEEE_EEvS4_RKT_EUlibE_EEviT1_
; %bb.0:
	s_clause 0x2
	s_load_b64 s[2:3], s[0:1], 0x28
	s_load_b32 s14, s[0:1], 0x0
	s_load_b256 s[4:11], s[0:1], 0x8
	v_lshl_or_b32 v10, s15, 9, v0
	s_mov_b32 s1, 0
	s_mov_b32 s13, 0
	s_mov_b32 s0, exec_lo
	s_delay_alu instid0(VALU_DEP_1) | instskip(SKIP_2) | instid1(VALU_DEP_2)
	v_or_b32_e32 v0, 0x180, v10
	s_waitcnt lgkmcnt(0)
	v_lshrrev_b16 v11, 8, s3
	v_cmpx_le_i32_e64 s14, v0
	s_xor_b32 s12, exec_lo, s0
	s_cbranch_execz .LBB504_1085
; %bb.1:
	s_mov_b32 s19, -1
	s_mov_b32 s17, 0
	s_mov_b32 s15, 0
	s_mov_b32 s16, exec_lo
	v_cmpx_gt_i32_e64 s14, v10
	s_cbranch_execz .LBB504_265
; %bb.2:
	v_mul_lo_u32 v0, v10, s9
	v_cmp_gt_i16_e32 vcc_lo, 11, v11
	s_delay_alu instid0(VALU_DEP_2) | instskip(SKIP_1) | instid1(VALU_DEP_1)
	v_ashrrev_i32_e32 v1, 31, v0
	v_add_co_u32 v0, s0, s6, v0
	v_add_co_ci_u32_e64 v1, s0, s7, v1, s0
	s_cbranch_vccnz .LBB504_9
; %bb.3:
	v_cmp_lt_i16_e32 vcc_lo, 25, v11
	s_cbranch_vccz .LBB504_26
; %bb.4:
	v_cmp_lt_i16_e32 vcc_lo, 28, v11
	s_cbranch_vccz .LBB504_29
	;; [unrolled: 3-line block ×4, first 2 shown]
; %bb.7:
	v_cmp_eq_u16_e32 vcc_lo, 46, v11
	s_cbranch_vccz .LBB504_35
; %bb.8:
	global_load_b32 v2, v[0:1], off
	s_mov_b32 s0, -1
	s_waitcnt vmcnt(0)
	v_and_b32_e32 v3, 0xffff0000, v2
	v_lshlrev_b32_e32 v2, 16, v2
	s_branch .LBB504_37
.LBB504_9:
	s_mov_b32 s0, 0
                                        ; implicit-def: $vgpr3
	s_cbranch_execnz .LBB504_213
.LBB504_10:
	s_and_not1_b32 vcc_lo, exec_lo, s0
	s_cbranch_vccnz .LBB504_262
.LBB504_11:
	v_mov_b32_e32 v0, s10
	s_mov_b32 s0, exec_lo
	s_waitcnt vmcnt(0)
	s_delay_alu instid0(VALU_DEP_3)
	v_cmpx_o_f32_e32 v2, v2
	s_cbranch_execz .LBB504_15
; %bb.12:
	v_mov_b32_e32 v0, s11
	s_mov_b32 s13, exec_lo
	v_cmpx_neq_f32_e32 0x7f800000, v2
; %bb.13:
	v_cmp_eq_f32_e32 vcc_lo, 0xff800000, v2
	v_cndmask_b32_e64 v0, v2, s2, vcc_lo
; %bb.14:
	s_or_b32 exec_lo, exec_lo, s13
.LBB504_15:
	s_delay_alu instid0(SALU_CYCLE_1) | instskip(SKIP_2) | instid1(VALU_DEP_4)
	s_or_b32 exec_lo, exec_lo, s0
	v_mov_b32_e32 v1, s10
	s_mov_b32 s0, exec_lo
	v_cmpx_o_f32_e32 v3, v3
	s_cbranch_execz .LBB504_19
; %bb.16:
	v_mov_b32_e32 v1, s11
	s_mov_b32 s13, exec_lo
	v_cmpx_neq_f32_e32 0x7f800000, v3
; %bb.17:
	v_cmp_eq_f32_e32 vcc_lo, 0xff800000, v3
	v_cndmask_b32_e64 v1, v3, s2, vcc_lo
; %bb.18:
	s_or_b32 exec_lo, exec_lo, s13
.LBB504_19:
	s_delay_alu instid0(SALU_CYCLE_1) | instskip(SKIP_2) | instid1(VALU_DEP_1)
	s_or_b32 exec_lo, exec_lo, s0
	v_mul_lo_u32 v2, v10, s8
	v_and_b32_e64 v4, 0xff, s3
	v_cmp_gt_i16_e32 vcc_lo, 11, v4
	s_delay_alu instid0(VALU_DEP_3) | instskip(SKIP_1) | instid1(VALU_DEP_1)
	v_ashrrev_i32_e32 v3, 31, v2
	v_add_co_u32 v2, s0, s4, v2
	v_add_co_ci_u32_e64 v3, s0, s5, v3, s0
	s_cbranch_vccnz .LBB504_27
; %bb.20:
	v_cmp_lt_i16_e32 vcc_lo, 25, v4
	s_cbranch_vccz .LBB504_30
; %bb.21:
	v_cmp_lt_i16_e32 vcc_lo, 28, v4
	s_cbranch_vccz .LBB504_32
	;; [unrolled: 3-line block ×4, first 2 shown]
; %bb.24:
	v_cmp_eq_u16_e32 vcc_lo, 46, v4
	s_mov_b32 s18, 0
	s_mov_b32 s0, -1
	s_mov_b32 s13, 0
	s_cbranch_vccz .LBB504_41
; %bb.25:
	v_bfe_u32 v5, v1, 16, 1
	v_bfe_u32 v6, v0, 16, 1
	v_cmp_o_f32_e32 vcc_lo, v1, v1
	s_mov_b32 s13, -1
	s_mov_b32 s0, 0
	v_add3_u32 v5, v1, v5, 0x7fff
	v_add3_u32 v6, v0, v6, 0x7fff
	s_delay_alu instid0(VALU_DEP_2) | instskip(NEXT) | instid1(VALU_DEP_2)
	v_and_b32_e32 v5, 0xffff0000, v5
	v_lshrrev_b32_e32 v6, 16, v6
	s_delay_alu instid0(VALU_DEP_2) | instskip(SKIP_1) | instid1(VALU_DEP_3)
	v_cndmask_b32_e32 v5, 0x7fc00000, v5, vcc_lo
	v_cmp_o_f32_e32 vcc_lo, v0, v0
	v_cndmask_b32_e32 v6, 0x7fc0, v6, vcc_lo
	s_delay_alu instid0(VALU_DEP_1)
	v_or_b32_e32 v5, v5, v6
	global_store_b32 v[2:3], v5, off
	s_branch .LBB504_41
.LBB504_26:
	s_mov_b32 s0, 0
                                        ; implicit-def: $vgpr3
	s_cbranch_execnz .LBB504_179
	s_branch .LBB504_212
.LBB504_27:
	s_mov_b32 s0, 0
	s_mov_b32 s13, 0
	s_cbranch_execnz .LBB504_110
.LBB504_28:
	s_and_not1_b32 vcc_lo, exec_lo, s13
	s_cbranch_vccnz .LBB504_263
	s_branch .LBB504_148
.LBB504_29:
	s_mov_b32 s13, -1
	s_mov_b32 s0, 0
                                        ; implicit-def: $vgpr3
	s_branch .LBB504_158
.LBB504_30:
	s_mov_b32 s18, -1
	s_mov_b32 s0, 0
	s_mov_b32 s13, 0
	s_branch .LBB504_68
.LBB504_31:
	s_mov_b32 s13, -1
	s_mov_b32 s0, 0
                                        ; implicit-def: $vgpr3
	s_branch .LBB504_152
.LBB504_32:
	s_mov_b32 s18, -1
	s_mov_b32 s0, 0
	s_mov_b32 s13, 0
	s_branch .LBB504_51
.LBB504_33:
	s_mov_b32 s13, -1
	s_branch .LBB504_36
.LBB504_34:
	s_mov_b32 s18, -1
	s_mov_b32 s0, 0
	s_mov_b32 s13, 0
	s_branch .LBB504_47
.LBB504_35:
	s_mov_b32 s15, -1
.LBB504_36:
	s_mov_b32 s0, 0
                                        ; implicit-def: $vgpr3
.LBB504_37:
	s_and_b32 vcc_lo, exec_lo, s13
	s_cbranch_vccz .LBB504_151
; %bb.38:
	v_cmp_eq_u16_e32 vcc_lo, 44, v11
	s_cbranch_vccz .LBB504_149
; %bb.39:
	global_load_u8 v2, v[0:1], off
	s_mov_b32 s15, 0
	s_mov_b32 s0, -1
	s_waitcnt vmcnt(0)
	v_lshlrev_b32_e32 v3, 23, v2
	v_cmp_ne_u32_e32 vcc_lo, 0xff, v2
	s_delay_alu instid0(VALU_DEP_2) | instskip(SKIP_1) | instid1(VALU_DEP_2)
	v_cndmask_b32_e32 v3, 0x7f800001, v3, vcc_lo
	v_cmp_ne_u32_e32 vcc_lo, 0, v2
	v_cndmask_b32_e32 v2, 0x400000, v3, vcc_lo
	s_branch .LBB504_150
.LBB504_40:
	s_mov_b32 s18, -1
	s_mov_b32 s0, 0
	s_mov_b32 s13, 0
.LBB504_41:
	s_and_b32 vcc_lo, exec_lo, s18
	s_cbranch_vccz .LBB504_46
; %bb.42:
	v_cmp_eq_u16_e32 vcc_lo, 44, v4
	s_mov_b32 s0, -1
	s_cbranch_vccz .LBB504_46
; %bb.43:
	v_bfe_u32 v6, v0, 23, 8
	v_mov_b32_e32 v5, 0xff
	s_mov_b32 s13, exec_lo
	s_delay_alu instid0(VALU_DEP_2)
	v_cmpx_ne_u32_e32 0xff, v6
; %bb.44:
	v_and_b32_e32 v5, 0x400000, v0
	v_and_or_b32 v6, 0x3fffff, v0, v6
	s_delay_alu instid0(VALU_DEP_2) | instskip(NEXT) | instid1(VALU_DEP_2)
	v_cmp_ne_u32_e32 vcc_lo, 0, v5
	v_cmp_ne_u32_e64 s0, 0, v6
	v_lshrrev_b32_e32 v5, 23, v0
	s_delay_alu instid0(VALU_DEP_2) | instskip(NEXT) | instid1(SALU_CYCLE_1)
	s_and_b32 s0, vcc_lo, s0
	v_cndmask_b32_e64 v6, 0, 1, s0
	s_delay_alu instid0(VALU_DEP_1)
	v_add_nc_u32_e32 v5, v5, v6
; %bb.45:
	s_or_b32 exec_lo, exec_lo, s13
	s_mov_b32 s13, -1
	s_mov_b32 s0, 0
	global_store_b8 v[2:3], v5, off
.LBB504_46:
	s_mov_b32 s18, 0
.LBB504_47:
	s_delay_alu instid0(SALU_CYCLE_1)
	s_and_b32 vcc_lo, exec_lo, s18
	s_cbranch_vccz .LBB504_50
; %bb.48:
	v_cmp_eq_u16_e32 vcc_lo, 29, v4
	s_mov_b32 s0, -1
	s_cbranch_vccz .LBB504_50
; %bb.49:
	v_trunc_f32_e32 v5, v0
	s_mov_b32 s13, -1
	s_mov_b32 s0, 0
	s_mov_b32 s18, 0
	s_delay_alu instid0(VALU_DEP_1) | instskip(NEXT) | instid1(VALU_DEP_1)
	v_mul_f32_e32 v6, 0x2f800000, v5
	v_floor_f32_e32 v6, v6
	s_delay_alu instid0(VALU_DEP_1) | instskip(SKIP_1) | instid1(VALU_DEP_2)
	v_fmamk_f32 v5, v6, 0xcf800000, v5
	v_cvt_u32_f32_e32 v6, v6
	v_cvt_u32_f32_e32 v5, v5
	global_store_b64 v[2:3], v[5:6], off
	s_branch .LBB504_51
.LBB504_50:
	s_mov_b32 s18, 0
.LBB504_51:
	s_delay_alu instid0(SALU_CYCLE_1)
	s_and_b32 vcc_lo, exec_lo, s18
	s_cbranch_vccz .LBB504_67
; %bb.52:
	v_cmp_gt_i16_e32 vcc_lo, 27, v4
	s_mov_b32 s13, -1
	s_cbranch_vccnz .LBB504_58
; %bb.53:
	v_cmp_lt_i16_e32 vcc_lo, 27, v4
	s_cbranch_vccz .LBB504_55
; %bb.54:
	v_cvt_u32_f32_e32 v5, v0
	s_mov_b32 s13, 0
	global_store_b32 v[2:3], v5, off
.LBB504_55:
	s_and_not1_b32 vcc_lo, exec_lo, s13
	s_cbranch_vccnz .LBB504_57
; %bb.56:
	v_cvt_u32_f32_e32 v5, v0
	global_store_b16 v[2:3], v5, off
.LBB504_57:
	s_mov_b32 s13, 0
.LBB504_58:
	s_delay_alu instid0(SALU_CYCLE_1)
	s_and_not1_b32 vcc_lo, exec_lo, s13
	s_cbranch_vccnz .LBB504_66
; %bb.59:
	v_and_b32_e32 v5, 0x7fffffff, v0
	v_mov_b32_e32 v6, 0x80
	s_mov_b32 s13, exec_lo
	s_delay_alu instid0(VALU_DEP_2)
	v_cmpx_gt_u32_e32 0x43800000, v5
	s_cbranch_execz .LBB504_65
; %bb.60:
	v_cmp_lt_u32_e32 vcc_lo, 0x3bffffff, v5
	s_mov_b32 s18, 0
                                        ; implicit-def: $vgpr5
	s_and_saveexec_b32 s19, vcc_lo
	s_delay_alu instid0(SALU_CYCLE_1)
	s_xor_b32 s19, exec_lo, s19
	s_cbranch_execz .LBB504_297
; %bb.61:
	v_bfe_u32 v5, v0, 20, 1
	s_mov_b32 s18, exec_lo
	s_delay_alu instid0(VALU_DEP_1) | instskip(NEXT) | instid1(VALU_DEP_1)
	v_add3_u32 v5, v0, v5, 0x487ffff
	v_lshrrev_b32_e32 v5, 20, v5
	s_or_saveexec_b32 s19, s19
                                        ; implicit-def: $sgpr20
	s_delay_alu instid0(SALU_CYCLE_1)
	s_xor_b32 exec_lo, exec_lo, s19
	s_cbranch_execnz .LBB504_298
.LBB504_62:
	s_or_b32 exec_lo, exec_lo, s19
	v_mov_b32_e32 v6, s20
	s_and_saveexec_b32 s19, s18
.LBB504_63:
	v_lshrrev_b32_e32 v6, 24, v0
	s_delay_alu instid0(VALU_DEP_1)
	v_and_or_b32 v6, 0x80, v6, v5
.LBB504_64:
	s_or_b32 exec_lo, exec_lo, s19
.LBB504_65:
	s_delay_alu instid0(SALU_CYCLE_1)
	s_or_b32 exec_lo, exec_lo, s13
	global_store_b8 v[2:3], v6, off
.LBB504_66:
	s_mov_b32 s13, -1
.LBB504_67:
	s_mov_b32 s18, 0
.LBB504_68:
	s_delay_alu instid0(SALU_CYCLE_1)
	s_and_b32 vcc_lo, exec_lo, s18
	s_cbranch_vccz .LBB504_109
; %bb.69:
	v_cmp_lt_i16_e32 vcc_lo, 22, v4
	s_mov_b32 s18, -1
	s_cbranch_vccz .LBB504_101
; %bb.70:
	v_cmp_gt_i16_e32 vcc_lo, 24, v4
	s_mov_b32 s13, -1
	s_cbranch_vccnz .LBB504_90
; %bb.71:
	v_cmp_lt_i16_e32 vcc_lo, 24, v4
	s_cbranch_vccz .LBB504_79
; %bb.72:
	v_and_b32_e32 v5, 0x7fffffff, v0
	v_mov_b32_e32 v6, 0x80
	s_mov_b32 s13, exec_lo
	s_delay_alu instid0(VALU_DEP_2)
	v_cmpx_gt_u32_e32 0x47800000, v5
	s_cbranch_execz .LBB504_78
; %bb.73:
	v_cmp_lt_u32_e32 vcc_lo, 0x37ffffff, v5
	s_mov_b32 s18, 0
                                        ; implicit-def: $vgpr5
	s_and_saveexec_b32 s19, vcc_lo
	s_delay_alu instid0(SALU_CYCLE_1)
	s_xor_b32 s19, exec_lo, s19
	s_cbranch_execz .LBB504_301
; %bb.74:
	v_bfe_u32 v5, v0, 21, 1
	s_mov_b32 s18, exec_lo
	s_delay_alu instid0(VALU_DEP_1) | instskip(NEXT) | instid1(VALU_DEP_1)
	v_add3_u32 v5, v0, v5, 0x88fffff
	v_lshrrev_b32_e32 v5, 21, v5
	s_or_saveexec_b32 s19, s19
                                        ; implicit-def: $sgpr20
	s_delay_alu instid0(SALU_CYCLE_1)
	s_xor_b32 exec_lo, exec_lo, s19
	s_cbranch_execnz .LBB504_302
.LBB504_75:
	s_or_b32 exec_lo, exec_lo, s19
	v_mov_b32_e32 v6, s20
	s_and_saveexec_b32 s19, s18
.LBB504_76:
	v_lshrrev_b32_e32 v6, 24, v0
	s_delay_alu instid0(VALU_DEP_1)
	v_and_or_b32 v6, 0x80, v6, v5
.LBB504_77:
	s_or_b32 exec_lo, exec_lo, s19
.LBB504_78:
	s_delay_alu instid0(SALU_CYCLE_1)
	s_or_b32 exec_lo, exec_lo, s13
	s_mov_b32 s13, 0
	global_store_b8 v[2:3], v6, off
.LBB504_79:
	s_and_b32 vcc_lo, exec_lo, s13
	s_cbranch_vccz .LBB504_89
; %bb.80:
	v_and_b32_e32 v6, 0x7fffffff, v0
	s_mov_b32 s13, exec_lo
                                        ; implicit-def: $vgpr5
	s_delay_alu instid0(VALU_DEP_1)
	v_cmpx_gt_u32_e32 0x43f00000, v6
	s_xor_b32 s13, exec_lo, s13
	s_cbranch_execz .LBB504_86
; %bb.81:
	s_mov_b32 s18, exec_lo
                                        ; implicit-def: $vgpr5
	v_cmpx_lt_u32_e32 0x3c7fffff, v6
	s_xor_b32 s18, exec_lo, s18
; %bb.82:
	v_bfe_u32 v5, v0, 20, 1
	s_delay_alu instid0(VALU_DEP_1) | instskip(NEXT) | instid1(VALU_DEP_1)
	v_add3_u32 v5, v0, v5, 0x407ffff
	v_and_b32_e32 v6, 0xff00000, v5
	v_lshrrev_b32_e32 v5, 20, v5
	s_delay_alu instid0(VALU_DEP_2) | instskip(NEXT) | instid1(VALU_DEP_2)
	v_cmp_ne_u32_e32 vcc_lo, 0x7f00000, v6
	v_cndmask_b32_e32 v5, 0x7e, v5, vcc_lo
; %bb.83:
	s_and_not1_saveexec_b32 s18, s18
; %bb.84:
	v_add_f32_e64 v5, 0x46800000, |v0|
; %bb.85:
	s_or_b32 exec_lo, exec_lo, s18
                                        ; implicit-def: $vgpr6
.LBB504_86:
	s_and_not1_saveexec_b32 s13, s13
; %bb.87:
	v_mov_b32_e32 v5, 0x7f
	v_cmp_lt_u32_e32 vcc_lo, 0x7f800000, v6
	s_delay_alu instid0(VALU_DEP_2)
	v_cndmask_b32_e32 v5, 0x7e, v5, vcc_lo
; %bb.88:
	s_or_b32 exec_lo, exec_lo, s13
	v_lshrrev_b32_e32 v6, 24, v0
	s_delay_alu instid0(VALU_DEP_1)
	v_and_or_b32 v5, 0x80, v6, v5
	global_store_b8 v[2:3], v5, off
.LBB504_89:
	s_mov_b32 s13, 0
.LBB504_90:
	s_delay_alu instid0(SALU_CYCLE_1)
	s_and_not1_b32 vcc_lo, exec_lo, s13
	s_cbranch_vccnz .LBB504_100
; %bb.91:
	v_and_b32_e32 v6, 0x7fffffff, v0
	s_mov_b32 s13, exec_lo
                                        ; implicit-def: $vgpr5
	s_delay_alu instid0(VALU_DEP_1)
	v_cmpx_gt_u32_e32 0x47800000, v6
	s_xor_b32 s13, exec_lo, s13
	s_cbranch_execz .LBB504_97
; %bb.92:
	s_mov_b32 s18, exec_lo
                                        ; implicit-def: $vgpr5
	v_cmpx_lt_u32_e32 0x387fffff, v6
	s_xor_b32 s18, exec_lo, s18
; %bb.93:
	v_bfe_u32 v5, v0, 21, 1
	s_delay_alu instid0(VALU_DEP_1) | instskip(NEXT) | instid1(VALU_DEP_1)
	v_add3_u32 v5, v0, v5, 0x80fffff
	v_lshrrev_b32_e32 v5, 21, v5
; %bb.94:
	s_and_not1_saveexec_b32 s18, s18
; %bb.95:
	v_add_f32_e64 v5, 0x43000000, |v0|
; %bb.96:
	s_or_b32 exec_lo, exec_lo, s18
                                        ; implicit-def: $vgpr6
.LBB504_97:
	s_and_not1_saveexec_b32 s13, s13
; %bb.98:
	v_mov_b32_e32 v5, 0x7f
	v_cmp_lt_u32_e32 vcc_lo, 0x7f800000, v6
	s_delay_alu instid0(VALU_DEP_2)
	v_cndmask_b32_e32 v5, 0x7c, v5, vcc_lo
; %bb.99:
	s_or_b32 exec_lo, exec_lo, s13
	v_lshrrev_b32_e32 v6, 24, v0
	s_delay_alu instid0(VALU_DEP_1)
	v_and_or_b32 v5, 0x80, v6, v5
	global_store_b8 v[2:3], v5, off
.LBB504_100:
	s_mov_b32 s18, 0
	s_mov_b32 s13, -1
.LBB504_101:
	s_and_not1_b32 vcc_lo, exec_lo, s18
	s_cbranch_vccnz .LBB504_109
; %bb.102:
	v_cmp_lt_i16_e32 vcc_lo, 14, v4
	s_mov_b32 s18, -1
	s_cbranch_vccz .LBB504_106
; %bb.103:
	v_cmp_eq_u16_e32 vcc_lo, 15, v4
	s_mov_b32 s0, -1
	s_cbranch_vccz .LBB504_105
; %bb.104:
	v_bfe_u32 v5, v0, 16, 1
	v_cmp_o_f32_e32 vcc_lo, v0, v0
	s_mov_b32 s13, -1
	s_mov_b32 s0, 0
	s_delay_alu instid0(VALU_DEP_2) | instskip(NEXT) | instid1(VALU_DEP_1)
	v_add3_u32 v5, v0, v5, 0x7fff
	v_lshrrev_b32_e32 v5, 16, v5
	s_delay_alu instid0(VALU_DEP_1)
	v_cndmask_b32_e32 v5, 0x7fc0, v5, vcc_lo
	global_store_b16 v[2:3], v5, off
.LBB504_105:
	s_mov_b32 s18, 0
.LBB504_106:
	s_delay_alu instid0(SALU_CYCLE_1)
	s_and_b32 vcc_lo, exec_lo, s18
	s_cbranch_vccz .LBB504_109
; %bb.107:
	v_cmp_eq_u16_e32 vcc_lo, 11, v4
	s_mov_b32 s0, -1
	s_cbranch_vccz .LBB504_109
; %bb.108:
	v_cmp_neq_f32_e32 vcc_lo, 0, v0
	v_cmp_neq_f32_e64 s0, 0, v1
	s_mov_b32 s13, -1
	s_delay_alu instid0(VALU_DEP_1) | instskip(NEXT) | instid1(SALU_CYCLE_1)
	s_or_b32 s0, vcc_lo, s0
	v_cndmask_b32_e64 v5, 0, 1, s0
	s_mov_b32 s0, 0
	global_store_b8 v[2:3], v5, off
.LBB504_109:
	s_branch .LBB504_28
.LBB504_110:
	v_cmp_gt_i16_e32 vcc_lo, 5, v4
	s_mov_b32 s13, -1
	s_cbranch_vccnz .LBB504_131
; %bb.111:
	v_cmp_gt_i16_e32 vcc_lo, 8, v4
	s_cbranch_vccnz .LBB504_121
; %bb.112:
	v_cmp_gt_i16_e32 vcc_lo, 9, v4
	s_cbranch_vccnz .LBB504_118
; %bb.113:
	v_cmp_lt_i16_e32 vcc_lo, 9, v4
	s_cbranch_vccz .LBB504_115
; %bb.114:
	v_cvt_f64_f32_e32 v[5:6], v0
	v_cvt_f64_f32_e32 v[7:8], v1
	s_mov_b32 s13, 0
	global_store_b128 v[2:3], v[5:8], off
.LBB504_115:
	s_and_not1_b32 vcc_lo, exec_lo, s13
	s_cbranch_vccnz .LBB504_117
; %bb.116:
	global_store_b64 v[2:3], v[0:1], off
.LBB504_117:
	s_mov_b32 s13, 0
.LBB504_118:
	s_delay_alu instid0(SALU_CYCLE_1)
	s_and_not1_b32 vcc_lo, exec_lo, s13
	s_cbranch_vccnz .LBB504_120
; %bb.119:
	v_cvt_f16_f32_e32 v1, v1
	v_cvt_f16_f32_e32 v5, v0
	s_delay_alu instid0(VALU_DEP_2) | instskip(NEXT) | instid1(VALU_DEP_2)
	v_lshlrev_b32_e32 v1, 16, v1
	v_and_b32_e32 v5, 0xffff, v5
	s_delay_alu instid0(VALU_DEP_1)
	v_or_b32_e32 v1, v1, v5
	global_store_b32 v[2:3], v1, off
.LBB504_120:
	s_mov_b32 s13, 0
.LBB504_121:
	s_delay_alu instid0(SALU_CYCLE_1)
	s_and_not1_b32 vcc_lo, exec_lo, s13
	s_cbranch_vccnz .LBB504_130
; %bb.122:
	v_cmp_gt_i16_e32 vcc_lo, 6, v4
	s_mov_b32 s13, -1
	s_cbranch_vccnz .LBB504_128
; %bb.123:
	v_cmp_lt_i16_e32 vcc_lo, 6, v4
	s_cbranch_vccz .LBB504_125
; %bb.124:
	v_cvt_f64_f32_e32 v[5:6], v0
	s_mov_b32 s13, 0
	global_store_b64 v[2:3], v[5:6], off
.LBB504_125:
	s_and_not1_b32 vcc_lo, exec_lo, s13
	s_cbranch_vccnz .LBB504_127
; %bb.126:
	global_store_b32 v[2:3], v0, off
.LBB504_127:
	s_mov_b32 s13, 0
.LBB504_128:
	s_delay_alu instid0(SALU_CYCLE_1)
	s_and_not1_b32 vcc_lo, exec_lo, s13
	s_cbranch_vccnz .LBB504_130
; %bb.129:
	v_cvt_f16_f32_e32 v1, v0
	global_store_b16 v[2:3], v1, off
.LBB504_130:
	s_mov_b32 s13, 0
.LBB504_131:
	s_delay_alu instid0(SALU_CYCLE_1)
	s_and_not1_b32 vcc_lo, exec_lo, s13
	s_cbranch_vccnz .LBB504_147
; %bb.132:
	v_cmp_gt_i16_e32 vcc_lo, 2, v4
	s_mov_b32 s13, -1
	s_cbranch_vccnz .LBB504_142
; %bb.133:
	v_cmp_gt_i16_e32 vcc_lo, 3, v4
	s_cbranch_vccnz .LBB504_139
; %bb.134:
	v_cmp_lt_i16_e32 vcc_lo, 3, v4
	s_cbranch_vccz .LBB504_136
; %bb.135:
	v_trunc_f32_e32 v1, v0
	s_mov_b32 s13, 0
	s_delay_alu instid0(VALU_DEP_1) | instskip(NEXT) | instid1(VALU_DEP_1)
	v_mul_f32_e64 v5, 0x2f800000, |v1|
	v_floor_f32_e32 v5, v5
	s_delay_alu instid0(VALU_DEP_1) | instskip(SKIP_2) | instid1(VALU_DEP_3)
	v_fma_f32 v6, 0xcf800000, v5, |v1|
	v_ashrrev_i32_e32 v1, 31, v1
	v_cvt_u32_f32_e32 v5, v5
	v_cvt_u32_f32_e32 v6, v6
	s_delay_alu instid0(VALU_DEP_2) | instskip(NEXT) | instid1(VALU_DEP_2)
	v_xor_b32_e32 v7, v5, v1
	v_xor_b32_e32 v6, v6, v1
	s_delay_alu instid0(VALU_DEP_1) | instskip(NEXT) | instid1(VALU_DEP_3)
	v_sub_co_u32 v5, vcc_lo, v6, v1
	v_sub_co_ci_u32_e32 v6, vcc_lo, v7, v1, vcc_lo
	global_store_b64 v[2:3], v[5:6], off
.LBB504_136:
	s_and_not1_b32 vcc_lo, exec_lo, s13
	s_cbranch_vccnz .LBB504_138
; %bb.137:
	v_cvt_i32_f32_e32 v1, v0
	global_store_b32 v[2:3], v1, off
.LBB504_138:
	s_mov_b32 s13, 0
.LBB504_139:
	s_delay_alu instid0(SALU_CYCLE_1)
	s_and_not1_b32 vcc_lo, exec_lo, s13
	s_cbranch_vccnz .LBB504_141
; %bb.140:
	v_cvt_i32_f32_e32 v1, v0
	global_store_b16 v[2:3], v1, off
.LBB504_141:
	s_mov_b32 s13, 0
.LBB504_142:
	s_delay_alu instid0(SALU_CYCLE_1)
	s_and_not1_b32 vcc_lo, exec_lo, s13
	s_cbranch_vccnz .LBB504_147
; %bb.143:
	v_cmp_lt_i16_e32 vcc_lo, 0, v4
	s_mov_b32 s13, -1
	s_cbranch_vccz .LBB504_145
; %bb.144:
	v_cvt_i32_f32_e32 v1, v0
	s_mov_b32 s13, 0
	global_store_b8 v[2:3], v1, off
.LBB504_145:
	s_and_not1_b32 vcc_lo, exec_lo, s13
	s_cbranch_vccnz .LBB504_147
; %bb.146:
	v_trunc_f32_e32 v0, v0
	s_delay_alu instid0(VALU_DEP_1) | instskip(NEXT) | instid1(VALU_DEP_1)
	v_mul_f32_e64 v1, 0x2f800000, |v0|
	v_floor_f32_e32 v1, v1
	s_delay_alu instid0(VALU_DEP_1) | instskip(SKIP_1) | instid1(VALU_DEP_2)
	v_fma_f32 v1, 0xcf800000, v1, |v0|
	v_ashrrev_i32_e32 v0, 31, v0
	v_cvt_u32_f32_e32 v1, v1
	s_delay_alu instid0(VALU_DEP_1) | instskip(NEXT) | instid1(VALU_DEP_1)
	v_xor_b32_e32 v1, v1, v0
	v_sub_nc_u32_e32 v0, v1, v0
	global_store_b8 v[2:3], v0, off
.LBB504_147:
.LBB504_148:
	v_add_nc_u32_e32 v10, 0x80, v10
	s_mov_b32 s18, -1
	s_branch .LBB504_264
.LBB504_149:
	s_mov_b32 s15, -1
                                        ; implicit-def: $vgpr2
.LBB504_150:
	s_delay_alu instid0(SALU_CYCLE_1)
	v_mov_b32_e32 v3, s15
.LBB504_151:
	s_mov_b32 s13, 0
.LBB504_152:
	s_delay_alu instid0(SALU_CYCLE_1)
	s_and_b32 vcc_lo, exec_lo, s13
	s_cbranch_vccz .LBB504_157
; %bb.153:
	v_cmp_eq_u16_e32 vcc_lo, 29, v11
	s_cbranch_vccz .LBB504_155
; %bb.154:
	global_load_b64 v[2:3], v[0:1], off
	s_mov_b32 s0, -1
	s_mov_b32 s15, 0
	s_mov_b32 s13, 0
	s_waitcnt vmcnt(0)
	v_clz_i32_u32_e32 v4, v3
	s_delay_alu instid0(VALU_DEP_1) | instskip(NEXT) | instid1(VALU_DEP_1)
	v_min_u32_e32 v4, 32, v4
	v_lshlrev_b64 v[2:3], v4, v[2:3]
	s_delay_alu instid0(VALU_DEP_1) | instskip(NEXT) | instid1(VALU_DEP_1)
	v_min_u32_e32 v2, 1, v2
	v_or_b32_e32 v2, v3, v2
	v_sub_nc_u32_e32 v3, 32, v4
	s_delay_alu instid0(VALU_DEP_2) | instskip(NEXT) | instid1(VALU_DEP_1)
	v_cvt_f32_u32_e32 v2, v2
	v_ldexp_f32 v2, v2, v3
	s_branch .LBB504_156
.LBB504_155:
	s_mov_b32 s15, -1
                                        ; implicit-def: $sgpr13
                                        ; implicit-def: $vgpr2
.LBB504_156:
	v_mov_b32_e32 v3, s13
.LBB504_157:
	s_mov_b32 s13, 0
.LBB504_158:
	s_delay_alu instid0(SALU_CYCLE_1)
	s_and_b32 vcc_lo, exec_lo, s13
	s_cbranch_vccz .LBB504_178
; %bb.159:
	v_cmp_gt_i16_e32 vcc_lo, 27, v11
	s_cbranch_vccnz .LBB504_162
; %bb.160:
	v_cmp_lt_i16_e32 vcc_lo, 27, v11
	s_cbranch_vccz .LBB504_163
; %bb.161:
	global_load_b32 v2, v[0:1], off
	s_mov_b32 s13, 0
	s_mov_b32 s0, 0
	s_waitcnt vmcnt(0)
	v_cvt_f32_u32_e32 v2, v2
	s_branch .LBB504_164
.LBB504_162:
	s_mov_b32 s13, -1
                                        ; implicit-def: $sgpr0
                                        ; implicit-def: $vgpr2
	s_branch .LBB504_167
.LBB504_163:
	s_mov_b32 s13, -1
                                        ; implicit-def: $sgpr0
                                        ; implicit-def: $vgpr2
.LBB504_164:
	s_delay_alu instid0(SALU_CYCLE_1)
	s_and_not1_b32 vcc_lo, exec_lo, s13
	s_cbranch_vccnz .LBB504_166
; %bb.165:
	global_load_u16 v2, v[0:1], off
	s_mov_b32 s0, 0
	s_waitcnt vmcnt(0)
	v_cvt_f32_u32_e32 v2, v2
.LBB504_166:
	s_mov_b32 s13, 0
.LBB504_167:
	v_mov_b32_e32 v3, s0
	s_and_not1_b32 vcc_lo, exec_lo, s13
	s_cbranch_vccnz .LBB504_177
; %bb.168:
	global_load_u8 v4, v[0:1], off
	s_mov_b32 s0, 0
	s_mov_b32 s19, exec_lo
                                        ; implicit-def: $sgpr18
                                        ; implicit-def: $sgpr13
	s_waitcnt vmcnt(0)
	v_cmpx_lt_i16_e32 0x7f, v4
	s_xor_b32 s19, exec_lo, s19
	s_cbranch_execz .LBB504_172
; %bb.169:
	s_mov_b32 s0, -1
	s_mov_b32 s20, exec_lo
                                        ; implicit-def: $sgpr18
                                        ; implicit-def: $sgpr13
	v_cmpx_eq_u16_e32 0x80, v4
; %bb.170:
	s_mov_b32 s13, 0x7f800001
	s_mov_b32 s18, 0
	s_xor_b32 s0, exec_lo, -1
; %bb.171:
	s_or_b32 exec_lo, exec_lo, s20
	s_delay_alu instid0(SALU_CYCLE_1)
	s_and_b32 s0, s0, exec_lo
.LBB504_172:
	s_or_saveexec_b32 s19, s19
	v_dual_mov_b32 v3, s18 :: v_dual_mov_b32 v2, s13
	s_xor_b32 exec_lo, exec_lo, s19
; %bb.173:
	v_mov_b32_e32 v3, 0
	v_cmp_ne_u16_e32 vcc_lo, 0, v4
	s_and_not1_b32 s0, s0, exec_lo
	s_delay_alu instid0(VALU_DEP_2) | instskip(SKIP_1) | instid1(SALU_CYCLE_1)
	v_mov_b32_e32 v2, v3
	s_and_b32 s13, vcc_lo, exec_lo
	s_or_b32 s0, s0, s13
; %bb.174:
	s_or_b32 exec_lo, exec_lo, s19
	s_and_saveexec_b32 s13, s0
	s_cbranch_execz .LBB504_176
; %bb.175:
	v_and_b32_e32 v2, 0xffff, v4
	v_lshlrev_b32_e32 v4, 24, v4
	s_delay_alu instid0(VALU_DEP_2) | instskip(NEXT) | instid1(VALU_DEP_2)
	v_and_b32_e32 v3, 7, v2
	v_and_b32_e32 v4, 0x80000000, v4
	s_delay_alu instid0(VALU_DEP_2) | instskip(NEXT) | instid1(VALU_DEP_1)
	v_clz_i32_u32_e32 v5, v3
	v_min_u32_e32 v5, 32, v5
	s_delay_alu instid0(VALU_DEP_1) | instskip(SKIP_1) | instid1(VALU_DEP_2)
	v_subrev_nc_u32_e32 v6, 28, v5
	v_sub_nc_u32_e32 v5, 29, v5
	v_lshlrev_b32_e32 v6, v6, v2
	v_bfe_u32 v2, v2, 3, 4
	s_delay_alu instid0(VALU_DEP_2) | instskip(NEXT) | instid1(VALU_DEP_2)
	v_and_b32_e32 v6, 7, v6
	v_cmp_eq_u32_e32 vcc_lo, 0, v2
	s_delay_alu instid0(VALU_DEP_2) | instskip(NEXT) | instid1(VALU_DEP_1)
	v_dual_cndmask_b32 v2, v2, v5 :: v_dual_cndmask_b32 v3, v3, v6
	v_lshl_add_u32 v2, v2, 23, 0x3b800000
	s_delay_alu instid0(VALU_DEP_2) | instskip(NEXT) | instid1(VALU_DEP_1)
	v_lshlrev_b32_e32 v3, 20, v3
	v_or3_b32 v2, v4, v2, v3
	v_mov_b32_e32 v3, 0
.LBB504_176:
	s_or_b32 exec_lo, exec_lo, s13
.LBB504_177:
	s_mov_b32 s0, -1
.LBB504_178:
	s_branch .LBB504_212
.LBB504_179:
	v_cmp_lt_i16_e32 vcc_lo, 22, v11
	s_cbranch_vccz .LBB504_191
; %bb.180:
	v_cmp_gt_i16_e32 vcc_lo, 24, v11
	s_cbranch_vccnz .LBB504_192
; %bb.181:
	v_cmp_lt_i16_e32 vcc_lo, 24, v11
	s_cbranch_vccz .LBB504_193
; %bb.182:
	global_load_u8 v4, v[0:1], off
	s_mov_b32 s0, 0
	s_mov_b32 s19, exec_lo
                                        ; implicit-def: $sgpr18
                                        ; implicit-def: $sgpr13
	s_waitcnt vmcnt(0)
	v_cmpx_lt_i16_e32 0x7f, v4
	s_xor_b32 s19, exec_lo, s19
	s_cbranch_execz .LBB504_186
; %bb.183:
	s_mov_b32 s0, -1
	s_mov_b32 s20, exec_lo
                                        ; implicit-def: $sgpr18
                                        ; implicit-def: $sgpr13
	v_cmpx_eq_u16_e32 0x80, v4
; %bb.184:
	s_mov_b32 s13, 0x7f800001
	s_mov_b32 s18, 0
	s_xor_b32 s0, exec_lo, -1
; %bb.185:
	s_or_b32 exec_lo, exec_lo, s20
	s_delay_alu instid0(SALU_CYCLE_1)
	s_and_b32 s0, s0, exec_lo
.LBB504_186:
	s_or_saveexec_b32 s19, s19
	v_dual_mov_b32 v3, s18 :: v_dual_mov_b32 v2, s13
	s_xor_b32 exec_lo, exec_lo, s19
; %bb.187:
	v_mov_b32_e32 v3, 0
	v_cmp_ne_u16_e32 vcc_lo, 0, v4
	s_and_not1_b32 s0, s0, exec_lo
	s_delay_alu instid0(VALU_DEP_2) | instskip(SKIP_1) | instid1(SALU_CYCLE_1)
	v_mov_b32_e32 v2, v3
	s_and_b32 s13, vcc_lo, exec_lo
	s_or_b32 s0, s0, s13
; %bb.188:
	s_or_b32 exec_lo, exec_lo, s19
	s_and_saveexec_b32 s13, s0
	s_cbranch_execz .LBB504_190
; %bb.189:
	v_and_b32_e32 v2, 0xffff, v4
	v_lshlrev_b32_e32 v4, 24, v4
	s_delay_alu instid0(VALU_DEP_2) | instskip(NEXT) | instid1(VALU_DEP_2)
	v_and_b32_e32 v3, 3, v2
	v_and_b32_e32 v4, 0x80000000, v4
	s_delay_alu instid0(VALU_DEP_2) | instskip(NEXT) | instid1(VALU_DEP_1)
	v_clz_i32_u32_e32 v5, v3
	v_min_u32_e32 v5, 32, v5
	s_delay_alu instid0(VALU_DEP_1) | instskip(SKIP_1) | instid1(VALU_DEP_2)
	v_subrev_nc_u32_e32 v6, 29, v5
	v_sub_nc_u32_e32 v5, 30, v5
	v_lshlrev_b32_e32 v6, v6, v2
	v_bfe_u32 v2, v2, 2, 5
	s_delay_alu instid0(VALU_DEP_2) | instskip(NEXT) | instid1(VALU_DEP_2)
	v_and_b32_e32 v6, 3, v6
	v_cmp_eq_u32_e32 vcc_lo, 0, v2
	s_delay_alu instid0(VALU_DEP_2) | instskip(NEXT) | instid1(VALU_DEP_1)
	v_dual_cndmask_b32 v2, v2, v5 :: v_dual_cndmask_b32 v3, v3, v6
	v_lshl_add_u32 v2, v2, 23, 0x37800000
	s_delay_alu instid0(VALU_DEP_2) | instskip(NEXT) | instid1(VALU_DEP_1)
	v_lshlrev_b32_e32 v3, 21, v3
	v_or3_b32 v2, v4, v2, v3
	v_mov_b32_e32 v3, 0
.LBB504_190:
	s_or_b32 exec_lo, exec_lo, s13
	s_mov_b32 s0, 0
	s_branch .LBB504_194
.LBB504_191:
	s_mov_b32 s13, -1
                                        ; implicit-def: $vgpr3
	s_branch .LBB504_200
.LBB504_192:
	s_mov_b32 s0, -1
                                        ; implicit-def: $vgpr3
	s_branch .LBB504_197
.LBB504_193:
	s_mov_b32 s0, -1
                                        ; implicit-def: $vgpr3
.LBB504_194:
	s_delay_alu instid0(SALU_CYCLE_1)
	s_and_b32 vcc_lo, exec_lo, s0
	s_cbranch_vccz .LBB504_196
; %bb.195:
	global_load_u8 v2, v[0:1], off
	s_waitcnt vmcnt(0)
	v_lshlrev_b32_e32 v2, 24, v2
	s_delay_alu instid0(VALU_DEP_1) | instskip(NEXT) | instid1(VALU_DEP_1)
	v_and_b32_e32 v3, 0x7f000000, v2
	v_clz_i32_u32_e32 v4, v3
	v_add_nc_u32_e32 v6, 0x1000000, v3
	v_cmp_ne_u32_e32 vcc_lo, 0, v3
	s_delay_alu instid0(VALU_DEP_3) | instskip(NEXT) | instid1(VALU_DEP_1)
	v_min_u32_e32 v4, 32, v4
	v_sub_nc_u32_e64 v4, v4, 4 clamp
	s_delay_alu instid0(VALU_DEP_1) | instskip(SKIP_1) | instid1(VALU_DEP_2)
	v_lshlrev_b32_e32 v5, v4, v3
	v_lshlrev_b32_e32 v4, 23, v4
	v_lshrrev_b32_e32 v5, 4, v5
	s_delay_alu instid0(VALU_DEP_1) | instskip(SKIP_1) | instid1(VALU_DEP_2)
	v_sub_nc_u32_e32 v4, v5, v4
	v_ashrrev_i32_e32 v5, 8, v6
	v_add_nc_u32_e32 v4, 0x3c000000, v4
	s_delay_alu instid0(VALU_DEP_1) | instskip(NEXT) | instid1(VALU_DEP_1)
	v_and_or_b32 v4, 0x7f800000, v5, v4
	v_cndmask_b32_e32 v3, 0, v4, vcc_lo
	s_delay_alu instid0(VALU_DEP_1)
	v_and_or_b32 v2, 0x80000000, v2, v3
	v_mov_b32_e32 v3, 0
.LBB504_196:
	s_mov_b32 s0, 0
.LBB504_197:
	s_delay_alu instid0(SALU_CYCLE_1)
	s_and_not1_b32 vcc_lo, exec_lo, s0
	s_cbranch_vccnz .LBB504_199
; %bb.198:
	global_load_u8 v2, v[0:1], off
	s_waitcnt vmcnt(0)
	v_lshlrev_b32_e32 v3, 25, v2
	v_lshlrev_b16 v2, 8, v2
	s_delay_alu instid0(VALU_DEP_2) | instskip(NEXT) | instid1(VALU_DEP_2)
	v_lshrrev_b32_e32 v4, 4, v3
	v_and_or_b32 v5, 0x7f00, v2, 0.5
	v_bfe_i32 v2, v2, 0, 16
	s_delay_alu instid0(VALU_DEP_3) | instskip(NEXT) | instid1(VALU_DEP_1)
	v_or_b32_e32 v4, 0x70000000, v4
	v_dual_add_f32 v5, -0.5, v5 :: v_dual_mul_f32 v4, 0x7800000, v4
	v_cmp_gt_u32_e32 vcc_lo, 0x8000000, v3
	s_delay_alu instid0(VALU_DEP_2) | instskip(NEXT) | instid1(VALU_DEP_1)
	v_cndmask_b32_e32 v3, v4, v5, vcc_lo
	v_and_or_b32 v2, 0x80000000, v2, v3
	v_mov_b32_e32 v3, 0
.LBB504_199:
	s_mov_b32 s13, 0
	s_mov_b32 s0, -1
.LBB504_200:
	s_and_not1_b32 vcc_lo, exec_lo, s13
	s_cbranch_vccnz .LBB504_212
; %bb.201:
	v_cmp_lt_i16_e32 vcc_lo, 14, v11
	s_cbranch_vccz .LBB504_204
; %bb.202:
	v_cmp_eq_u16_e32 vcc_lo, 15, v11
	s_cbranch_vccz .LBB504_205
; %bb.203:
	global_load_u16 v2, v[0:1], off
	s_mov_b32 s0, -1
	s_mov_b32 s15, 0
	s_mov_b32 s13, 0
	s_waitcnt vmcnt(0)
	v_lshlrev_b32_e32 v2, 16, v2
	s_branch .LBB504_206
.LBB504_204:
	s_mov_b32 s18, -1
                                        ; implicit-def: $sgpr13
                                        ; implicit-def: $vgpr2
	s_branch .LBB504_207
.LBB504_205:
	s_mov_b32 s15, -1
                                        ; implicit-def: $sgpr13
                                        ; implicit-def: $vgpr2
.LBB504_206:
	s_mov_b32 s18, 0
.LBB504_207:
	s_delay_alu instid0(SALU_CYCLE_1)
	s_and_b32 vcc_lo, exec_lo, s18
	s_cbranch_vccz .LBB504_211
; %bb.208:
	v_cmp_eq_u16_e32 vcc_lo, 11, v11
	s_cbranch_vccz .LBB504_210
; %bb.209:
	global_load_u8 v2, v[0:1], off
	s_mov_b32 s13, 0
	s_mov_b32 s0, -1
	s_mov_b32 s15, 0
	s_waitcnt vmcnt(0)
	v_cmp_ne_u16_e32 vcc_lo, 0, v2
	v_cndmask_b32_e64 v2, 0, 1.0, vcc_lo
	s_branch .LBB504_211
.LBB504_210:
	s_mov_b32 s15, -1
                                        ; implicit-def: $sgpr13
                                        ; implicit-def: $vgpr2
.LBB504_211:
	v_mov_b32_e32 v3, s13
.LBB504_212:
	s_branch .LBB504_10
.LBB504_213:
	v_cmp_gt_i16_e32 vcc_lo, 5, v11
	s_cbranch_vccnz .LBB504_218
; %bb.214:
	v_cmp_gt_i16_e32 vcc_lo, 8, v11
	s_cbranch_vccnz .LBB504_219
; %bb.215:
	;; [unrolled: 3-line block ×3, first 2 shown]
	v_cmp_lt_i16_e32 vcc_lo, 9, v11
	s_cbranch_vccz .LBB504_221
; %bb.217:
	global_load_b128 v[2:5], v[0:1], off
	s_mov_b32 s0, 0
	s_waitcnt vmcnt(0)
	v_cvt_f32_f64_e32 v2, v[2:3]
	v_cvt_f32_f64_e32 v3, v[4:5]
	s_branch .LBB504_222
.LBB504_218:
                                        ; implicit-def: $vgpr3
	s_branch .LBB504_241
.LBB504_219:
	s_mov_b32 s0, -1
                                        ; implicit-def: $vgpr3
	s_branch .LBB504_228
.LBB504_220:
	s_mov_b32 s0, -1
                                        ; implicit-def: $vgpr3
	s_branch .LBB504_225
.LBB504_221:
	s_mov_b32 s0, -1
                                        ; implicit-def: $vgpr3
.LBB504_222:
	s_delay_alu instid0(SALU_CYCLE_1)
	s_and_not1_b32 vcc_lo, exec_lo, s0
	s_cbranch_vccnz .LBB504_224
; %bb.223:
	global_load_b64 v[2:3], v[0:1], off
.LBB504_224:
	s_mov_b32 s0, 0
.LBB504_225:
	s_delay_alu instid0(SALU_CYCLE_1)
	s_and_not1_b32 vcc_lo, exec_lo, s0
	s_cbranch_vccnz .LBB504_227
; %bb.226:
	global_load_b32 v2, v[0:1], off
	s_waitcnt vmcnt(0)
	v_lshrrev_b32_e32 v3, 16, v2
	v_cvt_f32_f16_e32 v2, v2
	s_delay_alu instid0(VALU_DEP_2)
	v_cvt_f32_f16_e32 v3, v3
.LBB504_227:
	s_mov_b32 s0, 0
.LBB504_228:
	s_delay_alu instid0(SALU_CYCLE_1)
	s_and_not1_b32 vcc_lo, exec_lo, s0
	s_cbranch_vccnz .LBB504_240
; %bb.229:
	v_cmp_gt_i16_e32 vcc_lo, 6, v11
	s_cbranch_vccnz .LBB504_232
; %bb.230:
	v_cmp_lt_i16_e32 vcc_lo, 6, v11
	s_cbranch_vccz .LBB504_233
; %bb.231:
	global_load_b64 v[2:3], v[0:1], off
	s_mov_b32 s13, 0
	s_mov_b32 s0, 0
	s_waitcnt vmcnt(0)
	v_cvt_f32_f64_e32 v2, v[2:3]
	s_branch .LBB504_234
.LBB504_232:
	s_mov_b32 s13, -1
                                        ; implicit-def: $sgpr0
                                        ; implicit-def: $vgpr2
	s_branch .LBB504_237
.LBB504_233:
	s_mov_b32 s13, -1
                                        ; implicit-def: $sgpr0
                                        ; implicit-def: $vgpr2
.LBB504_234:
	s_delay_alu instid0(SALU_CYCLE_1)
	s_and_not1_b32 vcc_lo, exec_lo, s13
	s_cbranch_vccnz .LBB504_236
; %bb.235:
	global_load_b32 v2, v[0:1], off
	s_mov_b32 s0, 0
.LBB504_236:
	s_mov_b32 s13, 0
.LBB504_237:
	s_delay_alu instid0(SALU_CYCLE_1)
	s_and_not1_b32 vcc_lo, exec_lo, s13
	s_cbranch_vccnz .LBB504_239
; %bb.238:
	global_load_u16 v2, v[0:1], off
	s_mov_b32 s0, 0
	s_waitcnt vmcnt(0)
	v_cvt_f32_f16_e32 v2, v2
.LBB504_239:
	s_waitcnt vmcnt(0)
	v_mov_b32_e32 v3, s0
.LBB504_240:
	s_cbranch_execnz .LBB504_261
.LBB504_241:
	v_cmp_gt_i16_e32 vcc_lo, 2, v11
	s_cbranch_vccnz .LBB504_245
; %bb.242:
	v_cmp_gt_i16_e32 vcc_lo, 3, v11
	s_cbranch_vccnz .LBB504_246
; %bb.243:
	v_cmp_lt_i16_e32 vcc_lo, 3, v11
	s_cbranch_vccz .LBB504_247
; %bb.244:
	global_load_b64 v[2:3], v[0:1], off
	s_mov_b32 s13, 0
	s_mov_b32 s0, 0
	s_waitcnt vmcnt(0)
	v_xor_b32_e32 v4, v2, v3
	v_cls_i32_e32 v5, v3
	s_delay_alu instid0(VALU_DEP_2) | instskip(NEXT) | instid1(VALU_DEP_2)
	v_ashrrev_i32_e32 v4, 31, v4
	v_add_nc_u32_e32 v5, -1, v5
	s_delay_alu instid0(VALU_DEP_2) | instskip(NEXT) | instid1(VALU_DEP_1)
	v_add_nc_u32_e32 v4, 32, v4
	v_min_u32_e32 v4, v5, v4
	s_delay_alu instid0(VALU_DEP_1) | instskip(NEXT) | instid1(VALU_DEP_1)
	v_lshlrev_b64 v[2:3], v4, v[2:3]
	v_min_u32_e32 v2, 1, v2
	s_delay_alu instid0(VALU_DEP_1) | instskip(SKIP_1) | instid1(VALU_DEP_2)
	v_or_b32_e32 v2, v3, v2
	v_sub_nc_u32_e32 v3, 32, v4
	v_cvt_f32_i32_e32 v2, v2
	s_delay_alu instid0(VALU_DEP_1)
	v_ldexp_f32 v2, v2, v3
	s_branch .LBB504_248
.LBB504_245:
	s_mov_b32 s13, -1
                                        ; implicit-def: $sgpr0
                                        ; implicit-def: $vgpr2
	s_branch .LBB504_254
.LBB504_246:
	s_mov_b32 s13, -1
                                        ; implicit-def: $sgpr0
                                        ; implicit-def: $vgpr2
	s_branch .LBB504_251
.LBB504_247:
	s_mov_b32 s13, -1
                                        ; implicit-def: $sgpr0
                                        ; implicit-def: $vgpr2
.LBB504_248:
	s_delay_alu instid0(SALU_CYCLE_1)
	s_and_not1_b32 vcc_lo, exec_lo, s13
	s_cbranch_vccnz .LBB504_250
; %bb.249:
	global_load_b32 v2, v[0:1], off
	s_mov_b32 s0, 0
	s_waitcnt vmcnt(0)
	v_cvt_f32_i32_e32 v2, v2
.LBB504_250:
	s_mov_b32 s13, 0
.LBB504_251:
	s_delay_alu instid0(SALU_CYCLE_1)
	s_and_not1_b32 vcc_lo, exec_lo, s13
	s_cbranch_vccnz .LBB504_253
; %bb.252:
	global_load_i16 v2, v[0:1], off
	s_mov_b32 s0, 0
	s_waitcnt vmcnt(0)
	v_cvt_f32_i32_e32 v2, v2
.LBB504_253:
	s_mov_b32 s13, 0
.LBB504_254:
	s_delay_alu instid0(SALU_CYCLE_1)
	s_and_not1_b32 vcc_lo, exec_lo, s13
	s_cbranch_vccnz .LBB504_260
; %bb.255:
	v_cmp_lt_i16_e32 vcc_lo, 0, v11
	s_mov_b32 s13, 0
	s_cbranch_vccz .LBB504_257
; %bb.256:
	global_load_i8 v2, v[0:1], off
	s_mov_b32 s0, 0
	s_waitcnt vmcnt(0)
	v_cvt_f32_i32_e32 v2, v2
	s_branch .LBB504_258
.LBB504_257:
	s_mov_b32 s13, -1
                                        ; implicit-def: $sgpr0
                                        ; implicit-def: $vgpr2
.LBB504_258:
	s_delay_alu instid0(SALU_CYCLE_1)
	s_and_not1_b32 vcc_lo, exec_lo, s13
	s_cbranch_vccnz .LBB504_260
; %bb.259:
	global_load_u8 v0, v[0:1], off
	s_mov_b32 s0, 0
	s_waitcnt vmcnt(0)
	v_cvt_f32_ubyte0_e32 v2, v0
.LBB504_260:
	s_waitcnt vmcnt(0)
	v_mov_b32_e32 v3, s0
.LBB504_261:
	s_branch .LBB504_11
.LBB504_262:
	s_mov_b32 s0, 0
.LBB504_263:
	s_mov_b32 s18, 0
                                        ; implicit-def: $vgpr10
.LBB504_264:
	s_and_b32 s13, s0, exec_lo
	s_and_b32 s15, s15, exec_lo
	s_or_not1_b32 s19, s18, exec_lo
.LBB504_265:
	s_or_b32 exec_lo, exec_lo, s16
	s_mov_b32 s18, 0
	s_mov_b32 s0, 0
                                        ; implicit-def: $vgpr0_vgpr1
                                        ; implicit-def: $vgpr5
	s_and_saveexec_b32 s16, s19
	s_cbranch_execz .LBB504_902
; %bb.266:
	s_mov_b32 s21, -1
	s_mov_b32 s17, s15
	s_mov_b32 s18, s13
	s_mov_b32 s19, exec_lo
	v_cmpx_gt_i32_e64 s14, v10
	s_cbranch_execz .LBB504_538
; %bb.267:
	v_mul_lo_u32 v0, v10, s9
	v_cmp_gt_i16_e32 vcc_lo, 11, v11
	s_delay_alu instid0(VALU_DEP_2) | instskip(SKIP_1) | instid1(VALU_DEP_1)
	v_ashrrev_i32_e32 v1, 31, v0
	v_add_co_u32 v0, s0, s6, v0
	v_add_co_ci_u32_e64 v1, s0, s7, v1, s0
	s_cbranch_vccnz .LBB504_274
; %bb.268:
	v_cmp_lt_i16_e32 vcc_lo, 25, v11
	s_cbranch_vccz .LBB504_291
; %bb.269:
	v_cmp_lt_i16_e32 vcc_lo, 28, v11
	s_cbranch_vccz .LBB504_293
	;; [unrolled: 3-line block ×4, first 2 shown]
; %bb.272:
	v_cmp_eq_u16_e32 vcc_lo, 46, v11
	s_mov_b32 s18, 0
	s_cbranch_vccz .LBB504_303
; %bb.273:
	global_load_b32 v2, v[0:1], off
	s_mov_b32 s0, -1
	s_mov_b32 s17, 0
	s_waitcnt vmcnt(0)
	v_and_b32_e32 v3, 0xffff0000, v2
	v_lshlrev_b32_e32 v2, 16, v2
	s_branch .LBB504_305
.LBB504_274:
	s_mov_b32 s0, 0
	s_mov_b32 s17, s15
                                        ; implicit-def: $vgpr3
	s_cbranch_execnz .LBB504_485
.LBB504_275:
	s_and_not1_b32 vcc_lo, exec_lo, s0
	s_cbranch_vccnz .LBB504_535
.LBB504_276:
	v_mov_b32_e32 v0, s10
	s_mov_b32 s0, exec_lo
	s_waitcnt vmcnt(0)
	s_delay_alu instid0(VALU_DEP_3)
	v_cmpx_o_f32_e32 v2, v2
	s_cbranch_execz .LBB504_280
; %bb.277:
	v_mov_b32_e32 v0, s11
	s_mov_b32 s18, exec_lo
	v_cmpx_neq_f32_e32 0x7f800000, v2
; %bb.278:
	v_cmp_eq_f32_e32 vcc_lo, 0xff800000, v2
	v_cndmask_b32_e64 v0, v2, s2, vcc_lo
; %bb.279:
	s_or_b32 exec_lo, exec_lo, s18
.LBB504_280:
	s_delay_alu instid0(SALU_CYCLE_1) | instskip(SKIP_2) | instid1(VALU_DEP_4)
	s_or_b32 exec_lo, exec_lo, s0
	v_mov_b32_e32 v1, s10
	s_mov_b32 s0, exec_lo
	v_cmpx_o_f32_e32 v3, v3
	s_cbranch_execz .LBB504_284
; %bb.281:
	v_mov_b32_e32 v1, s11
	s_mov_b32 s18, exec_lo
	v_cmpx_neq_f32_e32 0x7f800000, v3
; %bb.282:
	v_cmp_eq_f32_e32 vcc_lo, 0xff800000, v3
	v_cndmask_b32_e64 v1, v3, s2, vcc_lo
; %bb.283:
	s_or_b32 exec_lo, exec_lo, s18
.LBB504_284:
	s_delay_alu instid0(SALU_CYCLE_1) | instskip(SKIP_2) | instid1(VALU_DEP_1)
	s_or_b32 exec_lo, exec_lo, s0
	v_mul_lo_u32 v2, v10, s8
	v_and_b32_e64 v4, 0xff, s3
	v_cmp_gt_i16_e32 vcc_lo, 11, v4
	s_delay_alu instid0(VALU_DEP_3) | instskip(SKIP_1) | instid1(VALU_DEP_1)
	v_ashrrev_i32_e32 v3, 31, v2
	v_add_co_u32 v2, s0, s4, v2
	v_add_co_ci_u32_e64 v3, s0, s5, v3, s0
	s_cbranch_vccnz .LBB504_292
; %bb.285:
	v_cmp_lt_i16_e32 vcc_lo, 25, v4
	s_cbranch_vccz .LBB504_294
; %bb.286:
	v_cmp_lt_i16_e32 vcc_lo, 28, v4
	s_cbranch_vccz .LBB504_296
	;; [unrolled: 3-line block ×4, first 2 shown]
; %bb.289:
	v_cmp_eq_u16_e32 vcc_lo, 46, v4
	s_mov_b32 s20, 0
	s_mov_b32 s0, -1
	s_mov_b32 s18, 0
	s_cbranch_vccz .LBB504_309
; %bb.290:
	v_bfe_u32 v5, v1, 16, 1
	v_bfe_u32 v6, v0, 16, 1
	v_cmp_o_f32_e32 vcc_lo, v1, v1
	s_mov_b32 s18, -1
	s_mov_b32 s0, 0
	v_add3_u32 v5, v1, v5, 0x7fff
	v_add3_u32 v6, v0, v6, 0x7fff
	s_delay_alu instid0(VALU_DEP_2) | instskip(NEXT) | instid1(VALU_DEP_2)
	v_and_b32_e32 v5, 0xffff0000, v5
	v_lshrrev_b32_e32 v6, 16, v6
	s_delay_alu instid0(VALU_DEP_2) | instskip(SKIP_1) | instid1(VALU_DEP_3)
	v_cndmask_b32_e32 v5, 0x7fc00000, v5, vcc_lo
	v_cmp_o_f32_e32 vcc_lo, v0, v0
	v_cndmask_b32_e32 v6, 0x7fc0, v6, vcc_lo
	s_delay_alu instid0(VALU_DEP_1)
	v_or_b32_e32 v5, v5, v6
	global_store_b32 v[2:3], v5, off
	s_branch .LBB504_309
.LBB504_291:
	s_mov_b32 s18, -1
	s_mov_b32 s0, 0
	s_mov_b32 s17, s15
                                        ; implicit-def: $vgpr3
	s_branch .LBB504_450
.LBB504_292:
	s_mov_b32 s20, -1
	s_mov_b32 s18, 0
	s_mov_b32 s0, s13
	s_branch .LBB504_378
.LBB504_293:
	s_mov_b32 s18, -1
	s_mov_b32 s0, 0
	s_mov_b32 s17, s15
                                        ; implicit-def: $vgpr3
	s_branch .LBB504_429
.LBB504_294:
	s_mov_b32 s20, -1
	s_mov_b32 s18, 0
	s_mov_b32 s0, s13
	s_branch .LBB504_336
.LBB504_295:
	s_mov_b32 s18, -1
	s_mov_b32 s0, 0
	s_mov_b32 s17, s15
                                        ; implicit-def: $vgpr3
	s_branch .LBB504_423
.LBB504_296:
	s_mov_b32 s20, -1
	s_mov_b32 s18, 0
	s_mov_b32 s0, s13
	s_branch .LBB504_319
.LBB504_297:
	s_or_saveexec_b32 s19, s19
                                        ; implicit-def: $sgpr20
	s_delay_alu instid0(SALU_CYCLE_1)
	s_xor_b32 exec_lo, exec_lo, s19
	s_cbranch_execz .LBB504_62
.LBB504_298:
	v_add_f32_e64 v5, 0x46000000, |v0|
	s_and_not1_b32 s18, s18, exec_lo
	s_mov_b32 s20, 0
	s_delay_alu instid0(VALU_DEP_1) | instskip(NEXT) | instid1(VALU_DEP_1)
	v_and_b32_e32 v5, 0xff, v5
	v_cmp_ne_u32_e32 vcc_lo, 0, v5
	s_and_b32 s21, vcc_lo, exec_lo
	s_delay_alu instid0(SALU_CYCLE_1)
	s_or_b32 s18, s18, s21
	s_or_b32 exec_lo, exec_lo, s19
	v_mov_b32_e32 v6, s20
	s_and_saveexec_b32 s19, s18
	s_cbranch_execnz .LBB504_63
	s_branch .LBB504_64
.LBB504_299:
	s_mov_b32 s18, -1
	s_mov_b32 s0, 0
	s_mov_b32 s17, s15
	s_branch .LBB504_304
.LBB504_300:
	s_mov_b32 s20, -1
	s_mov_b32 s18, 0
	s_mov_b32 s0, s13
	s_branch .LBB504_315
.LBB504_301:
	s_or_saveexec_b32 s19, s19
                                        ; implicit-def: $sgpr20
	s_delay_alu instid0(SALU_CYCLE_1)
	s_xor_b32 exec_lo, exec_lo, s19
	s_cbranch_execz .LBB504_75
.LBB504_302:
	v_add_f32_e64 v5, 0x42800000, |v0|
	s_and_not1_b32 s18, s18, exec_lo
	s_mov_b32 s20, 0
	s_delay_alu instid0(VALU_DEP_1) | instskip(NEXT) | instid1(VALU_DEP_1)
	v_and_b32_e32 v5, 0xff, v5
	v_cmp_ne_u32_e32 vcc_lo, 0, v5
	s_and_b32 s21, vcc_lo, exec_lo
	s_delay_alu instid0(SALU_CYCLE_1)
	s_or_b32 s18, s18, s21
	s_or_b32 exec_lo, exec_lo, s19
	v_mov_b32_e32 v6, s20
	s_and_saveexec_b32 s19, s18
	s_cbranch_execnz .LBB504_76
	s_branch .LBB504_77
.LBB504_303:
	s_mov_b32 s17, -1
	s_mov_b32 s0, 0
.LBB504_304:
                                        ; implicit-def: $vgpr3
.LBB504_305:
	s_and_b32 vcc_lo, exec_lo, s18
	s_cbranch_vccz .LBB504_422
; %bb.306:
	v_cmp_eq_u16_e32 vcc_lo, 44, v11
	s_cbranch_vccz .LBB504_420
; %bb.307:
	global_load_u8 v2, v[0:1], off
	s_mov_b32 s17, 0
	s_mov_b32 s0, -1
	s_waitcnt vmcnt(0)
	v_lshlrev_b32_e32 v3, 23, v2
	v_cmp_ne_u32_e32 vcc_lo, 0xff, v2
	s_delay_alu instid0(VALU_DEP_2) | instskip(SKIP_1) | instid1(VALU_DEP_2)
	v_cndmask_b32_e32 v3, 0x7f800001, v3, vcc_lo
	v_cmp_ne_u32_e32 vcc_lo, 0, v2
	v_cndmask_b32_e32 v2, 0x400000, v3, vcc_lo
	s_branch .LBB504_421
.LBB504_308:
	s_mov_b32 s20, -1
	s_mov_b32 s18, 0
	s_mov_b32 s0, s13
.LBB504_309:
	s_and_b32 vcc_lo, exec_lo, s20
	s_cbranch_vccz .LBB504_314
; %bb.310:
	v_cmp_eq_u16_e32 vcc_lo, 44, v4
	s_mov_b32 s0, -1
	s_cbranch_vccz .LBB504_314
; %bb.311:
	v_bfe_u32 v6, v0, 23, 8
	v_mov_b32_e32 v5, 0xff
	s_mov_b32 s18, exec_lo
	s_delay_alu instid0(VALU_DEP_2)
	v_cmpx_ne_u32_e32 0xff, v6
; %bb.312:
	v_and_b32_e32 v5, 0x400000, v0
	v_and_or_b32 v6, 0x3fffff, v0, v6
	s_delay_alu instid0(VALU_DEP_2) | instskip(NEXT) | instid1(VALU_DEP_2)
	v_cmp_ne_u32_e32 vcc_lo, 0, v5
	v_cmp_ne_u32_e64 s0, 0, v6
	v_lshrrev_b32_e32 v5, 23, v0
	s_delay_alu instid0(VALU_DEP_2) | instskip(NEXT) | instid1(SALU_CYCLE_1)
	s_and_b32 s0, vcc_lo, s0
	v_cndmask_b32_e64 v6, 0, 1, s0
	s_delay_alu instid0(VALU_DEP_1)
	v_add_nc_u32_e32 v5, v5, v6
; %bb.313:
	s_or_b32 exec_lo, exec_lo, s18
	s_mov_b32 s18, -1
	s_mov_b32 s0, 0
	global_store_b8 v[2:3], v5, off
.LBB504_314:
	s_mov_b32 s20, 0
.LBB504_315:
	s_delay_alu instid0(SALU_CYCLE_1)
	s_and_b32 vcc_lo, exec_lo, s20
	s_cbranch_vccz .LBB504_318
; %bb.316:
	v_cmp_eq_u16_e32 vcc_lo, 29, v4
	s_mov_b32 s0, -1
	s_cbranch_vccz .LBB504_318
; %bb.317:
	v_trunc_f32_e32 v5, v0
	s_mov_b32 s18, -1
	s_mov_b32 s0, 0
	s_mov_b32 s20, 0
	s_delay_alu instid0(VALU_DEP_1) | instskip(NEXT) | instid1(VALU_DEP_1)
	v_mul_f32_e32 v6, 0x2f800000, v5
	v_floor_f32_e32 v6, v6
	s_delay_alu instid0(VALU_DEP_1) | instskip(SKIP_1) | instid1(VALU_DEP_2)
	v_fmamk_f32 v5, v6, 0xcf800000, v5
	v_cvt_u32_f32_e32 v6, v6
	v_cvt_u32_f32_e32 v5, v5
	global_store_b64 v[2:3], v[5:6], off
	s_branch .LBB504_319
.LBB504_318:
	s_mov_b32 s20, 0
.LBB504_319:
	s_delay_alu instid0(SALU_CYCLE_1)
	s_and_b32 vcc_lo, exec_lo, s20
	s_cbranch_vccz .LBB504_335
; %bb.320:
	v_cmp_gt_i16_e32 vcc_lo, 27, v4
	s_mov_b32 s18, -1
	s_cbranch_vccnz .LBB504_326
; %bb.321:
	v_cmp_lt_i16_e32 vcc_lo, 27, v4
	s_cbranch_vccz .LBB504_323
; %bb.322:
	v_cvt_u32_f32_e32 v5, v0
	s_mov_b32 s18, 0
	global_store_b32 v[2:3], v5, off
.LBB504_323:
	s_and_not1_b32 vcc_lo, exec_lo, s18
	s_cbranch_vccnz .LBB504_325
; %bb.324:
	v_cvt_u32_f32_e32 v5, v0
	global_store_b16 v[2:3], v5, off
.LBB504_325:
	s_mov_b32 s18, 0
.LBB504_326:
	s_delay_alu instid0(SALU_CYCLE_1)
	s_and_not1_b32 vcc_lo, exec_lo, s18
	s_cbranch_vccnz .LBB504_334
; %bb.327:
	v_and_b32_e32 v5, 0x7fffffff, v0
	v_mov_b32_e32 v6, 0x80
	s_mov_b32 s18, exec_lo
	s_delay_alu instid0(VALU_DEP_2)
	v_cmpx_gt_u32_e32 0x43800000, v5
	s_cbranch_execz .LBB504_333
; %bb.328:
	v_cmp_lt_u32_e32 vcc_lo, 0x3bffffff, v5
	s_mov_b32 s20, 0
                                        ; implicit-def: $vgpr5
	s_and_saveexec_b32 s21, vcc_lo
	s_delay_alu instid0(SALU_CYCLE_1)
	s_xor_b32 s21, exec_lo, s21
	s_cbranch_execz .LBB504_551
; %bb.329:
	v_bfe_u32 v5, v0, 20, 1
	s_mov_b32 s20, exec_lo
	s_delay_alu instid0(VALU_DEP_1) | instskip(NEXT) | instid1(VALU_DEP_1)
	v_add3_u32 v5, v0, v5, 0x487ffff
	v_lshrrev_b32_e32 v5, 20, v5
	s_or_saveexec_b32 s21, s21
                                        ; implicit-def: $sgpr22
	s_delay_alu instid0(SALU_CYCLE_1)
	s_xor_b32 exec_lo, exec_lo, s21
	s_cbranch_execnz .LBB504_552
.LBB504_330:
	s_or_b32 exec_lo, exec_lo, s21
	v_mov_b32_e32 v6, s22
	s_and_saveexec_b32 s21, s20
.LBB504_331:
	v_lshrrev_b32_e32 v6, 24, v0
	s_delay_alu instid0(VALU_DEP_1)
	v_and_or_b32 v6, 0x80, v6, v5
.LBB504_332:
	s_or_b32 exec_lo, exec_lo, s21
.LBB504_333:
	s_delay_alu instid0(SALU_CYCLE_1)
	s_or_b32 exec_lo, exec_lo, s18
	global_store_b8 v[2:3], v6, off
.LBB504_334:
	s_mov_b32 s18, -1
.LBB504_335:
	s_mov_b32 s20, 0
.LBB504_336:
	s_delay_alu instid0(SALU_CYCLE_1)
	s_and_b32 vcc_lo, exec_lo, s20
	s_cbranch_vccz .LBB504_377
; %bb.337:
	v_cmp_lt_i16_e32 vcc_lo, 22, v4
	s_mov_b32 s20, -1
	s_cbranch_vccz .LBB504_369
; %bb.338:
	v_cmp_gt_i16_e32 vcc_lo, 24, v4
	s_mov_b32 s18, -1
	s_cbranch_vccnz .LBB504_358
; %bb.339:
	v_cmp_lt_i16_e32 vcc_lo, 24, v4
	s_cbranch_vccz .LBB504_347
; %bb.340:
	v_and_b32_e32 v5, 0x7fffffff, v0
	v_mov_b32_e32 v6, 0x80
	s_mov_b32 s18, exec_lo
	s_delay_alu instid0(VALU_DEP_2)
	v_cmpx_gt_u32_e32 0x47800000, v5
	s_cbranch_execz .LBB504_346
; %bb.341:
	v_cmp_lt_u32_e32 vcc_lo, 0x37ffffff, v5
	s_mov_b32 s20, 0
                                        ; implicit-def: $vgpr5
	s_and_saveexec_b32 s21, vcc_lo
	s_delay_alu instid0(SALU_CYCLE_1)
	s_xor_b32 s21, exec_lo, s21
	s_cbranch_execz .LBB504_554
; %bb.342:
	v_bfe_u32 v5, v0, 21, 1
	s_mov_b32 s20, exec_lo
	s_delay_alu instid0(VALU_DEP_1) | instskip(NEXT) | instid1(VALU_DEP_1)
	v_add3_u32 v5, v0, v5, 0x88fffff
	v_lshrrev_b32_e32 v5, 21, v5
	s_or_saveexec_b32 s21, s21
                                        ; implicit-def: $sgpr22
	s_delay_alu instid0(SALU_CYCLE_1)
	s_xor_b32 exec_lo, exec_lo, s21
	s_cbranch_execnz .LBB504_555
.LBB504_343:
	s_or_b32 exec_lo, exec_lo, s21
	v_mov_b32_e32 v6, s22
	s_and_saveexec_b32 s21, s20
.LBB504_344:
	v_lshrrev_b32_e32 v6, 24, v0
	s_delay_alu instid0(VALU_DEP_1)
	v_and_or_b32 v6, 0x80, v6, v5
.LBB504_345:
	s_or_b32 exec_lo, exec_lo, s21
.LBB504_346:
	s_delay_alu instid0(SALU_CYCLE_1)
	s_or_b32 exec_lo, exec_lo, s18
	s_mov_b32 s18, 0
	global_store_b8 v[2:3], v6, off
.LBB504_347:
	s_and_b32 vcc_lo, exec_lo, s18
	s_cbranch_vccz .LBB504_357
; %bb.348:
	v_and_b32_e32 v6, 0x7fffffff, v0
	s_mov_b32 s18, exec_lo
                                        ; implicit-def: $vgpr5
	s_delay_alu instid0(VALU_DEP_1)
	v_cmpx_gt_u32_e32 0x43f00000, v6
	s_xor_b32 s18, exec_lo, s18
	s_cbranch_execz .LBB504_354
; %bb.349:
	s_mov_b32 s20, exec_lo
                                        ; implicit-def: $vgpr5
	v_cmpx_lt_u32_e32 0x3c7fffff, v6
	s_xor_b32 s20, exec_lo, s20
; %bb.350:
	v_bfe_u32 v5, v0, 20, 1
	s_delay_alu instid0(VALU_DEP_1) | instskip(NEXT) | instid1(VALU_DEP_1)
	v_add3_u32 v5, v0, v5, 0x407ffff
	v_and_b32_e32 v6, 0xff00000, v5
	v_lshrrev_b32_e32 v5, 20, v5
	s_delay_alu instid0(VALU_DEP_2) | instskip(NEXT) | instid1(VALU_DEP_2)
	v_cmp_ne_u32_e32 vcc_lo, 0x7f00000, v6
	v_cndmask_b32_e32 v5, 0x7e, v5, vcc_lo
; %bb.351:
	s_and_not1_saveexec_b32 s20, s20
; %bb.352:
	v_add_f32_e64 v5, 0x46800000, |v0|
; %bb.353:
	s_or_b32 exec_lo, exec_lo, s20
                                        ; implicit-def: $vgpr6
.LBB504_354:
	s_and_not1_saveexec_b32 s18, s18
; %bb.355:
	v_mov_b32_e32 v5, 0x7f
	v_cmp_lt_u32_e32 vcc_lo, 0x7f800000, v6
	s_delay_alu instid0(VALU_DEP_2)
	v_cndmask_b32_e32 v5, 0x7e, v5, vcc_lo
; %bb.356:
	s_or_b32 exec_lo, exec_lo, s18
	v_lshrrev_b32_e32 v6, 24, v0
	s_delay_alu instid0(VALU_DEP_1)
	v_and_or_b32 v5, 0x80, v6, v5
	global_store_b8 v[2:3], v5, off
.LBB504_357:
	s_mov_b32 s18, 0
.LBB504_358:
	s_delay_alu instid0(SALU_CYCLE_1)
	s_and_not1_b32 vcc_lo, exec_lo, s18
	s_cbranch_vccnz .LBB504_368
; %bb.359:
	v_and_b32_e32 v6, 0x7fffffff, v0
	s_mov_b32 s18, exec_lo
                                        ; implicit-def: $vgpr5
	s_delay_alu instid0(VALU_DEP_1)
	v_cmpx_gt_u32_e32 0x47800000, v6
	s_xor_b32 s18, exec_lo, s18
	s_cbranch_execz .LBB504_365
; %bb.360:
	s_mov_b32 s20, exec_lo
                                        ; implicit-def: $vgpr5
	v_cmpx_lt_u32_e32 0x387fffff, v6
	s_xor_b32 s20, exec_lo, s20
; %bb.361:
	v_bfe_u32 v5, v0, 21, 1
	s_delay_alu instid0(VALU_DEP_1) | instskip(NEXT) | instid1(VALU_DEP_1)
	v_add3_u32 v5, v0, v5, 0x80fffff
	v_lshrrev_b32_e32 v5, 21, v5
; %bb.362:
	s_and_not1_saveexec_b32 s20, s20
; %bb.363:
	v_add_f32_e64 v5, 0x43000000, |v0|
; %bb.364:
	s_or_b32 exec_lo, exec_lo, s20
                                        ; implicit-def: $vgpr6
.LBB504_365:
	s_and_not1_saveexec_b32 s18, s18
; %bb.366:
	v_mov_b32_e32 v5, 0x7f
	v_cmp_lt_u32_e32 vcc_lo, 0x7f800000, v6
	s_delay_alu instid0(VALU_DEP_2)
	v_cndmask_b32_e32 v5, 0x7c, v5, vcc_lo
; %bb.367:
	s_or_b32 exec_lo, exec_lo, s18
	v_lshrrev_b32_e32 v6, 24, v0
	s_delay_alu instid0(VALU_DEP_1)
	v_and_or_b32 v5, 0x80, v6, v5
	global_store_b8 v[2:3], v5, off
.LBB504_368:
	s_mov_b32 s20, 0
	s_mov_b32 s18, -1
.LBB504_369:
	s_and_not1_b32 vcc_lo, exec_lo, s20
	s_cbranch_vccnz .LBB504_377
; %bb.370:
	v_cmp_lt_i16_e32 vcc_lo, 14, v4
	s_mov_b32 s20, -1
	s_cbranch_vccz .LBB504_374
; %bb.371:
	v_cmp_eq_u16_e32 vcc_lo, 15, v4
	s_mov_b32 s0, -1
	s_cbranch_vccz .LBB504_373
; %bb.372:
	v_bfe_u32 v5, v0, 16, 1
	v_cmp_o_f32_e32 vcc_lo, v0, v0
	s_mov_b32 s18, -1
	s_mov_b32 s0, 0
	s_delay_alu instid0(VALU_DEP_2) | instskip(NEXT) | instid1(VALU_DEP_1)
	v_add3_u32 v5, v0, v5, 0x7fff
	v_lshrrev_b32_e32 v5, 16, v5
	s_delay_alu instid0(VALU_DEP_1)
	v_cndmask_b32_e32 v5, 0x7fc0, v5, vcc_lo
	global_store_b16 v[2:3], v5, off
.LBB504_373:
	s_mov_b32 s20, 0
.LBB504_374:
	s_delay_alu instid0(SALU_CYCLE_1)
	s_and_b32 vcc_lo, exec_lo, s20
	s_cbranch_vccz .LBB504_377
; %bb.375:
	v_cmp_eq_u16_e32 vcc_lo, 11, v4
	s_mov_b32 s0, -1
	s_cbranch_vccz .LBB504_377
; %bb.376:
	v_cmp_neq_f32_e32 vcc_lo, 0, v0
	v_cmp_neq_f32_e64 s0, 0, v1
	s_mov_b32 s18, -1
	s_delay_alu instid0(VALU_DEP_1) | instskip(NEXT) | instid1(SALU_CYCLE_1)
	s_or_b32 s0, vcc_lo, s0
	v_cndmask_b32_e64 v5, 0, 1, s0
	s_mov_b32 s0, 0
	global_store_b8 v[2:3], v5, off
.LBB504_377:
	s_mov_b32 s20, 0
.LBB504_378:
	s_delay_alu instid0(SALU_CYCLE_1)
	s_and_b32 vcc_lo, exec_lo, s20
	s_cbranch_vccz .LBB504_417
; %bb.379:
	v_cmp_gt_i16_e32 vcc_lo, 5, v4
	s_mov_b32 s18, -1
	s_cbranch_vccnz .LBB504_400
; %bb.380:
	v_cmp_gt_i16_e32 vcc_lo, 8, v4
	s_cbranch_vccnz .LBB504_390
; %bb.381:
	v_cmp_gt_i16_e32 vcc_lo, 9, v4
	s_cbranch_vccnz .LBB504_387
; %bb.382:
	v_cmp_lt_i16_e32 vcc_lo, 9, v4
	s_cbranch_vccz .LBB504_384
; %bb.383:
	v_cvt_f64_f32_e32 v[5:6], v0
	v_cvt_f64_f32_e32 v[7:8], v1
	s_mov_b32 s18, 0
	global_store_b128 v[2:3], v[5:8], off
.LBB504_384:
	s_and_not1_b32 vcc_lo, exec_lo, s18
	s_cbranch_vccnz .LBB504_386
; %bb.385:
	global_store_b64 v[2:3], v[0:1], off
.LBB504_386:
	s_mov_b32 s18, 0
.LBB504_387:
	s_delay_alu instid0(SALU_CYCLE_1)
	s_and_not1_b32 vcc_lo, exec_lo, s18
	s_cbranch_vccnz .LBB504_389
; %bb.388:
	v_cvt_f16_f32_e32 v1, v1
	v_cvt_f16_f32_e32 v5, v0
	s_delay_alu instid0(VALU_DEP_2) | instskip(NEXT) | instid1(VALU_DEP_2)
	v_lshlrev_b32_e32 v1, 16, v1
	v_and_b32_e32 v5, 0xffff, v5
	s_delay_alu instid0(VALU_DEP_1)
	v_or_b32_e32 v1, v1, v5
	global_store_b32 v[2:3], v1, off
.LBB504_389:
	s_mov_b32 s18, 0
.LBB504_390:
	s_delay_alu instid0(SALU_CYCLE_1)
	s_and_not1_b32 vcc_lo, exec_lo, s18
	s_cbranch_vccnz .LBB504_399
; %bb.391:
	v_cmp_gt_i16_e32 vcc_lo, 6, v4
	s_mov_b32 s18, -1
	s_cbranch_vccnz .LBB504_397
; %bb.392:
	v_cmp_lt_i16_e32 vcc_lo, 6, v4
	s_cbranch_vccz .LBB504_394
; %bb.393:
	v_cvt_f64_f32_e32 v[5:6], v0
	s_mov_b32 s18, 0
	global_store_b64 v[2:3], v[5:6], off
.LBB504_394:
	s_and_not1_b32 vcc_lo, exec_lo, s18
	s_cbranch_vccnz .LBB504_396
; %bb.395:
	global_store_b32 v[2:3], v0, off
.LBB504_396:
	s_mov_b32 s18, 0
.LBB504_397:
	s_delay_alu instid0(SALU_CYCLE_1)
	s_and_not1_b32 vcc_lo, exec_lo, s18
	s_cbranch_vccnz .LBB504_399
; %bb.398:
	v_cvt_f16_f32_e32 v1, v0
	global_store_b16 v[2:3], v1, off
.LBB504_399:
	s_mov_b32 s18, 0
.LBB504_400:
	s_delay_alu instid0(SALU_CYCLE_1)
	s_and_not1_b32 vcc_lo, exec_lo, s18
	s_cbranch_vccnz .LBB504_416
; %bb.401:
	v_cmp_gt_i16_e32 vcc_lo, 2, v4
	s_mov_b32 s18, -1
	s_cbranch_vccnz .LBB504_411
; %bb.402:
	v_cmp_gt_i16_e32 vcc_lo, 3, v4
	s_cbranch_vccnz .LBB504_408
; %bb.403:
	v_cmp_lt_i16_e32 vcc_lo, 3, v4
	s_cbranch_vccz .LBB504_405
; %bb.404:
	v_trunc_f32_e32 v1, v0
	s_mov_b32 s18, 0
	s_delay_alu instid0(VALU_DEP_1) | instskip(NEXT) | instid1(VALU_DEP_1)
	v_mul_f32_e64 v5, 0x2f800000, |v1|
	v_floor_f32_e32 v5, v5
	s_delay_alu instid0(VALU_DEP_1) | instskip(SKIP_2) | instid1(VALU_DEP_3)
	v_fma_f32 v6, 0xcf800000, v5, |v1|
	v_ashrrev_i32_e32 v1, 31, v1
	v_cvt_u32_f32_e32 v5, v5
	v_cvt_u32_f32_e32 v6, v6
	s_delay_alu instid0(VALU_DEP_2) | instskip(NEXT) | instid1(VALU_DEP_2)
	v_xor_b32_e32 v7, v5, v1
	v_xor_b32_e32 v6, v6, v1
	s_delay_alu instid0(VALU_DEP_1) | instskip(NEXT) | instid1(VALU_DEP_3)
	v_sub_co_u32 v5, vcc_lo, v6, v1
	v_sub_co_ci_u32_e32 v6, vcc_lo, v7, v1, vcc_lo
	global_store_b64 v[2:3], v[5:6], off
.LBB504_405:
	s_and_not1_b32 vcc_lo, exec_lo, s18
	s_cbranch_vccnz .LBB504_407
; %bb.406:
	v_cvt_i32_f32_e32 v1, v0
	global_store_b32 v[2:3], v1, off
.LBB504_407:
	s_mov_b32 s18, 0
.LBB504_408:
	s_delay_alu instid0(SALU_CYCLE_1)
	s_and_not1_b32 vcc_lo, exec_lo, s18
	s_cbranch_vccnz .LBB504_410
; %bb.409:
	v_cvt_i32_f32_e32 v1, v0
	global_store_b16 v[2:3], v1, off
.LBB504_410:
	s_mov_b32 s18, 0
.LBB504_411:
	s_delay_alu instid0(SALU_CYCLE_1)
	s_and_not1_b32 vcc_lo, exec_lo, s18
	s_cbranch_vccnz .LBB504_416
; %bb.412:
	v_cmp_lt_i16_e32 vcc_lo, 0, v4
	s_mov_b32 s18, -1
	s_cbranch_vccz .LBB504_414
; %bb.413:
	v_cvt_i32_f32_e32 v1, v0
	s_mov_b32 s18, 0
	global_store_b8 v[2:3], v1, off
.LBB504_414:
	s_and_not1_b32 vcc_lo, exec_lo, s18
	s_cbranch_vccnz .LBB504_416
; %bb.415:
	v_trunc_f32_e32 v0, v0
	s_delay_alu instid0(VALU_DEP_1) | instskip(NEXT) | instid1(VALU_DEP_1)
	v_mul_f32_e64 v1, 0x2f800000, |v0|
	v_floor_f32_e32 v1, v1
	s_delay_alu instid0(VALU_DEP_1) | instskip(SKIP_1) | instid1(VALU_DEP_2)
	v_fma_f32 v1, 0xcf800000, v1, |v0|
	v_ashrrev_i32_e32 v0, 31, v0
	v_cvt_u32_f32_e32 v1, v1
	s_delay_alu instid0(VALU_DEP_1) | instskip(NEXT) | instid1(VALU_DEP_1)
	v_xor_b32_e32 v1, v1, v0
	v_sub_nc_u32_e32 v0, v1, v0
	global_store_b8 v[2:3], v0, off
.LBB504_416:
	s_mov_b32 s18, -1
.LBB504_417:
	s_delay_alu instid0(SALU_CYCLE_1)
	s_and_not1_b32 vcc_lo, exec_lo, s18
	s_cbranch_vccnz .LBB504_419
; %bb.418:
	v_add_nc_u32_e32 v10, 0x80, v10
	s_mov_b32 s20, -1
	s_branch .LBB504_537
.LBB504_419:
	s_mov_b32 s20, 0
	s_branch .LBB504_536
.LBB504_420:
	s_mov_b32 s17, -1
                                        ; implicit-def: $vgpr2
.LBB504_421:
	s_waitcnt vmcnt(0)
	v_mov_b32_e32 v3, s17
.LBB504_422:
	s_mov_b32 s18, 0
.LBB504_423:
	s_delay_alu instid0(SALU_CYCLE_1)
	s_and_b32 vcc_lo, exec_lo, s18
	s_cbranch_vccz .LBB504_428
; %bb.424:
	v_cmp_eq_u16_e32 vcc_lo, 29, v11
	s_cbranch_vccz .LBB504_426
; %bb.425:
	global_load_b64 v[2:3], v[0:1], off
	s_mov_b32 s0, -1
	s_mov_b32 s17, 0
	s_mov_b32 s18, 0
	s_waitcnt vmcnt(0)
	v_clz_i32_u32_e32 v4, v3
	s_delay_alu instid0(VALU_DEP_1) | instskip(NEXT) | instid1(VALU_DEP_1)
	v_min_u32_e32 v4, 32, v4
	v_lshlrev_b64 v[2:3], v4, v[2:3]
	s_delay_alu instid0(VALU_DEP_1) | instskip(NEXT) | instid1(VALU_DEP_1)
	v_min_u32_e32 v2, 1, v2
	v_or_b32_e32 v2, v3, v2
	v_sub_nc_u32_e32 v3, 32, v4
	s_delay_alu instid0(VALU_DEP_2) | instskip(NEXT) | instid1(VALU_DEP_1)
	v_cvt_f32_u32_e32 v2, v2
	v_ldexp_f32 v2, v2, v3
	s_branch .LBB504_427
.LBB504_426:
	s_mov_b32 s17, -1
                                        ; implicit-def: $sgpr18
                                        ; implicit-def: $vgpr2
.LBB504_427:
	s_waitcnt vmcnt(0)
	v_mov_b32_e32 v3, s18
.LBB504_428:
	s_mov_b32 s18, 0
.LBB504_429:
	s_delay_alu instid0(SALU_CYCLE_1)
	s_and_b32 vcc_lo, exec_lo, s18
	s_cbranch_vccz .LBB504_449
; %bb.430:
	v_cmp_gt_i16_e32 vcc_lo, 27, v11
	s_cbranch_vccnz .LBB504_433
; %bb.431:
	v_cmp_lt_i16_e32 vcc_lo, 27, v11
	s_cbranch_vccz .LBB504_434
; %bb.432:
	global_load_b32 v2, v[0:1], off
	s_mov_b32 s18, 0
	s_mov_b32 s0, 0
	s_waitcnt vmcnt(0)
	v_cvt_f32_u32_e32 v2, v2
	s_branch .LBB504_435
.LBB504_433:
	s_mov_b32 s18, -1
                                        ; implicit-def: $sgpr0
                                        ; implicit-def: $vgpr2
	s_branch .LBB504_438
.LBB504_434:
	s_mov_b32 s18, -1
                                        ; implicit-def: $sgpr0
                                        ; implicit-def: $vgpr2
.LBB504_435:
	s_delay_alu instid0(SALU_CYCLE_1)
	s_and_not1_b32 vcc_lo, exec_lo, s18
	s_cbranch_vccnz .LBB504_437
; %bb.436:
	global_load_u16 v2, v[0:1], off
	s_mov_b32 s0, 0
	s_waitcnt vmcnt(0)
	v_cvt_f32_u32_e32 v2, v2
.LBB504_437:
	s_mov_b32 s18, 0
.LBB504_438:
	s_waitcnt vmcnt(0)
	v_mov_b32_e32 v3, s0
	s_and_not1_b32 vcc_lo, exec_lo, s18
	s_cbranch_vccnz .LBB504_448
; %bb.439:
	global_load_u8 v4, v[0:1], off
	s_mov_b32 s0, 0
	s_mov_b32 s21, exec_lo
                                        ; implicit-def: $sgpr20
                                        ; implicit-def: $sgpr18
	s_waitcnt vmcnt(0)
	v_cmpx_lt_i16_e32 0x7f, v4
	s_xor_b32 s21, exec_lo, s21
	s_cbranch_execz .LBB504_443
; %bb.440:
	s_mov_b32 s0, -1
	s_mov_b32 s22, exec_lo
                                        ; implicit-def: $sgpr20
                                        ; implicit-def: $sgpr18
	v_cmpx_eq_u16_e32 0x80, v4
; %bb.441:
	s_mov_b32 s18, 0x7f800001
	s_mov_b32 s20, 0
	s_xor_b32 s0, exec_lo, -1
; %bb.442:
	s_or_b32 exec_lo, exec_lo, s22
	s_delay_alu instid0(SALU_CYCLE_1)
	s_and_b32 s0, s0, exec_lo
.LBB504_443:
	s_or_saveexec_b32 s21, s21
	v_dual_mov_b32 v3, s20 :: v_dual_mov_b32 v2, s18
	s_xor_b32 exec_lo, exec_lo, s21
; %bb.444:
	v_cmp_ne_u16_e32 vcc_lo, 0, v4
	v_dual_mov_b32 v3, 0 :: v_dual_mov_b32 v2, 0
	s_and_not1_b32 s0, s0, exec_lo
	s_and_b32 s18, vcc_lo, exec_lo
	s_delay_alu instid0(SALU_CYCLE_1)
	s_or_b32 s0, s0, s18
; %bb.445:
	s_or_b32 exec_lo, exec_lo, s21
	s_and_saveexec_b32 s18, s0
	s_cbranch_execz .LBB504_447
; %bb.446:
	v_and_b32_e32 v2, 0xffff, v4
	v_lshlrev_b32_e32 v4, 24, v4
	s_delay_alu instid0(VALU_DEP_2) | instskip(NEXT) | instid1(VALU_DEP_2)
	v_and_b32_e32 v3, 7, v2
	v_and_b32_e32 v4, 0x80000000, v4
	s_delay_alu instid0(VALU_DEP_2) | instskip(NEXT) | instid1(VALU_DEP_1)
	v_clz_i32_u32_e32 v5, v3
	v_min_u32_e32 v5, 32, v5
	s_delay_alu instid0(VALU_DEP_1) | instskip(SKIP_1) | instid1(VALU_DEP_2)
	v_subrev_nc_u32_e32 v6, 28, v5
	v_sub_nc_u32_e32 v5, 29, v5
	v_lshlrev_b32_e32 v6, v6, v2
	v_bfe_u32 v2, v2, 3, 4
	s_delay_alu instid0(VALU_DEP_2) | instskip(NEXT) | instid1(VALU_DEP_2)
	v_and_b32_e32 v6, 7, v6
	v_cmp_eq_u32_e32 vcc_lo, 0, v2
	s_delay_alu instid0(VALU_DEP_2) | instskip(NEXT) | instid1(VALU_DEP_1)
	v_dual_cndmask_b32 v2, v2, v5 :: v_dual_cndmask_b32 v3, v3, v6
	v_lshl_add_u32 v2, v2, 23, 0x3b800000
	s_delay_alu instid0(VALU_DEP_2) | instskip(NEXT) | instid1(VALU_DEP_1)
	v_lshlrev_b32_e32 v3, 20, v3
	v_or3_b32 v2, v4, v2, v3
	v_mov_b32_e32 v3, 0
.LBB504_447:
	s_or_b32 exec_lo, exec_lo, s18
.LBB504_448:
	s_mov_b32 s0, -1
.LBB504_449:
	s_mov_b32 s18, 0
.LBB504_450:
	s_delay_alu instid0(SALU_CYCLE_1)
	s_and_b32 vcc_lo, exec_lo, s18
	s_cbranch_vccz .LBB504_484
; %bb.451:
	v_cmp_lt_i16_e32 vcc_lo, 22, v11
	s_cbranch_vccz .LBB504_463
; %bb.452:
	v_cmp_gt_i16_e32 vcc_lo, 24, v11
	s_cbranch_vccnz .LBB504_464
; %bb.453:
	v_cmp_lt_i16_e32 vcc_lo, 24, v11
	s_cbranch_vccz .LBB504_465
; %bb.454:
	global_load_u8 v4, v[0:1], off
	s_mov_b32 s0, 0
	s_mov_b32 s21, exec_lo
                                        ; implicit-def: $sgpr20
                                        ; implicit-def: $sgpr18
	s_waitcnt vmcnt(0)
	v_cmpx_lt_i16_e32 0x7f, v4
	s_xor_b32 s21, exec_lo, s21
	s_cbranch_execz .LBB504_458
; %bb.455:
	s_mov_b32 s0, -1
	s_mov_b32 s22, exec_lo
                                        ; implicit-def: $sgpr20
                                        ; implicit-def: $sgpr18
	v_cmpx_eq_u16_e32 0x80, v4
; %bb.456:
	s_mov_b32 s18, 0x7f800001
	s_mov_b32 s20, 0
	s_xor_b32 s0, exec_lo, -1
; %bb.457:
	s_or_b32 exec_lo, exec_lo, s22
	s_delay_alu instid0(SALU_CYCLE_1)
	s_and_b32 s0, s0, exec_lo
.LBB504_458:
	s_or_saveexec_b32 s21, s21
	v_dual_mov_b32 v3, s20 :: v_dual_mov_b32 v2, s18
	s_xor_b32 exec_lo, exec_lo, s21
; %bb.459:
	v_cmp_ne_u16_e32 vcc_lo, 0, v4
	v_dual_mov_b32 v3, 0 :: v_dual_mov_b32 v2, 0
	s_and_not1_b32 s0, s0, exec_lo
	s_and_b32 s18, vcc_lo, exec_lo
	s_delay_alu instid0(SALU_CYCLE_1)
	s_or_b32 s0, s0, s18
; %bb.460:
	s_or_b32 exec_lo, exec_lo, s21
	s_and_saveexec_b32 s18, s0
	s_cbranch_execz .LBB504_462
; %bb.461:
	v_and_b32_e32 v2, 0xffff, v4
	v_lshlrev_b32_e32 v4, 24, v4
	s_delay_alu instid0(VALU_DEP_2) | instskip(NEXT) | instid1(VALU_DEP_2)
	v_and_b32_e32 v3, 3, v2
	v_and_b32_e32 v4, 0x80000000, v4
	s_delay_alu instid0(VALU_DEP_2) | instskip(NEXT) | instid1(VALU_DEP_1)
	v_clz_i32_u32_e32 v5, v3
	v_min_u32_e32 v5, 32, v5
	s_delay_alu instid0(VALU_DEP_1) | instskip(SKIP_1) | instid1(VALU_DEP_2)
	v_subrev_nc_u32_e32 v6, 29, v5
	v_sub_nc_u32_e32 v5, 30, v5
	v_lshlrev_b32_e32 v6, v6, v2
	v_bfe_u32 v2, v2, 2, 5
	s_delay_alu instid0(VALU_DEP_2) | instskip(NEXT) | instid1(VALU_DEP_2)
	v_and_b32_e32 v6, 3, v6
	v_cmp_eq_u32_e32 vcc_lo, 0, v2
	s_delay_alu instid0(VALU_DEP_2) | instskip(NEXT) | instid1(VALU_DEP_1)
	v_dual_cndmask_b32 v2, v2, v5 :: v_dual_cndmask_b32 v3, v3, v6
	v_lshl_add_u32 v2, v2, 23, 0x37800000
	s_delay_alu instid0(VALU_DEP_2) | instskip(NEXT) | instid1(VALU_DEP_1)
	v_lshlrev_b32_e32 v3, 21, v3
	v_or3_b32 v2, v4, v2, v3
	v_mov_b32_e32 v3, 0
.LBB504_462:
	s_or_b32 exec_lo, exec_lo, s18
	s_mov_b32 s0, 0
	s_branch .LBB504_466
.LBB504_463:
	s_mov_b32 s18, -1
                                        ; implicit-def: $vgpr3
	s_branch .LBB504_472
.LBB504_464:
	s_mov_b32 s0, -1
                                        ; implicit-def: $vgpr3
	s_branch .LBB504_469
.LBB504_465:
	s_mov_b32 s0, -1
                                        ; implicit-def: $vgpr3
.LBB504_466:
	s_delay_alu instid0(SALU_CYCLE_1)
	s_and_b32 vcc_lo, exec_lo, s0
	s_cbranch_vccz .LBB504_468
; %bb.467:
	global_load_u8 v2, v[0:1], off
	s_waitcnt vmcnt(0)
	v_lshlrev_b32_e32 v2, 24, v2
	s_delay_alu instid0(VALU_DEP_1) | instskip(NEXT) | instid1(VALU_DEP_1)
	v_and_b32_e32 v3, 0x7f000000, v2
	v_clz_i32_u32_e32 v4, v3
	v_add_nc_u32_e32 v6, 0x1000000, v3
	v_cmp_ne_u32_e32 vcc_lo, 0, v3
	s_delay_alu instid0(VALU_DEP_3) | instskip(NEXT) | instid1(VALU_DEP_1)
	v_min_u32_e32 v4, 32, v4
	v_sub_nc_u32_e64 v4, v4, 4 clamp
	s_delay_alu instid0(VALU_DEP_1) | instskip(SKIP_1) | instid1(VALU_DEP_2)
	v_lshlrev_b32_e32 v5, v4, v3
	v_lshlrev_b32_e32 v4, 23, v4
	v_lshrrev_b32_e32 v5, 4, v5
	s_delay_alu instid0(VALU_DEP_1) | instskip(SKIP_1) | instid1(VALU_DEP_2)
	v_sub_nc_u32_e32 v4, v5, v4
	v_ashrrev_i32_e32 v5, 8, v6
	v_add_nc_u32_e32 v4, 0x3c000000, v4
	s_delay_alu instid0(VALU_DEP_1) | instskip(NEXT) | instid1(VALU_DEP_1)
	v_and_or_b32 v4, 0x7f800000, v5, v4
	v_cndmask_b32_e32 v3, 0, v4, vcc_lo
	s_delay_alu instid0(VALU_DEP_1)
	v_and_or_b32 v2, 0x80000000, v2, v3
	v_mov_b32_e32 v3, 0
.LBB504_468:
	s_mov_b32 s0, 0
.LBB504_469:
	s_delay_alu instid0(SALU_CYCLE_1)
	s_and_not1_b32 vcc_lo, exec_lo, s0
	s_cbranch_vccnz .LBB504_471
; %bb.470:
	global_load_u8 v2, v[0:1], off
	s_waitcnt vmcnt(0)
	v_lshlrev_b32_e32 v3, 25, v2
	v_lshlrev_b16 v2, 8, v2
	s_delay_alu instid0(VALU_DEP_2) | instskip(NEXT) | instid1(VALU_DEP_2)
	v_lshrrev_b32_e32 v4, 4, v3
	v_and_or_b32 v5, 0x7f00, v2, 0.5
	v_bfe_i32 v2, v2, 0, 16
	s_delay_alu instid0(VALU_DEP_3) | instskip(NEXT) | instid1(VALU_DEP_1)
	v_or_b32_e32 v4, 0x70000000, v4
	v_dual_add_f32 v5, -0.5, v5 :: v_dual_mul_f32 v4, 0x7800000, v4
	v_cmp_gt_u32_e32 vcc_lo, 0x8000000, v3
	s_delay_alu instid0(VALU_DEP_2) | instskip(NEXT) | instid1(VALU_DEP_1)
	v_cndmask_b32_e32 v3, v4, v5, vcc_lo
	v_and_or_b32 v2, 0x80000000, v2, v3
	v_mov_b32_e32 v3, 0
.LBB504_471:
	s_mov_b32 s18, 0
	s_mov_b32 s0, -1
.LBB504_472:
	s_and_not1_b32 vcc_lo, exec_lo, s18
	s_cbranch_vccnz .LBB504_484
; %bb.473:
	v_cmp_lt_i16_e32 vcc_lo, 14, v11
	s_cbranch_vccz .LBB504_476
; %bb.474:
	v_cmp_eq_u16_e32 vcc_lo, 15, v11
	s_cbranch_vccz .LBB504_477
; %bb.475:
	global_load_u16 v2, v[0:1], off
	s_mov_b32 s0, -1
	s_mov_b32 s17, 0
	s_mov_b32 s18, 0
	s_waitcnt vmcnt(0)
	v_lshlrev_b32_e32 v2, 16, v2
	s_branch .LBB504_478
.LBB504_476:
	s_mov_b32 s20, -1
                                        ; implicit-def: $sgpr18
                                        ; implicit-def: $vgpr2
	s_branch .LBB504_479
.LBB504_477:
	s_mov_b32 s17, -1
                                        ; implicit-def: $sgpr18
                                        ; implicit-def: $vgpr2
.LBB504_478:
	s_mov_b32 s20, 0
.LBB504_479:
	s_delay_alu instid0(SALU_CYCLE_1)
	s_and_b32 vcc_lo, exec_lo, s20
	s_cbranch_vccz .LBB504_483
; %bb.480:
	v_cmp_eq_u16_e32 vcc_lo, 11, v11
	s_cbranch_vccz .LBB504_482
; %bb.481:
	global_load_u8 v2, v[0:1], off
	s_mov_b32 s18, 0
	s_mov_b32 s0, -1
	s_mov_b32 s17, 0
	s_waitcnt vmcnt(0)
	v_cmp_ne_u16_e32 vcc_lo, 0, v2
	v_cndmask_b32_e64 v2, 0, 1.0, vcc_lo
	s_branch .LBB504_483
.LBB504_482:
	s_mov_b32 s17, -1
                                        ; implicit-def: $sgpr18
                                        ; implicit-def: $vgpr2
.LBB504_483:
	s_waitcnt vmcnt(0)
	v_mov_b32_e32 v3, s18
.LBB504_484:
	s_branch .LBB504_275
.LBB504_485:
	v_cmp_gt_i16_e32 vcc_lo, 5, v11
	s_cbranch_vccnz .LBB504_490
; %bb.486:
	v_cmp_gt_i16_e32 vcc_lo, 8, v11
	s_cbranch_vccnz .LBB504_491
; %bb.487:
	v_cmp_gt_i16_e32 vcc_lo, 9, v11
	s_cbranch_vccnz .LBB504_492
; %bb.488:
	v_cmp_lt_i16_e32 vcc_lo, 9, v11
	s_cbranch_vccz .LBB504_493
; %bb.489:
	global_load_b128 v[2:5], v[0:1], off
	s_mov_b32 s0, 0
	s_waitcnt vmcnt(0)
	v_cvt_f32_f64_e32 v2, v[2:3]
	v_cvt_f32_f64_e32 v3, v[4:5]
	s_branch .LBB504_494
.LBB504_490:
	s_mov_b32 s0, -1
                                        ; implicit-def: $vgpr3
	s_branch .LBB504_513
.LBB504_491:
	s_mov_b32 s0, -1
                                        ; implicit-def: $vgpr3
	s_branch .LBB504_500
.LBB504_492:
	s_mov_b32 s0, -1
                                        ; implicit-def: $vgpr3
	s_branch .LBB504_497
.LBB504_493:
	s_mov_b32 s0, -1
                                        ; implicit-def: $vgpr3
.LBB504_494:
	s_delay_alu instid0(SALU_CYCLE_1)
	s_and_not1_b32 vcc_lo, exec_lo, s0
	s_cbranch_vccnz .LBB504_496
; %bb.495:
	global_load_b64 v[2:3], v[0:1], off
.LBB504_496:
	s_mov_b32 s0, 0
.LBB504_497:
	s_delay_alu instid0(SALU_CYCLE_1)
	s_and_not1_b32 vcc_lo, exec_lo, s0
	s_cbranch_vccnz .LBB504_499
; %bb.498:
	global_load_b32 v2, v[0:1], off
	s_waitcnt vmcnt(0)
	v_lshrrev_b32_e32 v3, 16, v2
	v_cvt_f32_f16_e32 v2, v2
	s_delay_alu instid0(VALU_DEP_2)
	v_cvt_f32_f16_e32 v3, v3
.LBB504_499:
	s_mov_b32 s0, 0
.LBB504_500:
	s_delay_alu instid0(SALU_CYCLE_1)
	s_and_not1_b32 vcc_lo, exec_lo, s0
	s_cbranch_vccnz .LBB504_512
; %bb.501:
	v_cmp_gt_i16_e32 vcc_lo, 6, v11
	s_cbranch_vccnz .LBB504_504
; %bb.502:
	v_cmp_lt_i16_e32 vcc_lo, 6, v11
	s_cbranch_vccz .LBB504_505
; %bb.503:
	global_load_b64 v[2:3], v[0:1], off
	s_mov_b32 s18, 0
	s_mov_b32 s0, 0
	s_waitcnt vmcnt(0)
	v_cvt_f32_f64_e32 v2, v[2:3]
	s_branch .LBB504_506
.LBB504_504:
	s_mov_b32 s18, -1
                                        ; implicit-def: $sgpr0
                                        ; implicit-def: $vgpr2
	s_branch .LBB504_509
.LBB504_505:
	s_mov_b32 s18, -1
                                        ; implicit-def: $sgpr0
                                        ; implicit-def: $vgpr2
.LBB504_506:
	s_delay_alu instid0(SALU_CYCLE_1)
	s_and_not1_b32 vcc_lo, exec_lo, s18
	s_cbranch_vccnz .LBB504_508
; %bb.507:
	global_load_b32 v2, v[0:1], off
	s_mov_b32 s0, 0
.LBB504_508:
	s_mov_b32 s18, 0
.LBB504_509:
	s_delay_alu instid0(SALU_CYCLE_1)
	s_and_not1_b32 vcc_lo, exec_lo, s18
	s_cbranch_vccnz .LBB504_511
; %bb.510:
	global_load_u16 v2, v[0:1], off
	s_mov_b32 s0, 0
	s_waitcnt vmcnt(0)
	v_cvt_f32_f16_e32 v2, v2
.LBB504_511:
	s_waitcnt vmcnt(0)
	v_mov_b32_e32 v3, s0
.LBB504_512:
	s_mov_b32 s0, 0
.LBB504_513:
	s_delay_alu instid0(SALU_CYCLE_1)
	s_and_not1_b32 vcc_lo, exec_lo, s0
	s_cbranch_vccnz .LBB504_534
; %bb.514:
	v_cmp_gt_i16_e32 vcc_lo, 2, v11
	s_cbranch_vccnz .LBB504_518
; %bb.515:
	v_cmp_gt_i16_e32 vcc_lo, 3, v11
	s_cbranch_vccnz .LBB504_519
; %bb.516:
	v_cmp_lt_i16_e32 vcc_lo, 3, v11
	s_cbranch_vccz .LBB504_520
; %bb.517:
	global_load_b64 v[2:3], v[0:1], off
	s_mov_b32 s18, 0
	s_mov_b32 s0, 0
	s_waitcnt vmcnt(0)
	v_xor_b32_e32 v4, v2, v3
	v_cls_i32_e32 v5, v3
	s_delay_alu instid0(VALU_DEP_2) | instskip(NEXT) | instid1(VALU_DEP_2)
	v_ashrrev_i32_e32 v4, 31, v4
	v_add_nc_u32_e32 v5, -1, v5
	s_delay_alu instid0(VALU_DEP_2) | instskip(NEXT) | instid1(VALU_DEP_1)
	v_add_nc_u32_e32 v4, 32, v4
	v_min_u32_e32 v4, v5, v4
	s_delay_alu instid0(VALU_DEP_1) | instskip(NEXT) | instid1(VALU_DEP_1)
	v_lshlrev_b64 v[2:3], v4, v[2:3]
	v_min_u32_e32 v2, 1, v2
	s_delay_alu instid0(VALU_DEP_1) | instskip(SKIP_1) | instid1(VALU_DEP_2)
	v_or_b32_e32 v2, v3, v2
	v_sub_nc_u32_e32 v3, 32, v4
	v_cvt_f32_i32_e32 v2, v2
	s_delay_alu instid0(VALU_DEP_1)
	v_ldexp_f32 v2, v2, v3
	s_branch .LBB504_521
.LBB504_518:
	s_mov_b32 s18, -1
                                        ; implicit-def: $sgpr0
                                        ; implicit-def: $vgpr2
	s_branch .LBB504_527
.LBB504_519:
	s_mov_b32 s18, -1
                                        ; implicit-def: $sgpr0
                                        ; implicit-def: $vgpr2
	s_branch .LBB504_524
.LBB504_520:
	s_mov_b32 s18, -1
                                        ; implicit-def: $sgpr0
                                        ; implicit-def: $vgpr2
.LBB504_521:
	s_delay_alu instid0(SALU_CYCLE_1)
	s_and_not1_b32 vcc_lo, exec_lo, s18
	s_cbranch_vccnz .LBB504_523
; %bb.522:
	global_load_b32 v2, v[0:1], off
	s_mov_b32 s0, 0
	s_waitcnt vmcnt(0)
	v_cvt_f32_i32_e32 v2, v2
.LBB504_523:
	s_mov_b32 s18, 0
.LBB504_524:
	s_delay_alu instid0(SALU_CYCLE_1)
	s_and_not1_b32 vcc_lo, exec_lo, s18
	s_cbranch_vccnz .LBB504_526
; %bb.525:
	global_load_i16 v2, v[0:1], off
	s_mov_b32 s0, 0
	s_waitcnt vmcnt(0)
	v_cvt_f32_i32_e32 v2, v2
.LBB504_526:
	s_mov_b32 s18, 0
.LBB504_527:
	s_delay_alu instid0(SALU_CYCLE_1)
	s_and_not1_b32 vcc_lo, exec_lo, s18
	s_cbranch_vccnz .LBB504_533
; %bb.528:
	v_cmp_lt_i16_e32 vcc_lo, 0, v11
	s_mov_b32 s18, 0
	s_cbranch_vccz .LBB504_530
; %bb.529:
	global_load_i8 v2, v[0:1], off
	s_mov_b32 s0, 0
	s_waitcnt vmcnt(0)
	v_cvt_f32_i32_e32 v2, v2
	s_branch .LBB504_531
.LBB504_530:
	s_mov_b32 s18, -1
                                        ; implicit-def: $sgpr0
                                        ; implicit-def: $vgpr2
.LBB504_531:
	s_delay_alu instid0(SALU_CYCLE_1)
	s_and_not1_b32 vcc_lo, exec_lo, s18
	s_cbranch_vccnz .LBB504_533
; %bb.532:
	global_load_u8 v0, v[0:1], off
	s_mov_b32 s0, 0
	s_waitcnt vmcnt(0)
	v_cvt_f32_ubyte0_e32 v2, v0
.LBB504_533:
	s_waitcnt vmcnt(0)
	v_mov_b32_e32 v3, s0
.LBB504_534:
	s_branch .LBB504_276
.LBB504_535:
	s_mov_b32 s20, 0
	s_mov_b32 s0, s13
.LBB504_536:
                                        ; implicit-def: $vgpr10
.LBB504_537:
	s_and_not1_b32 s18, s13, exec_lo
	s_and_b32 s0, s0, exec_lo
	s_and_not1_b32 s21, s15, exec_lo
	s_and_b32 s17, s17, exec_lo
	s_or_b32 s18, s18, s0
	s_or_b32 s17, s21, s17
	s_or_not1_b32 s21, s20, exec_lo
.LBB504_538:
	s_or_b32 exec_lo, exec_lo, s19
	s_mov_b32 s20, 0
	s_mov_b32 s22, 0
	;; [unrolled: 1-line block ×3, first 2 shown]
                                        ; implicit-def: $vgpr0_vgpr1
                                        ; implicit-def: $vgpr5
	s_and_saveexec_b32 s19, s21
	s_cbranch_execz .LBB504_901
; %bb.539:
	s_mov_b32 s0, -1
	s_mov_b32 s21, s17
	s_mov_b32 s22, s18
	s_mov_b32 s20, exec_lo
	v_cmpx_gt_i32_e64 s14, v10
	s_cbranch_execz .LBB504_812
; %bb.540:
	v_mul_lo_u32 v0, v10, s9
	v_cmp_gt_i16_e32 vcc_lo, 11, v11
	s_delay_alu instid0(VALU_DEP_2) | instskip(SKIP_1) | instid1(VALU_DEP_1)
	v_ashrrev_i32_e32 v1, 31, v0
	v_add_co_u32 v0, s0, s6, v0
	v_add_co_ci_u32_e64 v1, s0, s7, v1, s0
	s_cbranch_vccnz .LBB504_547
; %bb.541:
	v_cmp_lt_i16_e32 vcc_lo, 25, v11
	s_cbranch_vccz .LBB504_548
; %bb.542:
	v_cmp_lt_i16_e32 vcc_lo, 28, v11
	s_cbranch_vccz .LBB504_549
	;; [unrolled: 3-line block ×4, first 2 shown]
; %bb.545:
	v_cmp_eq_u16_e32 vcc_lo, 46, v11
	s_mov_b32 s22, 0
	s_cbranch_vccz .LBB504_556
; %bb.546:
	global_load_b32 v2, v[0:1], off
	s_mov_b32 s0, -1
	s_mov_b32 s21, 0
	s_waitcnt vmcnt(0)
	v_and_b32_e32 v3, 0xffff0000, v2
	v_lshlrev_b32_e32 v2, 16, v2
	s_branch .LBB504_558
.LBB504_547:
	s_mov_b32 s22, -1
	s_mov_b32 s0, 0
	s_mov_b32 s21, s17
                                        ; implicit-def: $vgpr3
	s_branch .LBB504_626
.LBB504_548:
	s_mov_b32 s22, -1
	s_mov_b32 s0, 0
	s_mov_b32 s21, s17
                                        ; implicit-def: $vgpr3
	s_branch .LBB504_591
.LBB504_549:
	s_mov_b32 s22, -1
	s_mov_b32 s0, 0
	s_mov_b32 s21, s17
                                        ; implicit-def: $vgpr3
	s_branch .LBB504_570
.LBB504_550:
	s_mov_b32 s22, -1
	s_mov_b32 s0, 0
	s_mov_b32 s21, s17
                                        ; implicit-def: $vgpr3
	s_branch .LBB504_564
.LBB504_551:
	s_or_saveexec_b32 s21, s21
                                        ; implicit-def: $sgpr22
	s_delay_alu instid0(SALU_CYCLE_1)
	s_xor_b32 exec_lo, exec_lo, s21
	s_cbranch_execz .LBB504_330
.LBB504_552:
	v_add_f32_e64 v5, 0x46000000, |v0|
	s_and_not1_b32 s20, s20, exec_lo
	s_mov_b32 s22, 0
	s_delay_alu instid0(VALU_DEP_1) | instskip(NEXT) | instid1(VALU_DEP_1)
	v_and_b32_e32 v5, 0xff, v5
	v_cmp_ne_u32_e32 vcc_lo, 0, v5
	s_and_b32 s23, vcc_lo, exec_lo
	s_delay_alu instid0(SALU_CYCLE_1)
	s_or_b32 s20, s20, s23
	s_or_b32 exec_lo, exec_lo, s21
	v_mov_b32_e32 v6, s22
	s_and_saveexec_b32 s21, s20
	s_cbranch_execnz .LBB504_331
	s_branch .LBB504_332
.LBB504_553:
	s_mov_b32 s22, -1
	s_mov_b32 s0, 0
	s_mov_b32 s21, s17
	s_branch .LBB504_557
.LBB504_554:
	s_or_saveexec_b32 s21, s21
                                        ; implicit-def: $sgpr22
	s_delay_alu instid0(SALU_CYCLE_1)
	s_xor_b32 exec_lo, exec_lo, s21
	s_cbranch_execz .LBB504_343
.LBB504_555:
	v_add_f32_e64 v5, 0x42800000, |v0|
	s_and_not1_b32 s20, s20, exec_lo
	s_mov_b32 s22, 0
	s_delay_alu instid0(VALU_DEP_1) | instskip(NEXT) | instid1(VALU_DEP_1)
	v_and_b32_e32 v5, 0xff, v5
	v_cmp_ne_u32_e32 vcc_lo, 0, v5
	s_and_b32 s23, vcc_lo, exec_lo
	s_delay_alu instid0(SALU_CYCLE_1)
	s_or_b32 s20, s20, s23
	s_or_b32 exec_lo, exec_lo, s21
	v_mov_b32_e32 v6, s22
	s_and_saveexec_b32 s21, s20
	s_cbranch_execnz .LBB504_344
	s_branch .LBB504_345
.LBB504_556:
	s_mov_b32 s21, -1
	s_mov_b32 s0, 0
.LBB504_557:
                                        ; implicit-def: $vgpr3
.LBB504_558:
	s_and_b32 vcc_lo, exec_lo, s22
	s_cbranch_vccz .LBB504_563
; %bb.559:
	v_cmp_eq_u16_e32 vcc_lo, 44, v11
	s_cbranch_vccz .LBB504_561
; %bb.560:
	global_load_u8 v2, v[0:1], off
	s_mov_b32 s21, 0
	s_mov_b32 s0, -1
	s_waitcnt vmcnt(0)
	v_lshlrev_b32_e32 v3, 23, v2
	v_cmp_ne_u32_e32 vcc_lo, 0xff, v2
	s_delay_alu instid0(VALU_DEP_2) | instskip(SKIP_1) | instid1(VALU_DEP_2)
	v_cndmask_b32_e32 v3, 0x7f800001, v3, vcc_lo
	v_cmp_ne_u32_e32 vcc_lo, 0, v2
	v_cndmask_b32_e32 v2, 0x400000, v3, vcc_lo
	s_branch .LBB504_562
.LBB504_561:
	s_mov_b32 s21, -1
                                        ; implicit-def: $vgpr2
.LBB504_562:
	s_waitcnt vmcnt(0)
	v_mov_b32_e32 v3, s21
.LBB504_563:
	s_mov_b32 s22, 0
.LBB504_564:
	s_delay_alu instid0(SALU_CYCLE_1)
	s_and_b32 vcc_lo, exec_lo, s22
	s_cbranch_vccz .LBB504_569
; %bb.565:
	v_cmp_eq_u16_e32 vcc_lo, 29, v11
	s_cbranch_vccz .LBB504_567
; %bb.566:
	global_load_b64 v[2:3], v[0:1], off
	s_mov_b32 s0, -1
	s_mov_b32 s21, 0
	s_mov_b32 s22, 0
	s_waitcnt vmcnt(0)
	v_clz_i32_u32_e32 v4, v3
	s_delay_alu instid0(VALU_DEP_1) | instskip(NEXT) | instid1(VALU_DEP_1)
	v_min_u32_e32 v4, 32, v4
	v_lshlrev_b64 v[2:3], v4, v[2:3]
	s_delay_alu instid0(VALU_DEP_1) | instskip(NEXT) | instid1(VALU_DEP_1)
	v_min_u32_e32 v2, 1, v2
	v_or_b32_e32 v2, v3, v2
	v_sub_nc_u32_e32 v3, 32, v4
	s_delay_alu instid0(VALU_DEP_2) | instskip(NEXT) | instid1(VALU_DEP_1)
	v_cvt_f32_u32_e32 v2, v2
	v_ldexp_f32 v2, v2, v3
	s_branch .LBB504_568
.LBB504_567:
	s_mov_b32 s21, -1
                                        ; implicit-def: $sgpr22
                                        ; implicit-def: $vgpr2
.LBB504_568:
	s_waitcnt vmcnt(0)
	v_mov_b32_e32 v3, s22
.LBB504_569:
	s_mov_b32 s22, 0
.LBB504_570:
	s_delay_alu instid0(SALU_CYCLE_1)
	s_and_b32 vcc_lo, exec_lo, s22
	s_cbranch_vccz .LBB504_590
; %bb.571:
	v_cmp_gt_i16_e32 vcc_lo, 27, v11
	s_cbranch_vccnz .LBB504_574
; %bb.572:
	v_cmp_lt_i16_e32 vcc_lo, 27, v11
	s_cbranch_vccz .LBB504_575
; %bb.573:
	global_load_b32 v2, v[0:1], off
	s_mov_b32 s22, 0
	s_mov_b32 s0, 0
	s_waitcnt vmcnt(0)
	v_cvt_f32_u32_e32 v2, v2
	s_branch .LBB504_576
.LBB504_574:
	s_mov_b32 s22, -1
                                        ; implicit-def: $sgpr0
                                        ; implicit-def: $vgpr2
	s_branch .LBB504_579
.LBB504_575:
	s_mov_b32 s22, -1
                                        ; implicit-def: $sgpr0
                                        ; implicit-def: $vgpr2
.LBB504_576:
	s_delay_alu instid0(SALU_CYCLE_1)
	s_and_not1_b32 vcc_lo, exec_lo, s22
	s_cbranch_vccnz .LBB504_578
; %bb.577:
	global_load_u16 v2, v[0:1], off
	s_mov_b32 s0, 0
	s_waitcnt vmcnt(0)
	v_cvt_f32_u32_e32 v2, v2
.LBB504_578:
	s_mov_b32 s22, 0
.LBB504_579:
	s_waitcnt vmcnt(0)
	v_mov_b32_e32 v3, s0
	s_and_not1_b32 vcc_lo, exec_lo, s22
	s_cbranch_vccnz .LBB504_589
; %bb.580:
	global_load_u8 v4, v[0:1], off
	s_mov_b32 s0, 0
	s_mov_b32 s24, exec_lo
                                        ; implicit-def: $sgpr23
                                        ; implicit-def: $sgpr22
	s_waitcnt vmcnt(0)
	v_cmpx_lt_i16_e32 0x7f, v4
	s_xor_b32 s24, exec_lo, s24
	s_cbranch_execz .LBB504_584
; %bb.581:
	s_mov_b32 s0, -1
	s_mov_b32 s25, exec_lo
                                        ; implicit-def: $sgpr23
                                        ; implicit-def: $sgpr22
	v_cmpx_eq_u16_e32 0x80, v4
; %bb.582:
	s_mov_b32 s22, 0x7f800001
	s_mov_b32 s23, 0
	s_xor_b32 s0, exec_lo, -1
; %bb.583:
	s_or_b32 exec_lo, exec_lo, s25
	s_delay_alu instid0(SALU_CYCLE_1)
	s_and_b32 s0, s0, exec_lo
.LBB504_584:
	s_or_saveexec_b32 s24, s24
	v_dual_mov_b32 v3, s23 :: v_dual_mov_b32 v2, s22
	s_xor_b32 exec_lo, exec_lo, s24
; %bb.585:
	v_cmp_ne_u16_e32 vcc_lo, 0, v4
	v_dual_mov_b32 v3, 0 :: v_dual_mov_b32 v2, 0
	s_and_not1_b32 s0, s0, exec_lo
	s_and_b32 s22, vcc_lo, exec_lo
	s_delay_alu instid0(SALU_CYCLE_1)
	s_or_b32 s0, s0, s22
; %bb.586:
	s_or_b32 exec_lo, exec_lo, s24
	s_and_saveexec_b32 s22, s0
	s_cbranch_execz .LBB504_588
; %bb.587:
	v_and_b32_e32 v2, 0xffff, v4
	v_lshlrev_b32_e32 v4, 24, v4
	s_delay_alu instid0(VALU_DEP_2) | instskip(NEXT) | instid1(VALU_DEP_2)
	v_and_b32_e32 v3, 7, v2
	v_and_b32_e32 v4, 0x80000000, v4
	s_delay_alu instid0(VALU_DEP_2) | instskip(NEXT) | instid1(VALU_DEP_1)
	v_clz_i32_u32_e32 v5, v3
	v_min_u32_e32 v5, 32, v5
	s_delay_alu instid0(VALU_DEP_1) | instskip(SKIP_1) | instid1(VALU_DEP_2)
	v_subrev_nc_u32_e32 v6, 28, v5
	v_sub_nc_u32_e32 v5, 29, v5
	v_lshlrev_b32_e32 v6, v6, v2
	v_bfe_u32 v2, v2, 3, 4
	s_delay_alu instid0(VALU_DEP_2) | instskip(NEXT) | instid1(VALU_DEP_2)
	v_and_b32_e32 v6, 7, v6
	v_cmp_eq_u32_e32 vcc_lo, 0, v2
	s_delay_alu instid0(VALU_DEP_2) | instskip(NEXT) | instid1(VALU_DEP_1)
	v_dual_cndmask_b32 v2, v2, v5 :: v_dual_cndmask_b32 v3, v3, v6
	v_lshl_add_u32 v2, v2, 23, 0x3b800000
	s_delay_alu instid0(VALU_DEP_2) | instskip(NEXT) | instid1(VALU_DEP_1)
	v_lshlrev_b32_e32 v3, 20, v3
	v_or3_b32 v2, v4, v2, v3
	v_mov_b32_e32 v3, 0
.LBB504_588:
	s_or_b32 exec_lo, exec_lo, s22
.LBB504_589:
	s_mov_b32 s0, -1
.LBB504_590:
	s_mov_b32 s22, 0
.LBB504_591:
	s_delay_alu instid0(SALU_CYCLE_1)
	s_and_b32 vcc_lo, exec_lo, s22
	s_cbranch_vccz .LBB504_625
; %bb.592:
	v_cmp_lt_i16_e32 vcc_lo, 22, v11
	s_cbranch_vccz .LBB504_604
; %bb.593:
	v_cmp_gt_i16_e32 vcc_lo, 24, v11
	s_cbranch_vccnz .LBB504_605
; %bb.594:
	v_cmp_lt_i16_e32 vcc_lo, 24, v11
	s_cbranch_vccz .LBB504_606
; %bb.595:
	global_load_u8 v4, v[0:1], off
	s_mov_b32 s0, 0
	s_mov_b32 s24, exec_lo
                                        ; implicit-def: $sgpr23
                                        ; implicit-def: $sgpr22
	s_waitcnt vmcnt(0)
	v_cmpx_lt_i16_e32 0x7f, v4
	s_xor_b32 s24, exec_lo, s24
	s_cbranch_execz .LBB504_599
; %bb.596:
	s_mov_b32 s0, -1
	s_mov_b32 s25, exec_lo
                                        ; implicit-def: $sgpr23
                                        ; implicit-def: $sgpr22
	v_cmpx_eq_u16_e32 0x80, v4
; %bb.597:
	s_mov_b32 s22, 0x7f800001
	s_mov_b32 s23, 0
	s_xor_b32 s0, exec_lo, -1
; %bb.598:
	s_or_b32 exec_lo, exec_lo, s25
	s_delay_alu instid0(SALU_CYCLE_1)
	s_and_b32 s0, s0, exec_lo
.LBB504_599:
	s_or_saveexec_b32 s24, s24
	v_dual_mov_b32 v3, s23 :: v_dual_mov_b32 v2, s22
	s_xor_b32 exec_lo, exec_lo, s24
; %bb.600:
	v_cmp_ne_u16_e32 vcc_lo, 0, v4
	v_dual_mov_b32 v3, 0 :: v_dual_mov_b32 v2, 0
	s_and_not1_b32 s0, s0, exec_lo
	s_and_b32 s22, vcc_lo, exec_lo
	s_delay_alu instid0(SALU_CYCLE_1)
	s_or_b32 s0, s0, s22
; %bb.601:
	s_or_b32 exec_lo, exec_lo, s24
	s_and_saveexec_b32 s22, s0
	s_cbranch_execz .LBB504_603
; %bb.602:
	v_and_b32_e32 v2, 0xffff, v4
	v_lshlrev_b32_e32 v4, 24, v4
	s_delay_alu instid0(VALU_DEP_2) | instskip(NEXT) | instid1(VALU_DEP_2)
	v_and_b32_e32 v3, 3, v2
	v_and_b32_e32 v4, 0x80000000, v4
	s_delay_alu instid0(VALU_DEP_2) | instskip(NEXT) | instid1(VALU_DEP_1)
	v_clz_i32_u32_e32 v5, v3
	v_min_u32_e32 v5, 32, v5
	s_delay_alu instid0(VALU_DEP_1) | instskip(SKIP_1) | instid1(VALU_DEP_2)
	v_subrev_nc_u32_e32 v6, 29, v5
	v_sub_nc_u32_e32 v5, 30, v5
	v_lshlrev_b32_e32 v6, v6, v2
	v_bfe_u32 v2, v2, 2, 5
	s_delay_alu instid0(VALU_DEP_2) | instskip(NEXT) | instid1(VALU_DEP_2)
	v_and_b32_e32 v6, 3, v6
	v_cmp_eq_u32_e32 vcc_lo, 0, v2
	s_delay_alu instid0(VALU_DEP_2) | instskip(NEXT) | instid1(VALU_DEP_1)
	v_dual_cndmask_b32 v2, v2, v5 :: v_dual_cndmask_b32 v3, v3, v6
	v_lshl_add_u32 v2, v2, 23, 0x37800000
	s_delay_alu instid0(VALU_DEP_2) | instskip(NEXT) | instid1(VALU_DEP_1)
	v_lshlrev_b32_e32 v3, 21, v3
	v_or3_b32 v2, v4, v2, v3
	v_mov_b32_e32 v3, 0
.LBB504_603:
	s_or_b32 exec_lo, exec_lo, s22
	s_mov_b32 s0, 0
	s_branch .LBB504_607
.LBB504_604:
	s_mov_b32 s22, -1
                                        ; implicit-def: $vgpr3
	s_branch .LBB504_613
.LBB504_605:
	s_mov_b32 s0, -1
                                        ; implicit-def: $vgpr3
	s_branch .LBB504_610
.LBB504_606:
	s_mov_b32 s0, -1
                                        ; implicit-def: $vgpr3
.LBB504_607:
	s_delay_alu instid0(SALU_CYCLE_1)
	s_and_b32 vcc_lo, exec_lo, s0
	s_cbranch_vccz .LBB504_609
; %bb.608:
	global_load_u8 v2, v[0:1], off
	s_waitcnt vmcnt(0)
	v_lshlrev_b32_e32 v2, 24, v2
	s_delay_alu instid0(VALU_DEP_1) | instskip(NEXT) | instid1(VALU_DEP_1)
	v_and_b32_e32 v3, 0x7f000000, v2
	v_clz_i32_u32_e32 v4, v3
	v_add_nc_u32_e32 v6, 0x1000000, v3
	v_cmp_ne_u32_e32 vcc_lo, 0, v3
	s_delay_alu instid0(VALU_DEP_3) | instskip(NEXT) | instid1(VALU_DEP_1)
	v_min_u32_e32 v4, 32, v4
	v_sub_nc_u32_e64 v4, v4, 4 clamp
	s_delay_alu instid0(VALU_DEP_1) | instskip(SKIP_1) | instid1(VALU_DEP_2)
	v_lshlrev_b32_e32 v5, v4, v3
	v_lshlrev_b32_e32 v4, 23, v4
	v_lshrrev_b32_e32 v5, 4, v5
	s_delay_alu instid0(VALU_DEP_1) | instskip(SKIP_1) | instid1(VALU_DEP_2)
	v_sub_nc_u32_e32 v4, v5, v4
	v_ashrrev_i32_e32 v5, 8, v6
	v_add_nc_u32_e32 v4, 0x3c000000, v4
	s_delay_alu instid0(VALU_DEP_1) | instskip(NEXT) | instid1(VALU_DEP_1)
	v_and_or_b32 v4, 0x7f800000, v5, v4
	v_cndmask_b32_e32 v3, 0, v4, vcc_lo
	s_delay_alu instid0(VALU_DEP_1)
	v_and_or_b32 v2, 0x80000000, v2, v3
	v_mov_b32_e32 v3, 0
.LBB504_609:
	s_mov_b32 s0, 0
.LBB504_610:
	s_delay_alu instid0(SALU_CYCLE_1)
	s_and_not1_b32 vcc_lo, exec_lo, s0
	s_cbranch_vccnz .LBB504_612
; %bb.611:
	global_load_u8 v2, v[0:1], off
	s_waitcnt vmcnt(0)
	v_lshlrev_b32_e32 v3, 25, v2
	v_lshlrev_b16 v2, 8, v2
	s_delay_alu instid0(VALU_DEP_2) | instskip(NEXT) | instid1(VALU_DEP_2)
	v_lshrrev_b32_e32 v4, 4, v3
	v_and_or_b32 v5, 0x7f00, v2, 0.5
	v_bfe_i32 v2, v2, 0, 16
	s_delay_alu instid0(VALU_DEP_3) | instskip(NEXT) | instid1(VALU_DEP_1)
	v_or_b32_e32 v4, 0x70000000, v4
	v_dual_add_f32 v5, -0.5, v5 :: v_dual_mul_f32 v4, 0x7800000, v4
	v_cmp_gt_u32_e32 vcc_lo, 0x8000000, v3
	s_delay_alu instid0(VALU_DEP_2) | instskip(NEXT) | instid1(VALU_DEP_1)
	v_cndmask_b32_e32 v3, v4, v5, vcc_lo
	v_and_or_b32 v2, 0x80000000, v2, v3
	v_mov_b32_e32 v3, 0
.LBB504_612:
	s_mov_b32 s22, 0
	s_mov_b32 s0, -1
.LBB504_613:
	s_and_not1_b32 vcc_lo, exec_lo, s22
	s_cbranch_vccnz .LBB504_625
; %bb.614:
	v_cmp_lt_i16_e32 vcc_lo, 14, v11
	s_cbranch_vccz .LBB504_617
; %bb.615:
	v_cmp_eq_u16_e32 vcc_lo, 15, v11
	s_cbranch_vccz .LBB504_618
; %bb.616:
	global_load_u16 v2, v[0:1], off
	s_mov_b32 s0, -1
	s_mov_b32 s21, 0
	s_mov_b32 s22, 0
	s_waitcnt vmcnt(0)
	v_lshlrev_b32_e32 v2, 16, v2
	s_branch .LBB504_619
.LBB504_617:
	s_mov_b32 s23, -1
                                        ; implicit-def: $sgpr22
                                        ; implicit-def: $vgpr2
	s_branch .LBB504_620
.LBB504_618:
	s_mov_b32 s21, -1
                                        ; implicit-def: $sgpr22
                                        ; implicit-def: $vgpr2
.LBB504_619:
	s_mov_b32 s23, 0
.LBB504_620:
	s_delay_alu instid0(SALU_CYCLE_1)
	s_and_b32 vcc_lo, exec_lo, s23
	s_cbranch_vccz .LBB504_624
; %bb.621:
	v_cmp_eq_u16_e32 vcc_lo, 11, v11
	s_cbranch_vccz .LBB504_623
; %bb.622:
	global_load_u8 v2, v[0:1], off
	s_mov_b32 s22, 0
	s_mov_b32 s0, -1
	s_mov_b32 s21, 0
	s_waitcnt vmcnt(0)
	v_cmp_ne_u16_e32 vcc_lo, 0, v2
	v_cndmask_b32_e64 v2, 0, 1.0, vcc_lo
	s_branch .LBB504_624
.LBB504_623:
	s_mov_b32 s21, -1
                                        ; implicit-def: $sgpr22
                                        ; implicit-def: $vgpr2
.LBB504_624:
	s_waitcnt vmcnt(0)
	v_mov_b32_e32 v3, s22
.LBB504_625:
	s_mov_b32 s22, 0
.LBB504_626:
	s_delay_alu instid0(SALU_CYCLE_1)
	s_and_b32 vcc_lo, exec_lo, s22
	s_cbranch_vccz .LBB504_677
; %bb.627:
	v_cmp_gt_i16_e32 vcc_lo, 5, v11
	s_cbranch_vccnz .LBB504_632
; %bb.628:
	v_cmp_gt_i16_e32 vcc_lo, 8, v11
	s_cbranch_vccnz .LBB504_633
	;; [unrolled: 3-line block ×3, first 2 shown]
; %bb.630:
	v_cmp_lt_i16_e32 vcc_lo, 9, v11
	s_cbranch_vccz .LBB504_635
; %bb.631:
	global_load_b128 v[2:5], v[0:1], off
	s_mov_b32 s0, 0
	s_waitcnt vmcnt(0)
	v_cvt_f32_f64_e32 v2, v[2:3]
	v_cvt_f32_f64_e32 v3, v[4:5]
	s_branch .LBB504_636
.LBB504_632:
	s_mov_b32 s0, -1
                                        ; implicit-def: $vgpr3
	s_branch .LBB504_655
.LBB504_633:
	s_mov_b32 s0, -1
                                        ; implicit-def: $vgpr3
	s_branch .LBB504_642
.LBB504_634:
	s_mov_b32 s0, -1
                                        ; implicit-def: $vgpr3
	s_branch .LBB504_639
.LBB504_635:
	s_mov_b32 s0, -1
                                        ; implicit-def: $vgpr3
.LBB504_636:
	s_delay_alu instid0(SALU_CYCLE_1)
	s_and_not1_b32 vcc_lo, exec_lo, s0
	s_cbranch_vccnz .LBB504_638
; %bb.637:
	global_load_b64 v[2:3], v[0:1], off
.LBB504_638:
	s_mov_b32 s0, 0
.LBB504_639:
	s_delay_alu instid0(SALU_CYCLE_1)
	s_and_not1_b32 vcc_lo, exec_lo, s0
	s_cbranch_vccnz .LBB504_641
; %bb.640:
	global_load_b32 v2, v[0:1], off
	s_waitcnt vmcnt(0)
	v_lshrrev_b32_e32 v3, 16, v2
	v_cvt_f32_f16_e32 v2, v2
	s_delay_alu instid0(VALU_DEP_2)
	v_cvt_f32_f16_e32 v3, v3
.LBB504_641:
	s_mov_b32 s0, 0
.LBB504_642:
	s_delay_alu instid0(SALU_CYCLE_1)
	s_and_not1_b32 vcc_lo, exec_lo, s0
	s_cbranch_vccnz .LBB504_654
; %bb.643:
	v_cmp_gt_i16_e32 vcc_lo, 6, v11
	s_cbranch_vccnz .LBB504_646
; %bb.644:
	v_cmp_lt_i16_e32 vcc_lo, 6, v11
	s_cbranch_vccz .LBB504_647
; %bb.645:
	global_load_b64 v[2:3], v[0:1], off
	s_mov_b32 s22, 0
	s_mov_b32 s0, 0
	s_waitcnt vmcnt(0)
	v_cvt_f32_f64_e32 v2, v[2:3]
	s_branch .LBB504_648
.LBB504_646:
	s_mov_b32 s22, -1
                                        ; implicit-def: $sgpr0
                                        ; implicit-def: $vgpr2
	s_branch .LBB504_651
.LBB504_647:
	s_mov_b32 s22, -1
                                        ; implicit-def: $sgpr0
                                        ; implicit-def: $vgpr2
.LBB504_648:
	s_delay_alu instid0(SALU_CYCLE_1)
	s_and_not1_b32 vcc_lo, exec_lo, s22
	s_cbranch_vccnz .LBB504_650
; %bb.649:
	global_load_b32 v2, v[0:1], off
	s_mov_b32 s0, 0
.LBB504_650:
	s_mov_b32 s22, 0
.LBB504_651:
	s_delay_alu instid0(SALU_CYCLE_1)
	s_and_not1_b32 vcc_lo, exec_lo, s22
	s_cbranch_vccnz .LBB504_653
; %bb.652:
	global_load_u16 v2, v[0:1], off
	s_mov_b32 s0, 0
	s_waitcnt vmcnt(0)
	v_cvt_f32_f16_e32 v2, v2
.LBB504_653:
	s_waitcnt vmcnt(0)
	v_mov_b32_e32 v3, s0
.LBB504_654:
	s_mov_b32 s0, 0
.LBB504_655:
	s_delay_alu instid0(SALU_CYCLE_1)
	s_and_not1_b32 vcc_lo, exec_lo, s0
	s_cbranch_vccnz .LBB504_676
; %bb.656:
	v_cmp_gt_i16_e32 vcc_lo, 2, v11
	s_cbranch_vccnz .LBB504_660
; %bb.657:
	v_cmp_gt_i16_e32 vcc_lo, 3, v11
	s_cbranch_vccnz .LBB504_661
; %bb.658:
	v_cmp_lt_i16_e32 vcc_lo, 3, v11
	s_cbranch_vccz .LBB504_662
; %bb.659:
	global_load_b64 v[2:3], v[0:1], off
	s_mov_b32 s22, 0
	s_mov_b32 s0, 0
	s_waitcnt vmcnt(0)
	v_xor_b32_e32 v4, v2, v3
	v_cls_i32_e32 v5, v3
	s_delay_alu instid0(VALU_DEP_2) | instskip(NEXT) | instid1(VALU_DEP_2)
	v_ashrrev_i32_e32 v4, 31, v4
	v_add_nc_u32_e32 v5, -1, v5
	s_delay_alu instid0(VALU_DEP_2) | instskip(NEXT) | instid1(VALU_DEP_1)
	v_add_nc_u32_e32 v4, 32, v4
	v_min_u32_e32 v4, v5, v4
	s_delay_alu instid0(VALU_DEP_1) | instskip(NEXT) | instid1(VALU_DEP_1)
	v_lshlrev_b64 v[2:3], v4, v[2:3]
	v_min_u32_e32 v2, 1, v2
	s_delay_alu instid0(VALU_DEP_1) | instskip(SKIP_1) | instid1(VALU_DEP_2)
	v_or_b32_e32 v2, v3, v2
	v_sub_nc_u32_e32 v3, 32, v4
	v_cvt_f32_i32_e32 v2, v2
	s_delay_alu instid0(VALU_DEP_1)
	v_ldexp_f32 v2, v2, v3
	s_branch .LBB504_663
.LBB504_660:
	s_mov_b32 s22, -1
                                        ; implicit-def: $sgpr0
                                        ; implicit-def: $vgpr2
	s_branch .LBB504_669
.LBB504_661:
	s_mov_b32 s22, -1
                                        ; implicit-def: $sgpr0
                                        ; implicit-def: $vgpr2
	s_branch .LBB504_666
.LBB504_662:
	s_mov_b32 s22, -1
                                        ; implicit-def: $sgpr0
                                        ; implicit-def: $vgpr2
.LBB504_663:
	s_delay_alu instid0(SALU_CYCLE_1)
	s_and_not1_b32 vcc_lo, exec_lo, s22
	s_cbranch_vccnz .LBB504_665
; %bb.664:
	global_load_b32 v2, v[0:1], off
	s_mov_b32 s0, 0
	s_waitcnt vmcnt(0)
	v_cvt_f32_i32_e32 v2, v2
.LBB504_665:
	s_mov_b32 s22, 0
.LBB504_666:
	s_delay_alu instid0(SALU_CYCLE_1)
	s_and_not1_b32 vcc_lo, exec_lo, s22
	s_cbranch_vccnz .LBB504_668
; %bb.667:
	global_load_i16 v2, v[0:1], off
	s_mov_b32 s0, 0
	s_waitcnt vmcnt(0)
	v_cvt_f32_i32_e32 v2, v2
.LBB504_668:
	s_mov_b32 s22, 0
.LBB504_669:
	s_delay_alu instid0(SALU_CYCLE_1)
	s_and_not1_b32 vcc_lo, exec_lo, s22
	s_cbranch_vccnz .LBB504_675
; %bb.670:
	v_cmp_lt_i16_e32 vcc_lo, 0, v11
	s_mov_b32 s22, 0
	s_cbranch_vccz .LBB504_672
; %bb.671:
	global_load_i8 v2, v[0:1], off
	s_mov_b32 s0, 0
	s_waitcnt vmcnt(0)
	v_cvt_f32_i32_e32 v2, v2
	s_branch .LBB504_673
.LBB504_672:
	s_mov_b32 s22, -1
                                        ; implicit-def: $sgpr0
                                        ; implicit-def: $vgpr2
.LBB504_673:
	s_delay_alu instid0(SALU_CYCLE_1)
	s_and_not1_b32 vcc_lo, exec_lo, s22
	s_cbranch_vccnz .LBB504_675
; %bb.674:
	global_load_u8 v0, v[0:1], off
	s_mov_b32 s0, 0
	s_waitcnt vmcnt(0)
	v_cvt_f32_ubyte0_e32 v2, v0
.LBB504_675:
	s_waitcnt vmcnt(0)
	v_mov_b32_e32 v3, s0
.LBB504_676:
	s_mov_b32 s0, -1
.LBB504_677:
	s_delay_alu instid0(SALU_CYCLE_1)
	s_and_not1_b32 vcc_lo, exec_lo, s0
	s_cbranch_vccnz .LBB504_693
; %bb.678:
	v_mov_b32_e32 v0, s10
	s_mov_b32 s0, exec_lo
	s_waitcnt vmcnt(0)
	s_delay_alu instid0(VALU_DEP_3)
	v_cmpx_o_f32_e32 v2, v2
	s_cbranch_execz .LBB504_682
; %bb.679:
	v_mov_b32_e32 v0, s11
	s_mov_b32 s22, exec_lo
	v_cmpx_neq_f32_e32 0x7f800000, v2
; %bb.680:
	v_cmp_eq_f32_e32 vcc_lo, 0xff800000, v2
	v_cndmask_b32_e64 v0, v2, s2, vcc_lo
; %bb.681:
	s_or_b32 exec_lo, exec_lo, s22
.LBB504_682:
	s_delay_alu instid0(SALU_CYCLE_1) | instskip(SKIP_2) | instid1(VALU_DEP_4)
	s_or_b32 exec_lo, exec_lo, s0
	v_mov_b32_e32 v1, s10
	s_mov_b32 s0, exec_lo
	v_cmpx_o_f32_e32 v3, v3
	s_cbranch_execz .LBB504_686
; %bb.683:
	v_mov_b32_e32 v1, s11
	s_mov_b32 s22, exec_lo
	v_cmpx_neq_f32_e32 0x7f800000, v3
; %bb.684:
	v_cmp_eq_f32_e32 vcc_lo, 0xff800000, v3
	v_cndmask_b32_e64 v1, v3, s2, vcc_lo
; %bb.685:
	s_or_b32 exec_lo, exec_lo, s22
.LBB504_686:
	s_delay_alu instid0(SALU_CYCLE_1) | instskip(SKIP_2) | instid1(VALU_DEP_1)
	s_or_b32 exec_lo, exec_lo, s0
	v_mul_lo_u32 v2, v10, s8
	v_and_b32_e64 v4, 0xff, s3
	v_cmp_gt_i16_e32 vcc_lo, 11, v4
	s_delay_alu instid0(VALU_DEP_3) | instskip(SKIP_1) | instid1(VALU_DEP_1)
	v_ashrrev_i32_e32 v3, 31, v2
	v_add_co_u32 v2, s0, s4, v2
	v_add_co_ci_u32_e64 v3, s0, s5, v3, s0
	s_cbranch_vccnz .LBB504_694
; %bb.687:
	v_cmp_lt_i16_e32 vcc_lo, 25, v4
	s_cbranch_vccz .LBB504_695
; %bb.688:
	v_cmp_lt_i16_e32 vcc_lo, 28, v4
	s_cbranch_vccz .LBB504_696
	;; [unrolled: 3-line block ×4, first 2 shown]
; %bb.691:
	v_cmp_eq_u16_e32 vcc_lo, 46, v4
	s_mov_b32 s23, 0
	s_mov_b32 s0, -1
	s_mov_b32 s22, 0
	s_cbranch_vccz .LBB504_699
; %bb.692:
	v_bfe_u32 v5, v1, 16, 1
	v_bfe_u32 v6, v0, 16, 1
	v_cmp_o_f32_e32 vcc_lo, v1, v1
	s_mov_b32 s22, -1
	s_mov_b32 s0, 0
	v_add3_u32 v5, v1, v5, 0x7fff
	v_add3_u32 v6, v0, v6, 0x7fff
	s_delay_alu instid0(VALU_DEP_2) | instskip(NEXT) | instid1(VALU_DEP_2)
	v_and_b32_e32 v5, 0xffff0000, v5
	v_lshrrev_b32_e32 v6, 16, v6
	s_delay_alu instid0(VALU_DEP_2) | instskip(SKIP_1) | instid1(VALU_DEP_3)
	v_cndmask_b32_e32 v5, 0x7fc00000, v5, vcc_lo
	v_cmp_o_f32_e32 vcc_lo, v0, v0
	v_cndmask_b32_e32 v6, 0x7fc0, v6, vcc_lo
	s_delay_alu instid0(VALU_DEP_1)
	v_or_b32_e32 v5, v5, v6
	global_store_b32 v[2:3], v5, off
	s_branch .LBB504_699
.LBB504_693:
	s_mov_b32 s23, 0
	s_mov_b32 s0, s18
	s_branch .LBB504_810
.LBB504_694:
	s_mov_b32 s23, -1
	s_mov_b32 s22, 0
	s_mov_b32 s0, s18
	s_branch .LBB504_768
.LBB504_695:
	s_mov_b32 s23, -1
	s_mov_b32 s22, 0
	s_mov_b32 s0, s18
	s_branch .LBB504_726
.LBB504_696:
	s_mov_b32 s23, -1
	s_mov_b32 s22, 0
	s_mov_b32 s0, s18
	s_branch .LBB504_709
.LBB504_697:
	s_mov_b32 s23, -1
	s_mov_b32 s22, 0
	s_mov_b32 s0, s18
	s_branch .LBB504_705
.LBB504_698:
	s_mov_b32 s23, -1
	s_mov_b32 s22, 0
	s_mov_b32 s0, s18
.LBB504_699:
	s_and_b32 vcc_lo, exec_lo, s23
	s_cbranch_vccz .LBB504_704
; %bb.700:
	v_cmp_eq_u16_e32 vcc_lo, 44, v4
	s_mov_b32 s0, -1
	s_cbranch_vccz .LBB504_704
; %bb.701:
	v_bfe_u32 v6, v0, 23, 8
	v_mov_b32_e32 v5, 0xff
	s_mov_b32 s22, exec_lo
	s_delay_alu instid0(VALU_DEP_2)
	v_cmpx_ne_u32_e32 0xff, v6
; %bb.702:
	v_and_b32_e32 v5, 0x400000, v0
	v_and_or_b32 v6, 0x3fffff, v0, v6
	s_delay_alu instid0(VALU_DEP_2) | instskip(NEXT) | instid1(VALU_DEP_2)
	v_cmp_ne_u32_e32 vcc_lo, 0, v5
	v_cmp_ne_u32_e64 s0, 0, v6
	v_lshrrev_b32_e32 v5, 23, v0
	s_delay_alu instid0(VALU_DEP_2) | instskip(NEXT) | instid1(SALU_CYCLE_1)
	s_and_b32 s0, vcc_lo, s0
	v_cndmask_b32_e64 v6, 0, 1, s0
	s_delay_alu instid0(VALU_DEP_1)
	v_add_nc_u32_e32 v5, v5, v6
; %bb.703:
	s_or_b32 exec_lo, exec_lo, s22
	s_mov_b32 s22, -1
	s_mov_b32 s0, 0
	global_store_b8 v[2:3], v5, off
.LBB504_704:
	s_mov_b32 s23, 0
.LBB504_705:
	s_delay_alu instid0(SALU_CYCLE_1)
	s_and_b32 vcc_lo, exec_lo, s23
	s_cbranch_vccz .LBB504_708
; %bb.706:
	v_cmp_eq_u16_e32 vcc_lo, 29, v4
	s_mov_b32 s0, -1
	s_cbranch_vccz .LBB504_708
; %bb.707:
	v_trunc_f32_e32 v5, v0
	s_mov_b32 s22, -1
	s_mov_b32 s0, 0
	s_mov_b32 s23, 0
	s_delay_alu instid0(VALU_DEP_1) | instskip(NEXT) | instid1(VALU_DEP_1)
	v_mul_f32_e32 v6, 0x2f800000, v5
	v_floor_f32_e32 v6, v6
	s_delay_alu instid0(VALU_DEP_1) | instskip(SKIP_1) | instid1(VALU_DEP_2)
	v_fmamk_f32 v5, v6, 0xcf800000, v5
	v_cvt_u32_f32_e32 v6, v6
	v_cvt_u32_f32_e32 v5, v5
	global_store_b64 v[2:3], v[5:6], off
	s_branch .LBB504_709
.LBB504_708:
	s_mov_b32 s23, 0
.LBB504_709:
	s_delay_alu instid0(SALU_CYCLE_1)
	s_and_b32 vcc_lo, exec_lo, s23
	s_cbranch_vccz .LBB504_725
; %bb.710:
	v_cmp_gt_i16_e32 vcc_lo, 27, v4
	s_mov_b32 s22, -1
	s_cbranch_vccnz .LBB504_716
; %bb.711:
	v_cmp_lt_i16_e32 vcc_lo, 27, v4
	s_cbranch_vccz .LBB504_713
; %bb.712:
	v_cvt_u32_f32_e32 v5, v0
	s_mov_b32 s22, 0
	global_store_b32 v[2:3], v5, off
.LBB504_713:
	s_and_not1_b32 vcc_lo, exec_lo, s22
	s_cbranch_vccnz .LBB504_715
; %bb.714:
	v_cvt_u32_f32_e32 v5, v0
	global_store_b16 v[2:3], v5, off
.LBB504_715:
	s_mov_b32 s22, 0
.LBB504_716:
	s_delay_alu instid0(SALU_CYCLE_1)
	s_and_not1_b32 vcc_lo, exec_lo, s22
	s_cbranch_vccnz .LBB504_724
; %bb.717:
	v_and_b32_e32 v5, 0x7fffffff, v0
	v_mov_b32_e32 v6, 0x80
	s_mov_b32 s22, exec_lo
	s_delay_alu instid0(VALU_DEP_2)
	v_cmpx_gt_u32_e32 0x43800000, v5
	s_cbranch_execz .LBB504_723
; %bb.718:
	v_cmp_lt_u32_e32 vcc_lo, 0x3bffffff, v5
	s_mov_b32 s23, 0
                                        ; implicit-def: $vgpr5
	s_and_saveexec_b32 s24, vcc_lo
	s_delay_alu instid0(SALU_CYCLE_1)
	s_xor_b32 s24, exec_lo, s24
	s_cbranch_execz .LBB504_825
; %bb.719:
	v_bfe_u32 v5, v0, 20, 1
	s_mov_b32 s23, exec_lo
	s_delay_alu instid0(VALU_DEP_1) | instskip(NEXT) | instid1(VALU_DEP_1)
	v_add3_u32 v5, v0, v5, 0x487ffff
	v_lshrrev_b32_e32 v5, 20, v5
	s_or_saveexec_b32 s24, s24
                                        ; implicit-def: $sgpr25
	s_delay_alu instid0(SALU_CYCLE_1)
	s_xor_b32 exec_lo, exec_lo, s24
	s_cbranch_execnz .LBB504_826
.LBB504_720:
	s_or_b32 exec_lo, exec_lo, s24
	v_mov_b32_e32 v6, s25
	s_and_saveexec_b32 s24, s23
.LBB504_721:
	v_lshrrev_b32_e32 v6, 24, v0
	s_delay_alu instid0(VALU_DEP_1)
	v_and_or_b32 v6, 0x80, v6, v5
.LBB504_722:
	s_or_b32 exec_lo, exec_lo, s24
.LBB504_723:
	s_delay_alu instid0(SALU_CYCLE_1)
	s_or_b32 exec_lo, exec_lo, s22
	global_store_b8 v[2:3], v6, off
.LBB504_724:
	s_mov_b32 s22, -1
.LBB504_725:
	s_mov_b32 s23, 0
.LBB504_726:
	s_delay_alu instid0(SALU_CYCLE_1)
	s_and_b32 vcc_lo, exec_lo, s23
	s_cbranch_vccz .LBB504_767
; %bb.727:
	v_cmp_lt_i16_e32 vcc_lo, 22, v4
	s_mov_b32 s23, -1
	s_cbranch_vccz .LBB504_759
; %bb.728:
	v_cmp_gt_i16_e32 vcc_lo, 24, v4
	s_mov_b32 s22, -1
	s_cbranch_vccnz .LBB504_748
; %bb.729:
	v_cmp_lt_i16_e32 vcc_lo, 24, v4
	s_cbranch_vccz .LBB504_737
; %bb.730:
	v_and_b32_e32 v5, 0x7fffffff, v0
	v_mov_b32_e32 v6, 0x80
	s_mov_b32 s22, exec_lo
	s_delay_alu instid0(VALU_DEP_2)
	v_cmpx_gt_u32_e32 0x47800000, v5
	s_cbranch_execz .LBB504_736
; %bb.731:
	v_cmp_lt_u32_e32 vcc_lo, 0x37ffffff, v5
	s_mov_b32 s23, 0
                                        ; implicit-def: $vgpr5
	s_and_saveexec_b32 s24, vcc_lo
	s_delay_alu instid0(SALU_CYCLE_1)
	s_xor_b32 s24, exec_lo, s24
	s_cbranch_execz .LBB504_828
; %bb.732:
	v_bfe_u32 v5, v0, 21, 1
	s_mov_b32 s23, exec_lo
	s_delay_alu instid0(VALU_DEP_1) | instskip(NEXT) | instid1(VALU_DEP_1)
	v_add3_u32 v5, v0, v5, 0x88fffff
	v_lshrrev_b32_e32 v5, 21, v5
	s_or_saveexec_b32 s24, s24
                                        ; implicit-def: $sgpr25
	s_delay_alu instid0(SALU_CYCLE_1)
	s_xor_b32 exec_lo, exec_lo, s24
	s_cbranch_execnz .LBB504_829
.LBB504_733:
	s_or_b32 exec_lo, exec_lo, s24
	v_mov_b32_e32 v6, s25
	s_and_saveexec_b32 s24, s23
.LBB504_734:
	v_lshrrev_b32_e32 v6, 24, v0
	s_delay_alu instid0(VALU_DEP_1)
	v_and_or_b32 v6, 0x80, v6, v5
.LBB504_735:
	s_or_b32 exec_lo, exec_lo, s24
.LBB504_736:
	s_delay_alu instid0(SALU_CYCLE_1)
	s_or_b32 exec_lo, exec_lo, s22
	s_mov_b32 s22, 0
	global_store_b8 v[2:3], v6, off
.LBB504_737:
	s_and_b32 vcc_lo, exec_lo, s22
	s_cbranch_vccz .LBB504_747
; %bb.738:
	v_and_b32_e32 v6, 0x7fffffff, v0
	s_mov_b32 s22, exec_lo
                                        ; implicit-def: $vgpr5
	s_delay_alu instid0(VALU_DEP_1)
	v_cmpx_gt_u32_e32 0x43f00000, v6
	s_xor_b32 s22, exec_lo, s22
	s_cbranch_execz .LBB504_744
; %bb.739:
	s_mov_b32 s23, exec_lo
                                        ; implicit-def: $vgpr5
	v_cmpx_lt_u32_e32 0x3c7fffff, v6
	s_xor_b32 s23, exec_lo, s23
; %bb.740:
	v_bfe_u32 v5, v0, 20, 1
	s_delay_alu instid0(VALU_DEP_1) | instskip(NEXT) | instid1(VALU_DEP_1)
	v_add3_u32 v5, v0, v5, 0x407ffff
	v_and_b32_e32 v6, 0xff00000, v5
	v_lshrrev_b32_e32 v5, 20, v5
	s_delay_alu instid0(VALU_DEP_2) | instskip(NEXT) | instid1(VALU_DEP_2)
	v_cmp_ne_u32_e32 vcc_lo, 0x7f00000, v6
	v_cndmask_b32_e32 v5, 0x7e, v5, vcc_lo
; %bb.741:
	s_and_not1_saveexec_b32 s23, s23
; %bb.742:
	v_add_f32_e64 v5, 0x46800000, |v0|
; %bb.743:
	s_or_b32 exec_lo, exec_lo, s23
                                        ; implicit-def: $vgpr6
.LBB504_744:
	s_and_not1_saveexec_b32 s22, s22
; %bb.745:
	v_mov_b32_e32 v5, 0x7f
	v_cmp_lt_u32_e32 vcc_lo, 0x7f800000, v6
	s_delay_alu instid0(VALU_DEP_2)
	v_cndmask_b32_e32 v5, 0x7e, v5, vcc_lo
; %bb.746:
	s_or_b32 exec_lo, exec_lo, s22
	v_lshrrev_b32_e32 v6, 24, v0
	s_delay_alu instid0(VALU_DEP_1)
	v_and_or_b32 v5, 0x80, v6, v5
	global_store_b8 v[2:3], v5, off
.LBB504_747:
	s_mov_b32 s22, 0
.LBB504_748:
	s_delay_alu instid0(SALU_CYCLE_1)
	s_and_not1_b32 vcc_lo, exec_lo, s22
	s_cbranch_vccnz .LBB504_758
; %bb.749:
	v_and_b32_e32 v6, 0x7fffffff, v0
	s_mov_b32 s22, exec_lo
                                        ; implicit-def: $vgpr5
	s_delay_alu instid0(VALU_DEP_1)
	v_cmpx_gt_u32_e32 0x47800000, v6
	s_xor_b32 s22, exec_lo, s22
	s_cbranch_execz .LBB504_755
; %bb.750:
	s_mov_b32 s23, exec_lo
                                        ; implicit-def: $vgpr5
	v_cmpx_lt_u32_e32 0x387fffff, v6
	s_xor_b32 s23, exec_lo, s23
; %bb.751:
	v_bfe_u32 v5, v0, 21, 1
	s_delay_alu instid0(VALU_DEP_1) | instskip(NEXT) | instid1(VALU_DEP_1)
	v_add3_u32 v5, v0, v5, 0x80fffff
	v_lshrrev_b32_e32 v5, 21, v5
; %bb.752:
	s_and_not1_saveexec_b32 s23, s23
; %bb.753:
	v_add_f32_e64 v5, 0x43000000, |v0|
; %bb.754:
	s_or_b32 exec_lo, exec_lo, s23
                                        ; implicit-def: $vgpr6
.LBB504_755:
	s_and_not1_saveexec_b32 s22, s22
; %bb.756:
	v_mov_b32_e32 v5, 0x7f
	v_cmp_lt_u32_e32 vcc_lo, 0x7f800000, v6
	s_delay_alu instid0(VALU_DEP_2)
	v_cndmask_b32_e32 v5, 0x7c, v5, vcc_lo
; %bb.757:
	s_or_b32 exec_lo, exec_lo, s22
	v_lshrrev_b32_e32 v6, 24, v0
	s_delay_alu instid0(VALU_DEP_1)
	v_and_or_b32 v5, 0x80, v6, v5
	global_store_b8 v[2:3], v5, off
.LBB504_758:
	s_mov_b32 s23, 0
	s_mov_b32 s22, -1
.LBB504_759:
	s_and_not1_b32 vcc_lo, exec_lo, s23
	s_cbranch_vccnz .LBB504_767
; %bb.760:
	v_cmp_lt_i16_e32 vcc_lo, 14, v4
	s_mov_b32 s23, -1
	s_cbranch_vccz .LBB504_764
; %bb.761:
	v_cmp_eq_u16_e32 vcc_lo, 15, v4
	s_mov_b32 s0, -1
	s_cbranch_vccz .LBB504_763
; %bb.762:
	v_bfe_u32 v5, v0, 16, 1
	v_cmp_o_f32_e32 vcc_lo, v0, v0
	s_mov_b32 s22, -1
	s_mov_b32 s0, 0
	s_delay_alu instid0(VALU_DEP_2) | instskip(NEXT) | instid1(VALU_DEP_1)
	v_add3_u32 v5, v0, v5, 0x7fff
	v_lshrrev_b32_e32 v5, 16, v5
	s_delay_alu instid0(VALU_DEP_1)
	v_cndmask_b32_e32 v5, 0x7fc0, v5, vcc_lo
	global_store_b16 v[2:3], v5, off
.LBB504_763:
	s_mov_b32 s23, 0
.LBB504_764:
	s_delay_alu instid0(SALU_CYCLE_1)
	s_and_b32 vcc_lo, exec_lo, s23
	s_cbranch_vccz .LBB504_767
; %bb.765:
	v_cmp_eq_u16_e32 vcc_lo, 11, v4
	s_mov_b32 s0, -1
	s_cbranch_vccz .LBB504_767
; %bb.766:
	v_cmp_neq_f32_e32 vcc_lo, 0, v0
	v_cmp_neq_f32_e64 s0, 0, v1
	s_mov_b32 s22, -1
	s_delay_alu instid0(VALU_DEP_1) | instskip(NEXT) | instid1(SALU_CYCLE_1)
	s_or_b32 s0, vcc_lo, s0
	v_cndmask_b32_e64 v5, 0, 1, s0
	s_mov_b32 s0, 0
	global_store_b8 v[2:3], v5, off
.LBB504_767:
	s_mov_b32 s23, 0
.LBB504_768:
	s_delay_alu instid0(SALU_CYCLE_1)
	s_and_b32 vcc_lo, exec_lo, s23
	s_cbranch_vccz .LBB504_807
; %bb.769:
	v_cmp_gt_i16_e32 vcc_lo, 5, v4
	s_mov_b32 s22, -1
	s_cbranch_vccnz .LBB504_790
; %bb.770:
	v_cmp_gt_i16_e32 vcc_lo, 8, v4
	s_cbranch_vccnz .LBB504_780
; %bb.771:
	v_cmp_gt_i16_e32 vcc_lo, 9, v4
	s_cbranch_vccnz .LBB504_777
; %bb.772:
	v_cmp_lt_i16_e32 vcc_lo, 9, v4
	s_cbranch_vccz .LBB504_774
; %bb.773:
	v_cvt_f64_f32_e32 v[5:6], v0
	v_cvt_f64_f32_e32 v[7:8], v1
	s_mov_b32 s22, 0
	global_store_b128 v[2:3], v[5:8], off
.LBB504_774:
	s_and_not1_b32 vcc_lo, exec_lo, s22
	s_cbranch_vccnz .LBB504_776
; %bb.775:
	global_store_b64 v[2:3], v[0:1], off
.LBB504_776:
	s_mov_b32 s22, 0
.LBB504_777:
	s_delay_alu instid0(SALU_CYCLE_1)
	s_and_not1_b32 vcc_lo, exec_lo, s22
	s_cbranch_vccnz .LBB504_779
; %bb.778:
	v_cvt_f16_f32_e32 v1, v1
	v_cvt_f16_f32_e32 v5, v0
	s_delay_alu instid0(VALU_DEP_2) | instskip(NEXT) | instid1(VALU_DEP_2)
	v_lshlrev_b32_e32 v1, 16, v1
	v_and_b32_e32 v5, 0xffff, v5
	s_delay_alu instid0(VALU_DEP_1)
	v_or_b32_e32 v1, v1, v5
	global_store_b32 v[2:3], v1, off
.LBB504_779:
	s_mov_b32 s22, 0
.LBB504_780:
	s_delay_alu instid0(SALU_CYCLE_1)
	s_and_not1_b32 vcc_lo, exec_lo, s22
	s_cbranch_vccnz .LBB504_789
; %bb.781:
	v_cmp_gt_i16_e32 vcc_lo, 6, v4
	s_mov_b32 s22, -1
	s_cbranch_vccnz .LBB504_787
; %bb.782:
	v_cmp_lt_i16_e32 vcc_lo, 6, v4
	s_cbranch_vccz .LBB504_784
; %bb.783:
	v_cvt_f64_f32_e32 v[5:6], v0
	s_mov_b32 s22, 0
	global_store_b64 v[2:3], v[5:6], off
.LBB504_784:
	s_and_not1_b32 vcc_lo, exec_lo, s22
	s_cbranch_vccnz .LBB504_786
; %bb.785:
	global_store_b32 v[2:3], v0, off
.LBB504_786:
	s_mov_b32 s22, 0
.LBB504_787:
	s_delay_alu instid0(SALU_CYCLE_1)
	s_and_not1_b32 vcc_lo, exec_lo, s22
	s_cbranch_vccnz .LBB504_789
; %bb.788:
	v_cvt_f16_f32_e32 v1, v0
	global_store_b16 v[2:3], v1, off
.LBB504_789:
	s_mov_b32 s22, 0
.LBB504_790:
	s_delay_alu instid0(SALU_CYCLE_1)
	s_and_not1_b32 vcc_lo, exec_lo, s22
	s_cbranch_vccnz .LBB504_806
; %bb.791:
	v_cmp_gt_i16_e32 vcc_lo, 2, v4
	s_mov_b32 s22, -1
	s_cbranch_vccnz .LBB504_801
; %bb.792:
	v_cmp_gt_i16_e32 vcc_lo, 3, v4
	s_cbranch_vccnz .LBB504_798
; %bb.793:
	v_cmp_lt_i16_e32 vcc_lo, 3, v4
	s_cbranch_vccz .LBB504_795
; %bb.794:
	v_trunc_f32_e32 v1, v0
	s_mov_b32 s22, 0
	s_delay_alu instid0(VALU_DEP_1) | instskip(NEXT) | instid1(VALU_DEP_1)
	v_mul_f32_e64 v5, 0x2f800000, |v1|
	v_floor_f32_e32 v5, v5
	s_delay_alu instid0(VALU_DEP_1) | instskip(SKIP_2) | instid1(VALU_DEP_3)
	v_fma_f32 v6, 0xcf800000, v5, |v1|
	v_ashrrev_i32_e32 v1, 31, v1
	v_cvt_u32_f32_e32 v5, v5
	v_cvt_u32_f32_e32 v6, v6
	s_delay_alu instid0(VALU_DEP_2) | instskip(NEXT) | instid1(VALU_DEP_2)
	v_xor_b32_e32 v7, v5, v1
	v_xor_b32_e32 v6, v6, v1
	s_delay_alu instid0(VALU_DEP_1) | instskip(NEXT) | instid1(VALU_DEP_3)
	v_sub_co_u32 v5, vcc_lo, v6, v1
	v_sub_co_ci_u32_e32 v6, vcc_lo, v7, v1, vcc_lo
	global_store_b64 v[2:3], v[5:6], off
.LBB504_795:
	s_and_not1_b32 vcc_lo, exec_lo, s22
	s_cbranch_vccnz .LBB504_797
; %bb.796:
	v_cvt_i32_f32_e32 v1, v0
	global_store_b32 v[2:3], v1, off
.LBB504_797:
	s_mov_b32 s22, 0
.LBB504_798:
	s_delay_alu instid0(SALU_CYCLE_1)
	s_and_not1_b32 vcc_lo, exec_lo, s22
	s_cbranch_vccnz .LBB504_800
; %bb.799:
	v_cvt_i32_f32_e32 v1, v0
	global_store_b16 v[2:3], v1, off
.LBB504_800:
	s_mov_b32 s22, 0
.LBB504_801:
	s_delay_alu instid0(SALU_CYCLE_1)
	s_and_not1_b32 vcc_lo, exec_lo, s22
	s_cbranch_vccnz .LBB504_806
; %bb.802:
	v_cmp_lt_i16_e32 vcc_lo, 0, v4
	s_mov_b32 s22, -1
	s_cbranch_vccz .LBB504_804
; %bb.803:
	v_cvt_i32_f32_e32 v1, v0
	s_mov_b32 s22, 0
	global_store_b8 v[2:3], v1, off
.LBB504_804:
	s_and_not1_b32 vcc_lo, exec_lo, s22
	s_cbranch_vccnz .LBB504_806
; %bb.805:
	v_trunc_f32_e32 v0, v0
	s_delay_alu instid0(VALU_DEP_1) | instskip(NEXT) | instid1(VALU_DEP_1)
	v_mul_f32_e64 v1, 0x2f800000, |v0|
	v_floor_f32_e32 v1, v1
	s_delay_alu instid0(VALU_DEP_1) | instskip(SKIP_1) | instid1(VALU_DEP_2)
	v_fma_f32 v1, 0xcf800000, v1, |v0|
	v_ashrrev_i32_e32 v0, 31, v0
	v_cvt_u32_f32_e32 v1, v1
	s_delay_alu instid0(VALU_DEP_1) | instskip(NEXT) | instid1(VALU_DEP_1)
	v_xor_b32_e32 v1, v1, v0
	v_sub_nc_u32_e32 v0, v1, v0
	global_store_b8 v[2:3], v0, off
.LBB504_806:
	s_mov_b32 s22, -1
.LBB504_807:
	s_delay_alu instid0(SALU_CYCLE_1)
	s_and_not1_b32 vcc_lo, exec_lo, s22
	s_cbranch_vccnz .LBB504_809
; %bb.808:
	v_add_nc_u32_e32 v10, 0x80, v10
	s_mov_b32 s23, -1
	s_branch .LBB504_811
.LBB504_809:
	s_mov_b32 s23, 0
.LBB504_810:
                                        ; implicit-def: $vgpr10
.LBB504_811:
	s_and_not1_b32 s22, s18, exec_lo
	s_and_b32 s0, s0, exec_lo
	s_and_not1_b32 s24, s17, exec_lo
	s_and_b32 s21, s21, exec_lo
	s_or_b32 s22, s22, s0
	s_or_b32 s21, s24, s21
	s_or_not1_b32 s0, s23, exec_lo
.LBB504_812:
	s_or_b32 exec_lo, exec_lo, s20
	s_mov_b32 s23, 0
	s_mov_b32 s24, 0
	;; [unrolled: 1-line block ×3, first 2 shown]
                                        ; implicit-def: $vgpr0_vgpr1
                                        ; implicit-def: $vgpr5
	s_and_saveexec_b32 s20, s0
	s_cbranch_execz .LBB504_900
; %bb.813:
	v_cmp_gt_i32_e32 vcc_lo, s14, v10
	s_mov_b32 s0, 0
	s_mov_b32 s23, s21
                                        ; implicit-def: $vgpr0_vgpr1
                                        ; implicit-def: $vgpr5
	s_and_saveexec_b32 s14, vcc_lo
	s_cbranch_execz .LBB504_899
; %bb.814:
	v_mul_lo_u32 v0, v10, s9
	v_cmp_gt_i16_e32 vcc_lo, 11, v11
	s_delay_alu instid0(VALU_DEP_2) | instskip(SKIP_1) | instid1(VALU_DEP_1)
	v_ashrrev_i32_e32 v1, 31, v0
	v_add_co_u32 v0, s0, s6, v0
	v_add_co_ci_u32_e64 v1, s0, s7, v1, s0
	s_cbranch_vccnz .LBB504_821
; %bb.815:
	v_cmp_lt_i16_e32 vcc_lo, 25, v11
	s_mov_b32 s23, 0
	s_cbranch_vccz .LBB504_822
; %bb.816:
	v_cmp_lt_i16_e32 vcc_lo, 28, v11
	s_cbranch_vccz .LBB504_823
; %bb.817:
	v_cmp_lt_i16_e32 vcc_lo, 43, v11
	;; [unrolled: 3-line block ×3, first 2 shown]
	s_cbranch_vccz .LBB504_827
; %bb.819:
	v_cmp_eq_u16_e32 vcc_lo, 46, v11
	s_cbranch_vccz .LBB504_830
; %bb.820:
	global_load_b32 v2, v[0:1], off
	s_mov_b32 s0, 0
	s_mov_b32 s24, -1
	s_waitcnt vmcnt(0)
	v_and_b32_e32 v5, 0xffff0000, v2
	v_lshlrev_b32_e32 v4, 16, v2
	s_branch .LBB504_832
.LBB504_821:
	s_mov_b32 s26, -1
	s_mov_b32 s23, 0
	s_mov_b32 s0, s21
                                        ; implicit-def: $vgpr5
	s_branch .LBB504_898
.LBB504_822:
	s_mov_b32 s25, -1
	s_mov_b32 s0, s21
                                        ; implicit-def: $vgpr5
	s_branch .LBB504_865
.LBB504_823:
	s_mov_b32 s25, -1
	s_mov_b32 s0, s21
                                        ; implicit-def: $vgpr5
	s_branch .LBB504_844
.LBB504_824:
	s_mov_b32 s25, -1
	s_mov_b32 s0, s21
                                        ; implicit-def: $vgpr5
	s_branch .LBB504_838
.LBB504_825:
	s_or_saveexec_b32 s24, s24
                                        ; implicit-def: $sgpr25
	s_delay_alu instid0(SALU_CYCLE_1)
	s_xor_b32 exec_lo, exec_lo, s24
	s_cbranch_execz .LBB504_720
.LBB504_826:
	v_add_f32_e64 v5, 0x46000000, |v0|
	s_and_not1_b32 s23, s23, exec_lo
	s_mov_b32 s25, 0
	s_delay_alu instid0(VALU_DEP_1) | instskip(NEXT) | instid1(VALU_DEP_1)
	v_and_b32_e32 v5, 0xff, v5
	v_cmp_ne_u32_e32 vcc_lo, 0, v5
	s_and_b32 s26, vcc_lo, exec_lo
	s_delay_alu instid0(SALU_CYCLE_1)
	s_or_b32 s23, s23, s26
	s_or_b32 exec_lo, exec_lo, s24
	v_mov_b32_e32 v6, s25
	s_and_saveexec_b32 s24, s23
	s_cbranch_execnz .LBB504_721
	s_branch .LBB504_722
.LBB504_827:
	s_mov_b32 s25, -1
	s_mov_b32 s0, s21
	s_branch .LBB504_831
.LBB504_828:
	s_or_saveexec_b32 s24, s24
                                        ; implicit-def: $sgpr25
	s_delay_alu instid0(SALU_CYCLE_1)
	s_xor_b32 exec_lo, exec_lo, s24
	s_cbranch_execz .LBB504_733
.LBB504_829:
	v_add_f32_e64 v5, 0x42800000, |v0|
	s_and_not1_b32 s23, s23, exec_lo
	s_mov_b32 s25, 0
	s_delay_alu instid0(VALU_DEP_1) | instskip(NEXT) | instid1(VALU_DEP_1)
	v_and_b32_e32 v5, 0xff, v5
	v_cmp_ne_u32_e32 vcc_lo, 0, v5
	s_and_b32 s26, vcc_lo, exec_lo
	s_delay_alu instid0(SALU_CYCLE_1)
	s_or_b32 s23, s23, s26
	s_or_b32 exec_lo, exec_lo, s24
	v_mov_b32_e32 v6, s25
	s_and_saveexec_b32 s24, s23
	s_cbranch_execnz .LBB504_734
	s_branch .LBB504_735
.LBB504_830:
	s_mov_b32 s0, -1
.LBB504_831:
                                        ; implicit-def: $vgpr5
.LBB504_832:
	s_and_b32 vcc_lo, exec_lo, s25
	s_cbranch_vccz .LBB504_837
; %bb.833:
	v_cmp_eq_u16_e32 vcc_lo, 44, v11
	s_cbranch_vccz .LBB504_835
; %bb.834:
	global_load_u8 v2, v[0:1], off
	s_mov_b32 s0, 0
	s_mov_b32 s24, -1
	s_waitcnt vmcnt(0)
	v_lshlrev_b32_e32 v3, 23, v2
	v_cmp_ne_u32_e32 vcc_lo, 0xff, v2
	s_delay_alu instid0(VALU_DEP_2) | instskip(SKIP_1) | instid1(VALU_DEP_2)
	v_cndmask_b32_e32 v3, 0x7f800001, v3, vcc_lo
	v_cmp_ne_u32_e32 vcc_lo, 0, v2
	v_cndmask_b32_e32 v4, 0x400000, v3, vcc_lo
	s_branch .LBB504_836
.LBB504_835:
	s_mov_b32 s0, -1
                                        ; implicit-def: $vgpr4
.LBB504_836:
	s_delay_alu instid0(SALU_CYCLE_1)
	v_mov_b32_e32 v5, s0
.LBB504_837:
	s_mov_b32 s25, 0
.LBB504_838:
	s_delay_alu instid0(SALU_CYCLE_1)
	s_and_b32 vcc_lo, exec_lo, s25
	s_cbranch_vccz .LBB504_843
; %bb.839:
	v_cmp_eq_u16_e32 vcc_lo, 29, v11
	s_cbranch_vccz .LBB504_841
; %bb.840:
	global_load_b64 v[2:3], v[0:1], off
	s_mov_b32 s0, 0
	s_mov_b32 s24, -1
	s_mov_b32 s25, 0
	s_waitcnt vmcnt(0)
	v_clz_i32_u32_e32 v4, v3
	s_delay_alu instid0(VALU_DEP_1) | instskip(NEXT) | instid1(VALU_DEP_1)
	v_min_u32_e32 v4, 32, v4
	v_lshlrev_b64 v[2:3], v4, v[2:3]
	s_delay_alu instid0(VALU_DEP_1) | instskip(NEXT) | instid1(VALU_DEP_1)
	v_min_u32_e32 v2, 1, v2
	v_or_b32_e32 v2, v3, v2
	v_sub_nc_u32_e32 v3, 32, v4
	s_delay_alu instid0(VALU_DEP_2) | instskip(NEXT) | instid1(VALU_DEP_1)
	v_cvt_f32_u32_e32 v2, v2
	v_ldexp_f32 v4, v2, v3
	s_branch .LBB504_842
.LBB504_841:
	s_mov_b32 s0, -1
                                        ; implicit-def: $sgpr25
                                        ; implicit-def: $vgpr4
.LBB504_842:
	v_mov_b32_e32 v5, s25
.LBB504_843:
	s_mov_b32 s25, 0
.LBB504_844:
	s_delay_alu instid0(SALU_CYCLE_1)
	s_and_b32 vcc_lo, exec_lo, s25
	s_cbranch_vccz .LBB504_864
; %bb.845:
	v_cmp_gt_i16_e32 vcc_lo, 27, v11
	s_cbranch_vccnz .LBB504_848
; %bb.846:
	v_cmp_lt_i16_e32 vcc_lo, 27, v11
	s_cbranch_vccz .LBB504_849
; %bb.847:
	global_load_b32 v2, v[0:1], off
	s_mov_b32 s25, 0
	s_mov_b32 s24, 0
	s_waitcnt vmcnt(0)
	v_cvt_f32_u32_e32 v4, v2
	s_branch .LBB504_850
.LBB504_848:
	s_mov_b32 s25, -1
                                        ; implicit-def: $sgpr24
                                        ; implicit-def: $vgpr4
	s_branch .LBB504_853
.LBB504_849:
	s_mov_b32 s25, -1
                                        ; implicit-def: $sgpr24
                                        ; implicit-def: $vgpr4
.LBB504_850:
	s_delay_alu instid0(SALU_CYCLE_1)
	s_and_not1_b32 vcc_lo, exec_lo, s25
	s_cbranch_vccnz .LBB504_852
; %bb.851:
	global_load_u16 v2, v[0:1], off
	s_mov_b32 s24, 0
	s_waitcnt vmcnt(0)
	v_cvt_f32_u32_e32 v4, v2
.LBB504_852:
	s_mov_b32 s25, 0
.LBB504_853:
	v_mov_b32_e32 v5, s24
	s_and_not1_b32 vcc_lo, exec_lo, s25
	s_cbranch_vccnz .LBB504_863
; %bb.854:
	global_load_u8 v2, v[0:1], off
	s_mov_b32 s24, 0
	s_mov_b32 s27, exec_lo
                                        ; implicit-def: $sgpr26
                                        ; implicit-def: $sgpr25
	s_waitcnt vmcnt(0)
	v_cmpx_lt_i16_e32 0x7f, v2
	s_xor_b32 s27, exec_lo, s27
	s_cbranch_execz .LBB504_858
; %bb.855:
	s_mov_b32 s24, -1
	s_mov_b32 s28, exec_lo
                                        ; implicit-def: $sgpr26
                                        ; implicit-def: $sgpr25
	v_cmpx_eq_u16_e32 0x80, v2
; %bb.856:
	s_mov_b32 s25, 0x7f800001
	s_mov_b32 s26, 0
	s_xor_b32 s24, exec_lo, -1
; %bb.857:
	s_or_b32 exec_lo, exec_lo, s28
	s_delay_alu instid0(SALU_CYCLE_1)
	s_and_b32 s24, s24, exec_lo
.LBB504_858:
	s_or_saveexec_b32 s27, s27
	v_dual_mov_b32 v5, s26 :: v_dual_mov_b32 v4, s25
	s_xor_b32 exec_lo, exec_lo, s27
; %bb.859:
	v_cmp_ne_u16_e32 vcc_lo, 0, v2
	v_dual_mov_b32 v5, 0 :: v_dual_mov_b32 v4, 0
	s_and_not1_b32 s24, s24, exec_lo
	s_and_b32 s25, vcc_lo, exec_lo
	s_delay_alu instid0(SALU_CYCLE_1)
	s_or_b32 s24, s24, s25
; %bb.860:
	s_or_b32 exec_lo, exec_lo, s27
	s_and_saveexec_b32 s25, s24
	s_cbranch_execz .LBB504_862
; %bb.861:
	v_and_b32_e32 v3, 0xffff, v2
	v_lshlrev_b32_e32 v2, 24, v2
	s_delay_alu instid0(VALU_DEP_2) | instskip(NEXT) | instid1(VALU_DEP_2)
	v_and_b32_e32 v4, 7, v3
	v_and_b32_e32 v2, 0x80000000, v2
	s_delay_alu instid0(VALU_DEP_2) | instskip(NEXT) | instid1(VALU_DEP_1)
	v_clz_i32_u32_e32 v5, v4
	v_min_u32_e32 v5, 32, v5
	s_delay_alu instid0(VALU_DEP_1) | instskip(SKIP_1) | instid1(VALU_DEP_2)
	v_subrev_nc_u32_e32 v6, 28, v5
	v_sub_nc_u32_e32 v5, 29, v5
	v_lshlrev_b32_e32 v6, v6, v3
	v_bfe_u32 v3, v3, 3, 4
	s_delay_alu instid0(VALU_DEP_1) | instskip(NEXT) | instid1(VALU_DEP_4)
	v_cmp_eq_u32_e32 vcc_lo, 0, v3
	v_cndmask_b32_e32 v3, v3, v5, vcc_lo
	s_delay_alu instid0(VALU_DEP_4) | instskip(NEXT) | instid1(VALU_DEP_2)
	v_dual_mov_b32 v5, 0 :: v_dual_and_b32 v6, 7, v6
	v_lshl_add_u32 v3, v3, 23, 0x3b800000
	s_delay_alu instid0(VALU_DEP_2) | instskip(NEXT) | instid1(VALU_DEP_1)
	v_cndmask_b32_e32 v4, v4, v6, vcc_lo
	v_lshlrev_b32_e32 v4, 20, v4
	s_delay_alu instid0(VALU_DEP_1)
	v_or3_b32 v4, v2, v3, v4
.LBB504_862:
	s_or_b32 exec_lo, exec_lo, s25
.LBB504_863:
	s_mov_b32 s24, -1
.LBB504_864:
	s_mov_b32 s25, 0
.LBB504_865:
	s_delay_alu instid0(SALU_CYCLE_1)
	s_and_b32 vcc_lo, exec_lo, s25
	s_cbranch_vccz .LBB504_897
; %bb.866:
	v_cmp_lt_i16_e32 vcc_lo, 22, v11
	s_cbranch_vccz .LBB504_878
; %bb.867:
	v_cmp_gt_i16_e32 vcc_lo, 24, v11
	s_cbranch_vccnz .LBB504_879
; %bb.868:
	v_cmp_lt_i16_e32 vcc_lo, 24, v11
	s_cbranch_vccz .LBB504_880
; %bb.869:
	global_load_u8 v2, v[0:1], off
	s_mov_b32 s26, exec_lo
                                        ; implicit-def: $sgpr25
                                        ; implicit-def: $sgpr24
	s_waitcnt vmcnt(0)
	v_cmpx_lt_i16_e32 0x7f, v2
	s_xor_b32 s26, exec_lo, s26
	s_cbranch_execz .LBB504_873
; %bb.870:
	s_mov_b32 s23, -1
	s_mov_b32 s27, exec_lo
                                        ; implicit-def: $sgpr25
                                        ; implicit-def: $sgpr24
	v_cmpx_eq_u16_e32 0x80, v2
; %bb.871:
	s_mov_b32 s24, 0x7f800001
	s_mov_b32 s25, 0
	s_xor_b32 s23, exec_lo, -1
; %bb.872:
	s_or_b32 exec_lo, exec_lo, s27
	s_delay_alu instid0(SALU_CYCLE_1)
	s_and_b32 s23, s23, exec_lo
.LBB504_873:
	s_or_saveexec_b32 s26, s26
	v_dual_mov_b32 v5, s25 :: v_dual_mov_b32 v4, s24
	s_xor_b32 exec_lo, exec_lo, s26
; %bb.874:
	v_cmp_ne_u16_e32 vcc_lo, 0, v2
	v_dual_mov_b32 v5, 0 :: v_dual_mov_b32 v4, 0
	s_and_not1_b32 s23, s23, exec_lo
	s_and_b32 s24, vcc_lo, exec_lo
	s_delay_alu instid0(SALU_CYCLE_1)
	s_or_b32 s23, s23, s24
; %bb.875:
	s_or_b32 exec_lo, exec_lo, s26
	s_and_saveexec_b32 s24, s23
	s_cbranch_execz .LBB504_877
; %bb.876:
	v_and_b32_e32 v3, 0xffff, v2
	v_lshlrev_b32_e32 v2, 24, v2
	s_delay_alu instid0(VALU_DEP_2) | instskip(NEXT) | instid1(VALU_DEP_2)
	v_and_b32_e32 v4, 3, v3
	v_and_b32_e32 v2, 0x80000000, v2
	s_delay_alu instid0(VALU_DEP_2) | instskip(NEXT) | instid1(VALU_DEP_1)
	v_clz_i32_u32_e32 v5, v4
	v_min_u32_e32 v5, 32, v5
	s_delay_alu instid0(VALU_DEP_1) | instskip(SKIP_1) | instid1(VALU_DEP_2)
	v_subrev_nc_u32_e32 v6, 29, v5
	v_sub_nc_u32_e32 v5, 30, v5
	v_lshlrev_b32_e32 v6, v6, v3
	v_bfe_u32 v3, v3, 2, 5
	s_delay_alu instid0(VALU_DEP_1) | instskip(NEXT) | instid1(VALU_DEP_4)
	v_cmp_eq_u32_e32 vcc_lo, 0, v3
	v_cndmask_b32_e32 v3, v3, v5, vcc_lo
	s_delay_alu instid0(VALU_DEP_4) | instskip(NEXT) | instid1(VALU_DEP_2)
	v_dual_mov_b32 v5, 0 :: v_dual_and_b32 v6, 3, v6
	v_lshl_add_u32 v3, v3, 23, 0x37800000
	s_delay_alu instid0(VALU_DEP_2) | instskip(NEXT) | instid1(VALU_DEP_1)
	v_cndmask_b32_e32 v4, v4, v6, vcc_lo
	v_lshlrev_b32_e32 v4, 21, v4
	s_delay_alu instid0(VALU_DEP_1)
	v_or3_b32 v4, v2, v3, v4
.LBB504_877:
	s_or_b32 exec_lo, exec_lo, s24
	s_mov_b32 s23, 0
	s_branch .LBB504_881
.LBB504_878:
	s_mov_b32 s23, -1
                                        ; implicit-def: $vgpr5
	s_branch .LBB504_887
.LBB504_879:
	s_mov_b32 s23, -1
                                        ; implicit-def: $vgpr5
	s_branch .LBB504_884
.LBB504_880:
	s_mov_b32 s23, -1
                                        ; implicit-def: $vgpr5
.LBB504_881:
	s_delay_alu instid0(SALU_CYCLE_1)
	s_and_b32 vcc_lo, exec_lo, s23
	s_cbranch_vccz .LBB504_883
; %bb.882:
	global_load_u8 v2, v[0:1], off
	s_waitcnt vmcnt(0)
	v_lshlrev_b32_e32 v2, 24, v2
	s_delay_alu instid0(VALU_DEP_1) | instskip(NEXT) | instid1(VALU_DEP_1)
	v_and_b32_e32 v3, 0x7f000000, v2
	v_clz_i32_u32_e32 v4, v3
	v_add_nc_u32_e32 v6, 0x1000000, v3
	v_cmp_ne_u32_e32 vcc_lo, 0, v3
	s_delay_alu instid0(VALU_DEP_3) | instskip(NEXT) | instid1(VALU_DEP_1)
	v_min_u32_e32 v4, 32, v4
	v_sub_nc_u32_e64 v4, v4, 4 clamp
	s_delay_alu instid0(VALU_DEP_1) | instskip(SKIP_1) | instid1(VALU_DEP_2)
	v_lshlrev_b32_e32 v5, v4, v3
	v_lshlrev_b32_e32 v4, 23, v4
	v_lshrrev_b32_e32 v5, 4, v5
	s_delay_alu instid0(VALU_DEP_1) | instskip(SKIP_1) | instid1(VALU_DEP_2)
	v_sub_nc_u32_e32 v4, v5, v4
	v_ashrrev_i32_e32 v5, 8, v6
	v_add_nc_u32_e32 v4, 0x3c000000, v4
	s_delay_alu instid0(VALU_DEP_1) | instskip(SKIP_1) | instid1(VALU_DEP_2)
	v_and_or_b32 v4, 0x7f800000, v5, v4
	v_mov_b32_e32 v5, 0
	v_cndmask_b32_e32 v3, 0, v4, vcc_lo
	s_delay_alu instid0(VALU_DEP_1)
	v_and_or_b32 v4, 0x80000000, v2, v3
.LBB504_883:
	s_mov_b32 s23, 0
.LBB504_884:
	s_delay_alu instid0(SALU_CYCLE_1)
	s_and_not1_b32 vcc_lo, exec_lo, s23
	s_cbranch_vccnz .LBB504_886
; %bb.885:
	global_load_u8 v2, v[0:1], off
	s_waitcnt vmcnt(0)
	v_lshlrev_b32_e32 v3, 25, v2
	v_lshlrev_b16 v2, 8, v2
	s_delay_alu instid0(VALU_DEP_2) | instskip(NEXT) | instid1(VALU_DEP_2)
	v_lshrrev_b32_e32 v4, 4, v3
	v_and_or_b32 v5, 0x7f00, v2, 0.5
	v_bfe_i32 v2, v2, 0, 16
	s_delay_alu instid0(VALU_DEP_3) | instskip(NEXT) | instid1(VALU_DEP_1)
	v_or_b32_e32 v4, 0x70000000, v4
	v_dual_add_f32 v5, -0.5, v5 :: v_dual_mul_f32 v4, 0x7800000, v4
	v_cmp_gt_u32_e32 vcc_lo, 0x8000000, v3
	s_delay_alu instid0(VALU_DEP_2) | instskip(SKIP_1) | instid1(VALU_DEP_2)
	v_cndmask_b32_e32 v3, v4, v5, vcc_lo
	v_mov_b32_e32 v5, 0
	v_and_or_b32 v4, 0x80000000, v2, v3
.LBB504_886:
	s_mov_b32 s23, 0
	s_mov_b32 s24, -1
.LBB504_887:
	s_and_not1_b32 vcc_lo, exec_lo, s23
	s_mov_b32 s23, 0
	s_cbranch_vccnz .LBB504_897
; %bb.888:
	v_cmp_lt_i16_e32 vcc_lo, 14, v11
	s_cbranch_vccz .LBB504_891
; %bb.889:
	v_cmp_eq_u16_e32 vcc_lo, 15, v11
	s_cbranch_vccz .LBB504_892
; %bb.890:
	global_load_u16 v2, v[0:1], off
	s_mov_b32 s0, 0
	s_mov_b32 s24, -1
	s_mov_b32 s25, 0
	s_waitcnt vmcnt(0)
	v_lshlrev_b32_e32 v4, 16, v2
	s_branch .LBB504_894
.LBB504_891:
	s_mov_b32 s23, -1
	s_branch .LBB504_893
.LBB504_892:
	s_mov_b32 s0, -1
.LBB504_893:
                                        ; implicit-def: $sgpr25
                                        ; implicit-def: $vgpr4
.LBB504_894:
	s_and_b32 vcc_lo, exec_lo, s23
	s_mov_b32 s23, 0
	s_cbranch_vccz .LBB504_896
; %bb.895:
	v_cmp_ne_u16_e32 vcc_lo, 11, v11
	s_and_not1_b32 s0, s0, exec_lo
	s_mov_b32 s23, -1
                                        ; implicit-def: $vgpr4
	s_and_b32 s25, vcc_lo, exec_lo
	s_delay_alu instid0(SALU_CYCLE_1)
	s_or_b32 s0, s0, s25
                                        ; implicit-def: $sgpr25
.LBB504_896:
	v_mov_b32_e32 v5, s25
.LBB504_897:
	s_mov_b32 s26, 0
.LBB504_898:
	s_and_b32 s25, s24, exec_lo
	s_and_b32 s24, s26, exec_lo
	s_and_not1_b32 s26, s21, exec_lo
	s_and_b32 s27, s0, exec_lo
	s_and_b32 s0, s23, exec_lo
	s_or_b32 s23, s26, s27
.LBB504_899:
	s_or_b32 exec_lo, exec_lo, s14
	s_delay_alu instid0(SALU_CYCLE_1)
	s_and_not1_b32 s14, s21, exec_lo
	s_and_b32 s21, s23, exec_lo
	s_and_b32 s25, s25, exec_lo
	s_and_b32 s24, s24, exec_lo
	s_and_b32 s23, s0, exec_lo
	s_or_b32 s21, s14, s21
.LBB504_900:
	s_or_b32 exec_lo, exec_lo, s20
	s_delay_alu instid0(SALU_CYCLE_1)
	s_and_not1_b32 s0, s18, exec_lo
	s_and_b32 s14, s22, exec_lo
	s_and_b32 s22, s24, exec_lo
	s_or_b32 s18, s0, s14
	s_and_not1_b32 s14, s17, exec_lo
	s_and_b32 s17, s21, exec_lo
	s_and_b32 s0, s25, exec_lo
	;; [unrolled: 1-line block ×3, first 2 shown]
	s_or_b32 s17, s14, s17
.LBB504_901:
	s_or_b32 exec_lo, exec_lo, s19
	s_delay_alu instid0(SALU_CYCLE_1)
	s_and_not1_b32 s13, s13, exec_lo
	s_and_b32 s14, s18, exec_lo
	s_and_b32 s0, s0, exec_lo
	s_or_b32 s13, s13, s14
	s_and_not1_b32 s14, s15, exec_lo
	s_and_b32 s15, s17, exec_lo
	s_and_b32 s18, s22, exec_lo
	;; [unrolled: 1-line block ×3, first 2 shown]
	s_or_b32 s15, s14, s15
.LBB504_902:
	s_or_b32 exec_lo, exec_lo, s16
	s_mov_b32 s14, 0
	s_and_saveexec_b32 s16, s15
	s_cbranch_execnz .LBB504_914
; %bb.903:
	s_or_b32 exec_lo, exec_lo, s16
	s_and_saveexec_b32 s15, s17
	s_delay_alu instid0(SALU_CYCLE_1)
	s_xor_b32 s15, exec_lo, s15
	s_cbranch_execz .LBB504_905
.LBB504_904:
	global_load_u8 v2, v[0:1], off
	v_mov_b32_e32 v5, 0
	s_or_b32 s0, s0, exec_lo
	s_waitcnt vmcnt(0)
	v_cmp_ne_u16_e32 vcc_lo, 0, v2
	v_cndmask_b32_e64 v4, 0, 1.0, vcc_lo
.LBB504_905:
	s_or_b32 exec_lo, exec_lo, s15
	s_and_saveexec_b32 s15, s18
	s_cbranch_execz .LBB504_955
; %bb.906:
	v_cmp_gt_i16_e32 vcc_lo, 5, v11
	s_cbranch_vccnz .LBB504_911
; %bb.907:
	v_cmp_gt_i16_e32 vcc_lo, 8, v11
	s_cbranch_vccnz .LBB504_912
	;; [unrolled: 3-line block ×3, first 2 shown]
; %bb.909:
	v_cmp_lt_i16_e32 vcc_lo, 9, v11
	s_cbranch_vccz .LBB504_916
; %bb.910:
	global_load_b128 v[3:6], v[0:1], off
	s_mov_b32 s16, 0
	s_waitcnt vmcnt(0)
	v_cvt_f32_f64_e32 v4, v[3:4]
	v_cvt_f32_f64_e32 v5, v[5:6]
	s_branch .LBB504_917
.LBB504_911:
                                        ; implicit-def: $vgpr5
	s_branch .LBB504_935
.LBB504_912:
                                        ; implicit-def: $vgpr5
	s_branch .LBB504_923
.LBB504_913:
	s_mov_b32 s16, -1
                                        ; implicit-def: $vgpr5
	s_branch .LBB504_920
.LBB504_914:
	s_cbranch_execnz .LBB504_972
; %bb.915:
	s_mov_b32 s14, exec_lo
	s_and_not1_b32 s17, s17, exec_lo
                                        ; implicit-def: $vgpr5
	s_or_b32 exec_lo, exec_lo, s16
	s_and_saveexec_b32 s15, s17
	s_delay_alu instid0(SALU_CYCLE_1)
	s_xor_b32 s15, exec_lo, s15
	s_cbranch_execnz .LBB504_904
	s_branch .LBB504_905
.LBB504_916:
	s_mov_b32 s16, -1
                                        ; implicit-def: $vgpr5
.LBB504_917:
	s_delay_alu instid0(SALU_CYCLE_1)
	s_and_not1_b32 vcc_lo, exec_lo, s16
	s_cbranch_vccnz .LBB504_919
; %bb.918:
	global_load_b64 v[4:5], v[0:1], off
.LBB504_919:
	s_mov_b32 s16, 0
.LBB504_920:
	s_delay_alu instid0(SALU_CYCLE_1)
	s_and_not1_b32 vcc_lo, exec_lo, s16
	s_cbranch_vccnz .LBB504_922
; %bb.921:
	global_load_b32 v2, v[0:1], off
	s_waitcnt vmcnt(0)
	v_lshrrev_b32_e32 v3, 16, v2
	v_cvt_f32_f16_e32 v4, v2
	s_delay_alu instid0(VALU_DEP_2)
	v_cvt_f32_f16_e32 v5, v3
.LBB504_922:
	s_cbranch_execnz .LBB504_934
.LBB504_923:
	v_cmp_gt_i16_e32 vcc_lo, 6, v11
	s_cbranch_vccnz .LBB504_926
; %bb.924:
	v_cmp_lt_i16_e32 vcc_lo, 6, v11
	s_cbranch_vccz .LBB504_927
; %bb.925:
	global_load_b64 v[2:3], v[0:1], off
	s_mov_b32 s17, 0
	s_mov_b32 s16, 0
	s_waitcnt vmcnt(0)
	v_cvt_f32_f64_e32 v4, v[2:3]
	s_branch .LBB504_928
.LBB504_926:
	s_mov_b32 s17, -1
                                        ; implicit-def: $sgpr16
                                        ; implicit-def: $vgpr4
	s_branch .LBB504_931
.LBB504_927:
	s_mov_b32 s17, -1
                                        ; implicit-def: $sgpr16
                                        ; implicit-def: $vgpr4
.LBB504_928:
	s_delay_alu instid0(SALU_CYCLE_1)
	s_and_not1_b32 vcc_lo, exec_lo, s17
	s_cbranch_vccnz .LBB504_930
; %bb.929:
	global_load_b32 v4, v[0:1], off
	s_mov_b32 s16, 0
.LBB504_930:
	s_mov_b32 s17, 0
.LBB504_931:
	s_delay_alu instid0(SALU_CYCLE_1)
	s_and_not1_b32 vcc_lo, exec_lo, s17
	s_cbranch_vccnz .LBB504_933
; %bb.932:
	global_load_u16 v2, v[0:1], off
	s_mov_b32 s16, 0
	s_waitcnt vmcnt(0)
	v_cvt_f32_f16_e32 v4, v2
.LBB504_933:
	s_waitcnt vmcnt(0)
	v_mov_b32_e32 v5, s16
.LBB504_934:
	s_cbranch_execnz .LBB504_954
.LBB504_935:
	v_cmp_gt_i16_e32 vcc_lo, 2, v11
	s_cbranch_vccnz .LBB504_939
; %bb.936:
	v_cmp_gt_i16_e32 vcc_lo, 3, v11
	s_cbranch_vccnz .LBB504_940
; %bb.937:
	v_cmp_lt_i16_e32 vcc_lo, 3, v11
	s_cbranch_vccz .LBB504_941
; %bb.938:
	global_load_b64 v[2:3], v[0:1], off
	s_mov_b32 s17, 0
	s_mov_b32 s16, 0
	s_waitcnt vmcnt(0)
	v_xor_b32_e32 v4, v2, v3
	v_cls_i32_e32 v5, v3
	s_delay_alu instid0(VALU_DEP_2) | instskip(NEXT) | instid1(VALU_DEP_2)
	v_ashrrev_i32_e32 v4, 31, v4
	v_add_nc_u32_e32 v5, -1, v5
	s_delay_alu instid0(VALU_DEP_2) | instskip(NEXT) | instid1(VALU_DEP_1)
	v_add_nc_u32_e32 v4, 32, v4
	v_min_u32_e32 v4, v5, v4
	s_delay_alu instid0(VALU_DEP_1) | instskip(NEXT) | instid1(VALU_DEP_1)
	v_lshlrev_b64 v[2:3], v4, v[2:3]
	v_min_u32_e32 v2, 1, v2
	s_delay_alu instid0(VALU_DEP_1) | instskip(SKIP_1) | instid1(VALU_DEP_2)
	v_or_b32_e32 v2, v3, v2
	v_sub_nc_u32_e32 v3, 32, v4
	v_cvt_f32_i32_e32 v2, v2
	s_delay_alu instid0(VALU_DEP_1)
	v_ldexp_f32 v4, v2, v3
	s_branch .LBB504_942
.LBB504_939:
                                        ; implicit-def: $sgpr16
                                        ; implicit-def: $vgpr4
	s_branch .LBB504_948
.LBB504_940:
	s_mov_b32 s17, -1
                                        ; implicit-def: $sgpr16
                                        ; implicit-def: $vgpr4
	s_branch .LBB504_945
.LBB504_941:
	s_mov_b32 s17, -1
                                        ; implicit-def: $sgpr16
                                        ; implicit-def: $vgpr4
.LBB504_942:
	s_delay_alu instid0(SALU_CYCLE_1)
	s_and_not1_b32 vcc_lo, exec_lo, s17
	s_cbranch_vccnz .LBB504_944
; %bb.943:
	global_load_b32 v2, v[0:1], off
	s_mov_b32 s16, 0
	s_waitcnt vmcnt(0)
	v_cvt_f32_i32_e32 v4, v2
.LBB504_944:
	s_mov_b32 s17, 0
.LBB504_945:
	s_delay_alu instid0(SALU_CYCLE_1)
	s_and_not1_b32 vcc_lo, exec_lo, s17
	s_cbranch_vccnz .LBB504_947
; %bb.946:
	global_load_i16 v2, v[0:1], off
	s_mov_b32 s16, 0
	s_waitcnt vmcnt(0)
	v_cvt_f32_i32_e32 v4, v2
.LBB504_947:
	s_cbranch_execnz .LBB504_953
.LBB504_948:
	v_cmp_lt_i16_e32 vcc_lo, 0, v11
	s_mov_b32 s17, 0
	s_cbranch_vccz .LBB504_950
; %bb.949:
	global_load_i8 v2, v[0:1], off
	s_mov_b32 s16, 0
	s_waitcnt vmcnt(0)
	v_cvt_f32_i32_e32 v4, v2
	s_branch .LBB504_951
.LBB504_950:
	s_mov_b32 s17, -1
                                        ; implicit-def: $sgpr16
                                        ; implicit-def: $vgpr4
.LBB504_951:
	s_delay_alu instid0(SALU_CYCLE_1)
	s_and_not1_b32 vcc_lo, exec_lo, s17
	s_cbranch_vccnz .LBB504_953
; %bb.952:
	global_load_u8 v0, v[0:1], off
	s_mov_b32 s16, 0
	s_waitcnt vmcnt(0)
	v_cvt_f32_ubyte0_e32 v4, v0
.LBB504_953:
	s_waitcnt vmcnt(0)
	v_mov_b32_e32 v5, s16
.LBB504_954:
	s_or_b32 s0, s0, exec_lo
.LBB504_955:
	s_or_b32 exec_lo, exec_lo, s15
	s_mov_b32 s17, 0
	s_mov_b32 s16, 0
                                        ; implicit-def: $vgpr6
                                        ; implicit-def: $vgpr2_vgpr3
                                        ; implicit-def: $vgpr1
	s_and_saveexec_b32 s15, s0
	s_cbranch_execz .LBB504_1043
; %bb.956:
	v_mov_b32_e32 v0, s10
	s_mov_b32 s0, exec_lo
	s_waitcnt vmcnt(0)
	s_delay_alu instid0(VALU_DEP_2)
	v_cmpx_o_f32_e32 v4, v4
	s_cbranch_execz .LBB504_960
; %bb.957:
	v_mov_b32_e32 v0, s11
	s_mov_b32 s16, exec_lo
	v_cmpx_neq_f32_e32 0x7f800000, v4
; %bb.958:
	v_cmp_eq_f32_e32 vcc_lo, 0xff800000, v4
	v_cndmask_b32_e64 v0, v4, s2, vcc_lo
; %bb.959:
	s_or_b32 exec_lo, exec_lo, s16
.LBB504_960:
	s_delay_alu instid0(SALU_CYCLE_1) | instskip(SKIP_2) | instid1(VALU_DEP_4)
	s_or_b32 exec_lo, exec_lo, s0
	v_mov_b32_e32 v1, s10
	s_mov_b32 s0, exec_lo
	v_cmpx_o_f32_e32 v5, v5
	s_cbranch_execz .LBB504_964
; %bb.961:
	v_mov_b32_e32 v1, s11
	s_mov_b32 s16, exec_lo
	v_cmpx_neq_f32_e32 0x7f800000, v5
; %bb.962:
	v_cmp_eq_f32_e32 vcc_lo, 0xff800000, v5
	v_cndmask_b32_e64 v1, v5, s2, vcc_lo
; %bb.963:
	s_or_b32 exec_lo, exec_lo, s16
.LBB504_964:
	s_delay_alu instid0(SALU_CYCLE_1) | instskip(SKIP_2) | instid1(VALU_DEP_1)
	s_or_b32 exec_lo, exec_lo, s0
	v_mul_lo_u32 v2, v10, s8
	v_and_b32_e64 v6, 0xff, s3
	v_cmp_gt_i16_e32 vcc_lo, 11, v6
	s_delay_alu instid0(VALU_DEP_3) | instskip(SKIP_1) | instid1(VALU_DEP_1)
	v_ashrrev_i32_e32 v3, 31, v2
	v_add_co_u32 v2, s0, s4, v2
	v_add_co_ci_u32_e64 v3, s0, s5, v3, s0
	s_cbranch_vccnz .LBB504_971
; %bb.965:
	v_cmp_lt_i16_e32 vcc_lo, 25, v6
	s_mov_b32 s16, -1
	s_mov_b32 s0, s13
	s_cbranch_vccz .LBB504_1001
; %bb.966:
	v_cmp_lt_i16_e32 vcc_lo, 28, v6
	s_mov_b32 s0, s13
	s_cbranch_vccz .LBB504_985
; %bb.967:
	v_cmp_lt_i16_e32 vcc_lo, 43, v6
	;; [unrolled: 4-line block ×3, first 2 shown]
	s_mov_b32 s0, s13
	s_cbranch_vccz .LBB504_975
; %bb.969:
	v_cmp_eq_u16_e32 vcc_lo, 46, v6
	s_mov_b32 s0, -1
	s_cbranch_vccz .LBB504_974
; %bb.970:
	v_bfe_u32 v4, v1, 16, 1
	v_bfe_u32 v5, v0, 16, 1
	v_cmp_o_f32_e32 vcc_lo, v1, v1
	s_mov_b32 s0, 0
	s_mov_b32 s16, 0
	v_add3_u32 v4, v1, v4, 0x7fff
	v_add3_u32 v5, v0, v5, 0x7fff
	s_delay_alu instid0(VALU_DEP_2) | instskip(NEXT) | instid1(VALU_DEP_2)
	v_and_b32_e32 v4, 0xffff0000, v4
	v_lshrrev_b32_e32 v5, 16, v5
	s_delay_alu instid0(VALU_DEP_2) | instskip(SKIP_1) | instid1(VALU_DEP_3)
	v_cndmask_b32_e32 v4, 0x7fc00000, v4, vcc_lo
	v_cmp_o_f32_e32 vcc_lo, v0, v0
	v_cndmask_b32_e32 v5, 0x7fc0, v5, vcc_lo
	s_delay_alu instid0(VALU_DEP_1)
	v_or_b32_e32 v4, v4, v5
	global_store_b32 v[2:3], v4, off
	s_branch .LBB504_975
.LBB504_971:
	s_mov_b32 s16, -1
	s_mov_b32 s0, s13
	s_branch .LBB504_1042
.LBB504_972:
	s_trap 2
	s_sendmsg_rtn_b32 s0, sendmsg(MSG_RTN_GET_DOORBELL)
	s_mov_b32 ttmp2, m0
	s_waitcnt lgkmcnt(0)
	s_and_b32 s0, s0, 0x3ff
	s_delay_alu instid0(SALU_CYCLE_1) | instskip(NEXT) | instid1(SALU_CYCLE_1)
	s_bitset1_b32 s0, 10
	s_mov_b32 m0, s0
	s_sendmsg sendmsg(MSG_INTERRUPT)
	s_mov_b32 m0, ttmp2
.LBB504_973:                            ; =>This Inner Loop Header: Depth=1
	s_sethalt 5
	s_branch .LBB504_973
.LBB504_974:
	s_mov_b32 s16, 0
.LBB504_975:
	s_delay_alu instid0(SALU_CYCLE_1)
	s_and_b32 vcc_lo, exec_lo, s16
	s_cbranch_vccz .LBB504_980
; %bb.976:
	v_cmp_eq_u16_e32 vcc_lo, 44, v6
	s_mov_b32 s0, -1
	s_cbranch_vccz .LBB504_980
; %bb.977:
	v_bfe_u32 v5, v0, 23, 8
	v_mov_b32_e32 v4, 0xff
	s_mov_b32 s16, exec_lo
	s_delay_alu instid0(VALU_DEP_2)
	v_cmpx_ne_u32_e32 0xff, v5
; %bb.978:
	v_and_b32_e32 v4, 0x400000, v0
	v_and_or_b32 v5, 0x3fffff, v0, v5
	s_delay_alu instid0(VALU_DEP_2) | instskip(NEXT) | instid1(VALU_DEP_2)
	v_cmp_ne_u32_e32 vcc_lo, 0, v4
	v_cmp_ne_u32_e64 s0, 0, v5
	v_lshrrev_b32_e32 v4, 23, v0
	s_delay_alu instid0(VALU_DEP_2) | instskip(NEXT) | instid1(SALU_CYCLE_1)
	s_and_b32 s0, vcc_lo, s0
	v_cndmask_b32_e64 v5, 0, 1, s0
	s_delay_alu instid0(VALU_DEP_1)
	v_add_nc_u32_e32 v4, v4, v5
; %bb.979:
	s_or_b32 exec_lo, exec_lo, s16
	s_mov_b32 s0, 0
	global_store_b8 v[2:3], v4, off
.LBB504_980:
	s_mov_b32 s16, 0
.LBB504_981:
	s_delay_alu instid0(SALU_CYCLE_1)
	s_and_b32 vcc_lo, exec_lo, s16
	s_cbranch_vccz .LBB504_984
; %bb.982:
	v_cmp_eq_u16_e32 vcc_lo, 29, v6
	s_mov_b32 s0, -1
	s_cbranch_vccz .LBB504_984
; %bb.983:
	v_trunc_f32_e32 v4, v0
	s_mov_b32 s0, 0
	s_mov_b32 s16, 0
	s_delay_alu instid0(VALU_DEP_1) | instskip(NEXT) | instid1(VALU_DEP_1)
	v_mul_f32_e32 v5, 0x2f800000, v4
	v_floor_f32_e32 v5, v5
	s_delay_alu instid0(VALU_DEP_1) | instskip(SKIP_1) | instid1(VALU_DEP_2)
	v_fmamk_f32 v4, v5, 0xcf800000, v4
	v_cvt_u32_f32_e32 v5, v5
	v_cvt_u32_f32_e32 v4, v4
	global_store_b64 v[2:3], v[4:5], off
	s_branch .LBB504_985
.LBB504_984:
	s_mov_b32 s16, 0
.LBB504_985:
	s_delay_alu instid0(SALU_CYCLE_1)
	s_and_b32 vcc_lo, exec_lo, s16
	s_cbranch_vccz .LBB504_1000
; %bb.986:
	v_cmp_gt_i16_e32 vcc_lo, 27, v6
	s_mov_b32 s16, -1
	s_cbranch_vccnz .LBB504_992
; %bb.987:
	v_cmp_lt_i16_e32 vcc_lo, 27, v6
	v_cvt_u32_f32_e32 v4, v0
	s_cbranch_vccz .LBB504_989
; %bb.988:
	s_mov_b32 s16, 0
	global_store_b32 v[2:3], v4, off
.LBB504_989:
	s_and_not1_b32 vcc_lo, exec_lo, s16
	s_cbranch_vccnz .LBB504_991
; %bb.990:
	global_store_b16 v[2:3], v4, off
.LBB504_991:
	s_mov_b32 s16, 0
.LBB504_992:
	s_delay_alu instid0(SALU_CYCLE_1)
	s_and_not1_b32 vcc_lo, exec_lo, s16
	s_cbranch_vccnz .LBB504_1000
; %bb.993:
	v_and_b32_e32 v4, 0x7fffffff, v0
	v_mov_b32_e32 v5, 0x80
	s_mov_b32 s16, exec_lo
	s_delay_alu instid0(VALU_DEP_2)
	v_cmpx_gt_u32_e32 0x43800000, v4
	s_cbranch_execz .LBB504_999
; %bb.994:
	v_cmp_lt_u32_e32 vcc_lo, 0x3bffffff, v4
                                        ; implicit-def: $vgpr4
	s_and_saveexec_b32 s18, vcc_lo
	s_delay_alu instid0(SALU_CYCLE_1)
	s_xor_b32 s18, exec_lo, s18
	s_cbranch_execz .LBB504_1248
; %bb.995:
	v_bfe_u32 v4, v0, 20, 1
	s_mov_b32 s17, exec_lo
	s_delay_alu instid0(VALU_DEP_1) | instskip(NEXT) | instid1(VALU_DEP_1)
	v_add3_u32 v4, v0, v4, 0x487ffff
	v_lshrrev_b32_e32 v4, 20, v4
	s_or_saveexec_b32 s18, s18
                                        ; implicit-def: $sgpr19
	s_delay_alu instid0(SALU_CYCLE_1)
	s_xor_b32 exec_lo, exec_lo, s18
	s_cbranch_execnz .LBB504_1249
.LBB504_996:
	s_or_b32 exec_lo, exec_lo, s18
	v_mov_b32_e32 v5, s19
	s_and_saveexec_b32 s18, s17
.LBB504_997:
	v_lshrrev_b32_e32 v5, 24, v0
	s_delay_alu instid0(VALU_DEP_1)
	v_and_or_b32 v5, 0x80, v5, v4
.LBB504_998:
	s_or_b32 exec_lo, exec_lo, s18
.LBB504_999:
	s_delay_alu instid0(SALU_CYCLE_1)
	s_or_b32 exec_lo, exec_lo, s16
	global_store_b8 v[2:3], v5, off
.LBB504_1000:
	s_mov_b32 s16, 0
.LBB504_1001:
	s_delay_alu instid0(SALU_CYCLE_1)
	s_and_b32 vcc_lo, exec_lo, s16
	s_mov_b32 s16, 0
	s_cbranch_vccz .LBB504_1041
; %bb.1002:
	v_cmp_lt_i16_e32 vcc_lo, 22, v6
	s_mov_b32 s17, -1
	s_cbranch_vccz .LBB504_1034
; %bb.1003:
	v_cmp_gt_i16_e32 vcc_lo, 24, v6
	s_cbranch_vccnz .LBB504_1023
; %bb.1004:
	v_cmp_lt_i16_e32 vcc_lo, 24, v6
	s_cbranch_vccz .LBB504_1012
; %bb.1005:
	v_and_b32_e32 v4, 0x7fffffff, v0
	v_mov_b32_e32 v5, 0x80
	s_mov_b32 s17, exec_lo
	s_delay_alu instid0(VALU_DEP_2)
	v_cmpx_gt_u32_e32 0x47800000, v4
	s_cbranch_execz .LBB504_1011
; %bb.1006:
	v_cmp_lt_u32_e32 vcc_lo, 0x37ffffff, v4
	s_mov_b32 s18, 0
                                        ; implicit-def: $vgpr4
	s_and_saveexec_b32 s19, vcc_lo
	s_delay_alu instid0(SALU_CYCLE_1)
	s_xor_b32 s19, exec_lo, s19
	s_cbranch_execz .LBB504_1293
; %bb.1007:
	v_bfe_u32 v4, v0, 21, 1
	s_mov_b32 s18, exec_lo
	s_delay_alu instid0(VALU_DEP_1) | instskip(NEXT) | instid1(VALU_DEP_1)
	v_add3_u32 v4, v0, v4, 0x88fffff
	v_lshrrev_b32_e32 v4, 21, v4
	s_or_saveexec_b32 s19, s19
                                        ; implicit-def: $sgpr20
	s_delay_alu instid0(SALU_CYCLE_1)
	s_xor_b32 exec_lo, exec_lo, s19
	s_cbranch_execnz .LBB504_1294
.LBB504_1008:
	s_or_b32 exec_lo, exec_lo, s19
	v_mov_b32_e32 v5, s20
	s_and_saveexec_b32 s19, s18
.LBB504_1009:
	v_lshrrev_b32_e32 v5, 24, v0
	s_delay_alu instid0(VALU_DEP_1)
	v_and_or_b32 v5, 0x80, v5, v4
.LBB504_1010:
	s_or_b32 exec_lo, exec_lo, s19
.LBB504_1011:
	s_delay_alu instid0(SALU_CYCLE_1)
	s_or_b32 exec_lo, exec_lo, s17
	s_mov_b32 s17, 0
	global_store_b8 v[2:3], v5, off
.LBB504_1012:
	s_and_b32 vcc_lo, exec_lo, s17
	s_cbranch_vccz .LBB504_1022
; %bb.1013:
	v_and_b32_e32 v5, 0x7fffffff, v0
	s_mov_b32 s17, exec_lo
                                        ; implicit-def: $vgpr4
	s_delay_alu instid0(VALU_DEP_1)
	v_cmpx_gt_u32_e32 0x43f00000, v5
	s_xor_b32 s17, exec_lo, s17
	s_cbranch_execz .LBB504_1019
; %bb.1014:
	s_mov_b32 s18, exec_lo
                                        ; implicit-def: $vgpr4
	v_cmpx_lt_u32_e32 0x3c7fffff, v5
	s_xor_b32 s18, exec_lo, s18
; %bb.1015:
	v_bfe_u32 v4, v0, 20, 1
	s_delay_alu instid0(VALU_DEP_1) | instskip(NEXT) | instid1(VALU_DEP_1)
	v_add3_u32 v4, v0, v4, 0x407ffff
	v_and_b32_e32 v5, 0xff00000, v4
	v_lshrrev_b32_e32 v4, 20, v4
	s_delay_alu instid0(VALU_DEP_2) | instskip(NEXT) | instid1(VALU_DEP_2)
	v_cmp_ne_u32_e32 vcc_lo, 0x7f00000, v5
	v_cndmask_b32_e32 v4, 0x7e, v4, vcc_lo
; %bb.1016:
	s_and_not1_saveexec_b32 s18, s18
; %bb.1017:
	v_add_f32_e64 v4, 0x46800000, |v0|
; %bb.1018:
	s_or_b32 exec_lo, exec_lo, s18
                                        ; implicit-def: $vgpr5
.LBB504_1019:
	s_and_not1_saveexec_b32 s17, s17
; %bb.1020:
	v_mov_b32_e32 v4, 0x7f
	v_cmp_lt_u32_e32 vcc_lo, 0x7f800000, v5
	s_delay_alu instid0(VALU_DEP_2)
	v_cndmask_b32_e32 v4, 0x7e, v4, vcc_lo
; %bb.1021:
	s_or_b32 exec_lo, exec_lo, s17
	v_lshrrev_b32_e32 v5, 24, v0
	s_delay_alu instid0(VALU_DEP_1)
	v_and_or_b32 v4, 0x80, v5, v4
	global_store_b8 v[2:3], v4, off
.LBB504_1022:
	s_mov_b32 s17, 0
.LBB504_1023:
	s_delay_alu instid0(SALU_CYCLE_1)
	s_and_not1_b32 vcc_lo, exec_lo, s17
	s_cbranch_vccnz .LBB504_1033
; %bb.1024:
	v_and_b32_e32 v5, 0x7fffffff, v0
	s_mov_b32 s17, exec_lo
                                        ; implicit-def: $vgpr4
	s_delay_alu instid0(VALU_DEP_1)
	v_cmpx_gt_u32_e32 0x47800000, v5
	s_xor_b32 s17, exec_lo, s17
	s_cbranch_execz .LBB504_1030
; %bb.1025:
	s_mov_b32 s18, exec_lo
                                        ; implicit-def: $vgpr4
	v_cmpx_lt_u32_e32 0x387fffff, v5
	s_xor_b32 s18, exec_lo, s18
; %bb.1026:
	v_bfe_u32 v4, v0, 21, 1
	s_delay_alu instid0(VALU_DEP_1) | instskip(NEXT) | instid1(VALU_DEP_1)
	v_add3_u32 v4, v0, v4, 0x80fffff
	v_lshrrev_b32_e32 v4, 21, v4
; %bb.1027:
	s_and_not1_saveexec_b32 s18, s18
; %bb.1028:
	v_add_f32_e64 v4, 0x43000000, |v0|
; %bb.1029:
	s_or_b32 exec_lo, exec_lo, s18
                                        ; implicit-def: $vgpr5
.LBB504_1030:
	s_and_not1_saveexec_b32 s17, s17
; %bb.1031:
	v_mov_b32_e32 v4, 0x7f
	v_cmp_lt_u32_e32 vcc_lo, 0x7f800000, v5
	s_delay_alu instid0(VALU_DEP_2)
	v_cndmask_b32_e32 v4, 0x7c, v4, vcc_lo
; %bb.1032:
	s_or_b32 exec_lo, exec_lo, s17
	v_lshrrev_b32_e32 v5, 24, v0
	s_delay_alu instid0(VALU_DEP_1)
	v_and_or_b32 v4, 0x80, v5, v4
	global_store_b8 v[2:3], v4, off
.LBB504_1033:
	s_mov_b32 s17, 0
.LBB504_1034:
	s_delay_alu instid0(SALU_CYCLE_1)
	s_and_not1_b32 vcc_lo, exec_lo, s17
	s_mov_b32 s17, 0
	s_cbranch_vccnz .LBB504_1042
; %bb.1035:
	v_cmp_lt_i16_e32 vcc_lo, 14, v6
	s_mov_b32 s17, -1
	s_cbranch_vccz .LBB504_1039
; %bb.1036:
	v_cmp_eq_u16_e32 vcc_lo, 15, v6
	s_mov_b32 s0, -1
	s_cbranch_vccz .LBB504_1038
; %bb.1037:
	v_bfe_u32 v4, v0, 16, 1
	v_cmp_o_f32_e32 vcc_lo, v0, v0
	s_mov_b32 s0, 0
	s_delay_alu instid0(VALU_DEP_2) | instskip(NEXT) | instid1(VALU_DEP_1)
	v_add3_u32 v4, v0, v4, 0x7fff
	v_lshrrev_b32_e32 v4, 16, v4
	s_delay_alu instid0(VALU_DEP_1)
	v_cndmask_b32_e32 v4, 0x7fc0, v4, vcc_lo
	global_store_b16 v[2:3], v4, off
.LBB504_1038:
	s_mov_b32 s17, 0
.LBB504_1039:
	s_delay_alu instid0(SALU_CYCLE_1)
	s_and_b32 vcc_lo, exec_lo, s17
	s_mov_b32 s17, 0
	s_cbranch_vccz .LBB504_1042
; %bb.1040:
	v_cmp_ne_u16_e32 vcc_lo, 11, v6
	s_and_not1_b32 s0, s0, exec_lo
	s_mov_b32 s17, -1
	s_and_b32 s18, vcc_lo, exec_lo
	s_delay_alu instid0(SALU_CYCLE_1)
	s_or_b32 s0, s0, s18
	s_branch .LBB504_1042
.LBB504_1041:
	s_mov_b32 s17, 0
.LBB504_1042:
	s_and_not1_b32 s13, s13, exec_lo
	s_and_b32 s0, s0, exec_lo
	s_and_b32 s16, s16, exec_lo
	s_and_b32 s17, s17, exec_lo
	s_or_b32 s13, s13, s0
.LBB504_1043:
	s_or_b32 exec_lo, exec_lo, s15
	s_and_saveexec_b32 s0, s13
	s_cbranch_execnz .LBB504_1106
; %bb.1044:
	s_or_b32 exec_lo, exec_lo, s0
	s_and_saveexec_b32 s0, s17
	s_delay_alu instid0(SALU_CYCLE_1)
	s_xor_b32 s13, exec_lo, s0
	s_cbranch_execz .LBB504_1046
.LBB504_1045:
	v_cmp_neq_f32_e32 vcc_lo, 0, v0
	v_cmp_neq_f32_e64 s0, 0, v1
	s_delay_alu instid0(VALU_DEP_1)
	s_or_b32 s0, vcc_lo, s0
	s_waitcnt vmcnt(0)
	v_cndmask_b32_e64 v4, 0, 1, s0
	global_store_b8 v[2:3], v4, off
.LBB504_1046:
	s_or_b32 exec_lo, exec_lo, s13
	s_and_saveexec_b32 s0, s16
	s_delay_alu instid0(SALU_CYCLE_1)
	s_xor_b32 s0, exec_lo, s0
	s_cbranch_execz .LBB504_1084
; %bb.1047:
	v_cmp_gt_i16_e32 vcc_lo, 5, v6
	s_mov_b32 s13, -1
	s_cbranch_vccnz .LBB504_1068
; %bb.1048:
	v_cmp_gt_i16_e32 vcc_lo, 8, v6
	s_cbranch_vccnz .LBB504_1058
; %bb.1049:
	v_cmp_gt_i16_e32 vcc_lo, 9, v6
	s_cbranch_vccnz .LBB504_1055
; %bb.1050:
	v_cmp_lt_i16_e32 vcc_lo, 9, v6
	s_cbranch_vccz .LBB504_1052
; %bb.1051:
	v_cvt_f64_f32_e32 v[7:8], v0
	v_cvt_f64_f32_e32 v[9:10], v1
	s_mov_b32 s13, 0
	s_waitcnt vmcnt(0)
	global_store_b128 v[2:3], v[7:10], off
.LBB504_1052:
	s_and_not1_b32 vcc_lo, exec_lo, s13
	s_cbranch_vccnz .LBB504_1054
; %bb.1053:
	s_waitcnt vmcnt(0)
	global_store_b64 v[2:3], v[0:1], off
.LBB504_1054:
	s_mov_b32 s13, 0
.LBB504_1055:
	s_delay_alu instid0(SALU_CYCLE_1)
	s_and_not1_b32 vcc_lo, exec_lo, s13
	s_cbranch_vccnz .LBB504_1057
; %bb.1056:
	v_cvt_f16_f32_e32 v1, v1
	s_waitcnt vmcnt(0)
	v_cvt_f16_f32_e32 v4, v0
	s_delay_alu instid0(VALU_DEP_2) | instskip(NEXT) | instid1(VALU_DEP_2)
	v_lshlrev_b32_e32 v1, 16, v1
	v_and_b32_e32 v4, 0xffff, v4
	s_delay_alu instid0(VALU_DEP_1)
	v_or_b32_e32 v1, v1, v4
	global_store_b32 v[2:3], v1, off
.LBB504_1057:
	s_mov_b32 s13, 0
.LBB504_1058:
	s_delay_alu instid0(SALU_CYCLE_1)
	s_and_not1_b32 vcc_lo, exec_lo, s13
	s_cbranch_vccnz .LBB504_1067
; %bb.1059:
	v_cmp_gt_i16_e32 vcc_lo, 6, v6
	s_mov_b32 s13, -1
	s_cbranch_vccnz .LBB504_1065
; %bb.1060:
	v_cmp_lt_i16_e32 vcc_lo, 6, v6
	s_cbranch_vccz .LBB504_1062
; %bb.1061:
	s_waitcnt vmcnt(0)
	v_cvt_f64_f32_e32 v[4:5], v0
	s_mov_b32 s13, 0
	global_store_b64 v[2:3], v[4:5], off
.LBB504_1062:
	s_and_not1_b32 vcc_lo, exec_lo, s13
	s_cbranch_vccnz .LBB504_1064
; %bb.1063:
	s_waitcnt vmcnt(0)
	global_store_b32 v[2:3], v0, off
.LBB504_1064:
	s_mov_b32 s13, 0
.LBB504_1065:
	s_delay_alu instid0(SALU_CYCLE_1)
	s_and_not1_b32 vcc_lo, exec_lo, s13
	s_cbranch_vccnz .LBB504_1067
; %bb.1066:
	v_cvt_f16_f32_e32 v1, v0
	s_waitcnt vmcnt(0)
	global_store_b16 v[2:3], v1, off
.LBB504_1067:
	s_mov_b32 s13, 0
.LBB504_1068:
	s_delay_alu instid0(SALU_CYCLE_1)
	s_and_not1_b32 vcc_lo, exec_lo, s13
	s_cbranch_vccnz .LBB504_1084
; %bb.1069:
	v_cmp_gt_i16_e32 vcc_lo, 2, v6
	s_mov_b32 s13, -1
	s_cbranch_vccnz .LBB504_1079
; %bb.1070:
	v_cmp_gt_i16_e32 vcc_lo, 3, v6
	s_cbranch_vccnz .LBB504_1076
; %bb.1071:
	v_cmp_lt_i16_e32 vcc_lo, 3, v6
	s_cbranch_vccz .LBB504_1073
; %bb.1072:
	v_trunc_f32_e32 v1, v0
	s_mov_b32 s13, 0
	s_waitcnt vmcnt(0)
	s_delay_alu instid0(VALU_DEP_1) | instskip(NEXT) | instid1(VALU_DEP_1)
	v_mul_f32_e64 v4, 0x2f800000, |v1|
	v_floor_f32_e32 v4, v4
	s_delay_alu instid0(VALU_DEP_1) | instskip(SKIP_2) | instid1(VALU_DEP_3)
	v_fma_f32 v5, 0xcf800000, v4, |v1|
	v_ashrrev_i32_e32 v1, 31, v1
	v_cvt_u32_f32_e32 v4, v4
	v_cvt_u32_f32_e32 v5, v5
	s_delay_alu instid0(VALU_DEP_2) | instskip(NEXT) | instid1(VALU_DEP_2)
	v_xor_b32_e32 v7, v4, v1
	v_xor_b32_e32 v5, v5, v1
	s_delay_alu instid0(VALU_DEP_1) | instskip(NEXT) | instid1(VALU_DEP_3)
	v_sub_co_u32 v4, vcc_lo, v5, v1
	v_sub_co_ci_u32_e32 v5, vcc_lo, v7, v1, vcc_lo
	global_store_b64 v[2:3], v[4:5], off
.LBB504_1073:
	s_and_not1_b32 vcc_lo, exec_lo, s13
	s_cbranch_vccnz .LBB504_1075
; %bb.1074:
	v_cvt_i32_f32_e32 v1, v0
	s_waitcnt vmcnt(0)
	global_store_b32 v[2:3], v1, off
.LBB504_1075:
	s_mov_b32 s13, 0
.LBB504_1076:
	s_delay_alu instid0(SALU_CYCLE_1)
	s_and_not1_b32 vcc_lo, exec_lo, s13
	s_cbranch_vccnz .LBB504_1078
; %bb.1077:
	v_cvt_i32_f32_e32 v1, v0
	s_waitcnt vmcnt(0)
	global_store_b16 v[2:3], v1, off
.LBB504_1078:
	s_mov_b32 s13, 0
.LBB504_1079:
	s_delay_alu instid0(SALU_CYCLE_1)
	s_and_not1_b32 vcc_lo, exec_lo, s13
	s_cbranch_vccnz .LBB504_1084
; %bb.1080:
	v_cmp_lt_i16_e32 vcc_lo, 0, v6
	s_mov_b32 s13, -1
	s_cbranch_vccz .LBB504_1082
; %bb.1081:
	v_cvt_i32_f32_e32 v1, v0
	s_mov_b32 s13, 0
	s_waitcnt vmcnt(0)
	global_store_b8 v[2:3], v1, off
.LBB504_1082:
	s_and_not1_b32 vcc_lo, exec_lo, s13
	s_cbranch_vccnz .LBB504_1084
; %bb.1083:
	v_trunc_f32_e32 v0, v0
	s_delay_alu instid0(VALU_DEP_1) | instskip(NEXT) | instid1(VALU_DEP_1)
	v_mul_f32_e64 v1, 0x2f800000, |v0|
	v_floor_f32_e32 v1, v1
	s_delay_alu instid0(VALU_DEP_1) | instskip(SKIP_1) | instid1(VALU_DEP_2)
	v_fma_f32 v1, 0xcf800000, v1, |v0|
	v_ashrrev_i32_e32 v0, 31, v0
	v_cvt_u32_f32_e32 v1, v1
	s_delay_alu instid0(VALU_DEP_1) | instskip(NEXT) | instid1(VALU_DEP_1)
	v_xor_b32_e32 v1, v1, v0
	v_sub_nc_u32_e32 v0, v1, v0
	s_waitcnt vmcnt(0)
	global_store_b8 v[2:3], v0, off
.LBB504_1084:
	s_or_b32 exec_lo, exec_lo, s0
	s_delay_alu instid0(SALU_CYCLE_1)
	s_and_b32 s13, s14, exec_lo
                                        ; implicit-def: $vgpr10
                                        ; implicit-def: $vgpr11
.LBB504_1085:
	s_or_saveexec_b32 s12, s12
	s_mov_b32 s14, 0
                                        ; implicit-def: $vgpr12
                                        ; implicit-def: $vgpr0_vgpr1
                                        ; implicit-def: $vgpr7
	s_xor_b32 exec_lo, exec_lo, s12
	s_cbranch_execz .LBB504_1747
; %bb.1086:
	s_waitcnt vmcnt(0)
	v_mul_lo_u32 v4, s9, v10
	v_cmp_gt_i16_e32 vcc_lo, 11, v11
	s_delay_alu instid0(VALU_DEP_2) | instskip(SKIP_1) | instid1(VALU_DEP_1)
	v_ashrrev_i32_e32 v1, 31, v4
	v_add_co_u32 v0, s0, s6, v4
	v_add_co_ci_u32_e64 v1, s0, s7, v1, s0
	s_cbranch_vccnz .LBB504_1093
; %bb.1087:
	v_cmp_lt_i16_e32 vcc_lo, 25, v11
	s_cbranch_vccz .LBB504_1099
; %bb.1088:
	v_cmp_lt_i16_e32 vcc_lo, 28, v11
	s_cbranch_vccz .LBB504_1102
	;; [unrolled: 3-line block ×4, first 2 shown]
; %bb.1091:
	v_cmp_eq_u16_e32 vcc_lo, 46, v11
	s_cbranch_vccz .LBB504_1149
; %bb.1092:
	global_load_b32 v2, v[0:1], off
	s_mov_b32 s0, 0
	s_mov_b32 s15, -1
	s_waitcnt vmcnt(0)
	v_and_b32_e32 v3, 0xffff0000, v2
	v_lshlrev_b32_e32 v2, 16, v2
	s_branch .LBB504_1151
.LBB504_1093:
	s_mov_b32 s15, 0
	s_mov_b32 s1, s13
                                        ; implicit-def: $vgpr3
	s_cbranch_execz .LBB504_1217
; %bb.1094:
	v_cmp_gt_i16_e32 vcc_lo, 5, v11
	s_cbranch_vccnz .LBB504_1100
; %bb.1095:
	v_cmp_gt_i16_e32 vcc_lo, 8, v11
	s_cbranch_vccnz .LBB504_1103
	;; [unrolled: 3-line block ×3, first 2 shown]
; %bb.1097:
	v_cmp_lt_i16_e32 vcc_lo, 9, v11
	s_cbranch_vccz .LBB504_1109
; %bb.1098:
	global_load_b128 v[5:8], v[0:1], off
	s_mov_b32 s0, 0
	s_waitcnt vmcnt(0)
	v_cvt_f32_f64_e32 v2, v[5:6]
	v_cvt_f32_f64_e32 v3, v[7:8]
	s_branch .LBB504_1110
.LBB504_1099:
	s_mov_b32 s15, 0
	s_mov_b32 s0, 0
                                        ; implicit-def: $vgpr3
	s_cbranch_execnz .LBB504_1183
	s_branch .LBB504_1213
.LBB504_1100:
                                        ; implicit-def: $vgpr3
	s_branch .LBB504_1128
.LBB504_1101:
                                        ; implicit-def: $vgpr6
	s_branch .LBB504_1218
.LBB504_1102:
	s_mov_b32 s15, 0
	s_mov_b32 s0, 0
                                        ; implicit-def: $vgpr3
	s_cbranch_execnz .LBB504_1163
	s_branch .LBB504_1182
.LBB504_1103:
                                        ; implicit-def: $vgpr3
	s_branch .LBB504_1116
.LBB504_1104:
	s_mov_b32 s1, -1
	s_mov_b32 s15, 0
	s_mov_b32 s0, 0
                                        ; implicit-def: $vgpr3
	s_branch .LBB504_1157
.LBB504_1105:
	s_mov_b32 s0, -1
                                        ; implicit-def: $vgpr3
	s_branch .LBB504_1113
.LBB504_1106:
	s_cbranch_execnz .LBB504_1147
; %bb.1107:
	s_or_b32 s14, s14, exec_lo
	s_and_not1_b32 s17, s17, exec_lo
	s_or_b32 exec_lo, exec_lo, s0
	s_and_saveexec_b32 s0, s17
	s_delay_alu instid0(SALU_CYCLE_1)
	s_xor_b32 s13, exec_lo, s0
	s_cbranch_execnz .LBB504_1045
	s_branch .LBB504_1046
.LBB504_1108:
	s_mov_b32 s1, -1
	s_mov_b32 s15, 0
	s_mov_b32 s0, 0
	s_branch .LBB504_1150
.LBB504_1109:
	s_mov_b32 s0, -1
                                        ; implicit-def: $vgpr3
.LBB504_1110:
	s_delay_alu instid0(SALU_CYCLE_1)
	s_and_not1_b32 vcc_lo, exec_lo, s0
	s_cbranch_vccnz .LBB504_1112
; %bb.1111:
	global_load_b64 v[2:3], v[0:1], off
.LBB504_1112:
	s_mov_b32 s0, 0
.LBB504_1113:
	s_delay_alu instid0(SALU_CYCLE_1)
	s_and_not1_b32 vcc_lo, exec_lo, s0
	s_cbranch_vccnz .LBB504_1115
; %bb.1114:
	global_load_b32 v2, v[0:1], off
	s_waitcnt vmcnt(0)
	v_lshrrev_b32_e32 v3, 16, v2
	v_cvt_f32_f16_e32 v2, v2
	s_delay_alu instid0(VALU_DEP_2)
	v_cvt_f32_f16_e32 v3, v3
.LBB504_1115:
	s_cbranch_execnz .LBB504_1127
.LBB504_1116:
	v_cmp_gt_i16_e32 vcc_lo, 6, v11
	s_cbranch_vccnz .LBB504_1119
; %bb.1117:
	v_cmp_lt_i16_e32 vcc_lo, 6, v11
	s_cbranch_vccz .LBB504_1120
; %bb.1118:
	global_load_b64 v[2:3], v[0:1], off
	s_mov_b32 s14, 0
	s_mov_b32 s0, 0
	s_waitcnt vmcnt(0)
	v_cvt_f32_f64_e32 v2, v[2:3]
	s_branch .LBB504_1121
.LBB504_1119:
	s_mov_b32 s14, -1
                                        ; implicit-def: $sgpr0
                                        ; implicit-def: $vgpr2
	s_branch .LBB504_1124
.LBB504_1120:
	s_mov_b32 s14, -1
                                        ; implicit-def: $sgpr0
                                        ; implicit-def: $vgpr2
.LBB504_1121:
	s_delay_alu instid0(SALU_CYCLE_1)
	s_and_not1_b32 vcc_lo, exec_lo, s14
	s_cbranch_vccnz .LBB504_1123
; %bb.1122:
	global_load_b32 v2, v[0:1], off
	s_mov_b32 s0, 0
.LBB504_1123:
	s_mov_b32 s14, 0
.LBB504_1124:
	s_delay_alu instid0(SALU_CYCLE_1)
	s_and_not1_b32 vcc_lo, exec_lo, s14
	s_cbranch_vccnz .LBB504_1126
; %bb.1125:
	global_load_u16 v2, v[0:1], off
	s_mov_b32 s0, 0
	s_waitcnt vmcnt(0)
	v_cvt_f32_f16_e32 v2, v2
.LBB504_1126:
	s_waitcnt vmcnt(0)
	v_mov_b32_e32 v3, s0
.LBB504_1127:
	s_cbranch_execnz .LBB504_1101
.LBB504_1128:
	v_cmp_gt_i16_e32 vcc_lo, 2, v11
	s_cbranch_vccnz .LBB504_1132
; %bb.1129:
	v_cmp_gt_i16_e32 vcc_lo, 3, v11
	s_cbranch_vccnz .LBB504_1133
; %bb.1130:
	v_cmp_lt_i16_e32 vcc_lo, 3, v11
	s_cbranch_vccz .LBB504_1134
; %bb.1131:
	global_load_b64 v[2:3], v[0:1], off
	s_mov_b32 s14, 0
	s_mov_b32 s0, 0
	s_waitcnt vmcnt(0)
	v_xor_b32_e32 v5, v2, v3
	v_cls_i32_e32 v6, v3
	s_delay_alu instid0(VALU_DEP_2) | instskip(NEXT) | instid1(VALU_DEP_2)
	v_ashrrev_i32_e32 v5, 31, v5
	v_add_nc_u32_e32 v6, -1, v6
	s_delay_alu instid0(VALU_DEP_2) | instskip(NEXT) | instid1(VALU_DEP_1)
	v_add_nc_u32_e32 v5, 32, v5
	v_min_u32_e32 v5, v6, v5
	s_delay_alu instid0(VALU_DEP_1) | instskip(NEXT) | instid1(VALU_DEP_1)
	v_lshlrev_b64 v[2:3], v5, v[2:3]
	v_min_u32_e32 v2, 1, v2
	s_delay_alu instid0(VALU_DEP_1) | instskip(SKIP_1) | instid1(VALU_DEP_2)
	v_or_b32_e32 v2, v3, v2
	v_sub_nc_u32_e32 v3, 32, v5
	v_cvt_f32_i32_e32 v2, v2
	s_delay_alu instid0(VALU_DEP_1)
	v_ldexp_f32 v2, v2, v3
	s_branch .LBB504_1135
.LBB504_1132:
                                        ; implicit-def: $sgpr0
                                        ; implicit-def: $vgpr2
	s_branch .LBB504_1141
.LBB504_1133:
	s_mov_b32 s14, -1
                                        ; implicit-def: $sgpr0
                                        ; implicit-def: $vgpr2
	s_branch .LBB504_1138
.LBB504_1134:
	s_mov_b32 s14, -1
                                        ; implicit-def: $sgpr0
                                        ; implicit-def: $vgpr2
.LBB504_1135:
	s_delay_alu instid0(SALU_CYCLE_1)
	s_and_not1_b32 vcc_lo, exec_lo, s14
	s_cbranch_vccnz .LBB504_1137
; %bb.1136:
	global_load_b32 v2, v[0:1], off
	s_mov_b32 s0, 0
	s_waitcnt vmcnt(0)
	v_cvt_f32_i32_e32 v2, v2
.LBB504_1137:
	s_mov_b32 s14, 0
.LBB504_1138:
	s_delay_alu instid0(SALU_CYCLE_1)
	s_and_not1_b32 vcc_lo, exec_lo, s14
	s_cbranch_vccnz .LBB504_1140
; %bb.1139:
	global_load_i16 v2, v[0:1], off
	s_mov_b32 s0, 0
	s_waitcnt vmcnt(0)
	v_cvt_f32_i32_e32 v2, v2
.LBB504_1140:
	s_cbranch_execnz .LBB504_1146
.LBB504_1141:
	v_cmp_lt_i16_e32 vcc_lo, 0, v11
	s_mov_b32 s14, 0
	s_cbranch_vccz .LBB504_1143
; %bb.1142:
	global_load_i8 v2, v[0:1], off
	s_mov_b32 s0, 0
	s_waitcnt vmcnt(0)
	v_cvt_f32_i32_e32 v2, v2
	s_branch .LBB504_1144
.LBB504_1143:
	s_mov_b32 s14, -1
                                        ; implicit-def: $sgpr0
                                        ; implicit-def: $vgpr2
.LBB504_1144:
	s_delay_alu instid0(SALU_CYCLE_1)
	s_and_not1_b32 vcc_lo, exec_lo, s14
	s_cbranch_vccnz .LBB504_1146
; %bb.1145:
	global_load_u8 v0, v[0:1], off
	s_mov_b32 s0, 0
	s_waitcnt vmcnt(0)
	v_cvt_f32_ubyte0_e32 v2, v0
.LBB504_1146:
	s_waitcnt vmcnt(0)
	v_mov_b32_e32 v3, s0
                                        ; implicit-def: $vgpr6
	s_branch .LBB504_1218
.LBB504_1147:
	s_trap 2
	s_sendmsg_rtn_b32 s0, sendmsg(MSG_RTN_GET_DOORBELL)
	s_mov_b32 ttmp2, m0
	s_waitcnt lgkmcnt(0)
	s_and_b32 s0, s0, 0x3ff
	s_delay_alu instid0(SALU_CYCLE_1) | instskip(NEXT) | instid1(SALU_CYCLE_1)
	s_bitset1_b32 s0, 10
	s_mov_b32 m0, s0
	s_sendmsg sendmsg(MSG_INTERRUPT)
	s_mov_b32 m0, ttmp2
.LBB504_1148:                           ; =>This Inner Loop Header: Depth=1
	s_sethalt 5
	s_branch .LBB504_1148
.LBB504_1149:
	s_mov_b32 s0, -1
	s_mov_b32 s15, 0
.LBB504_1150:
                                        ; implicit-def: $vgpr3
.LBB504_1151:
	s_and_b32 vcc_lo, exec_lo, s1
	s_cbranch_vccz .LBB504_1156
; %bb.1152:
	v_cmp_eq_u16_e32 vcc_lo, 44, v11
	s_cbranch_vccz .LBB504_1154
; %bb.1153:
	global_load_u8 v2, v[0:1], off
	s_mov_b32 s0, 0
	s_mov_b32 s15, -1
	s_waitcnt vmcnt(0)
	v_lshlrev_b32_e32 v3, 23, v2
	v_cmp_ne_u32_e32 vcc_lo, 0xff, v2
	s_delay_alu instid0(VALU_DEP_2) | instskip(SKIP_1) | instid1(VALU_DEP_2)
	v_cndmask_b32_e32 v3, 0x7f800001, v3, vcc_lo
	v_cmp_ne_u32_e32 vcc_lo, 0, v2
	v_cndmask_b32_e32 v2, 0x400000, v3, vcc_lo
	s_branch .LBB504_1155
.LBB504_1154:
	s_mov_b32 s0, -1
                                        ; implicit-def: $vgpr2
.LBB504_1155:
	s_delay_alu instid0(SALU_CYCLE_1)
	v_mov_b32_e32 v3, s0
.LBB504_1156:
	s_mov_b32 s1, 0
.LBB504_1157:
	s_delay_alu instid0(SALU_CYCLE_1)
	s_and_b32 vcc_lo, exec_lo, s1
	s_cbranch_vccz .LBB504_1162
; %bb.1158:
	v_cmp_eq_u16_e32 vcc_lo, 29, v11
	s_cbranch_vccz .LBB504_1160
; %bb.1159:
	global_load_b64 v[2:3], v[0:1], off
	s_mov_b32 s0, 0
	s_mov_b32 s15, -1
	s_mov_b32 s1, 0
	s_waitcnt vmcnt(0)
	v_clz_i32_u32_e32 v5, v3
	s_delay_alu instid0(VALU_DEP_1) | instskip(NEXT) | instid1(VALU_DEP_1)
	v_min_u32_e32 v5, 32, v5
	v_lshlrev_b64 v[2:3], v5, v[2:3]
	s_delay_alu instid0(VALU_DEP_1) | instskip(NEXT) | instid1(VALU_DEP_1)
	v_min_u32_e32 v2, 1, v2
	v_or_b32_e32 v2, v3, v2
	v_sub_nc_u32_e32 v3, 32, v5
	s_delay_alu instid0(VALU_DEP_2) | instskip(NEXT) | instid1(VALU_DEP_1)
	v_cvt_f32_u32_e32 v2, v2
	v_ldexp_f32 v2, v2, v3
	s_branch .LBB504_1161
.LBB504_1160:
	s_mov_b32 s0, -1
                                        ; implicit-def: $sgpr1
                                        ; implicit-def: $vgpr2
.LBB504_1161:
	v_mov_b32_e32 v3, s1
.LBB504_1162:
	s_branch .LBB504_1182
.LBB504_1163:
	v_cmp_gt_i16_e32 vcc_lo, 27, v11
	s_cbranch_vccnz .LBB504_1166
; %bb.1164:
	v_cmp_lt_i16_e32 vcc_lo, 27, v11
	s_cbranch_vccz .LBB504_1167
; %bb.1165:
	global_load_b32 v2, v[0:1], off
	s_mov_b32 s15, 0
	s_mov_b32 s1, 0
	s_waitcnt vmcnt(0)
	v_cvt_f32_u32_e32 v2, v2
	s_branch .LBB504_1168
.LBB504_1166:
	s_mov_b32 s15, -1
                                        ; implicit-def: $sgpr1
                                        ; implicit-def: $vgpr2
	s_branch .LBB504_1171
.LBB504_1167:
	s_mov_b32 s15, -1
                                        ; implicit-def: $sgpr1
                                        ; implicit-def: $vgpr2
.LBB504_1168:
	s_delay_alu instid0(SALU_CYCLE_1)
	s_and_not1_b32 vcc_lo, exec_lo, s15
	s_cbranch_vccnz .LBB504_1170
; %bb.1169:
	global_load_u16 v2, v[0:1], off
	s_mov_b32 s1, 0
	s_waitcnt vmcnt(0)
	v_cvt_f32_u32_e32 v2, v2
.LBB504_1170:
	s_mov_b32 s15, 0
.LBB504_1171:
	v_mov_b32_e32 v3, s1
	s_and_not1_b32 vcc_lo, exec_lo, s15
	s_cbranch_vccnz .LBB504_1181
; %bb.1172:
	global_load_u8 v5, v[0:1], off
	s_mov_b32 s1, 0
	s_mov_b32 s17, exec_lo
                                        ; implicit-def: $sgpr16
                                        ; implicit-def: $sgpr15
	s_waitcnt vmcnt(0)
	v_cmpx_lt_i16_e32 0x7f, v5
	s_xor_b32 s17, exec_lo, s17
	s_cbranch_execz .LBB504_1176
; %bb.1173:
	s_mov_b32 s1, -1
	s_mov_b32 s18, exec_lo
                                        ; implicit-def: $sgpr16
                                        ; implicit-def: $sgpr15
	v_cmpx_eq_u16_e32 0x80, v5
; %bb.1174:
	s_mov_b32 s15, 0x7f800001
	s_mov_b32 s16, 0
	s_xor_b32 s1, exec_lo, -1
; %bb.1175:
	s_or_b32 exec_lo, exec_lo, s18
	s_delay_alu instid0(SALU_CYCLE_1)
	s_and_b32 s1, s1, exec_lo
.LBB504_1176:
	s_or_saveexec_b32 s17, s17
	v_dual_mov_b32 v3, s16 :: v_dual_mov_b32 v2, s15
	s_xor_b32 exec_lo, exec_lo, s17
; %bb.1177:
	v_mov_b32_e32 v3, 0
	v_cmp_ne_u16_e32 vcc_lo, 0, v5
	s_and_not1_b32 s1, s1, exec_lo
	s_delay_alu instid0(VALU_DEP_2) | instskip(SKIP_1) | instid1(SALU_CYCLE_1)
	v_mov_b32_e32 v2, v3
	s_and_b32 s15, vcc_lo, exec_lo
	s_or_b32 s1, s1, s15
; %bb.1178:
	s_or_b32 exec_lo, exec_lo, s17
	s_and_saveexec_b32 s15, s1
	s_cbranch_execz .LBB504_1180
; %bb.1179:
	v_and_b32_e32 v2, 0xffff, v5
	v_lshlrev_b32_e32 v5, 24, v5
	s_delay_alu instid0(VALU_DEP_2) | instskip(NEXT) | instid1(VALU_DEP_2)
	v_and_b32_e32 v3, 7, v2
	v_and_b32_e32 v5, 0x80000000, v5
	s_delay_alu instid0(VALU_DEP_2) | instskip(NEXT) | instid1(VALU_DEP_1)
	v_clz_i32_u32_e32 v6, v3
	v_min_u32_e32 v6, 32, v6
	s_delay_alu instid0(VALU_DEP_1) | instskip(SKIP_1) | instid1(VALU_DEP_2)
	v_subrev_nc_u32_e32 v7, 28, v6
	v_sub_nc_u32_e32 v6, 29, v6
	v_lshlrev_b32_e32 v7, v7, v2
	v_bfe_u32 v2, v2, 3, 4
	s_delay_alu instid0(VALU_DEP_1) | instskip(NEXT) | instid1(VALU_DEP_3)
	v_cmp_eq_u32_e32 vcc_lo, 0, v2
	v_dual_cndmask_b32 v2, v2, v6 :: v_dual_and_b32 v7, 7, v7
	s_delay_alu instid0(VALU_DEP_1) | instskip(NEXT) | instid1(VALU_DEP_2)
	v_cndmask_b32_e32 v3, v3, v7, vcc_lo
	v_lshl_add_u32 v2, v2, 23, 0x3b800000
	s_delay_alu instid0(VALU_DEP_2) | instskip(NEXT) | instid1(VALU_DEP_1)
	v_lshlrev_b32_e32 v3, 20, v3
	v_or3_b32 v2, v5, v2, v3
	v_mov_b32_e32 v3, 0
.LBB504_1180:
	s_or_b32 exec_lo, exec_lo, s15
.LBB504_1181:
	s_mov_b32 s15, -1
.LBB504_1182:
	s_branch .LBB504_1213
.LBB504_1183:
	v_cmp_lt_i16_e32 vcc_lo, 22, v11
	s_cbranch_vccz .LBB504_1195
; %bb.1184:
	v_cmp_gt_i16_e32 vcc_lo, 24, v11
	s_cbranch_vccnz .LBB504_1196
; %bb.1185:
	v_cmp_lt_i16_e32 vcc_lo, 24, v11
	s_cbranch_vccz .LBB504_1197
; %bb.1186:
	global_load_u8 v5, v[0:1], off
	s_mov_b32 s1, 0
	s_mov_b32 s16, exec_lo
                                        ; implicit-def: $sgpr15
                                        ; implicit-def: $sgpr14
	s_waitcnt vmcnt(0)
	v_cmpx_lt_i16_e32 0x7f, v5
	s_xor_b32 s16, exec_lo, s16
	s_cbranch_execz .LBB504_1190
; %bb.1187:
	s_mov_b32 s1, -1
	s_mov_b32 s17, exec_lo
                                        ; implicit-def: $sgpr15
                                        ; implicit-def: $sgpr14
	v_cmpx_eq_u16_e32 0x80, v5
; %bb.1188:
	s_mov_b32 s14, 0x7f800001
	s_mov_b32 s15, 0
	s_xor_b32 s1, exec_lo, -1
; %bb.1189:
	s_or_b32 exec_lo, exec_lo, s17
	s_delay_alu instid0(SALU_CYCLE_1)
	s_and_b32 s1, s1, exec_lo
.LBB504_1190:
	s_or_saveexec_b32 s16, s16
	v_dual_mov_b32 v3, s15 :: v_dual_mov_b32 v2, s14
	s_xor_b32 exec_lo, exec_lo, s16
; %bb.1191:
	v_mov_b32_e32 v3, 0
	v_cmp_ne_u16_e32 vcc_lo, 0, v5
	s_and_not1_b32 s1, s1, exec_lo
	s_delay_alu instid0(VALU_DEP_2) | instskip(SKIP_1) | instid1(SALU_CYCLE_1)
	v_mov_b32_e32 v2, v3
	s_and_b32 s14, vcc_lo, exec_lo
	s_or_b32 s1, s1, s14
; %bb.1192:
	s_or_b32 exec_lo, exec_lo, s16
	s_and_saveexec_b32 s14, s1
	s_cbranch_execz .LBB504_1194
; %bb.1193:
	v_and_b32_e32 v2, 0xffff, v5
	v_lshlrev_b32_e32 v5, 24, v5
	s_delay_alu instid0(VALU_DEP_2) | instskip(NEXT) | instid1(VALU_DEP_2)
	v_and_b32_e32 v3, 3, v2
	v_and_b32_e32 v5, 0x80000000, v5
	s_delay_alu instid0(VALU_DEP_2) | instskip(NEXT) | instid1(VALU_DEP_1)
	v_clz_i32_u32_e32 v6, v3
	v_min_u32_e32 v6, 32, v6
	s_delay_alu instid0(VALU_DEP_1) | instskip(SKIP_1) | instid1(VALU_DEP_2)
	v_subrev_nc_u32_e32 v7, 29, v6
	v_sub_nc_u32_e32 v6, 30, v6
	v_lshlrev_b32_e32 v7, v7, v2
	v_bfe_u32 v2, v2, 2, 5
	s_delay_alu instid0(VALU_DEP_1) | instskip(NEXT) | instid1(VALU_DEP_3)
	v_cmp_eq_u32_e32 vcc_lo, 0, v2
	v_dual_cndmask_b32 v2, v2, v6 :: v_dual_and_b32 v7, 3, v7
	s_delay_alu instid0(VALU_DEP_1) | instskip(NEXT) | instid1(VALU_DEP_2)
	v_cndmask_b32_e32 v3, v3, v7, vcc_lo
	v_lshl_add_u32 v2, v2, 23, 0x37800000
	s_delay_alu instid0(VALU_DEP_2) | instskip(NEXT) | instid1(VALU_DEP_1)
	v_lshlrev_b32_e32 v3, 21, v3
	v_or3_b32 v2, v5, v2, v3
	v_mov_b32_e32 v3, 0
.LBB504_1194:
	s_or_b32 exec_lo, exec_lo, s14
	s_mov_b32 s1, 0
	s_branch .LBB504_1198
.LBB504_1195:
                                        ; implicit-def: $vgpr3
	s_mov_b32 s14, 0
	s_branch .LBB504_1204
.LBB504_1196:
	s_mov_b32 s1, -1
                                        ; implicit-def: $vgpr3
	s_branch .LBB504_1201
.LBB504_1197:
	s_mov_b32 s1, -1
                                        ; implicit-def: $vgpr3
.LBB504_1198:
	s_delay_alu instid0(SALU_CYCLE_1)
	s_and_b32 vcc_lo, exec_lo, s1
	s_cbranch_vccz .LBB504_1200
; %bb.1199:
	global_load_u8 v2, v[0:1], off
	s_waitcnt vmcnt(0)
	v_lshlrev_b32_e32 v2, 24, v2
	s_delay_alu instid0(VALU_DEP_1) | instskip(NEXT) | instid1(VALU_DEP_1)
	v_and_b32_e32 v3, 0x7f000000, v2
	v_clz_i32_u32_e32 v5, v3
	v_add_nc_u32_e32 v7, 0x1000000, v3
	v_cmp_ne_u32_e32 vcc_lo, 0, v3
	s_delay_alu instid0(VALU_DEP_3) | instskip(NEXT) | instid1(VALU_DEP_1)
	v_min_u32_e32 v5, 32, v5
	v_sub_nc_u32_e64 v5, v5, 4 clamp
	s_delay_alu instid0(VALU_DEP_1) | instskip(SKIP_1) | instid1(VALU_DEP_2)
	v_lshlrev_b32_e32 v6, v5, v3
	v_lshlrev_b32_e32 v5, 23, v5
	v_lshrrev_b32_e32 v6, 4, v6
	s_delay_alu instid0(VALU_DEP_1) | instskip(SKIP_1) | instid1(VALU_DEP_2)
	v_sub_nc_u32_e32 v5, v6, v5
	v_ashrrev_i32_e32 v6, 8, v7
	v_add_nc_u32_e32 v5, 0x3c000000, v5
	s_delay_alu instid0(VALU_DEP_1) | instskip(NEXT) | instid1(VALU_DEP_1)
	v_and_or_b32 v5, 0x7f800000, v6, v5
	v_cndmask_b32_e32 v3, 0, v5, vcc_lo
	s_delay_alu instid0(VALU_DEP_1)
	v_and_or_b32 v2, 0x80000000, v2, v3
	v_mov_b32_e32 v3, 0
.LBB504_1200:
	s_mov_b32 s1, 0
.LBB504_1201:
	s_delay_alu instid0(SALU_CYCLE_1)
	s_and_not1_b32 vcc_lo, exec_lo, s1
	s_cbranch_vccnz .LBB504_1203
; %bb.1202:
	global_load_u8 v2, v[0:1], off
	s_waitcnt vmcnt(0)
	v_lshlrev_b32_e32 v3, 25, v2
	v_lshlrev_b16 v2, 8, v2
	s_delay_alu instid0(VALU_DEP_2) | instskip(NEXT) | instid1(VALU_DEP_2)
	v_lshrrev_b32_e32 v5, 4, v3
	v_and_or_b32 v6, 0x7f00, v2, 0.5
	v_cmp_gt_u32_e32 vcc_lo, 0x8000000, v3
	v_bfe_i32 v2, v2, 0, 16
	s_delay_alu instid0(VALU_DEP_4) | instskip(NEXT) | instid1(VALU_DEP_1)
	v_or_b32_e32 v5, 0x70000000, v5
	v_dual_add_f32 v6, -0.5, v6 :: v_dual_mul_f32 v5, 0x7800000, v5
	s_delay_alu instid0(VALU_DEP_1) | instskip(NEXT) | instid1(VALU_DEP_1)
	v_cndmask_b32_e32 v3, v5, v6, vcc_lo
	v_and_or_b32 v2, 0x80000000, v2, v3
	v_mov_b32_e32 v3, 0
.LBB504_1203:
	s_mov_b32 s15, -1
	s_mov_b32 s14, 0
	s_cbranch_execnz .LBB504_1213
.LBB504_1204:
	v_cmp_lt_i16_e32 vcc_lo, 14, v11
	s_cbranch_vccz .LBB504_1207
; %bb.1205:
	v_cmp_eq_u16_e32 vcc_lo, 15, v11
	s_cbranch_vccz .LBB504_1208
; %bb.1206:
	global_load_u16 v2, v[0:1], off
	s_mov_b32 s0, 0
	s_mov_b32 s15, -1
	s_mov_b32 s1, 0
	s_waitcnt vmcnt(0)
	v_lshlrev_b32_e32 v2, 16, v2
	s_branch .LBB504_1210
.LBB504_1207:
	s_mov_b32 s14, -1
	s_branch .LBB504_1209
.LBB504_1208:
	s_mov_b32 s0, -1
.LBB504_1209:
                                        ; implicit-def: $sgpr1
                                        ; implicit-def: $vgpr2
.LBB504_1210:
	s_and_b32 vcc_lo, exec_lo, s14
	s_mov_b32 s14, 0
	s_cbranch_vccz .LBB504_1212
; %bb.1211:
	v_cmp_ne_u16_e64 s0, 11, v11
	s_mov_b32 s14, -1
                                        ; implicit-def: $sgpr1
                                        ; implicit-def: $vgpr2
.LBB504_1212:
	v_mov_b32_e32 v3, s1
.LBB504_1213:
	s_delay_alu instid0(VALU_DEP_2)
	s_and_b32 vcc_lo, exec_lo, s0
	s_mov_b32 s1, s13
	s_cbranch_vccnz .LBB504_1246
; %bb.1214:
	s_and_not1_b32 vcc_lo, exec_lo, s14
	s_cbranch_vccnz .LBB504_1216
.LBB504_1215:
	global_load_u8 v2, v[0:1], off
	v_mov_b32_e32 v3, 0
	s_mov_b32 s15, -1
	s_waitcnt vmcnt(0)
	v_cmp_ne_u16_e32 vcc_lo, 0, v2
	v_cndmask_b32_e64 v2, 0, 1.0, vcc_lo
.LBB504_1216:
.LBB504_1217:
	s_and_not1_b32 vcc_lo, exec_lo, s15
                                        ; implicit-def: $vgpr6
	s_cbranch_vccnz .LBB504_1745
.LBB504_1218:
	v_mov_b32_e32 v0, s10
	s_mov_b32 s0, exec_lo
	s_waitcnt vmcnt(0)
	s_delay_alu instid0(VALU_DEP_2)
	v_cmpx_o_f32_e32 v2, v2
	s_cbranch_execz .LBB504_1222
; %bb.1219:
	v_mov_b32_e32 v0, s11
	s_mov_b32 s14, exec_lo
	v_cmpx_neq_f32_e32 0x7f800000, v2
; %bb.1220:
	v_cmp_eq_f32_e32 vcc_lo, 0xff800000, v2
	v_cndmask_b32_e64 v0, v2, s2, vcc_lo
; %bb.1221:
	s_or_b32 exec_lo, exec_lo, s14
.LBB504_1222:
	s_delay_alu instid0(SALU_CYCLE_1) | instskip(SKIP_2) | instid1(VALU_DEP_4)
	s_or_b32 exec_lo, exec_lo, s0
	v_mov_b32_e32 v1, s10
	s_mov_b32 s0, exec_lo
	v_cmpx_o_f32_e32 v3, v3
	s_cbranch_execz .LBB504_1226
; %bb.1223:
	v_mov_b32_e32 v1, s11
	s_mov_b32 s14, exec_lo
	v_cmpx_neq_f32_e32 0x7f800000, v3
; %bb.1224:
	v_cmp_eq_f32_e32 vcc_lo, 0xff800000, v3
	v_cndmask_b32_e64 v1, v3, s2, vcc_lo
; %bb.1225:
	s_or_b32 exec_lo, exec_lo, s14
.LBB504_1226:
	s_delay_alu instid0(SALU_CYCLE_1) | instskip(SKIP_3) | instid1(VALU_DEP_1)
	s_or_b32 exec_lo, exec_lo, s0
	s_lshl_b32 s9, s9, 7
	v_cmp_gt_i16_e32 vcc_lo, 11, v11
	v_add_nc_u32_e32 v6, s9, v4
	v_ashrrev_i32_e32 v3, 31, v6
	v_add_co_u32 v2, s0, s6, v6
	s_delay_alu instid0(VALU_DEP_1)
	v_add_co_ci_u32_e64 v3, s0, s7, v3, s0
	s_cbranch_vccnz .LBB504_1233
; %bb.1227:
	v_cmp_lt_i16_e32 vcc_lo, 25, v11
	s_mov_b32 s14, 0
	s_cbranch_vccz .LBB504_1239
; %bb.1228:
	v_cmp_lt_i16_e32 vcc_lo, 28, v11
	s_cbranch_vccz .LBB504_1242
; %bb.1229:
	v_cmp_lt_i16_e32 vcc_lo, 43, v11
	;; [unrolled: 3-line block ×3, first 2 shown]
	s_cbranch_vccz .LBB504_1250
; %bb.1231:
	v_cmp_eq_u16_e32 vcc_lo, 46, v11
	s_mov_b32 s16, 0
	s_cbranch_vccz .LBB504_1295
; %bb.1232:
	global_load_b32 v4, v[2:3], off
	s_mov_b32 s0, 0
	s_mov_b32 s15, -1
	s_waitcnt vmcnt(0)
	v_and_b32_e32 v5, 0xffff0000, v4
	v_lshlrev_b32_e32 v4, 16, v4
	s_branch .LBB504_1297
.LBB504_1233:
	s_mov_b32 s15, 0
                                        ; implicit-def: $vgpr5
	s_cbranch_execz .LBB504_1365
; %bb.1234:
	v_cmp_gt_i16_e32 vcc_lo, 5, v11
	s_cbranch_vccnz .LBB504_1240
; %bb.1235:
	v_cmp_gt_i16_e32 vcc_lo, 8, v11
	s_cbranch_vccnz .LBB504_1243
	;; [unrolled: 3-line block ×3, first 2 shown]
; %bb.1237:
	v_cmp_lt_i16_e32 vcc_lo, 9, v11
	s_cbranch_vccz .LBB504_1251
; %bb.1238:
	global_load_b128 v[12:15], v[2:3], off
	s_mov_b32 s0, 0
	s_waitcnt vmcnt(0)
	v_cvt_f32_f64_e32 v4, v[12:13]
	v_cvt_f32_f64_e32 v5, v[14:15]
	s_branch .LBB504_1252
.LBB504_1239:
	s_mov_b32 s15, 0
	s_mov_b32 s0, 0
                                        ; implicit-def: $vgpr5
	s_cbranch_execnz .LBB504_1330
	s_branch .LBB504_1361
.LBB504_1240:
                                        ; implicit-def: $vgpr5
	s_branch .LBB504_1271
.LBB504_1241:
	s_branch .LBB504_1366
.LBB504_1242:
	s_mov_b32 s16, -1
	s_mov_b32 s15, 0
	s_mov_b32 s0, 0
                                        ; implicit-def: $vgpr5
	s_branch .LBB504_1309
.LBB504_1243:
	s_mov_b32 s0, -1
                                        ; implicit-def: $vgpr5
	s_branch .LBB504_1258
.LBB504_1244:
	s_mov_b32 s16, -1
	s_mov_b32 s15, 0
	s_mov_b32 s0, 0
                                        ; implicit-def: $vgpr5
	s_branch .LBB504_1303
.LBB504_1245:
	s_mov_b32 s0, -1
                                        ; implicit-def: $vgpr5
	s_branch .LBB504_1255
.LBB504_1246:
	s_cbranch_execnz .LBB504_1291
; %bb.1247:
	s_or_b32 s1, s13, exec_lo
                                        ; implicit-def: $vgpr3
	s_cbranch_execz .LBB504_1215
	s_branch .LBB504_1216
.LBB504_1248:
	s_or_saveexec_b32 s18, s18
                                        ; implicit-def: $sgpr19
	s_delay_alu instid0(SALU_CYCLE_1)
	s_xor_b32 exec_lo, exec_lo, s18
	s_cbranch_execz .LBB504_996
.LBB504_1249:
	v_add_f32_e64 v4, 0x46000000, |v0|
	s_and_not1_b32 s17, s17, exec_lo
	s_mov_b32 s19, 0
	s_delay_alu instid0(VALU_DEP_1) | instskip(NEXT) | instid1(VALU_DEP_1)
	v_and_b32_e32 v4, 0xff, v4
	v_cmp_ne_u32_e32 vcc_lo, 0, v4
	s_and_b32 s20, vcc_lo, exec_lo
	s_delay_alu instid0(SALU_CYCLE_1)
	s_or_b32 s17, s17, s20
	s_or_b32 exec_lo, exec_lo, s18
	v_mov_b32_e32 v5, s19
	s_and_saveexec_b32 s18, s17
	s_cbranch_execnz .LBB504_997
	s_branch .LBB504_998
.LBB504_1250:
	s_mov_b32 s16, -1
	s_mov_b32 s15, 0
	s_mov_b32 s0, 0
	s_branch .LBB504_1296
.LBB504_1251:
	s_mov_b32 s0, -1
                                        ; implicit-def: $vgpr5
.LBB504_1252:
	s_delay_alu instid0(SALU_CYCLE_1)
	s_and_not1_b32 vcc_lo, exec_lo, s0
	s_cbranch_vccnz .LBB504_1254
; %bb.1253:
	global_load_b64 v[4:5], v[2:3], off
.LBB504_1254:
	s_mov_b32 s0, 0
.LBB504_1255:
	s_delay_alu instid0(SALU_CYCLE_1)
	s_and_not1_b32 vcc_lo, exec_lo, s0
	s_cbranch_vccnz .LBB504_1257
; %bb.1256:
	global_load_b32 v4, v[2:3], off
	s_waitcnt vmcnt(0)
	v_lshrrev_b32_e32 v5, 16, v4
	v_cvt_f32_f16_e32 v4, v4
	s_delay_alu instid0(VALU_DEP_2)
	v_cvt_f32_f16_e32 v5, v5
.LBB504_1257:
	s_mov_b32 s0, 0
.LBB504_1258:
	s_delay_alu instid0(SALU_CYCLE_1)
	s_and_not1_b32 vcc_lo, exec_lo, s0
	s_cbranch_vccnz .LBB504_1270
; %bb.1259:
	v_cmp_gt_i16_e32 vcc_lo, 6, v11
	s_cbranch_vccnz .LBB504_1262
; %bb.1260:
	v_cmp_lt_i16_e32 vcc_lo, 6, v11
	s_cbranch_vccz .LBB504_1263
; %bb.1261:
	global_load_b64 v[4:5], v[2:3], off
	s_mov_b32 s14, 0
	s_mov_b32 s0, 0
	s_waitcnt vmcnt(0)
	v_cvt_f32_f64_e32 v4, v[4:5]
	s_branch .LBB504_1264
.LBB504_1262:
	s_mov_b32 s14, -1
                                        ; implicit-def: $sgpr0
                                        ; implicit-def: $vgpr4
	s_branch .LBB504_1267
.LBB504_1263:
	s_mov_b32 s14, -1
                                        ; implicit-def: $sgpr0
                                        ; implicit-def: $vgpr4
.LBB504_1264:
	s_delay_alu instid0(SALU_CYCLE_1)
	s_and_not1_b32 vcc_lo, exec_lo, s14
	s_cbranch_vccnz .LBB504_1266
; %bb.1265:
	global_load_b32 v4, v[2:3], off
	s_mov_b32 s0, 0
.LBB504_1266:
	s_mov_b32 s14, 0
.LBB504_1267:
	s_delay_alu instid0(SALU_CYCLE_1)
	s_and_not1_b32 vcc_lo, exec_lo, s14
	s_cbranch_vccnz .LBB504_1269
; %bb.1268:
	global_load_u16 v4, v[2:3], off
	s_mov_b32 s0, 0
	s_waitcnt vmcnt(0)
	v_cvt_f32_f16_e32 v4, v4
.LBB504_1269:
	s_waitcnt vmcnt(0)
	v_mov_b32_e32 v5, s0
.LBB504_1270:
	s_cbranch_execnz .LBB504_1241
.LBB504_1271:
	v_cmp_gt_i16_e32 vcc_lo, 2, v11
	s_cbranch_vccnz .LBB504_1275
; %bb.1272:
	v_cmp_gt_i16_e32 vcc_lo, 3, v11
	s_cbranch_vccnz .LBB504_1276
; %bb.1273:
	v_cmp_lt_i16_e32 vcc_lo, 3, v11
	s_cbranch_vccz .LBB504_1277
; %bb.1274:
	global_load_b64 v[4:5], v[2:3], off
	s_mov_b32 s14, 0
	s_mov_b32 s0, 0
	s_waitcnt vmcnt(0)
	v_xor_b32_e32 v7, v4, v5
	v_cls_i32_e32 v8, v5
	s_delay_alu instid0(VALU_DEP_2) | instskip(NEXT) | instid1(VALU_DEP_2)
	v_ashrrev_i32_e32 v7, 31, v7
	v_add_nc_u32_e32 v8, -1, v8
	s_delay_alu instid0(VALU_DEP_2) | instskip(NEXT) | instid1(VALU_DEP_1)
	v_add_nc_u32_e32 v7, 32, v7
	v_min_u32_e32 v7, v8, v7
	s_delay_alu instid0(VALU_DEP_1) | instskip(NEXT) | instid1(VALU_DEP_1)
	v_lshlrev_b64 v[4:5], v7, v[4:5]
	v_min_u32_e32 v4, 1, v4
	s_delay_alu instid0(VALU_DEP_1) | instskip(SKIP_1) | instid1(VALU_DEP_2)
	v_or_b32_e32 v4, v5, v4
	v_sub_nc_u32_e32 v5, 32, v7
	v_cvt_f32_i32_e32 v4, v4
	s_delay_alu instid0(VALU_DEP_1)
	v_ldexp_f32 v4, v4, v5
	s_branch .LBB504_1278
.LBB504_1275:
	s_mov_b32 s14, -1
                                        ; implicit-def: $sgpr0
                                        ; implicit-def: $vgpr4
	s_branch .LBB504_1284
.LBB504_1276:
	s_mov_b32 s14, -1
                                        ; implicit-def: $sgpr0
                                        ; implicit-def: $vgpr4
	s_branch .LBB504_1281
.LBB504_1277:
	s_mov_b32 s14, -1
                                        ; implicit-def: $sgpr0
                                        ; implicit-def: $vgpr4
.LBB504_1278:
	s_delay_alu instid0(SALU_CYCLE_1)
	s_and_not1_b32 vcc_lo, exec_lo, s14
	s_cbranch_vccnz .LBB504_1280
; %bb.1279:
	global_load_b32 v4, v[2:3], off
	s_mov_b32 s0, 0
	s_waitcnt vmcnt(0)
	v_cvt_f32_i32_e32 v4, v4
.LBB504_1280:
	s_mov_b32 s14, 0
.LBB504_1281:
	s_delay_alu instid0(SALU_CYCLE_1)
	s_and_not1_b32 vcc_lo, exec_lo, s14
	s_cbranch_vccnz .LBB504_1283
; %bb.1282:
	global_load_i16 v4, v[2:3], off
	s_mov_b32 s0, 0
	s_waitcnt vmcnt(0)
	v_cvt_f32_i32_e32 v4, v4
.LBB504_1283:
	s_mov_b32 s14, 0
.LBB504_1284:
	s_delay_alu instid0(SALU_CYCLE_1)
	s_and_not1_b32 vcc_lo, exec_lo, s14
	s_cbranch_vccnz .LBB504_1290
; %bb.1285:
	v_cmp_lt_i16_e32 vcc_lo, 0, v11
	s_mov_b32 s14, 0
	s_cbranch_vccz .LBB504_1287
; %bb.1286:
	global_load_i8 v4, v[2:3], off
	s_mov_b32 s0, 0
	s_waitcnt vmcnt(0)
	v_cvt_f32_i32_e32 v4, v4
	s_branch .LBB504_1288
.LBB504_1287:
	s_mov_b32 s14, -1
                                        ; implicit-def: $sgpr0
                                        ; implicit-def: $vgpr4
.LBB504_1288:
	s_delay_alu instid0(SALU_CYCLE_1)
	s_and_not1_b32 vcc_lo, exec_lo, s14
	s_cbranch_vccnz .LBB504_1290
; %bb.1289:
	global_load_u8 v2, v[2:3], off
	s_mov_b32 s0, 0
	s_waitcnt vmcnt(0)
	v_cvt_f32_ubyte0_e32 v4, v2
.LBB504_1290:
	s_waitcnt vmcnt(0)
	v_mov_b32_e32 v5, s0
	s_branch .LBB504_1366
.LBB504_1291:
	s_trap 2
	s_sendmsg_rtn_b32 s0, sendmsg(MSG_RTN_GET_DOORBELL)
	s_mov_b32 ttmp2, m0
	s_waitcnt lgkmcnt(0)
	s_and_b32 s0, s0, 0x3ff
	s_delay_alu instid0(SALU_CYCLE_1) | instskip(NEXT) | instid1(SALU_CYCLE_1)
	s_bitset1_b32 s0, 10
	s_mov_b32 m0, s0
	s_sendmsg sendmsg(MSG_INTERRUPT)
	s_mov_b32 m0, ttmp2
.LBB504_1292:                           ; =>This Inner Loop Header: Depth=1
	s_sethalt 5
	s_branch .LBB504_1292
.LBB504_1293:
	s_or_saveexec_b32 s19, s19
                                        ; implicit-def: $sgpr20
	s_delay_alu instid0(SALU_CYCLE_1)
	s_xor_b32 exec_lo, exec_lo, s19
	s_cbranch_execz .LBB504_1008
.LBB504_1294:
	v_add_f32_e64 v4, 0x42800000, |v0|
	s_and_not1_b32 s18, s18, exec_lo
	s_mov_b32 s20, 0
	s_delay_alu instid0(VALU_DEP_1) | instskip(NEXT) | instid1(VALU_DEP_1)
	v_and_b32_e32 v4, 0xff, v4
	v_cmp_ne_u32_e32 vcc_lo, 0, v4
	s_and_b32 s21, vcc_lo, exec_lo
	s_delay_alu instid0(SALU_CYCLE_1)
	s_or_b32 s18, s18, s21
	s_or_b32 exec_lo, exec_lo, s19
	v_mov_b32_e32 v5, s20
	s_and_saveexec_b32 s19, s18
	s_cbranch_execnz .LBB504_1009
	s_branch .LBB504_1010
.LBB504_1295:
	s_mov_b32 s0, -1
	s_mov_b32 s15, 0
.LBB504_1296:
                                        ; implicit-def: $vgpr5
.LBB504_1297:
	s_and_b32 vcc_lo, exec_lo, s16
	s_cbranch_vccz .LBB504_1302
; %bb.1298:
	v_cmp_eq_u16_e32 vcc_lo, 44, v11
	s_cbranch_vccz .LBB504_1300
; %bb.1299:
	global_load_u8 v4, v[2:3], off
	s_mov_b32 s0, 0
	s_mov_b32 s15, -1
	s_waitcnt vmcnt(0)
	v_lshlrev_b32_e32 v5, 23, v4
	v_cmp_ne_u32_e32 vcc_lo, 0xff, v4
	s_delay_alu instid0(VALU_DEP_2) | instskip(SKIP_1) | instid1(VALU_DEP_2)
	v_cndmask_b32_e32 v5, 0x7f800001, v5, vcc_lo
	v_cmp_ne_u32_e32 vcc_lo, 0, v4
	v_cndmask_b32_e32 v4, 0x400000, v5, vcc_lo
	s_branch .LBB504_1301
.LBB504_1300:
	s_mov_b32 s0, -1
                                        ; implicit-def: $vgpr4
.LBB504_1301:
	s_delay_alu instid0(SALU_CYCLE_1)
	v_mov_b32_e32 v5, s0
.LBB504_1302:
	s_mov_b32 s16, 0
.LBB504_1303:
	s_delay_alu instid0(SALU_CYCLE_1)
	s_and_b32 vcc_lo, exec_lo, s16
	s_cbranch_vccz .LBB504_1308
; %bb.1304:
	v_cmp_eq_u16_e32 vcc_lo, 29, v11
	s_cbranch_vccz .LBB504_1306
; %bb.1305:
	global_load_b64 v[4:5], v[2:3], off
	s_mov_b32 s0, 0
	s_mov_b32 s15, -1
	s_mov_b32 s16, 0
	s_waitcnt vmcnt(0)
	v_clz_i32_u32_e32 v7, v5
	s_delay_alu instid0(VALU_DEP_1) | instskip(NEXT) | instid1(VALU_DEP_1)
	v_min_u32_e32 v7, 32, v7
	v_lshlrev_b64 v[4:5], v7, v[4:5]
	s_delay_alu instid0(VALU_DEP_1) | instskip(NEXT) | instid1(VALU_DEP_1)
	v_min_u32_e32 v4, 1, v4
	v_or_b32_e32 v4, v5, v4
	v_sub_nc_u32_e32 v5, 32, v7
	s_delay_alu instid0(VALU_DEP_2) | instskip(NEXT) | instid1(VALU_DEP_1)
	v_cvt_f32_u32_e32 v4, v4
	v_ldexp_f32 v4, v4, v5
	s_branch .LBB504_1307
.LBB504_1306:
	s_mov_b32 s0, -1
                                        ; implicit-def: $sgpr16
                                        ; implicit-def: $vgpr4
.LBB504_1307:
	v_mov_b32_e32 v5, s16
.LBB504_1308:
	s_mov_b32 s16, 0
.LBB504_1309:
	s_delay_alu instid0(SALU_CYCLE_1)
	s_and_b32 vcc_lo, exec_lo, s16
	s_cbranch_vccz .LBB504_1329
; %bb.1310:
	v_cmp_gt_i16_e32 vcc_lo, 27, v11
	s_cbranch_vccnz .LBB504_1313
; %bb.1311:
	v_cmp_lt_i16_e32 vcc_lo, 27, v11
	s_cbranch_vccz .LBB504_1314
; %bb.1312:
	global_load_b32 v4, v[2:3], off
	s_mov_b32 s16, 0
	s_mov_b32 s15, 0
	s_waitcnt vmcnt(0)
	v_cvt_f32_u32_e32 v4, v4
	s_branch .LBB504_1315
.LBB504_1313:
	s_mov_b32 s16, -1
                                        ; implicit-def: $sgpr15
                                        ; implicit-def: $vgpr4
	s_branch .LBB504_1318
.LBB504_1314:
	s_mov_b32 s16, -1
                                        ; implicit-def: $sgpr15
                                        ; implicit-def: $vgpr4
.LBB504_1315:
	s_delay_alu instid0(SALU_CYCLE_1)
	s_and_not1_b32 vcc_lo, exec_lo, s16
	s_cbranch_vccnz .LBB504_1317
; %bb.1316:
	global_load_u16 v4, v[2:3], off
	s_mov_b32 s15, 0
	s_waitcnt vmcnt(0)
	v_cvt_f32_u32_e32 v4, v4
.LBB504_1317:
	s_mov_b32 s16, 0
.LBB504_1318:
	v_mov_b32_e32 v5, s15
	s_and_not1_b32 vcc_lo, exec_lo, s16
	s_cbranch_vccnz .LBB504_1328
; %bb.1319:
	global_load_u8 v7, v[2:3], off
	s_mov_b32 s15, 0
	s_mov_b32 s18, exec_lo
                                        ; implicit-def: $sgpr17
                                        ; implicit-def: $sgpr16
	s_waitcnt vmcnt(0)
	v_cmpx_lt_i16_e32 0x7f, v7
	s_xor_b32 s18, exec_lo, s18
	s_cbranch_execz .LBB504_1323
; %bb.1320:
	s_mov_b32 s15, -1
	s_mov_b32 s19, exec_lo
                                        ; implicit-def: $sgpr17
                                        ; implicit-def: $sgpr16
	v_cmpx_eq_u16_e32 0x80, v7
; %bb.1321:
	s_mov_b32 s16, 0x7f800001
	s_mov_b32 s17, 0
	s_xor_b32 s15, exec_lo, -1
; %bb.1322:
	s_or_b32 exec_lo, exec_lo, s19
	s_delay_alu instid0(SALU_CYCLE_1)
	s_and_b32 s15, s15, exec_lo
.LBB504_1323:
	s_or_saveexec_b32 s18, s18
	v_dual_mov_b32 v5, s17 :: v_dual_mov_b32 v4, s16
	s_xor_b32 exec_lo, exec_lo, s18
; %bb.1324:
	v_mov_b32_e32 v5, 0
	v_cmp_ne_u16_e32 vcc_lo, 0, v7
	s_and_not1_b32 s15, s15, exec_lo
	s_delay_alu instid0(VALU_DEP_2) | instskip(SKIP_1) | instid1(SALU_CYCLE_1)
	v_mov_b32_e32 v4, v5
	s_and_b32 s16, vcc_lo, exec_lo
	s_or_b32 s15, s15, s16
; %bb.1325:
	s_or_b32 exec_lo, exec_lo, s18
	s_and_saveexec_b32 s16, s15
	s_cbranch_execz .LBB504_1327
; %bb.1326:
	v_and_b32_e32 v4, 0xffff, v7
	v_lshlrev_b32_e32 v7, 24, v7
	s_delay_alu instid0(VALU_DEP_2) | instskip(NEXT) | instid1(VALU_DEP_2)
	v_and_b32_e32 v5, 7, v4
	v_and_b32_e32 v7, 0x80000000, v7
	s_delay_alu instid0(VALU_DEP_2) | instskip(NEXT) | instid1(VALU_DEP_1)
	v_clz_i32_u32_e32 v8, v5
	v_min_u32_e32 v8, 32, v8
	s_delay_alu instid0(VALU_DEP_1) | instskip(SKIP_1) | instid1(VALU_DEP_2)
	v_subrev_nc_u32_e32 v9, 28, v8
	v_sub_nc_u32_e32 v8, 29, v8
	v_lshlrev_b32_e32 v9, v9, v4
	v_bfe_u32 v4, v4, 3, 4
	s_delay_alu instid0(VALU_DEP_1) | instskip(NEXT) | instid1(VALU_DEP_3)
	v_cmp_eq_u32_e32 vcc_lo, 0, v4
	v_dual_cndmask_b32 v4, v4, v8 :: v_dual_and_b32 v9, 7, v9
	s_delay_alu instid0(VALU_DEP_1) | instskip(NEXT) | instid1(VALU_DEP_2)
	v_cndmask_b32_e32 v5, v5, v9, vcc_lo
	v_lshl_add_u32 v4, v4, 23, 0x3b800000
	s_delay_alu instid0(VALU_DEP_2) | instskip(NEXT) | instid1(VALU_DEP_1)
	v_lshlrev_b32_e32 v5, 20, v5
	v_or3_b32 v4, v7, v4, v5
	v_mov_b32_e32 v5, 0
.LBB504_1327:
	s_or_b32 exec_lo, exec_lo, s16
.LBB504_1328:
	s_mov_b32 s15, -1
.LBB504_1329:
	s_branch .LBB504_1361
.LBB504_1330:
	v_cmp_lt_i16_e32 vcc_lo, 22, v11
	s_cbranch_vccz .LBB504_1342
; %bb.1331:
	v_cmp_gt_i16_e32 vcc_lo, 24, v11
	s_cbranch_vccnz .LBB504_1343
; %bb.1332:
	v_cmp_lt_i16_e32 vcc_lo, 24, v11
	s_cbranch_vccz .LBB504_1344
; %bb.1333:
	global_load_u8 v7, v[2:3], off
	s_mov_b32 s17, exec_lo
                                        ; implicit-def: $sgpr16
                                        ; implicit-def: $sgpr15
	s_waitcnt vmcnt(0)
	v_cmpx_lt_i16_e32 0x7f, v7
	s_xor_b32 s17, exec_lo, s17
	s_cbranch_execz .LBB504_1337
; %bb.1334:
	s_mov_b32 s14, -1
	s_mov_b32 s18, exec_lo
                                        ; implicit-def: $sgpr16
                                        ; implicit-def: $sgpr15
	v_cmpx_eq_u16_e32 0x80, v7
; %bb.1335:
	s_mov_b32 s15, 0x7f800001
	s_mov_b32 s16, 0
	s_xor_b32 s14, exec_lo, -1
; %bb.1336:
	s_or_b32 exec_lo, exec_lo, s18
	s_delay_alu instid0(SALU_CYCLE_1)
	s_and_b32 s14, s14, exec_lo
.LBB504_1337:
	s_or_saveexec_b32 s17, s17
	v_dual_mov_b32 v5, s16 :: v_dual_mov_b32 v4, s15
	s_xor_b32 exec_lo, exec_lo, s17
; %bb.1338:
	v_mov_b32_e32 v5, 0
	v_cmp_ne_u16_e32 vcc_lo, 0, v7
	s_and_not1_b32 s14, s14, exec_lo
	s_delay_alu instid0(VALU_DEP_2) | instskip(SKIP_1) | instid1(SALU_CYCLE_1)
	v_mov_b32_e32 v4, v5
	s_and_b32 s15, vcc_lo, exec_lo
	s_or_b32 s14, s14, s15
; %bb.1339:
	s_or_b32 exec_lo, exec_lo, s17
	s_and_saveexec_b32 s15, s14
	s_cbranch_execz .LBB504_1341
; %bb.1340:
	v_and_b32_e32 v4, 0xffff, v7
	v_lshlrev_b32_e32 v7, 24, v7
	s_delay_alu instid0(VALU_DEP_2) | instskip(NEXT) | instid1(VALU_DEP_2)
	v_and_b32_e32 v5, 3, v4
	v_and_b32_e32 v7, 0x80000000, v7
	s_delay_alu instid0(VALU_DEP_2) | instskip(NEXT) | instid1(VALU_DEP_1)
	v_clz_i32_u32_e32 v8, v5
	v_min_u32_e32 v8, 32, v8
	s_delay_alu instid0(VALU_DEP_1) | instskip(SKIP_1) | instid1(VALU_DEP_2)
	v_subrev_nc_u32_e32 v9, 29, v8
	v_sub_nc_u32_e32 v8, 30, v8
	v_lshlrev_b32_e32 v9, v9, v4
	v_bfe_u32 v4, v4, 2, 5
	s_delay_alu instid0(VALU_DEP_1) | instskip(NEXT) | instid1(VALU_DEP_3)
	v_cmp_eq_u32_e32 vcc_lo, 0, v4
	v_dual_cndmask_b32 v4, v4, v8 :: v_dual_and_b32 v9, 3, v9
	s_delay_alu instid0(VALU_DEP_1) | instskip(NEXT) | instid1(VALU_DEP_2)
	v_cndmask_b32_e32 v5, v5, v9, vcc_lo
	v_lshl_add_u32 v4, v4, 23, 0x37800000
	s_delay_alu instid0(VALU_DEP_2) | instskip(NEXT) | instid1(VALU_DEP_1)
	v_lshlrev_b32_e32 v5, 21, v5
	v_or3_b32 v4, v7, v4, v5
	v_mov_b32_e32 v5, 0
.LBB504_1341:
	s_or_b32 exec_lo, exec_lo, s15
	s_mov_b32 s14, 0
	s_branch .LBB504_1345
.LBB504_1342:
	s_mov_b32 s14, -1
                                        ; implicit-def: $vgpr5
	s_branch .LBB504_1351
.LBB504_1343:
	s_mov_b32 s14, -1
                                        ; implicit-def: $vgpr5
	s_branch .LBB504_1348
.LBB504_1344:
	s_mov_b32 s14, -1
                                        ; implicit-def: $vgpr5
.LBB504_1345:
	s_delay_alu instid0(SALU_CYCLE_1)
	s_and_b32 vcc_lo, exec_lo, s14
	s_cbranch_vccz .LBB504_1347
; %bb.1346:
	global_load_u8 v4, v[2:3], off
	s_waitcnt vmcnt(0)
	v_lshlrev_b32_e32 v4, 24, v4
	s_delay_alu instid0(VALU_DEP_1) | instskip(NEXT) | instid1(VALU_DEP_1)
	v_and_b32_e32 v5, 0x7f000000, v4
	v_clz_i32_u32_e32 v7, v5
	v_add_nc_u32_e32 v9, 0x1000000, v5
	v_cmp_ne_u32_e32 vcc_lo, 0, v5
	s_delay_alu instid0(VALU_DEP_3) | instskip(NEXT) | instid1(VALU_DEP_1)
	v_min_u32_e32 v7, 32, v7
	v_sub_nc_u32_e64 v7, v7, 4 clamp
	s_delay_alu instid0(VALU_DEP_1) | instskip(SKIP_1) | instid1(VALU_DEP_2)
	v_lshlrev_b32_e32 v8, v7, v5
	v_lshlrev_b32_e32 v7, 23, v7
	v_lshrrev_b32_e32 v8, 4, v8
	s_delay_alu instid0(VALU_DEP_1) | instskip(SKIP_1) | instid1(VALU_DEP_2)
	v_sub_nc_u32_e32 v7, v8, v7
	v_ashrrev_i32_e32 v8, 8, v9
	v_add_nc_u32_e32 v7, 0x3c000000, v7
	s_delay_alu instid0(VALU_DEP_1) | instskip(NEXT) | instid1(VALU_DEP_1)
	v_and_or_b32 v7, 0x7f800000, v8, v7
	v_cndmask_b32_e32 v5, 0, v7, vcc_lo
	s_delay_alu instid0(VALU_DEP_1)
	v_and_or_b32 v4, 0x80000000, v4, v5
	v_mov_b32_e32 v5, 0
.LBB504_1347:
	s_mov_b32 s14, 0
.LBB504_1348:
	s_delay_alu instid0(SALU_CYCLE_1)
	s_and_not1_b32 vcc_lo, exec_lo, s14
	s_cbranch_vccnz .LBB504_1350
; %bb.1349:
	global_load_u8 v4, v[2:3], off
	s_waitcnt vmcnt(0)
	v_lshlrev_b32_e32 v5, 25, v4
	v_lshlrev_b16 v4, 8, v4
	s_delay_alu instid0(VALU_DEP_2) | instskip(NEXT) | instid1(VALU_DEP_2)
	v_lshrrev_b32_e32 v7, 4, v5
	v_and_or_b32 v8, 0x7f00, v4, 0.5
	v_cmp_gt_u32_e32 vcc_lo, 0x8000000, v5
	v_bfe_i32 v4, v4, 0, 16
	s_delay_alu instid0(VALU_DEP_4) | instskip(NEXT) | instid1(VALU_DEP_1)
	v_or_b32_e32 v7, 0x70000000, v7
	v_dual_add_f32 v8, -0.5, v8 :: v_dual_mul_f32 v7, 0x7800000, v7
	s_delay_alu instid0(VALU_DEP_1) | instskip(NEXT) | instid1(VALU_DEP_1)
	v_cndmask_b32_e32 v5, v7, v8, vcc_lo
	v_and_or_b32 v4, 0x80000000, v4, v5
	v_mov_b32_e32 v5, 0
.LBB504_1350:
	s_mov_b32 s14, 0
	s_mov_b32 s15, -1
.LBB504_1351:
	s_and_not1_b32 vcc_lo, exec_lo, s14
	s_mov_b32 s14, 0
	s_cbranch_vccnz .LBB504_1361
; %bb.1352:
	v_cmp_lt_i16_e32 vcc_lo, 14, v11
	s_cbranch_vccz .LBB504_1355
; %bb.1353:
	v_cmp_eq_u16_e32 vcc_lo, 15, v11
	s_cbranch_vccz .LBB504_1356
; %bb.1354:
	global_load_u16 v4, v[2:3], off
	s_mov_b32 s0, 0
	s_mov_b32 s15, -1
	s_mov_b32 s16, 0
	s_waitcnt vmcnt(0)
	v_lshlrev_b32_e32 v4, 16, v4
	s_branch .LBB504_1358
.LBB504_1355:
	s_mov_b32 s14, -1
	s_branch .LBB504_1357
.LBB504_1356:
	s_mov_b32 s0, -1
.LBB504_1357:
                                        ; implicit-def: $sgpr16
                                        ; implicit-def: $vgpr4
.LBB504_1358:
	s_and_b32 vcc_lo, exec_lo, s14
	s_mov_b32 s14, 0
	s_cbranch_vccz .LBB504_1360
; %bb.1359:
	v_cmp_ne_u16_e64 s0, 11, v11
	s_mov_b32 s14, -1
                                        ; implicit-def: $sgpr16
                                        ; implicit-def: $vgpr4
.LBB504_1360:
	v_mov_b32_e32 v5, s16
.LBB504_1361:
	s_delay_alu instid0(VALU_DEP_2)
	s_and_b32 vcc_lo, exec_lo, s0
	s_cbranch_vccnz .LBB504_1393
; %bb.1362:
	s_and_not1_b32 vcc_lo, exec_lo, s14
	s_cbranch_vccnz .LBB504_1364
.LBB504_1363:
	global_load_u8 v4, v[2:3], off
	v_mov_b32_e32 v5, 0
	s_mov_b32 s15, -1
	s_waitcnt vmcnt(0)
	v_cmp_ne_u16_e32 vcc_lo, 0, v4
	v_cndmask_b32_e64 v4, 0, 1.0, vcc_lo
.LBB504_1364:
.LBB504_1365:
	s_and_not1_b32 vcc_lo, exec_lo, s15
	s_cbranch_vccnz .LBB504_1745
.LBB504_1366:
	v_mov_b32_e32 v2, s10
	s_mov_b32 s0, exec_lo
	s_waitcnt vmcnt(0)
	s_delay_alu instid0(VALU_DEP_2)
	v_cmpx_o_f32_e32 v4, v4
	s_cbranch_execz .LBB504_1370
; %bb.1367:
	v_mov_b32_e32 v2, s11
	s_mov_b32 s14, exec_lo
	v_cmpx_neq_f32_e32 0x7f800000, v4
; %bb.1368:
	v_cmp_eq_f32_e32 vcc_lo, 0xff800000, v4
	v_cndmask_b32_e64 v2, v4, s2, vcc_lo
; %bb.1369:
	s_or_b32 exec_lo, exec_lo, s14
.LBB504_1370:
	s_delay_alu instid0(SALU_CYCLE_1) | instskip(SKIP_2) | instid1(VALU_DEP_4)
	s_or_b32 exec_lo, exec_lo, s0
	v_mov_b32_e32 v3, s10
	s_mov_b32 s0, exec_lo
	v_cmpx_o_f32_e32 v5, v5
	s_cbranch_execz .LBB504_1374
; %bb.1371:
	v_mov_b32_e32 v3, s11
	s_mov_b32 s14, exec_lo
	v_cmpx_neq_f32_e32 0x7f800000, v5
; %bb.1372:
	v_cmp_eq_f32_e32 vcc_lo, 0xff800000, v5
	v_cndmask_b32_e64 v3, v5, s2, vcc_lo
; %bb.1373:
	s_or_b32 exec_lo, exec_lo, s14
.LBB504_1374:
	s_delay_alu instid0(SALU_CYCLE_1) | instskip(SKIP_2) | instid1(VALU_DEP_2)
	s_or_b32 exec_lo, exec_lo, s0
	v_add_nc_u32_e32 v8, s9, v6
	v_cmp_gt_i16_e32 vcc_lo, 11, v11
	v_ashrrev_i32_e32 v5, 31, v8
	v_add_co_u32 v4, s0, s6, v8
	s_delay_alu instid0(VALU_DEP_1)
	v_add_co_ci_u32_e64 v5, s0, s7, v5, s0
	s_cbranch_vccnz .LBB504_1381
; %bb.1375:
	v_cmp_lt_i16_e32 vcc_lo, 25, v11
	s_mov_b32 s14, 0
	s_cbranch_vccz .LBB504_1387
; %bb.1376:
	v_cmp_lt_i16_e32 vcc_lo, 28, v11
	s_cbranch_vccz .LBB504_1389
; %bb.1377:
	v_cmp_lt_i16_e32 vcc_lo, 43, v11
	;; [unrolled: 3-line block ×3, first 2 shown]
	s_cbranch_vccz .LBB504_1395
; %bb.1379:
	v_cmp_eq_u16_e32 vcc_lo, 46, v11
	s_mov_b32 s16, 0
	s_cbranch_vccz .LBB504_1440
; %bb.1380:
	global_load_b32 v6, v[4:5], off
	s_mov_b32 s0, 0
	s_mov_b32 s15, -1
	s_waitcnt vmcnt(0)
	v_and_b32_e32 v7, 0xffff0000, v6
	v_lshlrev_b32_e32 v6, 16, v6
	s_branch .LBB504_1442
.LBB504_1381:
	s_mov_b32 s15, 0
                                        ; implicit-def: $vgpr7
	s_cbranch_execz .LBB504_1511
; %bb.1382:
	v_cmp_gt_i16_e32 vcc_lo, 5, v11
	s_cbranch_vccnz .LBB504_1388
; %bb.1383:
	v_cmp_gt_i16_e32 vcc_lo, 8, v11
	s_cbranch_vccnz .LBB504_1390
; %bb.1384:
	v_cmp_gt_i16_e32 vcc_lo, 9, v11
	s_cbranch_vccnz .LBB504_1392
; %bb.1385:
	v_cmp_lt_i16_e32 vcc_lo, 9, v11
	s_cbranch_vccz .LBB504_1396
; %bb.1386:
	global_load_b128 v[12:15], v[4:5], off
	s_mov_b32 s0, 0
	s_waitcnt vmcnt(0)
	v_cvt_f32_f64_e32 v6, v[12:13]
	v_cvt_f32_f64_e32 v7, v[14:15]
	s_branch .LBB504_1397
.LBB504_1387:
	s_mov_b32 s16, -1
	s_mov_b32 s15, 0
	s_mov_b32 s0, 0
                                        ; implicit-def: $vgpr7
	s_branch .LBB504_1475
.LBB504_1388:
	s_mov_b32 s0, -1
                                        ; implicit-def: $vgpr7
	s_branch .LBB504_1416
.LBB504_1389:
	s_mov_b32 s16, -1
	s_mov_b32 s15, 0
	s_mov_b32 s0, 0
                                        ; implicit-def: $vgpr7
	s_branch .LBB504_1454
.LBB504_1390:
	s_mov_b32 s0, -1
                                        ; implicit-def: $vgpr7
	s_branch .LBB504_1403
.LBB504_1391:
	s_mov_b32 s16, -1
	s_mov_b32 s15, 0
	s_mov_b32 s0, 0
                                        ; implicit-def: $vgpr7
	s_branch .LBB504_1448
.LBB504_1392:
	s_mov_b32 s0, -1
                                        ; implicit-def: $vgpr7
	s_branch .LBB504_1400
.LBB504_1393:
	s_cbranch_execnz .LBB504_1438
; %bb.1394:
	s_or_b32 s1, s1, exec_lo
                                        ; implicit-def: $vgpr5
	s_cbranch_execz .LBB504_1363
	s_branch .LBB504_1364
.LBB504_1395:
	s_mov_b32 s16, -1
	s_mov_b32 s15, 0
	s_mov_b32 s0, 0
	s_branch .LBB504_1441
.LBB504_1396:
	s_mov_b32 s0, -1
                                        ; implicit-def: $vgpr7
.LBB504_1397:
	s_delay_alu instid0(SALU_CYCLE_1)
	s_and_not1_b32 vcc_lo, exec_lo, s0
	s_cbranch_vccnz .LBB504_1399
; %bb.1398:
	global_load_b64 v[6:7], v[4:5], off
.LBB504_1399:
	s_mov_b32 s0, 0
.LBB504_1400:
	s_delay_alu instid0(SALU_CYCLE_1)
	s_and_not1_b32 vcc_lo, exec_lo, s0
	s_cbranch_vccnz .LBB504_1402
; %bb.1401:
	global_load_b32 v6, v[4:5], off
	s_waitcnt vmcnt(0)
	v_lshrrev_b32_e32 v7, 16, v6
	v_cvt_f32_f16_e32 v6, v6
	s_delay_alu instid0(VALU_DEP_2)
	v_cvt_f32_f16_e32 v7, v7
.LBB504_1402:
	s_mov_b32 s0, 0
.LBB504_1403:
	s_delay_alu instid0(SALU_CYCLE_1)
	s_and_not1_b32 vcc_lo, exec_lo, s0
	s_cbranch_vccnz .LBB504_1415
; %bb.1404:
	v_cmp_gt_i16_e32 vcc_lo, 6, v11
	s_cbranch_vccnz .LBB504_1407
; %bb.1405:
	v_cmp_lt_i16_e32 vcc_lo, 6, v11
	s_cbranch_vccz .LBB504_1408
; %bb.1406:
	global_load_b64 v[6:7], v[4:5], off
	s_mov_b32 s14, 0
	s_mov_b32 s0, 0
	s_waitcnt vmcnt(0)
	v_cvt_f32_f64_e32 v6, v[6:7]
	s_branch .LBB504_1409
.LBB504_1407:
	s_mov_b32 s14, -1
                                        ; implicit-def: $sgpr0
                                        ; implicit-def: $vgpr6
	s_branch .LBB504_1412
.LBB504_1408:
	s_mov_b32 s14, -1
                                        ; implicit-def: $sgpr0
                                        ; implicit-def: $vgpr6
.LBB504_1409:
	s_delay_alu instid0(SALU_CYCLE_1)
	s_and_not1_b32 vcc_lo, exec_lo, s14
	s_cbranch_vccnz .LBB504_1411
; %bb.1410:
	global_load_b32 v6, v[4:5], off
	s_mov_b32 s0, 0
.LBB504_1411:
	s_mov_b32 s14, 0
.LBB504_1412:
	s_delay_alu instid0(SALU_CYCLE_1)
	s_and_not1_b32 vcc_lo, exec_lo, s14
	s_cbranch_vccnz .LBB504_1414
; %bb.1413:
	global_load_u16 v6, v[4:5], off
	s_mov_b32 s0, 0
	s_waitcnt vmcnt(0)
	v_cvt_f32_f16_e32 v6, v6
.LBB504_1414:
	s_waitcnt vmcnt(0)
	v_mov_b32_e32 v7, s0
.LBB504_1415:
	s_mov_b32 s0, 0
.LBB504_1416:
	s_delay_alu instid0(SALU_CYCLE_1)
	s_and_not1_b32 vcc_lo, exec_lo, s0
	s_cbranch_vccnz .LBB504_1437
; %bb.1417:
	v_cmp_gt_i16_e32 vcc_lo, 2, v11
	s_cbranch_vccnz .LBB504_1421
; %bb.1418:
	v_cmp_gt_i16_e32 vcc_lo, 3, v11
	s_cbranch_vccnz .LBB504_1422
; %bb.1419:
	v_cmp_lt_i16_e32 vcc_lo, 3, v11
	s_cbranch_vccz .LBB504_1423
; %bb.1420:
	global_load_b64 v[6:7], v[4:5], off
	s_mov_b32 s14, 0
	s_mov_b32 s0, 0
	s_waitcnt vmcnt(0)
	v_xor_b32_e32 v9, v6, v7
	v_cls_i32_e32 v12, v7
	s_delay_alu instid0(VALU_DEP_2) | instskip(NEXT) | instid1(VALU_DEP_2)
	v_ashrrev_i32_e32 v9, 31, v9
	v_add_nc_u32_e32 v12, -1, v12
	s_delay_alu instid0(VALU_DEP_2) | instskip(NEXT) | instid1(VALU_DEP_1)
	v_add_nc_u32_e32 v9, 32, v9
	v_min_u32_e32 v9, v12, v9
	s_delay_alu instid0(VALU_DEP_1) | instskip(NEXT) | instid1(VALU_DEP_1)
	v_lshlrev_b64 v[6:7], v9, v[6:7]
	v_min_u32_e32 v6, 1, v6
	s_delay_alu instid0(VALU_DEP_1) | instskip(SKIP_1) | instid1(VALU_DEP_2)
	v_or_b32_e32 v6, v7, v6
	v_sub_nc_u32_e32 v7, 32, v9
	v_cvt_f32_i32_e32 v6, v6
	s_delay_alu instid0(VALU_DEP_1)
	v_ldexp_f32 v6, v6, v7
	s_branch .LBB504_1424
.LBB504_1421:
	s_mov_b32 s14, -1
                                        ; implicit-def: $sgpr0
                                        ; implicit-def: $vgpr6
	s_branch .LBB504_1430
.LBB504_1422:
	s_mov_b32 s14, -1
                                        ; implicit-def: $sgpr0
                                        ; implicit-def: $vgpr6
	s_branch .LBB504_1427
.LBB504_1423:
	s_mov_b32 s14, -1
                                        ; implicit-def: $sgpr0
                                        ; implicit-def: $vgpr6
.LBB504_1424:
	s_delay_alu instid0(SALU_CYCLE_1)
	s_and_not1_b32 vcc_lo, exec_lo, s14
	s_cbranch_vccnz .LBB504_1426
; %bb.1425:
	global_load_b32 v6, v[4:5], off
	s_mov_b32 s0, 0
	s_waitcnt vmcnt(0)
	v_cvt_f32_i32_e32 v6, v6
.LBB504_1426:
	s_mov_b32 s14, 0
.LBB504_1427:
	s_delay_alu instid0(SALU_CYCLE_1)
	s_and_not1_b32 vcc_lo, exec_lo, s14
	s_cbranch_vccnz .LBB504_1429
; %bb.1428:
	global_load_i16 v6, v[4:5], off
	s_mov_b32 s0, 0
	s_waitcnt vmcnt(0)
	v_cvt_f32_i32_e32 v6, v6
.LBB504_1429:
	s_mov_b32 s14, 0
.LBB504_1430:
	s_delay_alu instid0(SALU_CYCLE_1)
	s_and_not1_b32 vcc_lo, exec_lo, s14
	s_cbranch_vccnz .LBB504_1436
; %bb.1431:
	v_cmp_lt_i16_e32 vcc_lo, 0, v11
	s_mov_b32 s14, 0
	s_cbranch_vccz .LBB504_1433
; %bb.1432:
	global_load_i8 v6, v[4:5], off
	s_mov_b32 s0, 0
	s_waitcnt vmcnt(0)
	v_cvt_f32_i32_e32 v6, v6
	s_branch .LBB504_1434
.LBB504_1433:
	s_mov_b32 s14, -1
                                        ; implicit-def: $sgpr0
                                        ; implicit-def: $vgpr6
.LBB504_1434:
	s_delay_alu instid0(SALU_CYCLE_1)
	s_and_not1_b32 vcc_lo, exec_lo, s14
	s_cbranch_vccnz .LBB504_1436
; %bb.1435:
	global_load_u8 v4, v[4:5], off
	s_mov_b32 s0, 0
	s_waitcnt vmcnt(0)
	v_cvt_f32_ubyte0_e32 v6, v4
.LBB504_1436:
	s_waitcnt vmcnt(0)
	v_mov_b32_e32 v7, s0
.LBB504_1437:
	s_branch .LBB504_1512
.LBB504_1438:
	s_trap 2
	s_sendmsg_rtn_b32 s0, sendmsg(MSG_RTN_GET_DOORBELL)
	s_mov_b32 ttmp2, m0
	s_waitcnt lgkmcnt(0)
	s_and_b32 s0, s0, 0x3ff
	s_delay_alu instid0(SALU_CYCLE_1) | instskip(NEXT) | instid1(SALU_CYCLE_1)
	s_bitset1_b32 s0, 10
	s_mov_b32 m0, s0
	s_sendmsg sendmsg(MSG_INTERRUPT)
	s_mov_b32 m0, ttmp2
.LBB504_1439:                           ; =>This Inner Loop Header: Depth=1
	s_sethalt 5
	s_branch .LBB504_1439
.LBB504_1440:
	s_mov_b32 s0, -1
	s_mov_b32 s15, 0
.LBB504_1441:
                                        ; implicit-def: $vgpr7
.LBB504_1442:
	s_and_b32 vcc_lo, exec_lo, s16
	s_cbranch_vccz .LBB504_1447
; %bb.1443:
	v_cmp_eq_u16_e32 vcc_lo, 44, v11
	s_cbranch_vccz .LBB504_1445
; %bb.1444:
	global_load_u8 v6, v[4:5], off
	s_mov_b32 s0, 0
	s_mov_b32 s15, -1
	s_waitcnt vmcnt(0)
	v_lshlrev_b32_e32 v7, 23, v6
	v_cmp_ne_u32_e32 vcc_lo, 0xff, v6
	s_delay_alu instid0(VALU_DEP_2) | instskip(SKIP_1) | instid1(VALU_DEP_2)
	v_cndmask_b32_e32 v7, 0x7f800001, v7, vcc_lo
	v_cmp_ne_u32_e32 vcc_lo, 0, v6
	v_cndmask_b32_e32 v6, 0x400000, v7, vcc_lo
	s_branch .LBB504_1446
.LBB504_1445:
	s_mov_b32 s0, -1
                                        ; implicit-def: $vgpr6
.LBB504_1446:
	s_delay_alu instid0(SALU_CYCLE_1)
	v_mov_b32_e32 v7, s0
.LBB504_1447:
	s_mov_b32 s16, 0
.LBB504_1448:
	s_delay_alu instid0(SALU_CYCLE_1)
	s_and_b32 vcc_lo, exec_lo, s16
	s_cbranch_vccz .LBB504_1453
; %bb.1449:
	v_cmp_eq_u16_e32 vcc_lo, 29, v11
	s_cbranch_vccz .LBB504_1451
; %bb.1450:
	global_load_b64 v[6:7], v[4:5], off
	s_mov_b32 s0, 0
	s_mov_b32 s15, -1
	s_mov_b32 s16, 0
	s_waitcnt vmcnt(0)
	v_clz_i32_u32_e32 v9, v7
	s_delay_alu instid0(VALU_DEP_1) | instskip(NEXT) | instid1(VALU_DEP_1)
	v_min_u32_e32 v9, 32, v9
	v_lshlrev_b64 v[6:7], v9, v[6:7]
	s_delay_alu instid0(VALU_DEP_1) | instskip(NEXT) | instid1(VALU_DEP_1)
	v_min_u32_e32 v6, 1, v6
	v_or_b32_e32 v6, v7, v6
	v_sub_nc_u32_e32 v7, 32, v9
	s_delay_alu instid0(VALU_DEP_2) | instskip(NEXT) | instid1(VALU_DEP_1)
	v_cvt_f32_u32_e32 v6, v6
	v_ldexp_f32 v6, v6, v7
	s_branch .LBB504_1452
.LBB504_1451:
	s_mov_b32 s0, -1
                                        ; implicit-def: $sgpr16
                                        ; implicit-def: $vgpr6
.LBB504_1452:
	v_mov_b32_e32 v7, s16
.LBB504_1453:
	s_mov_b32 s16, 0
.LBB504_1454:
	s_delay_alu instid0(SALU_CYCLE_1)
	s_and_b32 vcc_lo, exec_lo, s16
	s_cbranch_vccz .LBB504_1474
; %bb.1455:
	v_cmp_gt_i16_e32 vcc_lo, 27, v11
	s_cbranch_vccnz .LBB504_1458
; %bb.1456:
	v_cmp_lt_i16_e32 vcc_lo, 27, v11
	s_cbranch_vccz .LBB504_1459
; %bb.1457:
	global_load_b32 v6, v[4:5], off
	s_mov_b32 s16, 0
	s_mov_b32 s15, 0
	s_waitcnt vmcnt(0)
	v_cvt_f32_u32_e32 v6, v6
	s_branch .LBB504_1460
.LBB504_1458:
	s_mov_b32 s16, -1
                                        ; implicit-def: $sgpr15
                                        ; implicit-def: $vgpr6
	s_branch .LBB504_1463
.LBB504_1459:
	s_mov_b32 s16, -1
                                        ; implicit-def: $sgpr15
                                        ; implicit-def: $vgpr6
.LBB504_1460:
	s_delay_alu instid0(SALU_CYCLE_1)
	s_and_not1_b32 vcc_lo, exec_lo, s16
	s_cbranch_vccnz .LBB504_1462
; %bb.1461:
	global_load_u16 v6, v[4:5], off
	s_mov_b32 s15, 0
	s_waitcnt vmcnt(0)
	v_cvt_f32_u32_e32 v6, v6
.LBB504_1462:
	s_mov_b32 s16, 0
.LBB504_1463:
	v_mov_b32_e32 v7, s15
	s_and_not1_b32 vcc_lo, exec_lo, s16
	s_cbranch_vccnz .LBB504_1473
; %bb.1464:
	global_load_u8 v9, v[4:5], off
	s_mov_b32 s15, 0
	s_mov_b32 s18, exec_lo
                                        ; implicit-def: $sgpr17
                                        ; implicit-def: $sgpr16
	s_waitcnt vmcnt(0)
	v_cmpx_lt_i16_e32 0x7f, v9
	s_xor_b32 s18, exec_lo, s18
	s_cbranch_execz .LBB504_1468
; %bb.1465:
	s_mov_b32 s15, -1
	s_mov_b32 s19, exec_lo
                                        ; implicit-def: $sgpr17
                                        ; implicit-def: $sgpr16
	v_cmpx_eq_u16_e32 0x80, v9
; %bb.1466:
	s_mov_b32 s16, 0x7f800001
	s_mov_b32 s17, 0
	s_xor_b32 s15, exec_lo, -1
; %bb.1467:
	s_or_b32 exec_lo, exec_lo, s19
	s_delay_alu instid0(SALU_CYCLE_1)
	s_and_b32 s15, s15, exec_lo
.LBB504_1468:
	s_or_saveexec_b32 s18, s18
	v_dual_mov_b32 v7, s17 :: v_dual_mov_b32 v6, s16
	s_xor_b32 exec_lo, exec_lo, s18
; %bb.1469:
	v_mov_b32_e32 v7, 0
	v_cmp_ne_u16_e32 vcc_lo, 0, v9
	s_and_not1_b32 s15, s15, exec_lo
	s_delay_alu instid0(VALU_DEP_2) | instskip(SKIP_1) | instid1(SALU_CYCLE_1)
	v_mov_b32_e32 v6, v7
	s_and_b32 s16, vcc_lo, exec_lo
	s_or_b32 s15, s15, s16
; %bb.1470:
	s_or_b32 exec_lo, exec_lo, s18
	s_and_saveexec_b32 s16, s15
	s_cbranch_execz .LBB504_1472
; %bb.1471:
	v_and_b32_e32 v6, 0xffff, v9
	v_lshlrev_b32_e32 v9, 24, v9
	s_delay_alu instid0(VALU_DEP_2) | instskip(NEXT) | instid1(VALU_DEP_2)
	v_and_b32_e32 v7, 7, v6
	v_and_b32_e32 v9, 0x80000000, v9
	s_delay_alu instid0(VALU_DEP_2) | instskip(NEXT) | instid1(VALU_DEP_1)
	v_clz_i32_u32_e32 v12, v7
	v_min_u32_e32 v12, 32, v12
	s_delay_alu instid0(VALU_DEP_1) | instskip(SKIP_1) | instid1(VALU_DEP_2)
	v_subrev_nc_u32_e32 v13, 28, v12
	v_sub_nc_u32_e32 v12, 29, v12
	v_lshlrev_b32_e32 v13, v13, v6
	v_bfe_u32 v6, v6, 3, 4
	s_delay_alu instid0(VALU_DEP_2) | instskip(NEXT) | instid1(VALU_DEP_2)
	v_and_b32_e32 v13, 7, v13
	v_cmp_eq_u32_e32 vcc_lo, 0, v6
	s_delay_alu instid0(VALU_DEP_2) | instskip(NEXT) | instid1(VALU_DEP_1)
	v_dual_cndmask_b32 v6, v6, v12 :: v_dual_cndmask_b32 v7, v7, v13
	v_lshl_add_u32 v6, v6, 23, 0x3b800000
	s_delay_alu instid0(VALU_DEP_2) | instskip(NEXT) | instid1(VALU_DEP_1)
	v_lshlrev_b32_e32 v7, 20, v7
	v_or3_b32 v6, v9, v6, v7
	v_mov_b32_e32 v7, 0
.LBB504_1472:
	s_or_b32 exec_lo, exec_lo, s16
.LBB504_1473:
	s_mov_b32 s15, -1
.LBB504_1474:
	s_mov_b32 s16, 0
.LBB504_1475:
	s_delay_alu instid0(SALU_CYCLE_1)
	s_and_b32 vcc_lo, exec_lo, s16
	s_cbranch_vccz .LBB504_1507
; %bb.1476:
	v_cmp_lt_i16_e32 vcc_lo, 22, v11
	s_cbranch_vccz .LBB504_1488
; %bb.1477:
	v_cmp_gt_i16_e32 vcc_lo, 24, v11
	s_cbranch_vccnz .LBB504_1489
; %bb.1478:
	v_cmp_lt_i16_e32 vcc_lo, 24, v11
	s_cbranch_vccz .LBB504_1490
; %bb.1479:
	global_load_u8 v9, v[4:5], off
	s_mov_b32 s17, exec_lo
                                        ; implicit-def: $sgpr16
                                        ; implicit-def: $sgpr15
	s_waitcnt vmcnt(0)
	v_cmpx_lt_i16_e32 0x7f, v9
	s_xor_b32 s17, exec_lo, s17
	s_cbranch_execz .LBB504_1483
; %bb.1480:
	s_mov_b32 s14, -1
	s_mov_b32 s18, exec_lo
                                        ; implicit-def: $sgpr16
                                        ; implicit-def: $sgpr15
	v_cmpx_eq_u16_e32 0x80, v9
; %bb.1481:
	s_mov_b32 s15, 0x7f800001
	s_mov_b32 s16, 0
	s_xor_b32 s14, exec_lo, -1
; %bb.1482:
	s_or_b32 exec_lo, exec_lo, s18
	s_delay_alu instid0(SALU_CYCLE_1)
	s_and_b32 s14, s14, exec_lo
.LBB504_1483:
	s_or_saveexec_b32 s17, s17
	v_dual_mov_b32 v7, s16 :: v_dual_mov_b32 v6, s15
	s_xor_b32 exec_lo, exec_lo, s17
; %bb.1484:
	v_mov_b32_e32 v7, 0
	v_cmp_ne_u16_e32 vcc_lo, 0, v9
	s_and_not1_b32 s14, s14, exec_lo
	s_delay_alu instid0(VALU_DEP_2) | instskip(SKIP_1) | instid1(SALU_CYCLE_1)
	v_mov_b32_e32 v6, v7
	s_and_b32 s15, vcc_lo, exec_lo
	s_or_b32 s14, s14, s15
; %bb.1485:
	s_or_b32 exec_lo, exec_lo, s17
	s_and_saveexec_b32 s15, s14
	s_cbranch_execz .LBB504_1487
; %bb.1486:
	v_and_b32_e32 v6, 0xffff, v9
	v_lshlrev_b32_e32 v9, 24, v9
	s_delay_alu instid0(VALU_DEP_2) | instskip(NEXT) | instid1(VALU_DEP_2)
	v_and_b32_e32 v7, 3, v6
	v_and_b32_e32 v9, 0x80000000, v9
	s_delay_alu instid0(VALU_DEP_2) | instskip(NEXT) | instid1(VALU_DEP_1)
	v_clz_i32_u32_e32 v12, v7
	v_min_u32_e32 v12, 32, v12
	s_delay_alu instid0(VALU_DEP_1) | instskip(SKIP_1) | instid1(VALU_DEP_2)
	v_subrev_nc_u32_e32 v13, 29, v12
	v_sub_nc_u32_e32 v12, 30, v12
	v_lshlrev_b32_e32 v13, v13, v6
	v_bfe_u32 v6, v6, 2, 5
	s_delay_alu instid0(VALU_DEP_2) | instskip(NEXT) | instid1(VALU_DEP_2)
	v_and_b32_e32 v13, 3, v13
	v_cmp_eq_u32_e32 vcc_lo, 0, v6
	s_delay_alu instid0(VALU_DEP_2) | instskip(NEXT) | instid1(VALU_DEP_1)
	v_dual_cndmask_b32 v6, v6, v12 :: v_dual_cndmask_b32 v7, v7, v13
	v_lshl_add_u32 v6, v6, 23, 0x37800000
	s_delay_alu instid0(VALU_DEP_2) | instskip(NEXT) | instid1(VALU_DEP_1)
	v_lshlrev_b32_e32 v7, 21, v7
	v_or3_b32 v6, v9, v6, v7
	v_mov_b32_e32 v7, 0
.LBB504_1487:
	s_or_b32 exec_lo, exec_lo, s15
	s_mov_b32 s14, 0
	s_branch .LBB504_1491
.LBB504_1488:
	s_mov_b32 s14, -1
                                        ; implicit-def: $vgpr7
	s_branch .LBB504_1497
.LBB504_1489:
	s_mov_b32 s14, -1
                                        ; implicit-def: $vgpr7
	s_branch .LBB504_1494
.LBB504_1490:
	s_mov_b32 s14, -1
                                        ; implicit-def: $vgpr7
.LBB504_1491:
	s_delay_alu instid0(SALU_CYCLE_1)
	s_and_b32 vcc_lo, exec_lo, s14
	s_cbranch_vccz .LBB504_1493
; %bb.1492:
	global_load_u8 v6, v[4:5], off
	s_waitcnt vmcnt(0)
	v_lshlrev_b32_e32 v6, 24, v6
	s_delay_alu instid0(VALU_DEP_1) | instskip(NEXT) | instid1(VALU_DEP_1)
	v_and_b32_e32 v7, 0x7f000000, v6
	v_clz_i32_u32_e32 v9, v7
	v_add_nc_u32_e32 v13, 0x1000000, v7
	v_cmp_ne_u32_e32 vcc_lo, 0, v7
	s_delay_alu instid0(VALU_DEP_3) | instskip(NEXT) | instid1(VALU_DEP_1)
	v_min_u32_e32 v9, 32, v9
	v_sub_nc_u32_e64 v9, v9, 4 clamp
	s_delay_alu instid0(VALU_DEP_1) | instskip(SKIP_1) | instid1(VALU_DEP_2)
	v_lshlrev_b32_e32 v12, v9, v7
	v_lshlrev_b32_e32 v9, 23, v9
	v_lshrrev_b32_e32 v12, 4, v12
	s_delay_alu instid0(VALU_DEP_1) | instskip(SKIP_1) | instid1(VALU_DEP_2)
	v_sub_nc_u32_e32 v9, v12, v9
	v_ashrrev_i32_e32 v12, 8, v13
	v_add_nc_u32_e32 v9, 0x3c000000, v9
	s_delay_alu instid0(VALU_DEP_1) | instskip(NEXT) | instid1(VALU_DEP_1)
	v_and_or_b32 v9, 0x7f800000, v12, v9
	v_cndmask_b32_e32 v7, 0, v9, vcc_lo
	s_delay_alu instid0(VALU_DEP_1)
	v_and_or_b32 v6, 0x80000000, v6, v7
	v_mov_b32_e32 v7, 0
.LBB504_1493:
	s_mov_b32 s14, 0
.LBB504_1494:
	s_delay_alu instid0(SALU_CYCLE_1)
	s_and_not1_b32 vcc_lo, exec_lo, s14
	s_cbranch_vccnz .LBB504_1496
; %bb.1495:
	global_load_u8 v6, v[4:5], off
	s_waitcnt vmcnt(0)
	v_lshlrev_b32_e32 v7, 25, v6
	v_lshlrev_b16 v6, 8, v6
	s_delay_alu instid0(VALU_DEP_1) | instskip(SKIP_1) | instid1(VALU_DEP_2)
	v_and_or_b32 v12, 0x7f00, v6, 0.5
	v_bfe_i32 v6, v6, 0, 16
	v_add_f32_e32 v12, -0.5, v12
	v_lshrrev_b32_e32 v9, 4, v7
	v_cmp_gt_u32_e32 vcc_lo, 0x8000000, v7
	s_delay_alu instid0(VALU_DEP_2) | instskip(NEXT) | instid1(VALU_DEP_1)
	v_or_b32_e32 v9, 0x70000000, v9
	v_mul_f32_e32 v9, 0x7800000, v9
	s_delay_alu instid0(VALU_DEP_1) | instskip(NEXT) | instid1(VALU_DEP_1)
	v_cndmask_b32_e32 v7, v9, v12, vcc_lo
	v_and_or_b32 v6, 0x80000000, v6, v7
	v_mov_b32_e32 v7, 0
.LBB504_1496:
	s_mov_b32 s14, 0
	s_mov_b32 s15, -1
.LBB504_1497:
	s_and_not1_b32 vcc_lo, exec_lo, s14
	s_mov_b32 s14, 0
	s_cbranch_vccnz .LBB504_1507
; %bb.1498:
	v_cmp_lt_i16_e32 vcc_lo, 14, v11
	s_cbranch_vccz .LBB504_1501
; %bb.1499:
	v_cmp_eq_u16_e32 vcc_lo, 15, v11
	s_cbranch_vccz .LBB504_1502
; %bb.1500:
	global_load_u16 v6, v[4:5], off
	s_mov_b32 s0, 0
	s_mov_b32 s15, -1
	s_mov_b32 s16, 0
	s_waitcnt vmcnt(0)
	v_lshlrev_b32_e32 v6, 16, v6
	s_branch .LBB504_1504
.LBB504_1501:
	s_mov_b32 s14, -1
	s_branch .LBB504_1503
.LBB504_1502:
	s_mov_b32 s0, -1
.LBB504_1503:
                                        ; implicit-def: $sgpr16
                                        ; implicit-def: $vgpr6
.LBB504_1504:
	s_and_b32 vcc_lo, exec_lo, s14
	s_mov_b32 s14, 0
	s_cbranch_vccz .LBB504_1506
; %bb.1505:
	v_cmp_ne_u16_e64 s0, 11, v11
	s_mov_b32 s14, -1
                                        ; implicit-def: $sgpr16
                                        ; implicit-def: $vgpr6
.LBB504_1506:
	v_mov_b32_e32 v7, s16
.LBB504_1507:
	s_delay_alu instid0(VALU_DEP_2)
	s_and_b32 vcc_lo, exec_lo, s0
	s_cbranch_vccnz .LBB504_1531
; %bb.1508:
	s_and_not1_b32 vcc_lo, exec_lo, s14
	s_cbranch_vccnz .LBB504_1510
.LBB504_1509:
	global_load_u8 v6, v[4:5], off
	v_mov_b32_e32 v7, 0
	s_mov_b32 s15, -1
	s_waitcnt vmcnt(0)
	v_cmp_ne_u16_e32 vcc_lo, 0, v6
	v_cndmask_b32_e64 v6, 0, 1.0, vcc_lo
.LBB504_1510:
.LBB504_1511:
	s_and_not1_b32 vcc_lo, exec_lo, s15
	s_cbranch_vccnz .LBB504_1745
.LBB504_1512:
	v_mov_b32_e32 v4, s10
	s_mov_b32 s0, exec_lo
	s_waitcnt vmcnt(0)
	s_delay_alu instid0(VALU_DEP_2)
	v_cmpx_o_f32_e32 v6, v6
	s_cbranch_execz .LBB504_1516
; %bb.1513:
	v_mov_b32_e32 v4, s11
	s_mov_b32 s14, exec_lo
	v_cmpx_neq_f32_e32 0x7f800000, v6
; %bb.1514:
	v_cmp_eq_f32_e32 vcc_lo, 0xff800000, v6
	v_cndmask_b32_e64 v4, v6, s2, vcc_lo
; %bb.1515:
	s_or_b32 exec_lo, exec_lo, s14
.LBB504_1516:
	s_delay_alu instid0(SALU_CYCLE_1) | instskip(SKIP_2) | instid1(VALU_DEP_4)
	s_or_b32 exec_lo, exec_lo, s0
	v_mov_b32_e32 v5, s10
	s_mov_b32 s0, exec_lo
	v_cmpx_o_f32_e32 v7, v7
	s_cbranch_execz .LBB504_1520
; %bb.1517:
	v_mov_b32_e32 v5, s11
	s_mov_b32 s14, exec_lo
	v_cmpx_neq_f32_e32 0x7f800000, v7
; %bb.1518:
	v_cmp_eq_f32_e32 vcc_lo, 0xff800000, v7
	v_cndmask_b32_e64 v5, v7, s2, vcc_lo
; %bb.1519:
	s_or_b32 exec_lo, exec_lo, s14
.LBB504_1520:
	s_delay_alu instid0(SALU_CYCLE_1) | instskip(SKIP_2) | instid1(VALU_DEP_2)
	s_or_b32 exec_lo, exec_lo, s0
	v_add_nc_u32_e32 v6, s9, v8
	v_cmp_gt_i16_e32 vcc_lo, 11, v11
	v_ashrrev_i32_e32 v7, 31, v6
	v_add_co_u32 v6, s0, s6, v6
	s_delay_alu instid0(VALU_DEP_1)
	v_add_co_ci_u32_e64 v7, s0, s7, v7, s0
	s_cbranch_vccnz .LBB504_1527
; %bb.1521:
	v_cmp_lt_i16_e32 vcc_lo, 25, v11
	s_mov_b32 s6, 0
	s_cbranch_vccz .LBB504_1528
; %bb.1522:
	v_cmp_lt_i16_e32 vcc_lo, 28, v11
	s_cbranch_vccz .LBB504_1529
; %bb.1523:
	v_cmp_lt_i16_e32 vcc_lo, 43, v11
	;; [unrolled: 3-line block ×3, first 2 shown]
	s_cbranch_vccz .LBB504_1533
; %bb.1525:
	v_cmp_eq_u16_e32 vcc_lo, 46, v11
	s_mov_b32 s9, 0
	s_cbranch_vccz .LBB504_1536
; %bb.1526:
	global_load_b32 v8, v[6:7], off
	s_mov_b32 s0, 0
	s_mov_b32 s7, -1
	s_waitcnt vmcnt(0)
	v_and_b32_e32 v9, 0xffff0000, v8
	v_lshlrev_b32_e32 v8, 16, v8
	s_branch .LBB504_1538
.LBB504_1527:
	s_mov_b32 s0, -1
	s_mov_b32 s7, 0
                                        ; implicit-def: $vgpr9
	s_branch .LBB504_1607
.LBB504_1528:
	s_mov_b32 s9, -1
	s_mov_b32 s7, 0
	s_mov_b32 s0, 0
                                        ; implicit-def: $vgpr9
	s_branch .LBB504_1571
.LBB504_1529:
	s_mov_b32 s9, -1
	s_mov_b32 s7, 0
	s_mov_b32 s0, 0
                                        ; implicit-def: $vgpr9
	s_branch .LBB504_1550
.LBB504_1530:
	s_mov_b32 s9, -1
	s_mov_b32 s7, 0
	s_mov_b32 s0, 0
                                        ; implicit-def: $vgpr9
	s_branch .LBB504_1544
.LBB504_1531:
	s_cbranch_execnz .LBB504_1534
; %bb.1532:
	s_or_b32 s1, s1, exec_lo
                                        ; implicit-def: $vgpr7
	s_cbranch_execz .LBB504_1509
	s_branch .LBB504_1510
.LBB504_1533:
	s_mov_b32 s9, -1
	s_mov_b32 s7, 0
	s_mov_b32 s0, 0
	s_branch .LBB504_1537
.LBB504_1534:
	s_trap 2
	s_sendmsg_rtn_b32 s0, sendmsg(MSG_RTN_GET_DOORBELL)
	s_mov_b32 ttmp2, m0
	s_waitcnt lgkmcnt(0)
	s_and_b32 s0, s0, 0x3ff
	s_delay_alu instid0(SALU_CYCLE_1) | instskip(NEXT) | instid1(SALU_CYCLE_1)
	s_bitset1_b32 s0, 10
	s_mov_b32 m0, s0
	s_sendmsg sendmsg(MSG_INTERRUPT)
	s_mov_b32 m0, ttmp2
.LBB504_1535:                           ; =>This Inner Loop Header: Depth=1
	s_sethalt 5
	s_branch .LBB504_1535
.LBB504_1536:
	s_mov_b32 s0, -1
	s_mov_b32 s7, 0
.LBB504_1537:
                                        ; implicit-def: $vgpr9
.LBB504_1538:
	s_and_b32 vcc_lo, exec_lo, s9
	s_cbranch_vccz .LBB504_1543
; %bb.1539:
	v_cmp_eq_u16_e32 vcc_lo, 44, v11
	s_cbranch_vccz .LBB504_1541
; %bb.1540:
	global_load_u8 v8, v[6:7], off
	s_mov_b32 s0, 0
	s_mov_b32 s7, -1
	s_waitcnt vmcnt(0)
	v_lshlrev_b32_e32 v9, 23, v8
	v_cmp_ne_u32_e32 vcc_lo, 0xff, v8
	s_delay_alu instid0(VALU_DEP_2) | instskip(SKIP_1) | instid1(VALU_DEP_2)
	v_cndmask_b32_e32 v9, 0x7f800001, v9, vcc_lo
	v_cmp_ne_u32_e32 vcc_lo, 0, v8
	v_cndmask_b32_e32 v8, 0x400000, v9, vcc_lo
	s_branch .LBB504_1542
.LBB504_1541:
	s_mov_b32 s0, -1
                                        ; implicit-def: $vgpr8
.LBB504_1542:
	s_delay_alu instid0(SALU_CYCLE_1)
	v_mov_b32_e32 v9, s0
.LBB504_1543:
	s_mov_b32 s9, 0
.LBB504_1544:
	s_delay_alu instid0(SALU_CYCLE_1)
	s_and_b32 vcc_lo, exec_lo, s9
	s_cbranch_vccz .LBB504_1549
; %bb.1545:
	v_cmp_eq_u16_e32 vcc_lo, 29, v11
	s_cbranch_vccz .LBB504_1547
; %bb.1546:
	global_load_b64 v[8:9], v[6:7], off
	s_mov_b32 s0, 0
	s_mov_b32 s7, -1
	s_mov_b32 s9, 0
	s_waitcnt vmcnt(0)
	v_clz_i32_u32_e32 v12, v9
	s_delay_alu instid0(VALU_DEP_1) | instskip(NEXT) | instid1(VALU_DEP_1)
	v_min_u32_e32 v12, 32, v12
	v_lshlrev_b64 v[8:9], v12, v[8:9]
	s_delay_alu instid0(VALU_DEP_1) | instskip(NEXT) | instid1(VALU_DEP_1)
	v_min_u32_e32 v8, 1, v8
	v_or_b32_e32 v8, v9, v8
	v_sub_nc_u32_e32 v9, 32, v12
	s_delay_alu instid0(VALU_DEP_2) | instskip(NEXT) | instid1(VALU_DEP_1)
	v_cvt_f32_u32_e32 v8, v8
	v_ldexp_f32 v8, v8, v9
	s_branch .LBB504_1548
.LBB504_1547:
	s_mov_b32 s0, -1
                                        ; implicit-def: $sgpr9
                                        ; implicit-def: $vgpr8
.LBB504_1548:
	v_mov_b32_e32 v9, s9
.LBB504_1549:
	s_mov_b32 s9, 0
.LBB504_1550:
	s_delay_alu instid0(SALU_CYCLE_1)
	s_and_b32 vcc_lo, exec_lo, s9
	s_cbranch_vccz .LBB504_1570
; %bb.1551:
	v_cmp_gt_i16_e32 vcc_lo, 27, v11
	s_cbranch_vccnz .LBB504_1554
; %bb.1552:
	v_cmp_lt_i16_e32 vcc_lo, 27, v11
	s_cbranch_vccz .LBB504_1555
; %bb.1553:
	global_load_b32 v8, v[6:7], off
	s_mov_b32 s9, 0
	s_mov_b32 s7, 0
	s_waitcnt vmcnt(0)
	v_cvt_f32_u32_e32 v8, v8
	s_branch .LBB504_1556
.LBB504_1554:
	s_mov_b32 s9, -1
                                        ; implicit-def: $sgpr7
                                        ; implicit-def: $vgpr8
	s_branch .LBB504_1559
.LBB504_1555:
	s_mov_b32 s9, -1
                                        ; implicit-def: $sgpr7
                                        ; implicit-def: $vgpr8
.LBB504_1556:
	s_delay_alu instid0(SALU_CYCLE_1)
	s_and_not1_b32 vcc_lo, exec_lo, s9
	s_cbranch_vccnz .LBB504_1558
; %bb.1557:
	global_load_u16 v8, v[6:7], off
	s_mov_b32 s7, 0
	s_waitcnt vmcnt(0)
	v_cvt_f32_u32_e32 v8, v8
.LBB504_1558:
	s_mov_b32 s9, 0
.LBB504_1559:
	v_mov_b32_e32 v9, s7
	s_and_not1_b32 vcc_lo, exec_lo, s9
	s_cbranch_vccnz .LBB504_1569
; %bb.1560:
	global_load_u8 v12, v[6:7], off
	s_mov_b32 s7, 0
	s_mov_b32 s15, exec_lo
                                        ; implicit-def: $sgpr14
                                        ; implicit-def: $sgpr9
	s_waitcnt vmcnt(0)
	v_cmpx_lt_i16_e32 0x7f, v12
	s_xor_b32 s15, exec_lo, s15
	s_cbranch_execz .LBB504_1564
; %bb.1561:
	s_mov_b32 s7, -1
	s_mov_b32 s16, exec_lo
                                        ; implicit-def: $sgpr14
                                        ; implicit-def: $sgpr9
	v_cmpx_eq_u16_e32 0x80, v12
; %bb.1562:
	s_mov_b32 s9, 0x7f800001
	s_mov_b32 s14, 0
	s_xor_b32 s7, exec_lo, -1
; %bb.1563:
	s_or_b32 exec_lo, exec_lo, s16
	s_delay_alu instid0(SALU_CYCLE_1)
	s_and_b32 s7, s7, exec_lo
.LBB504_1564:
	s_or_saveexec_b32 s15, s15
	v_dual_mov_b32 v9, s14 :: v_dual_mov_b32 v8, s9
	s_xor_b32 exec_lo, exec_lo, s15
; %bb.1565:
	v_mov_b32_e32 v9, 0
	v_cmp_ne_u16_e32 vcc_lo, 0, v12
	s_and_not1_b32 s7, s7, exec_lo
	s_delay_alu instid0(VALU_DEP_2) | instskip(SKIP_1) | instid1(SALU_CYCLE_1)
	v_mov_b32_e32 v8, v9
	s_and_b32 s9, vcc_lo, exec_lo
	s_or_b32 s7, s7, s9
; %bb.1566:
	s_or_b32 exec_lo, exec_lo, s15
	s_and_saveexec_b32 s9, s7
	s_cbranch_execz .LBB504_1568
; %bb.1567:
	v_and_b32_e32 v8, 0xffff, v12
	v_lshlrev_b32_e32 v12, 24, v12
	s_delay_alu instid0(VALU_DEP_2) | instskip(NEXT) | instid1(VALU_DEP_2)
	v_and_b32_e32 v9, 7, v8
	v_and_b32_e32 v12, 0x80000000, v12
	s_delay_alu instid0(VALU_DEP_2) | instskip(NEXT) | instid1(VALU_DEP_1)
	v_clz_i32_u32_e32 v13, v9
	v_min_u32_e32 v13, 32, v13
	s_delay_alu instid0(VALU_DEP_1) | instskip(SKIP_1) | instid1(VALU_DEP_2)
	v_subrev_nc_u32_e32 v14, 28, v13
	v_sub_nc_u32_e32 v13, 29, v13
	v_lshlrev_b32_e32 v14, v14, v8
	v_bfe_u32 v8, v8, 3, 4
	s_delay_alu instid0(VALU_DEP_2) | instskip(NEXT) | instid1(VALU_DEP_2)
	v_and_b32_e32 v14, 7, v14
	v_cmp_eq_u32_e32 vcc_lo, 0, v8
	s_delay_alu instid0(VALU_DEP_2) | instskip(NEXT) | instid1(VALU_DEP_1)
	v_dual_cndmask_b32 v8, v8, v13 :: v_dual_cndmask_b32 v9, v9, v14
	v_lshl_add_u32 v8, v8, 23, 0x3b800000
	s_delay_alu instid0(VALU_DEP_2) | instskip(NEXT) | instid1(VALU_DEP_1)
	v_lshlrev_b32_e32 v9, 20, v9
	v_or3_b32 v8, v12, v8, v9
	v_mov_b32_e32 v9, 0
.LBB504_1568:
	s_or_b32 exec_lo, exec_lo, s9
.LBB504_1569:
	s_mov_b32 s7, -1
.LBB504_1570:
	s_mov_b32 s9, 0
.LBB504_1571:
	s_delay_alu instid0(SALU_CYCLE_1)
	s_and_b32 vcc_lo, exec_lo, s9
	s_cbranch_vccz .LBB504_1603
; %bb.1572:
	v_cmp_lt_i16_e32 vcc_lo, 22, v11
	s_cbranch_vccz .LBB504_1584
; %bb.1573:
	v_cmp_gt_i16_e32 vcc_lo, 24, v11
	s_cbranch_vccnz .LBB504_1585
; %bb.1574:
	v_cmp_lt_i16_e32 vcc_lo, 24, v11
	s_cbranch_vccz .LBB504_1586
; %bb.1575:
	global_load_u8 v12, v[6:7], off
	s_mov_b32 s14, exec_lo
                                        ; implicit-def: $sgpr9
                                        ; implicit-def: $sgpr7
	s_waitcnt vmcnt(0)
	v_cmpx_lt_i16_e32 0x7f, v12
	s_xor_b32 s14, exec_lo, s14
	s_cbranch_execz .LBB504_1579
; %bb.1576:
	s_mov_b32 s6, -1
	s_mov_b32 s15, exec_lo
                                        ; implicit-def: $sgpr9
                                        ; implicit-def: $sgpr7
	v_cmpx_eq_u16_e32 0x80, v12
; %bb.1577:
	s_mov_b32 s7, 0x7f800001
	s_mov_b32 s9, 0
	s_xor_b32 s6, exec_lo, -1
; %bb.1578:
	s_or_b32 exec_lo, exec_lo, s15
	s_delay_alu instid0(SALU_CYCLE_1)
	s_and_b32 s6, s6, exec_lo
.LBB504_1579:
	s_or_saveexec_b32 s14, s14
	v_dual_mov_b32 v9, s9 :: v_dual_mov_b32 v8, s7
	s_xor_b32 exec_lo, exec_lo, s14
; %bb.1580:
	v_mov_b32_e32 v9, 0
	v_cmp_ne_u16_e32 vcc_lo, 0, v12
	s_and_not1_b32 s6, s6, exec_lo
	s_delay_alu instid0(VALU_DEP_2) | instskip(SKIP_1) | instid1(SALU_CYCLE_1)
	v_mov_b32_e32 v8, v9
	s_and_b32 s7, vcc_lo, exec_lo
	s_or_b32 s6, s6, s7
; %bb.1581:
	s_or_b32 exec_lo, exec_lo, s14
	s_and_saveexec_b32 s7, s6
	s_cbranch_execz .LBB504_1583
; %bb.1582:
	v_and_b32_e32 v8, 0xffff, v12
	v_lshlrev_b32_e32 v12, 24, v12
	s_delay_alu instid0(VALU_DEP_2) | instskip(NEXT) | instid1(VALU_DEP_2)
	v_and_b32_e32 v9, 3, v8
	v_and_b32_e32 v12, 0x80000000, v12
	s_delay_alu instid0(VALU_DEP_2) | instskip(NEXT) | instid1(VALU_DEP_1)
	v_clz_i32_u32_e32 v13, v9
	v_min_u32_e32 v13, 32, v13
	s_delay_alu instid0(VALU_DEP_1) | instskip(SKIP_1) | instid1(VALU_DEP_2)
	v_subrev_nc_u32_e32 v14, 29, v13
	v_sub_nc_u32_e32 v13, 30, v13
	v_lshlrev_b32_e32 v14, v14, v8
	v_bfe_u32 v8, v8, 2, 5
	s_delay_alu instid0(VALU_DEP_2) | instskip(NEXT) | instid1(VALU_DEP_2)
	v_and_b32_e32 v14, 3, v14
	v_cmp_eq_u32_e32 vcc_lo, 0, v8
	s_delay_alu instid0(VALU_DEP_2) | instskip(NEXT) | instid1(VALU_DEP_1)
	v_dual_cndmask_b32 v8, v8, v13 :: v_dual_cndmask_b32 v9, v9, v14
	v_lshl_add_u32 v8, v8, 23, 0x37800000
	s_delay_alu instid0(VALU_DEP_2) | instskip(NEXT) | instid1(VALU_DEP_1)
	v_lshlrev_b32_e32 v9, 21, v9
	v_or3_b32 v8, v12, v8, v9
	v_mov_b32_e32 v9, 0
.LBB504_1583:
	s_or_b32 exec_lo, exec_lo, s7
	s_mov_b32 s6, 0
	s_branch .LBB504_1587
.LBB504_1584:
	s_mov_b32 s6, -1
                                        ; implicit-def: $vgpr9
	s_branch .LBB504_1593
.LBB504_1585:
	s_mov_b32 s6, -1
                                        ; implicit-def: $vgpr9
	s_branch .LBB504_1590
.LBB504_1586:
	s_mov_b32 s6, -1
                                        ; implicit-def: $vgpr9
.LBB504_1587:
	s_delay_alu instid0(SALU_CYCLE_1)
	s_and_b32 vcc_lo, exec_lo, s6
	s_cbranch_vccz .LBB504_1589
; %bb.1588:
	global_load_u8 v8, v[6:7], off
	s_waitcnt vmcnt(0)
	v_lshlrev_b32_e32 v8, 24, v8
	s_delay_alu instid0(VALU_DEP_1) | instskip(NEXT) | instid1(VALU_DEP_1)
	v_and_b32_e32 v9, 0x7f000000, v8
	v_clz_i32_u32_e32 v12, v9
	v_cmp_ne_u32_e32 vcc_lo, 0, v9
	v_add_nc_u32_e32 v14, 0x1000000, v9
	s_delay_alu instid0(VALU_DEP_3) | instskip(NEXT) | instid1(VALU_DEP_1)
	v_min_u32_e32 v12, 32, v12
	v_sub_nc_u32_e64 v12, v12, 4 clamp
	s_delay_alu instid0(VALU_DEP_1) | instskip(SKIP_1) | instid1(VALU_DEP_2)
	v_lshlrev_b32_e32 v13, v12, v9
	v_lshlrev_b32_e32 v12, 23, v12
	v_lshrrev_b32_e32 v13, 4, v13
	s_delay_alu instid0(VALU_DEP_1) | instskip(SKIP_1) | instid1(VALU_DEP_2)
	v_sub_nc_u32_e32 v12, v13, v12
	v_ashrrev_i32_e32 v13, 8, v14
	v_add_nc_u32_e32 v12, 0x3c000000, v12
	s_delay_alu instid0(VALU_DEP_1) | instskip(NEXT) | instid1(VALU_DEP_1)
	v_and_or_b32 v12, 0x7f800000, v13, v12
	v_cndmask_b32_e32 v9, 0, v12, vcc_lo
	s_delay_alu instid0(VALU_DEP_1)
	v_and_or_b32 v8, 0x80000000, v8, v9
	v_mov_b32_e32 v9, 0
.LBB504_1589:
	s_mov_b32 s6, 0
.LBB504_1590:
	s_delay_alu instid0(SALU_CYCLE_1)
	s_and_not1_b32 vcc_lo, exec_lo, s6
	s_cbranch_vccnz .LBB504_1592
; %bb.1591:
	global_load_u8 v8, v[6:7], off
	s_waitcnt vmcnt(0)
	v_lshlrev_b32_e32 v9, 25, v8
	v_lshlrev_b16 v8, 8, v8
	s_delay_alu instid0(VALU_DEP_2) | instskip(NEXT) | instid1(VALU_DEP_2)
	v_lshrrev_b32_e32 v12, 4, v9
	v_and_or_b32 v13, 0x7f00, v8, 0.5
	v_cmp_gt_u32_e32 vcc_lo, 0x8000000, v9
	v_bfe_i32 v8, v8, 0, 16
	s_delay_alu instid0(VALU_DEP_4) | instskip(NEXT) | instid1(VALU_DEP_1)
	v_or_b32_e32 v12, 0x70000000, v12
	v_dual_add_f32 v13, -0.5, v13 :: v_dual_mul_f32 v12, 0x7800000, v12
	s_delay_alu instid0(VALU_DEP_1) | instskip(NEXT) | instid1(VALU_DEP_1)
	v_cndmask_b32_e32 v9, v12, v13, vcc_lo
	v_and_or_b32 v8, 0x80000000, v8, v9
	v_mov_b32_e32 v9, 0
.LBB504_1592:
	s_mov_b32 s6, 0
	s_mov_b32 s7, -1
.LBB504_1593:
	s_and_not1_b32 vcc_lo, exec_lo, s6
	s_mov_b32 s6, 0
	s_cbranch_vccnz .LBB504_1603
; %bb.1594:
	v_cmp_lt_i16_e32 vcc_lo, 14, v11
	s_cbranch_vccz .LBB504_1597
; %bb.1595:
	v_cmp_eq_u16_e32 vcc_lo, 15, v11
	s_cbranch_vccz .LBB504_1598
; %bb.1596:
	global_load_u16 v8, v[6:7], off
	s_mov_b32 s0, 0
	s_mov_b32 s7, -1
	s_mov_b32 s9, 0
	s_waitcnt vmcnt(0)
	v_lshlrev_b32_e32 v8, 16, v8
	s_branch .LBB504_1600
.LBB504_1597:
	s_mov_b32 s6, -1
	s_branch .LBB504_1599
.LBB504_1598:
	s_mov_b32 s0, -1
.LBB504_1599:
                                        ; implicit-def: $sgpr9
                                        ; implicit-def: $vgpr8
.LBB504_1600:
	s_and_b32 vcc_lo, exec_lo, s6
	s_mov_b32 s6, 0
	s_cbranch_vccz .LBB504_1602
; %bb.1601:
	v_cmp_ne_u16_e64 s0, 11, v11
	s_mov_b32 s6, -1
                                        ; implicit-def: $sgpr9
                                        ; implicit-def: $vgpr8
.LBB504_1602:
	v_mov_b32_e32 v9, s9
.LBB504_1603:
	s_delay_alu instid0(VALU_DEP_2)
	s_and_b32 vcc_lo, exec_lo, s0
	s_cbranch_vccnz .LBB504_2147
; %bb.1604:
	s_and_not1_b32 vcc_lo, exec_lo, s6
	s_cbranch_vccnz .LBB504_1606
.LBB504_1605:
	global_load_u8 v8, v[6:7], off
	v_mov_b32_e32 v9, 0
	s_mov_b32 s7, -1
	s_waitcnt vmcnt(0)
	v_cmp_ne_u16_e32 vcc_lo, 0, v8
	v_cndmask_b32_e64 v8, 0, 1.0, vcc_lo
.LBB504_1606:
	s_mov_b32 s0, 0
.LBB504_1607:
	s_delay_alu instid0(SALU_CYCLE_1)
	s_and_b32 vcc_lo, exec_lo, s0
	s_cbranch_vccz .LBB504_1658
; %bb.1608:
	v_cmp_gt_i16_e32 vcc_lo, 5, v11
	s_cbranch_vccnz .LBB504_1613
; %bb.1609:
	v_cmp_gt_i16_e32 vcc_lo, 8, v11
	s_cbranch_vccnz .LBB504_1614
	;; [unrolled: 3-line block ×3, first 2 shown]
; %bb.1611:
	v_cmp_lt_i16_e32 vcc_lo, 9, v11
	s_cbranch_vccz .LBB504_1616
; %bb.1612:
	global_load_b128 v[12:15], v[6:7], off
	s_mov_b32 s0, 0
	s_waitcnt vmcnt(0)
	v_cvt_f32_f64_e32 v8, v[12:13]
	v_cvt_f32_f64_e32 v9, v[14:15]
	s_branch .LBB504_1617
.LBB504_1613:
	s_mov_b32 s0, -1
                                        ; implicit-def: $vgpr9
	s_branch .LBB504_1636
.LBB504_1614:
	s_mov_b32 s0, -1
                                        ; implicit-def: $vgpr9
	s_branch .LBB504_1623
.LBB504_1615:
	s_mov_b32 s0, -1
                                        ; implicit-def: $vgpr9
	s_branch .LBB504_1620
.LBB504_1616:
	s_mov_b32 s0, -1
                                        ; implicit-def: $vgpr9
.LBB504_1617:
	s_delay_alu instid0(SALU_CYCLE_1)
	s_and_not1_b32 vcc_lo, exec_lo, s0
	s_cbranch_vccnz .LBB504_1619
; %bb.1618:
	global_load_b64 v[8:9], v[6:7], off
.LBB504_1619:
	s_mov_b32 s0, 0
.LBB504_1620:
	s_delay_alu instid0(SALU_CYCLE_1)
	s_and_not1_b32 vcc_lo, exec_lo, s0
	s_cbranch_vccnz .LBB504_1622
; %bb.1621:
	global_load_b32 v8, v[6:7], off
	s_waitcnt vmcnt(0)
	v_lshrrev_b32_e32 v9, 16, v8
	v_cvt_f32_f16_e32 v8, v8
	s_delay_alu instid0(VALU_DEP_2)
	v_cvt_f32_f16_e32 v9, v9
.LBB504_1622:
	s_mov_b32 s0, 0
.LBB504_1623:
	s_delay_alu instid0(SALU_CYCLE_1)
	s_and_not1_b32 vcc_lo, exec_lo, s0
	s_cbranch_vccnz .LBB504_1635
; %bb.1624:
	v_cmp_gt_i16_e32 vcc_lo, 6, v11
	s_cbranch_vccnz .LBB504_1627
; %bb.1625:
	v_cmp_lt_i16_e32 vcc_lo, 6, v11
	s_cbranch_vccz .LBB504_1628
; %bb.1626:
	global_load_b64 v[8:9], v[6:7], off
	s_mov_b32 s6, 0
	s_mov_b32 s0, 0
	s_waitcnt vmcnt(0)
	v_cvt_f32_f64_e32 v8, v[8:9]
	s_branch .LBB504_1629
.LBB504_1627:
	s_mov_b32 s6, -1
                                        ; implicit-def: $sgpr0
                                        ; implicit-def: $vgpr8
	s_branch .LBB504_1632
.LBB504_1628:
	s_mov_b32 s6, -1
                                        ; implicit-def: $sgpr0
                                        ; implicit-def: $vgpr8
.LBB504_1629:
	s_delay_alu instid0(SALU_CYCLE_1)
	s_and_not1_b32 vcc_lo, exec_lo, s6
	s_cbranch_vccnz .LBB504_1631
; %bb.1630:
	global_load_b32 v8, v[6:7], off
	s_mov_b32 s0, 0
.LBB504_1631:
	s_mov_b32 s6, 0
.LBB504_1632:
	s_delay_alu instid0(SALU_CYCLE_1)
	s_and_not1_b32 vcc_lo, exec_lo, s6
	s_cbranch_vccnz .LBB504_1634
; %bb.1633:
	global_load_u16 v8, v[6:7], off
	s_mov_b32 s0, 0
	s_waitcnt vmcnt(0)
	v_cvt_f32_f16_e32 v8, v8
.LBB504_1634:
	s_waitcnt vmcnt(0)
	v_mov_b32_e32 v9, s0
.LBB504_1635:
	s_mov_b32 s0, 0
.LBB504_1636:
	s_delay_alu instid0(SALU_CYCLE_1)
	s_and_not1_b32 vcc_lo, exec_lo, s0
	s_cbranch_vccnz .LBB504_1657
; %bb.1637:
	v_cmp_gt_i16_e32 vcc_lo, 2, v11
	s_cbranch_vccnz .LBB504_1641
; %bb.1638:
	v_cmp_gt_i16_e32 vcc_lo, 3, v11
	s_cbranch_vccnz .LBB504_1642
; %bb.1639:
	v_cmp_lt_i16_e32 vcc_lo, 3, v11
	s_cbranch_vccz .LBB504_1643
; %bb.1640:
	global_load_b64 v[8:9], v[6:7], off
	s_mov_b32 s6, 0
	s_mov_b32 s0, 0
	s_waitcnt vmcnt(0)
	v_xor_b32_e32 v12, v8, v9
	v_cls_i32_e32 v13, v9
	s_delay_alu instid0(VALU_DEP_2) | instskip(NEXT) | instid1(VALU_DEP_2)
	v_ashrrev_i32_e32 v12, 31, v12
	v_add_nc_u32_e32 v13, -1, v13
	s_delay_alu instid0(VALU_DEP_2) | instskip(NEXT) | instid1(VALU_DEP_1)
	v_add_nc_u32_e32 v12, 32, v12
	v_min_u32_e32 v12, v13, v12
	s_delay_alu instid0(VALU_DEP_1) | instskip(NEXT) | instid1(VALU_DEP_1)
	v_lshlrev_b64 v[8:9], v12, v[8:9]
	v_min_u32_e32 v8, 1, v8
	s_delay_alu instid0(VALU_DEP_1) | instskip(SKIP_1) | instid1(VALU_DEP_2)
	v_or_b32_e32 v8, v9, v8
	v_sub_nc_u32_e32 v9, 32, v12
	v_cvt_f32_i32_e32 v8, v8
	s_delay_alu instid0(VALU_DEP_1)
	v_ldexp_f32 v8, v8, v9
	s_branch .LBB504_1644
.LBB504_1641:
	s_mov_b32 s6, -1
                                        ; implicit-def: $sgpr0
                                        ; implicit-def: $vgpr8
	s_branch .LBB504_1650
.LBB504_1642:
	s_mov_b32 s6, -1
                                        ; implicit-def: $sgpr0
                                        ; implicit-def: $vgpr8
	s_branch .LBB504_1647
.LBB504_1643:
	s_mov_b32 s6, -1
                                        ; implicit-def: $sgpr0
                                        ; implicit-def: $vgpr8
.LBB504_1644:
	s_delay_alu instid0(SALU_CYCLE_1)
	s_and_not1_b32 vcc_lo, exec_lo, s6
	s_cbranch_vccnz .LBB504_1646
; %bb.1645:
	global_load_b32 v8, v[6:7], off
	s_mov_b32 s0, 0
	s_waitcnt vmcnt(0)
	v_cvt_f32_i32_e32 v8, v8
.LBB504_1646:
	s_mov_b32 s6, 0
.LBB504_1647:
	s_delay_alu instid0(SALU_CYCLE_1)
	s_and_not1_b32 vcc_lo, exec_lo, s6
	s_cbranch_vccnz .LBB504_1649
; %bb.1648:
	global_load_i16 v8, v[6:7], off
	s_mov_b32 s0, 0
	s_waitcnt vmcnt(0)
	v_cvt_f32_i32_e32 v8, v8
.LBB504_1649:
	s_mov_b32 s6, 0
.LBB504_1650:
	s_delay_alu instid0(SALU_CYCLE_1)
	s_and_not1_b32 vcc_lo, exec_lo, s6
	s_cbranch_vccnz .LBB504_1656
; %bb.1651:
	v_cmp_lt_i16_e32 vcc_lo, 0, v11
	s_mov_b32 s6, 0
	s_cbranch_vccz .LBB504_1653
; %bb.1652:
	global_load_i8 v8, v[6:7], off
	s_mov_b32 s0, 0
	s_waitcnt vmcnt(0)
	v_cvt_f32_i32_e32 v8, v8
	s_branch .LBB504_1654
.LBB504_1653:
	s_mov_b32 s6, -1
                                        ; implicit-def: $sgpr0
                                        ; implicit-def: $vgpr8
.LBB504_1654:
	s_delay_alu instid0(SALU_CYCLE_1)
	s_and_not1_b32 vcc_lo, exec_lo, s6
	s_cbranch_vccnz .LBB504_1656
; %bb.1655:
	global_load_u8 v6, v[6:7], off
	s_mov_b32 s0, 0
	s_waitcnt vmcnt(0)
	v_cvt_f32_ubyte0_e32 v8, v6
.LBB504_1656:
	s_waitcnt vmcnt(0)
	v_mov_b32_e32 v9, s0
.LBB504_1657:
	s_mov_b32 s7, -1
.LBB504_1658:
	s_delay_alu instid0(SALU_CYCLE_1)
	s_and_not1_b32 vcc_lo, exec_lo, s7
	s_cbranch_vccnz .LBB504_1745
; %bb.1659:
	v_mov_b32_e32 v6, s10
	s_mov_b32 s0, exec_lo
	s_waitcnt vmcnt(0)
	s_delay_alu instid0(VALU_DEP_2)
	v_cmpx_o_f32_e32 v8, v8
	s_cbranch_execz .LBB504_1663
; %bb.1660:
	v_mov_b32_e32 v6, s11
	s_mov_b32 s6, exec_lo
	v_cmpx_neq_f32_e32 0x7f800000, v8
; %bb.1661:
	v_cmp_eq_f32_e32 vcc_lo, 0xff800000, v8
	v_cndmask_b32_e64 v6, v8, s2, vcc_lo
; %bb.1662:
	s_or_b32 exec_lo, exec_lo, s6
.LBB504_1663:
	s_delay_alu instid0(SALU_CYCLE_1) | instskip(SKIP_2) | instid1(VALU_DEP_4)
	s_or_b32 exec_lo, exec_lo, s0
	v_mov_b32_e32 v7, s10
	s_mov_b32 s0, exec_lo
	v_cmpx_o_f32_e32 v9, v9
	s_cbranch_execz .LBB504_1667
; %bb.1664:
	v_mov_b32_e32 v7, s11
	s_mov_b32 s6, exec_lo
	v_cmpx_neq_f32_e32 0x7f800000, v9
; %bb.1665:
	v_cmp_eq_f32_e32 vcc_lo, 0xff800000, v9
	v_cndmask_b32_e64 v7, v9, s2, vcc_lo
; %bb.1666:
	s_or_b32 exec_lo, exec_lo, s6
.LBB504_1667:
	s_delay_alu instid0(SALU_CYCLE_1) | instskip(SKIP_2) | instid1(VALU_DEP_1)
	s_or_b32 exec_lo, exec_lo, s0
	v_mul_lo_u32 v10, s8, v10
	v_and_b32_e64 v12, 0xff, s3
	v_cmp_gt_i16_e32 vcc_lo, 11, v12
	s_delay_alu instid0(VALU_DEP_3) | instskip(SKIP_1) | instid1(VALU_DEP_1)
	v_ashrrev_i32_e32 v9, 31, v10
	v_add_co_u32 v8, s0, s4, v10
	v_add_co_ci_u32_e64 v9, s0, s5, v9, s0
	s_cbranch_vccnz .LBB504_1790
; %bb.1668:
	v_cmp_lt_i16_e32 vcc_lo, 25, v12
	s_mov_b32 s6, -1
	s_mov_b32 s2, 0
	s_mov_b32 s3, 0
	;; [unrolled: 1-line block ×3, first 2 shown]
	s_cbranch_vccz .LBB504_1701
; %bb.1669:
	v_cmp_lt_i16_e32 vcc_lo, 28, v12
	s_cbranch_vccz .LBB504_1684
; %bb.1670:
	v_cmp_lt_i16_e32 vcc_lo, 43, v12
	;; [unrolled: 3-line block ×3, first 2 shown]
	s_cbranch_vccz .LBB504_1674
; %bb.1672:
	v_cmp_eq_u16_e32 vcc_lo, 46, v12
	s_mov_b32 s0, -1
	s_mov_b32 s6, 0
	s_cbranch_vccz .LBB504_1674
; %bb.1673:
	v_bfe_u32 v11, v1, 16, 1
	v_bfe_u32 v13, v0, 16, 1
	v_cmp_o_f32_e32 vcc_lo, v1, v1
	s_mov_b32 s0, 0
	s_mov_b32 s3, -1
	v_add3_u32 v11, v1, v11, 0x7fff
	v_add3_u32 v13, v0, v13, 0x7fff
	s_delay_alu instid0(VALU_DEP_2) | instskip(NEXT) | instid1(VALU_DEP_2)
	v_and_b32_e32 v11, 0xffff0000, v11
	v_lshrrev_b32_e32 v13, 16, v13
	s_delay_alu instid0(VALU_DEP_2) | instskip(SKIP_1) | instid1(VALU_DEP_3)
	v_cndmask_b32_e32 v11, 0x7fc00000, v11, vcc_lo
	v_cmp_o_f32_e32 vcc_lo, v0, v0
	v_cndmask_b32_e32 v13, 0x7fc0, v13, vcc_lo
	s_delay_alu instid0(VALU_DEP_1)
	v_or_b32_e32 v11, v11, v13
	global_store_b32 v[8:9], v11, off
.LBB504_1674:
	s_and_b32 vcc_lo, exec_lo, s6
	s_cbranch_vccz .LBB504_1679
; %bb.1675:
	v_cmp_eq_u16_e32 vcc_lo, 44, v12
	s_mov_b32 s0, -1
	s_cbranch_vccz .LBB504_1679
; %bb.1676:
	v_bfe_u32 v13, v0, 23, 8
	v_mov_b32_e32 v11, 0xff
	s_mov_b32 s3, exec_lo
	s_delay_alu instid0(VALU_DEP_2)
	v_cmpx_ne_u32_e32 0xff, v13
; %bb.1677:
	v_and_b32_e32 v11, 0x400000, v0
	v_and_or_b32 v13, 0x3fffff, v0, v13
	s_delay_alu instid0(VALU_DEP_2) | instskip(NEXT) | instid1(VALU_DEP_2)
	v_cmp_ne_u32_e32 vcc_lo, 0, v11
	v_cmp_ne_u32_e64 s0, 0, v13
	v_lshrrev_b32_e32 v11, 23, v0
	s_delay_alu instid0(VALU_DEP_2) | instskip(NEXT) | instid1(SALU_CYCLE_1)
	s_and_b32 s0, vcc_lo, s0
	v_cndmask_b32_e64 v13, 0, 1, s0
	s_delay_alu instid0(VALU_DEP_1)
	v_add_nc_u32_e32 v11, v11, v13
; %bb.1678:
	s_or_b32 exec_lo, exec_lo, s3
	s_mov_b32 s0, 0
	s_mov_b32 s3, -1
	global_store_b8 v[8:9], v11, off
.LBB504_1679:
	s_mov_b32 s6, 0
.LBB504_1680:
	s_delay_alu instid0(SALU_CYCLE_1)
	s_and_b32 vcc_lo, exec_lo, s6
	s_cbranch_vccz .LBB504_1683
; %bb.1681:
	v_cmp_eq_u16_e32 vcc_lo, 29, v12
	s_mov_b32 s0, -1
	s_cbranch_vccz .LBB504_1683
; %bb.1682:
	v_trunc_f32_e32 v11, v0
	s_mov_b32 s0, 0
	s_mov_b32 s3, -1
	s_delay_alu instid0(VALU_DEP_1) | instskip(NEXT) | instid1(VALU_DEP_1)
	v_mul_f32_e32 v13, 0x2f800000, v11
	v_floor_f32_e32 v13, v13
	s_delay_alu instid0(VALU_DEP_1) | instskip(SKIP_1) | instid1(VALU_DEP_2)
	v_fmamk_f32 v11, v13, 0xcf800000, v11
	v_cvt_u32_f32_e32 v14, v13
	v_cvt_u32_f32_e32 v13, v11
	global_store_b64 v[8:9], v[13:14], off
.LBB504_1683:
	s_mov_b32 s6, 0
.LBB504_1684:
	s_delay_alu instid0(SALU_CYCLE_1)
	s_and_b32 vcc_lo, exec_lo, s6
	s_cbranch_vccz .LBB504_1700
; %bb.1685:
	v_cmp_gt_i16_e32 vcc_lo, 27, v12
	s_mov_b32 s3, -1
	s_cbranch_vccnz .LBB504_1691
; %bb.1686:
	v_cmp_lt_i16_e32 vcc_lo, 27, v12
	v_cvt_u32_f32_e32 v11, v0
	s_cbranch_vccz .LBB504_1688
; %bb.1687:
	s_mov_b32 s3, 0
	global_store_b32 v[8:9], v11, off
.LBB504_1688:
	s_and_not1_b32 vcc_lo, exec_lo, s3
	s_cbranch_vccnz .LBB504_1690
; %bb.1689:
	global_store_b16 v[8:9], v11, off
.LBB504_1690:
	s_mov_b32 s3, 0
.LBB504_1691:
	s_delay_alu instid0(SALU_CYCLE_1)
	s_and_not1_b32 vcc_lo, exec_lo, s3
	s_cbranch_vccnz .LBB504_1699
; %bb.1692:
	v_and_b32_e32 v11, 0x7fffffff, v0
	v_mov_b32_e32 v13, 0x80
	s_mov_b32 s3, exec_lo
	s_delay_alu instid0(VALU_DEP_2)
	v_cmpx_gt_u32_e32 0x43800000, v11
	s_cbranch_execz .LBB504_1698
; %bb.1693:
	v_cmp_lt_u32_e32 vcc_lo, 0x3bffffff, v11
	s_mov_b32 s6, 0
                                        ; implicit-def: $vgpr11
	s_and_saveexec_b32 s7, vcc_lo
	s_delay_alu instid0(SALU_CYCLE_1)
	s_xor_b32 s7, exec_lo, s7
	s_cbranch_execz .LBB504_2149
; %bb.1694:
	v_bfe_u32 v11, v0, 20, 1
	s_mov_b32 s6, exec_lo
	s_delay_alu instid0(VALU_DEP_1) | instskip(NEXT) | instid1(VALU_DEP_1)
	v_add3_u32 v11, v0, v11, 0x487ffff
	v_lshrrev_b32_e32 v11, 20, v11
	s_or_saveexec_b32 s7, s7
                                        ; implicit-def: $sgpr9
	s_delay_alu instid0(SALU_CYCLE_1)
	s_xor_b32 exec_lo, exec_lo, s7
	s_cbranch_execnz .LBB504_2150
.LBB504_1695:
	s_or_b32 exec_lo, exec_lo, s7
	v_mov_b32_e32 v13, s9
	s_and_saveexec_b32 s7, s6
.LBB504_1696:
	v_lshrrev_b32_e32 v13, 24, v0
	s_delay_alu instid0(VALU_DEP_1)
	v_and_or_b32 v13, 0x80, v13, v11
.LBB504_1697:
	s_or_b32 exec_lo, exec_lo, s7
.LBB504_1698:
	s_delay_alu instid0(SALU_CYCLE_1)
	s_or_b32 exec_lo, exec_lo, s3
	global_store_b8 v[8:9], v13, off
.LBB504_1699:
	s_mov_b32 s3, -1
.LBB504_1700:
	s_mov_b32 s6, 0
.LBB504_1701:
	s_delay_alu instid0(SALU_CYCLE_1)
	s_and_b32 vcc_lo, exec_lo, s6
	s_cbranch_vccz .LBB504_1741
; %bb.1702:
	v_cmp_lt_i16_e32 vcc_lo, 22, v12
	s_mov_b32 s2, -1
	s_cbranch_vccz .LBB504_1734
; %bb.1703:
	v_cmp_gt_i16_e32 vcc_lo, 24, v12
	s_cbranch_vccnz .LBB504_1723
; %bb.1704:
	v_cmp_lt_i16_e32 vcc_lo, 24, v12
	s_cbranch_vccz .LBB504_1712
; %bb.1705:
	v_and_b32_e32 v11, 0x7fffffff, v0
	v_mov_b32_e32 v13, 0x80
	s_mov_b32 s2, exec_lo
	s_delay_alu instid0(VALU_DEP_2)
	v_cmpx_gt_u32_e32 0x47800000, v11
	s_cbranch_execz .LBB504_1711
; %bb.1706:
	v_cmp_lt_u32_e32 vcc_lo, 0x37ffffff, v11
	s_mov_b32 s3, 0
                                        ; implicit-def: $vgpr11
	s_and_saveexec_b32 s6, vcc_lo
	s_delay_alu instid0(SALU_CYCLE_1)
	s_xor_b32 s6, exec_lo, s6
	s_cbranch_execz .LBB504_2155
; %bb.1707:
	v_bfe_u32 v11, v0, 21, 1
	s_mov_b32 s3, exec_lo
	s_delay_alu instid0(VALU_DEP_1) | instskip(NEXT) | instid1(VALU_DEP_1)
	v_add3_u32 v11, v0, v11, 0x88fffff
	v_lshrrev_b32_e32 v11, 21, v11
	s_or_saveexec_b32 s6, s6
                                        ; implicit-def: $sgpr7
	s_delay_alu instid0(SALU_CYCLE_1)
	s_xor_b32 exec_lo, exec_lo, s6
	s_cbranch_execnz .LBB504_2156
.LBB504_1708:
	s_or_b32 exec_lo, exec_lo, s6
	v_mov_b32_e32 v13, s7
	s_and_saveexec_b32 s6, s3
.LBB504_1709:
	v_lshrrev_b32_e32 v13, 24, v0
	s_delay_alu instid0(VALU_DEP_1)
	v_and_or_b32 v13, 0x80, v13, v11
.LBB504_1710:
	s_or_b32 exec_lo, exec_lo, s6
.LBB504_1711:
	s_delay_alu instid0(SALU_CYCLE_1)
	s_or_b32 exec_lo, exec_lo, s2
	s_mov_b32 s2, 0
	global_store_b8 v[8:9], v13, off
.LBB504_1712:
	s_and_b32 vcc_lo, exec_lo, s2
	s_cbranch_vccz .LBB504_1722
; %bb.1713:
	v_and_b32_e32 v13, 0x7fffffff, v0
	s_mov_b32 s2, exec_lo
                                        ; implicit-def: $vgpr11
	s_delay_alu instid0(VALU_DEP_1)
	v_cmpx_gt_u32_e32 0x43f00000, v13
	s_xor_b32 s2, exec_lo, s2
	s_cbranch_execz .LBB504_1719
; %bb.1714:
	s_mov_b32 s3, exec_lo
                                        ; implicit-def: $vgpr11
	v_cmpx_lt_u32_e32 0x3c7fffff, v13
	s_xor_b32 s3, exec_lo, s3
; %bb.1715:
	v_bfe_u32 v11, v0, 20, 1
	s_delay_alu instid0(VALU_DEP_1) | instskip(NEXT) | instid1(VALU_DEP_1)
	v_add3_u32 v11, v0, v11, 0x407ffff
	v_and_b32_e32 v13, 0xff00000, v11
	v_lshrrev_b32_e32 v11, 20, v11
	s_delay_alu instid0(VALU_DEP_2) | instskip(NEXT) | instid1(VALU_DEP_2)
	v_cmp_ne_u32_e32 vcc_lo, 0x7f00000, v13
	v_cndmask_b32_e32 v11, 0x7e, v11, vcc_lo
; %bb.1716:
	s_and_not1_saveexec_b32 s3, s3
; %bb.1717:
	v_add_f32_e64 v11, 0x46800000, |v0|
; %bb.1718:
	s_or_b32 exec_lo, exec_lo, s3
                                        ; implicit-def: $vgpr13
.LBB504_1719:
	s_and_not1_saveexec_b32 s2, s2
; %bb.1720:
	v_mov_b32_e32 v11, 0x7f
	v_cmp_lt_u32_e32 vcc_lo, 0x7f800000, v13
	s_delay_alu instid0(VALU_DEP_2)
	v_cndmask_b32_e32 v11, 0x7e, v11, vcc_lo
; %bb.1721:
	s_or_b32 exec_lo, exec_lo, s2
	v_lshrrev_b32_e32 v13, 24, v0
	s_delay_alu instid0(VALU_DEP_1)
	v_and_or_b32 v11, 0x80, v13, v11
	global_store_b8 v[8:9], v11, off
.LBB504_1722:
	s_mov_b32 s2, 0
.LBB504_1723:
	s_delay_alu instid0(SALU_CYCLE_1)
	s_and_not1_b32 vcc_lo, exec_lo, s2
	s_cbranch_vccnz .LBB504_1733
; %bb.1724:
	v_and_b32_e32 v13, 0x7fffffff, v0
	s_mov_b32 s2, exec_lo
                                        ; implicit-def: $vgpr11
	s_delay_alu instid0(VALU_DEP_1)
	v_cmpx_gt_u32_e32 0x47800000, v13
	s_xor_b32 s2, exec_lo, s2
	s_cbranch_execz .LBB504_1730
; %bb.1725:
	s_mov_b32 s3, exec_lo
                                        ; implicit-def: $vgpr11
	v_cmpx_lt_u32_e32 0x387fffff, v13
	s_xor_b32 s3, exec_lo, s3
; %bb.1726:
	v_bfe_u32 v11, v0, 21, 1
	s_delay_alu instid0(VALU_DEP_1) | instskip(NEXT) | instid1(VALU_DEP_1)
	v_add3_u32 v11, v0, v11, 0x80fffff
	v_lshrrev_b32_e32 v11, 21, v11
; %bb.1727:
	s_and_not1_saveexec_b32 s3, s3
; %bb.1728:
	v_add_f32_e64 v11, 0x43000000, |v0|
; %bb.1729:
	s_or_b32 exec_lo, exec_lo, s3
                                        ; implicit-def: $vgpr13
.LBB504_1730:
	s_and_not1_saveexec_b32 s2, s2
; %bb.1731:
	v_mov_b32_e32 v11, 0x7f
	v_cmp_lt_u32_e32 vcc_lo, 0x7f800000, v13
	s_delay_alu instid0(VALU_DEP_2)
	v_cndmask_b32_e32 v11, 0x7c, v11, vcc_lo
; %bb.1732:
	s_or_b32 exec_lo, exec_lo, s2
	v_lshrrev_b32_e32 v13, 24, v0
	s_delay_alu instid0(VALU_DEP_1)
	v_and_or_b32 v11, 0x80, v13, v11
	global_store_b8 v[8:9], v11, off
.LBB504_1733:
	s_mov_b32 s2, 0
	s_mov_b32 s3, -1
.LBB504_1734:
	s_and_not1_b32 vcc_lo, exec_lo, s2
	s_mov_b32 s2, 0
	s_cbranch_vccnz .LBB504_1741
; %bb.1735:
	v_cmp_lt_i16_e32 vcc_lo, 14, v12
	s_mov_b32 s2, -1
	s_cbranch_vccz .LBB504_1739
; %bb.1736:
	v_cmp_eq_u16_e32 vcc_lo, 15, v12
	s_mov_b32 s0, -1
	s_cbranch_vccz .LBB504_1738
; %bb.1737:
	v_bfe_u32 v11, v0, 16, 1
	v_cmp_o_f32_e32 vcc_lo, v0, v0
	s_mov_b32 s0, 0
	s_mov_b32 s3, -1
	s_delay_alu instid0(VALU_DEP_2) | instskip(NEXT) | instid1(VALU_DEP_1)
	v_add3_u32 v11, v0, v11, 0x7fff
	v_lshrrev_b32_e32 v11, 16, v11
	s_delay_alu instid0(VALU_DEP_1)
	v_cndmask_b32_e32 v11, 0x7fc0, v11, vcc_lo
	global_store_b16 v[8:9], v11, off
.LBB504_1738:
	s_mov_b32 s2, 0
.LBB504_1739:
	s_delay_alu instid0(SALU_CYCLE_1)
	s_and_b32 vcc_lo, exec_lo, s2
	s_mov_b32 s2, 0
	s_cbranch_vccz .LBB504_1741
; %bb.1740:
	v_cmp_ne_u16_e64 s0, 11, v12
	s_mov_b32 s2, -1
.LBB504_1741:
	s_delay_alu instid0(VALU_DEP_1)
	s_and_b32 vcc_lo, exec_lo, s0
	s_cbranch_vccnz .LBB504_2153
; %bb.1742:
	s_and_not1_b32 vcc_lo, exec_lo, s2
	s_cbranch_vccnz .LBB504_1744
.LBB504_1743:
	v_cmp_neq_f32_e32 vcc_lo, 0, v0
	v_cmp_neq_f32_e64 s0, 0, v1
	s_mov_b32 s3, -1
	s_delay_alu instid0(VALU_DEP_1) | instskip(NEXT) | instid1(SALU_CYCLE_1)
	s_or_b32 s0, vcc_lo, s0
	v_cndmask_b32_e64 v11, 0, 1, s0
	global_store_b8 v[8:9], v11, off
.LBB504_1744:
	s_mov_b32 s0, 0
	s_branch .LBB504_1791
.LBB504_1745:
	s_mov_b32 s0, 0
	s_mov_b32 s2, 0
                                        ; implicit-def: $vgpr12
                                        ; implicit-def: $vgpr0_vgpr1
                                        ; implicit-def: $vgpr7
.LBB504_1746:
	s_and_b32 s14, s0, exec_lo
	s_and_not1_b32 s0, s13, exec_lo
	s_and_b32 s3, s1, exec_lo
	s_and_b32 s1, s2, exec_lo
	s_or_b32 s13, s0, s3
.LBB504_1747:
	s_or_b32 exec_lo, exec_lo, s12
	s_and_saveexec_b32 s0, s13
	s_cbranch_execz .LBB504_1750
; %bb.1748:
	; divergent unreachable
	s_or_b32 exec_lo, exec_lo, s0
	s_and_saveexec_b32 s0, s1
	s_delay_alu instid0(SALU_CYCLE_1)
	s_xor_b32 s1, exec_lo, s0
	s_cbranch_execnz .LBB504_1751
.LBB504_1749:
	s_or_b32 exec_lo, exec_lo, s1
	s_and_saveexec_b32 s0, s14
	s_cbranch_execnz .LBB504_1752
	s_branch .LBB504_1789
.LBB504_1750:
	s_or_b32 exec_lo, exec_lo, s0
	s_and_saveexec_b32 s0, s1
	s_delay_alu instid0(SALU_CYCLE_1)
	s_xor_b32 s1, exec_lo, s0
	s_cbranch_execz .LBB504_1749
.LBB504_1751:
	s_waitcnt vmcnt(0)
	v_cmp_neq_f32_e32 vcc_lo, 0, v6
	v_cmp_neq_f32_e64 s0, 0, v7
	s_delay_alu instid0(VALU_DEP_1) | instskip(NEXT) | instid1(SALU_CYCLE_1)
	s_or_b32 s0, vcc_lo, s0
	v_cndmask_b32_e64 v2, 0, 1, s0
	global_store_b8 v[0:1], v2, off
	s_or_b32 exec_lo, exec_lo, s1
	s_and_saveexec_b32 s0, s14
	s_cbranch_execz .LBB504_1789
.LBB504_1752:
	v_cmp_gt_i16_e32 vcc_lo, 5, v12
	s_mov_b32 s0, -1
	s_cbranch_vccnz .LBB504_1773
; %bb.1753:
	v_cmp_gt_i16_e32 vcc_lo, 8, v12
	s_cbranch_vccnz .LBB504_1763
; %bb.1754:
	v_cmp_gt_i16_e32 vcc_lo, 9, v12
	s_cbranch_vccnz .LBB504_1760
; %bb.1755:
	v_cmp_lt_i16_e32 vcc_lo, 9, v12
	s_cbranch_vccz .LBB504_1757
; %bb.1756:
	s_waitcnt vmcnt(0)
	v_cvt_f64_f32_e32 v[2:3], v6
	v_cvt_f64_f32_e32 v[4:5], v7
	s_mov_b32 s0, 0
	global_store_b128 v[0:1], v[2:5], off
.LBB504_1757:
	s_and_not1_b32 vcc_lo, exec_lo, s0
	s_cbranch_vccnz .LBB504_1759
; %bb.1758:
	s_waitcnt vmcnt(0)
	global_store_b64 v[0:1], v[6:7], off
.LBB504_1759:
	s_mov_b32 s0, 0
.LBB504_1760:
	s_delay_alu instid0(SALU_CYCLE_1)
	s_and_not1_b32 vcc_lo, exec_lo, s0
	s_cbranch_vccnz .LBB504_1762
; %bb.1761:
	s_waitcnt vmcnt(0)
	v_cvt_f16_f32_e32 v2, v7
	v_cvt_f16_f32_e32 v3, v6
	s_delay_alu instid0(VALU_DEP_2) | instskip(NEXT) | instid1(VALU_DEP_2)
	v_lshlrev_b32_e32 v2, 16, v2
	v_and_b32_e32 v3, 0xffff, v3
	s_delay_alu instid0(VALU_DEP_1)
	v_or_b32_e32 v2, v2, v3
	global_store_b32 v[0:1], v2, off
.LBB504_1762:
	s_mov_b32 s0, 0
.LBB504_1763:
	s_delay_alu instid0(SALU_CYCLE_1)
	s_and_not1_b32 vcc_lo, exec_lo, s0
	s_cbranch_vccnz .LBB504_1772
; %bb.1764:
	v_cmp_gt_i16_e32 vcc_lo, 6, v12
	s_mov_b32 s0, -1
	s_cbranch_vccnz .LBB504_1770
; %bb.1765:
	v_cmp_lt_i16_e32 vcc_lo, 6, v12
	s_cbranch_vccz .LBB504_1767
; %bb.1766:
	s_waitcnt vmcnt(0)
	v_cvt_f64_f32_e32 v[2:3], v6
	s_mov_b32 s0, 0
	global_store_b64 v[0:1], v[2:3], off
.LBB504_1767:
	s_and_not1_b32 vcc_lo, exec_lo, s0
	s_cbranch_vccnz .LBB504_1769
; %bb.1768:
	s_waitcnt vmcnt(0)
	global_store_b32 v[0:1], v6, off
.LBB504_1769:
	s_mov_b32 s0, 0
.LBB504_1770:
	s_delay_alu instid0(SALU_CYCLE_1)
	s_and_not1_b32 vcc_lo, exec_lo, s0
	s_cbranch_vccnz .LBB504_1772
; %bb.1771:
	s_waitcnt vmcnt(0)
	v_cvt_f16_f32_e32 v2, v6
	global_store_b16 v[0:1], v2, off
.LBB504_1772:
	s_mov_b32 s0, 0
.LBB504_1773:
	s_delay_alu instid0(SALU_CYCLE_1)
	s_and_not1_b32 vcc_lo, exec_lo, s0
	s_cbranch_vccnz .LBB504_1789
; %bb.1774:
	v_cmp_gt_i16_e32 vcc_lo, 2, v12
	s_mov_b32 s0, -1
	s_cbranch_vccnz .LBB504_1784
; %bb.1775:
	v_cmp_gt_i16_e32 vcc_lo, 3, v12
	s_cbranch_vccnz .LBB504_1781
; %bb.1776:
	v_cmp_lt_i16_e32 vcc_lo, 3, v12
	s_cbranch_vccz .LBB504_1778
; %bb.1777:
	s_waitcnt vmcnt(0)
	v_trunc_f32_e32 v2, v6
	s_mov_b32 s0, 0
	s_delay_alu instid0(VALU_DEP_1) | instskip(SKIP_1) | instid1(VALU_DEP_2)
	v_mul_f32_e64 v3, 0x2f800000, |v2|
	v_ashrrev_i32_e32 v5, 31, v2
	v_floor_f32_e32 v3, v3
	s_delay_alu instid0(VALU_DEP_1) | instskip(SKIP_1) | instid1(VALU_DEP_2)
	v_fma_f32 v4, 0xcf800000, v3, |v2|
	v_cvt_u32_f32_e32 v3, v3
	v_cvt_u32_f32_e32 v2, v4
	s_delay_alu instid0(VALU_DEP_2) | instskip(NEXT) | instid1(VALU_DEP_2)
	v_xor_b32_e32 v3, v3, v5
	v_xor_b32_e32 v2, v2, v5
	s_delay_alu instid0(VALU_DEP_1) | instskip(NEXT) | instid1(VALU_DEP_3)
	v_sub_co_u32 v2, vcc_lo, v2, v5
	v_sub_co_ci_u32_e32 v3, vcc_lo, v3, v5, vcc_lo
	global_store_b64 v[0:1], v[2:3], off
.LBB504_1778:
	s_and_not1_b32 vcc_lo, exec_lo, s0
	s_cbranch_vccnz .LBB504_1780
; %bb.1779:
	s_waitcnt vmcnt(0)
	v_cvt_i32_f32_e32 v2, v6
	global_store_b32 v[0:1], v2, off
.LBB504_1780:
	s_mov_b32 s0, 0
.LBB504_1781:
	s_delay_alu instid0(SALU_CYCLE_1)
	s_and_not1_b32 vcc_lo, exec_lo, s0
	s_cbranch_vccnz .LBB504_1783
; %bb.1782:
	s_waitcnt vmcnt(0)
	v_cvt_i32_f32_e32 v2, v6
	global_store_b16 v[0:1], v2, off
.LBB504_1783:
	s_mov_b32 s0, 0
.LBB504_1784:
	s_delay_alu instid0(SALU_CYCLE_1)
	s_and_not1_b32 vcc_lo, exec_lo, s0
	s_cbranch_vccnz .LBB504_1789
; %bb.1785:
	v_cmp_lt_i16_e32 vcc_lo, 0, v12
	s_mov_b32 s0, -1
	s_cbranch_vccz .LBB504_1787
; %bb.1786:
	s_waitcnt vmcnt(0)
	v_cvt_i32_f32_e32 v2, v6
	s_mov_b32 s0, 0
	global_store_b8 v[0:1], v2, off
.LBB504_1787:
	s_and_not1_b32 vcc_lo, exec_lo, s0
	s_cbranch_vccnz .LBB504_1789
; %bb.1788:
	s_waitcnt vmcnt(0)
	v_trunc_f32_e32 v2, v6
	s_delay_alu instid0(VALU_DEP_1) | instskip(NEXT) | instid1(VALU_DEP_1)
	v_mul_f32_e64 v3, 0x2f800000, |v2|
	v_floor_f32_e32 v3, v3
	s_delay_alu instid0(VALU_DEP_1) | instskip(SKIP_1) | instid1(VALU_DEP_2)
	v_fma_f32 v3, 0xcf800000, v3, |v2|
	v_ashrrev_i32_e32 v2, 31, v2
	v_cvt_u32_f32_e32 v3, v3
	s_delay_alu instid0(VALU_DEP_1) | instskip(NEXT) | instid1(VALU_DEP_1)
	v_xor_b32_e32 v3, v3, v2
	v_sub_nc_u32_e32 v2, v3, v2
	global_store_b8 v[0:1], v2, off
	s_nop 0
	s_sendmsg sendmsg(MSG_DEALLOC_VGPRS)
	s_endpgm
.LBB504_1789:
	s_nop 0
	s_sendmsg sendmsg(MSG_DEALLOC_VGPRS)
	s_endpgm
.LBB504_1790:
	s_mov_b32 s0, -1
	s_mov_b32 s3, 0
.LBB504_1791:
	s_and_b32 vcc_lo, exec_lo, s0
	s_cbranch_vccz .LBB504_1830
; %bb.1792:
	v_cmp_gt_i16_e32 vcc_lo, 5, v12
	s_mov_b32 s0, -1
	s_cbranch_vccnz .LBB504_1813
; %bb.1793:
	v_cmp_gt_i16_e32 vcc_lo, 8, v12
	s_cbranch_vccnz .LBB504_1803
; %bb.1794:
	v_cmp_gt_i16_e32 vcc_lo, 9, v12
	s_cbranch_vccnz .LBB504_1800
; %bb.1795:
	v_cmp_lt_i16_e32 vcc_lo, 9, v12
	s_cbranch_vccz .LBB504_1797
; %bb.1796:
	v_cvt_f64_f32_e32 v[13:14], v0
	v_cvt_f64_f32_e32 v[15:16], v1
	s_mov_b32 s0, 0
	global_store_b128 v[8:9], v[13:16], off
.LBB504_1797:
	s_and_not1_b32 vcc_lo, exec_lo, s0
	s_cbranch_vccnz .LBB504_1799
; %bb.1798:
	global_store_b64 v[8:9], v[0:1], off
.LBB504_1799:
	s_mov_b32 s0, 0
.LBB504_1800:
	s_delay_alu instid0(SALU_CYCLE_1)
	s_and_not1_b32 vcc_lo, exec_lo, s0
	s_cbranch_vccnz .LBB504_1802
; %bb.1801:
	v_cvt_f16_f32_e32 v1, v1
	v_cvt_f16_f32_e32 v11, v0
	s_delay_alu instid0(VALU_DEP_2) | instskip(NEXT) | instid1(VALU_DEP_2)
	v_lshlrev_b32_e32 v1, 16, v1
	v_and_b32_e32 v11, 0xffff, v11
	s_delay_alu instid0(VALU_DEP_1)
	v_or_b32_e32 v1, v1, v11
	global_store_b32 v[8:9], v1, off
.LBB504_1802:
	s_mov_b32 s0, 0
.LBB504_1803:
	s_delay_alu instid0(SALU_CYCLE_1)
	s_and_not1_b32 vcc_lo, exec_lo, s0
	s_cbranch_vccnz .LBB504_1812
; %bb.1804:
	v_cmp_gt_i16_e32 vcc_lo, 6, v12
	s_mov_b32 s0, -1
	s_cbranch_vccnz .LBB504_1810
; %bb.1805:
	v_cmp_lt_i16_e32 vcc_lo, 6, v12
	s_cbranch_vccz .LBB504_1807
; %bb.1806:
	v_cvt_f64_f32_e32 v[13:14], v0
	s_mov_b32 s0, 0
	global_store_b64 v[8:9], v[13:14], off
.LBB504_1807:
	s_and_not1_b32 vcc_lo, exec_lo, s0
	s_cbranch_vccnz .LBB504_1809
; %bb.1808:
	global_store_b32 v[8:9], v0, off
.LBB504_1809:
	s_mov_b32 s0, 0
.LBB504_1810:
	s_delay_alu instid0(SALU_CYCLE_1)
	s_and_not1_b32 vcc_lo, exec_lo, s0
	s_cbranch_vccnz .LBB504_1812
; %bb.1811:
	v_cvt_f16_f32_e32 v1, v0
	global_store_b16 v[8:9], v1, off
.LBB504_1812:
	s_mov_b32 s0, 0
.LBB504_1813:
	s_delay_alu instid0(SALU_CYCLE_1)
	s_and_not1_b32 vcc_lo, exec_lo, s0
	s_cbranch_vccnz .LBB504_1829
; %bb.1814:
	v_cmp_gt_i16_e32 vcc_lo, 2, v12
	s_mov_b32 s0, -1
	s_cbranch_vccnz .LBB504_1824
; %bb.1815:
	v_cmp_gt_i16_e32 vcc_lo, 3, v12
	s_cbranch_vccnz .LBB504_1821
; %bb.1816:
	v_cmp_lt_i16_e32 vcc_lo, 3, v12
	s_cbranch_vccz .LBB504_1818
; %bb.1817:
	v_trunc_f32_e32 v1, v0
	s_mov_b32 s0, 0
	s_delay_alu instid0(VALU_DEP_1) | instskip(NEXT) | instid1(VALU_DEP_1)
	v_mul_f32_e64 v11, 0x2f800000, |v1|
	v_floor_f32_e32 v11, v11
	s_delay_alu instid0(VALU_DEP_1) | instskip(SKIP_2) | instid1(VALU_DEP_3)
	v_fma_f32 v13, 0xcf800000, v11, |v1|
	v_ashrrev_i32_e32 v1, 31, v1
	v_cvt_u32_f32_e32 v11, v11
	v_cvt_u32_f32_e32 v13, v13
	s_delay_alu instid0(VALU_DEP_2) | instskip(NEXT) | instid1(VALU_DEP_2)
	v_xor_b32_e32 v11, v11, v1
	v_xor_b32_e32 v13, v13, v1
	s_delay_alu instid0(VALU_DEP_1) | instskip(NEXT) | instid1(VALU_DEP_3)
	v_sub_co_u32 v13, vcc_lo, v13, v1
	v_sub_co_ci_u32_e32 v14, vcc_lo, v11, v1, vcc_lo
	global_store_b64 v[8:9], v[13:14], off
.LBB504_1818:
	s_and_not1_b32 vcc_lo, exec_lo, s0
	s_cbranch_vccnz .LBB504_1820
; %bb.1819:
	v_cvt_i32_f32_e32 v1, v0
	global_store_b32 v[8:9], v1, off
.LBB504_1820:
	s_mov_b32 s0, 0
.LBB504_1821:
	s_delay_alu instid0(SALU_CYCLE_1)
	s_and_not1_b32 vcc_lo, exec_lo, s0
	s_cbranch_vccnz .LBB504_1823
; %bb.1822:
	v_cvt_i32_f32_e32 v1, v0
	global_store_b16 v[8:9], v1, off
.LBB504_1823:
	s_mov_b32 s0, 0
.LBB504_1824:
	s_delay_alu instid0(SALU_CYCLE_1)
	s_and_not1_b32 vcc_lo, exec_lo, s0
	s_cbranch_vccnz .LBB504_1829
; %bb.1825:
	v_cmp_lt_i16_e32 vcc_lo, 0, v12
	s_mov_b32 s0, -1
	s_cbranch_vccz .LBB504_1827
; %bb.1826:
	v_cvt_i32_f32_e32 v1, v0
	s_mov_b32 s0, 0
	global_store_b8 v[8:9], v1, off
.LBB504_1827:
	s_and_not1_b32 vcc_lo, exec_lo, s0
	s_cbranch_vccnz .LBB504_1829
; %bb.1828:
	v_trunc_f32_e32 v0, v0
	s_delay_alu instid0(VALU_DEP_1) | instskip(NEXT) | instid1(VALU_DEP_1)
	v_mul_f32_e64 v1, 0x2f800000, |v0|
	v_floor_f32_e32 v1, v1
	s_delay_alu instid0(VALU_DEP_1) | instskip(SKIP_1) | instid1(VALU_DEP_2)
	v_fma_f32 v1, 0xcf800000, v1, |v0|
	v_ashrrev_i32_e32 v0, 31, v0
	v_cvt_u32_f32_e32 v1, v1
	s_delay_alu instid0(VALU_DEP_1) | instskip(NEXT) | instid1(VALU_DEP_1)
	v_xor_b32_e32 v1, v1, v0
	v_sub_nc_u32_e32 v0, v1, v0
	global_store_b8 v[8:9], v0, off
.LBB504_1829:
	s_mov_b32 s3, -1
.LBB504_1830:
	s_delay_alu instid0(SALU_CYCLE_1)
	s_and_not1_b32 vcc_lo, exec_lo, s3
	s_cbranch_vccnz .LBB504_2145
; %bb.1831:
	s_lshl_b32 s2, s8, 7
	v_cmp_gt_i16_e32 vcc_lo, 11, v12
	v_add_nc_u32_e32 v8, s2, v10
	s_delay_alu instid0(VALU_DEP_1) | instskip(SKIP_1) | instid1(VALU_DEP_1)
	v_ashrrev_i32_e32 v1, 31, v8
	v_add_co_u32 v0, s0, s4, v8
	v_add_co_ci_u32_e64 v1, s0, s5, v1, s0
	s_cbranch_vccnz .LBB504_1909
; %bb.1832:
	v_cmp_lt_i16_e32 vcc_lo, 25, v12
	s_mov_b32 s7, -1
	s_mov_b32 s3, 0
	s_mov_b32 s6, 0
	;; [unrolled: 1-line block ×3, first 2 shown]
	s_cbranch_vccz .LBB504_1865
; %bb.1833:
	v_cmp_lt_i16_e32 vcc_lo, 28, v12
	s_cbranch_vccz .LBB504_1848
; %bb.1834:
	v_cmp_lt_i16_e32 vcc_lo, 43, v12
	;; [unrolled: 3-line block ×3, first 2 shown]
	s_cbranch_vccz .LBB504_1838
; %bb.1836:
	v_cmp_eq_u16_e32 vcc_lo, 46, v12
	s_mov_b32 s0, -1
	s_mov_b32 s7, 0
	s_cbranch_vccz .LBB504_1838
; %bb.1837:
	v_bfe_u32 v9, v3, 16, 1
	v_bfe_u32 v10, v2, 16, 1
	v_cmp_o_f32_e32 vcc_lo, v3, v3
	s_mov_b32 s0, 0
	s_mov_b32 s6, -1
	v_add3_u32 v9, v3, v9, 0x7fff
	v_add3_u32 v10, v2, v10, 0x7fff
	s_delay_alu instid0(VALU_DEP_2) | instskip(NEXT) | instid1(VALU_DEP_2)
	v_and_b32_e32 v9, 0xffff0000, v9
	v_lshrrev_b32_e32 v10, 16, v10
	s_delay_alu instid0(VALU_DEP_2) | instskip(SKIP_1) | instid1(VALU_DEP_3)
	v_cndmask_b32_e32 v9, 0x7fc00000, v9, vcc_lo
	v_cmp_o_f32_e32 vcc_lo, v2, v2
	v_cndmask_b32_e32 v10, 0x7fc0, v10, vcc_lo
	s_delay_alu instid0(VALU_DEP_1)
	v_or_b32_e32 v9, v9, v10
	global_store_b32 v[0:1], v9, off
.LBB504_1838:
	s_and_b32 vcc_lo, exec_lo, s7
	s_cbranch_vccz .LBB504_1843
; %bb.1839:
	v_cmp_eq_u16_e32 vcc_lo, 44, v12
	s_mov_b32 s0, -1
	s_cbranch_vccz .LBB504_1843
; %bb.1840:
	v_bfe_u32 v10, v2, 23, 8
	v_mov_b32_e32 v9, 0xff
	s_mov_b32 s6, exec_lo
	s_delay_alu instid0(VALU_DEP_2)
	v_cmpx_ne_u32_e32 0xff, v10
; %bb.1841:
	v_and_b32_e32 v9, 0x400000, v2
	v_and_or_b32 v10, 0x3fffff, v2, v10
	s_delay_alu instid0(VALU_DEP_2) | instskip(NEXT) | instid1(VALU_DEP_2)
	v_cmp_ne_u32_e32 vcc_lo, 0, v9
	v_cmp_ne_u32_e64 s0, 0, v10
	v_lshrrev_b32_e32 v9, 23, v2
	s_delay_alu instid0(VALU_DEP_2) | instskip(NEXT) | instid1(SALU_CYCLE_1)
	s_and_b32 s0, vcc_lo, s0
	v_cndmask_b32_e64 v10, 0, 1, s0
	s_delay_alu instid0(VALU_DEP_1)
	v_add_nc_u32_e32 v9, v9, v10
; %bb.1842:
	s_or_b32 exec_lo, exec_lo, s6
	s_mov_b32 s0, 0
	s_mov_b32 s6, -1
	global_store_b8 v[0:1], v9, off
.LBB504_1843:
	s_mov_b32 s7, 0
.LBB504_1844:
	s_delay_alu instid0(SALU_CYCLE_1)
	s_and_b32 vcc_lo, exec_lo, s7
	s_cbranch_vccz .LBB504_1847
; %bb.1845:
	v_cmp_eq_u16_e32 vcc_lo, 29, v12
	s_mov_b32 s0, -1
	s_cbranch_vccz .LBB504_1847
; %bb.1846:
	v_trunc_f32_e32 v9, v2
	s_mov_b32 s0, 0
	s_mov_b32 s6, -1
	s_delay_alu instid0(VALU_DEP_1) | instskip(NEXT) | instid1(VALU_DEP_1)
	v_mul_f32_e32 v10, 0x2f800000, v9
	v_floor_f32_e32 v10, v10
	s_delay_alu instid0(VALU_DEP_1) | instskip(SKIP_1) | instid1(VALU_DEP_2)
	v_fmamk_f32 v9, v10, 0xcf800000, v9
	v_cvt_u32_f32_e32 v10, v10
	v_cvt_u32_f32_e32 v9, v9
	global_store_b64 v[0:1], v[9:10], off
.LBB504_1847:
	s_mov_b32 s7, 0
.LBB504_1848:
	s_delay_alu instid0(SALU_CYCLE_1)
	s_and_b32 vcc_lo, exec_lo, s7
	s_cbranch_vccz .LBB504_1864
; %bb.1849:
	v_cmp_gt_i16_e32 vcc_lo, 27, v12
	s_mov_b32 s6, -1
	s_cbranch_vccnz .LBB504_1855
; %bb.1850:
	v_cmp_lt_i16_e32 vcc_lo, 27, v12
	v_cvt_u32_f32_e32 v9, v2
	s_cbranch_vccz .LBB504_1852
; %bb.1851:
	s_mov_b32 s6, 0
	global_store_b32 v[0:1], v9, off
.LBB504_1852:
	s_and_not1_b32 vcc_lo, exec_lo, s6
	s_cbranch_vccnz .LBB504_1854
; %bb.1853:
	global_store_b16 v[0:1], v9, off
.LBB504_1854:
	s_mov_b32 s6, 0
.LBB504_1855:
	s_delay_alu instid0(SALU_CYCLE_1)
	s_and_not1_b32 vcc_lo, exec_lo, s6
	s_cbranch_vccnz .LBB504_1863
; %bb.1856:
	v_and_b32_e32 v9, 0x7fffffff, v2
	v_mov_b32_e32 v10, 0x80
	s_mov_b32 s6, exec_lo
	s_delay_alu instid0(VALU_DEP_2)
	v_cmpx_gt_u32_e32 0x43800000, v9
	s_cbranch_execz .LBB504_1862
; %bb.1857:
	v_cmp_lt_u32_e32 vcc_lo, 0x3bffffff, v9
	s_mov_b32 s7, 0
                                        ; implicit-def: $vgpr9
	s_and_saveexec_b32 s8, vcc_lo
	s_delay_alu instid0(SALU_CYCLE_1)
	s_xor_b32 s8, exec_lo, s8
	s_cbranch_execz .LBB504_2157
; %bb.1858:
	v_bfe_u32 v9, v2, 20, 1
	s_mov_b32 s7, exec_lo
	s_delay_alu instid0(VALU_DEP_1) | instskip(NEXT) | instid1(VALU_DEP_1)
	v_add3_u32 v9, v2, v9, 0x487ffff
	v_lshrrev_b32_e32 v9, 20, v9
	s_or_saveexec_b32 s8, s8
                                        ; implicit-def: $sgpr9
	s_delay_alu instid0(SALU_CYCLE_1)
	s_xor_b32 exec_lo, exec_lo, s8
	s_cbranch_execnz .LBB504_2158
.LBB504_1859:
	s_or_b32 exec_lo, exec_lo, s8
	v_mov_b32_e32 v10, s9
	s_and_saveexec_b32 s8, s7
.LBB504_1860:
	v_lshrrev_b32_e32 v10, 24, v2
	s_delay_alu instid0(VALU_DEP_1)
	v_and_or_b32 v10, 0x80, v10, v9
.LBB504_1861:
	s_or_b32 exec_lo, exec_lo, s8
.LBB504_1862:
	s_delay_alu instid0(SALU_CYCLE_1)
	s_or_b32 exec_lo, exec_lo, s6
	global_store_b8 v[0:1], v10, off
.LBB504_1863:
	s_mov_b32 s6, -1
.LBB504_1864:
	s_mov_b32 s7, 0
.LBB504_1865:
	s_delay_alu instid0(SALU_CYCLE_1)
	s_and_b32 vcc_lo, exec_lo, s7
	s_cbranch_vccz .LBB504_1905
; %bb.1866:
	v_cmp_lt_i16_e32 vcc_lo, 22, v12
	s_mov_b32 s3, -1
	s_cbranch_vccz .LBB504_1898
; %bb.1867:
	v_cmp_gt_i16_e32 vcc_lo, 24, v12
	s_cbranch_vccnz .LBB504_1887
; %bb.1868:
	v_cmp_lt_i16_e32 vcc_lo, 24, v12
	s_cbranch_vccz .LBB504_1876
; %bb.1869:
	v_and_b32_e32 v9, 0x7fffffff, v2
	v_mov_b32_e32 v10, 0x80
	s_mov_b32 s3, exec_lo
	s_delay_alu instid0(VALU_DEP_2)
	v_cmpx_gt_u32_e32 0x47800000, v9
	s_cbranch_execz .LBB504_1875
; %bb.1870:
	v_cmp_lt_u32_e32 vcc_lo, 0x37ffffff, v9
	s_mov_b32 s6, 0
                                        ; implicit-def: $vgpr9
	s_and_saveexec_b32 s7, vcc_lo
	s_delay_alu instid0(SALU_CYCLE_1)
	s_xor_b32 s7, exec_lo, s7
	s_cbranch_execz .LBB504_2163
; %bb.1871:
	v_bfe_u32 v9, v2, 21, 1
	s_mov_b32 s6, exec_lo
	s_delay_alu instid0(VALU_DEP_1) | instskip(NEXT) | instid1(VALU_DEP_1)
	v_add3_u32 v9, v2, v9, 0x88fffff
	v_lshrrev_b32_e32 v9, 21, v9
	s_or_saveexec_b32 s7, s7
                                        ; implicit-def: $sgpr8
	s_delay_alu instid0(SALU_CYCLE_1)
	s_xor_b32 exec_lo, exec_lo, s7
	s_cbranch_execnz .LBB504_2164
.LBB504_1872:
	s_or_b32 exec_lo, exec_lo, s7
	v_mov_b32_e32 v10, s8
	s_and_saveexec_b32 s7, s6
.LBB504_1873:
	v_lshrrev_b32_e32 v10, 24, v2
	s_delay_alu instid0(VALU_DEP_1)
	v_and_or_b32 v10, 0x80, v10, v9
.LBB504_1874:
	s_or_b32 exec_lo, exec_lo, s7
.LBB504_1875:
	s_delay_alu instid0(SALU_CYCLE_1)
	s_or_b32 exec_lo, exec_lo, s3
	s_mov_b32 s3, 0
	global_store_b8 v[0:1], v10, off
.LBB504_1876:
	s_and_b32 vcc_lo, exec_lo, s3
	s_cbranch_vccz .LBB504_1886
; %bb.1877:
	v_and_b32_e32 v10, 0x7fffffff, v2
	s_mov_b32 s3, exec_lo
                                        ; implicit-def: $vgpr9
	s_delay_alu instid0(VALU_DEP_1)
	v_cmpx_gt_u32_e32 0x43f00000, v10
	s_xor_b32 s3, exec_lo, s3
	s_cbranch_execz .LBB504_1883
; %bb.1878:
	s_mov_b32 s6, exec_lo
                                        ; implicit-def: $vgpr9
	v_cmpx_lt_u32_e32 0x3c7fffff, v10
	s_xor_b32 s6, exec_lo, s6
; %bb.1879:
	v_bfe_u32 v9, v2, 20, 1
	s_delay_alu instid0(VALU_DEP_1) | instskip(NEXT) | instid1(VALU_DEP_1)
	v_add3_u32 v9, v2, v9, 0x407ffff
	v_and_b32_e32 v10, 0xff00000, v9
	v_lshrrev_b32_e32 v9, 20, v9
	s_delay_alu instid0(VALU_DEP_2) | instskip(NEXT) | instid1(VALU_DEP_2)
	v_cmp_ne_u32_e32 vcc_lo, 0x7f00000, v10
	v_cndmask_b32_e32 v9, 0x7e, v9, vcc_lo
; %bb.1880:
	s_and_not1_saveexec_b32 s6, s6
; %bb.1881:
	v_add_f32_e64 v9, 0x46800000, |v2|
; %bb.1882:
	s_or_b32 exec_lo, exec_lo, s6
                                        ; implicit-def: $vgpr10
.LBB504_1883:
	s_and_not1_saveexec_b32 s3, s3
; %bb.1884:
	v_mov_b32_e32 v9, 0x7f
	v_cmp_lt_u32_e32 vcc_lo, 0x7f800000, v10
	s_delay_alu instid0(VALU_DEP_2)
	v_cndmask_b32_e32 v9, 0x7e, v9, vcc_lo
; %bb.1885:
	s_or_b32 exec_lo, exec_lo, s3
	v_lshrrev_b32_e32 v10, 24, v2
	s_delay_alu instid0(VALU_DEP_1)
	v_and_or_b32 v9, 0x80, v10, v9
	global_store_b8 v[0:1], v9, off
.LBB504_1886:
	s_mov_b32 s3, 0
.LBB504_1887:
	s_delay_alu instid0(SALU_CYCLE_1)
	s_and_not1_b32 vcc_lo, exec_lo, s3
	s_cbranch_vccnz .LBB504_1897
; %bb.1888:
	v_and_b32_e32 v10, 0x7fffffff, v2
	s_mov_b32 s3, exec_lo
                                        ; implicit-def: $vgpr9
	s_delay_alu instid0(VALU_DEP_1)
	v_cmpx_gt_u32_e32 0x47800000, v10
	s_xor_b32 s3, exec_lo, s3
	s_cbranch_execz .LBB504_1894
; %bb.1889:
	s_mov_b32 s6, exec_lo
                                        ; implicit-def: $vgpr9
	v_cmpx_lt_u32_e32 0x387fffff, v10
	s_xor_b32 s6, exec_lo, s6
; %bb.1890:
	v_bfe_u32 v9, v2, 21, 1
	s_delay_alu instid0(VALU_DEP_1) | instskip(NEXT) | instid1(VALU_DEP_1)
	v_add3_u32 v9, v2, v9, 0x80fffff
	v_lshrrev_b32_e32 v9, 21, v9
; %bb.1891:
	s_and_not1_saveexec_b32 s6, s6
; %bb.1892:
	v_add_f32_e64 v9, 0x43000000, |v2|
; %bb.1893:
	s_or_b32 exec_lo, exec_lo, s6
                                        ; implicit-def: $vgpr10
.LBB504_1894:
	s_and_not1_saveexec_b32 s3, s3
; %bb.1895:
	v_mov_b32_e32 v9, 0x7f
	v_cmp_lt_u32_e32 vcc_lo, 0x7f800000, v10
	s_delay_alu instid0(VALU_DEP_2)
	v_cndmask_b32_e32 v9, 0x7c, v9, vcc_lo
; %bb.1896:
	s_or_b32 exec_lo, exec_lo, s3
	v_lshrrev_b32_e32 v10, 24, v2
	s_delay_alu instid0(VALU_DEP_1)
	v_and_or_b32 v9, 0x80, v10, v9
	global_store_b8 v[0:1], v9, off
.LBB504_1897:
	s_mov_b32 s3, 0
	s_mov_b32 s6, -1
.LBB504_1898:
	s_and_not1_b32 vcc_lo, exec_lo, s3
	s_mov_b32 s3, 0
	s_cbranch_vccnz .LBB504_1905
; %bb.1899:
	v_cmp_lt_i16_e32 vcc_lo, 14, v12
	s_mov_b32 s3, -1
	s_cbranch_vccz .LBB504_1903
; %bb.1900:
	v_cmp_eq_u16_e32 vcc_lo, 15, v12
	s_mov_b32 s0, -1
	s_cbranch_vccz .LBB504_1902
; %bb.1901:
	v_bfe_u32 v9, v2, 16, 1
	v_cmp_o_f32_e32 vcc_lo, v2, v2
	s_mov_b32 s0, 0
	s_mov_b32 s6, -1
	s_delay_alu instid0(VALU_DEP_2) | instskip(NEXT) | instid1(VALU_DEP_1)
	v_add3_u32 v9, v2, v9, 0x7fff
	v_lshrrev_b32_e32 v9, 16, v9
	s_delay_alu instid0(VALU_DEP_1)
	v_cndmask_b32_e32 v9, 0x7fc0, v9, vcc_lo
	global_store_b16 v[0:1], v9, off
.LBB504_1902:
	s_mov_b32 s3, 0
.LBB504_1903:
	s_delay_alu instid0(SALU_CYCLE_1)
	s_and_b32 vcc_lo, exec_lo, s3
	s_mov_b32 s3, 0
	s_cbranch_vccz .LBB504_1905
; %bb.1904:
	v_cmp_ne_u16_e64 s0, 11, v12
	s_mov_b32 s3, -1
.LBB504_1905:
	s_delay_alu instid0(VALU_DEP_1)
	s_and_b32 vcc_lo, exec_lo, s0
	s_cbranch_vccnz .LBB504_2161
; %bb.1906:
	s_and_not1_b32 vcc_lo, exec_lo, s3
	s_cbranch_vccnz .LBB504_1908
.LBB504_1907:
	v_cmp_neq_f32_e32 vcc_lo, 0, v2
	v_cmp_neq_f32_e64 s0, 0, v3
	s_mov_b32 s6, -1
	s_delay_alu instid0(VALU_DEP_1) | instskip(NEXT) | instid1(SALU_CYCLE_1)
	s_or_b32 s0, vcc_lo, s0
	v_cndmask_b32_e64 v9, 0, 1, s0
	global_store_b8 v[0:1], v9, off
.LBB504_1908:
	s_mov_b32 s0, 0
	s_branch .LBB504_1910
.LBB504_1909:
	s_mov_b32 s0, -1
	s_mov_b32 s6, 0
.LBB504_1910:
	s_and_b32 vcc_lo, exec_lo, s0
	s_cbranch_vccz .LBB504_1949
; %bb.1911:
	v_cmp_gt_i16_e32 vcc_lo, 5, v12
	s_mov_b32 s0, -1
	s_cbranch_vccnz .LBB504_1932
; %bb.1912:
	v_cmp_gt_i16_e32 vcc_lo, 8, v12
	s_cbranch_vccnz .LBB504_1922
; %bb.1913:
	v_cmp_gt_i16_e32 vcc_lo, 9, v12
	s_cbranch_vccnz .LBB504_1919
; %bb.1914:
	v_cmp_lt_i16_e32 vcc_lo, 9, v12
	s_cbranch_vccz .LBB504_1916
; %bb.1915:
	v_cvt_f64_f32_e32 v[13:14], v2
	v_cvt_f64_f32_e32 v[15:16], v3
	s_mov_b32 s0, 0
	global_store_b128 v[0:1], v[13:16], off
.LBB504_1916:
	s_and_not1_b32 vcc_lo, exec_lo, s0
	s_cbranch_vccnz .LBB504_1918
; %bb.1917:
	global_store_b64 v[0:1], v[2:3], off
.LBB504_1918:
	s_mov_b32 s0, 0
.LBB504_1919:
	s_delay_alu instid0(SALU_CYCLE_1)
	s_and_not1_b32 vcc_lo, exec_lo, s0
	s_cbranch_vccnz .LBB504_1921
; %bb.1920:
	v_cvt_f16_f32_e32 v3, v3
	v_cvt_f16_f32_e32 v9, v2
	s_delay_alu instid0(VALU_DEP_2) | instskip(NEXT) | instid1(VALU_DEP_2)
	v_lshlrev_b32_e32 v3, 16, v3
	v_and_b32_e32 v9, 0xffff, v9
	s_delay_alu instid0(VALU_DEP_1)
	v_or_b32_e32 v3, v3, v9
	global_store_b32 v[0:1], v3, off
.LBB504_1921:
	s_mov_b32 s0, 0
.LBB504_1922:
	s_delay_alu instid0(SALU_CYCLE_1)
	s_and_not1_b32 vcc_lo, exec_lo, s0
	s_cbranch_vccnz .LBB504_1931
; %bb.1923:
	v_cmp_gt_i16_e32 vcc_lo, 6, v12
	s_mov_b32 s0, -1
	s_cbranch_vccnz .LBB504_1929
; %bb.1924:
	v_cmp_lt_i16_e32 vcc_lo, 6, v12
	s_cbranch_vccz .LBB504_1926
; %bb.1925:
	v_cvt_f64_f32_e32 v[9:10], v2
	s_mov_b32 s0, 0
	global_store_b64 v[0:1], v[9:10], off
.LBB504_1926:
	s_and_not1_b32 vcc_lo, exec_lo, s0
	s_cbranch_vccnz .LBB504_1928
; %bb.1927:
	global_store_b32 v[0:1], v2, off
.LBB504_1928:
	s_mov_b32 s0, 0
.LBB504_1929:
	s_delay_alu instid0(SALU_CYCLE_1)
	s_and_not1_b32 vcc_lo, exec_lo, s0
	s_cbranch_vccnz .LBB504_1931
; %bb.1930:
	v_cvt_f16_f32_e32 v3, v2
	global_store_b16 v[0:1], v3, off
.LBB504_1931:
	s_mov_b32 s0, 0
.LBB504_1932:
	s_delay_alu instid0(SALU_CYCLE_1)
	s_and_not1_b32 vcc_lo, exec_lo, s0
	s_cbranch_vccnz .LBB504_1948
; %bb.1933:
	v_cmp_gt_i16_e32 vcc_lo, 2, v12
	s_mov_b32 s0, -1
	s_cbranch_vccnz .LBB504_1943
; %bb.1934:
	v_cmp_gt_i16_e32 vcc_lo, 3, v12
	s_cbranch_vccnz .LBB504_1940
; %bb.1935:
	v_cmp_lt_i16_e32 vcc_lo, 3, v12
	s_cbranch_vccz .LBB504_1937
; %bb.1936:
	v_trunc_f32_e32 v3, v2
	s_mov_b32 s0, 0
	s_delay_alu instid0(VALU_DEP_1) | instskip(NEXT) | instid1(VALU_DEP_1)
	v_mul_f32_e64 v9, 0x2f800000, |v3|
	v_floor_f32_e32 v9, v9
	s_delay_alu instid0(VALU_DEP_1) | instskip(SKIP_2) | instid1(VALU_DEP_3)
	v_fma_f32 v10, 0xcf800000, v9, |v3|
	v_ashrrev_i32_e32 v3, 31, v3
	v_cvt_u32_f32_e32 v9, v9
	v_cvt_u32_f32_e32 v10, v10
	s_delay_alu instid0(VALU_DEP_2) | instskip(NEXT) | instid1(VALU_DEP_2)
	v_xor_b32_e32 v11, v9, v3
	v_xor_b32_e32 v10, v10, v3
	s_delay_alu instid0(VALU_DEP_1) | instskip(NEXT) | instid1(VALU_DEP_3)
	v_sub_co_u32 v9, vcc_lo, v10, v3
	v_sub_co_ci_u32_e32 v10, vcc_lo, v11, v3, vcc_lo
	global_store_b64 v[0:1], v[9:10], off
.LBB504_1937:
	s_and_not1_b32 vcc_lo, exec_lo, s0
	s_cbranch_vccnz .LBB504_1939
; %bb.1938:
	v_cvt_i32_f32_e32 v3, v2
	global_store_b32 v[0:1], v3, off
.LBB504_1939:
	s_mov_b32 s0, 0
.LBB504_1940:
	s_delay_alu instid0(SALU_CYCLE_1)
	s_and_not1_b32 vcc_lo, exec_lo, s0
	s_cbranch_vccnz .LBB504_1942
; %bb.1941:
	v_cvt_i32_f32_e32 v3, v2
	global_store_b16 v[0:1], v3, off
.LBB504_1942:
	s_mov_b32 s0, 0
.LBB504_1943:
	s_delay_alu instid0(SALU_CYCLE_1)
	s_and_not1_b32 vcc_lo, exec_lo, s0
	s_cbranch_vccnz .LBB504_1948
; %bb.1944:
	v_cmp_lt_i16_e32 vcc_lo, 0, v12
	s_mov_b32 s0, -1
	s_cbranch_vccz .LBB504_1946
; %bb.1945:
	v_cvt_i32_f32_e32 v3, v2
	s_mov_b32 s0, 0
	global_store_b8 v[0:1], v3, off
.LBB504_1946:
	s_and_not1_b32 vcc_lo, exec_lo, s0
	s_cbranch_vccnz .LBB504_1948
; %bb.1947:
	v_trunc_f32_e32 v2, v2
	s_delay_alu instid0(VALU_DEP_1) | instskip(NEXT) | instid1(VALU_DEP_1)
	v_mul_f32_e64 v3, 0x2f800000, |v2|
	v_floor_f32_e32 v3, v3
	s_delay_alu instid0(VALU_DEP_1) | instskip(SKIP_1) | instid1(VALU_DEP_2)
	v_fma_f32 v3, 0xcf800000, v3, |v2|
	v_ashrrev_i32_e32 v2, 31, v2
	v_cvt_u32_f32_e32 v3, v3
	s_delay_alu instid0(VALU_DEP_1) | instskip(NEXT) | instid1(VALU_DEP_1)
	v_xor_b32_e32 v3, v3, v2
	v_sub_nc_u32_e32 v2, v3, v2
	global_store_b8 v[0:1], v2, off
.LBB504_1948:
	s_mov_b32 s6, -1
.LBB504_1949:
	s_delay_alu instid0(SALU_CYCLE_1)
	s_and_not1_b32 vcc_lo, exec_lo, s6
	s_cbranch_vccnz .LBB504_2145
; %bb.1950:
	v_add_nc_u32_e32 v2, s2, v8
	v_cmp_gt_i16_e32 vcc_lo, 11, v12
	s_delay_alu instid0(VALU_DEP_2) | instskip(SKIP_1) | instid1(VALU_DEP_1)
	v_ashrrev_i32_e32 v1, 31, v2
	v_add_co_u32 v0, s0, s4, v2
	v_add_co_ci_u32_e64 v1, s0, s5, v1, s0
	s_cbranch_vccnz .LBB504_2028
; %bb.1951:
	v_cmp_lt_i16_e32 vcc_lo, 25, v12
	s_mov_b32 s7, -1
	s_mov_b32 s3, 0
	s_mov_b32 s6, 0
	;; [unrolled: 1-line block ×3, first 2 shown]
	s_cbranch_vccz .LBB504_1984
; %bb.1952:
	v_cmp_lt_i16_e32 vcc_lo, 28, v12
	s_cbranch_vccz .LBB504_1967
; %bb.1953:
	v_cmp_lt_i16_e32 vcc_lo, 43, v12
	;; [unrolled: 3-line block ×3, first 2 shown]
	s_cbranch_vccz .LBB504_1957
; %bb.1955:
	v_cmp_eq_u16_e32 vcc_lo, 46, v12
	s_mov_b32 s0, -1
	s_mov_b32 s7, 0
	s_cbranch_vccz .LBB504_1957
; %bb.1956:
	v_bfe_u32 v3, v5, 16, 1
	v_bfe_u32 v8, v4, 16, 1
	v_cmp_o_f32_e32 vcc_lo, v5, v5
	s_mov_b32 s0, 0
	s_mov_b32 s6, -1
	v_add3_u32 v3, v5, v3, 0x7fff
	v_add3_u32 v8, v4, v8, 0x7fff
	s_delay_alu instid0(VALU_DEP_2) | instskip(NEXT) | instid1(VALU_DEP_2)
	v_and_b32_e32 v3, 0xffff0000, v3
	v_lshrrev_b32_e32 v8, 16, v8
	s_delay_alu instid0(VALU_DEP_2) | instskip(SKIP_1) | instid1(VALU_DEP_3)
	v_cndmask_b32_e32 v3, 0x7fc00000, v3, vcc_lo
	v_cmp_o_f32_e32 vcc_lo, v4, v4
	v_cndmask_b32_e32 v8, 0x7fc0, v8, vcc_lo
	s_delay_alu instid0(VALU_DEP_1)
	v_or_b32_e32 v3, v3, v8
	global_store_b32 v[0:1], v3, off
.LBB504_1957:
	s_and_b32 vcc_lo, exec_lo, s7
	s_cbranch_vccz .LBB504_1962
; %bb.1958:
	v_cmp_eq_u16_e32 vcc_lo, 44, v12
	s_mov_b32 s0, -1
	s_cbranch_vccz .LBB504_1962
; %bb.1959:
	v_bfe_u32 v8, v4, 23, 8
	v_mov_b32_e32 v3, 0xff
	s_mov_b32 s6, exec_lo
	s_delay_alu instid0(VALU_DEP_2)
	v_cmpx_ne_u32_e32 0xff, v8
; %bb.1960:
	v_and_b32_e32 v3, 0x400000, v4
	v_and_or_b32 v8, 0x3fffff, v4, v8
	s_delay_alu instid0(VALU_DEP_2) | instskip(NEXT) | instid1(VALU_DEP_2)
	v_cmp_ne_u32_e32 vcc_lo, 0, v3
	v_cmp_ne_u32_e64 s0, 0, v8
	v_lshrrev_b32_e32 v3, 23, v4
	s_delay_alu instid0(VALU_DEP_2) | instskip(NEXT) | instid1(SALU_CYCLE_1)
	s_and_b32 s0, vcc_lo, s0
	v_cndmask_b32_e64 v8, 0, 1, s0
	s_delay_alu instid0(VALU_DEP_1)
	v_add_nc_u32_e32 v3, v3, v8
; %bb.1961:
	s_or_b32 exec_lo, exec_lo, s6
	s_mov_b32 s0, 0
	s_mov_b32 s6, -1
	global_store_b8 v[0:1], v3, off
.LBB504_1962:
	s_mov_b32 s7, 0
.LBB504_1963:
	s_delay_alu instid0(SALU_CYCLE_1)
	s_and_b32 vcc_lo, exec_lo, s7
	s_cbranch_vccz .LBB504_1966
; %bb.1964:
	v_cmp_eq_u16_e32 vcc_lo, 29, v12
	s_mov_b32 s0, -1
	s_cbranch_vccz .LBB504_1966
; %bb.1965:
	v_trunc_f32_e32 v3, v4
	s_mov_b32 s0, 0
	s_mov_b32 s6, -1
	s_delay_alu instid0(VALU_DEP_1) | instskip(NEXT) | instid1(VALU_DEP_1)
	v_mul_f32_e32 v8, 0x2f800000, v3
	v_floor_f32_e32 v8, v8
	s_delay_alu instid0(VALU_DEP_1) | instskip(SKIP_1) | instid1(VALU_DEP_2)
	v_fmamk_f32 v3, v8, 0xcf800000, v3
	v_cvt_u32_f32_e32 v9, v8
	v_cvt_u32_f32_e32 v8, v3
	global_store_b64 v[0:1], v[8:9], off
.LBB504_1966:
	s_mov_b32 s7, 0
.LBB504_1967:
	s_delay_alu instid0(SALU_CYCLE_1)
	s_and_b32 vcc_lo, exec_lo, s7
	s_cbranch_vccz .LBB504_1983
; %bb.1968:
	v_cmp_gt_i16_e32 vcc_lo, 27, v12
	s_mov_b32 s6, -1
	s_cbranch_vccnz .LBB504_1974
; %bb.1969:
	v_cmp_lt_i16_e32 vcc_lo, 27, v12
	v_cvt_u32_f32_e32 v3, v4
	s_cbranch_vccz .LBB504_1971
; %bb.1970:
	s_mov_b32 s6, 0
	global_store_b32 v[0:1], v3, off
.LBB504_1971:
	s_and_not1_b32 vcc_lo, exec_lo, s6
	s_cbranch_vccnz .LBB504_1973
; %bb.1972:
	global_store_b16 v[0:1], v3, off
.LBB504_1973:
	s_mov_b32 s6, 0
.LBB504_1974:
	s_delay_alu instid0(SALU_CYCLE_1)
	s_and_not1_b32 vcc_lo, exec_lo, s6
	s_cbranch_vccnz .LBB504_1982
; %bb.1975:
	v_and_b32_e32 v3, 0x7fffffff, v4
	v_mov_b32_e32 v8, 0x80
	s_mov_b32 s6, exec_lo
	s_delay_alu instid0(VALU_DEP_2)
	v_cmpx_gt_u32_e32 0x43800000, v3
	s_cbranch_execz .LBB504_1981
; %bb.1976:
	v_cmp_lt_u32_e32 vcc_lo, 0x3bffffff, v3
	s_mov_b32 s7, 0
                                        ; implicit-def: $vgpr3
	s_and_saveexec_b32 s8, vcc_lo
	s_delay_alu instid0(SALU_CYCLE_1)
	s_xor_b32 s8, exec_lo, s8
	s_cbranch_execz .LBB504_2165
; %bb.1977:
	v_bfe_u32 v3, v4, 20, 1
	s_mov_b32 s7, exec_lo
	s_delay_alu instid0(VALU_DEP_1) | instskip(NEXT) | instid1(VALU_DEP_1)
	v_add3_u32 v3, v4, v3, 0x487ffff
	v_lshrrev_b32_e32 v3, 20, v3
	s_or_saveexec_b32 s8, s8
                                        ; implicit-def: $sgpr9
	s_delay_alu instid0(SALU_CYCLE_1)
	s_xor_b32 exec_lo, exec_lo, s8
	s_cbranch_execnz .LBB504_2166
.LBB504_1978:
	s_or_b32 exec_lo, exec_lo, s8
	v_mov_b32_e32 v8, s9
	s_and_saveexec_b32 s8, s7
.LBB504_1979:
	v_lshrrev_b32_e32 v8, 24, v4
	s_delay_alu instid0(VALU_DEP_1)
	v_and_or_b32 v8, 0x80, v8, v3
.LBB504_1980:
	s_or_b32 exec_lo, exec_lo, s8
.LBB504_1981:
	s_delay_alu instid0(SALU_CYCLE_1)
	s_or_b32 exec_lo, exec_lo, s6
	global_store_b8 v[0:1], v8, off
.LBB504_1982:
	s_mov_b32 s6, -1
.LBB504_1983:
	s_mov_b32 s7, 0
.LBB504_1984:
	s_delay_alu instid0(SALU_CYCLE_1)
	s_and_b32 vcc_lo, exec_lo, s7
	s_cbranch_vccz .LBB504_2024
; %bb.1985:
	v_cmp_lt_i16_e32 vcc_lo, 22, v12
	s_mov_b32 s3, -1
	s_cbranch_vccz .LBB504_2017
; %bb.1986:
	v_cmp_gt_i16_e32 vcc_lo, 24, v12
	s_cbranch_vccnz .LBB504_2006
; %bb.1987:
	v_cmp_lt_i16_e32 vcc_lo, 24, v12
	s_cbranch_vccz .LBB504_1995
; %bb.1988:
	v_and_b32_e32 v3, 0x7fffffff, v4
	v_mov_b32_e32 v8, 0x80
	s_mov_b32 s3, exec_lo
	s_delay_alu instid0(VALU_DEP_2)
	v_cmpx_gt_u32_e32 0x47800000, v3
	s_cbranch_execz .LBB504_1994
; %bb.1989:
	v_cmp_lt_u32_e32 vcc_lo, 0x37ffffff, v3
	s_mov_b32 s6, 0
                                        ; implicit-def: $vgpr3
	s_and_saveexec_b32 s7, vcc_lo
	s_delay_alu instid0(SALU_CYCLE_1)
	s_xor_b32 s7, exec_lo, s7
	s_cbranch_execz .LBB504_2171
; %bb.1990:
	v_bfe_u32 v3, v4, 21, 1
	s_mov_b32 s6, exec_lo
	s_delay_alu instid0(VALU_DEP_1) | instskip(NEXT) | instid1(VALU_DEP_1)
	v_add3_u32 v3, v4, v3, 0x88fffff
	v_lshrrev_b32_e32 v3, 21, v3
	s_or_saveexec_b32 s7, s7
                                        ; implicit-def: $sgpr8
	s_delay_alu instid0(SALU_CYCLE_1)
	s_xor_b32 exec_lo, exec_lo, s7
	s_cbranch_execnz .LBB504_2172
.LBB504_1991:
	s_or_b32 exec_lo, exec_lo, s7
	v_mov_b32_e32 v8, s8
	s_and_saveexec_b32 s7, s6
.LBB504_1992:
	v_lshrrev_b32_e32 v8, 24, v4
	s_delay_alu instid0(VALU_DEP_1)
	v_and_or_b32 v8, 0x80, v8, v3
.LBB504_1993:
	s_or_b32 exec_lo, exec_lo, s7
.LBB504_1994:
	s_delay_alu instid0(SALU_CYCLE_1)
	s_or_b32 exec_lo, exec_lo, s3
	s_mov_b32 s3, 0
	global_store_b8 v[0:1], v8, off
.LBB504_1995:
	s_and_b32 vcc_lo, exec_lo, s3
	s_cbranch_vccz .LBB504_2005
; %bb.1996:
	v_and_b32_e32 v8, 0x7fffffff, v4
	s_mov_b32 s3, exec_lo
                                        ; implicit-def: $vgpr3
	s_delay_alu instid0(VALU_DEP_1)
	v_cmpx_gt_u32_e32 0x43f00000, v8
	s_xor_b32 s3, exec_lo, s3
	s_cbranch_execz .LBB504_2002
; %bb.1997:
	s_mov_b32 s6, exec_lo
                                        ; implicit-def: $vgpr3
	v_cmpx_lt_u32_e32 0x3c7fffff, v8
	s_xor_b32 s6, exec_lo, s6
; %bb.1998:
	v_bfe_u32 v3, v4, 20, 1
	s_delay_alu instid0(VALU_DEP_1) | instskip(NEXT) | instid1(VALU_DEP_1)
	v_add3_u32 v3, v4, v3, 0x407ffff
	v_and_b32_e32 v8, 0xff00000, v3
	v_lshrrev_b32_e32 v3, 20, v3
	s_delay_alu instid0(VALU_DEP_2) | instskip(NEXT) | instid1(VALU_DEP_2)
	v_cmp_ne_u32_e32 vcc_lo, 0x7f00000, v8
	v_cndmask_b32_e32 v3, 0x7e, v3, vcc_lo
; %bb.1999:
	s_and_not1_saveexec_b32 s6, s6
; %bb.2000:
	v_add_f32_e64 v3, 0x46800000, |v4|
; %bb.2001:
	s_or_b32 exec_lo, exec_lo, s6
                                        ; implicit-def: $vgpr8
.LBB504_2002:
	s_and_not1_saveexec_b32 s3, s3
; %bb.2003:
	v_mov_b32_e32 v3, 0x7f
	v_cmp_lt_u32_e32 vcc_lo, 0x7f800000, v8
	s_delay_alu instid0(VALU_DEP_2)
	v_cndmask_b32_e32 v3, 0x7e, v3, vcc_lo
; %bb.2004:
	s_or_b32 exec_lo, exec_lo, s3
	v_lshrrev_b32_e32 v8, 24, v4
	s_delay_alu instid0(VALU_DEP_1)
	v_and_or_b32 v3, 0x80, v8, v3
	global_store_b8 v[0:1], v3, off
.LBB504_2005:
	s_mov_b32 s3, 0
.LBB504_2006:
	s_delay_alu instid0(SALU_CYCLE_1)
	s_and_not1_b32 vcc_lo, exec_lo, s3
	s_cbranch_vccnz .LBB504_2016
; %bb.2007:
	v_and_b32_e32 v8, 0x7fffffff, v4
	s_mov_b32 s3, exec_lo
                                        ; implicit-def: $vgpr3
	s_delay_alu instid0(VALU_DEP_1)
	v_cmpx_gt_u32_e32 0x47800000, v8
	s_xor_b32 s3, exec_lo, s3
	s_cbranch_execz .LBB504_2013
; %bb.2008:
	s_mov_b32 s6, exec_lo
                                        ; implicit-def: $vgpr3
	v_cmpx_lt_u32_e32 0x387fffff, v8
	s_xor_b32 s6, exec_lo, s6
; %bb.2009:
	v_bfe_u32 v3, v4, 21, 1
	s_delay_alu instid0(VALU_DEP_1) | instskip(NEXT) | instid1(VALU_DEP_1)
	v_add3_u32 v3, v4, v3, 0x80fffff
	v_lshrrev_b32_e32 v3, 21, v3
; %bb.2010:
	s_and_not1_saveexec_b32 s6, s6
; %bb.2011:
	v_add_f32_e64 v3, 0x43000000, |v4|
; %bb.2012:
	s_or_b32 exec_lo, exec_lo, s6
                                        ; implicit-def: $vgpr8
.LBB504_2013:
	s_and_not1_saveexec_b32 s3, s3
; %bb.2014:
	v_mov_b32_e32 v3, 0x7f
	v_cmp_lt_u32_e32 vcc_lo, 0x7f800000, v8
	s_delay_alu instid0(VALU_DEP_2)
	v_cndmask_b32_e32 v3, 0x7c, v3, vcc_lo
; %bb.2015:
	s_or_b32 exec_lo, exec_lo, s3
	v_lshrrev_b32_e32 v8, 24, v4
	s_delay_alu instid0(VALU_DEP_1)
	v_and_or_b32 v3, 0x80, v8, v3
	global_store_b8 v[0:1], v3, off
.LBB504_2016:
	s_mov_b32 s3, 0
	s_mov_b32 s6, -1
.LBB504_2017:
	s_and_not1_b32 vcc_lo, exec_lo, s3
	s_mov_b32 s3, 0
	s_cbranch_vccnz .LBB504_2024
; %bb.2018:
	v_cmp_lt_i16_e32 vcc_lo, 14, v12
	s_mov_b32 s3, -1
	s_cbranch_vccz .LBB504_2022
; %bb.2019:
	v_cmp_eq_u16_e32 vcc_lo, 15, v12
	s_mov_b32 s0, -1
	s_cbranch_vccz .LBB504_2021
; %bb.2020:
	v_bfe_u32 v3, v4, 16, 1
	v_cmp_o_f32_e32 vcc_lo, v4, v4
	s_mov_b32 s0, 0
	s_mov_b32 s6, -1
	s_delay_alu instid0(VALU_DEP_2) | instskip(NEXT) | instid1(VALU_DEP_1)
	v_add3_u32 v3, v4, v3, 0x7fff
	v_lshrrev_b32_e32 v3, 16, v3
	s_delay_alu instid0(VALU_DEP_1)
	v_cndmask_b32_e32 v3, 0x7fc0, v3, vcc_lo
	global_store_b16 v[0:1], v3, off
.LBB504_2021:
	s_mov_b32 s3, 0
.LBB504_2022:
	s_delay_alu instid0(SALU_CYCLE_1)
	s_and_b32 vcc_lo, exec_lo, s3
	s_mov_b32 s3, 0
	s_cbranch_vccz .LBB504_2024
; %bb.2023:
	v_cmp_ne_u16_e64 s0, 11, v12
	s_mov_b32 s3, -1
.LBB504_2024:
	s_delay_alu instid0(VALU_DEP_1)
	s_and_b32 vcc_lo, exec_lo, s0
	s_cbranch_vccnz .LBB504_2169
; %bb.2025:
	s_and_not1_b32 vcc_lo, exec_lo, s3
	s_cbranch_vccnz .LBB504_2027
.LBB504_2026:
	v_cmp_neq_f32_e32 vcc_lo, 0, v4
	v_cmp_neq_f32_e64 s0, 0, v5
	s_mov_b32 s6, -1
	s_delay_alu instid0(VALU_DEP_1) | instskip(NEXT) | instid1(SALU_CYCLE_1)
	s_or_b32 s0, vcc_lo, s0
	v_cndmask_b32_e64 v3, 0, 1, s0
	global_store_b8 v[0:1], v3, off
.LBB504_2027:
	s_mov_b32 s0, 0
	s_branch .LBB504_2029
.LBB504_2028:
	s_mov_b32 s0, -1
	s_mov_b32 s6, 0
.LBB504_2029:
	s_and_b32 vcc_lo, exec_lo, s0
	s_cbranch_vccz .LBB504_2068
; %bb.2030:
	v_cmp_gt_i16_e32 vcc_lo, 5, v12
	s_mov_b32 s0, -1
	s_cbranch_vccnz .LBB504_2051
; %bb.2031:
	v_cmp_gt_i16_e32 vcc_lo, 8, v12
	s_cbranch_vccnz .LBB504_2041
; %bb.2032:
	v_cmp_gt_i16_e32 vcc_lo, 9, v12
	s_cbranch_vccnz .LBB504_2038
; %bb.2033:
	v_cmp_lt_i16_e32 vcc_lo, 9, v12
	s_cbranch_vccz .LBB504_2035
; %bb.2034:
	v_cvt_f64_f32_e32 v[8:9], v4
	v_cvt_f64_f32_e32 v[10:11], v5
	s_mov_b32 s0, 0
	global_store_b128 v[0:1], v[8:11], off
.LBB504_2035:
	s_and_not1_b32 vcc_lo, exec_lo, s0
	s_cbranch_vccnz .LBB504_2037
; %bb.2036:
	global_store_b64 v[0:1], v[4:5], off
.LBB504_2037:
	s_mov_b32 s0, 0
.LBB504_2038:
	s_delay_alu instid0(SALU_CYCLE_1)
	s_and_not1_b32 vcc_lo, exec_lo, s0
	s_cbranch_vccnz .LBB504_2040
; %bb.2039:
	v_cvt_f16_f32_e32 v3, v5
	v_cvt_f16_f32_e32 v5, v4
	s_delay_alu instid0(VALU_DEP_2) | instskip(NEXT) | instid1(VALU_DEP_2)
	v_lshlrev_b32_e32 v3, 16, v3
	v_and_b32_e32 v5, 0xffff, v5
	s_delay_alu instid0(VALU_DEP_1)
	v_or_b32_e32 v3, v3, v5
	global_store_b32 v[0:1], v3, off
.LBB504_2040:
	s_mov_b32 s0, 0
.LBB504_2041:
	s_delay_alu instid0(SALU_CYCLE_1)
	s_and_not1_b32 vcc_lo, exec_lo, s0
	s_cbranch_vccnz .LBB504_2050
; %bb.2042:
	v_cmp_gt_i16_e32 vcc_lo, 6, v12
	s_mov_b32 s0, -1
	s_cbranch_vccnz .LBB504_2048
; %bb.2043:
	v_cmp_lt_i16_e32 vcc_lo, 6, v12
	s_cbranch_vccz .LBB504_2045
; %bb.2044:
	v_cvt_f64_f32_e32 v[8:9], v4
	s_mov_b32 s0, 0
	global_store_b64 v[0:1], v[8:9], off
.LBB504_2045:
	s_and_not1_b32 vcc_lo, exec_lo, s0
	s_cbranch_vccnz .LBB504_2047
; %bb.2046:
	global_store_b32 v[0:1], v4, off
.LBB504_2047:
	s_mov_b32 s0, 0
.LBB504_2048:
	s_delay_alu instid0(SALU_CYCLE_1)
	s_and_not1_b32 vcc_lo, exec_lo, s0
	s_cbranch_vccnz .LBB504_2050
; %bb.2049:
	v_cvt_f16_f32_e32 v3, v4
	global_store_b16 v[0:1], v3, off
.LBB504_2050:
	s_mov_b32 s0, 0
.LBB504_2051:
	s_delay_alu instid0(SALU_CYCLE_1)
	s_and_not1_b32 vcc_lo, exec_lo, s0
	s_cbranch_vccnz .LBB504_2067
; %bb.2052:
	v_cmp_gt_i16_e32 vcc_lo, 2, v12
	s_mov_b32 s0, -1
	s_cbranch_vccnz .LBB504_2062
; %bb.2053:
	v_cmp_gt_i16_e32 vcc_lo, 3, v12
	s_cbranch_vccnz .LBB504_2059
; %bb.2054:
	v_cmp_lt_i16_e32 vcc_lo, 3, v12
	s_cbranch_vccz .LBB504_2056
; %bb.2055:
	v_trunc_f32_e32 v3, v4
	s_mov_b32 s0, 0
	s_delay_alu instid0(VALU_DEP_1) | instskip(NEXT) | instid1(VALU_DEP_1)
	v_mul_f32_e64 v5, 0x2f800000, |v3|
	v_floor_f32_e32 v5, v5
	s_delay_alu instid0(VALU_DEP_1) | instskip(SKIP_2) | instid1(VALU_DEP_3)
	v_fma_f32 v8, 0xcf800000, v5, |v3|
	v_ashrrev_i32_e32 v3, 31, v3
	v_cvt_u32_f32_e32 v5, v5
	v_cvt_u32_f32_e32 v8, v8
	s_delay_alu instid0(VALU_DEP_2) | instskip(NEXT) | instid1(VALU_DEP_2)
	v_xor_b32_e32 v5, v5, v3
	v_xor_b32_e32 v8, v8, v3
	s_delay_alu instid0(VALU_DEP_1) | instskip(NEXT) | instid1(VALU_DEP_3)
	v_sub_co_u32 v8, vcc_lo, v8, v3
	v_sub_co_ci_u32_e32 v9, vcc_lo, v5, v3, vcc_lo
	global_store_b64 v[0:1], v[8:9], off
.LBB504_2056:
	s_and_not1_b32 vcc_lo, exec_lo, s0
	s_cbranch_vccnz .LBB504_2058
; %bb.2057:
	v_cvt_i32_f32_e32 v3, v4
	global_store_b32 v[0:1], v3, off
.LBB504_2058:
	s_mov_b32 s0, 0
.LBB504_2059:
	s_delay_alu instid0(SALU_CYCLE_1)
	s_and_not1_b32 vcc_lo, exec_lo, s0
	s_cbranch_vccnz .LBB504_2061
; %bb.2060:
	v_cvt_i32_f32_e32 v3, v4
	global_store_b16 v[0:1], v3, off
.LBB504_2061:
	s_mov_b32 s0, 0
.LBB504_2062:
	s_delay_alu instid0(SALU_CYCLE_1)
	s_and_not1_b32 vcc_lo, exec_lo, s0
	s_cbranch_vccnz .LBB504_2067
; %bb.2063:
	v_cmp_lt_i16_e32 vcc_lo, 0, v12
	s_mov_b32 s0, -1
	s_cbranch_vccz .LBB504_2065
; %bb.2064:
	v_cvt_i32_f32_e32 v3, v4
	s_mov_b32 s0, 0
	global_store_b8 v[0:1], v3, off
.LBB504_2065:
	s_and_not1_b32 vcc_lo, exec_lo, s0
	s_cbranch_vccnz .LBB504_2067
; %bb.2066:
	v_trunc_f32_e32 v3, v4
	s_delay_alu instid0(VALU_DEP_1) | instskip(NEXT) | instid1(VALU_DEP_1)
	v_mul_f32_e64 v4, 0x2f800000, |v3|
	v_floor_f32_e32 v4, v4
	s_delay_alu instid0(VALU_DEP_1) | instskip(SKIP_1) | instid1(VALU_DEP_2)
	v_fma_f32 v4, 0xcf800000, v4, |v3|
	v_ashrrev_i32_e32 v3, 31, v3
	v_cvt_u32_f32_e32 v4, v4
	s_delay_alu instid0(VALU_DEP_1) | instskip(NEXT) | instid1(VALU_DEP_1)
	v_xor_b32_e32 v4, v4, v3
	v_sub_nc_u32_e32 v3, v4, v3
	global_store_b8 v[0:1], v3, off
.LBB504_2067:
	s_mov_b32 s6, -1
.LBB504_2068:
	s_delay_alu instid0(SALU_CYCLE_1)
	s_and_not1_b32 vcc_lo, exec_lo, s6
	s_cbranch_vccnz .LBB504_2145
; %bb.2069:
	v_add_nc_u32_e32 v0, s2, v2
	v_cmp_gt_i16_e32 vcc_lo, 11, v12
	s_delay_alu instid0(VALU_DEP_2) | instskip(SKIP_1) | instid1(VALU_DEP_1)
	v_ashrrev_i32_e32 v1, 31, v0
	v_add_co_u32 v0, s0, s4, v0
	v_add_co_ci_u32_e64 v1, s0, s5, v1, s0
	s_cbranch_vccnz .LBB504_2146
; %bb.2070:
	v_cmp_lt_i16_e32 vcc_lo, 25, v12
	s_mov_b32 s3, -1
	s_mov_b32 s2, 0
	s_mov_b32 s0, 0
	s_cbranch_vccz .LBB504_2103
; %bb.2071:
	v_cmp_lt_i16_e32 vcc_lo, 28, v12
	s_cbranch_vccz .LBB504_2087
; %bb.2072:
	v_cmp_lt_i16_e32 vcc_lo, 43, v12
	;; [unrolled: 3-line block ×3, first 2 shown]
	s_cbranch_vccz .LBB504_2077
; %bb.2074:
	v_cmp_eq_u16_e32 vcc_lo, 46, v12
	s_mov_b32 s0, -1
	s_cbranch_vccz .LBB504_2076
; %bb.2075:
	v_bfe_u32 v2, v7, 16, 1
	v_bfe_u32 v3, v6, 16, 1
	v_cmp_o_f32_e32 vcc_lo, v7, v7
	s_mov_b32 s0, 0
	s_delay_alu instid0(VALU_DEP_3) | instskip(NEXT) | instid1(VALU_DEP_3)
	v_add3_u32 v2, v7, v2, 0x7fff
	v_add3_u32 v3, v6, v3, 0x7fff
	s_delay_alu instid0(VALU_DEP_2) | instskip(NEXT) | instid1(VALU_DEP_2)
	v_and_b32_e32 v2, 0xffff0000, v2
	v_lshrrev_b32_e32 v3, 16, v3
	s_delay_alu instid0(VALU_DEP_2) | instskip(SKIP_1) | instid1(VALU_DEP_3)
	v_cndmask_b32_e32 v2, 0x7fc00000, v2, vcc_lo
	v_cmp_o_f32_e32 vcc_lo, v6, v6
	v_cndmask_b32_e32 v3, 0x7fc0, v3, vcc_lo
	s_delay_alu instid0(VALU_DEP_1)
	v_or_b32_e32 v2, v2, v3
	global_store_b32 v[0:1], v2, off
.LBB504_2076:
	s_mov_b32 s3, 0
.LBB504_2077:
	s_delay_alu instid0(SALU_CYCLE_1)
	s_and_b32 vcc_lo, exec_lo, s3
	s_cbranch_vccz .LBB504_2082
; %bb.2078:
	v_cmp_eq_u16_e32 vcc_lo, 44, v12
	s_mov_b32 s0, -1
	s_cbranch_vccz .LBB504_2082
; %bb.2079:
	v_bfe_u32 v3, v6, 23, 8
	v_mov_b32_e32 v2, 0xff
	s_mov_b32 s3, exec_lo
	s_delay_alu instid0(VALU_DEP_2)
	v_cmpx_ne_u32_e32 0xff, v3
; %bb.2080:
	v_and_b32_e32 v2, 0x400000, v6
	v_and_or_b32 v3, 0x3fffff, v6, v3
	s_delay_alu instid0(VALU_DEP_2) | instskip(NEXT) | instid1(VALU_DEP_2)
	v_cmp_ne_u32_e32 vcc_lo, 0, v2
	v_cmp_ne_u32_e64 s0, 0, v3
	v_lshrrev_b32_e32 v2, 23, v6
	s_delay_alu instid0(VALU_DEP_2) | instskip(NEXT) | instid1(SALU_CYCLE_1)
	s_and_b32 s0, vcc_lo, s0
	v_cndmask_b32_e64 v3, 0, 1, s0
	s_delay_alu instid0(VALU_DEP_1)
	v_add_nc_u32_e32 v2, v2, v3
; %bb.2081:
	s_or_b32 exec_lo, exec_lo, s3
	s_mov_b32 s0, 0
	global_store_b8 v[0:1], v2, off
.LBB504_2082:
	s_mov_b32 s3, 0
.LBB504_2083:
	s_delay_alu instid0(SALU_CYCLE_1)
	s_and_b32 vcc_lo, exec_lo, s3
	s_cbranch_vccz .LBB504_2086
; %bb.2084:
	v_cmp_eq_u16_e32 vcc_lo, 29, v12
	s_mov_b32 s0, -1
	s_cbranch_vccz .LBB504_2086
; %bb.2085:
	v_trunc_f32_e32 v2, v6
	s_mov_b32 s0, 0
	s_delay_alu instid0(VALU_DEP_1) | instskip(NEXT) | instid1(VALU_DEP_1)
	v_mul_f32_e32 v3, 0x2f800000, v2
	v_floor_f32_e32 v3, v3
	s_delay_alu instid0(VALU_DEP_1) | instskip(SKIP_1) | instid1(VALU_DEP_2)
	v_fmamk_f32 v2, v3, 0xcf800000, v2
	v_cvt_u32_f32_e32 v3, v3
	v_cvt_u32_f32_e32 v2, v2
	global_store_b64 v[0:1], v[2:3], off
.LBB504_2086:
	s_mov_b32 s3, 0
.LBB504_2087:
	s_delay_alu instid0(SALU_CYCLE_1)
	s_and_b32 vcc_lo, exec_lo, s3
	s_cbranch_vccz .LBB504_2102
; %bb.2088:
	v_cmp_gt_i16_e32 vcc_lo, 27, v12
	s_mov_b32 s3, -1
	s_cbranch_vccnz .LBB504_2094
; %bb.2089:
	v_cmp_lt_i16_e32 vcc_lo, 27, v12
	v_cvt_u32_f32_e32 v2, v6
	s_cbranch_vccz .LBB504_2091
; %bb.2090:
	s_mov_b32 s3, 0
	global_store_b32 v[0:1], v2, off
.LBB504_2091:
	s_and_not1_b32 vcc_lo, exec_lo, s3
	s_cbranch_vccnz .LBB504_2093
; %bb.2092:
	global_store_b16 v[0:1], v2, off
.LBB504_2093:
	s_mov_b32 s3, 0
.LBB504_2094:
	s_delay_alu instid0(SALU_CYCLE_1)
	s_and_not1_b32 vcc_lo, exec_lo, s3
	s_cbranch_vccnz .LBB504_2102
; %bb.2095:
	v_and_b32_e32 v2, 0x7fffffff, v6
	v_mov_b32_e32 v3, 0x80
	s_mov_b32 s3, exec_lo
	s_delay_alu instid0(VALU_DEP_2)
	v_cmpx_gt_u32_e32 0x43800000, v2
	s_cbranch_execz .LBB504_2101
; %bb.2096:
	v_cmp_lt_u32_e32 vcc_lo, 0x3bffffff, v2
	s_mov_b32 s4, 0
                                        ; implicit-def: $vgpr2
	s_and_saveexec_b32 s5, vcc_lo
	s_delay_alu instid0(SALU_CYCLE_1)
	s_xor_b32 s5, exec_lo, s5
	s_cbranch_execz .LBB504_2173
; %bb.2097:
	v_bfe_u32 v2, v6, 20, 1
	s_mov_b32 s4, exec_lo
	s_delay_alu instid0(VALU_DEP_1) | instskip(NEXT) | instid1(VALU_DEP_1)
	v_add3_u32 v2, v6, v2, 0x487ffff
	v_lshrrev_b32_e32 v2, 20, v2
	s_or_saveexec_b32 s5, s5
                                        ; implicit-def: $sgpr6
	s_delay_alu instid0(SALU_CYCLE_1)
	s_xor_b32 exec_lo, exec_lo, s5
	s_cbranch_execnz .LBB504_2174
.LBB504_2098:
	s_or_b32 exec_lo, exec_lo, s5
	v_mov_b32_e32 v3, s6
	s_and_saveexec_b32 s5, s4
.LBB504_2099:
	v_lshrrev_b32_e32 v3, 24, v6
	s_delay_alu instid0(VALU_DEP_1)
	v_and_or_b32 v3, 0x80, v3, v2
.LBB504_2100:
	s_or_b32 exec_lo, exec_lo, s5
.LBB504_2101:
	s_delay_alu instid0(SALU_CYCLE_1)
	s_or_b32 exec_lo, exec_lo, s3
	global_store_b8 v[0:1], v3, off
.LBB504_2102:
	s_mov_b32 s3, 0
.LBB504_2103:
	s_delay_alu instid0(SALU_CYCLE_1)
	s_and_b32 vcc_lo, exec_lo, s3
	s_cbranch_vccz .LBB504_2143
; %bb.2104:
	v_cmp_lt_i16_e32 vcc_lo, 22, v12
	s_mov_b32 s2, -1
	s_cbranch_vccz .LBB504_2136
; %bb.2105:
	v_cmp_gt_i16_e32 vcc_lo, 24, v12
	s_cbranch_vccnz .LBB504_2125
; %bb.2106:
	v_cmp_lt_i16_e32 vcc_lo, 24, v12
	s_cbranch_vccz .LBB504_2114
; %bb.2107:
	v_and_b32_e32 v2, 0x7fffffff, v6
	v_mov_b32_e32 v3, 0x80
	s_mov_b32 s2, exec_lo
	s_delay_alu instid0(VALU_DEP_2)
	v_cmpx_gt_u32_e32 0x47800000, v2
	s_cbranch_execz .LBB504_2113
; %bb.2108:
	v_cmp_lt_u32_e32 vcc_lo, 0x37ffffff, v2
	s_mov_b32 s3, 0
                                        ; implicit-def: $vgpr2
	s_and_saveexec_b32 s4, vcc_lo
	s_delay_alu instid0(SALU_CYCLE_1)
	s_xor_b32 s4, exec_lo, s4
	s_cbranch_execz .LBB504_2179
; %bb.2109:
	v_bfe_u32 v2, v6, 21, 1
	s_mov_b32 s3, exec_lo
	s_delay_alu instid0(VALU_DEP_1) | instskip(NEXT) | instid1(VALU_DEP_1)
	v_add3_u32 v2, v6, v2, 0x88fffff
	v_lshrrev_b32_e32 v2, 21, v2
	s_or_saveexec_b32 s4, s4
                                        ; implicit-def: $sgpr5
	s_delay_alu instid0(SALU_CYCLE_1)
	s_xor_b32 exec_lo, exec_lo, s4
	s_cbranch_execnz .LBB504_2180
.LBB504_2110:
	s_or_b32 exec_lo, exec_lo, s4
	v_mov_b32_e32 v3, s5
	s_and_saveexec_b32 s4, s3
.LBB504_2111:
	v_lshrrev_b32_e32 v3, 24, v6
	s_delay_alu instid0(VALU_DEP_1)
	v_and_or_b32 v3, 0x80, v3, v2
.LBB504_2112:
	s_or_b32 exec_lo, exec_lo, s4
.LBB504_2113:
	s_delay_alu instid0(SALU_CYCLE_1)
	s_or_b32 exec_lo, exec_lo, s2
	s_mov_b32 s2, 0
	global_store_b8 v[0:1], v3, off
.LBB504_2114:
	s_and_b32 vcc_lo, exec_lo, s2
	s_cbranch_vccz .LBB504_2124
; %bb.2115:
	v_and_b32_e32 v3, 0x7fffffff, v6
	s_mov_b32 s2, exec_lo
                                        ; implicit-def: $vgpr2
	s_delay_alu instid0(VALU_DEP_1)
	v_cmpx_gt_u32_e32 0x43f00000, v3
	s_xor_b32 s2, exec_lo, s2
	s_cbranch_execz .LBB504_2121
; %bb.2116:
	s_mov_b32 s3, exec_lo
                                        ; implicit-def: $vgpr2
	v_cmpx_lt_u32_e32 0x3c7fffff, v3
	s_xor_b32 s3, exec_lo, s3
; %bb.2117:
	v_bfe_u32 v2, v6, 20, 1
	s_delay_alu instid0(VALU_DEP_1) | instskip(NEXT) | instid1(VALU_DEP_1)
	v_add3_u32 v2, v6, v2, 0x407ffff
	v_and_b32_e32 v3, 0xff00000, v2
	v_lshrrev_b32_e32 v2, 20, v2
	s_delay_alu instid0(VALU_DEP_2) | instskip(NEXT) | instid1(VALU_DEP_2)
	v_cmp_ne_u32_e32 vcc_lo, 0x7f00000, v3
	v_cndmask_b32_e32 v2, 0x7e, v2, vcc_lo
; %bb.2118:
	s_and_not1_saveexec_b32 s3, s3
; %bb.2119:
	v_add_f32_e64 v2, 0x46800000, |v6|
; %bb.2120:
	s_or_b32 exec_lo, exec_lo, s3
                                        ; implicit-def: $vgpr3
.LBB504_2121:
	s_and_not1_saveexec_b32 s2, s2
; %bb.2122:
	v_mov_b32_e32 v2, 0x7f
	v_cmp_lt_u32_e32 vcc_lo, 0x7f800000, v3
	s_delay_alu instid0(VALU_DEP_2)
	v_cndmask_b32_e32 v2, 0x7e, v2, vcc_lo
; %bb.2123:
	s_or_b32 exec_lo, exec_lo, s2
	v_lshrrev_b32_e32 v3, 24, v6
	s_delay_alu instid0(VALU_DEP_1)
	v_and_or_b32 v2, 0x80, v3, v2
	global_store_b8 v[0:1], v2, off
.LBB504_2124:
	s_mov_b32 s2, 0
.LBB504_2125:
	s_delay_alu instid0(SALU_CYCLE_1)
	s_and_not1_b32 vcc_lo, exec_lo, s2
	s_cbranch_vccnz .LBB504_2135
; %bb.2126:
	v_and_b32_e32 v3, 0x7fffffff, v6
	s_mov_b32 s2, exec_lo
                                        ; implicit-def: $vgpr2
	s_delay_alu instid0(VALU_DEP_1)
	v_cmpx_gt_u32_e32 0x47800000, v3
	s_xor_b32 s2, exec_lo, s2
	s_cbranch_execz .LBB504_2132
; %bb.2127:
	s_mov_b32 s3, exec_lo
                                        ; implicit-def: $vgpr2
	v_cmpx_lt_u32_e32 0x387fffff, v3
	s_xor_b32 s3, exec_lo, s3
; %bb.2128:
	v_bfe_u32 v2, v6, 21, 1
	s_delay_alu instid0(VALU_DEP_1) | instskip(NEXT) | instid1(VALU_DEP_1)
	v_add3_u32 v2, v6, v2, 0x80fffff
	v_lshrrev_b32_e32 v2, 21, v2
; %bb.2129:
	s_and_not1_saveexec_b32 s3, s3
; %bb.2130:
	v_add_f32_e64 v2, 0x43000000, |v6|
; %bb.2131:
	s_or_b32 exec_lo, exec_lo, s3
                                        ; implicit-def: $vgpr3
.LBB504_2132:
	s_and_not1_saveexec_b32 s2, s2
; %bb.2133:
	v_mov_b32_e32 v2, 0x7f
	v_cmp_lt_u32_e32 vcc_lo, 0x7f800000, v3
	s_delay_alu instid0(VALU_DEP_2)
	v_cndmask_b32_e32 v2, 0x7c, v2, vcc_lo
; %bb.2134:
	s_or_b32 exec_lo, exec_lo, s2
	v_lshrrev_b32_e32 v3, 24, v6
	s_delay_alu instid0(VALU_DEP_1)
	v_and_or_b32 v2, 0x80, v3, v2
	global_store_b8 v[0:1], v2, off
.LBB504_2135:
	s_mov_b32 s2, 0
.LBB504_2136:
	s_delay_alu instid0(SALU_CYCLE_1)
	s_and_not1_b32 vcc_lo, exec_lo, s2
	s_mov_b32 s2, 0
	s_cbranch_vccnz .LBB504_2143
; %bb.2137:
	v_cmp_lt_i16_e32 vcc_lo, 14, v12
	s_mov_b32 s2, -1
	s_cbranch_vccz .LBB504_2141
; %bb.2138:
	v_cmp_eq_u16_e32 vcc_lo, 15, v12
	s_mov_b32 s0, -1
	s_cbranch_vccz .LBB504_2140
; %bb.2139:
	v_bfe_u32 v2, v6, 16, 1
	v_cmp_o_f32_e32 vcc_lo, v6, v6
	s_mov_b32 s0, 0
	s_delay_alu instid0(VALU_DEP_2) | instskip(NEXT) | instid1(VALU_DEP_1)
	v_add3_u32 v2, v6, v2, 0x7fff
	v_lshrrev_b32_e32 v2, 16, v2
	s_delay_alu instid0(VALU_DEP_1)
	v_cndmask_b32_e32 v2, 0x7fc0, v2, vcc_lo
	global_store_b16 v[0:1], v2, off
.LBB504_2140:
	s_mov_b32 s2, 0
.LBB504_2141:
	s_delay_alu instid0(SALU_CYCLE_1)
	s_and_b32 vcc_lo, exec_lo, s2
	s_mov_b32 s2, 0
	s_cbranch_vccz .LBB504_2143
; %bb.2142:
	v_cmp_ne_u16_e64 s0, 11, v12
	s_mov_b32 s2, -1
.LBB504_2143:
	s_delay_alu instid0(VALU_DEP_1)
	s_and_b32 vcc_lo, exec_lo, s0
	s_cbranch_vccnz .LBB504_2177
.LBB504_2144:
	s_mov_b32 s0, 0
	s_branch .LBB504_1746
.LBB504_2145:
	s_mov_b32 s0, 0
	s_mov_b32 s2, 0
                                        ; implicit-def: $vgpr12
                                        ; implicit-def: $vgpr0_vgpr1
	s_branch .LBB504_1746
.LBB504_2146:
	s_mov_b32 s2, 0
	s_mov_b32 s0, -1
	s_branch .LBB504_1746
.LBB504_2147:
	s_cbranch_execnz .LBB504_2151
; %bb.2148:
	s_or_b32 s1, s1, exec_lo
                                        ; implicit-def: $vgpr9
	s_cbranch_execz .LBB504_1605
	s_branch .LBB504_1606
.LBB504_2149:
	s_or_saveexec_b32 s7, s7
                                        ; implicit-def: $sgpr9
	s_delay_alu instid0(SALU_CYCLE_1)
	s_xor_b32 exec_lo, exec_lo, s7
	s_cbranch_execz .LBB504_1695
.LBB504_2150:
	v_add_f32_e64 v11, 0x46000000, |v0|
	s_and_not1_b32 s6, s6, exec_lo
	s_mov_b32 s9, 0
	s_delay_alu instid0(VALU_DEP_1) | instskip(NEXT) | instid1(VALU_DEP_1)
	v_and_b32_e32 v11, 0xff, v11
	v_cmp_ne_u32_e32 vcc_lo, 0, v11
	s_and_b32 s10, vcc_lo, exec_lo
	s_delay_alu instid0(SALU_CYCLE_1)
	s_or_b32 s6, s6, s10
	s_or_b32 exec_lo, exec_lo, s7
	v_mov_b32_e32 v13, s9
	s_and_saveexec_b32 s7, s6
	s_cbranch_execnz .LBB504_1696
	s_branch .LBB504_1697
.LBB504_2151:
	s_trap 2
	s_sendmsg_rtn_b32 s0, sendmsg(MSG_RTN_GET_DOORBELL)
	s_mov_b32 ttmp2, m0
	s_waitcnt lgkmcnt(0)
	s_and_b32 s0, s0, 0x3ff
	s_delay_alu instid0(SALU_CYCLE_1) | instskip(NEXT) | instid1(SALU_CYCLE_1)
	s_bitset1_b32 s0, 10
	s_mov_b32 m0, s0
	s_sendmsg sendmsg(MSG_INTERRUPT)
	s_mov_b32 m0, ttmp2
.LBB504_2152:                           ; =>This Inner Loop Header: Depth=1
	s_sethalt 5
	s_branch .LBB504_2152
.LBB504_2153:
	s_cbranch_execnz .LBB504_2159
; %bb.2154:
	s_or_b32 s1, s1, exec_lo
	s_cbranch_execz .LBB504_1743
	s_branch .LBB504_1744
.LBB504_2155:
	s_or_saveexec_b32 s6, s6
                                        ; implicit-def: $sgpr7
	s_delay_alu instid0(SALU_CYCLE_1)
	s_xor_b32 exec_lo, exec_lo, s6
	s_cbranch_execz .LBB504_1708
.LBB504_2156:
	v_add_f32_e64 v11, 0x42800000, |v0|
	s_and_not1_b32 s3, s3, exec_lo
	s_mov_b32 s7, 0
	s_delay_alu instid0(VALU_DEP_1) | instskip(NEXT) | instid1(VALU_DEP_1)
	v_and_b32_e32 v11, 0xff, v11
	v_cmp_ne_u32_e32 vcc_lo, 0, v11
	s_and_b32 s9, vcc_lo, exec_lo
	s_delay_alu instid0(SALU_CYCLE_1)
	s_or_b32 s3, s3, s9
	s_or_b32 exec_lo, exec_lo, s6
	v_mov_b32_e32 v13, s7
	s_and_saveexec_b32 s6, s3
	s_cbranch_execnz .LBB504_1709
	s_branch .LBB504_1710
.LBB504_2157:
	s_or_saveexec_b32 s8, s8
                                        ; implicit-def: $sgpr9
	s_delay_alu instid0(SALU_CYCLE_1)
	s_xor_b32 exec_lo, exec_lo, s8
	s_cbranch_execz .LBB504_1859
.LBB504_2158:
	v_add_f32_e64 v9, 0x46000000, |v2|
	s_and_not1_b32 s7, s7, exec_lo
	s_mov_b32 s9, 0
	s_delay_alu instid0(VALU_DEP_1) | instskip(NEXT) | instid1(VALU_DEP_1)
	v_and_b32_e32 v9, 0xff, v9
	v_cmp_ne_u32_e32 vcc_lo, 0, v9
	s_and_b32 s10, vcc_lo, exec_lo
	s_delay_alu instid0(SALU_CYCLE_1)
	s_or_b32 s7, s7, s10
	s_or_b32 exec_lo, exec_lo, s8
	v_mov_b32_e32 v10, s9
	s_and_saveexec_b32 s8, s7
	s_cbranch_execnz .LBB504_1860
	s_branch .LBB504_1861
.LBB504_2159:
	s_trap 2
	s_sendmsg_rtn_b32 s0, sendmsg(MSG_RTN_GET_DOORBELL)
	s_mov_b32 ttmp2, m0
	s_waitcnt lgkmcnt(0)
	s_and_b32 s0, s0, 0x3ff
	s_delay_alu instid0(SALU_CYCLE_1) | instskip(NEXT) | instid1(SALU_CYCLE_1)
	s_bitset1_b32 s0, 10
	s_mov_b32 m0, s0
	s_sendmsg sendmsg(MSG_INTERRUPT)
	s_mov_b32 m0, ttmp2
.LBB504_2160:                           ; =>This Inner Loop Header: Depth=1
	s_sethalt 5
	s_branch .LBB504_2160
.LBB504_2161:
	s_cbranch_execnz .LBB504_2167
; %bb.2162:
	s_or_b32 s1, s1, exec_lo
	s_cbranch_execz .LBB504_1907
	s_branch .LBB504_1908
.LBB504_2163:
	s_or_saveexec_b32 s7, s7
                                        ; implicit-def: $sgpr8
	s_delay_alu instid0(SALU_CYCLE_1)
	s_xor_b32 exec_lo, exec_lo, s7
	s_cbranch_execz .LBB504_1872
.LBB504_2164:
	v_add_f32_e64 v9, 0x42800000, |v2|
	s_and_not1_b32 s6, s6, exec_lo
	s_mov_b32 s8, 0
	s_delay_alu instid0(VALU_DEP_1) | instskip(NEXT) | instid1(VALU_DEP_1)
	v_and_b32_e32 v9, 0xff, v9
	v_cmp_ne_u32_e32 vcc_lo, 0, v9
	s_and_b32 s9, vcc_lo, exec_lo
	s_delay_alu instid0(SALU_CYCLE_1)
	s_or_b32 s6, s6, s9
	s_or_b32 exec_lo, exec_lo, s7
	v_mov_b32_e32 v10, s8
	s_and_saveexec_b32 s7, s6
	s_cbranch_execnz .LBB504_1873
	s_branch .LBB504_1874
.LBB504_2165:
	s_or_saveexec_b32 s8, s8
                                        ; implicit-def: $sgpr9
	s_delay_alu instid0(SALU_CYCLE_1)
	s_xor_b32 exec_lo, exec_lo, s8
	s_cbranch_execz .LBB504_1978
.LBB504_2166:
	v_add_f32_e64 v3, 0x46000000, |v4|
	s_and_not1_b32 s7, s7, exec_lo
	s_mov_b32 s9, 0
	s_delay_alu instid0(VALU_DEP_1) | instskip(NEXT) | instid1(VALU_DEP_1)
	v_and_b32_e32 v3, 0xff, v3
	v_cmp_ne_u32_e32 vcc_lo, 0, v3
	s_and_b32 s10, vcc_lo, exec_lo
	s_delay_alu instid0(SALU_CYCLE_1)
	s_or_b32 s7, s7, s10
	s_or_b32 exec_lo, exec_lo, s8
	v_mov_b32_e32 v8, s9
	s_and_saveexec_b32 s8, s7
	s_cbranch_execnz .LBB504_1979
	s_branch .LBB504_1980
.LBB504_2167:
	s_trap 2
	s_sendmsg_rtn_b32 s0, sendmsg(MSG_RTN_GET_DOORBELL)
	s_mov_b32 ttmp2, m0
	s_waitcnt lgkmcnt(0)
	s_and_b32 s0, s0, 0x3ff
	s_delay_alu instid0(SALU_CYCLE_1) | instskip(NEXT) | instid1(SALU_CYCLE_1)
	s_bitset1_b32 s0, 10
	s_mov_b32 m0, s0
	s_sendmsg sendmsg(MSG_INTERRUPT)
	s_mov_b32 m0, ttmp2
.LBB504_2168:                           ; =>This Inner Loop Header: Depth=1
	s_sethalt 5
	s_branch .LBB504_2168
.LBB504_2169:
	s_cbranch_execnz .LBB504_2175
; %bb.2170:
	s_or_b32 s1, s1, exec_lo
	s_cbranch_execz .LBB504_2026
	s_branch .LBB504_2027
.LBB504_2171:
	s_or_saveexec_b32 s7, s7
                                        ; implicit-def: $sgpr8
	s_delay_alu instid0(SALU_CYCLE_1)
	s_xor_b32 exec_lo, exec_lo, s7
	s_cbranch_execz .LBB504_1991
.LBB504_2172:
	v_add_f32_e64 v3, 0x42800000, |v4|
	s_and_not1_b32 s6, s6, exec_lo
	s_mov_b32 s8, 0
	s_delay_alu instid0(VALU_DEP_1) | instskip(NEXT) | instid1(VALU_DEP_1)
	v_and_b32_e32 v3, 0xff, v3
	v_cmp_ne_u32_e32 vcc_lo, 0, v3
	s_and_b32 s9, vcc_lo, exec_lo
	s_delay_alu instid0(SALU_CYCLE_1)
	s_or_b32 s6, s6, s9
	s_or_b32 exec_lo, exec_lo, s7
	v_mov_b32_e32 v8, s8
	s_and_saveexec_b32 s7, s6
	s_cbranch_execnz .LBB504_1992
	s_branch .LBB504_1993
.LBB504_2173:
	s_or_saveexec_b32 s5, s5
                                        ; implicit-def: $sgpr6
	s_delay_alu instid0(SALU_CYCLE_1)
	s_xor_b32 exec_lo, exec_lo, s5
	s_cbranch_execz .LBB504_2098
.LBB504_2174:
	v_add_f32_e64 v2, 0x46000000, |v6|
	s_and_not1_b32 s4, s4, exec_lo
	s_mov_b32 s6, 0
	s_delay_alu instid0(VALU_DEP_1) | instskip(NEXT) | instid1(VALU_DEP_1)
	v_and_b32_e32 v2, 0xff, v2
	v_cmp_ne_u32_e32 vcc_lo, 0, v2
	s_and_b32 s7, vcc_lo, exec_lo
	s_delay_alu instid0(SALU_CYCLE_1)
	s_or_b32 s4, s4, s7
	s_or_b32 exec_lo, exec_lo, s5
	v_mov_b32_e32 v3, s6
	s_and_saveexec_b32 s5, s4
	s_cbranch_execnz .LBB504_2099
	s_branch .LBB504_2100
.LBB504_2175:
	s_trap 2
	s_sendmsg_rtn_b32 s0, sendmsg(MSG_RTN_GET_DOORBELL)
	s_mov_b32 ttmp2, m0
	s_waitcnt lgkmcnt(0)
	s_and_b32 s0, s0, 0x3ff
	s_delay_alu instid0(SALU_CYCLE_1) | instskip(NEXT) | instid1(SALU_CYCLE_1)
	s_bitset1_b32 s0, 10
	s_mov_b32 m0, s0
	s_sendmsg sendmsg(MSG_INTERRUPT)
	s_mov_b32 m0, ttmp2
.LBB504_2176:                           ; =>This Inner Loop Header: Depth=1
	s_sethalt 5
	s_branch .LBB504_2176
.LBB504_2177:
	s_cbranch_execnz .LBB504_2181
; %bb.2178:
	s_mov_b32 s2, 0
	s_or_b32 s1, s1, exec_lo
	s_branch .LBB504_2144
.LBB504_2179:
	s_or_saveexec_b32 s4, s4
                                        ; implicit-def: $sgpr5
	s_delay_alu instid0(SALU_CYCLE_1)
	s_xor_b32 exec_lo, exec_lo, s4
	s_cbranch_execz .LBB504_2110
.LBB504_2180:
	v_add_f32_e64 v2, 0x42800000, |v6|
	s_and_not1_b32 s3, s3, exec_lo
	s_mov_b32 s5, 0
	s_delay_alu instid0(VALU_DEP_1) | instskip(NEXT) | instid1(VALU_DEP_1)
	v_and_b32_e32 v2, 0xff, v2
	v_cmp_ne_u32_e32 vcc_lo, 0, v2
	s_and_b32 s6, vcc_lo, exec_lo
	s_delay_alu instid0(SALU_CYCLE_1)
	s_or_b32 s3, s3, s6
	s_or_b32 exec_lo, exec_lo, s4
	v_mov_b32_e32 v3, s5
	s_and_saveexec_b32 s4, s3
	s_cbranch_execnz .LBB504_2111
	s_branch .LBB504_2112
.LBB504_2181:
	s_trap 2
	s_sendmsg_rtn_b32 s0, sendmsg(MSG_RTN_GET_DOORBELL)
	s_mov_b32 ttmp2, m0
	s_waitcnt lgkmcnt(0)
	s_and_b32 s0, s0, 0x3ff
	s_delay_alu instid0(SALU_CYCLE_1) | instskip(NEXT) | instid1(SALU_CYCLE_1)
	s_bitset1_b32 s0, 10
	s_mov_b32 m0, s0
	s_sendmsg sendmsg(MSG_INTERRUPT)
	s_mov_b32 m0, ttmp2
.LBB504_2182:                           ; =>This Inner Loop Header: Depth=1
	s_sethalt 5
	s_branch .LBB504_2182
	.section	.rodata,"a",@progbits
	.p2align	6, 0x0
	.amdhsa_kernel _ZN2at6native32elementwise_kernel_manual_unrollILi128ELi4EZNS0_15gpu_kernel_implIZZZNS0_22nan_to_num_kernel_cudaERNS_18TensorIteratorBaseESt8optionalIdES6_S6_ENKUlvE_clEvENKUlvE0_clEvEUlN3c107complexIfEEE_EEvS4_RKT_EUlibE_EEviT1_
		.amdhsa_group_segment_fixed_size 0
		.amdhsa_private_segment_fixed_size 0
		.amdhsa_kernarg_size 48
		.amdhsa_user_sgpr_count 15
		.amdhsa_user_sgpr_dispatch_ptr 0
		.amdhsa_user_sgpr_queue_ptr 0
		.amdhsa_user_sgpr_kernarg_segment_ptr 1
		.amdhsa_user_sgpr_dispatch_id 0
		.amdhsa_user_sgpr_private_segment_size 0
		.amdhsa_wavefront_size32 1
		.amdhsa_uses_dynamic_stack 0
		.amdhsa_enable_private_segment 0
		.amdhsa_system_sgpr_workgroup_id_x 1
		.amdhsa_system_sgpr_workgroup_id_y 0
		.amdhsa_system_sgpr_workgroup_id_z 0
		.amdhsa_system_sgpr_workgroup_info 0
		.amdhsa_system_vgpr_workitem_id 0
		.amdhsa_next_free_vgpr 17
		.amdhsa_next_free_sgpr 29
		.amdhsa_reserve_vcc 1
		.amdhsa_float_round_mode_32 0
		.amdhsa_float_round_mode_16_64 0
		.amdhsa_float_denorm_mode_32 3
		.amdhsa_float_denorm_mode_16_64 3
		.amdhsa_dx10_clamp 1
		.amdhsa_ieee_mode 1
		.amdhsa_fp16_overflow 0
		.amdhsa_workgroup_processor_mode 1
		.amdhsa_memory_ordered 1
		.amdhsa_forward_progress 0
		.amdhsa_shared_vgpr_count 0
		.amdhsa_exception_fp_ieee_invalid_op 0
		.amdhsa_exception_fp_denorm_src 0
		.amdhsa_exception_fp_ieee_div_zero 0
		.amdhsa_exception_fp_ieee_overflow 0
		.amdhsa_exception_fp_ieee_underflow 0
		.amdhsa_exception_fp_ieee_inexact 0
		.amdhsa_exception_int_div_zero 0
	.end_amdhsa_kernel
	.section	.text._ZN2at6native32elementwise_kernel_manual_unrollILi128ELi4EZNS0_15gpu_kernel_implIZZZNS0_22nan_to_num_kernel_cudaERNS_18TensorIteratorBaseESt8optionalIdES6_S6_ENKUlvE_clEvENKUlvE0_clEvEUlN3c107complexIfEEE_EEvS4_RKT_EUlibE_EEviT1_,"axG",@progbits,_ZN2at6native32elementwise_kernel_manual_unrollILi128ELi4EZNS0_15gpu_kernel_implIZZZNS0_22nan_to_num_kernel_cudaERNS_18TensorIteratorBaseESt8optionalIdES6_S6_ENKUlvE_clEvENKUlvE0_clEvEUlN3c107complexIfEEE_EEvS4_RKT_EUlibE_EEviT1_,comdat
.Lfunc_end504:
	.size	_ZN2at6native32elementwise_kernel_manual_unrollILi128ELi4EZNS0_15gpu_kernel_implIZZZNS0_22nan_to_num_kernel_cudaERNS_18TensorIteratorBaseESt8optionalIdES6_S6_ENKUlvE_clEvENKUlvE0_clEvEUlN3c107complexIfEEE_EEvS4_RKT_EUlibE_EEviT1_, .Lfunc_end504-_ZN2at6native32elementwise_kernel_manual_unrollILi128ELi4EZNS0_15gpu_kernel_implIZZZNS0_22nan_to_num_kernel_cudaERNS_18TensorIteratorBaseESt8optionalIdES6_S6_ENKUlvE_clEvENKUlvE0_clEvEUlN3c107complexIfEEE_EEvS4_RKT_EUlibE_EEviT1_
                                        ; -- End function
	.section	.AMDGPU.csdata,"",@progbits
; Kernel info:
; codeLenInByte = 37628
; NumSgprs: 31
; NumVgprs: 17
; ScratchSize: 0
; MemoryBound: 1
; FloatMode: 240
; IeeeMode: 1
; LDSByteSize: 0 bytes/workgroup (compile time only)
; SGPRBlocks: 3
; VGPRBlocks: 2
; NumSGPRsForWavesPerEU: 31
; NumVGPRsForWavesPerEU: 17
; Occupancy: 16
; WaveLimiterHint : 0
; COMPUTE_PGM_RSRC2:SCRATCH_EN: 0
; COMPUTE_PGM_RSRC2:USER_SGPR: 15
; COMPUTE_PGM_RSRC2:TRAP_HANDLER: 0
; COMPUTE_PGM_RSRC2:TGID_X_EN: 1
; COMPUTE_PGM_RSRC2:TGID_Y_EN: 0
; COMPUTE_PGM_RSRC2:TGID_Z_EN: 0
; COMPUTE_PGM_RSRC2:TIDIG_COMP_CNT: 0
	.section	.text._ZN2at6native32elementwise_kernel_manual_unrollILi128ELi4EZNS0_15gpu_kernel_implIZZZNS0_22nan_to_num_kernel_cudaERNS_18TensorIteratorBaseESt8optionalIdES6_S6_ENKUlvE_clEvENKUlvE0_clEvEUlN3c107complexIfEEE_EEvS4_RKT_EUlibE0_EEviT1_,"axG",@progbits,_ZN2at6native32elementwise_kernel_manual_unrollILi128ELi4EZNS0_15gpu_kernel_implIZZZNS0_22nan_to_num_kernel_cudaERNS_18TensorIteratorBaseESt8optionalIdES6_S6_ENKUlvE_clEvENKUlvE0_clEvEUlN3c107complexIfEEE_EEvS4_RKT_EUlibE0_EEviT1_,comdat
	.globl	_ZN2at6native32elementwise_kernel_manual_unrollILi128ELi4EZNS0_15gpu_kernel_implIZZZNS0_22nan_to_num_kernel_cudaERNS_18TensorIteratorBaseESt8optionalIdES6_S6_ENKUlvE_clEvENKUlvE0_clEvEUlN3c107complexIfEEE_EEvS4_RKT_EUlibE0_EEviT1_ ; -- Begin function _ZN2at6native32elementwise_kernel_manual_unrollILi128ELi4EZNS0_15gpu_kernel_implIZZZNS0_22nan_to_num_kernel_cudaERNS_18TensorIteratorBaseESt8optionalIdES6_S6_ENKUlvE_clEvENKUlvE0_clEvEUlN3c107complexIfEEE_EEvS4_RKT_EUlibE0_EEviT1_
	.p2align	8
	.type	_ZN2at6native32elementwise_kernel_manual_unrollILi128ELi4EZNS0_15gpu_kernel_implIZZZNS0_22nan_to_num_kernel_cudaERNS_18TensorIteratorBaseESt8optionalIdES6_S6_ENKUlvE_clEvENKUlvE0_clEvEUlN3c107complexIfEEE_EEvS4_RKT_EUlibE0_EEviT1_,@function
_ZN2at6native32elementwise_kernel_manual_unrollILi128ELi4EZNS0_15gpu_kernel_implIZZZNS0_22nan_to_num_kernel_cudaERNS_18TensorIteratorBaseESt8optionalIdES6_S6_ENKUlvE_clEvENKUlvE0_clEvEUlN3c107complexIfEEE_EEvS4_RKT_EUlibE0_EEviT1_: ; @_ZN2at6native32elementwise_kernel_manual_unrollILi128ELi4EZNS0_15gpu_kernel_implIZZZNS0_22nan_to_num_kernel_cudaERNS_18TensorIteratorBaseESt8optionalIdES6_S6_ENKUlvE_clEvENKUlvE0_clEvEUlN3c107complexIfEEE_EEvS4_RKT_EUlibE0_EEviT1_
; %bb.0:
	s_clause 0x1
	s_load_b32 s28, s[0:1], 0x8
	s_load_b32 s35, s[0:1], 0x0
	v_lshl_or_b32 v5, s15, 9, v0
	s_or_b32 s20, s0, 8
	s_mov_b32 s3, -1
	s_mov_b32 s30, 0
	s_mov_b32 s21, s1
	v_or_b32_e32 v7, 0x180, v5
	s_mov_b32 s8, 0
	s_mov_b32 s2, exec_lo
	s_waitcnt lgkmcnt(0)
	s_add_i32 s29, s28, -1
	s_delay_alu instid0(SALU_CYCLE_1)
	s_cmp_gt_u32 s29, 1
	s_cselect_b32 s31, -1, 0
	v_cmpx_le_i32_e64 s35, v7
	s_xor_b32 s33, exec_lo, s2
	s_cbranch_execz .LBB505_1128
; %bb.1:
	s_clause 0x4
	s_load_b32 s34, s[20:21], 0x164
	s_load_b128 s[16:19], s[20:21], 0x4
	s_load_b64 s[22:23], s[20:21], 0x14
	s_load_b128 s[12:15], s[20:21], 0xc4
	s_load_b256 s[4:11], s[20:21], 0x148
	s_cmp_lg_u32 s28, 0
	s_mov_b32 s41, 0
	s_cselect_b32 s37, -1, 0
	s_add_u32 s24, s20, 0xc4
	s_addc_u32 s25, s21, 0
	s_min_u32 s36, s29, 15
	s_cmp_gt_u32 s28, 1
	s_mov_b32 s39, 0
	s_waitcnt lgkmcnt(0)
	s_cselect_b32 s11, -1, 0
	s_mov_b32 s38, 0
	s_mov_b32 s40, exec_lo
	v_lshrrev_b16 v7, 8, s34
	v_cmpx_gt_i32_e64 s35, v5
	s_cbranch_execz .LBB505_276
; %bb.2:
	s_and_not1_b32 vcc_lo, exec_lo, s31
	s_cbranch_vccnz .LBB505_7
; %bb.3:
	v_dual_mov_b32 v0, 0 :: v_dual_mov_b32 v1, 0
	s_and_not1_b32 vcc_lo, exec_lo, s37
	s_cbranch_vccnz .LBB505_12
; %bb.4:
	v_mov_b32_e32 v0, 0
	s_add_i32 s42, s36, 1
	s_cmp_eq_u32 s29, 2
	s_cbranch_scc1 .LBB505_8
; %bb.5:
	v_dual_mov_b32 v1, 0 :: v_dual_mov_b32 v0, 0
	v_mov_b32_e32 v2, v5
	s_and_b32 s39, s42, 28
	s_mov_b32 s43, 0
	s_mov_b64 s[2:3], s[24:25]
	s_mov_b64 s[26:27], s[20:21]
.LBB505_6:                              ; =>This Inner Loop Header: Depth=1
	s_clause 0x1
	s_load_b256 s[44:51], s[26:27], 0x4
	s_load_b128 s[60:63], s[26:27], 0x24
	s_load_b256 s[52:59], s[2:3], 0x0
	s_add_u32 s26, s26, 48
	s_addc_u32 s27, s27, 0
	s_add_i32 s43, s43, 4
	s_add_u32 s2, s2, 32
	s_addc_u32 s3, s3, 0
	s_cmp_lg_u32 s39, s43
	s_waitcnt lgkmcnt(0)
	v_mul_hi_u32 v3, s45, v2
	s_delay_alu instid0(VALU_DEP_1) | instskip(NEXT) | instid1(VALU_DEP_1)
	v_add_nc_u32_e32 v3, v2, v3
	v_lshrrev_b32_e32 v3, s46, v3
	s_delay_alu instid0(VALU_DEP_1) | instskip(SKIP_1) | instid1(VALU_DEP_2)
	v_mul_hi_u32 v4, s48, v3
	v_mul_lo_u32 v8, v3, s44
	v_add_nc_u32_e32 v4, v3, v4
	s_delay_alu instid0(VALU_DEP_2) | instskip(NEXT) | instid1(VALU_DEP_2)
	v_sub_nc_u32_e32 v2, v2, v8
	v_lshrrev_b32_e32 v4, s49, v4
	s_delay_alu instid0(VALU_DEP_2) | instskip(SKIP_1) | instid1(VALU_DEP_3)
	v_mul_lo_u32 v8, v2, s52
	v_mul_lo_u32 v10, v2, s53
	v_mul_hi_u32 v6, s51, v4
	s_delay_alu instid0(VALU_DEP_1) | instskip(NEXT) | instid1(VALU_DEP_1)
	v_add_nc_u32_e32 v6, v4, v6
	v_lshrrev_b32_e32 v6, s60, v6
	s_delay_alu instid0(VALU_DEP_1) | instskip(SKIP_1) | instid1(VALU_DEP_2)
	v_mul_hi_u32 v9, s62, v6
	v_mul_lo_u32 v11, v6, s50
	v_add_nc_u32_e32 v2, v6, v9
	v_mul_lo_u32 v9, v4, s47
	s_delay_alu instid0(VALU_DEP_3) | instskip(NEXT) | instid1(VALU_DEP_3)
	v_sub_nc_u32_e32 v4, v4, v11
	v_lshrrev_b32_e32 v2, s63, v2
	s_delay_alu instid0(VALU_DEP_2) | instskip(SKIP_2) | instid1(VALU_DEP_4)
	v_mul_lo_u32 v11, v4, s56
	v_mul_lo_u32 v4, v4, s57
	v_sub_nc_u32_e32 v3, v3, v9
	v_mul_lo_u32 v12, v2, s61
	s_delay_alu instid0(VALU_DEP_2) | instskip(SKIP_1) | instid1(VALU_DEP_3)
	v_mul_lo_u32 v9, v3, s54
	v_mul_lo_u32 v3, v3, s55
	v_sub_nc_u32_e32 v6, v6, v12
	s_delay_alu instid0(VALU_DEP_3) | instskip(NEXT) | instid1(VALU_DEP_2)
	v_add3_u32 v0, v8, v0, v9
	v_mul_lo_u32 v12, v6, s58
	v_mul_lo_u32 v6, v6, s59
	v_add3_u32 v1, v10, v1, v3
	s_delay_alu instid0(VALU_DEP_3) | instskip(NEXT) | instid1(VALU_DEP_2)
	v_add3_u32 v0, v11, v0, v12
	v_add3_u32 v1, v4, v1, v6
	s_cbranch_scc1 .LBB505_6
	s_branch .LBB505_9
.LBB505_7:
	s_mov_b32 s38, -1
                                        ; implicit-def: $vgpr0
                                        ; implicit-def: $vgpr1
	s_branch .LBB505_12
.LBB505_8:
	v_dual_mov_b32 v2, v5 :: v_dual_mov_b32 v1, 0
.LBB505_9:
	s_and_b32 s42, s42, 3
	s_delay_alu instid0(SALU_CYCLE_1)
	s_cmp_eq_u32 s42, 0
	s_cbranch_scc1 .LBB505_12
; %bb.10:
	s_lshl_b32 s2, s39, 3
	s_mul_i32 s26, s39, 12
	s_add_u32 s2, s2, s20
	s_addc_u32 s3, s21, 0
	s_add_u32 s2, s2, 0xc4
	s_addc_u32 s3, s3, 0
	;; [unrolled: 2-line block ×3, first 2 shown]
	.p2align	6
.LBB505_11:                             ; =>This Inner Loop Header: Depth=1
	s_clause 0x1
	s_load_b64 s[44:45], s[26:27], 0x4
	s_load_b32 s39, s[26:27], 0xc
	s_load_b64 s[46:47], s[2:3], 0x0
	s_add_u32 s26, s26, 12
	s_addc_u32 s27, s27, 0
	s_add_u32 s2, s2, 8
	s_addc_u32 s3, s3, 0
	s_add_i32 s42, s42, -1
	s_delay_alu instid0(SALU_CYCLE_1) | instskip(SKIP_2) | instid1(VALU_DEP_1)
	s_cmp_lg_u32 s42, 0
	s_waitcnt lgkmcnt(0)
	v_mul_hi_u32 v3, s45, v2
	v_add_nc_u32_e32 v3, v2, v3
	s_delay_alu instid0(VALU_DEP_1) | instskip(NEXT) | instid1(VALU_DEP_1)
	v_lshrrev_b32_e32 v6, s39, v3
	v_mul_lo_u32 v3, v6, s44
	s_delay_alu instid0(VALU_DEP_1) | instskip(NEXT) | instid1(VALU_DEP_1)
	v_sub_nc_u32_e32 v2, v2, v3
	v_mad_u64_u32 v[3:4], null, v2, s46, v[0:1]
	v_mad_u64_u32 v[8:9], null, v2, s47, v[1:2]
	v_mov_b32_e32 v2, v6
	s_delay_alu instid0(VALU_DEP_2)
	v_dual_mov_b32 v0, v3 :: v_dual_mov_b32 v1, v8
	s_cbranch_scc1 .LBB505_11
.LBB505_12:
	s_and_not1_b32 vcc_lo, exec_lo, s38
	s_cbranch_vccnz .LBB505_15
; %bb.13:
	v_mul_hi_u32 v0, s17, v5
	s_and_not1_b32 vcc_lo, exec_lo, s11
	s_delay_alu instid0(VALU_DEP_1) | instskip(NEXT) | instid1(VALU_DEP_1)
	v_add_nc_u32_e32 v0, v5, v0
	v_lshrrev_b32_e32 v2, s18, v0
	s_delay_alu instid0(VALU_DEP_1) | instskip(NEXT) | instid1(VALU_DEP_1)
	v_mul_lo_u32 v0, v2, s16
	v_sub_nc_u32_e32 v1, v5, v0
	s_delay_alu instid0(VALU_DEP_1)
	v_mul_lo_u32 v0, v1, s12
	v_mul_lo_u32 v1, v1, s13
	s_cbranch_vccnz .LBB505_15
; %bb.14:
	v_mul_hi_u32 v3, s22, v2
	s_delay_alu instid0(VALU_DEP_1) | instskip(NEXT) | instid1(VALU_DEP_1)
	v_add_nc_u32_e32 v3, v2, v3
	v_lshrrev_b32_e32 v3, s23, v3
	s_delay_alu instid0(VALU_DEP_1) | instskip(NEXT) | instid1(VALU_DEP_1)
	v_mul_lo_u32 v3, v3, s19
	v_sub_nc_u32_e32 v6, v2, v3
	s_delay_alu instid0(VALU_DEP_1) | instskip(NEXT) | instid1(VALU_DEP_1)
	v_mad_u64_u32 v[2:3], null, v6, s14, v[0:1]
	v_mad_u64_u32 v[3:4], null, v6, s15, v[1:2]
	s_delay_alu instid0(VALU_DEP_1)
	v_dual_mov_b32 v0, v2 :: v_dual_mov_b32 v1, v3
.LBB505_15:
	v_cmp_gt_i16_e32 vcc_lo, 11, v7
	s_delay_alu instid0(VALU_DEP_2) | instskip(NEXT) | instid1(VALU_DEP_1)
	v_add_co_u32 v1, s2, s6, v1
	v_add_co_ci_u32_e64 v2, null, s7, 0, s2
	s_mov_b32 s3, 0
	s_cbranch_vccnz .LBB505_22
; %bb.16:
	v_cmp_lt_i16_e32 vcc_lo, 25, v7
	s_cbranch_vccz .LBB505_149
; %bb.17:
	v_cmp_lt_i16_e32 vcc_lo, 28, v7
	s_cbranch_vccz .LBB505_150
	;; [unrolled: 3-line block ×4, first 2 shown]
; %bb.20:
	v_cmp_eq_u16_e32 vcc_lo, 46, v7
	s_mov_b32 s26, 0
	s_cbranch_vccz .LBB505_153
; %bb.21:
	global_load_b32 v3, v[1:2], off
	s_mov_b32 s2, -1
	s_waitcnt vmcnt(0)
	v_and_b32_e32 v4, 0xffff0000, v3
	v_lshlrev_b32_e32 v3, 16, v3
	s_branch .LBB505_155
.LBB505_22:
	s_mov_b32 s2, 0
                                        ; implicit-def: $vgpr4
	s_cbranch_execnz .LBB505_224
.LBB505_23:
	s_and_not1_b32 vcc_lo, exec_lo, s2
	s_cbranch_vccnz .LBB505_273
.LBB505_24:
	v_mov_b32_e32 v1, s8
	s_mov_b32 s2, exec_lo
	s_waitcnt vmcnt(0)
	s_delay_alu instid0(VALU_DEP_3)
	v_cmpx_o_f32_e32 v3, v3
	s_cbranch_execz .LBB505_28
; %bb.25:
	v_mov_b32_e32 v1, s9
	s_mov_b32 s26, exec_lo
	v_cmpx_neq_f32_e32 0x7f800000, v3
; %bb.26:
	v_cmp_eq_f32_e32 vcc_lo, 0xff800000, v3
	v_cndmask_b32_e64 v1, v3, s10, vcc_lo
; %bb.27:
	s_or_b32 exec_lo, exec_lo, s26
.LBB505_28:
	s_delay_alu instid0(SALU_CYCLE_1) | instskip(SKIP_2) | instid1(VALU_DEP_4)
	s_or_b32 exec_lo, exec_lo, s2
	v_mov_b32_e32 v2, s8
	s_mov_b32 s2, exec_lo
	v_cmpx_o_f32_e32 v4, v4
	s_cbranch_execz .LBB505_32
; %bb.29:
	v_mov_b32_e32 v2, s9
	s_mov_b32 s26, exec_lo
	v_cmpx_neq_f32_e32 0x7f800000, v4
; %bb.30:
	v_cmp_eq_f32_e32 vcc_lo, 0xff800000, v4
	v_cndmask_b32_e64 v2, v4, s10, vcc_lo
; %bb.31:
	s_or_b32 exec_lo, exec_lo, s26
.LBB505_32:
	s_delay_alu instid0(SALU_CYCLE_1) | instskip(SKIP_2) | instid1(VALU_DEP_1)
	s_or_b32 exec_lo, exec_lo, s2
	v_and_b32_e64 v6, 0xff, s34
	v_add_co_u32 v3, s26, s4, v0
	v_add_co_ci_u32_e64 v4, null, s5, 0, s26
	s_delay_alu instid0(VALU_DEP_3)
	v_cmp_gt_i16_e32 vcc_lo, 11, v6
	s_mov_b32 s2, 0
	s_mov_b32 s27, -1
	s_mov_b32 s26, 0
	s_cbranch_vccnz .LBB505_109
; %bb.33:
	v_cmp_lt_i16_e32 vcc_lo, 25, v6
	s_cbranch_vccz .LBB505_66
; %bb.34:
	v_cmp_lt_i16_e32 vcc_lo, 28, v6
	s_cbranch_vccz .LBB505_49
	;; [unrolled: 3-line block ×4, first 2 shown]
; %bb.37:
	v_cmp_eq_u16_e32 vcc_lo, 46, v6
	s_mov_b32 s27, 0
	s_mov_b32 s2, -1
	s_cbranch_vccz .LBB505_39
; %bb.38:
	v_bfe_u32 v0, v2, 16, 1
	v_bfe_u32 v8, v1, 16, 1
	v_cmp_o_f32_e32 vcc_lo, v2, v2
	s_mov_b32 s26, -1
	s_mov_b32 s2, 0
	v_add3_u32 v0, v2, v0, 0x7fff
	v_add3_u32 v8, v1, v8, 0x7fff
	s_delay_alu instid0(VALU_DEP_2) | instskip(NEXT) | instid1(VALU_DEP_2)
	v_and_b32_e32 v0, 0xffff0000, v0
	v_lshrrev_b32_e32 v8, 16, v8
	s_delay_alu instid0(VALU_DEP_2) | instskip(SKIP_1) | instid1(VALU_DEP_3)
	v_cndmask_b32_e32 v0, 0x7fc00000, v0, vcc_lo
	v_cmp_o_f32_e32 vcc_lo, v1, v1
	v_cndmask_b32_e32 v8, 0x7fc0, v8, vcc_lo
	s_delay_alu instid0(VALU_DEP_1)
	v_or_b32_e32 v0, v0, v8
	global_store_b32 v[3:4], v0, off
.LBB505_39:
	s_and_b32 vcc_lo, exec_lo, s27
	s_cbranch_vccz .LBB505_44
; %bb.40:
	v_cmp_eq_u16_e32 vcc_lo, 44, v6
	s_mov_b32 s2, -1
	s_cbranch_vccz .LBB505_44
; %bb.41:
	v_bfe_u32 v8, v1, 23, 8
	v_mov_b32_e32 v0, 0xff
	s_mov_b32 s26, exec_lo
	s_delay_alu instid0(VALU_DEP_2)
	v_cmpx_ne_u32_e32 0xff, v8
; %bb.42:
	v_and_b32_e32 v0, 0x400000, v1
	v_and_or_b32 v8, 0x3fffff, v1, v8
	s_delay_alu instid0(VALU_DEP_2) | instskip(NEXT) | instid1(VALU_DEP_2)
	v_cmp_ne_u32_e32 vcc_lo, 0, v0
	v_cmp_ne_u32_e64 s2, 0, v8
	v_lshrrev_b32_e32 v0, 23, v1
	s_delay_alu instid0(VALU_DEP_2) | instskip(NEXT) | instid1(SALU_CYCLE_1)
	s_and_b32 s2, vcc_lo, s2
	v_cndmask_b32_e64 v8, 0, 1, s2
	s_delay_alu instid0(VALU_DEP_1)
	v_add_nc_u32_e32 v0, v0, v8
; %bb.43:
	s_or_b32 exec_lo, exec_lo, s26
	s_mov_b32 s26, -1
	s_mov_b32 s2, 0
	global_store_b8 v[3:4], v0, off
.LBB505_44:
	s_mov_b32 s27, 0
.LBB505_45:
	s_delay_alu instid0(SALU_CYCLE_1)
	s_and_b32 vcc_lo, exec_lo, s27
	s_cbranch_vccz .LBB505_48
; %bb.46:
	v_cmp_eq_u16_e32 vcc_lo, 29, v6
	s_mov_b32 s2, -1
	s_cbranch_vccz .LBB505_48
; %bb.47:
	v_trunc_f32_e32 v0, v1
	s_mov_b32 s26, -1
	s_mov_b32 s2, 0
	s_delay_alu instid0(VALU_DEP_1) | instskip(NEXT) | instid1(VALU_DEP_1)
	v_mul_f32_e32 v8, 0x2f800000, v0
	v_floor_f32_e32 v8, v8
	s_delay_alu instid0(VALU_DEP_1) | instskip(SKIP_1) | instid1(VALU_DEP_2)
	v_fmamk_f32 v0, v8, 0xcf800000, v0
	v_cvt_u32_f32_e32 v9, v8
	v_cvt_u32_f32_e32 v8, v0
	global_store_b64 v[3:4], v[8:9], off
.LBB505_48:
	s_mov_b32 s27, 0
.LBB505_49:
	s_delay_alu instid0(SALU_CYCLE_1)
	s_and_b32 vcc_lo, exec_lo, s27
	s_cbranch_vccz .LBB505_65
; %bb.50:
	v_cmp_gt_i16_e32 vcc_lo, 27, v6
	s_mov_b32 s26, -1
	s_cbranch_vccnz .LBB505_56
; %bb.51:
	v_cmp_lt_i16_e32 vcc_lo, 27, v6
	s_cbranch_vccz .LBB505_53
; %bb.52:
	v_cvt_u32_f32_e32 v0, v1
	s_mov_b32 s26, 0
	global_store_b32 v[3:4], v0, off
.LBB505_53:
	s_and_not1_b32 vcc_lo, exec_lo, s26
	s_cbranch_vccnz .LBB505_55
; %bb.54:
	v_cvt_u32_f32_e32 v0, v1
	global_store_b16 v[3:4], v0, off
.LBB505_55:
	s_mov_b32 s26, 0
.LBB505_56:
	s_delay_alu instid0(SALU_CYCLE_1)
	s_and_not1_b32 vcc_lo, exec_lo, s26
	s_cbranch_vccnz .LBB505_64
; %bb.57:
	v_and_b32_e32 v0, 0x7fffffff, v1
	v_mov_b32_e32 v8, 0x80
	s_mov_b32 s26, exec_lo
	s_delay_alu instid0(VALU_DEP_2)
	v_cmpx_gt_u32_e32 0x43800000, v0
	s_cbranch_execz .LBB505_63
; %bb.58:
	v_cmp_lt_u32_e32 vcc_lo, 0x3bffffff, v0
	s_mov_b32 s27, 0
                                        ; implicit-def: $vgpr0
	s_and_saveexec_b32 s38, vcc_lo
	s_delay_alu instid0(SALU_CYCLE_1)
	s_xor_b32 s38, exec_lo, s38
	s_cbranch_execz .LBB505_158
; %bb.59:
	v_bfe_u32 v0, v1, 20, 1
	s_mov_b32 s27, exec_lo
	s_delay_alu instid0(VALU_DEP_1) | instskip(NEXT) | instid1(VALU_DEP_1)
	v_add3_u32 v0, v1, v0, 0x487ffff
	v_lshrrev_b32_e32 v0, 20, v0
	s_or_saveexec_b32 s38, s38
                                        ; implicit-def: $sgpr39
	s_delay_alu instid0(SALU_CYCLE_1)
	s_xor_b32 exec_lo, exec_lo, s38
	s_cbranch_execnz .LBB505_159
.LBB505_60:
	s_or_b32 exec_lo, exec_lo, s38
	v_mov_b32_e32 v8, s39
	s_and_saveexec_b32 s38, s27
.LBB505_61:
	v_lshrrev_b32_e32 v8, 24, v1
	s_delay_alu instid0(VALU_DEP_1)
	v_and_or_b32 v8, 0x80, v8, v0
.LBB505_62:
	s_or_b32 exec_lo, exec_lo, s38
.LBB505_63:
	s_delay_alu instid0(SALU_CYCLE_1)
	s_or_b32 exec_lo, exec_lo, s26
	global_store_b8 v[3:4], v8, off
.LBB505_64:
	s_mov_b32 s26, -1
.LBB505_65:
	s_mov_b32 s27, 0
.LBB505_66:
	s_delay_alu instid0(SALU_CYCLE_1)
	s_and_b32 vcc_lo, exec_lo, s27
	s_cbranch_vccz .LBB505_107
; %bb.67:
	v_cmp_lt_i16_e32 vcc_lo, 22, v6
	s_mov_b32 s27, -1
	s_cbranch_vccz .LBB505_99
; %bb.68:
	v_cmp_gt_i16_e32 vcc_lo, 24, v6
	s_mov_b32 s26, -1
	s_cbranch_vccnz .LBB505_88
; %bb.69:
	v_cmp_lt_i16_e32 vcc_lo, 24, v6
	s_cbranch_vccz .LBB505_77
; %bb.70:
	v_and_b32_e32 v0, 0x7fffffff, v1
	v_mov_b32_e32 v8, 0x80
	s_mov_b32 s26, exec_lo
	s_delay_alu instid0(VALU_DEP_2)
	v_cmpx_gt_u32_e32 0x47800000, v0
	s_cbranch_execz .LBB505_76
; %bb.71:
	v_cmp_lt_u32_e32 vcc_lo, 0x37ffffff, v0
	s_mov_b32 s27, 0
                                        ; implicit-def: $vgpr0
	s_and_saveexec_b32 s38, vcc_lo
	s_delay_alu instid0(SALU_CYCLE_1)
	s_xor_b32 s38, exec_lo, s38
	s_cbranch_execz .LBB505_362
; %bb.72:
	v_bfe_u32 v0, v1, 21, 1
	s_mov_b32 s27, exec_lo
	s_delay_alu instid0(VALU_DEP_1) | instskip(NEXT) | instid1(VALU_DEP_1)
	v_add3_u32 v0, v1, v0, 0x88fffff
	v_lshrrev_b32_e32 v0, 21, v0
	s_or_saveexec_b32 s38, s38
                                        ; implicit-def: $sgpr39
	s_delay_alu instid0(SALU_CYCLE_1)
	s_xor_b32 exec_lo, exec_lo, s38
	s_cbranch_execnz .LBB505_363
.LBB505_73:
	s_or_b32 exec_lo, exec_lo, s38
	v_mov_b32_e32 v8, s39
	s_and_saveexec_b32 s38, s27
.LBB505_74:
	v_lshrrev_b32_e32 v8, 24, v1
	s_delay_alu instid0(VALU_DEP_1)
	v_and_or_b32 v8, 0x80, v8, v0
.LBB505_75:
	s_or_b32 exec_lo, exec_lo, s38
.LBB505_76:
	s_delay_alu instid0(SALU_CYCLE_1)
	s_or_b32 exec_lo, exec_lo, s26
	s_mov_b32 s26, 0
	global_store_b8 v[3:4], v8, off
.LBB505_77:
	s_and_b32 vcc_lo, exec_lo, s26
	s_cbranch_vccz .LBB505_87
; %bb.78:
	v_and_b32_e32 v8, 0x7fffffff, v1
	s_mov_b32 s26, exec_lo
                                        ; implicit-def: $vgpr0
	s_delay_alu instid0(VALU_DEP_1)
	v_cmpx_gt_u32_e32 0x43f00000, v8
	s_xor_b32 s26, exec_lo, s26
	s_cbranch_execz .LBB505_84
; %bb.79:
	s_mov_b32 s27, exec_lo
                                        ; implicit-def: $vgpr0
	v_cmpx_lt_u32_e32 0x3c7fffff, v8
	s_xor_b32 s27, exec_lo, s27
; %bb.80:
	v_bfe_u32 v0, v1, 20, 1
	s_delay_alu instid0(VALU_DEP_1) | instskip(NEXT) | instid1(VALU_DEP_1)
	v_add3_u32 v0, v1, v0, 0x407ffff
	v_and_b32_e32 v8, 0xff00000, v0
	v_lshrrev_b32_e32 v0, 20, v0
	s_delay_alu instid0(VALU_DEP_2) | instskip(NEXT) | instid1(VALU_DEP_2)
	v_cmp_ne_u32_e32 vcc_lo, 0x7f00000, v8
	v_cndmask_b32_e32 v0, 0x7e, v0, vcc_lo
; %bb.81:
	s_and_not1_saveexec_b32 s27, s27
; %bb.82:
	v_add_f32_e64 v0, 0x46800000, |v1|
; %bb.83:
	s_or_b32 exec_lo, exec_lo, s27
                                        ; implicit-def: $vgpr8
.LBB505_84:
	s_and_not1_saveexec_b32 s26, s26
; %bb.85:
	v_mov_b32_e32 v0, 0x7f
	v_cmp_lt_u32_e32 vcc_lo, 0x7f800000, v8
	s_delay_alu instid0(VALU_DEP_2)
	v_cndmask_b32_e32 v0, 0x7e, v0, vcc_lo
; %bb.86:
	s_or_b32 exec_lo, exec_lo, s26
	v_lshrrev_b32_e32 v8, 24, v1
	s_delay_alu instid0(VALU_DEP_1)
	v_and_or_b32 v0, 0x80, v8, v0
	global_store_b8 v[3:4], v0, off
.LBB505_87:
	s_mov_b32 s26, 0
.LBB505_88:
	s_delay_alu instid0(SALU_CYCLE_1)
	s_and_not1_b32 vcc_lo, exec_lo, s26
	s_cbranch_vccnz .LBB505_98
; %bb.89:
	v_and_b32_e32 v8, 0x7fffffff, v1
	s_mov_b32 s26, exec_lo
                                        ; implicit-def: $vgpr0
	s_delay_alu instid0(VALU_DEP_1)
	v_cmpx_gt_u32_e32 0x47800000, v8
	s_xor_b32 s26, exec_lo, s26
	s_cbranch_execz .LBB505_95
; %bb.90:
	s_mov_b32 s27, exec_lo
                                        ; implicit-def: $vgpr0
	v_cmpx_lt_u32_e32 0x387fffff, v8
	s_xor_b32 s27, exec_lo, s27
; %bb.91:
	v_bfe_u32 v0, v1, 21, 1
	s_delay_alu instid0(VALU_DEP_1) | instskip(NEXT) | instid1(VALU_DEP_1)
	v_add3_u32 v0, v1, v0, 0x80fffff
	v_lshrrev_b32_e32 v0, 21, v0
; %bb.92:
	s_and_not1_saveexec_b32 s27, s27
; %bb.93:
	v_add_f32_e64 v0, 0x43000000, |v1|
; %bb.94:
	s_or_b32 exec_lo, exec_lo, s27
                                        ; implicit-def: $vgpr8
.LBB505_95:
	s_and_not1_saveexec_b32 s26, s26
; %bb.96:
	v_mov_b32_e32 v0, 0x7f
	v_cmp_lt_u32_e32 vcc_lo, 0x7f800000, v8
	s_delay_alu instid0(VALU_DEP_2)
	v_cndmask_b32_e32 v0, 0x7c, v0, vcc_lo
; %bb.97:
	s_or_b32 exec_lo, exec_lo, s26
	v_lshrrev_b32_e32 v8, 24, v1
	s_delay_alu instid0(VALU_DEP_1)
	v_and_or_b32 v0, 0x80, v8, v0
	global_store_b8 v[3:4], v0, off
.LBB505_98:
	s_mov_b32 s27, 0
	s_mov_b32 s26, -1
.LBB505_99:
	s_and_not1_b32 vcc_lo, exec_lo, s27
	s_cbranch_vccnz .LBB505_107
; %bb.100:
	v_cmp_lt_i16_e32 vcc_lo, 14, v6
	s_mov_b32 s27, -1
	s_cbranch_vccz .LBB505_104
; %bb.101:
	v_cmp_eq_u16_e32 vcc_lo, 15, v6
	s_mov_b32 s2, -1
	s_cbranch_vccz .LBB505_103
; %bb.102:
	v_bfe_u32 v0, v1, 16, 1
	v_cmp_o_f32_e32 vcc_lo, v1, v1
	s_mov_b32 s26, -1
	s_mov_b32 s2, 0
	s_delay_alu instid0(VALU_DEP_2) | instskip(NEXT) | instid1(VALU_DEP_1)
	v_add3_u32 v0, v1, v0, 0x7fff
	v_lshrrev_b32_e32 v0, 16, v0
	s_delay_alu instid0(VALU_DEP_1)
	v_cndmask_b32_e32 v0, 0x7fc0, v0, vcc_lo
	global_store_b16 v[3:4], v0, off
.LBB505_103:
	s_mov_b32 s27, 0
.LBB505_104:
	s_delay_alu instid0(SALU_CYCLE_1)
	s_and_b32 vcc_lo, exec_lo, s27
	s_cbranch_vccz .LBB505_107
; %bb.105:
	v_cmp_eq_u16_e32 vcc_lo, 11, v6
	s_mov_b32 s2, -1
	s_cbranch_vccz .LBB505_107
; %bb.106:
	v_cmp_neq_f32_e32 vcc_lo, 0, v1
	v_cmp_neq_f32_e64 s2, 0, v2
	s_mov_b32 s26, -1
	s_delay_alu instid0(VALU_DEP_1) | instskip(NEXT) | instid1(SALU_CYCLE_1)
	s_or_b32 s2, vcc_lo, s2
	v_cndmask_b32_e64 v0, 0, 1, s2
	s_mov_b32 s2, 0
	global_store_b8 v[3:4], v0, off
.LBB505_107:
.LBB505_108:
	s_and_not1_b32 vcc_lo, exec_lo, s26
	s_cbranch_vccz .LBB505_148
	s_branch .LBB505_274
.LBB505_109:
	s_and_b32 vcc_lo, exec_lo, s27
	s_cbranch_vccz .LBB505_108
; %bb.110:
	v_cmp_gt_i16_e32 vcc_lo, 5, v6
	s_mov_b32 s26, -1
	s_cbranch_vccnz .LBB505_131
; %bb.111:
	v_cmp_gt_i16_e32 vcc_lo, 8, v6
	s_cbranch_vccnz .LBB505_121
; %bb.112:
	v_cmp_gt_i16_e32 vcc_lo, 9, v6
	s_cbranch_vccnz .LBB505_118
; %bb.113:
	v_cmp_lt_i16_e32 vcc_lo, 9, v6
	s_cbranch_vccz .LBB505_115
; %bb.114:
	v_cvt_f64_f32_e32 v[8:9], v1
	v_cvt_f64_f32_e32 v[10:11], v2
	s_mov_b32 s26, 0
	global_store_b128 v[3:4], v[8:11], off
.LBB505_115:
	s_and_not1_b32 vcc_lo, exec_lo, s26
	s_cbranch_vccnz .LBB505_117
; %bb.116:
	global_store_b64 v[3:4], v[1:2], off
.LBB505_117:
	s_mov_b32 s26, 0
.LBB505_118:
	s_delay_alu instid0(SALU_CYCLE_1)
	s_and_not1_b32 vcc_lo, exec_lo, s26
	s_cbranch_vccnz .LBB505_120
; %bb.119:
	v_cvt_f16_f32_e32 v0, v2
	v_cvt_f16_f32_e32 v2, v1
	s_delay_alu instid0(VALU_DEP_2) | instskip(NEXT) | instid1(VALU_DEP_2)
	v_lshlrev_b32_e32 v0, 16, v0
	v_and_b32_e32 v2, 0xffff, v2
	s_delay_alu instid0(VALU_DEP_1)
	v_or_b32_e32 v0, v0, v2
	global_store_b32 v[3:4], v0, off
.LBB505_120:
	s_mov_b32 s26, 0
.LBB505_121:
	s_delay_alu instid0(SALU_CYCLE_1)
	s_and_not1_b32 vcc_lo, exec_lo, s26
	s_cbranch_vccnz .LBB505_130
; %bb.122:
	v_cmp_gt_i16_e32 vcc_lo, 6, v6
	s_mov_b32 s26, -1
	s_cbranch_vccnz .LBB505_128
; %bb.123:
	v_cmp_lt_i16_e32 vcc_lo, 6, v6
	s_cbranch_vccz .LBB505_125
; %bb.124:
	v_cvt_f64_f32_e32 v[8:9], v1
	s_mov_b32 s26, 0
	global_store_b64 v[3:4], v[8:9], off
.LBB505_125:
	s_and_not1_b32 vcc_lo, exec_lo, s26
	s_cbranch_vccnz .LBB505_127
; %bb.126:
	global_store_b32 v[3:4], v1, off
.LBB505_127:
	s_mov_b32 s26, 0
.LBB505_128:
	s_delay_alu instid0(SALU_CYCLE_1)
	s_and_not1_b32 vcc_lo, exec_lo, s26
	s_cbranch_vccnz .LBB505_130
; %bb.129:
	v_cvt_f16_f32_e32 v0, v1
	global_store_b16 v[3:4], v0, off
.LBB505_130:
	s_mov_b32 s26, 0
.LBB505_131:
	s_delay_alu instid0(SALU_CYCLE_1)
	s_and_not1_b32 vcc_lo, exec_lo, s26
	s_cbranch_vccnz .LBB505_147
; %bb.132:
	v_cmp_gt_i16_e32 vcc_lo, 2, v6
	s_mov_b32 s26, -1
	s_cbranch_vccnz .LBB505_142
; %bb.133:
	v_cmp_gt_i16_e32 vcc_lo, 3, v6
	s_cbranch_vccnz .LBB505_139
; %bb.134:
	v_cmp_lt_i16_e32 vcc_lo, 3, v6
	s_cbranch_vccz .LBB505_136
; %bb.135:
	v_trunc_f32_e32 v0, v1
	s_mov_b32 s26, 0
	s_delay_alu instid0(VALU_DEP_1) | instskip(NEXT) | instid1(VALU_DEP_1)
	v_mul_f32_e64 v2, 0x2f800000, |v0|
	v_floor_f32_e32 v2, v2
	s_delay_alu instid0(VALU_DEP_1) | instskip(SKIP_2) | instid1(VALU_DEP_3)
	v_fma_f32 v8, 0xcf800000, v2, |v0|
	v_ashrrev_i32_e32 v0, 31, v0
	v_cvt_u32_f32_e32 v2, v2
	v_cvt_u32_f32_e32 v8, v8
	s_delay_alu instid0(VALU_DEP_2) | instskip(NEXT) | instid1(VALU_DEP_2)
	v_xor_b32_e32 v2, v2, v0
	v_xor_b32_e32 v8, v8, v0
	s_delay_alu instid0(VALU_DEP_1) | instskip(NEXT) | instid1(VALU_DEP_3)
	v_sub_co_u32 v8, vcc_lo, v8, v0
	v_sub_co_ci_u32_e32 v9, vcc_lo, v2, v0, vcc_lo
	global_store_b64 v[3:4], v[8:9], off
.LBB505_136:
	s_and_not1_b32 vcc_lo, exec_lo, s26
	s_cbranch_vccnz .LBB505_138
; %bb.137:
	v_cvt_i32_f32_e32 v0, v1
	global_store_b32 v[3:4], v0, off
.LBB505_138:
	s_mov_b32 s26, 0
.LBB505_139:
	s_delay_alu instid0(SALU_CYCLE_1)
	s_and_not1_b32 vcc_lo, exec_lo, s26
	s_cbranch_vccnz .LBB505_141
; %bb.140:
	v_cvt_i32_f32_e32 v0, v1
	global_store_b16 v[3:4], v0, off
.LBB505_141:
	s_mov_b32 s26, 0
.LBB505_142:
	s_delay_alu instid0(SALU_CYCLE_1)
	s_and_not1_b32 vcc_lo, exec_lo, s26
	s_cbranch_vccnz .LBB505_147
; %bb.143:
	v_cmp_lt_i16_e32 vcc_lo, 0, v6
	s_mov_b32 s26, -1
	s_cbranch_vccz .LBB505_145
; %bb.144:
	v_cvt_i32_f32_e32 v0, v1
	s_mov_b32 s26, 0
	global_store_b8 v[3:4], v0, off
.LBB505_145:
	s_and_not1_b32 vcc_lo, exec_lo, s26
	s_cbranch_vccnz .LBB505_147
; %bb.146:
	v_trunc_f32_e32 v0, v1
	s_delay_alu instid0(VALU_DEP_1) | instskip(NEXT) | instid1(VALU_DEP_1)
	v_mul_f32_e64 v1, 0x2f800000, |v0|
	v_floor_f32_e32 v1, v1
	s_delay_alu instid0(VALU_DEP_1) | instskip(SKIP_1) | instid1(VALU_DEP_2)
	v_fma_f32 v1, 0xcf800000, v1, |v0|
	v_ashrrev_i32_e32 v0, 31, v0
	v_cvt_u32_f32_e32 v1, v1
	s_delay_alu instid0(VALU_DEP_1) | instskip(NEXT) | instid1(VALU_DEP_1)
	v_xor_b32_e32 v1, v1, v0
	v_sub_nc_u32_e32 v0, v1, v0
	global_store_b8 v[3:4], v0, off
.LBB505_147:
.LBB505_148:
	v_add_nc_u32_e32 v5, 0x80, v5
	s_mov_b32 s26, -1
	s_branch .LBB505_275
.LBB505_149:
	s_mov_b32 s2, 0
                                        ; implicit-def: $vgpr4
	s_cbranch_execnz .LBB505_190
	s_branch .LBB505_223
.LBB505_150:
	s_mov_b32 s26, -1
	s_mov_b32 s2, 0
                                        ; implicit-def: $vgpr4
	s_branch .LBB505_169
.LBB505_151:
	s_mov_b32 s26, -1
	s_mov_b32 s2, 0
                                        ; implicit-def: $vgpr4
	s_branch .LBB505_163
.LBB505_152:
	s_mov_b32 s26, -1
	s_branch .LBB505_154
.LBB505_153:
	s_mov_b32 s3, -1
.LBB505_154:
	s_mov_b32 s2, 0
                                        ; implicit-def: $vgpr4
.LBB505_155:
	s_and_b32 vcc_lo, exec_lo, s26
	s_cbranch_vccz .LBB505_162
; %bb.156:
	v_cmp_eq_u16_e32 vcc_lo, 44, v7
	s_cbranch_vccz .LBB505_160
; %bb.157:
	global_load_u8 v3, v[1:2], off
	s_mov_b32 s3, 0
	s_mov_b32 s2, -1
	s_waitcnt vmcnt(0)
	v_lshlrev_b32_e32 v4, 23, v3
	v_cmp_ne_u32_e32 vcc_lo, 0xff, v3
	s_delay_alu instid0(VALU_DEP_2) | instskip(SKIP_1) | instid1(VALU_DEP_2)
	v_cndmask_b32_e32 v4, 0x7f800001, v4, vcc_lo
	v_cmp_ne_u32_e32 vcc_lo, 0, v3
	v_cndmask_b32_e32 v3, 0x400000, v4, vcc_lo
	s_branch .LBB505_161
.LBB505_158:
	s_or_saveexec_b32 s38, s38
                                        ; implicit-def: $sgpr39
	s_delay_alu instid0(SALU_CYCLE_1)
	s_xor_b32 exec_lo, exec_lo, s38
	s_cbranch_execz .LBB505_60
.LBB505_159:
	v_add_f32_e64 v0, 0x46000000, |v1|
	s_and_not1_b32 s27, s27, exec_lo
	s_mov_b32 s39, 0
	s_delay_alu instid0(VALU_DEP_1) | instskip(NEXT) | instid1(VALU_DEP_1)
	v_and_b32_e32 v0, 0xff, v0
	v_cmp_ne_u32_e32 vcc_lo, 0, v0
	s_and_b32 s42, vcc_lo, exec_lo
	s_delay_alu instid0(SALU_CYCLE_1)
	s_or_b32 s27, s27, s42
	s_or_b32 exec_lo, exec_lo, s38
	v_mov_b32_e32 v8, s39
	s_and_saveexec_b32 s38, s27
	s_cbranch_execnz .LBB505_61
	s_branch .LBB505_62
.LBB505_160:
	s_mov_b32 s3, -1
                                        ; implicit-def: $vgpr3
.LBB505_161:
	s_delay_alu instid0(SALU_CYCLE_1)
	v_mov_b32_e32 v4, s3
.LBB505_162:
	s_mov_b32 s26, 0
.LBB505_163:
	s_delay_alu instid0(SALU_CYCLE_1)
	s_and_b32 vcc_lo, exec_lo, s26
	s_cbranch_vccz .LBB505_168
; %bb.164:
	v_cmp_eq_u16_e32 vcc_lo, 29, v7
	s_cbranch_vccz .LBB505_166
; %bb.165:
	global_load_b64 v[3:4], v[1:2], off
	s_mov_b32 s2, -1
	s_mov_b32 s3, 0
	s_mov_b32 s26, 0
	s_waitcnt vmcnt(0)
	v_clz_i32_u32_e32 v6, v4
	s_delay_alu instid0(VALU_DEP_1) | instskip(NEXT) | instid1(VALU_DEP_1)
	v_min_u32_e32 v6, 32, v6
	v_lshlrev_b64 v[3:4], v6, v[3:4]
	s_delay_alu instid0(VALU_DEP_1) | instskip(NEXT) | instid1(VALU_DEP_1)
	v_min_u32_e32 v3, 1, v3
	v_or_b32_e32 v3, v4, v3
	v_sub_nc_u32_e32 v4, 32, v6
	s_delay_alu instid0(VALU_DEP_2) | instskip(NEXT) | instid1(VALU_DEP_1)
	v_cvt_f32_u32_e32 v3, v3
	v_ldexp_f32 v3, v3, v4
	s_branch .LBB505_167
.LBB505_166:
	s_mov_b32 s3, -1
                                        ; implicit-def: $sgpr26
                                        ; implicit-def: $vgpr3
.LBB505_167:
	v_mov_b32_e32 v4, s26
.LBB505_168:
	s_mov_b32 s26, 0
.LBB505_169:
	s_delay_alu instid0(SALU_CYCLE_1)
	s_and_b32 vcc_lo, exec_lo, s26
	s_cbranch_vccz .LBB505_189
; %bb.170:
	v_cmp_gt_i16_e32 vcc_lo, 27, v7
	s_cbranch_vccnz .LBB505_173
; %bb.171:
	v_cmp_lt_i16_e32 vcc_lo, 27, v7
	s_cbranch_vccz .LBB505_174
; %bb.172:
	global_load_b32 v3, v[1:2], off
	s_mov_b32 s26, 0
	s_mov_b32 s2, 0
	s_waitcnt vmcnt(0)
	v_cvt_f32_u32_e32 v3, v3
	s_branch .LBB505_175
.LBB505_173:
	s_mov_b32 s26, -1
                                        ; implicit-def: $sgpr2
                                        ; implicit-def: $vgpr3
	s_branch .LBB505_178
.LBB505_174:
	s_mov_b32 s26, -1
                                        ; implicit-def: $sgpr2
                                        ; implicit-def: $vgpr3
.LBB505_175:
	s_delay_alu instid0(SALU_CYCLE_1)
	s_and_not1_b32 vcc_lo, exec_lo, s26
	s_cbranch_vccnz .LBB505_177
; %bb.176:
	global_load_u16 v3, v[1:2], off
	s_mov_b32 s2, 0
	s_waitcnt vmcnt(0)
	v_cvt_f32_u32_e32 v3, v3
.LBB505_177:
	s_mov_b32 s26, 0
.LBB505_178:
	v_mov_b32_e32 v4, s2
	s_and_not1_b32 vcc_lo, exec_lo, s26
	s_cbranch_vccnz .LBB505_188
; %bb.179:
	global_load_u8 v6, v[1:2], off
	s_mov_b32 s2, 0
	s_mov_b32 s38, exec_lo
                                        ; implicit-def: $sgpr27
                                        ; implicit-def: $sgpr26
	s_waitcnt vmcnt(0)
	v_cmpx_lt_i16_e32 0x7f, v6
	s_xor_b32 s38, exec_lo, s38
	s_cbranch_execz .LBB505_183
; %bb.180:
	s_mov_b32 s2, -1
	s_mov_b32 s39, exec_lo
                                        ; implicit-def: $sgpr27
                                        ; implicit-def: $sgpr26
	v_cmpx_eq_u16_e32 0x80, v6
; %bb.181:
	s_mov_b32 s26, 0x7f800001
	s_mov_b32 s27, 0
	s_xor_b32 s2, exec_lo, -1
; %bb.182:
	s_or_b32 exec_lo, exec_lo, s39
	s_delay_alu instid0(SALU_CYCLE_1)
	s_and_b32 s2, s2, exec_lo
.LBB505_183:
	s_or_saveexec_b32 s38, s38
	v_dual_mov_b32 v4, s27 :: v_dual_mov_b32 v3, s26
	s_xor_b32 exec_lo, exec_lo, s38
; %bb.184:
	v_mov_b32_e32 v4, 0
	v_cmp_ne_u16_e32 vcc_lo, 0, v6
	s_and_not1_b32 s2, s2, exec_lo
	s_delay_alu instid0(VALU_DEP_2) | instskip(SKIP_1) | instid1(SALU_CYCLE_1)
	v_mov_b32_e32 v3, v4
	s_and_b32 s26, vcc_lo, exec_lo
	s_or_b32 s2, s2, s26
; %bb.185:
	s_or_b32 exec_lo, exec_lo, s38
	s_and_saveexec_b32 s26, s2
	s_cbranch_execz .LBB505_187
; %bb.186:
	v_and_b32_e32 v3, 0xffff, v6
	v_lshlrev_b32_e32 v6, 24, v6
	s_delay_alu instid0(VALU_DEP_2) | instskip(NEXT) | instid1(VALU_DEP_2)
	v_and_b32_e32 v4, 7, v3
	v_and_b32_e32 v6, 0x80000000, v6
	s_delay_alu instid0(VALU_DEP_2) | instskip(NEXT) | instid1(VALU_DEP_1)
	v_clz_i32_u32_e32 v8, v4
	v_min_u32_e32 v8, 32, v8
	s_delay_alu instid0(VALU_DEP_1) | instskip(SKIP_1) | instid1(VALU_DEP_2)
	v_subrev_nc_u32_e32 v9, 28, v8
	v_sub_nc_u32_e32 v8, 29, v8
	v_lshlrev_b32_e32 v9, v9, v3
	v_bfe_u32 v3, v3, 3, 4
	s_delay_alu instid0(VALU_DEP_2) | instskip(NEXT) | instid1(VALU_DEP_2)
	v_and_b32_e32 v9, 7, v9
	v_cmp_eq_u32_e32 vcc_lo, 0, v3
	s_delay_alu instid0(VALU_DEP_2) | instskip(NEXT) | instid1(VALU_DEP_1)
	v_dual_cndmask_b32 v3, v3, v8 :: v_dual_cndmask_b32 v4, v4, v9
	v_lshl_add_u32 v3, v3, 23, 0x3b800000
	s_delay_alu instid0(VALU_DEP_2) | instskip(NEXT) | instid1(VALU_DEP_1)
	v_lshlrev_b32_e32 v4, 20, v4
	v_or3_b32 v3, v6, v3, v4
	v_mov_b32_e32 v4, 0
.LBB505_187:
	s_or_b32 exec_lo, exec_lo, s26
.LBB505_188:
	s_mov_b32 s2, -1
.LBB505_189:
	s_branch .LBB505_223
.LBB505_190:
	v_cmp_lt_i16_e32 vcc_lo, 22, v7
	s_cbranch_vccz .LBB505_202
; %bb.191:
	v_cmp_gt_i16_e32 vcc_lo, 24, v7
	s_cbranch_vccnz .LBB505_203
; %bb.192:
	v_cmp_lt_i16_e32 vcc_lo, 24, v7
	s_cbranch_vccz .LBB505_204
; %bb.193:
	global_load_u8 v6, v[1:2], off
	s_mov_b32 s2, 0
	s_mov_b32 s38, exec_lo
                                        ; implicit-def: $sgpr27
                                        ; implicit-def: $sgpr26
	s_waitcnt vmcnt(0)
	v_cmpx_lt_i16_e32 0x7f, v6
	s_xor_b32 s38, exec_lo, s38
	s_cbranch_execz .LBB505_197
; %bb.194:
	s_mov_b32 s2, -1
	s_mov_b32 s39, exec_lo
                                        ; implicit-def: $sgpr27
                                        ; implicit-def: $sgpr26
	v_cmpx_eq_u16_e32 0x80, v6
; %bb.195:
	s_mov_b32 s26, 0x7f800001
	s_mov_b32 s27, 0
	s_xor_b32 s2, exec_lo, -1
; %bb.196:
	s_or_b32 exec_lo, exec_lo, s39
	s_delay_alu instid0(SALU_CYCLE_1)
	s_and_b32 s2, s2, exec_lo
.LBB505_197:
	s_or_saveexec_b32 s38, s38
	v_dual_mov_b32 v4, s27 :: v_dual_mov_b32 v3, s26
	s_xor_b32 exec_lo, exec_lo, s38
; %bb.198:
	v_mov_b32_e32 v4, 0
	v_cmp_ne_u16_e32 vcc_lo, 0, v6
	s_and_not1_b32 s2, s2, exec_lo
	s_delay_alu instid0(VALU_DEP_2) | instskip(SKIP_1) | instid1(SALU_CYCLE_1)
	v_mov_b32_e32 v3, v4
	s_and_b32 s26, vcc_lo, exec_lo
	s_or_b32 s2, s2, s26
; %bb.199:
	s_or_b32 exec_lo, exec_lo, s38
	s_and_saveexec_b32 s26, s2
	s_cbranch_execz .LBB505_201
; %bb.200:
	v_and_b32_e32 v3, 0xffff, v6
	v_lshlrev_b32_e32 v6, 24, v6
	s_delay_alu instid0(VALU_DEP_2) | instskip(NEXT) | instid1(VALU_DEP_2)
	v_and_b32_e32 v4, 3, v3
	v_and_b32_e32 v6, 0x80000000, v6
	s_delay_alu instid0(VALU_DEP_2) | instskip(NEXT) | instid1(VALU_DEP_1)
	v_clz_i32_u32_e32 v8, v4
	v_min_u32_e32 v8, 32, v8
	s_delay_alu instid0(VALU_DEP_1) | instskip(SKIP_1) | instid1(VALU_DEP_2)
	v_subrev_nc_u32_e32 v9, 29, v8
	v_sub_nc_u32_e32 v8, 30, v8
	v_lshlrev_b32_e32 v9, v9, v3
	v_bfe_u32 v3, v3, 2, 5
	s_delay_alu instid0(VALU_DEP_2) | instskip(NEXT) | instid1(VALU_DEP_2)
	v_and_b32_e32 v9, 3, v9
	v_cmp_eq_u32_e32 vcc_lo, 0, v3
	s_delay_alu instid0(VALU_DEP_2) | instskip(NEXT) | instid1(VALU_DEP_1)
	v_dual_cndmask_b32 v3, v3, v8 :: v_dual_cndmask_b32 v4, v4, v9
	v_lshl_add_u32 v3, v3, 23, 0x37800000
	s_delay_alu instid0(VALU_DEP_2) | instskip(NEXT) | instid1(VALU_DEP_1)
	v_lshlrev_b32_e32 v4, 21, v4
	v_or3_b32 v3, v6, v3, v4
	v_mov_b32_e32 v4, 0
.LBB505_201:
	s_or_b32 exec_lo, exec_lo, s26
	s_mov_b32 s2, 0
	s_branch .LBB505_205
.LBB505_202:
	s_mov_b32 s26, -1
                                        ; implicit-def: $vgpr4
	s_branch .LBB505_211
.LBB505_203:
	s_mov_b32 s2, -1
                                        ; implicit-def: $vgpr4
	s_branch .LBB505_208
.LBB505_204:
	s_mov_b32 s2, -1
                                        ; implicit-def: $vgpr4
.LBB505_205:
	s_delay_alu instid0(SALU_CYCLE_1)
	s_and_b32 vcc_lo, exec_lo, s2
	s_cbranch_vccz .LBB505_207
; %bb.206:
	global_load_u8 v3, v[1:2], off
	s_waitcnt vmcnt(0)
	v_lshlrev_b32_e32 v3, 24, v3
	s_delay_alu instid0(VALU_DEP_1) | instskip(NEXT) | instid1(VALU_DEP_1)
	v_and_b32_e32 v4, 0x7f000000, v3
	v_clz_i32_u32_e32 v6, v4
	v_add_nc_u32_e32 v9, 0x1000000, v4
	v_cmp_ne_u32_e32 vcc_lo, 0, v4
	s_delay_alu instid0(VALU_DEP_3) | instskip(NEXT) | instid1(VALU_DEP_1)
	v_min_u32_e32 v6, 32, v6
	v_sub_nc_u32_e64 v6, v6, 4 clamp
	s_delay_alu instid0(VALU_DEP_1) | instskip(SKIP_1) | instid1(VALU_DEP_2)
	v_lshlrev_b32_e32 v8, v6, v4
	v_lshlrev_b32_e32 v6, 23, v6
	v_lshrrev_b32_e32 v8, 4, v8
	s_delay_alu instid0(VALU_DEP_1) | instskip(SKIP_1) | instid1(VALU_DEP_2)
	v_sub_nc_u32_e32 v6, v8, v6
	v_ashrrev_i32_e32 v8, 8, v9
	v_add_nc_u32_e32 v6, 0x3c000000, v6
	s_delay_alu instid0(VALU_DEP_1) | instskip(NEXT) | instid1(VALU_DEP_1)
	v_and_or_b32 v6, 0x7f800000, v8, v6
	v_cndmask_b32_e32 v4, 0, v6, vcc_lo
	s_delay_alu instid0(VALU_DEP_1)
	v_and_or_b32 v3, 0x80000000, v3, v4
	v_mov_b32_e32 v4, 0
.LBB505_207:
	s_mov_b32 s2, 0
.LBB505_208:
	s_delay_alu instid0(SALU_CYCLE_1)
	s_and_not1_b32 vcc_lo, exec_lo, s2
	s_cbranch_vccnz .LBB505_210
; %bb.209:
	global_load_u8 v3, v[1:2], off
	s_waitcnt vmcnt(0)
	v_lshlrev_b32_e32 v4, 25, v3
	v_lshlrev_b16 v3, 8, v3
	s_delay_alu instid0(VALU_DEP_2) | instskip(NEXT) | instid1(VALU_DEP_2)
	v_lshrrev_b32_e32 v6, 4, v4
	v_and_or_b32 v8, 0x7f00, v3, 0.5
	v_cmp_gt_u32_e32 vcc_lo, 0x8000000, v4
	v_bfe_i32 v3, v3, 0, 16
	s_delay_alu instid0(VALU_DEP_4) | instskip(NEXT) | instid1(VALU_DEP_4)
	v_or_b32_e32 v6, 0x70000000, v6
	v_add_f32_e32 v8, -0.5, v8
	s_delay_alu instid0(VALU_DEP_2) | instskip(NEXT) | instid1(VALU_DEP_1)
	v_mul_f32_e32 v6, 0x7800000, v6
	v_cndmask_b32_e32 v4, v6, v8, vcc_lo
	s_delay_alu instid0(VALU_DEP_1)
	v_and_or_b32 v3, 0x80000000, v3, v4
	v_mov_b32_e32 v4, 0
.LBB505_210:
	s_mov_b32 s26, 0
	s_mov_b32 s2, -1
.LBB505_211:
	s_and_not1_b32 vcc_lo, exec_lo, s26
	s_cbranch_vccnz .LBB505_223
; %bb.212:
	v_cmp_lt_i16_e32 vcc_lo, 14, v7
	s_cbranch_vccz .LBB505_215
; %bb.213:
	v_cmp_eq_u16_e32 vcc_lo, 15, v7
	s_cbranch_vccz .LBB505_216
; %bb.214:
	global_load_u16 v3, v[1:2], off
	s_mov_b32 s2, -1
	s_mov_b32 s3, 0
	s_mov_b32 s26, 0
	s_waitcnt vmcnt(0)
	v_lshlrev_b32_e32 v3, 16, v3
	s_branch .LBB505_217
.LBB505_215:
	s_mov_b32 s27, -1
                                        ; implicit-def: $sgpr26
                                        ; implicit-def: $vgpr3
	s_branch .LBB505_218
.LBB505_216:
	s_mov_b32 s3, -1
                                        ; implicit-def: $sgpr26
                                        ; implicit-def: $vgpr3
.LBB505_217:
	s_mov_b32 s27, 0
.LBB505_218:
	s_delay_alu instid0(SALU_CYCLE_1)
	s_and_b32 vcc_lo, exec_lo, s27
	s_cbranch_vccz .LBB505_222
; %bb.219:
	v_cmp_eq_u16_e32 vcc_lo, 11, v7
	s_cbranch_vccz .LBB505_221
; %bb.220:
	global_load_u8 v3, v[1:2], off
	s_mov_b32 s26, 0
	s_mov_b32 s2, -1
	s_mov_b32 s3, 0
	s_waitcnt vmcnt(0)
	v_cmp_ne_u16_e32 vcc_lo, 0, v3
	v_cndmask_b32_e64 v3, 0, 1.0, vcc_lo
	s_branch .LBB505_222
.LBB505_221:
	s_mov_b32 s3, -1
                                        ; implicit-def: $sgpr26
                                        ; implicit-def: $vgpr3
.LBB505_222:
	v_mov_b32_e32 v4, s26
.LBB505_223:
	s_branch .LBB505_23
.LBB505_224:
	v_cmp_gt_i16_e32 vcc_lo, 5, v7
	s_cbranch_vccnz .LBB505_229
; %bb.225:
	v_cmp_gt_i16_e32 vcc_lo, 8, v7
	s_cbranch_vccnz .LBB505_230
; %bb.226:
	v_cmp_gt_i16_e32 vcc_lo, 9, v7
	s_cbranch_vccnz .LBB505_231
; %bb.227:
	v_cmp_lt_i16_e32 vcc_lo, 9, v7
	s_cbranch_vccz .LBB505_232
; %bb.228:
	global_load_b128 v[8:11], v[1:2], off
	s_mov_b32 s2, 0
	s_waitcnt vmcnt(0)
	v_cvt_f32_f64_e32 v3, v[8:9]
	v_cvt_f32_f64_e32 v4, v[10:11]
	s_branch .LBB505_233
.LBB505_229:
                                        ; implicit-def: $vgpr4
	s_branch .LBB505_252
.LBB505_230:
	s_mov_b32 s2, -1
                                        ; implicit-def: $vgpr4
	s_branch .LBB505_239
.LBB505_231:
	s_mov_b32 s2, -1
                                        ; implicit-def: $vgpr4
	s_branch .LBB505_236
.LBB505_232:
	s_mov_b32 s2, -1
                                        ; implicit-def: $vgpr4
.LBB505_233:
	s_delay_alu instid0(SALU_CYCLE_1)
	s_and_not1_b32 vcc_lo, exec_lo, s2
	s_cbranch_vccnz .LBB505_235
; %bb.234:
	global_load_b64 v[3:4], v[1:2], off
.LBB505_235:
	s_mov_b32 s2, 0
.LBB505_236:
	s_delay_alu instid0(SALU_CYCLE_1)
	s_and_not1_b32 vcc_lo, exec_lo, s2
	s_cbranch_vccnz .LBB505_238
; %bb.237:
	global_load_b32 v3, v[1:2], off
	s_waitcnt vmcnt(0)
	v_lshrrev_b32_e32 v4, 16, v3
	v_cvt_f32_f16_e32 v3, v3
	s_delay_alu instid0(VALU_DEP_2)
	v_cvt_f32_f16_e32 v4, v4
.LBB505_238:
	s_mov_b32 s2, 0
.LBB505_239:
	s_delay_alu instid0(SALU_CYCLE_1)
	s_and_not1_b32 vcc_lo, exec_lo, s2
	s_cbranch_vccnz .LBB505_251
; %bb.240:
	v_cmp_gt_i16_e32 vcc_lo, 6, v7
	s_cbranch_vccnz .LBB505_243
; %bb.241:
	v_cmp_lt_i16_e32 vcc_lo, 6, v7
	s_cbranch_vccz .LBB505_244
; %bb.242:
	global_load_b64 v[3:4], v[1:2], off
	s_mov_b32 s26, 0
	s_mov_b32 s2, 0
	s_waitcnt vmcnt(0)
	v_cvt_f32_f64_e32 v3, v[3:4]
	s_branch .LBB505_245
.LBB505_243:
	s_mov_b32 s26, -1
                                        ; implicit-def: $sgpr2
                                        ; implicit-def: $vgpr3
	s_branch .LBB505_248
.LBB505_244:
	s_mov_b32 s26, -1
                                        ; implicit-def: $sgpr2
                                        ; implicit-def: $vgpr3
.LBB505_245:
	s_delay_alu instid0(SALU_CYCLE_1)
	s_and_not1_b32 vcc_lo, exec_lo, s26
	s_cbranch_vccnz .LBB505_247
; %bb.246:
	global_load_b32 v3, v[1:2], off
	s_mov_b32 s2, 0
.LBB505_247:
	s_mov_b32 s26, 0
.LBB505_248:
	s_delay_alu instid0(SALU_CYCLE_1)
	s_and_not1_b32 vcc_lo, exec_lo, s26
	s_cbranch_vccnz .LBB505_250
; %bb.249:
	global_load_u16 v3, v[1:2], off
	s_mov_b32 s2, 0
	s_waitcnt vmcnt(0)
	v_cvt_f32_f16_e32 v3, v3
.LBB505_250:
	s_waitcnt vmcnt(0)
	v_mov_b32_e32 v4, s2
.LBB505_251:
	s_cbranch_execnz .LBB505_272
.LBB505_252:
	v_cmp_gt_i16_e32 vcc_lo, 2, v7
	s_cbranch_vccnz .LBB505_256
; %bb.253:
	v_cmp_gt_i16_e32 vcc_lo, 3, v7
	s_cbranch_vccnz .LBB505_257
; %bb.254:
	v_cmp_lt_i16_e32 vcc_lo, 3, v7
	s_cbranch_vccz .LBB505_258
; %bb.255:
	global_load_b64 v[3:4], v[1:2], off
	s_mov_b32 s26, 0
	s_mov_b32 s2, 0
	s_waitcnt vmcnt(0)
	v_xor_b32_e32 v6, v3, v4
	v_cls_i32_e32 v8, v4
	s_delay_alu instid0(VALU_DEP_2) | instskip(NEXT) | instid1(VALU_DEP_2)
	v_ashrrev_i32_e32 v6, 31, v6
	v_add_nc_u32_e32 v8, -1, v8
	s_delay_alu instid0(VALU_DEP_2) | instskip(NEXT) | instid1(VALU_DEP_1)
	v_add_nc_u32_e32 v6, 32, v6
	v_min_u32_e32 v6, v8, v6
	s_delay_alu instid0(VALU_DEP_1) | instskip(NEXT) | instid1(VALU_DEP_1)
	v_lshlrev_b64 v[3:4], v6, v[3:4]
	v_min_u32_e32 v3, 1, v3
	s_delay_alu instid0(VALU_DEP_1) | instskip(SKIP_1) | instid1(VALU_DEP_2)
	v_or_b32_e32 v3, v4, v3
	v_sub_nc_u32_e32 v4, 32, v6
	v_cvt_f32_i32_e32 v3, v3
	s_delay_alu instid0(VALU_DEP_1)
	v_ldexp_f32 v3, v3, v4
	s_branch .LBB505_259
.LBB505_256:
	s_mov_b32 s26, -1
                                        ; implicit-def: $sgpr2
                                        ; implicit-def: $vgpr3
	s_branch .LBB505_265
.LBB505_257:
	s_mov_b32 s26, -1
                                        ; implicit-def: $sgpr2
                                        ; implicit-def: $vgpr3
	s_branch .LBB505_262
.LBB505_258:
	s_mov_b32 s26, -1
                                        ; implicit-def: $sgpr2
                                        ; implicit-def: $vgpr3
.LBB505_259:
	s_delay_alu instid0(SALU_CYCLE_1)
	s_and_not1_b32 vcc_lo, exec_lo, s26
	s_cbranch_vccnz .LBB505_261
; %bb.260:
	global_load_b32 v3, v[1:2], off
	s_mov_b32 s2, 0
	s_waitcnt vmcnt(0)
	v_cvt_f32_i32_e32 v3, v3
.LBB505_261:
	s_mov_b32 s26, 0
.LBB505_262:
	s_delay_alu instid0(SALU_CYCLE_1)
	s_and_not1_b32 vcc_lo, exec_lo, s26
	s_cbranch_vccnz .LBB505_264
; %bb.263:
	global_load_i16 v3, v[1:2], off
	s_mov_b32 s2, 0
	s_waitcnt vmcnt(0)
	v_cvt_f32_i32_e32 v3, v3
.LBB505_264:
	s_mov_b32 s26, 0
.LBB505_265:
	s_delay_alu instid0(SALU_CYCLE_1)
	s_and_not1_b32 vcc_lo, exec_lo, s26
	s_cbranch_vccnz .LBB505_271
; %bb.266:
	v_cmp_lt_i16_e32 vcc_lo, 0, v7
	s_mov_b32 s26, 0
	s_cbranch_vccz .LBB505_268
; %bb.267:
	global_load_i8 v3, v[1:2], off
	s_mov_b32 s2, 0
	s_waitcnt vmcnt(0)
	v_cvt_f32_i32_e32 v3, v3
	s_branch .LBB505_269
.LBB505_268:
	s_mov_b32 s26, -1
                                        ; implicit-def: $sgpr2
                                        ; implicit-def: $vgpr3
.LBB505_269:
	s_delay_alu instid0(SALU_CYCLE_1)
	s_and_not1_b32 vcc_lo, exec_lo, s26
	s_cbranch_vccnz .LBB505_271
; %bb.270:
	global_load_u8 v1, v[1:2], off
	s_mov_b32 s2, 0
	s_waitcnt vmcnt(0)
	v_cvt_f32_ubyte0_e32 v3, v1
.LBB505_271:
	s_waitcnt vmcnt(0)
	v_mov_b32_e32 v4, s2
.LBB505_272:
	s_branch .LBB505_24
.LBB505_273:
	s_mov_b32 s2, 0
.LBB505_274:
	s_mov_b32 s26, 0
                                        ; implicit-def: $vgpr5
.LBB505_275:
	s_and_b32 s38, s2, exec_lo
	s_and_b32 s39, s3, exec_lo
	s_or_not1_b32 s3, s26, exec_lo
.LBB505_276:
	s_or_b32 exec_lo, exec_lo, s40
	s_mov_b32 s26, 0
	s_mov_b32 s2, 0
                                        ; implicit-def: $vgpr1_vgpr2
                                        ; implicit-def: $vgpr0
                                        ; implicit-def: $vgpr6
	s_and_saveexec_b32 s40, s3
	s_cbranch_execz .LBB505_948
; %bb.277:
	s_mov_b32 s2, -1
	s_mov_b32 s41, s39
	s_mov_b32 s42, s38
	s_mov_b32 s43, exec_lo
	v_cmpx_gt_i32_e64 s35, v5
	s_cbranch_execz .LBB505_559
; %bb.278:
	s_and_not1_b32 vcc_lo, exec_lo, s31
	s_cbranch_vccnz .LBB505_283
; %bb.279:
	v_dual_mov_b32 v0, 0 :: v_dual_mov_b32 v1, 0
	s_and_not1_b32 vcc_lo, exec_lo, s37
	s_mov_b32 s41, 0
	s_cbranch_vccnz .LBB505_288
; %bb.280:
	v_mov_b32_e32 v0, 0
	s_add_i32 s44, s36, 1
	s_cmp_eq_u32 s29, 2
	s_mov_b32 s42, 0
	s_cbranch_scc1 .LBB505_284
; %bb.281:
	v_dual_mov_b32 v1, 0 :: v_dual_mov_b32 v0, 0
	v_mov_b32_e32 v2, v5
	s_and_b32 s42, s44, 28
	s_mov_b32 s45, 0
	s_mov_b64 s[2:3], s[24:25]
	s_mov_b64 s[26:27], s[20:21]
.LBB505_282:                            ; =>This Inner Loop Header: Depth=1
	s_clause 0x1
	s_load_b256 s[48:55], s[26:27], 0x4
	s_load_b128 s[64:67], s[26:27], 0x24
	s_load_b256 s[56:63], s[2:3], 0x0
	s_add_u32 s26, s26, 48
	s_addc_u32 s27, s27, 0
	s_add_i32 s45, s45, 4
	s_add_u32 s2, s2, 32
	s_addc_u32 s3, s3, 0
	s_cmp_eq_u32 s42, s45
	s_waitcnt vmcnt(0) lgkmcnt(0)
	v_mul_hi_u32 v3, s49, v2
	s_delay_alu instid0(VALU_DEP_1) | instskip(NEXT) | instid1(VALU_DEP_1)
	v_add_nc_u32_e32 v3, v2, v3
	v_lshrrev_b32_e32 v3, s50, v3
	s_delay_alu instid0(VALU_DEP_1) | instskip(SKIP_1) | instid1(VALU_DEP_2)
	v_mul_hi_u32 v4, s52, v3
	v_mul_lo_u32 v8, v3, s48
	v_add_nc_u32_e32 v4, v3, v4
	s_delay_alu instid0(VALU_DEP_2) | instskip(NEXT) | instid1(VALU_DEP_2)
	v_sub_nc_u32_e32 v2, v2, v8
	v_lshrrev_b32_e32 v4, s53, v4
	s_delay_alu instid0(VALU_DEP_2) | instskip(SKIP_1) | instid1(VALU_DEP_3)
	v_mul_lo_u32 v8, v2, s56
	v_mul_lo_u32 v10, v2, s57
	v_mul_hi_u32 v6, s55, v4
	s_delay_alu instid0(VALU_DEP_1) | instskip(NEXT) | instid1(VALU_DEP_1)
	v_add_nc_u32_e32 v6, v4, v6
	v_lshrrev_b32_e32 v6, s64, v6
	s_delay_alu instid0(VALU_DEP_1) | instskip(SKIP_1) | instid1(VALU_DEP_2)
	v_mul_hi_u32 v9, s66, v6
	v_mul_lo_u32 v11, v6, s54
	v_add_nc_u32_e32 v2, v6, v9
	v_mul_lo_u32 v9, v4, s51
	s_delay_alu instid0(VALU_DEP_3) | instskip(NEXT) | instid1(VALU_DEP_3)
	v_sub_nc_u32_e32 v4, v4, v11
	v_lshrrev_b32_e32 v2, s67, v2
	s_delay_alu instid0(VALU_DEP_2) | instskip(SKIP_2) | instid1(VALU_DEP_4)
	v_mul_lo_u32 v11, v4, s60
	v_mul_lo_u32 v4, v4, s61
	v_sub_nc_u32_e32 v3, v3, v9
	v_mul_lo_u32 v12, v2, s65
	s_delay_alu instid0(VALU_DEP_2) | instskip(SKIP_1) | instid1(VALU_DEP_3)
	v_mul_lo_u32 v9, v3, s58
	v_mul_lo_u32 v3, v3, s59
	v_sub_nc_u32_e32 v6, v6, v12
	s_delay_alu instid0(VALU_DEP_3) | instskip(NEXT) | instid1(VALU_DEP_2)
	v_add3_u32 v0, v8, v0, v9
	v_mul_lo_u32 v12, v6, s62
	v_mul_lo_u32 v6, v6, s63
	v_add3_u32 v1, v10, v1, v3
	s_delay_alu instid0(VALU_DEP_3) | instskip(NEXT) | instid1(VALU_DEP_2)
	v_add3_u32 v0, v11, v0, v12
	v_add3_u32 v1, v4, v1, v6
	s_cbranch_scc0 .LBB505_282
	s_branch .LBB505_285
.LBB505_283:
	s_mov_b32 s41, -1
                                        ; implicit-def: $vgpr0
                                        ; implicit-def: $vgpr1
	s_branch .LBB505_288
.LBB505_284:
	v_dual_mov_b32 v2, v5 :: v_dual_mov_b32 v1, 0
.LBB505_285:
	s_and_b32 s44, s44, 3
	s_delay_alu instid0(SALU_CYCLE_1)
	s_cmp_eq_u32 s44, 0
	s_cbranch_scc1 .LBB505_288
; %bb.286:
	s_lshl_b32 s2, s42, 3
	s_mul_i32 s26, s42, 12
	s_add_u32 s2, s2, s20
	s_addc_u32 s3, s21, 0
	s_add_u32 s2, s2, 0xc4
	s_addc_u32 s3, s3, 0
	;; [unrolled: 2-line block ×3, first 2 shown]
	.p2align	6
.LBB505_287:                            ; =>This Inner Loop Header: Depth=1
	s_clause 0x1
	s_load_b64 s[46:47], s[26:27], 0x4
	s_load_b32 s42, s[26:27], 0xc
	s_load_b64 s[48:49], s[2:3], 0x0
	s_add_u32 s26, s26, 12
	s_addc_u32 s27, s27, 0
	s_add_u32 s2, s2, 8
	s_addc_u32 s3, s3, 0
	s_add_i32 s44, s44, -1
	s_delay_alu instid0(SALU_CYCLE_1) | instskip(SKIP_2) | instid1(VALU_DEP_1)
	s_cmp_lg_u32 s44, 0
	s_waitcnt vmcnt(0) lgkmcnt(0)
	v_mul_hi_u32 v3, s47, v2
	v_add_nc_u32_e32 v3, v2, v3
	s_delay_alu instid0(VALU_DEP_1) | instskip(NEXT) | instid1(VALU_DEP_1)
	v_lshrrev_b32_e32 v6, s42, v3
	v_mul_lo_u32 v3, v6, s46
	s_delay_alu instid0(VALU_DEP_1) | instskip(NEXT) | instid1(VALU_DEP_1)
	v_sub_nc_u32_e32 v2, v2, v3
	v_mad_u64_u32 v[3:4], null, v2, s48, v[0:1]
	v_mad_u64_u32 v[8:9], null, v2, s49, v[1:2]
	v_mov_b32_e32 v2, v6
	s_delay_alu instid0(VALU_DEP_2)
	v_dual_mov_b32 v0, v3 :: v_dual_mov_b32 v1, v8
	s_cbranch_scc1 .LBB505_287
.LBB505_288:
	s_and_not1_b32 vcc_lo, exec_lo, s41
	s_cbranch_vccnz .LBB505_291
; %bb.289:
	v_mul_hi_u32 v0, s17, v5
	s_and_not1_b32 vcc_lo, exec_lo, s11
	s_delay_alu instid0(VALU_DEP_1) | instskip(NEXT) | instid1(VALU_DEP_1)
	v_add_nc_u32_e32 v0, v5, v0
	v_lshrrev_b32_e32 v2, s18, v0
	s_delay_alu instid0(VALU_DEP_1) | instskip(NEXT) | instid1(VALU_DEP_1)
	v_mul_lo_u32 v0, v2, s16
	v_sub_nc_u32_e32 v1, v5, v0
	s_delay_alu instid0(VALU_DEP_1)
	v_mul_lo_u32 v0, v1, s12
	v_mul_lo_u32 v1, v1, s13
	s_cbranch_vccnz .LBB505_291
; %bb.290:
	s_waitcnt vmcnt(0)
	v_mul_hi_u32 v3, s22, v2
	s_delay_alu instid0(VALU_DEP_1) | instskip(NEXT) | instid1(VALU_DEP_1)
	v_add_nc_u32_e32 v3, v2, v3
	v_lshrrev_b32_e32 v3, s23, v3
	s_delay_alu instid0(VALU_DEP_1) | instskip(NEXT) | instid1(VALU_DEP_1)
	v_mul_lo_u32 v3, v3, s19
	v_sub_nc_u32_e32 v6, v2, v3
	s_delay_alu instid0(VALU_DEP_1) | instskip(NEXT) | instid1(VALU_DEP_1)
	v_mad_u64_u32 v[2:3], null, v6, s14, v[0:1]
	v_mad_u64_u32 v[3:4], null, v6, s15, v[1:2]
	s_delay_alu instid0(VALU_DEP_1)
	v_dual_mov_b32 v0, v2 :: v_dual_mov_b32 v1, v3
.LBB505_291:
	v_cmp_gt_i16_e32 vcc_lo, 11, v7
	s_delay_alu instid0(VALU_DEP_2) | instskip(NEXT) | instid1(VALU_DEP_1)
	v_add_co_u32 v1, s2, s6, v1
	v_add_co_ci_u32_e64 v2, null, s7, 0, s2
	s_mov_b32 s2, 0
	s_cbranch_vccnz .LBB505_298
; %bb.292:
	v_cmp_lt_i16_e32 vcc_lo, 25, v7
	s_cbranch_vccz .LBB505_355
; %bb.293:
	v_cmp_lt_i16_e32 vcc_lo, 28, v7
	s_cbranch_vccz .LBB505_356
	;; [unrolled: 3-line block ×4, first 2 shown]
; %bb.296:
	v_cmp_eq_u16_e32 vcc_lo, 46, v7
	s_mov_b32 s26, 0
	s_cbranch_vccz .LBB505_364
; %bb.297:
	global_load_b32 v3, v[1:2], off
	s_mov_b32 s2, -1
	s_mov_b32 s3, 0
	s_waitcnt vmcnt(0)
	v_and_b32_e32 v4, 0xffff0000, v3
	v_lshlrev_b32_e32 v3, 16, v3
	s_branch .LBB505_366
.LBB505_298:
	s_mov_b32 s3, s39
                                        ; implicit-def: $vgpr4
	s_cbranch_execnz .LBB505_506
.LBB505_299:
	s_and_not1_b32 vcc_lo, exec_lo, s2
	s_cbranch_vccnz .LBB505_556
.LBB505_300:
	v_mov_b32_e32 v1, s8
	s_mov_b32 s2, exec_lo
	s_waitcnt vmcnt(0)
	s_delay_alu instid0(VALU_DEP_3)
	v_cmpx_o_f32_e32 v3, v3
	s_cbranch_execz .LBB505_304
; %bb.301:
	v_mov_b32_e32 v1, s9
	s_mov_b32 s26, exec_lo
	v_cmpx_neq_f32_e32 0x7f800000, v3
; %bb.302:
	v_cmp_eq_f32_e32 vcc_lo, 0xff800000, v3
	v_cndmask_b32_e64 v1, v3, s10, vcc_lo
; %bb.303:
	s_or_b32 exec_lo, exec_lo, s26
.LBB505_304:
	s_delay_alu instid0(SALU_CYCLE_1) | instskip(SKIP_2) | instid1(VALU_DEP_4)
	s_or_b32 exec_lo, exec_lo, s2
	v_mov_b32_e32 v2, s8
	s_mov_b32 s2, exec_lo
	v_cmpx_o_f32_e32 v4, v4
	s_cbranch_execz .LBB505_308
; %bb.305:
	v_mov_b32_e32 v2, s9
	s_mov_b32 s26, exec_lo
	v_cmpx_neq_f32_e32 0x7f800000, v4
; %bb.306:
	v_cmp_eq_f32_e32 vcc_lo, 0xff800000, v4
	v_cndmask_b32_e64 v2, v4, s10, vcc_lo
; %bb.307:
	s_or_b32 exec_lo, exec_lo, s26
.LBB505_308:
	s_delay_alu instid0(SALU_CYCLE_1) | instskip(SKIP_2) | instid1(VALU_DEP_1)
	s_or_b32 exec_lo, exec_lo, s2
	v_and_b32_e64 v6, 0xff, s34
	v_add_co_u32 v3, s2, s4, v0
	v_add_co_ci_u32_e64 v4, null, s5, 0, s2
	s_delay_alu instid0(VALU_DEP_3)
	v_cmp_gt_i16_e32 vcc_lo, 11, v6
	s_mov_b32 s26, 0
	s_mov_b32 s27, -1
	s_mov_b32 s2, s38
	s_cbranch_vccnz .LBB505_315
; %bb.309:
	v_cmp_lt_i16_e32 vcc_lo, 25, v6
	s_cbranch_vccz .LBB505_357
; %bb.310:
	v_cmp_lt_i16_e32 vcc_lo, 28, v6
	s_cbranch_vccz .LBB505_359
	;; [unrolled: 3-line block ×4, first 2 shown]
; %bb.313:
	v_cmp_eq_u16_e32 vcc_lo, 46, v6
	s_mov_b32 s27, 0
	s_mov_b32 s2, -1
	s_cbranch_vccz .LBB505_370
; %bb.314:
	v_bfe_u32 v0, v2, 16, 1
	v_bfe_u32 v8, v1, 16, 1
	v_cmp_o_f32_e32 vcc_lo, v2, v2
	s_mov_b32 s26, -1
	s_mov_b32 s2, 0
	v_add3_u32 v0, v2, v0, 0x7fff
	v_add3_u32 v8, v1, v8, 0x7fff
	s_delay_alu instid0(VALU_DEP_2) | instskip(NEXT) | instid1(VALU_DEP_2)
	v_and_b32_e32 v0, 0xffff0000, v0
	v_lshrrev_b32_e32 v8, 16, v8
	s_delay_alu instid0(VALU_DEP_2) | instskip(SKIP_1) | instid1(VALU_DEP_3)
	v_cndmask_b32_e32 v0, 0x7fc00000, v0, vcc_lo
	v_cmp_o_f32_e32 vcc_lo, v1, v1
	v_cndmask_b32_e32 v8, 0x7fc0, v8, vcc_lo
	s_delay_alu instid0(VALU_DEP_1)
	v_or_b32_e32 v0, v0, v8
	global_store_b32 v[3:4], v0, off
	s_branch .LBB505_370
.LBB505_315:
	s_and_b32 vcc_lo, exec_lo, s27
	s_cbranch_vccz .LBB505_439
; %bb.316:
	v_cmp_gt_i16_e32 vcc_lo, 5, v6
	s_mov_b32 s26, -1
	s_cbranch_vccnz .LBB505_337
; %bb.317:
	v_cmp_gt_i16_e32 vcc_lo, 8, v6
	s_cbranch_vccnz .LBB505_327
; %bb.318:
	v_cmp_gt_i16_e32 vcc_lo, 9, v6
	s_cbranch_vccnz .LBB505_324
; %bb.319:
	v_cmp_lt_i16_e32 vcc_lo, 9, v6
	s_cbranch_vccz .LBB505_321
; %bb.320:
	v_cvt_f64_f32_e32 v[8:9], v1
	v_cvt_f64_f32_e32 v[10:11], v2
	s_mov_b32 s26, 0
	global_store_b128 v[3:4], v[8:11], off
.LBB505_321:
	s_and_not1_b32 vcc_lo, exec_lo, s26
	s_cbranch_vccnz .LBB505_323
; %bb.322:
	global_store_b64 v[3:4], v[1:2], off
.LBB505_323:
	s_mov_b32 s26, 0
.LBB505_324:
	s_delay_alu instid0(SALU_CYCLE_1)
	s_and_not1_b32 vcc_lo, exec_lo, s26
	s_cbranch_vccnz .LBB505_326
; %bb.325:
	v_cvt_f16_f32_e32 v0, v2
	v_cvt_f16_f32_e32 v2, v1
	s_delay_alu instid0(VALU_DEP_2) | instskip(NEXT) | instid1(VALU_DEP_2)
	v_lshlrev_b32_e32 v0, 16, v0
	v_and_b32_e32 v2, 0xffff, v2
	s_delay_alu instid0(VALU_DEP_1)
	v_or_b32_e32 v0, v0, v2
	global_store_b32 v[3:4], v0, off
.LBB505_326:
	s_mov_b32 s26, 0
.LBB505_327:
	s_delay_alu instid0(SALU_CYCLE_1)
	s_and_not1_b32 vcc_lo, exec_lo, s26
	s_cbranch_vccnz .LBB505_336
; %bb.328:
	v_cmp_gt_i16_e32 vcc_lo, 6, v6
	s_mov_b32 s26, -1
	s_cbranch_vccnz .LBB505_334
; %bb.329:
	v_cmp_lt_i16_e32 vcc_lo, 6, v6
	s_cbranch_vccz .LBB505_331
; %bb.330:
	v_cvt_f64_f32_e32 v[8:9], v1
	s_mov_b32 s26, 0
	global_store_b64 v[3:4], v[8:9], off
.LBB505_331:
	s_and_not1_b32 vcc_lo, exec_lo, s26
	s_cbranch_vccnz .LBB505_333
; %bb.332:
	global_store_b32 v[3:4], v1, off
.LBB505_333:
	s_mov_b32 s26, 0
.LBB505_334:
	s_delay_alu instid0(SALU_CYCLE_1)
	s_and_not1_b32 vcc_lo, exec_lo, s26
	s_cbranch_vccnz .LBB505_336
; %bb.335:
	v_cvt_f16_f32_e32 v0, v1
	global_store_b16 v[3:4], v0, off
.LBB505_336:
	s_mov_b32 s26, 0
.LBB505_337:
	s_delay_alu instid0(SALU_CYCLE_1)
	s_and_not1_b32 vcc_lo, exec_lo, s26
	s_cbranch_vccnz .LBB505_353
; %bb.338:
	v_cmp_gt_i16_e32 vcc_lo, 2, v6
	s_mov_b32 s26, -1
	s_cbranch_vccnz .LBB505_348
; %bb.339:
	v_cmp_gt_i16_e32 vcc_lo, 3, v6
	s_cbranch_vccnz .LBB505_345
; %bb.340:
	v_cmp_lt_i16_e32 vcc_lo, 3, v6
	s_cbranch_vccz .LBB505_342
; %bb.341:
	v_trunc_f32_e32 v0, v1
	s_mov_b32 s26, 0
	s_delay_alu instid0(VALU_DEP_1) | instskip(NEXT) | instid1(VALU_DEP_1)
	v_mul_f32_e64 v2, 0x2f800000, |v0|
	v_floor_f32_e32 v2, v2
	s_delay_alu instid0(VALU_DEP_1) | instskip(SKIP_2) | instid1(VALU_DEP_3)
	v_fma_f32 v8, 0xcf800000, v2, |v0|
	v_ashrrev_i32_e32 v0, 31, v0
	v_cvt_u32_f32_e32 v2, v2
	v_cvt_u32_f32_e32 v8, v8
	s_delay_alu instid0(VALU_DEP_2) | instskip(NEXT) | instid1(VALU_DEP_2)
	v_xor_b32_e32 v2, v2, v0
	v_xor_b32_e32 v8, v8, v0
	s_delay_alu instid0(VALU_DEP_1) | instskip(NEXT) | instid1(VALU_DEP_3)
	v_sub_co_u32 v8, vcc_lo, v8, v0
	v_sub_co_ci_u32_e32 v9, vcc_lo, v2, v0, vcc_lo
	global_store_b64 v[3:4], v[8:9], off
.LBB505_342:
	s_and_not1_b32 vcc_lo, exec_lo, s26
	s_cbranch_vccnz .LBB505_344
; %bb.343:
	v_cvt_i32_f32_e32 v0, v1
	global_store_b32 v[3:4], v0, off
.LBB505_344:
	s_mov_b32 s26, 0
.LBB505_345:
	s_delay_alu instid0(SALU_CYCLE_1)
	s_and_not1_b32 vcc_lo, exec_lo, s26
	s_cbranch_vccnz .LBB505_347
; %bb.346:
	v_cvt_i32_f32_e32 v0, v1
	global_store_b16 v[3:4], v0, off
.LBB505_347:
	s_mov_b32 s26, 0
.LBB505_348:
	s_delay_alu instid0(SALU_CYCLE_1)
	s_and_not1_b32 vcc_lo, exec_lo, s26
	s_cbranch_vccnz .LBB505_353
; %bb.349:
	v_cmp_lt_i16_e32 vcc_lo, 0, v6
	s_mov_b32 s26, -1
	s_cbranch_vccz .LBB505_351
; %bb.350:
	v_cvt_i32_f32_e32 v0, v1
	s_mov_b32 s26, 0
	global_store_b8 v[3:4], v0, off
.LBB505_351:
	s_and_not1_b32 vcc_lo, exec_lo, s26
	s_cbranch_vccnz .LBB505_353
; %bb.352:
	v_trunc_f32_e32 v0, v1
	s_delay_alu instid0(VALU_DEP_1) | instskip(NEXT) | instid1(VALU_DEP_1)
	v_mul_f32_e64 v1, 0x2f800000, |v0|
	v_floor_f32_e32 v1, v1
	s_delay_alu instid0(VALU_DEP_1) | instskip(SKIP_1) | instid1(VALU_DEP_2)
	v_fma_f32 v1, 0xcf800000, v1, |v0|
	v_ashrrev_i32_e32 v0, 31, v0
	v_cvt_u32_f32_e32 v1, v1
	s_delay_alu instid0(VALU_DEP_1) | instskip(NEXT) | instid1(VALU_DEP_1)
	v_xor_b32_e32 v1, v1, v0
	v_sub_nc_u32_e32 v0, v1, v0
	global_store_b8 v[3:4], v0, off
.LBB505_353:
	s_branch .LBB505_440
.LBB505_354:
	s_mov_b32 s26, 0
	s_branch .LBB505_557
.LBB505_355:
	s_mov_b32 s26, -1
	s_mov_b32 s3, s39
                                        ; implicit-def: $vgpr4
	s_branch .LBB505_471
.LBB505_356:
	s_mov_b32 s26, -1
	s_mov_b32 s3, s39
                                        ; implicit-def: $vgpr4
	s_branch .LBB505_450
.LBB505_357:
	s_mov_b32 s2, s38
	s_branch .LBB505_397
.LBB505_358:
	s_mov_b32 s26, -1
	s_mov_b32 s3, s39
                                        ; implicit-def: $vgpr4
	s_branch .LBB505_444
.LBB505_359:
	s_mov_b32 s2, s38
	s_branch .LBB505_380
.LBB505_360:
	s_mov_b32 s26, -1
	s_mov_b32 s3, s39
	s_branch .LBB505_365
.LBB505_361:
	s_mov_b32 s2, s38
	s_branch .LBB505_376
.LBB505_362:
	s_or_saveexec_b32 s38, s38
                                        ; implicit-def: $sgpr39
	s_delay_alu instid0(SALU_CYCLE_1)
	s_xor_b32 exec_lo, exec_lo, s38
	s_cbranch_execz .LBB505_73
.LBB505_363:
	v_add_f32_e64 v0, 0x42800000, |v1|
	s_and_not1_b32 s27, s27, exec_lo
	s_mov_b32 s39, 0
	s_delay_alu instid0(VALU_DEP_1) | instskip(NEXT) | instid1(VALU_DEP_1)
	v_and_b32_e32 v0, 0xff, v0
	v_cmp_ne_u32_e32 vcc_lo, 0, v0
	s_and_b32 s42, vcc_lo, exec_lo
	s_delay_alu instid0(SALU_CYCLE_1)
	s_or_b32 s27, s27, s42
	s_or_b32 exec_lo, exec_lo, s38
	v_mov_b32_e32 v8, s39
	s_and_saveexec_b32 s38, s27
	s_cbranch_execnz .LBB505_74
	s_branch .LBB505_75
.LBB505_364:
	s_mov_b32 s3, -1
.LBB505_365:
                                        ; implicit-def: $vgpr4
.LBB505_366:
	s_and_b32 vcc_lo, exec_lo, s26
	s_cbranch_vccz .LBB505_443
; %bb.367:
	v_cmp_eq_u16_e32 vcc_lo, 44, v7
	s_cbranch_vccz .LBB505_441
; %bb.368:
	global_load_u8 v3, v[1:2], off
	s_mov_b32 s3, 0
	s_mov_b32 s2, -1
	s_waitcnt vmcnt(0)
	v_lshlrev_b32_e32 v4, 23, v3
	v_cmp_ne_u32_e32 vcc_lo, 0xff, v3
	s_delay_alu instid0(VALU_DEP_2) | instskip(SKIP_1) | instid1(VALU_DEP_2)
	v_cndmask_b32_e32 v4, 0x7f800001, v4, vcc_lo
	v_cmp_ne_u32_e32 vcc_lo, 0, v3
	v_cndmask_b32_e32 v3, 0x400000, v4, vcc_lo
	s_branch .LBB505_442
.LBB505_369:
	s_mov_b32 s2, s38
.LBB505_370:
	s_and_b32 vcc_lo, exec_lo, s27
	s_cbranch_vccz .LBB505_375
; %bb.371:
	v_cmp_eq_u16_e32 vcc_lo, 44, v6
	s_mov_b32 s2, -1
	s_cbranch_vccz .LBB505_375
; %bb.372:
	v_bfe_u32 v8, v1, 23, 8
	v_mov_b32_e32 v0, 0xff
	s_mov_b32 s26, exec_lo
	s_delay_alu instid0(VALU_DEP_2)
	v_cmpx_ne_u32_e32 0xff, v8
; %bb.373:
	v_and_b32_e32 v0, 0x400000, v1
	v_and_or_b32 v8, 0x3fffff, v1, v8
	s_delay_alu instid0(VALU_DEP_2) | instskip(NEXT) | instid1(VALU_DEP_2)
	v_cmp_ne_u32_e32 vcc_lo, 0, v0
	v_cmp_ne_u32_e64 s2, 0, v8
	v_lshrrev_b32_e32 v0, 23, v1
	s_delay_alu instid0(VALU_DEP_2) | instskip(NEXT) | instid1(SALU_CYCLE_1)
	s_and_b32 s2, vcc_lo, s2
	v_cndmask_b32_e64 v8, 0, 1, s2
	s_delay_alu instid0(VALU_DEP_1)
	v_add_nc_u32_e32 v0, v0, v8
; %bb.374:
	s_or_b32 exec_lo, exec_lo, s26
	s_mov_b32 s26, -1
	s_mov_b32 s2, 0
	global_store_b8 v[3:4], v0, off
.LBB505_375:
	s_mov_b32 s27, 0
.LBB505_376:
	s_delay_alu instid0(SALU_CYCLE_1)
	s_and_b32 vcc_lo, exec_lo, s27
	s_cbranch_vccz .LBB505_379
; %bb.377:
	v_cmp_eq_u16_e32 vcc_lo, 29, v6
	s_mov_b32 s2, -1
	s_cbranch_vccz .LBB505_379
; %bb.378:
	v_trunc_f32_e32 v0, v1
	s_mov_b32 s26, -1
	s_mov_b32 s2, 0
	s_mov_b32 s27, 0
	s_delay_alu instid0(VALU_DEP_1) | instskip(NEXT) | instid1(VALU_DEP_1)
	v_mul_f32_e32 v8, 0x2f800000, v0
	v_floor_f32_e32 v8, v8
	s_delay_alu instid0(VALU_DEP_1) | instskip(SKIP_1) | instid1(VALU_DEP_2)
	v_fmamk_f32 v0, v8, 0xcf800000, v0
	v_cvt_u32_f32_e32 v9, v8
	v_cvt_u32_f32_e32 v8, v0
	global_store_b64 v[3:4], v[8:9], off
	s_branch .LBB505_380
.LBB505_379:
	s_mov_b32 s27, 0
.LBB505_380:
	s_delay_alu instid0(SALU_CYCLE_1)
	s_and_b32 vcc_lo, exec_lo, s27
	s_cbranch_vccz .LBB505_396
; %bb.381:
	v_cmp_gt_i16_e32 vcc_lo, 27, v6
	s_mov_b32 s26, -1
	s_cbranch_vccnz .LBB505_387
; %bb.382:
	v_cmp_lt_i16_e32 vcc_lo, 27, v6
	s_cbranch_vccz .LBB505_384
; %bb.383:
	v_cvt_u32_f32_e32 v0, v1
	s_mov_b32 s26, 0
	global_store_b32 v[3:4], v0, off
.LBB505_384:
	s_and_not1_b32 vcc_lo, exec_lo, s26
	s_cbranch_vccnz .LBB505_386
; %bb.385:
	v_cvt_u32_f32_e32 v0, v1
	global_store_b16 v[3:4], v0, off
.LBB505_386:
	s_mov_b32 s26, 0
.LBB505_387:
	s_delay_alu instid0(SALU_CYCLE_1)
	s_and_not1_b32 vcc_lo, exec_lo, s26
	s_cbranch_vccnz .LBB505_395
; %bb.388:
	v_and_b32_e32 v0, 0x7fffffff, v1
	v_mov_b32_e32 v8, 0x80
	s_mov_b32 s26, exec_lo
	s_delay_alu instid0(VALU_DEP_2)
	v_cmpx_gt_u32_e32 0x43800000, v0
	s_cbranch_execz .LBB505_394
; %bb.389:
	v_cmp_lt_u32_e32 vcc_lo, 0x3bffffff, v0
	s_mov_b32 s27, 0
                                        ; implicit-def: $vgpr0
	s_and_saveexec_b32 s41, vcc_lo
	s_delay_alu instid0(SALU_CYCLE_1)
	s_xor_b32 s41, exec_lo, s41
	s_cbranch_execz .LBB505_585
; %bb.390:
	v_bfe_u32 v0, v1, 20, 1
	s_mov_b32 s27, exec_lo
	s_delay_alu instid0(VALU_DEP_1) | instskip(NEXT) | instid1(VALU_DEP_1)
	v_add3_u32 v0, v1, v0, 0x487ffff
	v_lshrrev_b32_e32 v0, 20, v0
	s_or_saveexec_b32 s41, s41
                                        ; implicit-def: $sgpr42
	s_delay_alu instid0(SALU_CYCLE_1)
	s_xor_b32 exec_lo, exec_lo, s41
	s_cbranch_execnz .LBB505_586
.LBB505_391:
	s_or_b32 exec_lo, exec_lo, s41
	v_mov_b32_e32 v8, s42
	s_and_saveexec_b32 s41, s27
.LBB505_392:
	v_lshrrev_b32_e32 v8, 24, v1
	s_delay_alu instid0(VALU_DEP_1)
	v_and_or_b32 v8, 0x80, v8, v0
.LBB505_393:
	s_or_b32 exec_lo, exec_lo, s41
.LBB505_394:
	s_delay_alu instid0(SALU_CYCLE_1)
	s_or_b32 exec_lo, exec_lo, s26
	global_store_b8 v[3:4], v8, off
.LBB505_395:
	s_mov_b32 s26, -1
.LBB505_396:
	s_mov_b32 s27, 0
.LBB505_397:
	s_delay_alu instid0(SALU_CYCLE_1)
	s_and_b32 vcc_lo, exec_lo, s27
	s_cbranch_vccz .LBB505_438
; %bb.398:
	v_cmp_lt_i16_e32 vcc_lo, 22, v6
	s_mov_b32 s27, -1
	s_cbranch_vccz .LBB505_430
; %bb.399:
	v_cmp_gt_i16_e32 vcc_lo, 24, v6
	s_mov_b32 s26, -1
	s_cbranch_vccnz .LBB505_419
; %bb.400:
	v_cmp_lt_i16_e32 vcc_lo, 24, v6
	s_cbranch_vccz .LBB505_408
; %bb.401:
	v_and_b32_e32 v0, 0x7fffffff, v1
	v_mov_b32_e32 v8, 0x80
	s_mov_b32 s26, exec_lo
	s_delay_alu instid0(VALU_DEP_2)
	v_cmpx_gt_u32_e32 0x47800000, v0
	s_cbranch_execz .LBB505_407
; %bb.402:
	v_cmp_lt_u32_e32 vcc_lo, 0x37ffffff, v0
	s_mov_b32 s27, 0
                                        ; implicit-def: $vgpr0
	s_and_saveexec_b32 s41, vcc_lo
	s_delay_alu instid0(SALU_CYCLE_1)
	s_xor_b32 s41, exec_lo, s41
	s_cbranch_execz .LBB505_588
; %bb.403:
	v_bfe_u32 v0, v1, 21, 1
	s_mov_b32 s27, exec_lo
	s_delay_alu instid0(VALU_DEP_1) | instskip(NEXT) | instid1(VALU_DEP_1)
	v_add3_u32 v0, v1, v0, 0x88fffff
	v_lshrrev_b32_e32 v0, 21, v0
	s_or_saveexec_b32 s41, s41
                                        ; implicit-def: $sgpr42
	s_delay_alu instid0(SALU_CYCLE_1)
	s_xor_b32 exec_lo, exec_lo, s41
	s_cbranch_execnz .LBB505_589
.LBB505_404:
	s_or_b32 exec_lo, exec_lo, s41
	v_mov_b32_e32 v8, s42
	s_and_saveexec_b32 s41, s27
.LBB505_405:
	v_lshrrev_b32_e32 v8, 24, v1
	s_delay_alu instid0(VALU_DEP_1)
	v_and_or_b32 v8, 0x80, v8, v0
.LBB505_406:
	s_or_b32 exec_lo, exec_lo, s41
.LBB505_407:
	s_delay_alu instid0(SALU_CYCLE_1)
	s_or_b32 exec_lo, exec_lo, s26
	s_mov_b32 s26, 0
	global_store_b8 v[3:4], v8, off
.LBB505_408:
	s_and_b32 vcc_lo, exec_lo, s26
	s_cbranch_vccz .LBB505_418
; %bb.409:
	v_and_b32_e32 v8, 0x7fffffff, v1
	s_mov_b32 s26, exec_lo
                                        ; implicit-def: $vgpr0
	s_delay_alu instid0(VALU_DEP_1)
	v_cmpx_gt_u32_e32 0x43f00000, v8
	s_xor_b32 s26, exec_lo, s26
	s_cbranch_execz .LBB505_415
; %bb.410:
	s_mov_b32 s27, exec_lo
                                        ; implicit-def: $vgpr0
	v_cmpx_lt_u32_e32 0x3c7fffff, v8
	s_xor_b32 s27, exec_lo, s27
; %bb.411:
	v_bfe_u32 v0, v1, 20, 1
	s_delay_alu instid0(VALU_DEP_1) | instskip(NEXT) | instid1(VALU_DEP_1)
	v_add3_u32 v0, v1, v0, 0x407ffff
	v_and_b32_e32 v8, 0xff00000, v0
	v_lshrrev_b32_e32 v0, 20, v0
	s_delay_alu instid0(VALU_DEP_2) | instskip(NEXT) | instid1(VALU_DEP_2)
	v_cmp_ne_u32_e32 vcc_lo, 0x7f00000, v8
	v_cndmask_b32_e32 v0, 0x7e, v0, vcc_lo
; %bb.412:
	s_and_not1_saveexec_b32 s27, s27
; %bb.413:
	v_add_f32_e64 v0, 0x46800000, |v1|
; %bb.414:
	s_or_b32 exec_lo, exec_lo, s27
                                        ; implicit-def: $vgpr8
.LBB505_415:
	s_and_not1_saveexec_b32 s26, s26
; %bb.416:
	v_mov_b32_e32 v0, 0x7f
	v_cmp_lt_u32_e32 vcc_lo, 0x7f800000, v8
	s_delay_alu instid0(VALU_DEP_2)
	v_cndmask_b32_e32 v0, 0x7e, v0, vcc_lo
; %bb.417:
	s_or_b32 exec_lo, exec_lo, s26
	v_lshrrev_b32_e32 v8, 24, v1
	s_delay_alu instid0(VALU_DEP_1)
	v_and_or_b32 v0, 0x80, v8, v0
	global_store_b8 v[3:4], v0, off
.LBB505_418:
	s_mov_b32 s26, 0
.LBB505_419:
	s_delay_alu instid0(SALU_CYCLE_1)
	s_and_not1_b32 vcc_lo, exec_lo, s26
	s_cbranch_vccnz .LBB505_429
; %bb.420:
	v_and_b32_e32 v8, 0x7fffffff, v1
	s_mov_b32 s26, exec_lo
                                        ; implicit-def: $vgpr0
	s_delay_alu instid0(VALU_DEP_1)
	v_cmpx_gt_u32_e32 0x47800000, v8
	s_xor_b32 s26, exec_lo, s26
	s_cbranch_execz .LBB505_426
; %bb.421:
	s_mov_b32 s27, exec_lo
                                        ; implicit-def: $vgpr0
	v_cmpx_lt_u32_e32 0x387fffff, v8
	s_xor_b32 s27, exec_lo, s27
; %bb.422:
	v_bfe_u32 v0, v1, 21, 1
	s_delay_alu instid0(VALU_DEP_1) | instskip(NEXT) | instid1(VALU_DEP_1)
	v_add3_u32 v0, v1, v0, 0x80fffff
	v_lshrrev_b32_e32 v0, 21, v0
; %bb.423:
	s_and_not1_saveexec_b32 s27, s27
; %bb.424:
	v_add_f32_e64 v0, 0x43000000, |v1|
; %bb.425:
	s_or_b32 exec_lo, exec_lo, s27
                                        ; implicit-def: $vgpr8
.LBB505_426:
	s_and_not1_saveexec_b32 s26, s26
; %bb.427:
	v_mov_b32_e32 v0, 0x7f
	v_cmp_lt_u32_e32 vcc_lo, 0x7f800000, v8
	s_delay_alu instid0(VALU_DEP_2)
	v_cndmask_b32_e32 v0, 0x7c, v0, vcc_lo
; %bb.428:
	s_or_b32 exec_lo, exec_lo, s26
	v_lshrrev_b32_e32 v8, 24, v1
	s_delay_alu instid0(VALU_DEP_1)
	v_and_or_b32 v0, 0x80, v8, v0
	global_store_b8 v[3:4], v0, off
.LBB505_429:
	s_mov_b32 s27, 0
	s_mov_b32 s26, -1
.LBB505_430:
	s_and_not1_b32 vcc_lo, exec_lo, s27
	s_cbranch_vccnz .LBB505_438
; %bb.431:
	v_cmp_lt_i16_e32 vcc_lo, 14, v6
	s_mov_b32 s27, -1
	s_cbranch_vccz .LBB505_435
; %bb.432:
	v_cmp_eq_u16_e32 vcc_lo, 15, v6
	s_mov_b32 s2, -1
	s_cbranch_vccz .LBB505_434
; %bb.433:
	v_bfe_u32 v0, v1, 16, 1
	v_cmp_o_f32_e32 vcc_lo, v1, v1
	s_mov_b32 s26, -1
	s_mov_b32 s2, 0
	s_delay_alu instid0(VALU_DEP_2) | instskip(NEXT) | instid1(VALU_DEP_1)
	v_add3_u32 v0, v1, v0, 0x7fff
	v_lshrrev_b32_e32 v0, 16, v0
	s_delay_alu instid0(VALU_DEP_1)
	v_cndmask_b32_e32 v0, 0x7fc0, v0, vcc_lo
	global_store_b16 v[3:4], v0, off
.LBB505_434:
	s_mov_b32 s27, 0
.LBB505_435:
	s_delay_alu instid0(SALU_CYCLE_1)
	s_and_b32 vcc_lo, exec_lo, s27
	s_cbranch_vccz .LBB505_438
; %bb.436:
	v_cmp_eq_u16_e32 vcc_lo, 11, v6
	s_mov_b32 s2, -1
	s_cbranch_vccz .LBB505_438
; %bb.437:
	v_cmp_neq_f32_e32 vcc_lo, 0, v1
	v_cmp_neq_f32_e64 s2, 0, v2
	s_mov_b32 s26, -1
	s_delay_alu instid0(VALU_DEP_1) | instskip(NEXT) | instid1(SALU_CYCLE_1)
	s_or_b32 s2, vcc_lo, s2
	v_cndmask_b32_e64 v0, 0, 1, s2
	s_mov_b32 s2, 0
	global_store_b8 v[3:4], v0, off
.LBB505_438:
.LBB505_439:
	s_and_not1_b32 vcc_lo, exec_lo, s26
	s_cbranch_vccnz .LBB505_354
.LBB505_440:
	v_add_nc_u32_e32 v5, 0x80, v5
	s_mov_b32 s26, -1
	s_branch .LBB505_558
.LBB505_441:
	s_mov_b32 s3, -1
                                        ; implicit-def: $vgpr3
.LBB505_442:
	s_waitcnt vmcnt(0)
	v_mov_b32_e32 v4, s3
.LBB505_443:
	s_mov_b32 s26, 0
.LBB505_444:
	s_delay_alu instid0(SALU_CYCLE_1)
	s_and_b32 vcc_lo, exec_lo, s26
	s_cbranch_vccz .LBB505_449
; %bb.445:
	v_cmp_eq_u16_e32 vcc_lo, 29, v7
	s_cbranch_vccz .LBB505_447
; %bb.446:
	global_load_b64 v[3:4], v[1:2], off
	s_mov_b32 s2, -1
	s_mov_b32 s3, 0
	s_mov_b32 s26, 0
	s_waitcnt vmcnt(0)
	v_clz_i32_u32_e32 v6, v4
	s_delay_alu instid0(VALU_DEP_1) | instskip(NEXT) | instid1(VALU_DEP_1)
	v_min_u32_e32 v6, 32, v6
	v_lshlrev_b64 v[3:4], v6, v[3:4]
	s_delay_alu instid0(VALU_DEP_1) | instskip(NEXT) | instid1(VALU_DEP_1)
	v_min_u32_e32 v3, 1, v3
	v_or_b32_e32 v3, v4, v3
	v_sub_nc_u32_e32 v4, 32, v6
	s_delay_alu instid0(VALU_DEP_2) | instskip(NEXT) | instid1(VALU_DEP_1)
	v_cvt_f32_u32_e32 v3, v3
	v_ldexp_f32 v3, v3, v4
	s_branch .LBB505_448
.LBB505_447:
	s_mov_b32 s3, -1
                                        ; implicit-def: $sgpr26
                                        ; implicit-def: $vgpr3
.LBB505_448:
	s_waitcnt vmcnt(0)
	v_mov_b32_e32 v4, s26
.LBB505_449:
	s_mov_b32 s26, 0
.LBB505_450:
	s_delay_alu instid0(SALU_CYCLE_1)
	s_and_b32 vcc_lo, exec_lo, s26
	s_cbranch_vccz .LBB505_470
; %bb.451:
	v_cmp_gt_i16_e32 vcc_lo, 27, v7
	s_cbranch_vccnz .LBB505_454
; %bb.452:
	v_cmp_lt_i16_e32 vcc_lo, 27, v7
	s_cbranch_vccz .LBB505_455
; %bb.453:
	global_load_b32 v3, v[1:2], off
	s_mov_b32 s26, 0
	s_mov_b32 s2, 0
	s_waitcnt vmcnt(0)
	v_cvt_f32_u32_e32 v3, v3
	s_branch .LBB505_456
.LBB505_454:
	s_mov_b32 s26, -1
                                        ; implicit-def: $sgpr2
                                        ; implicit-def: $vgpr3
	s_branch .LBB505_459
.LBB505_455:
	s_mov_b32 s26, -1
                                        ; implicit-def: $sgpr2
                                        ; implicit-def: $vgpr3
.LBB505_456:
	s_delay_alu instid0(SALU_CYCLE_1)
	s_and_not1_b32 vcc_lo, exec_lo, s26
	s_cbranch_vccnz .LBB505_458
; %bb.457:
	global_load_u16 v3, v[1:2], off
	s_mov_b32 s2, 0
	s_waitcnt vmcnt(0)
	v_cvt_f32_u32_e32 v3, v3
.LBB505_458:
	s_mov_b32 s26, 0
.LBB505_459:
	s_waitcnt vmcnt(0)
	v_mov_b32_e32 v4, s2
	s_and_not1_b32 vcc_lo, exec_lo, s26
	s_cbranch_vccnz .LBB505_469
; %bb.460:
	global_load_u8 v6, v[1:2], off
	s_mov_b32 s2, 0
	s_mov_b32 s41, exec_lo
                                        ; implicit-def: $sgpr27
                                        ; implicit-def: $sgpr26
	s_waitcnt vmcnt(0)
	v_cmpx_lt_i16_e32 0x7f, v6
	s_xor_b32 s41, exec_lo, s41
	s_cbranch_execz .LBB505_464
; %bb.461:
	s_mov_b32 s2, -1
	s_mov_b32 s42, exec_lo
                                        ; implicit-def: $sgpr27
                                        ; implicit-def: $sgpr26
	v_cmpx_eq_u16_e32 0x80, v6
; %bb.462:
	s_mov_b32 s26, 0x7f800001
	s_mov_b32 s27, 0
	s_xor_b32 s2, exec_lo, -1
; %bb.463:
	s_or_b32 exec_lo, exec_lo, s42
	s_delay_alu instid0(SALU_CYCLE_1)
	s_and_b32 s2, s2, exec_lo
.LBB505_464:
	s_or_saveexec_b32 s41, s41
	v_dual_mov_b32 v4, s27 :: v_dual_mov_b32 v3, s26
	s_xor_b32 exec_lo, exec_lo, s41
; %bb.465:
	v_cmp_ne_u16_e32 vcc_lo, 0, v6
	v_dual_mov_b32 v4, 0 :: v_dual_mov_b32 v3, 0
	s_and_not1_b32 s2, s2, exec_lo
	s_and_b32 s26, vcc_lo, exec_lo
	s_delay_alu instid0(SALU_CYCLE_1)
	s_or_b32 s2, s2, s26
; %bb.466:
	s_or_b32 exec_lo, exec_lo, s41
	s_and_saveexec_b32 s26, s2
	s_cbranch_execz .LBB505_468
; %bb.467:
	v_and_b32_e32 v3, 0xffff, v6
	v_lshlrev_b32_e32 v6, 24, v6
	s_delay_alu instid0(VALU_DEP_2) | instskip(NEXT) | instid1(VALU_DEP_2)
	v_and_b32_e32 v4, 7, v3
	v_and_b32_e32 v6, 0x80000000, v6
	s_delay_alu instid0(VALU_DEP_2) | instskip(NEXT) | instid1(VALU_DEP_1)
	v_clz_i32_u32_e32 v8, v4
	v_min_u32_e32 v8, 32, v8
	s_delay_alu instid0(VALU_DEP_1) | instskip(SKIP_1) | instid1(VALU_DEP_2)
	v_subrev_nc_u32_e32 v9, 28, v8
	v_sub_nc_u32_e32 v8, 29, v8
	v_lshlrev_b32_e32 v9, v9, v3
	v_bfe_u32 v3, v3, 3, 4
	s_delay_alu instid0(VALU_DEP_2) | instskip(NEXT) | instid1(VALU_DEP_2)
	v_and_b32_e32 v9, 7, v9
	v_cmp_eq_u32_e32 vcc_lo, 0, v3
	s_delay_alu instid0(VALU_DEP_2) | instskip(NEXT) | instid1(VALU_DEP_1)
	v_dual_cndmask_b32 v3, v3, v8 :: v_dual_cndmask_b32 v4, v4, v9
	v_lshl_add_u32 v3, v3, 23, 0x3b800000
	s_delay_alu instid0(VALU_DEP_2) | instskip(NEXT) | instid1(VALU_DEP_1)
	v_lshlrev_b32_e32 v4, 20, v4
	v_or3_b32 v3, v6, v3, v4
	v_mov_b32_e32 v4, 0
.LBB505_468:
	s_or_b32 exec_lo, exec_lo, s26
.LBB505_469:
	s_mov_b32 s2, -1
.LBB505_470:
	s_mov_b32 s26, 0
.LBB505_471:
	s_delay_alu instid0(SALU_CYCLE_1)
	s_and_b32 vcc_lo, exec_lo, s26
	s_cbranch_vccz .LBB505_505
; %bb.472:
	v_cmp_lt_i16_e32 vcc_lo, 22, v7
	s_cbranch_vccz .LBB505_484
; %bb.473:
	v_cmp_gt_i16_e32 vcc_lo, 24, v7
	s_cbranch_vccnz .LBB505_485
; %bb.474:
	v_cmp_lt_i16_e32 vcc_lo, 24, v7
	s_cbranch_vccz .LBB505_486
; %bb.475:
	global_load_u8 v6, v[1:2], off
	s_mov_b32 s2, 0
	s_mov_b32 s41, exec_lo
                                        ; implicit-def: $sgpr27
                                        ; implicit-def: $sgpr26
	s_waitcnt vmcnt(0)
	v_cmpx_lt_i16_e32 0x7f, v6
	s_xor_b32 s41, exec_lo, s41
	s_cbranch_execz .LBB505_479
; %bb.476:
	s_mov_b32 s2, -1
	s_mov_b32 s42, exec_lo
                                        ; implicit-def: $sgpr27
                                        ; implicit-def: $sgpr26
	v_cmpx_eq_u16_e32 0x80, v6
; %bb.477:
	s_mov_b32 s26, 0x7f800001
	s_mov_b32 s27, 0
	s_xor_b32 s2, exec_lo, -1
; %bb.478:
	s_or_b32 exec_lo, exec_lo, s42
	s_delay_alu instid0(SALU_CYCLE_1)
	s_and_b32 s2, s2, exec_lo
.LBB505_479:
	s_or_saveexec_b32 s41, s41
	v_dual_mov_b32 v4, s27 :: v_dual_mov_b32 v3, s26
	s_xor_b32 exec_lo, exec_lo, s41
; %bb.480:
	v_cmp_ne_u16_e32 vcc_lo, 0, v6
	v_dual_mov_b32 v4, 0 :: v_dual_mov_b32 v3, 0
	s_and_not1_b32 s2, s2, exec_lo
	s_and_b32 s26, vcc_lo, exec_lo
	s_delay_alu instid0(SALU_CYCLE_1)
	s_or_b32 s2, s2, s26
; %bb.481:
	s_or_b32 exec_lo, exec_lo, s41
	s_and_saveexec_b32 s26, s2
	s_cbranch_execz .LBB505_483
; %bb.482:
	v_and_b32_e32 v3, 0xffff, v6
	v_lshlrev_b32_e32 v6, 24, v6
	s_delay_alu instid0(VALU_DEP_2) | instskip(NEXT) | instid1(VALU_DEP_2)
	v_and_b32_e32 v4, 3, v3
	v_and_b32_e32 v6, 0x80000000, v6
	s_delay_alu instid0(VALU_DEP_2) | instskip(NEXT) | instid1(VALU_DEP_1)
	v_clz_i32_u32_e32 v8, v4
	v_min_u32_e32 v8, 32, v8
	s_delay_alu instid0(VALU_DEP_1) | instskip(SKIP_1) | instid1(VALU_DEP_2)
	v_subrev_nc_u32_e32 v9, 29, v8
	v_sub_nc_u32_e32 v8, 30, v8
	v_lshlrev_b32_e32 v9, v9, v3
	v_bfe_u32 v3, v3, 2, 5
	s_delay_alu instid0(VALU_DEP_2) | instskip(NEXT) | instid1(VALU_DEP_2)
	v_and_b32_e32 v9, 3, v9
	v_cmp_eq_u32_e32 vcc_lo, 0, v3
	s_delay_alu instid0(VALU_DEP_2) | instskip(NEXT) | instid1(VALU_DEP_1)
	v_dual_cndmask_b32 v3, v3, v8 :: v_dual_cndmask_b32 v4, v4, v9
	v_lshl_add_u32 v3, v3, 23, 0x37800000
	s_delay_alu instid0(VALU_DEP_2) | instskip(NEXT) | instid1(VALU_DEP_1)
	v_lshlrev_b32_e32 v4, 21, v4
	v_or3_b32 v3, v6, v3, v4
	v_mov_b32_e32 v4, 0
.LBB505_483:
	s_or_b32 exec_lo, exec_lo, s26
	s_mov_b32 s2, 0
	s_branch .LBB505_487
.LBB505_484:
	s_mov_b32 s26, -1
                                        ; implicit-def: $vgpr4
	s_branch .LBB505_493
.LBB505_485:
	s_mov_b32 s2, -1
                                        ; implicit-def: $vgpr4
	s_branch .LBB505_490
.LBB505_486:
	s_mov_b32 s2, -1
                                        ; implicit-def: $vgpr4
.LBB505_487:
	s_delay_alu instid0(SALU_CYCLE_1)
	s_and_b32 vcc_lo, exec_lo, s2
	s_cbranch_vccz .LBB505_489
; %bb.488:
	global_load_u8 v3, v[1:2], off
	s_waitcnt vmcnt(0)
	v_lshlrev_b32_e32 v3, 24, v3
	s_delay_alu instid0(VALU_DEP_1) | instskip(NEXT) | instid1(VALU_DEP_1)
	v_and_b32_e32 v4, 0x7f000000, v3
	v_clz_i32_u32_e32 v6, v4
	v_add_nc_u32_e32 v9, 0x1000000, v4
	v_cmp_ne_u32_e32 vcc_lo, 0, v4
	s_delay_alu instid0(VALU_DEP_3) | instskip(NEXT) | instid1(VALU_DEP_1)
	v_min_u32_e32 v6, 32, v6
	v_sub_nc_u32_e64 v6, v6, 4 clamp
	s_delay_alu instid0(VALU_DEP_1) | instskip(SKIP_1) | instid1(VALU_DEP_2)
	v_lshlrev_b32_e32 v8, v6, v4
	v_lshlrev_b32_e32 v6, 23, v6
	v_lshrrev_b32_e32 v8, 4, v8
	s_delay_alu instid0(VALU_DEP_1) | instskip(SKIP_1) | instid1(VALU_DEP_2)
	v_sub_nc_u32_e32 v6, v8, v6
	v_ashrrev_i32_e32 v8, 8, v9
	v_add_nc_u32_e32 v6, 0x3c000000, v6
	s_delay_alu instid0(VALU_DEP_1) | instskip(NEXT) | instid1(VALU_DEP_1)
	v_and_or_b32 v6, 0x7f800000, v8, v6
	v_cndmask_b32_e32 v4, 0, v6, vcc_lo
	s_delay_alu instid0(VALU_DEP_1)
	v_and_or_b32 v3, 0x80000000, v3, v4
	v_mov_b32_e32 v4, 0
.LBB505_489:
	s_mov_b32 s2, 0
.LBB505_490:
	s_delay_alu instid0(SALU_CYCLE_1)
	s_and_not1_b32 vcc_lo, exec_lo, s2
	s_cbranch_vccnz .LBB505_492
; %bb.491:
	global_load_u8 v3, v[1:2], off
	s_waitcnt vmcnt(0)
	v_lshlrev_b32_e32 v4, 25, v3
	v_lshlrev_b16 v3, 8, v3
	s_delay_alu instid0(VALU_DEP_2) | instskip(NEXT) | instid1(VALU_DEP_2)
	v_lshrrev_b32_e32 v6, 4, v4
	v_and_or_b32 v8, 0x7f00, v3, 0.5
	v_cmp_gt_u32_e32 vcc_lo, 0x8000000, v4
	v_bfe_i32 v3, v3, 0, 16
	s_delay_alu instid0(VALU_DEP_4) | instskip(NEXT) | instid1(VALU_DEP_4)
	v_or_b32_e32 v6, 0x70000000, v6
	v_add_f32_e32 v8, -0.5, v8
	s_delay_alu instid0(VALU_DEP_2) | instskip(NEXT) | instid1(VALU_DEP_1)
	v_mul_f32_e32 v6, 0x7800000, v6
	v_cndmask_b32_e32 v4, v6, v8, vcc_lo
	s_delay_alu instid0(VALU_DEP_1)
	v_and_or_b32 v3, 0x80000000, v3, v4
	v_mov_b32_e32 v4, 0
.LBB505_492:
	s_mov_b32 s26, 0
	s_mov_b32 s2, -1
.LBB505_493:
	s_and_not1_b32 vcc_lo, exec_lo, s26
	s_cbranch_vccnz .LBB505_505
; %bb.494:
	v_cmp_lt_i16_e32 vcc_lo, 14, v7
	s_cbranch_vccz .LBB505_497
; %bb.495:
	v_cmp_eq_u16_e32 vcc_lo, 15, v7
	s_cbranch_vccz .LBB505_498
; %bb.496:
	global_load_u16 v3, v[1:2], off
	s_mov_b32 s2, -1
	s_mov_b32 s3, 0
	s_mov_b32 s26, 0
	s_waitcnt vmcnt(0)
	v_lshlrev_b32_e32 v3, 16, v3
	s_branch .LBB505_499
.LBB505_497:
	s_mov_b32 s27, -1
                                        ; implicit-def: $sgpr26
                                        ; implicit-def: $vgpr3
	s_branch .LBB505_500
.LBB505_498:
	s_mov_b32 s3, -1
                                        ; implicit-def: $sgpr26
                                        ; implicit-def: $vgpr3
.LBB505_499:
	s_mov_b32 s27, 0
.LBB505_500:
	s_delay_alu instid0(SALU_CYCLE_1)
	s_and_b32 vcc_lo, exec_lo, s27
	s_cbranch_vccz .LBB505_504
; %bb.501:
	v_cmp_eq_u16_e32 vcc_lo, 11, v7
	s_cbranch_vccz .LBB505_503
; %bb.502:
	global_load_u8 v3, v[1:2], off
	s_mov_b32 s26, 0
	s_mov_b32 s2, -1
	s_mov_b32 s3, 0
	s_waitcnt vmcnt(0)
	v_cmp_ne_u16_e32 vcc_lo, 0, v3
	v_cndmask_b32_e64 v3, 0, 1.0, vcc_lo
	s_branch .LBB505_504
.LBB505_503:
	s_mov_b32 s3, -1
                                        ; implicit-def: $sgpr26
                                        ; implicit-def: $vgpr3
.LBB505_504:
	s_waitcnt vmcnt(0)
	v_mov_b32_e32 v4, s26
.LBB505_505:
	s_branch .LBB505_299
.LBB505_506:
	v_cmp_gt_i16_e32 vcc_lo, 5, v7
	s_cbranch_vccnz .LBB505_511
; %bb.507:
	v_cmp_gt_i16_e32 vcc_lo, 8, v7
	s_cbranch_vccnz .LBB505_512
; %bb.508:
	;; [unrolled: 3-line block ×3, first 2 shown]
	v_cmp_lt_i16_e32 vcc_lo, 9, v7
	s_cbranch_vccz .LBB505_514
; %bb.510:
	global_load_b128 v[8:11], v[1:2], off
	s_mov_b32 s2, 0
	s_waitcnt vmcnt(0)
	v_cvt_f32_f64_e32 v3, v[8:9]
	v_cvt_f32_f64_e32 v4, v[10:11]
	s_branch .LBB505_515
.LBB505_511:
	s_mov_b32 s2, -1
                                        ; implicit-def: $vgpr4
	s_branch .LBB505_534
.LBB505_512:
	s_mov_b32 s2, -1
                                        ; implicit-def: $vgpr4
	s_branch .LBB505_521
.LBB505_513:
	s_mov_b32 s2, -1
                                        ; implicit-def: $vgpr4
	s_branch .LBB505_518
.LBB505_514:
	s_mov_b32 s2, -1
                                        ; implicit-def: $vgpr4
.LBB505_515:
	s_delay_alu instid0(SALU_CYCLE_1)
	s_and_not1_b32 vcc_lo, exec_lo, s2
	s_cbranch_vccnz .LBB505_517
; %bb.516:
	global_load_b64 v[3:4], v[1:2], off
.LBB505_517:
	s_mov_b32 s2, 0
.LBB505_518:
	s_delay_alu instid0(SALU_CYCLE_1)
	s_and_not1_b32 vcc_lo, exec_lo, s2
	s_cbranch_vccnz .LBB505_520
; %bb.519:
	global_load_b32 v3, v[1:2], off
	s_waitcnt vmcnt(0)
	v_lshrrev_b32_e32 v4, 16, v3
	v_cvt_f32_f16_e32 v3, v3
	s_delay_alu instid0(VALU_DEP_2)
	v_cvt_f32_f16_e32 v4, v4
.LBB505_520:
	s_mov_b32 s2, 0
.LBB505_521:
	s_delay_alu instid0(SALU_CYCLE_1)
	s_and_not1_b32 vcc_lo, exec_lo, s2
	s_cbranch_vccnz .LBB505_533
; %bb.522:
	v_cmp_gt_i16_e32 vcc_lo, 6, v7
	s_cbranch_vccnz .LBB505_525
; %bb.523:
	v_cmp_lt_i16_e32 vcc_lo, 6, v7
	s_cbranch_vccz .LBB505_526
; %bb.524:
	global_load_b64 v[3:4], v[1:2], off
	s_mov_b32 s26, 0
	s_mov_b32 s2, 0
	s_waitcnt vmcnt(0)
	v_cvt_f32_f64_e32 v3, v[3:4]
	s_branch .LBB505_527
.LBB505_525:
	s_mov_b32 s26, -1
                                        ; implicit-def: $sgpr2
                                        ; implicit-def: $vgpr3
	s_branch .LBB505_530
.LBB505_526:
	s_mov_b32 s26, -1
                                        ; implicit-def: $sgpr2
                                        ; implicit-def: $vgpr3
.LBB505_527:
	s_delay_alu instid0(SALU_CYCLE_1)
	s_and_not1_b32 vcc_lo, exec_lo, s26
	s_cbranch_vccnz .LBB505_529
; %bb.528:
	global_load_b32 v3, v[1:2], off
	s_mov_b32 s2, 0
.LBB505_529:
	s_mov_b32 s26, 0
.LBB505_530:
	s_delay_alu instid0(SALU_CYCLE_1)
	s_and_not1_b32 vcc_lo, exec_lo, s26
	s_cbranch_vccnz .LBB505_532
; %bb.531:
	global_load_u16 v3, v[1:2], off
	s_mov_b32 s2, 0
	s_waitcnt vmcnt(0)
	v_cvt_f32_f16_e32 v3, v3
.LBB505_532:
	s_waitcnt vmcnt(0)
	v_mov_b32_e32 v4, s2
.LBB505_533:
	s_mov_b32 s2, 0
.LBB505_534:
	s_delay_alu instid0(SALU_CYCLE_1)
	s_and_not1_b32 vcc_lo, exec_lo, s2
	s_cbranch_vccnz .LBB505_555
; %bb.535:
	v_cmp_gt_i16_e32 vcc_lo, 2, v7
	s_cbranch_vccnz .LBB505_539
; %bb.536:
	v_cmp_gt_i16_e32 vcc_lo, 3, v7
	s_cbranch_vccnz .LBB505_540
; %bb.537:
	v_cmp_lt_i16_e32 vcc_lo, 3, v7
	s_cbranch_vccz .LBB505_541
; %bb.538:
	global_load_b64 v[3:4], v[1:2], off
	s_mov_b32 s26, 0
	s_mov_b32 s2, 0
	s_waitcnt vmcnt(0)
	v_xor_b32_e32 v6, v3, v4
	v_cls_i32_e32 v8, v4
	s_delay_alu instid0(VALU_DEP_2) | instskip(NEXT) | instid1(VALU_DEP_2)
	v_ashrrev_i32_e32 v6, 31, v6
	v_add_nc_u32_e32 v8, -1, v8
	s_delay_alu instid0(VALU_DEP_2) | instskip(NEXT) | instid1(VALU_DEP_1)
	v_add_nc_u32_e32 v6, 32, v6
	v_min_u32_e32 v6, v8, v6
	s_delay_alu instid0(VALU_DEP_1) | instskip(NEXT) | instid1(VALU_DEP_1)
	v_lshlrev_b64 v[3:4], v6, v[3:4]
	v_min_u32_e32 v3, 1, v3
	s_delay_alu instid0(VALU_DEP_1) | instskip(SKIP_1) | instid1(VALU_DEP_2)
	v_or_b32_e32 v3, v4, v3
	v_sub_nc_u32_e32 v4, 32, v6
	v_cvt_f32_i32_e32 v3, v3
	s_delay_alu instid0(VALU_DEP_1)
	v_ldexp_f32 v3, v3, v4
	s_branch .LBB505_542
.LBB505_539:
	s_mov_b32 s26, -1
                                        ; implicit-def: $sgpr2
                                        ; implicit-def: $vgpr3
	s_branch .LBB505_548
.LBB505_540:
	s_mov_b32 s26, -1
                                        ; implicit-def: $sgpr2
                                        ; implicit-def: $vgpr3
	s_branch .LBB505_545
.LBB505_541:
	s_mov_b32 s26, -1
                                        ; implicit-def: $sgpr2
                                        ; implicit-def: $vgpr3
.LBB505_542:
	s_delay_alu instid0(SALU_CYCLE_1)
	s_and_not1_b32 vcc_lo, exec_lo, s26
	s_cbranch_vccnz .LBB505_544
; %bb.543:
	global_load_b32 v3, v[1:2], off
	s_mov_b32 s2, 0
	s_waitcnt vmcnt(0)
	v_cvt_f32_i32_e32 v3, v3
.LBB505_544:
	s_mov_b32 s26, 0
.LBB505_545:
	s_delay_alu instid0(SALU_CYCLE_1)
	s_and_not1_b32 vcc_lo, exec_lo, s26
	s_cbranch_vccnz .LBB505_547
; %bb.546:
	global_load_i16 v3, v[1:2], off
	s_mov_b32 s2, 0
	s_waitcnt vmcnt(0)
	v_cvt_f32_i32_e32 v3, v3
.LBB505_547:
	s_mov_b32 s26, 0
.LBB505_548:
	s_delay_alu instid0(SALU_CYCLE_1)
	s_and_not1_b32 vcc_lo, exec_lo, s26
	s_cbranch_vccnz .LBB505_554
; %bb.549:
	v_cmp_lt_i16_e32 vcc_lo, 0, v7
	s_mov_b32 s26, 0
	s_cbranch_vccz .LBB505_551
; %bb.550:
	global_load_i8 v3, v[1:2], off
	s_mov_b32 s2, 0
	s_waitcnt vmcnt(0)
	v_cvt_f32_i32_e32 v3, v3
	s_branch .LBB505_552
.LBB505_551:
	s_mov_b32 s26, -1
                                        ; implicit-def: $sgpr2
                                        ; implicit-def: $vgpr3
.LBB505_552:
	s_delay_alu instid0(SALU_CYCLE_1)
	s_and_not1_b32 vcc_lo, exec_lo, s26
	s_cbranch_vccnz .LBB505_554
; %bb.553:
	global_load_u8 v1, v[1:2], off
	s_mov_b32 s2, 0
	s_waitcnt vmcnt(0)
	v_cvt_f32_ubyte0_e32 v3, v1
.LBB505_554:
	s_waitcnt vmcnt(0)
	v_mov_b32_e32 v4, s2
.LBB505_555:
	s_branch .LBB505_300
.LBB505_556:
	s_mov_b32 s26, 0
	s_mov_b32 s2, s38
.LBB505_557:
                                        ; implicit-def: $vgpr5
.LBB505_558:
	s_and_not1_b32 s27, s38, exec_lo
	s_and_b32 s2, s2, exec_lo
	s_and_not1_b32 s41, s39, exec_lo
	s_and_b32 s3, s3, exec_lo
	s_or_b32 s42, s27, s2
	s_or_b32 s41, s41, s3
	s_or_not1_b32 s2, s26, exec_lo
.LBB505_559:
	s_or_b32 exec_lo, exec_lo, s43
	s_mov_b32 s3, 0
	s_mov_b32 s27, 0
	;; [unrolled: 1-line block ×3, first 2 shown]
                                        ; implicit-def: $vgpr1_vgpr2
                                        ; implicit-def: $vgpr0
                                        ; implicit-def: $vgpr6
	s_and_saveexec_b32 s43, s2
	s_cbranch_execz .LBB505_947
; %bb.560:
	s_mov_b32 s46, -1
	s_mov_b32 s26, s41
	s_mov_b32 s27, s42
	s_mov_b32 s44, exec_lo
	v_cmpx_gt_i32_e64 s35, v5
	s_cbranch_execz .LBB505_845
; %bb.561:
	s_and_not1_b32 vcc_lo, exec_lo, s31
	s_cbranch_vccnz .LBB505_566
; %bb.562:
	v_dual_mov_b32 v0, 0 :: v_dual_mov_b32 v1, 0
	s_and_not1_b32 vcc_lo, exec_lo, s37
	s_mov_b32 s45, 0
	s_cbranch_vccnz .LBB505_571
; %bb.563:
	v_mov_b32_e32 v0, 0
	s_add_i32 s47, s36, 1
	s_cmp_eq_u32 s29, 2
	s_mov_b32 s46, 0
	s_cbranch_scc1 .LBB505_567
; %bb.564:
	v_dual_mov_b32 v1, 0 :: v_dual_mov_b32 v0, 0
	v_mov_b32_e32 v2, v5
	s_and_b32 s46, s47, 28
	s_mov_b32 s48, 0
	s_mov_b64 s[2:3], s[24:25]
	s_mov_b64 s[26:27], s[20:21]
.LBB505_565:                            ; =>This Inner Loop Header: Depth=1
	s_clause 0x1
	s_load_b256 s[52:59], s[26:27], 0x4
	s_load_b128 s[68:71], s[26:27], 0x24
	s_load_b256 s[60:67], s[2:3], 0x0
	s_add_u32 s26, s26, 48
	s_addc_u32 s27, s27, 0
	s_add_i32 s48, s48, 4
	s_add_u32 s2, s2, 32
	s_addc_u32 s3, s3, 0
	s_cmp_eq_u32 s46, s48
	s_waitcnt vmcnt(0) lgkmcnt(0)
	v_mul_hi_u32 v3, s53, v2
	s_delay_alu instid0(VALU_DEP_1) | instskip(NEXT) | instid1(VALU_DEP_1)
	v_add_nc_u32_e32 v3, v2, v3
	v_lshrrev_b32_e32 v3, s54, v3
	s_delay_alu instid0(VALU_DEP_1) | instskip(SKIP_1) | instid1(VALU_DEP_2)
	v_mul_hi_u32 v4, s56, v3
	v_mul_lo_u32 v8, v3, s52
	v_add_nc_u32_e32 v4, v3, v4
	s_delay_alu instid0(VALU_DEP_2) | instskip(NEXT) | instid1(VALU_DEP_2)
	v_sub_nc_u32_e32 v2, v2, v8
	v_lshrrev_b32_e32 v4, s57, v4
	s_delay_alu instid0(VALU_DEP_2) | instskip(SKIP_1) | instid1(VALU_DEP_3)
	v_mul_lo_u32 v8, v2, s60
	v_mul_lo_u32 v10, v2, s61
	v_mul_hi_u32 v6, s59, v4
	s_delay_alu instid0(VALU_DEP_1) | instskip(NEXT) | instid1(VALU_DEP_1)
	v_add_nc_u32_e32 v6, v4, v6
	v_lshrrev_b32_e32 v6, s68, v6
	s_delay_alu instid0(VALU_DEP_1) | instskip(SKIP_1) | instid1(VALU_DEP_2)
	v_mul_hi_u32 v9, s70, v6
	v_mul_lo_u32 v11, v6, s58
	v_add_nc_u32_e32 v2, v6, v9
	v_mul_lo_u32 v9, v4, s55
	s_delay_alu instid0(VALU_DEP_3) | instskip(NEXT) | instid1(VALU_DEP_3)
	v_sub_nc_u32_e32 v4, v4, v11
	v_lshrrev_b32_e32 v2, s71, v2
	s_delay_alu instid0(VALU_DEP_2) | instskip(SKIP_2) | instid1(VALU_DEP_4)
	v_mul_lo_u32 v11, v4, s64
	v_mul_lo_u32 v4, v4, s65
	v_sub_nc_u32_e32 v3, v3, v9
	v_mul_lo_u32 v12, v2, s69
	s_delay_alu instid0(VALU_DEP_2) | instskip(SKIP_1) | instid1(VALU_DEP_3)
	v_mul_lo_u32 v9, v3, s62
	v_mul_lo_u32 v3, v3, s63
	v_sub_nc_u32_e32 v6, v6, v12
	s_delay_alu instid0(VALU_DEP_3) | instskip(NEXT) | instid1(VALU_DEP_2)
	v_add3_u32 v0, v8, v0, v9
	v_mul_lo_u32 v12, v6, s66
	v_mul_lo_u32 v6, v6, s67
	v_add3_u32 v1, v10, v1, v3
	s_delay_alu instid0(VALU_DEP_3) | instskip(NEXT) | instid1(VALU_DEP_2)
	v_add3_u32 v0, v11, v0, v12
	v_add3_u32 v1, v4, v1, v6
	s_cbranch_scc0 .LBB505_565
	s_branch .LBB505_568
.LBB505_566:
	s_mov_b32 s45, -1
                                        ; implicit-def: $vgpr0
                                        ; implicit-def: $vgpr1
	s_branch .LBB505_571
.LBB505_567:
	v_dual_mov_b32 v2, v5 :: v_dual_mov_b32 v1, 0
.LBB505_568:
	s_and_b32 s47, s47, 3
	s_delay_alu instid0(SALU_CYCLE_1)
	s_cmp_eq_u32 s47, 0
	s_cbranch_scc1 .LBB505_571
; %bb.569:
	s_lshl_b32 s2, s46, 3
	s_mul_i32 s26, s46, 12
	s_add_u32 s2, s2, s20
	s_addc_u32 s3, s21, 0
	s_add_u32 s2, s2, 0xc4
	s_addc_u32 s3, s3, 0
	;; [unrolled: 2-line block ×3, first 2 shown]
	.p2align	6
.LBB505_570:                            ; =>This Inner Loop Header: Depth=1
	s_clause 0x1
	s_load_b64 s[48:49], s[26:27], 0x4
	s_load_b32 s46, s[26:27], 0xc
	s_load_b64 s[50:51], s[2:3], 0x0
	s_add_u32 s26, s26, 12
	s_addc_u32 s27, s27, 0
	s_add_u32 s2, s2, 8
	s_addc_u32 s3, s3, 0
	s_add_i32 s47, s47, -1
	s_delay_alu instid0(SALU_CYCLE_1) | instskip(SKIP_2) | instid1(VALU_DEP_1)
	s_cmp_lg_u32 s47, 0
	s_waitcnt vmcnt(0) lgkmcnt(0)
	v_mul_hi_u32 v3, s49, v2
	v_add_nc_u32_e32 v3, v2, v3
	s_delay_alu instid0(VALU_DEP_1) | instskip(NEXT) | instid1(VALU_DEP_1)
	v_lshrrev_b32_e32 v6, s46, v3
	v_mul_lo_u32 v3, v6, s48
	s_delay_alu instid0(VALU_DEP_1) | instskip(NEXT) | instid1(VALU_DEP_1)
	v_sub_nc_u32_e32 v2, v2, v3
	v_mad_u64_u32 v[3:4], null, v2, s50, v[0:1]
	v_mad_u64_u32 v[8:9], null, v2, s51, v[1:2]
	v_mov_b32_e32 v2, v6
	s_delay_alu instid0(VALU_DEP_2)
	v_dual_mov_b32 v0, v3 :: v_dual_mov_b32 v1, v8
	s_cbranch_scc1 .LBB505_570
.LBB505_571:
	s_and_not1_b32 vcc_lo, exec_lo, s45
	s_cbranch_vccnz .LBB505_574
; %bb.572:
	v_mul_hi_u32 v0, s17, v5
	s_and_not1_b32 vcc_lo, exec_lo, s11
	s_delay_alu instid0(VALU_DEP_1) | instskip(NEXT) | instid1(VALU_DEP_1)
	v_add_nc_u32_e32 v0, v5, v0
	v_lshrrev_b32_e32 v2, s18, v0
	s_delay_alu instid0(VALU_DEP_1) | instskip(NEXT) | instid1(VALU_DEP_1)
	v_mul_lo_u32 v0, v2, s16
	v_sub_nc_u32_e32 v1, v5, v0
	s_delay_alu instid0(VALU_DEP_1)
	v_mul_lo_u32 v0, v1, s12
	v_mul_lo_u32 v1, v1, s13
	s_cbranch_vccnz .LBB505_574
; %bb.573:
	s_waitcnt vmcnt(0)
	v_mul_hi_u32 v3, s22, v2
	s_delay_alu instid0(VALU_DEP_1) | instskip(NEXT) | instid1(VALU_DEP_1)
	v_add_nc_u32_e32 v3, v2, v3
	v_lshrrev_b32_e32 v3, s23, v3
	s_delay_alu instid0(VALU_DEP_1) | instskip(NEXT) | instid1(VALU_DEP_1)
	v_mul_lo_u32 v3, v3, s19
	v_sub_nc_u32_e32 v6, v2, v3
	s_delay_alu instid0(VALU_DEP_1) | instskip(NEXT) | instid1(VALU_DEP_1)
	v_mad_u64_u32 v[2:3], null, v6, s14, v[0:1]
	v_mad_u64_u32 v[3:4], null, v6, s15, v[1:2]
	s_delay_alu instid0(VALU_DEP_1)
	v_dual_mov_b32 v0, v2 :: v_dual_mov_b32 v1, v3
.LBB505_574:
	v_cmp_gt_i16_e32 vcc_lo, 11, v7
	s_delay_alu instid0(VALU_DEP_2) | instskip(NEXT) | instid1(VALU_DEP_1)
	v_add_co_u32 v1, s2, s6, v1
	v_add_co_ci_u32_e64 v2, null, s7, 0, s2
	s_mov_b32 s2, 0
	s_cbranch_vccnz .LBB505_581
; %bb.575:
	v_cmp_lt_i16_e32 vcc_lo, 25, v7
	s_cbranch_vccz .LBB505_582
; %bb.576:
	v_cmp_lt_i16_e32 vcc_lo, 28, v7
	s_cbranch_vccz .LBB505_583
; %bb.577:
	v_cmp_lt_i16_e32 vcc_lo, 43, v7
	s_cbranch_vccz .LBB505_584
; %bb.578:
	v_cmp_lt_i16_e32 vcc_lo, 45, v7
	s_cbranch_vccz .LBB505_587
; %bb.579:
	v_cmp_eq_u16_e32 vcc_lo, 46, v7
	s_mov_b32 s26, 0
	s_cbranch_vccz .LBB505_590
; %bb.580:
	global_load_b32 v3, v[1:2], off
	s_mov_b32 s2, -1
	s_mov_b32 s3, 0
	s_waitcnt vmcnt(0)
	v_and_b32_e32 v4, 0xffff0000, v3
	v_lshlrev_b32_e32 v3, 16, v3
	s_branch .LBB505_592
.LBB505_581:
	s_mov_b32 s26, -1
	s_mov_b32 s3, s41
                                        ; implicit-def: $vgpr4
	s_branch .LBB505_660
.LBB505_582:
	s_mov_b32 s26, -1
	s_mov_b32 s3, s41
                                        ; implicit-def: $vgpr4
	s_branch .LBB505_625
.LBB505_583:
	s_mov_b32 s26, -1
	s_mov_b32 s3, s41
                                        ; implicit-def: $vgpr4
	s_branch .LBB505_604
.LBB505_584:
	s_mov_b32 s26, -1
	s_mov_b32 s3, s41
                                        ; implicit-def: $vgpr4
	s_branch .LBB505_598
.LBB505_585:
	s_or_saveexec_b32 s41, s41
                                        ; implicit-def: $sgpr42
	s_delay_alu instid0(SALU_CYCLE_1)
	s_xor_b32 exec_lo, exec_lo, s41
	s_cbranch_execz .LBB505_391
.LBB505_586:
	v_add_f32_e64 v0, 0x46000000, |v1|
	s_and_not1_b32 s27, s27, exec_lo
	s_mov_b32 s42, 0
	s_delay_alu instid0(VALU_DEP_1) | instskip(NEXT) | instid1(VALU_DEP_1)
	v_and_b32_e32 v0, 0xff, v0
	v_cmp_ne_u32_e32 vcc_lo, 0, v0
	s_and_b32 s44, vcc_lo, exec_lo
	s_delay_alu instid0(SALU_CYCLE_1)
	s_or_b32 s27, s27, s44
	s_or_b32 exec_lo, exec_lo, s41
	v_mov_b32_e32 v8, s42
	s_and_saveexec_b32 s41, s27
	s_cbranch_execnz .LBB505_392
	s_branch .LBB505_393
.LBB505_587:
	s_mov_b32 s26, -1
	s_mov_b32 s3, s41
	s_branch .LBB505_591
.LBB505_588:
	s_or_saveexec_b32 s41, s41
                                        ; implicit-def: $sgpr42
	s_delay_alu instid0(SALU_CYCLE_1)
	s_xor_b32 exec_lo, exec_lo, s41
	s_cbranch_execz .LBB505_404
.LBB505_589:
	v_add_f32_e64 v0, 0x42800000, |v1|
	s_and_not1_b32 s27, s27, exec_lo
	s_mov_b32 s42, 0
	s_delay_alu instid0(VALU_DEP_1) | instskip(NEXT) | instid1(VALU_DEP_1)
	v_and_b32_e32 v0, 0xff, v0
	v_cmp_ne_u32_e32 vcc_lo, 0, v0
	s_and_b32 s44, vcc_lo, exec_lo
	s_delay_alu instid0(SALU_CYCLE_1)
	s_or_b32 s27, s27, s44
	s_or_b32 exec_lo, exec_lo, s41
	v_mov_b32_e32 v8, s42
	s_and_saveexec_b32 s41, s27
	s_cbranch_execnz .LBB505_405
	s_branch .LBB505_406
.LBB505_590:
	s_mov_b32 s3, -1
.LBB505_591:
                                        ; implicit-def: $vgpr4
.LBB505_592:
	s_and_b32 vcc_lo, exec_lo, s26
	s_cbranch_vccz .LBB505_597
; %bb.593:
	v_cmp_eq_u16_e32 vcc_lo, 44, v7
	s_cbranch_vccz .LBB505_595
; %bb.594:
	global_load_u8 v3, v[1:2], off
	s_mov_b32 s3, 0
	s_mov_b32 s2, -1
	s_waitcnt vmcnt(0)
	v_lshlrev_b32_e32 v4, 23, v3
	v_cmp_ne_u32_e32 vcc_lo, 0xff, v3
	s_delay_alu instid0(VALU_DEP_2) | instskip(SKIP_1) | instid1(VALU_DEP_2)
	v_cndmask_b32_e32 v4, 0x7f800001, v4, vcc_lo
	v_cmp_ne_u32_e32 vcc_lo, 0, v3
	v_cndmask_b32_e32 v3, 0x400000, v4, vcc_lo
	s_branch .LBB505_596
.LBB505_595:
	s_mov_b32 s3, -1
                                        ; implicit-def: $vgpr3
.LBB505_596:
	s_waitcnt vmcnt(0)
	v_mov_b32_e32 v4, s3
.LBB505_597:
	s_mov_b32 s26, 0
.LBB505_598:
	s_delay_alu instid0(SALU_CYCLE_1)
	s_and_b32 vcc_lo, exec_lo, s26
	s_cbranch_vccz .LBB505_603
; %bb.599:
	v_cmp_eq_u16_e32 vcc_lo, 29, v7
	s_cbranch_vccz .LBB505_601
; %bb.600:
	global_load_b64 v[3:4], v[1:2], off
	s_mov_b32 s2, -1
	s_mov_b32 s3, 0
	s_mov_b32 s26, 0
	s_waitcnt vmcnt(0)
	v_clz_i32_u32_e32 v6, v4
	s_delay_alu instid0(VALU_DEP_1) | instskip(NEXT) | instid1(VALU_DEP_1)
	v_min_u32_e32 v6, 32, v6
	v_lshlrev_b64 v[3:4], v6, v[3:4]
	s_delay_alu instid0(VALU_DEP_1) | instskip(NEXT) | instid1(VALU_DEP_1)
	v_min_u32_e32 v3, 1, v3
	v_or_b32_e32 v3, v4, v3
	v_sub_nc_u32_e32 v4, 32, v6
	s_delay_alu instid0(VALU_DEP_2) | instskip(NEXT) | instid1(VALU_DEP_1)
	v_cvt_f32_u32_e32 v3, v3
	v_ldexp_f32 v3, v3, v4
	s_branch .LBB505_602
.LBB505_601:
	s_mov_b32 s3, -1
                                        ; implicit-def: $sgpr26
                                        ; implicit-def: $vgpr3
.LBB505_602:
	s_waitcnt vmcnt(0)
	v_mov_b32_e32 v4, s26
.LBB505_603:
	s_mov_b32 s26, 0
.LBB505_604:
	s_delay_alu instid0(SALU_CYCLE_1)
	s_and_b32 vcc_lo, exec_lo, s26
	s_cbranch_vccz .LBB505_624
; %bb.605:
	v_cmp_gt_i16_e32 vcc_lo, 27, v7
	s_cbranch_vccnz .LBB505_608
; %bb.606:
	v_cmp_lt_i16_e32 vcc_lo, 27, v7
	s_cbranch_vccz .LBB505_609
; %bb.607:
	global_load_b32 v3, v[1:2], off
	s_mov_b32 s26, 0
	s_mov_b32 s2, 0
	s_waitcnt vmcnt(0)
	v_cvt_f32_u32_e32 v3, v3
	s_branch .LBB505_610
.LBB505_608:
	s_mov_b32 s26, -1
                                        ; implicit-def: $sgpr2
                                        ; implicit-def: $vgpr3
	s_branch .LBB505_613
.LBB505_609:
	s_mov_b32 s26, -1
                                        ; implicit-def: $sgpr2
                                        ; implicit-def: $vgpr3
.LBB505_610:
	s_delay_alu instid0(SALU_CYCLE_1)
	s_and_not1_b32 vcc_lo, exec_lo, s26
	s_cbranch_vccnz .LBB505_612
; %bb.611:
	global_load_u16 v3, v[1:2], off
	s_mov_b32 s2, 0
	s_waitcnt vmcnt(0)
	v_cvt_f32_u32_e32 v3, v3
.LBB505_612:
	s_mov_b32 s26, 0
.LBB505_613:
	s_waitcnt vmcnt(0)
	v_mov_b32_e32 v4, s2
	s_and_not1_b32 vcc_lo, exec_lo, s26
	s_cbranch_vccnz .LBB505_623
; %bb.614:
	global_load_u8 v6, v[1:2], off
	s_mov_b32 s2, 0
	s_mov_b32 s45, exec_lo
                                        ; implicit-def: $sgpr27
                                        ; implicit-def: $sgpr26
	s_waitcnt vmcnt(0)
	v_cmpx_lt_i16_e32 0x7f, v6
	s_xor_b32 s45, exec_lo, s45
	s_cbranch_execz .LBB505_618
; %bb.615:
	s_mov_b32 s2, -1
	s_mov_b32 s46, exec_lo
                                        ; implicit-def: $sgpr27
                                        ; implicit-def: $sgpr26
	v_cmpx_eq_u16_e32 0x80, v6
; %bb.616:
	s_mov_b32 s26, 0x7f800001
	s_mov_b32 s27, 0
	s_xor_b32 s2, exec_lo, -1
; %bb.617:
	s_or_b32 exec_lo, exec_lo, s46
	s_delay_alu instid0(SALU_CYCLE_1)
	s_and_b32 s2, s2, exec_lo
.LBB505_618:
	s_or_saveexec_b32 s45, s45
	v_dual_mov_b32 v4, s27 :: v_dual_mov_b32 v3, s26
	s_xor_b32 exec_lo, exec_lo, s45
; %bb.619:
	v_cmp_ne_u16_e32 vcc_lo, 0, v6
	v_dual_mov_b32 v4, 0 :: v_dual_mov_b32 v3, 0
	s_and_not1_b32 s2, s2, exec_lo
	s_and_b32 s26, vcc_lo, exec_lo
	s_delay_alu instid0(SALU_CYCLE_1)
	s_or_b32 s2, s2, s26
; %bb.620:
	s_or_b32 exec_lo, exec_lo, s45
	s_and_saveexec_b32 s26, s2
	s_cbranch_execz .LBB505_622
; %bb.621:
	v_and_b32_e32 v3, 0xffff, v6
	v_lshlrev_b32_e32 v6, 24, v6
	s_delay_alu instid0(VALU_DEP_2) | instskip(NEXT) | instid1(VALU_DEP_2)
	v_and_b32_e32 v4, 7, v3
	v_and_b32_e32 v6, 0x80000000, v6
	s_delay_alu instid0(VALU_DEP_2) | instskip(NEXT) | instid1(VALU_DEP_1)
	v_clz_i32_u32_e32 v8, v4
	v_min_u32_e32 v8, 32, v8
	s_delay_alu instid0(VALU_DEP_1) | instskip(SKIP_1) | instid1(VALU_DEP_2)
	v_subrev_nc_u32_e32 v9, 28, v8
	v_sub_nc_u32_e32 v8, 29, v8
	v_lshlrev_b32_e32 v9, v9, v3
	v_bfe_u32 v3, v3, 3, 4
	s_delay_alu instid0(VALU_DEP_2) | instskip(NEXT) | instid1(VALU_DEP_2)
	v_and_b32_e32 v9, 7, v9
	v_cmp_eq_u32_e32 vcc_lo, 0, v3
	s_delay_alu instid0(VALU_DEP_2) | instskip(NEXT) | instid1(VALU_DEP_1)
	v_dual_cndmask_b32 v3, v3, v8 :: v_dual_cndmask_b32 v4, v4, v9
	v_lshl_add_u32 v3, v3, 23, 0x3b800000
	s_delay_alu instid0(VALU_DEP_2) | instskip(NEXT) | instid1(VALU_DEP_1)
	v_lshlrev_b32_e32 v4, 20, v4
	v_or3_b32 v3, v6, v3, v4
	v_mov_b32_e32 v4, 0
.LBB505_622:
	s_or_b32 exec_lo, exec_lo, s26
.LBB505_623:
	s_mov_b32 s2, -1
.LBB505_624:
	s_mov_b32 s26, 0
.LBB505_625:
	s_delay_alu instid0(SALU_CYCLE_1)
	s_and_b32 vcc_lo, exec_lo, s26
	s_cbranch_vccz .LBB505_659
; %bb.626:
	v_cmp_lt_i16_e32 vcc_lo, 22, v7
	s_cbranch_vccz .LBB505_638
; %bb.627:
	v_cmp_gt_i16_e32 vcc_lo, 24, v7
	s_cbranch_vccnz .LBB505_639
; %bb.628:
	v_cmp_lt_i16_e32 vcc_lo, 24, v7
	s_cbranch_vccz .LBB505_640
; %bb.629:
	global_load_u8 v6, v[1:2], off
	s_mov_b32 s2, 0
	s_mov_b32 s45, exec_lo
                                        ; implicit-def: $sgpr27
                                        ; implicit-def: $sgpr26
	s_waitcnt vmcnt(0)
	v_cmpx_lt_i16_e32 0x7f, v6
	s_xor_b32 s45, exec_lo, s45
	s_cbranch_execz .LBB505_633
; %bb.630:
	s_mov_b32 s2, -1
	s_mov_b32 s46, exec_lo
                                        ; implicit-def: $sgpr27
                                        ; implicit-def: $sgpr26
	v_cmpx_eq_u16_e32 0x80, v6
; %bb.631:
	s_mov_b32 s26, 0x7f800001
	s_mov_b32 s27, 0
	s_xor_b32 s2, exec_lo, -1
; %bb.632:
	s_or_b32 exec_lo, exec_lo, s46
	s_delay_alu instid0(SALU_CYCLE_1)
	s_and_b32 s2, s2, exec_lo
.LBB505_633:
	s_or_saveexec_b32 s45, s45
	v_dual_mov_b32 v4, s27 :: v_dual_mov_b32 v3, s26
	s_xor_b32 exec_lo, exec_lo, s45
; %bb.634:
	v_cmp_ne_u16_e32 vcc_lo, 0, v6
	v_dual_mov_b32 v4, 0 :: v_dual_mov_b32 v3, 0
	s_and_not1_b32 s2, s2, exec_lo
	s_and_b32 s26, vcc_lo, exec_lo
	s_delay_alu instid0(SALU_CYCLE_1)
	s_or_b32 s2, s2, s26
; %bb.635:
	s_or_b32 exec_lo, exec_lo, s45
	s_and_saveexec_b32 s26, s2
	s_cbranch_execz .LBB505_637
; %bb.636:
	v_and_b32_e32 v3, 0xffff, v6
	v_lshlrev_b32_e32 v6, 24, v6
	s_delay_alu instid0(VALU_DEP_2) | instskip(NEXT) | instid1(VALU_DEP_2)
	v_and_b32_e32 v4, 3, v3
	v_and_b32_e32 v6, 0x80000000, v6
	s_delay_alu instid0(VALU_DEP_2) | instskip(NEXT) | instid1(VALU_DEP_1)
	v_clz_i32_u32_e32 v8, v4
	v_min_u32_e32 v8, 32, v8
	s_delay_alu instid0(VALU_DEP_1) | instskip(SKIP_1) | instid1(VALU_DEP_2)
	v_subrev_nc_u32_e32 v9, 29, v8
	v_sub_nc_u32_e32 v8, 30, v8
	v_lshlrev_b32_e32 v9, v9, v3
	v_bfe_u32 v3, v3, 2, 5
	s_delay_alu instid0(VALU_DEP_2) | instskip(NEXT) | instid1(VALU_DEP_2)
	v_and_b32_e32 v9, 3, v9
	v_cmp_eq_u32_e32 vcc_lo, 0, v3
	s_delay_alu instid0(VALU_DEP_2) | instskip(NEXT) | instid1(VALU_DEP_1)
	v_dual_cndmask_b32 v3, v3, v8 :: v_dual_cndmask_b32 v4, v4, v9
	v_lshl_add_u32 v3, v3, 23, 0x37800000
	s_delay_alu instid0(VALU_DEP_2) | instskip(NEXT) | instid1(VALU_DEP_1)
	v_lshlrev_b32_e32 v4, 21, v4
	v_or3_b32 v3, v6, v3, v4
	v_mov_b32_e32 v4, 0
.LBB505_637:
	s_or_b32 exec_lo, exec_lo, s26
	s_mov_b32 s2, 0
	s_branch .LBB505_641
.LBB505_638:
	s_mov_b32 s26, -1
                                        ; implicit-def: $vgpr4
	s_branch .LBB505_647
.LBB505_639:
	s_mov_b32 s2, -1
                                        ; implicit-def: $vgpr4
	s_branch .LBB505_644
.LBB505_640:
	s_mov_b32 s2, -1
                                        ; implicit-def: $vgpr4
.LBB505_641:
	s_delay_alu instid0(SALU_CYCLE_1)
	s_and_b32 vcc_lo, exec_lo, s2
	s_cbranch_vccz .LBB505_643
; %bb.642:
	global_load_u8 v3, v[1:2], off
	s_waitcnt vmcnt(0)
	v_lshlrev_b32_e32 v3, 24, v3
	s_delay_alu instid0(VALU_DEP_1) | instskip(NEXT) | instid1(VALU_DEP_1)
	v_and_b32_e32 v4, 0x7f000000, v3
	v_clz_i32_u32_e32 v6, v4
	v_add_nc_u32_e32 v9, 0x1000000, v4
	v_cmp_ne_u32_e32 vcc_lo, 0, v4
	s_delay_alu instid0(VALU_DEP_3) | instskip(NEXT) | instid1(VALU_DEP_1)
	v_min_u32_e32 v6, 32, v6
	v_sub_nc_u32_e64 v6, v6, 4 clamp
	s_delay_alu instid0(VALU_DEP_1) | instskip(SKIP_1) | instid1(VALU_DEP_2)
	v_lshlrev_b32_e32 v8, v6, v4
	v_lshlrev_b32_e32 v6, 23, v6
	v_lshrrev_b32_e32 v8, 4, v8
	s_delay_alu instid0(VALU_DEP_1) | instskip(SKIP_1) | instid1(VALU_DEP_2)
	v_sub_nc_u32_e32 v6, v8, v6
	v_ashrrev_i32_e32 v8, 8, v9
	v_add_nc_u32_e32 v6, 0x3c000000, v6
	s_delay_alu instid0(VALU_DEP_1) | instskip(NEXT) | instid1(VALU_DEP_1)
	v_and_or_b32 v6, 0x7f800000, v8, v6
	v_cndmask_b32_e32 v4, 0, v6, vcc_lo
	s_delay_alu instid0(VALU_DEP_1)
	v_and_or_b32 v3, 0x80000000, v3, v4
	v_mov_b32_e32 v4, 0
.LBB505_643:
	s_mov_b32 s2, 0
.LBB505_644:
	s_delay_alu instid0(SALU_CYCLE_1)
	s_and_not1_b32 vcc_lo, exec_lo, s2
	s_cbranch_vccnz .LBB505_646
; %bb.645:
	global_load_u8 v3, v[1:2], off
	s_waitcnt vmcnt(0)
	v_lshlrev_b32_e32 v4, 25, v3
	v_lshlrev_b16 v3, 8, v3
	s_delay_alu instid0(VALU_DEP_2) | instskip(NEXT) | instid1(VALU_DEP_2)
	v_lshrrev_b32_e32 v6, 4, v4
	v_and_or_b32 v8, 0x7f00, v3, 0.5
	v_cmp_gt_u32_e32 vcc_lo, 0x8000000, v4
	v_bfe_i32 v3, v3, 0, 16
	s_delay_alu instid0(VALU_DEP_4) | instskip(NEXT) | instid1(VALU_DEP_4)
	v_or_b32_e32 v6, 0x70000000, v6
	v_add_f32_e32 v8, -0.5, v8
	s_delay_alu instid0(VALU_DEP_2) | instskip(NEXT) | instid1(VALU_DEP_1)
	v_mul_f32_e32 v6, 0x7800000, v6
	v_cndmask_b32_e32 v4, v6, v8, vcc_lo
	s_delay_alu instid0(VALU_DEP_1)
	v_and_or_b32 v3, 0x80000000, v3, v4
	v_mov_b32_e32 v4, 0
.LBB505_646:
	s_mov_b32 s26, 0
	s_mov_b32 s2, -1
.LBB505_647:
	s_and_not1_b32 vcc_lo, exec_lo, s26
	s_cbranch_vccnz .LBB505_659
; %bb.648:
	v_cmp_lt_i16_e32 vcc_lo, 14, v7
	s_cbranch_vccz .LBB505_651
; %bb.649:
	v_cmp_eq_u16_e32 vcc_lo, 15, v7
	s_cbranch_vccz .LBB505_652
; %bb.650:
	global_load_u16 v3, v[1:2], off
	s_mov_b32 s2, -1
	s_mov_b32 s3, 0
	s_mov_b32 s26, 0
	s_waitcnt vmcnt(0)
	v_lshlrev_b32_e32 v3, 16, v3
	s_branch .LBB505_653
.LBB505_651:
	s_mov_b32 s27, -1
                                        ; implicit-def: $sgpr26
                                        ; implicit-def: $vgpr3
	s_branch .LBB505_654
.LBB505_652:
	s_mov_b32 s3, -1
                                        ; implicit-def: $sgpr26
                                        ; implicit-def: $vgpr3
.LBB505_653:
	s_mov_b32 s27, 0
.LBB505_654:
	s_delay_alu instid0(SALU_CYCLE_1)
	s_and_b32 vcc_lo, exec_lo, s27
	s_cbranch_vccz .LBB505_658
; %bb.655:
	v_cmp_eq_u16_e32 vcc_lo, 11, v7
	s_cbranch_vccz .LBB505_657
; %bb.656:
	global_load_u8 v3, v[1:2], off
	s_mov_b32 s26, 0
	s_mov_b32 s2, -1
	s_mov_b32 s3, 0
	s_waitcnt vmcnt(0)
	v_cmp_ne_u16_e32 vcc_lo, 0, v3
	v_cndmask_b32_e64 v3, 0, 1.0, vcc_lo
	s_branch .LBB505_658
.LBB505_657:
	s_mov_b32 s3, -1
                                        ; implicit-def: $sgpr26
                                        ; implicit-def: $vgpr3
.LBB505_658:
	s_waitcnt vmcnt(0)
	v_mov_b32_e32 v4, s26
.LBB505_659:
	s_mov_b32 s26, 0
.LBB505_660:
	s_delay_alu instid0(SALU_CYCLE_1)
	s_and_b32 vcc_lo, exec_lo, s26
	s_cbranch_vccz .LBB505_711
; %bb.661:
	v_cmp_gt_i16_e32 vcc_lo, 5, v7
	s_cbranch_vccnz .LBB505_666
; %bb.662:
	v_cmp_gt_i16_e32 vcc_lo, 8, v7
	s_cbranch_vccnz .LBB505_667
; %bb.663:
	v_cmp_gt_i16_e32 vcc_lo, 9, v7
	s_cbranch_vccnz .LBB505_668
; %bb.664:
	v_cmp_lt_i16_e32 vcc_lo, 9, v7
	s_cbranch_vccz .LBB505_669
; %bb.665:
	global_load_b128 v[8:11], v[1:2], off
	s_mov_b32 s2, 0
	s_waitcnt vmcnt(0)
	v_cvt_f32_f64_e32 v3, v[8:9]
	v_cvt_f32_f64_e32 v4, v[10:11]
	s_branch .LBB505_670
.LBB505_666:
	s_mov_b32 s2, -1
                                        ; implicit-def: $vgpr4
	s_branch .LBB505_689
.LBB505_667:
	s_mov_b32 s2, -1
                                        ; implicit-def: $vgpr4
	s_branch .LBB505_676
.LBB505_668:
	s_mov_b32 s2, -1
                                        ; implicit-def: $vgpr4
	s_branch .LBB505_673
.LBB505_669:
	s_mov_b32 s2, -1
                                        ; implicit-def: $vgpr4
.LBB505_670:
	s_delay_alu instid0(SALU_CYCLE_1)
	s_and_not1_b32 vcc_lo, exec_lo, s2
	s_cbranch_vccnz .LBB505_672
; %bb.671:
	global_load_b64 v[3:4], v[1:2], off
.LBB505_672:
	s_mov_b32 s2, 0
.LBB505_673:
	s_delay_alu instid0(SALU_CYCLE_1)
	s_and_not1_b32 vcc_lo, exec_lo, s2
	s_cbranch_vccnz .LBB505_675
; %bb.674:
	global_load_b32 v3, v[1:2], off
	s_waitcnt vmcnt(0)
	v_lshrrev_b32_e32 v4, 16, v3
	v_cvt_f32_f16_e32 v3, v3
	s_delay_alu instid0(VALU_DEP_2)
	v_cvt_f32_f16_e32 v4, v4
.LBB505_675:
	s_mov_b32 s2, 0
.LBB505_676:
	s_delay_alu instid0(SALU_CYCLE_1)
	s_and_not1_b32 vcc_lo, exec_lo, s2
	s_cbranch_vccnz .LBB505_688
; %bb.677:
	v_cmp_gt_i16_e32 vcc_lo, 6, v7
	s_cbranch_vccnz .LBB505_680
; %bb.678:
	v_cmp_lt_i16_e32 vcc_lo, 6, v7
	s_cbranch_vccz .LBB505_681
; %bb.679:
	global_load_b64 v[3:4], v[1:2], off
	s_mov_b32 s26, 0
	s_mov_b32 s2, 0
	s_waitcnt vmcnt(0)
	v_cvt_f32_f64_e32 v3, v[3:4]
	s_branch .LBB505_682
.LBB505_680:
	s_mov_b32 s26, -1
                                        ; implicit-def: $sgpr2
                                        ; implicit-def: $vgpr3
	s_branch .LBB505_685
.LBB505_681:
	s_mov_b32 s26, -1
                                        ; implicit-def: $sgpr2
                                        ; implicit-def: $vgpr3
.LBB505_682:
	s_delay_alu instid0(SALU_CYCLE_1)
	s_and_not1_b32 vcc_lo, exec_lo, s26
	s_cbranch_vccnz .LBB505_684
; %bb.683:
	global_load_b32 v3, v[1:2], off
	s_mov_b32 s2, 0
.LBB505_684:
	s_mov_b32 s26, 0
.LBB505_685:
	s_delay_alu instid0(SALU_CYCLE_1)
	s_and_not1_b32 vcc_lo, exec_lo, s26
	s_cbranch_vccnz .LBB505_687
; %bb.686:
	global_load_u16 v3, v[1:2], off
	s_mov_b32 s2, 0
	s_waitcnt vmcnt(0)
	v_cvt_f32_f16_e32 v3, v3
.LBB505_687:
	s_waitcnt vmcnt(0)
	v_mov_b32_e32 v4, s2
.LBB505_688:
	s_mov_b32 s2, 0
.LBB505_689:
	s_delay_alu instid0(SALU_CYCLE_1)
	s_and_not1_b32 vcc_lo, exec_lo, s2
	s_cbranch_vccnz .LBB505_710
; %bb.690:
	v_cmp_gt_i16_e32 vcc_lo, 2, v7
	s_cbranch_vccnz .LBB505_694
; %bb.691:
	v_cmp_gt_i16_e32 vcc_lo, 3, v7
	s_cbranch_vccnz .LBB505_695
; %bb.692:
	v_cmp_lt_i16_e32 vcc_lo, 3, v7
	s_cbranch_vccz .LBB505_696
; %bb.693:
	global_load_b64 v[3:4], v[1:2], off
	s_mov_b32 s26, 0
	s_mov_b32 s2, 0
	s_waitcnt vmcnt(0)
	v_xor_b32_e32 v6, v3, v4
	v_cls_i32_e32 v8, v4
	s_delay_alu instid0(VALU_DEP_2) | instskip(NEXT) | instid1(VALU_DEP_2)
	v_ashrrev_i32_e32 v6, 31, v6
	v_add_nc_u32_e32 v8, -1, v8
	s_delay_alu instid0(VALU_DEP_2) | instskip(NEXT) | instid1(VALU_DEP_1)
	v_add_nc_u32_e32 v6, 32, v6
	v_min_u32_e32 v6, v8, v6
	s_delay_alu instid0(VALU_DEP_1) | instskip(NEXT) | instid1(VALU_DEP_1)
	v_lshlrev_b64 v[3:4], v6, v[3:4]
	v_min_u32_e32 v3, 1, v3
	s_delay_alu instid0(VALU_DEP_1) | instskip(SKIP_1) | instid1(VALU_DEP_2)
	v_or_b32_e32 v3, v4, v3
	v_sub_nc_u32_e32 v4, 32, v6
	v_cvt_f32_i32_e32 v3, v3
	s_delay_alu instid0(VALU_DEP_1)
	v_ldexp_f32 v3, v3, v4
	s_branch .LBB505_697
.LBB505_694:
	s_mov_b32 s26, -1
                                        ; implicit-def: $sgpr2
                                        ; implicit-def: $vgpr3
	s_branch .LBB505_703
.LBB505_695:
	s_mov_b32 s26, -1
                                        ; implicit-def: $sgpr2
                                        ; implicit-def: $vgpr3
	s_branch .LBB505_700
.LBB505_696:
	s_mov_b32 s26, -1
                                        ; implicit-def: $sgpr2
                                        ; implicit-def: $vgpr3
.LBB505_697:
	s_delay_alu instid0(SALU_CYCLE_1)
	s_and_not1_b32 vcc_lo, exec_lo, s26
	s_cbranch_vccnz .LBB505_699
; %bb.698:
	global_load_b32 v3, v[1:2], off
	s_mov_b32 s2, 0
	s_waitcnt vmcnt(0)
	v_cvt_f32_i32_e32 v3, v3
.LBB505_699:
	s_mov_b32 s26, 0
.LBB505_700:
	s_delay_alu instid0(SALU_CYCLE_1)
	s_and_not1_b32 vcc_lo, exec_lo, s26
	s_cbranch_vccnz .LBB505_702
; %bb.701:
	global_load_i16 v3, v[1:2], off
	s_mov_b32 s2, 0
	s_waitcnt vmcnt(0)
	v_cvt_f32_i32_e32 v3, v3
.LBB505_702:
	s_mov_b32 s26, 0
.LBB505_703:
	s_delay_alu instid0(SALU_CYCLE_1)
	s_and_not1_b32 vcc_lo, exec_lo, s26
	s_cbranch_vccnz .LBB505_709
; %bb.704:
	v_cmp_lt_i16_e32 vcc_lo, 0, v7
	s_mov_b32 s26, 0
	s_cbranch_vccz .LBB505_706
; %bb.705:
	global_load_i8 v3, v[1:2], off
	s_mov_b32 s2, 0
	s_waitcnt vmcnt(0)
	v_cvt_f32_i32_e32 v3, v3
	s_branch .LBB505_707
.LBB505_706:
	s_mov_b32 s26, -1
                                        ; implicit-def: $sgpr2
                                        ; implicit-def: $vgpr3
.LBB505_707:
	s_delay_alu instid0(SALU_CYCLE_1)
	s_and_not1_b32 vcc_lo, exec_lo, s26
	s_cbranch_vccnz .LBB505_709
; %bb.708:
	global_load_u8 v1, v[1:2], off
	s_mov_b32 s2, 0
	s_waitcnt vmcnt(0)
	v_cvt_f32_ubyte0_e32 v3, v1
.LBB505_709:
	s_waitcnt vmcnt(0)
	v_mov_b32_e32 v4, s2
.LBB505_710:
	s_mov_b32 s2, -1
.LBB505_711:
	s_delay_alu instid0(SALU_CYCLE_1)
	s_and_not1_b32 vcc_lo, exec_lo, s2
	s_cbranch_vccnz .LBB505_727
; %bb.712:
	v_mov_b32_e32 v1, s8
	s_mov_b32 s2, exec_lo
	s_waitcnt vmcnt(0)
	s_delay_alu instid0(VALU_DEP_3)
	v_cmpx_o_f32_e32 v3, v3
	s_cbranch_execz .LBB505_716
; %bb.713:
	v_mov_b32_e32 v1, s9
	s_mov_b32 s26, exec_lo
	v_cmpx_neq_f32_e32 0x7f800000, v3
; %bb.714:
	v_cmp_eq_f32_e32 vcc_lo, 0xff800000, v3
	v_cndmask_b32_e64 v1, v3, s10, vcc_lo
; %bb.715:
	s_or_b32 exec_lo, exec_lo, s26
.LBB505_716:
	s_delay_alu instid0(SALU_CYCLE_1) | instskip(SKIP_2) | instid1(VALU_DEP_4)
	s_or_b32 exec_lo, exec_lo, s2
	v_mov_b32_e32 v2, s8
	s_mov_b32 s2, exec_lo
	v_cmpx_o_f32_e32 v4, v4
	s_cbranch_execz .LBB505_720
; %bb.717:
	v_mov_b32_e32 v2, s9
	s_mov_b32 s26, exec_lo
	v_cmpx_neq_f32_e32 0x7f800000, v4
; %bb.718:
	v_cmp_eq_f32_e32 vcc_lo, 0xff800000, v4
	v_cndmask_b32_e64 v2, v4, s10, vcc_lo
; %bb.719:
	s_or_b32 exec_lo, exec_lo, s26
.LBB505_720:
	s_delay_alu instid0(SALU_CYCLE_1) | instskip(SKIP_2) | instid1(VALU_DEP_1)
	s_or_b32 exec_lo, exec_lo, s2
	v_and_b32_e64 v6, 0xff, s34
	v_add_co_u32 v3, s2, s4, v0
	v_add_co_ci_u32_e64 v4, null, s5, 0, s2
	s_delay_alu instid0(VALU_DEP_3)
	v_cmp_gt_i16_e32 vcc_lo, 11, v6
	s_mov_b32 s26, 0
	s_mov_b32 s27, -1
	s_mov_b32 s2, s42
	s_cbranch_vccnz .LBB505_728
; %bb.721:
	v_cmp_lt_i16_e32 vcc_lo, 25, v6
	s_cbranch_vccz .LBB505_769
; %bb.722:
	v_cmp_lt_i16_e32 vcc_lo, 28, v6
	s_cbranch_vccz .LBB505_770
	;; [unrolled: 3-line block ×4, first 2 shown]
; %bb.725:
	v_cmp_eq_u16_e32 vcc_lo, 46, v6
	s_mov_b32 s27, 0
	s_mov_b32 s2, -1
	s_cbranch_vccz .LBB505_773
; %bb.726:
	v_bfe_u32 v0, v2, 16, 1
	v_bfe_u32 v8, v1, 16, 1
	v_cmp_o_f32_e32 vcc_lo, v2, v2
	s_mov_b32 s26, -1
	s_mov_b32 s2, 0
	v_add3_u32 v0, v2, v0, 0x7fff
	v_add3_u32 v8, v1, v8, 0x7fff
	s_delay_alu instid0(VALU_DEP_2) | instskip(NEXT) | instid1(VALU_DEP_2)
	v_and_b32_e32 v0, 0xffff0000, v0
	v_lshrrev_b32_e32 v8, 16, v8
	s_delay_alu instid0(VALU_DEP_2) | instskip(SKIP_1) | instid1(VALU_DEP_3)
	v_cndmask_b32_e32 v0, 0x7fc00000, v0, vcc_lo
	v_cmp_o_f32_e32 vcc_lo, v1, v1
	v_cndmask_b32_e32 v8, 0x7fc0, v8, vcc_lo
	s_delay_alu instid0(VALU_DEP_1)
	v_or_b32_e32 v0, v0, v8
	global_store_b32 v[3:4], v0, off
	s_branch .LBB505_773
.LBB505_727:
	s_mov_b32 s45, 0
	s_mov_b32 s2, s42
	s_branch .LBB505_768
.LBB505_728:
	s_and_b32 vcc_lo, exec_lo, s27
	s_cbranch_vccz .LBB505_842
; %bb.729:
	v_cmp_gt_i16_e32 vcc_lo, 5, v6
	s_mov_b32 s26, -1
	s_cbranch_vccnz .LBB505_750
; %bb.730:
	v_cmp_gt_i16_e32 vcc_lo, 8, v6
	s_cbranch_vccnz .LBB505_740
; %bb.731:
	v_cmp_gt_i16_e32 vcc_lo, 9, v6
	s_cbranch_vccnz .LBB505_737
; %bb.732:
	v_cmp_lt_i16_e32 vcc_lo, 9, v6
	s_cbranch_vccz .LBB505_734
; %bb.733:
	v_cvt_f64_f32_e32 v[8:9], v1
	v_cvt_f64_f32_e32 v[10:11], v2
	s_mov_b32 s26, 0
	global_store_b128 v[3:4], v[8:11], off
.LBB505_734:
	s_and_not1_b32 vcc_lo, exec_lo, s26
	s_cbranch_vccnz .LBB505_736
; %bb.735:
	global_store_b64 v[3:4], v[1:2], off
.LBB505_736:
	s_mov_b32 s26, 0
.LBB505_737:
	s_delay_alu instid0(SALU_CYCLE_1)
	s_and_not1_b32 vcc_lo, exec_lo, s26
	s_cbranch_vccnz .LBB505_739
; %bb.738:
	v_cvt_f16_f32_e32 v0, v2
	v_cvt_f16_f32_e32 v2, v1
	s_delay_alu instid0(VALU_DEP_2) | instskip(NEXT) | instid1(VALU_DEP_2)
	v_lshlrev_b32_e32 v0, 16, v0
	v_and_b32_e32 v2, 0xffff, v2
	s_delay_alu instid0(VALU_DEP_1)
	v_or_b32_e32 v0, v0, v2
	global_store_b32 v[3:4], v0, off
.LBB505_739:
	s_mov_b32 s26, 0
.LBB505_740:
	s_delay_alu instid0(SALU_CYCLE_1)
	s_and_not1_b32 vcc_lo, exec_lo, s26
	s_cbranch_vccnz .LBB505_749
; %bb.741:
	v_cmp_gt_i16_e32 vcc_lo, 6, v6
	s_mov_b32 s26, -1
	s_cbranch_vccnz .LBB505_747
; %bb.742:
	v_cmp_lt_i16_e32 vcc_lo, 6, v6
	s_cbranch_vccz .LBB505_744
; %bb.743:
	v_cvt_f64_f32_e32 v[8:9], v1
	s_mov_b32 s26, 0
	global_store_b64 v[3:4], v[8:9], off
.LBB505_744:
	s_and_not1_b32 vcc_lo, exec_lo, s26
	s_cbranch_vccnz .LBB505_746
; %bb.745:
	global_store_b32 v[3:4], v1, off
.LBB505_746:
	s_mov_b32 s26, 0
.LBB505_747:
	s_delay_alu instid0(SALU_CYCLE_1)
	s_and_not1_b32 vcc_lo, exec_lo, s26
	s_cbranch_vccnz .LBB505_749
; %bb.748:
	v_cvt_f16_f32_e32 v0, v1
	global_store_b16 v[3:4], v0, off
.LBB505_749:
	s_mov_b32 s26, 0
.LBB505_750:
	s_delay_alu instid0(SALU_CYCLE_1)
	s_and_not1_b32 vcc_lo, exec_lo, s26
	s_cbranch_vccnz .LBB505_766
; %bb.751:
	v_cmp_gt_i16_e32 vcc_lo, 2, v6
	s_mov_b32 s26, -1
	s_cbranch_vccnz .LBB505_761
; %bb.752:
	v_cmp_gt_i16_e32 vcc_lo, 3, v6
	s_cbranch_vccnz .LBB505_758
; %bb.753:
	v_cmp_lt_i16_e32 vcc_lo, 3, v6
	s_cbranch_vccz .LBB505_755
; %bb.754:
	v_trunc_f32_e32 v0, v1
	s_mov_b32 s26, 0
	s_delay_alu instid0(VALU_DEP_1) | instskip(NEXT) | instid1(VALU_DEP_1)
	v_mul_f32_e64 v2, 0x2f800000, |v0|
	v_floor_f32_e32 v2, v2
	s_delay_alu instid0(VALU_DEP_1) | instskip(SKIP_2) | instid1(VALU_DEP_3)
	v_fma_f32 v8, 0xcf800000, v2, |v0|
	v_ashrrev_i32_e32 v0, 31, v0
	v_cvt_u32_f32_e32 v2, v2
	v_cvt_u32_f32_e32 v8, v8
	s_delay_alu instid0(VALU_DEP_2) | instskip(NEXT) | instid1(VALU_DEP_2)
	v_xor_b32_e32 v2, v2, v0
	v_xor_b32_e32 v8, v8, v0
	s_delay_alu instid0(VALU_DEP_1) | instskip(NEXT) | instid1(VALU_DEP_3)
	v_sub_co_u32 v8, vcc_lo, v8, v0
	v_sub_co_ci_u32_e32 v9, vcc_lo, v2, v0, vcc_lo
	global_store_b64 v[3:4], v[8:9], off
.LBB505_755:
	s_and_not1_b32 vcc_lo, exec_lo, s26
	s_cbranch_vccnz .LBB505_757
; %bb.756:
	v_cvt_i32_f32_e32 v0, v1
	global_store_b32 v[3:4], v0, off
.LBB505_757:
	s_mov_b32 s26, 0
.LBB505_758:
	s_delay_alu instid0(SALU_CYCLE_1)
	s_and_not1_b32 vcc_lo, exec_lo, s26
	s_cbranch_vccnz .LBB505_760
; %bb.759:
	v_cvt_i32_f32_e32 v0, v1
	global_store_b16 v[3:4], v0, off
.LBB505_760:
	s_mov_b32 s26, 0
.LBB505_761:
	s_delay_alu instid0(SALU_CYCLE_1)
	s_and_not1_b32 vcc_lo, exec_lo, s26
	s_cbranch_vccnz .LBB505_766
; %bb.762:
	v_cmp_lt_i16_e32 vcc_lo, 0, v6
	s_mov_b32 s26, -1
	s_cbranch_vccz .LBB505_764
; %bb.763:
	v_cvt_i32_f32_e32 v0, v1
	s_mov_b32 s26, 0
	global_store_b8 v[3:4], v0, off
.LBB505_764:
	s_and_not1_b32 vcc_lo, exec_lo, s26
	s_cbranch_vccnz .LBB505_766
; %bb.765:
	v_trunc_f32_e32 v0, v1
	s_delay_alu instid0(VALU_DEP_1) | instskip(NEXT) | instid1(VALU_DEP_1)
	v_mul_f32_e64 v1, 0x2f800000, |v0|
	v_floor_f32_e32 v1, v1
	s_delay_alu instid0(VALU_DEP_1) | instskip(SKIP_1) | instid1(VALU_DEP_2)
	v_fma_f32 v1, 0xcf800000, v1, |v0|
	v_ashrrev_i32_e32 v0, 31, v0
	v_cvt_u32_f32_e32 v1, v1
	s_delay_alu instid0(VALU_DEP_1) | instskip(NEXT) | instid1(VALU_DEP_1)
	v_xor_b32_e32 v1, v1, v0
	v_sub_nc_u32_e32 v0, v1, v0
	global_store_b8 v[3:4], v0, off
.LBB505_766:
	s_branch .LBB505_843
.LBB505_767:
	s_mov_b32 s45, 0
.LBB505_768:
                                        ; implicit-def: $vgpr5
	s_branch .LBB505_844
.LBB505_769:
	s_mov_b32 s2, s42
	s_branch .LBB505_800
.LBB505_770:
	s_mov_b32 s2, s42
	s_branch .LBB505_783
.LBB505_771:
	s_mov_b32 s2, s42
	s_branch .LBB505_779
.LBB505_772:
	s_mov_b32 s2, s42
.LBB505_773:
	s_and_b32 vcc_lo, exec_lo, s27
	s_cbranch_vccz .LBB505_778
; %bb.774:
	v_cmp_eq_u16_e32 vcc_lo, 44, v6
	s_mov_b32 s2, -1
	s_cbranch_vccz .LBB505_778
; %bb.775:
	v_bfe_u32 v8, v1, 23, 8
	v_mov_b32_e32 v0, 0xff
	s_mov_b32 s26, exec_lo
	s_delay_alu instid0(VALU_DEP_2)
	v_cmpx_ne_u32_e32 0xff, v8
; %bb.776:
	v_and_b32_e32 v0, 0x400000, v1
	v_and_or_b32 v8, 0x3fffff, v1, v8
	s_delay_alu instid0(VALU_DEP_2) | instskip(NEXT) | instid1(VALU_DEP_2)
	v_cmp_ne_u32_e32 vcc_lo, 0, v0
	v_cmp_ne_u32_e64 s2, 0, v8
	v_lshrrev_b32_e32 v0, 23, v1
	s_delay_alu instid0(VALU_DEP_2) | instskip(NEXT) | instid1(SALU_CYCLE_1)
	s_and_b32 s2, vcc_lo, s2
	v_cndmask_b32_e64 v8, 0, 1, s2
	s_delay_alu instid0(VALU_DEP_1)
	v_add_nc_u32_e32 v0, v0, v8
; %bb.777:
	s_or_b32 exec_lo, exec_lo, s26
	s_mov_b32 s26, -1
	s_mov_b32 s2, 0
	global_store_b8 v[3:4], v0, off
.LBB505_778:
	s_mov_b32 s27, 0
.LBB505_779:
	s_delay_alu instid0(SALU_CYCLE_1)
	s_and_b32 vcc_lo, exec_lo, s27
	s_cbranch_vccz .LBB505_782
; %bb.780:
	v_cmp_eq_u16_e32 vcc_lo, 29, v6
	s_mov_b32 s2, -1
	s_cbranch_vccz .LBB505_782
; %bb.781:
	v_trunc_f32_e32 v0, v1
	s_mov_b32 s26, -1
	s_mov_b32 s2, 0
	s_mov_b32 s27, 0
	s_delay_alu instid0(VALU_DEP_1) | instskip(NEXT) | instid1(VALU_DEP_1)
	v_mul_f32_e32 v8, 0x2f800000, v0
	v_floor_f32_e32 v8, v8
	s_delay_alu instid0(VALU_DEP_1) | instskip(SKIP_1) | instid1(VALU_DEP_2)
	v_fmamk_f32 v0, v8, 0xcf800000, v0
	v_cvt_u32_f32_e32 v9, v8
	v_cvt_u32_f32_e32 v8, v0
	global_store_b64 v[3:4], v[8:9], off
	s_branch .LBB505_783
.LBB505_782:
	s_mov_b32 s27, 0
.LBB505_783:
	s_delay_alu instid0(SALU_CYCLE_1)
	s_and_b32 vcc_lo, exec_lo, s27
	s_cbranch_vccz .LBB505_799
; %bb.784:
	v_cmp_gt_i16_e32 vcc_lo, 27, v6
	s_mov_b32 s26, -1
	s_cbranch_vccnz .LBB505_790
; %bb.785:
	v_cmp_lt_i16_e32 vcc_lo, 27, v6
	s_cbranch_vccz .LBB505_787
; %bb.786:
	v_cvt_u32_f32_e32 v0, v1
	s_mov_b32 s26, 0
	global_store_b32 v[3:4], v0, off
.LBB505_787:
	s_and_not1_b32 vcc_lo, exec_lo, s26
	s_cbranch_vccnz .LBB505_789
; %bb.788:
	v_cvt_u32_f32_e32 v0, v1
	global_store_b16 v[3:4], v0, off
.LBB505_789:
	s_mov_b32 s26, 0
.LBB505_790:
	s_delay_alu instid0(SALU_CYCLE_1)
	s_and_not1_b32 vcc_lo, exec_lo, s26
	s_cbranch_vccnz .LBB505_798
; %bb.791:
	v_and_b32_e32 v0, 0x7fffffff, v1
	v_mov_b32_e32 v8, 0x80
	s_mov_b32 s26, exec_lo
	s_delay_alu instid0(VALU_DEP_2)
	v_cmpx_gt_u32_e32 0x43800000, v0
	s_cbranch_execz .LBB505_797
; %bb.792:
	v_cmp_lt_u32_e32 vcc_lo, 0x3bffffff, v0
	s_mov_b32 s27, 0
                                        ; implicit-def: $vgpr0
	s_and_saveexec_b32 s45, vcc_lo
	s_delay_alu instid0(SALU_CYCLE_1)
	s_xor_b32 s45, exec_lo, s45
	s_cbranch_execz .LBB505_871
; %bb.793:
	v_bfe_u32 v0, v1, 20, 1
	s_mov_b32 s27, exec_lo
	s_delay_alu instid0(VALU_DEP_1) | instskip(NEXT) | instid1(VALU_DEP_1)
	v_add3_u32 v0, v1, v0, 0x487ffff
	v_lshrrev_b32_e32 v0, 20, v0
	s_or_saveexec_b32 s45, s45
                                        ; implicit-def: $sgpr46
	s_delay_alu instid0(SALU_CYCLE_1)
	s_xor_b32 exec_lo, exec_lo, s45
	s_cbranch_execnz .LBB505_872
.LBB505_794:
	s_or_b32 exec_lo, exec_lo, s45
	v_mov_b32_e32 v8, s46
	s_and_saveexec_b32 s45, s27
.LBB505_795:
	v_lshrrev_b32_e32 v8, 24, v1
	s_delay_alu instid0(VALU_DEP_1)
	v_and_or_b32 v8, 0x80, v8, v0
.LBB505_796:
	s_or_b32 exec_lo, exec_lo, s45
.LBB505_797:
	s_delay_alu instid0(SALU_CYCLE_1)
	s_or_b32 exec_lo, exec_lo, s26
	global_store_b8 v[3:4], v8, off
.LBB505_798:
	s_mov_b32 s26, -1
.LBB505_799:
	s_mov_b32 s27, 0
.LBB505_800:
	s_delay_alu instid0(SALU_CYCLE_1)
	s_and_b32 vcc_lo, exec_lo, s27
	s_cbranch_vccz .LBB505_841
; %bb.801:
	v_cmp_lt_i16_e32 vcc_lo, 22, v6
	s_mov_b32 s27, -1
	s_cbranch_vccz .LBB505_833
; %bb.802:
	v_cmp_gt_i16_e32 vcc_lo, 24, v6
	s_mov_b32 s26, -1
	s_cbranch_vccnz .LBB505_822
; %bb.803:
	v_cmp_lt_i16_e32 vcc_lo, 24, v6
	s_cbranch_vccz .LBB505_811
; %bb.804:
	v_and_b32_e32 v0, 0x7fffffff, v1
	v_mov_b32_e32 v8, 0x80
	s_mov_b32 s26, exec_lo
	s_delay_alu instid0(VALU_DEP_2)
	v_cmpx_gt_u32_e32 0x47800000, v0
	s_cbranch_execz .LBB505_810
; %bb.805:
	v_cmp_lt_u32_e32 vcc_lo, 0x37ffffff, v0
	s_mov_b32 s27, 0
                                        ; implicit-def: $vgpr0
	s_and_saveexec_b32 s45, vcc_lo
	s_delay_alu instid0(SALU_CYCLE_1)
	s_xor_b32 s45, exec_lo, s45
	s_cbranch_execz .LBB505_874
; %bb.806:
	v_bfe_u32 v0, v1, 21, 1
	s_mov_b32 s27, exec_lo
	s_delay_alu instid0(VALU_DEP_1) | instskip(NEXT) | instid1(VALU_DEP_1)
	v_add3_u32 v0, v1, v0, 0x88fffff
	v_lshrrev_b32_e32 v0, 21, v0
	s_or_saveexec_b32 s45, s45
                                        ; implicit-def: $sgpr46
	s_delay_alu instid0(SALU_CYCLE_1)
	s_xor_b32 exec_lo, exec_lo, s45
	s_cbranch_execnz .LBB505_875
.LBB505_807:
	s_or_b32 exec_lo, exec_lo, s45
	v_mov_b32_e32 v8, s46
	s_and_saveexec_b32 s45, s27
.LBB505_808:
	v_lshrrev_b32_e32 v8, 24, v1
	s_delay_alu instid0(VALU_DEP_1)
	v_and_or_b32 v8, 0x80, v8, v0
.LBB505_809:
	s_or_b32 exec_lo, exec_lo, s45
.LBB505_810:
	s_delay_alu instid0(SALU_CYCLE_1)
	s_or_b32 exec_lo, exec_lo, s26
	s_mov_b32 s26, 0
	global_store_b8 v[3:4], v8, off
.LBB505_811:
	s_and_b32 vcc_lo, exec_lo, s26
	s_cbranch_vccz .LBB505_821
; %bb.812:
	v_and_b32_e32 v8, 0x7fffffff, v1
	s_mov_b32 s26, exec_lo
                                        ; implicit-def: $vgpr0
	s_delay_alu instid0(VALU_DEP_1)
	v_cmpx_gt_u32_e32 0x43f00000, v8
	s_xor_b32 s26, exec_lo, s26
	s_cbranch_execz .LBB505_818
; %bb.813:
	s_mov_b32 s27, exec_lo
                                        ; implicit-def: $vgpr0
	v_cmpx_lt_u32_e32 0x3c7fffff, v8
	s_xor_b32 s27, exec_lo, s27
; %bb.814:
	v_bfe_u32 v0, v1, 20, 1
	s_delay_alu instid0(VALU_DEP_1) | instskip(NEXT) | instid1(VALU_DEP_1)
	v_add3_u32 v0, v1, v0, 0x407ffff
	v_and_b32_e32 v8, 0xff00000, v0
	v_lshrrev_b32_e32 v0, 20, v0
	s_delay_alu instid0(VALU_DEP_2) | instskip(NEXT) | instid1(VALU_DEP_2)
	v_cmp_ne_u32_e32 vcc_lo, 0x7f00000, v8
	v_cndmask_b32_e32 v0, 0x7e, v0, vcc_lo
; %bb.815:
	s_and_not1_saveexec_b32 s27, s27
; %bb.816:
	v_add_f32_e64 v0, 0x46800000, |v1|
; %bb.817:
	s_or_b32 exec_lo, exec_lo, s27
                                        ; implicit-def: $vgpr8
.LBB505_818:
	s_and_not1_saveexec_b32 s26, s26
; %bb.819:
	v_mov_b32_e32 v0, 0x7f
	v_cmp_lt_u32_e32 vcc_lo, 0x7f800000, v8
	s_delay_alu instid0(VALU_DEP_2)
	v_cndmask_b32_e32 v0, 0x7e, v0, vcc_lo
; %bb.820:
	s_or_b32 exec_lo, exec_lo, s26
	v_lshrrev_b32_e32 v8, 24, v1
	s_delay_alu instid0(VALU_DEP_1)
	v_and_or_b32 v0, 0x80, v8, v0
	global_store_b8 v[3:4], v0, off
.LBB505_821:
	s_mov_b32 s26, 0
.LBB505_822:
	s_delay_alu instid0(SALU_CYCLE_1)
	s_and_not1_b32 vcc_lo, exec_lo, s26
	s_cbranch_vccnz .LBB505_832
; %bb.823:
	v_and_b32_e32 v8, 0x7fffffff, v1
	s_mov_b32 s26, exec_lo
                                        ; implicit-def: $vgpr0
	s_delay_alu instid0(VALU_DEP_1)
	v_cmpx_gt_u32_e32 0x47800000, v8
	s_xor_b32 s26, exec_lo, s26
	s_cbranch_execz .LBB505_829
; %bb.824:
	s_mov_b32 s27, exec_lo
                                        ; implicit-def: $vgpr0
	v_cmpx_lt_u32_e32 0x387fffff, v8
	s_xor_b32 s27, exec_lo, s27
; %bb.825:
	v_bfe_u32 v0, v1, 21, 1
	s_delay_alu instid0(VALU_DEP_1) | instskip(NEXT) | instid1(VALU_DEP_1)
	v_add3_u32 v0, v1, v0, 0x80fffff
	v_lshrrev_b32_e32 v0, 21, v0
; %bb.826:
	s_and_not1_saveexec_b32 s27, s27
; %bb.827:
	v_add_f32_e64 v0, 0x43000000, |v1|
; %bb.828:
	s_or_b32 exec_lo, exec_lo, s27
                                        ; implicit-def: $vgpr8
.LBB505_829:
	s_and_not1_saveexec_b32 s26, s26
; %bb.830:
	v_mov_b32_e32 v0, 0x7f
	v_cmp_lt_u32_e32 vcc_lo, 0x7f800000, v8
	s_delay_alu instid0(VALU_DEP_2)
	v_cndmask_b32_e32 v0, 0x7c, v0, vcc_lo
; %bb.831:
	s_or_b32 exec_lo, exec_lo, s26
	v_lshrrev_b32_e32 v8, 24, v1
	s_delay_alu instid0(VALU_DEP_1)
	v_and_or_b32 v0, 0x80, v8, v0
	global_store_b8 v[3:4], v0, off
.LBB505_832:
	s_mov_b32 s27, 0
	s_mov_b32 s26, -1
.LBB505_833:
	s_and_not1_b32 vcc_lo, exec_lo, s27
	s_cbranch_vccnz .LBB505_841
; %bb.834:
	v_cmp_lt_i16_e32 vcc_lo, 14, v6
	s_mov_b32 s27, -1
	s_cbranch_vccz .LBB505_838
; %bb.835:
	v_cmp_eq_u16_e32 vcc_lo, 15, v6
	s_mov_b32 s2, -1
	s_cbranch_vccz .LBB505_837
; %bb.836:
	v_bfe_u32 v0, v1, 16, 1
	v_cmp_o_f32_e32 vcc_lo, v1, v1
	s_mov_b32 s26, -1
	s_mov_b32 s2, 0
	s_delay_alu instid0(VALU_DEP_2) | instskip(NEXT) | instid1(VALU_DEP_1)
	v_add3_u32 v0, v1, v0, 0x7fff
	v_lshrrev_b32_e32 v0, 16, v0
	s_delay_alu instid0(VALU_DEP_1)
	v_cndmask_b32_e32 v0, 0x7fc0, v0, vcc_lo
	global_store_b16 v[3:4], v0, off
.LBB505_837:
	s_mov_b32 s27, 0
.LBB505_838:
	s_delay_alu instid0(SALU_CYCLE_1)
	s_and_b32 vcc_lo, exec_lo, s27
	s_cbranch_vccz .LBB505_841
; %bb.839:
	v_cmp_eq_u16_e32 vcc_lo, 11, v6
	s_mov_b32 s2, -1
	s_cbranch_vccz .LBB505_841
; %bb.840:
	v_cmp_neq_f32_e32 vcc_lo, 0, v1
	v_cmp_neq_f32_e64 s2, 0, v2
	s_mov_b32 s26, -1
	s_delay_alu instid0(VALU_DEP_1) | instskip(NEXT) | instid1(SALU_CYCLE_1)
	s_or_b32 s2, vcc_lo, s2
	v_cndmask_b32_e64 v0, 0, 1, s2
	s_mov_b32 s2, 0
	global_store_b8 v[3:4], v0, off
.LBB505_841:
.LBB505_842:
	s_and_not1_b32 vcc_lo, exec_lo, s26
	s_cbranch_vccnz .LBB505_767
.LBB505_843:
	v_add_nc_u32_e32 v5, 0x80, v5
	s_mov_b32 s45, -1
.LBB505_844:
	s_and_not1_b32 s26, s42, exec_lo
	s_and_b32 s2, s2, exec_lo
	s_and_not1_b32 s46, s41, exec_lo
	s_and_b32 s3, s3, exec_lo
	s_or_b32 s27, s26, s2
	s_or_b32 s26, s46, s3
	s_or_not1_b32 s46, s45, exec_lo
.LBB505_845:
	s_or_b32 exec_lo, exec_lo, s44
	s_mov_b32 s2, 0
	s_mov_b32 s3, 0
	;; [unrolled: 1-line block ×3, first 2 shown]
                                        ; implicit-def: $vgpr1_vgpr2
                                        ; implicit-def: $vgpr0
                                        ; implicit-def: $vgpr6
	s_and_saveexec_b32 s44, s46
	s_cbranch_execz .LBB505_946
; %bb.846:
	v_cmp_gt_i32_e32 vcc_lo, s35, v5
	s_mov_b32 s47, s26
	s_mov_b32 s46, 0
                                        ; implicit-def: $vgpr1_vgpr2
                                        ; implicit-def: $vgpr0
                                        ; implicit-def: $vgpr6
	s_and_saveexec_b32 s35, vcc_lo
	s_cbranch_execz .LBB505_945
; %bb.847:
	s_and_not1_b32 vcc_lo, exec_lo, s31
	s_cbranch_vccnz .LBB505_852
; %bb.848:
	v_dual_mov_b32 v0, 0 :: v_dual_mov_b32 v1, 0
	s_and_not1_b32 vcc_lo, exec_lo, s37
	s_mov_b32 s37, 0
	s_cbranch_vccnz .LBB505_857
; %bb.849:
	v_mov_b32_e32 v0, 0
	s_add_i32 s45, s36, 1
	s_cmp_eq_u32 s29, 2
	s_mov_b32 s36, 0
	s_cbranch_scc1 .LBB505_853
; %bb.850:
	v_dual_mov_b32 v1, 0 :: v_dual_mov_b32 v0, 0
	v_mov_b32_e32 v2, v5
	s_and_b32 s36, s45, 28
	s_mov_b64 s[2:3], s[20:21]
.LBB505_851:                            ; =>This Inner Loop Header: Depth=1
	s_clause 0x1
	s_load_b256 s[48:55], s[2:3], 0x4
	s_load_b128 s[64:67], s[2:3], 0x24
	s_load_b256 s[56:63], s[24:25], 0x0
	s_add_u32 s2, s2, 48
	s_addc_u32 s3, s3, 0
	s_add_i32 s46, s46, 4
	s_add_u32 s24, s24, 32
	s_addc_u32 s25, s25, 0
	s_cmp_eq_u32 s36, s46
	s_waitcnt vmcnt(0) lgkmcnt(0)
	v_mul_hi_u32 v3, s49, v2
	s_delay_alu instid0(VALU_DEP_1) | instskip(NEXT) | instid1(VALU_DEP_1)
	v_add_nc_u32_e32 v3, v2, v3
	v_lshrrev_b32_e32 v3, s50, v3
	s_delay_alu instid0(VALU_DEP_1) | instskip(SKIP_1) | instid1(VALU_DEP_2)
	v_mul_hi_u32 v4, s52, v3
	v_mul_lo_u32 v8, v3, s48
	v_add_nc_u32_e32 v4, v3, v4
	s_delay_alu instid0(VALU_DEP_2) | instskip(NEXT) | instid1(VALU_DEP_2)
	v_sub_nc_u32_e32 v2, v2, v8
	v_lshrrev_b32_e32 v4, s53, v4
	s_delay_alu instid0(VALU_DEP_2) | instskip(SKIP_1) | instid1(VALU_DEP_3)
	v_mul_lo_u32 v8, v2, s56
	v_mul_lo_u32 v10, v2, s57
	v_mul_hi_u32 v6, s55, v4
	s_delay_alu instid0(VALU_DEP_1) | instskip(NEXT) | instid1(VALU_DEP_1)
	v_add_nc_u32_e32 v6, v4, v6
	v_lshrrev_b32_e32 v6, s64, v6
	s_delay_alu instid0(VALU_DEP_1) | instskip(SKIP_1) | instid1(VALU_DEP_2)
	v_mul_hi_u32 v9, s66, v6
	v_mul_lo_u32 v11, v6, s54
	v_add_nc_u32_e32 v2, v6, v9
	v_mul_lo_u32 v9, v4, s51
	s_delay_alu instid0(VALU_DEP_3) | instskip(NEXT) | instid1(VALU_DEP_3)
	v_sub_nc_u32_e32 v4, v4, v11
	v_lshrrev_b32_e32 v2, s67, v2
	s_delay_alu instid0(VALU_DEP_2) | instskip(SKIP_2) | instid1(VALU_DEP_4)
	v_mul_lo_u32 v11, v4, s60
	v_mul_lo_u32 v4, v4, s61
	v_sub_nc_u32_e32 v3, v3, v9
	v_mul_lo_u32 v12, v2, s65
	s_delay_alu instid0(VALU_DEP_2) | instskip(SKIP_1) | instid1(VALU_DEP_3)
	v_mul_lo_u32 v9, v3, s58
	v_mul_lo_u32 v3, v3, s59
	v_sub_nc_u32_e32 v6, v6, v12
	s_delay_alu instid0(VALU_DEP_3) | instskip(NEXT) | instid1(VALU_DEP_2)
	v_add3_u32 v0, v8, v0, v9
	v_mul_lo_u32 v12, v6, s62
	v_mul_lo_u32 v6, v6, s63
	v_add3_u32 v1, v10, v1, v3
	s_delay_alu instid0(VALU_DEP_3) | instskip(NEXT) | instid1(VALU_DEP_2)
	v_add3_u32 v0, v11, v0, v12
	v_add3_u32 v1, v4, v1, v6
	s_cbranch_scc0 .LBB505_851
	s_branch .LBB505_854
.LBB505_852:
	s_mov_b32 s37, -1
                                        ; implicit-def: $vgpr0
                                        ; implicit-def: $vgpr1
	s_branch .LBB505_857
.LBB505_853:
	v_dual_mov_b32 v2, v5 :: v_dual_mov_b32 v1, 0
.LBB505_854:
	s_and_b32 s45, s45, 3
	s_delay_alu instid0(SALU_CYCLE_1)
	s_cmp_eq_u32 s45, 0
	s_cbranch_scc1 .LBB505_857
; %bb.855:
	s_lshl_b32 s2, s36, 3
	s_mul_i32 s24, s36, 12
	s_add_u32 s2, s2, s20
	s_addc_u32 s3, s21, 0
	s_add_u32 s2, s2, 0xc4
	s_addc_u32 s3, s3, 0
	;; [unrolled: 2-line block ×3, first 2 shown]
.LBB505_856:                            ; =>This Inner Loop Header: Depth=1
	s_clause 0x1
	s_load_b64 s[46:47], s[24:25], 0x4
	s_load_b32 s36, s[24:25], 0xc
	s_load_b64 s[48:49], s[2:3], 0x0
	s_add_u32 s24, s24, 12
	s_addc_u32 s25, s25, 0
	s_add_u32 s2, s2, 8
	s_addc_u32 s3, s3, 0
	s_add_i32 s45, s45, -1
	s_delay_alu instid0(SALU_CYCLE_1) | instskip(SKIP_2) | instid1(VALU_DEP_1)
	s_cmp_lg_u32 s45, 0
	s_waitcnt vmcnt(0) lgkmcnt(0)
	v_mul_hi_u32 v3, s47, v2
	v_add_nc_u32_e32 v3, v2, v3
	s_delay_alu instid0(VALU_DEP_1) | instskip(NEXT) | instid1(VALU_DEP_1)
	v_lshrrev_b32_e32 v6, s36, v3
	v_mul_lo_u32 v3, v6, s46
	s_delay_alu instid0(VALU_DEP_1) | instskip(NEXT) | instid1(VALU_DEP_1)
	v_sub_nc_u32_e32 v2, v2, v3
	v_mad_u64_u32 v[3:4], null, v2, s48, v[0:1]
	v_mad_u64_u32 v[8:9], null, v2, s49, v[1:2]
	v_mov_b32_e32 v2, v6
	s_delay_alu instid0(VALU_DEP_2)
	v_dual_mov_b32 v0, v3 :: v_dual_mov_b32 v1, v8
	s_cbranch_scc1 .LBB505_856
.LBB505_857:
	s_and_not1_b32 vcc_lo, exec_lo, s37
	s_cbranch_vccnz .LBB505_860
; %bb.858:
	v_mul_hi_u32 v0, s17, v5
	s_and_not1_b32 vcc_lo, exec_lo, s11
	s_delay_alu instid0(VALU_DEP_1) | instskip(NEXT) | instid1(VALU_DEP_1)
	v_add_nc_u32_e32 v0, v5, v0
	v_lshrrev_b32_e32 v2, s18, v0
	s_delay_alu instid0(VALU_DEP_1) | instskip(NEXT) | instid1(VALU_DEP_1)
	v_mul_lo_u32 v0, v2, s16
	v_sub_nc_u32_e32 v1, v5, v0
	s_delay_alu instid0(VALU_DEP_1)
	v_mul_lo_u32 v0, v1, s12
	v_mul_lo_u32 v1, v1, s13
	s_cbranch_vccnz .LBB505_860
; %bb.859:
	s_waitcnt vmcnt(0)
	v_mul_hi_u32 v3, s22, v2
	s_delay_alu instid0(VALU_DEP_1) | instskip(NEXT) | instid1(VALU_DEP_1)
	v_add_nc_u32_e32 v3, v2, v3
	v_lshrrev_b32_e32 v3, s23, v3
	s_delay_alu instid0(VALU_DEP_1) | instskip(NEXT) | instid1(VALU_DEP_1)
	v_mul_lo_u32 v3, v3, s19
	v_sub_nc_u32_e32 v5, v2, v3
	s_delay_alu instid0(VALU_DEP_1) | instskip(NEXT) | instid1(VALU_DEP_1)
	v_mad_u64_u32 v[2:3], null, v5, s14, v[0:1]
	v_mad_u64_u32 v[3:4], null, v5, s15, v[1:2]
	s_delay_alu instid0(VALU_DEP_1)
	v_dual_mov_b32 v0, v2 :: v_dual_mov_b32 v1, v3
.LBB505_860:
	v_cmp_gt_i16_e32 vcc_lo, 11, v7
	s_delay_alu instid0(VALU_DEP_2) | instskip(NEXT) | instid1(VALU_DEP_1)
	v_add_co_u32 v1, s2, s6, v1
	v_add_co_ci_u32_e64 v2, null, s7, 0, s2
	s_mov_b32 s6, 0
	s_cbranch_vccnz .LBB505_867
; %bb.861:
	v_cmp_lt_i16_e32 vcc_lo, 25, v7
	s_mov_b32 s3, 0
	s_cbranch_vccz .LBB505_868
; %bb.862:
	v_cmp_lt_i16_e32 vcc_lo, 28, v7
	s_cbranch_vccz .LBB505_869
; %bb.863:
	v_cmp_lt_i16_e32 vcc_lo, 43, v7
	s_cbranch_vccz .LBB505_870
; %bb.864:
	v_cmp_lt_i16_e32 vcc_lo, 45, v7
	s_cbranch_vccz .LBB505_873
; %bb.865:
	v_cmp_eq_u16_e32 vcc_lo, 46, v7
	s_mov_b32 s7, 0
	s_cbranch_vccz .LBB505_876
; %bb.866:
	global_load_b32 v3, v[1:2], off
	s_mov_b32 s2, 0
	s_mov_b32 s6, -1
	s_waitcnt vmcnt(0)
	v_and_b32_e32 v6, 0xffff0000, v3
	v_lshlrev_b32_e32 v5, 16, v3
	s_branch .LBB505_878
.LBB505_867:
	s_mov_b32 s7, -1
	s_mov_b32 s3, 0
	s_mov_b32 s2, s26
                                        ; implicit-def: $vgpr6
	s_branch .LBB505_944
.LBB505_868:
	s_mov_b32 s7, -1
	s_mov_b32 s2, s26
                                        ; implicit-def: $vgpr6
	s_branch .LBB505_911
.LBB505_869:
	s_mov_b32 s7, -1
	s_mov_b32 s2, s26
                                        ; implicit-def: $vgpr6
	s_branch .LBB505_890
.LBB505_870:
	s_mov_b32 s7, -1
	s_mov_b32 s2, s26
                                        ; implicit-def: $vgpr6
	s_branch .LBB505_884
.LBB505_871:
	s_or_saveexec_b32 s45, s45
                                        ; implicit-def: $sgpr46
	s_delay_alu instid0(SALU_CYCLE_1)
	s_xor_b32 exec_lo, exec_lo, s45
	s_cbranch_execz .LBB505_794
.LBB505_872:
	v_add_f32_e64 v0, 0x46000000, |v1|
	s_and_not1_b32 s27, s27, exec_lo
	s_mov_b32 s46, 0
	s_delay_alu instid0(VALU_DEP_1) | instskip(NEXT) | instid1(VALU_DEP_1)
	v_and_b32_e32 v0, 0xff, v0
	v_cmp_ne_u32_e32 vcc_lo, 0, v0
	s_and_b32 s47, vcc_lo, exec_lo
	s_delay_alu instid0(SALU_CYCLE_1)
	s_or_b32 s27, s27, s47
	s_or_b32 exec_lo, exec_lo, s45
	v_mov_b32_e32 v8, s46
	s_and_saveexec_b32 s45, s27
	s_cbranch_execnz .LBB505_795
	s_branch .LBB505_796
.LBB505_873:
	s_mov_b32 s7, -1
	s_mov_b32 s2, s26
	s_branch .LBB505_877
.LBB505_874:
	s_or_saveexec_b32 s45, s45
                                        ; implicit-def: $sgpr46
	s_delay_alu instid0(SALU_CYCLE_1)
	s_xor_b32 exec_lo, exec_lo, s45
	s_cbranch_execz .LBB505_807
.LBB505_875:
	v_add_f32_e64 v0, 0x42800000, |v1|
	s_and_not1_b32 s27, s27, exec_lo
	s_mov_b32 s46, 0
	s_delay_alu instid0(VALU_DEP_1) | instskip(NEXT) | instid1(VALU_DEP_1)
	v_and_b32_e32 v0, 0xff, v0
	v_cmp_ne_u32_e32 vcc_lo, 0, v0
	s_and_b32 s47, vcc_lo, exec_lo
	s_delay_alu instid0(SALU_CYCLE_1)
	s_or_b32 s27, s27, s47
	s_or_b32 exec_lo, exec_lo, s45
	v_mov_b32_e32 v8, s46
	s_and_saveexec_b32 s45, s27
	s_cbranch_execnz .LBB505_808
	s_branch .LBB505_809
.LBB505_876:
	s_mov_b32 s2, -1
.LBB505_877:
                                        ; implicit-def: $vgpr6
.LBB505_878:
	s_and_b32 vcc_lo, exec_lo, s7
	s_cbranch_vccz .LBB505_883
; %bb.879:
	v_cmp_eq_u16_e32 vcc_lo, 44, v7
	s_cbranch_vccz .LBB505_881
; %bb.880:
	global_load_u8 v3, v[1:2], off
	s_mov_b32 s2, 0
	s_mov_b32 s6, -1
	s_waitcnt vmcnt(0)
	v_lshlrev_b32_e32 v4, 23, v3
	v_cmp_ne_u32_e32 vcc_lo, 0xff, v3
	s_delay_alu instid0(VALU_DEP_2) | instskip(SKIP_1) | instid1(VALU_DEP_2)
	v_cndmask_b32_e32 v4, 0x7f800001, v4, vcc_lo
	v_cmp_ne_u32_e32 vcc_lo, 0, v3
	v_cndmask_b32_e32 v5, 0x400000, v4, vcc_lo
	s_branch .LBB505_882
.LBB505_881:
	s_mov_b32 s2, -1
                                        ; implicit-def: $vgpr5
.LBB505_882:
	s_delay_alu instid0(SALU_CYCLE_1)
	v_mov_b32_e32 v6, s2
.LBB505_883:
	s_mov_b32 s7, 0
.LBB505_884:
	s_delay_alu instid0(SALU_CYCLE_1)
	s_and_b32 vcc_lo, exec_lo, s7
	s_cbranch_vccz .LBB505_889
; %bb.885:
	v_cmp_eq_u16_e32 vcc_lo, 29, v7
	s_cbranch_vccz .LBB505_887
; %bb.886:
	global_load_b64 v[3:4], v[1:2], off
	s_mov_b32 s2, 0
	s_mov_b32 s6, -1
	s_mov_b32 s7, 0
	s_waitcnt vmcnt(0)
	v_clz_i32_u32_e32 v5, v4
	s_delay_alu instid0(VALU_DEP_1) | instskip(NEXT) | instid1(VALU_DEP_1)
	v_min_u32_e32 v5, 32, v5
	v_lshlrev_b64 v[3:4], v5, v[3:4]
	s_delay_alu instid0(VALU_DEP_1) | instskip(NEXT) | instid1(VALU_DEP_1)
	v_min_u32_e32 v3, 1, v3
	v_or_b32_e32 v3, v4, v3
	v_sub_nc_u32_e32 v4, 32, v5
	s_delay_alu instid0(VALU_DEP_2) | instskip(NEXT) | instid1(VALU_DEP_1)
	v_cvt_f32_u32_e32 v3, v3
	v_ldexp_f32 v5, v3, v4
	s_branch .LBB505_888
.LBB505_887:
	s_mov_b32 s2, -1
                                        ; implicit-def: $sgpr7
                                        ; implicit-def: $vgpr5
.LBB505_888:
	v_mov_b32_e32 v6, s7
.LBB505_889:
	s_mov_b32 s7, 0
.LBB505_890:
	s_delay_alu instid0(SALU_CYCLE_1)
	s_and_b32 vcc_lo, exec_lo, s7
	s_cbranch_vccz .LBB505_910
; %bb.891:
	v_cmp_gt_i16_e32 vcc_lo, 27, v7
	s_cbranch_vccnz .LBB505_894
; %bb.892:
	v_cmp_lt_i16_e32 vcc_lo, 27, v7
	s_cbranch_vccz .LBB505_895
; %bb.893:
	global_load_b32 v3, v[1:2], off
	s_mov_b32 s7, 0
	s_mov_b32 s6, 0
	s_waitcnt vmcnt(0)
	v_cvt_f32_u32_e32 v5, v3
	s_branch .LBB505_896
.LBB505_894:
	s_mov_b32 s7, -1
                                        ; implicit-def: $sgpr6
                                        ; implicit-def: $vgpr5
	s_branch .LBB505_899
.LBB505_895:
	s_mov_b32 s7, -1
                                        ; implicit-def: $sgpr6
                                        ; implicit-def: $vgpr5
.LBB505_896:
	s_delay_alu instid0(SALU_CYCLE_1)
	s_and_not1_b32 vcc_lo, exec_lo, s7
	s_cbranch_vccnz .LBB505_898
; %bb.897:
	global_load_u16 v3, v[1:2], off
	s_mov_b32 s6, 0
	s_waitcnt vmcnt(0)
	v_cvt_f32_u32_e32 v5, v3
.LBB505_898:
	s_mov_b32 s7, 0
.LBB505_899:
	v_mov_b32_e32 v6, s6
	s_and_not1_b32 vcc_lo, exec_lo, s7
	s_cbranch_vccnz .LBB505_909
; %bb.900:
	global_load_u8 v3, v[1:2], off
	s_mov_b32 s6, 0
	s_mov_b32 s12, exec_lo
                                        ; implicit-def: $sgpr11
                                        ; implicit-def: $sgpr7
	s_waitcnt vmcnt(0)
	v_cmpx_lt_i16_e32 0x7f, v3
	s_xor_b32 s12, exec_lo, s12
	s_cbranch_execz .LBB505_904
; %bb.901:
	s_mov_b32 s6, -1
	s_mov_b32 s13, exec_lo
                                        ; implicit-def: $sgpr11
                                        ; implicit-def: $sgpr7
	v_cmpx_eq_u16_e32 0x80, v3
; %bb.902:
	s_mov_b32 s7, 0x7f800001
	s_mov_b32 s11, 0
	s_xor_b32 s6, exec_lo, -1
; %bb.903:
	s_or_b32 exec_lo, exec_lo, s13
	s_delay_alu instid0(SALU_CYCLE_1)
	s_and_b32 s6, s6, exec_lo
.LBB505_904:
	s_or_saveexec_b32 s12, s12
	v_dual_mov_b32 v6, s11 :: v_dual_mov_b32 v5, s7
	s_xor_b32 exec_lo, exec_lo, s12
; %bb.905:
	v_cmp_ne_u16_e32 vcc_lo, 0, v3
	v_dual_mov_b32 v6, 0 :: v_dual_mov_b32 v5, 0
	s_and_not1_b32 s6, s6, exec_lo
	s_and_b32 s7, vcc_lo, exec_lo
	s_delay_alu instid0(SALU_CYCLE_1)
	s_or_b32 s6, s6, s7
; %bb.906:
	s_or_b32 exec_lo, exec_lo, s12
	s_and_saveexec_b32 s7, s6
	s_cbranch_execz .LBB505_908
; %bb.907:
	v_and_b32_e32 v4, 0xffff, v3
	v_lshlrev_b32_e32 v3, 24, v3
	s_delay_alu instid0(VALU_DEP_2) | instskip(NEXT) | instid1(VALU_DEP_1)
	v_and_b32_e32 v5, 7, v4
	v_clz_i32_u32_e32 v6, v5
	s_delay_alu instid0(VALU_DEP_1) | instskip(NEXT) | instid1(VALU_DEP_1)
	v_min_u32_e32 v6, 32, v6
	v_subrev_nc_u32_e32 v8, 28, v6
	v_sub_nc_u32_e32 v6, 29, v6
	s_delay_alu instid0(VALU_DEP_2) | instskip(SKIP_1) | instid1(VALU_DEP_2)
	v_lshlrev_b32_e32 v8, v8, v4
	v_bfe_u32 v4, v4, 3, 4
	v_and_b32_e32 v8, 7, v8
	s_delay_alu instid0(VALU_DEP_2) | instskip(NEXT) | instid1(VALU_DEP_2)
	v_cmp_eq_u32_e32 vcc_lo, 0, v4
	v_dual_cndmask_b32 v4, v4, v6 :: v_dual_cndmask_b32 v5, v5, v8
	v_dual_mov_b32 v6, 0 :: v_dual_and_b32 v3, 0x80000000, v3
	s_delay_alu instid0(VALU_DEP_2) | instskip(NEXT) | instid1(VALU_DEP_3)
	v_lshl_add_u32 v4, v4, 23, 0x3b800000
	v_lshlrev_b32_e32 v5, 20, v5
	s_delay_alu instid0(VALU_DEP_1)
	v_or3_b32 v5, v3, v4, v5
.LBB505_908:
	s_or_b32 exec_lo, exec_lo, s7
.LBB505_909:
	s_mov_b32 s6, -1
.LBB505_910:
	s_mov_b32 s7, 0
.LBB505_911:
	s_delay_alu instid0(SALU_CYCLE_1)
	s_and_b32 vcc_lo, exec_lo, s7
	s_cbranch_vccz .LBB505_943
; %bb.912:
	v_cmp_lt_i16_e32 vcc_lo, 22, v7
	s_cbranch_vccz .LBB505_924
; %bb.913:
	v_cmp_gt_i16_e32 vcc_lo, 24, v7
	s_cbranch_vccnz .LBB505_925
; %bb.914:
	v_cmp_lt_i16_e32 vcc_lo, 24, v7
	s_cbranch_vccz .LBB505_926
; %bb.915:
	global_load_u8 v3, v[1:2], off
	s_mov_b32 s11, exec_lo
                                        ; implicit-def: $sgpr7
                                        ; implicit-def: $sgpr6
	s_waitcnt vmcnt(0)
	v_cmpx_lt_i16_e32 0x7f, v3
	s_xor_b32 s11, exec_lo, s11
	s_cbranch_execz .LBB505_919
; %bb.916:
	s_mov_b32 s3, -1
	s_mov_b32 s12, exec_lo
                                        ; implicit-def: $sgpr7
                                        ; implicit-def: $sgpr6
	v_cmpx_eq_u16_e32 0x80, v3
; %bb.917:
	s_mov_b32 s6, 0x7f800001
	s_mov_b32 s7, 0
	s_xor_b32 s3, exec_lo, -1
; %bb.918:
	s_or_b32 exec_lo, exec_lo, s12
	s_delay_alu instid0(SALU_CYCLE_1)
	s_and_b32 s3, s3, exec_lo
.LBB505_919:
	s_or_saveexec_b32 s11, s11
	v_dual_mov_b32 v6, s7 :: v_dual_mov_b32 v5, s6
	s_xor_b32 exec_lo, exec_lo, s11
; %bb.920:
	v_cmp_ne_u16_e32 vcc_lo, 0, v3
	v_dual_mov_b32 v6, 0 :: v_dual_mov_b32 v5, 0
	s_and_not1_b32 s3, s3, exec_lo
	s_and_b32 s6, vcc_lo, exec_lo
	s_delay_alu instid0(SALU_CYCLE_1)
	s_or_b32 s3, s3, s6
; %bb.921:
	s_or_b32 exec_lo, exec_lo, s11
	s_and_saveexec_b32 s6, s3
	s_cbranch_execz .LBB505_923
; %bb.922:
	v_and_b32_e32 v4, 0xffff, v3
	v_lshlrev_b32_e32 v3, 24, v3
	s_delay_alu instid0(VALU_DEP_2) | instskip(NEXT) | instid1(VALU_DEP_1)
	v_and_b32_e32 v5, 3, v4
	v_clz_i32_u32_e32 v6, v5
	s_delay_alu instid0(VALU_DEP_1) | instskip(NEXT) | instid1(VALU_DEP_1)
	v_min_u32_e32 v6, 32, v6
	v_subrev_nc_u32_e32 v8, 29, v6
	v_sub_nc_u32_e32 v6, 30, v6
	s_delay_alu instid0(VALU_DEP_2) | instskip(SKIP_1) | instid1(VALU_DEP_2)
	v_lshlrev_b32_e32 v8, v8, v4
	v_bfe_u32 v4, v4, 2, 5
	v_and_b32_e32 v8, 3, v8
	s_delay_alu instid0(VALU_DEP_2) | instskip(NEXT) | instid1(VALU_DEP_2)
	v_cmp_eq_u32_e32 vcc_lo, 0, v4
	v_dual_cndmask_b32 v4, v4, v6 :: v_dual_cndmask_b32 v5, v5, v8
	v_dual_mov_b32 v6, 0 :: v_dual_and_b32 v3, 0x80000000, v3
	s_delay_alu instid0(VALU_DEP_2) | instskip(NEXT) | instid1(VALU_DEP_3)
	v_lshl_add_u32 v4, v4, 23, 0x37800000
	v_lshlrev_b32_e32 v5, 21, v5
	s_delay_alu instid0(VALU_DEP_1)
	v_or3_b32 v5, v3, v4, v5
.LBB505_923:
	s_or_b32 exec_lo, exec_lo, s6
	s_mov_b32 s3, 0
	s_branch .LBB505_927
.LBB505_924:
	s_mov_b32 s3, -1
                                        ; implicit-def: $vgpr6
	s_branch .LBB505_933
.LBB505_925:
	s_mov_b32 s3, -1
                                        ; implicit-def: $vgpr6
	s_branch .LBB505_930
.LBB505_926:
	s_mov_b32 s3, -1
                                        ; implicit-def: $vgpr6
.LBB505_927:
	s_delay_alu instid0(SALU_CYCLE_1)
	s_and_b32 vcc_lo, exec_lo, s3
	s_cbranch_vccz .LBB505_929
; %bb.928:
	global_load_u8 v3, v[1:2], off
	s_waitcnt vmcnt(0)
	v_lshlrev_b32_e32 v3, 24, v3
	s_delay_alu instid0(VALU_DEP_1) | instskip(NEXT) | instid1(VALU_DEP_1)
	v_and_b32_e32 v4, 0x7f000000, v3
	v_clz_i32_u32_e32 v5, v4
	v_add_nc_u32_e32 v8, 0x1000000, v4
	v_cmp_ne_u32_e32 vcc_lo, 0, v4
	s_delay_alu instid0(VALU_DEP_3) | instskip(NEXT) | instid1(VALU_DEP_1)
	v_min_u32_e32 v5, 32, v5
	v_sub_nc_u32_e64 v5, v5, 4 clamp
	s_delay_alu instid0(VALU_DEP_1) | instskip(SKIP_1) | instid1(VALU_DEP_2)
	v_lshlrev_b32_e32 v6, v5, v4
	v_lshlrev_b32_e32 v5, 23, v5
	v_lshrrev_b32_e32 v6, 4, v6
	s_delay_alu instid0(VALU_DEP_1) | instskip(SKIP_1) | instid1(VALU_DEP_2)
	v_sub_nc_u32_e32 v5, v6, v5
	v_ashrrev_i32_e32 v6, 8, v8
	v_add_nc_u32_e32 v5, 0x3c000000, v5
	s_delay_alu instid0(VALU_DEP_1) | instskip(SKIP_1) | instid1(VALU_DEP_2)
	v_and_or_b32 v5, 0x7f800000, v6, v5
	v_mov_b32_e32 v6, 0
	v_cndmask_b32_e32 v4, 0, v5, vcc_lo
	s_delay_alu instid0(VALU_DEP_1)
	v_and_or_b32 v5, 0x80000000, v3, v4
.LBB505_929:
	s_mov_b32 s3, 0
.LBB505_930:
	s_delay_alu instid0(SALU_CYCLE_1)
	s_and_not1_b32 vcc_lo, exec_lo, s3
	s_cbranch_vccnz .LBB505_932
; %bb.931:
	global_load_u8 v3, v[1:2], off
	s_waitcnt vmcnt(0)
	v_lshlrev_b32_e32 v4, 25, v3
	v_lshlrev_b16 v3, 8, v3
	s_delay_alu instid0(VALU_DEP_2) | instskip(NEXT) | instid1(VALU_DEP_2)
	v_lshrrev_b32_e32 v5, 4, v4
	v_and_or_b32 v6, 0x7f00, v3, 0.5
	v_bfe_i32 v3, v3, 0, 16
	s_delay_alu instid0(VALU_DEP_3) | instskip(NEXT) | instid1(VALU_DEP_1)
	v_or_b32_e32 v5, 0x70000000, v5
	v_dual_add_f32 v6, -0.5, v6 :: v_dual_mul_f32 v5, 0x7800000, v5
	v_cmp_gt_u32_e32 vcc_lo, 0x8000000, v4
	s_delay_alu instid0(VALU_DEP_2) | instskip(SKIP_1) | instid1(VALU_DEP_2)
	v_cndmask_b32_e32 v4, v5, v6, vcc_lo
	v_mov_b32_e32 v6, 0
	v_and_or_b32 v5, 0x80000000, v3, v4
.LBB505_932:
	s_mov_b32 s3, 0
	s_mov_b32 s6, -1
.LBB505_933:
	s_and_not1_b32 vcc_lo, exec_lo, s3
	s_mov_b32 s3, 0
	s_cbranch_vccnz .LBB505_943
; %bb.934:
	v_cmp_lt_i16_e32 vcc_lo, 14, v7
	s_cbranch_vccz .LBB505_937
; %bb.935:
	v_cmp_eq_u16_e32 vcc_lo, 15, v7
	s_cbranch_vccz .LBB505_938
; %bb.936:
	global_load_u16 v3, v[1:2], off
	s_mov_b32 s2, 0
	s_mov_b32 s6, -1
	s_mov_b32 s7, 0
	s_waitcnt vmcnt(0)
	v_lshlrev_b32_e32 v5, 16, v3
	s_branch .LBB505_940
.LBB505_937:
	s_mov_b32 s3, -1
	s_branch .LBB505_939
.LBB505_938:
	s_mov_b32 s2, -1
.LBB505_939:
                                        ; implicit-def: $sgpr7
                                        ; implicit-def: $vgpr5
.LBB505_940:
	s_and_b32 vcc_lo, exec_lo, s3
	s_mov_b32 s3, 0
	s_cbranch_vccz .LBB505_942
; %bb.941:
	v_cmp_ne_u16_e32 vcc_lo, 11, v7
	s_and_not1_b32 s2, s2, exec_lo
	s_mov_b32 s3, -1
                                        ; implicit-def: $vgpr5
	s_and_b32 s7, vcc_lo, exec_lo
	s_delay_alu instid0(SALU_CYCLE_1)
	s_or_b32 s2, s2, s7
                                        ; implicit-def: $sgpr7
.LBB505_942:
	v_mov_b32_e32 v6, s7
.LBB505_943:
	s_mov_b32 s7, 0
.LBB505_944:
	s_and_b32 s45, s6, exec_lo
	s_and_b32 s46, s7, exec_lo
	s_and_not1_b32 s6, s26, exec_lo
	s_and_b32 s7, s2, exec_lo
	s_and_b32 s2, s3, exec_lo
	s_or_b32 s47, s6, s7
.LBB505_945:
	s_or_b32 exec_lo, exec_lo, s35
	s_delay_alu instid0(SALU_CYCLE_1)
	s_and_not1_b32 s6, s26, exec_lo
	s_and_b32 s7, s47, exec_lo
	s_and_b32 s45, s45, exec_lo
	;; [unrolled: 1-line block ×4, first 2 shown]
	s_or_b32 s26, s6, s7
.LBB505_946:
	s_or_b32 exec_lo, exec_lo, s44
	s_delay_alu instid0(SALU_CYCLE_1)
	s_and_not1_b32 s6, s42, exec_lo
	s_and_b32 s7, s27, exec_lo
	s_and_b32 s44, s45, exec_lo
	s_or_b32 s42, s6, s7
	s_and_not1_b32 s6, s41, exec_lo
	s_and_b32 s7, s26, exec_lo
	s_and_b32 s27, s3, exec_lo
	;; [unrolled: 1-line block ×3, first 2 shown]
	s_or_b32 s41, s6, s7
.LBB505_947:
	s_or_b32 exec_lo, exec_lo, s43
	s_delay_alu instid0(SALU_CYCLE_1)
	s_and_not1_b32 s2, s38, exec_lo
	s_and_b32 s6, s42, exec_lo
	s_and_b32 s7, s41, exec_lo
	s_or_b32 s38, s2, s6
	s_and_not1_b32 s6, s39, exec_lo
	s_and_b32 s2, s44, exec_lo
	s_and_b32 s26, s27, exec_lo
	;; [unrolled: 1-line block ×3, first 2 shown]
	s_or_b32 s39, s6, s7
.LBB505_948:
	s_or_b32 exec_lo, exec_lo, s40
	s_mov_b32 s3, 0
	s_and_saveexec_b32 s6, s39
	s_cbranch_execnz .LBB505_960
; %bb.949:
	s_or_b32 exec_lo, exec_lo, s6
	s_and_saveexec_b32 s6, s41
	s_delay_alu instid0(SALU_CYCLE_1)
	s_xor_b32 s6, exec_lo, s6
	s_cbranch_execz .LBB505_951
.LBB505_950:
	global_load_u8 v3, v[1:2], off
	v_mov_b32_e32 v6, 0
	s_or_b32 s2, s2, exec_lo
	s_waitcnt vmcnt(0)
	v_cmp_ne_u16_e32 vcc_lo, 0, v3
	v_cndmask_b32_e64 v5, 0, 1.0, vcc_lo
.LBB505_951:
	s_or_b32 exec_lo, exec_lo, s6
	s_and_saveexec_b32 s6, s26
	s_cbranch_execz .LBB505_1001
; %bb.952:
	v_cmp_gt_i16_e32 vcc_lo, 5, v7
	s_cbranch_vccnz .LBB505_957
; %bb.953:
	v_cmp_gt_i16_e32 vcc_lo, 8, v7
	s_cbranch_vccnz .LBB505_958
	;; [unrolled: 3-line block ×3, first 2 shown]
; %bb.955:
	v_cmp_lt_i16_e32 vcc_lo, 9, v7
	s_cbranch_vccz .LBB505_962
; %bb.956:
	global_load_b128 v[8:11], v[1:2], off
	s_mov_b32 s7, 0
	s_waitcnt vmcnt(0)
	v_cvt_f32_f64_e32 v5, v[8:9]
	v_cvt_f32_f64_e32 v6, v[10:11]
	s_branch .LBB505_963
.LBB505_957:
                                        ; implicit-def: $vgpr6
	s_branch .LBB505_981
.LBB505_958:
                                        ; implicit-def: $vgpr6
	s_branch .LBB505_969
.LBB505_959:
	s_mov_b32 s7, -1
                                        ; implicit-def: $vgpr6
	s_branch .LBB505_966
.LBB505_960:
	s_cbranch_execnz .LBB505_1242
; %bb.961:
	s_mov_b32 s3, exec_lo
	s_and_not1_b32 s41, s41, exec_lo
                                        ; implicit-def: $vgpr6
	s_or_b32 exec_lo, exec_lo, s6
	s_and_saveexec_b32 s6, s41
	s_delay_alu instid0(SALU_CYCLE_1)
	s_xor_b32 s6, exec_lo, s6
	s_cbranch_execnz .LBB505_950
	s_branch .LBB505_951
.LBB505_962:
	s_mov_b32 s7, -1
                                        ; implicit-def: $vgpr6
.LBB505_963:
	s_delay_alu instid0(SALU_CYCLE_1)
	s_and_not1_b32 vcc_lo, exec_lo, s7
	s_cbranch_vccnz .LBB505_965
; %bb.964:
	global_load_b64 v[5:6], v[1:2], off
.LBB505_965:
	s_mov_b32 s7, 0
.LBB505_966:
	s_delay_alu instid0(SALU_CYCLE_1)
	s_and_not1_b32 vcc_lo, exec_lo, s7
	s_cbranch_vccnz .LBB505_968
; %bb.967:
	global_load_b32 v3, v[1:2], off
	s_waitcnt vmcnt(0)
	v_lshrrev_b32_e32 v4, 16, v3
	v_cvt_f32_f16_e32 v5, v3
	s_delay_alu instid0(VALU_DEP_2)
	v_cvt_f32_f16_e32 v6, v4
.LBB505_968:
	s_cbranch_execnz .LBB505_980
.LBB505_969:
	v_cmp_gt_i16_e32 vcc_lo, 6, v7
	s_cbranch_vccnz .LBB505_972
; %bb.970:
	v_cmp_lt_i16_e32 vcc_lo, 6, v7
	s_cbranch_vccz .LBB505_973
; %bb.971:
	global_load_b64 v[3:4], v[1:2], off
	s_mov_b32 s11, 0
	s_mov_b32 s7, 0
	s_waitcnt vmcnt(0)
	v_cvt_f32_f64_e32 v5, v[3:4]
	s_branch .LBB505_974
.LBB505_972:
	s_mov_b32 s11, -1
                                        ; implicit-def: $sgpr7
                                        ; implicit-def: $vgpr5
	s_branch .LBB505_977
.LBB505_973:
	s_mov_b32 s11, -1
                                        ; implicit-def: $sgpr7
                                        ; implicit-def: $vgpr5
.LBB505_974:
	s_delay_alu instid0(SALU_CYCLE_1)
	s_and_not1_b32 vcc_lo, exec_lo, s11
	s_cbranch_vccnz .LBB505_976
; %bb.975:
	global_load_b32 v5, v[1:2], off
	s_mov_b32 s7, 0
.LBB505_976:
	s_mov_b32 s11, 0
.LBB505_977:
	s_delay_alu instid0(SALU_CYCLE_1)
	s_and_not1_b32 vcc_lo, exec_lo, s11
	s_cbranch_vccnz .LBB505_979
; %bb.978:
	global_load_u16 v3, v[1:2], off
	s_mov_b32 s7, 0
	s_waitcnt vmcnt(0)
	v_cvt_f32_f16_e32 v5, v3
.LBB505_979:
	s_waitcnt vmcnt(0)
	v_mov_b32_e32 v6, s7
.LBB505_980:
	s_cbranch_execnz .LBB505_1000
.LBB505_981:
	v_cmp_gt_i16_e32 vcc_lo, 2, v7
	s_cbranch_vccnz .LBB505_985
; %bb.982:
	v_cmp_gt_i16_e32 vcc_lo, 3, v7
	s_cbranch_vccnz .LBB505_986
; %bb.983:
	v_cmp_lt_i16_e32 vcc_lo, 3, v7
	s_cbranch_vccz .LBB505_987
; %bb.984:
	global_load_b64 v[3:4], v[1:2], off
	s_mov_b32 s11, 0
	s_mov_b32 s7, 0
	s_waitcnt vmcnt(0)
	v_xor_b32_e32 v5, v3, v4
	v_cls_i32_e32 v6, v4
	s_delay_alu instid0(VALU_DEP_2) | instskip(NEXT) | instid1(VALU_DEP_2)
	v_ashrrev_i32_e32 v5, 31, v5
	v_add_nc_u32_e32 v6, -1, v6
	s_delay_alu instid0(VALU_DEP_2) | instskip(NEXT) | instid1(VALU_DEP_1)
	v_add_nc_u32_e32 v5, 32, v5
	v_min_u32_e32 v5, v6, v5
	s_delay_alu instid0(VALU_DEP_1) | instskip(NEXT) | instid1(VALU_DEP_1)
	v_lshlrev_b64 v[3:4], v5, v[3:4]
	v_min_u32_e32 v3, 1, v3
	s_delay_alu instid0(VALU_DEP_1) | instskip(SKIP_1) | instid1(VALU_DEP_2)
	v_or_b32_e32 v3, v4, v3
	v_sub_nc_u32_e32 v4, 32, v5
	v_cvt_f32_i32_e32 v3, v3
	s_delay_alu instid0(VALU_DEP_1)
	v_ldexp_f32 v5, v3, v4
	s_branch .LBB505_988
.LBB505_985:
                                        ; implicit-def: $sgpr7
                                        ; implicit-def: $vgpr5
	s_branch .LBB505_994
.LBB505_986:
	s_mov_b32 s11, -1
                                        ; implicit-def: $sgpr7
                                        ; implicit-def: $vgpr5
	s_branch .LBB505_991
.LBB505_987:
	s_mov_b32 s11, -1
                                        ; implicit-def: $sgpr7
                                        ; implicit-def: $vgpr5
.LBB505_988:
	s_delay_alu instid0(SALU_CYCLE_1)
	s_and_not1_b32 vcc_lo, exec_lo, s11
	s_cbranch_vccnz .LBB505_990
; %bb.989:
	global_load_b32 v3, v[1:2], off
	s_mov_b32 s7, 0
	s_waitcnt vmcnt(0)
	v_cvt_f32_i32_e32 v5, v3
.LBB505_990:
	s_mov_b32 s11, 0
.LBB505_991:
	s_delay_alu instid0(SALU_CYCLE_1)
	s_and_not1_b32 vcc_lo, exec_lo, s11
	s_cbranch_vccnz .LBB505_993
; %bb.992:
	global_load_i16 v3, v[1:2], off
	s_mov_b32 s7, 0
	s_waitcnt vmcnt(0)
	v_cvt_f32_i32_e32 v5, v3
.LBB505_993:
	s_cbranch_execnz .LBB505_999
.LBB505_994:
	v_cmp_lt_i16_e32 vcc_lo, 0, v7
	s_mov_b32 s11, 0
	s_cbranch_vccz .LBB505_996
; %bb.995:
	global_load_i8 v3, v[1:2], off
	s_mov_b32 s7, 0
	s_waitcnt vmcnt(0)
	v_cvt_f32_i32_e32 v5, v3
	s_branch .LBB505_997
.LBB505_996:
	s_mov_b32 s11, -1
                                        ; implicit-def: $sgpr7
                                        ; implicit-def: $vgpr5
.LBB505_997:
	s_delay_alu instid0(SALU_CYCLE_1)
	s_and_not1_b32 vcc_lo, exec_lo, s11
	s_cbranch_vccnz .LBB505_999
; %bb.998:
	global_load_u8 v1, v[1:2], off
	s_mov_b32 s7, 0
	s_waitcnt vmcnt(0)
	v_cvt_f32_ubyte0_e32 v5, v1
.LBB505_999:
	s_waitcnt vmcnt(0)
	v_mov_b32_e32 v6, s7
.LBB505_1000:
	s_or_b32 s2, s2, exec_lo
.LBB505_1001:
	s_or_b32 exec_lo, exec_lo, s6
	s_mov_b32 s11, 0
	s_mov_b32 s7, 0
                                        ; implicit-def: $vgpr7
                                        ; implicit-def: $vgpr3_vgpr4
                                        ; implicit-def: $vgpr2
	s_and_saveexec_b32 s6, s2
	s_cbranch_execz .LBB505_1086
; %bb.1002:
	v_mov_b32_e32 v1, s8
	s_mov_b32 s2, exec_lo
	s_waitcnt vmcnt(0)
	s_delay_alu instid0(VALU_DEP_2)
	v_cmpx_o_f32_e32 v5, v5
	s_cbranch_execz .LBB505_1006
; %bb.1003:
	v_mov_b32_e32 v1, s9
	s_mov_b32 s7, exec_lo
	v_cmpx_neq_f32_e32 0x7f800000, v5
; %bb.1004:
	v_cmp_eq_f32_e32 vcc_lo, 0xff800000, v5
	v_cndmask_b32_e64 v1, v5, s10, vcc_lo
; %bb.1005:
	s_or_b32 exec_lo, exec_lo, s7
.LBB505_1006:
	s_delay_alu instid0(SALU_CYCLE_1) | instskip(SKIP_2) | instid1(VALU_DEP_4)
	s_or_b32 exec_lo, exec_lo, s2
	v_mov_b32_e32 v2, s8
	s_mov_b32 s2, exec_lo
	v_cmpx_o_f32_e32 v6, v6
	s_cbranch_execz .LBB505_1010
; %bb.1007:
	v_mov_b32_e32 v2, s9
	s_mov_b32 s7, exec_lo
	v_cmpx_neq_f32_e32 0x7f800000, v6
; %bb.1008:
	v_cmp_eq_f32_e32 vcc_lo, 0xff800000, v6
	v_cndmask_b32_e64 v2, v6, s10, vcc_lo
; %bb.1009:
	s_or_b32 exec_lo, exec_lo, s7
.LBB505_1010:
	s_delay_alu instid0(SALU_CYCLE_1) | instskip(SKIP_2) | instid1(VALU_DEP_1)
	s_or_b32 exec_lo, exec_lo, s2
	v_and_b32_e64 v7, 0xff, s34
	v_add_co_u32 v3, s2, s4, v0
	v_add_co_ci_u32_e64 v4, null, s5, 0, s2
	s_delay_alu instid0(VALU_DEP_3)
	v_cmp_gt_i16_e32 vcc_lo, 11, v7
	s_mov_b32 s8, 0
	s_mov_b32 s4, -1
	s_mov_b32 s2, s38
	s_cbranch_vccnz .LBB505_1085
; %bb.1011:
	v_cmp_lt_i16_e32 vcc_lo, 25, v7
	s_mov_b32 s2, s38
	s_cbranch_vccz .LBB505_1044
; %bb.1012:
	v_cmp_lt_i16_e32 vcc_lo, 28, v7
	s_mov_b32 s2, s38
	s_cbranch_vccz .LBB505_1028
	;; [unrolled: 4-line block ×4, first 2 shown]
; %bb.1015:
	v_cmp_eq_u16_e32 vcc_lo, 46, v7
	s_mov_b32 s2, -1
	s_cbranch_vccz .LBB505_1017
; %bb.1016:
	v_bfe_u32 v0, v2, 16, 1
	v_bfe_u32 v5, v1, 16, 1
	v_cmp_o_f32_e32 vcc_lo, v2, v2
	s_mov_b32 s2, 0
	s_delay_alu instid0(VALU_DEP_3) | instskip(NEXT) | instid1(VALU_DEP_3)
	v_add3_u32 v0, v2, v0, 0x7fff
	v_add3_u32 v5, v1, v5, 0x7fff
	s_delay_alu instid0(VALU_DEP_2) | instskip(NEXT) | instid1(VALU_DEP_2)
	v_and_b32_e32 v0, 0xffff0000, v0
	v_lshrrev_b32_e32 v5, 16, v5
	s_delay_alu instid0(VALU_DEP_2) | instskip(SKIP_1) | instid1(VALU_DEP_3)
	v_cndmask_b32_e32 v0, 0x7fc00000, v0, vcc_lo
	v_cmp_o_f32_e32 vcc_lo, v1, v1
	v_cndmask_b32_e32 v5, 0x7fc0, v5, vcc_lo
	s_delay_alu instid0(VALU_DEP_1)
	v_or_b32_e32 v0, v0, v5
	global_store_b32 v[3:4], v0, off
.LBB505_1017:
	s_mov_b32 s4, 0
.LBB505_1018:
	s_delay_alu instid0(SALU_CYCLE_1)
	s_and_b32 vcc_lo, exec_lo, s4
	s_cbranch_vccz .LBB505_1023
; %bb.1019:
	v_cmp_eq_u16_e32 vcc_lo, 44, v7
	s_mov_b32 s2, -1
	s_cbranch_vccz .LBB505_1023
; %bb.1020:
	v_bfe_u32 v5, v1, 23, 8
	v_mov_b32_e32 v0, 0xff
	s_mov_b32 s4, exec_lo
	s_delay_alu instid0(VALU_DEP_2)
	v_cmpx_ne_u32_e32 0xff, v5
; %bb.1021:
	v_and_b32_e32 v0, 0x400000, v1
	v_and_or_b32 v5, 0x3fffff, v1, v5
	s_delay_alu instid0(VALU_DEP_2) | instskip(NEXT) | instid1(VALU_DEP_2)
	v_cmp_ne_u32_e32 vcc_lo, 0, v0
	v_cmp_ne_u32_e64 s2, 0, v5
	v_lshrrev_b32_e32 v0, 23, v1
	s_delay_alu instid0(VALU_DEP_2) | instskip(NEXT) | instid1(SALU_CYCLE_1)
	s_and_b32 s2, vcc_lo, s2
	v_cndmask_b32_e64 v5, 0, 1, s2
	s_delay_alu instid0(VALU_DEP_1)
	v_add_nc_u32_e32 v0, v0, v5
; %bb.1022:
	s_or_b32 exec_lo, exec_lo, s4
	s_mov_b32 s2, 0
	global_store_b8 v[3:4], v0, off
.LBB505_1023:
	s_mov_b32 s4, 0
.LBB505_1024:
	s_delay_alu instid0(SALU_CYCLE_1)
	s_and_b32 vcc_lo, exec_lo, s4
	s_cbranch_vccz .LBB505_1027
; %bb.1025:
	v_cmp_eq_u16_e32 vcc_lo, 29, v7
	s_mov_b32 s2, -1
	s_cbranch_vccz .LBB505_1027
; %bb.1026:
	v_trunc_f32_e32 v0, v1
	s_mov_b32 s2, 0
	s_delay_alu instid0(VALU_DEP_1) | instskip(NEXT) | instid1(VALU_DEP_1)
	v_mul_f32_e32 v5, 0x2f800000, v0
	v_floor_f32_e32 v5, v5
	s_delay_alu instid0(VALU_DEP_1) | instskip(SKIP_1) | instid1(VALU_DEP_2)
	v_fmamk_f32 v0, v5, 0xcf800000, v0
	v_cvt_u32_f32_e32 v6, v5
	v_cvt_u32_f32_e32 v5, v0
	global_store_b64 v[3:4], v[5:6], off
.LBB505_1027:
	s_mov_b32 s4, 0
.LBB505_1028:
	s_delay_alu instid0(SALU_CYCLE_1)
	s_and_b32 vcc_lo, exec_lo, s4
	s_cbranch_vccz .LBB505_1043
; %bb.1029:
	v_cmp_gt_i16_e32 vcc_lo, 27, v7
	s_mov_b32 s4, -1
	s_cbranch_vccnz .LBB505_1035
; %bb.1030:
	v_cmp_lt_i16_e32 vcc_lo, 27, v7
	v_cvt_u32_f32_e32 v0, v1
	s_cbranch_vccz .LBB505_1032
; %bb.1031:
	s_mov_b32 s4, 0
	global_store_b32 v[3:4], v0, off
.LBB505_1032:
	s_and_not1_b32 vcc_lo, exec_lo, s4
	s_cbranch_vccnz .LBB505_1034
; %bb.1033:
	global_store_b16 v[3:4], v0, off
.LBB505_1034:
	s_mov_b32 s4, 0
.LBB505_1035:
	s_delay_alu instid0(SALU_CYCLE_1)
	s_and_not1_b32 vcc_lo, exec_lo, s4
	s_cbranch_vccnz .LBB505_1043
; %bb.1036:
	v_and_b32_e32 v0, 0x7fffffff, v1
	v_mov_b32_e32 v5, 0x80
	s_mov_b32 s4, exec_lo
	s_delay_alu instid0(VALU_DEP_2)
	v_cmpx_gt_u32_e32 0x43800000, v0
	s_cbranch_execz .LBB505_1042
; %bb.1037:
	v_cmp_lt_u32_e32 vcc_lo, 0x3bffffff, v0
	s_mov_b32 s5, 0
                                        ; implicit-def: $vgpr0
	s_and_saveexec_b32 s7, vcc_lo
	s_delay_alu instid0(SALU_CYCLE_1)
	s_xor_b32 s7, exec_lo, s7
	s_cbranch_execz .LBB505_1345
; %bb.1038:
	v_bfe_u32 v0, v1, 20, 1
	s_mov_b32 s5, exec_lo
	s_delay_alu instid0(VALU_DEP_1) | instskip(NEXT) | instid1(VALU_DEP_1)
	v_add3_u32 v0, v1, v0, 0x487ffff
	v_lshrrev_b32_e32 v0, 20, v0
	s_or_saveexec_b32 s7, s7
                                        ; implicit-def: $sgpr8
	s_delay_alu instid0(SALU_CYCLE_1)
	s_xor_b32 exec_lo, exec_lo, s7
	s_cbranch_execnz .LBB505_1346
.LBB505_1039:
	s_or_b32 exec_lo, exec_lo, s7
	v_mov_b32_e32 v5, s8
	s_and_saveexec_b32 s7, s5
.LBB505_1040:
	v_lshrrev_b32_e32 v5, 24, v1
	s_delay_alu instid0(VALU_DEP_1)
	v_and_or_b32 v5, 0x80, v5, v0
.LBB505_1041:
	s_or_b32 exec_lo, exec_lo, s7
.LBB505_1042:
	s_delay_alu instid0(SALU_CYCLE_1)
	s_or_b32 exec_lo, exec_lo, s4
	global_store_b8 v[3:4], v5, off
.LBB505_1043:
	s_mov_b32 s4, 0
.LBB505_1044:
	s_delay_alu instid0(SALU_CYCLE_1)
	s_and_b32 vcc_lo, exec_lo, s4
	s_mov_b32 s4, 0
	s_cbranch_vccz .LBB505_1084
; %bb.1045:
	v_cmp_lt_i16_e32 vcc_lo, 22, v7
	s_mov_b32 s5, -1
	s_cbranch_vccz .LBB505_1077
; %bb.1046:
	v_cmp_gt_i16_e32 vcc_lo, 24, v7
	s_cbranch_vccnz .LBB505_1066
; %bb.1047:
	v_cmp_lt_i16_e32 vcc_lo, 24, v7
	s_cbranch_vccz .LBB505_1055
; %bb.1048:
	v_and_b32_e32 v0, 0x7fffffff, v1
	v_mov_b32_e32 v5, 0x80
	s_mov_b32 s5, exec_lo
	s_delay_alu instid0(VALU_DEP_2)
	v_cmpx_gt_u32_e32 0x47800000, v0
	s_cbranch_execz .LBB505_1054
; %bb.1049:
	v_cmp_lt_u32_e32 vcc_lo, 0x37ffffff, v0
	s_mov_b32 s7, 0
                                        ; implicit-def: $vgpr0
	s_and_saveexec_b32 s8, vcc_lo
	s_delay_alu instid0(SALU_CYCLE_1)
	s_xor_b32 s8, exec_lo, s8
	s_cbranch_execz .LBB505_1390
; %bb.1050:
	v_bfe_u32 v0, v1, 21, 1
	s_mov_b32 s7, exec_lo
	s_delay_alu instid0(VALU_DEP_1) | instskip(NEXT) | instid1(VALU_DEP_1)
	v_add3_u32 v0, v1, v0, 0x88fffff
	v_lshrrev_b32_e32 v0, 21, v0
	s_or_saveexec_b32 s8, s8
                                        ; implicit-def: $sgpr9
	s_delay_alu instid0(SALU_CYCLE_1)
	s_xor_b32 exec_lo, exec_lo, s8
	s_cbranch_execnz .LBB505_1391
.LBB505_1051:
	s_or_b32 exec_lo, exec_lo, s8
	v_mov_b32_e32 v5, s9
	s_and_saveexec_b32 s8, s7
.LBB505_1052:
	v_lshrrev_b32_e32 v5, 24, v1
	s_delay_alu instid0(VALU_DEP_1)
	v_and_or_b32 v5, 0x80, v5, v0
.LBB505_1053:
	s_or_b32 exec_lo, exec_lo, s8
.LBB505_1054:
	s_delay_alu instid0(SALU_CYCLE_1)
	s_or_b32 exec_lo, exec_lo, s5
	s_mov_b32 s5, 0
	global_store_b8 v[3:4], v5, off
.LBB505_1055:
	s_and_b32 vcc_lo, exec_lo, s5
	s_cbranch_vccz .LBB505_1065
; %bb.1056:
	v_and_b32_e32 v5, 0x7fffffff, v1
	s_mov_b32 s5, exec_lo
                                        ; implicit-def: $vgpr0
	s_delay_alu instid0(VALU_DEP_1)
	v_cmpx_gt_u32_e32 0x43f00000, v5
	s_xor_b32 s5, exec_lo, s5
	s_cbranch_execz .LBB505_1062
; %bb.1057:
	s_mov_b32 s7, exec_lo
                                        ; implicit-def: $vgpr0
	v_cmpx_lt_u32_e32 0x3c7fffff, v5
	s_xor_b32 s7, exec_lo, s7
; %bb.1058:
	v_bfe_u32 v0, v1, 20, 1
	s_delay_alu instid0(VALU_DEP_1) | instskip(NEXT) | instid1(VALU_DEP_1)
	v_add3_u32 v0, v1, v0, 0x407ffff
	v_and_b32_e32 v5, 0xff00000, v0
	v_lshrrev_b32_e32 v0, 20, v0
	s_delay_alu instid0(VALU_DEP_2) | instskip(NEXT) | instid1(VALU_DEP_2)
	v_cmp_ne_u32_e32 vcc_lo, 0x7f00000, v5
	v_cndmask_b32_e32 v0, 0x7e, v0, vcc_lo
; %bb.1059:
	s_and_not1_saveexec_b32 s7, s7
; %bb.1060:
	v_add_f32_e64 v0, 0x46800000, |v1|
; %bb.1061:
	s_or_b32 exec_lo, exec_lo, s7
                                        ; implicit-def: $vgpr5
.LBB505_1062:
	s_and_not1_saveexec_b32 s5, s5
; %bb.1063:
	v_mov_b32_e32 v0, 0x7f
	v_cmp_lt_u32_e32 vcc_lo, 0x7f800000, v5
	s_delay_alu instid0(VALU_DEP_2)
	v_cndmask_b32_e32 v0, 0x7e, v0, vcc_lo
; %bb.1064:
	s_or_b32 exec_lo, exec_lo, s5
	v_lshrrev_b32_e32 v5, 24, v1
	s_delay_alu instid0(VALU_DEP_1)
	v_and_or_b32 v0, 0x80, v5, v0
	global_store_b8 v[3:4], v0, off
.LBB505_1065:
	s_mov_b32 s5, 0
.LBB505_1066:
	s_delay_alu instid0(SALU_CYCLE_1)
	s_and_not1_b32 vcc_lo, exec_lo, s5
	s_cbranch_vccnz .LBB505_1076
; %bb.1067:
	v_and_b32_e32 v5, 0x7fffffff, v1
	s_mov_b32 s5, exec_lo
                                        ; implicit-def: $vgpr0
	s_delay_alu instid0(VALU_DEP_1)
	v_cmpx_gt_u32_e32 0x47800000, v5
	s_xor_b32 s5, exec_lo, s5
	s_cbranch_execz .LBB505_1073
; %bb.1068:
	s_mov_b32 s7, exec_lo
                                        ; implicit-def: $vgpr0
	v_cmpx_lt_u32_e32 0x387fffff, v5
	s_xor_b32 s7, exec_lo, s7
; %bb.1069:
	v_bfe_u32 v0, v1, 21, 1
	s_delay_alu instid0(VALU_DEP_1) | instskip(NEXT) | instid1(VALU_DEP_1)
	v_add3_u32 v0, v1, v0, 0x80fffff
	v_lshrrev_b32_e32 v0, 21, v0
; %bb.1070:
	s_and_not1_saveexec_b32 s7, s7
; %bb.1071:
	v_add_f32_e64 v0, 0x43000000, |v1|
; %bb.1072:
	s_or_b32 exec_lo, exec_lo, s7
                                        ; implicit-def: $vgpr5
.LBB505_1073:
	s_and_not1_saveexec_b32 s5, s5
; %bb.1074:
	v_mov_b32_e32 v0, 0x7f
	v_cmp_lt_u32_e32 vcc_lo, 0x7f800000, v5
	s_delay_alu instid0(VALU_DEP_2)
	v_cndmask_b32_e32 v0, 0x7c, v0, vcc_lo
; %bb.1075:
	s_or_b32 exec_lo, exec_lo, s5
	v_lshrrev_b32_e32 v5, 24, v1
	s_delay_alu instid0(VALU_DEP_1)
	v_and_or_b32 v0, 0x80, v5, v0
	global_store_b8 v[3:4], v0, off
.LBB505_1076:
	s_mov_b32 s5, 0
.LBB505_1077:
	s_delay_alu instid0(SALU_CYCLE_1)
	s_and_not1_b32 vcc_lo, exec_lo, s5
	s_mov_b32 s8, 0
	s_cbranch_vccnz .LBB505_1085
; %bb.1078:
	v_cmp_lt_i16_e32 vcc_lo, 14, v7
	s_mov_b32 s5, -1
	s_cbranch_vccz .LBB505_1082
; %bb.1079:
	v_cmp_eq_u16_e32 vcc_lo, 15, v7
	s_mov_b32 s2, -1
	s_cbranch_vccz .LBB505_1081
; %bb.1080:
	v_bfe_u32 v0, v1, 16, 1
	v_cmp_o_f32_e32 vcc_lo, v1, v1
	s_mov_b32 s2, 0
	s_delay_alu instid0(VALU_DEP_2) | instskip(NEXT) | instid1(VALU_DEP_1)
	v_add3_u32 v0, v1, v0, 0x7fff
	v_lshrrev_b32_e32 v0, 16, v0
	s_delay_alu instid0(VALU_DEP_1)
	v_cndmask_b32_e32 v0, 0x7fc0, v0, vcc_lo
	global_store_b16 v[3:4], v0, off
.LBB505_1081:
	s_mov_b32 s5, 0
.LBB505_1082:
	s_delay_alu instid0(SALU_CYCLE_1)
	s_and_b32 vcc_lo, exec_lo, s5
	s_cbranch_vccz .LBB505_1085
; %bb.1083:
	v_cmp_ne_u16_e32 vcc_lo, 11, v7
	s_and_not1_b32 s2, s2, exec_lo
	s_mov_b32 s8, -1
	s_and_b32 s5, vcc_lo, exec_lo
	s_delay_alu instid0(SALU_CYCLE_1)
	s_or_b32 s2, s2, s5
	s_branch .LBB505_1085
.LBB505_1084:
	s_mov_b32 s8, 0
.LBB505_1085:
	s_and_b32 s7, s4, exec_lo
	s_and_not1_b32 s4, s38, exec_lo
	s_and_b32 s2, s2, exec_lo
	s_and_b32 s11, s8, exec_lo
	s_or_b32 s38, s4, s2
.LBB505_1086:
	s_or_b32 exec_lo, exec_lo, s6
	s_and_saveexec_b32 s2, s38
	s_cbranch_execnz .LBB505_1201
; %bb.1087:
	s_or_b32 exec_lo, exec_lo, s2
	s_and_saveexec_b32 s2, s11
	s_delay_alu instid0(SALU_CYCLE_1)
	s_xor_b32 s4, exec_lo, s2
	s_cbranch_execz .LBB505_1089
.LBB505_1088:
	v_cmp_neq_f32_e32 vcc_lo, 0, v1
	v_cmp_neq_f32_e64 s2, 0, v2
	s_delay_alu instid0(VALU_DEP_1) | instskip(NEXT) | instid1(SALU_CYCLE_1)
	s_or_b32 s2, vcc_lo, s2
	v_cndmask_b32_e64 v0, 0, 1, s2
	s_waitcnt vmcnt(0)
	global_store_b8 v[3:4], v0, off
.LBB505_1089:
	s_or_b32 exec_lo, exec_lo, s4
	s_and_saveexec_b32 s2, s7
	s_delay_alu instid0(SALU_CYCLE_1)
	s_xor_b32 s2, exec_lo, s2
	s_cbranch_execz .LBB505_1127
; %bb.1090:
	v_cmp_gt_i16_e32 vcc_lo, 5, v7
	s_mov_b32 s4, -1
	s_cbranch_vccnz .LBB505_1111
; %bb.1091:
	v_cmp_gt_i16_e32 vcc_lo, 8, v7
	s_cbranch_vccnz .LBB505_1101
; %bb.1092:
	v_cmp_gt_i16_e32 vcc_lo, 9, v7
	s_cbranch_vccnz .LBB505_1098
; %bb.1093:
	v_cmp_lt_i16_e32 vcc_lo, 9, v7
	s_cbranch_vccz .LBB505_1095
; %bb.1094:
	v_cvt_f64_f32_e32 v[8:9], v1
	v_cvt_f64_f32_e32 v[10:11], v2
	s_mov_b32 s4, 0
	s_waitcnt vmcnt(0)
	global_store_b128 v[3:4], v[8:11], off
.LBB505_1095:
	s_and_not1_b32 vcc_lo, exec_lo, s4
	s_cbranch_vccnz .LBB505_1097
; %bb.1096:
	s_waitcnt vmcnt(0)
	global_store_b64 v[3:4], v[1:2], off
.LBB505_1097:
	s_mov_b32 s4, 0
.LBB505_1098:
	s_delay_alu instid0(SALU_CYCLE_1)
	s_and_not1_b32 vcc_lo, exec_lo, s4
	s_cbranch_vccnz .LBB505_1100
; %bb.1099:
	v_cvt_f16_f32_e32 v0, v2
	v_cvt_f16_f32_e32 v2, v1
	s_delay_alu instid0(VALU_DEP_2) | instskip(NEXT) | instid1(VALU_DEP_2)
	v_lshlrev_b32_e32 v0, 16, v0
	v_and_b32_e32 v2, 0xffff, v2
	s_delay_alu instid0(VALU_DEP_1)
	v_or_b32_e32 v0, v0, v2
	s_waitcnt vmcnt(0)
	global_store_b32 v[3:4], v0, off
.LBB505_1100:
	s_mov_b32 s4, 0
.LBB505_1101:
	s_delay_alu instid0(SALU_CYCLE_1)
	s_and_not1_b32 vcc_lo, exec_lo, s4
	s_cbranch_vccnz .LBB505_1110
; %bb.1102:
	v_cmp_gt_i16_e32 vcc_lo, 6, v7
	s_mov_b32 s4, -1
	s_cbranch_vccnz .LBB505_1108
; %bb.1103:
	v_cmp_lt_i16_e32 vcc_lo, 6, v7
	s_cbranch_vccz .LBB505_1105
; %bb.1104:
	s_waitcnt vmcnt(0)
	v_cvt_f64_f32_e32 v[5:6], v1
	s_mov_b32 s4, 0
	global_store_b64 v[3:4], v[5:6], off
.LBB505_1105:
	s_and_not1_b32 vcc_lo, exec_lo, s4
	s_cbranch_vccnz .LBB505_1107
; %bb.1106:
	s_waitcnt vmcnt(0)
	global_store_b32 v[3:4], v1, off
.LBB505_1107:
	s_mov_b32 s4, 0
.LBB505_1108:
	s_delay_alu instid0(SALU_CYCLE_1)
	s_and_not1_b32 vcc_lo, exec_lo, s4
	s_cbranch_vccnz .LBB505_1110
; %bb.1109:
	v_cvt_f16_f32_e32 v0, v1
	s_waitcnt vmcnt(0)
	global_store_b16 v[3:4], v0, off
.LBB505_1110:
	s_mov_b32 s4, 0
.LBB505_1111:
	s_delay_alu instid0(SALU_CYCLE_1)
	s_and_not1_b32 vcc_lo, exec_lo, s4
	s_cbranch_vccnz .LBB505_1127
; %bb.1112:
	v_cmp_gt_i16_e32 vcc_lo, 2, v7
	s_mov_b32 s4, -1
	s_cbranch_vccnz .LBB505_1122
; %bb.1113:
	v_cmp_gt_i16_e32 vcc_lo, 3, v7
	s_cbranch_vccnz .LBB505_1119
; %bb.1114:
	v_cmp_lt_i16_e32 vcc_lo, 3, v7
	s_cbranch_vccz .LBB505_1116
; %bb.1115:
	v_trunc_f32_e32 v0, v1
	s_mov_b32 s4, 0
	s_delay_alu instid0(VALU_DEP_1) | instskip(NEXT) | instid1(VALU_DEP_1)
	v_mul_f32_e64 v2, 0x2f800000, |v0|
	v_floor_f32_e32 v2, v2
	s_waitcnt vmcnt(0)
	s_delay_alu instid0(VALU_DEP_1) | instskip(SKIP_2) | instid1(VALU_DEP_3)
	v_fma_f32 v5, 0xcf800000, v2, |v0|
	v_ashrrev_i32_e32 v0, 31, v0
	v_cvt_u32_f32_e32 v2, v2
	v_cvt_u32_f32_e32 v5, v5
	s_delay_alu instid0(VALU_DEP_2) | instskip(NEXT) | instid1(VALU_DEP_2)
	v_xor_b32_e32 v2, v2, v0
	v_xor_b32_e32 v5, v5, v0
	s_delay_alu instid0(VALU_DEP_1) | instskip(NEXT) | instid1(VALU_DEP_3)
	v_sub_co_u32 v5, vcc_lo, v5, v0
	v_sub_co_ci_u32_e32 v6, vcc_lo, v2, v0, vcc_lo
	global_store_b64 v[3:4], v[5:6], off
.LBB505_1116:
	s_and_not1_b32 vcc_lo, exec_lo, s4
	s_cbranch_vccnz .LBB505_1118
; %bb.1117:
	v_cvt_i32_f32_e32 v0, v1
	s_waitcnt vmcnt(0)
	global_store_b32 v[3:4], v0, off
.LBB505_1118:
	s_mov_b32 s4, 0
.LBB505_1119:
	s_delay_alu instid0(SALU_CYCLE_1)
	s_and_not1_b32 vcc_lo, exec_lo, s4
	s_cbranch_vccnz .LBB505_1121
; %bb.1120:
	v_cvt_i32_f32_e32 v0, v1
	s_waitcnt vmcnt(0)
	global_store_b16 v[3:4], v0, off
.LBB505_1121:
	s_mov_b32 s4, 0
.LBB505_1122:
	s_delay_alu instid0(SALU_CYCLE_1)
	s_and_not1_b32 vcc_lo, exec_lo, s4
	s_cbranch_vccnz .LBB505_1127
; %bb.1123:
	v_cmp_lt_i16_e32 vcc_lo, 0, v7
	s_mov_b32 s4, -1
	s_cbranch_vccz .LBB505_1125
; %bb.1124:
	v_cvt_i32_f32_e32 v0, v1
	s_mov_b32 s4, 0
	s_waitcnt vmcnt(0)
	global_store_b8 v[3:4], v0, off
.LBB505_1125:
	s_and_not1_b32 vcc_lo, exec_lo, s4
	s_cbranch_vccnz .LBB505_1127
; %bb.1126:
	v_trunc_f32_e32 v0, v1
	s_delay_alu instid0(VALU_DEP_1) | instskip(NEXT) | instid1(VALU_DEP_1)
	v_mul_f32_e64 v1, 0x2f800000, |v0|
	v_floor_f32_e32 v1, v1
	s_delay_alu instid0(VALU_DEP_1) | instskip(SKIP_1) | instid1(VALU_DEP_2)
	v_fma_f32 v1, 0xcf800000, v1, |v0|
	v_ashrrev_i32_e32 v0, 31, v0
	v_cvt_u32_f32_e32 v1, v1
	s_delay_alu instid0(VALU_DEP_1) | instskip(NEXT) | instid1(VALU_DEP_1)
	v_xor_b32_e32 v1, v1, v0
	v_sub_nc_u32_e32 v0, v1, v0
	s_waitcnt vmcnt(0)
	global_store_b8 v[3:4], v0, off
.LBB505_1127:
	s_or_b32 exec_lo, exec_lo, s2
	s_delay_alu instid0(SALU_CYCLE_1)
	s_and_b32 s8, s3, exec_lo
                                        ; implicit-def: $vgpr7
                                        ; implicit-def: $vgpr5
.LBB505_1128:
	s_or_saveexec_b32 s9, s33
	s_mov_b32 s3, 0
                                        ; implicit-def: $vgpr0_vgpr1
                                        ; implicit-def: $sgpr2
                                        ; implicit-def: $vgpr11
	s_xor_b32 exec_lo, exec_lo, s9
	s_cbranch_execz .LBB505_1773
; %bb.1129:
	v_cndmask_b32_e64 v0, 0, 1, s31
	s_and_not1_b32 vcc_lo, exec_lo, s31
	s_cbranch_vccnz .LBB505_1135
; %bb.1130:
	s_waitcnt vmcnt(0)
	v_dual_mov_b32 v3, 0 :: v_dual_mov_b32 v4, 0
	s_cmp_lg_u32 s28, 0
	s_mov_b32 s6, 0
	s_cbranch_scc0 .LBB505_1139
; %bb.1131:
	s_min_u32 s7, s29, 15
	v_mov_b32_e32 v3, 0
	s_add_i32 s7, s7, 1
	s_cmp_eq_u32 s29, 2
	s_mov_b32 s10, 0
	s_cbranch_scc1 .LBB505_1136
; %bb.1132:
	v_dual_mov_b32 v4, 0 :: v_dual_mov_b32 v3, 0
	v_mov_b32_e32 v1, v5
	s_add_u32 s2, s20, 0xc4
	s_addc_u32 s3, s21, 0
	s_and_b32 s10, s7, 28
	s_mov_b32 s11, 0
	s_mov_b64 s[4:5], s[20:21]
.LBB505_1133:                           ; =>This Inner Loop Header: Depth=1
	s_clause 0x1
	s_load_b256 s[12:19], s[4:5], 0x4
	s_load_b128 s[24:27], s[4:5], 0x24
	s_load_b256 s[36:43], s[2:3], 0x0
	s_add_u32 s4, s4, 48
	s_addc_u32 s5, s5, 0
	s_add_i32 s11, s11, 4
	s_add_u32 s2, s2, 32
	s_addc_u32 s3, s3, 0
	s_cmp_lg_u32 s10, s11
	s_waitcnt lgkmcnt(0)
	v_mul_hi_u32 v2, s13, v1
	s_delay_alu instid0(VALU_DEP_1) | instskip(NEXT) | instid1(VALU_DEP_1)
	v_add_nc_u32_e32 v2, v1, v2
	v_lshrrev_b32_e32 v2, s14, v2
	s_delay_alu instid0(VALU_DEP_1) | instskip(SKIP_1) | instid1(VALU_DEP_2)
	v_mul_hi_u32 v6, s16, v2
	v_mul_lo_u32 v9, v2, s12
	v_add_nc_u32_e32 v6, v2, v6
	s_delay_alu instid0(VALU_DEP_2) | instskip(NEXT) | instid1(VALU_DEP_2)
	v_sub_nc_u32_e32 v1, v1, v9
	v_lshrrev_b32_e32 v6, s17, v6
	s_delay_alu instid0(VALU_DEP_2) | instskip(SKIP_1) | instid1(VALU_DEP_3)
	v_mul_lo_u32 v9, v1, s36
	v_mul_lo_u32 v11, v1, s37
	v_mul_hi_u32 v8, s19, v6
	s_delay_alu instid0(VALU_DEP_1) | instskip(NEXT) | instid1(VALU_DEP_1)
	v_add_nc_u32_e32 v8, v6, v8
	v_lshrrev_b32_e32 v8, s24, v8
	s_delay_alu instid0(VALU_DEP_1) | instskip(SKIP_1) | instid1(VALU_DEP_2)
	v_mul_hi_u32 v10, s26, v8
	v_mul_lo_u32 v12, v8, s18
	v_add_nc_u32_e32 v1, v8, v10
	v_mul_lo_u32 v10, v6, s15
	s_delay_alu instid0(VALU_DEP_3) | instskip(NEXT) | instid1(VALU_DEP_3)
	v_sub_nc_u32_e32 v6, v6, v12
	v_lshrrev_b32_e32 v1, s27, v1
	s_delay_alu instid0(VALU_DEP_2) | instskip(SKIP_2) | instid1(VALU_DEP_4)
	v_mul_lo_u32 v12, v6, s40
	v_mul_lo_u32 v6, v6, s41
	v_sub_nc_u32_e32 v2, v2, v10
	v_mul_lo_u32 v13, v1, s25
	s_delay_alu instid0(VALU_DEP_2) | instskip(SKIP_1) | instid1(VALU_DEP_3)
	v_mul_lo_u32 v10, v2, s38
	v_mul_lo_u32 v2, v2, s39
	v_sub_nc_u32_e32 v8, v8, v13
	s_delay_alu instid0(VALU_DEP_3) | instskip(NEXT) | instid1(VALU_DEP_2)
	v_add3_u32 v3, v9, v3, v10
	v_mul_lo_u32 v13, v8, s42
	v_mul_lo_u32 v8, v8, s43
	v_add3_u32 v2, v11, v4, v2
	s_delay_alu instid0(VALU_DEP_3) | instskip(NEXT) | instid1(VALU_DEP_2)
	v_add3_u32 v3, v12, v3, v13
	v_add3_u32 v4, v6, v2, v8
	s_cbranch_scc1 .LBB505_1133
; %bb.1134:
	s_and_b32 s7, s7, 3
	s_delay_alu instid0(SALU_CYCLE_1)
	s_cmp_eq_u32 s7, 0
	s_cbranch_scc0 .LBB505_1137
	s_branch .LBB505_1139
.LBB505_1135:
	s_mov_b32 s6, -1
                                        ; implicit-def: $vgpr3
                                        ; implicit-def: $vgpr4
	s_branch .LBB505_1139
.LBB505_1136:
	v_dual_mov_b32 v1, v5 :: v_dual_mov_b32 v4, 0
	s_and_b32 s7, s7, 3
	s_delay_alu instid0(SALU_CYCLE_1)
	s_cmp_eq_u32 s7, 0
	s_cbranch_scc1 .LBB505_1139
.LBB505_1137:
	s_lshl_b32 s2, s10, 3
	s_mul_i32 s4, s10, 12
	s_add_u32 s2, s2, s20
	s_addc_u32 s3, 0, s21
	s_add_u32 s2, s2, 0xc4
	s_addc_u32 s3, s3, 0
	;; [unrolled: 2-line block ×3, first 2 shown]
	.p2align	6
.LBB505_1138:                           ; =>This Inner Loop Header: Depth=1
	s_clause 0x1
	s_load_b64 s[10:11], s[4:5], 0x4
	s_load_b32 s14, s[4:5], 0xc
	s_load_b64 s[12:13], s[2:3], 0x0
	s_add_u32 s4, s4, 12
	s_addc_u32 s5, s5, 0
	s_add_u32 s2, s2, 8
	s_addc_u32 s3, s3, 0
	s_add_i32 s7, s7, -1
	s_delay_alu instid0(SALU_CYCLE_1) | instskip(SKIP_2) | instid1(VALU_DEP_1)
	s_cmp_lg_u32 s7, 0
	s_waitcnt lgkmcnt(0)
	v_mul_hi_u32 v2, s11, v1
	v_add_nc_u32_e32 v2, v1, v2
	s_delay_alu instid0(VALU_DEP_1) | instskip(NEXT) | instid1(VALU_DEP_1)
	v_lshrrev_b32_e32 v6, s14, v2
	v_mul_lo_u32 v2, v6, s10
	s_delay_alu instid0(VALU_DEP_1) | instskip(NEXT) | instid1(VALU_DEP_1)
	v_sub_nc_u32_e32 v1, v1, v2
	v_mad_u64_u32 v[8:9], null, v1, s12, v[3:4]
	v_mad_u64_u32 v[2:3], null, v1, s13, v[4:5]
	v_mov_b32_e32 v1, v6
	s_delay_alu instid0(VALU_DEP_2)
	v_dual_mov_b32 v3, v8 :: v_dual_mov_b32 v4, v2
	s_cbranch_scc1 .LBB505_1138
.LBB505_1139:
	s_and_not1_b32 vcc_lo, exec_lo, s6
	s_cbranch_vccnz .LBB505_1142
; %bb.1140:
	s_clause 0x1
	s_load_b128 s[4:7], s[20:21], 0x4
	s_load_b64 s[2:3], s[20:21], 0xc4
	s_cmp_lt_u32 s28, 2
	s_waitcnt vmcnt(0) lgkmcnt(0)
	v_mul_hi_u32 v1, s5, v5
	s_delay_alu instid0(VALU_DEP_1) | instskip(NEXT) | instid1(VALU_DEP_1)
	v_add_nc_u32_e32 v1, v5, v1
	v_lshrrev_b32_e32 v1, s6, v1
	s_delay_alu instid0(VALU_DEP_1) | instskip(NEXT) | instid1(VALU_DEP_1)
	v_mul_lo_u32 v2, v1, s4
	v_sub_nc_u32_e32 v2, v5, v2
	s_delay_alu instid0(VALU_DEP_1)
	v_mul_lo_u32 v3, v2, s2
	v_mul_lo_u32 v4, v2, s3
	s_cbranch_scc1 .LBB505_1142
; %bb.1141:
	s_clause 0x1
	s_load_b128 s[4:7], s[20:21], 0x10
	s_load_b64 s[2:3], s[20:21], 0xcc
	s_waitcnt lgkmcnt(0)
	v_mul_hi_u32 v2, s5, v1
	s_delay_alu instid0(VALU_DEP_1) | instskip(NEXT) | instid1(VALU_DEP_1)
	v_add_nc_u32_e32 v2, v1, v2
	v_lshrrev_b32_e32 v2, s6, v2
	s_delay_alu instid0(VALU_DEP_1) | instskip(NEXT) | instid1(VALU_DEP_1)
	v_mul_lo_u32 v2, v2, s4
	v_sub_nc_u32_e32 v6, v1, v2
	s_delay_alu instid0(VALU_DEP_1) | instskip(SKIP_1) | instid1(VALU_DEP_1)
	v_mad_u64_u32 v[1:2], null, v6, s2, v[3:4]
	v_mad_u64_u32 v[2:3], null, v6, s3, v[4:5]
	v_dual_mov_b32 v3, v1 :: v_dual_mov_b32 v4, v2
.LBB505_1142:
	v_cmp_ne_u32_e32 vcc_lo, 1, v0
	s_waitcnt vmcnt(0)
	v_add_nc_u32_e32 v1, 0x80, v5
	s_cbranch_vccnz .LBB505_1148
; %bb.1143:
	v_mov_b32_e32 v2, 0
	v_mov_b32_e32 v6, 0
	s_cmp_lg_u32 s28, 0
	s_mov_b32 s6, 0
	s_cbranch_scc0 .LBB505_1152
; %bb.1144:
	s_min_u32 s7, s29, 15
	v_mov_b32_e32 v2, 0
	s_add_i32 s7, s7, 1
	s_cmp_eq_u32 s29, 2
	s_mov_b32 s10, 0
	s_cbranch_scc1 .LBB505_1149
; %bb.1145:
	v_mov_b32_e32 v6, 0
	v_mov_b32_e32 v2, 0
	;; [unrolled: 1-line block ×3, first 2 shown]
	s_add_u32 s2, s20, 0xc4
	s_addc_u32 s3, s21, 0
	s_and_b32 s10, s7, 28
	s_mov_b32 s11, 0
	s_mov_b64 s[4:5], s[20:21]
.LBB505_1146:                           ; =>This Inner Loop Header: Depth=1
	s_clause 0x1
	s_load_b256 s[12:19], s[4:5], 0x4
	s_load_b128 s[24:27], s[4:5], 0x24
	s_load_b256 s[36:43], s[2:3], 0x0
	s_add_u32 s4, s4, 48
	s_addc_u32 s5, s5, 0
	s_add_i32 s11, s11, 4
	s_add_u32 s2, s2, 32
	s_addc_u32 s3, s3, 0
	s_cmp_lg_u32 s10, s11
	s_waitcnt lgkmcnt(0)
	v_mul_hi_u32 v9, s13, v8
	s_delay_alu instid0(VALU_DEP_1) | instskip(NEXT) | instid1(VALU_DEP_1)
	v_add_nc_u32_e32 v9, v8, v9
	v_lshrrev_b32_e32 v9, s14, v9
	s_delay_alu instid0(VALU_DEP_1) | instskip(SKIP_1) | instid1(VALU_DEP_2)
	v_mul_hi_u32 v10, s16, v9
	v_mul_lo_u32 v12, v9, s12
	v_add_nc_u32_e32 v10, v9, v10
	s_delay_alu instid0(VALU_DEP_2) | instskip(NEXT) | instid1(VALU_DEP_2)
	v_sub_nc_u32_e32 v8, v8, v12
	v_lshrrev_b32_e32 v10, s17, v10
	s_delay_alu instid0(VALU_DEP_2) | instskip(SKIP_1) | instid1(VALU_DEP_3)
	v_mul_lo_u32 v12, v8, s36
	v_mul_lo_u32 v14, v8, s37
	v_mul_hi_u32 v11, s19, v10
	s_delay_alu instid0(VALU_DEP_1) | instskip(NEXT) | instid1(VALU_DEP_1)
	v_add_nc_u32_e32 v11, v10, v11
	v_lshrrev_b32_e32 v11, s24, v11
	s_delay_alu instid0(VALU_DEP_1) | instskip(SKIP_1) | instid1(VALU_DEP_2)
	v_mul_hi_u32 v13, s26, v11
	v_mul_lo_u32 v15, v11, s18
	v_add_nc_u32_e32 v8, v11, v13
	v_mul_lo_u32 v13, v10, s15
	s_delay_alu instid0(VALU_DEP_3) | instskip(NEXT) | instid1(VALU_DEP_3)
	v_sub_nc_u32_e32 v10, v10, v15
	v_lshrrev_b32_e32 v8, s27, v8
	s_delay_alu instid0(VALU_DEP_2) | instskip(SKIP_2) | instid1(VALU_DEP_4)
	v_mul_lo_u32 v15, v10, s40
	v_mul_lo_u32 v10, v10, s41
	v_sub_nc_u32_e32 v9, v9, v13
	v_mul_lo_u32 v16, v8, s25
	s_delay_alu instid0(VALU_DEP_2) | instskip(SKIP_1) | instid1(VALU_DEP_3)
	v_mul_lo_u32 v13, v9, s38
	v_mul_lo_u32 v9, v9, s39
	v_sub_nc_u32_e32 v11, v11, v16
	s_delay_alu instid0(VALU_DEP_3) | instskip(NEXT) | instid1(VALU_DEP_2)
	v_add3_u32 v2, v12, v2, v13
	v_mul_lo_u32 v16, v11, s42
	v_mul_lo_u32 v11, v11, s43
	v_add3_u32 v6, v14, v6, v9
	s_delay_alu instid0(VALU_DEP_3) | instskip(NEXT) | instid1(VALU_DEP_2)
	v_add3_u32 v2, v15, v2, v16
	v_add3_u32 v6, v10, v6, v11
	s_cbranch_scc1 .LBB505_1146
; %bb.1147:
	s_and_b32 s7, s7, 3
	s_delay_alu instid0(SALU_CYCLE_1)
	s_cmp_eq_u32 s7, 0
	s_cbranch_scc0 .LBB505_1150
	s_branch .LBB505_1152
.LBB505_1148:
	s_mov_b32 s6, -1
                                        ; implicit-def: $vgpr2
                                        ; implicit-def: $vgpr6
	s_branch .LBB505_1152
.LBB505_1149:
	v_mov_b32_e32 v8, v1
	v_mov_b32_e32 v6, 0
	s_and_b32 s7, s7, 3
	s_delay_alu instid0(SALU_CYCLE_1)
	s_cmp_eq_u32 s7, 0
	s_cbranch_scc1 .LBB505_1152
.LBB505_1150:
	s_lshl_b32 s2, s10, 3
	s_mul_i32 s4, s10, 12
	s_add_u32 s2, s2, s20
	s_addc_u32 s3, 0, s21
	s_add_u32 s2, s2, 0xc4
	s_addc_u32 s3, s3, 0
	;; [unrolled: 2-line block ×3, first 2 shown]
	.p2align	6
.LBB505_1151:                           ; =>This Inner Loop Header: Depth=1
	s_clause 0x1
	s_load_b64 s[10:11], s[4:5], 0x4
	s_load_b32 s14, s[4:5], 0xc
	s_load_b64 s[12:13], s[2:3], 0x0
	s_add_u32 s4, s4, 12
	s_addc_u32 s5, s5, 0
	s_add_u32 s2, s2, 8
	s_addc_u32 s3, s3, 0
	s_add_i32 s7, s7, -1
	s_delay_alu instid0(SALU_CYCLE_1) | instskip(SKIP_2) | instid1(VALU_DEP_1)
	s_cmp_lg_u32 s7, 0
	s_waitcnt lgkmcnt(0)
	v_mul_hi_u32 v9, s11, v8
	v_add_nc_u32_e32 v9, v8, v9
	s_delay_alu instid0(VALU_DEP_1) | instskip(NEXT) | instid1(VALU_DEP_1)
	v_lshrrev_b32_e32 v12, s14, v9
	v_mul_lo_u32 v9, v12, s10
	s_delay_alu instid0(VALU_DEP_1) | instskip(NEXT) | instid1(VALU_DEP_1)
	v_sub_nc_u32_e32 v8, v8, v9
	v_mad_u64_u32 v[9:10], null, v8, s12, v[2:3]
	v_mad_u64_u32 v[10:11], null, v8, s13, v[6:7]
	v_mov_b32_e32 v8, v12
	s_delay_alu instid0(VALU_DEP_3) | instskip(NEXT) | instid1(VALU_DEP_3)
	v_mov_b32_e32 v2, v9
	v_mov_b32_e32 v6, v10
	s_cbranch_scc1 .LBB505_1151
.LBB505_1152:
	s_and_not1_b32 vcc_lo, exec_lo, s6
	s_cbranch_vccnz .LBB505_1155
; %bb.1153:
	s_clause 0x1
	s_load_b128 s[4:7], s[20:21], 0x4
	s_load_b64 s[2:3], s[20:21], 0xc4
	s_cmp_lt_u32 s28, 2
	s_waitcnt lgkmcnt(0)
	v_mul_hi_u32 v2, s5, v1
	s_delay_alu instid0(VALU_DEP_1) | instskip(NEXT) | instid1(VALU_DEP_1)
	v_add_nc_u32_e32 v2, v1, v2
	v_lshrrev_b32_e32 v8, s6, v2
	s_delay_alu instid0(VALU_DEP_1) | instskip(NEXT) | instid1(VALU_DEP_1)
	v_mul_lo_u32 v2, v8, s4
	v_sub_nc_u32_e32 v1, v1, v2
	s_delay_alu instid0(VALU_DEP_1)
	v_mul_lo_u32 v2, v1, s2
	v_mul_lo_u32 v6, v1, s3
	s_cbranch_scc1 .LBB505_1155
; %bb.1154:
	s_clause 0x1
	s_load_b128 s[4:7], s[20:21], 0x10
	s_load_b64 s[2:3], s[20:21], 0xcc
	s_waitcnt lgkmcnt(0)
	v_mul_hi_u32 v1, s5, v8
	s_delay_alu instid0(VALU_DEP_1) | instskip(NEXT) | instid1(VALU_DEP_1)
	v_add_nc_u32_e32 v1, v8, v1
	v_lshrrev_b32_e32 v1, s6, v1
	s_delay_alu instid0(VALU_DEP_1) | instskip(NEXT) | instid1(VALU_DEP_1)
	v_mul_lo_u32 v1, v1, s4
	v_sub_nc_u32_e32 v10, v8, v1
	s_delay_alu instid0(VALU_DEP_1) | instskip(SKIP_1) | instid1(VALU_DEP_2)
	v_mad_u64_u32 v[8:9], null, v10, s2, v[2:3]
	v_mad_u64_u32 v[1:2], null, v10, s3, v[6:7]
	v_mov_b32_e32 v2, v8
	s_delay_alu instid0(VALU_DEP_2)
	v_mov_b32_e32 v6, v1
.LBB505_1155:
	v_cmp_ne_u32_e32 vcc_lo, 1, v0
	v_add_nc_u32_e32 v5, 0x100, v5
	s_cbranch_vccnz .LBB505_1161
; %bb.1156:
	v_dual_mov_b32 v1, 0 :: v_dual_mov_b32 v8, 0
	s_cmp_lg_u32 s28, 0
	s_mov_b32 s6, 0
	s_cbranch_scc0 .LBB505_1165
; %bb.1157:
	s_min_u32 s7, s29, 15
	v_mov_b32_e32 v1, 0
	s_add_i32 s7, s7, 1
	s_cmp_eq_u32 s29, 2
	s_mov_b32 s10, 0
	s_cbranch_scc1 .LBB505_1162
; %bb.1158:
	v_dual_mov_b32 v8, 0 :: v_dual_mov_b32 v1, 0
	v_mov_b32_e32 v9, v5
	s_add_u32 s2, s20, 0xc4
	s_addc_u32 s3, s21, 0
	s_and_b32 s10, s7, 28
	s_mov_b32 s11, 0
	s_mov_b64 s[4:5], s[20:21]
.LBB505_1159:                           ; =>This Inner Loop Header: Depth=1
	s_clause 0x1
	s_load_b256 s[12:19], s[4:5], 0x4
	s_load_b128 s[24:27], s[4:5], 0x24
	s_load_b256 s[36:43], s[2:3], 0x0
	s_add_u32 s4, s4, 48
	s_addc_u32 s5, s5, 0
	s_add_i32 s11, s11, 4
	s_add_u32 s2, s2, 32
	s_addc_u32 s3, s3, 0
	s_cmp_lg_u32 s10, s11
	s_waitcnt lgkmcnt(0)
	v_mul_hi_u32 v10, s13, v9
	s_delay_alu instid0(VALU_DEP_1) | instskip(NEXT) | instid1(VALU_DEP_1)
	v_add_nc_u32_e32 v10, v9, v10
	v_lshrrev_b32_e32 v10, s14, v10
	s_delay_alu instid0(VALU_DEP_1) | instskip(SKIP_1) | instid1(VALU_DEP_2)
	v_mul_hi_u32 v11, s16, v10
	v_mul_lo_u32 v13, v10, s12
	v_add_nc_u32_e32 v11, v10, v11
	s_delay_alu instid0(VALU_DEP_2) | instskip(NEXT) | instid1(VALU_DEP_2)
	v_sub_nc_u32_e32 v9, v9, v13
	v_lshrrev_b32_e32 v11, s17, v11
	s_delay_alu instid0(VALU_DEP_2) | instskip(SKIP_1) | instid1(VALU_DEP_3)
	v_mul_lo_u32 v13, v9, s36
	v_mul_lo_u32 v15, v9, s37
	v_mul_hi_u32 v12, s19, v11
	s_delay_alu instid0(VALU_DEP_1) | instskip(NEXT) | instid1(VALU_DEP_1)
	v_add_nc_u32_e32 v12, v11, v12
	v_lshrrev_b32_e32 v12, s24, v12
	s_delay_alu instid0(VALU_DEP_1) | instskip(SKIP_1) | instid1(VALU_DEP_2)
	v_mul_hi_u32 v14, s26, v12
	v_mul_lo_u32 v16, v12, s18
	v_add_nc_u32_e32 v9, v12, v14
	v_mul_lo_u32 v14, v11, s15
	s_delay_alu instid0(VALU_DEP_3) | instskip(NEXT) | instid1(VALU_DEP_3)
	v_sub_nc_u32_e32 v11, v11, v16
	v_lshrrev_b32_e32 v9, s27, v9
	s_delay_alu instid0(VALU_DEP_2) | instskip(SKIP_2) | instid1(VALU_DEP_4)
	v_mul_lo_u32 v16, v11, s40
	v_mul_lo_u32 v11, v11, s41
	v_sub_nc_u32_e32 v10, v10, v14
	v_mul_lo_u32 v17, v9, s25
	s_delay_alu instid0(VALU_DEP_2) | instskip(SKIP_1) | instid1(VALU_DEP_3)
	v_mul_lo_u32 v14, v10, s38
	v_mul_lo_u32 v10, v10, s39
	v_sub_nc_u32_e32 v12, v12, v17
	s_delay_alu instid0(VALU_DEP_3) | instskip(NEXT) | instid1(VALU_DEP_2)
	v_add3_u32 v1, v13, v1, v14
	v_mul_lo_u32 v17, v12, s42
	v_mul_lo_u32 v12, v12, s43
	v_add3_u32 v8, v15, v8, v10
	s_delay_alu instid0(VALU_DEP_3) | instskip(NEXT) | instid1(VALU_DEP_2)
	v_add3_u32 v1, v16, v1, v17
	v_add3_u32 v8, v11, v8, v12
	s_cbranch_scc1 .LBB505_1159
; %bb.1160:
	s_and_b32 s7, s7, 3
	s_delay_alu instid0(SALU_CYCLE_1)
	s_cmp_eq_u32 s7, 0
	s_cbranch_scc0 .LBB505_1163
	s_branch .LBB505_1165
.LBB505_1161:
	s_mov_b32 s6, -1
                                        ; implicit-def: $vgpr1
                                        ; implicit-def: $vgpr8
	s_branch .LBB505_1165
.LBB505_1162:
	v_dual_mov_b32 v9, v5 :: v_dual_mov_b32 v8, 0
	s_and_b32 s7, s7, 3
	s_delay_alu instid0(SALU_CYCLE_1)
	s_cmp_eq_u32 s7, 0
	s_cbranch_scc1 .LBB505_1165
.LBB505_1163:
	s_lshl_b32 s2, s10, 3
	s_mul_i32 s4, s10, 12
	s_add_u32 s2, s2, s20
	s_addc_u32 s3, 0, s21
	s_add_u32 s2, s2, 0xc4
	s_addc_u32 s3, s3, 0
	;; [unrolled: 2-line block ×3, first 2 shown]
	.p2align	6
.LBB505_1164:                           ; =>This Inner Loop Header: Depth=1
	s_clause 0x1
	s_load_b64 s[10:11], s[4:5], 0x4
	s_load_b32 s14, s[4:5], 0xc
	s_load_b64 s[12:13], s[2:3], 0x0
	s_add_u32 s4, s4, 12
	s_addc_u32 s5, s5, 0
	s_add_u32 s2, s2, 8
	s_addc_u32 s3, s3, 0
	s_add_i32 s7, s7, -1
	s_delay_alu instid0(SALU_CYCLE_1) | instskip(SKIP_2) | instid1(VALU_DEP_1)
	s_cmp_lg_u32 s7, 0
	s_waitcnt lgkmcnt(0)
	v_mul_hi_u32 v10, s11, v9
	v_add_nc_u32_e32 v10, v9, v10
	s_delay_alu instid0(VALU_DEP_1) | instskip(NEXT) | instid1(VALU_DEP_1)
	v_lshrrev_b32_e32 v13, s14, v10
	v_mul_lo_u32 v10, v13, s10
	s_delay_alu instid0(VALU_DEP_1) | instskip(NEXT) | instid1(VALU_DEP_1)
	v_sub_nc_u32_e32 v9, v9, v10
	v_mad_u64_u32 v[10:11], null, v9, s12, v[1:2]
	v_mad_u64_u32 v[11:12], null, v9, s13, v[8:9]
	v_mov_b32_e32 v9, v13
	s_delay_alu instid0(VALU_DEP_2)
	v_dual_mov_b32 v1, v10 :: v_dual_mov_b32 v8, v11
	s_cbranch_scc1 .LBB505_1164
.LBB505_1165:
	s_and_not1_b32 vcc_lo, exec_lo, s6
	s_cbranch_vccnz .LBB505_1168
; %bb.1166:
	s_clause 0x1
	s_load_b128 s[4:7], s[20:21], 0x4
	s_load_b64 s[2:3], s[20:21], 0xc4
	s_cmp_lt_u32 s28, 2
	s_waitcnt lgkmcnt(0)
	v_mul_hi_u32 v1, s5, v5
	s_delay_alu instid0(VALU_DEP_1) | instskip(NEXT) | instid1(VALU_DEP_1)
	v_add_nc_u32_e32 v1, v5, v1
	v_lshrrev_b32_e32 v9, s6, v1
	s_delay_alu instid0(VALU_DEP_1) | instskip(NEXT) | instid1(VALU_DEP_1)
	v_mul_lo_u32 v1, v9, s4
	v_sub_nc_u32_e32 v5, v5, v1
	s_delay_alu instid0(VALU_DEP_1)
	v_mul_lo_u32 v1, v5, s2
	v_mul_lo_u32 v8, v5, s3
	s_cbranch_scc1 .LBB505_1168
; %bb.1167:
	s_clause 0x1
	s_load_b128 s[4:7], s[20:21], 0x10
	s_load_b64 s[2:3], s[20:21], 0xcc
	s_waitcnt lgkmcnt(0)
	v_mul_hi_u32 v5, s5, v9
	s_delay_alu instid0(VALU_DEP_1) | instskip(NEXT) | instid1(VALU_DEP_1)
	v_add_nc_u32_e32 v5, v9, v5
	v_lshrrev_b32_e32 v5, s6, v5
	s_delay_alu instid0(VALU_DEP_1) | instskip(NEXT) | instid1(VALU_DEP_1)
	v_mul_lo_u32 v5, v5, s4
	v_sub_nc_u32_e32 v5, v9, v5
	s_delay_alu instid0(VALU_DEP_1) | instskip(NEXT) | instid1(VALU_DEP_1)
	v_mad_u64_u32 v[9:10], null, v5, s2, v[1:2]
	v_mad_u64_u32 v[10:11], null, v5, s3, v[8:9]
	s_delay_alu instid0(VALU_DEP_1)
	v_dual_mov_b32 v1, v9 :: v_dual_mov_b32 v8, v10
.LBB505_1168:
	v_cmp_ne_u32_e32 vcc_lo, 1, v0
	s_cbranch_vccnz .LBB505_1174
; %bb.1169:
	v_mov_b32_e32 v0, 0
	v_mov_b32_e32 v10, 0
	s_cmp_lg_u32 s28, 0
	s_mov_b32 s6, 0
	s_cbranch_scc0 .LBB505_1178
; %bb.1170:
	s_min_u32 s7, s29, 15
	v_mov_b32_e32 v0, 0
	s_add_i32 s7, s7, 1
	s_cmp_eq_u32 s29, 2
	s_mov_b32 s10, 0
	s_cbranch_scc1 .LBB505_1175
; %bb.1171:
	v_dual_mov_b32 v10, 0 :: v_dual_mov_b32 v5, v7
	v_mov_b32_e32 v0, 0
	s_add_u32 s2, s20, 0xc4
	s_addc_u32 s3, s21, 0
	s_and_b32 s10, s7, 28
	s_mov_b32 s11, 0
	s_mov_b64 s[4:5], s[20:21]
.LBB505_1172:                           ; =>This Inner Loop Header: Depth=1
	s_clause 0x1
	s_load_b256 s[12:19], s[4:5], 0x4
	s_load_b128 s[24:27], s[4:5], 0x24
	s_load_b256 s[36:43], s[2:3], 0x0
	s_add_u32 s4, s4, 48
	s_addc_u32 s5, s5, 0
	s_add_i32 s11, s11, 4
	s_add_u32 s2, s2, 32
	s_addc_u32 s3, s3, 0
	s_cmp_lg_u32 s10, s11
	s_waitcnt lgkmcnt(0)
	v_mul_hi_u32 v9, s13, v5
	s_delay_alu instid0(VALU_DEP_1) | instskip(NEXT) | instid1(VALU_DEP_1)
	v_add_nc_u32_e32 v9, v5, v9
	v_lshrrev_b32_e32 v9, s14, v9
	s_delay_alu instid0(VALU_DEP_1) | instskip(SKIP_1) | instid1(VALU_DEP_2)
	v_mul_hi_u32 v11, s16, v9
	v_mul_lo_u32 v13, v9, s12
	v_add_nc_u32_e32 v11, v9, v11
	s_delay_alu instid0(VALU_DEP_2) | instskip(NEXT) | instid1(VALU_DEP_2)
	v_sub_nc_u32_e32 v5, v5, v13
	v_lshrrev_b32_e32 v11, s17, v11
	s_delay_alu instid0(VALU_DEP_2) | instskip(SKIP_1) | instid1(VALU_DEP_3)
	v_mul_lo_u32 v13, v5, s36
	v_mul_lo_u32 v15, v5, s37
	v_mul_hi_u32 v12, s19, v11
	s_delay_alu instid0(VALU_DEP_1) | instskip(NEXT) | instid1(VALU_DEP_1)
	v_add_nc_u32_e32 v12, v11, v12
	v_lshrrev_b32_e32 v12, s24, v12
	s_delay_alu instid0(VALU_DEP_1) | instskip(SKIP_1) | instid1(VALU_DEP_2)
	v_mul_hi_u32 v14, s26, v12
	v_mul_lo_u32 v16, v12, s18
	v_add_nc_u32_e32 v5, v12, v14
	v_mul_lo_u32 v14, v11, s15
	s_delay_alu instid0(VALU_DEP_3) | instskip(NEXT) | instid1(VALU_DEP_3)
	v_sub_nc_u32_e32 v11, v11, v16
	v_lshrrev_b32_e32 v5, s27, v5
	s_delay_alu instid0(VALU_DEP_2) | instskip(SKIP_2) | instid1(VALU_DEP_4)
	v_mul_lo_u32 v16, v11, s40
	v_mul_lo_u32 v11, v11, s41
	v_sub_nc_u32_e32 v9, v9, v14
	v_mul_lo_u32 v17, v5, s25
	s_delay_alu instid0(VALU_DEP_2) | instskip(SKIP_1) | instid1(VALU_DEP_3)
	v_mul_lo_u32 v14, v9, s38
	v_mul_lo_u32 v9, v9, s39
	v_sub_nc_u32_e32 v12, v12, v17
	s_delay_alu instid0(VALU_DEP_3) | instskip(NEXT) | instid1(VALU_DEP_2)
	v_add3_u32 v0, v13, v0, v14
	v_mul_lo_u32 v17, v12, s42
	v_mul_lo_u32 v12, v12, s43
	v_add3_u32 v9, v15, v10, v9
	s_delay_alu instid0(VALU_DEP_3) | instskip(NEXT) | instid1(VALU_DEP_2)
	v_add3_u32 v0, v16, v0, v17
	v_add3_u32 v10, v11, v9, v12
	s_cbranch_scc1 .LBB505_1172
; %bb.1173:
	s_and_b32 s7, s7, 3
	s_delay_alu instid0(SALU_CYCLE_1)
	s_cmp_eq_u32 s7, 0
	s_cbranch_scc0 .LBB505_1176
	s_branch .LBB505_1178
.LBB505_1174:
	s_mov_b32 s6, -1
                                        ; implicit-def: $vgpr0
                                        ; implicit-def: $vgpr10
	s_branch .LBB505_1178
.LBB505_1175:
	v_dual_mov_b32 v5, v7 :: v_dual_mov_b32 v10, 0
	s_and_b32 s7, s7, 3
	s_delay_alu instid0(SALU_CYCLE_1)
	s_cmp_eq_u32 s7, 0
	s_cbranch_scc1 .LBB505_1178
.LBB505_1176:
	s_lshl_b32 s2, s10, 3
	s_mul_i32 s4, s10, 12
	s_add_u32 s2, s2, s20
	s_addc_u32 s3, 0, s21
	s_add_u32 s2, s2, 0xc4
	s_addc_u32 s3, s3, 0
	;; [unrolled: 2-line block ×3, first 2 shown]
	.p2align	6
.LBB505_1177:                           ; =>This Inner Loop Header: Depth=1
	s_clause 0x1
	s_load_b64 s[10:11], s[4:5], 0x4
	s_load_b32 s14, s[4:5], 0xc
	s_load_b64 s[12:13], s[2:3], 0x0
	s_add_u32 s4, s4, 12
	s_addc_u32 s5, s5, 0
	s_add_u32 s2, s2, 8
	s_addc_u32 s3, s3, 0
	s_add_i32 s7, s7, -1
	s_delay_alu instid0(SALU_CYCLE_1) | instskip(SKIP_2) | instid1(VALU_DEP_1)
	s_cmp_lg_u32 s7, 0
	s_waitcnt lgkmcnt(0)
	v_mul_hi_u32 v9, s11, v5
	v_add_nc_u32_e32 v9, v5, v9
	s_delay_alu instid0(VALU_DEP_1) | instskip(NEXT) | instid1(VALU_DEP_1)
	v_lshrrev_b32_e32 v9, s14, v9
	v_mul_lo_u32 v11, v9, s10
	s_delay_alu instid0(VALU_DEP_1) | instskip(NEXT) | instid1(VALU_DEP_1)
	v_sub_nc_u32_e32 v5, v5, v11
	v_mad_u64_u32 v[11:12], null, v5, s12, v[0:1]
	s_delay_alu instid0(VALU_DEP_1) | instskip(SKIP_1) | instid1(VALU_DEP_1)
	v_mov_b32_e32 v0, v11
	v_mad_u64_u32 v[12:13], null, v5, s13, v[10:11]
	v_dual_mov_b32 v5, v9 :: v_dual_mov_b32 v10, v12
	s_cbranch_scc1 .LBB505_1177
.LBB505_1178:
	s_and_not1_b32 vcc_lo, exec_lo, s6
	s_cbranch_vccnz .LBB505_1181
; %bb.1179:
	s_clause 0x1
	s_load_b128 s[4:7], s[20:21], 0x4
	s_load_b64 s[2:3], s[20:21], 0xc4
	s_cmp_lt_u32 s28, 2
	s_waitcnt lgkmcnt(0)
	v_mul_hi_u32 v0, s5, v7
	s_delay_alu instid0(VALU_DEP_1) | instskip(NEXT) | instid1(VALU_DEP_1)
	v_add_nc_u32_e32 v0, v7, v0
	v_lshrrev_b32_e32 v5, s6, v0
	s_delay_alu instid0(VALU_DEP_1) | instskip(NEXT) | instid1(VALU_DEP_1)
	v_mul_lo_u32 v0, v5, s4
	v_sub_nc_u32_e32 v7, v7, v0
	s_delay_alu instid0(VALU_DEP_1)
	v_mul_lo_u32 v0, v7, s2
	v_mul_lo_u32 v10, v7, s3
	s_cbranch_scc1 .LBB505_1181
; %bb.1180:
	s_clause 0x1
	s_load_b128 s[4:7], s[20:21], 0x10
	s_load_b64 s[2:3], s[20:21], 0xcc
	s_waitcnt lgkmcnt(0)
	v_mul_hi_u32 v7, s5, v5
	s_delay_alu instid0(VALU_DEP_1) | instskip(NEXT) | instid1(VALU_DEP_1)
	v_add_nc_u32_e32 v7, v5, v7
	v_lshrrev_b32_e32 v7, s6, v7
	s_delay_alu instid0(VALU_DEP_1) | instskip(NEXT) | instid1(VALU_DEP_1)
	v_mul_lo_u32 v7, v7, s4
	v_sub_nc_u32_e32 v5, v5, v7
	s_delay_alu instid0(VALU_DEP_1) | instskip(NEXT) | instid1(VALU_DEP_1)
	v_mad_u64_u32 v[11:12], null, v5, s2, v[0:1]
	v_mov_b32_e32 v0, v11
	v_mad_u64_u32 v[12:13], null, v5, s3, v[10:11]
	s_delay_alu instid0(VALU_DEP_1)
	v_mov_b32_e32 v10, v12
.LBB505_1181:
	s_clause 0x1
	s_load_b32 s0, s[0:1], 0x16c
	s_load_b128 s[4:7], s[20:21], 0x148
	s_mov_b32 s2, 0
	s_waitcnt lgkmcnt(0)
	s_lshr_b32 s0, s0, 8
	s_delay_alu instid0(SALU_CYCLE_1) | instskip(SKIP_1) | instid1(VALU_DEP_1)
	v_and_b32_e64 v14, 0xff, s0
	v_add_co_u32 v4, s0, s6, v4
	v_add_co_ci_u32_e64 v5, null, s7, 0, s0
	s_delay_alu instid0(VALU_DEP_3)
	v_cmp_gt_i16_e32 vcc_lo, 11, v14
	s_cbranch_vccnz .LBB505_1188
; %bb.1182:
	v_cmp_lt_i16_e32 vcc_lo, 25, v14
	s_mov_b32 s1, 0
	s_cbranch_vccz .LBB505_1194
; %bb.1183:
	v_cmp_lt_i16_e32 vcc_lo, 28, v14
	s_cbranch_vccz .LBB505_1197
; %bb.1184:
	v_cmp_lt_i16_e32 vcc_lo, 43, v14
	;; [unrolled: 3-line block ×3, first 2 shown]
	s_cbranch_vccz .LBB505_1203
; %bb.1186:
	v_cmp_eq_u16_e32 vcc_lo, 46, v14
	s_mov_b32 s3, 0
	s_cbranch_vccz .LBB505_1246
; %bb.1187:
	global_load_b32 v7, v[4:5], off
	s_mov_b32 s0, 0
	s_mov_b32 s2, -1
	s_waitcnt vmcnt(0)
	v_and_b32_e32 v12, 0xffff0000, v7
	v_lshlrev_b32_e32 v11, 16, v7
	s_branch .LBB505_1248
.LBB505_1188:
	s_mov_b32 s10, s8
                                        ; implicit-def: $vgpr12
	s_cbranch_execz .LBB505_1314
; %bb.1189:
	v_cmp_gt_i16_e32 vcc_lo, 5, v14
	s_cbranch_vccnz .LBB505_1195
; %bb.1190:
	v_cmp_gt_i16_e32 vcc_lo, 8, v14
	s_cbranch_vccnz .LBB505_1198
	;; [unrolled: 3-line block ×3, first 2 shown]
; %bb.1192:
	v_cmp_lt_i16_e32 vcc_lo, 9, v14
	s_cbranch_vccz .LBB505_1204
; %bb.1193:
	global_load_b128 v[15:18], v[4:5], off
	s_mov_b32 s0, 0
	s_waitcnt vmcnt(0)
	v_cvt_f32_f64_e32 v11, v[15:16]
	v_cvt_f32_f64_e32 v12, v[17:18]
	s_branch .LBB505_1205
.LBB505_1194:
	s_mov_b32 s0, 0
                                        ; implicit-def: $vgpr12
	s_cbranch_execnz .LBB505_1280
	s_branch .LBB505_1310
.LBB505_1195:
                                        ; implicit-def: $vgpr12
	s_branch .LBB505_1223
.LBB505_1196:
	s_branch .LBB505_1315
.LBB505_1197:
	s_mov_b32 s0, 0
                                        ; implicit-def: $vgpr12
	s_cbranch_execnz .LBB505_1260
	s_branch .LBB505_1279
.LBB505_1198:
                                        ; implicit-def: $vgpr12
	s_branch .LBB505_1211
.LBB505_1199:
	s_mov_b32 s3, -1
	s_mov_b32 s0, 0
                                        ; implicit-def: $vgpr12
	s_branch .LBB505_1254
.LBB505_1200:
	s_mov_b32 s0, -1
                                        ; implicit-def: $vgpr12
	s_branch .LBB505_1208
.LBB505_1201:
	s_cbranch_execnz .LBB505_1244
; %bb.1202:
	s_or_b32 s3, s3, exec_lo
	s_and_not1_b32 s11, s11, exec_lo
	s_or_b32 exec_lo, exec_lo, s2
	s_and_saveexec_b32 s2, s11
	s_delay_alu instid0(SALU_CYCLE_1)
	s_xor_b32 s4, exec_lo, s2
	s_cbranch_execnz .LBB505_1088
	s_branch .LBB505_1089
.LBB505_1203:
	s_mov_b32 s3, -1
	s_mov_b32 s0, 0
	s_branch .LBB505_1247
.LBB505_1204:
	s_mov_b32 s0, -1
                                        ; implicit-def: $vgpr12
.LBB505_1205:
	s_delay_alu instid0(SALU_CYCLE_1)
	s_and_not1_b32 vcc_lo, exec_lo, s0
	s_cbranch_vccnz .LBB505_1207
; %bb.1206:
	global_load_b64 v[11:12], v[4:5], off
.LBB505_1207:
	s_mov_b32 s0, 0
.LBB505_1208:
	s_delay_alu instid0(SALU_CYCLE_1)
	s_and_not1_b32 vcc_lo, exec_lo, s0
	s_cbranch_vccnz .LBB505_1210
; %bb.1209:
	global_load_b32 v7, v[4:5], off
	s_waitcnt vmcnt(0)
	v_lshrrev_b32_e32 v9, 16, v7
	v_cvt_f32_f16_e32 v11, v7
	s_delay_alu instid0(VALU_DEP_2)
	v_cvt_f32_f16_e32 v12, v9
.LBB505_1210:
	s_cbranch_execnz .LBB505_1222
.LBB505_1211:
	v_cmp_gt_i16_e32 vcc_lo, 6, v14
	s_cbranch_vccnz .LBB505_1214
; %bb.1212:
	v_cmp_lt_i16_e32 vcc_lo, 6, v14
	s_cbranch_vccz .LBB505_1215
; %bb.1213:
	global_load_b64 v[11:12], v[4:5], off
	s_mov_b32 s1, 0
	s_mov_b32 s0, 0
	s_waitcnt vmcnt(0)
	v_cvt_f32_f64_e32 v11, v[11:12]
	s_branch .LBB505_1216
.LBB505_1214:
	s_mov_b32 s1, -1
                                        ; implicit-def: $sgpr0
                                        ; implicit-def: $vgpr11
	s_branch .LBB505_1219
.LBB505_1215:
	s_mov_b32 s1, -1
                                        ; implicit-def: $sgpr0
                                        ; implicit-def: $vgpr11
.LBB505_1216:
	s_delay_alu instid0(SALU_CYCLE_1)
	s_and_not1_b32 vcc_lo, exec_lo, s1
	s_cbranch_vccnz .LBB505_1218
; %bb.1217:
	global_load_b32 v11, v[4:5], off
	s_mov_b32 s0, 0
.LBB505_1218:
	s_mov_b32 s1, 0
.LBB505_1219:
	s_delay_alu instid0(SALU_CYCLE_1)
	s_and_not1_b32 vcc_lo, exec_lo, s1
	s_cbranch_vccnz .LBB505_1221
; %bb.1220:
	global_load_u16 v7, v[4:5], off
	s_mov_b32 s0, 0
	s_waitcnt vmcnt(0)
	v_cvt_f32_f16_e32 v11, v7
.LBB505_1221:
	s_waitcnt vmcnt(0)
	v_mov_b32_e32 v12, s0
.LBB505_1222:
	s_cbranch_execnz .LBB505_1196
.LBB505_1223:
	v_cmp_gt_i16_e32 vcc_lo, 2, v14
	s_cbranch_vccnz .LBB505_1227
; %bb.1224:
	v_cmp_gt_i16_e32 vcc_lo, 3, v14
	s_cbranch_vccnz .LBB505_1228
; %bb.1225:
	v_cmp_lt_i16_e32 vcc_lo, 3, v14
	s_cbranch_vccz .LBB505_1229
; %bb.1226:
	global_load_b64 v[11:12], v[4:5], off
	s_mov_b32 s1, 0
	s_mov_b32 s0, 0
	s_waitcnt vmcnt(0)
	v_xor_b32_e32 v7, v11, v12
	v_cls_i32_e32 v9, v12
	s_delay_alu instid0(VALU_DEP_2) | instskip(NEXT) | instid1(VALU_DEP_2)
	v_ashrrev_i32_e32 v7, 31, v7
	v_add_nc_u32_e32 v9, -1, v9
	s_delay_alu instid0(VALU_DEP_2) | instskip(NEXT) | instid1(VALU_DEP_1)
	v_add_nc_u32_e32 v7, 32, v7
	v_min_u32_e32 v7, v9, v7
	s_delay_alu instid0(VALU_DEP_1) | instskip(SKIP_1) | instid1(VALU_DEP_2)
	v_lshlrev_b64 v[11:12], v7, v[11:12]
	v_sub_nc_u32_e32 v7, 32, v7
	v_min_u32_e32 v9, 1, v11
	s_delay_alu instid0(VALU_DEP_1) | instskip(NEXT) | instid1(VALU_DEP_1)
	v_or_b32_e32 v9, v12, v9
	v_cvt_f32_i32_e32 v9, v9
	s_delay_alu instid0(VALU_DEP_1)
	v_ldexp_f32 v11, v9, v7
	s_branch .LBB505_1230
.LBB505_1227:
                                        ; implicit-def: $sgpr0
                                        ; implicit-def: $vgpr11
	s_branch .LBB505_1236
.LBB505_1228:
	s_mov_b32 s1, -1
                                        ; implicit-def: $sgpr0
                                        ; implicit-def: $vgpr11
	s_branch .LBB505_1233
.LBB505_1229:
	s_mov_b32 s1, -1
                                        ; implicit-def: $sgpr0
                                        ; implicit-def: $vgpr11
.LBB505_1230:
	s_delay_alu instid0(SALU_CYCLE_1)
	s_and_not1_b32 vcc_lo, exec_lo, s1
	s_cbranch_vccnz .LBB505_1232
; %bb.1231:
	global_load_b32 v7, v[4:5], off
	s_mov_b32 s0, 0
	s_waitcnt vmcnt(0)
	v_cvt_f32_i32_e32 v11, v7
.LBB505_1232:
	s_mov_b32 s1, 0
.LBB505_1233:
	s_delay_alu instid0(SALU_CYCLE_1)
	s_and_not1_b32 vcc_lo, exec_lo, s1
	s_cbranch_vccnz .LBB505_1235
; %bb.1234:
	global_load_i16 v7, v[4:5], off
	s_mov_b32 s0, 0
	s_waitcnt vmcnt(0)
	v_cvt_f32_i32_e32 v11, v7
.LBB505_1235:
	s_cbranch_execnz .LBB505_1241
.LBB505_1236:
	v_cmp_lt_i16_e32 vcc_lo, 0, v14
	s_mov_b32 s1, 0
	s_cbranch_vccz .LBB505_1238
; %bb.1237:
	global_load_i8 v7, v[4:5], off
	s_mov_b32 s0, 0
	s_waitcnt vmcnt(0)
	v_cvt_f32_i32_e32 v11, v7
	s_branch .LBB505_1239
.LBB505_1238:
	s_mov_b32 s1, -1
                                        ; implicit-def: $sgpr0
                                        ; implicit-def: $vgpr11
.LBB505_1239:
	s_delay_alu instid0(SALU_CYCLE_1)
	s_and_not1_b32 vcc_lo, exec_lo, s1
	s_cbranch_vccnz .LBB505_1241
; %bb.1240:
	global_load_u8 v4, v[4:5], off
	s_mov_b32 s0, 0
	s_waitcnt vmcnt(0)
	v_cvt_f32_ubyte0_e32 v11, v4
.LBB505_1241:
	s_waitcnt vmcnt(0)
	v_mov_b32_e32 v12, s0
	s_branch .LBB505_1315
.LBB505_1242:
	s_trap 2
	s_sendmsg_rtn_b32 s0, sendmsg(MSG_RTN_GET_DOORBELL)
	s_mov_b32 ttmp2, m0
	s_waitcnt lgkmcnt(0)
	s_and_b32 s0, s0, 0x3ff
	s_delay_alu instid0(SALU_CYCLE_1) | instskip(NEXT) | instid1(SALU_CYCLE_1)
	s_bitset1_b32 s0, 10
	s_mov_b32 m0, s0
	s_sendmsg sendmsg(MSG_INTERRUPT)
	s_mov_b32 m0, ttmp2
.LBB505_1243:                           ; =>This Inner Loop Header: Depth=1
	s_sethalt 5
	s_branch .LBB505_1243
.LBB505_1244:
	s_trap 2
	s_sendmsg_rtn_b32 s0, sendmsg(MSG_RTN_GET_DOORBELL)
	s_mov_b32 ttmp2, m0
	s_waitcnt lgkmcnt(0)
	s_and_b32 s0, s0, 0x3ff
	s_delay_alu instid0(SALU_CYCLE_1) | instskip(NEXT) | instid1(SALU_CYCLE_1)
	s_bitset1_b32 s0, 10
	s_mov_b32 m0, s0
	s_sendmsg sendmsg(MSG_INTERRUPT)
	s_mov_b32 m0, ttmp2
.LBB505_1245:                           ; =>This Inner Loop Header: Depth=1
	s_sethalt 5
	s_branch .LBB505_1245
.LBB505_1246:
	s_mov_b32 s0, -1
.LBB505_1247:
                                        ; implicit-def: $vgpr12
.LBB505_1248:
	s_and_b32 vcc_lo, exec_lo, s3
	s_cbranch_vccz .LBB505_1253
; %bb.1249:
	v_cmp_eq_u16_e32 vcc_lo, 44, v14
	s_cbranch_vccz .LBB505_1251
; %bb.1250:
	global_load_u8 v7, v[4:5], off
	s_mov_b32 s0, 0
	s_mov_b32 s2, -1
	s_waitcnt vmcnt(0)
	v_lshlrev_b32_e32 v9, 23, v7
	v_cmp_ne_u32_e32 vcc_lo, 0xff, v7
	s_delay_alu instid0(VALU_DEP_2) | instskip(SKIP_1) | instid1(VALU_DEP_2)
	v_cndmask_b32_e32 v9, 0x7f800001, v9, vcc_lo
	v_cmp_ne_u32_e32 vcc_lo, 0, v7
	v_cndmask_b32_e32 v11, 0x400000, v9, vcc_lo
	s_branch .LBB505_1252
.LBB505_1251:
	s_mov_b32 s0, -1
                                        ; implicit-def: $vgpr11
.LBB505_1252:
	s_delay_alu instid0(SALU_CYCLE_1)
	v_mov_b32_e32 v12, s0
.LBB505_1253:
	s_mov_b32 s3, 0
.LBB505_1254:
	s_delay_alu instid0(SALU_CYCLE_1)
	s_and_b32 vcc_lo, exec_lo, s3
	s_cbranch_vccz .LBB505_1259
; %bb.1255:
	v_cmp_eq_u16_e32 vcc_lo, 29, v14
	s_cbranch_vccz .LBB505_1257
; %bb.1256:
	global_load_b64 v[11:12], v[4:5], off
	s_mov_b32 s0, 0
	s_mov_b32 s2, -1
	s_mov_b32 s3, 0
	s_waitcnt vmcnt(0)
	v_clz_i32_u32_e32 v7, v12
	s_delay_alu instid0(VALU_DEP_1) | instskip(NEXT) | instid1(VALU_DEP_1)
	v_min_u32_e32 v7, 32, v7
	v_lshlrev_b64 v[11:12], v7, v[11:12]
	v_sub_nc_u32_e32 v7, 32, v7
	s_delay_alu instid0(VALU_DEP_2) | instskip(NEXT) | instid1(VALU_DEP_1)
	v_min_u32_e32 v9, 1, v11
	v_or_b32_e32 v9, v12, v9
	s_delay_alu instid0(VALU_DEP_1) | instskip(NEXT) | instid1(VALU_DEP_1)
	v_cvt_f32_u32_e32 v9, v9
	v_ldexp_f32 v11, v9, v7
	s_branch .LBB505_1258
.LBB505_1257:
	s_mov_b32 s0, -1
                                        ; implicit-def: $sgpr3
                                        ; implicit-def: $vgpr11
.LBB505_1258:
	v_mov_b32_e32 v12, s3
.LBB505_1259:
	s_branch .LBB505_1279
.LBB505_1260:
	v_cmp_gt_i16_e32 vcc_lo, 27, v14
	s_cbranch_vccnz .LBB505_1263
; %bb.1261:
	v_cmp_lt_i16_e32 vcc_lo, 27, v14
	s_cbranch_vccz .LBB505_1264
; %bb.1262:
	global_load_b32 v7, v[4:5], off
	s_mov_b32 s3, 0
	s_mov_b32 s2, 0
	s_waitcnt vmcnt(0)
	v_cvt_f32_u32_e32 v11, v7
	s_branch .LBB505_1265
.LBB505_1263:
	s_mov_b32 s3, -1
                                        ; implicit-def: $sgpr2
                                        ; implicit-def: $vgpr11
	s_branch .LBB505_1268
.LBB505_1264:
	s_mov_b32 s3, -1
                                        ; implicit-def: $sgpr2
                                        ; implicit-def: $vgpr11
.LBB505_1265:
	s_delay_alu instid0(SALU_CYCLE_1)
	s_and_not1_b32 vcc_lo, exec_lo, s3
	s_cbranch_vccnz .LBB505_1267
; %bb.1266:
	global_load_u16 v7, v[4:5], off
	s_mov_b32 s2, 0
	s_waitcnt vmcnt(0)
	v_cvt_f32_u32_e32 v11, v7
.LBB505_1267:
	s_mov_b32 s3, 0
.LBB505_1268:
	v_mov_b32_e32 v12, s2
	s_and_not1_b32 vcc_lo, exec_lo, s3
	s_cbranch_vccnz .LBB505_1278
; %bb.1269:
	global_load_u8 v7, v[4:5], off
	s_mov_b32 s2, 0
	s_mov_b32 s11, exec_lo
                                        ; implicit-def: $sgpr10
                                        ; implicit-def: $sgpr3
	s_waitcnt vmcnt(0)
	v_cmpx_lt_i16_e32 0x7f, v7
	s_xor_b32 s11, exec_lo, s11
	s_cbranch_execz .LBB505_1273
; %bb.1270:
	s_mov_b32 s2, -1
	s_mov_b32 s12, exec_lo
                                        ; implicit-def: $sgpr10
                                        ; implicit-def: $sgpr3
	v_cmpx_eq_u16_e32 0x80, v7
; %bb.1271:
	s_mov_b32 s3, 0x7f800001
	s_mov_b32 s10, 0
	s_xor_b32 s2, exec_lo, -1
; %bb.1272:
	s_or_b32 exec_lo, exec_lo, s12
	s_delay_alu instid0(SALU_CYCLE_1)
	s_and_b32 s2, s2, exec_lo
.LBB505_1273:
	s_or_saveexec_b32 s11, s11
	v_dual_mov_b32 v12, s10 :: v_dual_mov_b32 v11, s3
	s_xor_b32 exec_lo, exec_lo, s11
; %bb.1274:
	v_mov_b32_e32 v12, 0
	v_cmp_ne_u16_e32 vcc_lo, 0, v7
	s_and_not1_b32 s2, s2, exec_lo
	s_delay_alu instid0(VALU_DEP_2) | instskip(SKIP_1) | instid1(SALU_CYCLE_1)
	v_mov_b32_e32 v11, v12
	s_and_b32 s3, vcc_lo, exec_lo
	s_or_b32 s2, s2, s3
; %bb.1275:
	s_or_b32 exec_lo, exec_lo, s11
	s_and_saveexec_b32 s3, s2
	s_cbranch_execz .LBB505_1277
; %bb.1276:
	v_and_b32_e32 v9, 0xffff, v7
	v_lshlrev_b32_e32 v7, 24, v7
	s_delay_alu instid0(VALU_DEP_2) | instskip(NEXT) | instid1(VALU_DEP_2)
	v_and_b32_e32 v11, 7, v9
	v_and_b32_e32 v7, 0x80000000, v7
	s_delay_alu instid0(VALU_DEP_2) | instskip(NEXT) | instid1(VALU_DEP_1)
	v_clz_i32_u32_e32 v12, v11
	v_min_u32_e32 v12, 32, v12
	s_delay_alu instid0(VALU_DEP_1) | instskip(SKIP_1) | instid1(VALU_DEP_2)
	v_subrev_nc_u32_e32 v13, 28, v12
	v_sub_nc_u32_e32 v12, 29, v12
	v_lshlrev_b32_e32 v13, v13, v9
	v_bfe_u32 v9, v9, 3, 4
	s_delay_alu instid0(VALU_DEP_2) | instskip(NEXT) | instid1(VALU_DEP_2)
	v_and_b32_e32 v13, 7, v13
	v_cmp_eq_u32_e32 vcc_lo, 0, v9
	v_dual_cndmask_b32 v9, v9, v12 :: v_dual_mov_b32 v12, 0
	s_delay_alu instid0(VALU_DEP_3) | instskip(NEXT) | instid1(VALU_DEP_2)
	v_cndmask_b32_e32 v11, v11, v13, vcc_lo
	v_lshl_add_u32 v9, v9, 23, 0x3b800000
	s_delay_alu instid0(VALU_DEP_2) | instskip(NEXT) | instid1(VALU_DEP_1)
	v_lshlrev_b32_e32 v11, 20, v11
	v_or3_b32 v11, v7, v9, v11
.LBB505_1277:
	s_or_b32 exec_lo, exec_lo, s3
.LBB505_1278:
	s_mov_b32 s2, -1
.LBB505_1279:
	s_branch .LBB505_1310
.LBB505_1280:
	v_cmp_lt_i16_e32 vcc_lo, 22, v14
	s_cbranch_vccz .LBB505_1292
; %bb.1281:
	v_cmp_gt_i16_e32 vcc_lo, 24, v14
	s_cbranch_vccnz .LBB505_1293
; %bb.1282:
	v_cmp_lt_i16_e32 vcc_lo, 24, v14
	s_cbranch_vccz .LBB505_1294
; %bb.1283:
	global_load_u8 v7, v[4:5], off
	s_mov_b32 s10, exec_lo
                                        ; implicit-def: $sgpr3
                                        ; implicit-def: $sgpr2
	s_waitcnt vmcnt(0)
	v_cmpx_lt_i16_e32 0x7f, v7
	s_xor_b32 s10, exec_lo, s10
	s_cbranch_execz .LBB505_1287
; %bb.1284:
	s_mov_b32 s1, -1
	s_mov_b32 s11, exec_lo
                                        ; implicit-def: $sgpr3
                                        ; implicit-def: $sgpr2
	v_cmpx_eq_u16_e32 0x80, v7
; %bb.1285:
	s_mov_b32 s2, 0x7f800001
	s_mov_b32 s3, 0
	s_xor_b32 s1, exec_lo, -1
; %bb.1286:
	s_or_b32 exec_lo, exec_lo, s11
	s_delay_alu instid0(SALU_CYCLE_1)
	s_and_b32 s1, s1, exec_lo
.LBB505_1287:
	s_or_saveexec_b32 s10, s10
	v_dual_mov_b32 v12, s3 :: v_dual_mov_b32 v11, s2
	s_xor_b32 exec_lo, exec_lo, s10
; %bb.1288:
	v_mov_b32_e32 v12, 0
	v_cmp_ne_u16_e32 vcc_lo, 0, v7
	s_and_not1_b32 s1, s1, exec_lo
	s_delay_alu instid0(VALU_DEP_2) | instskip(SKIP_1) | instid1(SALU_CYCLE_1)
	v_mov_b32_e32 v11, v12
	s_and_b32 s2, vcc_lo, exec_lo
	s_or_b32 s1, s1, s2
; %bb.1289:
	s_or_b32 exec_lo, exec_lo, s10
	s_and_saveexec_b32 s2, s1
	s_cbranch_execz .LBB505_1291
; %bb.1290:
	v_and_b32_e32 v9, 0xffff, v7
	v_lshlrev_b32_e32 v7, 24, v7
	s_delay_alu instid0(VALU_DEP_2) | instskip(NEXT) | instid1(VALU_DEP_2)
	v_and_b32_e32 v11, 3, v9
	v_and_b32_e32 v7, 0x80000000, v7
	s_delay_alu instid0(VALU_DEP_2) | instskip(NEXT) | instid1(VALU_DEP_1)
	v_clz_i32_u32_e32 v12, v11
	v_min_u32_e32 v12, 32, v12
	s_delay_alu instid0(VALU_DEP_1) | instskip(SKIP_1) | instid1(VALU_DEP_2)
	v_subrev_nc_u32_e32 v13, 29, v12
	v_sub_nc_u32_e32 v12, 30, v12
	v_lshlrev_b32_e32 v13, v13, v9
	v_bfe_u32 v9, v9, 2, 5
	s_delay_alu instid0(VALU_DEP_2) | instskip(NEXT) | instid1(VALU_DEP_2)
	v_and_b32_e32 v13, 3, v13
	v_cmp_eq_u32_e32 vcc_lo, 0, v9
	v_dual_cndmask_b32 v9, v9, v12 :: v_dual_mov_b32 v12, 0
	s_delay_alu instid0(VALU_DEP_3) | instskip(NEXT) | instid1(VALU_DEP_2)
	v_cndmask_b32_e32 v11, v11, v13, vcc_lo
	v_lshl_add_u32 v9, v9, 23, 0x37800000
	s_delay_alu instid0(VALU_DEP_2) | instskip(NEXT) | instid1(VALU_DEP_1)
	v_lshlrev_b32_e32 v11, 21, v11
	v_or3_b32 v11, v7, v9, v11
.LBB505_1291:
	s_or_b32 exec_lo, exec_lo, s2
	s_mov_b32 s1, 0
	s_branch .LBB505_1295
.LBB505_1292:
                                        ; implicit-def: $vgpr12
	s_mov_b32 s1, 0
	s_branch .LBB505_1301
.LBB505_1293:
	s_mov_b32 s1, -1
                                        ; implicit-def: $vgpr12
	s_branch .LBB505_1298
.LBB505_1294:
	s_mov_b32 s1, -1
                                        ; implicit-def: $vgpr12
.LBB505_1295:
	s_delay_alu instid0(SALU_CYCLE_1)
	s_and_b32 vcc_lo, exec_lo, s1
	s_cbranch_vccz .LBB505_1297
; %bb.1296:
	global_load_u8 v7, v[4:5], off
	s_waitcnt vmcnt(0)
	v_lshlrev_b32_e32 v7, 24, v7
	s_delay_alu instid0(VALU_DEP_1) | instskip(NEXT) | instid1(VALU_DEP_1)
	v_and_b32_e32 v9, 0x7f000000, v7
	v_clz_i32_u32_e32 v11, v9
	v_cmp_ne_u32_e32 vcc_lo, 0, v9
	v_add_nc_u32_e32 v13, 0x1000000, v9
	s_delay_alu instid0(VALU_DEP_3) | instskip(NEXT) | instid1(VALU_DEP_1)
	v_min_u32_e32 v11, 32, v11
	v_sub_nc_u32_e64 v11, v11, 4 clamp
	s_delay_alu instid0(VALU_DEP_1) | instskip(SKIP_1) | instid1(VALU_DEP_2)
	v_lshlrev_b32_e32 v12, v11, v9
	v_lshlrev_b32_e32 v11, 23, v11
	v_lshrrev_b32_e32 v12, 4, v12
	s_delay_alu instid0(VALU_DEP_1) | instskip(SKIP_1) | instid1(VALU_DEP_2)
	v_sub_nc_u32_e32 v11, v12, v11
	v_ashrrev_i32_e32 v12, 8, v13
	v_add_nc_u32_e32 v11, 0x3c000000, v11
	s_delay_alu instid0(VALU_DEP_1) | instskip(NEXT) | instid1(VALU_DEP_1)
	v_and_or_b32 v11, 0x7f800000, v12, v11
	v_dual_mov_b32 v12, 0 :: v_dual_cndmask_b32 v9, 0, v11
	s_delay_alu instid0(VALU_DEP_1)
	v_and_or_b32 v11, 0x80000000, v7, v9
.LBB505_1297:
	s_mov_b32 s1, 0
.LBB505_1298:
	s_delay_alu instid0(SALU_CYCLE_1)
	s_and_not1_b32 vcc_lo, exec_lo, s1
	s_cbranch_vccnz .LBB505_1300
; %bb.1299:
	global_load_u8 v7, v[4:5], off
	s_waitcnt vmcnt(0)
	v_lshlrev_b32_e32 v9, 25, v7
	v_lshlrev_b16 v7, 8, v7
	s_delay_alu instid0(VALU_DEP_1) | instskip(SKIP_1) | instid1(VALU_DEP_2)
	v_and_or_b32 v12, 0x7f00, v7, 0.5
	v_bfe_i32 v7, v7, 0, 16
	v_add_f32_e32 v12, -0.5, v12
	v_lshrrev_b32_e32 v11, 4, v9
	v_cmp_gt_u32_e32 vcc_lo, 0x8000000, v9
	s_delay_alu instid0(VALU_DEP_2) | instskip(NEXT) | instid1(VALU_DEP_1)
	v_or_b32_e32 v11, 0x70000000, v11
	v_mul_f32_e32 v11, 0x7800000, v11
	s_delay_alu instid0(VALU_DEP_1) | instskip(NEXT) | instid1(VALU_DEP_1)
	v_dual_cndmask_b32 v9, v11, v12 :: v_dual_mov_b32 v12, 0
	v_and_or_b32 v11, 0x80000000, v7, v9
.LBB505_1300:
	s_mov_b32 s2, -1
	s_mov_b32 s1, 0
	s_cbranch_execnz .LBB505_1310
.LBB505_1301:
	v_cmp_lt_i16_e32 vcc_lo, 14, v14
	s_cbranch_vccz .LBB505_1304
; %bb.1302:
	v_cmp_eq_u16_e32 vcc_lo, 15, v14
	s_cbranch_vccz .LBB505_1305
; %bb.1303:
	global_load_u16 v7, v[4:5], off
	s_mov_b32 s0, 0
	s_mov_b32 s2, -1
	s_mov_b32 s3, 0
	s_waitcnt vmcnt(0)
	v_lshlrev_b32_e32 v11, 16, v7
	s_branch .LBB505_1307
.LBB505_1304:
	s_mov_b32 s1, -1
	s_branch .LBB505_1306
.LBB505_1305:
	s_mov_b32 s0, -1
.LBB505_1306:
                                        ; implicit-def: $sgpr3
                                        ; implicit-def: $vgpr11
.LBB505_1307:
	s_and_b32 vcc_lo, exec_lo, s1
	s_mov_b32 s1, 0
	s_cbranch_vccz .LBB505_1309
; %bb.1308:
	v_cmp_ne_u16_e64 s0, 11, v14
	s_mov_b32 s1, -1
                                        ; implicit-def: $sgpr3
                                        ; implicit-def: $vgpr11
.LBB505_1309:
	v_mov_b32_e32 v12, s3
.LBB505_1310:
	s_delay_alu instid0(VALU_DEP_2)
	s_and_b32 vcc_lo, exec_lo, s0
	s_mov_b32 s10, s8
	s_cbranch_vccnz .LBB505_1343
; %bb.1311:
	s_and_not1_b32 vcc_lo, exec_lo, s1
	s_cbranch_vccnz .LBB505_1313
.LBB505_1312:
	global_load_u8 v7, v[4:5], off
	v_mov_b32_e32 v12, 0
	s_mov_b32 s2, -1
	s_waitcnt vmcnt(0)
	v_cmp_ne_u16_e32 vcc_lo, 0, v7
	v_cndmask_b32_e64 v11, 0, 1.0, vcc_lo
.LBB505_1313:
.LBB505_1314:
	s_and_not1_b32 vcc_lo, exec_lo, s2
	s_cbranch_vccnz .LBB505_1771
.LBB505_1315:
	s_load_b128 s[0:3], s[20:21], 0x158
	s_waitcnt lgkmcnt(0)
	s_mov_b32 s3, exec_lo
	v_mov_b32_e32 v4, s0
	s_waitcnt vmcnt(0)
	s_delay_alu instid0(VALU_DEP_2)
	v_cmpx_o_f32_e32 v11, v11
	s_cbranch_execz .LBB505_1319
; %bb.1316:
	v_mov_b32_e32 v4, s1
	s_mov_b32 s11, exec_lo
	v_cmpx_neq_f32_e32 0x7f800000, v11
; %bb.1317:
	v_cmp_eq_f32_e32 vcc_lo, 0xff800000, v11
	v_cndmask_b32_e64 v4, v11, s2, vcc_lo
; %bb.1318:
	s_or_b32 exec_lo, exec_lo, s11
.LBB505_1319:
	s_delay_alu instid0(SALU_CYCLE_1) | instskip(SKIP_2) | instid1(VALU_DEP_4)
	s_or_b32 exec_lo, exec_lo, s3
	v_mov_b32_e32 v5, s0
	s_mov_b32 s3, exec_lo
	v_cmpx_o_f32_e32 v12, v12
	s_cbranch_execz .LBB505_1323
; %bb.1320:
	v_mov_b32_e32 v5, s1
	s_mov_b32 s11, exec_lo
	v_cmpx_neq_f32_e32 0x7f800000, v12
; %bb.1321:
	v_cmp_eq_f32_e32 vcc_lo, 0xff800000, v12
	v_cndmask_b32_e64 v5, v12, s2, vcc_lo
; %bb.1322:
	s_or_b32 exec_lo, exec_lo, s11
.LBB505_1323:
	s_delay_alu instid0(SALU_CYCLE_1) | instskip(SKIP_2) | instid1(VALU_DEP_1)
	s_or_b32 exec_lo, exec_lo, s3
	v_cmp_gt_i16_e32 vcc_lo, 11, v14
	v_add_co_u32 v6, s3, s6, v6
	v_add_co_ci_u32_e64 v7, null, s7, 0, s3
	s_mov_b32 s12, 0
	s_cbranch_vccnz .LBB505_1330
; %bb.1324:
	v_cmp_lt_i16_e32 vcc_lo, 25, v14
	s_mov_b32 s11, 0
	s_cbranch_vccz .LBB505_1336
; %bb.1325:
	v_cmp_lt_i16_e32 vcc_lo, 28, v14
	s_cbranch_vccz .LBB505_1339
; %bb.1326:
	v_cmp_lt_i16_e32 vcc_lo, 43, v14
	s_cbranch_vccz .LBB505_1341
; %bb.1327:
	v_cmp_lt_i16_e32 vcc_lo, 45, v14
	s_cbranch_vccz .LBB505_1347
; %bb.1328:
	v_cmp_eq_u16_e32 vcc_lo, 46, v14
	s_mov_b32 s13, 0
	s_cbranch_vccz .LBB505_1392
; %bb.1329:
	global_load_b32 v9, v[6:7], off
	s_mov_b32 s3, 0
	s_mov_b32 s12, -1
	s_waitcnt vmcnt(0)
	v_and_b32_e32 v12, 0xffff0000, v9
	v_lshlrev_b32_e32 v11, 16, v9
	s_branch .LBB505_1394
.LBB505_1330:
                                        ; implicit-def: $vgpr12
	s_cbranch_execz .LBB505_1462
; %bb.1331:
	v_cmp_gt_i16_e32 vcc_lo, 5, v14
	s_cbranch_vccnz .LBB505_1337
; %bb.1332:
	v_cmp_gt_i16_e32 vcc_lo, 8, v14
	s_cbranch_vccnz .LBB505_1340
	;; [unrolled: 3-line block ×3, first 2 shown]
; %bb.1334:
	v_cmp_lt_i16_e32 vcc_lo, 9, v14
	s_cbranch_vccz .LBB505_1348
; %bb.1335:
	global_load_b128 v[15:18], v[6:7], off
	s_mov_b32 s3, 0
	s_waitcnt vmcnt(0)
	v_cvt_f32_f64_e32 v11, v[15:16]
	v_cvt_f32_f64_e32 v12, v[17:18]
	s_branch .LBB505_1349
.LBB505_1336:
	s_mov_b32 s3, 0
                                        ; implicit-def: $vgpr12
	s_cbranch_execnz .LBB505_1427
	s_branch .LBB505_1458
.LBB505_1337:
                                        ; implicit-def: $vgpr12
	s_branch .LBB505_1368
.LBB505_1338:
	s_branch .LBB505_1463
.LBB505_1339:
	s_mov_b32 s13, -1
	s_mov_b32 s3, 0
                                        ; implicit-def: $vgpr12
	s_branch .LBB505_1406
.LBB505_1340:
	s_mov_b32 s3, -1
                                        ; implicit-def: $vgpr12
	s_branch .LBB505_1355
.LBB505_1341:
	s_mov_b32 s13, -1
	s_mov_b32 s3, 0
                                        ; implicit-def: $vgpr12
	s_branch .LBB505_1400
.LBB505_1342:
	s_mov_b32 s3, -1
                                        ; implicit-def: $vgpr12
	s_branch .LBB505_1352
.LBB505_1343:
	s_cbranch_execnz .LBB505_1388
; %bb.1344:
	s_or_b32 s10, s8, exec_lo
                                        ; implicit-def: $vgpr12
	s_cbranch_execz .LBB505_1312
	s_branch .LBB505_1313
.LBB505_1345:
	s_or_saveexec_b32 s7, s7
                                        ; implicit-def: $sgpr8
	s_delay_alu instid0(SALU_CYCLE_1)
	s_xor_b32 exec_lo, exec_lo, s7
	s_cbranch_execz .LBB505_1039
.LBB505_1346:
	v_add_f32_e64 v0, 0x46000000, |v1|
	s_and_not1_b32 s5, s5, exec_lo
	s_mov_b32 s8, 0
	s_delay_alu instid0(VALU_DEP_1) | instskip(NEXT) | instid1(VALU_DEP_1)
	v_and_b32_e32 v0, 0xff, v0
	v_cmp_ne_u32_e32 vcc_lo, 0, v0
	s_and_b32 s9, vcc_lo, exec_lo
	s_delay_alu instid0(SALU_CYCLE_1)
	s_or_b32 s5, s5, s9
	s_or_b32 exec_lo, exec_lo, s7
	v_mov_b32_e32 v5, s8
	s_and_saveexec_b32 s7, s5
	s_cbranch_execnz .LBB505_1040
	s_branch .LBB505_1041
.LBB505_1347:
	s_mov_b32 s13, -1
	s_mov_b32 s3, 0
	s_branch .LBB505_1393
.LBB505_1348:
	s_mov_b32 s3, -1
                                        ; implicit-def: $vgpr12
.LBB505_1349:
	s_delay_alu instid0(SALU_CYCLE_1)
	s_and_not1_b32 vcc_lo, exec_lo, s3
	s_cbranch_vccnz .LBB505_1351
; %bb.1350:
	global_load_b64 v[11:12], v[6:7], off
.LBB505_1351:
	s_mov_b32 s3, 0
.LBB505_1352:
	s_delay_alu instid0(SALU_CYCLE_1)
	s_and_not1_b32 vcc_lo, exec_lo, s3
	s_cbranch_vccnz .LBB505_1354
; %bb.1353:
	global_load_b32 v9, v[6:7], off
	s_waitcnt vmcnt(0)
	v_lshrrev_b32_e32 v12, 16, v9
	v_cvt_f32_f16_e32 v11, v9
	s_delay_alu instid0(VALU_DEP_2)
	v_cvt_f32_f16_e32 v12, v12
.LBB505_1354:
	s_mov_b32 s3, 0
.LBB505_1355:
	s_delay_alu instid0(SALU_CYCLE_1)
	s_and_not1_b32 vcc_lo, exec_lo, s3
	s_cbranch_vccnz .LBB505_1367
; %bb.1356:
	v_cmp_gt_i16_e32 vcc_lo, 6, v14
	s_cbranch_vccnz .LBB505_1359
; %bb.1357:
	v_cmp_lt_i16_e32 vcc_lo, 6, v14
	s_cbranch_vccz .LBB505_1360
; %bb.1358:
	global_load_b64 v[11:12], v[6:7], off
	s_mov_b32 s11, 0
	s_mov_b32 s3, 0
	s_waitcnt vmcnt(0)
	v_cvt_f32_f64_e32 v11, v[11:12]
	s_branch .LBB505_1361
.LBB505_1359:
	s_mov_b32 s11, -1
                                        ; implicit-def: $sgpr3
                                        ; implicit-def: $vgpr11
	s_branch .LBB505_1364
.LBB505_1360:
	s_mov_b32 s11, -1
                                        ; implicit-def: $sgpr3
                                        ; implicit-def: $vgpr11
.LBB505_1361:
	s_delay_alu instid0(SALU_CYCLE_1)
	s_and_not1_b32 vcc_lo, exec_lo, s11
	s_cbranch_vccnz .LBB505_1363
; %bb.1362:
	global_load_b32 v11, v[6:7], off
	s_mov_b32 s3, 0
.LBB505_1363:
	s_mov_b32 s11, 0
.LBB505_1364:
	s_delay_alu instid0(SALU_CYCLE_1)
	s_and_not1_b32 vcc_lo, exec_lo, s11
	s_cbranch_vccnz .LBB505_1366
; %bb.1365:
	global_load_u16 v9, v[6:7], off
	s_mov_b32 s3, 0
	s_waitcnt vmcnt(0)
	v_cvt_f32_f16_e32 v11, v9
.LBB505_1366:
	s_waitcnt vmcnt(0)
	v_mov_b32_e32 v12, s3
.LBB505_1367:
	s_cbranch_execnz .LBB505_1338
.LBB505_1368:
	v_cmp_gt_i16_e32 vcc_lo, 2, v14
	s_cbranch_vccnz .LBB505_1372
; %bb.1369:
	v_cmp_gt_i16_e32 vcc_lo, 3, v14
	s_cbranch_vccnz .LBB505_1373
; %bb.1370:
	v_cmp_lt_i16_e32 vcc_lo, 3, v14
	s_cbranch_vccz .LBB505_1374
; %bb.1371:
	global_load_b64 v[11:12], v[6:7], off
	s_mov_b32 s11, 0
	s_mov_b32 s3, 0
	s_waitcnt vmcnt(0)
	v_xor_b32_e32 v9, v11, v12
	v_cls_i32_e32 v13, v12
	s_delay_alu instid0(VALU_DEP_2) | instskip(NEXT) | instid1(VALU_DEP_2)
	v_ashrrev_i32_e32 v9, 31, v9
	v_add_nc_u32_e32 v13, -1, v13
	s_delay_alu instid0(VALU_DEP_2) | instskip(NEXT) | instid1(VALU_DEP_1)
	v_add_nc_u32_e32 v9, 32, v9
	v_min_u32_e32 v9, v13, v9
	s_delay_alu instid0(VALU_DEP_1) | instskip(SKIP_1) | instid1(VALU_DEP_2)
	v_lshlrev_b64 v[11:12], v9, v[11:12]
	v_sub_nc_u32_e32 v9, 32, v9
	v_min_u32_e32 v11, 1, v11
	s_delay_alu instid0(VALU_DEP_1) | instskip(NEXT) | instid1(VALU_DEP_1)
	v_or_b32_e32 v11, v12, v11
	v_cvt_f32_i32_e32 v11, v11
	s_delay_alu instid0(VALU_DEP_1)
	v_ldexp_f32 v11, v11, v9
	s_branch .LBB505_1375
.LBB505_1372:
	s_mov_b32 s11, -1
                                        ; implicit-def: $sgpr3
                                        ; implicit-def: $vgpr11
	s_branch .LBB505_1381
.LBB505_1373:
	s_mov_b32 s11, -1
                                        ; implicit-def: $sgpr3
                                        ; implicit-def: $vgpr11
	s_branch .LBB505_1378
.LBB505_1374:
	s_mov_b32 s11, -1
                                        ; implicit-def: $sgpr3
                                        ; implicit-def: $vgpr11
.LBB505_1375:
	s_delay_alu instid0(SALU_CYCLE_1)
	s_and_not1_b32 vcc_lo, exec_lo, s11
	s_cbranch_vccnz .LBB505_1377
; %bb.1376:
	global_load_b32 v9, v[6:7], off
	s_mov_b32 s3, 0
	s_waitcnt vmcnt(0)
	v_cvt_f32_i32_e32 v11, v9
.LBB505_1377:
	s_mov_b32 s11, 0
.LBB505_1378:
	s_delay_alu instid0(SALU_CYCLE_1)
	s_and_not1_b32 vcc_lo, exec_lo, s11
	s_cbranch_vccnz .LBB505_1380
; %bb.1379:
	global_load_i16 v9, v[6:7], off
	s_mov_b32 s3, 0
	s_waitcnt vmcnt(0)
	v_cvt_f32_i32_e32 v11, v9
.LBB505_1380:
	s_mov_b32 s11, 0
.LBB505_1381:
	s_delay_alu instid0(SALU_CYCLE_1)
	s_and_not1_b32 vcc_lo, exec_lo, s11
	s_cbranch_vccnz .LBB505_1387
; %bb.1382:
	v_cmp_lt_i16_e32 vcc_lo, 0, v14
	s_mov_b32 s11, 0
	s_cbranch_vccz .LBB505_1384
; %bb.1383:
	global_load_i8 v9, v[6:7], off
	s_mov_b32 s3, 0
	s_waitcnt vmcnt(0)
	v_cvt_f32_i32_e32 v11, v9
	s_branch .LBB505_1385
.LBB505_1384:
	s_mov_b32 s11, -1
                                        ; implicit-def: $sgpr3
                                        ; implicit-def: $vgpr11
.LBB505_1385:
	s_delay_alu instid0(SALU_CYCLE_1)
	s_and_not1_b32 vcc_lo, exec_lo, s11
	s_cbranch_vccnz .LBB505_1387
; %bb.1386:
	global_load_u8 v6, v[6:7], off
	s_mov_b32 s3, 0
	s_waitcnt vmcnt(0)
	v_cvt_f32_ubyte0_e32 v11, v6
.LBB505_1387:
	s_waitcnt vmcnt(0)
	v_mov_b32_e32 v12, s3
	s_branch .LBB505_1463
.LBB505_1388:
	s_trap 2
	s_sendmsg_rtn_b32 s0, sendmsg(MSG_RTN_GET_DOORBELL)
	s_mov_b32 ttmp2, m0
	s_waitcnt lgkmcnt(0)
	s_and_b32 s0, s0, 0x3ff
	s_delay_alu instid0(SALU_CYCLE_1) | instskip(NEXT) | instid1(SALU_CYCLE_1)
	s_bitset1_b32 s0, 10
	s_mov_b32 m0, s0
	s_sendmsg sendmsg(MSG_INTERRUPT)
	s_mov_b32 m0, ttmp2
.LBB505_1389:                           ; =>This Inner Loop Header: Depth=1
	s_sethalt 5
	s_branch .LBB505_1389
.LBB505_1390:
	s_or_saveexec_b32 s8, s8
                                        ; implicit-def: $sgpr9
	s_delay_alu instid0(SALU_CYCLE_1)
	s_xor_b32 exec_lo, exec_lo, s8
	s_cbranch_execz .LBB505_1051
.LBB505_1391:
	v_add_f32_e64 v0, 0x42800000, |v1|
	s_and_not1_b32 s7, s7, exec_lo
	s_mov_b32 s9, 0
	s_delay_alu instid0(VALU_DEP_1) | instskip(NEXT) | instid1(VALU_DEP_1)
	v_and_b32_e32 v0, 0xff, v0
	v_cmp_ne_u32_e32 vcc_lo, 0, v0
	s_and_b32 s10, vcc_lo, exec_lo
	s_delay_alu instid0(SALU_CYCLE_1)
	s_or_b32 s7, s7, s10
	s_or_b32 exec_lo, exec_lo, s8
	v_mov_b32_e32 v5, s9
	s_and_saveexec_b32 s8, s7
	s_cbranch_execnz .LBB505_1052
	s_branch .LBB505_1053
.LBB505_1392:
	s_mov_b32 s3, -1
.LBB505_1393:
                                        ; implicit-def: $vgpr12
.LBB505_1394:
	s_and_b32 vcc_lo, exec_lo, s13
	s_cbranch_vccz .LBB505_1399
; %bb.1395:
	v_cmp_eq_u16_e32 vcc_lo, 44, v14
	s_cbranch_vccz .LBB505_1397
; %bb.1396:
	global_load_u8 v9, v[6:7], off
	s_mov_b32 s3, 0
	s_mov_b32 s12, -1
	s_waitcnt vmcnt(0)
	v_lshlrev_b32_e32 v11, 23, v9
	v_cmp_ne_u32_e32 vcc_lo, 0xff, v9
	s_delay_alu instid0(VALU_DEP_2) | instskip(SKIP_1) | instid1(VALU_DEP_2)
	v_cndmask_b32_e32 v11, 0x7f800001, v11, vcc_lo
	v_cmp_ne_u32_e32 vcc_lo, 0, v9
	v_cndmask_b32_e32 v11, 0x400000, v11, vcc_lo
	s_branch .LBB505_1398
.LBB505_1397:
	s_mov_b32 s3, -1
                                        ; implicit-def: $vgpr11
.LBB505_1398:
	s_delay_alu instid0(SALU_CYCLE_1)
	v_mov_b32_e32 v12, s3
.LBB505_1399:
	s_mov_b32 s13, 0
.LBB505_1400:
	s_delay_alu instid0(SALU_CYCLE_1)
	s_and_b32 vcc_lo, exec_lo, s13
	s_cbranch_vccz .LBB505_1405
; %bb.1401:
	v_cmp_eq_u16_e32 vcc_lo, 29, v14
	s_cbranch_vccz .LBB505_1403
; %bb.1402:
	global_load_b64 v[11:12], v[6:7], off
	s_mov_b32 s3, 0
	s_mov_b32 s12, -1
	s_mov_b32 s13, 0
	s_waitcnt vmcnt(0)
	v_clz_i32_u32_e32 v9, v12
	s_delay_alu instid0(VALU_DEP_1) | instskip(NEXT) | instid1(VALU_DEP_1)
	v_min_u32_e32 v9, 32, v9
	v_lshlrev_b64 v[11:12], v9, v[11:12]
	v_sub_nc_u32_e32 v9, 32, v9
	s_delay_alu instid0(VALU_DEP_2) | instskip(NEXT) | instid1(VALU_DEP_1)
	v_min_u32_e32 v11, 1, v11
	v_or_b32_e32 v11, v12, v11
	s_delay_alu instid0(VALU_DEP_1) | instskip(NEXT) | instid1(VALU_DEP_1)
	v_cvt_f32_u32_e32 v11, v11
	v_ldexp_f32 v11, v11, v9
	s_branch .LBB505_1404
.LBB505_1403:
	s_mov_b32 s3, -1
                                        ; implicit-def: $sgpr13
                                        ; implicit-def: $vgpr11
.LBB505_1404:
	v_mov_b32_e32 v12, s13
.LBB505_1405:
	s_mov_b32 s13, 0
.LBB505_1406:
	s_delay_alu instid0(SALU_CYCLE_1)
	s_and_b32 vcc_lo, exec_lo, s13
	s_cbranch_vccz .LBB505_1426
; %bb.1407:
	v_cmp_gt_i16_e32 vcc_lo, 27, v14
	s_cbranch_vccnz .LBB505_1410
; %bb.1408:
	v_cmp_lt_i16_e32 vcc_lo, 27, v14
	s_cbranch_vccz .LBB505_1411
; %bb.1409:
	global_load_b32 v9, v[6:7], off
	s_mov_b32 s13, 0
	s_mov_b32 s12, 0
	s_waitcnt vmcnt(0)
	v_cvt_f32_u32_e32 v11, v9
	s_branch .LBB505_1412
.LBB505_1410:
	s_mov_b32 s13, -1
                                        ; implicit-def: $sgpr12
                                        ; implicit-def: $vgpr11
	s_branch .LBB505_1415
.LBB505_1411:
	s_mov_b32 s13, -1
                                        ; implicit-def: $sgpr12
                                        ; implicit-def: $vgpr11
.LBB505_1412:
	s_delay_alu instid0(SALU_CYCLE_1)
	s_and_not1_b32 vcc_lo, exec_lo, s13
	s_cbranch_vccnz .LBB505_1414
; %bb.1413:
	global_load_u16 v9, v[6:7], off
	s_mov_b32 s12, 0
	s_waitcnt vmcnt(0)
	v_cvt_f32_u32_e32 v11, v9
.LBB505_1414:
	s_mov_b32 s13, 0
.LBB505_1415:
	v_mov_b32_e32 v12, s12
	s_and_not1_b32 vcc_lo, exec_lo, s13
	s_cbranch_vccnz .LBB505_1425
; %bb.1416:
	global_load_u8 v9, v[6:7], off
	s_mov_b32 s12, 0
	s_mov_b32 s15, exec_lo
                                        ; implicit-def: $sgpr14
                                        ; implicit-def: $sgpr13
	s_waitcnt vmcnt(0)
	v_cmpx_lt_i16_e32 0x7f, v9
	s_xor_b32 s15, exec_lo, s15
	s_cbranch_execz .LBB505_1420
; %bb.1417:
	s_mov_b32 s12, -1
	s_mov_b32 s16, exec_lo
                                        ; implicit-def: $sgpr14
                                        ; implicit-def: $sgpr13
	v_cmpx_eq_u16_e32 0x80, v9
; %bb.1418:
	s_mov_b32 s13, 0x7f800001
	s_mov_b32 s14, 0
	s_xor_b32 s12, exec_lo, -1
; %bb.1419:
	s_or_b32 exec_lo, exec_lo, s16
	s_delay_alu instid0(SALU_CYCLE_1)
	s_and_b32 s12, s12, exec_lo
.LBB505_1420:
	s_or_saveexec_b32 s15, s15
	v_dual_mov_b32 v12, s14 :: v_dual_mov_b32 v11, s13
	s_xor_b32 exec_lo, exec_lo, s15
; %bb.1421:
	v_mov_b32_e32 v12, 0
	v_cmp_ne_u16_e32 vcc_lo, 0, v9
	s_and_not1_b32 s12, s12, exec_lo
	s_delay_alu instid0(VALU_DEP_2) | instskip(SKIP_1) | instid1(SALU_CYCLE_1)
	v_mov_b32_e32 v11, v12
	s_and_b32 s13, vcc_lo, exec_lo
	s_or_b32 s12, s12, s13
; %bb.1422:
	s_or_b32 exec_lo, exec_lo, s15
	s_and_saveexec_b32 s13, s12
	s_cbranch_execz .LBB505_1424
; %bb.1423:
	v_and_b32_e32 v11, 0xffff, v9
	v_lshlrev_b32_e32 v9, 24, v9
	s_delay_alu instid0(VALU_DEP_2) | instskip(NEXT) | instid1(VALU_DEP_2)
	v_and_b32_e32 v12, 7, v11
	v_and_b32_e32 v9, 0x80000000, v9
	s_delay_alu instid0(VALU_DEP_2) | instskip(NEXT) | instid1(VALU_DEP_1)
	v_clz_i32_u32_e32 v13, v12
	v_min_u32_e32 v13, 32, v13
	s_delay_alu instid0(VALU_DEP_1) | instskip(SKIP_1) | instid1(VALU_DEP_2)
	v_subrev_nc_u32_e32 v15, 28, v13
	v_sub_nc_u32_e32 v13, 29, v13
	v_lshlrev_b32_e32 v15, v15, v11
	v_bfe_u32 v11, v11, 3, 4
	s_delay_alu instid0(VALU_DEP_2) | instskip(NEXT) | instid1(VALU_DEP_2)
	v_and_b32_e32 v15, 7, v15
	v_cmp_eq_u32_e32 vcc_lo, 0, v11
	s_delay_alu instid0(VALU_DEP_2) | instskip(NEXT) | instid1(VALU_DEP_1)
	v_dual_cndmask_b32 v11, v11, v13 :: v_dual_cndmask_b32 v12, v12, v15
	v_lshl_add_u32 v11, v11, 23, 0x3b800000
	s_delay_alu instid0(VALU_DEP_2) | instskip(NEXT) | instid1(VALU_DEP_1)
	v_lshlrev_b32_e32 v12, 20, v12
	v_or3_b32 v11, v9, v11, v12
	v_mov_b32_e32 v12, 0
.LBB505_1424:
	s_or_b32 exec_lo, exec_lo, s13
.LBB505_1425:
	s_mov_b32 s12, -1
.LBB505_1426:
	s_branch .LBB505_1458
.LBB505_1427:
	v_cmp_lt_i16_e32 vcc_lo, 22, v14
	s_cbranch_vccz .LBB505_1439
; %bb.1428:
	v_cmp_gt_i16_e32 vcc_lo, 24, v14
	s_cbranch_vccnz .LBB505_1440
; %bb.1429:
	v_cmp_lt_i16_e32 vcc_lo, 24, v14
	s_cbranch_vccz .LBB505_1441
; %bb.1430:
	global_load_u8 v9, v[6:7], off
	s_mov_b32 s14, exec_lo
                                        ; implicit-def: $sgpr13
                                        ; implicit-def: $sgpr12
	s_waitcnt vmcnt(0)
	v_cmpx_lt_i16_e32 0x7f, v9
	s_xor_b32 s14, exec_lo, s14
	s_cbranch_execz .LBB505_1434
; %bb.1431:
	s_mov_b32 s11, -1
	s_mov_b32 s15, exec_lo
                                        ; implicit-def: $sgpr13
                                        ; implicit-def: $sgpr12
	v_cmpx_eq_u16_e32 0x80, v9
; %bb.1432:
	s_mov_b32 s12, 0x7f800001
	s_mov_b32 s13, 0
	s_xor_b32 s11, exec_lo, -1
; %bb.1433:
	s_or_b32 exec_lo, exec_lo, s15
	s_delay_alu instid0(SALU_CYCLE_1)
	s_and_b32 s11, s11, exec_lo
.LBB505_1434:
	s_or_saveexec_b32 s14, s14
	v_dual_mov_b32 v12, s13 :: v_dual_mov_b32 v11, s12
	s_xor_b32 exec_lo, exec_lo, s14
; %bb.1435:
	v_mov_b32_e32 v12, 0
	v_cmp_ne_u16_e32 vcc_lo, 0, v9
	s_and_not1_b32 s11, s11, exec_lo
	s_delay_alu instid0(VALU_DEP_2) | instskip(SKIP_1) | instid1(SALU_CYCLE_1)
	v_mov_b32_e32 v11, v12
	s_and_b32 s12, vcc_lo, exec_lo
	s_or_b32 s11, s11, s12
; %bb.1436:
	s_or_b32 exec_lo, exec_lo, s14
	s_and_saveexec_b32 s12, s11
	s_cbranch_execz .LBB505_1438
; %bb.1437:
	v_and_b32_e32 v11, 0xffff, v9
	v_lshlrev_b32_e32 v9, 24, v9
	s_delay_alu instid0(VALU_DEP_2) | instskip(NEXT) | instid1(VALU_DEP_2)
	v_and_b32_e32 v12, 3, v11
	v_and_b32_e32 v9, 0x80000000, v9
	s_delay_alu instid0(VALU_DEP_2) | instskip(NEXT) | instid1(VALU_DEP_1)
	v_clz_i32_u32_e32 v13, v12
	v_min_u32_e32 v13, 32, v13
	s_delay_alu instid0(VALU_DEP_1) | instskip(SKIP_1) | instid1(VALU_DEP_2)
	v_subrev_nc_u32_e32 v15, 29, v13
	v_sub_nc_u32_e32 v13, 30, v13
	v_lshlrev_b32_e32 v15, v15, v11
	v_bfe_u32 v11, v11, 2, 5
	s_delay_alu instid0(VALU_DEP_2) | instskip(NEXT) | instid1(VALU_DEP_2)
	v_and_b32_e32 v15, 3, v15
	v_cmp_eq_u32_e32 vcc_lo, 0, v11
	s_delay_alu instid0(VALU_DEP_2) | instskip(NEXT) | instid1(VALU_DEP_1)
	v_dual_cndmask_b32 v11, v11, v13 :: v_dual_cndmask_b32 v12, v12, v15
	v_lshl_add_u32 v11, v11, 23, 0x37800000
	s_delay_alu instid0(VALU_DEP_2) | instskip(NEXT) | instid1(VALU_DEP_1)
	v_lshlrev_b32_e32 v12, 21, v12
	v_or3_b32 v11, v9, v11, v12
	v_mov_b32_e32 v12, 0
.LBB505_1438:
	s_or_b32 exec_lo, exec_lo, s12
	s_mov_b32 s11, 0
	s_branch .LBB505_1442
.LBB505_1439:
	s_mov_b32 s11, -1
                                        ; implicit-def: $vgpr12
	s_branch .LBB505_1448
.LBB505_1440:
	s_mov_b32 s11, -1
                                        ; implicit-def: $vgpr12
	s_branch .LBB505_1445
.LBB505_1441:
	s_mov_b32 s11, -1
                                        ; implicit-def: $vgpr12
.LBB505_1442:
	s_delay_alu instid0(SALU_CYCLE_1)
	s_and_b32 vcc_lo, exec_lo, s11
	s_cbranch_vccz .LBB505_1444
; %bb.1443:
	global_load_u8 v9, v[6:7], off
	s_waitcnt vmcnt(0)
	v_lshlrev_b32_e32 v9, 24, v9
	s_delay_alu instid0(VALU_DEP_1) | instskip(NEXT) | instid1(VALU_DEP_1)
	v_and_b32_e32 v11, 0x7f000000, v9
	v_clz_i32_u32_e32 v12, v11
	v_add_nc_u32_e32 v15, 0x1000000, v11
	v_cmp_ne_u32_e32 vcc_lo, 0, v11
	s_delay_alu instid0(VALU_DEP_3) | instskip(NEXT) | instid1(VALU_DEP_1)
	v_min_u32_e32 v12, 32, v12
	v_sub_nc_u32_e64 v12, v12, 4 clamp
	s_delay_alu instid0(VALU_DEP_1) | instskip(SKIP_1) | instid1(VALU_DEP_2)
	v_lshlrev_b32_e32 v13, v12, v11
	v_lshlrev_b32_e32 v12, 23, v12
	v_lshrrev_b32_e32 v13, 4, v13
	s_delay_alu instid0(VALU_DEP_1) | instskip(SKIP_1) | instid1(VALU_DEP_2)
	v_sub_nc_u32_e32 v12, v13, v12
	v_ashrrev_i32_e32 v13, 8, v15
	v_add_nc_u32_e32 v12, 0x3c000000, v12
	s_delay_alu instid0(VALU_DEP_1) | instskip(NEXT) | instid1(VALU_DEP_1)
	v_and_or_b32 v12, 0x7f800000, v13, v12
	v_dual_cndmask_b32 v11, 0, v12 :: v_dual_mov_b32 v12, 0
	s_delay_alu instid0(VALU_DEP_1)
	v_and_or_b32 v11, 0x80000000, v9, v11
.LBB505_1444:
	s_mov_b32 s11, 0
.LBB505_1445:
	s_delay_alu instid0(SALU_CYCLE_1)
	s_and_not1_b32 vcc_lo, exec_lo, s11
	s_cbranch_vccnz .LBB505_1447
; %bb.1446:
	global_load_u8 v9, v[6:7], off
	s_waitcnt vmcnt(0)
	v_lshlrev_b32_e32 v11, 25, v9
	v_lshlrev_b16 v9, 8, v9
	s_delay_alu instid0(VALU_DEP_2) | instskip(NEXT) | instid1(VALU_DEP_2)
	v_lshrrev_b32_e32 v12, 4, v11
	v_and_or_b32 v13, 0x7f00, v9, 0.5
	v_bfe_i32 v9, v9, 0, 16
	s_delay_alu instid0(VALU_DEP_3) | instskip(NEXT) | instid1(VALU_DEP_1)
	v_or_b32_e32 v12, 0x70000000, v12
	v_dual_add_f32 v13, -0.5, v13 :: v_dual_mul_f32 v12, 0x7800000, v12
	v_cmp_gt_u32_e32 vcc_lo, 0x8000000, v11
	s_delay_alu instid0(VALU_DEP_2) | instskip(NEXT) | instid1(VALU_DEP_1)
	v_dual_cndmask_b32 v11, v12, v13 :: v_dual_mov_b32 v12, 0
	v_and_or_b32 v11, 0x80000000, v9, v11
.LBB505_1447:
	s_mov_b32 s11, 0
	s_mov_b32 s12, -1
.LBB505_1448:
	s_and_not1_b32 vcc_lo, exec_lo, s11
	s_mov_b32 s11, 0
	s_cbranch_vccnz .LBB505_1458
; %bb.1449:
	v_cmp_lt_i16_e32 vcc_lo, 14, v14
	s_cbranch_vccz .LBB505_1452
; %bb.1450:
	v_cmp_eq_u16_e32 vcc_lo, 15, v14
	s_cbranch_vccz .LBB505_1453
; %bb.1451:
	global_load_u16 v9, v[6:7], off
	s_mov_b32 s3, 0
	s_mov_b32 s12, -1
	s_mov_b32 s13, 0
	s_waitcnt vmcnt(0)
	v_lshlrev_b32_e32 v11, 16, v9
	s_branch .LBB505_1455
.LBB505_1452:
	s_mov_b32 s11, -1
	s_branch .LBB505_1454
.LBB505_1453:
	s_mov_b32 s3, -1
.LBB505_1454:
                                        ; implicit-def: $sgpr13
                                        ; implicit-def: $vgpr11
.LBB505_1455:
	s_and_b32 vcc_lo, exec_lo, s11
	s_mov_b32 s11, 0
	s_cbranch_vccz .LBB505_1457
; %bb.1456:
	v_cmp_ne_u16_e64 s3, 11, v14
	s_mov_b32 s11, -1
                                        ; implicit-def: $sgpr13
                                        ; implicit-def: $vgpr11
.LBB505_1457:
	v_mov_b32_e32 v12, s13
.LBB505_1458:
	s_delay_alu instid0(VALU_DEP_2)
	s_and_b32 vcc_lo, exec_lo, s3
	s_cbranch_vccnz .LBB505_1490
; %bb.1459:
	s_and_not1_b32 vcc_lo, exec_lo, s11
	s_cbranch_vccnz .LBB505_1461
.LBB505_1460:
	global_load_u8 v9, v[6:7], off
	v_mov_b32_e32 v12, 0
	s_mov_b32 s12, -1
	s_waitcnt vmcnt(0)
	v_cmp_ne_u16_e32 vcc_lo, 0, v9
	v_cndmask_b32_e64 v11, 0, 1.0, vcc_lo
.LBB505_1461:
.LBB505_1462:
	s_and_not1_b32 vcc_lo, exec_lo, s12
	s_cbranch_vccnz .LBB505_1771
.LBB505_1463:
	v_mov_b32_e32 v6, s0
	s_mov_b32 s3, exec_lo
	s_waitcnt vmcnt(0)
	s_delay_alu instid0(VALU_DEP_2)
	v_cmpx_o_f32_e32 v11, v11
	s_cbranch_execz .LBB505_1467
; %bb.1464:
	v_mov_b32_e32 v6, s1
	s_mov_b32 s11, exec_lo
	v_cmpx_neq_f32_e32 0x7f800000, v11
; %bb.1465:
	v_cmp_eq_f32_e32 vcc_lo, 0xff800000, v11
	v_cndmask_b32_e64 v6, v11, s2, vcc_lo
; %bb.1466:
	s_or_b32 exec_lo, exec_lo, s11
.LBB505_1467:
	s_delay_alu instid0(SALU_CYCLE_1) | instskip(SKIP_2) | instid1(VALU_DEP_4)
	s_or_b32 exec_lo, exec_lo, s3
	v_mov_b32_e32 v7, s0
	s_mov_b32 s3, exec_lo
	v_cmpx_o_f32_e32 v12, v12
	s_cbranch_execz .LBB505_1471
; %bb.1468:
	v_mov_b32_e32 v7, s1
	s_mov_b32 s11, exec_lo
	v_cmpx_neq_f32_e32 0x7f800000, v12
; %bb.1469:
	v_cmp_eq_f32_e32 vcc_lo, 0xff800000, v12
	v_cndmask_b32_e64 v7, v12, s2, vcc_lo
; %bb.1470:
	s_or_b32 exec_lo, exec_lo, s11
.LBB505_1471:
	s_delay_alu instid0(SALU_CYCLE_1) | instskip(SKIP_2) | instid1(VALU_DEP_1)
	s_or_b32 exec_lo, exec_lo, s3
	v_cmp_gt_i16_e32 vcc_lo, 11, v14
	v_add_co_u32 v8, s3, s6, v8
	v_add_co_ci_u32_e64 v9, null, s7, 0, s3
	s_mov_b32 s12, 0
	s_cbranch_vccnz .LBB505_1478
; %bb.1472:
	v_cmp_lt_i16_e32 vcc_lo, 25, v14
	s_mov_b32 s11, 0
	s_cbranch_vccz .LBB505_1484
; %bb.1473:
	v_cmp_lt_i16_e32 vcc_lo, 28, v14
	s_cbranch_vccz .LBB505_1486
; %bb.1474:
	v_cmp_lt_i16_e32 vcc_lo, 43, v14
	;; [unrolled: 3-line block ×3, first 2 shown]
	s_cbranch_vccz .LBB505_1492
; %bb.1476:
	v_cmp_eq_u16_e32 vcc_lo, 46, v14
	s_mov_b32 s13, 0
	s_cbranch_vccz .LBB505_1537
; %bb.1477:
	global_load_b32 v11, v[8:9], off
	s_mov_b32 s3, 0
	s_mov_b32 s12, -1
	s_waitcnt vmcnt(0)
	v_and_b32_e32 v12, 0xffff0000, v11
	v_lshlrev_b32_e32 v11, 16, v11
	s_branch .LBB505_1539
.LBB505_1478:
                                        ; implicit-def: $vgpr12
	s_cbranch_execz .LBB505_1608
; %bb.1479:
	v_cmp_gt_i16_e32 vcc_lo, 5, v14
	s_cbranch_vccnz .LBB505_1485
; %bb.1480:
	v_cmp_gt_i16_e32 vcc_lo, 8, v14
	s_cbranch_vccnz .LBB505_1487
	;; [unrolled: 3-line block ×3, first 2 shown]
; %bb.1482:
	v_cmp_lt_i16_e32 vcc_lo, 9, v14
	s_cbranch_vccz .LBB505_1493
; %bb.1483:
	global_load_b128 v[15:18], v[8:9], off
	s_mov_b32 s3, 0
	s_waitcnt vmcnt(0)
	v_cvt_f32_f64_e32 v11, v[15:16]
	v_cvt_f32_f64_e32 v12, v[17:18]
	s_branch .LBB505_1494
.LBB505_1484:
	s_mov_b32 s13, -1
	s_mov_b32 s3, 0
                                        ; implicit-def: $vgpr12
	s_branch .LBB505_1572
.LBB505_1485:
	s_mov_b32 s3, -1
                                        ; implicit-def: $vgpr12
	s_branch .LBB505_1513
.LBB505_1486:
	s_mov_b32 s13, -1
	s_mov_b32 s3, 0
                                        ; implicit-def: $vgpr12
	s_branch .LBB505_1551
.LBB505_1487:
	s_mov_b32 s3, -1
                                        ; implicit-def: $vgpr12
	s_branch .LBB505_1500
.LBB505_1488:
	s_mov_b32 s13, -1
	s_mov_b32 s3, 0
                                        ; implicit-def: $vgpr12
	s_branch .LBB505_1545
.LBB505_1489:
	s_mov_b32 s3, -1
                                        ; implicit-def: $vgpr12
	s_branch .LBB505_1497
.LBB505_1490:
	s_cbranch_execnz .LBB505_1535
; %bb.1491:
	s_or_b32 s10, s10, exec_lo
                                        ; implicit-def: $vgpr12
	s_cbranch_execz .LBB505_1460
	s_branch .LBB505_1461
.LBB505_1492:
	s_mov_b32 s13, -1
	s_mov_b32 s3, 0
	s_branch .LBB505_1538
.LBB505_1493:
	s_mov_b32 s3, -1
                                        ; implicit-def: $vgpr12
.LBB505_1494:
	s_delay_alu instid0(SALU_CYCLE_1)
	s_and_not1_b32 vcc_lo, exec_lo, s3
	s_cbranch_vccnz .LBB505_1496
; %bb.1495:
	global_load_b64 v[11:12], v[8:9], off
.LBB505_1496:
	s_mov_b32 s3, 0
.LBB505_1497:
	s_delay_alu instid0(SALU_CYCLE_1)
	s_and_not1_b32 vcc_lo, exec_lo, s3
	s_cbranch_vccnz .LBB505_1499
; %bb.1498:
	global_load_b32 v11, v[8:9], off
	s_waitcnt vmcnt(0)
	v_lshrrev_b32_e32 v12, 16, v11
	v_cvt_f32_f16_e32 v11, v11
	s_delay_alu instid0(VALU_DEP_2)
	v_cvt_f32_f16_e32 v12, v12
.LBB505_1499:
	s_mov_b32 s3, 0
.LBB505_1500:
	s_delay_alu instid0(SALU_CYCLE_1)
	s_and_not1_b32 vcc_lo, exec_lo, s3
	s_cbranch_vccnz .LBB505_1512
; %bb.1501:
	v_cmp_gt_i16_e32 vcc_lo, 6, v14
	s_cbranch_vccnz .LBB505_1504
; %bb.1502:
	v_cmp_lt_i16_e32 vcc_lo, 6, v14
	s_cbranch_vccz .LBB505_1505
; %bb.1503:
	global_load_b64 v[11:12], v[8:9], off
	s_mov_b32 s11, 0
	s_mov_b32 s3, 0
	s_waitcnt vmcnt(0)
	v_cvt_f32_f64_e32 v11, v[11:12]
	s_branch .LBB505_1506
.LBB505_1504:
	s_mov_b32 s11, -1
                                        ; implicit-def: $sgpr3
                                        ; implicit-def: $vgpr11
	s_branch .LBB505_1509
.LBB505_1505:
	s_mov_b32 s11, -1
                                        ; implicit-def: $sgpr3
                                        ; implicit-def: $vgpr11
.LBB505_1506:
	s_delay_alu instid0(SALU_CYCLE_1)
	s_and_not1_b32 vcc_lo, exec_lo, s11
	s_cbranch_vccnz .LBB505_1508
; %bb.1507:
	global_load_b32 v11, v[8:9], off
	s_mov_b32 s3, 0
.LBB505_1508:
	s_mov_b32 s11, 0
.LBB505_1509:
	s_delay_alu instid0(SALU_CYCLE_1)
	s_and_not1_b32 vcc_lo, exec_lo, s11
	s_cbranch_vccnz .LBB505_1511
; %bb.1510:
	global_load_u16 v11, v[8:9], off
	s_mov_b32 s3, 0
	s_waitcnt vmcnt(0)
	v_cvt_f32_f16_e32 v11, v11
.LBB505_1511:
	s_waitcnt vmcnt(0)
	v_mov_b32_e32 v12, s3
.LBB505_1512:
	s_mov_b32 s3, 0
.LBB505_1513:
	s_delay_alu instid0(SALU_CYCLE_1)
	s_and_not1_b32 vcc_lo, exec_lo, s3
	s_cbranch_vccnz .LBB505_1534
; %bb.1514:
	v_cmp_gt_i16_e32 vcc_lo, 2, v14
	s_cbranch_vccnz .LBB505_1518
; %bb.1515:
	v_cmp_gt_i16_e32 vcc_lo, 3, v14
	s_cbranch_vccnz .LBB505_1519
; %bb.1516:
	v_cmp_lt_i16_e32 vcc_lo, 3, v14
	s_cbranch_vccz .LBB505_1520
; %bb.1517:
	global_load_b64 v[11:12], v[8:9], off
	s_mov_b32 s11, 0
	s_mov_b32 s3, 0
	s_waitcnt vmcnt(0)
	v_xor_b32_e32 v13, v11, v12
	v_cls_i32_e32 v15, v12
	s_delay_alu instid0(VALU_DEP_2) | instskip(NEXT) | instid1(VALU_DEP_2)
	v_ashrrev_i32_e32 v13, 31, v13
	v_add_nc_u32_e32 v15, -1, v15
	s_delay_alu instid0(VALU_DEP_2) | instskip(NEXT) | instid1(VALU_DEP_1)
	v_add_nc_u32_e32 v13, 32, v13
	v_min_u32_e32 v13, v15, v13
	s_delay_alu instid0(VALU_DEP_1) | instskip(NEXT) | instid1(VALU_DEP_1)
	v_lshlrev_b64 v[11:12], v13, v[11:12]
	v_min_u32_e32 v11, 1, v11
	s_delay_alu instid0(VALU_DEP_1) | instskip(SKIP_1) | instid1(VALU_DEP_2)
	v_or_b32_e32 v11, v12, v11
	v_sub_nc_u32_e32 v12, 32, v13
	v_cvt_f32_i32_e32 v11, v11
	s_delay_alu instid0(VALU_DEP_1)
	v_ldexp_f32 v11, v11, v12
	s_branch .LBB505_1521
.LBB505_1518:
	s_mov_b32 s11, -1
                                        ; implicit-def: $sgpr3
                                        ; implicit-def: $vgpr11
	s_branch .LBB505_1527
.LBB505_1519:
	s_mov_b32 s11, -1
                                        ; implicit-def: $sgpr3
                                        ; implicit-def: $vgpr11
	s_branch .LBB505_1524
.LBB505_1520:
	s_mov_b32 s11, -1
                                        ; implicit-def: $sgpr3
                                        ; implicit-def: $vgpr11
.LBB505_1521:
	s_delay_alu instid0(SALU_CYCLE_1)
	s_and_not1_b32 vcc_lo, exec_lo, s11
	s_cbranch_vccnz .LBB505_1523
; %bb.1522:
	global_load_b32 v11, v[8:9], off
	s_mov_b32 s3, 0
	s_waitcnt vmcnt(0)
	v_cvt_f32_i32_e32 v11, v11
.LBB505_1523:
	s_mov_b32 s11, 0
.LBB505_1524:
	s_delay_alu instid0(SALU_CYCLE_1)
	s_and_not1_b32 vcc_lo, exec_lo, s11
	s_cbranch_vccnz .LBB505_1526
; %bb.1525:
	global_load_i16 v11, v[8:9], off
	s_mov_b32 s3, 0
	s_waitcnt vmcnt(0)
	v_cvt_f32_i32_e32 v11, v11
.LBB505_1526:
	s_mov_b32 s11, 0
.LBB505_1527:
	s_delay_alu instid0(SALU_CYCLE_1)
	s_and_not1_b32 vcc_lo, exec_lo, s11
	s_cbranch_vccnz .LBB505_1533
; %bb.1528:
	v_cmp_lt_i16_e32 vcc_lo, 0, v14
	s_mov_b32 s11, 0
	s_cbranch_vccz .LBB505_1530
; %bb.1529:
	global_load_i8 v11, v[8:9], off
	s_mov_b32 s3, 0
	s_waitcnt vmcnt(0)
	v_cvt_f32_i32_e32 v11, v11
	s_branch .LBB505_1531
.LBB505_1530:
	s_mov_b32 s11, -1
                                        ; implicit-def: $sgpr3
                                        ; implicit-def: $vgpr11
.LBB505_1531:
	s_delay_alu instid0(SALU_CYCLE_1)
	s_and_not1_b32 vcc_lo, exec_lo, s11
	s_cbranch_vccnz .LBB505_1533
; %bb.1532:
	global_load_u8 v8, v[8:9], off
	s_mov_b32 s3, 0
	s_waitcnt vmcnt(0)
	v_cvt_f32_ubyte0_e32 v11, v8
.LBB505_1533:
	s_waitcnt vmcnt(0)
	v_mov_b32_e32 v12, s3
.LBB505_1534:
	s_branch .LBB505_1609
.LBB505_1535:
	s_trap 2
	s_sendmsg_rtn_b32 s0, sendmsg(MSG_RTN_GET_DOORBELL)
	s_mov_b32 ttmp2, m0
	s_waitcnt lgkmcnt(0)
	s_and_b32 s0, s0, 0x3ff
	s_delay_alu instid0(SALU_CYCLE_1) | instskip(NEXT) | instid1(SALU_CYCLE_1)
	s_bitset1_b32 s0, 10
	s_mov_b32 m0, s0
	s_sendmsg sendmsg(MSG_INTERRUPT)
	s_mov_b32 m0, ttmp2
.LBB505_1536:                           ; =>This Inner Loop Header: Depth=1
	s_sethalt 5
	s_branch .LBB505_1536
.LBB505_1537:
	s_mov_b32 s3, -1
.LBB505_1538:
                                        ; implicit-def: $vgpr12
.LBB505_1539:
	s_and_b32 vcc_lo, exec_lo, s13
	s_cbranch_vccz .LBB505_1544
; %bb.1540:
	v_cmp_eq_u16_e32 vcc_lo, 44, v14
	s_cbranch_vccz .LBB505_1542
; %bb.1541:
	global_load_u8 v11, v[8:9], off
	s_mov_b32 s3, 0
	s_mov_b32 s12, -1
	s_waitcnt vmcnt(0)
	v_lshlrev_b32_e32 v12, 23, v11
	v_cmp_ne_u32_e32 vcc_lo, 0xff, v11
	s_delay_alu instid0(VALU_DEP_2) | instskip(SKIP_1) | instid1(VALU_DEP_2)
	v_cndmask_b32_e32 v12, 0x7f800001, v12, vcc_lo
	v_cmp_ne_u32_e32 vcc_lo, 0, v11
	v_cndmask_b32_e32 v11, 0x400000, v12, vcc_lo
	s_branch .LBB505_1543
.LBB505_1542:
	s_mov_b32 s3, -1
                                        ; implicit-def: $vgpr11
.LBB505_1543:
	s_delay_alu instid0(SALU_CYCLE_1)
	v_mov_b32_e32 v12, s3
.LBB505_1544:
	s_mov_b32 s13, 0
.LBB505_1545:
	s_delay_alu instid0(SALU_CYCLE_1)
	s_and_b32 vcc_lo, exec_lo, s13
	s_cbranch_vccz .LBB505_1550
; %bb.1546:
	v_cmp_eq_u16_e32 vcc_lo, 29, v14
	s_cbranch_vccz .LBB505_1548
; %bb.1547:
	global_load_b64 v[11:12], v[8:9], off
	s_mov_b32 s3, 0
	s_mov_b32 s12, -1
	s_mov_b32 s13, 0
	s_waitcnt vmcnt(0)
	v_clz_i32_u32_e32 v13, v12
	s_delay_alu instid0(VALU_DEP_1) | instskip(NEXT) | instid1(VALU_DEP_1)
	v_min_u32_e32 v13, 32, v13
	v_lshlrev_b64 v[11:12], v13, v[11:12]
	s_delay_alu instid0(VALU_DEP_1) | instskip(NEXT) | instid1(VALU_DEP_1)
	v_min_u32_e32 v11, 1, v11
	v_or_b32_e32 v11, v12, v11
	v_sub_nc_u32_e32 v12, 32, v13
	s_delay_alu instid0(VALU_DEP_2) | instskip(NEXT) | instid1(VALU_DEP_1)
	v_cvt_f32_u32_e32 v11, v11
	v_ldexp_f32 v11, v11, v12
	s_branch .LBB505_1549
.LBB505_1548:
	s_mov_b32 s3, -1
                                        ; implicit-def: $sgpr13
                                        ; implicit-def: $vgpr11
.LBB505_1549:
	v_mov_b32_e32 v12, s13
.LBB505_1550:
	s_mov_b32 s13, 0
.LBB505_1551:
	s_delay_alu instid0(SALU_CYCLE_1)
	s_and_b32 vcc_lo, exec_lo, s13
	s_cbranch_vccz .LBB505_1571
; %bb.1552:
	v_cmp_gt_i16_e32 vcc_lo, 27, v14
	s_cbranch_vccnz .LBB505_1555
; %bb.1553:
	v_cmp_lt_i16_e32 vcc_lo, 27, v14
	s_cbranch_vccz .LBB505_1556
; %bb.1554:
	global_load_b32 v11, v[8:9], off
	s_mov_b32 s13, 0
	s_mov_b32 s12, 0
	s_waitcnt vmcnt(0)
	v_cvt_f32_u32_e32 v11, v11
	s_branch .LBB505_1557
.LBB505_1555:
	s_mov_b32 s13, -1
                                        ; implicit-def: $sgpr12
                                        ; implicit-def: $vgpr11
	s_branch .LBB505_1560
.LBB505_1556:
	s_mov_b32 s13, -1
                                        ; implicit-def: $sgpr12
                                        ; implicit-def: $vgpr11
.LBB505_1557:
	s_delay_alu instid0(SALU_CYCLE_1)
	s_and_not1_b32 vcc_lo, exec_lo, s13
	s_cbranch_vccnz .LBB505_1559
; %bb.1558:
	global_load_u16 v11, v[8:9], off
	s_mov_b32 s12, 0
	s_waitcnt vmcnt(0)
	v_cvt_f32_u32_e32 v11, v11
.LBB505_1559:
	s_mov_b32 s13, 0
.LBB505_1560:
	v_mov_b32_e32 v12, s12
	s_and_not1_b32 vcc_lo, exec_lo, s13
	s_cbranch_vccnz .LBB505_1570
; %bb.1561:
	global_load_u8 v13, v[8:9], off
	s_mov_b32 s12, 0
	s_mov_b32 s15, exec_lo
                                        ; implicit-def: $sgpr14
                                        ; implicit-def: $sgpr13
	s_waitcnt vmcnt(0)
	v_cmpx_lt_i16_e32 0x7f, v13
	s_xor_b32 s15, exec_lo, s15
	s_cbranch_execz .LBB505_1565
; %bb.1562:
	s_mov_b32 s12, -1
	s_mov_b32 s16, exec_lo
                                        ; implicit-def: $sgpr14
                                        ; implicit-def: $sgpr13
	v_cmpx_eq_u16_e32 0x80, v13
; %bb.1563:
	s_mov_b32 s13, 0x7f800001
	s_mov_b32 s14, 0
	s_xor_b32 s12, exec_lo, -1
; %bb.1564:
	s_or_b32 exec_lo, exec_lo, s16
	s_delay_alu instid0(SALU_CYCLE_1)
	s_and_b32 s12, s12, exec_lo
.LBB505_1565:
	s_or_saveexec_b32 s15, s15
	v_dual_mov_b32 v12, s14 :: v_dual_mov_b32 v11, s13
	s_xor_b32 exec_lo, exec_lo, s15
; %bb.1566:
	v_mov_b32_e32 v12, 0
	v_cmp_ne_u16_e32 vcc_lo, 0, v13
	s_and_not1_b32 s12, s12, exec_lo
	s_delay_alu instid0(VALU_DEP_2) | instskip(SKIP_1) | instid1(SALU_CYCLE_1)
	v_mov_b32_e32 v11, v12
	s_and_b32 s13, vcc_lo, exec_lo
	s_or_b32 s12, s12, s13
; %bb.1567:
	s_or_b32 exec_lo, exec_lo, s15
	s_and_saveexec_b32 s13, s12
	s_cbranch_execz .LBB505_1569
; %bb.1568:
	v_and_b32_e32 v11, 0xffff, v13
	v_lshlrev_b32_e32 v13, 24, v13
	s_delay_alu instid0(VALU_DEP_2) | instskip(NEXT) | instid1(VALU_DEP_2)
	v_and_b32_e32 v12, 7, v11
	v_and_b32_e32 v13, 0x80000000, v13
	s_delay_alu instid0(VALU_DEP_2) | instskip(NEXT) | instid1(VALU_DEP_1)
	v_clz_i32_u32_e32 v15, v12
	v_min_u32_e32 v15, 32, v15
	s_delay_alu instid0(VALU_DEP_1) | instskip(SKIP_1) | instid1(VALU_DEP_2)
	v_subrev_nc_u32_e32 v16, 28, v15
	v_sub_nc_u32_e32 v15, 29, v15
	v_lshlrev_b32_e32 v16, v16, v11
	v_bfe_u32 v11, v11, 3, 4
	s_delay_alu instid0(VALU_DEP_1) | instskip(NEXT) | instid1(VALU_DEP_3)
	v_cmp_eq_u32_e32 vcc_lo, 0, v11
	v_dual_cndmask_b32 v11, v11, v15 :: v_dual_and_b32 v16, 7, v16
	s_delay_alu instid0(VALU_DEP_1) | instskip(NEXT) | instid1(VALU_DEP_2)
	v_cndmask_b32_e32 v12, v12, v16, vcc_lo
	v_lshl_add_u32 v11, v11, 23, 0x3b800000
	s_delay_alu instid0(VALU_DEP_2) | instskip(NEXT) | instid1(VALU_DEP_1)
	v_lshlrev_b32_e32 v12, 20, v12
	v_or3_b32 v11, v13, v11, v12
	v_mov_b32_e32 v12, 0
.LBB505_1569:
	s_or_b32 exec_lo, exec_lo, s13
.LBB505_1570:
	s_mov_b32 s12, -1
.LBB505_1571:
	s_mov_b32 s13, 0
.LBB505_1572:
	s_delay_alu instid0(SALU_CYCLE_1)
	s_and_b32 vcc_lo, exec_lo, s13
	s_cbranch_vccz .LBB505_1604
; %bb.1573:
	v_cmp_lt_i16_e32 vcc_lo, 22, v14
	s_cbranch_vccz .LBB505_1585
; %bb.1574:
	v_cmp_gt_i16_e32 vcc_lo, 24, v14
	s_cbranch_vccnz .LBB505_1586
; %bb.1575:
	v_cmp_lt_i16_e32 vcc_lo, 24, v14
	s_cbranch_vccz .LBB505_1587
; %bb.1576:
	global_load_u8 v13, v[8:9], off
	s_mov_b32 s14, exec_lo
                                        ; implicit-def: $sgpr13
                                        ; implicit-def: $sgpr12
	s_waitcnt vmcnt(0)
	v_cmpx_lt_i16_e32 0x7f, v13
	s_xor_b32 s14, exec_lo, s14
	s_cbranch_execz .LBB505_1580
; %bb.1577:
	s_mov_b32 s11, -1
	s_mov_b32 s15, exec_lo
                                        ; implicit-def: $sgpr13
                                        ; implicit-def: $sgpr12
	v_cmpx_eq_u16_e32 0x80, v13
; %bb.1578:
	s_mov_b32 s12, 0x7f800001
	s_mov_b32 s13, 0
	s_xor_b32 s11, exec_lo, -1
; %bb.1579:
	s_or_b32 exec_lo, exec_lo, s15
	s_delay_alu instid0(SALU_CYCLE_1)
	s_and_b32 s11, s11, exec_lo
.LBB505_1580:
	s_or_saveexec_b32 s14, s14
	v_dual_mov_b32 v12, s13 :: v_dual_mov_b32 v11, s12
	s_xor_b32 exec_lo, exec_lo, s14
; %bb.1581:
	v_mov_b32_e32 v12, 0
	v_cmp_ne_u16_e32 vcc_lo, 0, v13
	s_and_not1_b32 s11, s11, exec_lo
	s_delay_alu instid0(VALU_DEP_2) | instskip(SKIP_1) | instid1(SALU_CYCLE_1)
	v_mov_b32_e32 v11, v12
	s_and_b32 s12, vcc_lo, exec_lo
	s_or_b32 s11, s11, s12
; %bb.1582:
	s_or_b32 exec_lo, exec_lo, s14
	s_and_saveexec_b32 s12, s11
	s_cbranch_execz .LBB505_1584
; %bb.1583:
	v_and_b32_e32 v11, 0xffff, v13
	v_lshlrev_b32_e32 v13, 24, v13
	s_delay_alu instid0(VALU_DEP_2) | instskip(NEXT) | instid1(VALU_DEP_2)
	v_and_b32_e32 v12, 3, v11
	v_and_b32_e32 v13, 0x80000000, v13
	s_delay_alu instid0(VALU_DEP_2) | instskip(NEXT) | instid1(VALU_DEP_1)
	v_clz_i32_u32_e32 v15, v12
	v_min_u32_e32 v15, 32, v15
	s_delay_alu instid0(VALU_DEP_1) | instskip(SKIP_1) | instid1(VALU_DEP_2)
	v_subrev_nc_u32_e32 v16, 29, v15
	v_sub_nc_u32_e32 v15, 30, v15
	v_lshlrev_b32_e32 v16, v16, v11
	v_bfe_u32 v11, v11, 2, 5
	s_delay_alu instid0(VALU_DEP_1) | instskip(NEXT) | instid1(VALU_DEP_3)
	v_cmp_eq_u32_e32 vcc_lo, 0, v11
	v_dual_cndmask_b32 v11, v11, v15 :: v_dual_and_b32 v16, 3, v16
	s_delay_alu instid0(VALU_DEP_1) | instskip(NEXT) | instid1(VALU_DEP_2)
	v_cndmask_b32_e32 v12, v12, v16, vcc_lo
	v_lshl_add_u32 v11, v11, 23, 0x37800000
	s_delay_alu instid0(VALU_DEP_2) | instskip(NEXT) | instid1(VALU_DEP_1)
	v_lshlrev_b32_e32 v12, 21, v12
	v_or3_b32 v11, v13, v11, v12
	v_mov_b32_e32 v12, 0
.LBB505_1584:
	s_or_b32 exec_lo, exec_lo, s12
	s_mov_b32 s11, 0
	s_branch .LBB505_1588
.LBB505_1585:
	s_mov_b32 s11, -1
                                        ; implicit-def: $vgpr12
	s_branch .LBB505_1594
.LBB505_1586:
	s_mov_b32 s11, -1
                                        ; implicit-def: $vgpr12
	s_branch .LBB505_1591
.LBB505_1587:
	s_mov_b32 s11, -1
                                        ; implicit-def: $vgpr12
.LBB505_1588:
	s_delay_alu instid0(SALU_CYCLE_1)
	s_and_b32 vcc_lo, exec_lo, s11
	s_cbranch_vccz .LBB505_1590
; %bb.1589:
	global_load_u8 v11, v[8:9], off
	s_waitcnt vmcnt(0)
	v_lshlrev_b32_e32 v11, 24, v11
	s_delay_alu instid0(VALU_DEP_1) | instskip(NEXT) | instid1(VALU_DEP_1)
	v_and_b32_e32 v12, 0x7f000000, v11
	v_clz_i32_u32_e32 v13, v12
	v_add_nc_u32_e32 v16, 0x1000000, v12
	v_cmp_ne_u32_e32 vcc_lo, 0, v12
	s_delay_alu instid0(VALU_DEP_3) | instskip(NEXT) | instid1(VALU_DEP_1)
	v_min_u32_e32 v13, 32, v13
	v_sub_nc_u32_e64 v13, v13, 4 clamp
	s_delay_alu instid0(VALU_DEP_1) | instskip(SKIP_1) | instid1(VALU_DEP_2)
	v_lshlrev_b32_e32 v15, v13, v12
	v_lshlrev_b32_e32 v13, 23, v13
	v_lshrrev_b32_e32 v15, 4, v15
	s_delay_alu instid0(VALU_DEP_1) | instskip(SKIP_1) | instid1(VALU_DEP_2)
	v_sub_nc_u32_e32 v13, v15, v13
	v_ashrrev_i32_e32 v15, 8, v16
	v_add_nc_u32_e32 v13, 0x3c000000, v13
	s_delay_alu instid0(VALU_DEP_1) | instskip(NEXT) | instid1(VALU_DEP_1)
	v_and_or_b32 v13, 0x7f800000, v15, v13
	v_cndmask_b32_e32 v12, 0, v13, vcc_lo
	s_delay_alu instid0(VALU_DEP_1)
	v_and_or_b32 v11, 0x80000000, v11, v12
	v_mov_b32_e32 v12, 0
.LBB505_1590:
	s_mov_b32 s11, 0
.LBB505_1591:
	s_delay_alu instid0(SALU_CYCLE_1)
	s_and_not1_b32 vcc_lo, exec_lo, s11
	s_cbranch_vccnz .LBB505_1593
; %bb.1592:
	global_load_u8 v11, v[8:9], off
	s_waitcnt vmcnt(0)
	v_lshlrev_b32_e32 v12, 25, v11
	v_lshlrev_b16 v11, 8, v11
	s_delay_alu instid0(VALU_DEP_2) | instskip(NEXT) | instid1(VALU_DEP_2)
	v_lshrrev_b32_e32 v13, 4, v12
	v_and_or_b32 v15, 0x7f00, v11, 0.5
	v_bfe_i32 v11, v11, 0, 16
	s_delay_alu instid0(VALU_DEP_3) | instskip(NEXT) | instid1(VALU_DEP_3)
	v_or_b32_e32 v13, 0x70000000, v13
	v_add_f32_e32 v15, -0.5, v15
	s_delay_alu instid0(VALU_DEP_2) | instskip(SKIP_1) | instid1(VALU_DEP_2)
	v_mul_f32_e32 v13, 0x7800000, v13
	v_cmp_gt_u32_e32 vcc_lo, 0x8000000, v12
	v_cndmask_b32_e32 v12, v13, v15, vcc_lo
	s_delay_alu instid0(VALU_DEP_1)
	v_and_or_b32 v11, 0x80000000, v11, v12
	v_mov_b32_e32 v12, 0
.LBB505_1593:
	s_mov_b32 s11, 0
	s_mov_b32 s12, -1
.LBB505_1594:
	s_and_not1_b32 vcc_lo, exec_lo, s11
	s_mov_b32 s11, 0
	s_cbranch_vccnz .LBB505_1604
; %bb.1595:
	v_cmp_lt_i16_e32 vcc_lo, 14, v14
	s_cbranch_vccz .LBB505_1598
; %bb.1596:
	v_cmp_eq_u16_e32 vcc_lo, 15, v14
	s_cbranch_vccz .LBB505_1599
; %bb.1597:
	global_load_u16 v11, v[8:9], off
	s_mov_b32 s3, 0
	s_mov_b32 s12, -1
	s_mov_b32 s13, 0
	s_waitcnt vmcnt(0)
	v_lshlrev_b32_e32 v11, 16, v11
	s_branch .LBB505_1601
.LBB505_1598:
	s_mov_b32 s11, -1
	s_branch .LBB505_1600
.LBB505_1599:
	s_mov_b32 s3, -1
.LBB505_1600:
                                        ; implicit-def: $sgpr13
                                        ; implicit-def: $vgpr11
.LBB505_1601:
	s_and_b32 vcc_lo, exec_lo, s11
	s_mov_b32 s11, 0
	s_cbranch_vccz .LBB505_1603
; %bb.1602:
	v_cmp_ne_u16_e64 s3, 11, v14
	s_mov_b32 s11, -1
                                        ; implicit-def: $sgpr13
                                        ; implicit-def: $vgpr11
.LBB505_1603:
	v_mov_b32_e32 v12, s13
.LBB505_1604:
	s_delay_alu instid0(VALU_DEP_2)
	s_and_b32 vcc_lo, exec_lo, s3
	s_cbranch_vccnz .LBB505_1628
; %bb.1605:
	s_and_not1_b32 vcc_lo, exec_lo, s11
	s_cbranch_vccnz .LBB505_1607
.LBB505_1606:
	global_load_u8 v11, v[8:9], off
	v_mov_b32_e32 v12, 0
	s_mov_b32 s12, -1
	s_waitcnt vmcnt(0)
	v_cmp_ne_u16_e32 vcc_lo, 0, v11
	v_cndmask_b32_e64 v11, 0, 1.0, vcc_lo
.LBB505_1607:
.LBB505_1608:
	s_and_not1_b32 vcc_lo, exec_lo, s12
	s_cbranch_vccnz .LBB505_1771
.LBB505_1609:
	v_mov_b32_e32 v8, s0
	s_mov_b32 s3, exec_lo
	s_waitcnt vmcnt(0)
	s_delay_alu instid0(VALU_DEP_2)
	v_cmpx_o_f32_e32 v11, v11
	s_cbranch_execz .LBB505_1613
; %bb.1610:
	v_mov_b32_e32 v8, s1
	s_mov_b32 s11, exec_lo
	v_cmpx_neq_f32_e32 0x7f800000, v11
; %bb.1611:
	v_cmp_eq_f32_e32 vcc_lo, 0xff800000, v11
	v_cndmask_b32_e64 v8, v11, s2, vcc_lo
; %bb.1612:
	s_or_b32 exec_lo, exec_lo, s11
.LBB505_1613:
	s_delay_alu instid0(SALU_CYCLE_1) | instskip(SKIP_2) | instid1(VALU_DEP_4)
	s_or_b32 exec_lo, exec_lo, s3
	v_mov_b32_e32 v9, s0
	s_mov_b32 s3, exec_lo
	v_cmpx_o_f32_e32 v12, v12
	s_cbranch_execz .LBB505_1617
; %bb.1614:
	v_mov_b32_e32 v9, s1
	s_mov_b32 s11, exec_lo
	v_cmpx_neq_f32_e32 0x7f800000, v12
; %bb.1615:
	v_cmp_eq_f32_e32 vcc_lo, 0xff800000, v12
	v_cndmask_b32_e64 v9, v12, s2, vcc_lo
; %bb.1616:
	s_or_b32 exec_lo, exec_lo, s11
.LBB505_1617:
	s_delay_alu instid0(SALU_CYCLE_1) | instskip(SKIP_2) | instid1(VALU_DEP_1)
	s_or_b32 exec_lo, exec_lo, s3
	v_cmp_gt_i16_e32 vcc_lo, 11, v14
	v_add_co_u32 v10, s3, s6, v10
	v_add_co_ci_u32_e64 v11, null, s7, 0, s3
	s_mov_b32 s7, 0
	s_cbranch_vccnz .LBB505_1624
; %bb.1618:
	v_cmp_lt_i16_e32 vcc_lo, 25, v14
	s_mov_b32 s6, 0
	s_cbranch_vccz .LBB505_1625
; %bb.1619:
	v_cmp_lt_i16_e32 vcc_lo, 28, v14
	s_cbranch_vccz .LBB505_1626
; %bb.1620:
	v_cmp_lt_i16_e32 vcc_lo, 43, v14
	;; [unrolled: 3-line block ×3, first 2 shown]
	s_cbranch_vccz .LBB505_1630
; %bb.1622:
	v_cmp_eq_u16_e32 vcc_lo, 46, v14
	s_mov_b32 s11, 0
	s_cbranch_vccz .LBB505_1633
; %bb.1623:
	global_load_b32 v12, v[10:11], off
	s_mov_b32 s3, 0
	s_mov_b32 s7, -1
	s_waitcnt vmcnt(0)
	v_and_b32_e32 v13, 0xffff0000, v12
	v_lshlrev_b32_e32 v12, 16, v12
	s_branch .LBB505_1635
.LBB505_1624:
	s_mov_b32 s3, -1
                                        ; implicit-def: $vgpr13
	s_branch .LBB505_1704
.LBB505_1625:
	s_mov_b32 s11, -1
	s_mov_b32 s3, 0
                                        ; implicit-def: $vgpr13
	s_branch .LBB505_1668
.LBB505_1626:
	s_mov_b32 s11, -1
	s_mov_b32 s3, 0
                                        ; implicit-def: $vgpr13
	s_branch .LBB505_1647
.LBB505_1627:
	s_mov_b32 s11, -1
	s_mov_b32 s3, 0
                                        ; implicit-def: $vgpr13
	s_branch .LBB505_1641
.LBB505_1628:
	s_cbranch_execnz .LBB505_1631
; %bb.1629:
	s_or_b32 s10, s10, exec_lo
                                        ; implicit-def: $vgpr12
	s_cbranch_execz .LBB505_1606
	s_branch .LBB505_1607
.LBB505_1630:
	s_mov_b32 s11, -1
	s_mov_b32 s3, 0
	s_branch .LBB505_1634
.LBB505_1631:
	s_trap 2
	s_sendmsg_rtn_b32 s0, sendmsg(MSG_RTN_GET_DOORBELL)
	s_mov_b32 ttmp2, m0
	s_waitcnt lgkmcnt(0)
	s_and_b32 s0, s0, 0x3ff
	s_delay_alu instid0(SALU_CYCLE_1) | instskip(NEXT) | instid1(SALU_CYCLE_1)
	s_bitset1_b32 s0, 10
	s_mov_b32 m0, s0
	s_sendmsg sendmsg(MSG_INTERRUPT)
	s_mov_b32 m0, ttmp2
.LBB505_1632:                           ; =>This Inner Loop Header: Depth=1
	s_sethalt 5
	s_branch .LBB505_1632
.LBB505_1633:
	s_mov_b32 s3, -1
.LBB505_1634:
                                        ; implicit-def: $vgpr13
.LBB505_1635:
	s_and_b32 vcc_lo, exec_lo, s11
	s_cbranch_vccz .LBB505_1640
; %bb.1636:
	v_cmp_eq_u16_e32 vcc_lo, 44, v14
	s_cbranch_vccz .LBB505_1638
; %bb.1637:
	global_load_u8 v12, v[10:11], off
	s_mov_b32 s3, 0
	s_mov_b32 s7, -1
	s_waitcnt vmcnt(0)
	v_lshlrev_b32_e32 v13, 23, v12
	v_cmp_ne_u32_e32 vcc_lo, 0xff, v12
	s_delay_alu instid0(VALU_DEP_2) | instskip(SKIP_1) | instid1(VALU_DEP_2)
	v_cndmask_b32_e32 v13, 0x7f800001, v13, vcc_lo
	v_cmp_ne_u32_e32 vcc_lo, 0, v12
	v_cndmask_b32_e32 v12, 0x400000, v13, vcc_lo
	s_branch .LBB505_1639
.LBB505_1638:
	s_mov_b32 s3, -1
                                        ; implicit-def: $vgpr12
.LBB505_1639:
	s_delay_alu instid0(SALU_CYCLE_1)
	v_mov_b32_e32 v13, s3
.LBB505_1640:
	s_mov_b32 s11, 0
.LBB505_1641:
	s_delay_alu instid0(SALU_CYCLE_1)
	s_and_b32 vcc_lo, exec_lo, s11
	s_cbranch_vccz .LBB505_1646
; %bb.1642:
	v_cmp_eq_u16_e32 vcc_lo, 29, v14
	s_cbranch_vccz .LBB505_1644
; %bb.1643:
	global_load_b64 v[12:13], v[10:11], off
	s_mov_b32 s3, 0
	s_mov_b32 s7, -1
	s_mov_b32 s11, 0
	s_waitcnt vmcnt(0)
	v_clz_i32_u32_e32 v15, v13
	s_delay_alu instid0(VALU_DEP_1) | instskip(NEXT) | instid1(VALU_DEP_1)
	v_min_u32_e32 v15, 32, v15
	v_lshlrev_b64 v[12:13], v15, v[12:13]
	s_delay_alu instid0(VALU_DEP_1) | instskip(NEXT) | instid1(VALU_DEP_1)
	v_min_u32_e32 v12, 1, v12
	v_or_b32_e32 v12, v13, v12
	v_sub_nc_u32_e32 v13, 32, v15
	s_delay_alu instid0(VALU_DEP_2) | instskip(NEXT) | instid1(VALU_DEP_1)
	v_cvt_f32_u32_e32 v12, v12
	v_ldexp_f32 v12, v12, v13
	s_branch .LBB505_1645
.LBB505_1644:
	s_mov_b32 s3, -1
                                        ; implicit-def: $sgpr11
                                        ; implicit-def: $vgpr12
.LBB505_1645:
	v_mov_b32_e32 v13, s11
.LBB505_1646:
	s_mov_b32 s11, 0
.LBB505_1647:
	s_delay_alu instid0(SALU_CYCLE_1)
	s_and_b32 vcc_lo, exec_lo, s11
	s_cbranch_vccz .LBB505_1667
; %bb.1648:
	v_cmp_gt_i16_e32 vcc_lo, 27, v14
	s_cbranch_vccnz .LBB505_1651
; %bb.1649:
	v_cmp_lt_i16_e32 vcc_lo, 27, v14
	s_cbranch_vccz .LBB505_1652
; %bb.1650:
	global_load_b32 v12, v[10:11], off
	s_mov_b32 s11, 0
	s_mov_b32 s7, 0
	s_waitcnt vmcnt(0)
	v_cvt_f32_u32_e32 v12, v12
	s_branch .LBB505_1653
.LBB505_1651:
	s_mov_b32 s11, -1
                                        ; implicit-def: $sgpr7
                                        ; implicit-def: $vgpr12
	s_branch .LBB505_1656
.LBB505_1652:
	s_mov_b32 s11, -1
                                        ; implicit-def: $sgpr7
                                        ; implicit-def: $vgpr12
.LBB505_1653:
	s_delay_alu instid0(SALU_CYCLE_1)
	s_and_not1_b32 vcc_lo, exec_lo, s11
	s_cbranch_vccnz .LBB505_1655
; %bb.1654:
	global_load_u16 v12, v[10:11], off
	s_mov_b32 s7, 0
	s_waitcnt vmcnt(0)
	v_cvt_f32_u32_e32 v12, v12
.LBB505_1655:
	s_mov_b32 s11, 0
.LBB505_1656:
	v_mov_b32_e32 v13, s7
	s_and_not1_b32 vcc_lo, exec_lo, s11
	s_cbranch_vccnz .LBB505_1666
; %bb.1657:
	global_load_u8 v15, v[10:11], off
	s_mov_b32 s7, 0
	s_mov_b32 s13, exec_lo
                                        ; implicit-def: $sgpr12
                                        ; implicit-def: $sgpr11
	s_waitcnt vmcnt(0)
	v_cmpx_lt_i16_e32 0x7f, v15
	s_xor_b32 s13, exec_lo, s13
	s_cbranch_execz .LBB505_1661
; %bb.1658:
	s_mov_b32 s7, -1
	s_mov_b32 s14, exec_lo
                                        ; implicit-def: $sgpr12
                                        ; implicit-def: $sgpr11
	v_cmpx_eq_u16_e32 0x80, v15
; %bb.1659:
	s_mov_b32 s11, 0x7f800001
	s_mov_b32 s12, 0
	s_xor_b32 s7, exec_lo, -1
; %bb.1660:
	s_or_b32 exec_lo, exec_lo, s14
	s_delay_alu instid0(SALU_CYCLE_1)
	s_and_b32 s7, s7, exec_lo
.LBB505_1661:
	s_or_saveexec_b32 s13, s13
	v_dual_mov_b32 v13, s12 :: v_dual_mov_b32 v12, s11
	s_xor_b32 exec_lo, exec_lo, s13
; %bb.1662:
	v_mov_b32_e32 v13, 0
	v_cmp_ne_u16_e32 vcc_lo, 0, v15
	s_and_not1_b32 s7, s7, exec_lo
	s_delay_alu instid0(VALU_DEP_2) | instskip(SKIP_1) | instid1(SALU_CYCLE_1)
	v_mov_b32_e32 v12, v13
	s_and_b32 s11, vcc_lo, exec_lo
	s_or_b32 s7, s7, s11
; %bb.1663:
	s_or_b32 exec_lo, exec_lo, s13
	s_and_saveexec_b32 s11, s7
	s_cbranch_execz .LBB505_1665
; %bb.1664:
	v_and_b32_e32 v12, 0xffff, v15
	v_lshlrev_b32_e32 v15, 24, v15
	s_delay_alu instid0(VALU_DEP_2) | instskip(NEXT) | instid1(VALU_DEP_2)
	v_and_b32_e32 v13, 7, v12
	v_and_b32_e32 v15, 0x80000000, v15
	s_delay_alu instid0(VALU_DEP_2) | instskip(NEXT) | instid1(VALU_DEP_1)
	v_clz_i32_u32_e32 v16, v13
	v_min_u32_e32 v16, 32, v16
	s_delay_alu instid0(VALU_DEP_1) | instskip(SKIP_1) | instid1(VALU_DEP_2)
	v_subrev_nc_u32_e32 v17, 28, v16
	v_sub_nc_u32_e32 v16, 29, v16
	v_lshlrev_b32_e32 v17, v17, v12
	v_bfe_u32 v12, v12, 3, 4
	s_delay_alu instid0(VALU_DEP_1) | instskip(NEXT) | instid1(VALU_DEP_3)
	v_cmp_eq_u32_e32 vcc_lo, 0, v12
	v_dual_cndmask_b32 v12, v12, v16 :: v_dual_and_b32 v17, 7, v17
	s_delay_alu instid0(VALU_DEP_1) | instskip(NEXT) | instid1(VALU_DEP_2)
	v_cndmask_b32_e32 v13, v13, v17, vcc_lo
	v_lshl_add_u32 v12, v12, 23, 0x3b800000
	s_delay_alu instid0(VALU_DEP_2) | instskip(NEXT) | instid1(VALU_DEP_1)
	v_lshlrev_b32_e32 v13, 20, v13
	v_or3_b32 v12, v15, v12, v13
	v_mov_b32_e32 v13, 0
.LBB505_1665:
	s_or_b32 exec_lo, exec_lo, s11
.LBB505_1666:
	s_mov_b32 s7, -1
.LBB505_1667:
	s_mov_b32 s11, 0
.LBB505_1668:
	s_delay_alu instid0(SALU_CYCLE_1)
	s_and_b32 vcc_lo, exec_lo, s11
	s_cbranch_vccz .LBB505_1700
; %bb.1669:
	v_cmp_lt_i16_e32 vcc_lo, 22, v14
	s_cbranch_vccz .LBB505_1681
; %bb.1670:
	v_cmp_gt_i16_e32 vcc_lo, 24, v14
	s_cbranch_vccnz .LBB505_1682
; %bb.1671:
	v_cmp_lt_i16_e32 vcc_lo, 24, v14
	s_cbranch_vccz .LBB505_1683
; %bb.1672:
	global_load_u8 v15, v[10:11], off
	s_mov_b32 s12, exec_lo
                                        ; implicit-def: $sgpr11
                                        ; implicit-def: $sgpr7
	s_waitcnt vmcnt(0)
	v_cmpx_lt_i16_e32 0x7f, v15
	s_xor_b32 s12, exec_lo, s12
	s_cbranch_execz .LBB505_1676
; %bb.1673:
	s_mov_b32 s6, -1
	s_mov_b32 s13, exec_lo
                                        ; implicit-def: $sgpr11
                                        ; implicit-def: $sgpr7
	v_cmpx_eq_u16_e32 0x80, v15
; %bb.1674:
	s_mov_b32 s7, 0x7f800001
	s_mov_b32 s11, 0
	s_xor_b32 s6, exec_lo, -1
; %bb.1675:
	s_or_b32 exec_lo, exec_lo, s13
	s_delay_alu instid0(SALU_CYCLE_1)
	s_and_b32 s6, s6, exec_lo
.LBB505_1676:
	s_or_saveexec_b32 s12, s12
	v_dual_mov_b32 v13, s11 :: v_dual_mov_b32 v12, s7
	s_xor_b32 exec_lo, exec_lo, s12
; %bb.1677:
	v_mov_b32_e32 v13, 0
	v_cmp_ne_u16_e32 vcc_lo, 0, v15
	s_and_not1_b32 s6, s6, exec_lo
	s_delay_alu instid0(VALU_DEP_2) | instskip(SKIP_1) | instid1(SALU_CYCLE_1)
	v_mov_b32_e32 v12, v13
	s_and_b32 s7, vcc_lo, exec_lo
	s_or_b32 s6, s6, s7
; %bb.1678:
	s_or_b32 exec_lo, exec_lo, s12
	s_and_saveexec_b32 s7, s6
	s_cbranch_execz .LBB505_1680
; %bb.1679:
	v_and_b32_e32 v12, 0xffff, v15
	v_lshlrev_b32_e32 v15, 24, v15
	s_delay_alu instid0(VALU_DEP_2) | instskip(NEXT) | instid1(VALU_DEP_2)
	v_and_b32_e32 v13, 3, v12
	v_and_b32_e32 v15, 0x80000000, v15
	s_delay_alu instid0(VALU_DEP_2) | instskip(NEXT) | instid1(VALU_DEP_1)
	v_clz_i32_u32_e32 v16, v13
	v_min_u32_e32 v16, 32, v16
	s_delay_alu instid0(VALU_DEP_1) | instskip(SKIP_1) | instid1(VALU_DEP_2)
	v_subrev_nc_u32_e32 v17, 29, v16
	v_sub_nc_u32_e32 v16, 30, v16
	v_lshlrev_b32_e32 v17, v17, v12
	v_bfe_u32 v12, v12, 2, 5
	s_delay_alu instid0(VALU_DEP_1) | instskip(NEXT) | instid1(VALU_DEP_3)
	v_cmp_eq_u32_e32 vcc_lo, 0, v12
	v_dual_cndmask_b32 v12, v12, v16 :: v_dual_and_b32 v17, 3, v17
	s_delay_alu instid0(VALU_DEP_1) | instskip(NEXT) | instid1(VALU_DEP_2)
	v_cndmask_b32_e32 v13, v13, v17, vcc_lo
	v_lshl_add_u32 v12, v12, 23, 0x37800000
	s_delay_alu instid0(VALU_DEP_2) | instskip(NEXT) | instid1(VALU_DEP_1)
	v_lshlrev_b32_e32 v13, 21, v13
	v_or3_b32 v12, v15, v12, v13
	v_mov_b32_e32 v13, 0
.LBB505_1680:
	s_or_b32 exec_lo, exec_lo, s7
	s_mov_b32 s6, 0
	s_branch .LBB505_1684
.LBB505_1681:
	s_mov_b32 s6, -1
                                        ; implicit-def: $vgpr13
	s_branch .LBB505_1690
.LBB505_1682:
	s_mov_b32 s6, -1
                                        ; implicit-def: $vgpr13
	s_branch .LBB505_1687
.LBB505_1683:
	s_mov_b32 s6, -1
                                        ; implicit-def: $vgpr13
.LBB505_1684:
	s_delay_alu instid0(SALU_CYCLE_1)
	s_and_b32 vcc_lo, exec_lo, s6
	s_cbranch_vccz .LBB505_1686
; %bb.1685:
	global_load_u8 v12, v[10:11], off
	s_waitcnt vmcnt(0)
	v_lshlrev_b32_e32 v12, 24, v12
	s_delay_alu instid0(VALU_DEP_1) | instskip(NEXT) | instid1(VALU_DEP_1)
	v_and_b32_e32 v13, 0x7f000000, v12
	v_clz_i32_u32_e32 v15, v13
	v_add_nc_u32_e32 v17, 0x1000000, v13
	v_cmp_ne_u32_e32 vcc_lo, 0, v13
	s_delay_alu instid0(VALU_DEP_3) | instskip(NEXT) | instid1(VALU_DEP_1)
	v_min_u32_e32 v15, 32, v15
	v_sub_nc_u32_e64 v15, v15, 4 clamp
	s_delay_alu instid0(VALU_DEP_1) | instskip(SKIP_1) | instid1(VALU_DEP_2)
	v_lshlrev_b32_e32 v16, v15, v13
	v_lshlrev_b32_e32 v15, 23, v15
	v_lshrrev_b32_e32 v16, 4, v16
	s_delay_alu instid0(VALU_DEP_1) | instskip(SKIP_1) | instid1(VALU_DEP_2)
	v_sub_nc_u32_e32 v15, v16, v15
	v_ashrrev_i32_e32 v16, 8, v17
	v_add_nc_u32_e32 v15, 0x3c000000, v15
	s_delay_alu instid0(VALU_DEP_1) | instskip(NEXT) | instid1(VALU_DEP_1)
	v_and_or_b32 v15, 0x7f800000, v16, v15
	v_cndmask_b32_e32 v13, 0, v15, vcc_lo
	s_delay_alu instid0(VALU_DEP_1)
	v_and_or_b32 v12, 0x80000000, v12, v13
	v_mov_b32_e32 v13, 0
.LBB505_1686:
	s_mov_b32 s6, 0
.LBB505_1687:
	s_delay_alu instid0(SALU_CYCLE_1)
	s_and_not1_b32 vcc_lo, exec_lo, s6
	s_cbranch_vccnz .LBB505_1689
; %bb.1688:
	global_load_u8 v12, v[10:11], off
	s_waitcnt vmcnt(0)
	v_lshlrev_b32_e32 v13, 25, v12
	v_lshlrev_b16 v12, 8, v12
	s_delay_alu instid0(VALU_DEP_2) | instskip(NEXT) | instid1(VALU_DEP_2)
	v_lshrrev_b32_e32 v15, 4, v13
	v_and_or_b32 v16, 0x7f00, v12, 0.5
	v_cmp_gt_u32_e32 vcc_lo, 0x8000000, v13
	v_bfe_i32 v12, v12, 0, 16
	s_delay_alu instid0(VALU_DEP_4) | instskip(NEXT) | instid1(VALU_DEP_1)
	v_or_b32_e32 v15, 0x70000000, v15
	v_dual_add_f32 v16, -0.5, v16 :: v_dual_mul_f32 v15, 0x7800000, v15
	s_delay_alu instid0(VALU_DEP_1) | instskip(NEXT) | instid1(VALU_DEP_1)
	v_cndmask_b32_e32 v13, v15, v16, vcc_lo
	v_and_or_b32 v12, 0x80000000, v12, v13
	v_mov_b32_e32 v13, 0
.LBB505_1689:
	s_mov_b32 s6, 0
	s_mov_b32 s7, -1
.LBB505_1690:
	s_and_not1_b32 vcc_lo, exec_lo, s6
	s_mov_b32 s6, 0
	s_cbranch_vccnz .LBB505_1700
; %bb.1691:
	v_cmp_lt_i16_e32 vcc_lo, 14, v14
	s_cbranch_vccz .LBB505_1694
; %bb.1692:
	v_cmp_eq_u16_e32 vcc_lo, 15, v14
	s_cbranch_vccz .LBB505_1695
; %bb.1693:
	global_load_u16 v12, v[10:11], off
	s_mov_b32 s3, 0
	s_mov_b32 s7, -1
	s_mov_b32 s11, 0
	s_waitcnt vmcnt(0)
	v_lshlrev_b32_e32 v12, 16, v12
	s_branch .LBB505_1697
.LBB505_1694:
	s_mov_b32 s6, -1
	s_branch .LBB505_1696
.LBB505_1695:
	s_mov_b32 s3, -1
.LBB505_1696:
                                        ; implicit-def: $sgpr11
                                        ; implicit-def: $vgpr12
.LBB505_1697:
	s_and_b32 vcc_lo, exec_lo, s6
	s_mov_b32 s6, 0
	s_cbranch_vccz .LBB505_1699
; %bb.1698:
	v_cmp_ne_u16_e64 s3, 11, v14
	s_mov_b32 s6, -1
                                        ; implicit-def: $sgpr11
                                        ; implicit-def: $vgpr12
.LBB505_1699:
	v_mov_b32_e32 v13, s11
.LBB505_1700:
	s_delay_alu instid0(VALU_DEP_2)
	s_and_b32 vcc_lo, exec_lo, s3
	s_cbranch_vccnz .LBB505_1818
; %bb.1701:
	s_and_not1_b32 vcc_lo, exec_lo, s6
	s_cbranch_vccnz .LBB505_1703
.LBB505_1702:
	global_load_u8 v12, v[10:11], off
	v_mov_b32_e32 v13, 0
	s_mov_b32 s7, -1
	s_waitcnt vmcnt(0)
	v_cmp_ne_u16_e32 vcc_lo, 0, v12
	v_cndmask_b32_e64 v12, 0, 1.0, vcc_lo
.LBB505_1703:
	s_mov_b32 s3, 0
.LBB505_1704:
	s_delay_alu instid0(SALU_CYCLE_1)
	s_and_b32 vcc_lo, exec_lo, s3
	s_cbranch_vccz .LBB505_1755
; %bb.1705:
	v_cmp_gt_i16_e32 vcc_lo, 5, v14
	s_cbranch_vccnz .LBB505_1710
; %bb.1706:
	v_cmp_gt_i16_e32 vcc_lo, 8, v14
	s_cbranch_vccnz .LBB505_1711
	;; [unrolled: 3-line block ×3, first 2 shown]
; %bb.1708:
	v_cmp_lt_i16_e32 vcc_lo, 9, v14
	s_cbranch_vccz .LBB505_1713
; %bb.1709:
	global_load_b128 v[15:18], v[10:11], off
	s_mov_b32 s3, 0
	s_waitcnt vmcnt(0)
	v_cvt_f32_f64_e32 v12, v[15:16]
	v_cvt_f32_f64_e32 v13, v[17:18]
	s_branch .LBB505_1714
.LBB505_1710:
	s_mov_b32 s3, -1
                                        ; implicit-def: $vgpr13
	s_branch .LBB505_1733
.LBB505_1711:
	s_mov_b32 s3, -1
                                        ; implicit-def: $vgpr13
	s_branch .LBB505_1720
.LBB505_1712:
	s_mov_b32 s3, -1
                                        ; implicit-def: $vgpr13
	s_branch .LBB505_1717
.LBB505_1713:
	s_mov_b32 s3, -1
                                        ; implicit-def: $vgpr13
.LBB505_1714:
	s_delay_alu instid0(SALU_CYCLE_1)
	s_and_not1_b32 vcc_lo, exec_lo, s3
	s_cbranch_vccnz .LBB505_1716
; %bb.1715:
	global_load_b64 v[12:13], v[10:11], off
.LBB505_1716:
	s_mov_b32 s3, 0
.LBB505_1717:
	s_delay_alu instid0(SALU_CYCLE_1)
	s_and_not1_b32 vcc_lo, exec_lo, s3
	s_cbranch_vccnz .LBB505_1719
; %bb.1718:
	global_load_b32 v12, v[10:11], off
	s_waitcnt vmcnt(0)
	v_lshrrev_b32_e32 v13, 16, v12
	v_cvt_f32_f16_e32 v12, v12
	s_delay_alu instid0(VALU_DEP_2)
	v_cvt_f32_f16_e32 v13, v13
.LBB505_1719:
	s_mov_b32 s3, 0
.LBB505_1720:
	s_delay_alu instid0(SALU_CYCLE_1)
	s_and_not1_b32 vcc_lo, exec_lo, s3
	s_cbranch_vccnz .LBB505_1732
; %bb.1721:
	v_cmp_gt_i16_e32 vcc_lo, 6, v14
	s_cbranch_vccnz .LBB505_1724
; %bb.1722:
	v_cmp_lt_i16_e32 vcc_lo, 6, v14
	s_cbranch_vccz .LBB505_1725
; %bb.1723:
	global_load_b64 v[12:13], v[10:11], off
	s_mov_b32 s6, 0
	s_mov_b32 s3, 0
	s_waitcnt vmcnt(0)
	v_cvt_f32_f64_e32 v12, v[12:13]
	s_branch .LBB505_1726
.LBB505_1724:
	s_mov_b32 s6, -1
                                        ; implicit-def: $sgpr3
                                        ; implicit-def: $vgpr12
	s_branch .LBB505_1729
.LBB505_1725:
	s_mov_b32 s6, -1
                                        ; implicit-def: $sgpr3
                                        ; implicit-def: $vgpr12
.LBB505_1726:
	s_delay_alu instid0(SALU_CYCLE_1)
	s_and_not1_b32 vcc_lo, exec_lo, s6
	s_cbranch_vccnz .LBB505_1728
; %bb.1727:
	global_load_b32 v12, v[10:11], off
	s_mov_b32 s3, 0
.LBB505_1728:
	s_mov_b32 s6, 0
.LBB505_1729:
	s_delay_alu instid0(SALU_CYCLE_1)
	s_and_not1_b32 vcc_lo, exec_lo, s6
	s_cbranch_vccnz .LBB505_1731
; %bb.1730:
	global_load_u16 v12, v[10:11], off
	s_mov_b32 s3, 0
	s_waitcnt vmcnt(0)
	v_cvt_f32_f16_e32 v12, v12
.LBB505_1731:
	s_waitcnt vmcnt(0)
	v_mov_b32_e32 v13, s3
.LBB505_1732:
	s_mov_b32 s3, 0
.LBB505_1733:
	s_delay_alu instid0(SALU_CYCLE_1)
	s_and_not1_b32 vcc_lo, exec_lo, s3
	s_cbranch_vccnz .LBB505_1754
; %bb.1734:
	v_cmp_gt_i16_e32 vcc_lo, 2, v14
	s_cbranch_vccnz .LBB505_1738
; %bb.1735:
	v_cmp_gt_i16_e32 vcc_lo, 3, v14
	s_cbranch_vccnz .LBB505_1739
; %bb.1736:
	v_cmp_lt_i16_e32 vcc_lo, 3, v14
	s_cbranch_vccz .LBB505_1740
; %bb.1737:
	global_load_b64 v[12:13], v[10:11], off
	s_mov_b32 s6, 0
	s_mov_b32 s3, 0
	s_waitcnt vmcnt(0)
	v_xor_b32_e32 v15, v12, v13
	v_cls_i32_e32 v16, v13
	s_delay_alu instid0(VALU_DEP_2) | instskip(NEXT) | instid1(VALU_DEP_2)
	v_ashrrev_i32_e32 v15, 31, v15
	v_add_nc_u32_e32 v16, -1, v16
	s_delay_alu instid0(VALU_DEP_2) | instskip(NEXT) | instid1(VALU_DEP_1)
	v_add_nc_u32_e32 v15, 32, v15
	v_min_u32_e32 v15, v16, v15
	s_delay_alu instid0(VALU_DEP_1) | instskip(NEXT) | instid1(VALU_DEP_1)
	v_lshlrev_b64 v[12:13], v15, v[12:13]
	v_min_u32_e32 v12, 1, v12
	s_delay_alu instid0(VALU_DEP_1) | instskip(SKIP_1) | instid1(VALU_DEP_2)
	v_or_b32_e32 v12, v13, v12
	v_sub_nc_u32_e32 v13, 32, v15
	v_cvt_f32_i32_e32 v12, v12
	s_delay_alu instid0(VALU_DEP_1)
	v_ldexp_f32 v12, v12, v13
	s_branch .LBB505_1741
.LBB505_1738:
	s_mov_b32 s6, -1
                                        ; implicit-def: $sgpr3
                                        ; implicit-def: $vgpr12
	s_branch .LBB505_1747
.LBB505_1739:
	s_mov_b32 s6, -1
                                        ; implicit-def: $sgpr3
                                        ; implicit-def: $vgpr12
	s_branch .LBB505_1744
.LBB505_1740:
	s_mov_b32 s6, -1
                                        ; implicit-def: $sgpr3
                                        ; implicit-def: $vgpr12
.LBB505_1741:
	s_delay_alu instid0(SALU_CYCLE_1)
	s_and_not1_b32 vcc_lo, exec_lo, s6
	s_cbranch_vccnz .LBB505_1743
; %bb.1742:
	global_load_b32 v12, v[10:11], off
	s_mov_b32 s3, 0
	s_waitcnt vmcnt(0)
	v_cvt_f32_i32_e32 v12, v12
.LBB505_1743:
	s_mov_b32 s6, 0
.LBB505_1744:
	s_delay_alu instid0(SALU_CYCLE_1)
	s_and_not1_b32 vcc_lo, exec_lo, s6
	s_cbranch_vccnz .LBB505_1746
; %bb.1745:
	global_load_i16 v12, v[10:11], off
	s_mov_b32 s3, 0
	s_waitcnt vmcnt(0)
	v_cvt_f32_i32_e32 v12, v12
.LBB505_1746:
	s_mov_b32 s6, 0
.LBB505_1747:
	s_delay_alu instid0(SALU_CYCLE_1)
	s_and_not1_b32 vcc_lo, exec_lo, s6
	s_cbranch_vccnz .LBB505_1753
; %bb.1748:
	v_cmp_lt_i16_e32 vcc_lo, 0, v14
	s_mov_b32 s6, 0
	s_cbranch_vccz .LBB505_1750
; %bb.1749:
	global_load_i8 v12, v[10:11], off
	s_mov_b32 s3, 0
	s_waitcnt vmcnt(0)
	v_cvt_f32_i32_e32 v12, v12
	s_branch .LBB505_1751
.LBB505_1750:
	s_mov_b32 s6, -1
                                        ; implicit-def: $sgpr3
                                        ; implicit-def: $vgpr12
.LBB505_1751:
	s_delay_alu instid0(SALU_CYCLE_1)
	s_and_not1_b32 vcc_lo, exec_lo, s6
	s_cbranch_vccnz .LBB505_1753
; %bb.1752:
	global_load_u8 v10, v[10:11], off
	s_mov_b32 s3, 0
	s_waitcnt vmcnt(0)
	v_cvt_f32_ubyte0_e32 v12, v10
.LBB505_1753:
	s_waitcnt vmcnt(0)
	v_mov_b32_e32 v13, s3
.LBB505_1754:
	s_mov_b32 s7, -1
.LBB505_1755:
	s_delay_alu instid0(SALU_CYCLE_1)
	s_and_not1_b32 vcc_lo, exec_lo, s7
	s_cbranch_vccnz .LBB505_1771
; %bb.1756:
	v_mov_b32_e32 v10, s0
	s_mov_b32 s3, exec_lo
	s_waitcnt vmcnt(0)
	s_delay_alu instid0(VALU_DEP_2)
	v_cmpx_o_f32_e32 v12, v12
	s_cbranch_execz .LBB505_1760
; %bb.1757:
	v_mov_b32_e32 v10, s1
	s_mov_b32 s6, exec_lo
	v_cmpx_neq_f32_e32 0x7f800000, v12
; %bb.1758:
	v_cmp_eq_f32_e32 vcc_lo, 0xff800000, v12
	v_cndmask_b32_e64 v10, v12, s2, vcc_lo
; %bb.1759:
	s_or_b32 exec_lo, exec_lo, s6
.LBB505_1760:
	s_delay_alu instid0(SALU_CYCLE_1) | instskip(SKIP_2) | instid1(VALU_DEP_4)
	s_or_b32 exec_lo, exec_lo, s3
	v_mov_b32_e32 v11, s0
	s_mov_b32 s0, exec_lo
	v_cmpx_o_f32_e32 v13, v13
	s_cbranch_execz .LBB505_1764
; %bb.1761:
	v_mov_b32_e32 v11, s1
	s_mov_b32 s1, exec_lo
	v_cmpx_neq_f32_e32 0x7f800000, v13
; %bb.1762:
	v_cmp_eq_f32_e32 vcc_lo, 0xff800000, v13
	v_cndmask_b32_e64 v11, v13, s2, vcc_lo
; %bb.1763:
	s_or_b32 exec_lo, exec_lo, s1
.LBB505_1764:
	s_delay_alu instid0(SALU_CYCLE_1) | instskip(SKIP_2) | instid1(VALU_DEP_1)
	s_or_b32 exec_lo, exec_lo, s0
	s_load_b32 s0, s[20:21], 0x164
	v_add_co_u32 v12, s1, s4, v3
	v_add_co_ci_u32_e64 v13, null, s5, 0, s1
	s_mov_b32 s3, 0
	s_waitcnt lgkmcnt(0)
	s_and_b32 s2, s0, 0xff
	s_delay_alu instid0(SALU_CYCLE_1) | instskip(NEXT) | instid1(VALU_DEP_1)
	v_cmp_lt_i16_e64 s0, s2, 11
	s_and_b32 vcc_lo, exec_lo, s0
	s_mov_b32 s0, -1
	s_cbranch_vccnz .LBB505_1892
; %bb.1765:
	v_cmp_gt_i16_e64 s0, s2, 25
	s_mov_b32 s6, -1
	s_mov_b32 s1, 0
	s_delay_alu instid0(VALU_DEP_1)
	s_and_b32 vcc_lo, exec_lo, s0
	s_mov_b32 s0, 0
	s_cbranch_vccz .LBB505_1848
; %bb.1766:
	v_cmp_gt_i16_e64 s0, s2, 28
	s_delay_alu instid0(VALU_DEP_1)
	s_and_b32 vcc_lo, exec_lo, s0
	s_cbranch_vccz .LBB505_1816
; %bb.1767:
	v_cmp_gt_i16_e64 s0, s2, 43
	s_delay_alu instid0(VALU_DEP_1)
	s_and_b32 vcc_lo, exec_lo, s0
	;; [unrolled: 5-line block ×3, first 2 shown]
	s_cbranch_vccz .LBB505_1820
; %bb.1769:
	v_cmp_eq_u16_e64 s3, s2, 46
	s_mov_b32 s0, -1
	s_mov_b32 s6, 0
	s_delay_alu instid0(VALU_DEP_1)
	s_and_b32 vcc_lo, exec_lo, s3
	s_mov_b32 s3, 0
	s_cbranch_vccz .LBB505_1821
; %bb.1770:
	v_bfe_u32 v3, v5, 16, 1
	v_bfe_u32 v14, v4, 16, 1
	v_cmp_o_f32_e32 vcc_lo, v5, v5
	s_mov_b32 s0, 0
	s_mov_b32 s3, -1
	v_add3_u32 v3, v5, v3, 0x7fff
	v_add3_u32 v14, v4, v14, 0x7fff
	s_delay_alu instid0(VALU_DEP_2) | instskip(NEXT) | instid1(VALU_DEP_2)
	v_and_b32_e32 v3, 0xffff0000, v3
	v_lshrrev_b32_e32 v14, 16, v14
	s_delay_alu instid0(VALU_DEP_2) | instskip(SKIP_1) | instid1(VALU_DEP_3)
	v_cndmask_b32_e32 v3, 0x7fc00000, v3, vcc_lo
	v_cmp_o_f32_e32 vcc_lo, v4, v4
	v_cndmask_b32_e32 v14, 0x7fc0, v14, vcc_lo
	s_delay_alu instid0(VALU_DEP_1)
	v_or_b32_e32 v3, v3, v14
	global_store_b32 v[12:13], v3, off
	s_branch .LBB505_1821
.LBB505_1771:
	s_mov_b32 s0, 0
	s_mov_b32 s1, 0
                                        ; implicit-def: $vgpr0_vgpr1
                                        ; implicit-def: $sgpr2
                                        ; implicit-def: $vgpr11
.LBB505_1772:
	s_and_b32 s3, s0, exec_lo
	s_and_not1_b32 s0, s8, exec_lo
	s_and_b32 s4, s10, exec_lo
	s_and_b32 s30, s1, exec_lo
	s_or_b32 s8, s0, s4
.LBB505_1773:
	s_or_b32 exec_lo, exec_lo, s9
	s_and_saveexec_b32 s0, s8
	s_cbranch_execz .LBB505_1776
; %bb.1774:
	; divergent unreachable
	s_or_b32 exec_lo, exec_lo, s0
	s_and_saveexec_b32 s0, s30
	s_delay_alu instid0(SALU_CYCLE_1)
	s_xor_b32 s1, exec_lo, s0
	s_cbranch_execnz .LBB505_1777
.LBB505_1775:
	s_or_b32 exec_lo, exec_lo, s1
	s_and_saveexec_b32 s0, s3
	s_cbranch_execnz .LBB505_1778
	s_branch .LBB505_1815
.LBB505_1776:
	s_or_b32 exec_lo, exec_lo, s0
	s_and_saveexec_b32 s0, s30
	s_delay_alu instid0(SALU_CYCLE_1)
	s_xor_b32 s1, exec_lo, s0
	s_cbranch_execz .LBB505_1775
.LBB505_1777:
	v_cmp_neq_f32_e32 vcc_lo, 0, v10
	s_waitcnt vmcnt(0)
	v_cmp_neq_f32_e64 s0, 0, v11
	s_delay_alu instid0(VALU_DEP_1) | instskip(NEXT) | instid1(SALU_CYCLE_1)
	s_or_b32 s0, vcc_lo, s0
	v_cndmask_b32_e64 v2, 0, 1, s0
	global_store_b8 v[0:1], v2, off
	s_or_b32 exec_lo, exec_lo, s1
	s_and_saveexec_b32 s0, s3
	s_cbranch_execz .LBB505_1815
.LBB505_1778:
	v_cmp_lt_i16_e64 s0, s2, 5
	s_delay_alu instid0(VALU_DEP_1)
	s_and_b32 vcc_lo, exec_lo, s0
	s_mov_b32 s0, -1
	s_cbranch_vccnz .LBB505_1799
; %bb.1779:
	v_cmp_lt_i16_e64 s0, s2, 8
	s_delay_alu instid0(VALU_DEP_1)
	s_and_b32 vcc_lo, exec_lo, s0
	s_mov_b32 s0, -1
	s_cbranch_vccnz .LBB505_1789
; %bb.1780:
	;; [unrolled: 6-line block ×3, first 2 shown]
	v_cmp_gt_i16_e64 s0, s2, 9
	s_delay_alu instid0(VALU_DEP_1)
	s_and_b32 vcc_lo, exec_lo, s0
	s_mov_b32 s0, -1
	s_cbranch_vccz .LBB505_1783
; %bb.1782:
	s_waitcnt vmcnt(0)
	v_cvt_f64_f32_e32 v[2:3], v10
	v_cvt_f64_f32_e32 v[4:5], v11
	s_mov_b32 s0, 0
	global_store_b128 v[0:1], v[2:5], off
.LBB505_1783:
	s_and_not1_b32 vcc_lo, exec_lo, s0
	s_cbranch_vccnz .LBB505_1785
; %bb.1784:
	s_waitcnt vmcnt(0)
	global_store_b64 v[0:1], v[10:11], off
.LBB505_1785:
	s_mov_b32 s0, 0
.LBB505_1786:
	s_delay_alu instid0(SALU_CYCLE_1)
	s_and_not1_b32 vcc_lo, exec_lo, s0
	s_cbranch_vccnz .LBB505_1788
; %bb.1787:
	s_waitcnt vmcnt(0)
	v_cvt_f16_f32_e32 v2, v11
	v_cvt_f16_f32_e32 v3, v10
	s_delay_alu instid0(VALU_DEP_2) | instskip(NEXT) | instid1(VALU_DEP_2)
	v_lshlrev_b32_e32 v2, 16, v2
	v_and_b32_e32 v3, 0xffff, v3
	s_delay_alu instid0(VALU_DEP_1)
	v_or_b32_e32 v2, v2, v3
	global_store_b32 v[0:1], v2, off
.LBB505_1788:
	s_mov_b32 s0, 0
.LBB505_1789:
	s_delay_alu instid0(SALU_CYCLE_1)
	s_and_not1_b32 vcc_lo, exec_lo, s0
	s_cbranch_vccnz .LBB505_1798
; %bb.1790:
	v_cmp_lt_i16_e64 s0, s2, 6
	s_delay_alu instid0(VALU_DEP_1)
	s_and_b32 vcc_lo, exec_lo, s0
	s_mov_b32 s0, -1
	s_cbranch_vccnz .LBB505_1796
; %bb.1791:
	v_cmp_gt_i16_e64 s0, s2, 6
	s_delay_alu instid0(VALU_DEP_1)
	s_and_b32 vcc_lo, exec_lo, s0
	s_mov_b32 s0, -1
	s_cbranch_vccz .LBB505_1793
; %bb.1792:
	s_waitcnt vmcnt(0)
	v_cvt_f64_f32_e32 v[2:3], v10
	s_mov_b32 s0, 0
	global_store_b64 v[0:1], v[2:3], off
.LBB505_1793:
	s_and_not1_b32 vcc_lo, exec_lo, s0
	s_cbranch_vccnz .LBB505_1795
; %bb.1794:
	global_store_b32 v[0:1], v10, off
.LBB505_1795:
	s_mov_b32 s0, 0
.LBB505_1796:
	s_delay_alu instid0(SALU_CYCLE_1)
	s_and_not1_b32 vcc_lo, exec_lo, s0
	s_cbranch_vccnz .LBB505_1798
; %bb.1797:
	v_cvt_f16_f32_e32 v2, v10
	global_store_b16 v[0:1], v2, off
.LBB505_1798:
	s_mov_b32 s0, 0
.LBB505_1799:
	s_delay_alu instid0(SALU_CYCLE_1)
	s_and_not1_b32 vcc_lo, exec_lo, s0
	s_cbranch_vccnz .LBB505_1815
; %bb.1800:
	v_cmp_lt_i16_e64 s0, s2, 2
	s_delay_alu instid0(VALU_DEP_1)
	s_and_b32 vcc_lo, exec_lo, s0
	s_mov_b32 s0, -1
	s_cbranch_vccnz .LBB505_1810
; %bb.1801:
	v_cmp_lt_i16_e64 s0, s2, 3
	s_delay_alu instid0(VALU_DEP_1)
	s_and_b32 vcc_lo, exec_lo, s0
	s_mov_b32 s0, -1
	s_cbranch_vccnz .LBB505_1807
; %bb.1802:
	v_cmp_gt_i16_e64 s0, s2, 3
	s_delay_alu instid0(VALU_DEP_1)
	s_and_b32 vcc_lo, exec_lo, s0
	s_mov_b32 s0, -1
	s_cbranch_vccz .LBB505_1804
; %bb.1803:
	v_trunc_f32_e32 v2, v10
	s_mov_b32 s0, 0
	s_waitcnt vmcnt(0)
	s_delay_alu instid0(VALU_DEP_1) | instskip(SKIP_1) | instid1(VALU_DEP_2)
	v_mul_f32_e64 v3, 0x2f800000, |v2|
	v_ashrrev_i32_e32 v5, 31, v2
	v_floor_f32_e32 v3, v3
	s_delay_alu instid0(VALU_DEP_1) | instskip(SKIP_1) | instid1(VALU_DEP_2)
	v_fma_f32 v4, 0xcf800000, v3, |v2|
	v_cvt_u32_f32_e32 v3, v3
	v_cvt_u32_f32_e32 v2, v4
	s_delay_alu instid0(VALU_DEP_2) | instskip(NEXT) | instid1(VALU_DEP_2)
	v_xor_b32_e32 v3, v3, v5
	v_xor_b32_e32 v2, v2, v5
	s_delay_alu instid0(VALU_DEP_1) | instskip(NEXT) | instid1(VALU_DEP_3)
	v_sub_co_u32 v2, vcc_lo, v2, v5
	v_sub_co_ci_u32_e32 v3, vcc_lo, v3, v5, vcc_lo
	global_store_b64 v[0:1], v[2:3], off
.LBB505_1804:
	s_and_not1_b32 vcc_lo, exec_lo, s0
	s_cbranch_vccnz .LBB505_1806
; %bb.1805:
	v_cvt_i32_f32_e32 v2, v10
	global_store_b32 v[0:1], v2, off
.LBB505_1806:
	s_mov_b32 s0, 0
.LBB505_1807:
	s_delay_alu instid0(SALU_CYCLE_1)
	s_and_not1_b32 vcc_lo, exec_lo, s0
	s_cbranch_vccnz .LBB505_1809
; %bb.1808:
	v_cvt_i32_f32_e32 v2, v10
	global_store_b16 v[0:1], v2, off
.LBB505_1809:
	s_mov_b32 s0, 0
.LBB505_1810:
	s_delay_alu instid0(SALU_CYCLE_1)
	s_and_not1_b32 vcc_lo, exec_lo, s0
	s_cbranch_vccnz .LBB505_1815
; %bb.1811:
	v_cmp_gt_i16_e64 s0, s2, 0
	s_delay_alu instid0(VALU_DEP_1)
	s_and_b32 vcc_lo, exec_lo, s0
	s_mov_b32 s0, -1
	s_cbranch_vccz .LBB505_1813
; %bb.1812:
	v_cvt_i32_f32_e32 v2, v10
	s_mov_b32 s0, 0
	global_store_b8 v[0:1], v2, off
.LBB505_1813:
	s_and_not1_b32 vcc_lo, exec_lo, s0
	s_cbranch_vccnz .LBB505_1815
; %bb.1814:
	v_trunc_f32_e32 v2, v10
	s_waitcnt vmcnt(0)
	s_delay_alu instid0(VALU_DEP_1) | instskip(NEXT) | instid1(VALU_DEP_1)
	v_mul_f32_e64 v3, 0x2f800000, |v2|
	v_floor_f32_e32 v3, v3
	s_delay_alu instid0(VALU_DEP_1) | instskip(SKIP_1) | instid1(VALU_DEP_2)
	v_fma_f32 v3, 0xcf800000, v3, |v2|
	v_ashrrev_i32_e32 v2, 31, v2
	v_cvt_u32_f32_e32 v3, v3
	s_delay_alu instid0(VALU_DEP_1) | instskip(NEXT) | instid1(VALU_DEP_1)
	v_xor_b32_e32 v3, v3, v2
	v_sub_nc_u32_e32 v2, v3, v2
	global_store_b8 v[0:1], v2, off
	s_nop 0
	s_sendmsg sendmsg(MSG_DEALLOC_VGPRS)
	s_endpgm
.LBB505_1815:
	s_nop 0
	s_sendmsg sendmsg(MSG_DEALLOC_VGPRS)
	s_endpgm
.LBB505_1816:
	s_mov_b32 s0, 0
	s_branch .LBB505_1831
.LBB505_1817:
	s_mov_b32 s0, 0
	s_branch .LBB505_1827
.LBB505_1818:
	s_cbranch_execnz .LBB505_1943
; %bb.1819:
	s_or_b32 s10, s10, exec_lo
                                        ; implicit-def: $vgpr13
	s_cbranch_execz .LBB505_1702
	s_branch .LBB505_1703
.LBB505_1820:
	s_mov_b32 s0, 0
.LBB505_1821:
	s_and_b32 vcc_lo, exec_lo, s6
	s_cbranch_vccz .LBB505_1826
; %bb.1822:
	v_cmp_eq_u16_e64 s0, s2, 44
	s_delay_alu instid0(VALU_DEP_1)
	s_and_b32 vcc_lo, exec_lo, s0
	s_mov_b32 s0, -1
	s_cbranch_vccz .LBB505_1826
; %bb.1823:
	v_bfe_u32 v14, v4, 23, 8
	v_mov_b32_e32 v3, 0xff
	s_mov_b32 s3, exec_lo
	s_delay_alu instid0(VALU_DEP_2)
	v_cmpx_ne_u32_e32 0xff, v14
; %bb.1824:
	v_and_b32_e32 v3, 0x400000, v4
	v_and_or_b32 v14, 0x3fffff, v4, v14
	s_delay_alu instid0(VALU_DEP_2) | instskip(NEXT) | instid1(VALU_DEP_2)
	v_cmp_ne_u32_e32 vcc_lo, 0, v3
	v_cmp_ne_u32_e64 s0, 0, v14
	v_lshrrev_b32_e32 v3, 23, v4
	s_delay_alu instid0(VALU_DEP_2) | instskip(NEXT) | instid1(SALU_CYCLE_1)
	s_and_b32 s0, vcc_lo, s0
	v_cndmask_b32_e64 v14, 0, 1, s0
	s_delay_alu instid0(VALU_DEP_1)
	v_add_nc_u32_e32 v3, v3, v14
; %bb.1825:
	s_or_b32 exec_lo, exec_lo, s3
	s_mov_b32 s0, 0
	s_mov_b32 s3, -1
	global_store_b8 v[12:13], v3, off
.LBB505_1826:
	s_mov_b32 s6, 0
.LBB505_1827:
	s_delay_alu instid0(SALU_CYCLE_1)
	s_and_b32 vcc_lo, exec_lo, s6
	s_cbranch_vccz .LBB505_1830
; %bb.1828:
	v_cmp_eq_u16_e64 s0, s2, 29
	s_delay_alu instid0(VALU_DEP_1)
	s_and_b32 vcc_lo, exec_lo, s0
	s_mov_b32 s0, -1
	s_cbranch_vccz .LBB505_1830
; %bb.1829:
	v_trunc_f32_e32 v3, v4
	s_mov_b32 s0, 0
	s_mov_b32 s3, -1
	s_mov_b32 s6, 0
	s_delay_alu instid0(VALU_DEP_1) | instskip(NEXT) | instid1(VALU_DEP_1)
	v_mul_f32_e32 v14, 0x2f800000, v3
	v_floor_f32_e32 v14, v14
	s_delay_alu instid0(VALU_DEP_1) | instskip(SKIP_1) | instid1(VALU_DEP_2)
	v_fmamk_f32 v3, v14, 0xcf800000, v3
	v_cvt_u32_f32_e32 v15, v14
	v_cvt_u32_f32_e32 v14, v3
	global_store_b64 v[12:13], v[14:15], off
	s_branch .LBB505_1831
.LBB505_1830:
	s_mov_b32 s6, 0
.LBB505_1831:
	s_delay_alu instid0(SALU_CYCLE_1)
	s_and_b32 vcc_lo, exec_lo, s6
	s_cbranch_vccz .LBB505_1847
; %bb.1832:
	v_cmp_lt_i16_e64 s3, s2, 27
	s_delay_alu instid0(VALU_DEP_1)
	s_and_b32 vcc_lo, exec_lo, s3
	s_mov_b32 s3, -1
	s_cbranch_vccnz .LBB505_1838
; %bb.1833:
	v_cmp_gt_i16_e64 s3, s2, 27
	v_cvt_u32_f32_e32 v3, v4
	s_delay_alu instid0(VALU_DEP_2)
	s_and_b32 vcc_lo, exec_lo, s3
	s_mov_b32 s3, -1
	s_cbranch_vccz .LBB505_1835
; %bb.1834:
	s_mov_b32 s3, 0
	global_store_b32 v[12:13], v3, off
.LBB505_1835:
	s_and_not1_b32 vcc_lo, exec_lo, s3
	s_cbranch_vccnz .LBB505_1837
; %bb.1836:
	global_store_b16 v[12:13], v3, off
.LBB505_1837:
	s_mov_b32 s3, 0
.LBB505_1838:
	s_delay_alu instid0(SALU_CYCLE_1)
	s_and_not1_b32 vcc_lo, exec_lo, s3
	s_cbranch_vccnz .LBB505_1846
; %bb.1839:
	v_and_b32_e32 v3, 0x7fffffff, v4
	v_mov_b32_e32 v14, 0x80
	s_mov_b32 s3, exec_lo
	s_delay_alu instid0(VALU_DEP_2)
	v_cmpx_gt_u32_e32 0x43800000, v3
	s_cbranch_execz .LBB505_1845
; %bb.1840:
	v_cmp_lt_u32_e32 vcc_lo, 0x3bffffff, v3
	s_mov_b32 s6, 0
                                        ; implicit-def: $vgpr3
	s_and_saveexec_b32 s7, vcc_lo
	s_delay_alu instid0(SALU_CYCLE_1)
	s_xor_b32 s7, exec_lo, s7
	s_cbranch_execz .LBB505_1940
; %bb.1841:
	v_bfe_u32 v3, v4, 20, 1
	s_mov_b32 s6, exec_lo
	s_delay_alu instid0(VALU_DEP_1) | instskip(NEXT) | instid1(VALU_DEP_1)
	v_add3_u32 v3, v4, v3, 0x487ffff
	v_lshrrev_b32_e32 v3, 20, v3
	s_or_saveexec_b32 s7, s7
                                        ; implicit-def: $sgpr11
	s_delay_alu instid0(SALU_CYCLE_1)
	s_xor_b32 exec_lo, exec_lo, s7
	s_cbranch_execnz .LBB505_1941
.LBB505_1842:
	s_or_b32 exec_lo, exec_lo, s7
	v_mov_b32_e32 v14, s11
	s_and_saveexec_b32 s7, s6
.LBB505_1843:
	v_lshrrev_b32_e32 v14, 24, v4
	s_delay_alu instid0(VALU_DEP_1)
	v_and_or_b32 v14, 0x80, v14, v3
.LBB505_1844:
	s_or_b32 exec_lo, exec_lo, s7
.LBB505_1845:
	s_delay_alu instid0(SALU_CYCLE_1)
	s_or_b32 exec_lo, exec_lo, s3
	global_store_b8 v[12:13], v14, off
.LBB505_1846:
	s_mov_b32 s3, -1
.LBB505_1847:
	s_mov_b32 s6, 0
.LBB505_1848:
	s_delay_alu instid0(SALU_CYCLE_1)
	s_and_b32 vcc_lo, exec_lo, s6
	s_cbranch_vccz .LBB505_1888
; %bb.1849:
	v_cmp_gt_i16_e64 s1, s2, 22
	s_delay_alu instid0(VALU_DEP_1)
	s_and_b32 vcc_lo, exec_lo, s1
	s_mov_b32 s1, -1
	s_cbranch_vccz .LBB505_1881
; %bb.1850:
	v_cmp_lt_i16_e64 s1, s2, 24
	s_delay_alu instid0(VALU_DEP_1)
	s_and_b32 vcc_lo, exec_lo, s1
	s_mov_b32 s1, -1
	s_cbranch_vccnz .LBB505_1870
; %bb.1851:
	v_cmp_gt_i16_e64 s1, s2, 24
	s_delay_alu instid0(VALU_DEP_1)
	s_and_b32 vcc_lo, exec_lo, s1
	s_mov_b32 s1, -1
	s_cbranch_vccz .LBB505_1859
; %bb.1852:
	v_and_b32_e32 v3, 0x7fffffff, v4
	v_mov_b32_e32 v14, 0x80
	s_mov_b32 s1, exec_lo
	s_delay_alu instid0(VALU_DEP_2)
	v_cmpx_gt_u32_e32 0x47800000, v3
	s_cbranch_execz .LBB505_1858
; %bb.1853:
	v_cmp_lt_u32_e32 vcc_lo, 0x37ffffff, v3
	s_mov_b32 s3, 0
                                        ; implicit-def: $vgpr3
	s_and_saveexec_b32 s6, vcc_lo
	s_delay_alu instid0(SALU_CYCLE_1)
	s_xor_b32 s6, exec_lo, s6
	s_cbranch_execz .LBB505_1947
; %bb.1854:
	v_bfe_u32 v3, v4, 21, 1
	s_mov_b32 s3, exec_lo
	s_delay_alu instid0(VALU_DEP_1) | instskip(NEXT) | instid1(VALU_DEP_1)
	v_add3_u32 v3, v4, v3, 0x88fffff
	v_lshrrev_b32_e32 v3, 21, v3
	s_or_saveexec_b32 s6, s6
                                        ; implicit-def: $sgpr7
	s_delay_alu instid0(SALU_CYCLE_1)
	s_xor_b32 exec_lo, exec_lo, s6
	s_cbranch_execnz .LBB505_1948
.LBB505_1855:
	s_or_b32 exec_lo, exec_lo, s6
	v_mov_b32_e32 v14, s7
	s_and_saveexec_b32 s6, s3
.LBB505_1856:
	v_lshrrev_b32_e32 v14, 24, v4
	s_delay_alu instid0(VALU_DEP_1)
	v_and_or_b32 v14, 0x80, v14, v3
.LBB505_1857:
	s_or_b32 exec_lo, exec_lo, s6
.LBB505_1858:
	s_delay_alu instid0(SALU_CYCLE_1)
	s_or_b32 exec_lo, exec_lo, s1
	s_mov_b32 s1, 0
	global_store_b8 v[12:13], v14, off
.LBB505_1859:
	s_and_b32 vcc_lo, exec_lo, s1
	s_cbranch_vccz .LBB505_1869
; %bb.1860:
	v_and_b32_e32 v14, 0x7fffffff, v4
	s_mov_b32 s1, exec_lo
                                        ; implicit-def: $vgpr3
	s_delay_alu instid0(VALU_DEP_1)
	v_cmpx_gt_u32_e32 0x43f00000, v14
	s_xor_b32 s1, exec_lo, s1
	s_cbranch_execz .LBB505_1866
; %bb.1861:
	s_mov_b32 s3, exec_lo
                                        ; implicit-def: $vgpr3
	v_cmpx_lt_u32_e32 0x3c7fffff, v14
	s_xor_b32 s3, exec_lo, s3
; %bb.1862:
	v_bfe_u32 v3, v4, 20, 1
	s_delay_alu instid0(VALU_DEP_1) | instskip(NEXT) | instid1(VALU_DEP_1)
	v_add3_u32 v3, v4, v3, 0x407ffff
	v_and_b32_e32 v14, 0xff00000, v3
	v_lshrrev_b32_e32 v3, 20, v3
	s_delay_alu instid0(VALU_DEP_2) | instskip(NEXT) | instid1(VALU_DEP_2)
	v_cmp_ne_u32_e32 vcc_lo, 0x7f00000, v14
	v_cndmask_b32_e32 v3, 0x7e, v3, vcc_lo
; %bb.1863:
	s_and_not1_saveexec_b32 s3, s3
; %bb.1864:
	v_add_f32_e64 v3, 0x46800000, |v4|
; %bb.1865:
	s_or_b32 exec_lo, exec_lo, s3
                                        ; implicit-def: $vgpr14
.LBB505_1866:
	s_and_not1_saveexec_b32 s1, s1
; %bb.1867:
	v_mov_b32_e32 v3, 0x7f
	v_cmp_lt_u32_e32 vcc_lo, 0x7f800000, v14
	s_delay_alu instid0(VALU_DEP_2)
	v_cndmask_b32_e32 v3, 0x7e, v3, vcc_lo
; %bb.1868:
	s_or_b32 exec_lo, exec_lo, s1
	v_lshrrev_b32_e32 v14, 24, v4
	s_delay_alu instid0(VALU_DEP_1)
	v_and_or_b32 v3, 0x80, v14, v3
	global_store_b8 v[12:13], v3, off
.LBB505_1869:
	s_mov_b32 s1, 0
.LBB505_1870:
	s_delay_alu instid0(SALU_CYCLE_1)
	s_and_not1_b32 vcc_lo, exec_lo, s1
	s_cbranch_vccnz .LBB505_1880
; %bb.1871:
	v_and_b32_e32 v14, 0x7fffffff, v4
	s_mov_b32 s1, exec_lo
                                        ; implicit-def: $vgpr3
	s_delay_alu instid0(VALU_DEP_1)
	v_cmpx_gt_u32_e32 0x47800000, v14
	s_xor_b32 s1, exec_lo, s1
	s_cbranch_execz .LBB505_1877
; %bb.1872:
	s_mov_b32 s3, exec_lo
                                        ; implicit-def: $vgpr3
	v_cmpx_lt_u32_e32 0x387fffff, v14
	s_xor_b32 s3, exec_lo, s3
; %bb.1873:
	v_bfe_u32 v3, v4, 21, 1
	s_delay_alu instid0(VALU_DEP_1) | instskip(NEXT) | instid1(VALU_DEP_1)
	v_add3_u32 v3, v4, v3, 0x80fffff
	v_lshrrev_b32_e32 v3, 21, v3
; %bb.1874:
	s_and_not1_saveexec_b32 s3, s3
; %bb.1875:
	v_add_f32_e64 v3, 0x43000000, |v4|
; %bb.1876:
	s_or_b32 exec_lo, exec_lo, s3
                                        ; implicit-def: $vgpr14
.LBB505_1877:
	s_and_not1_saveexec_b32 s1, s1
; %bb.1878:
	v_mov_b32_e32 v3, 0x7f
	v_cmp_lt_u32_e32 vcc_lo, 0x7f800000, v14
	s_delay_alu instid0(VALU_DEP_2)
	v_cndmask_b32_e32 v3, 0x7c, v3, vcc_lo
; %bb.1879:
	s_or_b32 exec_lo, exec_lo, s1
	v_lshrrev_b32_e32 v14, 24, v4
	s_delay_alu instid0(VALU_DEP_1)
	v_and_or_b32 v3, 0x80, v14, v3
	global_store_b8 v[12:13], v3, off
.LBB505_1880:
	s_mov_b32 s1, 0
	s_mov_b32 s3, -1
.LBB505_1881:
	s_and_not1_b32 vcc_lo, exec_lo, s1
	s_mov_b32 s1, 0
	s_cbranch_vccnz .LBB505_1888
; %bb.1882:
	v_cmp_gt_i16_e64 s1, s2, 14
	s_delay_alu instid0(VALU_DEP_1)
	s_and_b32 vcc_lo, exec_lo, s1
	s_mov_b32 s1, -1
	s_cbranch_vccz .LBB505_1886
; %bb.1883:
	v_cmp_eq_u16_e64 s0, s2, 15
	s_delay_alu instid0(VALU_DEP_1)
	s_and_b32 vcc_lo, exec_lo, s0
	s_mov_b32 s0, -1
	s_cbranch_vccz .LBB505_1885
; %bb.1884:
	v_bfe_u32 v3, v4, 16, 1
	v_cmp_o_f32_e32 vcc_lo, v4, v4
	s_mov_b32 s0, 0
	s_mov_b32 s3, -1
	s_delay_alu instid0(VALU_DEP_2) | instskip(NEXT) | instid1(VALU_DEP_1)
	v_add3_u32 v3, v4, v3, 0x7fff
	v_lshrrev_b32_e32 v3, 16, v3
	s_delay_alu instid0(VALU_DEP_1)
	v_cndmask_b32_e32 v3, 0x7fc0, v3, vcc_lo
	global_store_b16 v[12:13], v3, off
.LBB505_1885:
	s_mov_b32 s1, 0
.LBB505_1886:
	s_delay_alu instid0(SALU_CYCLE_1)
	s_and_b32 vcc_lo, exec_lo, s1
	s_mov_b32 s1, 0
	s_cbranch_vccz .LBB505_1888
; %bb.1887:
	v_cmp_ne_u16_e64 s0, s2, 11
	s_mov_b32 s1, -1
.LBB505_1888:
	s_delay_alu instid0(VALU_DEP_1)
	s_and_b32 vcc_lo, exec_lo, s0
	s_cbranch_vccnz .LBB505_1945
; %bb.1889:
	s_and_not1_b32 vcc_lo, exec_lo, s1
	s_cbranch_vccnz .LBB505_1891
.LBB505_1890:
	v_cmp_neq_f32_e32 vcc_lo, 0, v4
	v_cmp_neq_f32_e64 s0, 0, v5
	s_mov_b32 s3, -1
	s_delay_alu instid0(VALU_DEP_1) | instskip(NEXT) | instid1(SALU_CYCLE_1)
	s_or_b32 s0, vcc_lo, s0
	v_cndmask_b32_e64 v3, 0, 1, s0
	global_store_b8 v[12:13], v3, off
.LBB505_1891:
	s_mov_b32 s0, 0
.LBB505_1892:
	s_delay_alu instid0(SALU_CYCLE_1)
	s_and_b32 vcc_lo, exec_lo, s0
	s_cbranch_vccz .LBB505_1931
; %bb.1893:
	v_cmp_lt_i16_e64 s0, s2, 5
	s_delay_alu instid0(VALU_DEP_1)
	s_and_b32 vcc_lo, exec_lo, s0
	s_mov_b32 s0, -1
	s_cbranch_vccnz .LBB505_1914
; %bb.1894:
	v_cmp_lt_i16_e64 s0, s2, 8
	s_delay_alu instid0(VALU_DEP_1)
	s_and_b32 vcc_lo, exec_lo, s0
	s_mov_b32 s0, -1
	s_cbranch_vccnz .LBB505_1904
	;; [unrolled: 6-line block ×3, first 2 shown]
; %bb.1896:
	v_cmp_gt_i16_e64 s0, s2, 9
	s_delay_alu instid0(VALU_DEP_1)
	s_and_b32 vcc_lo, exec_lo, s0
	s_mov_b32 s0, -1
	s_cbranch_vccz .LBB505_1898
; %bb.1897:
	v_cvt_f64_f32_e32 v[14:15], v4
	v_cvt_f64_f32_e32 v[16:17], v5
	s_mov_b32 s0, 0
	global_store_b128 v[12:13], v[14:17], off
.LBB505_1898:
	s_and_not1_b32 vcc_lo, exec_lo, s0
	s_cbranch_vccnz .LBB505_1900
; %bb.1899:
	global_store_b64 v[12:13], v[4:5], off
.LBB505_1900:
	s_mov_b32 s0, 0
.LBB505_1901:
	s_delay_alu instid0(SALU_CYCLE_1)
	s_and_not1_b32 vcc_lo, exec_lo, s0
	s_cbranch_vccnz .LBB505_1903
; %bb.1902:
	v_cvt_f16_f32_e32 v3, v5
	v_cvt_f16_f32_e32 v5, v4
	s_delay_alu instid0(VALU_DEP_2) | instskip(NEXT) | instid1(VALU_DEP_2)
	v_lshlrev_b32_e32 v3, 16, v3
	v_and_b32_e32 v5, 0xffff, v5
	s_delay_alu instid0(VALU_DEP_1)
	v_or_b32_e32 v3, v3, v5
	global_store_b32 v[12:13], v3, off
.LBB505_1903:
	s_mov_b32 s0, 0
.LBB505_1904:
	s_delay_alu instid0(SALU_CYCLE_1)
	s_and_not1_b32 vcc_lo, exec_lo, s0
	s_cbranch_vccnz .LBB505_1913
; %bb.1905:
	v_cmp_lt_i16_e64 s0, s2, 6
	s_delay_alu instid0(VALU_DEP_1)
	s_and_b32 vcc_lo, exec_lo, s0
	s_mov_b32 s0, -1
	s_cbranch_vccnz .LBB505_1911
; %bb.1906:
	v_cmp_gt_i16_e64 s0, s2, 6
	s_delay_alu instid0(VALU_DEP_1)
	s_and_b32 vcc_lo, exec_lo, s0
	s_mov_b32 s0, -1
	s_cbranch_vccz .LBB505_1908
; %bb.1907:
	v_cvt_f64_f32_e32 v[14:15], v4
	s_mov_b32 s0, 0
	global_store_b64 v[12:13], v[14:15], off
.LBB505_1908:
	s_and_not1_b32 vcc_lo, exec_lo, s0
	s_cbranch_vccnz .LBB505_1910
; %bb.1909:
	global_store_b32 v[12:13], v4, off
.LBB505_1910:
	s_mov_b32 s0, 0
.LBB505_1911:
	s_delay_alu instid0(SALU_CYCLE_1)
	s_and_not1_b32 vcc_lo, exec_lo, s0
	s_cbranch_vccnz .LBB505_1913
; %bb.1912:
	v_cvt_f16_f32_e32 v3, v4
	global_store_b16 v[12:13], v3, off
.LBB505_1913:
	s_mov_b32 s0, 0
.LBB505_1914:
	s_delay_alu instid0(SALU_CYCLE_1)
	s_and_not1_b32 vcc_lo, exec_lo, s0
	s_cbranch_vccnz .LBB505_1930
; %bb.1915:
	v_cmp_lt_i16_e64 s0, s2, 2
	s_delay_alu instid0(VALU_DEP_1)
	s_and_b32 vcc_lo, exec_lo, s0
	s_mov_b32 s0, -1
	s_cbranch_vccnz .LBB505_1925
; %bb.1916:
	v_cmp_lt_i16_e64 s0, s2, 3
	s_delay_alu instid0(VALU_DEP_1)
	s_and_b32 vcc_lo, exec_lo, s0
	s_mov_b32 s0, -1
	s_cbranch_vccnz .LBB505_1922
; %bb.1917:
	v_cmp_gt_i16_e64 s0, s2, 3
	s_delay_alu instid0(VALU_DEP_1)
	s_and_b32 vcc_lo, exec_lo, s0
	s_mov_b32 s0, -1
	s_cbranch_vccz .LBB505_1919
; %bb.1918:
	v_trunc_f32_e32 v3, v4
	s_mov_b32 s0, 0
	s_delay_alu instid0(VALU_DEP_1) | instskip(NEXT) | instid1(VALU_DEP_1)
	v_mul_f32_e64 v5, 0x2f800000, |v3|
	v_floor_f32_e32 v5, v5
	s_delay_alu instid0(VALU_DEP_1) | instskip(SKIP_2) | instid1(VALU_DEP_3)
	v_fma_f32 v14, 0xcf800000, v5, |v3|
	v_ashrrev_i32_e32 v3, 31, v3
	v_cvt_u32_f32_e32 v5, v5
	v_cvt_u32_f32_e32 v14, v14
	s_delay_alu instid0(VALU_DEP_2) | instskip(NEXT) | instid1(VALU_DEP_2)
	v_xor_b32_e32 v5, v5, v3
	v_xor_b32_e32 v14, v14, v3
	s_delay_alu instid0(VALU_DEP_1) | instskip(NEXT) | instid1(VALU_DEP_3)
	v_sub_co_u32 v14, vcc_lo, v14, v3
	v_sub_co_ci_u32_e32 v15, vcc_lo, v5, v3, vcc_lo
	global_store_b64 v[12:13], v[14:15], off
.LBB505_1919:
	s_and_not1_b32 vcc_lo, exec_lo, s0
	s_cbranch_vccnz .LBB505_1921
; %bb.1920:
	v_cvt_i32_f32_e32 v3, v4
	global_store_b32 v[12:13], v3, off
.LBB505_1921:
	s_mov_b32 s0, 0
.LBB505_1922:
	s_delay_alu instid0(SALU_CYCLE_1)
	s_and_not1_b32 vcc_lo, exec_lo, s0
	s_cbranch_vccnz .LBB505_1924
; %bb.1923:
	v_cvt_i32_f32_e32 v3, v4
	global_store_b16 v[12:13], v3, off
.LBB505_1924:
	s_mov_b32 s0, 0
.LBB505_1925:
	s_delay_alu instid0(SALU_CYCLE_1)
	s_and_not1_b32 vcc_lo, exec_lo, s0
	s_cbranch_vccnz .LBB505_1930
; %bb.1926:
	v_cmp_gt_i16_e64 s0, s2, 0
	s_delay_alu instid0(VALU_DEP_1)
	s_and_b32 vcc_lo, exec_lo, s0
	s_mov_b32 s0, -1
	s_cbranch_vccz .LBB505_1928
; %bb.1927:
	v_cvt_i32_f32_e32 v3, v4
	s_mov_b32 s0, 0
	global_store_b8 v[12:13], v3, off
.LBB505_1928:
	s_and_not1_b32 vcc_lo, exec_lo, s0
	s_cbranch_vccnz .LBB505_1930
; %bb.1929:
	v_trunc_f32_e32 v3, v4
	s_delay_alu instid0(VALU_DEP_1) | instskip(NEXT) | instid1(VALU_DEP_1)
	v_mul_f32_e64 v4, 0x2f800000, |v3|
	v_floor_f32_e32 v4, v4
	s_delay_alu instid0(VALU_DEP_1) | instskip(SKIP_1) | instid1(VALU_DEP_2)
	v_fma_f32 v4, 0xcf800000, v4, |v3|
	v_ashrrev_i32_e32 v3, 31, v3
	v_cvt_u32_f32_e32 v4, v4
	s_delay_alu instid0(VALU_DEP_1) | instskip(NEXT) | instid1(VALU_DEP_1)
	v_xor_b32_e32 v4, v4, v3
	v_sub_nc_u32_e32 v3, v4, v3
	global_store_b8 v[12:13], v3, off
.LBB505_1930:
	s_mov_b32 s3, -1
.LBB505_1931:
	s_delay_alu instid0(SALU_CYCLE_1)
	s_and_not1_b32 vcc_lo, exec_lo, s3
	s_cbranch_vccnz .LBB505_2198
; %bb.1932:
	v_cmp_lt_i16_e64 s0, s2, 11
	v_add_co_u32 v2, s1, s4, v2
	s_delay_alu instid0(VALU_DEP_1) | instskip(SKIP_1) | instid1(VALU_DEP_3)
	v_add_co_ci_u32_e64 v3, null, s5, 0, s1
	s_mov_b32 s3, 0
	s_and_b32 vcc_lo, exec_lo, s0
	s_mov_b32 s0, -1
	s_cbranch_vccnz .LBB505_2021
; %bb.1933:
	v_cmp_gt_i16_e64 s0, s2, 25
	s_mov_b32 s6, -1
	s_mov_b32 s1, 0
	s_delay_alu instid0(VALU_DEP_1)
	s_and_b32 vcc_lo, exec_lo, s0
	s_mov_b32 s0, 0
	s_cbranch_vccz .LBB505_1977
; %bb.1934:
	v_cmp_gt_i16_e64 s0, s2, 28
	s_delay_alu instid0(VALU_DEP_1)
	s_and_b32 vcc_lo, exec_lo, s0
	s_cbranch_vccz .LBB505_1939
; %bb.1935:
	v_cmp_gt_i16_e64 s0, s2, 43
	s_delay_alu instid0(VALU_DEP_1)
	s_and_b32 vcc_lo, exec_lo, s0
	;; [unrolled: 5-line block ×3, first 2 shown]
	s_cbranch_vccz .LBB505_1949
; %bb.1937:
	v_cmp_eq_u16_e64 s3, s2, 46
	s_mov_b32 s0, -1
	s_mov_b32 s6, 0
	s_delay_alu instid0(VALU_DEP_1)
	s_and_b32 vcc_lo, exec_lo, s3
	s_mov_b32 s3, 0
	s_cbranch_vccz .LBB505_1950
; %bb.1938:
	v_bfe_u32 v4, v7, 16, 1
	v_bfe_u32 v5, v6, 16, 1
	v_cmp_o_f32_e32 vcc_lo, v7, v7
	s_mov_b32 s0, 0
	s_mov_b32 s3, -1
	v_add3_u32 v4, v7, v4, 0x7fff
	v_add3_u32 v5, v6, v5, 0x7fff
	s_delay_alu instid0(VALU_DEP_2) | instskip(NEXT) | instid1(VALU_DEP_2)
	v_and_b32_e32 v4, 0xffff0000, v4
	v_lshrrev_b32_e32 v5, 16, v5
	s_delay_alu instid0(VALU_DEP_2) | instskip(SKIP_1) | instid1(VALU_DEP_3)
	v_cndmask_b32_e32 v4, 0x7fc00000, v4, vcc_lo
	v_cmp_o_f32_e32 vcc_lo, v6, v6
	v_cndmask_b32_e32 v5, 0x7fc0, v5, vcc_lo
	s_delay_alu instid0(VALU_DEP_1)
	v_or_b32_e32 v4, v4, v5
	global_store_b32 v[2:3], v4, off
	s_branch .LBB505_1950
.LBB505_1939:
	s_mov_b32 s0, 0
	s_branch .LBB505_1960
.LBB505_1940:
	s_or_saveexec_b32 s7, s7
                                        ; implicit-def: $sgpr11
	s_delay_alu instid0(SALU_CYCLE_1)
	s_xor_b32 exec_lo, exec_lo, s7
	s_cbranch_execz .LBB505_1842
.LBB505_1941:
	v_add_f32_e64 v3, 0x46000000, |v4|
	s_and_not1_b32 s6, s6, exec_lo
	s_mov_b32 s11, 0
	s_delay_alu instid0(VALU_DEP_1) | instskip(NEXT) | instid1(VALU_DEP_1)
	v_and_b32_e32 v3, 0xff, v3
	v_cmp_ne_u32_e32 vcc_lo, 0, v3
	s_and_b32 s12, vcc_lo, exec_lo
	s_delay_alu instid0(SALU_CYCLE_1)
	s_or_b32 s6, s6, s12
	s_or_b32 exec_lo, exec_lo, s7
	v_mov_b32_e32 v14, s11
	s_and_saveexec_b32 s7, s6
	s_cbranch_execnz .LBB505_1843
	s_branch .LBB505_1844
.LBB505_1942:
	s_mov_b32 s0, 0
	s_branch .LBB505_1956
.LBB505_1943:
	s_trap 2
	s_sendmsg_rtn_b32 s0, sendmsg(MSG_RTN_GET_DOORBELL)
	s_mov_b32 ttmp2, m0
	s_waitcnt lgkmcnt(0)
	s_and_b32 s0, s0, 0x3ff
	s_delay_alu instid0(SALU_CYCLE_1) | instskip(NEXT) | instid1(SALU_CYCLE_1)
	s_bitset1_b32 s0, 10
	s_mov_b32 m0, s0
	s_sendmsg sendmsg(MSG_INTERRUPT)
	s_mov_b32 m0, ttmp2
.LBB505_1944:                           ; =>This Inner Loop Header: Depth=1
	s_sethalt 5
	s_branch .LBB505_1944
.LBB505_1945:
	s_cbranch_execnz .LBB505_2072
; %bb.1946:
	s_or_b32 s10, s10, exec_lo
	s_cbranch_execz .LBB505_1890
	s_branch .LBB505_1891
.LBB505_1947:
	s_or_saveexec_b32 s6, s6
                                        ; implicit-def: $sgpr7
	s_delay_alu instid0(SALU_CYCLE_1)
	s_xor_b32 exec_lo, exec_lo, s6
	s_cbranch_execz .LBB505_1855
.LBB505_1948:
	v_add_f32_e64 v3, 0x42800000, |v4|
	s_and_not1_b32 s3, s3, exec_lo
	s_mov_b32 s7, 0
	s_delay_alu instid0(VALU_DEP_1) | instskip(NEXT) | instid1(VALU_DEP_1)
	v_and_b32_e32 v3, 0xff, v3
	v_cmp_ne_u32_e32 vcc_lo, 0, v3
	s_and_b32 s11, vcc_lo, exec_lo
	s_delay_alu instid0(SALU_CYCLE_1)
	s_or_b32 s3, s3, s11
	s_or_b32 exec_lo, exec_lo, s6
	v_mov_b32_e32 v14, s7
	s_and_saveexec_b32 s6, s3
	s_cbranch_execnz .LBB505_1856
	s_branch .LBB505_1857
.LBB505_1949:
	s_mov_b32 s0, 0
.LBB505_1950:
	s_and_b32 vcc_lo, exec_lo, s6
	s_cbranch_vccz .LBB505_1955
; %bb.1951:
	v_cmp_eq_u16_e64 s0, s2, 44
	s_delay_alu instid0(VALU_DEP_1)
	s_and_b32 vcc_lo, exec_lo, s0
	s_mov_b32 s0, -1
	s_cbranch_vccz .LBB505_1955
; %bb.1952:
	v_bfe_u32 v5, v6, 23, 8
	v_mov_b32_e32 v4, 0xff
	s_mov_b32 s3, exec_lo
	s_delay_alu instid0(VALU_DEP_2)
	v_cmpx_ne_u32_e32 0xff, v5
; %bb.1953:
	v_and_b32_e32 v4, 0x400000, v6
	v_and_or_b32 v5, 0x3fffff, v6, v5
	s_delay_alu instid0(VALU_DEP_2) | instskip(NEXT) | instid1(VALU_DEP_2)
	v_cmp_ne_u32_e32 vcc_lo, 0, v4
	v_cmp_ne_u32_e64 s0, 0, v5
	v_lshrrev_b32_e32 v4, 23, v6
	s_delay_alu instid0(VALU_DEP_2) | instskip(NEXT) | instid1(SALU_CYCLE_1)
	s_and_b32 s0, vcc_lo, s0
	v_cndmask_b32_e64 v5, 0, 1, s0
	s_delay_alu instid0(VALU_DEP_1)
	v_add_nc_u32_e32 v4, v4, v5
; %bb.1954:
	s_or_b32 exec_lo, exec_lo, s3
	s_mov_b32 s0, 0
	s_mov_b32 s3, -1
	global_store_b8 v[2:3], v4, off
.LBB505_1955:
	s_mov_b32 s6, 0
.LBB505_1956:
	s_delay_alu instid0(SALU_CYCLE_1)
	s_and_b32 vcc_lo, exec_lo, s6
	s_cbranch_vccz .LBB505_1959
; %bb.1957:
	v_cmp_eq_u16_e64 s0, s2, 29
	s_delay_alu instid0(VALU_DEP_1)
	s_and_b32 vcc_lo, exec_lo, s0
	s_mov_b32 s0, -1
	s_cbranch_vccz .LBB505_1959
; %bb.1958:
	v_trunc_f32_e32 v4, v6
	s_mov_b32 s0, 0
	s_mov_b32 s3, -1
	s_mov_b32 s6, 0
	s_delay_alu instid0(VALU_DEP_1) | instskip(NEXT) | instid1(VALU_DEP_1)
	v_mul_f32_e32 v5, 0x2f800000, v4
	v_floor_f32_e32 v5, v5
	s_delay_alu instid0(VALU_DEP_1) | instskip(SKIP_1) | instid1(VALU_DEP_2)
	v_fmamk_f32 v4, v5, 0xcf800000, v4
	v_cvt_u32_f32_e32 v5, v5
	v_cvt_u32_f32_e32 v4, v4
	global_store_b64 v[2:3], v[4:5], off
	s_branch .LBB505_1960
.LBB505_1959:
	s_mov_b32 s6, 0
.LBB505_1960:
	s_delay_alu instid0(SALU_CYCLE_1)
	s_and_b32 vcc_lo, exec_lo, s6
	s_cbranch_vccz .LBB505_1976
; %bb.1961:
	v_cmp_lt_i16_e64 s3, s2, 27
	s_delay_alu instid0(VALU_DEP_1)
	s_and_b32 vcc_lo, exec_lo, s3
	s_mov_b32 s3, -1
	s_cbranch_vccnz .LBB505_1967
; %bb.1962:
	v_cmp_gt_i16_e64 s3, s2, 27
	v_cvt_u32_f32_e32 v4, v6
	s_delay_alu instid0(VALU_DEP_2)
	s_and_b32 vcc_lo, exec_lo, s3
	s_mov_b32 s3, -1
	s_cbranch_vccz .LBB505_1964
; %bb.1963:
	s_mov_b32 s3, 0
	global_store_b32 v[2:3], v4, off
.LBB505_1964:
	s_and_not1_b32 vcc_lo, exec_lo, s3
	s_cbranch_vccnz .LBB505_1966
; %bb.1965:
	global_store_b16 v[2:3], v4, off
.LBB505_1966:
	s_mov_b32 s3, 0
.LBB505_1967:
	s_delay_alu instid0(SALU_CYCLE_1)
	s_and_not1_b32 vcc_lo, exec_lo, s3
	s_cbranch_vccnz .LBB505_1975
; %bb.1968:
	v_and_b32_e32 v4, 0x7fffffff, v6
	v_mov_b32_e32 v5, 0x80
	s_mov_b32 s3, exec_lo
	s_delay_alu instid0(VALU_DEP_2)
	v_cmpx_gt_u32_e32 0x43800000, v4
	s_cbranch_execz .LBB505_1974
; %bb.1969:
	v_cmp_lt_u32_e32 vcc_lo, 0x3bffffff, v4
	s_mov_b32 s6, 0
                                        ; implicit-def: $vgpr4
	s_and_saveexec_b32 s7, vcc_lo
	s_delay_alu instid0(SALU_CYCLE_1)
	s_xor_b32 s7, exec_lo, s7
	s_cbranch_execz .LBB505_2069
; %bb.1970:
	v_bfe_u32 v4, v6, 20, 1
	s_mov_b32 s6, exec_lo
	s_delay_alu instid0(VALU_DEP_1) | instskip(NEXT) | instid1(VALU_DEP_1)
	v_add3_u32 v4, v6, v4, 0x487ffff
	v_lshrrev_b32_e32 v4, 20, v4
	s_or_saveexec_b32 s7, s7
                                        ; implicit-def: $sgpr11
	s_delay_alu instid0(SALU_CYCLE_1)
	s_xor_b32 exec_lo, exec_lo, s7
	s_cbranch_execnz .LBB505_2070
.LBB505_1971:
	s_or_b32 exec_lo, exec_lo, s7
	v_mov_b32_e32 v5, s11
	s_and_saveexec_b32 s7, s6
.LBB505_1972:
	v_lshrrev_b32_e32 v5, 24, v6
	s_delay_alu instid0(VALU_DEP_1)
	v_and_or_b32 v5, 0x80, v5, v4
.LBB505_1973:
	s_or_b32 exec_lo, exec_lo, s7
.LBB505_1974:
	s_delay_alu instid0(SALU_CYCLE_1)
	s_or_b32 exec_lo, exec_lo, s3
	global_store_b8 v[2:3], v5, off
.LBB505_1975:
	s_mov_b32 s3, -1
.LBB505_1976:
	s_mov_b32 s6, 0
.LBB505_1977:
	s_delay_alu instid0(SALU_CYCLE_1)
	s_and_b32 vcc_lo, exec_lo, s6
	s_cbranch_vccz .LBB505_2017
; %bb.1978:
	v_cmp_gt_i16_e64 s1, s2, 22
	s_delay_alu instid0(VALU_DEP_1)
	s_and_b32 vcc_lo, exec_lo, s1
	s_mov_b32 s1, -1
	s_cbranch_vccz .LBB505_2010
; %bb.1979:
	v_cmp_lt_i16_e64 s1, s2, 24
	s_delay_alu instid0(VALU_DEP_1)
	s_and_b32 vcc_lo, exec_lo, s1
	s_mov_b32 s1, -1
	s_cbranch_vccnz .LBB505_1999
; %bb.1980:
	v_cmp_gt_i16_e64 s1, s2, 24
	s_delay_alu instid0(VALU_DEP_1)
	s_and_b32 vcc_lo, exec_lo, s1
	s_mov_b32 s1, -1
	s_cbranch_vccz .LBB505_1988
; %bb.1981:
	v_and_b32_e32 v4, 0x7fffffff, v6
	v_mov_b32_e32 v5, 0x80
	s_mov_b32 s1, exec_lo
	s_delay_alu instid0(VALU_DEP_2)
	v_cmpx_gt_u32_e32 0x47800000, v4
	s_cbranch_execz .LBB505_1987
; %bb.1982:
	v_cmp_lt_u32_e32 vcc_lo, 0x37ffffff, v4
	s_mov_b32 s3, 0
                                        ; implicit-def: $vgpr4
	s_and_saveexec_b32 s6, vcc_lo
	s_delay_alu instid0(SALU_CYCLE_1)
	s_xor_b32 s6, exec_lo, s6
	s_cbranch_execz .LBB505_2076
; %bb.1983:
	v_bfe_u32 v4, v6, 21, 1
	s_mov_b32 s3, exec_lo
	s_delay_alu instid0(VALU_DEP_1) | instskip(NEXT) | instid1(VALU_DEP_1)
	v_add3_u32 v4, v6, v4, 0x88fffff
	v_lshrrev_b32_e32 v4, 21, v4
	s_or_saveexec_b32 s6, s6
                                        ; implicit-def: $sgpr7
	s_delay_alu instid0(SALU_CYCLE_1)
	s_xor_b32 exec_lo, exec_lo, s6
	s_cbranch_execnz .LBB505_2077
.LBB505_1984:
	s_or_b32 exec_lo, exec_lo, s6
	v_mov_b32_e32 v5, s7
	s_and_saveexec_b32 s6, s3
.LBB505_1985:
	v_lshrrev_b32_e32 v5, 24, v6
	s_delay_alu instid0(VALU_DEP_1)
	v_and_or_b32 v5, 0x80, v5, v4
.LBB505_1986:
	s_or_b32 exec_lo, exec_lo, s6
.LBB505_1987:
	s_delay_alu instid0(SALU_CYCLE_1)
	s_or_b32 exec_lo, exec_lo, s1
	s_mov_b32 s1, 0
	global_store_b8 v[2:3], v5, off
.LBB505_1988:
	s_and_b32 vcc_lo, exec_lo, s1
	s_cbranch_vccz .LBB505_1998
; %bb.1989:
	v_and_b32_e32 v5, 0x7fffffff, v6
	s_mov_b32 s1, exec_lo
                                        ; implicit-def: $vgpr4
	s_delay_alu instid0(VALU_DEP_1)
	v_cmpx_gt_u32_e32 0x43f00000, v5
	s_xor_b32 s1, exec_lo, s1
	s_cbranch_execz .LBB505_1995
; %bb.1990:
	s_mov_b32 s3, exec_lo
                                        ; implicit-def: $vgpr4
	v_cmpx_lt_u32_e32 0x3c7fffff, v5
	s_xor_b32 s3, exec_lo, s3
; %bb.1991:
	v_bfe_u32 v4, v6, 20, 1
	s_delay_alu instid0(VALU_DEP_1) | instskip(NEXT) | instid1(VALU_DEP_1)
	v_add3_u32 v4, v6, v4, 0x407ffff
	v_and_b32_e32 v5, 0xff00000, v4
	v_lshrrev_b32_e32 v4, 20, v4
	s_delay_alu instid0(VALU_DEP_2) | instskip(NEXT) | instid1(VALU_DEP_2)
	v_cmp_ne_u32_e32 vcc_lo, 0x7f00000, v5
	v_cndmask_b32_e32 v4, 0x7e, v4, vcc_lo
; %bb.1992:
	s_and_not1_saveexec_b32 s3, s3
; %bb.1993:
	v_add_f32_e64 v4, 0x46800000, |v6|
; %bb.1994:
	s_or_b32 exec_lo, exec_lo, s3
                                        ; implicit-def: $vgpr5
.LBB505_1995:
	s_and_not1_saveexec_b32 s1, s1
; %bb.1996:
	v_mov_b32_e32 v4, 0x7f
	v_cmp_lt_u32_e32 vcc_lo, 0x7f800000, v5
	s_delay_alu instid0(VALU_DEP_2)
	v_cndmask_b32_e32 v4, 0x7e, v4, vcc_lo
; %bb.1997:
	s_or_b32 exec_lo, exec_lo, s1
	v_lshrrev_b32_e32 v5, 24, v6
	s_delay_alu instid0(VALU_DEP_1)
	v_and_or_b32 v4, 0x80, v5, v4
	global_store_b8 v[2:3], v4, off
.LBB505_1998:
	s_mov_b32 s1, 0
.LBB505_1999:
	s_delay_alu instid0(SALU_CYCLE_1)
	s_and_not1_b32 vcc_lo, exec_lo, s1
	s_cbranch_vccnz .LBB505_2009
; %bb.2000:
	v_and_b32_e32 v5, 0x7fffffff, v6
	s_mov_b32 s1, exec_lo
                                        ; implicit-def: $vgpr4
	s_delay_alu instid0(VALU_DEP_1)
	v_cmpx_gt_u32_e32 0x47800000, v5
	s_xor_b32 s1, exec_lo, s1
	s_cbranch_execz .LBB505_2006
; %bb.2001:
	s_mov_b32 s3, exec_lo
                                        ; implicit-def: $vgpr4
	v_cmpx_lt_u32_e32 0x387fffff, v5
	s_xor_b32 s3, exec_lo, s3
; %bb.2002:
	v_bfe_u32 v4, v6, 21, 1
	s_delay_alu instid0(VALU_DEP_1) | instskip(NEXT) | instid1(VALU_DEP_1)
	v_add3_u32 v4, v6, v4, 0x80fffff
	v_lshrrev_b32_e32 v4, 21, v4
; %bb.2003:
	s_and_not1_saveexec_b32 s3, s3
; %bb.2004:
	v_add_f32_e64 v4, 0x43000000, |v6|
; %bb.2005:
	s_or_b32 exec_lo, exec_lo, s3
                                        ; implicit-def: $vgpr5
.LBB505_2006:
	s_and_not1_saveexec_b32 s1, s1
; %bb.2007:
	v_mov_b32_e32 v4, 0x7f
	v_cmp_lt_u32_e32 vcc_lo, 0x7f800000, v5
	s_delay_alu instid0(VALU_DEP_2)
	v_cndmask_b32_e32 v4, 0x7c, v4, vcc_lo
; %bb.2008:
	s_or_b32 exec_lo, exec_lo, s1
	v_lshrrev_b32_e32 v5, 24, v6
	s_delay_alu instid0(VALU_DEP_1)
	v_and_or_b32 v4, 0x80, v5, v4
	global_store_b8 v[2:3], v4, off
.LBB505_2009:
	s_mov_b32 s1, 0
	s_mov_b32 s3, -1
.LBB505_2010:
	s_and_not1_b32 vcc_lo, exec_lo, s1
	s_mov_b32 s1, 0
	s_cbranch_vccnz .LBB505_2017
; %bb.2011:
	v_cmp_gt_i16_e64 s1, s2, 14
	s_delay_alu instid0(VALU_DEP_1)
	s_and_b32 vcc_lo, exec_lo, s1
	s_mov_b32 s1, -1
	s_cbranch_vccz .LBB505_2015
; %bb.2012:
	v_cmp_eq_u16_e64 s0, s2, 15
	s_delay_alu instid0(VALU_DEP_1)
	s_and_b32 vcc_lo, exec_lo, s0
	s_mov_b32 s0, -1
	s_cbranch_vccz .LBB505_2014
; %bb.2013:
	v_bfe_u32 v4, v6, 16, 1
	v_cmp_o_f32_e32 vcc_lo, v6, v6
	s_mov_b32 s0, 0
	s_mov_b32 s3, -1
	s_delay_alu instid0(VALU_DEP_2) | instskip(NEXT) | instid1(VALU_DEP_1)
	v_add3_u32 v4, v6, v4, 0x7fff
	v_lshrrev_b32_e32 v4, 16, v4
	s_delay_alu instid0(VALU_DEP_1)
	v_cndmask_b32_e32 v4, 0x7fc0, v4, vcc_lo
	global_store_b16 v[2:3], v4, off
.LBB505_2014:
	s_mov_b32 s1, 0
.LBB505_2015:
	s_delay_alu instid0(SALU_CYCLE_1)
	s_and_b32 vcc_lo, exec_lo, s1
	s_mov_b32 s1, 0
	s_cbranch_vccz .LBB505_2017
; %bb.2016:
	v_cmp_ne_u16_e64 s0, s2, 11
	s_mov_b32 s1, -1
.LBB505_2017:
	s_delay_alu instid0(VALU_DEP_1)
	s_and_b32 vcc_lo, exec_lo, s0
	s_cbranch_vccnz .LBB505_2074
; %bb.2018:
	s_and_not1_b32 vcc_lo, exec_lo, s1
	s_cbranch_vccnz .LBB505_2020
.LBB505_2019:
	v_cmp_neq_f32_e32 vcc_lo, 0, v6
	v_cmp_neq_f32_e64 s0, 0, v7
	s_mov_b32 s3, -1
	s_delay_alu instid0(VALU_DEP_1) | instskip(NEXT) | instid1(SALU_CYCLE_1)
	s_or_b32 s0, vcc_lo, s0
	v_cndmask_b32_e64 v4, 0, 1, s0
	global_store_b8 v[2:3], v4, off
.LBB505_2020:
	s_mov_b32 s0, 0
.LBB505_2021:
	s_delay_alu instid0(SALU_CYCLE_1)
	s_and_b32 vcc_lo, exec_lo, s0
	s_cbranch_vccz .LBB505_2060
; %bb.2022:
	v_cmp_lt_i16_e64 s0, s2, 5
	s_delay_alu instid0(VALU_DEP_1)
	s_and_b32 vcc_lo, exec_lo, s0
	s_mov_b32 s0, -1
	s_cbranch_vccnz .LBB505_2043
; %bb.2023:
	v_cmp_lt_i16_e64 s0, s2, 8
	s_delay_alu instid0(VALU_DEP_1)
	s_and_b32 vcc_lo, exec_lo, s0
	s_mov_b32 s0, -1
	s_cbranch_vccnz .LBB505_2033
	;; [unrolled: 6-line block ×3, first 2 shown]
; %bb.2025:
	v_cmp_gt_i16_e64 s0, s2, 9
	s_delay_alu instid0(VALU_DEP_1)
	s_and_b32 vcc_lo, exec_lo, s0
	s_mov_b32 s0, -1
	s_cbranch_vccz .LBB505_2027
; %bb.2026:
	v_cvt_f64_f32_e32 v[12:13], v6
	v_cvt_f64_f32_e32 v[14:15], v7
	s_mov_b32 s0, 0
	global_store_b128 v[2:3], v[12:15], off
.LBB505_2027:
	s_and_not1_b32 vcc_lo, exec_lo, s0
	s_cbranch_vccnz .LBB505_2029
; %bb.2028:
	global_store_b64 v[2:3], v[6:7], off
.LBB505_2029:
	s_mov_b32 s0, 0
.LBB505_2030:
	s_delay_alu instid0(SALU_CYCLE_1)
	s_and_not1_b32 vcc_lo, exec_lo, s0
	s_cbranch_vccnz .LBB505_2032
; %bb.2031:
	v_cvt_f16_f32_e32 v4, v7
	v_cvt_f16_f32_e32 v5, v6
	s_delay_alu instid0(VALU_DEP_2) | instskip(NEXT) | instid1(VALU_DEP_2)
	v_lshlrev_b32_e32 v4, 16, v4
	v_and_b32_e32 v5, 0xffff, v5
	s_delay_alu instid0(VALU_DEP_1)
	v_or_b32_e32 v4, v4, v5
	global_store_b32 v[2:3], v4, off
.LBB505_2032:
	s_mov_b32 s0, 0
.LBB505_2033:
	s_delay_alu instid0(SALU_CYCLE_1)
	s_and_not1_b32 vcc_lo, exec_lo, s0
	s_cbranch_vccnz .LBB505_2042
; %bb.2034:
	v_cmp_lt_i16_e64 s0, s2, 6
	s_delay_alu instid0(VALU_DEP_1)
	s_and_b32 vcc_lo, exec_lo, s0
	s_mov_b32 s0, -1
	s_cbranch_vccnz .LBB505_2040
; %bb.2035:
	v_cmp_gt_i16_e64 s0, s2, 6
	s_delay_alu instid0(VALU_DEP_1)
	s_and_b32 vcc_lo, exec_lo, s0
	s_mov_b32 s0, -1
	s_cbranch_vccz .LBB505_2037
; %bb.2036:
	v_cvt_f64_f32_e32 v[4:5], v6
	s_mov_b32 s0, 0
	global_store_b64 v[2:3], v[4:5], off
.LBB505_2037:
	s_and_not1_b32 vcc_lo, exec_lo, s0
	s_cbranch_vccnz .LBB505_2039
; %bb.2038:
	global_store_b32 v[2:3], v6, off
.LBB505_2039:
	s_mov_b32 s0, 0
.LBB505_2040:
	s_delay_alu instid0(SALU_CYCLE_1)
	s_and_not1_b32 vcc_lo, exec_lo, s0
	s_cbranch_vccnz .LBB505_2042
; %bb.2041:
	v_cvt_f16_f32_e32 v4, v6
	global_store_b16 v[2:3], v4, off
.LBB505_2042:
	s_mov_b32 s0, 0
.LBB505_2043:
	s_delay_alu instid0(SALU_CYCLE_1)
	s_and_not1_b32 vcc_lo, exec_lo, s0
	s_cbranch_vccnz .LBB505_2059
; %bb.2044:
	v_cmp_lt_i16_e64 s0, s2, 2
	s_delay_alu instid0(VALU_DEP_1)
	s_and_b32 vcc_lo, exec_lo, s0
	s_mov_b32 s0, -1
	s_cbranch_vccnz .LBB505_2054
; %bb.2045:
	v_cmp_lt_i16_e64 s0, s2, 3
	s_delay_alu instid0(VALU_DEP_1)
	s_and_b32 vcc_lo, exec_lo, s0
	s_mov_b32 s0, -1
	s_cbranch_vccnz .LBB505_2051
; %bb.2046:
	v_cmp_gt_i16_e64 s0, s2, 3
	s_delay_alu instid0(VALU_DEP_1)
	s_and_b32 vcc_lo, exec_lo, s0
	s_mov_b32 s0, -1
	s_cbranch_vccz .LBB505_2048
; %bb.2047:
	v_trunc_f32_e32 v4, v6
	s_mov_b32 s0, 0
	s_delay_alu instid0(VALU_DEP_1) | instskip(SKIP_1) | instid1(VALU_DEP_2)
	v_mul_f32_e64 v5, 0x2f800000, |v4|
	v_ashrrev_i32_e32 v12, 31, v4
	v_floor_f32_e32 v5, v5
	s_delay_alu instid0(VALU_DEP_1) | instskip(SKIP_1) | instid1(VALU_DEP_2)
	v_fma_f32 v7, 0xcf800000, v5, |v4|
	v_cvt_u32_f32_e32 v5, v5
	v_cvt_u32_f32_e32 v4, v7
	s_delay_alu instid0(VALU_DEP_2) | instskip(NEXT) | instid1(VALU_DEP_2)
	v_xor_b32_e32 v5, v5, v12
	v_xor_b32_e32 v4, v4, v12
	s_delay_alu instid0(VALU_DEP_1) | instskip(NEXT) | instid1(VALU_DEP_3)
	v_sub_co_u32 v4, vcc_lo, v4, v12
	v_sub_co_ci_u32_e32 v5, vcc_lo, v5, v12, vcc_lo
	global_store_b64 v[2:3], v[4:5], off
.LBB505_2048:
	s_and_not1_b32 vcc_lo, exec_lo, s0
	s_cbranch_vccnz .LBB505_2050
; %bb.2049:
	v_cvt_i32_f32_e32 v4, v6
	global_store_b32 v[2:3], v4, off
.LBB505_2050:
	s_mov_b32 s0, 0
.LBB505_2051:
	s_delay_alu instid0(SALU_CYCLE_1)
	s_and_not1_b32 vcc_lo, exec_lo, s0
	s_cbranch_vccnz .LBB505_2053
; %bb.2052:
	v_cvt_i32_f32_e32 v4, v6
	global_store_b16 v[2:3], v4, off
.LBB505_2053:
	s_mov_b32 s0, 0
.LBB505_2054:
	s_delay_alu instid0(SALU_CYCLE_1)
	s_and_not1_b32 vcc_lo, exec_lo, s0
	s_cbranch_vccnz .LBB505_2059
; %bb.2055:
	v_cmp_gt_i16_e64 s0, s2, 0
	s_delay_alu instid0(VALU_DEP_1)
	s_and_b32 vcc_lo, exec_lo, s0
	s_mov_b32 s0, -1
	s_cbranch_vccz .LBB505_2057
; %bb.2056:
	v_cvt_i32_f32_e32 v4, v6
	s_mov_b32 s0, 0
	global_store_b8 v[2:3], v4, off
.LBB505_2057:
	s_and_not1_b32 vcc_lo, exec_lo, s0
	s_cbranch_vccnz .LBB505_2059
; %bb.2058:
	v_trunc_f32_e32 v4, v6
	s_delay_alu instid0(VALU_DEP_1) | instskip(NEXT) | instid1(VALU_DEP_1)
	v_mul_f32_e64 v5, 0x2f800000, |v4|
	v_floor_f32_e32 v5, v5
	s_delay_alu instid0(VALU_DEP_1) | instskip(SKIP_1) | instid1(VALU_DEP_2)
	v_fma_f32 v5, 0xcf800000, v5, |v4|
	v_ashrrev_i32_e32 v4, 31, v4
	v_cvt_u32_f32_e32 v5, v5
	s_delay_alu instid0(VALU_DEP_1) | instskip(NEXT) | instid1(VALU_DEP_1)
	v_xor_b32_e32 v5, v5, v4
	v_sub_nc_u32_e32 v4, v5, v4
	global_store_b8 v[2:3], v4, off
.LBB505_2059:
	s_mov_b32 s3, -1
.LBB505_2060:
	s_delay_alu instid0(SALU_CYCLE_1)
	s_and_not1_b32 vcc_lo, exec_lo, s3
	s_cbranch_vccnz .LBB505_2198
; %bb.2061:
	v_cmp_lt_i16_e64 s0, s2, 11
	v_add_co_u32 v1, s1, s4, v1
	s_delay_alu instid0(VALU_DEP_1) | instskip(SKIP_1) | instid1(VALU_DEP_3)
	v_add_co_ci_u32_e64 v2, null, s5, 0, s1
	s_mov_b32 s3, 0
	s_and_b32 vcc_lo, exec_lo, s0
	s_mov_b32 s0, -1
	s_cbranch_vccnz .LBB505_2150
; %bb.2062:
	v_cmp_gt_i16_e64 s0, s2, 25
	s_mov_b32 s6, -1
	s_mov_b32 s1, 0
	s_delay_alu instid0(VALU_DEP_1)
	s_and_b32 vcc_lo, exec_lo, s0
	s_mov_b32 s0, 0
	s_cbranch_vccz .LBB505_2106
; %bb.2063:
	v_cmp_gt_i16_e64 s0, s2, 28
	s_delay_alu instid0(VALU_DEP_1)
	s_and_b32 vcc_lo, exec_lo, s0
	s_cbranch_vccz .LBB505_2068
; %bb.2064:
	v_cmp_gt_i16_e64 s0, s2, 43
	s_delay_alu instid0(VALU_DEP_1)
	s_and_b32 vcc_lo, exec_lo, s0
	;; [unrolled: 5-line block ×3, first 2 shown]
	s_cbranch_vccz .LBB505_2078
; %bb.2066:
	v_cmp_eq_u16_e64 s3, s2, 46
	s_mov_b32 s0, -1
	s_mov_b32 s6, 0
	s_delay_alu instid0(VALU_DEP_1)
	s_and_b32 vcc_lo, exec_lo, s3
	s_mov_b32 s3, 0
	s_cbranch_vccz .LBB505_2079
; %bb.2067:
	v_bfe_u32 v3, v9, 16, 1
	v_bfe_u32 v4, v8, 16, 1
	v_cmp_o_f32_e32 vcc_lo, v9, v9
	s_mov_b32 s0, 0
	s_mov_b32 s3, -1
	v_add3_u32 v3, v9, v3, 0x7fff
	v_add3_u32 v4, v8, v4, 0x7fff
	s_delay_alu instid0(VALU_DEP_2) | instskip(NEXT) | instid1(VALU_DEP_2)
	v_and_b32_e32 v3, 0xffff0000, v3
	v_lshrrev_b32_e32 v4, 16, v4
	s_delay_alu instid0(VALU_DEP_2) | instskip(SKIP_1) | instid1(VALU_DEP_3)
	v_cndmask_b32_e32 v3, 0x7fc00000, v3, vcc_lo
	v_cmp_o_f32_e32 vcc_lo, v8, v8
	v_cndmask_b32_e32 v4, 0x7fc0, v4, vcc_lo
	s_delay_alu instid0(VALU_DEP_1)
	v_or_b32_e32 v3, v3, v4
	global_store_b32 v[1:2], v3, off
	s_branch .LBB505_2079
.LBB505_2068:
	s_mov_b32 s0, 0
	s_branch .LBB505_2089
.LBB505_2069:
	s_or_saveexec_b32 s7, s7
                                        ; implicit-def: $sgpr11
	s_delay_alu instid0(SALU_CYCLE_1)
	s_xor_b32 exec_lo, exec_lo, s7
	s_cbranch_execz .LBB505_1971
.LBB505_2070:
	v_add_f32_e64 v4, 0x46000000, |v6|
	s_and_not1_b32 s6, s6, exec_lo
	s_mov_b32 s11, 0
	s_delay_alu instid0(VALU_DEP_1) | instskip(NEXT) | instid1(VALU_DEP_1)
	v_and_b32_e32 v4, 0xff, v4
	v_cmp_ne_u32_e32 vcc_lo, 0, v4
	s_and_b32 s12, vcc_lo, exec_lo
	s_delay_alu instid0(SALU_CYCLE_1)
	s_or_b32 s6, s6, s12
	s_or_b32 exec_lo, exec_lo, s7
	v_mov_b32_e32 v5, s11
	s_and_saveexec_b32 s7, s6
	s_cbranch_execnz .LBB505_1972
	s_branch .LBB505_1973
.LBB505_2071:
	s_mov_b32 s0, 0
	s_branch .LBB505_2085
.LBB505_2072:
	s_trap 2
	s_sendmsg_rtn_b32 s0, sendmsg(MSG_RTN_GET_DOORBELL)
	s_mov_b32 ttmp2, m0
	s_waitcnt lgkmcnt(0)
	s_and_b32 s0, s0, 0x3ff
	s_delay_alu instid0(SALU_CYCLE_1) | instskip(NEXT) | instid1(SALU_CYCLE_1)
	s_bitset1_b32 s0, 10
	s_mov_b32 m0, s0
	s_sendmsg sendmsg(MSG_INTERRUPT)
	s_mov_b32 m0, ttmp2
.LBB505_2073:                           ; =>This Inner Loop Header: Depth=1
	s_sethalt 5
	s_branch .LBB505_2073
.LBB505_2074:
	s_cbranch_execnz .LBB505_2203
; %bb.2075:
	s_or_b32 s10, s10, exec_lo
	s_cbranch_execz .LBB505_2019
	s_branch .LBB505_2020
.LBB505_2076:
	s_or_saveexec_b32 s6, s6
                                        ; implicit-def: $sgpr7
	s_delay_alu instid0(SALU_CYCLE_1)
	s_xor_b32 exec_lo, exec_lo, s6
	s_cbranch_execz .LBB505_1984
.LBB505_2077:
	v_add_f32_e64 v4, 0x42800000, |v6|
	s_and_not1_b32 s3, s3, exec_lo
	s_mov_b32 s7, 0
	s_delay_alu instid0(VALU_DEP_1) | instskip(NEXT) | instid1(VALU_DEP_1)
	v_and_b32_e32 v4, 0xff, v4
	v_cmp_ne_u32_e32 vcc_lo, 0, v4
	s_and_b32 s11, vcc_lo, exec_lo
	s_delay_alu instid0(SALU_CYCLE_1)
	s_or_b32 s3, s3, s11
	s_or_b32 exec_lo, exec_lo, s6
	v_mov_b32_e32 v5, s7
	s_and_saveexec_b32 s6, s3
	s_cbranch_execnz .LBB505_1985
	s_branch .LBB505_1986
.LBB505_2078:
	s_mov_b32 s0, 0
.LBB505_2079:
	s_and_b32 vcc_lo, exec_lo, s6
	s_cbranch_vccz .LBB505_2084
; %bb.2080:
	v_cmp_eq_u16_e64 s0, s2, 44
	s_delay_alu instid0(VALU_DEP_1)
	s_and_b32 vcc_lo, exec_lo, s0
	s_mov_b32 s0, -1
	s_cbranch_vccz .LBB505_2084
; %bb.2081:
	v_bfe_u32 v4, v8, 23, 8
	v_mov_b32_e32 v3, 0xff
	s_mov_b32 s3, exec_lo
	s_delay_alu instid0(VALU_DEP_2)
	v_cmpx_ne_u32_e32 0xff, v4
; %bb.2082:
	v_and_b32_e32 v3, 0x400000, v8
	v_and_or_b32 v4, 0x3fffff, v8, v4
	s_delay_alu instid0(VALU_DEP_2) | instskip(NEXT) | instid1(VALU_DEP_2)
	v_cmp_ne_u32_e32 vcc_lo, 0, v3
	v_cmp_ne_u32_e64 s0, 0, v4
	v_lshrrev_b32_e32 v3, 23, v8
	s_delay_alu instid0(VALU_DEP_2) | instskip(NEXT) | instid1(SALU_CYCLE_1)
	s_and_b32 s0, vcc_lo, s0
	v_cndmask_b32_e64 v4, 0, 1, s0
	s_delay_alu instid0(VALU_DEP_1)
	v_add_nc_u32_e32 v3, v3, v4
; %bb.2083:
	s_or_b32 exec_lo, exec_lo, s3
	s_mov_b32 s0, 0
	s_mov_b32 s3, -1
	global_store_b8 v[1:2], v3, off
.LBB505_2084:
	s_mov_b32 s6, 0
.LBB505_2085:
	s_delay_alu instid0(SALU_CYCLE_1)
	s_and_b32 vcc_lo, exec_lo, s6
	s_cbranch_vccz .LBB505_2088
; %bb.2086:
	v_cmp_eq_u16_e64 s0, s2, 29
	s_delay_alu instid0(VALU_DEP_1)
	s_and_b32 vcc_lo, exec_lo, s0
	s_mov_b32 s0, -1
	s_cbranch_vccz .LBB505_2088
; %bb.2087:
	v_trunc_f32_e32 v3, v8
	s_mov_b32 s0, 0
	s_mov_b32 s3, -1
	s_mov_b32 s6, 0
	s_delay_alu instid0(VALU_DEP_1) | instskip(NEXT) | instid1(VALU_DEP_1)
	v_mul_f32_e32 v4, 0x2f800000, v3
	v_floor_f32_e32 v4, v4
	s_delay_alu instid0(VALU_DEP_1) | instskip(SKIP_1) | instid1(VALU_DEP_2)
	v_fmamk_f32 v3, v4, 0xcf800000, v3
	v_cvt_u32_f32_e32 v4, v4
	v_cvt_u32_f32_e32 v3, v3
	global_store_b64 v[1:2], v[3:4], off
	s_branch .LBB505_2089
.LBB505_2088:
	s_mov_b32 s6, 0
.LBB505_2089:
	s_delay_alu instid0(SALU_CYCLE_1)
	s_and_b32 vcc_lo, exec_lo, s6
	s_cbranch_vccz .LBB505_2105
; %bb.2090:
	v_cmp_lt_i16_e64 s3, s2, 27
	s_delay_alu instid0(VALU_DEP_1)
	s_and_b32 vcc_lo, exec_lo, s3
	s_mov_b32 s3, -1
	s_cbranch_vccnz .LBB505_2096
; %bb.2091:
	v_cmp_gt_i16_e64 s3, s2, 27
	v_cvt_u32_f32_e32 v3, v8
	s_delay_alu instid0(VALU_DEP_2)
	s_and_b32 vcc_lo, exec_lo, s3
	s_mov_b32 s3, -1
	s_cbranch_vccz .LBB505_2093
; %bb.2092:
	s_mov_b32 s3, 0
	global_store_b32 v[1:2], v3, off
.LBB505_2093:
	s_and_not1_b32 vcc_lo, exec_lo, s3
	s_cbranch_vccnz .LBB505_2095
; %bb.2094:
	global_store_b16 v[1:2], v3, off
.LBB505_2095:
	s_mov_b32 s3, 0
.LBB505_2096:
	s_delay_alu instid0(SALU_CYCLE_1)
	s_and_not1_b32 vcc_lo, exec_lo, s3
	s_cbranch_vccnz .LBB505_2104
; %bb.2097:
	v_and_b32_e32 v3, 0x7fffffff, v8
	v_mov_b32_e32 v4, 0x80
	s_mov_b32 s3, exec_lo
	s_delay_alu instid0(VALU_DEP_2)
	v_cmpx_gt_u32_e32 0x43800000, v3
	s_cbranch_execz .LBB505_2103
; %bb.2098:
	v_cmp_lt_u32_e32 vcc_lo, 0x3bffffff, v3
	s_mov_b32 s6, 0
                                        ; implicit-def: $vgpr3
	s_and_saveexec_b32 s7, vcc_lo
	s_delay_alu instid0(SALU_CYCLE_1)
	s_xor_b32 s7, exec_lo, s7
	s_cbranch_execz .LBB505_2200
; %bb.2099:
	v_bfe_u32 v3, v8, 20, 1
	s_mov_b32 s6, exec_lo
	s_delay_alu instid0(VALU_DEP_1) | instskip(NEXT) | instid1(VALU_DEP_1)
	v_add3_u32 v3, v8, v3, 0x487ffff
	v_lshrrev_b32_e32 v3, 20, v3
	s_or_saveexec_b32 s7, s7
                                        ; implicit-def: $sgpr11
	s_delay_alu instid0(SALU_CYCLE_1)
	s_xor_b32 exec_lo, exec_lo, s7
	s_cbranch_execnz .LBB505_2201
.LBB505_2100:
	s_or_b32 exec_lo, exec_lo, s7
	v_mov_b32_e32 v4, s11
	s_and_saveexec_b32 s7, s6
.LBB505_2101:
	v_lshrrev_b32_e32 v4, 24, v8
	s_delay_alu instid0(VALU_DEP_1)
	v_and_or_b32 v4, 0x80, v4, v3
.LBB505_2102:
	s_or_b32 exec_lo, exec_lo, s7
.LBB505_2103:
	s_delay_alu instid0(SALU_CYCLE_1)
	s_or_b32 exec_lo, exec_lo, s3
	global_store_b8 v[1:2], v4, off
.LBB505_2104:
	s_mov_b32 s3, -1
.LBB505_2105:
	s_mov_b32 s6, 0
.LBB505_2106:
	s_delay_alu instid0(SALU_CYCLE_1)
	s_and_b32 vcc_lo, exec_lo, s6
	s_cbranch_vccz .LBB505_2146
; %bb.2107:
	v_cmp_gt_i16_e64 s1, s2, 22
	s_delay_alu instid0(VALU_DEP_1)
	s_and_b32 vcc_lo, exec_lo, s1
	s_mov_b32 s1, -1
	s_cbranch_vccz .LBB505_2139
; %bb.2108:
	v_cmp_lt_i16_e64 s1, s2, 24
	s_delay_alu instid0(VALU_DEP_1)
	s_and_b32 vcc_lo, exec_lo, s1
	s_mov_b32 s1, -1
	s_cbranch_vccnz .LBB505_2128
; %bb.2109:
	v_cmp_gt_i16_e64 s1, s2, 24
	s_delay_alu instid0(VALU_DEP_1)
	s_and_b32 vcc_lo, exec_lo, s1
	s_mov_b32 s1, -1
	s_cbranch_vccz .LBB505_2117
; %bb.2110:
	v_and_b32_e32 v3, 0x7fffffff, v8
	v_mov_b32_e32 v4, 0x80
	s_mov_b32 s1, exec_lo
	s_delay_alu instid0(VALU_DEP_2)
	v_cmpx_gt_u32_e32 0x47800000, v3
	s_cbranch_execz .LBB505_2116
; %bb.2111:
	v_cmp_lt_u32_e32 vcc_lo, 0x37ffffff, v3
	s_mov_b32 s3, 0
                                        ; implicit-def: $vgpr3
	s_and_saveexec_b32 s6, vcc_lo
	s_delay_alu instid0(SALU_CYCLE_1)
	s_xor_b32 s6, exec_lo, s6
	s_cbranch_execz .LBB505_2207
; %bb.2112:
	v_bfe_u32 v3, v8, 21, 1
	s_mov_b32 s3, exec_lo
	s_delay_alu instid0(VALU_DEP_1) | instskip(NEXT) | instid1(VALU_DEP_1)
	v_add3_u32 v3, v8, v3, 0x88fffff
	v_lshrrev_b32_e32 v3, 21, v3
	s_or_saveexec_b32 s6, s6
                                        ; implicit-def: $sgpr7
	s_delay_alu instid0(SALU_CYCLE_1)
	s_xor_b32 exec_lo, exec_lo, s6
	s_cbranch_execnz .LBB505_2208
.LBB505_2113:
	s_or_b32 exec_lo, exec_lo, s6
	v_mov_b32_e32 v4, s7
	s_and_saveexec_b32 s6, s3
.LBB505_2114:
	v_lshrrev_b32_e32 v4, 24, v8
	s_delay_alu instid0(VALU_DEP_1)
	v_and_or_b32 v4, 0x80, v4, v3
.LBB505_2115:
	s_or_b32 exec_lo, exec_lo, s6
.LBB505_2116:
	s_delay_alu instid0(SALU_CYCLE_1)
	s_or_b32 exec_lo, exec_lo, s1
	s_mov_b32 s1, 0
	global_store_b8 v[1:2], v4, off
.LBB505_2117:
	s_and_b32 vcc_lo, exec_lo, s1
	s_cbranch_vccz .LBB505_2127
; %bb.2118:
	v_and_b32_e32 v4, 0x7fffffff, v8
	s_mov_b32 s1, exec_lo
                                        ; implicit-def: $vgpr3
	s_delay_alu instid0(VALU_DEP_1)
	v_cmpx_gt_u32_e32 0x43f00000, v4
	s_xor_b32 s1, exec_lo, s1
	s_cbranch_execz .LBB505_2124
; %bb.2119:
	s_mov_b32 s3, exec_lo
                                        ; implicit-def: $vgpr3
	v_cmpx_lt_u32_e32 0x3c7fffff, v4
	s_xor_b32 s3, exec_lo, s3
; %bb.2120:
	v_bfe_u32 v3, v8, 20, 1
	s_delay_alu instid0(VALU_DEP_1) | instskip(NEXT) | instid1(VALU_DEP_1)
	v_add3_u32 v3, v8, v3, 0x407ffff
	v_and_b32_e32 v4, 0xff00000, v3
	v_lshrrev_b32_e32 v3, 20, v3
	s_delay_alu instid0(VALU_DEP_2) | instskip(NEXT) | instid1(VALU_DEP_2)
	v_cmp_ne_u32_e32 vcc_lo, 0x7f00000, v4
	v_cndmask_b32_e32 v3, 0x7e, v3, vcc_lo
; %bb.2121:
	s_and_not1_saveexec_b32 s3, s3
; %bb.2122:
	v_add_f32_e64 v3, 0x46800000, |v8|
; %bb.2123:
	s_or_b32 exec_lo, exec_lo, s3
                                        ; implicit-def: $vgpr4
.LBB505_2124:
	s_and_not1_saveexec_b32 s1, s1
; %bb.2125:
	v_mov_b32_e32 v3, 0x7f
	v_cmp_lt_u32_e32 vcc_lo, 0x7f800000, v4
	s_delay_alu instid0(VALU_DEP_2)
	v_cndmask_b32_e32 v3, 0x7e, v3, vcc_lo
; %bb.2126:
	s_or_b32 exec_lo, exec_lo, s1
	v_lshrrev_b32_e32 v4, 24, v8
	s_delay_alu instid0(VALU_DEP_1)
	v_and_or_b32 v3, 0x80, v4, v3
	global_store_b8 v[1:2], v3, off
.LBB505_2127:
	s_mov_b32 s1, 0
.LBB505_2128:
	s_delay_alu instid0(SALU_CYCLE_1)
	s_and_not1_b32 vcc_lo, exec_lo, s1
	s_cbranch_vccnz .LBB505_2138
; %bb.2129:
	v_and_b32_e32 v4, 0x7fffffff, v8
	s_mov_b32 s1, exec_lo
                                        ; implicit-def: $vgpr3
	s_delay_alu instid0(VALU_DEP_1)
	v_cmpx_gt_u32_e32 0x47800000, v4
	s_xor_b32 s1, exec_lo, s1
	s_cbranch_execz .LBB505_2135
; %bb.2130:
	s_mov_b32 s3, exec_lo
                                        ; implicit-def: $vgpr3
	v_cmpx_lt_u32_e32 0x387fffff, v4
	s_xor_b32 s3, exec_lo, s3
; %bb.2131:
	v_bfe_u32 v3, v8, 21, 1
	s_delay_alu instid0(VALU_DEP_1) | instskip(NEXT) | instid1(VALU_DEP_1)
	v_add3_u32 v3, v8, v3, 0x80fffff
	v_lshrrev_b32_e32 v3, 21, v3
; %bb.2132:
	s_and_not1_saveexec_b32 s3, s3
; %bb.2133:
	v_add_f32_e64 v3, 0x43000000, |v8|
; %bb.2134:
	s_or_b32 exec_lo, exec_lo, s3
                                        ; implicit-def: $vgpr4
.LBB505_2135:
	s_and_not1_saveexec_b32 s1, s1
; %bb.2136:
	v_mov_b32_e32 v3, 0x7f
	v_cmp_lt_u32_e32 vcc_lo, 0x7f800000, v4
	s_delay_alu instid0(VALU_DEP_2)
	v_cndmask_b32_e32 v3, 0x7c, v3, vcc_lo
; %bb.2137:
	s_or_b32 exec_lo, exec_lo, s1
	v_lshrrev_b32_e32 v4, 24, v8
	s_delay_alu instid0(VALU_DEP_1)
	v_and_or_b32 v3, 0x80, v4, v3
	global_store_b8 v[1:2], v3, off
.LBB505_2138:
	s_mov_b32 s1, 0
	s_mov_b32 s3, -1
.LBB505_2139:
	s_and_not1_b32 vcc_lo, exec_lo, s1
	s_mov_b32 s1, 0
	s_cbranch_vccnz .LBB505_2146
; %bb.2140:
	v_cmp_gt_i16_e64 s1, s2, 14
	s_delay_alu instid0(VALU_DEP_1)
	s_and_b32 vcc_lo, exec_lo, s1
	s_mov_b32 s1, -1
	s_cbranch_vccz .LBB505_2144
; %bb.2141:
	v_cmp_eq_u16_e64 s0, s2, 15
	s_delay_alu instid0(VALU_DEP_1)
	s_and_b32 vcc_lo, exec_lo, s0
	s_mov_b32 s0, -1
	s_cbranch_vccz .LBB505_2143
; %bb.2142:
	v_bfe_u32 v3, v8, 16, 1
	v_cmp_o_f32_e32 vcc_lo, v8, v8
	s_mov_b32 s0, 0
	s_mov_b32 s3, -1
	s_delay_alu instid0(VALU_DEP_2) | instskip(NEXT) | instid1(VALU_DEP_1)
	v_add3_u32 v3, v8, v3, 0x7fff
	v_lshrrev_b32_e32 v3, 16, v3
	s_delay_alu instid0(VALU_DEP_1)
	v_cndmask_b32_e32 v3, 0x7fc0, v3, vcc_lo
	global_store_b16 v[1:2], v3, off
.LBB505_2143:
	s_mov_b32 s1, 0
.LBB505_2144:
	s_delay_alu instid0(SALU_CYCLE_1)
	s_and_b32 vcc_lo, exec_lo, s1
	s_mov_b32 s1, 0
	s_cbranch_vccz .LBB505_2146
; %bb.2145:
	v_cmp_ne_u16_e64 s0, s2, 11
	s_mov_b32 s1, -1
.LBB505_2146:
	s_delay_alu instid0(VALU_DEP_1)
	s_and_b32 vcc_lo, exec_lo, s0
	s_cbranch_vccnz .LBB505_2205
; %bb.2147:
	s_and_not1_b32 vcc_lo, exec_lo, s1
	s_cbranch_vccnz .LBB505_2149
.LBB505_2148:
	v_cmp_neq_f32_e32 vcc_lo, 0, v8
	v_cmp_neq_f32_e64 s0, 0, v9
	s_mov_b32 s3, -1
	s_delay_alu instid0(VALU_DEP_1) | instskip(NEXT) | instid1(SALU_CYCLE_1)
	s_or_b32 s0, vcc_lo, s0
	v_cndmask_b32_e64 v3, 0, 1, s0
	global_store_b8 v[1:2], v3, off
.LBB505_2149:
	s_mov_b32 s0, 0
.LBB505_2150:
	s_delay_alu instid0(SALU_CYCLE_1)
	s_and_b32 vcc_lo, exec_lo, s0
	s_cbranch_vccz .LBB505_2189
; %bb.2151:
	v_cmp_lt_i16_e64 s0, s2, 5
	s_delay_alu instid0(VALU_DEP_1)
	s_and_b32 vcc_lo, exec_lo, s0
	s_mov_b32 s0, -1
	s_cbranch_vccnz .LBB505_2172
; %bb.2152:
	v_cmp_lt_i16_e64 s0, s2, 8
	s_delay_alu instid0(VALU_DEP_1)
	s_and_b32 vcc_lo, exec_lo, s0
	s_mov_b32 s0, -1
	s_cbranch_vccnz .LBB505_2162
	;; [unrolled: 6-line block ×3, first 2 shown]
; %bb.2154:
	v_cmp_gt_i16_e64 s0, s2, 9
	s_delay_alu instid0(VALU_DEP_1)
	s_and_b32 vcc_lo, exec_lo, s0
	s_mov_b32 s0, -1
	s_cbranch_vccz .LBB505_2156
; %bb.2155:
	v_cvt_f64_f32_e32 v[3:4], v8
	v_cvt_f64_f32_e32 v[5:6], v9
	s_mov_b32 s0, 0
	global_store_b128 v[1:2], v[3:6], off
.LBB505_2156:
	s_and_not1_b32 vcc_lo, exec_lo, s0
	s_cbranch_vccnz .LBB505_2158
; %bb.2157:
	global_store_b64 v[1:2], v[8:9], off
.LBB505_2158:
	s_mov_b32 s0, 0
.LBB505_2159:
	s_delay_alu instid0(SALU_CYCLE_1)
	s_and_not1_b32 vcc_lo, exec_lo, s0
	s_cbranch_vccnz .LBB505_2161
; %bb.2160:
	v_cvt_f16_f32_e32 v3, v9
	v_cvt_f16_f32_e32 v4, v8
	s_delay_alu instid0(VALU_DEP_2) | instskip(NEXT) | instid1(VALU_DEP_2)
	v_lshlrev_b32_e32 v3, 16, v3
	v_and_b32_e32 v4, 0xffff, v4
	s_delay_alu instid0(VALU_DEP_1)
	v_or_b32_e32 v3, v3, v4
	global_store_b32 v[1:2], v3, off
.LBB505_2161:
	s_mov_b32 s0, 0
.LBB505_2162:
	s_delay_alu instid0(SALU_CYCLE_1)
	s_and_not1_b32 vcc_lo, exec_lo, s0
	s_cbranch_vccnz .LBB505_2171
; %bb.2163:
	v_cmp_lt_i16_e64 s0, s2, 6
	s_delay_alu instid0(VALU_DEP_1)
	s_and_b32 vcc_lo, exec_lo, s0
	s_mov_b32 s0, -1
	s_cbranch_vccnz .LBB505_2169
; %bb.2164:
	v_cmp_gt_i16_e64 s0, s2, 6
	s_delay_alu instid0(VALU_DEP_1)
	s_and_b32 vcc_lo, exec_lo, s0
	s_mov_b32 s0, -1
	s_cbranch_vccz .LBB505_2166
; %bb.2165:
	v_cvt_f64_f32_e32 v[3:4], v8
	s_mov_b32 s0, 0
	global_store_b64 v[1:2], v[3:4], off
.LBB505_2166:
	s_and_not1_b32 vcc_lo, exec_lo, s0
	s_cbranch_vccnz .LBB505_2168
; %bb.2167:
	global_store_b32 v[1:2], v8, off
.LBB505_2168:
	s_mov_b32 s0, 0
.LBB505_2169:
	s_delay_alu instid0(SALU_CYCLE_1)
	s_and_not1_b32 vcc_lo, exec_lo, s0
	s_cbranch_vccnz .LBB505_2171
; %bb.2170:
	v_cvt_f16_f32_e32 v3, v8
	global_store_b16 v[1:2], v3, off
.LBB505_2171:
	s_mov_b32 s0, 0
.LBB505_2172:
	s_delay_alu instid0(SALU_CYCLE_1)
	s_and_not1_b32 vcc_lo, exec_lo, s0
	s_cbranch_vccnz .LBB505_2188
; %bb.2173:
	v_cmp_lt_i16_e64 s0, s2, 2
	s_delay_alu instid0(VALU_DEP_1)
	s_and_b32 vcc_lo, exec_lo, s0
	s_mov_b32 s0, -1
	s_cbranch_vccnz .LBB505_2183
; %bb.2174:
	v_cmp_lt_i16_e64 s0, s2, 3
	s_delay_alu instid0(VALU_DEP_1)
	s_and_b32 vcc_lo, exec_lo, s0
	s_mov_b32 s0, -1
	s_cbranch_vccnz .LBB505_2180
; %bb.2175:
	v_cmp_gt_i16_e64 s0, s2, 3
	s_delay_alu instid0(VALU_DEP_1)
	s_and_b32 vcc_lo, exec_lo, s0
	s_mov_b32 s0, -1
	s_cbranch_vccz .LBB505_2177
; %bb.2176:
	v_trunc_f32_e32 v3, v8
	s_mov_b32 s0, 0
	s_delay_alu instid0(VALU_DEP_1) | instskip(SKIP_1) | instid1(VALU_DEP_2)
	v_mul_f32_e64 v4, 0x2f800000, |v3|
	v_ashrrev_i32_e32 v6, 31, v3
	v_floor_f32_e32 v4, v4
	s_delay_alu instid0(VALU_DEP_1) | instskip(SKIP_1) | instid1(VALU_DEP_2)
	v_fma_f32 v5, 0xcf800000, v4, |v3|
	v_cvt_u32_f32_e32 v4, v4
	v_cvt_u32_f32_e32 v3, v5
	s_delay_alu instid0(VALU_DEP_2) | instskip(NEXT) | instid1(VALU_DEP_2)
	v_xor_b32_e32 v4, v4, v6
	v_xor_b32_e32 v3, v3, v6
	s_delay_alu instid0(VALU_DEP_1) | instskip(NEXT) | instid1(VALU_DEP_3)
	v_sub_co_u32 v3, vcc_lo, v3, v6
	v_sub_co_ci_u32_e32 v4, vcc_lo, v4, v6, vcc_lo
	global_store_b64 v[1:2], v[3:4], off
.LBB505_2177:
	s_and_not1_b32 vcc_lo, exec_lo, s0
	s_cbranch_vccnz .LBB505_2179
; %bb.2178:
	v_cvt_i32_f32_e32 v3, v8
	global_store_b32 v[1:2], v3, off
.LBB505_2179:
	s_mov_b32 s0, 0
.LBB505_2180:
	s_delay_alu instid0(SALU_CYCLE_1)
	s_and_not1_b32 vcc_lo, exec_lo, s0
	s_cbranch_vccnz .LBB505_2182
; %bb.2181:
	v_cvt_i32_f32_e32 v3, v8
	global_store_b16 v[1:2], v3, off
.LBB505_2182:
	s_mov_b32 s0, 0
.LBB505_2183:
	s_delay_alu instid0(SALU_CYCLE_1)
	s_and_not1_b32 vcc_lo, exec_lo, s0
	s_cbranch_vccnz .LBB505_2188
; %bb.2184:
	v_cmp_gt_i16_e64 s0, s2, 0
	s_delay_alu instid0(VALU_DEP_1)
	s_and_b32 vcc_lo, exec_lo, s0
	s_mov_b32 s0, -1
	s_cbranch_vccz .LBB505_2186
; %bb.2185:
	v_cvt_i32_f32_e32 v3, v8
	s_mov_b32 s0, 0
	global_store_b8 v[1:2], v3, off
.LBB505_2186:
	s_and_not1_b32 vcc_lo, exec_lo, s0
	s_cbranch_vccnz .LBB505_2188
; %bb.2187:
	v_trunc_f32_e32 v3, v8
	s_delay_alu instid0(VALU_DEP_1) | instskip(NEXT) | instid1(VALU_DEP_1)
	v_mul_f32_e64 v4, 0x2f800000, |v3|
	v_floor_f32_e32 v4, v4
	s_delay_alu instid0(VALU_DEP_1) | instskip(SKIP_1) | instid1(VALU_DEP_2)
	v_fma_f32 v4, 0xcf800000, v4, |v3|
	v_ashrrev_i32_e32 v3, 31, v3
	v_cvt_u32_f32_e32 v4, v4
	s_delay_alu instid0(VALU_DEP_1) | instskip(NEXT) | instid1(VALU_DEP_1)
	v_xor_b32_e32 v4, v4, v3
	v_sub_nc_u32_e32 v3, v4, v3
	global_store_b8 v[1:2], v3, off
.LBB505_2188:
	s_mov_b32 s3, -1
.LBB505_2189:
	s_delay_alu instid0(SALU_CYCLE_1)
	s_and_not1_b32 vcc_lo, exec_lo, s3
	s_cbranch_vccnz .LBB505_2198
; %bb.2190:
	v_cmp_lt_i16_e64 s0, s2, 11
	v_add_co_u32 v0, s3, s4, v0
	s_delay_alu instid0(VALU_DEP_1) | instskip(SKIP_1) | instid1(VALU_DEP_3)
	v_add_co_ci_u32_e64 v1, null, s5, 0, s3
	s_mov_b32 s1, 0
	s_and_b32 vcc_lo, exec_lo, s0
	s_mov_b32 s0, -1
	s_cbranch_vccnz .LBB505_1772
; %bb.2191:
	v_cmp_gt_i16_e64 s0, s2, 25
	s_mov_b32 s3, -1
	s_delay_alu instid0(VALU_DEP_1)
	s_and_b32 vcc_lo, exec_lo, s0
	s_mov_b32 s0, 0
	s_cbranch_vccz .LBB505_2236
; %bb.2192:
	v_cmp_gt_i16_e64 s0, s2, 28
	s_delay_alu instid0(VALU_DEP_1)
	s_and_b32 vcc_lo, exec_lo, s0
	s_cbranch_vccz .LBB505_2199
; %bb.2193:
	v_cmp_gt_i16_e64 s0, s2, 43
	s_delay_alu instid0(VALU_DEP_1)
	s_and_b32 vcc_lo, exec_lo, s0
	;; [unrolled: 5-line block ×3, first 2 shown]
	s_cbranch_vccz .LBB505_2209
; %bb.2195:
	v_cmp_eq_u16_e64 s0, s2, 46
	s_delay_alu instid0(VALU_DEP_1)
	s_and_b32 vcc_lo, exec_lo, s0
	s_mov_b32 s0, -1
	s_cbranch_vccz .LBB505_2197
; %bb.2196:
	v_bfe_u32 v2, v11, 16, 1
	v_bfe_u32 v3, v10, 16, 1
	v_cmp_o_f32_e32 vcc_lo, v11, v11
	s_mov_b32 s0, 0
	s_delay_alu instid0(VALU_DEP_3) | instskip(NEXT) | instid1(VALU_DEP_3)
	v_add3_u32 v2, v11, v2, 0x7fff
	v_add3_u32 v3, v10, v3, 0x7fff
	s_delay_alu instid0(VALU_DEP_2) | instskip(NEXT) | instid1(VALU_DEP_2)
	v_and_b32_e32 v2, 0xffff0000, v2
	v_lshrrev_b32_e32 v3, 16, v3
	s_delay_alu instid0(VALU_DEP_2) | instskip(SKIP_1) | instid1(VALU_DEP_3)
	v_cndmask_b32_e32 v2, 0x7fc00000, v2, vcc_lo
	v_cmp_o_f32_e32 vcc_lo, v10, v10
	v_cndmask_b32_e32 v3, 0x7fc0, v3, vcc_lo
	s_delay_alu instid0(VALU_DEP_1)
	v_or_b32_e32 v2, v2, v3
	global_store_b32 v[0:1], v2, off
.LBB505_2197:
	s_mov_b32 s3, 0
	s_branch .LBB505_2210
.LBB505_2198:
	s_mov_b32 s0, 0
	s_mov_b32 s1, 0
                                        ; implicit-def: $vgpr0_vgpr1
                                        ; implicit-def: $sgpr2
	s_branch .LBB505_1772
.LBB505_2199:
	s_mov_b32 s0, 0
	s_branch .LBB505_2220
.LBB505_2200:
	s_or_saveexec_b32 s7, s7
                                        ; implicit-def: $sgpr11
	s_delay_alu instid0(SALU_CYCLE_1)
	s_xor_b32 exec_lo, exec_lo, s7
	s_cbranch_execz .LBB505_2100
.LBB505_2201:
	v_add_f32_e64 v3, 0x46000000, |v8|
	s_and_not1_b32 s6, s6, exec_lo
	s_mov_b32 s11, 0
	s_delay_alu instid0(VALU_DEP_1) | instskip(NEXT) | instid1(VALU_DEP_1)
	v_and_b32_e32 v3, 0xff, v3
	v_cmp_ne_u32_e32 vcc_lo, 0, v3
	s_and_b32 s12, vcc_lo, exec_lo
	s_delay_alu instid0(SALU_CYCLE_1)
	s_or_b32 s6, s6, s12
	s_or_b32 exec_lo, exec_lo, s7
	v_mov_b32_e32 v4, s11
	s_and_saveexec_b32 s7, s6
	s_cbranch_execnz .LBB505_2101
	s_branch .LBB505_2102
.LBB505_2202:
	s_mov_b32 s0, 0
	s_branch .LBB505_2216
.LBB505_2203:
	s_trap 2
	s_sendmsg_rtn_b32 s0, sendmsg(MSG_RTN_GET_DOORBELL)
	s_mov_b32 ttmp2, m0
	s_waitcnt lgkmcnt(0)
	s_and_b32 s0, s0, 0x3ff
	s_delay_alu instid0(SALU_CYCLE_1) | instskip(NEXT) | instid1(SALU_CYCLE_1)
	s_bitset1_b32 s0, 10
	s_mov_b32 m0, s0
	s_sendmsg sendmsg(MSG_INTERRUPT)
	s_mov_b32 m0, ttmp2
.LBB505_2204:                           ; =>This Inner Loop Header: Depth=1
	s_sethalt 5
	s_branch .LBB505_2204
.LBB505_2205:
	s_cbranch_execnz .LBB505_2280
; %bb.2206:
	s_or_b32 s10, s10, exec_lo
	s_cbranch_execz .LBB505_2148
	s_branch .LBB505_2149
.LBB505_2207:
	s_or_saveexec_b32 s6, s6
                                        ; implicit-def: $sgpr7
	s_delay_alu instid0(SALU_CYCLE_1)
	s_xor_b32 exec_lo, exec_lo, s6
	s_cbranch_execz .LBB505_2113
.LBB505_2208:
	v_add_f32_e64 v3, 0x42800000, |v8|
	s_and_not1_b32 s3, s3, exec_lo
	s_mov_b32 s7, 0
	s_delay_alu instid0(VALU_DEP_1) | instskip(NEXT) | instid1(VALU_DEP_1)
	v_and_b32_e32 v3, 0xff, v3
	v_cmp_ne_u32_e32 vcc_lo, 0, v3
	s_and_b32 s11, vcc_lo, exec_lo
	s_delay_alu instid0(SALU_CYCLE_1)
	s_or_b32 s3, s3, s11
	s_or_b32 exec_lo, exec_lo, s6
	v_mov_b32_e32 v4, s7
	s_and_saveexec_b32 s6, s3
	s_cbranch_execnz .LBB505_2114
	s_branch .LBB505_2115
.LBB505_2209:
	s_mov_b32 s0, 0
.LBB505_2210:
	s_and_b32 vcc_lo, exec_lo, s3
	s_cbranch_vccz .LBB505_2215
; %bb.2211:
	v_cmp_eq_u16_e64 s0, s2, 44
	s_delay_alu instid0(VALU_DEP_1)
	s_and_b32 vcc_lo, exec_lo, s0
	s_mov_b32 s0, -1
	s_cbranch_vccz .LBB505_2215
; %bb.2212:
	v_bfe_u32 v3, v10, 23, 8
	v_mov_b32_e32 v2, 0xff
	s_mov_b32 s3, exec_lo
	s_delay_alu instid0(VALU_DEP_2)
	v_cmpx_ne_u32_e32 0xff, v3
; %bb.2213:
	v_and_b32_e32 v2, 0x400000, v10
	v_and_or_b32 v3, 0x3fffff, v10, v3
	s_delay_alu instid0(VALU_DEP_2) | instskip(NEXT) | instid1(VALU_DEP_2)
	v_cmp_ne_u32_e32 vcc_lo, 0, v2
	v_cmp_ne_u32_e64 s0, 0, v3
	v_lshrrev_b32_e32 v2, 23, v10
	s_delay_alu instid0(VALU_DEP_2) | instskip(NEXT) | instid1(SALU_CYCLE_1)
	s_and_b32 s0, vcc_lo, s0
	v_cndmask_b32_e64 v3, 0, 1, s0
	s_delay_alu instid0(VALU_DEP_1)
	v_add_nc_u32_e32 v2, v2, v3
; %bb.2214:
	s_or_b32 exec_lo, exec_lo, s3
	s_mov_b32 s0, 0
	global_store_b8 v[0:1], v2, off
.LBB505_2215:
	s_mov_b32 s3, 0
.LBB505_2216:
	s_delay_alu instid0(SALU_CYCLE_1)
	s_and_b32 vcc_lo, exec_lo, s3
	s_cbranch_vccz .LBB505_2219
; %bb.2217:
	v_cmp_eq_u16_e64 s0, s2, 29
	s_delay_alu instid0(VALU_DEP_1)
	s_and_b32 vcc_lo, exec_lo, s0
	s_mov_b32 s0, -1
	s_cbranch_vccz .LBB505_2219
; %bb.2218:
	v_trunc_f32_e32 v2, v10
	s_mov_b32 s0, 0
	s_delay_alu instid0(VALU_DEP_1) | instskip(NEXT) | instid1(VALU_DEP_1)
	v_mul_f32_e32 v3, 0x2f800000, v2
	v_floor_f32_e32 v3, v3
	s_delay_alu instid0(VALU_DEP_1) | instskip(SKIP_1) | instid1(VALU_DEP_2)
	v_fmamk_f32 v2, v3, 0xcf800000, v2
	v_cvt_u32_f32_e32 v3, v3
	v_cvt_u32_f32_e32 v2, v2
	global_store_b64 v[0:1], v[2:3], off
.LBB505_2219:
	s_mov_b32 s3, 0
.LBB505_2220:
	s_delay_alu instid0(SALU_CYCLE_1)
	s_and_b32 vcc_lo, exec_lo, s3
	s_cbranch_vccz .LBB505_2235
; %bb.2221:
	v_cmp_lt_i16_e64 s3, s2, 27
	s_delay_alu instid0(VALU_DEP_1)
	s_and_b32 vcc_lo, exec_lo, s3
	s_mov_b32 s3, -1
	s_cbranch_vccnz .LBB505_2227
; %bb.2222:
	v_cmp_gt_i16_e64 s3, s2, 27
	v_cvt_u32_f32_e32 v2, v10
	s_delay_alu instid0(VALU_DEP_2)
	s_and_b32 vcc_lo, exec_lo, s3
	s_mov_b32 s3, -1
	s_cbranch_vccz .LBB505_2224
; %bb.2223:
	s_mov_b32 s3, 0
	global_store_b32 v[0:1], v2, off
.LBB505_2224:
	s_and_not1_b32 vcc_lo, exec_lo, s3
	s_cbranch_vccnz .LBB505_2226
; %bb.2225:
	global_store_b16 v[0:1], v2, off
.LBB505_2226:
	s_mov_b32 s3, 0
.LBB505_2227:
	s_delay_alu instid0(SALU_CYCLE_1)
	s_and_not1_b32 vcc_lo, exec_lo, s3
	s_cbranch_vccnz .LBB505_2235
; %bb.2228:
	v_and_b32_e32 v2, 0x7fffffff, v10
	v_mov_b32_e32 v3, 0x80
	s_mov_b32 s3, exec_lo
	s_delay_alu instid0(VALU_DEP_2)
	v_cmpx_gt_u32_e32 0x43800000, v2
	s_cbranch_execz .LBB505_2234
; %bb.2229:
	v_cmp_lt_u32_e32 vcc_lo, 0x3bffffff, v2
	s_mov_b32 s4, 0
                                        ; implicit-def: $vgpr2
	s_and_saveexec_b32 s5, vcc_lo
	s_delay_alu instid0(SALU_CYCLE_1)
	s_xor_b32 s5, exec_lo, s5
	s_cbranch_execz .LBB505_2278
; %bb.2230:
	v_bfe_u32 v2, v10, 20, 1
	s_mov_b32 s4, exec_lo
	s_delay_alu instid0(VALU_DEP_1) | instskip(NEXT) | instid1(VALU_DEP_1)
	v_add3_u32 v2, v10, v2, 0x487ffff
	v_lshrrev_b32_e32 v2, 20, v2
	s_or_saveexec_b32 s5, s5
                                        ; implicit-def: $sgpr6
	s_delay_alu instid0(SALU_CYCLE_1)
	s_xor_b32 exec_lo, exec_lo, s5
	s_cbranch_execnz .LBB505_2279
.LBB505_2231:
	s_or_b32 exec_lo, exec_lo, s5
	v_mov_b32_e32 v3, s6
	s_and_saveexec_b32 s5, s4
.LBB505_2232:
	v_lshrrev_b32_e32 v3, 24, v10
	s_delay_alu instid0(VALU_DEP_1)
	v_and_or_b32 v3, 0x80, v3, v2
.LBB505_2233:
	s_or_b32 exec_lo, exec_lo, s5
.LBB505_2234:
	s_delay_alu instid0(SALU_CYCLE_1)
	s_or_b32 exec_lo, exec_lo, s3
	global_store_b8 v[0:1], v3, off
.LBB505_2235:
	s_mov_b32 s3, 0
.LBB505_2236:
	s_delay_alu instid0(SALU_CYCLE_1)
	s_and_b32 vcc_lo, exec_lo, s3
	s_cbranch_vccz .LBB505_2276
; %bb.2237:
	v_cmp_gt_i16_e64 s1, s2, 22
	s_delay_alu instid0(VALU_DEP_1)
	s_and_b32 vcc_lo, exec_lo, s1
	s_mov_b32 s1, -1
	s_cbranch_vccz .LBB505_2269
; %bb.2238:
	v_cmp_lt_i16_e64 s1, s2, 24
	s_delay_alu instid0(VALU_DEP_1)
	s_and_b32 vcc_lo, exec_lo, s1
	s_mov_b32 s1, -1
	s_cbranch_vccnz .LBB505_2258
; %bb.2239:
	v_cmp_gt_i16_e64 s1, s2, 24
	s_delay_alu instid0(VALU_DEP_1)
	s_and_b32 vcc_lo, exec_lo, s1
	s_mov_b32 s1, -1
	s_cbranch_vccz .LBB505_2247
; %bb.2240:
	v_and_b32_e32 v2, 0x7fffffff, v10
	v_mov_b32_e32 v3, 0x80
	s_mov_b32 s1, exec_lo
	s_delay_alu instid0(VALU_DEP_2)
	v_cmpx_gt_u32_e32 0x47800000, v2
	s_cbranch_execz .LBB505_2246
; %bb.2241:
	v_cmp_lt_u32_e32 vcc_lo, 0x37ffffff, v2
	s_mov_b32 s3, 0
                                        ; implicit-def: $vgpr2
	s_and_saveexec_b32 s4, vcc_lo
	s_delay_alu instid0(SALU_CYCLE_1)
	s_xor_b32 s4, exec_lo, s4
	s_cbranch_execz .LBB505_2284
; %bb.2242:
	v_bfe_u32 v2, v10, 21, 1
	s_mov_b32 s3, exec_lo
	s_delay_alu instid0(VALU_DEP_1) | instskip(NEXT) | instid1(VALU_DEP_1)
	v_add3_u32 v2, v10, v2, 0x88fffff
	v_lshrrev_b32_e32 v2, 21, v2
	s_or_saveexec_b32 s4, s4
                                        ; implicit-def: $sgpr5
	s_delay_alu instid0(SALU_CYCLE_1)
	s_xor_b32 exec_lo, exec_lo, s4
	s_cbranch_execnz .LBB505_2285
.LBB505_2243:
	s_or_b32 exec_lo, exec_lo, s4
	v_mov_b32_e32 v3, s5
	s_and_saveexec_b32 s4, s3
.LBB505_2244:
	v_lshrrev_b32_e32 v3, 24, v10
	s_delay_alu instid0(VALU_DEP_1)
	v_and_or_b32 v3, 0x80, v3, v2
.LBB505_2245:
	s_or_b32 exec_lo, exec_lo, s4
.LBB505_2246:
	s_delay_alu instid0(SALU_CYCLE_1)
	s_or_b32 exec_lo, exec_lo, s1
	s_mov_b32 s1, 0
	global_store_b8 v[0:1], v3, off
.LBB505_2247:
	s_and_b32 vcc_lo, exec_lo, s1
	s_cbranch_vccz .LBB505_2257
; %bb.2248:
	v_and_b32_e32 v3, 0x7fffffff, v10
	s_mov_b32 s1, exec_lo
                                        ; implicit-def: $vgpr2
	s_delay_alu instid0(VALU_DEP_1)
	v_cmpx_gt_u32_e32 0x43f00000, v3
	s_xor_b32 s1, exec_lo, s1
	s_cbranch_execz .LBB505_2254
; %bb.2249:
	s_mov_b32 s3, exec_lo
                                        ; implicit-def: $vgpr2
	v_cmpx_lt_u32_e32 0x3c7fffff, v3
	s_xor_b32 s3, exec_lo, s3
; %bb.2250:
	v_bfe_u32 v2, v10, 20, 1
	s_delay_alu instid0(VALU_DEP_1) | instskip(NEXT) | instid1(VALU_DEP_1)
	v_add3_u32 v2, v10, v2, 0x407ffff
	v_and_b32_e32 v3, 0xff00000, v2
	v_lshrrev_b32_e32 v2, 20, v2
	s_delay_alu instid0(VALU_DEP_2) | instskip(NEXT) | instid1(VALU_DEP_2)
	v_cmp_ne_u32_e32 vcc_lo, 0x7f00000, v3
	v_cndmask_b32_e32 v2, 0x7e, v2, vcc_lo
; %bb.2251:
	s_and_not1_saveexec_b32 s3, s3
; %bb.2252:
	v_add_f32_e64 v2, 0x46800000, |v10|
; %bb.2253:
	s_or_b32 exec_lo, exec_lo, s3
                                        ; implicit-def: $vgpr3
.LBB505_2254:
	s_and_not1_saveexec_b32 s1, s1
; %bb.2255:
	v_mov_b32_e32 v2, 0x7f
	v_cmp_lt_u32_e32 vcc_lo, 0x7f800000, v3
	s_delay_alu instid0(VALU_DEP_2)
	v_cndmask_b32_e32 v2, 0x7e, v2, vcc_lo
; %bb.2256:
	s_or_b32 exec_lo, exec_lo, s1
	v_lshrrev_b32_e32 v3, 24, v10
	s_delay_alu instid0(VALU_DEP_1)
	v_and_or_b32 v2, 0x80, v3, v2
	global_store_b8 v[0:1], v2, off
.LBB505_2257:
	s_mov_b32 s1, 0
.LBB505_2258:
	s_delay_alu instid0(SALU_CYCLE_1)
	s_and_not1_b32 vcc_lo, exec_lo, s1
	s_cbranch_vccnz .LBB505_2268
; %bb.2259:
	v_and_b32_e32 v3, 0x7fffffff, v10
	s_mov_b32 s1, exec_lo
                                        ; implicit-def: $vgpr2
	s_delay_alu instid0(VALU_DEP_1)
	v_cmpx_gt_u32_e32 0x47800000, v3
	s_xor_b32 s1, exec_lo, s1
	s_cbranch_execz .LBB505_2265
; %bb.2260:
	s_mov_b32 s3, exec_lo
                                        ; implicit-def: $vgpr2
	v_cmpx_lt_u32_e32 0x387fffff, v3
	s_xor_b32 s3, exec_lo, s3
; %bb.2261:
	v_bfe_u32 v2, v10, 21, 1
	s_delay_alu instid0(VALU_DEP_1) | instskip(NEXT) | instid1(VALU_DEP_1)
	v_add3_u32 v2, v10, v2, 0x80fffff
	v_lshrrev_b32_e32 v2, 21, v2
; %bb.2262:
	s_and_not1_saveexec_b32 s3, s3
; %bb.2263:
	v_add_f32_e64 v2, 0x43000000, |v10|
; %bb.2264:
	s_or_b32 exec_lo, exec_lo, s3
                                        ; implicit-def: $vgpr3
.LBB505_2265:
	s_and_not1_saveexec_b32 s1, s1
; %bb.2266:
	v_mov_b32_e32 v2, 0x7f
	v_cmp_lt_u32_e32 vcc_lo, 0x7f800000, v3
	s_delay_alu instid0(VALU_DEP_2)
	v_cndmask_b32_e32 v2, 0x7c, v2, vcc_lo
; %bb.2267:
	s_or_b32 exec_lo, exec_lo, s1
	v_lshrrev_b32_e32 v3, 24, v10
	s_delay_alu instid0(VALU_DEP_1)
	v_and_or_b32 v2, 0x80, v3, v2
	global_store_b8 v[0:1], v2, off
.LBB505_2268:
	s_mov_b32 s1, 0
.LBB505_2269:
	s_delay_alu instid0(SALU_CYCLE_1)
	s_and_not1_b32 vcc_lo, exec_lo, s1
	s_mov_b32 s1, 0
	s_cbranch_vccnz .LBB505_2276
; %bb.2270:
	v_cmp_gt_i16_e64 s1, s2, 14
	s_delay_alu instid0(VALU_DEP_1)
	s_and_b32 vcc_lo, exec_lo, s1
	s_mov_b32 s1, -1
	s_cbranch_vccz .LBB505_2274
; %bb.2271:
	v_cmp_eq_u16_e64 s0, s2, 15
	s_delay_alu instid0(VALU_DEP_1)
	s_and_b32 vcc_lo, exec_lo, s0
	s_mov_b32 s0, -1
	s_cbranch_vccz .LBB505_2273
; %bb.2272:
	v_bfe_u32 v2, v10, 16, 1
	v_cmp_o_f32_e32 vcc_lo, v10, v10
	s_mov_b32 s0, 0
	s_delay_alu instid0(VALU_DEP_2) | instskip(NEXT) | instid1(VALU_DEP_1)
	v_add3_u32 v2, v10, v2, 0x7fff
	v_lshrrev_b32_e32 v2, 16, v2
	s_delay_alu instid0(VALU_DEP_1)
	v_cndmask_b32_e32 v2, 0x7fc0, v2, vcc_lo
	global_store_b16 v[0:1], v2, off
.LBB505_2273:
	s_mov_b32 s1, 0
.LBB505_2274:
	s_delay_alu instid0(SALU_CYCLE_1)
	s_and_b32 vcc_lo, exec_lo, s1
	s_mov_b32 s1, 0
	s_cbranch_vccz .LBB505_2276
; %bb.2275:
	v_cmp_ne_u16_e64 s0, s2, 11
	s_mov_b32 s1, -1
.LBB505_2276:
	s_delay_alu instid0(VALU_DEP_1)
	s_and_b32 vcc_lo, exec_lo, s0
	s_cbranch_vccnz .LBB505_2282
.LBB505_2277:
	s_mov_b32 s0, 0
	s_branch .LBB505_1772
.LBB505_2278:
	s_or_saveexec_b32 s5, s5
                                        ; implicit-def: $sgpr6
	s_delay_alu instid0(SALU_CYCLE_1)
	s_xor_b32 exec_lo, exec_lo, s5
	s_cbranch_execz .LBB505_2231
.LBB505_2279:
	v_add_f32_e64 v2, 0x46000000, |v10|
	s_and_not1_b32 s4, s4, exec_lo
	s_mov_b32 s6, 0
	s_delay_alu instid0(VALU_DEP_1) | instskip(NEXT) | instid1(VALU_DEP_1)
	v_and_b32_e32 v2, 0xff, v2
	v_cmp_ne_u32_e32 vcc_lo, 0, v2
	s_and_b32 s7, vcc_lo, exec_lo
	s_delay_alu instid0(SALU_CYCLE_1)
	s_or_b32 s4, s4, s7
	s_or_b32 exec_lo, exec_lo, s5
	v_mov_b32_e32 v3, s6
	s_and_saveexec_b32 s5, s4
	s_cbranch_execnz .LBB505_2232
	s_branch .LBB505_2233
.LBB505_2280:
	s_trap 2
	s_sendmsg_rtn_b32 s0, sendmsg(MSG_RTN_GET_DOORBELL)
	s_mov_b32 ttmp2, m0
	s_waitcnt lgkmcnt(0)
	s_and_b32 s0, s0, 0x3ff
	s_delay_alu instid0(SALU_CYCLE_1) | instskip(NEXT) | instid1(SALU_CYCLE_1)
	s_bitset1_b32 s0, 10
	s_mov_b32 m0, s0
	s_sendmsg sendmsg(MSG_INTERRUPT)
	s_mov_b32 m0, ttmp2
.LBB505_2281:                           ; =>This Inner Loop Header: Depth=1
	s_sethalt 5
	s_branch .LBB505_2281
.LBB505_2282:
	s_cbranch_execnz .LBB505_2286
; %bb.2283:
	s_mov_b32 s1, 0
	s_or_b32 s10, s10, exec_lo
	s_branch .LBB505_2277
.LBB505_2284:
	s_or_saveexec_b32 s4, s4
                                        ; implicit-def: $sgpr5
	s_delay_alu instid0(SALU_CYCLE_1)
	s_xor_b32 exec_lo, exec_lo, s4
	s_cbranch_execz .LBB505_2243
.LBB505_2285:
	v_add_f32_e64 v2, 0x42800000, |v10|
	s_and_not1_b32 s3, s3, exec_lo
	s_mov_b32 s5, 0
	s_delay_alu instid0(VALU_DEP_1) | instskip(NEXT) | instid1(VALU_DEP_1)
	v_and_b32_e32 v2, 0xff, v2
	v_cmp_ne_u32_e32 vcc_lo, 0, v2
	s_and_b32 s6, vcc_lo, exec_lo
	s_delay_alu instid0(SALU_CYCLE_1)
	s_or_b32 s3, s3, s6
	s_or_b32 exec_lo, exec_lo, s4
	v_mov_b32_e32 v3, s5
	s_and_saveexec_b32 s4, s3
	s_cbranch_execnz .LBB505_2244
	s_branch .LBB505_2245
.LBB505_2286:
	s_trap 2
	s_sendmsg_rtn_b32 s0, sendmsg(MSG_RTN_GET_DOORBELL)
	s_mov_b32 ttmp2, m0
	s_waitcnt lgkmcnt(0)
	s_and_b32 s0, s0, 0x3ff
	s_delay_alu instid0(SALU_CYCLE_1) | instskip(NEXT) | instid1(SALU_CYCLE_1)
	s_bitset1_b32 s0, 10
	s_mov_b32 m0, s0
	s_sendmsg sendmsg(MSG_INTERRUPT)
	s_mov_b32 m0, ttmp2
.LBB505_2287:                           ; =>This Inner Loop Header: Depth=1
	s_sethalt 5
	s_branch .LBB505_2287
	.section	.rodata,"a",@progbits
	.p2align	6, 0x0
	.amdhsa_kernel _ZN2at6native32elementwise_kernel_manual_unrollILi128ELi4EZNS0_15gpu_kernel_implIZZZNS0_22nan_to_num_kernel_cudaERNS_18TensorIteratorBaseESt8optionalIdES6_S6_ENKUlvE_clEvENKUlvE0_clEvEUlN3c107complexIfEEE_EEvS4_RKT_EUlibE0_EEviT1_
		.amdhsa_group_segment_fixed_size 0
		.amdhsa_private_segment_fixed_size 0
		.amdhsa_kernarg_size 368
		.amdhsa_user_sgpr_count 15
		.amdhsa_user_sgpr_dispatch_ptr 0
		.amdhsa_user_sgpr_queue_ptr 0
		.amdhsa_user_sgpr_kernarg_segment_ptr 1
		.amdhsa_user_sgpr_dispatch_id 0
		.amdhsa_user_sgpr_private_segment_size 0
		.amdhsa_wavefront_size32 1
		.amdhsa_uses_dynamic_stack 0
		.amdhsa_enable_private_segment 0
		.amdhsa_system_sgpr_workgroup_id_x 1
		.amdhsa_system_sgpr_workgroup_id_y 0
		.amdhsa_system_sgpr_workgroup_id_z 0
		.amdhsa_system_sgpr_workgroup_info 0
		.amdhsa_system_vgpr_workitem_id 0
		.amdhsa_next_free_vgpr 19
		.amdhsa_next_free_sgpr 72
		.amdhsa_reserve_vcc 1
		.amdhsa_float_round_mode_32 0
		.amdhsa_float_round_mode_16_64 0
		.amdhsa_float_denorm_mode_32 3
		.amdhsa_float_denorm_mode_16_64 3
		.amdhsa_dx10_clamp 1
		.amdhsa_ieee_mode 1
		.amdhsa_fp16_overflow 0
		.amdhsa_workgroup_processor_mode 1
		.amdhsa_memory_ordered 1
		.amdhsa_forward_progress 0
		.amdhsa_shared_vgpr_count 0
		.amdhsa_exception_fp_ieee_invalid_op 0
		.amdhsa_exception_fp_denorm_src 0
		.amdhsa_exception_fp_ieee_div_zero 0
		.amdhsa_exception_fp_ieee_overflow 0
		.amdhsa_exception_fp_ieee_underflow 0
		.amdhsa_exception_fp_ieee_inexact 0
		.amdhsa_exception_int_div_zero 0
	.end_amdhsa_kernel
	.section	.text._ZN2at6native32elementwise_kernel_manual_unrollILi128ELi4EZNS0_15gpu_kernel_implIZZZNS0_22nan_to_num_kernel_cudaERNS_18TensorIteratorBaseESt8optionalIdES6_S6_ENKUlvE_clEvENKUlvE0_clEvEUlN3c107complexIfEEE_EEvS4_RKT_EUlibE0_EEviT1_,"axG",@progbits,_ZN2at6native32elementwise_kernel_manual_unrollILi128ELi4EZNS0_15gpu_kernel_implIZZZNS0_22nan_to_num_kernel_cudaERNS_18TensorIteratorBaseESt8optionalIdES6_S6_ENKUlvE_clEvENKUlvE0_clEvEUlN3c107complexIfEEE_EEvS4_RKT_EUlibE0_EEviT1_,comdat
.Lfunc_end505:
	.size	_ZN2at6native32elementwise_kernel_manual_unrollILi128ELi4EZNS0_15gpu_kernel_implIZZZNS0_22nan_to_num_kernel_cudaERNS_18TensorIteratorBaseESt8optionalIdES6_S6_ENKUlvE_clEvENKUlvE0_clEvEUlN3c107complexIfEEE_EEvS4_RKT_EUlibE0_EEviT1_, .Lfunc_end505-_ZN2at6native32elementwise_kernel_manual_unrollILi128ELi4EZNS0_15gpu_kernel_implIZZZNS0_22nan_to_num_kernel_cudaERNS_18TensorIteratorBaseESt8optionalIdES6_S6_ENKUlvE_clEvENKUlvE0_clEvEUlN3c107complexIfEEE_EEvS4_RKT_EUlibE0_EEviT1_
                                        ; -- End function
	.section	.AMDGPU.csdata,"",@progbits
; Kernel info:
; codeLenInByte = 44912
; NumSgprs: 74
; NumVgprs: 19
; ScratchSize: 0
; MemoryBound: 1
; FloatMode: 240
; IeeeMode: 1
; LDSByteSize: 0 bytes/workgroup (compile time only)
; SGPRBlocks: 9
; VGPRBlocks: 2
; NumSGPRsForWavesPerEU: 74
; NumVGPRsForWavesPerEU: 19
; Occupancy: 16
; WaveLimiterHint : 1
; COMPUTE_PGM_RSRC2:SCRATCH_EN: 0
; COMPUTE_PGM_RSRC2:USER_SGPR: 15
; COMPUTE_PGM_RSRC2:TRAP_HANDLER: 0
; COMPUTE_PGM_RSRC2:TGID_X_EN: 1
; COMPUTE_PGM_RSRC2:TGID_Y_EN: 0
; COMPUTE_PGM_RSRC2:TGID_Z_EN: 0
; COMPUTE_PGM_RSRC2:TIDIG_COMP_CNT: 0
	.section	.text._ZN2at6native29vectorized_elementwise_kernelILi16EZZZNS0_22nan_to_num_kernel_cudaERNS_18TensorIteratorBaseESt8optionalIdES5_S5_ENKUlvE0_clEvENKUlvE_clEvEUldE_St5arrayIPcLm2EEEEviT0_T1_,"axG",@progbits,_ZN2at6native29vectorized_elementwise_kernelILi16EZZZNS0_22nan_to_num_kernel_cudaERNS_18TensorIteratorBaseESt8optionalIdES5_S5_ENKUlvE0_clEvENKUlvE_clEvEUldE_St5arrayIPcLm2EEEEviT0_T1_,comdat
	.globl	_ZN2at6native29vectorized_elementwise_kernelILi16EZZZNS0_22nan_to_num_kernel_cudaERNS_18TensorIteratorBaseESt8optionalIdES5_S5_ENKUlvE0_clEvENKUlvE_clEvEUldE_St5arrayIPcLm2EEEEviT0_T1_ ; -- Begin function _ZN2at6native29vectorized_elementwise_kernelILi16EZZZNS0_22nan_to_num_kernel_cudaERNS_18TensorIteratorBaseESt8optionalIdES5_S5_ENKUlvE0_clEvENKUlvE_clEvEUldE_St5arrayIPcLm2EEEEviT0_T1_
	.p2align	8
	.type	_ZN2at6native29vectorized_elementwise_kernelILi16EZZZNS0_22nan_to_num_kernel_cudaERNS_18TensorIteratorBaseESt8optionalIdES5_S5_ENKUlvE0_clEvENKUlvE_clEvEUldE_St5arrayIPcLm2EEEEviT0_T1_,@function
_ZN2at6native29vectorized_elementwise_kernelILi16EZZZNS0_22nan_to_num_kernel_cudaERNS_18TensorIteratorBaseESt8optionalIdES5_S5_ENKUlvE0_clEvENKUlvE_clEvEUldE_St5arrayIPcLm2EEEEviT0_T1_: ; @_ZN2at6native29vectorized_elementwise_kernelILi16EZZZNS0_22nan_to_num_kernel_cudaERNS_18TensorIteratorBaseESt8optionalIdES5_S5_ENKUlvE0_clEvENKUlvE_clEvEUldE_St5arrayIPcLm2EEEEviT0_T1_
; %bb.0:
	s_clause 0x2
	s_load_b32 s3, s[0:1], 0x0
	s_load_b256 s[4:11], s[0:1], 0x8
	s_load_b64 s[12:13], s[0:1], 0x28
	s_lshl_b32 s2, s15, 10
	s_mov_b32 s0, -1
	s_waitcnt lgkmcnt(0)
	s_sub_i32 s14, s3, s2
	s_delay_alu instid0(SALU_CYCLE_1)
	s_cmpk_gt_i32 s14, 0x3ff
	s_cbranch_scc0 .LBB506_18
; %bb.1:
	s_ashr_i32 s3, s2, 31
	v_lshlrev_b32_e32 v13, 5, v0
	s_lshl_b64 s[0:1], s[2:3], 3
	v_dual_mov_b32 v1, s4 :: v_dual_mov_b32 v2, s5
	s_add_u32 s16, s12, s0
	s_addc_u32 s17, s13, s1
	s_clause 0x1
	global_load_b128 v[9:12], v13, s[16:17]
	global_load_b128 v[5:8], v13, s[16:17] offset:16
	s_mov_b32 s3, exec_lo
	s_waitcnt vmcnt(1)
	v_cmpx_o_f64_e32 v[9:10], v[9:10]
	s_cbranch_execz .LBB506_5
; %bb.2:
	v_dual_mov_b32 v1, s6 :: v_dual_mov_b32 v2, s7
	s_mov_b32 s15, exec_lo
	v_cmpx_neq_f64_e32 0x7ff00000, v[9:10]
; %bb.3:
	v_cmp_eq_f64_e32 vcc_lo, 0xfff00000, v[9:10]
	v_cndmask_b32_e64 v2, v10, s9, vcc_lo
	v_cndmask_b32_e64 v1, v9, s8, vcc_lo
; %bb.4:
	s_or_b32 exec_lo, exec_lo, s15
.LBB506_5:
	s_delay_alu instid0(SALU_CYCLE_1)
	s_or_b32 exec_lo, exec_lo, s3
	v_dual_mov_b32 v3, s4 :: v_dual_mov_b32 v4, s5
	s_mov_b32 s3, exec_lo
	v_cmpx_o_f64_e32 v[11:12], v[11:12]
	s_cbranch_execz .LBB506_9
; %bb.6:
	v_dual_mov_b32 v3, s6 :: v_dual_mov_b32 v4, s7
	s_mov_b32 s15, exec_lo
	v_cmpx_neq_f64_e32 0x7ff00000, v[11:12]
; %bb.7:
	v_cmp_eq_f64_e32 vcc_lo, 0xfff00000, v[11:12]
	v_cndmask_b32_e64 v4, v12, s9, vcc_lo
	v_cndmask_b32_e64 v3, v11, s8, vcc_lo
; %bb.8:
	s_or_b32 exec_lo, exec_lo, s15
.LBB506_9:
	s_delay_alu instid0(SALU_CYCLE_1)
	s_or_b32 exec_lo, exec_lo, s3
	v_dual_mov_b32 v10, s5 :: v_dual_mov_b32 v9, s4
	s_mov_b32 s3, exec_lo
	s_waitcnt vmcnt(0)
	v_cmpx_o_f64_e32 v[5:6], v[5:6]
	s_cbranch_execz .LBB506_13
; %bb.10:
	v_dual_mov_b32 v10, s7 :: v_dual_mov_b32 v9, s6
	s_mov_b32 s15, exec_lo
	v_cmpx_neq_f64_e32 0x7ff00000, v[5:6]
; %bb.11:
	v_cmp_eq_f64_e32 vcc_lo, 0xfff00000, v[5:6]
	v_cndmask_b32_e64 v10, v6, s9, vcc_lo
	v_cndmask_b32_e64 v9, v5, s8, vcc_lo
; %bb.12:
	s_or_b32 exec_lo, exec_lo, s15
.LBB506_13:
	s_delay_alu instid0(SALU_CYCLE_1)
	s_or_b32 exec_lo, exec_lo, s3
	v_dual_mov_b32 v12, s5 :: v_dual_mov_b32 v11, s4
	s_mov_b32 s3, exec_lo
	v_cmpx_o_f64_e32 v[7:8], v[7:8]
	s_cbranch_execz .LBB506_17
; %bb.14:
	v_dual_mov_b32 v12, s7 :: v_dual_mov_b32 v11, s6
	s_mov_b32 s15, exec_lo
	v_cmpx_neq_f64_e32 0x7ff00000, v[7:8]
; %bb.15:
	v_cmp_eq_f64_e32 vcc_lo, 0xfff00000, v[7:8]
	v_cndmask_b32_e64 v12, v8, s9, vcc_lo
	v_cndmask_b32_e64 v11, v7, s8, vcc_lo
; %bb.16:
	s_or_b32 exec_lo, exec_lo, s15
.LBB506_17:
	s_delay_alu instid0(SALU_CYCLE_1)
	s_or_b32 exec_lo, exec_lo, s3
	s_add_u32 s16, s10, s0
	s_addc_u32 s17, s11, s1
	s_mov_b32 s0, 0
	s_clause 0x1
	global_store_b128 v13, v[1:4], s[16:17]
	global_store_b128 v13, v[9:12], s[16:17] offset:16
.LBB506_18:
	s_and_b32 vcc_lo, exec_lo, s0
	s_cbranch_vccz .LBB506_51
; %bb.19:
	v_dual_mov_b32 v12, 0 :: v_dual_mov_b32 v1, v0
	v_mov_b32_e32 v13, 0
	v_cmp_gt_i32_e32 vcc_lo, s14, v0
	v_or_b32_e32 v9, s2, v0
	v_or_b32_e32 v18, 0x100, v0
	s_delay_alu instid0(VALU_DEP_4)
	v_dual_mov_b32 v17, v13 :: v_dual_mov_b32 v16, v12
	s_and_saveexec_b32 s1, vcc_lo
	s_cbranch_execz .LBB506_21
; %bb.20:
	v_mov_b32_e32 v10, 0
	s_delay_alu instid0(VALU_DEP_1) | instskip(NEXT) | instid1(VALU_DEP_1)
	v_lshlrev_b64 v[1:2], 3, v[9:10]
	v_add_co_u32 v1, s0, s12, v1
	s_delay_alu instid0(VALU_DEP_1)
	v_add_co_ci_u32_e64 v2, s0, s13, v2, s0
	global_load_b64 v[16:17], v[1:2], off
	v_or_b32_e32 v1, 0x100, v0
.LBB506_21:
	s_or_b32 exec_lo, exec_lo, s1
	s_delay_alu instid0(SALU_CYCLE_1) | instskip(NEXT) | instid1(VALU_DEP_1)
	s_mov_b32 s1, exec_lo
	v_cmpx_gt_i32_e64 s14, v1
	s_cbranch_execz .LBB506_23
; %bb.22:
	v_dual_mov_b32 v3, 0 :: v_dual_add_nc_u32 v2, s2, v1
	v_add_nc_u32_e32 v1, 0x100, v1
	s_delay_alu instid0(VALU_DEP_2) | instskip(NEXT) | instid1(VALU_DEP_1)
	v_lshlrev_b64 v[2:3], 3, v[2:3]
	v_add_co_u32 v2, s0, s12, v2
	s_delay_alu instid0(VALU_DEP_1)
	v_add_co_ci_u32_e64 v3, s0, s13, v3, s0
	global_load_b64 v[12:13], v[2:3], off
.LBB506_23:
	s_or_b32 exec_lo, exec_lo, s1
	v_mov_b32_e32 v10, 0
	v_mov_b32_e32 v11, 0
	s_mov_b32 s1, exec_lo
	s_delay_alu instid0(VALU_DEP_1)
	v_dual_mov_b32 v15, v11 :: v_dual_mov_b32 v14, v10
	v_cmpx_gt_i32_e64 s14, v1
	s_cbranch_execnz .LBB506_27
; %bb.24:
	s_or_b32 exec_lo, exec_lo, s1
	s_delay_alu instid0(SALU_CYCLE_1)
	s_mov_b32 s1, exec_lo
	v_cmpx_gt_i32_e64 s14, v1
	s_cbranch_execnz .LBB506_28
.LBB506_25:
	s_or_b32 exec_lo, exec_lo, s1
                                        ; implicit-def: $vgpr1_vgpr2_vgpr3_vgpr4_vgpr5_vgpr6_vgpr7_vgpr8
	s_and_saveexec_b32 s1, vcc_lo
	s_cbranch_execnz .LBB506_29
.LBB506_26:
	s_or_b32 exec_lo, exec_lo, s1
	s_delay_alu instid0(SALU_CYCLE_1)
	s_mov_b32 s1, exec_lo
	v_cmpx_gt_i32_e64 s14, v18
	s_cbranch_execnz .LBB506_34
	s_branch .LBB506_39
.LBB506_27:
	v_dual_mov_b32 v3, 0 :: v_dual_add_nc_u32 v2, s2, v1
	v_add_nc_u32_e32 v1, 0x100, v1
	s_delay_alu instid0(VALU_DEP_2) | instskip(NEXT) | instid1(VALU_DEP_1)
	v_lshlrev_b64 v[2:3], 3, v[2:3]
	v_add_co_u32 v2, s0, s12, v2
	s_delay_alu instid0(VALU_DEP_1) | instskip(SKIP_2) | instid1(SALU_CYCLE_1)
	v_add_co_ci_u32_e64 v3, s0, s13, v3, s0
	global_load_b64 v[14:15], v[2:3], off
	s_or_b32 exec_lo, exec_lo, s1
	s_mov_b32 s1, exec_lo
	v_cmpx_gt_i32_e64 s14, v1
	s_cbranch_execz .LBB506_25
.LBB506_28:
	v_dual_mov_b32 v2, 0 :: v_dual_add_nc_u32 v1, s2, v1
	s_delay_alu instid0(VALU_DEP_1) | instskip(NEXT) | instid1(VALU_DEP_1)
	v_lshlrev_b64 v[1:2], 3, v[1:2]
	v_add_co_u32 v1, s0, s12, v1
	s_delay_alu instid0(VALU_DEP_1)
	v_add_co_ci_u32_e64 v2, s0, s13, v2, s0
	global_load_b64 v[10:11], v[1:2], off
	s_or_b32 exec_lo, exec_lo, s1
                                        ; implicit-def: $vgpr1_vgpr2_vgpr3_vgpr4_vgpr5_vgpr6_vgpr7_vgpr8
	s_and_saveexec_b32 s1, vcc_lo
	s_cbranch_execz .LBB506_26
.LBB506_29:
	v_dual_mov_b32 v1, s4 :: v_dual_mov_b32 v2, s5
	s_mov_b32 s3, exec_lo
	s_waitcnt vmcnt(0)
	v_cmpx_o_f64_e32 v[16:17], v[16:17]
	s_cbranch_execz .LBB506_33
; %bb.30:
	v_dual_mov_b32 v1, s6 :: v_dual_mov_b32 v2, s7
	s_mov_b32 s12, exec_lo
	v_cmpx_neq_f64_e32 0x7ff00000, v[16:17]
; %bb.31:
	v_cmp_eq_f64_e64 s0, 0xfff00000, v[16:17]
	s_delay_alu instid0(VALU_DEP_1)
	v_cndmask_b32_e64 v2, v17, s9, s0
	v_cndmask_b32_e64 v1, v16, s8, s0
; %bb.32:
	s_or_b32 exec_lo, exec_lo, s12
.LBB506_33:
	s_delay_alu instid0(SALU_CYCLE_1) | instskip(NEXT) | instid1(SALU_CYCLE_1)
	s_or_b32 exec_lo, exec_lo, s3
	s_or_b32 exec_lo, exec_lo, s1
	s_delay_alu instid0(SALU_CYCLE_1)
	s_mov_b32 s1, exec_lo
	v_cmpx_gt_i32_e64 s14, v18
	s_cbranch_execz .LBB506_39
.LBB506_34:
	v_dual_mov_b32 v3, s4 :: v_dual_mov_b32 v4, s5
	s_mov_b32 s3, exec_lo
	s_waitcnt vmcnt(0)
	v_cmpx_o_f64_e32 v[12:13], v[12:13]
	s_cbranch_execz .LBB506_38
; %bb.35:
	v_dual_mov_b32 v3, s6 :: v_dual_mov_b32 v4, s7
	s_mov_b32 s12, exec_lo
	v_cmpx_neq_f64_e32 0x7ff00000, v[12:13]
; %bb.36:
	v_cmp_eq_f64_e64 s0, 0xfff00000, v[12:13]
	s_delay_alu instid0(VALU_DEP_1)
	v_cndmask_b32_e64 v4, v13, s9, s0
	v_cndmask_b32_e64 v3, v12, s8, s0
; %bb.37:
	s_or_b32 exec_lo, exec_lo, s12
.LBB506_38:
	s_delay_alu instid0(SALU_CYCLE_1)
	s_or_b32 exec_lo, exec_lo, s3
.LBB506_39:
	s_delay_alu instid0(SALU_CYCLE_1) | instskip(SKIP_3) | instid1(VALU_DEP_1)
	s_or_b32 exec_lo, exec_lo, s1
	s_waitcnt vmcnt(0)
	v_or_b32_e32 v12, 0x200, v0
	s_mov_b32 s1, exec_lo
	v_cmpx_gt_i32_e64 s14, v12
	s_cbranch_execz .LBB506_45
; %bb.40:
	v_dual_mov_b32 v6, s5 :: v_dual_mov_b32 v5, s4
	s_mov_b32 s3, exec_lo
	v_cmpx_o_f64_e32 v[14:15], v[14:15]
	s_cbranch_execz .LBB506_44
; %bb.41:
	v_dual_mov_b32 v5, s6 :: v_dual_mov_b32 v6, s7
	s_mov_b32 s12, exec_lo
	v_cmpx_neq_f64_e32 0x7ff00000, v[14:15]
; %bb.42:
	v_cmp_eq_f64_e64 s0, 0xfff00000, v[14:15]
	s_delay_alu instid0(VALU_DEP_1)
	v_cndmask_b32_e64 v6, v15, s9, s0
	v_cndmask_b32_e64 v5, v14, s8, s0
; %bb.43:
	s_or_b32 exec_lo, exec_lo, s12
.LBB506_44:
	s_delay_alu instid0(SALU_CYCLE_1)
	s_or_b32 exec_lo, exec_lo, s3
.LBB506_45:
	s_delay_alu instid0(SALU_CYCLE_1) | instskip(SKIP_2) | instid1(VALU_DEP_1)
	s_or_b32 exec_lo, exec_lo, s1
	v_or_b32_e32 v12, 0x300, v0
	s_mov_b32 s1, exec_lo
	v_cmpx_gt_i32_e64 s14, v12
	s_cbranch_execnz .LBB506_52
; %bb.46:
	s_or_b32 exec_lo, exec_lo, s1
	s_and_saveexec_b32 s0, vcc_lo
	s_delay_alu instid0(SALU_CYCLE_1)
	s_xor_b32 s0, exec_lo, s0
	s_cbranch_execnz .LBB506_57
.LBB506_47:
	s_or_b32 exec_lo, exec_lo, s0
	s_delay_alu instid0(SALU_CYCLE_1)
	s_mov_b32 s0, exec_lo
	v_cmpx_gt_i32_e64 s14, v0
	s_cbranch_execnz .LBB506_58
.LBB506_48:
	s_or_b32 exec_lo, exec_lo, s0
	s_delay_alu instid0(SALU_CYCLE_1)
	s_mov_b32 s0, exec_lo
	v_cmpx_gt_i32_e64 s14, v0
	s_cbranch_execnz .LBB506_59
.LBB506_49:
	s_or_b32 exec_lo, exec_lo, s0
	s_delay_alu instid0(SALU_CYCLE_1)
	s_mov_b32 s0, exec_lo
	v_cmpx_gt_i32_e64 s14, v0
	s_cbranch_execz .LBB506_51
.LBB506_50:
	v_dual_mov_b32 v1, 0 :: v_dual_add_nc_u32 v0, s2, v0
	s_delay_alu instid0(VALU_DEP_1) | instskip(NEXT) | instid1(VALU_DEP_1)
	v_lshlrev_b64 v[0:1], 3, v[0:1]
	v_add_co_u32 v0, vcc_lo, s10, v0
	s_delay_alu instid0(VALU_DEP_2)
	v_add_co_ci_u32_e32 v1, vcc_lo, s11, v1, vcc_lo
	global_store_b64 v[0:1], v[7:8], off
.LBB506_51:
	s_nop 0
	s_sendmsg sendmsg(MSG_DEALLOC_VGPRS)
	s_endpgm
.LBB506_52:
	v_dual_mov_b32 v8, s5 :: v_dual_mov_b32 v7, s4
	s_mov_b32 s3, exec_lo
	v_cmpx_o_f64_e32 v[10:11], v[10:11]
	s_cbranch_execz .LBB506_56
; %bb.53:
	v_dual_mov_b32 v8, s7 :: v_dual_mov_b32 v7, s6
	s_mov_b32 s4, exec_lo
	v_cmpx_neq_f64_e32 0x7ff00000, v[10:11]
; %bb.54:
	v_cmp_eq_f64_e64 s0, 0xfff00000, v[10:11]
	s_delay_alu instid0(VALU_DEP_1)
	v_cndmask_b32_e64 v8, v11, s9, s0
	v_cndmask_b32_e64 v7, v10, s8, s0
; %bb.55:
	s_or_b32 exec_lo, exec_lo, s4
.LBB506_56:
	s_delay_alu instid0(SALU_CYCLE_1) | instskip(NEXT) | instid1(SALU_CYCLE_1)
	s_or_b32 exec_lo, exec_lo, s3
	s_or_b32 exec_lo, exec_lo, s1
	s_and_saveexec_b32 s0, vcc_lo
	s_delay_alu instid0(SALU_CYCLE_1)
	s_xor_b32 s0, exec_lo, s0
	s_cbranch_execz .LBB506_47
.LBB506_57:
	v_mov_b32_e32 v10, 0
	v_mov_b32_e32 v0, v18
	s_delay_alu instid0(VALU_DEP_2) | instskip(NEXT) | instid1(VALU_DEP_1)
	v_lshlrev_b64 v[9:10], 3, v[9:10]
	v_add_co_u32 v9, vcc_lo, s10, v9
	s_delay_alu instid0(VALU_DEP_2) | instskip(SKIP_2) | instid1(SALU_CYCLE_1)
	v_add_co_ci_u32_e32 v10, vcc_lo, s11, v10, vcc_lo
	global_store_b64 v[9:10], v[1:2], off
	s_or_b32 exec_lo, exec_lo, s0
	s_mov_b32 s0, exec_lo
	v_cmpx_gt_i32_e64 s14, v0
	s_cbranch_execz .LBB506_48
.LBB506_58:
	v_dual_mov_b32 v2, 0 :: v_dual_add_nc_u32 v1, s2, v0
	v_add_nc_u32_e32 v0, 0x100, v0
	s_delay_alu instid0(VALU_DEP_2) | instskip(NEXT) | instid1(VALU_DEP_1)
	v_lshlrev_b64 v[1:2], 3, v[1:2]
	v_add_co_u32 v1, vcc_lo, s10, v1
	s_delay_alu instid0(VALU_DEP_2) | instskip(SKIP_2) | instid1(SALU_CYCLE_1)
	v_add_co_ci_u32_e32 v2, vcc_lo, s11, v2, vcc_lo
	global_store_b64 v[1:2], v[3:4], off
	s_or_b32 exec_lo, exec_lo, s0
	s_mov_b32 s0, exec_lo
	v_cmpx_gt_i32_e64 s14, v0
	s_cbranch_execz .LBB506_49
.LBB506_59:
	v_dual_mov_b32 v2, 0 :: v_dual_add_nc_u32 v1, s2, v0
	v_add_nc_u32_e32 v0, 0x100, v0
	s_delay_alu instid0(VALU_DEP_2) | instskip(NEXT) | instid1(VALU_DEP_1)
	v_lshlrev_b64 v[1:2], 3, v[1:2]
	v_add_co_u32 v1, vcc_lo, s10, v1
	s_delay_alu instid0(VALU_DEP_2) | instskip(SKIP_2) | instid1(SALU_CYCLE_1)
	v_add_co_ci_u32_e32 v2, vcc_lo, s11, v2, vcc_lo
	global_store_b64 v[1:2], v[5:6], off
	s_or_b32 exec_lo, exec_lo, s0
	s_mov_b32 s0, exec_lo
	v_cmpx_gt_i32_e64 s14, v0
	s_cbranch_execnz .LBB506_50
	s_branch .LBB506_51
	.section	.rodata,"a",@progbits
	.p2align	6, 0x0
	.amdhsa_kernel _ZN2at6native29vectorized_elementwise_kernelILi16EZZZNS0_22nan_to_num_kernel_cudaERNS_18TensorIteratorBaseESt8optionalIdES5_S5_ENKUlvE0_clEvENKUlvE_clEvEUldE_St5arrayIPcLm2EEEEviT0_T1_
		.amdhsa_group_segment_fixed_size 0
		.amdhsa_private_segment_fixed_size 0
		.amdhsa_kernarg_size 48
		.amdhsa_user_sgpr_count 15
		.amdhsa_user_sgpr_dispatch_ptr 0
		.amdhsa_user_sgpr_queue_ptr 0
		.amdhsa_user_sgpr_kernarg_segment_ptr 1
		.amdhsa_user_sgpr_dispatch_id 0
		.amdhsa_user_sgpr_private_segment_size 0
		.amdhsa_wavefront_size32 1
		.amdhsa_uses_dynamic_stack 0
		.amdhsa_enable_private_segment 0
		.amdhsa_system_sgpr_workgroup_id_x 1
		.amdhsa_system_sgpr_workgroup_id_y 0
		.amdhsa_system_sgpr_workgroup_id_z 0
		.amdhsa_system_sgpr_workgroup_info 0
		.amdhsa_system_vgpr_workitem_id 0
		.amdhsa_next_free_vgpr 19
		.amdhsa_next_free_sgpr 18
		.amdhsa_reserve_vcc 1
		.amdhsa_float_round_mode_32 0
		.amdhsa_float_round_mode_16_64 0
		.amdhsa_float_denorm_mode_32 3
		.amdhsa_float_denorm_mode_16_64 3
		.amdhsa_dx10_clamp 1
		.amdhsa_ieee_mode 1
		.amdhsa_fp16_overflow 0
		.amdhsa_workgroup_processor_mode 1
		.amdhsa_memory_ordered 1
		.amdhsa_forward_progress 0
		.amdhsa_shared_vgpr_count 0
		.amdhsa_exception_fp_ieee_invalid_op 0
		.amdhsa_exception_fp_denorm_src 0
		.amdhsa_exception_fp_ieee_div_zero 0
		.amdhsa_exception_fp_ieee_overflow 0
		.amdhsa_exception_fp_ieee_underflow 0
		.amdhsa_exception_fp_ieee_inexact 0
		.amdhsa_exception_int_div_zero 0
	.end_amdhsa_kernel
	.section	.text._ZN2at6native29vectorized_elementwise_kernelILi16EZZZNS0_22nan_to_num_kernel_cudaERNS_18TensorIteratorBaseESt8optionalIdES5_S5_ENKUlvE0_clEvENKUlvE_clEvEUldE_St5arrayIPcLm2EEEEviT0_T1_,"axG",@progbits,_ZN2at6native29vectorized_elementwise_kernelILi16EZZZNS0_22nan_to_num_kernel_cudaERNS_18TensorIteratorBaseESt8optionalIdES5_S5_ENKUlvE0_clEvENKUlvE_clEvEUldE_St5arrayIPcLm2EEEEviT0_T1_,comdat
.Lfunc_end506:
	.size	_ZN2at6native29vectorized_elementwise_kernelILi16EZZZNS0_22nan_to_num_kernel_cudaERNS_18TensorIteratorBaseESt8optionalIdES5_S5_ENKUlvE0_clEvENKUlvE_clEvEUldE_St5arrayIPcLm2EEEEviT0_T1_, .Lfunc_end506-_ZN2at6native29vectorized_elementwise_kernelILi16EZZZNS0_22nan_to_num_kernel_cudaERNS_18TensorIteratorBaseESt8optionalIdES5_S5_ENKUlvE0_clEvENKUlvE_clEvEUldE_St5arrayIPcLm2EEEEviT0_T1_
                                        ; -- End function
	.section	.AMDGPU.csdata,"",@progbits
; Kernel info:
; codeLenInByte = 1684
; NumSgprs: 20
; NumVgprs: 19
; ScratchSize: 0
; MemoryBound: 1
; FloatMode: 240
; IeeeMode: 1
; LDSByteSize: 0 bytes/workgroup (compile time only)
; SGPRBlocks: 2
; VGPRBlocks: 2
; NumSGPRsForWavesPerEU: 20
; NumVGPRsForWavesPerEU: 19
; Occupancy: 16
; WaveLimiterHint : 0
; COMPUTE_PGM_RSRC2:SCRATCH_EN: 0
; COMPUTE_PGM_RSRC2:USER_SGPR: 15
; COMPUTE_PGM_RSRC2:TRAP_HANDLER: 0
; COMPUTE_PGM_RSRC2:TGID_X_EN: 1
; COMPUTE_PGM_RSRC2:TGID_Y_EN: 0
; COMPUTE_PGM_RSRC2:TGID_Z_EN: 0
; COMPUTE_PGM_RSRC2:TIDIG_COMP_CNT: 0
	.section	.text._ZN2at6native29vectorized_elementwise_kernelILi8EZZZNS0_22nan_to_num_kernel_cudaERNS_18TensorIteratorBaseESt8optionalIdES5_S5_ENKUlvE0_clEvENKUlvE_clEvEUldE_St5arrayIPcLm2EEEEviT0_T1_,"axG",@progbits,_ZN2at6native29vectorized_elementwise_kernelILi8EZZZNS0_22nan_to_num_kernel_cudaERNS_18TensorIteratorBaseESt8optionalIdES5_S5_ENKUlvE0_clEvENKUlvE_clEvEUldE_St5arrayIPcLm2EEEEviT0_T1_,comdat
	.globl	_ZN2at6native29vectorized_elementwise_kernelILi8EZZZNS0_22nan_to_num_kernel_cudaERNS_18TensorIteratorBaseESt8optionalIdES5_S5_ENKUlvE0_clEvENKUlvE_clEvEUldE_St5arrayIPcLm2EEEEviT0_T1_ ; -- Begin function _ZN2at6native29vectorized_elementwise_kernelILi8EZZZNS0_22nan_to_num_kernel_cudaERNS_18TensorIteratorBaseESt8optionalIdES5_S5_ENKUlvE0_clEvENKUlvE_clEvEUldE_St5arrayIPcLm2EEEEviT0_T1_
	.p2align	8
	.type	_ZN2at6native29vectorized_elementwise_kernelILi8EZZZNS0_22nan_to_num_kernel_cudaERNS_18TensorIteratorBaseESt8optionalIdES5_S5_ENKUlvE0_clEvENKUlvE_clEvEUldE_St5arrayIPcLm2EEEEviT0_T1_,@function
_ZN2at6native29vectorized_elementwise_kernelILi8EZZZNS0_22nan_to_num_kernel_cudaERNS_18TensorIteratorBaseESt8optionalIdES5_S5_ENKUlvE0_clEvENKUlvE_clEvEUldE_St5arrayIPcLm2EEEEviT0_T1_: ; @_ZN2at6native29vectorized_elementwise_kernelILi8EZZZNS0_22nan_to_num_kernel_cudaERNS_18TensorIteratorBaseESt8optionalIdES5_S5_ENKUlvE0_clEvENKUlvE_clEvEUldE_St5arrayIPcLm2EEEEviT0_T1_
; %bb.0:
	s_clause 0x2
	s_load_b32 s3, s[0:1], 0x0
	s_load_b256 s[4:11], s[0:1], 0x8
	s_load_b64 s[12:13], s[0:1], 0x28
	s_lshl_b32 s2, s15, 10
	s_mov_b32 s0, -1
	s_waitcnt lgkmcnt(0)
	s_sub_i32 s14, s3, s2
	s_delay_alu instid0(SALU_CYCLE_1)
	s_cmpk_gt_i32 s14, 0x3ff
	s_cbranch_scc0 .LBB507_18
; %bb.1:
	s_ashr_i32 s3, s2, 31
	v_lshlrev_b32_e32 v13, 5, v0
	s_lshl_b64 s[0:1], s[2:3], 3
	v_dual_mov_b32 v1, s4 :: v_dual_mov_b32 v2, s5
	s_add_u32 s16, s12, s0
	s_addc_u32 s17, s13, s1
	s_clause 0x1
	global_load_b128 v[9:12], v13, s[16:17]
	global_load_b128 v[5:8], v13, s[16:17] offset:16
	s_mov_b32 s3, exec_lo
	s_waitcnt vmcnt(1)
	v_cmpx_o_f64_e32 v[9:10], v[9:10]
	s_cbranch_execz .LBB507_5
; %bb.2:
	v_dual_mov_b32 v1, s6 :: v_dual_mov_b32 v2, s7
	s_mov_b32 s15, exec_lo
	v_cmpx_neq_f64_e32 0x7ff00000, v[9:10]
; %bb.3:
	v_cmp_eq_f64_e32 vcc_lo, 0xfff00000, v[9:10]
	v_cndmask_b32_e64 v2, v10, s9, vcc_lo
	v_cndmask_b32_e64 v1, v9, s8, vcc_lo
; %bb.4:
	s_or_b32 exec_lo, exec_lo, s15
.LBB507_5:
	s_delay_alu instid0(SALU_CYCLE_1)
	s_or_b32 exec_lo, exec_lo, s3
	v_dual_mov_b32 v3, s4 :: v_dual_mov_b32 v4, s5
	s_mov_b32 s3, exec_lo
	v_cmpx_o_f64_e32 v[11:12], v[11:12]
	s_cbranch_execz .LBB507_9
; %bb.6:
	v_dual_mov_b32 v3, s6 :: v_dual_mov_b32 v4, s7
	s_mov_b32 s15, exec_lo
	v_cmpx_neq_f64_e32 0x7ff00000, v[11:12]
; %bb.7:
	v_cmp_eq_f64_e32 vcc_lo, 0xfff00000, v[11:12]
	v_cndmask_b32_e64 v4, v12, s9, vcc_lo
	v_cndmask_b32_e64 v3, v11, s8, vcc_lo
; %bb.8:
	s_or_b32 exec_lo, exec_lo, s15
.LBB507_9:
	s_delay_alu instid0(SALU_CYCLE_1)
	s_or_b32 exec_lo, exec_lo, s3
	v_dual_mov_b32 v10, s5 :: v_dual_mov_b32 v9, s4
	s_mov_b32 s3, exec_lo
	s_waitcnt vmcnt(0)
	v_cmpx_o_f64_e32 v[5:6], v[5:6]
	s_cbranch_execz .LBB507_13
; %bb.10:
	v_dual_mov_b32 v10, s7 :: v_dual_mov_b32 v9, s6
	s_mov_b32 s15, exec_lo
	v_cmpx_neq_f64_e32 0x7ff00000, v[5:6]
; %bb.11:
	v_cmp_eq_f64_e32 vcc_lo, 0xfff00000, v[5:6]
	v_cndmask_b32_e64 v10, v6, s9, vcc_lo
	v_cndmask_b32_e64 v9, v5, s8, vcc_lo
; %bb.12:
	s_or_b32 exec_lo, exec_lo, s15
.LBB507_13:
	s_delay_alu instid0(SALU_CYCLE_1)
	s_or_b32 exec_lo, exec_lo, s3
	v_dual_mov_b32 v12, s5 :: v_dual_mov_b32 v11, s4
	s_mov_b32 s3, exec_lo
	v_cmpx_o_f64_e32 v[7:8], v[7:8]
	s_cbranch_execz .LBB507_17
; %bb.14:
	v_dual_mov_b32 v12, s7 :: v_dual_mov_b32 v11, s6
	s_mov_b32 s15, exec_lo
	v_cmpx_neq_f64_e32 0x7ff00000, v[7:8]
; %bb.15:
	v_cmp_eq_f64_e32 vcc_lo, 0xfff00000, v[7:8]
	v_cndmask_b32_e64 v12, v8, s9, vcc_lo
	v_cndmask_b32_e64 v11, v7, s8, vcc_lo
; %bb.16:
	s_or_b32 exec_lo, exec_lo, s15
.LBB507_17:
	s_delay_alu instid0(SALU_CYCLE_1)
	s_or_b32 exec_lo, exec_lo, s3
	s_add_u32 s16, s10, s0
	s_addc_u32 s17, s11, s1
	s_mov_b32 s0, 0
	s_clause 0x1
	global_store_b128 v13, v[1:4], s[16:17]
	global_store_b128 v13, v[9:12], s[16:17] offset:16
.LBB507_18:
	s_and_b32 vcc_lo, exec_lo, s0
	s_cbranch_vccz .LBB507_51
; %bb.19:
	v_dual_mov_b32 v12, 0 :: v_dual_mov_b32 v1, v0
	v_mov_b32_e32 v13, 0
	v_cmp_gt_i32_e32 vcc_lo, s14, v0
	v_or_b32_e32 v9, s2, v0
	v_or_b32_e32 v18, 0x100, v0
	s_delay_alu instid0(VALU_DEP_4)
	v_dual_mov_b32 v17, v13 :: v_dual_mov_b32 v16, v12
	s_and_saveexec_b32 s1, vcc_lo
	s_cbranch_execz .LBB507_21
; %bb.20:
	v_mov_b32_e32 v10, 0
	s_delay_alu instid0(VALU_DEP_1) | instskip(NEXT) | instid1(VALU_DEP_1)
	v_lshlrev_b64 v[1:2], 3, v[9:10]
	v_add_co_u32 v1, s0, s12, v1
	s_delay_alu instid0(VALU_DEP_1)
	v_add_co_ci_u32_e64 v2, s0, s13, v2, s0
	global_load_b64 v[16:17], v[1:2], off
	v_or_b32_e32 v1, 0x100, v0
.LBB507_21:
	s_or_b32 exec_lo, exec_lo, s1
	s_delay_alu instid0(SALU_CYCLE_1) | instskip(NEXT) | instid1(VALU_DEP_1)
	s_mov_b32 s1, exec_lo
	v_cmpx_gt_i32_e64 s14, v1
	s_cbranch_execz .LBB507_23
; %bb.22:
	v_dual_mov_b32 v3, 0 :: v_dual_add_nc_u32 v2, s2, v1
	v_add_nc_u32_e32 v1, 0x100, v1
	s_delay_alu instid0(VALU_DEP_2) | instskip(NEXT) | instid1(VALU_DEP_1)
	v_lshlrev_b64 v[2:3], 3, v[2:3]
	v_add_co_u32 v2, s0, s12, v2
	s_delay_alu instid0(VALU_DEP_1)
	v_add_co_ci_u32_e64 v3, s0, s13, v3, s0
	global_load_b64 v[12:13], v[2:3], off
.LBB507_23:
	s_or_b32 exec_lo, exec_lo, s1
	v_mov_b32_e32 v10, 0
	v_mov_b32_e32 v11, 0
	s_mov_b32 s1, exec_lo
	s_delay_alu instid0(VALU_DEP_1)
	v_dual_mov_b32 v15, v11 :: v_dual_mov_b32 v14, v10
	v_cmpx_gt_i32_e64 s14, v1
	s_cbranch_execnz .LBB507_27
; %bb.24:
	s_or_b32 exec_lo, exec_lo, s1
	s_delay_alu instid0(SALU_CYCLE_1)
	s_mov_b32 s1, exec_lo
	v_cmpx_gt_i32_e64 s14, v1
	s_cbranch_execnz .LBB507_28
.LBB507_25:
	s_or_b32 exec_lo, exec_lo, s1
                                        ; implicit-def: $vgpr1_vgpr2_vgpr3_vgpr4_vgpr5_vgpr6_vgpr7_vgpr8
	s_and_saveexec_b32 s1, vcc_lo
	s_cbranch_execnz .LBB507_29
.LBB507_26:
	s_or_b32 exec_lo, exec_lo, s1
	s_delay_alu instid0(SALU_CYCLE_1)
	s_mov_b32 s1, exec_lo
	v_cmpx_gt_i32_e64 s14, v18
	s_cbranch_execnz .LBB507_34
	s_branch .LBB507_39
.LBB507_27:
	v_dual_mov_b32 v3, 0 :: v_dual_add_nc_u32 v2, s2, v1
	v_add_nc_u32_e32 v1, 0x100, v1
	s_delay_alu instid0(VALU_DEP_2) | instskip(NEXT) | instid1(VALU_DEP_1)
	v_lshlrev_b64 v[2:3], 3, v[2:3]
	v_add_co_u32 v2, s0, s12, v2
	s_delay_alu instid0(VALU_DEP_1) | instskip(SKIP_2) | instid1(SALU_CYCLE_1)
	v_add_co_ci_u32_e64 v3, s0, s13, v3, s0
	global_load_b64 v[14:15], v[2:3], off
	s_or_b32 exec_lo, exec_lo, s1
	s_mov_b32 s1, exec_lo
	v_cmpx_gt_i32_e64 s14, v1
	s_cbranch_execz .LBB507_25
.LBB507_28:
	v_dual_mov_b32 v2, 0 :: v_dual_add_nc_u32 v1, s2, v1
	s_delay_alu instid0(VALU_DEP_1) | instskip(NEXT) | instid1(VALU_DEP_1)
	v_lshlrev_b64 v[1:2], 3, v[1:2]
	v_add_co_u32 v1, s0, s12, v1
	s_delay_alu instid0(VALU_DEP_1)
	v_add_co_ci_u32_e64 v2, s0, s13, v2, s0
	global_load_b64 v[10:11], v[1:2], off
	s_or_b32 exec_lo, exec_lo, s1
                                        ; implicit-def: $vgpr1_vgpr2_vgpr3_vgpr4_vgpr5_vgpr6_vgpr7_vgpr8
	s_and_saveexec_b32 s1, vcc_lo
	s_cbranch_execz .LBB507_26
.LBB507_29:
	v_dual_mov_b32 v1, s4 :: v_dual_mov_b32 v2, s5
	s_mov_b32 s3, exec_lo
	s_waitcnt vmcnt(0)
	v_cmpx_o_f64_e32 v[16:17], v[16:17]
	s_cbranch_execz .LBB507_33
; %bb.30:
	v_dual_mov_b32 v1, s6 :: v_dual_mov_b32 v2, s7
	s_mov_b32 s12, exec_lo
	v_cmpx_neq_f64_e32 0x7ff00000, v[16:17]
; %bb.31:
	v_cmp_eq_f64_e64 s0, 0xfff00000, v[16:17]
	s_delay_alu instid0(VALU_DEP_1)
	v_cndmask_b32_e64 v2, v17, s9, s0
	v_cndmask_b32_e64 v1, v16, s8, s0
; %bb.32:
	s_or_b32 exec_lo, exec_lo, s12
.LBB507_33:
	s_delay_alu instid0(SALU_CYCLE_1) | instskip(NEXT) | instid1(SALU_CYCLE_1)
	s_or_b32 exec_lo, exec_lo, s3
	s_or_b32 exec_lo, exec_lo, s1
	s_delay_alu instid0(SALU_CYCLE_1)
	s_mov_b32 s1, exec_lo
	v_cmpx_gt_i32_e64 s14, v18
	s_cbranch_execz .LBB507_39
.LBB507_34:
	v_dual_mov_b32 v3, s4 :: v_dual_mov_b32 v4, s5
	s_mov_b32 s3, exec_lo
	s_waitcnt vmcnt(0)
	v_cmpx_o_f64_e32 v[12:13], v[12:13]
	s_cbranch_execz .LBB507_38
; %bb.35:
	v_dual_mov_b32 v3, s6 :: v_dual_mov_b32 v4, s7
	s_mov_b32 s12, exec_lo
	v_cmpx_neq_f64_e32 0x7ff00000, v[12:13]
; %bb.36:
	v_cmp_eq_f64_e64 s0, 0xfff00000, v[12:13]
	s_delay_alu instid0(VALU_DEP_1)
	v_cndmask_b32_e64 v4, v13, s9, s0
	v_cndmask_b32_e64 v3, v12, s8, s0
; %bb.37:
	s_or_b32 exec_lo, exec_lo, s12
.LBB507_38:
	s_delay_alu instid0(SALU_CYCLE_1)
	s_or_b32 exec_lo, exec_lo, s3
.LBB507_39:
	s_delay_alu instid0(SALU_CYCLE_1) | instskip(SKIP_3) | instid1(VALU_DEP_1)
	s_or_b32 exec_lo, exec_lo, s1
	s_waitcnt vmcnt(0)
	v_or_b32_e32 v12, 0x200, v0
	s_mov_b32 s1, exec_lo
	v_cmpx_gt_i32_e64 s14, v12
	s_cbranch_execz .LBB507_45
; %bb.40:
	v_dual_mov_b32 v6, s5 :: v_dual_mov_b32 v5, s4
	s_mov_b32 s3, exec_lo
	v_cmpx_o_f64_e32 v[14:15], v[14:15]
	s_cbranch_execz .LBB507_44
; %bb.41:
	v_dual_mov_b32 v5, s6 :: v_dual_mov_b32 v6, s7
	s_mov_b32 s12, exec_lo
	v_cmpx_neq_f64_e32 0x7ff00000, v[14:15]
; %bb.42:
	v_cmp_eq_f64_e64 s0, 0xfff00000, v[14:15]
	s_delay_alu instid0(VALU_DEP_1)
	v_cndmask_b32_e64 v6, v15, s9, s0
	v_cndmask_b32_e64 v5, v14, s8, s0
; %bb.43:
	s_or_b32 exec_lo, exec_lo, s12
.LBB507_44:
	s_delay_alu instid0(SALU_CYCLE_1)
	s_or_b32 exec_lo, exec_lo, s3
.LBB507_45:
	s_delay_alu instid0(SALU_CYCLE_1) | instskip(SKIP_2) | instid1(VALU_DEP_1)
	s_or_b32 exec_lo, exec_lo, s1
	v_or_b32_e32 v12, 0x300, v0
	s_mov_b32 s1, exec_lo
	v_cmpx_gt_i32_e64 s14, v12
	s_cbranch_execnz .LBB507_52
; %bb.46:
	s_or_b32 exec_lo, exec_lo, s1
	s_and_saveexec_b32 s0, vcc_lo
	s_delay_alu instid0(SALU_CYCLE_1)
	s_xor_b32 s0, exec_lo, s0
	s_cbranch_execnz .LBB507_57
.LBB507_47:
	s_or_b32 exec_lo, exec_lo, s0
	s_delay_alu instid0(SALU_CYCLE_1)
	s_mov_b32 s0, exec_lo
	v_cmpx_gt_i32_e64 s14, v0
	s_cbranch_execnz .LBB507_58
.LBB507_48:
	s_or_b32 exec_lo, exec_lo, s0
	s_delay_alu instid0(SALU_CYCLE_1)
	s_mov_b32 s0, exec_lo
	v_cmpx_gt_i32_e64 s14, v0
	s_cbranch_execnz .LBB507_59
.LBB507_49:
	s_or_b32 exec_lo, exec_lo, s0
	s_delay_alu instid0(SALU_CYCLE_1)
	s_mov_b32 s0, exec_lo
	v_cmpx_gt_i32_e64 s14, v0
	s_cbranch_execz .LBB507_51
.LBB507_50:
	v_dual_mov_b32 v1, 0 :: v_dual_add_nc_u32 v0, s2, v0
	s_delay_alu instid0(VALU_DEP_1) | instskip(NEXT) | instid1(VALU_DEP_1)
	v_lshlrev_b64 v[0:1], 3, v[0:1]
	v_add_co_u32 v0, vcc_lo, s10, v0
	s_delay_alu instid0(VALU_DEP_2)
	v_add_co_ci_u32_e32 v1, vcc_lo, s11, v1, vcc_lo
	global_store_b64 v[0:1], v[7:8], off
.LBB507_51:
	s_nop 0
	s_sendmsg sendmsg(MSG_DEALLOC_VGPRS)
	s_endpgm
.LBB507_52:
	v_dual_mov_b32 v8, s5 :: v_dual_mov_b32 v7, s4
	s_mov_b32 s3, exec_lo
	v_cmpx_o_f64_e32 v[10:11], v[10:11]
	s_cbranch_execz .LBB507_56
; %bb.53:
	v_dual_mov_b32 v8, s7 :: v_dual_mov_b32 v7, s6
	s_mov_b32 s4, exec_lo
	v_cmpx_neq_f64_e32 0x7ff00000, v[10:11]
; %bb.54:
	v_cmp_eq_f64_e64 s0, 0xfff00000, v[10:11]
	s_delay_alu instid0(VALU_DEP_1)
	v_cndmask_b32_e64 v8, v11, s9, s0
	v_cndmask_b32_e64 v7, v10, s8, s0
; %bb.55:
	s_or_b32 exec_lo, exec_lo, s4
.LBB507_56:
	s_delay_alu instid0(SALU_CYCLE_1) | instskip(NEXT) | instid1(SALU_CYCLE_1)
	s_or_b32 exec_lo, exec_lo, s3
	s_or_b32 exec_lo, exec_lo, s1
	s_and_saveexec_b32 s0, vcc_lo
	s_delay_alu instid0(SALU_CYCLE_1)
	s_xor_b32 s0, exec_lo, s0
	s_cbranch_execz .LBB507_47
.LBB507_57:
	v_mov_b32_e32 v10, 0
	v_mov_b32_e32 v0, v18
	s_delay_alu instid0(VALU_DEP_2) | instskip(NEXT) | instid1(VALU_DEP_1)
	v_lshlrev_b64 v[9:10], 3, v[9:10]
	v_add_co_u32 v9, vcc_lo, s10, v9
	s_delay_alu instid0(VALU_DEP_2) | instskip(SKIP_2) | instid1(SALU_CYCLE_1)
	v_add_co_ci_u32_e32 v10, vcc_lo, s11, v10, vcc_lo
	global_store_b64 v[9:10], v[1:2], off
	s_or_b32 exec_lo, exec_lo, s0
	s_mov_b32 s0, exec_lo
	v_cmpx_gt_i32_e64 s14, v0
	s_cbranch_execz .LBB507_48
.LBB507_58:
	v_dual_mov_b32 v2, 0 :: v_dual_add_nc_u32 v1, s2, v0
	v_add_nc_u32_e32 v0, 0x100, v0
	s_delay_alu instid0(VALU_DEP_2) | instskip(NEXT) | instid1(VALU_DEP_1)
	v_lshlrev_b64 v[1:2], 3, v[1:2]
	v_add_co_u32 v1, vcc_lo, s10, v1
	s_delay_alu instid0(VALU_DEP_2) | instskip(SKIP_2) | instid1(SALU_CYCLE_1)
	v_add_co_ci_u32_e32 v2, vcc_lo, s11, v2, vcc_lo
	global_store_b64 v[1:2], v[3:4], off
	s_or_b32 exec_lo, exec_lo, s0
	s_mov_b32 s0, exec_lo
	v_cmpx_gt_i32_e64 s14, v0
	s_cbranch_execz .LBB507_49
.LBB507_59:
	v_dual_mov_b32 v2, 0 :: v_dual_add_nc_u32 v1, s2, v0
	v_add_nc_u32_e32 v0, 0x100, v0
	s_delay_alu instid0(VALU_DEP_2) | instskip(NEXT) | instid1(VALU_DEP_1)
	v_lshlrev_b64 v[1:2], 3, v[1:2]
	v_add_co_u32 v1, vcc_lo, s10, v1
	s_delay_alu instid0(VALU_DEP_2) | instskip(SKIP_2) | instid1(SALU_CYCLE_1)
	v_add_co_ci_u32_e32 v2, vcc_lo, s11, v2, vcc_lo
	global_store_b64 v[1:2], v[5:6], off
	s_or_b32 exec_lo, exec_lo, s0
	s_mov_b32 s0, exec_lo
	v_cmpx_gt_i32_e64 s14, v0
	s_cbranch_execnz .LBB507_50
	s_branch .LBB507_51
	.section	.rodata,"a",@progbits
	.p2align	6, 0x0
	.amdhsa_kernel _ZN2at6native29vectorized_elementwise_kernelILi8EZZZNS0_22nan_to_num_kernel_cudaERNS_18TensorIteratorBaseESt8optionalIdES5_S5_ENKUlvE0_clEvENKUlvE_clEvEUldE_St5arrayIPcLm2EEEEviT0_T1_
		.amdhsa_group_segment_fixed_size 0
		.amdhsa_private_segment_fixed_size 0
		.amdhsa_kernarg_size 48
		.amdhsa_user_sgpr_count 15
		.amdhsa_user_sgpr_dispatch_ptr 0
		.amdhsa_user_sgpr_queue_ptr 0
		.amdhsa_user_sgpr_kernarg_segment_ptr 1
		.amdhsa_user_sgpr_dispatch_id 0
		.amdhsa_user_sgpr_private_segment_size 0
		.amdhsa_wavefront_size32 1
		.amdhsa_uses_dynamic_stack 0
		.amdhsa_enable_private_segment 0
		.amdhsa_system_sgpr_workgroup_id_x 1
		.amdhsa_system_sgpr_workgroup_id_y 0
		.amdhsa_system_sgpr_workgroup_id_z 0
		.amdhsa_system_sgpr_workgroup_info 0
		.amdhsa_system_vgpr_workitem_id 0
		.amdhsa_next_free_vgpr 19
		.amdhsa_next_free_sgpr 18
		.amdhsa_reserve_vcc 1
		.amdhsa_float_round_mode_32 0
		.amdhsa_float_round_mode_16_64 0
		.amdhsa_float_denorm_mode_32 3
		.amdhsa_float_denorm_mode_16_64 3
		.amdhsa_dx10_clamp 1
		.amdhsa_ieee_mode 1
		.amdhsa_fp16_overflow 0
		.amdhsa_workgroup_processor_mode 1
		.amdhsa_memory_ordered 1
		.amdhsa_forward_progress 0
		.amdhsa_shared_vgpr_count 0
		.amdhsa_exception_fp_ieee_invalid_op 0
		.amdhsa_exception_fp_denorm_src 0
		.amdhsa_exception_fp_ieee_div_zero 0
		.amdhsa_exception_fp_ieee_overflow 0
		.amdhsa_exception_fp_ieee_underflow 0
		.amdhsa_exception_fp_ieee_inexact 0
		.amdhsa_exception_int_div_zero 0
	.end_amdhsa_kernel
	.section	.text._ZN2at6native29vectorized_elementwise_kernelILi8EZZZNS0_22nan_to_num_kernel_cudaERNS_18TensorIteratorBaseESt8optionalIdES5_S5_ENKUlvE0_clEvENKUlvE_clEvEUldE_St5arrayIPcLm2EEEEviT0_T1_,"axG",@progbits,_ZN2at6native29vectorized_elementwise_kernelILi8EZZZNS0_22nan_to_num_kernel_cudaERNS_18TensorIteratorBaseESt8optionalIdES5_S5_ENKUlvE0_clEvENKUlvE_clEvEUldE_St5arrayIPcLm2EEEEviT0_T1_,comdat
.Lfunc_end507:
	.size	_ZN2at6native29vectorized_elementwise_kernelILi8EZZZNS0_22nan_to_num_kernel_cudaERNS_18TensorIteratorBaseESt8optionalIdES5_S5_ENKUlvE0_clEvENKUlvE_clEvEUldE_St5arrayIPcLm2EEEEviT0_T1_, .Lfunc_end507-_ZN2at6native29vectorized_elementwise_kernelILi8EZZZNS0_22nan_to_num_kernel_cudaERNS_18TensorIteratorBaseESt8optionalIdES5_S5_ENKUlvE0_clEvENKUlvE_clEvEUldE_St5arrayIPcLm2EEEEviT0_T1_
                                        ; -- End function
	.section	.AMDGPU.csdata,"",@progbits
; Kernel info:
; codeLenInByte = 1684
; NumSgprs: 20
; NumVgprs: 19
; ScratchSize: 0
; MemoryBound: 1
; FloatMode: 240
; IeeeMode: 1
; LDSByteSize: 0 bytes/workgroup (compile time only)
; SGPRBlocks: 2
; VGPRBlocks: 2
; NumSGPRsForWavesPerEU: 20
; NumVGPRsForWavesPerEU: 19
; Occupancy: 16
; WaveLimiterHint : 0
; COMPUTE_PGM_RSRC2:SCRATCH_EN: 0
; COMPUTE_PGM_RSRC2:USER_SGPR: 15
; COMPUTE_PGM_RSRC2:TRAP_HANDLER: 0
; COMPUTE_PGM_RSRC2:TGID_X_EN: 1
; COMPUTE_PGM_RSRC2:TGID_Y_EN: 0
; COMPUTE_PGM_RSRC2:TGID_Z_EN: 0
; COMPUTE_PGM_RSRC2:TIDIG_COMP_CNT: 0
	.section	.text._ZN2at6native29vectorized_elementwise_kernelILi4EZZZNS0_22nan_to_num_kernel_cudaERNS_18TensorIteratorBaseESt8optionalIdES5_S5_ENKUlvE0_clEvENKUlvE_clEvEUldE_St5arrayIPcLm2EEEEviT0_T1_,"axG",@progbits,_ZN2at6native29vectorized_elementwise_kernelILi4EZZZNS0_22nan_to_num_kernel_cudaERNS_18TensorIteratorBaseESt8optionalIdES5_S5_ENKUlvE0_clEvENKUlvE_clEvEUldE_St5arrayIPcLm2EEEEviT0_T1_,comdat
	.globl	_ZN2at6native29vectorized_elementwise_kernelILi4EZZZNS0_22nan_to_num_kernel_cudaERNS_18TensorIteratorBaseESt8optionalIdES5_S5_ENKUlvE0_clEvENKUlvE_clEvEUldE_St5arrayIPcLm2EEEEviT0_T1_ ; -- Begin function _ZN2at6native29vectorized_elementwise_kernelILi4EZZZNS0_22nan_to_num_kernel_cudaERNS_18TensorIteratorBaseESt8optionalIdES5_S5_ENKUlvE0_clEvENKUlvE_clEvEUldE_St5arrayIPcLm2EEEEviT0_T1_
	.p2align	8
	.type	_ZN2at6native29vectorized_elementwise_kernelILi4EZZZNS0_22nan_to_num_kernel_cudaERNS_18TensorIteratorBaseESt8optionalIdES5_S5_ENKUlvE0_clEvENKUlvE_clEvEUldE_St5arrayIPcLm2EEEEviT0_T1_,@function
_ZN2at6native29vectorized_elementwise_kernelILi4EZZZNS0_22nan_to_num_kernel_cudaERNS_18TensorIteratorBaseESt8optionalIdES5_S5_ENKUlvE0_clEvENKUlvE_clEvEUldE_St5arrayIPcLm2EEEEviT0_T1_: ; @_ZN2at6native29vectorized_elementwise_kernelILi4EZZZNS0_22nan_to_num_kernel_cudaERNS_18TensorIteratorBaseESt8optionalIdES5_S5_ENKUlvE0_clEvENKUlvE_clEvEUldE_St5arrayIPcLm2EEEEviT0_T1_
; %bb.0:
	s_clause 0x2
	s_load_b32 s3, s[0:1], 0x0
	s_load_b256 s[4:11], s[0:1], 0x8
	s_load_b64 s[12:13], s[0:1], 0x28
	s_lshl_b32 s2, s15, 10
	s_mov_b32 s0, -1
	s_waitcnt lgkmcnt(0)
	s_sub_i32 s14, s3, s2
	s_delay_alu instid0(SALU_CYCLE_1)
	s_cmpk_gt_i32 s14, 0x3ff
	s_cbranch_scc0 .LBB508_18
; %bb.1:
	s_ashr_i32 s3, s2, 31
	v_lshlrev_b32_e32 v13, 5, v0
	s_lshl_b64 s[0:1], s[2:3], 3
	v_dual_mov_b32 v1, s4 :: v_dual_mov_b32 v2, s5
	s_add_u32 s16, s12, s0
	s_addc_u32 s17, s13, s1
	s_clause 0x1
	global_load_b128 v[9:12], v13, s[16:17]
	global_load_b128 v[5:8], v13, s[16:17] offset:16
	s_mov_b32 s3, exec_lo
	s_waitcnt vmcnt(1)
	v_cmpx_o_f64_e32 v[9:10], v[9:10]
	s_cbranch_execz .LBB508_5
; %bb.2:
	v_dual_mov_b32 v1, s6 :: v_dual_mov_b32 v2, s7
	s_mov_b32 s15, exec_lo
	v_cmpx_neq_f64_e32 0x7ff00000, v[9:10]
; %bb.3:
	v_cmp_eq_f64_e32 vcc_lo, 0xfff00000, v[9:10]
	v_cndmask_b32_e64 v2, v10, s9, vcc_lo
	v_cndmask_b32_e64 v1, v9, s8, vcc_lo
; %bb.4:
	s_or_b32 exec_lo, exec_lo, s15
.LBB508_5:
	s_delay_alu instid0(SALU_CYCLE_1)
	s_or_b32 exec_lo, exec_lo, s3
	v_dual_mov_b32 v3, s4 :: v_dual_mov_b32 v4, s5
	s_mov_b32 s3, exec_lo
	v_cmpx_o_f64_e32 v[11:12], v[11:12]
	s_cbranch_execz .LBB508_9
; %bb.6:
	v_dual_mov_b32 v3, s6 :: v_dual_mov_b32 v4, s7
	s_mov_b32 s15, exec_lo
	v_cmpx_neq_f64_e32 0x7ff00000, v[11:12]
; %bb.7:
	v_cmp_eq_f64_e32 vcc_lo, 0xfff00000, v[11:12]
	v_cndmask_b32_e64 v4, v12, s9, vcc_lo
	v_cndmask_b32_e64 v3, v11, s8, vcc_lo
; %bb.8:
	s_or_b32 exec_lo, exec_lo, s15
.LBB508_9:
	s_delay_alu instid0(SALU_CYCLE_1)
	s_or_b32 exec_lo, exec_lo, s3
	v_dual_mov_b32 v10, s5 :: v_dual_mov_b32 v9, s4
	s_mov_b32 s3, exec_lo
	s_waitcnt vmcnt(0)
	v_cmpx_o_f64_e32 v[5:6], v[5:6]
	s_cbranch_execz .LBB508_13
; %bb.10:
	v_dual_mov_b32 v10, s7 :: v_dual_mov_b32 v9, s6
	s_mov_b32 s15, exec_lo
	v_cmpx_neq_f64_e32 0x7ff00000, v[5:6]
; %bb.11:
	v_cmp_eq_f64_e32 vcc_lo, 0xfff00000, v[5:6]
	v_cndmask_b32_e64 v10, v6, s9, vcc_lo
	v_cndmask_b32_e64 v9, v5, s8, vcc_lo
; %bb.12:
	s_or_b32 exec_lo, exec_lo, s15
.LBB508_13:
	s_delay_alu instid0(SALU_CYCLE_1)
	s_or_b32 exec_lo, exec_lo, s3
	v_dual_mov_b32 v12, s5 :: v_dual_mov_b32 v11, s4
	s_mov_b32 s3, exec_lo
	v_cmpx_o_f64_e32 v[7:8], v[7:8]
	s_cbranch_execz .LBB508_17
; %bb.14:
	v_dual_mov_b32 v12, s7 :: v_dual_mov_b32 v11, s6
	s_mov_b32 s15, exec_lo
	v_cmpx_neq_f64_e32 0x7ff00000, v[7:8]
; %bb.15:
	v_cmp_eq_f64_e32 vcc_lo, 0xfff00000, v[7:8]
	v_cndmask_b32_e64 v12, v8, s9, vcc_lo
	v_cndmask_b32_e64 v11, v7, s8, vcc_lo
; %bb.16:
	s_or_b32 exec_lo, exec_lo, s15
.LBB508_17:
	s_delay_alu instid0(SALU_CYCLE_1)
	s_or_b32 exec_lo, exec_lo, s3
	s_add_u32 s16, s10, s0
	s_addc_u32 s17, s11, s1
	s_mov_b32 s0, 0
	s_clause 0x1
	global_store_b128 v13, v[1:4], s[16:17]
	global_store_b128 v13, v[9:12], s[16:17] offset:16
.LBB508_18:
	s_and_b32 vcc_lo, exec_lo, s0
	s_cbranch_vccz .LBB508_51
; %bb.19:
	v_dual_mov_b32 v12, 0 :: v_dual_mov_b32 v1, v0
	v_mov_b32_e32 v13, 0
	v_cmp_gt_i32_e32 vcc_lo, s14, v0
	v_or_b32_e32 v9, s2, v0
	v_or_b32_e32 v18, 0x100, v0
	s_delay_alu instid0(VALU_DEP_4)
	v_dual_mov_b32 v17, v13 :: v_dual_mov_b32 v16, v12
	s_and_saveexec_b32 s1, vcc_lo
	s_cbranch_execz .LBB508_21
; %bb.20:
	v_mov_b32_e32 v10, 0
	s_delay_alu instid0(VALU_DEP_1) | instskip(NEXT) | instid1(VALU_DEP_1)
	v_lshlrev_b64 v[1:2], 3, v[9:10]
	v_add_co_u32 v1, s0, s12, v1
	s_delay_alu instid0(VALU_DEP_1)
	v_add_co_ci_u32_e64 v2, s0, s13, v2, s0
	global_load_b64 v[16:17], v[1:2], off
	v_or_b32_e32 v1, 0x100, v0
.LBB508_21:
	s_or_b32 exec_lo, exec_lo, s1
	s_delay_alu instid0(SALU_CYCLE_1) | instskip(NEXT) | instid1(VALU_DEP_1)
	s_mov_b32 s1, exec_lo
	v_cmpx_gt_i32_e64 s14, v1
	s_cbranch_execz .LBB508_23
; %bb.22:
	v_dual_mov_b32 v3, 0 :: v_dual_add_nc_u32 v2, s2, v1
	v_add_nc_u32_e32 v1, 0x100, v1
	s_delay_alu instid0(VALU_DEP_2) | instskip(NEXT) | instid1(VALU_DEP_1)
	v_lshlrev_b64 v[2:3], 3, v[2:3]
	v_add_co_u32 v2, s0, s12, v2
	s_delay_alu instid0(VALU_DEP_1)
	v_add_co_ci_u32_e64 v3, s0, s13, v3, s0
	global_load_b64 v[12:13], v[2:3], off
.LBB508_23:
	s_or_b32 exec_lo, exec_lo, s1
	v_mov_b32_e32 v10, 0
	v_mov_b32_e32 v11, 0
	s_mov_b32 s1, exec_lo
	s_delay_alu instid0(VALU_DEP_1)
	v_dual_mov_b32 v15, v11 :: v_dual_mov_b32 v14, v10
	v_cmpx_gt_i32_e64 s14, v1
	s_cbranch_execnz .LBB508_27
; %bb.24:
	s_or_b32 exec_lo, exec_lo, s1
	s_delay_alu instid0(SALU_CYCLE_1)
	s_mov_b32 s1, exec_lo
	v_cmpx_gt_i32_e64 s14, v1
	s_cbranch_execnz .LBB508_28
.LBB508_25:
	s_or_b32 exec_lo, exec_lo, s1
                                        ; implicit-def: $vgpr1_vgpr2_vgpr3_vgpr4_vgpr5_vgpr6_vgpr7_vgpr8
	s_and_saveexec_b32 s1, vcc_lo
	s_cbranch_execnz .LBB508_29
.LBB508_26:
	s_or_b32 exec_lo, exec_lo, s1
	s_delay_alu instid0(SALU_CYCLE_1)
	s_mov_b32 s1, exec_lo
	v_cmpx_gt_i32_e64 s14, v18
	s_cbranch_execnz .LBB508_34
	s_branch .LBB508_39
.LBB508_27:
	v_dual_mov_b32 v3, 0 :: v_dual_add_nc_u32 v2, s2, v1
	v_add_nc_u32_e32 v1, 0x100, v1
	s_delay_alu instid0(VALU_DEP_2) | instskip(NEXT) | instid1(VALU_DEP_1)
	v_lshlrev_b64 v[2:3], 3, v[2:3]
	v_add_co_u32 v2, s0, s12, v2
	s_delay_alu instid0(VALU_DEP_1) | instskip(SKIP_2) | instid1(SALU_CYCLE_1)
	v_add_co_ci_u32_e64 v3, s0, s13, v3, s0
	global_load_b64 v[14:15], v[2:3], off
	s_or_b32 exec_lo, exec_lo, s1
	s_mov_b32 s1, exec_lo
	v_cmpx_gt_i32_e64 s14, v1
	s_cbranch_execz .LBB508_25
.LBB508_28:
	v_dual_mov_b32 v2, 0 :: v_dual_add_nc_u32 v1, s2, v1
	s_delay_alu instid0(VALU_DEP_1) | instskip(NEXT) | instid1(VALU_DEP_1)
	v_lshlrev_b64 v[1:2], 3, v[1:2]
	v_add_co_u32 v1, s0, s12, v1
	s_delay_alu instid0(VALU_DEP_1)
	v_add_co_ci_u32_e64 v2, s0, s13, v2, s0
	global_load_b64 v[10:11], v[1:2], off
	s_or_b32 exec_lo, exec_lo, s1
                                        ; implicit-def: $vgpr1_vgpr2_vgpr3_vgpr4_vgpr5_vgpr6_vgpr7_vgpr8
	s_and_saveexec_b32 s1, vcc_lo
	s_cbranch_execz .LBB508_26
.LBB508_29:
	v_dual_mov_b32 v1, s4 :: v_dual_mov_b32 v2, s5
	s_mov_b32 s3, exec_lo
	s_waitcnt vmcnt(0)
	v_cmpx_o_f64_e32 v[16:17], v[16:17]
	s_cbranch_execz .LBB508_33
; %bb.30:
	v_dual_mov_b32 v1, s6 :: v_dual_mov_b32 v2, s7
	s_mov_b32 s12, exec_lo
	v_cmpx_neq_f64_e32 0x7ff00000, v[16:17]
; %bb.31:
	v_cmp_eq_f64_e64 s0, 0xfff00000, v[16:17]
	s_delay_alu instid0(VALU_DEP_1)
	v_cndmask_b32_e64 v2, v17, s9, s0
	v_cndmask_b32_e64 v1, v16, s8, s0
; %bb.32:
	s_or_b32 exec_lo, exec_lo, s12
.LBB508_33:
	s_delay_alu instid0(SALU_CYCLE_1) | instskip(NEXT) | instid1(SALU_CYCLE_1)
	s_or_b32 exec_lo, exec_lo, s3
	s_or_b32 exec_lo, exec_lo, s1
	s_delay_alu instid0(SALU_CYCLE_1)
	s_mov_b32 s1, exec_lo
	v_cmpx_gt_i32_e64 s14, v18
	s_cbranch_execz .LBB508_39
.LBB508_34:
	v_dual_mov_b32 v3, s4 :: v_dual_mov_b32 v4, s5
	s_mov_b32 s3, exec_lo
	s_waitcnt vmcnt(0)
	v_cmpx_o_f64_e32 v[12:13], v[12:13]
	s_cbranch_execz .LBB508_38
; %bb.35:
	v_dual_mov_b32 v3, s6 :: v_dual_mov_b32 v4, s7
	s_mov_b32 s12, exec_lo
	v_cmpx_neq_f64_e32 0x7ff00000, v[12:13]
; %bb.36:
	v_cmp_eq_f64_e64 s0, 0xfff00000, v[12:13]
	s_delay_alu instid0(VALU_DEP_1)
	v_cndmask_b32_e64 v4, v13, s9, s0
	v_cndmask_b32_e64 v3, v12, s8, s0
; %bb.37:
	s_or_b32 exec_lo, exec_lo, s12
.LBB508_38:
	s_delay_alu instid0(SALU_CYCLE_1)
	s_or_b32 exec_lo, exec_lo, s3
.LBB508_39:
	s_delay_alu instid0(SALU_CYCLE_1) | instskip(SKIP_3) | instid1(VALU_DEP_1)
	s_or_b32 exec_lo, exec_lo, s1
	s_waitcnt vmcnt(0)
	v_or_b32_e32 v12, 0x200, v0
	s_mov_b32 s1, exec_lo
	v_cmpx_gt_i32_e64 s14, v12
	s_cbranch_execz .LBB508_45
; %bb.40:
	v_dual_mov_b32 v6, s5 :: v_dual_mov_b32 v5, s4
	s_mov_b32 s3, exec_lo
	v_cmpx_o_f64_e32 v[14:15], v[14:15]
	s_cbranch_execz .LBB508_44
; %bb.41:
	v_dual_mov_b32 v5, s6 :: v_dual_mov_b32 v6, s7
	s_mov_b32 s12, exec_lo
	v_cmpx_neq_f64_e32 0x7ff00000, v[14:15]
; %bb.42:
	v_cmp_eq_f64_e64 s0, 0xfff00000, v[14:15]
	s_delay_alu instid0(VALU_DEP_1)
	v_cndmask_b32_e64 v6, v15, s9, s0
	v_cndmask_b32_e64 v5, v14, s8, s0
; %bb.43:
	s_or_b32 exec_lo, exec_lo, s12
.LBB508_44:
	s_delay_alu instid0(SALU_CYCLE_1)
	s_or_b32 exec_lo, exec_lo, s3
.LBB508_45:
	s_delay_alu instid0(SALU_CYCLE_1) | instskip(SKIP_2) | instid1(VALU_DEP_1)
	s_or_b32 exec_lo, exec_lo, s1
	v_or_b32_e32 v12, 0x300, v0
	s_mov_b32 s1, exec_lo
	v_cmpx_gt_i32_e64 s14, v12
	s_cbranch_execnz .LBB508_52
; %bb.46:
	s_or_b32 exec_lo, exec_lo, s1
	s_and_saveexec_b32 s0, vcc_lo
	s_delay_alu instid0(SALU_CYCLE_1)
	s_xor_b32 s0, exec_lo, s0
	s_cbranch_execnz .LBB508_57
.LBB508_47:
	s_or_b32 exec_lo, exec_lo, s0
	s_delay_alu instid0(SALU_CYCLE_1)
	s_mov_b32 s0, exec_lo
	v_cmpx_gt_i32_e64 s14, v0
	s_cbranch_execnz .LBB508_58
.LBB508_48:
	s_or_b32 exec_lo, exec_lo, s0
	s_delay_alu instid0(SALU_CYCLE_1)
	s_mov_b32 s0, exec_lo
	v_cmpx_gt_i32_e64 s14, v0
	s_cbranch_execnz .LBB508_59
.LBB508_49:
	s_or_b32 exec_lo, exec_lo, s0
	s_delay_alu instid0(SALU_CYCLE_1)
	s_mov_b32 s0, exec_lo
	v_cmpx_gt_i32_e64 s14, v0
	s_cbranch_execz .LBB508_51
.LBB508_50:
	v_dual_mov_b32 v1, 0 :: v_dual_add_nc_u32 v0, s2, v0
	s_delay_alu instid0(VALU_DEP_1) | instskip(NEXT) | instid1(VALU_DEP_1)
	v_lshlrev_b64 v[0:1], 3, v[0:1]
	v_add_co_u32 v0, vcc_lo, s10, v0
	s_delay_alu instid0(VALU_DEP_2)
	v_add_co_ci_u32_e32 v1, vcc_lo, s11, v1, vcc_lo
	global_store_b64 v[0:1], v[7:8], off
.LBB508_51:
	s_nop 0
	s_sendmsg sendmsg(MSG_DEALLOC_VGPRS)
	s_endpgm
.LBB508_52:
	v_dual_mov_b32 v8, s5 :: v_dual_mov_b32 v7, s4
	s_mov_b32 s3, exec_lo
	v_cmpx_o_f64_e32 v[10:11], v[10:11]
	s_cbranch_execz .LBB508_56
; %bb.53:
	v_dual_mov_b32 v8, s7 :: v_dual_mov_b32 v7, s6
	s_mov_b32 s4, exec_lo
	v_cmpx_neq_f64_e32 0x7ff00000, v[10:11]
; %bb.54:
	v_cmp_eq_f64_e64 s0, 0xfff00000, v[10:11]
	s_delay_alu instid0(VALU_DEP_1)
	v_cndmask_b32_e64 v8, v11, s9, s0
	v_cndmask_b32_e64 v7, v10, s8, s0
; %bb.55:
	s_or_b32 exec_lo, exec_lo, s4
.LBB508_56:
	s_delay_alu instid0(SALU_CYCLE_1) | instskip(NEXT) | instid1(SALU_CYCLE_1)
	s_or_b32 exec_lo, exec_lo, s3
	s_or_b32 exec_lo, exec_lo, s1
	s_and_saveexec_b32 s0, vcc_lo
	s_delay_alu instid0(SALU_CYCLE_1)
	s_xor_b32 s0, exec_lo, s0
	s_cbranch_execz .LBB508_47
.LBB508_57:
	v_mov_b32_e32 v10, 0
	v_mov_b32_e32 v0, v18
	s_delay_alu instid0(VALU_DEP_2) | instskip(NEXT) | instid1(VALU_DEP_1)
	v_lshlrev_b64 v[9:10], 3, v[9:10]
	v_add_co_u32 v9, vcc_lo, s10, v9
	s_delay_alu instid0(VALU_DEP_2) | instskip(SKIP_2) | instid1(SALU_CYCLE_1)
	v_add_co_ci_u32_e32 v10, vcc_lo, s11, v10, vcc_lo
	global_store_b64 v[9:10], v[1:2], off
	s_or_b32 exec_lo, exec_lo, s0
	s_mov_b32 s0, exec_lo
	v_cmpx_gt_i32_e64 s14, v0
	s_cbranch_execz .LBB508_48
.LBB508_58:
	v_dual_mov_b32 v2, 0 :: v_dual_add_nc_u32 v1, s2, v0
	v_add_nc_u32_e32 v0, 0x100, v0
	s_delay_alu instid0(VALU_DEP_2) | instskip(NEXT) | instid1(VALU_DEP_1)
	v_lshlrev_b64 v[1:2], 3, v[1:2]
	v_add_co_u32 v1, vcc_lo, s10, v1
	s_delay_alu instid0(VALU_DEP_2) | instskip(SKIP_2) | instid1(SALU_CYCLE_1)
	v_add_co_ci_u32_e32 v2, vcc_lo, s11, v2, vcc_lo
	global_store_b64 v[1:2], v[3:4], off
	s_or_b32 exec_lo, exec_lo, s0
	s_mov_b32 s0, exec_lo
	v_cmpx_gt_i32_e64 s14, v0
	s_cbranch_execz .LBB508_49
.LBB508_59:
	v_dual_mov_b32 v2, 0 :: v_dual_add_nc_u32 v1, s2, v0
	v_add_nc_u32_e32 v0, 0x100, v0
	s_delay_alu instid0(VALU_DEP_2) | instskip(NEXT) | instid1(VALU_DEP_1)
	v_lshlrev_b64 v[1:2], 3, v[1:2]
	v_add_co_u32 v1, vcc_lo, s10, v1
	s_delay_alu instid0(VALU_DEP_2) | instskip(SKIP_2) | instid1(SALU_CYCLE_1)
	v_add_co_ci_u32_e32 v2, vcc_lo, s11, v2, vcc_lo
	global_store_b64 v[1:2], v[5:6], off
	s_or_b32 exec_lo, exec_lo, s0
	s_mov_b32 s0, exec_lo
	v_cmpx_gt_i32_e64 s14, v0
	s_cbranch_execnz .LBB508_50
	s_branch .LBB508_51
	.section	.rodata,"a",@progbits
	.p2align	6, 0x0
	.amdhsa_kernel _ZN2at6native29vectorized_elementwise_kernelILi4EZZZNS0_22nan_to_num_kernel_cudaERNS_18TensorIteratorBaseESt8optionalIdES5_S5_ENKUlvE0_clEvENKUlvE_clEvEUldE_St5arrayIPcLm2EEEEviT0_T1_
		.amdhsa_group_segment_fixed_size 0
		.amdhsa_private_segment_fixed_size 0
		.amdhsa_kernarg_size 48
		.amdhsa_user_sgpr_count 15
		.amdhsa_user_sgpr_dispatch_ptr 0
		.amdhsa_user_sgpr_queue_ptr 0
		.amdhsa_user_sgpr_kernarg_segment_ptr 1
		.amdhsa_user_sgpr_dispatch_id 0
		.amdhsa_user_sgpr_private_segment_size 0
		.amdhsa_wavefront_size32 1
		.amdhsa_uses_dynamic_stack 0
		.amdhsa_enable_private_segment 0
		.amdhsa_system_sgpr_workgroup_id_x 1
		.amdhsa_system_sgpr_workgroup_id_y 0
		.amdhsa_system_sgpr_workgroup_id_z 0
		.amdhsa_system_sgpr_workgroup_info 0
		.amdhsa_system_vgpr_workitem_id 0
		.amdhsa_next_free_vgpr 19
		.amdhsa_next_free_sgpr 18
		.amdhsa_reserve_vcc 1
		.amdhsa_float_round_mode_32 0
		.amdhsa_float_round_mode_16_64 0
		.amdhsa_float_denorm_mode_32 3
		.amdhsa_float_denorm_mode_16_64 3
		.amdhsa_dx10_clamp 1
		.amdhsa_ieee_mode 1
		.amdhsa_fp16_overflow 0
		.amdhsa_workgroup_processor_mode 1
		.amdhsa_memory_ordered 1
		.amdhsa_forward_progress 0
		.amdhsa_shared_vgpr_count 0
		.amdhsa_exception_fp_ieee_invalid_op 0
		.amdhsa_exception_fp_denorm_src 0
		.amdhsa_exception_fp_ieee_div_zero 0
		.amdhsa_exception_fp_ieee_overflow 0
		.amdhsa_exception_fp_ieee_underflow 0
		.amdhsa_exception_fp_ieee_inexact 0
		.amdhsa_exception_int_div_zero 0
	.end_amdhsa_kernel
	.section	.text._ZN2at6native29vectorized_elementwise_kernelILi4EZZZNS0_22nan_to_num_kernel_cudaERNS_18TensorIteratorBaseESt8optionalIdES5_S5_ENKUlvE0_clEvENKUlvE_clEvEUldE_St5arrayIPcLm2EEEEviT0_T1_,"axG",@progbits,_ZN2at6native29vectorized_elementwise_kernelILi4EZZZNS0_22nan_to_num_kernel_cudaERNS_18TensorIteratorBaseESt8optionalIdES5_S5_ENKUlvE0_clEvENKUlvE_clEvEUldE_St5arrayIPcLm2EEEEviT0_T1_,comdat
.Lfunc_end508:
	.size	_ZN2at6native29vectorized_elementwise_kernelILi4EZZZNS0_22nan_to_num_kernel_cudaERNS_18TensorIteratorBaseESt8optionalIdES5_S5_ENKUlvE0_clEvENKUlvE_clEvEUldE_St5arrayIPcLm2EEEEviT0_T1_, .Lfunc_end508-_ZN2at6native29vectorized_elementwise_kernelILi4EZZZNS0_22nan_to_num_kernel_cudaERNS_18TensorIteratorBaseESt8optionalIdES5_S5_ENKUlvE0_clEvENKUlvE_clEvEUldE_St5arrayIPcLm2EEEEviT0_T1_
                                        ; -- End function
	.section	.AMDGPU.csdata,"",@progbits
; Kernel info:
; codeLenInByte = 1684
; NumSgprs: 20
; NumVgprs: 19
; ScratchSize: 0
; MemoryBound: 1
; FloatMode: 240
; IeeeMode: 1
; LDSByteSize: 0 bytes/workgroup (compile time only)
; SGPRBlocks: 2
; VGPRBlocks: 2
; NumSGPRsForWavesPerEU: 20
; NumVGPRsForWavesPerEU: 19
; Occupancy: 16
; WaveLimiterHint : 0
; COMPUTE_PGM_RSRC2:SCRATCH_EN: 0
; COMPUTE_PGM_RSRC2:USER_SGPR: 15
; COMPUTE_PGM_RSRC2:TRAP_HANDLER: 0
; COMPUTE_PGM_RSRC2:TGID_X_EN: 1
; COMPUTE_PGM_RSRC2:TGID_Y_EN: 0
; COMPUTE_PGM_RSRC2:TGID_Z_EN: 0
; COMPUTE_PGM_RSRC2:TIDIG_COMP_CNT: 0
	.section	.text._ZN2at6native29vectorized_elementwise_kernelILi2EZZZNS0_22nan_to_num_kernel_cudaERNS_18TensorIteratorBaseESt8optionalIdES5_S5_ENKUlvE0_clEvENKUlvE_clEvEUldE_St5arrayIPcLm2EEEEviT0_T1_,"axG",@progbits,_ZN2at6native29vectorized_elementwise_kernelILi2EZZZNS0_22nan_to_num_kernel_cudaERNS_18TensorIteratorBaseESt8optionalIdES5_S5_ENKUlvE0_clEvENKUlvE_clEvEUldE_St5arrayIPcLm2EEEEviT0_T1_,comdat
	.globl	_ZN2at6native29vectorized_elementwise_kernelILi2EZZZNS0_22nan_to_num_kernel_cudaERNS_18TensorIteratorBaseESt8optionalIdES5_S5_ENKUlvE0_clEvENKUlvE_clEvEUldE_St5arrayIPcLm2EEEEviT0_T1_ ; -- Begin function _ZN2at6native29vectorized_elementwise_kernelILi2EZZZNS0_22nan_to_num_kernel_cudaERNS_18TensorIteratorBaseESt8optionalIdES5_S5_ENKUlvE0_clEvENKUlvE_clEvEUldE_St5arrayIPcLm2EEEEviT0_T1_
	.p2align	8
	.type	_ZN2at6native29vectorized_elementwise_kernelILi2EZZZNS0_22nan_to_num_kernel_cudaERNS_18TensorIteratorBaseESt8optionalIdES5_S5_ENKUlvE0_clEvENKUlvE_clEvEUldE_St5arrayIPcLm2EEEEviT0_T1_,@function
_ZN2at6native29vectorized_elementwise_kernelILi2EZZZNS0_22nan_to_num_kernel_cudaERNS_18TensorIteratorBaseESt8optionalIdES5_S5_ENKUlvE0_clEvENKUlvE_clEvEUldE_St5arrayIPcLm2EEEEviT0_T1_: ; @_ZN2at6native29vectorized_elementwise_kernelILi2EZZZNS0_22nan_to_num_kernel_cudaERNS_18TensorIteratorBaseESt8optionalIdES5_S5_ENKUlvE0_clEvENKUlvE_clEvEUldE_St5arrayIPcLm2EEEEviT0_T1_
; %bb.0:
	s_clause 0x2
	s_load_b32 s3, s[0:1], 0x0
	s_load_b256 s[4:11], s[0:1], 0x8
	s_load_b64 s[12:13], s[0:1], 0x28
	s_lshl_b32 s2, s15, 10
	s_mov_b32 s0, -1
	s_waitcnt lgkmcnt(0)
	s_sub_i32 s14, s3, s2
	s_delay_alu instid0(SALU_CYCLE_1)
	s_cmpk_gt_i32 s14, 0x3ff
	s_cbranch_scc0 .LBB509_18
; %bb.1:
	s_ashr_i32 s3, s2, 31
	v_lshlrev_b32_e32 v13, 4, v0
	s_lshl_b64 s[0:1], s[2:3], 3
	s_delay_alu instid0(SALU_CYCLE_1) | instskip(SKIP_1) | instid1(VALU_DEP_1)
	s_add_u32 s16, s12, s0
	s_addc_u32 s17, s13, s1
	v_add_co_u32 v1, s3, s16, v13
	s_delay_alu instid0(VALU_DEP_1)
	v_add_co_ci_u32_e64 v2, null, s17, 0, s3
	global_load_b128 v[9:12], v13, s[16:17]
	v_add_co_u32 v1, vcc_lo, 0x1000, v1
	v_add_co_ci_u32_e32 v2, vcc_lo, 0, v2, vcc_lo
	s_mov_b32 s3, exec_lo
	global_load_b128 v[5:8], v[1:2], off
	v_dual_mov_b32 v1, s4 :: v_dual_mov_b32 v2, s5
	s_waitcnt vmcnt(1)
	v_cmpx_o_f64_e32 v[9:10], v[9:10]
	s_cbranch_execz .LBB509_5
; %bb.2:
	v_dual_mov_b32 v1, s6 :: v_dual_mov_b32 v2, s7
	s_mov_b32 s15, exec_lo
	v_cmpx_neq_f64_e32 0x7ff00000, v[9:10]
; %bb.3:
	v_cmp_eq_f64_e32 vcc_lo, 0xfff00000, v[9:10]
	v_cndmask_b32_e64 v2, v10, s9, vcc_lo
	v_cndmask_b32_e64 v1, v9, s8, vcc_lo
; %bb.4:
	s_or_b32 exec_lo, exec_lo, s15
.LBB509_5:
	s_delay_alu instid0(SALU_CYCLE_1)
	s_or_b32 exec_lo, exec_lo, s3
	v_dual_mov_b32 v3, s4 :: v_dual_mov_b32 v4, s5
	s_mov_b32 s3, exec_lo
	v_cmpx_o_f64_e32 v[11:12], v[11:12]
	s_cbranch_execz .LBB509_9
; %bb.6:
	v_dual_mov_b32 v3, s6 :: v_dual_mov_b32 v4, s7
	s_mov_b32 s15, exec_lo
	v_cmpx_neq_f64_e32 0x7ff00000, v[11:12]
; %bb.7:
	v_cmp_eq_f64_e32 vcc_lo, 0xfff00000, v[11:12]
	v_cndmask_b32_e64 v4, v12, s9, vcc_lo
	v_cndmask_b32_e64 v3, v11, s8, vcc_lo
; %bb.8:
	s_or_b32 exec_lo, exec_lo, s15
.LBB509_9:
	s_delay_alu instid0(SALU_CYCLE_1)
	s_or_b32 exec_lo, exec_lo, s3
	v_dual_mov_b32 v10, s5 :: v_dual_mov_b32 v9, s4
	s_mov_b32 s3, exec_lo
	s_waitcnt vmcnt(0)
	v_cmpx_o_f64_e32 v[5:6], v[5:6]
	s_cbranch_execz .LBB509_13
; %bb.10:
	v_dual_mov_b32 v10, s7 :: v_dual_mov_b32 v9, s6
	s_mov_b32 s15, exec_lo
	v_cmpx_neq_f64_e32 0x7ff00000, v[5:6]
; %bb.11:
	v_cmp_eq_f64_e32 vcc_lo, 0xfff00000, v[5:6]
	v_cndmask_b32_e64 v10, v6, s9, vcc_lo
	v_cndmask_b32_e64 v9, v5, s8, vcc_lo
; %bb.12:
	s_or_b32 exec_lo, exec_lo, s15
.LBB509_13:
	s_delay_alu instid0(SALU_CYCLE_1)
	s_or_b32 exec_lo, exec_lo, s3
	v_dual_mov_b32 v12, s5 :: v_dual_mov_b32 v11, s4
	s_mov_b32 s3, exec_lo
	v_cmpx_o_f64_e32 v[7:8], v[7:8]
	s_cbranch_execz .LBB509_17
; %bb.14:
	v_dual_mov_b32 v12, s7 :: v_dual_mov_b32 v11, s6
	s_mov_b32 s15, exec_lo
	v_cmpx_neq_f64_e32 0x7ff00000, v[7:8]
; %bb.15:
	v_cmp_eq_f64_e32 vcc_lo, 0xfff00000, v[7:8]
	v_cndmask_b32_e64 v12, v8, s9, vcc_lo
	v_cndmask_b32_e64 v11, v7, s8, vcc_lo
; %bb.16:
	s_or_b32 exec_lo, exec_lo, s15
.LBB509_17:
	s_delay_alu instid0(SALU_CYCLE_1) | instskip(SKIP_3) | instid1(VALU_DEP_1)
	s_or_b32 exec_lo, exec_lo, s3
	s_add_u32 s16, s10, s0
	s_addc_u32 s17, s11, s1
	v_add_co_u32 v5, s0, s16, v13
	v_add_co_ci_u32_e64 v6, null, s17, 0, s0
	s_mov_b32 s0, 0
	s_delay_alu instid0(VALU_DEP_2) | instskip(NEXT) | instid1(VALU_DEP_2)
	v_add_co_u32 v5, vcc_lo, 0x1000, v5
	v_add_co_ci_u32_e32 v6, vcc_lo, 0, v6, vcc_lo
	s_clause 0x1
	global_store_b128 v13, v[1:4], s[16:17]
	global_store_b128 v[5:6], v[9:12], off
.LBB509_18:
	s_and_b32 vcc_lo, exec_lo, s0
	s_cbranch_vccz .LBB509_51
; %bb.19:
	v_dual_mov_b32 v12, 0 :: v_dual_mov_b32 v1, v0
	v_mov_b32_e32 v13, 0
	v_cmp_gt_i32_e32 vcc_lo, s14, v0
	v_or_b32_e32 v9, s2, v0
	v_or_b32_e32 v18, 0x100, v0
	s_delay_alu instid0(VALU_DEP_4)
	v_dual_mov_b32 v17, v13 :: v_dual_mov_b32 v16, v12
	s_and_saveexec_b32 s1, vcc_lo
	s_cbranch_execz .LBB509_21
; %bb.20:
	v_mov_b32_e32 v10, 0
	s_delay_alu instid0(VALU_DEP_1) | instskip(NEXT) | instid1(VALU_DEP_1)
	v_lshlrev_b64 v[1:2], 3, v[9:10]
	v_add_co_u32 v1, s0, s12, v1
	s_delay_alu instid0(VALU_DEP_1)
	v_add_co_ci_u32_e64 v2, s0, s13, v2, s0
	global_load_b64 v[16:17], v[1:2], off
	v_or_b32_e32 v1, 0x100, v0
.LBB509_21:
	s_or_b32 exec_lo, exec_lo, s1
	s_delay_alu instid0(SALU_CYCLE_1) | instskip(NEXT) | instid1(VALU_DEP_1)
	s_mov_b32 s1, exec_lo
	v_cmpx_gt_i32_e64 s14, v1
	s_cbranch_execz .LBB509_23
; %bb.22:
	v_dual_mov_b32 v3, 0 :: v_dual_add_nc_u32 v2, s2, v1
	v_add_nc_u32_e32 v1, 0x100, v1
	s_delay_alu instid0(VALU_DEP_2) | instskip(NEXT) | instid1(VALU_DEP_1)
	v_lshlrev_b64 v[2:3], 3, v[2:3]
	v_add_co_u32 v2, s0, s12, v2
	s_delay_alu instid0(VALU_DEP_1)
	v_add_co_ci_u32_e64 v3, s0, s13, v3, s0
	global_load_b64 v[12:13], v[2:3], off
.LBB509_23:
	s_or_b32 exec_lo, exec_lo, s1
	v_mov_b32_e32 v10, 0
	v_mov_b32_e32 v11, 0
	s_mov_b32 s1, exec_lo
	s_delay_alu instid0(VALU_DEP_1)
	v_dual_mov_b32 v15, v11 :: v_dual_mov_b32 v14, v10
	v_cmpx_gt_i32_e64 s14, v1
	s_cbranch_execnz .LBB509_27
; %bb.24:
	s_or_b32 exec_lo, exec_lo, s1
	s_delay_alu instid0(SALU_CYCLE_1)
	s_mov_b32 s1, exec_lo
	v_cmpx_gt_i32_e64 s14, v1
	s_cbranch_execnz .LBB509_28
.LBB509_25:
	s_or_b32 exec_lo, exec_lo, s1
                                        ; implicit-def: $vgpr1_vgpr2_vgpr3_vgpr4_vgpr5_vgpr6_vgpr7_vgpr8
	s_and_saveexec_b32 s1, vcc_lo
	s_cbranch_execnz .LBB509_29
.LBB509_26:
	s_or_b32 exec_lo, exec_lo, s1
	s_delay_alu instid0(SALU_CYCLE_1)
	s_mov_b32 s1, exec_lo
	v_cmpx_gt_i32_e64 s14, v18
	s_cbranch_execnz .LBB509_34
	s_branch .LBB509_39
.LBB509_27:
	v_dual_mov_b32 v3, 0 :: v_dual_add_nc_u32 v2, s2, v1
	v_add_nc_u32_e32 v1, 0x100, v1
	s_delay_alu instid0(VALU_DEP_2) | instskip(NEXT) | instid1(VALU_DEP_1)
	v_lshlrev_b64 v[2:3], 3, v[2:3]
	v_add_co_u32 v2, s0, s12, v2
	s_delay_alu instid0(VALU_DEP_1) | instskip(SKIP_2) | instid1(SALU_CYCLE_1)
	v_add_co_ci_u32_e64 v3, s0, s13, v3, s0
	global_load_b64 v[14:15], v[2:3], off
	s_or_b32 exec_lo, exec_lo, s1
	s_mov_b32 s1, exec_lo
	v_cmpx_gt_i32_e64 s14, v1
	s_cbranch_execz .LBB509_25
.LBB509_28:
	v_dual_mov_b32 v2, 0 :: v_dual_add_nc_u32 v1, s2, v1
	s_delay_alu instid0(VALU_DEP_1) | instskip(NEXT) | instid1(VALU_DEP_1)
	v_lshlrev_b64 v[1:2], 3, v[1:2]
	v_add_co_u32 v1, s0, s12, v1
	s_delay_alu instid0(VALU_DEP_1)
	v_add_co_ci_u32_e64 v2, s0, s13, v2, s0
	global_load_b64 v[10:11], v[1:2], off
	s_or_b32 exec_lo, exec_lo, s1
                                        ; implicit-def: $vgpr1_vgpr2_vgpr3_vgpr4_vgpr5_vgpr6_vgpr7_vgpr8
	s_and_saveexec_b32 s1, vcc_lo
	s_cbranch_execz .LBB509_26
.LBB509_29:
	v_dual_mov_b32 v1, s4 :: v_dual_mov_b32 v2, s5
	s_mov_b32 s3, exec_lo
	s_waitcnt vmcnt(0)
	v_cmpx_o_f64_e32 v[16:17], v[16:17]
	s_cbranch_execz .LBB509_33
; %bb.30:
	v_dual_mov_b32 v1, s6 :: v_dual_mov_b32 v2, s7
	s_mov_b32 s12, exec_lo
	v_cmpx_neq_f64_e32 0x7ff00000, v[16:17]
; %bb.31:
	v_cmp_eq_f64_e64 s0, 0xfff00000, v[16:17]
	s_delay_alu instid0(VALU_DEP_1)
	v_cndmask_b32_e64 v2, v17, s9, s0
	v_cndmask_b32_e64 v1, v16, s8, s0
; %bb.32:
	s_or_b32 exec_lo, exec_lo, s12
.LBB509_33:
	s_delay_alu instid0(SALU_CYCLE_1) | instskip(NEXT) | instid1(SALU_CYCLE_1)
	s_or_b32 exec_lo, exec_lo, s3
	s_or_b32 exec_lo, exec_lo, s1
	s_delay_alu instid0(SALU_CYCLE_1)
	s_mov_b32 s1, exec_lo
	v_cmpx_gt_i32_e64 s14, v18
	s_cbranch_execz .LBB509_39
.LBB509_34:
	v_dual_mov_b32 v3, s4 :: v_dual_mov_b32 v4, s5
	s_mov_b32 s3, exec_lo
	s_waitcnt vmcnt(0)
	v_cmpx_o_f64_e32 v[12:13], v[12:13]
	s_cbranch_execz .LBB509_38
; %bb.35:
	v_dual_mov_b32 v3, s6 :: v_dual_mov_b32 v4, s7
	s_mov_b32 s12, exec_lo
	v_cmpx_neq_f64_e32 0x7ff00000, v[12:13]
; %bb.36:
	v_cmp_eq_f64_e64 s0, 0xfff00000, v[12:13]
	s_delay_alu instid0(VALU_DEP_1)
	v_cndmask_b32_e64 v4, v13, s9, s0
	v_cndmask_b32_e64 v3, v12, s8, s0
; %bb.37:
	s_or_b32 exec_lo, exec_lo, s12
.LBB509_38:
	s_delay_alu instid0(SALU_CYCLE_1)
	s_or_b32 exec_lo, exec_lo, s3
.LBB509_39:
	s_delay_alu instid0(SALU_CYCLE_1) | instskip(SKIP_3) | instid1(VALU_DEP_1)
	s_or_b32 exec_lo, exec_lo, s1
	s_waitcnt vmcnt(0)
	v_or_b32_e32 v12, 0x200, v0
	s_mov_b32 s1, exec_lo
	v_cmpx_gt_i32_e64 s14, v12
	s_cbranch_execz .LBB509_45
; %bb.40:
	v_dual_mov_b32 v6, s5 :: v_dual_mov_b32 v5, s4
	s_mov_b32 s3, exec_lo
	v_cmpx_o_f64_e32 v[14:15], v[14:15]
	s_cbranch_execz .LBB509_44
; %bb.41:
	v_dual_mov_b32 v5, s6 :: v_dual_mov_b32 v6, s7
	s_mov_b32 s12, exec_lo
	v_cmpx_neq_f64_e32 0x7ff00000, v[14:15]
; %bb.42:
	v_cmp_eq_f64_e64 s0, 0xfff00000, v[14:15]
	s_delay_alu instid0(VALU_DEP_1)
	v_cndmask_b32_e64 v6, v15, s9, s0
	v_cndmask_b32_e64 v5, v14, s8, s0
; %bb.43:
	s_or_b32 exec_lo, exec_lo, s12
.LBB509_44:
	s_delay_alu instid0(SALU_CYCLE_1)
	s_or_b32 exec_lo, exec_lo, s3
.LBB509_45:
	s_delay_alu instid0(SALU_CYCLE_1) | instskip(SKIP_2) | instid1(VALU_DEP_1)
	s_or_b32 exec_lo, exec_lo, s1
	v_or_b32_e32 v12, 0x300, v0
	s_mov_b32 s1, exec_lo
	v_cmpx_gt_i32_e64 s14, v12
	s_cbranch_execnz .LBB509_52
; %bb.46:
	s_or_b32 exec_lo, exec_lo, s1
	s_and_saveexec_b32 s0, vcc_lo
	s_delay_alu instid0(SALU_CYCLE_1)
	s_xor_b32 s0, exec_lo, s0
	s_cbranch_execnz .LBB509_57
.LBB509_47:
	s_or_b32 exec_lo, exec_lo, s0
	s_delay_alu instid0(SALU_CYCLE_1)
	s_mov_b32 s0, exec_lo
	v_cmpx_gt_i32_e64 s14, v0
	s_cbranch_execnz .LBB509_58
.LBB509_48:
	s_or_b32 exec_lo, exec_lo, s0
	s_delay_alu instid0(SALU_CYCLE_1)
	s_mov_b32 s0, exec_lo
	v_cmpx_gt_i32_e64 s14, v0
	s_cbranch_execnz .LBB509_59
.LBB509_49:
	s_or_b32 exec_lo, exec_lo, s0
	s_delay_alu instid0(SALU_CYCLE_1)
	s_mov_b32 s0, exec_lo
	v_cmpx_gt_i32_e64 s14, v0
	s_cbranch_execz .LBB509_51
.LBB509_50:
	v_dual_mov_b32 v1, 0 :: v_dual_add_nc_u32 v0, s2, v0
	s_delay_alu instid0(VALU_DEP_1) | instskip(NEXT) | instid1(VALU_DEP_1)
	v_lshlrev_b64 v[0:1], 3, v[0:1]
	v_add_co_u32 v0, vcc_lo, s10, v0
	s_delay_alu instid0(VALU_DEP_2)
	v_add_co_ci_u32_e32 v1, vcc_lo, s11, v1, vcc_lo
	global_store_b64 v[0:1], v[7:8], off
.LBB509_51:
	s_nop 0
	s_sendmsg sendmsg(MSG_DEALLOC_VGPRS)
	s_endpgm
.LBB509_52:
	v_dual_mov_b32 v8, s5 :: v_dual_mov_b32 v7, s4
	s_mov_b32 s3, exec_lo
	v_cmpx_o_f64_e32 v[10:11], v[10:11]
	s_cbranch_execz .LBB509_56
; %bb.53:
	v_dual_mov_b32 v8, s7 :: v_dual_mov_b32 v7, s6
	s_mov_b32 s4, exec_lo
	v_cmpx_neq_f64_e32 0x7ff00000, v[10:11]
; %bb.54:
	v_cmp_eq_f64_e64 s0, 0xfff00000, v[10:11]
	s_delay_alu instid0(VALU_DEP_1)
	v_cndmask_b32_e64 v8, v11, s9, s0
	v_cndmask_b32_e64 v7, v10, s8, s0
; %bb.55:
	s_or_b32 exec_lo, exec_lo, s4
.LBB509_56:
	s_delay_alu instid0(SALU_CYCLE_1) | instskip(NEXT) | instid1(SALU_CYCLE_1)
	s_or_b32 exec_lo, exec_lo, s3
	s_or_b32 exec_lo, exec_lo, s1
	s_and_saveexec_b32 s0, vcc_lo
	s_delay_alu instid0(SALU_CYCLE_1)
	s_xor_b32 s0, exec_lo, s0
	s_cbranch_execz .LBB509_47
.LBB509_57:
	v_mov_b32_e32 v10, 0
	v_mov_b32_e32 v0, v18
	s_delay_alu instid0(VALU_DEP_2) | instskip(NEXT) | instid1(VALU_DEP_1)
	v_lshlrev_b64 v[9:10], 3, v[9:10]
	v_add_co_u32 v9, vcc_lo, s10, v9
	s_delay_alu instid0(VALU_DEP_2) | instskip(SKIP_2) | instid1(SALU_CYCLE_1)
	v_add_co_ci_u32_e32 v10, vcc_lo, s11, v10, vcc_lo
	global_store_b64 v[9:10], v[1:2], off
	s_or_b32 exec_lo, exec_lo, s0
	s_mov_b32 s0, exec_lo
	v_cmpx_gt_i32_e64 s14, v0
	s_cbranch_execz .LBB509_48
.LBB509_58:
	v_dual_mov_b32 v2, 0 :: v_dual_add_nc_u32 v1, s2, v0
	v_add_nc_u32_e32 v0, 0x100, v0
	s_delay_alu instid0(VALU_DEP_2) | instskip(NEXT) | instid1(VALU_DEP_1)
	v_lshlrev_b64 v[1:2], 3, v[1:2]
	v_add_co_u32 v1, vcc_lo, s10, v1
	s_delay_alu instid0(VALU_DEP_2) | instskip(SKIP_2) | instid1(SALU_CYCLE_1)
	v_add_co_ci_u32_e32 v2, vcc_lo, s11, v2, vcc_lo
	global_store_b64 v[1:2], v[3:4], off
	s_or_b32 exec_lo, exec_lo, s0
	s_mov_b32 s0, exec_lo
	v_cmpx_gt_i32_e64 s14, v0
	s_cbranch_execz .LBB509_49
.LBB509_59:
	v_dual_mov_b32 v2, 0 :: v_dual_add_nc_u32 v1, s2, v0
	v_add_nc_u32_e32 v0, 0x100, v0
	s_delay_alu instid0(VALU_DEP_2) | instskip(NEXT) | instid1(VALU_DEP_1)
	v_lshlrev_b64 v[1:2], 3, v[1:2]
	v_add_co_u32 v1, vcc_lo, s10, v1
	s_delay_alu instid0(VALU_DEP_2) | instskip(SKIP_2) | instid1(SALU_CYCLE_1)
	v_add_co_ci_u32_e32 v2, vcc_lo, s11, v2, vcc_lo
	global_store_b64 v[1:2], v[5:6], off
	s_or_b32 exec_lo, exec_lo, s0
	s_mov_b32 s0, exec_lo
	v_cmpx_gt_i32_e64 s14, v0
	s_cbranch_execnz .LBB509_50
	s_branch .LBB509_51
	.section	.rodata,"a",@progbits
	.p2align	6, 0x0
	.amdhsa_kernel _ZN2at6native29vectorized_elementwise_kernelILi2EZZZNS0_22nan_to_num_kernel_cudaERNS_18TensorIteratorBaseESt8optionalIdES5_S5_ENKUlvE0_clEvENKUlvE_clEvEUldE_St5arrayIPcLm2EEEEviT0_T1_
		.amdhsa_group_segment_fixed_size 0
		.amdhsa_private_segment_fixed_size 0
		.amdhsa_kernarg_size 48
		.amdhsa_user_sgpr_count 15
		.amdhsa_user_sgpr_dispatch_ptr 0
		.amdhsa_user_sgpr_queue_ptr 0
		.amdhsa_user_sgpr_kernarg_segment_ptr 1
		.amdhsa_user_sgpr_dispatch_id 0
		.amdhsa_user_sgpr_private_segment_size 0
		.amdhsa_wavefront_size32 1
		.amdhsa_uses_dynamic_stack 0
		.amdhsa_enable_private_segment 0
		.amdhsa_system_sgpr_workgroup_id_x 1
		.amdhsa_system_sgpr_workgroup_id_y 0
		.amdhsa_system_sgpr_workgroup_id_z 0
		.amdhsa_system_sgpr_workgroup_info 0
		.amdhsa_system_vgpr_workitem_id 0
		.amdhsa_next_free_vgpr 19
		.amdhsa_next_free_sgpr 18
		.amdhsa_reserve_vcc 1
		.amdhsa_float_round_mode_32 0
		.amdhsa_float_round_mode_16_64 0
		.amdhsa_float_denorm_mode_32 3
		.amdhsa_float_denorm_mode_16_64 3
		.amdhsa_dx10_clamp 1
		.amdhsa_ieee_mode 1
		.amdhsa_fp16_overflow 0
		.amdhsa_workgroup_processor_mode 1
		.amdhsa_memory_ordered 1
		.amdhsa_forward_progress 0
		.amdhsa_shared_vgpr_count 0
		.amdhsa_exception_fp_ieee_invalid_op 0
		.amdhsa_exception_fp_denorm_src 0
		.amdhsa_exception_fp_ieee_div_zero 0
		.amdhsa_exception_fp_ieee_overflow 0
		.amdhsa_exception_fp_ieee_underflow 0
		.amdhsa_exception_fp_ieee_inexact 0
		.amdhsa_exception_int_div_zero 0
	.end_amdhsa_kernel
	.section	.text._ZN2at6native29vectorized_elementwise_kernelILi2EZZZNS0_22nan_to_num_kernel_cudaERNS_18TensorIteratorBaseESt8optionalIdES5_S5_ENKUlvE0_clEvENKUlvE_clEvEUldE_St5arrayIPcLm2EEEEviT0_T1_,"axG",@progbits,_ZN2at6native29vectorized_elementwise_kernelILi2EZZZNS0_22nan_to_num_kernel_cudaERNS_18TensorIteratorBaseESt8optionalIdES5_S5_ENKUlvE0_clEvENKUlvE_clEvEUldE_St5arrayIPcLm2EEEEviT0_T1_,comdat
.Lfunc_end509:
	.size	_ZN2at6native29vectorized_elementwise_kernelILi2EZZZNS0_22nan_to_num_kernel_cudaERNS_18TensorIteratorBaseESt8optionalIdES5_S5_ENKUlvE0_clEvENKUlvE_clEvEUldE_St5arrayIPcLm2EEEEviT0_T1_, .Lfunc_end509-_ZN2at6native29vectorized_elementwise_kernelILi2EZZZNS0_22nan_to_num_kernel_cudaERNS_18TensorIteratorBaseESt8optionalIdES5_S5_ENKUlvE0_clEvENKUlvE_clEvEUldE_St5arrayIPcLm2EEEEviT0_T1_
                                        ; -- End function
	.section	.AMDGPU.csdata,"",@progbits
; Kernel info:
; codeLenInByte = 1756
; NumSgprs: 20
; NumVgprs: 19
; ScratchSize: 0
; MemoryBound: 0
; FloatMode: 240
; IeeeMode: 1
; LDSByteSize: 0 bytes/workgroup (compile time only)
; SGPRBlocks: 2
; VGPRBlocks: 2
; NumSGPRsForWavesPerEU: 20
; NumVGPRsForWavesPerEU: 19
; Occupancy: 16
; WaveLimiterHint : 1
; COMPUTE_PGM_RSRC2:SCRATCH_EN: 0
; COMPUTE_PGM_RSRC2:USER_SGPR: 15
; COMPUTE_PGM_RSRC2:TRAP_HANDLER: 0
; COMPUTE_PGM_RSRC2:TGID_X_EN: 1
; COMPUTE_PGM_RSRC2:TGID_Y_EN: 0
; COMPUTE_PGM_RSRC2:TGID_Z_EN: 0
; COMPUTE_PGM_RSRC2:TIDIG_COMP_CNT: 0
	.section	.text._ZN2at6native27unrolled_elementwise_kernelIZZZNS0_22nan_to_num_kernel_cudaERNS_18TensorIteratorBaseESt8optionalIdES5_S5_ENKUlvE0_clEvENKUlvE_clEvEUldE_St5arrayIPcLm2EELi4E23TrivialOffsetCalculatorILi1EjESD_NS0_6memory15LoadWithoutCastENSE_16StoreWithoutCastEEEviT_T0_T2_T3_T4_T5_,"axG",@progbits,_ZN2at6native27unrolled_elementwise_kernelIZZZNS0_22nan_to_num_kernel_cudaERNS_18TensorIteratorBaseESt8optionalIdES5_S5_ENKUlvE0_clEvENKUlvE_clEvEUldE_St5arrayIPcLm2EELi4E23TrivialOffsetCalculatorILi1EjESD_NS0_6memory15LoadWithoutCastENSE_16StoreWithoutCastEEEviT_T0_T2_T3_T4_T5_,comdat
	.globl	_ZN2at6native27unrolled_elementwise_kernelIZZZNS0_22nan_to_num_kernel_cudaERNS_18TensorIteratorBaseESt8optionalIdES5_S5_ENKUlvE0_clEvENKUlvE_clEvEUldE_St5arrayIPcLm2EELi4E23TrivialOffsetCalculatorILi1EjESD_NS0_6memory15LoadWithoutCastENSE_16StoreWithoutCastEEEviT_T0_T2_T3_T4_T5_ ; -- Begin function _ZN2at6native27unrolled_elementwise_kernelIZZZNS0_22nan_to_num_kernel_cudaERNS_18TensorIteratorBaseESt8optionalIdES5_S5_ENKUlvE0_clEvENKUlvE_clEvEUldE_St5arrayIPcLm2EELi4E23TrivialOffsetCalculatorILi1EjESD_NS0_6memory15LoadWithoutCastENSE_16StoreWithoutCastEEEviT_T0_T2_T3_T4_T5_
	.p2align	8
	.type	_ZN2at6native27unrolled_elementwise_kernelIZZZNS0_22nan_to_num_kernel_cudaERNS_18TensorIteratorBaseESt8optionalIdES5_S5_ENKUlvE0_clEvENKUlvE_clEvEUldE_St5arrayIPcLm2EELi4E23TrivialOffsetCalculatorILi1EjESD_NS0_6memory15LoadWithoutCastENSE_16StoreWithoutCastEEEviT_T0_T2_T3_T4_T5_,@function
_ZN2at6native27unrolled_elementwise_kernelIZZZNS0_22nan_to_num_kernel_cudaERNS_18TensorIteratorBaseESt8optionalIdES5_S5_ENKUlvE0_clEvENKUlvE_clEvEUldE_St5arrayIPcLm2EELi4E23TrivialOffsetCalculatorILi1EjESD_NS0_6memory15LoadWithoutCastENSE_16StoreWithoutCastEEEviT_T0_T2_T3_T4_T5_: ; @_ZN2at6native27unrolled_elementwise_kernelIZZZNS0_22nan_to_num_kernel_cudaERNS_18TensorIteratorBaseESt8optionalIdES5_S5_ENKUlvE0_clEvENKUlvE_clEvEUldE_St5arrayIPcLm2EELi4E23TrivialOffsetCalculatorILi1EjESD_NS0_6memory15LoadWithoutCastENSE_16StoreWithoutCastEEEviT_T0_T2_T3_T4_T5_
; %bb.0:
	s_clause 0x1
	s_load_b32 s2, s[0:1], 0x0
	s_load_b64 s[12:13], s[0:1], 0x28
	v_dual_mov_b32 v12, 0 :: v_dual_mov_b32 v1, v0
	v_mov_b32_e32 v13, 0
	s_lshl_b32 s3, s15, 10
	v_or_b32_e32 v18, 0x100, v0
	v_or_b32_e32 v9, s3, v0
	s_delay_alu instid0(VALU_DEP_3) | instskip(SKIP_2) | instid1(SALU_CYCLE_1)
	v_dual_mov_b32 v17, v13 :: v_dual_mov_b32 v16, v12
	s_waitcnt lgkmcnt(0)
	s_sub_i32 s14, s2, s3
	v_cmp_gt_i32_e32 vcc_lo, s14, v0
	s_and_saveexec_b32 s4, vcc_lo
	s_cbranch_execz .LBB510_2
; %bb.1:
	v_mov_b32_e32 v10, 0
	s_delay_alu instid0(VALU_DEP_1) | instskip(NEXT) | instid1(VALU_DEP_1)
	v_lshlrev_b64 v[1:2], 3, v[9:10]
	v_add_co_u32 v1, s2, s12, v1
	s_delay_alu instid0(VALU_DEP_1)
	v_add_co_ci_u32_e64 v2, s2, s13, v2, s2
	global_load_b64 v[16:17], v[1:2], off
	v_or_b32_e32 v1, 0x100, v0
.LBB510_2:
	s_or_b32 exec_lo, exec_lo, s4
	s_load_b256 s[4:11], s[0:1], 0x8
	s_mov_b32 s1, exec_lo
	s_delay_alu instid0(VALU_DEP_1)
	v_cmpx_gt_i32_e64 s14, v1
	s_cbranch_execz .LBB510_4
; %bb.3:
	v_dual_mov_b32 v3, 0 :: v_dual_add_nc_u32 v2, s3, v1
	v_add_nc_u32_e32 v1, 0x100, v1
	s_delay_alu instid0(VALU_DEP_2) | instskip(NEXT) | instid1(VALU_DEP_1)
	v_lshlrev_b64 v[2:3], 3, v[2:3]
	v_add_co_u32 v2, s0, s12, v2
	s_delay_alu instid0(VALU_DEP_1)
	v_add_co_ci_u32_e64 v3, s0, s13, v3, s0
	global_load_b64 v[12:13], v[2:3], off
.LBB510_4:
	s_or_b32 exec_lo, exec_lo, s1
	v_mov_b32_e32 v10, 0
	v_mov_b32_e32 v11, 0
	s_mov_b32 s1, exec_lo
	s_delay_alu instid0(VALU_DEP_1)
	v_dual_mov_b32 v15, v11 :: v_dual_mov_b32 v14, v10
	v_cmpx_gt_i32_e64 s14, v1
	s_cbranch_execnz .LBB510_8
; %bb.5:
	s_or_b32 exec_lo, exec_lo, s1
	s_delay_alu instid0(SALU_CYCLE_1)
	s_mov_b32 s1, exec_lo
	v_cmpx_gt_i32_e64 s14, v1
	s_cbranch_execnz .LBB510_9
.LBB510_6:
	s_or_b32 exec_lo, exec_lo, s1
                                        ; implicit-def: $vgpr1_vgpr2_vgpr3_vgpr4_vgpr5_vgpr6_vgpr7_vgpr8
	s_and_saveexec_b32 s1, vcc_lo
	s_cbranch_execnz .LBB510_10
.LBB510_7:
	s_or_b32 exec_lo, exec_lo, s1
	s_delay_alu instid0(SALU_CYCLE_1)
	s_mov_b32 s1, exec_lo
	v_cmpx_gt_i32_e64 s14, v18
	s_cbranch_execnz .LBB510_15
	s_branch .LBB510_20
.LBB510_8:
	v_dual_mov_b32 v3, 0 :: v_dual_add_nc_u32 v2, s3, v1
	v_add_nc_u32_e32 v1, 0x100, v1
	s_delay_alu instid0(VALU_DEP_2) | instskip(NEXT) | instid1(VALU_DEP_1)
	v_lshlrev_b64 v[2:3], 3, v[2:3]
	v_add_co_u32 v2, s0, s12, v2
	s_delay_alu instid0(VALU_DEP_1) | instskip(SKIP_2) | instid1(SALU_CYCLE_1)
	v_add_co_ci_u32_e64 v3, s0, s13, v3, s0
	global_load_b64 v[14:15], v[2:3], off
	s_or_b32 exec_lo, exec_lo, s1
	s_mov_b32 s1, exec_lo
	v_cmpx_gt_i32_e64 s14, v1
	s_cbranch_execz .LBB510_6
.LBB510_9:
	v_dual_mov_b32 v2, 0 :: v_dual_add_nc_u32 v1, s3, v1
	s_delay_alu instid0(VALU_DEP_1) | instskip(NEXT) | instid1(VALU_DEP_1)
	v_lshlrev_b64 v[1:2], 3, v[1:2]
	v_add_co_u32 v1, s0, s12, v1
	s_delay_alu instid0(VALU_DEP_1)
	v_add_co_ci_u32_e64 v2, s0, s13, v2, s0
	global_load_b64 v[10:11], v[1:2], off
	s_or_b32 exec_lo, exec_lo, s1
                                        ; implicit-def: $vgpr1_vgpr2_vgpr3_vgpr4_vgpr5_vgpr6_vgpr7_vgpr8
	s_and_saveexec_b32 s1, vcc_lo
	s_cbranch_execz .LBB510_7
.LBB510_10:
	s_waitcnt lgkmcnt(0)
	v_dual_mov_b32 v1, s4 :: v_dual_mov_b32 v2, s5
	s_mov_b32 s2, exec_lo
	s_waitcnt vmcnt(0)
	v_cmpx_o_f64_e32 v[16:17], v[16:17]
	s_cbranch_execz .LBB510_14
; %bb.11:
	v_dual_mov_b32 v1, s6 :: v_dual_mov_b32 v2, s7
	s_mov_b32 s12, exec_lo
	v_cmpx_neq_f64_e32 0x7ff00000, v[16:17]
; %bb.12:
	v_cmp_eq_f64_e64 s0, 0xfff00000, v[16:17]
	s_delay_alu instid0(VALU_DEP_1)
	v_cndmask_b32_e64 v2, v17, s9, s0
	v_cndmask_b32_e64 v1, v16, s8, s0
; %bb.13:
	s_or_b32 exec_lo, exec_lo, s12
.LBB510_14:
	s_delay_alu instid0(SALU_CYCLE_1) | instskip(NEXT) | instid1(SALU_CYCLE_1)
	s_or_b32 exec_lo, exec_lo, s2
	s_or_b32 exec_lo, exec_lo, s1
	s_delay_alu instid0(SALU_CYCLE_1)
	s_mov_b32 s1, exec_lo
	v_cmpx_gt_i32_e64 s14, v18
	s_cbranch_execz .LBB510_20
.LBB510_15:
	s_waitcnt lgkmcnt(0)
	v_dual_mov_b32 v3, s4 :: v_dual_mov_b32 v4, s5
	s_mov_b32 s2, exec_lo
	s_waitcnt vmcnt(0)
	v_cmpx_o_f64_e32 v[12:13], v[12:13]
	s_cbranch_execz .LBB510_19
; %bb.16:
	v_dual_mov_b32 v3, s6 :: v_dual_mov_b32 v4, s7
	s_mov_b32 s12, exec_lo
	v_cmpx_neq_f64_e32 0x7ff00000, v[12:13]
; %bb.17:
	v_cmp_eq_f64_e64 s0, 0xfff00000, v[12:13]
	s_delay_alu instid0(VALU_DEP_1)
	v_cndmask_b32_e64 v4, v13, s9, s0
	v_cndmask_b32_e64 v3, v12, s8, s0
; %bb.18:
	s_or_b32 exec_lo, exec_lo, s12
.LBB510_19:
	s_delay_alu instid0(SALU_CYCLE_1)
	s_or_b32 exec_lo, exec_lo, s2
.LBB510_20:
	s_delay_alu instid0(SALU_CYCLE_1) | instskip(SKIP_3) | instid1(VALU_DEP_1)
	s_or_b32 exec_lo, exec_lo, s1
	s_waitcnt vmcnt(0)
	v_or_b32_e32 v12, 0x200, v0
	s_mov_b32 s1, exec_lo
	v_cmpx_gt_i32_e64 s14, v12
	s_cbranch_execz .LBB510_26
; %bb.21:
	s_waitcnt lgkmcnt(0)
	v_dual_mov_b32 v6, s5 :: v_dual_mov_b32 v5, s4
	s_mov_b32 s2, exec_lo
	v_cmpx_o_f64_e32 v[14:15], v[14:15]
	s_cbranch_execz .LBB510_25
; %bb.22:
	v_dual_mov_b32 v5, s6 :: v_dual_mov_b32 v6, s7
	s_mov_b32 s12, exec_lo
	v_cmpx_neq_f64_e32 0x7ff00000, v[14:15]
; %bb.23:
	v_cmp_eq_f64_e64 s0, 0xfff00000, v[14:15]
	s_delay_alu instid0(VALU_DEP_1)
	v_cndmask_b32_e64 v6, v15, s9, s0
	v_cndmask_b32_e64 v5, v14, s8, s0
; %bb.24:
	s_or_b32 exec_lo, exec_lo, s12
.LBB510_25:
	s_delay_alu instid0(SALU_CYCLE_1)
	s_or_b32 exec_lo, exec_lo, s2
.LBB510_26:
	s_delay_alu instid0(SALU_CYCLE_1) | instskip(SKIP_2) | instid1(VALU_DEP_1)
	s_or_b32 exec_lo, exec_lo, s1
	v_or_b32_e32 v12, 0x300, v0
	s_mov_b32 s1, exec_lo
	v_cmpx_gt_i32_e64 s14, v12
	s_cbranch_execnz .LBB510_32
; %bb.27:
	s_or_b32 exec_lo, exec_lo, s1
	s_and_saveexec_b32 s0, vcc_lo
	s_delay_alu instid0(SALU_CYCLE_1)
	s_xor_b32 s0, exec_lo, s0
	s_cbranch_execnz .LBB510_37
.LBB510_28:
	s_or_b32 exec_lo, exec_lo, s0
	s_delay_alu instid0(SALU_CYCLE_1)
	s_mov_b32 s0, exec_lo
	v_cmpx_gt_i32_e64 s14, v0
	s_cbranch_execnz .LBB510_38
.LBB510_29:
	s_or_b32 exec_lo, exec_lo, s0
	s_delay_alu instid0(SALU_CYCLE_1)
	s_mov_b32 s0, exec_lo
	v_cmpx_gt_i32_e64 s14, v0
	s_cbranch_execnz .LBB510_39
.LBB510_30:
	s_or_b32 exec_lo, exec_lo, s0
	s_delay_alu instid0(SALU_CYCLE_1)
	s_mov_b32 s0, exec_lo
	v_cmpx_gt_i32_e64 s14, v0
	s_cbranch_execnz .LBB510_40
.LBB510_31:
	s_nop 0
	s_sendmsg sendmsg(MSG_DEALLOC_VGPRS)
	s_endpgm
.LBB510_32:
	s_waitcnt lgkmcnt(0)
	v_dual_mov_b32 v8, s5 :: v_dual_mov_b32 v7, s4
	s_mov_b32 s2, exec_lo
	v_cmpx_o_f64_e32 v[10:11], v[10:11]
	s_cbranch_execz .LBB510_36
; %bb.33:
	v_dual_mov_b32 v8, s7 :: v_dual_mov_b32 v7, s6
	s_mov_b32 s4, exec_lo
	v_cmpx_neq_f64_e32 0x7ff00000, v[10:11]
; %bb.34:
	v_cmp_eq_f64_e64 s0, 0xfff00000, v[10:11]
	s_delay_alu instid0(VALU_DEP_1)
	v_cndmask_b32_e64 v8, v11, s9, s0
	v_cndmask_b32_e64 v7, v10, s8, s0
; %bb.35:
	s_or_b32 exec_lo, exec_lo, s4
.LBB510_36:
	s_delay_alu instid0(SALU_CYCLE_1) | instskip(NEXT) | instid1(SALU_CYCLE_1)
	s_or_b32 exec_lo, exec_lo, s2
	s_or_b32 exec_lo, exec_lo, s1
	s_and_saveexec_b32 s0, vcc_lo
	s_delay_alu instid0(SALU_CYCLE_1)
	s_xor_b32 s0, exec_lo, s0
	s_cbranch_execz .LBB510_28
.LBB510_37:
	v_mov_b32_e32 v10, 0
	v_mov_b32_e32 v0, v18
	s_delay_alu instid0(VALU_DEP_2) | instskip(SKIP_1) | instid1(VALU_DEP_1)
	v_lshlrev_b64 v[9:10], 3, v[9:10]
	s_waitcnt lgkmcnt(0)
	v_add_co_u32 v9, vcc_lo, s10, v9
	s_delay_alu instid0(VALU_DEP_2) | instskip(SKIP_2) | instid1(SALU_CYCLE_1)
	v_add_co_ci_u32_e32 v10, vcc_lo, s11, v10, vcc_lo
	global_store_b64 v[9:10], v[1:2], off
	s_or_b32 exec_lo, exec_lo, s0
	s_mov_b32 s0, exec_lo
	v_cmpx_gt_i32_e64 s14, v0
	s_cbranch_execz .LBB510_29
.LBB510_38:
	v_dual_mov_b32 v2, 0 :: v_dual_add_nc_u32 v1, s3, v0
	v_add_nc_u32_e32 v0, 0x100, v0
	s_delay_alu instid0(VALU_DEP_2) | instskip(SKIP_1) | instid1(VALU_DEP_1)
	v_lshlrev_b64 v[1:2], 3, v[1:2]
	s_waitcnt lgkmcnt(0)
	v_add_co_u32 v1, vcc_lo, s10, v1
	s_delay_alu instid0(VALU_DEP_2) | instskip(SKIP_2) | instid1(SALU_CYCLE_1)
	v_add_co_ci_u32_e32 v2, vcc_lo, s11, v2, vcc_lo
	global_store_b64 v[1:2], v[3:4], off
	s_or_b32 exec_lo, exec_lo, s0
	s_mov_b32 s0, exec_lo
	v_cmpx_gt_i32_e64 s14, v0
	s_cbranch_execz .LBB510_30
.LBB510_39:
	v_dual_mov_b32 v2, 0 :: v_dual_add_nc_u32 v1, s3, v0
	v_add_nc_u32_e32 v0, 0x100, v0
	s_delay_alu instid0(VALU_DEP_2) | instskip(SKIP_1) | instid1(VALU_DEP_1)
	v_lshlrev_b64 v[1:2], 3, v[1:2]
	s_waitcnt lgkmcnt(0)
	v_add_co_u32 v1, vcc_lo, s10, v1
	s_delay_alu instid0(VALU_DEP_2) | instskip(SKIP_2) | instid1(SALU_CYCLE_1)
	v_add_co_ci_u32_e32 v2, vcc_lo, s11, v2, vcc_lo
	global_store_b64 v[1:2], v[5:6], off
	s_or_b32 exec_lo, exec_lo, s0
	s_mov_b32 s0, exec_lo
	v_cmpx_gt_i32_e64 s14, v0
	s_cbranch_execz .LBB510_31
.LBB510_40:
	v_dual_mov_b32 v1, 0 :: v_dual_add_nc_u32 v0, s3, v0
	s_delay_alu instid0(VALU_DEP_1) | instskip(SKIP_1) | instid1(VALU_DEP_1)
	v_lshlrev_b64 v[0:1], 3, v[0:1]
	s_waitcnt lgkmcnt(0)
	v_add_co_u32 v0, vcc_lo, s10, v0
	s_delay_alu instid0(VALU_DEP_2)
	v_add_co_ci_u32_e32 v1, vcc_lo, s11, v1, vcc_lo
	global_store_b64 v[0:1], v[7:8], off
	s_nop 0
	s_sendmsg sendmsg(MSG_DEALLOC_VGPRS)
	s_endpgm
	.section	.rodata,"a",@progbits
	.p2align	6, 0x0
	.amdhsa_kernel _ZN2at6native27unrolled_elementwise_kernelIZZZNS0_22nan_to_num_kernel_cudaERNS_18TensorIteratorBaseESt8optionalIdES5_S5_ENKUlvE0_clEvENKUlvE_clEvEUldE_St5arrayIPcLm2EELi4E23TrivialOffsetCalculatorILi1EjESD_NS0_6memory15LoadWithoutCastENSE_16StoreWithoutCastEEEviT_T0_T2_T3_T4_T5_
		.amdhsa_group_segment_fixed_size 0
		.amdhsa_private_segment_fixed_size 0
		.amdhsa_kernarg_size 52
		.amdhsa_user_sgpr_count 15
		.amdhsa_user_sgpr_dispatch_ptr 0
		.amdhsa_user_sgpr_queue_ptr 0
		.amdhsa_user_sgpr_kernarg_segment_ptr 1
		.amdhsa_user_sgpr_dispatch_id 0
		.amdhsa_user_sgpr_private_segment_size 0
		.amdhsa_wavefront_size32 1
		.amdhsa_uses_dynamic_stack 0
		.amdhsa_enable_private_segment 0
		.amdhsa_system_sgpr_workgroup_id_x 1
		.amdhsa_system_sgpr_workgroup_id_y 0
		.amdhsa_system_sgpr_workgroup_id_z 0
		.amdhsa_system_sgpr_workgroup_info 0
		.amdhsa_system_vgpr_workitem_id 0
		.amdhsa_next_free_vgpr 19
		.amdhsa_next_free_sgpr 16
		.amdhsa_reserve_vcc 1
		.amdhsa_float_round_mode_32 0
		.amdhsa_float_round_mode_16_64 0
		.amdhsa_float_denorm_mode_32 3
		.amdhsa_float_denorm_mode_16_64 3
		.amdhsa_dx10_clamp 1
		.amdhsa_ieee_mode 1
		.amdhsa_fp16_overflow 0
		.amdhsa_workgroup_processor_mode 1
		.amdhsa_memory_ordered 1
		.amdhsa_forward_progress 0
		.amdhsa_shared_vgpr_count 0
		.amdhsa_exception_fp_ieee_invalid_op 0
		.amdhsa_exception_fp_denorm_src 0
		.amdhsa_exception_fp_ieee_div_zero 0
		.amdhsa_exception_fp_ieee_overflow 0
		.amdhsa_exception_fp_ieee_underflow 0
		.amdhsa_exception_fp_ieee_inexact 0
		.amdhsa_exception_int_div_zero 0
	.end_amdhsa_kernel
	.section	.text._ZN2at6native27unrolled_elementwise_kernelIZZZNS0_22nan_to_num_kernel_cudaERNS_18TensorIteratorBaseESt8optionalIdES5_S5_ENKUlvE0_clEvENKUlvE_clEvEUldE_St5arrayIPcLm2EELi4E23TrivialOffsetCalculatorILi1EjESD_NS0_6memory15LoadWithoutCastENSE_16StoreWithoutCastEEEviT_T0_T2_T3_T4_T5_,"axG",@progbits,_ZN2at6native27unrolled_elementwise_kernelIZZZNS0_22nan_to_num_kernel_cudaERNS_18TensorIteratorBaseESt8optionalIdES5_S5_ENKUlvE0_clEvENKUlvE_clEvEUldE_St5arrayIPcLm2EELi4E23TrivialOffsetCalculatorILi1EjESD_NS0_6memory15LoadWithoutCastENSE_16StoreWithoutCastEEEviT_T0_T2_T3_T4_T5_,comdat
.Lfunc_end510:
	.size	_ZN2at6native27unrolled_elementwise_kernelIZZZNS0_22nan_to_num_kernel_cudaERNS_18TensorIteratorBaseESt8optionalIdES5_S5_ENKUlvE0_clEvENKUlvE_clEvEUldE_St5arrayIPcLm2EELi4E23TrivialOffsetCalculatorILi1EjESD_NS0_6memory15LoadWithoutCastENSE_16StoreWithoutCastEEEviT_T0_T2_T3_T4_T5_, .Lfunc_end510-_ZN2at6native27unrolled_elementwise_kernelIZZZNS0_22nan_to_num_kernel_cudaERNS_18TensorIteratorBaseESt8optionalIdES5_S5_ENKUlvE0_clEvENKUlvE_clEvEUldE_St5arrayIPcLm2EELi4E23TrivialOffsetCalculatorILi1EjESD_NS0_6memory15LoadWithoutCastENSE_16StoreWithoutCastEEEviT_T0_T2_T3_T4_T5_
                                        ; -- End function
	.section	.AMDGPU.csdata,"",@progbits
; Kernel info:
; codeLenInByte = 1316
; NumSgprs: 18
; NumVgprs: 19
; ScratchSize: 0
; MemoryBound: 0
; FloatMode: 240
; IeeeMode: 1
; LDSByteSize: 0 bytes/workgroup (compile time only)
; SGPRBlocks: 2
; VGPRBlocks: 2
; NumSGPRsForWavesPerEU: 18
; NumVGPRsForWavesPerEU: 19
; Occupancy: 16
; WaveLimiterHint : 0
; COMPUTE_PGM_RSRC2:SCRATCH_EN: 0
; COMPUTE_PGM_RSRC2:USER_SGPR: 15
; COMPUTE_PGM_RSRC2:TRAP_HANDLER: 0
; COMPUTE_PGM_RSRC2:TGID_X_EN: 1
; COMPUTE_PGM_RSRC2:TGID_Y_EN: 0
; COMPUTE_PGM_RSRC2:TGID_Z_EN: 0
; COMPUTE_PGM_RSRC2:TIDIG_COMP_CNT: 0
	.section	.text._ZN2at6native32elementwise_kernel_manual_unrollILi128ELi4EZNS0_22gpu_kernel_impl_nocastIZZZNS0_22nan_to_num_kernel_cudaERNS_18TensorIteratorBaseESt8optionalIdES6_S6_ENKUlvE0_clEvENKUlvE_clEvEUldE_EEvS4_RKT_EUlibE_EEviT1_,"axG",@progbits,_ZN2at6native32elementwise_kernel_manual_unrollILi128ELi4EZNS0_22gpu_kernel_impl_nocastIZZZNS0_22nan_to_num_kernel_cudaERNS_18TensorIteratorBaseESt8optionalIdES6_S6_ENKUlvE0_clEvENKUlvE_clEvEUldE_EEvS4_RKT_EUlibE_EEviT1_,comdat
	.globl	_ZN2at6native32elementwise_kernel_manual_unrollILi128ELi4EZNS0_22gpu_kernel_impl_nocastIZZZNS0_22nan_to_num_kernel_cudaERNS_18TensorIteratorBaseESt8optionalIdES6_S6_ENKUlvE0_clEvENKUlvE_clEvEUldE_EEvS4_RKT_EUlibE_EEviT1_ ; -- Begin function _ZN2at6native32elementwise_kernel_manual_unrollILi128ELi4EZNS0_22gpu_kernel_impl_nocastIZZZNS0_22nan_to_num_kernel_cudaERNS_18TensorIteratorBaseESt8optionalIdES6_S6_ENKUlvE0_clEvENKUlvE_clEvEUldE_EEvS4_RKT_EUlibE_EEviT1_
	.p2align	8
	.type	_ZN2at6native32elementwise_kernel_manual_unrollILi128ELi4EZNS0_22gpu_kernel_impl_nocastIZZZNS0_22nan_to_num_kernel_cudaERNS_18TensorIteratorBaseESt8optionalIdES6_S6_ENKUlvE0_clEvENKUlvE_clEvEUldE_EEvS4_RKT_EUlibE_EEviT1_,@function
_ZN2at6native32elementwise_kernel_manual_unrollILi128ELi4EZNS0_22gpu_kernel_impl_nocastIZZZNS0_22nan_to_num_kernel_cudaERNS_18TensorIteratorBaseESt8optionalIdES6_S6_ENKUlvE0_clEvENKUlvE_clEvEUldE_EEvS4_RKT_EUlibE_EEviT1_: ; @_ZN2at6native32elementwise_kernel_manual_unrollILi128ELi4EZNS0_22gpu_kernel_impl_nocastIZZZNS0_22nan_to_num_kernel_cudaERNS_18TensorIteratorBaseESt8optionalIdES6_S6_ENKUlvE0_clEvENKUlvE_clEvEUldE_EEvS4_RKT_EUlibE_EEviT1_
; %bb.0:
	s_clause 0x1
	s_load_b32 s28, s[0:1], 0x8
	s_load_b32 s34, s[0:1], 0x0
	v_lshl_or_b32 v5, s15, 9, v0
	s_or_b32 s0, s0, 8
	s_mov_b32 s2, exec_lo
	s_delay_alu instid0(VALU_DEP_1) | instskip(SKIP_2) | instid1(SALU_CYCLE_1)
	v_or_b32_e32 v8, 0x180, v5
	s_waitcnt lgkmcnt(0)
	s_add_i32 s29, s28, -1
	s_cmp_gt_u32 s29, 1
	s_cselect_b32 s30, -1, 0
	v_cmpx_le_i32_e64 s34, v8
	s_xor_b32 s31, exec_lo, s2
	s_cbranch_execz .LBB511_7
; %bb.1:
	s_clause 0x4
	s_load_b128 s[16:19], s[0:1], 0x4
	s_load_b64 s[20:21], s[0:1], 0x14
	s_load_b128 s[12:15], s[0:1], 0xc4
	s_load_b64 s[2:3], s[0:1], 0x168
	s_load_b256 s[4:11], s[0:1], 0x148
	s_cmp_lg_u32 s28, 0
	s_mov_b32 s37, exec_lo
	s_cselect_b32 s36, -1, 0
	s_add_u32 s22, s0, 0xc4
	s_addc_u32 s23, s1, 0
	s_min_u32 s35, s29, 15
	s_cmp_gt_u32 s28, 1
	s_cselect_b32 s33, -1, 0
	v_cmpx_gt_i32_e64 s34, v5
	s_cbranch_execz .LBB511_14
; %bb.2:
	s_and_not1_b32 vcc_lo, exec_lo, s30
	s_cbranch_vccnz .LBB511_21
; %bb.3:
	v_dual_mov_b32 v0, 0 :: v_dual_mov_b32 v1, 0
	s_and_not1_b32 vcc_lo, exec_lo, s36
	s_mov_b32 s38, 0
	s_cbranch_vccnz .LBB511_89
; %bb.4:
	v_mov_b32_e32 v0, 0
	s_add_i32 s40, s35, 1
	s_cmp_eq_u32 s29, 2
	s_mov_b32 s39, 0
	s_cbranch_scc1 .LBB511_85
; %bb.5:
	v_dual_mov_b32 v1, 0 :: v_dual_mov_b32 v0, 0
	v_mov_b32_e32 v2, v5
	s_and_b32 s39, s40, 28
	s_mov_b32 s41, 0
	s_mov_b64 s[24:25], s[22:23]
	s_mov_b64 s[26:27], s[0:1]
.LBB511_6:                              ; =>This Inner Loop Header: Depth=1
	s_clause 0x1
	s_load_b256 s[44:51], s[26:27], 0x4
	s_load_b128 s[60:63], s[26:27], 0x24
	s_load_b256 s[52:59], s[24:25], 0x0
	s_add_u32 s26, s26, 48
	s_addc_u32 s27, s27, 0
	s_add_i32 s41, s41, 4
	s_add_u32 s24, s24, 32
	s_addc_u32 s25, s25, 0
	s_cmp_lg_u32 s39, s41
	s_waitcnt lgkmcnt(0)
	v_mul_hi_u32 v3, s45, v2
	s_delay_alu instid0(VALU_DEP_1) | instskip(NEXT) | instid1(VALU_DEP_1)
	v_add_nc_u32_e32 v3, v2, v3
	v_lshrrev_b32_e32 v3, s46, v3
	s_delay_alu instid0(VALU_DEP_1) | instskip(SKIP_1) | instid1(VALU_DEP_2)
	v_mul_hi_u32 v4, s48, v3
	v_mul_lo_u32 v7, v3, s44
	v_add_nc_u32_e32 v4, v3, v4
	s_delay_alu instid0(VALU_DEP_2) | instskip(NEXT) | instid1(VALU_DEP_2)
	v_sub_nc_u32_e32 v2, v2, v7
	v_lshrrev_b32_e32 v4, s49, v4
	s_delay_alu instid0(VALU_DEP_2) | instskip(SKIP_1) | instid1(VALU_DEP_3)
	v_mul_lo_u32 v7, v2, s52
	v_mul_lo_u32 v9, v2, s53
	v_mul_hi_u32 v6, s51, v4
	s_delay_alu instid0(VALU_DEP_1) | instskip(NEXT) | instid1(VALU_DEP_1)
	v_add_nc_u32_e32 v6, v4, v6
	v_lshrrev_b32_e32 v6, s60, v6
	s_delay_alu instid0(VALU_DEP_1) | instskip(SKIP_1) | instid1(VALU_DEP_2)
	v_mul_hi_u32 v8, s62, v6
	v_mul_lo_u32 v10, v6, s50
	v_add_nc_u32_e32 v2, v6, v8
	v_mul_lo_u32 v8, v4, s47
	s_delay_alu instid0(VALU_DEP_3) | instskip(NEXT) | instid1(VALU_DEP_3)
	v_sub_nc_u32_e32 v4, v4, v10
	v_lshrrev_b32_e32 v2, s63, v2
	s_delay_alu instid0(VALU_DEP_2) | instskip(SKIP_2) | instid1(VALU_DEP_4)
	v_mul_lo_u32 v10, v4, s56
	v_mul_lo_u32 v4, v4, s57
	v_sub_nc_u32_e32 v3, v3, v8
	v_mul_lo_u32 v11, v2, s61
	s_delay_alu instid0(VALU_DEP_2) | instskip(SKIP_1) | instid1(VALU_DEP_3)
	v_mul_lo_u32 v8, v3, s54
	v_mul_lo_u32 v3, v3, s55
	v_sub_nc_u32_e32 v6, v6, v11
	s_delay_alu instid0(VALU_DEP_3) | instskip(NEXT) | instid1(VALU_DEP_2)
	v_add3_u32 v0, v7, v0, v8
	v_mul_lo_u32 v11, v6, s58
	v_mul_lo_u32 v6, v6, s59
	v_add3_u32 v1, v9, v1, v3
	s_delay_alu instid0(VALU_DEP_3) | instskip(NEXT) | instid1(VALU_DEP_2)
	v_add3_u32 v0, v10, v0, v11
	v_add3_u32 v1, v4, v1, v6
	s_cbranch_scc1 .LBB511_6
	s_branch .LBB511_86
.LBB511_7:
	s_and_not1_saveexec_b32 s2, s31
	s_cbranch_execz .LBB511_118
.LBB511_8:
	v_cndmask_b32_e64 v6, 0, 1, s30
	s_and_not1_b32 vcc_lo, exec_lo, s30
	s_cbranch_vccnz .LBB511_20
; %bb.9:
	v_dual_mov_b32 v0, 0 :: v_dual_mov_b32 v1, 0
	s_cmp_lg_u32 s28, 0
	s_mov_b32 s6, 0
	s_cbranch_scc0 .LBB511_26
; %bb.10:
	s_min_u32 s7, s29, 15
	v_mov_b32_e32 v0, 0
	s_add_i32 s7, s7, 1
	s_cmp_eq_u32 s29, 2
	s_mov_b32 s8, 0
	s_cbranch_scc1 .LBB511_23
; %bb.11:
	v_dual_mov_b32 v1, 0 :: v_dual_mov_b32 v0, 0
	v_mov_b32_e32 v2, v5
	s_add_u32 s2, s0, 0xc4
	s_addc_u32 s3, s1, 0
	s_and_b32 s8, s7, 28
	s_mov_b32 s9, 0
	s_mov_b64 s[4:5], s[0:1]
.LBB511_12:                             ; =>This Inner Loop Header: Depth=1
	s_clause 0x1
	s_load_b256 s[12:19], s[4:5], 0x4
	s_load_b128 s[36:39], s[4:5], 0x24
	s_load_b256 s[20:27], s[2:3], 0x0
	s_add_u32 s4, s4, 48
	s_addc_u32 s5, s5, 0
	s_add_i32 s9, s9, 4
	s_add_u32 s2, s2, 32
	s_addc_u32 s3, s3, 0
	s_cmp_lg_u32 s8, s9
	s_waitcnt lgkmcnt(0)
	v_mul_hi_u32 v3, s13, v2
	s_delay_alu instid0(VALU_DEP_1) | instskip(NEXT) | instid1(VALU_DEP_1)
	v_add_nc_u32_e32 v3, v2, v3
	v_lshrrev_b32_e32 v3, s14, v3
	s_delay_alu instid0(VALU_DEP_1) | instskip(SKIP_1) | instid1(VALU_DEP_2)
	v_mul_hi_u32 v4, s16, v3
	v_mul_lo_u32 v9, v3, s12
	v_add_nc_u32_e32 v4, v3, v4
	s_delay_alu instid0(VALU_DEP_2) | instskip(NEXT) | instid1(VALU_DEP_2)
	v_sub_nc_u32_e32 v2, v2, v9
	v_lshrrev_b32_e32 v4, s17, v4
	s_delay_alu instid0(VALU_DEP_2) | instskip(SKIP_1) | instid1(VALU_DEP_3)
	v_mul_lo_u32 v9, v2, s20
	v_mul_lo_u32 v11, v2, s21
	v_mul_hi_u32 v7, s19, v4
	s_delay_alu instid0(VALU_DEP_1) | instskip(NEXT) | instid1(VALU_DEP_1)
	v_add_nc_u32_e32 v7, v4, v7
	v_lshrrev_b32_e32 v7, s36, v7
	s_delay_alu instid0(VALU_DEP_1) | instskip(SKIP_1) | instid1(VALU_DEP_2)
	v_mul_hi_u32 v10, s38, v7
	v_mul_lo_u32 v12, v7, s18
	v_add_nc_u32_e32 v2, v7, v10
	v_mul_lo_u32 v10, v4, s15
	s_delay_alu instid0(VALU_DEP_3) | instskip(NEXT) | instid1(VALU_DEP_3)
	v_sub_nc_u32_e32 v4, v4, v12
	v_lshrrev_b32_e32 v2, s39, v2
	s_delay_alu instid0(VALU_DEP_2) | instskip(SKIP_2) | instid1(VALU_DEP_4)
	v_mul_lo_u32 v12, v4, s24
	v_mul_lo_u32 v4, v4, s25
	v_sub_nc_u32_e32 v3, v3, v10
	v_mul_lo_u32 v13, v2, s37
	s_delay_alu instid0(VALU_DEP_2) | instskip(SKIP_1) | instid1(VALU_DEP_3)
	v_mul_lo_u32 v10, v3, s22
	v_mul_lo_u32 v3, v3, s23
	v_sub_nc_u32_e32 v7, v7, v13
	s_delay_alu instid0(VALU_DEP_3) | instskip(NEXT) | instid1(VALU_DEP_2)
	v_add3_u32 v0, v9, v0, v10
	v_mul_lo_u32 v13, v7, s26
	v_mul_lo_u32 v7, v7, s27
	v_add3_u32 v1, v11, v1, v3
	s_delay_alu instid0(VALU_DEP_3) | instskip(NEXT) | instid1(VALU_DEP_2)
	v_add3_u32 v0, v12, v0, v13
	v_add3_u32 v1, v4, v1, v7
	s_cbranch_scc1 .LBB511_12
; %bb.13:
	s_and_b32 s7, s7, 3
	s_delay_alu instid0(SALU_CYCLE_1)
	s_cmp_eq_u32 s7, 0
	s_cbranch_scc0 .LBB511_24
	s_branch .LBB511_26
.LBB511_14:
	s_or_b32 exec_lo, exec_lo, s37
	s_delay_alu instid0(SALU_CYCLE_1)
	s_mov_b32 s37, exec_lo
	v_cmpx_gt_i32_e64 s34, v5
	s_cbranch_execz .LBB511_97
.LBB511_15:
	s_and_not1_b32 vcc_lo, exec_lo, s30
	s_cbranch_vccnz .LBB511_22
; %bb.16:
	v_dual_mov_b32 v0, 0 :: v_dual_mov_b32 v1, 0
	s_and_not1_b32 vcc_lo, exec_lo, s36
	s_mov_b32 s38, 0
	s_cbranch_vccnz .LBB511_108
; %bb.17:
	v_mov_b32_e32 v0, 0
	s_add_i32 s40, s35, 1
	s_cmp_eq_u32 s29, 2
	s_mov_b32 s39, 0
	s_cbranch_scc1 .LBB511_104
; %bb.18:
	v_dual_mov_b32 v1, 0 :: v_dual_mov_b32 v0, 0
	v_mov_b32_e32 v2, v5
	s_and_b32 s39, s40, 28
	s_mov_b32 s41, 0
	s_mov_b64 s[24:25], s[22:23]
	s_mov_b64 s[26:27], s[0:1]
.LBB511_19:                             ; =>This Inner Loop Header: Depth=1
	s_clause 0x1
	s_load_b256 s[44:51], s[26:27], 0x4
	s_load_b128 s[60:63], s[26:27], 0x24
	s_load_b256 s[52:59], s[24:25], 0x0
	s_add_u32 s26, s26, 48
	s_addc_u32 s27, s27, 0
	s_add_i32 s41, s41, 4
	s_add_u32 s24, s24, 32
	s_addc_u32 s25, s25, 0
	s_cmp_eq_u32 s39, s41
	s_waitcnt lgkmcnt(0)
	v_mul_hi_u32 v3, s45, v2
	s_delay_alu instid0(VALU_DEP_1) | instskip(NEXT) | instid1(VALU_DEP_1)
	v_add_nc_u32_e32 v3, v2, v3
	v_lshrrev_b32_e32 v3, s46, v3
	s_delay_alu instid0(VALU_DEP_1) | instskip(SKIP_1) | instid1(VALU_DEP_2)
	v_mul_hi_u32 v4, s48, v3
	v_mul_lo_u32 v7, v3, s44
	v_add_nc_u32_e32 v4, v3, v4
	s_delay_alu instid0(VALU_DEP_2) | instskip(NEXT) | instid1(VALU_DEP_2)
	v_sub_nc_u32_e32 v2, v2, v7
	v_lshrrev_b32_e32 v4, s49, v4
	s_delay_alu instid0(VALU_DEP_2) | instskip(SKIP_1) | instid1(VALU_DEP_3)
	v_mul_lo_u32 v7, v2, s52
	v_mul_lo_u32 v9, v2, s53
	v_mul_hi_u32 v6, s51, v4
	s_delay_alu instid0(VALU_DEP_1) | instskip(NEXT) | instid1(VALU_DEP_1)
	v_add_nc_u32_e32 v6, v4, v6
	v_lshrrev_b32_e32 v6, s60, v6
	s_delay_alu instid0(VALU_DEP_1) | instskip(SKIP_1) | instid1(VALU_DEP_2)
	v_mul_hi_u32 v8, s62, v6
	v_mul_lo_u32 v10, v6, s50
	v_add_nc_u32_e32 v2, v6, v8
	v_mul_lo_u32 v8, v4, s47
	s_delay_alu instid0(VALU_DEP_3) | instskip(NEXT) | instid1(VALU_DEP_3)
	v_sub_nc_u32_e32 v4, v4, v10
	v_lshrrev_b32_e32 v2, s63, v2
	s_delay_alu instid0(VALU_DEP_2) | instskip(SKIP_2) | instid1(VALU_DEP_4)
	v_mul_lo_u32 v10, v4, s56
	v_mul_lo_u32 v4, v4, s57
	v_sub_nc_u32_e32 v3, v3, v8
	v_mul_lo_u32 v11, v2, s61
	s_delay_alu instid0(VALU_DEP_2) | instskip(SKIP_1) | instid1(VALU_DEP_3)
	v_mul_lo_u32 v8, v3, s54
	v_mul_lo_u32 v3, v3, s55
	v_sub_nc_u32_e32 v6, v6, v11
	s_delay_alu instid0(VALU_DEP_3) | instskip(NEXT) | instid1(VALU_DEP_2)
	v_add3_u32 v0, v7, v0, v8
	v_mul_lo_u32 v11, v6, s58
	v_mul_lo_u32 v6, v6, s59
	v_add3_u32 v1, v9, v1, v3
	s_delay_alu instid0(VALU_DEP_3) | instskip(NEXT) | instid1(VALU_DEP_2)
	v_add3_u32 v0, v10, v0, v11
	v_add3_u32 v1, v4, v1, v6
	s_cbranch_scc0 .LBB511_19
	s_branch .LBB511_105
.LBB511_20:
	s_mov_b32 s6, -1
                                        ; implicit-def: $vgpr0
                                        ; implicit-def: $vgpr1
	s_branch .LBB511_26
.LBB511_21:
	s_mov_b32 s38, -1
                                        ; implicit-def: $vgpr0
                                        ; implicit-def: $vgpr1
	s_branch .LBB511_89
.LBB511_22:
	s_mov_b32 s38, -1
                                        ; implicit-def: $vgpr0
                                        ; implicit-def: $vgpr1
	s_branch .LBB511_108
.LBB511_23:
	v_dual_mov_b32 v2, v5 :: v_dual_mov_b32 v1, 0
	s_and_b32 s7, s7, 3
	s_delay_alu instid0(SALU_CYCLE_1)
	s_cmp_eq_u32 s7, 0
	s_cbranch_scc1 .LBB511_26
.LBB511_24:
	s_lshl_b32 s2, s8, 3
	s_mul_i32 s4, s8, 12
	s_add_u32 s2, s2, s0
	s_addc_u32 s3, 0, s1
	s_add_u32 s2, s2, 0xc4
	s_addc_u32 s3, s3, 0
	;; [unrolled: 2-line block ×3, first 2 shown]
	.p2align	6
.LBB511_25:                             ; =>This Inner Loop Header: Depth=1
	s_clause 0x1
	s_load_b64 s[8:9], s[4:5], 0x4
	s_load_b32 s12, s[4:5], 0xc
	s_load_b64 s[10:11], s[2:3], 0x0
	s_add_u32 s4, s4, 12
	s_addc_u32 s5, s5, 0
	s_add_u32 s2, s2, 8
	s_addc_u32 s3, s3, 0
	s_add_i32 s7, s7, -1
	s_delay_alu instid0(SALU_CYCLE_1) | instskip(SKIP_2) | instid1(VALU_DEP_1)
	s_cmp_lg_u32 s7, 0
	s_waitcnt lgkmcnt(0)
	v_mul_hi_u32 v3, s9, v2
	v_add_nc_u32_e32 v3, v2, v3
	s_delay_alu instid0(VALU_DEP_1) | instskip(NEXT) | instid1(VALU_DEP_1)
	v_lshrrev_b32_e32 v7, s12, v3
	v_mul_lo_u32 v3, v7, s8
	s_delay_alu instid0(VALU_DEP_1) | instskip(NEXT) | instid1(VALU_DEP_1)
	v_sub_nc_u32_e32 v2, v2, v3
	v_mad_u64_u32 v[3:4], null, v2, s10, v[0:1]
	v_mad_u64_u32 v[9:10], null, v2, s11, v[1:2]
	v_mov_b32_e32 v2, v7
	s_delay_alu instid0(VALU_DEP_2)
	v_dual_mov_b32 v0, v3 :: v_dual_mov_b32 v1, v9
	s_cbranch_scc1 .LBB511_25
.LBB511_26:
	s_and_not1_b32 vcc_lo, exec_lo, s6
	s_cbranch_vccnz .LBB511_29
; %bb.27:
	s_clause 0x1
	s_load_b128 s[4:7], s[0:1], 0x4
	s_load_b64 s[2:3], s[0:1], 0xc4
	s_cmp_lt_u32 s28, 2
	s_waitcnt lgkmcnt(0)
	v_mul_hi_u32 v0, s5, v5
	s_delay_alu instid0(VALU_DEP_1) | instskip(NEXT) | instid1(VALU_DEP_1)
	v_add_nc_u32_e32 v0, v5, v0
	v_lshrrev_b32_e32 v2, s6, v0
	s_delay_alu instid0(VALU_DEP_1) | instskip(NEXT) | instid1(VALU_DEP_1)
	v_mul_lo_u32 v0, v2, s4
	v_sub_nc_u32_e32 v1, v5, v0
	s_delay_alu instid0(VALU_DEP_1)
	v_mul_lo_u32 v0, v1, s2
	v_mul_lo_u32 v1, v1, s3
	s_cbranch_scc1 .LBB511_29
; %bb.28:
	s_clause 0x1
	s_load_b128 s[4:7], s[0:1], 0x10
	s_load_b64 s[2:3], s[0:1], 0xcc
	s_waitcnt lgkmcnt(0)
	v_mul_hi_u32 v3, s5, v2
	s_delay_alu instid0(VALU_DEP_1) | instskip(NEXT) | instid1(VALU_DEP_1)
	v_add_nc_u32_e32 v3, v2, v3
	v_lshrrev_b32_e32 v3, s6, v3
	s_delay_alu instid0(VALU_DEP_1) | instskip(NEXT) | instid1(VALU_DEP_1)
	v_mul_lo_u32 v3, v3, s4
	v_sub_nc_u32_e32 v7, v2, v3
	s_delay_alu instid0(VALU_DEP_1) | instskip(NEXT) | instid1(VALU_DEP_1)
	v_mad_u64_u32 v[2:3], null, v7, s2, v[0:1]
	v_mad_u64_u32 v[3:4], null, v7, s3, v[1:2]
	s_delay_alu instid0(VALU_DEP_1)
	v_dual_mov_b32 v0, v2 :: v_dual_mov_b32 v1, v3
.LBB511_29:
	v_cmp_ne_u32_e32 vcc_lo, 1, v6
	v_add_nc_u32_e32 v4, 0x80, v5
	s_cbranch_vccnz .LBB511_35
; %bb.30:
	v_dual_mov_b32 v2, 0 :: v_dual_mov_b32 v3, 0
	s_cmp_lg_u32 s28, 0
	s_mov_b32 s6, 0
	s_cbranch_scc0 .LBB511_39
; %bb.31:
	s_min_u32 s7, s29, 15
	v_mov_b32_e32 v2, 0
	s_add_i32 s7, s7, 1
	s_cmp_eq_u32 s29, 2
	s_mov_b32 s8, 0
	s_cbranch_scc1 .LBB511_36
; %bb.32:
	v_dual_mov_b32 v3, 0 :: v_dual_mov_b32 v2, 0
	v_mov_b32_e32 v7, v4
	s_add_u32 s2, s0, 0xc4
	s_addc_u32 s3, s1, 0
	s_and_b32 s8, s7, 28
	s_mov_b32 s9, 0
	s_mov_b64 s[4:5], s[0:1]
.LBB511_33:                             ; =>This Inner Loop Header: Depth=1
	s_clause 0x1
	s_load_b256 s[12:19], s[4:5], 0x4
	s_load_b128 s[36:39], s[4:5], 0x24
	s_load_b256 s[20:27], s[2:3], 0x0
	s_add_u32 s4, s4, 48
	s_addc_u32 s5, s5, 0
	s_add_i32 s9, s9, 4
	s_add_u32 s2, s2, 32
	s_addc_u32 s3, s3, 0
	s_cmp_lg_u32 s8, s9
	s_waitcnt lgkmcnt(0)
	v_mul_hi_u32 v9, s13, v7
	s_delay_alu instid0(VALU_DEP_1) | instskip(NEXT) | instid1(VALU_DEP_1)
	v_add_nc_u32_e32 v9, v7, v9
	v_lshrrev_b32_e32 v9, s14, v9
	s_delay_alu instid0(VALU_DEP_1) | instskip(SKIP_1) | instid1(VALU_DEP_2)
	v_mul_hi_u32 v10, s16, v9
	v_mul_lo_u32 v12, v9, s12
	v_add_nc_u32_e32 v10, v9, v10
	s_delay_alu instid0(VALU_DEP_2) | instskip(NEXT) | instid1(VALU_DEP_2)
	v_sub_nc_u32_e32 v7, v7, v12
	v_lshrrev_b32_e32 v10, s17, v10
	s_delay_alu instid0(VALU_DEP_2) | instskip(SKIP_1) | instid1(VALU_DEP_3)
	v_mul_lo_u32 v12, v7, s20
	v_mul_lo_u32 v14, v7, s21
	v_mul_hi_u32 v11, s19, v10
	s_delay_alu instid0(VALU_DEP_1) | instskip(NEXT) | instid1(VALU_DEP_1)
	v_add_nc_u32_e32 v11, v10, v11
	v_lshrrev_b32_e32 v11, s36, v11
	s_delay_alu instid0(VALU_DEP_1) | instskip(SKIP_1) | instid1(VALU_DEP_2)
	v_mul_hi_u32 v13, s38, v11
	v_mul_lo_u32 v15, v11, s18
	v_add_nc_u32_e32 v7, v11, v13
	v_mul_lo_u32 v13, v10, s15
	s_delay_alu instid0(VALU_DEP_3) | instskip(NEXT) | instid1(VALU_DEP_3)
	v_sub_nc_u32_e32 v10, v10, v15
	v_lshrrev_b32_e32 v7, s39, v7
	s_delay_alu instid0(VALU_DEP_2) | instskip(SKIP_2) | instid1(VALU_DEP_4)
	v_mul_lo_u32 v15, v10, s24
	v_mul_lo_u32 v10, v10, s25
	v_sub_nc_u32_e32 v9, v9, v13
	v_mul_lo_u32 v16, v7, s37
	s_delay_alu instid0(VALU_DEP_2) | instskip(SKIP_1) | instid1(VALU_DEP_3)
	v_mul_lo_u32 v13, v9, s22
	v_mul_lo_u32 v9, v9, s23
	v_sub_nc_u32_e32 v11, v11, v16
	s_delay_alu instid0(VALU_DEP_3) | instskip(NEXT) | instid1(VALU_DEP_2)
	v_add3_u32 v2, v12, v2, v13
	v_mul_lo_u32 v16, v11, s26
	v_mul_lo_u32 v11, v11, s27
	v_add3_u32 v3, v14, v3, v9
	s_delay_alu instid0(VALU_DEP_3) | instskip(NEXT) | instid1(VALU_DEP_2)
	v_add3_u32 v2, v15, v2, v16
	v_add3_u32 v3, v10, v3, v11
	s_cbranch_scc1 .LBB511_33
; %bb.34:
	s_and_b32 s7, s7, 3
	s_delay_alu instid0(SALU_CYCLE_1)
	s_cmp_eq_u32 s7, 0
	s_cbranch_scc0 .LBB511_37
	s_branch .LBB511_39
.LBB511_35:
	s_mov_b32 s6, -1
                                        ; implicit-def: $vgpr2
                                        ; implicit-def: $vgpr3
	s_branch .LBB511_39
.LBB511_36:
	v_mov_b32_e32 v7, v4
	v_mov_b32_e32 v3, 0
	s_and_b32 s7, s7, 3
	s_delay_alu instid0(SALU_CYCLE_1)
	s_cmp_eq_u32 s7, 0
	s_cbranch_scc1 .LBB511_39
.LBB511_37:
	s_lshl_b32 s2, s8, 3
	s_mul_i32 s4, s8, 12
	s_add_u32 s2, s2, s0
	s_addc_u32 s3, 0, s1
	s_add_u32 s2, s2, 0xc4
	s_addc_u32 s3, s3, 0
	;; [unrolled: 2-line block ×3, first 2 shown]
	.p2align	6
.LBB511_38:                             ; =>This Inner Loop Header: Depth=1
	s_clause 0x1
	s_load_b64 s[8:9], s[4:5], 0x4
	s_load_b32 s12, s[4:5], 0xc
	s_load_b64 s[10:11], s[2:3], 0x0
	s_add_u32 s4, s4, 12
	s_addc_u32 s5, s5, 0
	s_add_u32 s2, s2, 8
	s_addc_u32 s3, s3, 0
	s_add_i32 s7, s7, -1
	s_delay_alu instid0(SALU_CYCLE_1) | instskip(SKIP_2) | instid1(VALU_DEP_1)
	s_cmp_lg_u32 s7, 0
	s_waitcnt lgkmcnt(0)
	v_mul_hi_u32 v9, s9, v7
	v_add_nc_u32_e32 v9, v7, v9
	s_delay_alu instid0(VALU_DEP_1) | instskip(NEXT) | instid1(VALU_DEP_1)
	v_lshrrev_b32_e32 v12, s12, v9
	v_mul_lo_u32 v9, v12, s8
	s_delay_alu instid0(VALU_DEP_1) | instskip(NEXT) | instid1(VALU_DEP_1)
	v_sub_nc_u32_e32 v7, v7, v9
	v_mad_u64_u32 v[9:10], null, v7, s10, v[2:3]
	v_mad_u64_u32 v[10:11], null, v7, s11, v[3:4]
	s_delay_alu instid0(VALU_DEP_2) | instskip(NEXT) | instid1(VALU_DEP_2)
	v_dual_mov_b32 v7, v12 :: v_dual_mov_b32 v2, v9
	v_mov_b32_e32 v3, v10
	s_cbranch_scc1 .LBB511_38
.LBB511_39:
	s_and_not1_b32 vcc_lo, exec_lo, s6
	s_cbranch_vccnz .LBB511_42
; %bb.40:
	s_clause 0x1
	s_load_b128 s[4:7], s[0:1], 0x4
	s_load_b64 s[2:3], s[0:1], 0xc4
	s_cmp_lt_u32 s28, 2
	s_waitcnt lgkmcnt(0)
	v_mul_hi_u32 v2, s5, v4
	s_delay_alu instid0(VALU_DEP_1) | instskip(NEXT) | instid1(VALU_DEP_1)
	v_add_nc_u32_e32 v2, v4, v2
	v_lshrrev_b32_e32 v7, s6, v2
	s_delay_alu instid0(VALU_DEP_1) | instskip(NEXT) | instid1(VALU_DEP_1)
	v_mul_lo_u32 v2, v7, s4
	v_sub_nc_u32_e32 v3, v4, v2
	s_delay_alu instid0(VALU_DEP_1)
	v_mul_lo_u32 v2, v3, s2
	v_mul_lo_u32 v3, v3, s3
	s_cbranch_scc1 .LBB511_42
; %bb.41:
	s_clause 0x1
	s_load_b128 s[4:7], s[0:1], 0x10
	s_load_b64 s[2:3], s[0:1], 0xcc
	s_waitcnt lgkmcnt(0)
	v_mul_hi_u32 v4, s5, v7
	s_delay_alu instid0(VALU_DEP_1) | instskip(NEXT) | instid1(VALU_DEP_1)
	v_add_nc_u32_e32 v4, v7, v4
	v_lshrrev_b32_e32 v4, s6, v4
	s_delay_alu instid0(VALU_DEP_1) | instskip(NEXT) | instid1(VALU_DEP_1)
	v_mul_lo_u32 v4, v4, s4
	v_sub_nc_u32_e32 v4, v7, v4
	s_delay_alu instid0(VALU_DEP_1) | instskip(SKIP_1) | instid1(VALU_DEP_1)
	v_mad_u64_u32 v[9:10], null, v4, s2, v[2:3]
	v_mad_u64_u32 v[10:11], null, v4, s3, v[3:4]
	v_dual_mov_b32 v2, v9 :: v_dual_mov_b32 v3, v10
.LBB511_42:
	v_cmp_ne_u32_e32 vcc_lo, 1, v6
	v_add_nc_u32_e32 v7, 0x100, v5
	s_cbranch_vccnz .LBB511_48
; %bb.43:
	v_dual_mov_b32 v4, 0 :: v_dual_mov_b32 v5, 0
	s_cmp_lg_u32 s28, 0
	s_mov_b32 s6, 0
	s_cbranch_scc0 .LBB511_52
; %bb.44:
	s_min_u32 s7, s29, 15
	v_mov_b32_e32 v4, 0
	s_add_i32 s7, s7, 1
	s_cmp_eq_u32 s29, 2
	s_mov_b32 s8, 0
	s_cbranch_scc1 .LBB511_49
; %bb.45:
	v_dual_mov_b32 v5, 0 :: v_dual_mov_b32 v4, 0
	v_mov_b32_e32 v9, v7
	s_add_u32 s2, s0, 0xc4
	s_addc_u32 s3, s1, 0
	s_and_b32 s8, s7, 28
	s_mov_b32 s9, 0
	s_mov_b64 s[4:5], s[0:1]
.LBB511_46:                             ; =>This Inner Loop Header: Depth=1
	s_clause 0x1
	s_load_b256 s[12:19], s[4:5], 0x4
	s_load_b128 s[36:39], s[4:5], 0x24
	s_load_b256 s[20:27], s[2:3], 0x0
	s_add_u32 s4, s4, 48
	s_addc_u32 s5, s5, 0
	s_add_i32 s9, s9, 4
	s_add_u32 s2, s2, 32
	s_addc_u32 s3, s3, 0
	s_cmp_lg_u32 s8, s9
	s_waitcnt lgkmcnt(0)
	v_mul_hi_u32 v10, s13, v9
	s_delay_alu instid0(VALU_DEP_1) | instskip(NEXT) | instid1(VALU_DEP_1)
	v_add_nc_u32_e32 v10, v9, v10
	v_lshrrev_b32_e32 v10, s14, v10
	s_delay_alu instid0(VALU_DEP_1) | instskip(SKIP_1) | instid1(VALU_DEP_2)
	v_mul_hi_u32 v11, s16, v10
	v_mul_lo_u32 v13, v10, s12
	v_add_nc_u32_e32 v11, v10, v11
	s_delay_alu instid0(VALU_DEP_2) | instskip(NEXT) | instid1(VALU_DEP_2)
	v_sub_nc_u32_e32 v9, v9, v13
	v_lshrrev_b32_e32 v11, s17, v11
	s_delay_alu instid0(VALU_DEP_2) | instskip(SKIP_1) | instid1(VALU_DEP_3)
	v_mul_lo_u32 v13, v9, s20
	v_mul_lo_u32 v15, v9, s21
	v_mul_hi_u32 v12, s19, v11
	s_delay_alu instid0(VALU_DEP_1) | instskip(NEXT) | instid1(VALU_DEP_1)
	v_add_nc_u32_e32 v12, v11, v12
	v_lshrrev_b32_e32 v12, s36, v12
	s_delay_alu instid0(VALU_DEP_1) | instskip(SKIP_1) | instid1(VALU_DEP_2)
	v_mul_hi_u32 v14, s38, v12
	v_mul_lo_u32 v16, v12, s18
	v_add_nc_u32_e32 v9, v12, v14
	v_mul_lo_u32 v14, v11, s15
	s_delay_alu instid0(VALU_DEP_3) | instskip(NEXT) | instid1(VALU_DEP_3)
	v_sub_nc_u32_e32 v11, v11, v16
	v_lshrrev_b32_e32 v9, s39, v9
	s_delay_alu instid0(VALU_DEP_2) | instskip(SKIP_2) | instid1(VALU_DEP_4)
	v_mul_lo_u32 v16, v11, s24
	v_mul_lo_u32 v11, v11, s25
	v_sub_nc_u32_e32 v10, v10, v14
	v_mul_lo_u32 v17, v9, s37
	s_delay_alu instid0(VALU_DEP_2) | instskip(SKIP_1) | instid1(VALU_DEP_3)
	v_mul_lo_u32 v14, v10, s22
	v_mul_lo_u32 v10, v10, s23
	v_sub_nc_u32_e32 v12, v12, v17
	s_delay_alu instid0(VALU_DEP_3) | instskip(NEXT) | instid1(VALU_DEP_2)
	v_add3_u32 v4, v13, v4, v14
	v_mul_lo_u32 v17, v12, s26
	v_mul_lo_u32 v12, v12, s27
	v_add3_u32 v5, v15, v5, v10
	s_delay_alu instid0(VALU_DEP_3) | instskip(NEXT) | instid1(VALU_DEP_2)
	v_add3_u32 v4, v16, v4, v17
	v_add3_u32 v5, v11, v5, v12
	s_cbranch_scc1 .LBB511_46
; %bb.47:
	s_and_b32 s7, s7, 3
	s_delay_alu instid0(SALU_CYCLE_1)
	s_cmp_eq_u32 s7, 0
	s_cbranch_scc0 .LBB511_50
	s_branch .LBB511_52
.LBB511_48:
	s_mov_b32 s6, -1
                                        ; implicit-def: $vgpr4
                                        ; implicit-def: $vgpr5
	s_branch .LBB511_52
.LBB511_49:
	v_mov_b32_e32 v9, v7
	v_mov_b32_e32 v5, 0
	s_and_b32 s7, s7, 3
	s_delay_alu instid0(SALU_CYCLE_1)
	s_cmp_eq_u32 s7, 0
	s_cbranch_scc1 .LBB511_52
.LBB511_50:
	s_lshl_b32 s2, s8, 3
	s_mul_i32 s4, s8, 12
	s_add_u32 s2, s2, s0
	s_addc_u32 s3, 0, s1
	s_add_u32 s2, s2, 0xc4
	s_addc_u32 s3, s3, 0
	;; [unrolled: 2-line block ×3, first 2 shown]
	.p2align	6
.LBB511_51:                             ; =>This Inner Loop Header: Depth=1
	s_clause 0x1
	s_load_b64 s[8:9], s[4:5], 0x4
	s_load_b32 s12, s[4:5], 0xc
	s_load_b64 s[10:11], s[2:3], 0x0
	s_add_u32 s4, s4, 12
	s_addc_u32 s5, s5, 0
	s_add_u32 s2, s2, 8
	s_addc_u32 s3, s3, 0
	s_add_i32 s7, s7, -1
	s_delay_alu instid0(SALU_CYCLE_1) | instskip(SKIP_2) | instid1(VALU_DEP_1)
	s_cmp_lg_u32 s7, 0
	s_waitcnt lgkmcnt(0)
	v_mul_hi_u32 v10, s9, v9
	v_add_nc_u32_e32 v10, v9, v10
	s_delay_alu instid0(VALU_DEP_1) | instskip(NEXT) | instid1(VALU_DEP_1)
	v_lshrrev_b32_e32 v13, s12, v10
	v_mul_lo_u32 v10, v13, s8
	s_delay_alu instid0(VALU_DEP_1) | instskip(NEXT) | instid1(VALU_DEP_1)
	v_sub_nc_u32_e32 v9, v9, v10
	v_mad_u64_u32 v[10:11], null, v9, s10, v[4:5]
	v_mad_u64_u32 v[11:12], null, v9, s11, v[5:6]
	s_delay_alu instid0(VALU_DEP_2) | instskip(NEXT) | instid1(VALU_DEP_2)
	v_dual_mov_b32 v9, v13 :: v_dual_mov_b32 v4, v10
	v_mov_b32_e32 v5, v11
	s_cbranch_scc1 .LBB511_51
.LBB511_52:
	s_and_not1_b32 vcc_lo, exec_lo, s6
	s_cbranch_vccnz .LBB511_55
; %bb.53:
	s_clause 0x1
	s_load_b128 s[4:7], s[0:1], 0x4
	s_load_b64 s[2:3], s[0:1], 0xc4
	s_cmp_lt_u32 s28, 2
	s_waitcnt lgkmcnt(0)
	v_mul_hi_u32 v4, s5, v7
	s_delay_alu instid0(VALU_DEP_1) | instskip(NEXT) | instid1(VALU_DEP_1)
	v_add_nc_u32_e32 v4, v7, v4
	v_lshrrev_b32_e32 v9, s6, v4
	s_delay_alu instid0(VALU_DEP_1) | instskip(NEXT) | instid1(VALU_DEP_1)
	v_mul_lo_u32 v4, v9, s4
	v_sub_nc_u32_e32 v5, v7, v4
	s_delay_alu instid0(VALU_DEP_1)
	v_mul_lo_u32 v4, v5, s2
	v_mul_lo_u32 v5, v5, s3
	s_cbranch_scc1 .LBB511_55
; %bb.54:
	s_clause 0x1
	s_load_b128 s[4:7], s[0:1], 0x10
	s_load_b64 s[2:3], s[0:1], 0xcc
	s_waitcnt lgkmcnt(0)
	v_mul_hi_u32 v7, s5, v9
	s_delay_alu instid0(VALU_DEP_1) | instskip(NEXT) | instid1(VALU_DEP_1)
	v_add_nc_u32_e32 v7, v9, v7
	v_lshrrev_b32_e32 v7, s6, v7
	s_delay_alu instid0(VALU_DEP_1) | instskip(NEXT) | instid1(VALU_DEP_1)
	v_mul_lo_u32 v7, v7, s4
	v_sub_nc_u32_e32 v7, v9, v7
	s_delay_alu instid0(VALU_DEP_1) | instskip(SKIP_1) | instid1(VALU_DEP_1)
	v_mad_u64_u32 v[9:10], null, v7, s2, v[4:5]
	v_mad_u64_u32 v[10:11], null, v7, s3, v[5:6]
	v_dual_mov_b32 v4, v9 :: v_dual_mov_b32 v5, v10
.LBB511_55:
	v_cmp_ne_u32_e32 vcc_lo, 1, v6
	s_cbranch_vccnz .LBB511_61
; %bb.56:
	v_dual_mov_b32 v6, 0 :: v_dual_mov_b32 v7, 0
	s_cmp_lg_u32 s28, 0
	s_mov_b32 s6, 0
	s_cbranch_scc0 .LBB511_65
; %bb.57:
	s_min_u32 s7, s29, 15
	v_mov_b32_e32 v6, 0
	s_add_i32 s7, s7, 1
	s_cmp_eq_u32 s29, 2
	s_mov_b32 s8, 0
	s_cbranch_scc1 .LBB511_62
; %bb.58:
	v_dual_mov_b32 v7, 0 :: v_dual_mov_b32 v6, 0
	v_mov_b32_e32 v9, v8
	s_add_u32 s2, s0, 0xc4
	s_addc_u32 s3, s1, 0
	s_and_b32 s8, s7, 28
	s_mov_b32 s9, 0
	s_mov_b64 s[4:5], s[0:1]
.LBB511_59:                             ; =>This Inner Loop Header: Depth=1
	s_clause 0x1
	s_load_b256 s[12:19], s[4:5], 0x4
	s_load_b128 s[36:39], s[4:5], 0x24
	s_load_b256 s[20:27], s[2:3], 0x0
	s_add_u32 s4, s4, 48
	s_addc_u32 s5, s5, 0
	s_add_i32 s9, s9, 4
	s_add_u32 s2, s2, 32
	s_addc_u32 s3, s3, 0
	s_cmp_lg_u32 s8, s9
	s_waitcnt lgkmcnt(0)
	v_mul_hi_u32 v10, s13, v9
	s_delay_alu instid0(VALU_DEP_1) | instskip(NEXT) | instid1(VALU_DEP_1)
	v_add_nc_u32_e32 v10, v9, v10
	v_lshrrev_b32_e32 v10, s14, v10
	s_delay_alu instid0(VALU_DEP_1) | instskip(SKIP_1) | instid1(VALU_DEP_2)
	v_mul_hi_u32 v11, s16, v10
	v_mul_lo_u32 v13, v10, s12
	v_add_nc_u32_e32 v11, v10, v11
	s_delay_alu instid0(VALU_DEP_2) | instskip(NEXT) | instid1(VALU_DEP_2)
	v_sub_nc_u32_e32 v9, v9, v13
	v_lshrrev_b32_e32 v11, s17, v11
	s_delay_alu instid0(VALU_DEP_2) | instskip(SKIP_1) | instid1(VALU_DEP_3)
	v_mul_lo_u32 v13, v9, s20
	v_mul_lo_u32 v15, v9, s21
	v_mul_hi_u32 v12, s19, v11
	s_delay_alu instid0(VALU_DEP_1) | instskip(NEXT) | instid1(VALU_DEP_1)
	v_add_nc_u32_e32 v12, v11, v12
	v_lshrrev_b32_e32 v12, s36, v12
	s_delay_alu instid0(VALU_DEP_1) | instskip(SKIP_1) | instid1(VALU_DEP_2)
	v_mul_hi_u32 v14, s38, v12
	v_mul_lo_u32 v16, v12, s18
	v_add_nc_u32_e32 v9, v12, v14
	v_mul_lo_u32 v14, v11, s15
	s_delay_alu instid0(VALU_DEP_3) | instskip(NEXT) | instid1(VALU_DEP_3)
	v_sub_nc_u32_e32 v11, v11, v16
	v_lshrrev_b32_e32 v9, s39, v9
	s_delay_alu instid0(VALU_DEP_2) | instskip(SKIP_2) | instid1(VALU_DEP_4)
	v_mul_lo_u32 v16, v11, s24
	v_mul_lo_u32 v11, v11, s25
	v_sub_nc_u32_e32 v10, v10, v14
	v_mul_lo_u32 v17, v9, s37
	s_delay_alu instid0(VALU_DEP_2) | instskip(SKIP_1) | instid1(VALU_DEP_3)
	v_mul_lo_u32 v14, v10, s22
	v_mul_lo_u32 v10, v10, s23
	v_sub_nc_u32_e32 v12, v12, v17
	s_delay_alu instid0(VALU_DEP_3) | instskip(NEXT) | instid1(VALU_DEP_2)
	v_add3_u32 v6, v13, v6, v14
	v_mul_lo_u32 v17, v12, s26
	v_mul_lo_u32 v12, v12, s27
	v_add3_u32 v7, v15, v7, v10
	s_delay_alu instid0(VALU_DEP_3) | instskip(NEXT) | instid1(VALU_DEP_2)
	v_add3_u32 v6, v16, v6, v17
	v_add3_u32 v7, v11, v7, v12
	s_cbranch_scc1 .LBB511_59
; %bb.60:
	s_and_b32 s7, s7, 3
	s_delay_alu instid0(SALU_CYCLE_1)
	s_cmp_eq_u32 s7, 0
	s_cbranch_scc0 .LBB511_63
	s_branch .LBB511_65
.LBB511_61:
	s_mov_b32 s6, -1
                                        ; implicit-def: $vgpr6
                                        ; implicit-def: $vgpr7
	s_branch .LBB511_65
.LBB511_62:
	v_mov_b32_e32 v9, v8
	v_mov_b32_e32 v7, 0
	s_and_b32 s7, s7, 3
	s_delay_alu instid0(SALU_CYCLE_1)
	s_cmp_eq_u32 s7, 0
	s_cbranch_scc1 .LBB511_65
.LBB511_63:
	s_lshl_b32 s2, s8, 3
	s_mul_i32 s4, s8, 12
	s_add_u32 s2, s2, s0
	s_addc_u32 s3, 0, s1
	s_add_u32 s2, s2, 0xc4
	s_addc_u32 s3, s3, 0
	;; [unrolled: 2-line block ×3, first 2 shown]
	.p2align	6
.LBB511_64:                             ; =>This Inner Loop Header: Depth=1
	s_clause 0x1
	s_load_b64 s[8:9], s[4:5], 0x4
	s_load_b32 s12, s[4:5], 0xc
	s_load_b64 s[10:11], s[2:3], 0x0
	s_add_u32 s4, s4, 12
	s_addc_u32 s5, s5, 0
	s_add_u32 s2, s2, 8
	s_addc_u32 s3, s3, 0
	s_add_i32 s7, s7, -1
	s_delay_alu instid0(SALU_CYCLE_1) | instskip(SKIP_2) | instid1(VALU_DEP_1)
	s_cmp_lg_u32 s7, 0
	s_waitcnt lgkmcnt(0)
	v_mul_hi_u32 v10, s9, v9
	v_add_nc_u32_e32 v10, v9, v10
	s_delay_alu instid0(VALU_DEP_1) | instskip(NEXT) | instid1(VALU_DEP_1)
	v_lshrrev_b32_e32 v13, s12, v10
	v_mul_lo_u32 v10, v13, s8
	s_delay_alu instid0(VALU_DEP_1) | instskip(NEXT) | instid1(VALU_DEP_1)
	v_sub_nc_u32_e32 v9, v9, v10
	v_mad_u64_u32 v[10:11], null, v9, s10, v[6:7]
	v_mad_u64_u32 v[11:12], null, v9, s11, v[7:8]
	s_delay_alu instid0(VALU_DEP_2) | instskip(NEXT) | instid1(VALU_DEP_2)
	v_dual_mov_b32 v9, v13 :: v_dual_mov_b32 v6, v10
	v_mov_b32_e32 v7, v11
	s_cbranch_scc1 .LBB511_64
.LBB511_65:
	s_and_not1_b32 vcc_lo, exec_lo, s6
	s_cbranch_vccnz .LBB511_68
; %bb.66:
	s_clause 0x1
	s_load_b128 s[4:7], s[0:1], 0x4
	s_load_b64 s[2:3], s[0:1], 0xc4
	s_cmp_lt_u32 s28, 2
	s_waitcnt lgkmcnt(0)
	v_mul_hi_u32 v6, s5, v8
	s_delay_alu instid0(VALU_DEP_1) | instskip(NEXT) | instid1(VALU_DEP_1)
	v_add_nc_u32_e32 v6, v8, v6
	v_lshrrev_b32_e32 v9, s6, v6
	s_delay_alu instid0(VALU_DEP_1) | instskip(NEXT) | instid1(VALU_DEP_1)
	v_mul_lo_u32 v6, v9, s4
	v_sub_nc_u32_e32 v7, v8, v6
	s_delay_alu instid0(VALU_DEP_1)
	v_mul_lo_u32 v6, v7, s2
	v_mul_lo_u32 v7, v7, s3
	s_cbranch_scc1 .LBB511_68
; %bb.67:
	s_clause 0x1
	s_load_b128 s[4:7], s[0:1], 0x10
	s_load_b64 s[2:3], s[0:1], 0xcc
	s_waitcnt lgkmcnt(0)
	v_mul_hi_u32 v8, s5, v9
	s_delay_alu instid0(VALU_DEP_1) | instskip(NEXT) | instid1(VALU_DEP_1)
	v_add_nc_u32_e32 v8, v9, v8
	v_lshrrev_b32_e32 v8, s6, v8
	s_delay_alu instid0(VALU_DEP_1) | instskip(NEXT) | instid1(VALU_DEP_1)
	v_mul_lo_u32 v8, v8, s4
	v_sub_nc_u32_e32 v11, v9, v8
	s_delay_alu instid0(VALU_DEP_1) | instskip(NEXT) | instid1(VALU_DEP_1)
	v_mad_u64_u32 v[8:9], null, v11, s2, v[6:7]
	v_mad_u64_u32 v[9:10], null, v11, s3, v[7:8]
	s_delay_alu instid0(VALU_DEP_1)
	v_dual_mov_b32 v6, v8 :: v_dual_mov_b32 v7, v9
.LBB511_68:
	s_clause 0x1
	s_load_b128 s[4:7], s[0:1], 0x148
	s_load_b64 s[2:3], s[0:1], 0x158
	s_mov_b32 s8, exec_lo
	s_waitcnt lgkmcnt(0)
	global_load_b64 v[10:11], v1, s[6:7]
	v_dual_mov_b32 v9, s3 :: v_dual_mov_b32 v8, s2
	s_waitcnt vmcnt(0)
	v_cmpx_o_f64_e32 v[10:11], v[10:11]
	s_cbranch_execz .LBB511_72
; %bb.69:
	s_load_b64 s[10:11], s[0:1], 0x160
	s_mov_b32 s9, exec_lo
	s_waitcnt lgkmcnt(0)
	v_dual_mov_b32 v8, s10 :: v_dual_mov_b32 v9, s11
	v_cmpx_neq_f64_e32 0x7ff00000, v[10:11]
	s_cbranch_execz .LBB511_71
; %bb.70:
	v_cmp_eq_f64_e32 vcc_lo, 0xfff00000, v[10:11]
	s_load_b64 s[10:11], s[0:1], 0x168
	s_waitcnt lgkmcnt(0)
	v_cndmask_b32_e64 v9, v11, s11, vcc_lo
	v_cndmask_b32_e64 v8, v10, s10, vcc_lo
.LBB511_71:
	s_or_b32 exec_lo, exec_lo, s9
.LBB511_72:
	s_delay_alu instid0(SALU_CYCLE_1)
	s_or_b32 exec_lo, exec_lo, s8
	global_load_b64 v[12:13], v3, s[6:7]
	v_dual_mov_b32 v11, s3 :: v_dual_mov_b32 v10, s2
	s_mov_b32 s8, exec_lo
	s_waitcnt vmcnt(0)
	v_cmpx_o_f64_e32 v[12:13], v[12:13]
	s_cbranch_execz .LBB511_76
; %bb.73:
	s_load_b64 s[10:11], s[0:1], 0x160
	s_mov_b32 s9, exec_lo
	s_waitcnt lgkmcnt(0)
	v_dual_mov_b32 v10, s10 :: v_dual_mov_b32 v11, s11
	v_cmpx_neq_f64_e32 0x7ff00000, v[12:13]
	s_cbranch_execz .LBB511_75
; %bb.74:
	v_cmp_eq_f64_e32 vcc_lo, 0xfff00000, v[12:13]
	s_load_b64 s[10:11], s[0:1], 0x168
	s_waitcnt lgkmcnt(0)
	v_cndmask_b32_e64 v11, v13, s11, vcc_lo
	v_cndmask_b32_e64 v10, v12, s10, vcc_lo
.LBB511_75:
	s_or_b32 exec_lo, exec_lo, s9
.LBB511_76:
	s_delay_alu instid0(SALU_CYCLE_1)
	s_or_b32 exec_lo, exec_lo, s8
	global_load_b64 v[14:15], v5, s[6:7]
	v_dual_mov_b32 v13, s3 :: v_dual_mov_b32 v12, s2
	s_mov_b32 s8, exec_lo
	;; [unrolled: 24-line block ×3, first 2 shown]
	s_waitcnt vmcnt(0)
	v_cmpx_o_f64_e32 v[16:17], v[16:17]
	s_cbranch_execz .LBB511_84
; %bb.81:
	s_load_b64 s[6:7], s[0:1], 0x160
	s_mov_b32 s3, exec_lo
	s_waitcnt lgkmcnt(0)
	v_dual_mov_b32 v15, s7 :: v_dual_mov_b32 v14, s6
	v_cmpx_neq_f64_e32 0x7ff00000, v[16:17]
	s_cbranch_execz .LBB511_83
; %bb.82:
	v_cmp_eq_f64_e32 vcc_lo, 0xfff00000, v[16:17]
	s_load_b64 s[0:1], s[0:1], 0x168
	s_waitcnt lgkmcnt(0)
	v_cndmask_b32_e64 v15, v17, s1, vcc_lo
	v_cndmask_b32_e64 v14, v16, s0, vcc_lo
.LBB511_83:
	s_or_b32 exec_lo, exec_lo, s3
.LBB511_84:
	s_delay_alu instid0(SALU_CYCLE_1)
	s_or_b32 exec_lo, exec_lo, s2
	s_clause 0x3
	global_store_b64 v0, v[8:9], s[4:5]
	global_store_b64 v2, v[10:11], s[4:5]
	global_store_b64 v4, v[12:13], s[4:5]
	global_store_b64 v6, v[14:15], s[4:5]
	s_nop 0
	s_sendmsg sendmsg(MSG_DEALLOC_VGPRS)
	s_endpgm
.LBB511_85:
	v_dual_mov_b32 v2, v5 :: v_dual_mov_b32 v1, 0
.LBB511_86:
	s_and_b32 s40, s40, 3
	s_delay_alu instid0(SALU_CYCLE_1)
	s_cmp_eq_u32 s40, 0
	s_cbranch_scc1 .LBB511_89
; %bb.87:
	s_lshl_b32 s24, s39, 3
	s_mul_i32 s26, s39, 12
	s_add_u32 s24, s24, s0
	s_addc_u32 s25, s1, 0
	s_add_u32 s24, s24, 0xc4
	s_addc_u32 s25, s25, 0
	;; [unrolled: 2-line block ×3, first 2 shown]
	.p2align	6
.LBB511_88:                             ; =>This Inner Loop Header: Depth=1
	s_clause 0x1
	s_load_b64 s[42:43], s[26:27], 0x4
	s_load_b32 s39, s[26:27], 0xc
	s_load_b64 s[44:45], s[24:25], 0x0
	s_add_u32 s26, s26, 12
	s_addc_u32 s27, s27, 0
	s_add_u32 s24, s24, 8
	s_addc_u32 s25, s25, 0
	s_add_i32 s40, s40, -1
	s_delay_alu instid0(SALU_CYCLE_1) | instskip(SKIP_2) | instid1(VALU_DEP_1)
	s_cmp_lg_u32 s40, 0
	s_waitcnt lgkmcnt(0)
	v_mul_hi_u32 v3, s43, v2
	v_add_nc_u32_e32 v3, v2, v3
	s_delay_alu instid0(VALU_DEP_1) | instskip(NEXT) | instid1(VALU_DEP_1)
	v_lshrrev_b32_e32 v8, s39, v3
	v_mul_lo_u32 v3, v8, s42
	s_delay_alu instid0(VALU_DEP_1) | instskip(NEXT) | instid1(VALU_DEP_1)
	v_sub_nc_u32_e32 v2, v2, v3
	v_mad_u64_u32 v[3:4], null, v2, s44, v[0:1]
	v_mad_u64_u32 v[6:7], null, v2, s45, v[1:2]
	v_mov_b32_e32 v2, v8
	s_delay_alu instid0(VALU_DEP_2)
	v_dual_mov_b32 v0, v3 :: v_dual_mov_b32 v1, v6
	s_cbranch_scc1 .LBB511_88
.LBB511_89:
	s_and_not1_b32 vcc_lo, exec_lo, s38
	s_cbranch_vccnz .LBB511_92
; %bb.90:
	s_waitcnt lgkmcnt(0)
	v_mul_hi_u32 v0, s17, v5
	s_and_not1_b32 vcc_lo, exec_lo, s33
	s_delay_alu instid0(VALU_DEP_1) | instskip(NEXT) | instid1(VALU_DEP_1)
	v_add_nc_u32_e32 v0, v5, v0
	v_lshrrev_b32_e32 v2, s18, v0
	s_delay_alu instid0(VALU_DEP_1) | instskip(NEXT) | instid1(VALU_DEP_1)
	v_mul_lo_u32 v0, v2, s16
	v_sub_nc_u32_e32 v1, v5, v0
	s_delay_alu instid0(VALU_DEP_1)
	v_mul_lo_u32 v0, v1, s12
	v_mul_lo_u32 v1, v1, s13
	s_cbranch_vccnz .LBB511_92
; %bb.91:
	v_mul_hi_u32 v3, s20, v2
	s_delay_alu instid0(VALU_DEP_1) | instskip(NEXT) | instid1(VALU_DEP_1)
	v_add_nc_u32_e32 v3, v2, v3
	v_lshrrev_b32_e32 v3, s21, v3
	s_delay_alu instid0(VALU_DEP_1) | instskip(NEXT) | instid1(VALU_DEP_1)
	v_mul_lo_u32 v3, v3, s19
	v_sub_nc_u32_e32 v6, v2, v3
	s_delay_alu instid0(VALU_DEP_1) | instskip(NEXT) | instid1(VALU_DEP_1)
	v_mad_u64_u32 v[2:3], null, v6, s14, v[0:1]
	v_mad_u64_u32 v[3:4], null, v6, s15, v[1:2]
	s_delay_alu instid0(VALU_DEP_1)
	v_dual_mov_b32 v0, v2 :: v_dual_mov_b32 v1, v3
.LBB511_92:
	s_waitcnt lgkmcnt(0)
	global_load_b64 v[3:4], v1, s[6:7]
	v_dual_mov_b32 v1, s8 :: v_dual_mov_b32 v2, s9
	s_mov_b32 s24, exec_lo
	s_waitcnt vmcnt(0)
	v_cmpx_o_f64_e32 v[3:4], v[3:4]
	s_cbranch_execz .LBB511_96
; %bb.93:
	v_dual_mov_b32 v1, s10 :: v_dual_mov_b32 v2, s11
	s_mov_b32 s25, exec_lo
	v_cmpx_neq_f64_e32 0x7ff00000, v[3:4]
; %bb.94:
	v_cmp_eq_f64_e32 vcc_lo, 0xfff00000, v[3:4]
	v_cndmask_b32_e64 v2, v4, s3, vcc_lo
	v_cndmask_b32_e64 v1, v3, s2, vcc_lo
; %bb.95:
	s_or_b32 exec_lo, exec_lo, s25
.LBB511_96:
	s_delay_alu instid0(SALU_CYCLE_1) | instskip(SKIP_3) | instid1(SALU_CYCLE_1)
	s_or_b32 exec_lo, exec_lo, s24
	v_add_nc_u32_e32 v5, 0x80, v5
	global_store_b64 v0, v[1:2], s[4:5]
	s_or_b32 exec_lo, exec_lo, s37
	s_mov_b32 s37, exec_lo
	v_cmpx_gt_i32_e64 s34, v5
	s_cbranch_execnz .LBB511_15
.LBB511_97:
	s_or_b32 exec_lo, exec_lo, s37
	s_delay_alu instid0(SALU_CYCLE_1)
	s_mov_b32 s37, exec_lo
	v_cmpx_gt_i32_e64 s34, v5
	s_cbranch_execz .LBB511_116
.LBB511_98:
	s_and_not1_b32 vcc_lo, exec_lo, s30
	s_cbranch_vccnz .LBB511_103
; %bb.99:
	v_dual_mov_b32 v0, 0 :: v_dual_mov_b32 v1, 0
	s_and_not1_b32 vcc_lo, exec_lo, s36
	s_mov_b32 s38, 0
	s_cbranch_vccnz .LBB511_123
; %bb.100:
	v_mov_b32_e32 v0, 0
	s_add_i32 s40, s35, 1
	s_cmp_eq_u32 s29, 2
	s_mov_b32 s39, 0
	s_cbranch_scc1 .LBB511_119
; %bb.101:
	v_dual_mov_b32 v1, 0 :: v_dual_mov_b32 v0, 0
	v_mov_b32_e32 v2, v5
	s_and_b32 s39, s40, 28
	s_mov_b32 s41, 0
	s_mov_b64 s[24:25], s[22:23]
	s_mov_b64 s[26:27], s[0:1]
.LBB511_102:                            ; =>This Inner Loop Header: Depth=1
	s_clause 0x1
	s_load_b256 s[44:51], s[26:27], 0x4
	s_load_b128 s[60:63], s[26:27], 0x24
	s_load_b256 s[52:59], s[24:25], 0x0
	s_add_u32 s26, s26, 48
	s_addc_u32 s27, s27, 0
	s_add_i32 s41, s41, 4
	s_add_u32 s24, s24, 32
	s_addc_u32 s25, s25, 0
	s_cmp_eq_u32 s39, s41
	s_waitcnt lgkmcnt(0)
	v_mul_hi_u32 v3, s45, v2
	s_delay_alu instid0(VALU_DEP_1) | instskip(NEXT) | instid1(VALU_DEP_1)
	v_add_nc_u32_e32 v3, v2, v3
	v_lshrrev_b32_e32 v3, s46, v3
	s_delay_alu instid0(VALU_DEP_1) | instskip(SKIP_1) | instid1(VALU_DEP_2)
	v_mul_hi_u32 v4, s48, v3
	v_mul_lo_u32 v7, v3, s44
	v_add_nc_u32_e32 v4, v3, v4
	s_delay_alu instid0(VALU_DEP_2) | instskip(NEXT) | instid1(VALU_DEP_2)
	v_sub_nc_u32_e32 v2, v2, v7
	v_lshrrev_b32_e32 v4, s49, v4
	s_delay_alu instid0(VALU_DEP_2) | instskip(SKIP_1) | instid1(VALU_DEP_3)
	v_mul_lo_u32 v7, v2, s52
	v_mul_lo_u32 v9, v2, s53
	v_mul_hi_u32 v6, s51, v4
	s_delay_alu instid0(VALU_DEP_1) | instskip(NEXT) | instid1(VALU_DEP_1)
	v_add_nc_u32_e32 v6, v4, v6
	v_lshrrev_b32_e32 v6, s60, v6
	s_delay_alu instid0(VALU_DEP_1) | instskip(SKIP_1) | instid1(VALU_DEP_2)
	v_mul_hi_u32 v8, s62, v6
	v_mul_lo_u32 v10, v6, s50
	v_add_nc_u32_e32 v2, v6, v8
	v_mul_lo_u32 v8, v4, s47
	s_delay_alu instid0(VALU_DEP_3) | instskip(NEXT) | instid1(VALU_DEP_3)
	v_sub_nc_u32_e32 v4, v4, v10
	v_lshrrev_b32_e32 v2, s63, v2
	s_delay_alu instid0(VALU_DEP_2) | instskip(SKIP_2) | instid1(VALU_DEP_4)
	v_mul_lo_u32 v10, v4, s56
	v_mul_lo_u32 v4, v4, s57
	v_sub_nc_u32_e32 v3, v3, v8
	v_mul_lo_u32 v11, v2, s61
	s_delay_alu instid0(VALU_DEP_2) | instskip(SKIP_1) | instid1(VALU_DEP_3)
	v_mul_lo_u32 v8, v3, s54
	v_mul_lo_u32 v3, v3, s55
	v_sub_nc_u32_e32 v6, v6, v11
	s_delay_alu instid0(VALU_DEP_3) | instskip(NEXT) | instid1(VALU_DEP_2)
	v_add3_u32 v0, v7, v0, v8
	v_mul_lo_u32 v11, v6, s58
	v_mul_lo_u32 v6, v6, s59
	v_add3_u32 v1, v9, v1, v3
	s_delay_alu instid0(VALU_DEP_3) | instskip(NEXT) | instid1(VALU_DEP_2)
	v_add3_u32 v0, v10, v0, v11
	v_add3_u32 v1, v4, v1, v6
	s_cbranch_scc0 .LBB511_102
	s_branch .LBB511_120
.LBB511_103:
	s_mov_b32 s38, -1
                                        ; implicit-def: $vgpr0
                                        ; implicit-def: $vgpr1
	s_branch .LBB511_123
.LBB511_104:
	v_dual_mov_b32 v2, v5 :: v_dual_mov_b32 v1, 0
.LBB511_105:
	s_and_b32 s40, s40, 3
	s_delay_alu instid0(SALU_CYCLE_1)
	s_cmp_eq_u32 s40, 0
	s_cbranch_scc1 .LBB511_108
; %bb.106:
	s_lshl_b32 s24, s39, 3
	s_mul_i32 s26, s39, 12
	s_add_u32 s24, s24, s0
	s_addc_u32 s25, s1, 0
	s_add_u32 s24, s24, 0xc4
	s_addc_u32 s25, s25, 0
	;; [unrolled: 2-line block ×3, first 2 shown]
	.p2align	6
.LBB511_107:                            ; =>This Inner Loop Header: Depth=1
	s_clause 0x1
	s_load_b64 s[42:43], s[26:27], 0x4
	s_load_b32 s39, s[26:27], 0xc
	s_load_b64 s[44:45], s[24:25], 0x0
	s_add_u32 s26, s26, 12
	s_addc_u32 s27, s27, 0
	s_add_u32 s24, s24, 8
	s_addc_u32 s25, s25, 0
	s_add_i32 s40, s40, -1
	s_delay_alu instid0(SALU_CYCLE_1) | instskip(SKIP_2) | instid1(VALU_DEP_1)
	s_cmp_lg_u32 s40, 0
	s_waitcnt lgkmcnt(0)
	v_mul_hi_u32 v3, s43, v2
	v_add_nc_u32_e32 v3, v2, v3
	s_delay_alu instid0(VALU_DEP_1) | instskip(NEXT) | instid1(VALU_DEP_1)
	v_lshrrev_b32_e32 v8, s39, v3
	v_mul_lo_u32 v3, v8, s42
	s_delay_alu instid0(VALU_DEP_1) | instskip(NEXT) | instid1(VALU_DEP_1)
	v_sub_nc_u32_e32 v2, v2, v3
	v_mad_u64_u32 v[3:4], null, v2, s44, v[0:1]
	v_mad_u64_u32 v[6:7], null, v2, s45, v[1:2]
	v_mov_b32_e32 v2, v8
	s_delay_alu instid0(VALU_DEP_2)
	v_dual_mov_b32 v0, v3 :: v_dual_mov_b32 v1, v6
	s_cbranch_scc1 .LBB511_107
.LBB511_108:
	s_and_not1_b32 vcc_lo, exec_lo, s38
	s_cbranch_vccnz .LBB511_111
; %bb.109:
	s_waitcnt lgkmcnt(0)
	v_mul_hi_u32 v0, s17, v5
	s_and_not1_b32 vcc_lo, exec_lo, s33
	s_delay_alu instid0(VALU_DEP_1) | instskip(NEXT) | instid1(VALU_DEP_1)
	v_add_nc_u32_e32 v0, v5, v0
	v_lshrrev_b32_e32 v2, s18, v0
	s_delay_alu instid0(VALU_DEP_1) | instskip(NEXT) | instid1(VALU_DEP_1)
	v_mul_lo_u32 v0, v2, s16
	v_sub_nc_u32_e32 v1, v5, v0
	s_delay_alu instid0(VALU_DEP_1)
	v_mul_lo_u32 v0, v1, s12
	v_mul_lo_u32 v1, v1, s13
	s_cbranch_vccnz .LBB511_111
; %bb.110:
	v_mul_hi_u32 v3, s20, v2
	s_delay_alu instid0(VALU_DEP_1) | instskip(NEXT) | instid1(VALU_DEP_1)
	v_add_nc_u32_e32 v3, v2, v3
	v_lshrrev_b32_e32 v3, s21, v3
	s_delay_alu instid0(VALU_DEP_1) | instskip(NEXT) | instid1(VALU_DEP_1)
	v_mul_lo_u32 v3, v3, s19
	v_sub_nc_u32_e32 v6, v2, v3
	s_delay_alu instid0(VALU_DEP_1) | instskip(NEXT) | instid1(VALU_DEP_1)
	v_mad_u64_u32 v[2:3], null, v6, s14, v[0:1]
	v_mad_u64_u32 v[3:4], null, v6, s15, v[1:2]
	s_delay_alu instid0(VALU_DEP_1)
	v_dual_mov_b32 v0, v2 :: v_dual_mov_b32 v1, v3
.LBB511_111:
	s_waitcnt lgkmcnt(0)
	global_load_b64 v[3:4], v1, s[6:7]
	v_dual_mov_b32 v1, s8 :: v_dual_mov_b32 v2, s9
	s_mov_b32 s24, exec_lo
	s_waitcnt vmcnt(0)
	v_cmpx_o_f64_e32 v[3:4], v[3:4]
	s_cbranch_execz .LBB511_115
; %bb.112:
	v_dual_mov_b32 v1, s10 :: v_dual_mov_b32 v2, s11
	s_mov_b32 s25, exec_lo
	v_cmpx_neq_f64_e32 0x7ff00000, v[3:4]
; %bb.113:
	v_cmp_eq_f64_e32 vcc_lo, 0xfff00000, v[3:4]
	v_cndmask_b32_e64 v2, v4, s3, vcc_lo
	v_cndmask_b32_e64 v1, v3, s2, vcc_lo
; %bb.114:
	s_or_b32 exec_lo, exec_lo, s25
.LBB511_115:
	s_delay_alu instid0(SALU_CYCLE_1) | instskip(SKIP_3) | instid1(SALU_CYCLE_1)
	s_or_b32 exec_lo, exec_lo, s24
	v_add_nc_u32_e32 v5, 0x80, v5
	global_store_b64 v0, v[1:2], s[4:5]
	s_or_b32 exec_lo, exec_lo, s37
	s_mov_b32 s37, exec_lo
	v_cmpx_gt_i32_e64 s34, v5
	s_cbranch_execnz .LBB511_98
.LBB511_116:
	s_or_b32 exec_lo, exec_lo, s37
	s_delay_alu instid0(SALU_CYCLE_1)
	s_mov_b32 s26, exec_lo
	v_cmpx_gt_i32_e64 s34, v5
	s_cbranch_execnz .LBB511_131
.LBB511_117:
	s_or_b32 exec_lo, exec_lo, s26
                                        ; implicit-def: $vgpr8
                                        ; implicit-def: $vgpr5
	s_waitcnt lgkmcnt(0)
	s_and_not1_saveexec_b32 s2, s31
	s_cbranch_execnz .LBB511_8
.LBB511_118:
	s_nop 0
	s_sendmsg sendmsg(MSG_DEALLOC_VGPRS)
	s_endpgm
.LBB511_119:
	v_dual_mov_b32 v2, v5 :: v_dual_mov_b32 v1, 0
.LBB511_120:
	s_and_b32 s40, s40, 3
	s_delay_alu instid0(SALU_CYCLE_1)
	s_cmp_eq_u32 s40, 0
	s_cbranch_scc1 .LBB511_123
; %bb.121:
	s_lshl_b32 s24, s39, 3
	s_mul_i32 s26, s39, 12
	s_add_u32 s24, s24, s0
	s_addc_u32 s25, s1, 0
	s_add_u32 s24, s24, 0xc4
	s_addc_u32 s25, s25, 0
	;; [unrolled: 2-line block ×3, first 2 shown]
	.p2align	6
.LBB511_122:                            ; =>This Inner Loop Header: Depth=1
	s_clause 0x1
	s_load_b64 s[42:43], s[26:27], 0x4
	s_load_b32 s39, s[26:27], 0xc
	s_load_b64 s[44:45], s[24:25], 0x0
	s_add_u32 s26, s26, 12
	s_addc_u32 s27, s27, 0
	s_add_u32 s24, s24, 8
	s_addc_u32 s25, s25, 0
	s_add_i32 s40, s40, -1
	s_delay_alu instid0(SALU_CYCLE_1) | instskip(SKIP_2) | instid1(VALU_DEP_1)
	s_cmp_lg_u32 s40, 0
	s_waitcnt lgkmcnt(0)
	v_mul_hi_u32 v3, s43, v2
	v_add_nc_u32_e32 v3, v2, v3
	s_delay_alu instid0(VALU_DEP_1) | instskip(NEXT) | instid1(VALU_DEP_1)
	v_lshrrev_b32_e32 v8, s39, v3
	v_mul_lo_u32 v3, v8, s42
	s_delay_alu instid0(VALU_DEP_1) | instskip(NEXT) | instid1(VALU_DEP_1)
	v_sub_nc_u32_e32 v2, v2, v3
	v_mad_u64_u32 v[3:4], null, v2, s44, v[0:1]
	v_mad_u64_u32 v[6:7], null, v2, s45, v[1:2]
	v_mov_b32_e32 v2, v8
	s_delay_alu instid0(VALU_DEP_2)
	v_dual_mov_b32 v0, v3 :: v_dual_mov_b32 v1, v6
	s_cbranch_scc1 .LBB511_122
.LBB511_123:
	s_and_not1_b32 vcc_lo, exec_lo, s38
	s_cbranch_vccnz .LBB511_126
; %bb.124:
	s_waitcnt lgkmcnt(0)
	v_mul_hi_u32 v0, s17, v5
	s_and_not1_b32 vcc_lo, exec_lo, s33
	s_delay_alu instid0(VALU_DEP_1) | instskip(NEXT) | instid1(VALU_DEP_1)
	v_add_nc_u32_e32 v0, v5, v0
	v_lshrrev_b32_e32 v2, s18, v0
	s_delay_alu instid0(VALU_DEP_1) | instskip(NEXT) | instid1(VALU_DEP_1)
	v_mul_lo_u32 v0, v2, s16
	v_sub_nc_u32_e32 v1, v5, v0
	s_delay_alu instid0(VALU_DEP_1)
	v_mul_lo_u32 v0, v1, s12
	v_mul_lo_u32 v1, v1, s13
	s_cbranch_vccnz .LBB511_126
; %bb.125:
	v_mul_hi_u32 v3, s20, v2
	s_delay_alu instid0(VALU_DEP_1) | instskip(NEXT) | instid1(VALU_DEP_1)
	v_add_nc_u32_e32 v3, v2, v3
	v_lshrrev_b32_e32 v3, s21, v3
	s_delay_alu instid0(VALU_DEP_1) | instskip(NEXT) | instid1(VALU_DEP_1)
	v_mul_lo_u32 v3, v3, s19
	v_sub_nc_u32_e32 v6, v2, v3
	s_delay_alu instid0(VALU_DEP_1) | instskip(NEXT) | instid1(VALU_DEP_1)
	v_mad_u64_u32 v[2:3], null, v6, s14, v[0:1]
	v_mad_u64_u32 v[3:4], null, v6, s15, v[1:2]
	s_delay_alu instid0(VALU_DEP_1)
	v_dual_mov_b32 v0, v2 :: v_dual_mov_b32 v1, v3
.LBB511_126:
	s_waitcnt lgkmcnt(0)
	global_load_b64 v[3:4], v1, s[6:7]
	v_dual_mov_b32 v1, s8 :: v_dual_mov_b32 v2, s9
	s_mov_b32 s24, exec_lo
	s_waitcnt vmcnt(0)
	v_cmpx_o_f64_e32 v[3:4], v[3:4]
	s_cbranch_execz .LBB511_130
; %bb.127:
	v_dual_mov_b32 v1, s10 :: v_dual_mov_b32 v2, s11
	s_mov_b32 s25, exec_lo
	v_cmpx_neq_f64_e32 0x7ff00000, v[3:4]
; %bb.128:
	v_cmp_eq_f64_e32 vcc_lo, 0xfff00000, v[3:4]
	v_cndmask_b32_e64 v2, v4, s3, vcc_lo
	v_cndmask_b32_e64 v1, v3, s2, vcc_lo
; %bb.129:
	s_or_b32 exec_lo, exec_lo, s25
.LBB511_130:
	s_delay_alu instid0(SALU_CYCLE_1) | instskip(SKIP_3) | instid1(SALU_CYCLE_1)
	s_or_b32 exec_lo, exec_lo, s24
	v_add_nc_u32_e32 v5, 0x80, v5
	global_store_b64 v0, v[1:2], s[4:5]
	s_or_b32 exec_lo, exec_lo, s37
	s_mov_b32 s26, exec_lo
	v_cmpx_gt_i32_e64 s34, v5
	s_cbranch_execz .LBB511_117
.LBB511_131:
	s_and_not1_b32 vcc_lo, exec_lo, s30
	s_cbranch_vccnz .LBB511_136
; %bb.132:
	v_dual_mov_b32 v0, 0 :: v_dual_mov_b32 v1, 0
	s_and_not1_b32 vcc_lo, exec_lo, s36
	s_mov_b32 s27, 0
	s_cbranch_vccnz .LBB511_141
; %bb.133:
	v_mov_b32_e32 v0, 0
	s_add_i32 s35, s35, 1
	s_cmp_eq_u32 s29, 2
	s_mov_b32 s34, 0
	s_cbranch_scc1 .LBB511_137
; %bb.134:
	v_dual_mov_b32 v1, 0 :: v_dual_mov_b32 v0, 0
	v_mov_b32_e32 v2, v5
	s_and_b32 s34, s35, 28
	s_mov_b32 s36, 0
	s_mov_b64 s[24:25], s[0:1]
.LBB511_135:                            ; =>This Inner Loop Header: Depth=1
	s_clause 0x1
	s_load_b256 s[40:47], s[24:25], 0x4
	s_load_b128 s[56:59], s[24:25], 0x24
	s_load_b256 s[48:55], s[22:23], 0x0
	s_add_u32 s24, s24, 48
	s_addc_u32 s25, s25, 0
	s_add_i32 s36, s36, 4
	s_add_u32 s22, s22, 32
	s_addc_u32 s23, s23, 0
	s_cmp_eq_u32 s34, s36
	s_waitcnt lgkmcnt(0)
	v_mul_hi_u32 v3, s41, v2
	s_delay_alu instid0(VALU_DEP_1) | instskip(NEXT) | instid1(VALU_DEP_1)
	v_add_nc_u32_e32 v3, v2, v3
	v_lshrrev_b32_e32 v3, s42, v3
	s_delay_alu instid0(VALU_DEP_1) | instskip(SKIP_1) | instid1(VALU_DEP_2)
	v_mul_hi_u32 v4, s44, v3
	v_mul_lo_u32 v7, v3, s40
	v_add_nc_u32_e32 v4, v3, v4
	s_delay_alu instid0(VALU_DEP_2) | instskip(NEXT) | instid1(VALU_DEP_2)
	v_sub_nc_u32_e32 v2, v2, v7
	v_lshrrev_b32_e32 v4, s45, v4
	s_delay_alu instid0(VALU_DEP_2) | instskip(SKIP_1) | instid1(VALU_DEP_3)
	v_mul_lo_u32 v7, v2, s48
	v_mul_lo_u32 v9, v2, s49
	v_mul_hi_u32 v6, s47, v4
	s_delay_alu instid0(VALU_DEP_1) | instskip(NEXT) | instid1(VALU_DEP_1)
	v_add_nc_u32_e32 v6, v4, v6
	v_lshrrev_b32_e32 v6, s56, v6
	s_delay_alu instid0(VALU_DEP_1) | instskip(SKIP_1) | instid1(VALU_DEP_2)
	v_mul_hi_u32 v8, s58, v6
	v_mul_lo_u32 v10, v6, s46
	v_add_nc_u32_e32 v2, v6, v8
	v_mul_lo_u32 v8, v4, s43
	s_delay_alu instid0(VALU_DEP_3) | instskip(NEXT) | instid1(VALU_DEP_3)
	v_sub_nc_u32_e32 v4, v4, v10
	v_lshrrev_b32_e32 v2, s59, v2
	s_delay_alu instid0(VALU_DEP_2) | instskip(SKIP_2) | instid1(VALU_DEP_4)
	v_mul_lo_u32 v10, v4, s52
	v_mul_lo_u32 v4, v4, s53
	v_sub_nc_u32_e32 v3, v3, v8
	v_mul_lo_u32 v11, v2, s57
	s_delay_alu instid0(VALU_DEP_2) | instskip(SKIP_1) | instid1(VALU_DEP_3)
	v_mul_lo_u32 v8, v3, s50
	v_mul_lo_u32 v3, v3, s51
	v_sub_nc_u32_e32 v6, v6, v11
	s_delay_alu instid0(VALU_DEP_3) | instskip(NEXT) | instid1(VALU_DEP_2)
	v_add3_u32 v0, v7, v0, v8
	v_mul_lo_u32 v11, v6, s54
	v_mul_lo_u32 v6, v6, s55
	v_add3_u32 v1, v9, v1, v3
	s_delay_alu instid0(VALU_DEP_3) | instskip(NEXT) | instid1(VALU_DEP_2)
	v_add3_u32 v0, v10, v0, v11
	v_add3_u32 v1, v4, v1, v6
	s_cbranch_scc0 .LBB511_135
	s_branch .LBB511_138
.LBB511_136:
	s_mov_b32 s27, -1
                                        ; implicit-def: $vgpr0
                                        ; implicit-def: $vgpr1
	s_branch .LBB511_141
.LBB511_137:
	v_dual_mov_b32 v2, v5 :: v_dual_mov_b32 v1, 0
.LBB511_138:
	s_and_b32 s35, s35, 3
	s_delay_alu instid0(SALU_CYCLE_1)
	s_cmp_eq_u32 s35, 0
	s_cbranch_scc1 .LBB511_141
; %bb.139:
	s_lshl_b32 s22, s34, 3
	s_mul_i32 s24, s34, 12
	s_add_u32 s22, s22, s0
	s_addc_u32 s23, s1, 0
	s_add_u32 s22, s22, 0xc4
	s_addc_u32 s23, s23, 0
	;; [unrolled: 2-line block ×3, first 2 shown]
	.p2align	6
.LBB511_140:                            ; =>This Inner Loop Header: Depth=1
	s_clause 0x1
	s_load_b64 s[36:37], s[24:25], 0x4
	s_load_b32 s34, s[24:25], 0xc
	s_load_b64 s[38:39], s[22:23], 0x0
	s_add_u32 s24, s24, 12
	s_addc_u32 s25, s25, 0
	s_add_u32 s22, s22, 8
	s_addc_u32 s23, s23, 0
	s_add_i32 s35, s35, -1
	s_delay_alu instid0(SALU_CYCLE_1) | instskip(SKIP_2) | instid1(VALU_DEP_1)
	s_cmp_lg_u32 s35, 0
	s_waitcnt lgkmcnt(0)
	v_mul_hi_u32 v3, s37, v2
	v_add_nc_u32_e32 v3, v2, v3
	s_delay_alu instid0(VALU_DEP_1) | instskip(NEXT) | instid1(VALU_DEP_1)
	v_lshrrev_b32_e32 v8, s34, v3
	v_mul_lo_u32 v3, v8, s36
	s_delay_alu instid0(VALU_DEP_1) | instskip(NEXT) | instid1(VALU_DEP_1)
	v_sub_nc_u32_e32 v2, v2, v3
	v_mad_u64_u32 v[3:4], null, v2, s38, v[0:1]
	v_mad_u64_u32 v[6:7], null, v2, s39, v[1:2]
	v_mov_b32_e32 v2, v8
	s_delay_alu instid0(VALU_DEP_2)
	v_dual_mov_b32 v0, v3 :: v_dual_mov_b32 v1, v6
	s_cbranch_scc1 .LBB511_140
.LBB511_141:
	s_and_not1_b32 vcc_lo, exec_lo, s27
	s_cbranch_vccnz .LBB511_144
; %bb.142:
	s_waitcnt lgkmcnt(0)
	v_mul_hi_u32 v0, s17, v5
	s_and_not1_b32 vcc_lo, exec_lo, s33
	s_delay_alu instid0(VALU_DEP_1) | instskip(NEXT) | instid1(VALU_DEP_1)
	v_add_nc_u32_e32 v0, v5, v0
	v_lshrrev_b32_e32 v2, s18, v0
	s_delay_alu instid0(VALU_DEP_1) | instskip(NEXT) | instid1(VALU_DEP_1)
	v_mul_lo_u32 v0, v2, s16
	v_sub_nc_u32_e32 v1, v5, v0
	s_delay_alu instid0(VALU_DEP_1)
	v_mul_lo_u32 v0, v1, s12
	v_mul_lo_u32 v1, v1, s13
	s_cbranch_vccnz .LBB511_144
; %bb.143:
	v_mul_hi_u32 v3, s20, v2
	s_delay_alu instid0(VALU_DEP_1) | instskip(NEXT) | instid1(VALU_DEP_1)
	v_add_nc_u32_e32 v3, v2, v3
	v_lshrrev_b32_e32 v3, s21, v3
	s_delay_alu instid0(VALU_DEP_1) | instskip(NEXT) | instid1(VALU_DEP_1)
	v_mul_lo_u32 v3, v3, s19
	v_sub_nc_u32_e32 v5, v2, v3
	s_delay_alu instid0(VALU_DEP_1) | instskip(NEXT) | instid1(VALU_DEP_1)
	v_mad_u64_u32 v[2:3], null, v5, s14, v[0:1]
	v_mad_u64_u32 v[3:4], null, v5, s15, v[1:2]
	s_delay_alu instid0(VALU_DEP_1)
	v_dual_mov_b32 v0, v2 :: v_dual_mov_b32 v1, v3
.LBB511_144:
	s_waitcnt lgkmcnt(0)
	global_load_b64 v[3:4], v1, s[6:7]
	v_dual_mov_b32 v1, s8 :: v_dual_mov_b32 v2, s9
	s_mov_b32 s6, exec_lo
	s_waitcnt vmcnt(0)
	v_cmpx_o_f64_e32 v[3:4], v[3:4]
	s_cbranch_execz .LBB511_148
; %bb.145:
	v_dual_mov_b32 v1, s10 :: v_dual_mov_b32 v2, s11
	s_mov_b32 s7, exec_lo
	v_cmpx_neq_f64_e32 0x7ff00000, v[3:4]
; %bb.146:
	v_cmp_eq_f64_e32 vcc_lo, 0xfff00000, v[3:4]
	v_cndmask_b32_e64 v2, v4, s3, vcc_lo
	v_cndmask_b32_e64 v1, v3, s2, vcc_lo
; %bb.147:
	s_or_b32 exec_lo, exec_lo, s7
.LBB511_148:
	s_delay_alu instid0(SALU_CYCLE_1)
	s_or_b32 exec_lo, exec_lo, s6
	global_store_b64 v0, v[1:2], s[4:5]
	s_or_b32 exec_lo, exec_lo, s26
                                        ; implicit-def: $vgpr8
                                        ; implicit-def: $vgpr5
	s_and_not1_saveexec_b32 s2, s31
	s_cbranch_execz .LBB511_118
	s_branch .LBB511_8
	.section	.rodata,"a",@progbits
	.p2align	6, 0x0
	.amdhsa_kernel _ZN2at6native32elementwise_kernel_manual_unrollILi128ELi4EZNS0_22gpu_kernel_impl_nocastIZZZNS0_22nan_to_num_kernel_cudaERNS_18TensorIteratorBaseESt8optionalIdES6_S6_ENKUlvE0_clEvENKUlvE_clEvEUldE_EEvS4_RKT_EUlibE_EEviT1_
		.amdhsa_group_segment_fixed_size 0
		.amdhsa_private_segment_fixed_size 0
		.amdhsa_kernarg_size 376
		.amdhsa_user_sgpr_count 15
		.amdhsa_user_sgpr_dispatch_ptr 0
		.amdhsa_user_sgpr_queue_ptr 0
		.amdhsa_user_sgpr_kernarg_segment_ptr 1
		.amdhsa_user_sgpr_dispatch_id 0
		.amdhsa_user_sgpr_private_segment_size 0
		.amdhsa_wavefront_size32 1
		.amdhsa_uses_dynamic_stack 0
		.amdhsa_enable_private_segment 0
		.amdhsa_system_sgpr_workgroup_id_x 1
		.amdhsa_system_sgpr_workgroup_id_y 0
		.amdhsa_system_sgpr_workgroup_id_z 0
		.amdhsa_system_sgpr_workgroup_info 0
		.amdhsa_system_vgpr_workitem_id 0
		.amdhsa_next_free_vgpr 18
		.amdhsa_next_free_sgpr 64
		.amdhsa_reserve_vcc 1
		.amdhsa_float_round_mode_32 0
		.amdhsa_float_round_mode_16_64 0
		.amdhsa_float_denorm_mode_32 3
		.amdhsa_float_denorm_mode_16_64 3
		.amdhsa_dx10_clamp 1
		.amdhsa_ieee_mode 1
		.amdhsa_fp16_overflow 0
		.amdhsa_workgroup_processor_mode 1
		.amdhsa_memory_ordered 1
		.amdhsa_forward_progress 0
		.amdhsa_shared_vgpr_count 0
		.amdhsa_exception_fp_ieee_invalid_op 0
		.amdhsa_exception_fp_denorm_src 0
		.amdhsa_exception_fp_ieee_div_zero 0
		.amdhsa_exception_fp_ieee_overflow 0
		.amdhsa_exception_fp_ieee_underflow 0
		.amdhsa_exception_fp_ieee_inexact 0
		.amdhsa_exception_int_div_zero 0
	.end_amdhsa_kernel
	.section	.text._ZN2at6native32elementwise_kernel_manual_unrollILi128ELi4EZNS0_22gpu_kernel_impl_nocastIZZZNS0_22nan_to_num_kernel_cudaERNS_18TensorIteratorBaseESt8optionalIdES6_S6_ENKUlvE0_clEvENKUlvE_clEvEUldE_EEvS4_RKT_EUlibE_EEviT1_,"axG",@progbits,_ZN2at6native32elementwise_kernel_manual_unrollILi128ELi4EZNS0_22gpu_kernel_impl_nocastIZZZNS0_22nan_to_num_kernel_cudaERNS_18TensorIteratorBaseESt8optionalIdES6_S6_ENKUlvE0_clEvENKUlvE_clEvEUldE_EEvS4_RKT_EUlibE_EEviT1_,comdat
.Lfunc_end511:
	.size	_ZN2at6native32elementwise_kernel_manual_unrollILi128ELi4EZNS0_22gpu_kernel_impl_nocastIZZZNS0_22nan_to_num_kernel_cudaERNS_18TensorIteratorBaseESt8optionalIdES6_S6_ENKUlvE0_clEvENKUlvE_clEvEUldE_EEvS4_RKT_EUlibE_EEviT1_, .Lfunc_end511-_ZN2at6native32elementwise_kernel_manual_unrollILi128ELi4EZNS0_22gpu_kernel_impl_nocastIZZZNS0_22nan_to_num_kernel_cudaERNS_18TensorIteratorBaseESt8optionalIdES6_S6_ENKUlvE0_clEvENKUlvE_clEvEUldE_EEvS4_RKT_EUlibE_EEviT1_
                                        ; -- End function
	.section	.AMDGPU.csdata,"",@progbits
; Kernel info:
; codeLenInByte = 7504
; NumSgprs: 66
; NumVgprs: 18
; ScratchSize: 0
; MemoryBound: 0
; FloatMode: 240
; IeeeMode: 1
; LDSByteSize: 0 bytes/workgroup (compile time only)
; SGPRBlocks: 8
; VGPRBlocks: 2
; NumSGPRsForWavesPerEU: 66
; NumVGPRsForWavesPerEU: 18
; Occupancy: 16
; WaveLimiterHint : 1
; COMPUTE_PGM_RSRC2:SCRATCH_EN: 0
; COMPUTE_PGM_RSRC2:USER_SGPR: 15
; COMPUTE_PGM_RSRC2:TRAP_HANDLER: 0
; COMPUTE_PGM_RSRC2:TGID_X_EN: 1
; COMPUTE_PGM_RSRC2:TGID_Y_EN: 0
; COMPUTE_PGM_RSRC2:TGID_Z_EN: 0
; COMPUTE_PGM_RSRC2:TIDIG_COMP_CNT: 0
	.section	.text._ZN2at6native32elementwise_kernel_manual_unrollILi128ELi4EZNS0_15gpu_kernel_implIZZZNS0_22nan_to_num_kernel_cudaERNS_18TensorIteratorBaseESt8optionalIdES6_S6_ENKUlvE0_clEvENKUlvE_clEvEUldE_EEvS4_RKT_EUlibE_EEviT1_,"axG",@progbits,_ZN2at6native32elementwise_kernel_manual_unrollILi128ELi4EZNS0_15gpu_kernel_implIZZZNS0_22nan_to_num_kernel_cudaERNS_18TensorIteratorBaseESt8optionalIdES6_S6_ENKUlvE0_clEvENKUlvE_clEvEUldE_EEvS4_RKT_EUlibE_EEviT1_,comdat
	.globl	_ZN2at6native32elementwise_kernel_manual_unrollILi128ELi4EZNS0_15gpu_kernel_implIZZZNS0_22nan_to_num_kernel_cudaERNS_18TensorIteratorBaseESt8optionalIdES6_S6_ENKUlvE0_clEvENKUlvE_clEvEUldE_EEvS4_RKT_EUlibE_EEviT1_ ; -- Begin function _ZN2at6native32elementwise_kernel_manual_unrollILi128ELi4EZNS0_15gpu_kernel_implIZZZNS0_22nan_to_num_kernel_cudaERNS_18TensorIteratorBaseESt8optionalIdES6_S6_ENKUlvE0_clEvENKUlvE_clEvEUldE_EEvS4_RKT_EUlibE_EEviT1_
	.p2align	8
	.type	_ZN2at6native32elementwise_kernel_manual_unrollILi128ELi4EZNS0_15gpu_kernel_implIZZZNS0_22nan_to_num_kernel_cudaERNS_18TensorIteratorBaseESt8optionalIdES6_S6_ENKUlvE0_clEvENKUlvE_clEvEUldE_EEvS4_RKT_EUlibE_EEviT1_,@function
_ZN2at6native32elementwise_kernel_manual_unrollILi128ELi4EZNS0_15gpu_kernel_implIZZZNS0_22nan_to_num_kernel_cudaERNS_18TensorIteratorBaseESt8optionalIdES6_S6_ENKUlvE0_clEvENKUlvE_clEvEUldE_EEvS4_RKT_EUlibE_EEviT1_: ; @_ZN2at6native32elementwise_kernel_manual_unrollILi128ELi4EZNS0_15gpu_kernel_implIZZZNS0_22nan_to_num_kernel_cudaERNS_18TensorIteratorBaseESt8optionalIdES6_S6_ENKUlvE0_clEvENKUlvE_clEvEUldE_EEvS4_RKT_EUlibE_EEviT1_
; %bb.0:
	s_clause 0x5
	s_load_b32 s14, s[0:1], 0x38
	s_load_b32 s18, s[0:1], 0x0
	s_load_b64 s[12:13], s[0:1], 0x30
	s_load_b128 s[4:7], s[0:1], 0x8
	s_load_b64 s[2:3], s[0:1], 0x18
	s_load_b128 s[8:11], s[0:1], 0x20
	v_lshl_or_b32 v12, s15, 9, v0
	s_mov_b32 s15, 0
	s_mov_b32 s17, 0
	s_mov_b32 s0, exec_lo
	s_delay_alu instid0(VALU_DEP_1) | instskip(SKIP_2) | instid1(VALU_DEP_2)
	v_or_b32_e32 v0, 0x180, v12
	s_waitcnt lgkmcnt(0)
	v_lshrrev_b16 v13, 8, s14
	v_cmpx_le_i32_e64 s18, v0
	s_xor_b32 s16, exec_lo, s0
	s_cbranch_execz .LBB512_1048
; %bb.1:
	s_mov_b32 s1, -1
	s_mov_b32 s21, 0
	s_mov_b32 s19, 0
	s_mov_b32 s20, exec_lo
	v_cmpx_gt_i32_e64 s18, v12
	s_cbranch_execz .LBB512_255
; %bb.2:
	v_mul_lo_u32 v0, v12, s3
	v_cmp_gt_i16_e32 vcc_lo, 11, v13
	s_delay_alu instid0(VALU_DEP_2) | instskip(SKIP_1) | instid1(VALU_DEP_1)
	v_ashrrev_i32_e32 v1, 31, v0
	v_add_co_u32 v0, s0, s6, v0
	v_add_co_ci_u32_e64 v1, s0, s7, v1, s0
	s_cbranch_vccnz .LBB512_9
; %bb.3:
	v_cmp_lt_i16_e32 vcc_lo, 25, v13
	s_cbranch_vccz .LBB512_22
; %bb.4:
	v_cmp_lt_i16_e32 vcc_lo, 28, v13
	s_cbranch_vccz .LBB512_25
	;; [unrolled: 3-line block ×4, first 2 shown]
; %bb.7:
	v_cmp_eq_u16_e32 vcc_lo, 46, v13
	s_mov_b32 s1, 0
	s_cbranch_vccz .LBB512_30
; %bb.8:
	global_load_b32 v2, v[0:1], off
	s_mov_b32 s0, -1
	s_waitcnt vmcnt(0)
	v_lshlrev_b32_e32 v2, 16, v2
	s_delay_alu instid0(VALU_DEP_1)
	v_cvt_f64_f32_e32 v[2:3], v2
	s_branch .LBB512_32
.LBB512_9:
	s_mov_b32 s0, 0
                                        ; implicit-def: $vgpr2_vgpr3
	s_and_b32 vcc_lo, exec_lo, s1
	s_cbranch_vccnz .LBB512_205
.LBB512_10:
	s_and_not1_b32 vcc_lo, exec_lo, s0
	s_cbranch_vccnz .LBB512_252
.LBB512_11:
	v_dual_mov_b32 v0, s8 :: v_dual_mov_b32 v1, s9
	s_mov_b32 s0, exec_lo
	s_waitcnt vmcnt(0)
	s_delay_alu instid0(VALU_DEP_2)
	v_cmpx_o_f64_e32 v[2:3], v[2:3]
	s_cbranch_execz .LBB512_15
; %bb.12:
	v_dual_mov_b32 v0, s10 :: v_dual_mov_b32 v1, s11
	s_mov_b32 s1, exec_lo
	v_cmpx_neq_f64_e32 0x7ff00000, v[2:3]
; %bb.13:
	v_cmp_eq_f64_e32 vcc_lo, 0xfff00000, v[2:3]
	v_cndmask_b32_e64 v1, v3, s13, vcc_lo
	v_cndmask_b32_e64 v0, v2, s12, vcc_lo
; %bb.14:
	s_or_b32 exec_lo, exec_lo, s1
.LBB512_15:
	s_delay_alu instid0(SALU_CYCLE_1) | instskip(SKIP_2) | instid1(VALU_DEP_1)
	s_or_b32 exec_lo, exec_lo, s0
	v_mul_lo_u32 v2, v12, s2
	v_and_b32_e64 v6, 0xff, s14
	v_cmp_gt_i16_e32 vcc_lo, 11, v6
	s_delay_alu instid0(VALU_DEP_3) | instskip(SKIP_1) | instid1(VALU_DEP_1)
	v_ashrrev_i32_e32 v3, 31, v2
	v_add_co_u32 v4, s0, s4, v2
	v_add_co_ci_u32_e64 v5, s0, s5, v3, s0
	s_cbranch_vccnz .LBB512_23
; %bb.16:
	v_cmp_lt_i16_e32 vcc_lo, 25, v6
	s_cbranch_vccz .LBB512_26
; %bb.17:
	v_cmp_lt_i16_e32 vcc_lo, 28, v6
	s_cbranch_vccz .LBB512_28
	;; [unrolled: 3-line block ×4, first 2 shown]
; %bb.20:
	v_cmp_eq_u16_e32 vcc_lo, 46, v6
	s_mov_b32 s17, 0
	s_mov_b32 s0, -1
	s_mov_b32 s1, 0
	s_cbranch_vccz .LBB512_36
; %bb.21:
	v_cvt_f32_f64_e32 v2, v[0:1]
	s_mov_b32 s1, -1
	s_mov_b32 s0, 0
	s_delay_alu instid0(VALU_DEP_1) | instskip(SKIP_1) | instid1(VALU_DEP_2)
	v_bfe_u32 v3, v2, 16, 1
	v_cmp_o_f32_e32 vcc_lo, v2, v2
	v_add3_u32 v3, v2, v3, 0x7fff
	s_delay_alu instid0(VALU_DEP_1) | instskip(NEXT) | instid1(VALU_DEP_1)
	v_lshrrev_b32_e32 v3, 16, v3
	v_cndmask_b32_e32 v2, 0x7fc0, v3, vcc_lo
	global_store_b32 v[4:5], v2, off
	s_branch .LBB512_36
.LBB512_22:
	s_mov_b32 s0, 0
                                        ; implicit-def: $vgpr2_vgpr3
	s_and_b32 vcc_lo, exec_lo, s1
	s_cbranch_vccnz .LBB512_172
	s_branch .LBB512_204
.LBB512_23:
	s_mov_b32 s0, 0
	s_mov_b32 s1, 0
	s_cbranch_execnz .LBB512_105
.LBB512_24:
	s_and_not1_b32 vcc_lo, exec_lo, s1
	s_cbranch_vccnz .LBB512_253
	s_branch .LBB512_143
.LBB512_25:
	s_mov_b32 s0, 0
                                        ; implicit-def: $vgpr2_vgpr3
	s_branch .LBB512_151
.LBB512_26:
	s_mov_b32 s17, -1
	s_mov_b32 s0, 0
	s_mov_b32 s1, 0
	s_branch .LBB512_63
.LBB512_27:
	s_mov_b32 s0, 0
                                        ; implicit-def: $vgpr2_vgpr3
	s_branch .LBB512_146
.LBB512_28:
	s_mov_b32 s17, -1
	s_mov_b32 s0, 0
	s_mov_b32 s1, 0
	s_branch .LBB512_46
.LBB512_29:
	s_mov_b32 s17, -1
	s_mov_b32 s0, 0
	s_mov_b32 s1, 0
	s_branch .LBB512_42
.LBB512_30:
	s_mov_b32 s19, -1
.LBB512_31:
	s_mov_b32 s0, 0
                                        ; implicit-def: $vgpr2_vgpr3
.LBB512_32:
	s_and_b32 vcc_lo, exec_lo, s1
	s_cbranch_vccz .LBB512_145
; %bb.33:
	v_cmp_eq_u16_e32 vcc_lo, 44, v13
	s_cbranch_vccz .LBB512_144
; %bb.34:
	global_load_u8 v4, v[0:1], off
	s_mov_b32 s19, 0
	s_mov_b32 s0, -1
	s_waitcnt vmcnt(0)
	v_cmp_ne_u32_e32 vcc_lo, 0xff, v4
	v_lshlrev_b32_e32 v2, 23, v4
	s_delay_alu instid0(VALU_DEP_1) | instskip(NEXT) | instid1(VALU_DEP_1)
	v_cvt_f64_f32_e32 v[2:3], v2
	v_cndmask_b32_e32 v3, 0x7ff80000, v3, vcc_lo
	s_delay_alu instid0(VALU_DEP_2) | instskip(SKIP_1) | instid1(VALU_DEP_3)
	v_cndmask_b32_e32 v2, 0x20000000, v2, vcc_lo
	v_cmp_ne_u32_e32 vcc_lo, 0, v4
	v_cndmask_b32_e32 v3, 0x38000000, v3, vcc_lo
	s_delay_alu instid0(VALU_DEP_3)
	v_cndmask_b32_e32 v2, 0, v2, vcc_lo
	s_branch .LBB512_145
.LBB512_35:
	s_mov_b32 s17, -1
	s_mov_b32 s0, 0
	s_mov_b32 s1, 0
.LBB512_36:
	s_and_b32 vcc_lo, exec_lo, s17
	s_cbranch_vccz .LBB512_41
; %bb.37:
	v_cmp_eq_u16_e32 vcc_lo, 44, v6
	s_mov_b32 s0, -1
	s_cbranch_vccz .LBB512_41
; %bb.38:
	v_cvt_f32_f64_e32 v2, v[0:1]
	v_mov_b32_e32 v3, 0xff
	s_mov_b32 s1, exec_lo
	s_delay_alu instid0(VALU_DEP_2) | instskip(NEXT) | instid1(VALU_DEP_1)
	v_bfe_u32 v7, v2, 23, 8
	v_cmpx_ne_u32_e32 0xff, v7
; %bb.39:
	v_and_b32_e32 v3, 0x400000, v2
	v_and_or_b32 v7, 0x3fffff, v2, v7
	v_lshrrev_b32_e32 v2, 23, v2
	s_delay_alu instid0(VALU_DEP_3) | instskip(NEXT) | instid1(VALU_DEP_3)
	v_cmp_ne_u32_e32 vcc_lo, 0, v3
	v_cmp_ne_u32_e64 s0, 0, v7
	s_delay_alu instid0(VALU_DEP_1) | instskip(NEXT) | instid1(SALU_CYCLE_1)
	s_and_b32 s0, vcc_lo, s0
	v_cndmask_b32_e64 v3, 0, 1, s0
	s_delay_alu instid0(VALU_DEP_1)
	v_add_nc_u32_e32 v3, v2, v3
; %bb.40:
	s_or_b32 exec_lo, exec_lo, s1
	s_mov_b32 s1, -1
	s_mov_b32 s0, 0
	global_store_b8 v[4:5], v3, off
.LBB512_41:
	s_mov_b32 s17, 0
.LBB512_42:
	s_delay_alu instid0(SALU_CYCLE_1)
	s_and_b32 vcc_lo, exec_lo, s17
	s_cbranch_vccz .LBB512_45
; %bb.43:
	v_cmp_eq_u16_e32 vcc_lo, 29, v6
	s_mov_b32 s0, -1
	s_cbranch_vccz .LBB512_45
; %bb.44:
	v_trunc_f64_e32 v[2:3], v[0:1]
	s_mov_b32 s1, -1
	s_mov_b32 s0, 0
	s_mov_b32 s17, 0
	s_delay_alu instid0(VALU_DEP_1) | instskip(NEXT) | instid1(VALU_DEP_1)
	v_ldexp_f64 v[7:8], v[2:3], 0xffffffe0
	v_floor_f64_e32 v[7:8], v[7:8]
	s_delay_alu instid0(VALU_DEP_1) | instskip(SKIP_1) | instid1(VALU_DEP_2)
	v_fma_f64 v[2:3], 0xc1f00000, v[7:8], v[2:3]
	v_cvt_u32_f64_e32 v8, v[7:8]
	v_cvt_u32_f64_e32 v7, v[2:3]
	global_store_b64 v[4:5], v[7:8], off
	s_branch .LBB512_46
.LBB512_45:
	s_mov_b32 s17, 0
.LBB512_46:
	s_delay_alu instid0(SALU_CYCLE_1)
	s_and_b32 vcc_lo, exec_lo, s17
	s_cbranch_vccz .LBB512_62
; %bb.47:
	v_cmp_gt_i16_e32 vcc_lo, 27, v6
	s_mov_b32 s1, -1
	s_cbranch_vccnz .LBB512_53
; %bb.48:
	v_cmp_lt_i16_e32 vcc_lo, 27, v6
	s_cbranch_vccz .LBB512_50
; %bb.49:
	v_cvt_u32_f64_e32 v2, v[0:1]
	s_mov_b32 s1, 0
	global_store_b32 v[4:5], v2, off
.LBB512_50:
	s_and_not1_b32 vcc_lo, exec_lo, s1
	s_cbranch_vccnz .LBB512_52
; %bb.51:
	v_cvt_u32_f64_e32 v2, v[0:1]
	global_store_b16 v[4:5], v2, off
.LBB512_52:
	s_mov_b32 s1, 0
.LBB512_53:
	s_delay_alu instid0(SALU_CYCLE_1)
	s_and_not1_b32 vcc_lo, exec_lo, s1
	s_cbranch_vccnz .LBB512_61
; %bb.54:
	v_cvt_f32_f64_e32 v2, v[0:1]
	v_mov_b32_e32 v7, 0x80
	s_mov_b32 s1, exec_lo
	s_delay_alu instid0(VALU_DEP_2) | instskip(NEXT) | instid1(VALU_DEP_1)
	v_and_b32_e32 v3, 0x7fffffff, v2
	v_cmpx_gt_u32_e32 0x43800000, v3
	s_cbranch_execz .LBB512_60
; %bb.55:
	v_cmp_lt_u32_e32 vcc_lo, 0x3bffffff, v3
	s_mov_b32 s17, 0
                                        ; implicit-def: $vgpr3
	s_and_saveexec_b32 s22, vcc_lo
	s_delay_alu instid0(SALU_CYCLE_1)
	s_xor_b32 s22, exec_lo, s22
	s_cbranch_execz .LBB512_283
; %bb.56:
	v_bfe_u32 v3, v2, 20, 1
	s_mov_b32 s17, exec_lo
	s_delay_alu instid0(VALU_DEP_1) | instskip(NEXT) | instid1(VALU_DEP_1)
	v_add3_u32 v3, v2, v3, 0x487ffff
	v_lshrrev_b32_e32 v3, 20, v3
	s_or_saveexec_b32 s22, s22
                                        ; implicit-def: $sgpr23
	s_delay_alu instid0(SALU_CYCLE_1)
	s_xor_b32 exec_lo, exec_lo, s22
	s_cbranch_execnz .LBB512_284
.LBB512_57:
	s_or_b32 exec_lo, exec_lo, s22
	v_mov_b32_e32 v7, s23
	s_and_saveexec_b32 s22, s17
.LBB512_58:
	v_lshrrev_b32_e32 v2, 24, v2
	s_delay_alu instid0(VALU_DEP_1)
	v_and_or_b32 v7, 0x80, v2, v3
.LBB512_59:
	s_or_b32 exec_lo, exec_lo, s22
.LBB512_60:
	s_delay_alu instid0(SALU_CYCLE_1)
	s_or_b32 exec_lo, exec_lo, s1
	global_store_b8 v[4:5], v7, off
.LBB512_61:
	s_mov_b32 s1, -1
.LBB512_62:
	s_mov_b32 s17, 0
.LBB512_63:
	s_delay_alu instid0(SALU_CYCLE_1)
	s_and_b32 vcc_lo, exec_lo, s17
	s_cbranch_vccz .LBB512_104
; %bb.64:
	v_cmp_lt_i16_e32 vcc_lo, 22, v6
	s_mov_b32 s17, -1
	s_cbranch_vccz .LBB512_96
; %bb.65:
	v_cmp_gt_i16_e32 vcc_lo, 24, v6
	s_mov_b32 s1, -1
	s_cbranch_vccnz .LBB512_85
; %bb.66:
	v_cmp_lt_i16_e32 vcc_lo, 24, v6
	s_cbranch_vccz .LBB512_74
; %bb.67:
	v_cvt_f32_f64_e32 v2, v[0:1]
	v_mov_b32_e32 v7, 0x80
	s_mov_b32 s1, exec_lo
	s_delay_alu instid0(VALU_DEP_2) | instskip(NEXT) | instid1(VALU_DEP_1)
	v_and_b32_e32 v3, 0x7fffffff, v2
	v_cmpx_gt_u32_e32 0x47800000, v3
	s_cbranch_execz .LBB512_73
; %bb.68:
	v_cmp_lt_u32_e32 vcc_lo, 0x37ffffff, v3
	s_mov_b32 s17, 0
                                        ; implicit-def: $vgpr3
	s_and_saveexec_b32 s22, vcc_lo
	s_delay_alu instid0(SALU_CYCLE_1)
	s_xor_b32 s22, exec_lo, s22
	s_cbranch_execz .LBB512_287
; %bb.69:
	v_bfe_u32 v3, v2, 21, 1
	s_mov_b32 s17, exec_lo
	s_delay_alu instid0(VALU_DEP_1) | instskip(NEXT) | instid1(VALU_DEP_1)
	v_add3_u32 v3, v2, v3, 0x88fffff
	v_lshrrev_b32_e32 v3, 21, v3
	s_or_saveexec_b32 s22, s22
                                        ; implicit-def: $sgpr23
	s_delay_alu instid0(SALU_CYCLE_1)
	s_xor_b32 exec_lo, exec_lo, s22
	s_cbranch_execnz .LBB512_288
.LBB512_70:
	s_or_b32 exec_lo, exec_lo, s22
	v_mov_b32_e32 v7, s23
	s_and_saveexec_b32 s22, s17
.LBB512_71:
	v_lshrrev_b32_e32 v2, 24, v2
	s_delay_alu instid0(VALU_DEP_1)
	v_and_or_b32 v7, 0x80, v2, v3
.LBB512_72:
	s_or_b32 exec_lo, exec_lo, s22
.LBB512_73:
	s_delay_alu instid0(SALU_CYCLE_1)
	s_or_b32 exec_lo, exec_lo, s1
	s_mov_b32 s1, 0
	global_store_b8 v[4:5], v7, off
.LBB512_74:
	s_and_b32 vcc_lo, exec_lo, s1
	s_cbranch_vccz .LBB512_84
; %bb.75:
	v_cvt_f32_f64_e32 v2, v[0:1]
	s_mov_b32 s1, exec_lo
                                        ; implicit-def: $vgpr3
	s_delay_alu instid0(VALU_DEP_1) | instskip(NEXT) | instid1(VALU_DEP_1)
	v_and_b32_e32 v7, 0x7fffffff, v2
	v_cmpx_gt_u32_e32 0x43f00000, v7
	s_xor_b32 s1, exec_lo, s1
	s_cbranch_execz .LBB512_81
; %bb.76:
	s_mov_b32 s17, exec_lo
                                        ; implicit-def: $vgpr3
	v_cmpx_lt_u32_e32 0x3c7fffff, v7
	s_xor_b32 s17, exec_lo, s17
; %bb.77:
	v_bfe_u32 v3, v2, 20, 1
	s_delay_alu instid0(VALU_DEP_1) | instskip(NEXT) | instid1(VALU_DEP_1)
	v_add3_u32 v3, v2, v3, 0x407ffff
	v_and_b32_e32 v7, 0xff00000, v3
	v_lshrrev_b32_e32 v3, 20, v3
	s_delay_alu instid0(VALU_DEP_2) | instskip(NEXT) | instid1(VALU_DEP_2)
	v_cmp_ne_u32_e32 vcc_lo, 0x7f00000, v7
	v_cndmask_b32_e32 v3, 0x7e, v3, vcc_lo
; %bb.78:
	s_and_not1_saveexec_b32 s17, s17
; %bb.79:
	v_add_f32_e64 v3, 0x46800000, |v2|
; %bb.80:
	s_or_b32 exec_lo, exec_lo, s17
                                        ; implicit-def: $vgpr7
.LBB512_81:
	s_and_not1_saveexec_b32 s1, s1
; %bb.82:
	v_mov_b32_e32 v3, 0x7f
	v_cmp_lt_u32_e32 vcc_lo, 0x7f800000, v7
	s_delay_alu instid0(VALU_DEP_2)
	v_cndmask_b32_e32 v3, 0x7e, v3, vcc_lo
; %bb.83:
	s_or_b32 exec_lo, exec_lo, s1
	v_lshrrev_b32_e32 v2, 24, v2
	s_delay_alu instid0(VALU_DEP_1)
	v_and_or_b32 v2, 0x80, v2, v3
	global_store_b8 v[4:5], v2, off
.LBB512_84:
	s_mov_b32 s1, 0
.LBB512_85:
	s_delay_alu instid0(SALU_CYCLE_1)
	s_and_not1_b32 vcc_lo, exec_lo, s1
	s_cbranch_vccnz .LBB512_95
; %bb.86:
	v_cvt_f32_f64_e32 v2, v[0:1]
	s_mov_b32 s1, exec_lo
                                        ; implicit-def: $vgpr3
	s_delay_alu instid0(VALU_DEP_1) | instskip(NEXT) | instid1(VALU_DEP_1)
	v_and_b32_e32 v7, 0x7fffffff, v2
	v_cmpx_gt_u32_e32 0x47800000, v7
	s_xor_b32 s1, exec_lo, s1
	s_cbranch_execz .LBB512_92
; %bb.87:
	s_mov_b32 s17, exec_lo
                                        ; implicit-def: $vgpr3
	v_cmpx_lt_u32_e32 0x387fffff, v7
	s_xor_b32 s17, exec_lo, s17
; %bb.88:
	v_bfe_u32 v3, v2, 21, 1
	s_delay_alu instid0(VALU_DEP_1) | instskip(NEXT) | instid1(VALU_DEP_1)
	v_add3_u32 v3, v2, v3, 0x80fffff
	v_lshrrev_b32_e32 v3, 21, v3
; %bb.89:
	s_and_not1_saveexec_b32 s17, s17
; %bb.90:
	v_add_f32_e64 v3, 0x43000000, |v2|
; %bb.91:
	s_or_b32 exec_lo, exec_lo, s17
                                        ; implicit-def: $vgpr7
.LBB512_92:
	s_and_not1_saveexec_b32 s1, s1
; %bb.93:
	v_mov_b32_e32 v3, 0x7f
	v_cmp_lt_u32_e32 vcc_lo, 0x7f800000, v7
	s_delay_alu instid0(VALU_DEP_2)
	v_cndmask_b32_e32 v3, 0x7c, v3, vcc_lo
; %bb.94:
	s_or_b32 exec_lo, exec_lo, s1
	v_lshrrev_b32_e32 v2, 24, v2
	s_delay_alu instid0(VALU_DEP_1)
	v_and_or_b32 v2, 0x80, v2, v3
	global_store_b8 v[4:5], v2, off
.LBB512_95:
	s_mov_b32 s17, 0
	s_mov_b32 s1, -1
.LBB512_96:
	s_and_not1_b32 vcc_lo, exec_lo, s17
	s_cbranch_vccnz .LBB512_104
; %bb.97:
	v_cmp_lt_i16_e32 vcc_lo, 14, v6
	s_mov_b32 s17, -1
	s_cbranch_vccz .LBB512_101
; %bb.98:
	v_cmp_eq_u16_e32 vcc_lo, 15, v6
	s_mov_b32 s0, -1
	s_cbranch_vccz .LBB512_100
; %bb.99:
	v_cvt_f32_f64_e32 v2, v[0:1]
	s_mov_b32 s1, -1
	s_mov_b32 s0, 0
	s_delay_alu instid0(VALU_DEP_1) | instskip(SKIP_1) | instid1(VALU_DEP_2)
	v_bfe_u32 v3, v2, 16, 1
	v_cmp_o_f32_e32 vcc_lo, v2, v2
	v_add3_u32 v3, v2, v3, 0x7fff
	s_delay_alu instid0(VALU_DEP_1) | instskip(NEXT) | instid1(VALU_DEP_1)
	v_lshrrev_b32_e32 v3, 16, v3
	v_cndmask_b32_e32 v2, 0x7fc0, v3, vcc_lo
	global_store_b16 v[4:5], v2, off
.LBB512_100:
	s_mov_b32 s17, 0
.LBB512_101:
	s_delay_alu instid0(SALU_CYCLE_1)
	s_and_b32 vcc_lo, exec_lo, s17
	s_cbranch_vccz .LBB512_104
; %bb.102:
	v_cmp_eq_u16_e32 vcc_lo, 11, v6
	s_mov_b32 s0, -1
	s_cbranch_vccz .LBB512_104
; %bb.103:
	v_cmp_neq_f64_e32 vcc_lo, 0, v[0:1]
	s_mov_b32 s1, -1
	s_mov_b32 s0, 0
	v_cndmask_b32_e64 v2, 0, 1, vcc_lo
	global_store_b8 v[4:5], v2, off
.LBB512_104:
	s_branch .LBB512_24
.LBB512_105:
	v_cmp_gt_i16_e32 vcc_lo, 5, v6
	s_mov_b32 s1, -1
	s_cbranch_vccnz .LBB512_126
; %bb.106:
	v_cmp_gt_i16_e32 vcc_lo, 8, v6
	s_cbranch_vccnz .LBB512_116
; %bb.107:
	v_cmp_gt_i16_e32 vcc_lo, 9, v6
	s_cbranch_vccnz .LBB512_113
; %bb.108:
	v_cmp_lt_i16_e32 vcc_lo, 9, v6
	s_cbranch_vccz .LBB512_110
; %bb.109:
	v_mov_b32_e32 v2, 0
	s_mov_b32 s1, 0
	s_delay_alu instid0(VALU_DEP_1)
	v_mov_b32_e32 v3, v2
	global_store_b128 v[4:5], v[0:3], off
.LBB512_110:
	s_and_not1_b32 vcc_lo, exec_lo, s1
	s_cbranch_vccnz .LBB512_112
; %bb.111:
	v_cvt_f32_f64_e32 v2, v[0:1]
	v_mov_b32_e32 v3, 0
	global_store_b64 v[4:5], v[2:3], off
.LBB512_112:
	s_mov_b32 s1, 0
.LBB512_113:
	s_delay_alu instid0(SALU_CYCLE_1)
	s_and_not1_b32 vcc_lo, exec_lo, s1
	s_cbranch_vccnz .LBB512_115
; %bb.114:
	v_cvt_f32_f64_e32 v2, v[0:1]
	s_delay_alu instid0(VALU_DEP_1) | instskip(NEXT) | instid1(VALU_DEP_1)
	v_cvt_f16_f32_e32 v2, v2
	v_and_b32_e32 v2, 0xffff, v2
	global_store_b32 v[4:5], v2, off
.LBB512_115:
	s_mov_b32 s1, 0
.LBB512_116:
	s_delay_alu instid0(SALU_CYCLE_1)
	s_and_not1_b32 vcc_lo, exec_lo, s1
	s_cbranch_vccnz .LBB512_125
; %bb.117:
	v_cmp_gt_i16_e32 vcc_lo, 6, v6
	s_mov_b32 s1, -1
	s_cbranch_vccnz .LBB512_123
; %bb.118:
	v_cmp_lt_i16_e32 vcc_lo, 6, v6
	s_cbranch_vccz .LBB512_120
; %bb.119:
	s_mov_b32 s1, 0
	global_store_b64 v[4:5], v[0:1], off
.LBB512_120:
	s_and_not1_b32 vcc_lo, exec_lo, s1
	s_cbranch_vccnz .LBB512_122
; %bb.121:
	v_cvt_f32_f64_e32 v2, v[0:1]
	global_store_b32 v[4:5], v2, off
.LBB512_122:
	s_mov_b32 s1, 0
.LBB512_123:
	s_delay_alu instid0(SALU_CYCLE_1)
	s_and_not1_b32 vcc_lo, exec_lo, s1
	s_cbranch_vccnz .LBB512_125
; %bb.124:
	v_cvt_f32_f64_e32 v2, v[0:1]
	s_delay_alu instid0(VALU_DEP_1)
	v_cvt_f16_f32_e32 v2, v2
	global_store_b16 v[4:5], v2, off
.LBB512_125:
	s_mov_b32 s1, 0
.LBB512_126:
	s_delay_alu instid0(SALU_CYCLE_1)
	s_and_not1_b32 vcc_lo, exec_lo, s1
	s_cbranch_vccnz .LBB512_142
; %bb.127:
	v_cmp_gt_i16_e32 vcc_lo, 2, v6
	s_mov_b32 s1, -1
	s_cbranch_vccnz .LBB512_137
; %bb.128:
	v_cmp_gt_i16_e32 vcc_lo, 3, v6
	s_cbranch_vccnz .LBB512_134
; %bb.129:
	v_cmp_lt_i16_e32 vcc_lo, 3, v6
	s_cbranch_vccz .LBB512_131
; %bb.130:
	v_trunc_f64_e32 v[2:3], v[0:1]
	s_mov_b32 s1, 0
	s_delay_alu instid0(VALU_DEP_1) | instskip(NEXT) | instid1(VALU_DEP_1)
	v_ldexp_f64 v[7:8], v[2:3], 0xffffffe0
	v_floor_f64_e32 v[7:8], v[7:8]
	s_delay_alu instid0(VALU_DEP_1) | instskip(SKIP_1) | instid1(VALU_DEP_2)
	v_fma_f64 v[2:3], 0xc1f00000, v[7:8], v[2:3]
	v_cvt_i32_f64_e32 v8, v[7:8]
	v_cvt_u32_f64_e32 v7, v[2:3]
	global_store_b64 v[4:5], v[7:8], off
.LBB512_131:
	s_and_not1_b32 vcc_lo, exec_lo, s1
	s_cbranch_vccnz .LBB512_133
; %bb.132:
	v_cvt_i32_f64_e32 v2, v[0:1]
	global_store_b32 v[4:5], v2, off
.LBB512_133:
	s_mov_b32 s1, 0
.LBB512_134:
	s_delay_alu instid0(SALU_CYCLE_1)
	s_and_not1_b32 vcc_lo, exec_lo, s1
	s_cbranch_vccnz .LBB512_136
; %bb.135:
	v_cvt_i32_f64_e32 v2, v[0:1]
	global_store_b16 v[4:5], v2, off
.LBB512_136:
	s_mov_b32 s1, 0
.LBB512_137:
	s_delay_alu instid0(SALU_CYCLE_1)
	s_and_not1_b32 vcc_lo, exec_lo, s1
	s_cbranch_vccnz .LBB512_142
; %bb.138:
	v_cmp_lt_i16_e32 vcc_lo, 0, v6
	s_mov_b32 s1, -1
	s_cbranch_vccz .LBB512_140
; %bb.139:
	v_cvt_i32_f64_e32 v2, v[0:1]
	s_mov_b32 s1, 0
	global_store_b8 v[4:5], v2, off
.LBB512_140:
	s_and_not1_b32 vcc_lo, exec_lo, s1
	s_cbranch_vccnz .LBB512_142
; %bb.141:
	v_trunc_f64_e32 v[0:1], v[0:1]
	s_delay_alu instid0(VALU_DEP_1) | instskip(NEXT) | instid1(VALU_DEP_1)
	v_ldexp_f64 v[2:3], v[0:1], 0xffffffe0
	v_floor_f64_e32 v[2:3], v[2:3]
	s_delay_alu instid0(VALU_DEP_1) | instskip(NEXT) | instid1(VALU_DEP_1)
	v_fma_f64 v[0:1], 0xc1f00000, v[2:3], v[0:1]
	v_cvt_u32_f64_e32 v0, v[0:1]
	global_store_b8 v[4:5], v0, off
.LBB512_142:
.LBB512_143:
	v_add_nc_u32_e32 v12, 0x80, v12
	s_mov_b32 s1, -1
	s_branch .LBB512_254
.LBB512_144:
	s_mov_b32 s19, -1
                                        ; implicit-def: $vgpr2_vgpr3
.LBB512_145:
	s_mov_b32 s1, 0
.LBB512_146:
	s_delay_alu instid0(SALU_CYCLE_1)
	s_and_b32 vcc_lo, exec_lo, s1
	s_cbranch_vccz .LBB512_150
; %bb.147:
	v_cmp_eq_u16_e32 vcc_lo, 29, v13
	s_cbranch_vccz .LBB512_149
; %bb.148:
	global_load_b64 v[2:3], v[0:1], off
	s_mov_b32 s0, -1
	s_mov_b32 s19, 0
	s_mov_b32 s1, 0
	s_waitcnt vmcnt(0)
	v_cvt_f64_u32_e32 v[3:4], v3
	v_cvt_f64_u32_e32 v[5:6], v2
	s_delay_alu instid0(VALU_DEP_2) | instskip(NEXT) | instid1(VALU_DEP_1)
	v_ldexp_f64 v[3:4], v[3:4], 32
	v_add_f64 v[2:3], v[3:4], v[5:6]
	s_branch .LBB512_151
.LBB512_149:
	s_mov_b32 s19, -1
                                        ; implicit-def: $vgpr2_vgpr3
.LBB512_150:
	s_mov_b32 s1, 0
.LBB512_151:
	s_delay_alu instid0(SALU_CYCLE_1)
	s_and_b32 vcc_lo, exec_lo, s1
	s_cbranch_vccz .LBB512_171
; %bb.152:
	v_cmp_gt_i16_e32 vcc_lo, 27, v13
	s_cbranch_vccnz .LBB512_155
; %bb.153:
	v_cmp_lt_i16_e32 vcc_lo, 27, v13
	s_cbranch_vccz .LBB512_156
; %bb.154:
	global_load_b32 v2, v[0:1], off
	s_mov_b32 s0, 0
	s_waitcnt vmcnt(0)
	v_cvt_f64_u32_e32 v[2:3], v2
	s_branch .LBB512_157
.LBB512_155:
	s_mov_b32 s0, -1
                                        ; implicit-def: $vgpr2_vgpr3
	s_branch .LBB512_160
.LBB512_156:
	s_mov_b32 s0, -1
                                        ; implicit-def: $vgpr2_vgpr3
.LBB512_157:
	s_delay_alu instid0(SALU_CYCLE_1)
	s_and_not1_b32 vcc_lo, exec_lo, s0
	s_cbranch_vccnz .LBB512_159
; %bb.158:
	global_load_u16 v2, v[0:1], off
	s_waitcnt vmcnt(0)
	v_cvt_f64_u32_e32 v[2:3], v2
.LBB512_159:
	s_mov_b32 s0, 0
.LBB512_160:
	s_delay_alu instid0(SALU_CYCLE_1)
	s_and_not1_b32 vcc_lo, exec_lo, s0
	s_cbranch_vccnz .LBB512_170
; %bb.161:
	global_load_u8 v4, v[0:1], off
	s_mov_b32 s22, exec_lo
                                        ; implicit-def: $sgpr0_sgpr1
	s_waitcnt vmcnt(0)
	v_cmpx_lt_i16_e32 0x7f, v4
	s_xor_b32 s22, exec_lo, s22
	s_cbranch_execz .LBB512_165
; %bb.162:
	s_mov_b32 s23, -1
	s_mov_b32 s17, exec_lo
                                        ; implicit-def: $sgpr0_sgpr1
	v_cmpx_eq_u16_e32 0x80, v4
; %bb.163:
	s_mov_b32 s1, 0x7ff80000
	s_brev_b32 s0, 4
	s_xor_b32 s23, exec_lo, -1
; %bb.164:
	s_or_b32 exec_lo, exec_lo, s17
	s_delay_alu instid0(SALU_CYCLE_1)
	s_and_b32 s17, s23, exec_lo
.LBB512_165:
	s_or_saveexec_b32 s22, s22
	v_dual_mov_b32 v3, s1 :: v_dual_mov_b32 v2, s0
	s_xor_b32 exec_lo, exec_lo, s22
; %bb.166:
	v_cmp_ne_u16_e32 vcc_lo, 0, v4
	v_mov_b32_e32 v2, 0
	v_mov_b32_e32 v3, 0
	s_and_not1_b32 s0, s17, exec_lo
	s_and_b32 s1, vcc_lo, exec_lo
	s_delay_alu instid0(SALU_CYCLE_1)
	s_or_b32 s17, s0, s1
; %bb.167:
	s_or_b32 exec_lo, exec_lo, s22
	s_and_saveexec_b32 s0, s17
	s_cbranch_execz .LBB512_169
; %bb.168:
	v_and_b32_e32 v2, 0xffff, v4
	v_lshlrev_b32_e32 v4, 24, v4
	s_delay_alu instid0(VALU_DEP_2) | instskip(NEXT) | instid1(VALU_DEP_2)
	v_and_b32_e32 v3, 7, v2
	v_and_b32_e32 v4, 0x80000000, v4
	s_delay_alu instid0(VALU_DEP_2) | instskip(NEXT) | instid1(VALU_DEP_1)
	v_clz_i32_u32_e32 v5, v3
	v_min_u32_e32 v5, 32, v5
	s_delay_alu instid0(VALU_DEP_1) | instskip(SKIP_1) | instid1(VALU_DEP_2)
	v_subrev_nc_u32_e32 v6, 28, v5
	v_sub_nc_u32_e32 v5, 29, v5
	v_lshlrev_b32_e32 v6, v6, v2
	v_bfe_u32 v2, v2, 3, 4
	s_delay_alu instid0(VALU_DEP_2) | instskip(NEXT) | instid1(VALU_DEP_2)
	v_and_b32_e32 v6, 7, v6
	v_cmp_eq_u32_e32 vcc_lo, 0, v2
	s_delay_alu instid0(VALU_DEP_2) | instskip(NEXT) | instid1(VALU_DEP_1)
	v_dual_cndmask_b32 v2, v2, v5 :: v_dual_cndmask_b32 v3, v3, v6
	v_lshl_add_u32 v2, v2, 23, 0x3b800000
	s_delay_alu instid0(VALU_DEP_2) | instskip(NEXT) | instid1(VALU_DEP_1)
	v_lshlrev_b32_e32 v3, 20, v3
	v_or3_b32 v2, v4, v2, v3
	s_delay_alu instid0(VALU_DEP_1)
	v_cvt_f64_f32_e32 v[2:3], v2
.LBB512_169:
	s_or_b32 exec_lo, exec_lo, s0
.LBB512_170:
	s_mov_b32 s0, -1
.LBB512_171:
	s_branch .LBB512_204
.LBB512_172:
	v_cmp_lt_i16_e32 vcc_lo, 22, v13
	s_cbranch_vccz .LBB512_184
; %bb.173:
	v_cmp_gt_i16_e32 vcc_lo, 24, v13
	s_cbranch_vccnz .LBB512_185
; %bb.174:
	v_cmp_lt_i16_e32 vcc_lo, 24, v13
	s_cbranch_vccz .LBB512_186
; %bb.175:
	global_load_u8 v4, v[0:1], off
	s_mov_b32 s17, 0
	s_mov_b32 s22, exec_lo
                                        ; implicit-def: $sgpr0_sgpr1
	s_waitcnt vmcnt(0)
	v_cmpx_lt_i16_e32 0x7f, v4
	s_xor_b32 s22, exec_lo, s22
	s_cbranch_execz .LBB512_179
; %bb.176:
	s_mov_b32 s23, -1
	s_mov_b32 s17, exec_lo
                                        ; implicit-def: $sgpr0_sgpr1
	v_cmpx_eq_u16_e32 0x80, v4
; %bb.177:
	s_mov_b32 s1, 0x7ff80000
	s_brev_b32 s0, 4
	s_xor_b32 s23, exec_lo, -1
; %bb.178:
	s_or_b32 exec_lo, exec_lo, s17
	s_delay_alu instid0(SALU_CYCLE_1)
	s_and_b32 s17, s23, exec_lo
.LBB512_179:
	s_or_saveexec_b32 s22, s22
	v_dual_mov_b32 v3, s1 :: v_dual_mov_b32 v2, s0
	s_xor_b32 exec_lo, exec_lo, s22
; %bb.180:
	v_cmp_ne_u16_e32 vcc_lo, 0, v4
	v_mov_b32_e32 v2, 0
	v_mov_b32_e32 v3, 0
	s_and_not1_b32 s0, s17, exec_lo
	s_and_b32 s1, vcc_lo, exec_lo
	s_delay_alu instid0(SALU_CYCLE_1)
	s_or_b32 s17, s0, s1
; %bb.181:
	s_or_b32 exec_lo, exec_lo, s22
	s_and_saveexec_b32 s0, s17
	s_cbranch_execz .LBB512_183
; %bb.182:
	v_and_b32_e32 v2, 0xffff, v4
	v_lshlrev_b32_e32 v4, 24, v4
	s_delay_alu instid0(VALU_DEP_2) | instskip(NEXT) | instid1(VALU_DEP_2)
	v_and_b32_e32 v3, 3, v2
	v_and_b32_e32 v4, 0x80000000, v4
	s_delay_alu instid0(VALU_DEP_2) | instskip(NEXT) | instid1(VALU_DEP_1)
	v_clz_i32_u32_e32 v5, v3
	v_min_u32_e32 v5, 32, v5
	s_delay_alu instid0(VALU_DEP_1) | instskip(SKIP_1) | instid1(VALU_DEP_2)
	v_subrev_nc_u32_e32 v6, 29, v5
	v_sub_nc_u32_e32 v5, 30, v5
	v_lshlrev_b32_e32 v6, v6, v2
	v_bfe_u32 v2, v2, 2, 5
	s_delay_alu instid0(VALU_DEP_2) | instskip(NEXT) | instid1(VALU_DEP_2)
	v_and_b32_e32 v6, 3, v6
	v_cmp_eq_u32_e32 vcc_lo, 0, v2
	s_delay_alu instid0(VALU_DEP_2) | instskip(NEXT) | instid1(VALU_DEP_1)
	v_dual_cndmask_b32 v2, v2, v5 :: v_dual_cndmask_b32 v3, v3, v6
	v_lshl_add_u32 v2, v2, 23, 0x37800000
	s_delay_alu instid0(VALU_DEP_2) | instskip(NEXT) | instid1(VALU_DEP_1)
	v_lshlrev_b32_e32 v3, 21, v3
	v_or3_b32 v2, v4, v2, v3
	s_delay_alu instid0(VALU_DEP_1)
	v_cvt_f64_f32_e32 v[2:3], v2
.LBB512_183:
	s_or_b32 exec_lo, exec_lo, s0
	s_mov_b32 s0, 0
	s_branch .LBB512_187
.LBB512_184:
	s_mov_b32 s1, -1
                                        ; implicit-def: $vgpr2_vgpr3
	s_branch .LBB512_193
.LBB512_185:
	s_mov_b32 s0, -1
                                        ; implicit-def: $vgpr2_vgpr3
	s_branch .LBB512_190
.LBB512_186:
	s_mov_b32 s0, -1
                                        ; implicit-def: $vgpr2_vgpr3
.LBB512_187:
	s_delay_alu instid0(SALU_CYCLE_1)
	s_and_b32 vcc_lo, exec_lo, s0
	s_cbranch_vccz .LBB512_189
; %bb.188:
	global_load_u8 v2, v[0:1], off
	s_waitcnt vmcnt(0)
	v_lshlrev_b32_e32 v2, 24, v2
	s_delay_alu instid0(VALU_DEP_1) | instskip(NEXT) | instid1(VALU_DEP_1)
	v_and_b32_e32 v3, 0x7f000000, v2
	v_clz_i32_u32_e32 v4, v3
	v_add_nc_u32_e32 v6, 0x1000000, v3
	v_cmp_ne_u32_e32 vcc_lo, 0, v3
	s_delay_alu instid0(VALU_DEP_3) | instskip(NEXT) | instid1(VALU_DEP_1)
	v_min_u32_e32 v4, 32, v4
	v_sub_nc_u32_e64 v4, v4, 4 clamp
	s_delay_alu instid0(VALU_DEP_1) | instskip(SKIP_1) | instid1(VALU_DEP_2)
	v_lshlrev_b32_e32 v5, v4, v3
	v_lshlrev_b32_e32 v4, 23, v4
	v_lshrrev_b32_e32 v5, 4, v5
	s_delay_alu instid0(VALU_DEP_1) | instskip(SKIP_1) | instid1(VALU_DEP_2)
	v_sub_nc_u32_e32 v4, v5, v4
	v_ashrrev_i32_e32 v5, 8, v6
	v_add_nc_u32_e32 v4, 0x3c000000, v4
	s_delay_alu instid0(VALU_DEP_1) | instskip(NEXT) | instid1(VALU_DEP_1)
	v_and_or_b32 v4, 0x7f800000, v5, v4
	v_cndmask_b32_e32 v3, 0, v4, vcc_lo
	s_delay_alu instid0(VALU_DEP_1) | instskip(NEXT) | instid1(VALU_DEP_1)
	v_and_or_b32 v2, 0x80000000, v2, v3
	v_cvt_f64_f32_e32 v[2:3], v2
.LBB512_189:
	s_mov_b32 s0, 0
.LBB512_190:
	s_delay_alu instid0(SALU_CYCLE_1)
	s_and_not1_b32 vcc_lo, exec_lo, s0
	s_cbranch_vccnz .LBB512_192
; %bb.191:
	global_load_u8 v2, v[0:1], off
	s_waitcnt vmcnt(0)
	v_lshlrev_b32_e32 v3, 25, v2
	v_lshlrev_b16 v2, 8, v2
	s_delay_alu instid0(VALU_DEP_2) | instskip(NEXT) | instid1(VALU_DEP_2)
	v_lshrrev_b32_e32 v4, 4, v3
	v_and_or_b32 v5, 0x7f00, v2, 0.5
	v_bfe_i32 v2, v2, 0, 16
	s_delay_alu instid0(VALU_DEP_3) | instskip(NEXT) | instid1(VALU_DEP_1)
	v_or_b32_e32 v4, 0x70000000, v4
	v_dual_add_f32 v5, -0.5, v5 :: v_dual_mul_f32 v4, 0x7800000, v4
	v_cmp_gt_u32_e32 vcc_lo, 0x8000000, v3
	s_delay_alu instid0(VALU_DEP_2) | instskip(NEXT) | instid1(VALU_DEP_1)
	v_cndmask_b32_e32 v3, v4, v5, vcc_lo
	v_and_or_b32 v2, 0x80000000, v2, v3
	s_delay_alu instid0(VALU_DEP_1)
	v_cvt_f64_f32_e32 v[2:3], v2
.LBB512_192:
	s_mov_b32 s1, 0
	s_mov_b32 s0, -1
.LBB512_193:
	s_and_not1_b32 vcc_lo, exec_lo, s1
	s_cbranch_vccnz .LBB512_204
; %bb.194:
	v_cmp_lt_i16_e32 vcc_lo, 14, v13
	s_cbranch_vccz .LBB512_197
; %bb.195:
	v_cmp_eq_u16_e32 vcc_lo, 15, v13
	s_cbranch_vccz .LBB512_198
; %bb.196:
	global_load_u16 v2, v[0:1], off
	s_mov_b32 s0, -1
	s_mov_b32 s19, 0
	s_waitcnt vmcnt(0)
	v_lshlrev_b32_e32 v2, 16, v2
	s_delay_alu instid0(VALU_DEP_1)
	v_cvt_f64_f32_e32 v[2:3], v2
	s_branch .LBB512_199
.LBB512_197:
	s_mov_b32 s1, -1
                                        ; implicit-def: $vgpr2_vgpr3
	s_branch .LBB512_200
.LBB512_198:
	s_mov_b32 s19, -1
                                        ; implicit-def: $vgpr2_vgpr3
.LBB512_199:
	s_mov_b32 s1, 0
.LBB512_200:
	s_delay_alu instid0(SALU_CYCLE_1)
	s_and_b32 vcc_lo, exec_lo, s1
	s_cbranch_vccz .LBB512_204
; %bb.201:
	v_cmp_eq_u16_e32 vcc_lo, 11, v13
	s_cbranch_vccz .LBB512_203
; %bb.202:
	global_load_u8 v2, v[0:1], off
	s_mov_b32 s19, 0
	s_mov_b32 s0, -1
	s_waitcnt vmcnt(0)
	v_cmp_ne_u16_e32 vcc_lo, 0, v2
	v_mov_b32_e32 v2, 0
	v_cndmask_b32_e64 v3, 0, 0x3ff00000, vcc_lo
	s_branch .LBB512_204
.LBB512_203:
	s_mov_b32 s19, -1
                                        ; implicit-def: $vgpr2_vgpr3
.LBB512_204:
	s_branch .LBB512_10
.LBB512_205:
	v_cmp_gt_i16_e32 vcc_lo, 5, v13
	s_cbranch_vccnz .LBB512_210
; %bb.206:
	v_cmp_gt_i16_e32 vcc_lo, 8, v13
	s_cbranch_vccnz .LBB512_211
; %bb.207:
	;; [unrolled: 3-line block ×3, first 2 shown]
	v_cmp_lt_i16_e32 vcc_lo, 9, v13
	s_cbranch_vccz .LBB512_213
; %bb.209:
	global_load_b64 v[2:3], v[0:1], off
	s_mov_b32 s0, 0
	s_branch .LBB512_214
.LBB512_210:
                                        ; implicit-def: $vgpr2_vgpr3
	s_branch .LBB512_232
.LBB512_211:
	s_mov_b32 s0, -1
                                        ; implicit-def: $vgpr2_vgpr3
	s_branch .LBB512_220
.LBB512_212:
	s_mov_b32 s0, -1
                                        ; implicit-def: $vgpr2_vgpr3
	s_branch .LBB512_217
.LBB512_213:
	s_mov_b32 s0, -1
                                        ; implicit-def: $vgpr2_vgpr3
.LBB512_214:
	s_delay_alu instid0(SALU_CYCLE_1)
	s_and_not1_b32 vcc_lo, exec_lo, s0
	s_cbranch_vccnz .LBB512_216
; %bb.215:
	global_load_b32 v2, v[0:1], off
	s_waitcnt vmcnt(0)
	v_cvt_f64_f32_e32 v[2:3], v2
.LBB512_216:
	s_mov_b32 s0, 0
.LBB512_217:
	s_delay_alu instid0(SALU_CYCLE_1)
	s_and_not1_b32 vcc_lo, exec_lo, s0
	s_cbranch_vccnz .LBB512_219
; %bb.218:
	global_load_b32 v2, v[0:1], off
	s_waitcnt vmcnt(0)
	v_cvt_f32_f16_e32 v2, v2
	s_delay_alu instid0(VALU_DEP_1)
	v_cvt_f64_f32_e32 v[2:3], v2
.LBB512_219:
	s_mov_b32 s0, 0
.LBB512_220:
	s_delay_alu instid0(SALU_CYCLE_1)
	s_and_not1_b32 vcc_lo, exec_lo, s0
	s_cbranch_vccnz .LBB512_231
; %bb.221:
	v_cmp_gt_i16_e32 vcc_lo, 6, v13
	s_cbranch_vccnz .LBB512_224
; %bb.222:
	v_cmp_lt_i16_e32 vcc_lo, 6, v13
	s_cbranch_vccz .LBB512_225
; %bb.223:
	global_load_b64 v[2:3], v[0:1], off
	s_mov_b32 s0, 0
	s_branch .LBB512_226
.LBB512_224:
	s_mov_b32 s0, -1
                                        ; implicit-def: $vgpr2_vgpr3
	s_branch .LBB512_229
.LBB512_225:
	s_mov_b32 s0, -1
                                        ; implicit-def: $vgpr2_vgpr3
.LBB512_226:
	s_delay_alu instid0(SALU_CYCLE_1)
	s_and_not1_b32 vcc_lo, exec_lo, s0
	s_cbranch_vccnz .LBB512_228
; %bb.227:
	global_load_b32 v2, v[0:1], off
	s_waitcnt vmcnt(0)
	v_cvt_f64_f32_e32 v[2:3], v2
.LBB512_228:
	s_mov_b32 s0, 0
.LBB512_229:
	s_delay_alu instid0(SALU_CYCLE_1)
	s_and_not1_b32 vcc_lo, exec_lo, s0
	s_cbranch_vccnz .LBB512_231
; %bb.230:
	global_load_u16 v2, v[0:1], off
	s_waitcnt vmcnt(0)
	v_cvt_f32_f16_e32 v2, v2
	s_delay_alu instid0(VALU_DEP_1)
	v_cvt_f64_f32_e32 v[2:3], v2
.LBB512_231:
	s_cbranch_execnz .LBB512_251
.LBB512_232:
	v_cmp_gt_i16_e32 vcc_lo, 2, v13
	s_cbranch_vccnz .LBB512_236
; %bb.233:
	v_cmp_gt_i16_e32 vcc_lo, 3, v13
	s_cbranch_vccnz .LBB512_237
; %bb.234:
	v_cmp_lt_i16_e32 vcc_lo, 3, v13
	s_cbranch_vccz .LBB512_238
; %bb.235:
	global_load_b64 v[2:3], v[0:1], off
	s_mov_b32 s0, 0
	s_waitcnt vmcnt(0)
	v_cvt_f64_i32_e32 v[3:4], v3
	v_cvt_f64_u32_e32 v[5:6], v2
	s_delay_alu instid0(VALU_DEP_2) | instskip(NEXT) | instid1(VALU_DEP_1)
	v_ldexp_f64 v[3:4], v[3:4], 32
	v_add_f64 v[2:3], v[3:4], v[5:6]
	s_branch .LBB512_239
.LBB512_236:
	s_mov_b32 s0, -1
                                        ; implicit-def: $vgpr2_vgpr3
	s_branch .LBB512_245
.LBB512_237:
	s_mov_b32 s0, -1
                                        ; implicit-def: $vgpr2_vgpr3
	s_branch .LBB512_242
.LBB512_238:
	s_mov_b32 s0, -1
                                        ; implicit-def: $vgpr2_vgpr3
.LBB512_239:
	s_delay_alu instid0(SALU_CYCLE_1)
	s_and_not1_b32 vcc_lo, exec_lo, s0
	s_cbranch_vccnz .LBB512_241
; %bb.240:
	global_load_b32 v2, v[0:1], off
	s_waitcnt vmcnt(0)
	v_cvt_f64_i32_e32 v[2:3], v2
.LBB512_241:
	s_mov_b32 s0, 0
.LBB512_242:
	s_delay_alu instid0(SALU_CYCLE_1)
	s_and_not1_b32 vcc_lo, exec_lo, s0
	s_cbranch_vccnz .LBB512_244
; %bb.243:
	global_load_i16 v2, v[0:1], off
	s_waitcnt vmcnt(0)
	v_cvt_f64_i32_e32 v[2:3], v2
.LBB512_244:
	s_mov_b32 s0, 0
.LBB512_245:
	s_delay_alu instid0(SALU_CYCLE_1)
	s_and_not1_b32 vcc_lo, exec_lo, s0
	s_cbranch_vccnz .LBB512_251
; %bb.246:
	v_cmp_lt_i16_e32 vcc_lo, 0, v13
	s_mov_b32 s0, 0
	s_cbranch_vccz .LBB512_248
; %bb.247:
	global_load_i8 v2, v[0:1], off
	s_waitcnt vmcnt(0)
	v_cvt_f64_i32_e32 v[2:3], v2
	s_branch .LBB512_249
.LBB512_248:
	s_mov_b32 s0, -1
                                        ; implicit-def: $vgpr2_vgpr3
.LBB512_249:
	s_delay_alu instid0(SALU_CYCLE_1)
	s_and_not1_b32 vcc_lo, exec_lo, s0
	s_cbranch_vccnz .LBB512_251
; %bb.250:
	global_load_u8 v0, v[0:1], off
	s_waitcnt vmcnt(0)
	v_cvt_f64_u32_e32 v[2:3], v0
.LBB512_251:
	s_branch .LBB512_11
.LBB512_252:
	s_mov_b32 s0, 0
.LBB512_253:
	s_mov_b32 s1, 0
                                        ; implicit-def: $vgpr12
.LBB512_254:
	s_and_b32 s17, s0, exec_lo
	s_and_b32 s19, s19, exec_lo
	s_or_not1_b32 s1, s1, exec_lo
.LBB512_255:
	s_or_b32 exec_lo, exec_lo, s20
	s_mov_b32 s22, 0
	s_mov_b32 s0, 0
                                        ; implicit-def: $vgpr0_vgpr1
                                        ; implicit-def: $vgpr2_vgpr3
	s_and_saveexec_b32 s20, s1
	s_cbranch_execz .LBB512_871
; %bb.256:
	s_mov_b32 s25, -1
	s_mov_b32 s21, s19
	s_mov_b32 s22, s17
	s_mov_b32 s23, exec_lo
	v_cmpx_gt_i32_e64 s18, v12
	s_cbranch_execz .LBB512_519
; %bb.257:
	v_mul_lo_u32 v0, v12, s3
	v_cmp_gt_i16_e32 vcc_lo, 11, v13
	s_delay_alu instid0(VALU_DEP_2) | instskip(SKIP_1) | instid1(VALU_DEP_1)
	v_ashrrev_i32_e32 v1, 31, v0
	v_add_co_u32 v0, s0, s6, v0
	v_add_co_ci_u32_e64 v1, s0, s7, v1, s0
	s_cbranch_vccnz .LBB512_264
; %bb.258:
	v_cmp_lt_i16_e32 vcc_lo, 25, v13
	s_cbranch_vccz .LBB512_277
; %bb.259:
	v_cmp_lt_i16_e32 vcc_lo, 28, v13
	s_cbranch_vccz .LBB512_279
	;; [unrolled: 3-line block ×4, first 2 shown]
; %bb.262:
	v_cmp_eq_u16_e32 vcc_lo, 46, v13
	s_mov_b32 s1, 0
	s_cbranch_vccz .LBB512_289
; %bb.263:
	global_load_b32 v2, v[0:1], off
	s_mov_b32 s0, -1
	s_mov_b32 s21, 0
	s_waitcnt vmcnt(0)
	v_lshlrev_b32_e32 v2, 16, v2
	s_delay_alu instid0(VALU_DEP_1)
	v_cvt_f64_f32_e32 v[2:3], v2
	s_branch .LBB512_291
.LBB512_264:
	s_mov_b32 s0, 0
	s_mov_b32 s21, s19
                                        ; implicit-def: $vgpr2_vgpr3
	s_cbranch_execnz .LBB512_468
.LBB512_265:
	s_and_not1_b32 vcc_lo, exec_lo, s0
	s_cbranch_vccnz .LBB512_516
.LBB512_266:
	v_dual_mov_b32 v0, s8 :: v_dual_mov_b32 v1, s9
	s_mov_b32 s0, exec_lo
	s_waitcnt vmcnt(0)
	s_delay_alu instid0(VALU_DEP_2)
	v_cmpx_o_f64_e32 v[2:3], v[2:3]
	s_cbranch_execz .LBB512_270
; %bb.267:
	v_dual_mov_b32 v0, s10 :: v_dual_mov_b32 v1, s11
	s_mov_b32 s1, exec_lo
	v_cmpx_neq_f64_e32 0x7ff00000, v[2:3]
; %bb.268:
	v_cmp_eq_f64_e32 vcc_lo, 0xfff00000, v[2:3]
	v_cndmask_b32_e64 v1, v3, s13, vcc_lo
	v_cndmask_b32_e64 v0, v2, s12, vcc_lo
; %bb.269:
	s_or_b32 exec_lo, exec_lo, s1
.LBB512_270:
	s_delay_alu instid0(SALU_CYCLE_1) | instskip(SKIP_2) | instid1(VALU_DEP_1)
	s_or_b32 exec_lo, exec_lo, s0
	v_mul_lo_u32 v2, v12, s2
	v_and_b32_e64 v6, 0xff, s14
	v_cmp_gt_i16_e32 vcc_lo, 11, v6
	s_delay_alu instid0(VALU_DEP_3) | instskip(SKIP_1) | instid1(VALU_DEP_1)
	v_ashrrev_i32_e32 v3, 31, v2
	v_add_co_u32 v4, s0, s4, v2
	v_add_co_ci_u32_e64 v5, s0, s5, v3, s0
	s_cbranch_vccnz .LBB512_278
; %bb.271:
	v_cmp_lt_i16_e32 vcc_lo, 25, v6
	s_cbranch_vccz .LBB512_280
; %bb.272:
	v_cmp_lt_i16_e32 vcc_lo, 28, v6
	s_cbranch_vccz .LBB512_282
	;; [unrolled: 3-line block ×4, first 2 shown]
; %bb.275:
	v_cmp_eq_u16_e32 vcc_lo, 46, v6
	s_mov_b32 s22, 0
	s_mov_b32 s0, -1
	s_mov_b32 s1, 0
	s_cbranch_vccz .LBB512_295
; %bb.276:
	v_cvt_f32_f64_e32 v2, v[0:1]
	s_mov_b32 s1, -1
	s_mov_b32 s0, 0
	s_delay_alu instid0(VALU_DEP_1) | instskip(SKIP_1) | instid1(VALU_DEP_2)
	v_bfe_u32 v3, v2, 16, 1
	v_cmp_o_f32_e32 vcc_lo, v2, v2
	v_add3_u32 v3, v2, v3, 0x7fff
	s_delay_alu instid0(VALU_DEP_1) | instskip(NEXT) | instid1(VALU_DEP_1)
	v_lshrrev_b32_e32 v3, 16, v3
	v_cndmask_b32_e32 v2, 0x7fc0, v3, vcc_lo
	global_store_b32 v[4:5], v2, off
	s_branch .LBB512_295
.LBB512_277:
	s_mov_b32 s1, -1
	s_mov_b32 s0, 0
	s_mov_b32 s21, s19
                                        ; implicit-def: $vgpr2_vgpr3
	s_branch .LBB512_434
.LBB512_278:
	s_mov_b32 s22, -1
	s_mov_b32 s1, 0
	s_mov_b32 s0, s17
	s_branch .LBB512_364
.LBB512_279:
	s_mov_b32 s1, -1
	s_mov_b32 s0, 0
	s_mov_b32 s21, s19
                                        ; implicit-def: $vgpr2_vgpr3
	s_branch .LBB512_413
.LBB512_280:
	s_mov_b32 s22, -1
	s_mov_b32 s1, 0
	s_mov_b32 s0, s17
	s_branch .LBB512_322
.LBB512_281:
	s_mov_b32 s1, -1
	s_mov_b32 s0, 0
	s_mov_b32 s21, s19
                                        ; implicit-def: $vgpr2_vgpr3
	s_branch .LBB512_408
.LBB512_282:
	s_mov_b32 s22, -1
	s_mov_b32 s1, 0
	s_mov_b32 s0, s17
	s_branch .LBB512_305
.LBB512_283:
	s_or_saveexec_b32 s22, s22
                                        ; implicit-def: $sgpr23
	s_delay_alu instid0(SALU_CYCLE_1)
	s_xor_b32 exec_lo, exec_lo, s22
	s_cbranch_execz .LBB512_57
.LBB512_284:
	v_add_f32_e64 v3, 0x46000000, |v2|
	s_and_not1_b32 s17, s17, exec_lo
	s_mov_b32 s23, 0
	s_delay_alu instid0(VALU_DEP_1) | instskip(NEXT) | instid1(VALU_DEP_1)
	v_and_b32_e32 v3, 0xff, v3
	v_cmp_ne_u32_e32 vcc_lo, 0, v3
	s_and_b32 s24, vcc_lo, exec_lo
	s_delay_alu instid0(SALU_CYCLE_1)
	s_or_b32 s17, s17, s24
	s_or_b32 exec_lo, exec_lo, s22
	v_mov_b32_e32 v7, s23
	s_and_saveexec_b32 s22, s17
	s_cbranch_execnz .LBB512_58
	s_branch .LBB512_59
.LBB512_285:
	s_mov_b32 s1, -1
	s_mov_b32 s0, 0
	s_mov_b32 s21, s19
	s_branch .LBB512_290
.LBB512_286:
	s_mov_b32 s22, -1
	s_mov_b32 s1, 0
	s_mov_b32 s0, s17
	s_branch .LBB512_301
.LBB512_287:
	s_or_saveexec_b32 s22, s22
                                        ; implicit-def: $sgpr23
	s_delay_alu instid0(SALU_CYCLE_1)
	s_xor_b32 exec_lo, exec_lo, s22
	s_cbranch_execz .LBB512_70
.LBB512_288:
	v_add_f32_e64 v3, 0x42800000, |v2|
	s_and_not1_b32 s17, s17, exec_lo
	s_mov_b32 s23, 0
	s_delay_alu instid0(VALU_DEP_1) | instskip(NEXT) | instid1(VALU_DEP_1)
	v_and_b32_e32 v3, 0xff, v3
	v_cmp_ne_u32_e32 vcc_lo, 0, v3
	s_and_b32 s24, vcc_lo, exec_lo
	s_delay_alu instid0(SALU_CYCLE_1)
	s_or_b32 s17, s17, s24
	s_or_b32 exec_lo, exec_lo, s22
	v_mov_b32_e32 v7, s23
	s_and_saveexec_b32 s22, s17
	s_cbranch_execnz .LBB512_71
	s_branch .LBB512_72
.LBB512_289:
	s_mov_b32 s21, -1
	s_mov_b32 s0, 0
.LBB512_290:
                                        ; implicit-def: $vgpr2_vgpr3
.LBB512_291:
	s_and_b32 vcc_lo, exec_lo, s1
	s_cbranch_vccz .LBB512_407
; %bb.292:
	v_cmp_eq_u16_e32 vcc_lo, 44, v13
	s_cbranch_vccz .LBB512_406
; %bb.293:
	global_load_u8 v4, v[0:1], off
	s_mov_b32 s21, 0
	s_mov_b32 s0, -1
	s_waitcnt vmcnt(0)
	v_cmp_ne_u32_e32 vcc_lo, 0xff, v4
	v_lshlrev_b32_e32 v2, 23, v4
	s_delay_alu instid0(VALU_DEP_1) | instskip(NEXT) | instid1(VALU_DEP_1)
	v_cvt_f64_f32_e32 v[2:3], v2
	v_cndmask_b32_e32 v3, 0x7ff80000, v3, vcc_lo
	s_delay_alu instid0(VALU_DEP_2) | instskip(SKIP_1) | instid1(VALU_DEP_3)
	v_cndmask_b32_e32 v2, 0x20000000, v2, vcc_lo
	v_cmp_ne_u32_e32 vcc_lo, 0, v4
	v_cndmask_b32_e32 v3, 0x38000000, v3, vcc_lo
	s_delay_alu instid0(VALU_DEP_3)
	v_cndmask_b32_e32 v2, 0, v2, vcc_lo
	s_branch .LBB512_407
.LBB512_294:
	s_mov_b32 s22, -1
	s_mov_b32 s1, 0
	s_mov_b32 s0, s17
.LBB512_295:
	s_and_b32 vcc_lo, exec_lo, s22
	s_cbranch_vccz .LBB512_300
; %bb.296:
	v_cmp_eq_u16_e32 vcc_lo, 44, v6
	s_mov_b32 s0, -1
	s_cbranch_vccz .LBB512_300
; %bb.297:
	v_cvt_f32_f64_e32 v2, v[0:1]
	v_mov_b32_e32 v3, 0xff
	s_mov_b32 s1, exec_lo
	s_delay_alu instid0(VALU_DEP_2) | instskip(NEXT) | instid1(VALU_DEP_1)
	v_bfe_u32 v7, v2, 23, 8
	v_cmpx_ne_u32_e32 0xff, v7
; %bb.298:
	v_and_b32_e32 v3, 0x400000, v2
	v_and_or_b32 v7, 0x3fffff, v2, v7
	v_lshrrev_b32_e32 v2, 23, v2
	s_delay_alu instid0(VALU_DEP_3) | instskip(NEXT) | instid1(VALU_DEP_3)
	v_cmp_ne_u32_e32 vcc_lo, 0, v3
	v_cmp_ne_u32_e64 s0, 0, v7
	s_delay_alu instid0(VALU_DEP_1) | instskip(NEXT) | instid1(SALU_CYCLE_1)
	s_and_b32 s0, vcc_lo, s0
	v_cndmask_b32_e64 v3, 0, 1, s0
	s_delay_alu instid0(VALU_DEP_1)
	v_add_nc_u32_e32 v3, v2, v3
; %bb.299:
	s_or_b32 exec_lo, exec_lo, s1
	s_mov_b32 s1, -1
	s_mov_b32 s0, 0
	global_store_b8 v[4:5], v3, off
.LBB512_300:
	s_mov_b32 s22, 0
.LBB512_301:
	s_delay_alu instid0(SALU_CYCLE_1)
	s_and_b32 vcc_lo, exec_lo, s22
	s_cbranch_vccz .LBB512_304
; %bb.302:
	v_cmp_eq_u16_e32 vcc_lo, 29, v6
	s_mov_b32 s0, -1
	s_cbranch_vccz .LBB512_304
; %bb.303:
	v_trunc_f64_e32 v[2:3], v[0:1]
	s_mov_b32 s1, -1
	s_mov_b32 s0, 0
	s_mov_b32 s22, 0
	s_delay_alu instid0(VALU_DEP_1) | instskip(NEXT) | instid1(VALU_DEP_1)
	v_ldexp_f64 v[7:8], v[2:3], 0xffffffe0
	v_floor_f64_e32 v[7:8], v[7:8]
	s_delay_alu instid0(VALU_DEP_1) | instskip(SKIP_1) | instid1(VALU_DEP_2)
	v_fma_f64 v[2:3], 0xc1f00000, v[7:8], v[2:3]
	v_cvt_u32_f64_e32 v8, v[7:8]
	v_cvt_u32_f64_e32 v7, v[2:3]
	global_store_b64 v[4:5], v[7:8], off
	s_branch .LBB512_305
.LBB512_304:
	s_mov_b32 s22, 0
.LBB512_305:
	s_delay_alu instid0(SALU_CYCLE_1)
	s_and_b32 vcc_lo, exec_lo, s22
	s_cbranch_vccz .LBB512_321
; %bb.306:
	v_cmp_gt_i16_e32 vcc_lo, 27, v6
	s_mov_b32 s1, -1
	s_cbranch_vccnz .LBB512_312
; %bb.307:
	v_cmp_lt_i16_e32 vcc_lo, 27, v6
	s_cbranch_vccz .LBB512_309
; %bb.308:
	v_cvt_u32_f64_e32 v2, v[0:1]
	s_mov_b32 s1, 0
	global_store_b32 v[4:5], v2, off
.LBB512_309:
	s_and_not1_b32 vcc_lo, exec_lo, s1
	s_cbranch_vccnz .LBB512_311
; %bb.310:
	v_cvt_u32_f64_e32 v2, v[0:1]
	global_store_b16 v[4:5], v2, off
.LBB512_311:
	s_mov_b32 s1, 0
.LBB512_312:
	s_delay_alu instid0(SALU_CYCLE_1)
	s_and_not1_b32 vcc_lo, exec_lo, s1
	s_cbranch_vccnz .LBB512_320
; %bb.313:
	v_cvt_f32_f64_e32 v2, v[0:1]
	v_mov_b32_e32 v7, 0x80
	s_mov_b32 s1, exec_lo
	s_delay_alu instid0(VALU_DEP_2) | instskip(NEXT) | instid1(VALU_DEP_1)
	v_and_b32_e32 v3, 0x7fffffff, v2
	v_cmpx_gt_u32_e32 0x43800000, v3
	s_cbranch_execz .LBB512_319
; %bb.314:
	v_cmp_lt_u32_e32 vcc_lo, 0x3bffffff, v3
	s_mov_b32 s22, 0
                                        ; implicit-def: $vgpr3
	s_and_saveexec_b32 s24, vcc_lo
	s_delay_alu instid0(SALU_CYCLE_1)
	s_xor_b32 s24, exec_lo, s24
	s_cbranch_execz .LBB512_532
; %bb.315:
	v_bfe_u32 v3, v2, 20, 1
	s_mov_b32 s22, exec_lo
	s_delay_alu instid0(VALU_DEP_1) | instskip(NEXT) | instid1(VALU_DEP_1)
	v_add3_u32 v3, v2, v3, 0x487ffff
	v_lshrrev_b32_e32 v3, 20, v3
	s_or_saveexec_b32 s24, s24
                                        ; implicit-def: $sgpr25
	s_delay_alu instid0(SALU_CYCLE_1)
	s_xor_b32 exec_lo, exec_lo, s24
	s_cbranch_execnz .LBB512_533
.LBB512_316:
	s_or_b32 exec_lo, exec_lo, s24
	v_mov_b32_e32 v7, s25
	s_and_saveexec_b32 s24, s22
.LBB512_317:
	v_lshrrev_b32_e32 v2, 24, v2
	s_delay_alu instid0(VALU_DEP_1)
	v_and_or_b32 v7, 0x80, v2, v3
.LBB512_318:
	s_or_b32 exec_lo, exec_lo, s24
.LBB512_319:
	s_delay_alu instid0(SALU_CYCLE_1)
	s_or_b32 exec_lo, exec_lo, s1
	global_store_b8 v[4:5], v7, off
.LBB512_320:
	s_mov_b32 s1, -1
.LBB512_321:
	s_mov_b32 s22, 0
.LBB512_322:
	s_delay_alu instid0(SALU_CYCLE_1)
	s_and_b32 vcc_lo, exec_lo, s22
	s_cbranch_vccz .LBB512_363
; %bb.323:
	v_cmp_lt_i16_e32 vcc_lo, 22, v6
	s_mov_b32 s22, -1
	s_cbranch_vccz .LBB512_355
; %bb.324:
	v_cmp_gt_i16_e32 vcc_lo, 24, v6
	s_mov_b32 s1, -1
	s_cbranch_vccnz .LBB512_344
; %bb.325:
	v_cmp_lt_i16_e32 vcc_lo, 24, v6
	s_cbranch_vccz .LBB512_333
; %bb.326:
	v_cvt_f32_f64_e32 v2, v[0:1]
	v_mov_b32_e32 v7, 0x80
	s_mov_b32 s1, exec_lo
	s_delay_alu instid0(VALU_DEP_2) | instskip(NEXT) | instid1(VALU_DEP_1)
	v_and_b32_e32 v3, 0x7fffffff, v2
	v_cmpx_gt_u32_e32 0x47800000, v3
	s_cbranch_execz .LBB512_332
; %bb.327:
	v_cmp_lt_u32_e32 vcc_lo, 0x37ffffff, v3
	s_mov_b32 s22, 0
                                        ; implicit-def: $vgpr3
	s_and_saveexec_b32 s24, vcc_lo
	s_delay_alu instid0(SALU_CYCLE_1)
	s_xor_b32 s24, exec_lo, s24
	s_cbranch_execz .LBB512_535
; %bb.328:
	v_bfe_u32 v3, v2, 21, 1
	s_mov_b32 s22, exec_lo
	s_delay_alu instid0(VALU_DEP_1) | instskip(NEXT) | instid1(VALU_DEP_1)
	v_add3_u32 v3, v2, v3, 0x88fffff
	v_lshrrev_b32_e32 v3, 21, v3
	s_or_saveexec_b32 s24, s24
                                        ; implicit-def: $sgpr25
	s_delay_alu instid0(SALU_CYCLE_1)
	s_xor_b32 exec_lo, exec_lo, s24
	s_cbranch_execnz .LBB512_536
.LBB512_329:
	s_or_b32 exec_lo, exec_lo, s24
	v_mov_b32_e32 v7, s25
	s_and_saveexec_b32 s24, s22
.LBB512_330:
	v_lshrrev_b32_e32 v2, 24, v2
	s_delay_alu instid0(VALU_DEP_1)
	v_and_or_b32 v7, 0x80, v2, v3
.LBB512_331:
	s_or_b32 exec_lo, exec_lo, s24
.LBB512_332:
	s_delay_alu instid0(SALU_CYCLE_1)
	s_or_b32 exec_lo, exec_lo, s1
	s_mov_b32 s1, 0
	global_store_b8 v[4:5], v7, off
.LBB512_333:
	s_and_b32 vcc_lo, exec_lo, s1
	s_cbranch_vccz .LBB512_343
; %bb.334:
	v_cvt_f32_f64_e32 v2, v[0:1]
	s_mov_b32 s1, exec_lo
                                        ; implicit-def: $vgpr3
	s_delay_alu instid0(VALU_DEP_1) | instskip(NEXT) | instid1(VALU_DEP_1)
	v_and_b32_e32 v7, 0x7fffffff, v2
	v_cmpx_gt_u32_e32 0x43f00000, v7
	s_xor_b32 s1, exec_lo, s1
	s_cbranch_execz .LBB512_340
; %bb.335:
	s_mov_b32 s22, exec_lo
                                        ; implicit-def: $vgpr3
	v_cmpx_lt_u32_e32 0x3c7fffff, v7
	s_xor_b32 s22, exec_lo, s22
; %bb.336:
	v_bfe_u32 v3, v2, 20, 1
	s_delay_alu instid0(VALU_DEP_1) | instskip(NEXT) | instid1(VALU_DEP_1)
	v_add3_u32 v3, v2, v3, 0x407ffff
	v_and_b32_e32 v7, 0xff00000, v3
	v_lshrrev_b32_e32 v3, 20, v3
	s_delay_alu instid0(VALU_DEP_2) | instskip(NEXT) | instid1(VALU_DEP_2)
	v_cmp_ne_u32_e32 vcc_lo, 0x7f00000, v7
	v_cndmask_b32_e32 v3, 0x7e, v3, vcc_lo
; %bb.337:
	s_and_not1_saveexec_b32 s22, s22
; %bb.338:
	v_add_f32_e64 v3, 0x46800000, |v2|
; %bb.339:
	s_or_b32 exec_lo, exec_lo, s22
                                        ; implicit-def: $vgpr7
.LBB512_340:
	s_and_not1_saveexec_b32 s1, s1
; %bb.341:
	v_mov_b32_e32 v3, 0x7f
	v_cmp_lt_u32_e32 vcc_lo, 0x7f800000, v7
	s_delay_alu instid0(VALU_DEP_2)
	v_cndmask_b32_e32 v3, 0x7e, v3, vcc_lo
; %bb.342:
	s_or_b32 exec_lo, exec_lo, s1
	v_lshrrev_b32_e32 v2, 24, v2
	s_delay_alu instid0(VALU_DEP_1)
	v_and_or_b32 v2, 0x80, v2, v3
	global_store_b8 v[4:5], v2, off
.LBB512_343:
	s_mov_b32 s1, 0
.LBB512_344:
	s_delay_alu instid0(SALU_CYCLE_1)
	s_and_not1_b32 vcc_lo, exec_lo, s1
	s_cbranch_vccnz .LBB512_354
; %bb.345:
	v_cvt_f32_f64_e32 v2, v[0:1]
	s_mov_b32 s1, exec_lo
                                        ; implicit-def: $vgpr3
	s_delay_alu instid0(VALU_DEP_1) | instskip(NEXT) | instid1(VALU_DEP_1)
	v_and_b32_e32 v7, 0x7fffffff, v2
	v_cmpx_gt_u32_e32 0x47800000, v7
	s_xor_b32 s1, exec_lo, s1
	s_cbranch_execz .LBB512_351
; %bb.346:
	s_mov_b32 s22, exec_lo
                                        ; implicit-def: $vgpr3
	v_cmpx_lt_u32_e32 0x387fffff, v7
	s_xor_b32 s22, exec_lo, s22
; %bb.347:
	v_bfe_u32 v3, v2, 21, 1
	s_delay_alu instid0(VALU_DEP_1) | instskip(NEXT) | instid1(VALU_DEP_1)
	v_add3_u32 v3, v2, v3, 0x80fffff
	v_lshrrev_b32_e32 v3, 21, v3
; %bb.348:
	s_and_not1_saveexec_b32 s22, s22
; %bb.349:
	v_add_f32_e64 v3, 0x43000000, |v2|
; %bb.350:
	s_or_b32 exec_lo, exec_lo, s22
                                        ; implicit-def: $vgpr7
.LBB512_351:
	s_and_not1_saveexec_b32 s1, s1
; %bb.352:
	v_mov_b32_e32 v3, 0x7f
	v_cmp_lt_u32_e32 vcc_lo, 0x7f800000, v7
	s_delay_alu instid0(VALU_DEP_2)
	v_cndmask_b32_e32 v3, 0x7c, v3, vcc_lo
; %bb.353:
	s_or_b32 exec_lo, exec_lo, s1
	v_lshrrev_b32_e32 v2, 24, v2
	s_delay_alu instid0(VALU_DEP_1)
	v_and_or_b32 v2, 0x80, v2, v3
	global_store_b8 v[4:5], v2, off
.LBB512_354:
	s_mov_b32 s22, 0
	s_mov_b32 s1, -1
.LBB512_355:
	s_and_not1_b32 vcc_lo, exec_lo, s22
	s_cbranch_vccnz .LBB512_363
; %bb.356:
	v_cmp_lt_i16_e32 vcc_lo, 14, v6
	s_mov_b32 s22, -1
	s_cbranch_vccz .LBB512_360
; %bb.357:
	v_cmp_eq_u16_e32 vcc_lo, 15, v6
	s_mov_b32 s0, -1
	s_cbranch_vccz .LBB512_359
; %bb.358:
	v_cvt_f32_f64_e32 v2, v[0:1]
	s_mov_b32 s1, -1
	s_mov_b32 s0, 0
	s_delay_alu instid0(VALU_DEP_1) | instskip(SKIP_1) | instid1(VALU_DEP_2)
	v_bfe_u32 v3, v2, 16, 1
	v_cmp_o_f32_e32 vcc_lo, v2, v2
	v_add3_u32 v3, v2, v3, 0x7fff
	s_delay_alu instid0(VALU_DEP_1) | instskip(NEXT) | instid1(VALU_DEP_1)
	v_lshrrev_b32_e32 v3, 16, v3
	v_cndmask_b32_e32 v2, 0x7fc0, v3, vcc_lo
	global_store_b16 v[4:5], v2, off
.LBB512_359:
	s_mov_b32 s22, 0
.LBB512_360:
	s_delay_alu instid0(SALU_CYCLE_1)
	s_and_b32 vcc_lo, exec_lo, s22
	s_cbranch_vccz .LBB512_363
; %bb.361:
	v_cmp_eq_u16_e32 vcc_lo, 11, v6
	s_mov_b32 s0, -1
	s_cbranch_vccz .LBB512_363
; %bb.362:
	v_cmp_neq_f64_e32 vcc_lo, 0, v[0:1]
	s_mov_b32 s1, -1
	s_mov_b32 s0, 0
	v_cndmask_b32_e64 v2, 0, 1, vcc_lo
	global_store_b8 v[4:5], v2, off
.LBB512_363:
	s_mov_b32 s22, 0
.LBB512_364:
	s_delay_alu instid0(SALU_CYCLE_1)
	s_and_b32 vcc_lo, exec_lo, s22
	s_cbranch_vccz .LBB512_403
; %bb.365:
	v_cmp_gt_i16_e32 vcc_lo, 5, v6
	s_mov_b32 s1, -1
	s_cbranch_vccnz .LBB512_386
; %bb.366:
	v_cmp_gt_i16_e32 vcc_lo, 8, v6
	s_cbranch_vccnz .LBB512_376
; %bb.367:
	v_cmp_gt_i16_e32 vcc_lo, 9, v6
	s_cbranch_vccnz .LBB512_373
; %bb.368:
	v_cmp_lt_i16_e32 vcc_lo, 9, v6
	s_cbranch_vccz .LBB512_370
; %bb.369:
	v_mov_b32_e32 v2, 0
	s_mov_b32 s1, 0
	s_delay_alu instid0(VALU_DEP_1)
	v_mov_b32_e32 v3, v2
	global_store_b128 v[4:5], v[0:3], off
.LBB512_370:
	s_and_not1_b32 vcc_lo, exec_lo, s1
	s_cbranch_vccnz .LBB512_372
; %bb.371:
	v_cvt_f32_f64_e32 v2, v[0:1]
	v_mov_b32_e32 v3, 0
	global_store_b64 v[4:5], v[2:3], off
.LBB512_372:
	s_mov_b32 s1, 0
.LBB512_373:
	s_delay_alu instid0(SALU_CYCLE_1)
	s_and_not1_b32 vcc_lo, exec_lo, s1
	s_cbranch_vccnz .LBB512_375
; %bb.374:
	v_cvt_f32_f64_e32 v2, v[0:1]
	s_delay_alu instid0(VALU_DEP_1) | instskip(NEXT) | instid1(VALU_DEP_1)
	v_cvt_f16_f32_e32 v2, v2
	v_and_b32_e32 v2, 0xffff, v2
	global_store_b32 v[4:5], v2, off
.LBB512_375:
	s_mov_b32 s1, 0
.LBB512_376:
	s_delay_alu instid0(SALU_CYCLE_1)
	s_and_not1_b32 vcc_lo, exec_lo, s1
	s_cbranch_vccnz .LBB512_385
; %bb.377:
	v_cmp_gt_i16_e32 vcc_lo, 6, v6
	s_mov_b32 s1, -1
	s_cbranch_vccnz .LBB512_383
; %bb.378:
	v_cmp_lt_i16_e32 vcc_lo, 6, v6
	s_cbranch_vccz .LBB512_380
; %bb.379:
	s_mov_b32 s1, 0
	global_store_b64 v[4:5], v[0:1], off
.LBB512_380:
	s_and_not1_b32 vcc_lo, exec_lo, s1
	s_cbranch_vccnz .LBB512_382
; %bb.381:
	v_cvt_f32_f64_e32 v2, v[0:1]
	global_store_b32 v[4:5], v2, off
.LBB512_382:
	s_mov_b32 s1, 0
.LBB512_383:
	s_delay_alu instid0(SALU_CYCLE_1)
	s_and_not1_b32 vcc_lo, exec_lo, s1
	s_cbranch_vccnz .LBB512_385
; %bb.384:
	v_cvt_f32_f64_e32 v2, v[0:1]
	s_delay_alu instid0(VALU_DEP_1)
	v_cvt_f16_f32_e32 v2, v2
	global_store_b16 v[4:5], v2, off
.LBB512_385:
	s_mov_b32 s1, 0
.LBB512_386:
	s_delay_alu instid0(SALU_CYCLE_1)
	s_and_not1_b32 vcc_lo, exec_lo, s1
	s_cbranch_vccnz .LBB512_402
; %bb.387:
	v_cmp_gt_i16_e32 vcc_lo, 2, v6
	s_mov_b32 s1, -1
	s_cbranch_vccnz .LBB512_397
; %bb.388:
	v_cmp_gt_i16_e32 vcc_lo, 3, v6
	s_cbranch_vccnz .LBB512_394
; %bb.389:
	v_cmp_lt_i16_e32 vcc_lo, 3, v6
	s_cbranch_vccz .LBB512_391
; %bb.390:
	v_trunc_f64_e32 v[2:3], v[0:1]
	s_mov_b32 s1, 0
	s_delay_alu instid0(VALU_DEP_1) | instskip(NEXT) | instid1(VALU_DEP_1)
	v_ldexp_f64 v[7:8], v[2:3], 0xffffffe0
	v_floor_f64_e32 v[7:8], v[7:8]
	s_delay_alu instid0(VALU_DEP_1) | instskip(SKIP_1) | instid1(VALU_DEP_2)
	v_fma_f64 v[2:3], 0xc1f00000, v[7:8], v[2:3]
	v_cvt_i32_f64_e32 v8, v[7:8]
	v_cvt_u32_f64_e32 v7, v[2:3]
	global_store_b64 v[4:5], v[7:8], off
.LBB512_391:
	s_and_not1_b32 vcc_lo, exec_lo, s1
	s_cbranch_vccnz .LBB512_393
; %bb.392:
	v_cvt_i32_f64_e32 v2, v[0:1]
	global_store_b32 v[4:5], v2, off
.LBB512_393:
	s_mov_b32 s1, 0
.LBB512_394:
	s_delay_alu instid0(SALU_CYCLE_1)
	s_and_not1_b32 vcc_lo, exec_lo, s1
	s_cbranch_vccnz .LBB512_396
; %bb.395:
	v_cvt_i32_f64_e32 v2, v[0:1]
	global_store_b16 v[4:5], v2, off
.LBB512_396:
	s_mov_b32 s1, 0
.LBB512_397:
	s_delay_alu instid0(SALU_CYCLE_1)
	s_and_not1_b32 vcc_lo, exec_lo, s1
	s_cbranch_vccnz .LBB512_402
; %bb.398:
	v_cmp_lt_i16_e32 vcc_lo, 0, v6
	s_mov_b32 s1, -1
	s_cbranch_vccz .LBB512_400
; %bb.399:
	v_cvt_i32_f64_e32 v2, v[0:1]
	s_mov_b32 s1, 0
	global_store_b8 v[4:5], v2, off
.LBB512_400:
	s_and_not1_b32 vcc_lo, exec_lo, s1
	s_cbranch_vccnz .LBB512_402
; %bb.401:
	v_trunc_f64_e32 v[0:1], v[0:1]
	s_delay_alu instid0(VALU_DEP_1) | instskip(NEXT) | instid1(VALU_DEP_1)
	v_ldexp_f64 v[2:3], v[0:1], 0xffffffe0
	v_floor_f64_e32 v[2:3], v[2:3]
	s_delay_alu instid0(VALU_DEP_1) | instskip(NEXT) | instid1(VALU_DEP_1)
	v_fma_f64 v[0:1], 0xc1f00000, v[2:3], v[0:1]
	v_cvt_u32_f64_e32 v0, v[0:1]
	global_store_b8 v[4:5], v0, off
.LBB512_402:
	s_mov_b32 s1, -1
.LBB512_403:
	s_delay_alu instid0(SALU_CYCLE_1)
	s_and_not1_b32 vcc_lo, exec_lo, s1
	s_cbranch_vccnz .LBB512_405
; %bb.404:
	v_add_nc_u32_e32 v12, 0x80, v12
	s_mov_b32 s1, -1
	s_branch .LBB512_518
.LBB512_405:
	s_mov_b32 s1, 0
	s_branch .LBB512_517
.LBB512_406:
	s_mov_b32 s21, -1
                                        ; implicit-def: $vgpr2_vgpr3
.LBB512_407:
	s_mov_b32 s1, 0
.LBB512_408:
	s_delay_alu instid0(SALU_CYCLE_1)
	s_and_b32 vcc_lo, exec_lo, s1
	s_cbranch_vccz .LBB512_412
; %bb.409:
	v_cmp_eq_u16_e32 vcc_lo, 29, v13
	s_cbranch_vccz .LBB512_411
; %bb.410:
	global_load_b64 v[2:3], v[0:1], off
	s_mov_b32 s0, -1
	s_mov_b32 s21, 0
	s_mov_b32 s1, 0
	s_waitcnt vmcnt(0)
	v_cvt_f64_u32_e32 v[3:4], v3
	v_cvt_f64_u32_e32 v[5:6], v2
	s_delay_alu instid0(VALU_DEP_2) | instskip(NEXT) | instid1(VALU_DEP_1)
	v_ldexp_f64 v[3:4], v[3:4], 32
	v_add_f64 v[2:3], v[3:4], v[5:6]
	s_branch .LBB512_413
.LBB512_411:
	s_mov_b32 s21, -1
                                        ; implicit-def: $vgpr2_vgpr3
.LBB512_412:
	s_mov_b32 s1, 0
.LBB512_413:
	s_delay_alu instid0(SALU_CYCLE_1)
	s_and_b32 vcc_lo, exec_lo, s1
	s_cbranch_vccz .LBB512_433
; %bb.414:
	v_cmp_gt_i16_e32 vcc_lo, 27, v13
	s_cbranch_vccnz .LBB512_417
; %bb.415:
	v_cmp_lt_i16_e32 vcc_lo, 27, v13
	s_cbranch_vccz .LBB512_418
; %bb.416:
	global_load_b32 v2, v[0:1], off
	s_mov_b32 s0, 0
	s_waitcnt vmcnt(0)
	v_cvt_f64_u32_e32 v[2:3], v2
	s_branch .LBB512_419
.LBB512_417:
	s_mov_b32 s0, -1
                                        ; implicit-def: $vgpr2_vgpr3
	s_branch .LBB512_422
.LBB512_418:
	s_mov_b32 s0, -1
                                        ; implicit-def: $vgpr2_vgpr3
.LBB512_419:
	s_delay_alu instid0(SALU_CYCLE_1)
	s_and_not1_b32 vcc_lo, exec_lo, s0
	s_cbranch_vccnz .LBB512_421
; %bb.420:
	global_load_u16 v2, v[0:1], off
	s_waitcnt vmcnt(0)
	v_cvt_f64_u32_e32 v[2:3], v2
.LBB512_421:
	s_mov_b32 s0, 0
.LBB512_422:
	s_delay_alu instid0(SALU_CYCLE_1)
	s_and_not1_b32 vcc_lo, exec_lo, s0
	s_cbranch_vccnz .LBB512_432
; %bb.423:
	global_load_u8 v4, v[0:1], off
	s_mov_b32 s22, 0
	s_mov_b32 s24, exec_lo
                                        ; implicit-def: $sgpr0_sgpr1
	s_waitcnt vmcnt(0)
	v_cmpx_lt_i16_e32 0x7f, v4
	s_xor_b32 s24, exec_lo, s24
	s_cbranch_execz .LBB512_427
; %bb.424:
	s_mov_b32 s22, exec_lo
                                        ; implicit-def: $sgpr0_sgpr1
	v_cmpx_eq_u16_e32 0x80, v4
; %bb.425:
	s_mov_b32 s1, 0x7ff80000
	s_brev_b32 s0, 4
	s_xor_b32 s25, exec_lo, -1
; %bb.426:
	s_or_b32 exec_lo, exec_lo, s22
	s_delay_alu instid0(SALU_CYCLE_1)
	s_and_b32 s22, s25, exec_lo
.LBB512_427:
	s_or_saveexec_b32 s24, s24
	v_dual_mov_b32 v3, s1 :: v_dual_mov_b32 v2, s0
	s_xor_b32 exec_lo, exec_lo, s24
; %bb.428:
	v_cmp_ne_u16_e32 vcc_lo, 0, v4
	v_mov_b32_e32 v2, 0
	v_mov_b32_e32 v3, 0
	s_and_not1_b32 s0, s22, exec_lo
	s_and_b32 s1, vcc_lo, exec_lo
	s_delay_alu instid0(SALU_CYCLE_1)
	s_or_b32 s22, s0, s1
; %bb.429:
	s_or_b32 exec_lo, exec_lo, s24
	s_and_saveexec_b32 s0, s22
	s_cbranch_execz .LBB512_431
; %bb.430:
	v_and_b32_e32 v2, 0xffff, v4
	v_lshlrev_b32_e32 v4, 24, v4
	s_delay_alu instid0(VALU_DEP_2) | instskip(NEXT) | instid1(VALU_DEP_2)
	v_and_b32_e32 v3, 7, v2
	v_and_b32_e32 v4, 0x80000000, v4
	s_delay_alu instid0(VALU_DEP_2) | instskip(NEXT) | instid1(VALU_DEP_1)
	v_clz_i32_u32_e32 v5, v3
	v_min_u32_e32 v5, 32, v5
	s_delay_alu instid0(VALU_DEP_1) | instskip(SKIP_1) | instid1(VALU_DEP_2)
	v_subrev_nc_u32_e32 v6, 28, v5
	v_sub_nc_u32_e32 v5, 29, v5
	v_lshlrev_b32_e32 v6, v6, v2
	v_bfe_u32 v2, v2, 3, 4
	s_delay_alu instid0(VALU_DEP_2) | instskip(NEXT) | instid1(VALU_DEP_2)
	v_and_b32_e32 v6, 7, v6
	v_cmp_eq_u32_e32 vcc_lo, 0, v2
	s_delay_alu instid0(VALU_DEP_2) | instskip(NEXT) | instid1(VALU_DEP_1)
	v_dual_cndmask_b32 v2, v2, v5 :: v_dual_cndmask_b32 v3, v3, v6
	v_lshl_add_u32 v2, v2, 23, 0x3b800000
	s_delay_alu instid0(VALU_DEP_2) | instskip(NEXT) | instid1(VALU_DEP_1)
	v_lshlrev_b32_e32 v3, 20, v3
	v_or3_b32 v2, v4, v2, v3
	s_delay_alu instid0(VALU_DEP_1)
	v_cvt_f64_f32_e32 v[2:3], v2
.LBB512_431:
	s_or_b32 exec_lo, exec_lo, s0
.LBB512_432:
	s_mov_b32 s0, -1
.LBB512_433:
	s_mov_b32 s1, 0
.LBB512_434:
	s_delay_alu instid0(SALU_CYCLE_1)
	s_and_b32 vcc_lo, exec_lo, s1
	s_cbranch_vccz .LBB512_467
; %bb.435:
	v_cmp_lt_i16_e32 vcc_lo, 22, v13
	s_cbranch_vccz .LBB512_447
; %bb.436:
	v_cmp_gt_i16_e32 vcc_lo, 24, v13
	s_cbranch_vccnz .LBB512_448
; %bb.437:
	v_cmp_lt_i16_e32 vcc_lo, 24, v13
	s_cbranch_vccz .LBB512_449
; %bb.438:
	global_load_u8 v4, v[0:1], off
	s_mov_b32 s22, 0
	s_mov_b32 s24, exec_lo
                                        ; implicit-def: $sgpr0_sgpr1
	s_waitcnt vmcnt(0)
	v_cmpx_lt_i16_e32 0x7f, v4
	s_xor_b32 s24, exec_lo, s24
	s_cbranch_execz .LBB512_442
; %bb.439:
	s_mov_b32 s25, -1
	s_mov_b32 s22, exec_lo
                                        ; implicit-def: $sgpr0_sgpr1
	v_cmpx_eq_u16_e32 0x80, v4
; %bb.440:
	s_mov_b32 s1, 0x7ff80000
	s_brev_b32 s0, 4
	s_xor_b32 s25, exec_lo, -1
; %bb.441:
	s_or_b32 exec_lo, exec_lo, s22
	s_delay_alu instid0(SALU_CYCLE_1)
	s_and_b32 s22, s25, exec_lo
.LBB512_442:
	s_or_saveexec_b32 s24, s24
	v_dual_mov_b32 v3, s1 :: v_dual_mov_b32 v2, s0
	s_xor_b32 exec_lo, exec_lo, s24
; %bb.443:
	v_cmp_ne_u16_e32 vcc_lo, 0, v4
	v_mov_b32_e32 v2, 0
	v_mov_b32_e32 v3, 0
	s_and_not1_b32 s0, s22, exec_lo
	s_and_b32 s1, vcc_lo, exec_lo
	s_delay_alu instid0(SALU_CYCLE_1)
	s_or_b32 s22, s0, s1
; %bb.444:
	s_or_b32 exec_lo, exec_lo, s24
	s_and_saveexec_b32 s0, s22
	s_cbranch_execz .LBB512_446
; %bb.445:
	v_and_b32_e32 v2, 0xffff, v4
	v_lshlrev_b32_e32 v4, 24, v4
	s_delay_alu instid0(VALU_DEP_2) | instskip(NEXT) | instid1(VALU_DEP_2)
	v_and_b32_e32 v3, 3, v2
	v_and_b32_e32 v4, 0x80000000, v4
	s_delay_alu instid0(VALU_DEP_2) | instskip(NEXT) | instid1(VALU_DEP_1)
	v_clz_i32_u32_e32 v5, v3
	v_min_u32_e32 v5, 32, v5
	s_delay_alu instid0(VALU_DEP_1) | instskip(SKIP_1) | instid1(VALU_DEP_2)
	v_subrev_nc_u32_e32 v6, 29, v5
	v_sub_nc_u32_e32 v5, 30, v5
	v_lshlrev_b32_e32 v6, v6, v2
	v_bfe_u32 v2, v2, 2, 5
	s_delay_alu instid0(VALU_DEP_2) | instskip(NEXT) | instid1(VALU_DEP_2)
	v_and_b32_e32 v6, 3, v6
	v_cmp_eq_u32_e32 vcc_lo, 0, v2
	s_delay_alu instid0(VALU_DEP_2) | instskip(NEXT) | instid1(VALU_DEP_1)
	v_dual_cndmask_b32 v2, v2, v5 :: v_dual_cndmask_b32 v3, v3, v6
	v_lshl_add_u32 v2, v2, 23, 0x37800000
	s_delay_alu instid0(VALU_DEP_2) | instskip(NEXT) | instid1(VALU_DEP_1)
	v_lshlrev_b32_e32 v3, 21, v3
	v_or3_b32 v2, v4, v2, v3
	s_delay_alu instid0(VALU_DEP_1)
	v_cvt_f64_f32_e32 v[2:3], v2
.LBB512_446:
	s_or_b32 exec_lo, exec_lo, s0
	s_mov_b32 s0, 0
	s_branch .LBB512_450
.LBB512_447:
	s_mov_b32 s1, -1
                                        ; implicit-def: $vgpr2_vgpr3
	s_branch .LBB512_456
.LBB512_448:
	s_mov_b32 s0, -1
                                        ; implicit-def: $vgpr2_vgpr3
	s_branch .LBB512_453
.LBB512_449:
	s_mov_b32 s0, -1
                                        ; implicit-def: $vgpr2_vgpr3
.LBB512_450:
	s_delay_alu instid0(SALU_CYCLE_1)
	s_and_b32 vcc_lo, exec_lo, s0
	s_cbranch_vccz .LBB512_452
; %bb.451:
	global_load_u8 v2, v[0:1], off
	s_waitcnt vmcnt(0)
	v_lshlrev_b32_e32 v2, 24, v2
	s_delay_alu instid0(VALU_DEP_1) | instskip(NEXT) | instid1(VALU_DEP_1)
	v_and_b32_e32 v3, 0x7f000000, v2
	v_clz_i32_u32_e32 v4, v3
	v_add_nc_u32_e32 v6, 0x1000000, v3
	v_cmp_ne_u32_e32 vcc_lo, 0, v3
	s_delay_alu instid0(VALU_DEP_3) | instskip(NEXT) | instid1(VALU_DEP_1)
	v_min_u32_e32 v4, 32, v4
	v_sub_nc_u32_e64 v4, v4, 4 clamp
	s_delay_alu instid0(VALU_DEP_1) | instskip(SKIP_1) | instid1(VALU_DEP_2)
	v_lshlrev_b32_e32 v5, v4, v3
	v_lshlrev_b32_e32 v4, 23, v4
	v_lshrrev_b32_e32 v5, 4, v5
	s_delay_alu instid0(VALU_DEP_1) | instskip(SKIP_1) | instid1(VALU_DEP_2)
	v_sub_nc_u32_e32 v4, v5, v4
	v_ashrrev_i32_e32 v5, 8, v6
	v_add_nc_u32_e32 v4, 0x3c000000, v4
	s_delay_alu instid0(VALU_DEP_1) | instskip(NEXT) | instid1(VALU_DEP_1)
	v_and_or_b32 v4, 0x7f800000, v5, v4
	v_cndmask_b32_e32 v3, 0, v4, vcc_lo
	s_delay_alu instid0(VALU_DEP_1) | instskip(NEXT) | instid1(VALU_DEP_1)
	v_and_or_b32 v2, 0x80000000, v2, v3
	v_cvt_f64_f32_e32 v[2:3], v2
.LBB512_452:
	s_mov_b32 s0, 0
.LBB512_453:
	s_delay_alu instid0(SALU_CYCLE_1)
	s_and_not1_b32 vcc_lo, exec_lo, s0
	s_cbranch_vccnz .LBB512_455
; %bb.454:
	global_load_u8 v2, v[0:1], off
	s_waitcnt vmcnt(0)
	v_lshlrev_b32_e32 v3, 25, v2
	v_lshlrev_b16 v2, 8, v2
	s_delay_alu instid0(VALU_DEP_2) | instskip(NEXT) | instid1(VALU_DEP_2)
	v_lshrrev_b32_e32 v4, 4, v3
	v_and_or_b32 v5, 0x7f00, v2, 0.5
	v_bfe_i32 v2, v2, 0, 16
	s_delay_alu instid0(VALU_DEP_3) | instskip(NEXT) | instid1(VALU_DEP_1)
	v_or_b32_e32 v4, 0x70000000, v4
	v_dual_add_f32 v5, -0.5, v5 :: v_dual_mul_f32 v4, 0x7800000, v4
	v_cmp_gt_u32_e32 vcc_lo, 0x8000000, v3
	s_delay_alu instid0(VALU_DEP_2) | instskip(NEXT) | instid1(VALU_DEP_1)
	v_cndmask_b32_e32 v3, v4, v5, vcc_lo
	v_and_or_b32 v2, 0x80000000, v2, v3
	s_delay_alu instid0(VALU_DEP_1)
	v_cvt_f64_f32_e32 v[2:3], v2
.LBB512_455:
	s_mov_b32 s1, 0
	s_mov_b32 s0, -1
.LBB512_456:
	s_and_not1_b32 vcc_lo, exec_lo, s1
	s_cbranch_vccnz .LBB512_467
; %bb.457:
	v_cmp_lt_i16_e32 vcc_lo, 14, v13
	s_cbranch_vccz .LBB512_460
; %bb.458:
	v_cmp_eq_u16_e32 vcc_lo, 15, v13
	s_cbranch_vccz .LBB512_461
; %bb.459:
	global_load_u16 v2, v[0:1], off
	s_mov_b32 s0, -1
	s_mov_b32 s21, 0
	s_waitcnt vmcnt(0)
	v_lshlrev_b32_e32 v2, 16, v2
	s_delay_alu instid0(VALU_DEP_1)
	v_cvt_f64_f32_e32 v[2:3], v2
	s_branch .LBB512_462
.LBB512_460:
	s_mov_b32 s1, -1
                                        ; implicit-def: $vgpr2_vgpr3
	s_branch .LBB512_463
.LBB512_461:
	s_mov_b32 s21, -1
                                        ; implicit-def: $vgpr2_vgpr3
.LBB512_462:
	s_mov_b32 s1, 0
.LBB512_463:
	s_delay_alu instid0(SALU_CYCLE_1)
	s_and_b32 vcc_lo, exec_lo, s1
	s_cbranch_vccz .LBB512_467
; %bb.464:
	v_cmp_eq_u16_e32 vcc_lo, 11, v13
	s_cbranch_vccz .LBB512_466
; %bb.465:
	global_load_u8 v2, v[0:1], off
	s_mov_b32 s21, 0
	s_mov_b32 s0, -1
	s_waitcnt vmcnt(0)
	v_cmp_ne_u16_e32 vcc_lo, 0, v2
	v_mov_b32_e32 v2, 0
	v_cndmask_b32_e64 v3, 0, 0x3ff00000, vcc_lo
	s_branch .LBB512_467
.LBB512_466:
	s_mov_b32 s21, -1
                                        ; implicit-def: $vgpr2_vgpr3
.LBB512_467:
	s_branch .LBB512_265
.LBB512_468:
	v_cmp_gt_i16_e32 vcc_lo, 5, v13
	s_cbranch_vccnz .LBB512_473
; %bb.469:
	v_cmp_gt_i16_e32 vcc_lo, 8, v13
	s_cbranch_vccnz .LBB512_474
; %bb.470:
	;; [unrolled: 3-line block ×3, first 2 shown]
	v_cmp_lt_i16_e32 vcc_lo, 9, v13
	s_cbranch_vccz .LBB512_476
; %bb.472:
	global_load_b64 v[2:3], v[0:1], off
	s_mov_b32 s0, 0
	s_branch .LBB512_477
.LBB512_473:
	s_mov_b32 s0, -1
                                        ; implicit-def: $vgpr2_vgpr3
	s_branch .LBB512_495
.LBB512_474:
	s_mov_b32 s0, -1
                                        ; implicit-def: $vgpr2_vgpr3
	s_branch .LBB512_483
.LBB512_475:
	s_mov_b32 s0, -1
                                        ; implicit-def: $vgpr2_vgpr3
	s_branch .LBB512_480
.LBB512_476:
	s_mov_b32 s0, -1
                                        ; implicit-def: $vgpr2_vgpr3
.LBB512_477:
	s_delay_alu instid0(SALU_CYCLE_1)
	s_and_not1_b32 vcc_lo, exec_lo, s0
	s_cbranch_vccnz .LBB512_479
; %bb.478:
	global_load_b32 v2, v[0:1], off
	s_waitcnt vmcnt(0)
	v_cvt_f64_f32_e32 v[2:3], v2
.LBB512_479:
	s_mov_b32 s0, 0
.LBB512_480:
	s_delay_alu instid0(SALU_CYCLE_1)
	s_and_not1_b32 vcc_lo, exec_lo, s0
	s_cbranch_vccnz .LBB512_482
; %bb.481:
	global_load_b32 v2, v[0:1], off
	s_waitcnt vmcnt(0)
	v_cvt_f32_f16_e32 v2, v2
	s_delay_alu instid0(VALU_DEP_1)
	v_cvt_f64_f32_e32 v[2:3], v2
.LBB512_482:
	s_mov_b32 s0, 0
.LBB512_483:
	s_delay_alu instid0(SALU_CYCLE_1)
	s_and_not1_b32 vcc_lo, exec_lo, s0
	s_cbranch_vccnz .LBB512_494
; %bb.484:
	v_cmp_gt_i16_e32 vcc_lo, 6, v13
	s_cbranch_vccnz .LBB512_487
; %bb.485:
	v_cmp_lt_i16_e32 vcc_lo, 6, v13
	s_cbranch_vccz .LBB512_488
; %bb.486:
	global_load_b64 v[2:3], v[0:1], off
	s_mov_b32 s0, 0
	s_branch .LBB512_489
.LBB512_487:
	s_mov_b32 s0, -1
                                        ; implicit-def: $vgpr2_vgpr3
	s_branch .LBB512_492
.LBB512_488:
	s_mov_b32 s0, -1
                                        ; implicit-def: $vgpr2_vgpr3
.LBB512_489:
	s_delay_alu instid0(SALU_CYCLE_1)
	s_and_not1_b32 vcc_lo, exec_lo, s0
	s_cbranch_vccnz .LBB512_491
; %bb.490:
	global_load_b32 v2, v[0:1], off
	s_waitcnt vmcnt(0)
	v_cvt_f64_f32_e32 v[2:3], v2
.LBB512_491:
	s_mov_b32 s0, 0
.LBB512_492:
	s_delay_alu instid0(SALU_CYCLE_1)
	s_and_not1_b32 vcc_lo, exec_lo, s0
	s_cbranch_vccnz .LBB512_494
; %bb.493:
	global_load_u16 v2, v[0:1], off
	s_waitcnt vmcnt(0)
	v_cvt_f32_f16_e32 v2, v2
	s_delay_alu instid0(VALU_DEP_1)
	v_cvt_f64_f32_e32 v[2:3], v2
.LBB512_494:
	s_mov_b32 s0, 0
.LBB512_495:
	s_delay_alu instid0(SALU_CYCLE_1)
	s_and_not1_b32 vcc_lo, exec_lo, s0
	s_cbranch_vccnz .LBB512_515
; %bb.496:
	v_cmp_gt_i16_e32 vcc_lo, 2, v13
	s_cbranch_vccnz .LBB512_500
; %bb.497:
	v_cmp_gt_i16_e32 vcc_lo, 3, v13
	s_cbranch_vccnz .LBB512_501
; %bb.498:
	v_cmp_lt_i16_e32 vcc_lo, 3, v13
	s_cbranch_vccz .LBB512_502
; %bb.499:
	global_load_b64 v[2:3], v[0:1], off
	s_mov_b32 s0, 0
	s_waitcnt vmcnt(0)
	v_cvt_f64_i32_e32 v[3:4], v3
	v_cvt_f64_u32_e32 v[5:6], v2
	s_delay_alu instid0(VALU_DEP_2) | instskip(NEXT) | instid1(VALU_DEP_1)
	v_ldexp_f64 v[3:4], v[3:4], 32
	v_add_f64 v[2:3], v[3:4], v[5:6]
	s_branch .LBB512_503
.LBB512_500:
	s_mov_b32 s0, -1
                                        ; implicit-def: $vgpr2_vgpr3
	s_branch .LBB512_509
.LBB512_501:
	s_mov_b32 s0, -1
                                        ; implicit-def: $vgpr2_vgpr3
	s_branch .LBB512_506
.LBB512_502:
	s_mov_b32 s0, -1
                                        ; implicit-def: $vgpr2_vgpr3
.LBB512_503:
	s_delay_alu instid0(SALU_CYCLE_1)
	s_and_not1_b32 vcc_lo, exec_lo, s0
	s_cbranch_vccnz .LBB512_505
; %bb.504:
	global_load_b32 v2, v[0:1], off
	s_waitcnt vmcnt(0)
	v_cvt_f64_i32_e32 v[2:3], v2
.LBB512_505:
	s_mov_b32 s0, 0
.LBB512_506:
	s_delay_alu instid0(SALU_CYCLE_1)
	s_and_not1_b32 vcc_lo, exec_lo, s0
	s_cbranch_vccnz .LBB512_508
; %bb.507:
	global_load_i16 v2, v[0:1], off
	s_waitcnt vmcnt(0)
	v_cvt_f64_i32_e32 v[2:3], v2
.LBB512_508:
	s_mov_b32 s0, 0
.LBB512_509:
	s_delay_alu instid0(SALU_CYCLE_1)
	s_and_not1_b32 vcc_lo, exec_lo, s0
	s_cbranch_vccnz .LBB512_515
; %bb.510:
	v_cmp_lt_i16_e32 vcc_lo, 0, v13
	s_mov_b32 s0, 0
	s_cbranch_vccz .LBB512_512
; %bb.511:
	global_load_i8 v2, v[0:1], off
	s_waitcnt vmcnt(0)
	v_cvt_f64_i32_e32 v[2:3], v2
	s_branch .LBB512_513
.LBB512_512:
	s_mov_b32 s0, -1
                                        ; implicit-def: $vgpr2_vgpr3
.LBB512_513:
	s_delay_alu instid0(SALU_CYCLE_1)
	s_and_not1_b32 vcc_lo, exec_lo, s0
	s_cbranch_vccnz .LBB512_515
; %bb.514:
	global_load_u8 v0, v[0:1], off
	s_waitcnt vmcnt(0)
	v_cvt_f64_u32_e32 v[2:3], v0
.LBB512_515:
	s_branch .LBB512_266
.LBB512_516:
	s_mov_b32 s1, 0
	s_mov_b32 s0, s17
.LBB512_517:
                                        ; implicit-def: $vgpr12
.LBB512_518:
	s_and_not1_b32 s22, s17, exec_lo
	s_and_b32 s0, s0, exec_lo
	s_and_not1_b32 s24, s19, exec_lo
	s_and_b32 s21, s21, exec_lo
	s_or_b32 s22, s22, s0
	s_or_b32 s21, s24, s21
	s_or_not1_b32 s25, s1, exec_lo
.LBB512_519:
	s_or_b32 exec_lo, exec_lo, s23
	s_mov_b32 s1, 0
	s_mov_b32 s24, 0
	;; [unrolled: 1-line block ×3, first 2 shown]
                                        ; implicit-def: $vgpr0_vgpr1
                                        ; implicit-def: $vgpr2_vgpr3
	s_and_saveexec_b32 s23, s25
	s_cbranch_execz .LBB512_870
; %bb.520:
	s_mov_b32 s0, -1
	s_mov_b32 s25, s21
	s_mov_b32 s26, s22
	s_mov_b32 s24, exec_lo
	v_cmpx_gt_i32_e64 s18, v12
	s_cbranch_execz .LBB512_784
; %bb.521:
	v_mul_lo_u32 v0, v12, s3
	v_cmp_gt_i16_e32 vcc_lo, 11, v13
	s_delay_alu instid0(VALU_DEP_2) | instskip(SKIP_1) | instid1(VALU_DEP_1)
	v_ashrrev_i32_e32 v1, 31, v0
	v_add_co_u32 v0, s0, s6, v0
	v_add_co_ci_u32_e64 v1, s0, s7, v1, s0
	s_cbranch_vccnz .LBB512_528
; %bb.522:
	v_cmp_lt_i16_e32 vcc_lo, 25, v13
	s_cbranch_vccz .LBB512_529
; %bb.523:
	v_cmp_lt_i16_e32 vcc_lo, 28, v13
	s_cbranch_vccz .LBB512_530
; %bb.524:
	v_cmp_lt_i16_e32 vcc_lo, 43, v13
	s_cbranch_vccz .LBB512_531
; %bb.525:
	v_cmp_lt_i16_e32 vcc_lo, 45, v13
	s_cbranch_vccz .LBB512_534
; %bb.526:
	v_cmp_eq_u16_e32 vcc_lo, 46, v13
	s_cbranch_vccz .LBB512_537
; %bb.527:
	global_load_b32 v2, v[0:1], off
	s_mov_b32 s0, -1
	s_mov_b32 s25, 0
	s_waitcnt vmcnt(0)
	v_lshlrev_b32_e32 v2, 16, v2
	s_delay_alu instid0(VALU_DEP_1)
	v_cvt_f64_f32_e32 v[2:3], v2
	s_branch .LBB512_539
.LBB512_528:
	s_mov_b32 s1, -1
	s_mov_b32 s0, 0
	s_mov_b32 s25, s21
                                        ; implicit-def: $vgpr2_vgpr3
	s_branch .LBB512_604
.LBB512_529:
	s_mov_b32 s1, -1
	s_mov_b32 s0, 0
	s_mov_b32 s25, s21
                                        ; implicit-def: $vgpr2_vgpr3
	s_branch .LBB512_570
.LBB512_530:
	s_mov_b32 s1, -1
	s_mov_b32 s0, 0
	s_mov_b32 s25, s21
                                        ; implicit-def: $vgpr2_vgpr3
	s_branch .LBB512_549
.LBB512_531:
	s_mov_b32 s1, -1
	s_mov_b32 s0, 0
	s_mov_b32 s25, s21
                                        ; implicit-def: $vgpr2_vgpr3
	s_branch .LBB512_544
.LBB512_532:
	s_or_saveexec_b32 s24, s24
                                        ; implicit-def: $sgpr25
	s_delay_alu instid0(SALU_CYCLE_1)
	s_xor_b32 exec_lo, exec_lo, s24
	s_cbranch_execz .LBB512_316
.LBB512_533:
	v_add_f32_e64 v3, 0x46000000, |v2|
	s_and_not1_b32 s22, s22, exec_lo
	s_mov_b32 s25, 0
	s_delay_alu instid0(VALU_DEP_1) | instskip(NEXT) | instid1(VALU_DEP_1)
	v_and_b32_e32 v3, 0xff, v3
	v_cmp_ne_u32_e32 vcc_lo, 0, v3
	s_and_b32 s26, vcc_lo, exec_lo
	s_delay_alu instid0(SALU_CYCLE_1)
	s_or_b32 s22, s22, s26
	s_or_b32 exec_lo, exec_lo, s24
	v_mov_b32_e32 v7, s25
	s_and_saveexec_b32 s24, s22
	s_cbranch_execnz .LBB512_317
	s_branch .LBB512_318
.LBB512_534:
	s_mov_b32 s1, -1
	s_mov_b32 s0, 0
	s_mov_b32 s25, s21
	s_branch .LBB512_538
.LBB512_535:
	s_or_saveexec_b32 s24, s24
                                        ; implicit-def: $sgpr25
	s_delay_alu instid0(SALU_CYCLE_1)
	s_xor_b32 exec_lo, exec_lo, s24
	s_cbranch_execz .LBB512_329
.LBB512_536:
	v_add_f32_e64 v3, 0x42800000, |v2|
	s_and_not1_b32 s22, s22, exec_lo
	s_mov_b32 s25, 0
	s_delay_alu instid0(VALU_DEP_1) | instskip(NEXT) | instid1(VALU_DEP_1)
	v_and_b32_e32 v3, 0xff, v3
	v_cmp_ne_u32_e32 vcc_lo, 0, v3
	s_and_b32 s26, vcc_lo, exec_lo
	s_delay_alu instid0(SALU_CYCLE_1)
	s_or_b32 s22, s22, s26
	s_or_b32 exec_lo, exec_lo, s24
	v_mov_b32_e32 v7, s25
	s_and_saveexec_b32 s24, s22
	s_cbranch_execnz .LBB512_330
	s_branch .LBB512_331
.LBB512_537:
	s_mov_b32 s25, -1
	s_mov_b32 s0, 0
.LBB512_538:
                                        ; implicit-def: $vgpr2_vgpr3
.LBB512_539:
	s_and_b32 vcc_lo, exec_lo, s1
	s_cbranch_vccz .LBB512_543
; %bb.540:
	v_cmp_eq_u16_e32 vcc_lo, 44, v13
	s_cbranch_vccz .LBB512_542
; %bb.541:
	global_load_u8 v4, v[0:1], off
	s_mov_b32 s25, 0
	s_mov_b32 s0, -1
	s_waitcnt vmcnt(0)
	v_cmp_ne_u32_e32 vcc_lo, 0xff, v4
	v_lshlrev_b32_e32 v2, 23, v4
	s_delay_alu instid0(VALU_DEP_1) | instskip(NEXT) | instid1(VALU_DEP_1)
	v_cvt_f64_f32_e32 v[2:3], v2
	v_cndmask_b32_e32 v3, 0x7ff80000, v3, vcc_lo
	s_delay_alu instid0(VALU_DEP_2) | instskip(SKIP_1) | instid1(VALU_DEP_3)
	v_cndmask_b32_e32 v2, 0x20000000, v2, vcc_lo
	v_cmp_ne_u32_e32 vcc_lo, 0, v4
	v_cndmask_b32_e32 v3, 0x38000000, v3, vcc_lo
	s_delay_alu instid0(VALU_DEP_3)
	v_cndmask_b32_e32 v2, 0, v2, vcc_lo
	s_branch .LBB512_543
.LBB512_542:
	s_mov_b32 s25, -1
                                        ; implicit-def: $vgpr2_vgpr3
.LBB512_543:
	s_mov_b32 s1, 0
.LBB512_544:
	s_delay_alu instid0(SALU_CYCLE_1)
	s_and_b32 vcc_lo, exec_lo, s1
	s_cbranch_vccz .LBB512_548
; %bb.545:
	v_cmp_eq_u16_e32 vcc_lo, 29, v13
	s_cbranch_vccz .LBB512_547
; %bb.546:
	global_load_b64 v[2:3], v[0:1], off
	s_mov_b32 s0, -1
	s_mov_b32 s25, 0
	s_mov_b32 s1, 0
	s_waitcnt vmcnt(0)
	v_cvt_f64_u32_e32 v[3:4], v3
	v_cvt_f64_u32_e32 v[5:6], v2
	s_delay_alu instid0(VALU_DEP_2) | instskip(NEXT) | instid1(VALU_DEP_1)
	v_ldexp_f64 v[3:4], v[3:4], 32
	v_add_f64 v[2:3], v[3:4], v[5:6]
	s_branch .LBB512_549
.LBB512_547:
	s_mov_b32 s25, -1
                                        ; implicit-def: $vgpr2_vgpr3
.LBB512_548:
	s_mov_b32 s1, 0
.LBB512_549:
	s_delay_alu instid0(SALU_CYCLE_1)
	s_and_b32 vcc_lo, exec_lo, s1
	s_cbranch_vccz .LBB512_569
; %bb.550:
	v_cmp_gt_i16_e32 vcc_lo, 27, v13
	s_cbranch_vccnz .LBB512_553
; %bb.551:
	v_cmp_lt_i16_e32 vcc_lo, 27, v13
	s_cbranch_vccz .LBB512_554
; %bb.552:
	global_load_b32 v2, v[0:1], off
	s_mov_b32 s0, 0
	s_waitcnt vmcnt(0)
	v_cvt_f64_u32_e32 v[2:3], v2
	s_branch .LBB512_555
.LBB512_553:
	s_mov_b32 s0, -1
                                        ; implicit-def: $vgpr2_vgpr3
	s_branch .LBB512_558
.LBB512_554:
	s_mov_b32 s0, -1
                                        ; implicit-def: $vgpr2_vgpr3
.LBB512_555:
	s_delay_alu instid0(SALU_CYCLE_1)
	s_and_not1_b32 vcc_lo, exec_lo, s0
	s_cbranch_vccnz .LBB512_557
; %bb.556:
	global_load_u16 v2, v[0:1], off
	s_waitcnt vmcnt(0)
	v_cvt_f64_u32_e32 v[2:3], v2
.LBB512_557:
	s_mov_b32 s0, 0
.LBB512_558:
	s_delay_alu instid0(SALU_CYCLE_1)
	s_and_not1_b32 vcc_lo, exec_lo, s0
	s_cbranch_vccnz .LBB512_568
; %bb.559:
	global_load_u8 v4, v[0:1], off
	s_mov_b32 s26, 0
	s_mov_b32 s27, exec_lo
                                        ; implicit-def: $sgpr0_sgpr1
	s_waitcnt vmcnt(0)
	v_cmpx_lt_i16_e32 0x7f, v4
	s_xor_b32 s27, exec_lo, s27
	s_cbranch_execz .LBB512_563
; %bb.560:
	s_mov_b32 s28, -1
	s_mov_b32 s26, exec_lo
                                        ; implicit-def: $sgpr0_sgpr1
	v_cmpx_eq_u16_e32 0x80, v4
; %bb.561:
	s_mov_b32 s1, 0x7ff80000
	s_brev_b32 s0, 4
	s_xor_b32 s28, exec_lo, -1
; %bb.562:
	s_or_b32 exec_lo, exec_lo, s26
	s_delay_alu instid0(SALU_CYCLE_1)
	s_and_b32 s26, s28, exec_lo
.LBB512_563:
	s_or_saveexec_b32 s27, s27
	v_dual_mov_b32 v3, s1 :: v_dual_mov_b32 v2, s0
	s_xor_b32 exec_lo, exec_lo, s27
; %bb.564:
	v_cmp_ne_u16_e32 vcc_lo, 0, v4
	v_mov_b32_e32 v2, 0
	v_mov_b32_e32 v3, 0
	s_and_not1_b32 s0, s26, exec_lo
	s_and_b32 s1, vcc_lo, exec_lo
	s_delay_alu instid0(SALU_CYCLE_1)
	s_or_b32 s26, s0, s1
; %bb.565:
	s_or_b32 exec_lo, exec_lo, s27
	s_and_saveexec_b32 s0, s26
	s_cbranch_execz .LBB512_567
; %bb.566:
	v_and_b32_e32 v2, 0xffff, v4
	v_lshlrev_b32_e32 v4, 24, v4
	s_delay_alu instid0(VALU_DEP_2) | instskip(NEXT) | instid1(VALU_DEP_2)
	v_and_b32_e32 v3, 7, v2
	v_and_b32_e32 v4, 0x80000000, v4
	s_delay_alu instid0(VALU_DEP_2) | instskip(NEXT) | instid1(VALU_DEP_1)
	v_clz_i32_u32_e32 v5, v3
	v_min_u32_e32 v5, 32, v5
	s_delay_alu instid0(VALU_DEP_1) | instskip(SKIP_1) | instid1(VALU_DEP_2)
	v_subrev_nc_u32_e32 v6, 28, v5
	v_sub_nc_u32_e32 v5, 29, v5
	v_lshlrev_b32_e32 v6, v6, v2
	v_bfe_u32 v2, v2, 3, 4
	s_delay_alu instid0(VALU_DEP_2) | instskip(NEXT) | instid1(VALU_DEP_2)
	v_and_b32_e32 v6, 7, v6
	v_cmp_eq_u32_e32 vcc_lo, 0, v2
	s_delay_alu instid0(VALU_DEP_2) | instskip(NEXT) | instid1(VALU_DEP_1)
	v_dual_cndmask_b32 v2, v2, v5 :: v_dual_cndmask_b32 v3, v3, v6
	v_lshl_add_u32 v2, v2, 23, 0x3b800000
	s_delay_alu instid0(VALU_DEP_2) | instskip(NEXT) | instid1(VALU_DEP_1)
	v_lshlrev_b32_e32 v3, 20, v3
	v_or3_b32 v2, v4, v2, v3
	s_delay_alu instid0(VALU_DEP_1)
	v_cvt_f64_f32_e32 v[2:3], v2
.LBB512_567:
	s_or_b32 exec_lo, exec_lo, s0
.LBB512_568:
	s_mov_b32 s0, -1
.LBB512_569:
	s_mov_b32 s1, 0
.LBB512_570:
	s_delay_alu instid0(SALU_CYCLE_1)
	s_and_b32 vcc_lo, exec_lo, s1
	s_cbranch_vccz .LBB512_603
; %bb.571:
	v_cmp_lt_i16_e32 vcc_lo, 22, v13
	s_cbranch_vccz .LBB512_583
; %bb.572:
	v_cmp_gt_i16_e32 vcc_lo, 24, v13
	s_cbranch_vccnz .LBB512_584
; %bb.573:
	v_cmp_lt_i16_e32 vcc_lo, 24, v13
	s_cbranch_vccz .LBB512_585
; %bb.574:
	global_load_u8 v4, v[0:1], off
	s_mov_b32 s26, 0
	s_mov_b32 s27, exec_lo
                                        ; implicit-def: $sgpr0_sgpr1
	s_waitcnt vmcnt(0)
	v_cmpx_lt_i16_e32 0x7f, v4
	s_xor_b32 s27, exec_lo, s27
	s_cbranch_execz .LBB512_578
; %bb.575:
	s_mov_b32 s28, -1
	s_mov_b32 s26, exec_lo
                                        ; implicit-def: $sgpr0_sgpr1
	v_cmpx_eq_u16_e32 0x80, v4
; %bb.576:
	s_mov_b32 s1, 0x7ff80000
	s_brev_b32 s0, 4
	s_xor_b32 s28, exec_lo, -1
; %bb.577:
	s_or_b32 exec_lo, exec_lo, s26
	s_delay_alu instid0(SALU_CYCLE_1)
	s_and_b32 s26, s28, exec_lo
.LBB512_578:
	s_or_saveexec_b32 s27, s27
	v_dual_mov_b32 v3, s1 :: v_dual_mov_b32 v2, s0
	s_xor_b32 exec_lo, exec_lo, s27
; %bb.579:
	v_cmp_ne_u16_e32 vcc_lo, 0, v4
	v_mov_b32_e32 v2, 0
	v_mov_b32_e32 v3, 0
	s_and_not1_b32 s0, s26, exec_lo
	s_and_b32 s1, vcc_lo, exec_lo
	s_delay_alu instid0(SALU_CYCLE_1)
	s_or_b32 s26, s0, s1
; %bb.580:
	s_or_b32 exec_lo, exec_lo, s27
	s_and_saveexec_b32 s0, s26
	s_cbranch_execz .LBB512_582
; %bb.581:
	v_and_b32_e32 v2, 0xffff, v4
	v_lshlrev_b32_e32 v4, 24, v4
	s_delay_alu instid0(VALU_DEP_2) | instskip(NEXT) | instid1(VALU_DEP_2)
	v_and_b32_e32 v3, 3, v2
	v_and_b32_e32 v4, 0x80000000, v4
	s_delay_alu instid0(VALU_DEP_2) | instskip(NEXT) | instid1(VALU_DEP_1)
	v_clz_i32_u32_e32 v5, v3
	v_min_u32_e32 v5, 32, v5
	s_delay_alu instid0(VALU_DEP_1) | instskip(SKIP_1) | instid1(VALU_DEP_2)
	v_subrev_nc_u32_e32 v6, 29, v5
	v_sub_nc_u32_e32 v5, 30, v5
	v_lshlrev_b32_e32 v6, v6, v2
	v_bfe_u32 v2, v2, 2, 5
	s_delay_alu instid0(VALU_DEP_2) | instskip(NEXT) | instid1(VALU_DEP_2)
	v_and_b32_e32 v6, 3, v6
	v_cmp_eq_u32_e32 vcc_lo, 0, v2
	s_delay_alu instid0(VALU_DEP_2) | instskip(NEXT) | instid1(VALU_DEP_1)
	v_dual_cndmask_b32 v2, v2, v5 :: v_dual_cndmask_b32 v3, v3, v6
	v_lshl_add_u32 v2, v2, 23, 0x37800000
	s_delay_alu instid0(VALU_DEP_2) | instskip(NEXT) | instid1(VALU_DEP_1)
	v_lshlrev_b32_e32 v3, 21, v3
	v_or3_b32 v2, v4, v2, v3
	s_delay_alu instid0(VALU_DEP_1)
	v_cvt_f64_f32_e32 v[2:3], v2
.LBB512_582:
	s_or_b32 exec_lo, exec_lo, s0
	s_mov_b32 s0, 0
	s_branch .LBB512_586
.LBB512_583:
	s_mov_b32 s1, -1
                                        ; implicit-def: $vgpr2_vgpr3
	s_branch .LBB512_592
.LBB512_584:
	s_mov_b32 s0, -1
                                        ; implicit-def: $vgpr2_vgpr3
	s_branch .LBB512_589
.LBB512_585:
	s_mov_b32 s0, -1
                                        ; implicit-def: $vgpr2_vgpr3
.LBB512_586:
	s_delay_alu instid0(SALU_CYCLE_1)
	s_and_b32 vcc_lo, exec_lo, s0
	s_cbranch_vccz .LBB512_588
; %bb.587:
	global_load_u8 v2, v[0:1], off
	s_waitcnt vmcnt(0)
	v_lshlrev_b32_e32 v2, 24, v2
	s_delay_alu instid0(VALU_DEP_1) | instskip(NEXT) | instid1(VALU_DEP_1)
	v_and_b32_e32 v3, 0x7f000000, v2
	v_clz_i32_u32_e32 v4, v3
	v_add_nc_u32_e32 v6, 0x1000000, v3
	v_cmp_ne_u32_e32 vcc_lo, 0, v3
	s_delay_alu instid0(VALU_DEP_3) | instskip(NEXT) | instid1(VALU_DEP_1)
	v_min_u32_e32 v4, 32, v4
	v_sub_nc_u32_e64 v4, v4, 4 clamp
	s_delay_alu instid0(VALU_DEP_1) | instskip(SKIP_1) | instid1(VALU_DEP_2)
	v_lshlrev_b32_e32 v5, v4, v3
	v_lshlrev_b32_e32 v4, 23, v4
	v_lshrrev_b32_e32 v5, 4, v5
	s_delay_alu instid0(VALU_DEP_1) | instskip(SKIP_1) | instid1(VALU_DEP_2)
	v_sub_nc_u32_e32 v4, v5, v4
	v_ashrrev_i32_e32 v5, 8, v6
	v_add_nc_u32_e32 v4, 0x3c000000, v4
	s_delay_alu instid0(VALU_DEP_1) | instskip(NEXT) | instid1(VALU_DEP_1)
	v_and_or_b32 v4, 0x7f800000, v5, v4
	v_cndmask_b32_e32 v3, 0, v4, vcc_lo
	s_delay_alu instid0(VALU_DEP_1) | instskip(NEXT) | instid1(VALU_DEP_1)
	v_and_or_b32 v2, 0x80000000, v2, v3
	v_cvt_f64_f32_e32 v[2:3], v2
.LBB512_588:
	s_mov_b32 s0, 0
.LBB512_589:
	s_delay_alu instid0(SALU_CYCLE_1)
	s_and_not1_b32 vcc_lo, exec_lo, s0
	s_cbranch_vccnz .LBB512_591
; %bb.590:
	global_load_u8 v2, v[0:1], off
	s_waitcnt vmcnt(0)
	v_lshlrev_b32_e32 v3, 25, v2
	v_lshlrev_b16 v2, 8, v2
	s_delay_alu instid0(VALU_DEP_2) | instskip(NEXT) | instid1(VALU_DEP_2)
	v_lshrrev_b32_e32 v4, 4, v3
	v_and_or_b32 v5, 0x7f00, v2, 0.5
	v_bfe_i32 v2, v2, 0, 16
	s_delay_alu instid0(VALU_DEP_3) | instskip(NEXT) | instid1(VALU_DEP_1)
	v_or_b32_e32 v4, 0x70000000, v4
	v_dual_add_f32 v5, -0.5, v5 :: v_dual_mul_f32 v4, 0x7800000, v4
	v_cmp_gt_u32_e32 vcc_lo, 0x8000000, v3
	s_delay_alu instid0(VALU_DEP_2) | instskip(NEXT) | instid1(VALU_DEP_1)
	v_cndmask_b32_e32 v3, v4, v5, vcc_lo
	v_and_or_b32 v2, 0x80000000, v2, v3
	s_delay_alu instid0(VALU_DEP_1)
	v_cvt_f64_f32_e32 v[2:3], v2
.LBB512_591:
	s_mov_b32 s1, 0
	s_mov_b32 s0, -1
.LBB512_592:
	s_and_not1_b32 vcc_lo, exec_lo, s1
	s_cbranch_vccnz .LBB512_603
; %bb.593:
	v_cmp_lt_i16_e32 vcc_lo, 14, v13
	s_cbranch_vccz .LBB512_596
; %bb.594:
	v_cmp_eq_u16_e32 vcc_lo, 15, v13
	s_cbranch_vccz .LBB512_597
; %bb.595:
	global_load_u16 v2, v[0:1], off
	s_mov_b32 s0, -1
	s_mov_b32 s25, 0
	s_waitcnt vmcnt(0)
	v_lshlrev_b32_e32 v2, 16, v2
	s_delay_alu instid0(VALU_DEP_1)
	v_cvt_f64_f32_e32 v[2:3], v2
	s_branch .LBB512_598
.LBB512_596:
	s_mov_b32 s1, -1
                                        ; implicit-def: $vgpr2_vgpr3
	s_branch .LBB512_599
.LBB512_597:
	s_mov_b32 s25, -1
                                        ; implicit-def: $vgpr2_vgpr3
.LBB512_598:
	s_mov_b32 s1, 0
.LBB512_599:
	s_delay_alu instid0(SALU_CYCLE_1)
	s_and_b32 vcc_lo, exec_lo, s1
	s_cbranch_vccz .LBB512_603
; %bb.600:
	v_cmp_eq_u16_e32 vcc_lo, 11, v13
	s_cbranch_vccz .LBB512_602
; %bb.601:
	global_load_u8 v2, v[0:1], off
	s_mov_b32 s25, 0
	s_mov_b32 s0, -1
	s_waitcnt vmcnt(0)
	v_cmp_ne_u16_e32 vcc_lo, 0, v2
	v_mov_b32_e32 v2, 0
	v_cndmask_b32_e64 v3, 0, 0x3ff00000, vcc_lo
	s_branch .LBB512_603
.LBB512_602:
	s_mov_b32 s25, -1
                                        ; implicit-def: $vgpr2_vgpr3
.LBB512_603:
	s_mov_b32 s1, 0
.LBB512_604:
	s_delay_alu instid0(SALU_CYCLE_1)
	s_and_b32 vcc_lo, exec_lo, s1
	s_cbranch_vccz .LBB512_653
; %bb.605:
	v_cmp_gt_i16_e32 vcc_lo, 5, v13
	s_cbranch_vccnz .LBB512_610
; %bb.606:
	v_cmp_gt_i16_e32 vcc_lo, 8, v13
	s_cbranch_vccnz .LBB512_611
	;; [unrolled: 3-line block ×3, first 2 shown]
; %bb.608:
	v_cmp_lt_i16_e32 vcc_lo, 9, v13
	s_cbranch_vccz .LBB512_613
; %bb.609:
	global_load_b64 v[2:3], v[0:1], off
	s_mov_b32 s0, 0
	s_branch .LBB512_614
.LBB512_610:
	s_mov_b32 s0, -1
                                        ; implicit-def: $vgpr2_vgpr3
	s_branch .LBB512_632
.LBB512_611:
	s_mov_b32 s0, -1
                                        ; implicit-def: $vgpr2_vgpr3
	s_branch .LBB512_620
.LBB512_612:
	s_mov_b32 s0, -1
                                        ; implicit-def: $vgpr2_vgpr3
	s_branch .LBB512_617
.LBB512_613:
	s_mov_b32 s0, -1
                                        ; implicit-def: $vgpr2_vgpr3
.LBB512_614:
	s_delay_alu instid0(SALU_CYCLE_1)
	s_and_not1_b32 vcc_lo, exec_lo, s0
	s_cbranch_vccnz .LBB512_616
; %bb.615:
	global_load_b32 v2, v[0:1], off
	s_waitcnt vmcnt(0)
	v_cvt_f64_f32_e32 v[2:3], v2
.LBB512_616:
	s_mov_b32 s0, 0
.LBB512_617:
	s_delay_alu instid0(SALU_CYCLE_1)
	s_and_not1_b32 vcc_lo, exec_lo, s0
	s_cbranch_vccnz .LBB512_619
; %bb.618:
	global_load_b32 v2, v[0:1], off
	s_waitcnt vmcnt(0)
	v_cvt_f32_f16_e32 v2, v2
	s_delay_alu instid0(VALU_DEP_1)
	v_cvt_f64_f32_e32 v[2:3], v2
.LBB512_619:
	s_mov_b32 s0, 0
.LBB512_620:
	s_delay_alu instid0(SALU_CYCLE_1)
	s_and_not1_b32 vcc_lo, exec_lo, s0
	s_cbranch_vccnz .LBB512_631
; %bb.621:
	v_cmp_gt_i16_e32 vcc_lo, 6, v13
	s_cbranch_vccnz .LBB512_624
; %bb.622:
	v_cmp_lt_i16_e32 vcc_lo, 6, v13
	s_cbranch_vccz .LBB512_625
; %bb.623:
	global_load_b64 v[2:3], v[0:1], off
	s_mov_b32 s0, 0
	s_branch .LBB512_626
.LBB512_624:
	s_mov_b32 s0, -1
                                        ; implicit-def: $vgpr2_vgpr3
	s_branch .LBB512_629
.LBB512_625:
	s_mov_b32 s0, -1
                                        ; implicit-def: $vgpr2_vgpr3
.LBB512_626:
	s_delay_alu instid0(SALU_CYCLE_1)
	s_and_not1_b32 vcc_lo, exec_lo, s0
	s_cbranch_vccnz .LBB512_628
; %bb.627:
	global_load_b32 v2, v[0:1], off
	s_waitcnt vmcnt(0)
	v_cvt_f64_f32_e32 v[2:3], v2
.LBB512_628:
	s_mov_b32 s0, 0
.LBB512_629:
	s_delay_alu instid0(SALU_CYCLE_1)
	s_and_not1_b32 vcc_lo, exec_lo, s0
	s_cbranch_vccnz .LBB512_631
; %bb.630:
	global_load_u16 v2, v[0:1], off
	s_waitcnt vmcnt(0)
	v_cvt_f32_f16_e32 v2, v2
	s_delay_alu instid0(VALU_DEP_1)
	v_cvt_f64_f32_e32 v[2:3], v2
.LBB512_631:
	s_mov_b32 s0, 0
.LBB512_632:
	s_delay_alu instid0(SALU_CYCLE_1)
	s_and_not1_b32 vcc_lo, exec_lo, s0
	s_cbranch_vccnz .LBB512_652
; %bb.633:
	v_cmp_gt_i16_e32 vcc_lo, 2, v13
	s_cbranch_vccnz .LBB512_637
; %bb.634:
	v_cmp_gt_i16_e32 vcc_lo, 3, v13
	s_cbranch_vccnz .LBB512_638
; %bb.635:
	v_cmp_lt_i16_e32 vcc_lo, 3, v13
	s_cbranch_vccz .LBB512_639
; %bb.636:
	global_load_b64 v[2:3], v[0:1], off
	s_mov_b32 s0, 0
	s_waitcnt vmcnt(0)
	v_cvt_f64_i32_e32 v[3:4], v3
	v_cvt_f64_u32_e32 v[5:6], v2
	s_delay_alu instid0(VALU_DEP_2) | instskip(NEXT) | instid1(VALU_DEP_1)
	v_ldexp_f64 v[3:4], v[3:4], 32
	v_add_f64 v[2:3], v[3:4], v[5:6]
	s_branch .LBB512_640
.LBB512_637:
	s_mov_b32 s0, -1
                                        ; implicit-def: $vgpr2_vgpr3
	s_branch .LBB512_646
.LBB512_638:
	s_mov_b32 s0, -1
                                        ; implicit-def: $vgpr2_vgpr3
	s_branch .LBB512_643
.LBB512_639:
	s_mov_b32 s0, -1
                                        ; implicit-def: $vgpr2_vgpr3
.LBB512_640:
	s_delay_alu instid0(SALU_CYCLE_1)
	s_and_not1_b32 vcc_lo, exec_lo, s0
	s_cbranch_vccnz .LBB512_642
; %bb.641:
	global_load_b32 v2, v[0:1], off
	s_waitcnt vmcnt(0)
	v_cvt_f64_i32_e32 v[2:3], v2
.LBB512_642:
	s_mov_b32 s0, 0
.LBB512_643:
	s_delay_alu instid0(SALU_CYCLE_1)
	s_and_not1_b32 vcc_lo, exec_lo, s0
	s_cbranch_vccnz .LBB512_645
; %bb.644:
	global_load_i16 v2, v[0:1], off
	s_waitcnt vmcnt(0)
	v_cvt_f64_i32_e32 v[2:3], v2
.LBB512_645:
	s_mov_b32 s0, 0
.LBB512_646:
	s_delay_alu instid0(SALU_CYCLE_1)
	s_and_not1_b32 vcc_lo, exec_lo, s0
	s_cbranch_vccnz .LBB512_652
; %bb.647:
	v_cmp_lt_i16_e32 vcc_lo, 0, v13
	s_mov_b32 s0, 0
	s_cbranch_vccz .LBB512_649
; %bb.648:
	global_load_i8 v2, v[0:1], off
	s_waitcnt vmcnt(0)
	v_cvt_f64_i32_e32 v[2:3], v2
	s_branch .LBB512_650
.LBB512_649:
	s_mov_b32 s0, -1
                                        ; implicit-def: $vgpr2_vgpr3
.LBB512_650:
	s_delay_alu instid0(SALU_CYCLE_1)
	s_and_not1_b32 vcc_lo, exec_lo, s0
	s_cbranch_vccnz .LBB512_652
; %bb.651:
	global_load_u8 v0, v[0:1], off
	s_waitcnt vmcnt(0)
	v_cvt_f64_u32_e32 v[2:3], v0
.LBB512_652:
	s_mov_b32 s0, -1
.LBB512_653:
	s_delay_alu instid0(SALU_CYCLE_1)
	s_and_not1_b32 vcc_lo, exec_lo, s0
	s_cbranch_vccnz .LBB512_665
; %bb.654:
	v_dual_mov_b32 v0, s8 :: v_dual_mov_b32 v1, s9
	s_mov_b32 s0, exec_lo
	s_waitcnt vmcnt(0)
	s_delay_alu instid0(VALU_DEP_2)
	v_cmpx_o_f64_e32 v[2:3], v[2:3]
	s_cbranch_execz .LBB512_658
; %bb.655:
	v_dual_mov_b32 v0, s10 :: v_dual_mov_b32 v1, s11
	s_mov_b32 s1, exec_lo
	v_cmpx_neq_f64_e32 0x7ff00000, v[2:3]
; %bb.656:
	v_cmp_eq_f64_e32 vcc_lo, 0xfff00000, v[2:3]
	v_cndmask_b32_e64 v1, v3, s13, vcc_lo
	v_cndmask_b32_e64 v0, v2, s12, vcc_lo
; %bb.657:
	s_or_b32 exec_lo, exec_lo, s1
.LBB512_658:
	s_delay_alu instid0(SALU_CYCLE_1) | instskip(SKIP_2) | instid1(VALU_DEP_1)
	s_or_b32 exec_lo, exec_lo, s0
	v_mul_lo_u32 v2, v12, s2
	v_and_b32_e64 v6, 0xff, s14
	v_cmp_gt_i16_e32 vcc_lo, 11, v6
	s_delay_alu instid0(VALU_DEP_3) | instskip(SKIP_1) | instid1(VALU_DEP_1)
	v_ashrrev_i32_e32 v3, 31, v2
	v_add_co_u32 v4, s0, s4, v2
	v_add_co_ci_u32_e64 v5, s0, s5, v3, s0
	s_cbranch_vccnz .LBB512_666
; %bb.659:
	v_cmp_lt_i16_e32 vcc_lo, 25, v6
	s_cbranch_vccz .LBB512_667
; %bb.660:
	v_cmp_lt_i16_e32 vcc_lo, 28, v6
	s_cbranch_vccz .LBB512_668
	;; [unrolled: 3-line block ×4, first 2 shown]
; %bb.663:
	v_cmp_eq_u16_e32 vcc_lo, 46, v6
	s_mov_b32 s26, 0
	s_mov_b32 s0, -1
	s_mov_b32 s1, 0
	s_cbranch_vccz .LBB512_671
; %bb.664:
	v_cvt_f32_f64_e32 v2, v[0:1]
	s_mov_b32 s1, -1
	s_mov_b32 s0, 0
	s_delay_alu instid0(VALU_DEP_1) | instskip(SKIP_1) | instid1(VALU_DEP_2)
	v_bfe_u32 v3, v2, 16, 1
	v_cmp_o_f32_e32 vcc_lo, v2, v2
	v_add3_u32 v3, v2, v3, 0x7fff
	s_delay_alu instid0(VALU_DEP_1) | instskip(NEXT) | instid1(VALU_DEP_1)
	v_lshrrev_b32_e32 v3, 16, v3
	v_cndmask_b32_e32 v2, 0x7fc0, v3, vcc_lo
	global_store_b32 v[4:5], v2, off
	s_branch .LBB512_671
.LBB512_665:
	s_mov_b32 s1, 0
	s_mov_b32 s0, s22
	s_branch .LBB512_782
.LBB512_666:
	s_mov_b32 s26, -1
	s_mov_b32 s1, 0
	s_mov_b32 s0, s22
	s_branch .LBB512_740
.LBB512_667:
	s_mov_b32 s26, -1
	s_mov_b32 s1, 0
	s_mov_b32 s0, s22
	s_branch .LBB512_698
.LBB512_668:
	s_mov_b32 s26, -1
	s_mov_b32 s1, 0
	s_mov_b32 s0, s22
	s_branch .LBB512_681
.LBB512_669:
	s_mov_b32 s26, -1
	s_mov_b32 s1, 0
	s_mov_b32 s0, s22
	s_branch .LBB512_677
.LBB512_670:
	s_mov_b32 s26, -1
	s_mov_b32 s1, 0
	s_mov_b32 s0, s22
.LBB512_671:
	s_and_b32 vcc_lo, exec_lo, s26
	s_cbranch_vccz .LBB512_676
; %bb.672:
	v_cmp_eq_u16_e32 vcc_lo, 44, v6
	s_mov_b32 s0, -1
	s_cbranch_vccz .LBB512_676
; %bb.673:
	v_cvt_f32_f64_e32 v2, v[0:1]
	v_mov_b32_e32 v3, 0xff
	s_mov_b32 s1, exec_lo
	s_delay_alu instid0(VALU_DEP_2) | instskip(NEXT) | instid1(VALU_DEP_1)
	v_bfe_u32 v7, v2, 23, 8
	v_cmpx_ne_u32_e32 0xff, v7
; %bb.674:
	v_and_b32_e32 v3, 0x400000, v2
	v_and_or_b32 v7, 0x3fffff, v2, v7
	v_lshrrev_b32_e32 v2, 23, v2
	s_delay_alu instid0(VALU_DEP_3) | instskip(NEXT) | instid1(VALU_DEP_3)
	v_cmp_ne_u32_e32 vcc_lo, 0, v3
	v_cmp_ne_u32_e64 s0, 0, v7
	s_delay_alu instid0(VALU_DEP_1) | instskip(NEXT) | instid1(SALU_CYCLE_1)
	s_and_b32 s0, vcc_lo, s0
	v_cndmask_b32_e64 v3, 0, 1, s0
	s_delay_alu instid0(VALU_DEP_1)
	v_add_nc_u32_e32 v3, v2, v3
; %bb.675:
	s_or_b32 exec_lo, exec_lo, s1
	s_mov_b32 s1, -1
	s_mov_b32 s0, 0
	global_store_b8 v[4:5], v3, off
.LBB512_676:
	s_mov_b32 s26, 0
.LBB512_677:
	s_delay_alu instid0(SALU_CYCLE_1)
	s_and_b32 vcc_lo, exec_lo, s26
	s_cbranch_vccz .LBB512_680
; %bb.678:
	v_cmp_eq_u16_e32 vcc_lo, 29, v6
	s_mov_b32 s0, -1
	s_cbranch_vccz .LBB512_680
; %bb.679:
	v_trunc_f64_e32 v[2:3], v[0:1]
	s_mov_b32 s1, -1
	s_mov_b32 s0, 0
	s_mov_b32 s26, 0
	s_delay_alu instid0(VALU_DEP_1) | instskip(NEXT) | instid1(VALU_DEP_1)
	v_ldexp_f64 v[7:8], v[2:3], 0xffffffe0
	v_floor_f64_e32 v[7:8], v[7:8]
	s_delay_alu instid0(VALU_DEP_1) | instskip(SKIP_1) | instid1(VALU_DEP_2)
	v_fma_f64 v[2:3], 0xc1f00000, v[7:8], v[2:3]
	v_cvt_u32_f64_e32 v8, v[7:8]
	v_cvt_u32_f64_e32 v7, v[2:3]
	global_store_b64 v[4:5], v[7:8], off
	s_branch .LBB512_681
.LBB512_680:
	s_mov_b32 s26, 0
.LBB512_681:
	s_delay_alu instid0(SALU_CYCLE_1)
	s_and_b32 vcc_lo, exec_lo, s26
	s_cbranch_vccz .LBB512_697
; %bb.682:
	v_cmp_gt_i16_e32 vcc_lo, 27, v6
	s_mov_b32 s1, -1
	s_cbranch_vccnz .LBB512_688
; %bb.683:
	v_cmp_lt_i16_e32 vcc_lo, 27, v6
	s_cbranch_vccz .LBB512_685
; %bb.684:
	v_cvt_u32_f64_e32 v2, v[0:1]
	s_mov_b32 s1, 0
	global_store_b32 v[4:5], v2, off
.LBB512_685:
	s_and_not1_b32 vcc_lo, exec_lo, s1
	s_cbranch_vccnz .LBB512_687
; %bb.686:
	v_cvt_u32_f64_e32 v2, v[0:1]
	global_store_b16 v[4:5], v2, off
.LBB512_687:
	s_mov_b32 s1, 0
.LBB512_688:
	s_delay_alu instid0(SALU_CYCLE_1)
	s_and_not1_b32 vcc_lo, exec_lo, s1
	s_cbranch_vccnz .LBB512_696
; %bb.689:
	v_cvt_f32_f64_e32 v2, v[0:1]
	v_mov_b32_e32 v7, 0x80
	s_mov_b32 s1, exec_lo
	s_delay_alu instid0(VALU_DEP_2) | instskip(NEXT) | instid1(VALU_DEP_1)
	v_and_b32_e32 v3, 0x7fffffff, v2
	v_cmpx_gt_u32_e32 0x43800000, v3
	s_cbranch_execz .LBB512_695
; %bb.690:
	v_cmp_lt_u32_e32 vcc_lo, 0x3bffffff, v3
	s_mov_b32 s26, 0
                                        ; implicit-def: $vgpr3
	s_and_saveexec_b32 s27, vcc_lo
	s_delay_alu instid0(SALU_CYCLE_1)
	s_xor_b32 s27, exec_lo, s27
	s_cbranch_execz .LBB512_797
; %bb.691:
	v_bfe_u32 v3, v2, 20, 1
	s_mov_b32 s26, exec_lo
	s_delay_alu instid0(VALU_DEP_1) | instskip(NEXT) | instid1(VALU_DEP_1)
	v_add3_u32 v3, v2, v3, 0x487ffff
	v_lshrrev_b32_e32 v3, 20, v3
	s_or_saveexec_b32 s27, s27
                                        ; implicit-def: $sgpr28
	s_delay_alu instid0(SALU_CYCLE_1)
	s_xor_b32 exec_lo, exec_lo, s27
	s_cbranch_execnz .LBB512_798
.LBB512_692:
	s_or_b32 exec_lo, exec_lo, s27
	v_mov_b32_e32 v7, s28
	s_and_saveexec_b32 s27, s26
.LBB512_693:
	v_lshrrev_b32_e32 v2, 24, v2
	s_delay_alu instid0(VALU_DEP_1)
	v_and_or_b32 v7, 0x80, v2, v3
.LBB512_694:
	s_or_b32 exec_lo, exec_lo, s27
.LBB512_695:
	s_delay_alu instid0(SALU_CYCLE_1)
	s_or_b32 exec_lo, exec_lo, s1
	global_store_b8 v[4:5], v7, off
.LBB512_696:
	s_mov_b32 s1, -1
.LBB512_697:
	s_mov_b32 s26, 0
.LBB512_698:
	s_delay_alu instid0(SALU_CYCLE_1)
	s_and_b32 vcc_lo, exec_lo, s26
	s_cbranch_vccz .LBB512_739
; %bb.699:
	v_cmp_lt_i16_e32 vcc_lo, 22, v6
	s_mov_b32 s26, -1
	s_cbranch_vccz .LBB512_731
; %bb.700:
	v_cmp_gt_i16_e32 vcc_lo, 24, v6
	s_mov_b32 s1, -1
	s_cbranch_vccnz .LBB512_720
; %bb.701:
	v_cmp_lt_i16_e32 vcc_lo, 24, v6
	s_cbranch_vccz .LBB512_709
; %bb.702:
	v_cvt_f32_f64_e32 v2, v[0:1]
	v_mov_b32_e32 v7, 0x80
	s_mov_b32 s1, exec_lo
	s_delay_alu instid0(VALU_DEP_2) | instskip(NEXT) | instid1(VALU_DEP_1)
	v_and_b32_e32 v3, 0x7fffffff, v2
	v_cmpx_gt_u32_e32 0x47800000, v3
	s_cbranch_execz .LBB512_708
; %bb.703:
	v_cmp_lt_u32_e32 vcc_lo, 0x37ffffff, v3
	s_mov_b32 s26, 0
                                        ; implicit-def: $vgpr3
	s_and_saveexec_b32 s27, vcc_lo
	s_delay_alu instid0(SALU_CYCLE_1)
	s_xor_b32 s27, exec_lo, s27
	s_cbranch_execz .LBB512_800
; %bb.704:
	v_bfe_u32 v3, v2, 21, 1
	s_mov_b32 s26, exec_lo
	s_delay_alu instid0(VALU_DEP_1) | instskip(NEXT) | instid1(VALU_DEP_1)
	v_add3_u32 v3, v2, v3, 0x88fffff
	v_lshrrev_b32_e32 v3, 21, v3
	s_or_saveexec_b32 s27, s27
                                        ; implicit-def: $sgpr28
	s_delay_alu instid0(SALU_CYCLE_1)
	s_xor_b32 exec_lo, exec_lo, s27
	s_cbranch_execnz .LBB512_801
.LBB512_705:
	s_or_b32 exec_lo, exec_lo, s27
	v_mov_b32_e32 v7, s28
	s_and_saveexec_b32 s27, s26
.LBB512_706:
	v_lshrrev_b32_e32 v2, 24, v2
	s_delay_alu instid0(VALU_DEP_1)
	v_and_or_b32 v7, 0x80, v2, v3
.LBB512_707:
	s_or_b32 exec_lo, exec_lo, s27
.LBB512_708:
	s_delay_alu instid0(SALU_CYCLE_1)
	s_or_b32 exec_lo, exec_lo, s1
	s_mov_b32 s1, 0
	global_store_b8 v[4:5], v7, off
.LBB512_709:
	s_and_b32 vcc_lo, exec_lo, s1
	s_cbranch_vccz .LBB512_719
; %bb.710:
	v_cvt_f32_f64_e32 v2, v[0:1]
	s_mov_b32 s1, exec_lo
                                        ; implicit-def: $vgpr3
	s_delay_alu instid0(VALU_DEP_1) | instskip(NEXT) | instid1(VALU_DEP_1)
	v_and_b32_e32 v7, 0x7fffffff, v2
	v_cmpx_gt_u32_e32 0x43f00000, v7
	s_xor_b32 s1, exec_lo, s1
	s_cbranch_execz .LBB512_716
; %bb.711:
	s_mov_b32 s26, exec_lo
                                        ; implicit-def: $vgpr3
	v_cmpx_lt_u32_e32 0x3c7fffff, v7
	s_xor_b32 s26, exec_lo, s26
; %bb.712:
	v_bfe_u32 v3, v2, 20, 1
	s_delay_alu instid0(VALU_DEP_1) | instskip(NEXT) | instid1(VALU_DEP_1)
	v_add3_u32 v3, v2, v3, 0x407ffff
	v_and_b32_e32 v7, 0xff00000, v3
	v_lshrrev_b32_e32 v3, 20, v3
	s_delay_alu instid0(VALU_DEP_2) | instskip(NEXT) | instid1(VALU_DEP_2)
	v_cmp_ne_u32_e32 vcc_lo, 0x7f00000, v7
	v_cndmask_b32_e32 v3, 0x7e, v3, vcc_lo
; %bb.713:
	s_and_not1_saveexec_b32 s26, s26
; %bb.714:
	v_add_f32_e64 v3, 0x46800000, |v2|
; %bb.715:
	s_or_b32 exec_lo, exec_lo, s26
                                        ; implicit-def: $vgpr7
.LBB512_716:
	s_and_not1_saveexec_b32 s1, s1
; %bb.717:
	v_mov_b32_e32 v3, 0x7f
	v_cmp_lt_u32_e32 vcc_lo, 0x7f800000, v7
	s_delay_alu instid0(VALU_DEP_2)
	v_cndmask_b32_e32 v3, 0x7e, v3, vcc_lo
; %bb.718:
	s_or_b32 exec_lo, exec_lo, s1
	v_lshrrev_b32_e32 v2, 24, v2
	s_delay_alu instid0(VALU_DEP_1)
	v_and_or_b32 v2, 0x80, v2, v3
	global_store_b8 v[4:5], v2, off
.LBB512_719:
	s_mov_b32 s1, 0
.LBB512_720:
	s_delay_alu instid0(SALU_CYCLE_1)
	s_and_not1_b32 vcc_lo, exec_lo, s1
	s_cbranch_vccnz .LBB512_730
; %bb.721:
	v_cvt_f32_f64_e32 v2, v[0:1]
	s_mov_b32 s1, exec_lo
                                        ; implicit-def: $vgpr3
	s_delay_alu instid0(VALU_DEP_1) | instskip(NEXT) | instid1(VALU_DEP_1)
	v_and_b32_e32 v7, 0x7fffffff, v2
	v_cmpx_gt_u32_e32 0x47800000, v7
	s_xor_b32 s1, exec_lo, s1
	s_cbranch_execz .LBB512_727
; %bb.722:
	s_mov_b32 s26, exec_lo
                                        ; implicit-def: $vgpr3
	v_cmpx_lt_u32_e32 0x387fffff, v7
	s_xor_b32 s26, exec_lo, s26
; %bb.723:
	v_bfe_u32 v3, v2, 21, 1
	s_delay_alu instid0(VALU_DEP_1) | instskip(NEXT) | instid1(VALU_DEP_1)
	v_add3_u32 v3, v2, v3, 0x80fffff
	v_lshrrev_b32_e32 v3, 21, v3
; %bb.724:
	s_and_not1_saveexec_b32 s26, s26
; %bb.725:
	v_add_f32_e64 v3, 0x43000000, |v2|
; %bb.726:
	s_or_b32 exec_lo, exec_lo, s26
                                        ; implicit-def: $vgpr7
.LBB512_727:
	s_and_not1_saveexec_b32 s1, s1
; %bb.728:
	v_mov_b32_e32 v3, 0x7f
	v_cmp_lt_u32_e32 vcc_lo, 0x7f800000, v7
	s_delay_alu instid0(VALU_DEP_2)
	v_cndmask_b32_e32 v3, 0x7c, v3, vcc_lo
; %bb.729:
	s_or_b32 exec_lo, exec_lo, s1
	v_lshrrev_b32_e32 v2, 24, v2
	s_delay_alu instid0(VALU_DEP_1)
	v_and_or_b32 v2, 0x80, v2, v3
	global_store_b8 v[4:5], v2, off
.LBB512_730:
	s_mov_b32 s26, 0
	s_mov_b32 s1, -1
.LBB512_731:
	s_and_not1_b32 vcc_lo, exec_lo, s26
	s_cbranch_vccnz .LBB512_739
; %bb.732:
	v_cmp_lt_i16_e32 vcc_lo, 14, v6
	s_mov_b32 s26, -1
	s_cbranch_vccz .LBB512_736
; %bb.733:
	v_cmp_eq_u16_e32 vcc_lo, 15, v6
	s_mov_b32 s0, -1
	s_cbranch_vccz .LBB512_735
; %bb.734:
	v_cvt_f32_f64_e32 v2, v[0:1]
	s_mov_b32 s1, -1
	s_mov_b32 s0, 0
	s_delay_alu instid0(VALU_DEP_1) | instskip(SKIP_1) | instid1(VALU_DEP_2)
	v_bfe_u32 v3, v2, 16, 1
	v_cmp_o_f32_e32 vcc_lo, v2, v2
	v_add3_u32 v3, v2, v3, 0x7fff
	s_delay_alu instid0(VALU_DEP_1) | instskip(NEXT) | instid1(VALU_DEP_1)
	v_lshrrev_b32_e32 v3, 16, v3
	v_cndmask_b32_e32 v2, 0x7fc0, v3, vcc_lo
	global_store_b16 v[4:5], v2, off
.LBB512_735:
	s_mov_b32 s26, 0
.LBB512_736:
	s_delay_alu instid0(SALU_CYCLE_1)
	s_and_b32 vcc_lo, exec_lo, s26
	s_cbranch_vccz .LBB512_739
; %bb.737:
	v_cmp_eq_u16_e32 vcc_lo, 11, v6
	s_mov_b32 s0, -1
	s_cbranch_vccz .LBB512_739
; %bb.738:
	v_cmp_neq_f64_e32 vcc_lo, 0, v[0:1]
	s_mov_b32 s1, -1
	s_mov_b32 s0, 0
	v_cndmask_b32_e64 v2, 0, 1, vcc_lo
	global_store_b8 v[4:5], v2, off
.LBB512_739:
	s_mov_b32 s26, 0
.LBB512_740:
	s_delay_alu instid0(SALU_CYCLE_1)
	s_and_b32 vcc_lo, exec_lo, s26
	s_cbranch_vccz .LBB512_779
; %bb.741:
	v_cmp_gt_i16_e32 vcc_lo, 5, v6
	s_mov_b32 s1, -1
	s_cbranch_vccnz .LBB512_762
; %bb.742:
	v_cmp_gt_i16_e32 vcc_lo, 8, v6
	s_cbranch_vccnz .LBB512_752
; %bb.743:
	v_cmp_gt_i16_e32 vcc_lo, 9, v6
	s_cbranch_vccnz .LBB512_749
; %bb.744:
	v_cmp_lt_i16_e32 vcc_lo, 9, v6
	s_cbranch_vccz .LBB512_746
; %bb.745:
	v_mov_b32_e32 v2, 0
	s_mov_b32 s1, 0
	s_delay_alu instid0(VALU_DEP_1)
	v_mov_b32_e32 v3, v2
	global_store_b128 v[4:5], v[0:3], off
.LBB512_746:
	s_and_not1_b32 vcc_lo, exec_lo, s1
	s_cbranch_vccnz .LBB512_748
; %bb.747:
	v_cvt_f32_f64_e32 v2, v[0:1]
	v_mov_b32_e32 v3, 0
	global_store_b64 v[4:5], v[2:3], off
.LBB512_748:
	s_mov_b32 s1, 0
.LBB512_749:
	s_delay_alu instid0(SALU_CYCLE_1)
	s_and_not1_b32 vcc_lo, exec_lo, s1
	s_cbranch_vccnz .LBB512_751
; %bb.750:
	v_cvt_f32_f64_e32 v2, v[0:1]
	s_delay_alu instid0(VALU_DEP_1) | instskip(NEXT) | instid1(VALU_DEP_1)
	v_cvt_f16_f32_e32 v2, v2
	v_and_b32_e32 v2, 0xffff, v2
	global_store_b32 v[4:5], v2, off
.LBB512_751:
	s_mov_b32 s1, 0
.LBB512_752:
	s_delay_alu instid0(SALU_CYCLE_1)
	s_and_not1_b32 vcc_lo, exec_lo, s1
	s_cbranch_vccnz .LBB512_761
; %bb.753:
	v_cmp_gt_i16_e32 vcc_lo, 6, v6
	s_mov_b32 s1, -1
	s_cbranch_vccnz .LBB512_759
; %bb.754:
	v_cmp_lt_i16_e32 vcc_lo, 6, v6
	s_cbranch_vccz .LBB512_756
; %bb.755:
	s_mov_b32 s1, 0
	global_store_b64 v[4:5], v[0:1], off
.LBB512_756:
	s_and_not1_b32 vcc_lo, exec_lo, s1
	s_cbranch_vccnz .LBB512_758
; %bb.757:
	v_cvt_f32_f64_e32 v2, v[0:1]
	global_store_b32 v[4:5], v2, off
.LBB512_758:
	s_mov_b32 s1, 0
.LBB512_759:
	s_delay_alu instid0(SALU_CYCLE_1)
	s_and_not1_b32 vcc_lo, exec_lo, s1
	s_cbranch_vccnz .LBB512_761
; %bb.760:
	v_cvt_f32_f64_e32 v2, v[0:1]
	s_delay_alu instid0(VALU_DEP_1)
	v_cvt_f16_f32_e32 v2, v2
	global_store_b16 v[4:5], v2, off
.LBB512_761:
	s_mov_b32 s1, 0
.LBB512_762:
	s_delay_alu instid0(SALU_CYCLE_1)
	s_and_not1_b32 vcc_lo, exec_lo, s1
	s_cbranch_vccnz .LBB512_778
; %bb.763:
	v_cmp_gt_i16_e32 vcc_lo, 2, v6
	s_mov_b32 s1, -1
	s_cbranch_vccnz .LBB512_773
; %bb.764:
	v_cmp_gt_i16_e32 vcc_lo, 3, v6
	s_cbranch_vccnz .LBB512_770
; %bb.765:
	v_cmp_lt_i16_e32 vcc_lo, 3, v6
	s_cbranch_vccz .LBB512_767
; %bb.766:
	v_trunc_f64_e32 v[2:3], v[0:1]
	s_mov_b32 s1, 0
	s_delay_alu instid0(VALU_DEP_1) | instskip(NEXT) | instid1(VALU_DEP_1)
	v_ldexp_f64 v[7:8], v[2:3], 0xffffffe0
	v_floor_f64_e32 v[7:8], v[7:8]
	s_delay_alu instid0(VALU_DEP_1) | instskip(SKIP_1) | instid1(VALU_DEP_2)
	v_fma_f64 v[2:3], 0xc1f00000, v[7:8], v[2:3]
	v_cvt_i32_f64_e32 v8, v[7:8]
	v_cvt_u32_f64_e32 v7, v[2:3]
	global_store_b64 v[4:5], v[7:8], off
.LBB512_767:
	s_and_not1_b32 vcc_lo, exec_lo, s1
	s_cbranch_vccnz .LBB512_769
; %bb.768:
	v_cvt_i32_f64_e32 v2, v[0:1]
	global_store_b32 v[4:5], v2, off
.LBB512_769:
	s_mov_b32 s1, 0
.LBB512_770:
	s_delay_alu instid0(SALU_CYCLE_1)
	s_and_not1_b32 vcc_lo, exec_lo, s1
	s_cbranch_vccnz .LBB512_772
; %bb.771:
	v_cvt_i32_f64_e32 v2, v[0:1]
	global_store_b16 v[4:5], v2, off
.LBB512_772:
	s_mov_b32 s1, 0
.LBB512_773:
	s_delay_alu instid0(SALU_CYCLE_1)
	s_and_not1_b32 vcc_lo, exec_lo, s1
	s_cbranch_vccnz .LBB512_778
; %bb.774:
	v_cmp_lt_i16_e32 vcc_lo, 0, v6
	s_mov_b32 s1, -1
	s_cbranch_vccz .LBB512_776
; %bb.775:
	v_cvt_i32_f64_e32 v2, v[0:1]
	s_mov_b32 s1, 0
	global_store_b8 v[4:5], v2, off
.LBB512_776:
	s_and_not1_b32 vcc_lo, exec_lo, s1
	s_cbranch_vccnz .LBB512_778
; %bb.777:
	v_trunc_f64_e32 v[0:1], v[0:1]
	s_delay_alu instid0(VALU_DEP_1) | instskip(NEXT) | instid1(VALU_DEP_1)
	v_ldexp_f64 v[2:3], v[0:1], 0xffffffe0
	v_floor_f64_e32 v[2:3], v[2:3]
	s_delay_alu instid0(VALU_DEP_1) | instskip(NEXT) | instid1(VALU_DEP_1)
	v_fma_f64 v[0:1], 0xc1f00000, v[2:3], v[0:1]
	v_cvt_u32_f64_e32 v0, v[0:1]
	global_store_b8 v[4:5], v0, off
.LBB512_778:
	s_mov_b32 s1, -1
.LBB512_779:
	s_delay_alu instid0(SALU_CYCLE_1)
	s_and_not1_b32 vcc_lo, exec_lo, s1
	s_cbranch_vccnz .LBB512_781
; %bb.780:
	v_add_nc_u32_e32 v12, 0x80, v12
	s_mov_b32 s1, -1
	s_branch .LBB512_783
.LBB512_781:
	s_mov_b32 s1, 0
.LBB512_782:
                                        ; implicit-def: $vgpr12
.LBB512_783:
	s_and_not1_b32 s26, s22, exec_lo
	s_and_b32 s0, s0, exec_lo
	s_and_not1_b32 s27, s21, exec_lo
	s_and_b32 s25, s25, exec_lo
	s_or_b32 s26, s26, s0
	s_or_b32 s25, s27, s25
	s_or_not1_b32 s0, s1, exec_lo
.LBB512_784:
	s_or_b32 exec_lo, exec_lo, s24
	s_mov_b32 s1, 0
	s_mov_b32 s27, 0
	;; [unrolled: 1-line block ×3, first 2 shown]
                                        ; implicit-def: $vgpr0_vgpr1
                                        ; implicit-def: $vgpr2_vgpr3
	s_and_saveexec_b32 s24, s0
	s_cbranch_execz .LBB512_869
; %bb.785:
	v_cmp_gt_i32_e32 vcc_lo, s18, v12
	s_mov_b32 s0, 0
	s_mov_b32 s29, s25
	;; [unrolled: 1-line block ×3, first 2 shown]
                                        ; implicit-def: $vgpr0_vgpr1
                                        ; implicit-def: $vgpr2_vgpr3
	s_and_saveexec_b32 s18, vcc_lo
	s_cbranch_execz .LBB512_868
; %bb.786:
	v_mul_lo_u32 v0, v12, s3
	v_cmp_gt_i16_e32 vcc_lo, 11, v13
	s_delay_alu instid0(VALU_DEP_2) | instskip(SKIP_1) | instid1(VALU_DEP_1)
	v_ashrrev_i32_e32 v1, 31, v0
	v_add_co_u32 v0, s0, s6, v0
	v_add_co_ci_u32_e64 v1, s0, s7, v1, s0
	s_cbranch_vccnz .LBB512_793
; %bb.787:
	v_cmp_lt_i16_e32 vcc_lo, 25, v13
	s_cbranch_vccz .LBB512_794
; %bb.788:
	v_cmp_lt_i16_e32 vcc_lo, 28, v13
	s_cbranch_vccz .LBB512_795
	;; [unrolled: 3-line block ×4, first 2 shown]
; %bb.791:
	v_cmp_eq_u16_e32 vcc_lo, 46, v13
	s_cbranch_vccz .LBB512_802
; %bb.792:
	global_load_b32 v2, v[0:1], off
	s_mov_b32 s0, -1
	s_waitcnt vmcnt(0)
	v_lshlrev_b32_e32 v2, 16, v2
	s_delay_alu instid0(VALU_DEP_1)
	v_cvt_f64_f32_e32 v[2:3], v2
	s_branch .LBB512_804
.LBB512_793:
	s_mov_b32 s1, -1
	s_mov_b32 s0, 0
	s_mov_b32 s27, s25
                                        ; implicit-def: $vgpr2_vgpr3
	s_branch .LBB512_867
.LBB512_794:
	s_mov_b32 s1, -1
	s_mov_b32 s0, 0
	s_mov_b32 s27, s25
                                        ; implicit-def: $vgpr2_vgpr3
	s_branch .LBB512_835
.LBB512_795:
	s_mov_b32 s1, -1
	s_mov_b32 s0, 0
	s_mov_b32 s27, s25
                                        ; implicit-def: $vgpr2_vgpr3
	s_branch .LBB512_814
.LBB512_796:
	s_mov_b32 s1, -1
	s_mov_b32 s0, 0
	s_mov_b32 s27, s25
                                        ; implicit-def: $vgpr2_vgpr3
	s_branch .LBB512_809
.LBB512_797:
	s_or_saveexec_b32 s27, s27
                                        ; implicit-def: $sgpr28
	s_delay_alu instid0(SALU_CYCLE_1)
	s_xor_b32 exec_lo, exec_lo, s27
	s_cbranch_execz .LBB512_692
.LBB512_798:
	v_add_f32_e64 v3, 0x46000000, |v2|
	s_and_not1_b32 s26, s26, exec_lo
	s_mov_b32 s28, 0
	s_delay_alu instid0(VALU_DEP_1) | instskip(NEXT) | instid1(VALU_DEP_1)
	v_and_b32_e32 v3, 0xff, v3
	v_cmp_ne_u32_e32 vcc_lo, 0, v3
	s_and_b32 s29, vcc_lo, exec_lo
	s_delay_alu instid0(SALU_CYCLE_1)
	s_or_b32 s26, s26, s29
	s_or_b32 exec_lo, exec_lo, s27
	v_mov_b32_e32 v7, s28
	s_and_saveexec_b32 s27, s26
	s_cbranch_execnz .LBB512_693
	s_branch .LBB512_694
.LBB512_799:
	s_mov_b32 s1, -1
	s_mov_b32 s0, 0
	s_mov_b32 s27, s25
	s_branch .LBB512_803
.LBB512_800:
	s_or_saveexec_b32 s27, s27
                                        ; implicit-def: $sgpr28
	s_delay_alu instid0(SALU_CYCLE_1)
	s_xor_b32 exec_lo, exec_lo, s27
	s_cbranch_execz .LBB512_705
.LBB512_801:
	v_add_f32_e64 v3, 0x42800000, |v2|
	s_and_not1_b32 s26, s26, exec_lo
	s_mov_b32 s28, 0
	s_delay_alu instid0(VALU_DEP_1) | instskip(NEXT) | instid1(VALU_DEP_1)
	v_and_b32_e32 v3, 0xff, v3
	v_cmp_ne_u32_e32 vcc_lo, 0, v3
	s_and_b32 s29, vcc_lo, exec_lo
	s_delay_alu instid0(SALU_CYCLE_1)
	s_or_b32 s26, s26, s29
	s_or_b32 exec_lo, exec_lo, s27
	v_mov_b32_e32 v7, s28
	s_and_saveexec_b32 s27, s26
	s_cbranch_execnz .LBB512_706
	s_branch .LBB512_707
.LBB512_802:
	s_mov_b32 s27, -1
	s_mov_b32 s0, 0
.LBB512_803:
                                        ; implicit-def: $vgpr2_vgpr3
.LBB512_804:
	s_and_b32 vcc_lo, exec_lo, s1
	s_cbranch_vccz .LBB512_808
; %bb.805:
	v_cmp_eq_u16_e32 vcc_lo, 44, v13
	s_cbranch_vccz .LBB512_807
; %bb.806:
	global_load_u8 v4, v[0:1], off
	s_mov_b32 s27, 0
	s_mov_b32 s0, -1
	s_waitcnt vmcnt(0)
	v_cmp_ne_u32_e32 vcc_lo, 0xff, v4
	v_lshlrev_b32_e32 v2, 23, v4
	s_delay_alu instid0(VALU_DEP_1) | instskip(NEXT) | instid1(VALU_DEP_1)
	v_cvt_f64_f32_e32 v[2:3], v2
	v_cndmask_b32_e32 v3, 0x7ff80000, v3, vcc_lo
	s_delay_alu instid0(VALU_DEP_2) | instskip(SKIP_1) | instid1(VALU_DEP_3)
	v_cndmask_b32_e32 v2, 0x20000000, v2, vcc_lo
	v_cmp_ne_u32_e32 vcc_lo, 0, v4
	v_cndmask_b32_e32 v3, 0x38000000, v3, vcc_lo
	s_delay_alu instid0(VALU_DEP_3)
	v_cndmask_b32_e32 v2, 0, v2, vcc_lo
	s_branch .LBB512_808
.LBB512_807:
	s_mov_b32 s27, -1
                                        ; implicit-def: $vgpr2_vgpr3
.LBB512_808:
	s_mov_b32 s1, 0
.LBB512_809:
	s_delay_alu instid0(SALU_CYCLE_1)
	s_and_b32 vcc_lo, exec_lo, s1
	s_cbranch_vccz .LBB512_813
; %bb.810:
	v_cmp_eq_u16_e32 vcc_lo, 29, v13
	s_cbranch_vccz .LBB512_812
; %bb.811:
	global_load_b64 v[2:3], v[0:1], off
	s_mov_b32 s27, 0
	s_mov_b32 s0, -1
	s_mov_b32 s1, 0
	s_waitcnt vmcnt(0)
	v_cvt_f64_u32_e32 v[3:4], v3
	v_cvt_f64_u32_e32 v[5:6], v2
	s_delay_alu instid0(VALU_DEP_2) | instskip(NEXT) | instid1(VALU_DEP_1)
	v_ldexp_f64 v[3:4], v[3:4], 32
	v_add_f64 v[2:3], v[3:4], v[5:6]
	s_branch .LBB512_814
.LBB512_812:
	s_mov_b32 s27, -1
                                        ; implicit-def: $vgpr2_vgpr3
.LBB512_813:
	s_mov_b32 s1, 0
.LBB512_814:
	s_delay_alu instid0(SALU_CYCLE_1)
	s_and_b32 vcc_lo, exec_lo, s1
	s_cbranch_vccz .LBB512_834
; %bb.815:
	v_cmp_gt_i16_e32 vcc_lo, 27, v13
	s_cbranch_vccnz .LBB512_818
; %bb.816:
	v_cmp_lt_i16_e32 vcc_lo, 27, v13
	s_cbranch_vccz .LBB512_819
; %bb.817:
	global_load_b32 v2, v[0:1], off
	s_mov_b32 s0, 0
	s_waitcnt vmcnt(0)
	v_cvt_f64_u32_e32 v[2:3], v2
	s_branch .LBB512_820
.LBB512_818:
	s_mov_b32 s0, -1
                                        ; implicit-def: $vgpr2_vgpr3
	s_branch .LBB512_823
.LBB512_819:
	s_mov_b32 s0, -1
                                        ; implicit-def: $vgpr2_vgpr3
.LBB512_820:
	s_delay_alu instid0(SALU_CYCLE_1)
	s_and_not1_b32 vcc_lo, exec_lo, s0
	s_cbranch_vccnz .LBB512_822
; %bb.821:
	global_load_u16 v2, v[0:1], off
	s_waitcnt vmcnt(0)
	v_cvt_f64_u32_e32 v[2:3], v2
.LBB512_822:
	s_mov_b32 s0, 0
.LBB512_823:
	s_delay_alu instid0(SALU_CYCLE_1)
	s_and_not1_b32 vcc_lo, exec_lo, s0
	s_cbranch_vccnz .LBB512_833
; %bb.824:
	global_load_u8 v4, v[0:1], off
	s_mov_b32 s29, 0
	s_mov_b32 s30, exec_lo
                                        ; implicit-def: $sgpr0_sgpr1
	s_waitcnt vmcnt(0)
	v_cmpx_lt_i16_e32 0x7f, v4
	s_xor_b32 s30, exec_lo, s30
	s_cbranch_execz .LBB512_828
; %bb.825:
	s_mov_b32 s31, -1
	s_mov_b32 s29, exec_lo
                                        ; implicit-def: $sgpr0_sgpr1
	v_cmpx_eq_u16_e32 0x80, v4
; %bb.826:
	s_mov_b32 s1, 0x7ff80000
	s_brev_b32 s0, 4
	s_xor_b32 s31, exec_lo, -1
; %bb.827:
	s_or_b32 exec_lo, exec_lo, s29
	s_delay_alu instid0(SALU_CYCLE_1)
	s_and_b32 s29, s31, exec_lo
.LBB512_828:
	s_or_saveexec_b32 s30, s30
	v_dual_mov_b32 v3, s1 :: v_dual_mov_b32 v2, s0
	s_xor_b32 exec_lo, exec_lo, s30
; %bb.829:
	v_cmp_ne_u16_e32 vcc_lo, 0, v4
	v_mov_b32_e32 v2, 0
	v_mov_b32_e32 v3, 0
	s_and_not1_b32 s0, s29, exec_lo
	s_and_b32 s1, vcc_lo, exec_lo
	s_delay_alu instid0(SALU_CYCLE_1)
	s_or_b32 s29, s0, s1
; %bb.830:
	s_or_b32 exec_lo, exec_lo, s30
	s_and_saveexec_b32 s0, s29
	s_cbranch_execz .LBB512_832
; %bb.831:
	v_and_b32_e32 v2, 0xffff, v4
	v_lshlrev_b32_e32 v4, 24, v4
	s_delay_alu instid0(VALU_DEP_2) | instskip(NEXT) | instid1(VALU_DEP_2)
	v_and_b32_e32 v3, 7, v2
	v_and_b32_e32 v4, 0x80000000, v4
	s_delay_alu instid0(VALU_DEP_2) | instskip(NEXT) | instid1(VALU_DEP_1)
	v_clz_i32_u32_e32 v5, v3
	v_min_u32_e32 v5, 32, v5
	s_delay_alu instid0(VALU_DEP_1) | instskip(SKIP_1) | instid1(VALU_DEP_2)
	v_subrev_nc_u32_e32 v6, 28, v5
	v_sub_nc_u32_e32 v5, 29, v5
	v_lshlrev_b32_e32 v6, v6, v2
	v_bfe_u32 v2, v2, 3, 4
	s_delay_alu instid0(VALU_DEP_2) | instskip(NEXT) | instid1(VALU_DEP_2)
	v_and_b32_e32 v6, 7, v6
	v_cmp_eq_u32_e32 vcc_lo, 0, v2
	s_delay_alu instid0(VALU_DEP_2) | instskip(NEXT) | instid1(VALU_DEP_1)
	v_dual_cndmask_b32 v2, v2, v5 :: v_dual_cndmask_b32 v3, v3, v6
	v_lshl_add_u32 v2, v2, 23, 0x3b800000
	s_delay_alu instid0(VALU_DEP_2) | instskip(NEXT) | instid1(VALU_DEP_1)
	v_lshlrev_b32_e32 v3, 20, v3
	v_or3_b32 v2, v4, v2, v3
	s_delay_alu instid0(VALU_DEP_1)
	v_cvt_f64_f32_e32 v[2:3], v2
.LBB512_832:
	s_or_b32 exec_lo, exec_lo, s0
.LBB512_833:
	s_mov_b32 s0, -1
.LBB512_834:
	s_mov_b32 s1, 0
.LBB512_835:
	s_delay_alu instid0(SALU_CYCLE_1)
	s_and_b32 vcc_lo, exec_lo, s1
	s_cbranch_vccz .LBB512_866
; %bb.836:
	v_cmp_lt_i16_e32 vcc_lo, 22, v13
	s_cbranch_vccz .LBB512_848
; %bb.837:
	v_cmp_gt_i16_e32 vcc_lo, 24, v13
	s_cbranch_vccnz .LBB512_849
; %bb.838:
	v_cmp_lt_i16_e32 vcc_lo, 24, v13
	s_cbranch_vccz .LBB512_850
; %bb.839:
	global_load_u8 v4, v[0:1], off
	s_mov_b32 s29, exec_lo
                                        ; implicit-def: $sgpr0_sgpr1
	s_waitcnt vmcnt(0)
	v_cmpx_lt_i16_e32 0x7f, v4
	s_xor_b32 s29, exec_lo, s29
	s_cbranch_execz .LBB512_843
; %bb.840:
	s_mov_b32 s30, -1
	s_mov_b32 s28, exec_lo
                                        ; implicit-def: $sgpr0_sgpr1
	v_cmpx_eq_u16_e32 0x80, v4
; %bb.841:
	s_mov_b32 s1, 0x7ff80000
	s_brev_b32 s0, 4
	s_xor_b32 s30, exec_lo, -1
; %bb.842:
	s_or_b32 exec_lo, exec_lo, s28
	s_delay_alu instid0(SALU_CYCLE_1)
	s_and_b32 s28, s30, exec_lo
.LBB512_843:
	s_or_saveexec_b32 s29, s29
	v_dual_mov_b32 v3, s1 :: v_dual_mov_b32 v2, s0
	s_xor_b32 exec_lo, exec_lo, s29
; %bb.844:
	v_cmp_ne_u16_e32 vcc_lo, 0, v4
	v_mov_b32_e32 v2, 0
	v_mov_b32_e32 v3, 0
	s_and_not1_b32 s0, s28, exec_lo
	s_and_b32 s1, vcc_lo, exec_lo
	s_delay_alu instid0(SALU_CYCLE_1)
	s_or_b32 s28, s0, s1
; %bb.845:
	s_or_b32 exec_lo, exec_lo, s29
	s_and_saveexec_b32 s0, s28
	s_cbranch_execz .LBB512_847
; %bb.846:
	v_and_b32_e32 v2, 0xffff, v4
	v_lshlrev_b32_e32 v4, 24, v4
	s_delay_alu instid0(VALU_DEP_2) | instskip(NEXT) | instid1(VALU_DEP_2)
	v_and_b32_e32 v3, 3, v2
	v_and_b32_e32 v4, 0x80000000, v4
	s_delay_alu instid0(VALU_DEP_2) | instskip(NEXT) | instid1(VALU_DEP_1)
	v_clz_i32_u32_e32 v5, v3
	v_min_u32_e32 v5, 32, v5
	s_delay_alu instid0(VALU_DEP_1) | instskip(SKIP_1) | instid1(VALU_DEP_2)
	v_subrev_nc_u32_e32 v6, 29, v5
	v_sub_nc_u32_e32 v5, 30, v5
	v_lshlrev_b32_e32 v6, v6, v2
	v_bfe_u32 v2, v2, 2, 5
	s_delay_alu instid0(VALU_DEP_2) | instskip(NEXT) | instid1(VALU_DEP_2)
	v_and_b32_e32 v6, 3, v6
	v_cmp_eq_u32_e32 vcc_lo, 0, v2
	s_delay_alu instid0(VALU_DEP_2) | instskip(NEXT) | instid1(VALU_DEP_1)
	v_dual_cndmask_b32 v2, v2, v5 :: v_dual_cndmask_b32 v3, v3, v6
	v_lshl_add_u32 v2, v2, 23, 0x37800000
	s_delay_alu instid0(VALU_DEP_2) | instskip(NEXT) | instid1(VALU_DEP_1)
	v_lshlrev_b32_e32 v3, 21, v3
	v_or3_b32 v2, v4, v2, v3
	s_delay_alu instid0(VALU_DEP_1)
	v_cvt_f64_f32_e32 v[2:3], v2
.LBB512_847:
	s_or_b32 exec_lo, exec_lo, s0
	s_mov_b32 s0, 0
	s_branch .LBB512_851
.LBB512_848:
	s_mov_b32 s1, -1
                                        ; implicit-def: $vgpr2_vgpr3
	s_branch .LBB512_857
.LBB512_849:
	s_mov_b32 s0, -1
                                        ; implicit-def: $vgpr2_vgpr3
	s_branch .LBB512_854
.LBB512_850:
	s_mov_b32 s0, -1
                                        ; implicit-def: $vgpr2_vgpr3
.LBB512_851:
	s_delay_alu instid0(SALU_CYCLE_1)
	s_and_b32 vcc_lo, exec_lo, s0
	s_cbranch_vccz .LBB512_853
; %bb.852:
	global_load_u8 v2, v[0:1], off
	s_waitcnt vmcnt(0)
	v_lshlrev_b32_e32 v2, 24, v2
	s_delay_alu instid0(VALU_DEP_1) | instskip(NEXT) | instid1(VALU_DEP_1)
	v_and_b32_e32 v3, 0x7f000000, v2
	v_clz_i32_u32_e32 v4, v3
	v_add_nc_u32_e32 v6, 0x1000000, v3
	v_cmp_ne_u32_e32 vcc_lo, 0, v3
	s_delay_alu instid0(VALU_DEP_3) | instskip(NEXT) | instid1(VALU_DEP_1)
	v_min_u32_e32 v4, 32, v4
	v_sub_nc_u32_e64 v4, v4, 4 clamp
	s_delay_alu instid0(VALU_DEP_1) | instskip(SKIP_1) | instid1(VALU_DEP_2)
	v_lshlrev_b32_e32 v5, v4, v3
	v_lshlrev_b32_e32 v4, 23, v4
	v_lshrrev_b32_e32 v5, 4, v5
	s_delay_alu instid0(VALU_DEP_1) | instskip(SKIP_1) | instid1(VALU_DEP_2)
	v_sub_nc_u32_e32 v4, v5, v4
	v_ashrrev_i32_e32 v5, 8, v6
	v_add_nc_u32_e32 v4, 0x3c000000, v4
	s_delay_alu instid0(VALU_DEP_1) | instskip(NEXT) | instid1(VALU_DEP_1)
	v_and_or_b32 v4, 0x7f800000, v5, v4
	v_cndmask_b32_e32 v3, 0, v4, vcc_lo
	s_delay_alu instid0(VALU_DEP_1) | instskip(NEXT) | instid1(VALU_DEP_1)
	v_and_or_b32 v2, 0x80000000, v2, v3
	v_cvt_f64_f32_e32 v[2:3], v2
.LBB512_853:
	s_mov_b32 s0, 0
.LBB512_854:
	s_delay_alu instid0(SALU_CYCLE_1)
	s_and_not1_b32 vcc_lo, exec_lo, s0
	s_cbranch_vccnz .LBB512_856
; %bb.855:
	global_load_u8 v2, v[0:1], off
	s_waitcnt vmcnt(0)
	v_lshlrev_b32_e32 v3, 25, v2
	v_lshlrev_b16 v2, 8, v2
	s_delay_alu instid0(VALU_DEP_2) | instskip(NEXT) | instid1(VALU_DEP_2)
	v_lshrrev_b32_e32 v4, 4, v3
	v_and_or_b32 v5, 0x7f00, v2, 0.5
	v_bfe_i32 v2, v2, 0, 16
	s_delay_alu instid0(VALU_DEP_3) | instskip(NEXT) | instid1(VALU_DEP_1)
	v_or_b32_e32 v4, 0x70000000, v4
	v_dual_add_f32 v5, -0.5, v5 :: v_dual_mul_f32 v4, 0x7800000, v4
	v_cmp_gt_u32_e32 vcc_lo, 0x8000000, v3
	s_delay_alu instid0(VALU_DEP_2) | instskip(NEXT) | instid1(VALU_DEP_1)
	v_cndmask_b32_e32 v3, v4, v5, vcc_lo
	v_and_or_b32 v2, 0x80000000, v2, v3
	s_delay_alu instid0(VALU_DEP_1)
	v_cvt_f64_f32_e32 v[2:3], v2
.LBB512_856:
	s_mov_b32 s1, 0
	s_mov_b32 s0, -1
.LBB512_857:
	s_and_not1_b32 vcc_lo, exec_lo, s1
	s_mov_b32 s28, 0
	s_cbranch_vccnz .LBB512_866
; %bb.858:
	v_cmp_lt_i16_e32 vcc_lo, 14, v13
	s_cbranch_vccz .LBB512_861
; %bb.859:
	v_cmp_eq_u16_e32 vcc_lo, 15, v13
	s_cbranch_vccz .LBB512_862
; %bb.860:
	global_load_u16 v2, v[0:1], off
	s_mov_b32 s27, 0
	s_mov_b32 s0, -1
	s_waitcnt vmcnt(0)
	v_lshlrev_b32_e32 v2, 16, v2
	s_delay_alu instid0(VALU_DEP_1)
	v_cvt_f64_f32_e32 v[2:3], v2
	s_branch .LBB512_863
.LBB512_861:
	s_mov_b32 s1, -1
                                        ; implicit-def: $vgpr2_vgpr3
	s_branch .LBB512_864
.LBB512_862:
	s_mov_b32 s27, -1
                                        ; implicit-def: $vgpr2_vgpr3
.LBB512_863:
	s_mov_b32 s1, 0
.LBB512_864:
	s_delay_alu instid0(SALU_CYCLE_1)
	s_and_b32 vcc_lo, exec_lo, s1
	s_cbranch_vccz .LBB512_866
; %bb.865:
	v_cmp_ne_u16_e32 vcc_lo, 11, v13
	s_and_not1_b32 s1, s27, exec_lo
	s_mov_b32 s28, -1
                                        ; implicit-def: $vgpr2_vgpr3
	s_and_b32 s27, vcc_lo, exec_lo
	s_delay_alu instid0(SALU_CYCLE_1)
	s_or_b32 s27, s1, s27
.LBB512_866:
	s_mov_b32 s1, 0
.LBB512_867:
	s_and_not1_b32 s29, s25, exec_lo
	s_and_b32 s27, s27, exec_lo
	s_and_b32 s30, s0, exec_lo
	;; [unrolled: 1-line block ×4, first 2 shown]
	s_or_b32 s29, s29, s27
.LBB512_868:
	s_or_b32 exec_lo, exec_lo, s18
	s_delay_alu instid0(SALU_CYCLE_1)
	s_and_not1_b32 s18, s25, exec_lo
	s_and_b32 s25, s29, exec_lo
	s_and_b32 s28, s30, exec_lo
	;; [unrolled: 1-line block ×4, first 2 shown]
	s_or_b32 s25, s18, s25
.LBB512_869:
	s_or_b32 exec_lo, exec_lo, s24
	s_delay_alu instid0(SALU_CYCLE_1)
	s_and_not1_b32 s0, s22, exec_lo
	s_and_b32 s18, s26, exec_lo
	s_and_b32 s24, s27, exec_lo
	s_or_b32 s22, s0, s18
	s_and_not1_b32 s18, s21, exec_lo
	s_and_b32 s21, s25, exec_lo
	s_and_b32 s0, s28, exec_lo
	;; [unrolled: 1-line block ×3, first 2 shown]
	s_or_b32 s21, s18, s21
.LBB512_870:
	s_or_b32 exec_lo, exec_lo, s23
	s_delay_alu instid0(SALU_CYCLE_1)
	s_and_not1_b32 s17, s17, exec_lo
	s_and_b32 s18, s22, exec_lo
	s_and_b32 s0, s0, exec_lo
	s_or_b32 s17, s17, s18
	s_and_not1_b32 s18, s19, exec_lo
	s_and_b32 s19, s21, exec_lo
	s_and_b32 s22, s24, exec_lo
	;; [unrolled: 1-line block ×3, first 2 shown]
	s_or_b32 s19, s18, s19
.LBB512_871:
	s_or_b32 exec_lo, exec_lo, s20
	s_mov_b32 s1, 0
	s_and_saveexec_b32 s18, s19
	s_cbranch_execnz .LBB512_883
; %bb.872:
	s_or_b32 exec_lo, exec_lo, s18
	s_and_saveexec_b32 s18, s21
	s_delay_alu instid0(SALU_CYCLE_1)
	s_xor_b32 s18, exec_lo, s18
	s_cbranch_execz .LBB512_874
.LBB512_873:
	global_load_u8 v2, v[0:1], off
	s_or_b32 s0, s0, exec_lo
	s_waitcnt vmcnt(0)
	v_cmp_ne_u16_e32 vcc_lo, 0, v2
	v_mov_b32_e32 v2, 0
	v_cndmask_b32_e64 v3, 0, 0x3ff00000, vcc_lo
.LBB512_874:
	s_or_b32 exec_lo, exec_lo, s18
	s_and_saveexec_b32 s18, s22
	s_cbranch_execz .LBB512_922
; %bb.875:
	v_cmp_gt_i16_e32 vcc_lo, 5, v13
	s_cbranch_vccnz .LBB512_880
; %bb.876:
	v_cmp_gt_i16_e32 vcc_lo, 8, v13
	s_cbranch_vccnz .LBB512_881
	;; [unrolled: 3-line block ×3, first 2 shown]
; %bb.878:
	v_cmp_lt_i16_e32 vcc_lo, 9, v13
	s_cbranch_vccz .LBB512_885
; %bb.879:
	global_load_b64 v[2:3], v[0:1], off
	s_mov_b32 s19, 0
	s_branch .LBB512_886
.LBB512_880:
                                        ; implicit-def: $vgpr2_vgpr3
	s_branch .LBB512_903
.LBB512_881:
                                        ; implicit-def: $vgpr2_vgpr3
	s_branch .LBB512_892
.LBB512_882:
	s_mov_b32 s19, -1
                                        ; implicit-def: $vgpr2_vgpr3
	s_branch .LBB512_889
.LBB512_883:
	s_cbranch_execnz .LBB512_935
; %bb.884:
	s_mov_b32 s1, exec_lo
	s_and_not1_b32 s21, s21, exec_lo
                                        ; implicit-def: $vgpr2_vgpr3
	s_or_b32 exec_lo, exec_lo, s18
	s_and_saveexec_b32 s18, s21
	s_delay_alu instid0(SALU_CYCLE_1)
	s_xor_b32 s18, exec_lo, s18
	s_cbranch_execnz .LBB512_873
	s_branch .LBB512_874
.LBB512_885:
	s_mov_b32 s19, -1
                                        ; implicit-def: $vgpr2_vgpr3
.LBB512_886:
	s_delay_alu instid0(SALU_CYCLE_1)
	s_and_not1_b32 vcc_lo, exec_lo, s19
	s_cbranch_vccnz .LBB512_888
; %bb.887:
	global_load_b32 v2, v[0:1], off
	s_waitcnt vmcnt(0)
	v_cvt_f64_f32_e32 v[2:3], v2
.LBB512_888:
	s_mov_b32 s19, 0
.LBB512_889:
	s_delay_alu instid0(SALU_CYCLE_1)
	s_and_not1_b32 vcc_lo, exec_lo, s19
	s_cbranch_vccnz .LBB512_891
; %bb.890:
	global_load_b32 v2, v[0:1], off
	s_waitcnt vmcnt(0)
	v_cvt_f32_f16_e32 v2, v2
	s_delay_alu instid0(VALU_DEP_1)
	v_cvt_f64_f32_e32 v[2:3], v2
.LBB512_891:
	s_cbranch_execnz .LBB512_902
.LBB512_892:
	v_cmp_gt_i16_e32 vcc_lo, 6, v13
	s_cbranch_vccnz .LBB512_895
; %bb.893:
	v_cmp_lt_i16_e32 vcc_lo, 6, v13
	s_cbranch_vccz .LBB512_896
; %bb.894:
	global_load_b64 v[2:3], v[0:1], off
	s_mov_b32 s19, 0
	s_branch .LBB512_897
.LBB512_895:
	s_mov_b32 s19, -1
                                        ; implicit-def: $vgpr2_vgpr3
	s_branch .LBB512_900
.LBB512_896:
	s_mov_b32 s19, -1
                                        ; implicit-def: $vgpr2_vgpr3
.LBB512_897:
	s_delay_alu instid0(SALU_CYCLE_1)
	s_and_not1_b32 vcc_lo, exec_lo, s19
	s_cbranch_vccnz .LBB512_899
; %bb.898:
	global_load_b32 v2, v[0:1], off
	s_waitcnt vmcnt(0)
	v_cvt_f64_f32_e32 v[2:3], v2
.LBB512_899:
	s_mov_b32 s19, 0
.LBB512_900:
	s_delay_alu instid0(SALU_CYCLE_1)
	s_and_not1_b32 vcc_lo, exec_lo, s19
	s_cbranch_vccnz .LBB512_902
; %bb.901:
	global_load_u16 v2, v[0:1], off
	s_waitcnt vmcnt(0)
	v_cvt_f32_f16_e32 v2, v2
	s_delay_alu instid0(VALU_DEP_1)
	v_cvt_f64_f32_e32 v[2:3], v2
.LBB512_902:
	s_cbranch_execnz .LBB512_921
.LBB512_903:
	v_cmp_gt_i16_e32 vcc_lo, 2, v13
	s_cbranch_vccnz .LBB512_907
; %bb.904:
	v_cmp_gt_i16_e32 vcc_lo, 3, v13
	s_cbranch_vccnz .LBB512_908
; %bb.905:
	v_cmp_lt_i16_e32 vcc_lo, 3, v13
	s_cbranch_vccz .LBB512_909
; %bb.906:
	global_load_b64 v[2:3], v[0:1], off
	s_mov_b32 s19, 0
	s_waitcnt vmcnt(0)
	v_cvt_f64_i32_e32 v[3:4], v3
	v_cvt_f64_u32_e32 v[5:6], v2
	s_delay_alu instid0(VALU_DEP_2) | instskip(NEXT) | instid1(VALU_DEP_1)
	v_ldexp_f64 v[3:4], v[3:4], 32
	v_add_f64 v[2:3], v[3:4], v[5:6]
	s_branch .LBB512_910
.LBB512_907:
                                        ; implicit-def: $vgpr2_vgpr3
	s_branch .LBB512_916
.LBB512_908:
	s_mov_b32 s19, -1
                                        ; implicit-def: $vgpr2_vgpr3
	s_branch .LBB512_913
.LBB512_909:
	s_mov_b32 s19, -1
                                        ; implicit-def: $vgpr2_vgpr3
.LBB512_910:
	s_delay_alu instid0(SALU_CYCLE_1)
	s_and_not1_b32 vcc_lo, exec_lo, s19
	s_cbranch_vccnz .LBB512_912
; %bb.911:
	global_load_b32 v2, v[0:1], off
	s_waitcnt vmcnt(0)
	v_cvt_f64_i32_e32 v[2:3], v2
.LBB512_912:
	s_mov_b32 s19, 0
.LBB512_913:
	s_delay_alu instid0(SALU_CYCLE_1)
	s_and_not1_b32 vcc_lo, exec_lo, s19
	s_cbranch_vccnz .LBB512_915
; %bb.914:
	global_load_i16 v2, v[0:1], off
	s_waitcnt vmcnt(0)
	v_cvt_f64_i32_e32 v[2:3], v2
.LBB512_915:
	s_cbranch_execnz .LBB512_921
.LBB512_916:
	v_cmp_lt_i16_e32 vcc_lo, 0, v13
	s_mov_b32 s19, 0
	s_cbranch_vccz .LBB512_918
; %bb.917:
	global_load_i8 v2, v[0:1], off
	s_waitcnt vmcnt(0)
	v_cvt_f64_i32_e32 v[2:3], v2
	s_branch .LBB512_919
.LBB512_918:
	s_mov_b32 s19, -1
                                        ; implicit-def: $vgpr2_vgpr3
.LBB512_919:
	s_delay_alu instid0(SALU_CYCLE_1)
	s_and_not1_b32 vcc_lo, exec_lo, s19
	s_cbranch_vccnz .LBB512_921
; %bb.920:
	global_load_u8 v0, v[0:1], off
	s_waitcnt vmcnt(0)
	v_cvt_f64_u32_e32 v[2:3], v0
.LBB512_921:
	s_or_b32 s0, s0, exec_lo
.LBB512_922:
	s_or_b32 exec_lo, exec_lo, s18
	s_mov_b32 s20, 0
	s_mov_b32 s19, 0
                                        ; implicit-def: $vgpr6
                                        ; implicit-def: $vgpr4_vgpr5
                                        ; implicit-def: $vgpr0_vgpr1
	s_and_saveexec_b32 s18, s0
	s_cbranch_execz .LBB512_1006
; %bb.923:
	v_dual_mov_b32 v0, s8 :: v_dual_mov_b32 v1, s9
	s_mov_b32 s0, exec_lo
	s_waitcnt vmcnt(0)
	s_delay_alu instid0(VALU_DEP_2)
	v_cmpx_o_f64_e32 v[2:3], v[2:3]
	s_cbranch_execz .LBB512_927
; %bb.924:
	v_dual_mov_b32 v0, s10 :: v_dual_mov_b32 v1, s11
	s_mov_b32 s19, exec_lo
	v_cmpx_neq_f64_e32 0x7ff00000, v[2:3]
; %bb.925:
	v_cmp_eq_f64_e32 vcc_lo, 0xfff00000, v[2:3]
	v_cndmask_b32_e64 v1, v3, s13, vcc_lo
	v_cndmask_b32_e64 v0, v2, s12, vcc_lo
; %bb.926:
	s_or_b32 exec_lo, exec_lo, s19
.LBB512_927:
	s_delay_alu instid0(SALU_CYCLE_1) | instskip(SKIP_2) | instid1(VALU_DEP_1)
	s_or_b32 exec_lo, exec_lo, s0
	v_mul_lo_u32 v2, v12, s2
	v_and_b32_e64 v6, 0xff, s14
	v_cmp_gt_i16_e32 vcc_lo, 11, v6
	s_delay_alu instid0(VALU_DEP_3) | instskip(SKIP_1) | instid1(VALU_DEP_1)
	v_ashrrev_i32_e32 v3, 31, v2
	v_add_co_u32 v4, s0, s4, v2
	v_add_co_ci_u32_e64 v5, s0, s5, v3, s0
	s_cbranch_vccnz .LBB512_934
; %bb.928:
	v_cmp_lt_i16_e32 vcc_lo, 25, v6
	s_mov_b32 s19, -1
	s_mov_b32 s0, s17
	s_cbranch_vccz .LBB512_964
; %bb.929:
	v_cmp_lt_i16_e32 vcc_lo, 28, v6
	s_mov_b32 s0, s17
	s_cbranch_vccz .LBB512_948
; %bb.930:
	v_cmp_lt_i16_e32 vcc_lo, 43, v6
	;; [unrolled: 4-line block ×3, first 2 shown]
	s_mov_b32 s0, s17
	s_cbranch_vccz .LBB512_938
; %bb.932:
	v_cmp_eq_u16_e32 vcc_lo, 46, v6
	s_mov_b32 s0, -1
	s_cbranch_vccz .LBB512_937
; %bb.933:
	v_cvt_f32_f64_e32 v2, v[0:1]
	s_mov_b32 s0, 0
	s_mov_b32 s19, 0
	s_delay_alu instid0(VALU_DEP_1) | instskip(SKIP_1) | instid1(VALU_DEP_2)
	v_bfe_u32 v3, v2, 16, 1
	v_cmp_o_f32_e32 vcc_lo, v2, v2
	v_add3_u32 v3, v2, v3, 0x7fff
	s_delay_alu instid0(VALU_DEP_1) | instskip(NEXT) | instid1(VALU_DEP_1)
	v_lshrrev_b32_e32 v3, 16, v3
	v_cndmask_b32_e32 v2, 0x7fc0, v3, vcc_lo
	global_store_b32 v[4:5], v2, off
	s_branch .LBB512_938
.LBB512_934:
	s_mov_b32 s19, -1
	s_mov_b32 s0, s17
	s_branch .LBB512_1005
.LBB512_935:
	s_trap 2
	s_sendmsg_rtn_b32 s0, sendmsg(MSG_RTN_GET_DOORBELL)
	s_mov_b32 ttmp2, m0
	s_waitcnt lgkmcnt(0)
	s_and_b32 s0, s0, 0x3ff
	s_delay_alu instid0(SALU_CYCLE_1) | instskip(NEXT) | instid1(SALU_CYCLE_1)
	s_bitset1_b32 s0, 10
	s_mov_b32 m0, s0
	s_sendmsg sendmsg(MSG_INTERRUPT)
	s_mov_b32 m0, ttmp2
.LBB512_936:                            ; =>This Inner Loop Header: Depth=1
	s_sethalt 5
	s_branch .LBB512_936
.LBB512_937:
	s_mov_b32 s19, 0
.LBB512_938:
	s_delay_alu instid0(SALU_CYCLE_1)
	s_and_b32 vcc_lo, exec_lo, s19
	s_cbranch_vccz .LBB512_943
; %bb.939:
	v_cmp_eq_u16_e32 vcc_lo, 44, v6
	s_mov_b32 s0, -1
	s_cbranch_vccz .LBB512_943
; %bb.940:
	v_cvt_f32_f64_e32 v2, v[0:1]
	v_mov_b32_e32 v3, 0xff
	s_mov_b32 s19, exec_lo
	s_delay_alu instid0(VALU_DEP_2) | instskip(NEXT) | instid1(VALU_DEP_1)
	v_bfe_u32 v7, v2, 23, 8
	v_cmpx_ne_u32_e32 0xff, v7
; %bb.941:
	v_and_b32_e32 v3, 0x400000, v2
	v_and_or_b32 v7, 0x3fffff, v2, v7
	v_lshrrev_b32_e32 v2, 23, v2
	s_delay_alu instid0(VALU_DEP_3) | instskip(NEXT) | instid1(VALU_DEP_3)
	v_cmp_ne_u32_e32 vcc_lo, 0, v3
	v_cmp_ne_u32_e64 s0, 0, v7
	s_delay_alu instid0(VALU_DEP_1) | instskip(NEXT) | instid1(SALU_CYCLE_1)
	s_and_b32 s0, vcc_lo, s0
	v_cndmask_b32_e64 v3, 0, 1, s0
	s_delay_alu instid0(VALU_DEP_1)
	v_add_nc_u32_e32 v3, v2, v3
; %bb.942:
	s_or_b32 exec_lo, exec_lo, s19
	s_mov_b32 s0, 0
	global_store_b8 v[4:5], v3, off
.LBB512_943:
	s_mov_b32 s19, 0
.LBB512_944:
	s_delay_alu instid0(SALU_CYCLE_1)
	s_and_b32 vcc_lo, exec_lo, s19
	s_cbranch_vccz .LBB512_947
; %bb.945:
	v_cmp_eq_u16_e32 vcc_lo, 29, v6
	s_mov_b32 s0, -1
	s_cbranch_vccz .LBB512_947
; %bb.946:
	v_trunc_f64_e32 v[2:3], v[0:1]
	s_mov_b32 s0, 0
	s_mov_b32 s19, 0
	s_delay_alu instid0(VALU_DEP_1) | instskip(NEXT) | instid1(VALU_DEP_1)
	v_ldexp_f64 v[7:8], v[2:3], 0xffffffe0
	v_floor_f64_e32 v[7:8], v[7:8]
	s_delay_alu instid0(VALU_DEP_1) | instskip(SKIP_1) | instid1(VALU_DEP_2)
	v_fma_f64 v[2:3], 0xc1f00000, v[7:8], v[2:3]
	v_cvt_u32_f64_e32 v8, v[7:8]
	v_cvt_u32_f64_e32 v7, v[2:3]
	global_store_b64 v[4:5], v[7:8], off
	s_branch .LBB512_948
.LBB512_947:
	s_mov_b32 s19, 0
.LBB512_948:
	s_delay_alu instid0(SALU_CYCLE_1)
	s_and_b32 vcc_lo, exec_lo, s19
	s_cbranch_vccz .LBB512_963
; %bb.949:
	v_cmp_gt_i16_e32 vcc_lo, 27, v6
	s_mov_b32 s19, -1
	s_cbranch_vccnz .LBB512_955
; %bb.950:
	v_cvt_u32_f64_e32 v2, v[0:1]
	v_cmp_lt_i16_e32 vcc_lo, 27, v6
	s_cbranch_vccz .LBB512_952
; %bb.951:
	s_mov_b32 s19, 0
	global_store_b32 v[4:5], v2, off
.LBB512_952:
	s_and_not1_b32 vcc_lo, exec_lo, s19
	s_cbranch_vccnz .LBB512_954
; %bb.953:
	global_store_b16 v[4:5], v2, off
.LBB512_954:
	s_mov_b32 s19, 0
.LBB512_955:
	s_delay_alu instid0(SALU_CYCLE_1)
	s_and_not1_b32 vcc_lo, exec_lo, s19
	s_cbranch_vccnz .LBB512_963
; %bb.956:
	v_cvt_f32_f64_e32 v2, v[0:1]
	v_mov_b32_e32 v7, 0x80
	s_mov_b32 s19, exec_lo
	s_delay_alu instid0(VALU_DEP_2) | instskip(NEXT) | instid1(VALU_DEP_1)
	v_and_b32_e32 v3, 0x7fffffff, v2
	v_cmpx_gt_u32_e32 0x43800000, v3
	s_cbranch_execz .LBB512_962
; %bb.957:
	v_cmp_lt_u32_e32 vcc_lo, 0x3bffffff, v3
                                        ; implicit-def: $vgpr3
	s_and_saveexec_b32 s21, vcc_lo
	s_delay_alu instid0(SALU_CYCLE_1)
	s_xor_b32 s21, exec_lo, s21
	s_cbranch_execz .LBB512_1201
; %bb.958:
	v_bfe_u32 v3, v2, 20, 1
	s_mov_b32 s20, exec_lo
	s_delay_alu instid0(VALU_DEP_1) | instskip(NEXT) | instid1(VALU_DEP_1)
	v_add3_u32 v3, v2, v3, 0x487ffff
	v_lshrrev_b32_e32 v3, 20, v3
	s_or_saveexec_b32 s21, s21
                                        ; implicit-def: $sgpr22
	s_delay_alu instid0(SALU_CYCLE_1)
	s_xor_b32 exec_lo, exec_lo, s21
	s_cbranch_execnz .LBB512_1202
.LBB512_959:
	s_or_b32 exec_lo, exec_lo, s21
	v_mov_b32_e32 v7, s22
	s_and_saveexec_b32 s21, s20
.LBB512_960:
	v_lshrrev_b32_e32 v2, 24, v2
	s_delay_alu instid0(VALU_DEP_1)
	v_and_or_b32 v7, 0x80, v2, v3
.LBB512_961:
	s_or_b32 exec_lo, exec_lo, s21
.LBB512_962:
	s_delay_alu instid0(SALU_CYCLE_1)
	s_or_b32 exec_lo, exec_lo, s19
	global_store_b8 v[4:5], v7, off
.LBB512_963:
	s_mov_b32 s19, 0
.LBB512_964:
	s_delay_alu instid0(SALU_CYCLE_1)
	s_and_b32 vcc_lo, exec_lo, s19
	s_mov_b32 s19, 0
	s_cbranch_vccz .LBB512_1004
; %bb.965:
	v_cmp_lt_i16_e32 vcc_lo, 22, v6
	s_mov_b32 s20, -1
	s_cbranch_vccz .LBB512_997
; %bb.966:
	v_cmp_gt_i16_e32 vcc_lo, 24, v6
	s_cbranch_vccnz .LBB512_986
; %bb.967:
	v_cmp_lt_i16_e32 vcc_lo, 24, v6
	s_cbranch_vccz .LBB512_975
; %bb.968:
	v_cvt_f32_f64_e32 v2, v[0:1]
	v_mov_b32_e32 v7, 0x80
	s_mov_b32 s20, exec_lo
	s_delay_alu instid0(VALU_DEP_2) | instskip(NEXT) | instid1(VALU_DEP_1)
	v_and_b32_e32 v3, 0x7fffffff, v2
	v_cmpx_gt_u32_e32 0x47800000, v3
	s_cbranch_execz .LBB512_974
; %bb.969:
	v_cmp_lt_u32_e32 vcc_lo, 0x37ffffff, v3
	s_mov_b32 s21, 0
                                        ; implicit-def: $vgpr3
	s_and_saveexec_b32 s22, vcc_lo
	s_delay_alu instid0(SALU_CYCLE_1)
	s_xor_b32 s22, exec_lo, s22
	s_cbranch_execz .LBB512_1245
; %bb.970:
	v_bfe_u32 v3, v2, 21, 1
	s_mov_b32 s21, exec_lo
	s_delay_alu instid0(VALU_DEP_1) | instskip(NEXT) | instid1(VALU_DEP_1)
	v_add3_u32 v3, v2, v3, 0x88fffff
	v_lshrrev_b32_e32 v3, 21, v3
	s_or_saveexec_b32 s22, s22
                                        ; implicit-def: $sgpr23
	s_delay_alu instid0(SALU_CYCLE_1)
	s_xor_b32 exec_lo, exec_lo, s22
	s_cbranch_execnz .LBB512_1246
.LBB512_971:
	s_or_b32 exec_lo, exec_lo, s22
	v_mov_b32_e32 v7, s23
	s_and_saveexec_b32 s22, s21
.LBB512_972:
	v_lshrrev_b32_e32 v2, 24, v2
	s_delay_alu instid0(VALU_DEP_1)
	v_and_or_b32 v7, 0x80, v2, v3
.LBB512_973:
	s_or_b32 exec_lo, exec_lo, s22
.LBB512_974:
	s_delay_alu instid0(SALU_CYCLE_1)
	s_or_b32 exec_lo, exec_lo, s20
	s_mov_b32 s20, 0
	global_store_b8 v[4:5], v7, off
.LBB512_975:
	s_and_b32 vcc_lo, exec_lo, s20
	s_cbranch_vccz .LBB512_985
; %bb.976:
	v_cvt_f32_f64_e32 v2, v[0:1]
	s_mov_b32 s20, exec_lo
                                        ; implicit-def: $vgpr3
	s_delay_alu instid0(VALU_DEP_1) | instskip(NEXT) | instid1(VALU_DEP_1)
	v_and_b32_e32 v7, 0x7fffffff, v2
	v_cmpx_gt_u32_e32 0x43f00000, v7
	s_xor_b32 s20, exec_lo, s20
	s_cbranch_execz .LBB512_982
; %bb.977:
	s_mov_b32 s21, exec_lo
                                        ; implicit-def: $vgpr3
	v_cmpx_lt_u32_e32 0x3c7fffff, v7
	s_xor_b32 s21, exec_lo, s21
; %bb.978:
	v_bfe_u32 v3, v2, 20, 1
	s_delay_alu instid0(VALU_DEP_1) | instskip(NEXT) | instid1(VALU_DEP_1)
	v_add3_u32 v3, v2, v3, 0x407ffff
	v_and_b32_e32 v7, 0xff00000, v3
	v_lshrrev_b32_e32 v3, 20, v3
	s_delay_alu instid0(VALU_DEP_2) | instskip(NEXT) | instid1(VALU_DEP_2)
	v_cmp_ne_u32_e32 vcc_lo, 0x7f00000, v7
	v_cndmask_b32_e32 v3, 0x7e, v3, vcc_lo
; %bb.979:
	s_and_not1_saveexec_b32 s21, s21
; %bb.980:
	v_add_f32_e64 v3, 0x46800000, |v2|
; %bb.981:
	s_or_b32 exec_lo, exec_lo, s21
                                        ; implicit-def: $vgpr7
.LBB512_982:
	s_and_not1_saveexec_b32 s20, s20
; %bb.983:
	v_mov_b32_e32 v3, 0x7f
	v_cmp_lt_u32_e32 vcc_lo, 0x7f800000, v7
	s_delay_alu instid0(VALU_DEP_2)
	v_cndmask_b32_e32 v3, 0x7e, v3, vcc_lo
; %bb.984:
	s_or_b32 exec_lo, exec_lo, s20
	v_lshrrev_b32_e32 v2, 24, v2
	s_delay_alu instid0(VALU_DEP_1)
	v_and_or_b32 v2, 0x80, v2, v3
	global_store_b8 v[4:5], v2, off
.LBB512_985:
	s_mov_b32 s20, 0
.LBB512_986:
	s_delay_alu instid0(SALU_CYCLE_1)
	s_and_not1_b32 vcc_lo, exec_lo, s20
	s_cbranch_vccnz .LBB512_996
; %bb.987:
	v_cvt_f32_f64_e32 v2, v[0:1]
	s_mov_b32 s20, exec_lo
                                        ; implicit-def: $vgpr3
	s_delay_alu instid0(VALU_DEP_1) | instskip(NEXT) | instid1(VALU_DEP_1)
	v_and_b32_e32 v7, 0x7fffffff, v2
	v_cmpx_gt_u32_e32 0x47800000, v7
	s_xor_b32 s20, exec_lo, s20
	s_cbranch_execz .LBB512_993
; %bb.988:
	s_mov_b32 s21, exec_lo
                                        ; implicit-def: $vgpr3
	v_cmpx_lt_u32_e32 0x387fffff, v7
	s_xor_b32 s21, exec_lo, s21
; %bb.989:
	v_bfe_u32 v3, v2, 21, 1
	s_delay_alu instid0(VALU_DEP_1) | instskip(NEXT) | instid1(VALU_DEP_1)
	v_add3_u32 v3, v2, v3, 0x80fffff
	v_lshrrev_b32_e32 v3, 21, v3
; %bb.990:
	s_and_not1_saveexec_b32 s21, s21
; %bb.991:
	v_add_f32_e64 v3, 0x43000000, |v2|
; %bb.992:
	s_or_b32 exec_lo, exec_lo, s21
                                        ; implicit-def: $vgpr7
.LBB512_993:
	s_and_not1_saveexec_b32 s20, s20
; %bb.994:
	v_mov_b32_e32 v3, 0x7f
	v_cmp_lt_u32_e32 vcc_lo, 0x7f800000, v7
	s_delay_alu instid0(VALU_DEP_2)
	v_cndmask_b32_e32 v3, 0x7c, v3, vcc_lo
; %bb.995:
	s_or_b32 exec_lo, exec_lo, s20
	v_lshrrev_b32_e32 v2, 24, v2
	s_delay_alu instid0(VALU_DEP_1)
	v_and_or_b32 v2, 0x80, v2, v3
	global_store_b8 v[4:5], v2, off
.LBB512_996:
	s_mov_b32 s20, 0
.LBB512_997:
	s_delay_alu instid0(SALU_CYCLE_1)
	s_and_not1_b32 vcc_lo, exec_lo, s20
	s_mov_b32 s20, 0
	s_cbranch_vccnz .LBB512_1005
; %bb.998:
	v_cmp_lt_i16_e32 vcc_lo, 14, v6
	s_mov_b32 s20, -1
	s_cbranch_vccz .LBB512_1002
; %bb.999:
	v_cmp_eq_u16_e32 vcc_lo, 15, v6
	s_mov_b32 s0, -1
	s_cbranch_vccz .LBB512_1001
; %bb.1000:
	v_cvt_f32_f64_e32 v2, v[0:1]
	s_mov_b32 s0, 0
	s_delay_alu instid0(VALU_DEP_1) | instskip(SKIP_1) | instid1(VALU_DEP_2)
	v_bfe_u32 v3, v2, 16, 1
	v_cmp_o_f32_e32 vcc_lo, v2, v2
	v_add3_u32 v3, v2, v3, 0x7fff
	s_delay_alu instid0(VALU_DEP_1) | instskip(NEXT) | instid1(VALU_DEP_1)
	v_lshrrev_b32_e32 v3, 16, v3
	v_cndmask_b32_e32 v2, 0x7fc0, v3, vcc_lo
	global_store_b16 v[4:5], v2, off
.LBB512_1001:
	s_mov_b32 s20, 0
.LBB512_1002:
	s_delay_alu instid0(SALU_CYCLE_1)
	s_and_b32 vcc_lo, exec_lo, s20
	s_mov_b32 s20, 0
	s_cbranch_vccz .LBB512_1005
; %bb.1003:
	v_cmp_ne_u16_e32 vcc_lo, 11, v6
	s_and_not1_b32 s0, s0, exec_lo
	s_mov_b32 s20, -1
	s_and_b32 s21, vcc_lo, exec_lo
	s_delay_alu instid0(SALU_CYCLE_1)
	s_or_b32 s0, s0, s21
	s_branch .LBB512_1005
.LBB512_1004:
	s_mov_b32 s20, 0
.LBB512_1005:
	s_and_not1_b32 s17, s17, exec_lo
	s_and_b32 s0, s0, exec_lo
	s_and_b32 s19, s19, exec_lo
	;; [unrolled: 1-line block ×3, first 2 shown]
	s_or_b32 s17, s17, s0
.LBB512_1006:
	s_or_b32 exec_lo, exec_lo, s18
	s_and_saveexec_b32 s0, s17
	s_cbranch_execnz .LBB512_1068
; %bb.1007:
	s_or_b32 exec_lo, exec_lo, s0
	s_and_saveexec_b32 s0, s20
	s_delay_alu instid0(SALU_CYCLE_1)
	s_xor_b32 s0, exec_lo, s0
	s_cbranch_execz .LBB512_1009
.LBB512_1008:
	v_cmp_neq_f64_e32 vcc_lo, 0, v[0:1]
	s_waitcnt vmcnt(0)
	v_cndmask_b32_e64 v2, 0, 1, vcc_lo
	global_store_b8 v[4:5], v2, off
.LBB512_1009:
	s_or_b32 exec_lo, exec_lo, s0
	s_and_saveexec_b32 s0, s19
	s_delay_alu instid0(SALU_CYCLE_1)
	s_xor_b32 s0, exec_lo, s0
	s_cbranch_execz .LBB512_1047
; %bb.1010:
	v_cmp_gt_i16_e32 vcc_lo, 5, v6
	s_mov_b32 s17, -1
	s_cbranch_vccnz .LBB512_1031
; %bb.1011:
	v_cmp_gt_i16_e32 vcc_lo, 8, v6
	s_cbranch_vccnz .LBB512_1021
; %bb.1012:
	v_cmp_gt_i16_e32 vcc_lo, 9, v6
	s_cbranch_vccnz .LBB512_1018
; %bb.1013:
	v_cmp_lt_i16_e32 vcc_lo, 9, v6
	s_cbranch_vccz .LBB512_1015
; %bb.1014:
	s_waitcnt vmcnt(0)
	v_mov_b32_e32 v2, 0
	s_mov_b32 s17, 0
	s_delay_alu instid0(VALU_DEP_1)
	v_mov_b32_e32 v3, v2
	global_store_b128 v[4:5], v[0:3], off
.LBB512_1015:
	s_and_not1_b32 vcc_lo, exec_lo, s17
	s_cbranch_vccnz .LBB512_1017
; %bb.1016:
	s_waitcnt vmcnt(0)
	v_cvt_f32_f64_e32 v2, v[0:1]
	v_mov_b32_e32 v3, 0
	global_store_b64 v[4:5], v[2:3], off
.LBB512_1017:
	s_mov_b32 s17, 0
.LBB512_1018:
	s_delay_alu instid0(SALU_CYCLE_1)
	s_and_not1_b32 vcc_lo, exec_lo, s17
	s_cbranch_vccnz .LBB512_1020
; %bb.1019:
	s_waitcnt vmcnt(0)
	v_cvt_f32_f64_e32 v2, v[0:1]
	s_delay_alu instid0(VALU_DEP_1) | instskip(NEXT) | instid1(VALU_DEP_1)
	v_cvt_f16_f32_e32 v2, v2
	v_and_b32_e32 v2, 0xffff, v2
	global_store_b32 v[4:5], v2, off
.LBB512_1020:
	s_mov_b32 s17, 0
.LBB512_1021:
	s_delay_alu instid0(SALU_CYCLE_1)
	s_and_not1_b32 vcc_lo, exec_lo, s17
	s_cbranch_vccnz .LBB512_1030
; %bb.1022:
	v_cmp_gt_i16_e32 vcc_lo, 6, v6
	s_mov_b32 s17, -1
	s_cbranch_vccnz .LBB512_1028
; %bb.1023:
	v_cmp_lt_i16_e32 vcc_lo, 6, v6
	s_cbranch_vccz .LBB512_1025
; %bb.1024:
	s_mov_b32 s17, 0
	global_store_b64 v[4:5], v[0:1], off
.LBB512_1025:
	s_and_not1_b32 vcc_lo, exec_lo, s17
	s_cbranch_vccnz .LBB512_1027
; %bb.1026:
	s_waitcnt vmcnt(0)
	v_cvt_f32_f64_e32 v2, v[0:1]
	global_store_b32 v[4:5], v2, off
.LBB512_1027:
	s_mov_b32 s17, 0
.LBB512_1028:
	s_delay_alu instid0(SALU_CYCLE_1)
	s_and_not1_b32 vcc_lo, exec_lo, s17
	s_cbranch_vccnz .LBB512_1030
; %bb.1029:
	s_waitcnt vmcnt(0)
	v_cvt_f32_f64_e32 v2, v[0:1]
	s_delay_alu instid0(VALU_DEP_1)
	v_cvt_f16_f32_e32 v2, v2
	global_store_b16 v[4:5], v2, off
.LBB512_1030:
	s_mov_b32 s17, 0
.LBB512_1031:
	s_delay_alu instid0(SALU_CYCLE_1)
	s_and_not1_b32 vcc_lo, exec_lo, s17
	s_cbranch_vccnz .LBB512_1047
; %bb.1032:
	v_cmp_gt_i16_e32 vcc_lo, 2, v6
	s_mov_b32 s17, -1
	s_cbranch_vccnz .LBB512_1042
; %bb.1033:
	v_cmp_gt_i16_e32 vcc_lo, 3, v6
	s_cbranch_vccnz .LBB512_1039
; %bb.1034:
	v_cmp_lt_i16_e32 vcc_lo, 3, v6
	s_cbranch_vccz .LBB512_1036
; %bb.1035:
	s_waitcnt vmcnt(0)
	v_trunc_f64_e32 v[2:3], v[0:1]
	s_mov_b32 s17, 0
	s_delay_alu instid0(VALU_DEP_1) | instskip(NEXT) | instid1(VALU_DEP_1)
	v_ldexp_f64 v[7:8], v[2:3], 0xffffffe0
	v_floor_f64_e32 v[7:8], v[7:8]
	s_delay_alu instid0(VALU_DEP_1) | instskip(SKIP_1) | instid1(VALU_DEP_2)
	v_fma_f64 v[2:3], 0xc1f00000, v[7:8], v[2:3]
	v_cvt_i32_f64_e32 v8, v[7:8]
	v_cvt_u32_f64_e32 v7, v[2:3]
	global_store_b64 v[4:5], v[7:8], off
.LBB512_1036:
	s_and_not1_b32 vcc_lo, exec_lo, s17
	s_cbranch_vccnz .LBB512_1038
; %bb.1037:
	s_waitcnt vmcnt(0)
	v_cvt_i32_f64_e32 v2, v[0:1]
	global_store_b32 v[4:5], v2, off
.LBB512_1038:
	s_mov_b32 s17, 0
.LBB512_1039:
	s_delay_alu instid0(SALU_CYCLE_1)
	s_and_not1_b32 vcc_lo, exec_lo, s17
	s_cbranch_vccnz .LBB512_1041
; %bb.1040:
	s_waitcnt vmcnt(0)
	v_cvt_i32_f64_e32 v2, v[0:1]
	global_store_b16 v[4:5], v2, off
.LBB512_1041:
	s_mov_b32 s17, 0
.LBB512_1042:
	s_delay_alu instid0(SALU_CYCLE_1)
	s_and_not1_b32 vcc_lo, exec_lo, s17
	s_cbranch_vccnz .LBB512_1047
; %bb.1043:
	v_cmp_lt_i16_e32 vcc_lo, 0, v6
	s_mov_b32 s17, -1
	s_cbranch_vccz .LBB512_1045
; %bb.1044:
	s_waitcnt vmcnt(0)
	v_cvt_i32_f64_e32 v2, v[0:1]
	s_mov_b32 s17, 0
	global_store_b8 v[4:5], v2, off
.LBB512_1045:
	s_and_not1_b32 vcc_lo, exec_lo, s17
	s_cbranch_vccnz .LBB512_1047
; %bb.1046:
	v_trunc_f64_e32 v[0:1], v[0:1]
	s_waitcnt vmcnt(0)
	s_delay_alu instid0(VALU_DEP_1) | instskip(NEXT) | instid1(VALU_DEP_1)
	v_ldexp_f64 v[2:3], v[0:1], 0xffffffe0
	v_floor_f64_e32 v[2:3], v[2:3]
	s_delay_alu instid0(VALU_DEP_1) | instskip(NEXT) | instid1(VALU_DEP_1)
	v_fma_f64 v[0:1], 0xc1f00000, v[2:3], v[0:1]
	v_cvt_u32_f64_e32 v0, v[0:1]
	global_store_b8 v[4:5], v0, off
.LBB512_1047:
	s_or_b32 exec_lo, exec_lo, s0
	s_delay_alu instid0(SALU_CYCLE_1)
	s_and_b32 s17, s1, exec_lo
                                        ; implicit-def: $vgpr12
                                        ; implicit-def: $vgpr13
.LBB512_1048:
	s_or_saveexec_b32 s16, s16
	s_mov_b32 s0, 0
                                        ; implicit-def: $vgpr14
                                        ; implicit-def: $vgpr0_vgpr1
                                        ; implicit-def: $vgpr4_vgpr5
	s_xor_b32 exec_lo, exec_lo, s16
	s_cbranch_execz .LBB512_1674
; %bb.1049:
	v_mul_lo_u32 v4, s3, v12
	v_cmp_gt_i16_e32 vcc_lo, 11, v13
	s_delay_alu instid0(VALU_DEP_2) | instskip(SKIP_1) | instid1(VALU_DEP_1)
	v_ashrrev_i32_e32 v1, 31, v4
	v_add_co_u32 v0, s0, s6, v4
	v_add_co_ci_u32_e64 v1, s0, s7, v1, s0
	s_cbranch_vccnz .LBB512_1056
; %bb.1050:
	v_cmp_lt_i16_e32 vcc_lo, 25, v13
	s_mov_b32 s18, 0
	s_cbranch_vccz .LBB512_1062
; %bb.1051:
	v_cmp_lt_i16_e32 vcc_lo, 28, v13
	s_cbranch_vccz .LBB512_1064
; %bb.1052:
	v_cmp_lt_i16_e32 vcc_lo, 43, v13
	;; [unrolled: 3-line block ×3, first 2 shown]
	s_cbranch_vccz .LBB512_1070
; %bb.1054:
	v_cmp_eq_u16_e32 vcc_lo, 46, v13
	s_mov_b32 s1, 0
	s_cbranch_vccz .LBB512_1110
; %bb.1055:
	global_load_b32 v2, v[0:1], off
	s_mov_b32 s0, -1
	s_waitcnt vmcnt(0)
	v_lshlrev_b32_e32 v2, 16, v2
	s_delay_alu instid0(VALU_DEP_1)
	v_cvt_f64_f32_e32 v[2:3], v2
	s_branch .LBB512_1112
.LBB512_1056:
	s_mov_b32 s0, 0
	s_mov_b32 s15, s17
                                        ; implicit-def: $vgpr2_vgpr3
	s_cbranch_execz .LBB512_1175
; %bb.1057:
	v_cmp_gt_i16_e32 vcc_lo, 5, v13
	s_cbranch_vccnz .LBB512_1063
; %bb.1058:
	v_cmp_gt_i16_e32 vcc_lo, 8, v13
	s_cbranch_vccnz .LBB512_1065
	;; [unrolled: 3-line block ×3, first 2 shown]
; %bb.1060:
	v_cmp_lt_i16_e32 vcc_lo, 9, v13
	s_cbranch_vccz .LBB512_1071
; %bb.1061:
	global_load_b64 v[2:3], v[0:1], off
	s_mov_b32 s0, 0
	s_branch .LBB512_1072
.LBB512_1062:
	s_mov_b32 s0, 0
                                        ; implicit-def: $vgpr2_vgpr3
	s_cbranch_execnz .LBB512_1142
	s_branch .LBB512_1171
.LBB512_1063:
                                        ; implicit-def: $vgpr2_vgpr3
	s_branch .LBB512_1089
.LBB512_1064:
	s_mov_b32 s1, -1
	s_mov_b32 s0, 0
                                        ; implicit-def: $vgpr2_vgpr3
	s_branch .LBB512_1121
.LBB512_1065:
                                        ; implicit-def: $vgpr2_vgpr3
	s_branch .LBB512_1078
.LBB512_1066:
	s_mov_b32 s0, 0
                                        ; implicit-def: $vgpr2_vgpr3
	s_cbranch_execnz .LBB512_1117
	s_branch .LBB512_1120
.LBB512_1067:
	s_mov_b32 s0, -1
                                        ; implicit-def: $vgpr2_vgpr3
	s_branch .LBB512_1075
.LBB512_1068:
	s_cbranch_execnz .LBB512_1108
; %bb.1069:
	s_or_b32 s1, s1, exec_lo
	s_and_not1_b32 s20, s20, exec_lo
	s_or_b32 exec_lo, exec_lo, s0
	s_and_saveexec_b32 s0, s20
	s_delay_alu instid0(SALU_CYCLE_1)
	s_xor_b32 s0, exec_lo, s0
	s_cbranch_execnz .LBB512_1008
	s_branch .LBB512_1009
.LBB512_1070:
	s_mov_b32 s1, -1
	s_branch .LBB512_1111
.LBB512_1071:
	s_mov_b32 s0, -1
                                        ; implicit-def: $vgpr2_vgpr3
.LBB512_1072:
	s_delay_alu instid0(SALU_CYCLE_1)
	s_and_not1_b32 vcc_lo, exec_lo, s0
	s_cbranch_vccnz .LBB512_1074
; %bb.1073:
	global_load_b32 v2, v[0:1], off
	s_waitcnt vmcnt(0)
	v_cvt_f64_f32_e32 v[2:3], v2
.LBB512_1074:
	s_mov_b32 s0, 0
.LBB512_1075:
	s_delay_alu instid0(SALU_CYCLE_1)
	s_and_not1_b32 vcc_lo, exec_lo, s0
	s_cbranch_vccnz .LBB512_1077
; %bb.1076:
	global_load_b32 v2, v[0:1], off
	s_waitcnt vmcnt(0)
	v_cvt_f32_f16_e32 v2, v2
	s_delay_alu instid0(VALU_DEP_1)
	v_cvt_f64_f32_e32 v[2:3], v2
.LBB512_1077:
	s_cbranch_execnz .LBB512_1088
.LBB512_1078:
	v_cmp_gt_i16_e32 vcc_lo, 6, v13
	s_cbranch_vccnz .LBB512_1081
; %bb.1079:
	v_cmp_lt_i16_e32 vcc_lo, 6, v13
	s_cbranch_vccz .LBB512_1082
; %bb.1080:
	global_load_b64 v[2:3], v[0:1], off
	s_mov_b32 s0, 0
	s_branch .LBB512_1083
.LBB512_1081:
	s_mov_b32 s0, -1
                                        ; implicit-def: $vgpr2_vgpr3
	s_branch .LBB512_1086
.LBB512_1082:
	s_mov_b32 s0, -1
                                        ; implicit-def: $vgpr2_vgpr3
.LBB512_1083:
	s_delay_alu instid0(SALU_CYCLE_1)
	s_and_not1_b32 vcc_lo, exec_lo, s0
	s_cbranch_vccnz .LBB512_1085
; %bb.1084:
	global_load_b32 v2, v[0:1], off
	s_waitcnt vmcnt(0)
	v_cvt_f64_f32_e32 v[2:3], v2
.LBB512_1085:
	s_mov_b32 s0, 0
.LBB512_1086:
	s_delay_alu instid0(SALU_CYCLE_1)
	s_and_not1_b32 vcc_lo, exec_lo, s0
	s_cbranch_vccnz .LBB512_1088
; %bb.1087:
	global_load_u16 v2, v[0:1], off
	s_waitcnt vmcnt(0)
	v_cvt_f32_f16_e32 v2, v2
	s_delay_alu instid0(VALU_DEP_1)
	v_cvt_f64_f32_e32 v[2:3], v2
.LBB512_1088:
	s_cbranch_execnz .LBB512_1107
.LBB512_1089:
	v_cmp_gt_i16_e32 vcc_lo, 2, v13
	s_cbranch_vccnz .LBB512_1093
; %bb.1090:
	v_cmp_gt_i16_e32 vcc_lo, 3, v13
	s_cbranch_vccnz .LBB512_1094
; %bb.1091:
	v_cmp_lt_i16_e32 vcc_lo, 3, v13
	s_cbranch_vccz .LBB512_1095
; %bb.1092:
	global_load_b64 v[2:3], v[0:1], off
	s_mov_b32 s0, 0
	s_waitcnt vmcnt(0)
	v_cvt_f64_i32_e32 v[5:6], v3
	v_cvt_f64_u32_e32 v[2:3], v2
	s_delay_alu instid0(VALU_DEP_2) | instskip(NEXT) | instid1(VALU_DEP_1)
	v_ldexp_f64 v[5:6], v[5:6], 32
	v_add_f64 v[2:3], v[5:6], v[2:3]
	s_branch .LBB512_1096
.LBB512_1093:
                                        ; implicit-def: $vgpr2_vgpr3
	s_branch .LBB512_1102
.LBB512_1094:
	s_mov_b32 s0, -1
                                        ; implicit-def: $vgpr2_vgpr3
	s_branch .LBB512_1099
.LBB512_1095:
	s_mov_b32 s0, -1
                                        ; implicit-def: $vgpr2_vgpr3
.LBB512_1096:
	s_delay_alu instid0(SALU_CYCLE_1)
	s_and_not1_b32 vcc_lo, exec_lo, s0
	s_cbranch_vccnz .LBB512_1098
; %bb.1097:
	global_load_b32 v2, v[0:1], off
	s_waitcnt vmcnt(0)
	v_cvt_f64_i32_e32 v[2:3], v2
.LBB512_1098:
	s_mov_b32 s0, 0
.LBB512_1099:
	s_delay_alu instid0(SALU_CYCLE_1)
	s_and_not1_b32 vcc_lo, exec_lo, s0
	s_cbranch_vccnz .LBB512_1101
; %bb.1100:
	global_load_i16 v2, v[0:1], off
	s_waitcnt vmcnt(0)
	v_cvt_f64_i32_e32 v[2:3], v2
.LBB512_1101:
	s_cbranch_execnz .LBB512_1107
.LBB512_1102:
	v_cmp_lt_i16_e32 vcc_lo, 0, v13
	s_mov_b32 s0, 0
	s_cbranch_vccz .LBB512_1104
; %bb.1103:
	global_load_i8 v2, v[0:1], off
	s_waitcnt vmcnt(0)
	v_cvt_f64_i32_e32 v[2:3], v2
	s_branch .LBB512_1105
.LBB512_1104:
	s_mov_b32 s0, -1
                                        ; implicit-def: $vgpr2_vgpr3
.LBB512_1105:
	s_delay_alu instid0(SALU_CYCLE_1)
	s_and_not1_b32 vcc_lo, exec_lo, s0
	s_cbranch_vccnz .LBB512_1107
; %bb.1106:
	global_load_u8 v0, v[0:1], off
	s_waitcnt vmcnt(0)
	v_cvt_f64_u32_e32 v[2:3], v0
.LBB512_1107:
                                        ; implicit-def: $vgpr6_vgpr7
	s_branch .LBB512_1176
.LBB512_1108:
	s_trap 2
	s_sendmsg_rtn_b32 s0, sendmsg(MSG_RTN_GET_DOORBELL)
	s_mov_b32 ttmp2, m0
	s_waitcnt lgkmcnt(0)
	s_and_b32 s0, s0, 0x3ff
	s_delay_alu instid0(SALU_CYCLE_1) | instskip(NEXT) | instid1(SALU_CYCLE_1)
	s_bitset1_b32 s0, 10
	s_mov_b32 m0, s0
	s_sendmsg sendmsg(MSG_INTERRUPT)
	s_mov_b32 m0, ttmp2
.LBB512_1109:                           ; =>This Inner Loop Header: Depth=1
	s_sethalt 5
	s_branch .LBB512_1109
.LBB512_1110:
	s_mov_b32 s15, -1
.LBB512_1111:
	s_mov_b32 s0, 0
                                        ; implicit-def: $vgpr2_vgpr3
.LBB512_1112:
	s_and_b32 vcc_lo, exec_lo, s1
	s_cbranch_vccz .LBB512_1115
; %bb.1113:
	v_cmp_eq_u16_e32 vcc_lo, 44, v13
	s_cbranch_vccz .LBB512_1116
; %bb.1114:
	global_load_u8 v5, v[0:1], off
	s_mov_b32 s15, 0
	s_mov_b32 s0, -1
	s_waitcnt vmcnt(0)
	v_cmp_ne_u32_e32 vcc_lo, 0xff, v5
	v_lshlrev_b32_e32 v2, 23, v5
	s_delay_alu instid0(VALU_DEP_1) | instskip(NEXT) | instid1(VALU_DEP_1)
	v_cvt_f64_f32_e32 v[2:3], v2
	v_cndmask_b32_e32 v3, 0x7ff80000, v3, vcc_lo
	s_delay_alu instid0(VALU_DEP_2) | instskip(SKIP_1) | instid1(VALU_DEP_3)
	v_cndmask_b32_e32 v2, 0x20000000, v2, vcc_lo
	v_cmp_ne_u32_e32 vcc_lo, 0, v5
	v_cndmask_b32_e32 v3, 0x38000000, v3, vcc_lo
	s_delay_alu instid0(VALU_DEP_3)
	v_cndmask_b32_e32 v2, 0, v2, vcc_lo
.LBB512_1115:
	s_branch .LBB512_1120
.LBB512_1116:
	s_mov_b32 s15, -1
                                        ; implicit-def: $vgpr2_vgpr3
	s_branch .LBB512_1120
.LBB512_1117:
	v_cmp_eq_u16_e32 vcc_lo, 29, v13
	s_cbranch_vccz .LBB512_1119
; %bb.1118:
	global_load_b64 v[2:3], v[0:1], off
	s_mov_b32 s15, 0
	s_mov_b32 s0, -1
	s_mov_b32 s1, 0
	s_waitcnt vmcnt(0)
	v_cvt_f64_u32_e32 v[5:6], v3
	v_cvt_f64_u32_e32 v[2:3], v2
	s_delay_alu instid0(VALU_DEP_2) | instskip(NEXT) | instid1(VALU_DEP_1)
	v_ldexp_f64 v[5:6], v[5:6], 32
	v_add_f64 v[2:3], v[5:6], v[2:3]
	s_branch .LBB512_1121
.LBB512_1119:
	s_mov_b32 s15, -1
                                        ; implicit-def: $vgpr2_vgpr3
.LBB512_1120:
	s_mov_b32 s1, 0
.LBB512_1121:
	s_delay_alu instid0(SALU_CYCLE_1)
	s_and_b32 vcc_lo, exec_lo, s1
	s_cbranch_vccz .LBB512_1141
; %bb.1122:
	v_cmp_gt_i16_e32 vcc_lo, 27, v13
	s_cbranch_vccnz .LBB512_1125
; %bb.1123:
	v_cmp_lt_i16_e32 vcc_lo, 27, v13
	s_cbranch_vccz .LBB512_1126
; %bb.1124:
	global_load_b32 v2, v[0:1], off
	s_mov_b32 s0, 0
	s_waitcnt vmcnt(0)
	v_cvt_f64_u32_e32 v[2:3], v2
	s_branch .LBB512_1127
.LBB512_1125:
	s_mov_b32 s0, -1
                                        ; implicit-def: $vgpr2_vgpr3
	s_branch .LBB512_1130
.LBB512_1126:
	s_mov_b32 s0, -1
                                        ; implicit-def: $vgpr2_vgpr3
.LBB512_1127:
	s_delay_alu instid0(SALU_CYCLE_1)
	s_and_not1_b32 vcc_lo, exec_lo, s0
	s_cbranch_vccnz .LBB512_1129
; %bb.1128:
	global_load_u16 v2, v[0:1], off
	s_waitcnt vmcnt(0)
	v_cvt_f64_u32_e32 v[2:3], v2
.LBB512_1129:
	s_mov_b32 s0, 0
.LBB512_1130:
	s_delay_alu instid0(SALU_CYCLE_1)
	s_and_not1_b32 vcc_lo, exec_lo, s0
	s_cbranch_vccnz .LBB512_1140
; %bb.1131:
	global_load_u8 v5, v[0:1], off
	s_mov_b32 s19, 0
	s_mov_b32 s20, exec_lo
                                        ; implicit-def: $sgpr0_sgpr1
	s_waitcnt vmcnt(0)
	v_cmpx_lt_i16_e32 0x7f, v5
	s_xor_b32 s20, exec_lo, s20
	s_cbranch_execz .LBB512_1135
; %bb.1132:
	s_mov_b32 s21, -1
	s_mov_b32 s19, exec_lo
                                        ; implicit-def: $sgpr0_sgpr1
	v_cmpx_eq_u16_e32 0x80, v5
; %bb.1133:
	s_mov_b32 s1, 0x7ff80000
	s_brev_b32 s0, 4
	s_xor_b32 s21, exec_lo, -1
; %bb.1134:
	s_or_b32 exec_lo, exec_lo, s19
	s_delay_alu instid0(SALU_CYCLE_1)
	s_and_b32 s19, s21, exec_lo
.LBB512_1135:
	s_or_saveexec_b32 s20, s20
	v_dual_mov_b32 v3, s1 :: v_dual_mov_b32 v2, s0
	s_xor_b32 exec_lo, exec_lo, s20
; %bb.1136:
	v_cmp_ne_u16_e32 vcc_lo, 0, v5
	v_mov_b32_e32 v2, 0
	v_mov_b32_e32 v3, 0
	s_and_not1_b32 s0, s19, exec_lo
	s_and_b32 s1, vcc_lo, exec_lo
	s_delay_alu instid0(SALU_CYCLE_1)
	s_or_b32 s19, s0, s1
; %bb.1137:
	s_or_b32 exec_lo, exec_lo, s20
	s_and_saveexec_b32 s0, s19
	s_cbranch_execz .LBB512_1139
; %bb.1138:
	v_and_b32_e32 v2, 0xffff, v5
	v_lshlrev_b32_e32 v5, 24, v5
	s_delay_alu instid0(VALU_DEP_2) | instskip(NEXT) | instid1(VALU_DEP_2)
	v_and_b32_e32 v3, 7, v2
	v_and_b32_e32 v5, 0x80000000, v5
	s_delay_alu instid0(VALU_DEP_2) | instskip(NEXT) | instid1(VALU_DEP_1)
	v_clz_i32_u32_e32 v6, v3
	v_min_u32_e32 v6, 32, v6
	s_delay_alu instid0(VALU_DEP_1) | instskip(SKIP_1) | instid1(VALU_DEP_2)
	v_subrev_nc_u32_e32 v7, 28, v6
	v_sub_nc_u32_e32 v6, 29, v6
	v_lshlrev_b32_e32 v7, v7, v2
	v_bfe_u32 v2, v2, 3, 4
	s_delay_alu instid0(VALU_DEP_1) | instskip(NEXT) | instid1(VALU_DEP_3)
	v_cmp_eq_u32_e32 vcc_lo, 0, v2
	v_dual_cndmask_b32 v2, v2, v6 :: v_dual_and_b32 v7, 7, v7
	s_delay_alu instid0(VALU_DEP_1) | instskip(NEXT) | instid1(VALU_DEP_2)
	v_cndmask_b32_e32 v3, v3, v7, vcc_lo
	v_lshl_add_u32 v2, v2, 23, 0x3b800000
	s_delay_alu instid0(VALU_DEP_2) | instskip(NEXT) | instid1(VALU_DEP_1)
	v_lshlrev_b32_e32 v3, 20, v3
	v_or3_b32 v2, v5, v2, v3
	s_delay_alu instid0(VALU_DEP_1)
	v_cvt_f64_f32_e32 v[2:3], v2
.LBB512_1139:
	s_or_b32 exec_lo, exec_lo, s0
.LBB512_1140:
	s_mov_b32 s0, -1
.LBB512_1141:
	s_branch .LBB512_1171
.LBB512_1142:
	v_cmp_lt_i16_e32 vcc_lo, 22, v13
	s_cbranch_vccz .LBB512_1154
; %bb.1143:
	v_cmp_gt_i16_e32 vcc_lo, 24, v13
	s_cbranch_vccnz .LBB512_1155
; %bb.1144:
	v_cmp_lt_i16_e32 vcc_lo, 24, v13
	s_cbranch_vccz .LBB512_1156
; %bb.1145:
	global_load_u8 v5, v[0:1], off
	s_mov_b32 s19, exec_lo
                                        ; implicit-def: $sgpr0_sgpr1
	s_waitcnt vmcnt(0)
	v_cmpx_lt_i16_e32 0x7f, v5
	s_xor_b32 s19, exec_lo, s19
	s_cbranch_execz .LBB512_1149
; %bb.1146:
	s_mov_b32 s20, -1
	s_mov_b32 s18, exec_lo
                                        ; implicit-def: $sgpr0_sgpr1
	v_cmpx_eq_u16_e32 0x80, v5
; %bb.1147:
	s_mov_b32 s1, 0x7ff80000
	s_brev_b32 s0, 4
	s_xor_b32 s20, exec_lo, -1
; %bb.1148:
	s_or_b32 exec_lo, exec_lo, s18
	s_delay_alu instid0(SALU_CYCLE_1)
	s_and_b32 s18, s20, exec_lo
.LBB512_1149:
	s_or_saveexec_b32 s19, s19
	v_dual_mov_b32 v3, s1 :: v_dual_mov_b32 v2, s0
	s_xor_b32 exec_lo, exec_lo, s19
; %bb.1150:
	v_cmp_ne_u16_e32 vcc_lo, 0, v5
	v_mov_b32_e32 v2, 0
	v_mov_b32_e32 v3, 0
	s_and_not1_b32 s0, s18, exec_lo
	s_and_b32 s1, vcc_lo, exec_lo
	s_delay_alu instid0(SALU_CYCLE_1)
	s_or_b32 s18, s0, s1
; %bb.1151:
	s_or_b32 exec_lo, exec_lo, s19
	s_and_saveexec_b32 s0, s18
	s_cbranch_execz .LBB512_1153
; %bb.1152:
	v_and_b32_e32 v2, 0xffff, v5
	v_lshlrev_b32_e32 v5, 24, v5
	s_delay_alu instid0(VALU_DEP_2) | instskip(NEXT) | instid1(VALU_DEP_2)
	v_and_b32_e32 v3, 3, v2
	v_and_b32_e32 v5, 0x80000000, v5
	s_delay_alu instid0(VALU_DEP_2) | instskip(NEXT) | instid1(VALU_DEP_1)
	v_clz_i32_u32_e32 v6, v3
	v_min_u32_e32 v6, 32, v6
	s_delay_alu instid0(VALU_DEP_1) | instskip(SKIP_1) | instid1(VALU_DEP_2)
	v_subrev_nc_u32_e32 v7, 29, v6
	v_sub_nc_u32_e32 v6, 30, v6
	v_lshlrev_b32_e32 v7, v7, v2
	v_bfe_u32 v2, v2, 2, 5
	s_delay_alu instid0(VALU_DEP_1) | instskip(NEXT) | instid1(VALU_DEP_3)
	v_cmp_eq_u32_e32 vcc_lo, 0, v2
	v_dual_cndmask_b32 v2, v2, v6 :: v_dual_and_b32 v7, 3, v7
	s_delay_alu instid0(VALU_DEP_1) | instskip(NEXT) | instid1(VALU_DEP_2)
	v_cndmask_b32_e32 v3, v3, v7, vcc_lo
	v_lshl_add_u32 v2, v2, 23, 0x37800000
	s_delay_alu instid0(VALU_DEP_2) | instskip(NEXT) | instid1(VALU_DEP_1)
	v_lshlrev_b32_e32 v3, 21, v3
	v_or3_b32 v2, v5, v2, v3
	s_delay_alu instid0(VALU_DEP_1)
	v_cvt_f64_f32_e32 v[2:3], v2
.LBB512_1153:
	s_or_b32 exec_lo, exec_lo, s0
	s_mov_b32 s0, 0
	s_branch .LBB512_1157
.LBB512_1154:
                                        ; implicit-def: $vgpr2_vgpr3
	s_mov_b32 s18, 0
	s_branch .LBB512_1163
.LBB512_1155:
	s_mov_b32 s0, -1
                                        ; implicit-def: $vgpr2_vgpr3
	s_branch .LBB512_1160
.LBB512_1156:
	s_mov_b32 s0, -1
                                        ; implicit-def: $vgpr2_vgpr3
.LBB512_1157:
	s_delay_alu instid0(SALU_CYCLE_1)
	s_and_b32 vcc_lo, exec_lo, s0
	s_cbranch_vccz .LBB512_1159
; %bb.1158:
	global_load_u8 v2, v[0:1], off
	s_waitcnt vmcnt(0)
	v_lshlrev_b32_e32 v2, 24, v2
	s_delay_alu instid0(VALU_DEP_1) | instskip(NEXT) | instid1(VALU_DEP_1)
	v_and_b32_e32 v3, 0x7f000000, v2
	v_clz_i32_u32_e32 v5, v3
	v_add_nc_u32_e32 v7, 0x1000000, v3
	v_cmp_ne_u32_e32 vcc_lo, 0, v3
	s_delay_alu instid0(VALU_DEP_3) | instskip(NEXT) | instid1(VALU_DEP_1)
	v_min_u32_e32 v5, 32, v5
	v_sub_nc_u32_e64 v5, v5, 4 clamp
	s_delay_alu instid0(VALU_DEP_1) | instskip(SKIP_1) | instid1(VALU_DEP_2)
	v_lshlrev_b32_e32 v6, v5, v3
	v_lshlrev_b32_e32 v5, 23, v5
	v_lshrrev_b32_e32 v6, 4, v6
	s_delay_alu instid0(VALU_DEP_1) | instskip(SKIP_1) | instid1(VALU_DEP_2)
	v_sub_nc_u32_e32 v5, v6, v5
	v_ashrrev_i32_e32 v6, 8, v7
	v_add_nc_u32_e32 v5, 0x3c000000, v5
	s_delay_alu instid0(VALU_DEP_1) | instskip(NEXT) | instid1(VALU_DEP_1)
	v_and_or_b32 v5, 0x7f800000, v6, v5
	v_cndmask_b32_e32 v3, 0, v5, vcc_lo
	s_delay_alu instid0(VALU_DEP_1) | instskip(NEXT) | instid1(VALU_DEP_1)
	v_and_or_b32 v2, 0x80000000, v2, v3
	v_cvt_f64_f32_e32 v[2:3], v2
.LBB512_1159:
	s_mov_b32 s0, 0
.LBB512_1160:
	s_delay_alu instid0(SALU_CYCLE_1)
	s_and_not1_b32 vcc_lo, exec_lo, s0
	s_cbranch_vccnz .LBB512_1162
; %bb.1161:
	global_load_u8 v2, v[0:1], off
	s_waitcnt vmcnt(0)
	v_lshlrev_b32_e32 v3, 25, v2
	v_lshlrev_b16 v2, 8, v2
	s_delay_alu instid0(VALU_DEP_2) | instskip(NEXT) | instid1(VALU_DEP_2)
	v_lshrrev_b32_e32 v5, 4, v3
	v_and_or_b32 v6, 0x7f00, v2, 0.5
	v_cmp_gt_u32_e32 vcc_lo, 0x8000000, v3
	v_bfe_i32 v2, v2, 0, 16
	s_delay_alu instid0(VALU_DEP_4) | instskip(NEXT) | instid1(VALU_DEP_1)
	v_or_b32_e32 v5, 0x70000000, v5
	v_dual_add_f32 v6, -0.5, v6 :: v_dual_mul_f32 v5, 0x7800000, v5
	s_delay_alu instid0(VALU_DEP_1) | instskip(NEXT) | instid1(VALU_DEP_1)
	v_cndmask_b32_e32 v3, v5, v6, vcc_lo
	v_and_or_b32 v2, 0x80000000, v2, v3
	s_delay_alu instid0(VALU_DEP_1)
	v_cvt_f64_f32_e32 v[2:3], v2
.LBB512_1162:
	s_mov_b32 s0, -1
	s_mov_b32 s18, 0
	s_cbranch_execnz .LBB512_1171
.LBB512_1163:
	v_cmp_lt_i16_e32 vcc_lo, 14, v13
	s_cbranch_vccz .LBB512_1166
; %bb.1164:
	v_cmp_eq_u16_e32 vcc_lo, 15, v13
	s_cbranch_vccz .LBB512_1167
; %bb.1165:
	global_load_u16 v2, v[0:1], off
	s_mov_b32 s15, 0
	s_mov_b32 s0, -1
	s_waitcnt vmcnt(0)
	v_lshlrev_b32_e32 v2, 16, v2
	s_delay_alu instid0(VALU_DEP_1)
	v_cvt_f64_f32_e32 v[2:3], v2
	s_branch .LBB512_1168
.LBB512_1166:
	s_mov_b32 s1, -1
                                        ; implicit-def: $vgpr2_vgpr3
	s_branch .LBB512_1169
.LBB512_1167:
	s_mov_b32 s15, -1
                                        ; implicit-def: $vgpr2_vgpr3
.LBB512_1168:
	s_mov_b32 s1, 0
.LBB512_1169:
	s_delay_alu instid0(SALU_CYCLE_1)
	s_and_b32 vcc_lo, exec_lo, s1
	s_cbranch_vccz .LBB512_1171
; %bb.1170:
	v_cmp_ne_u16_e64 s15, 11, v13
	s_mov_b32 s18, -1
                                        ; implicit-def: $vgpr2_vgpr3
.LBB512_1171:
	s_delay_alu instid0(VALU_DEP_1)
	s_and_b32 vcc_lo, exec_lo, s15
	s_mov_b32 s15, s17
	s_cbranch_vccnz .LBB512_1199
; %bb.1172:
	s_and_not1_b32 vcc_lo, exec_lo, s18
	s_cbranch_vccnz .LBB512_1174
.LBB512_1173:
	global_load_u8 v2, v[0:1], off
	s_mov_b32 s0, -1
	s_waitcnt vmcnt(0)
	v_cmp_ne_u16_e32 vcc_lo, 0, v2
	v_mov_b32_e32 v2, 0
	v_cndmask_b32_e64 v3, 0, 0x3ff00000, vcc_lo
.LBB512_1174:
.LBB512_1175:
	s_and_not1_b32 vcc_lo, exec_lo, s0
                                        ; implicit-def: $vgpr6_vgpr7
	s_cbranch_vccnz .LBB512_1672
.LBB512_1176:
	v_dual_mov_b32 v0, s8 :: v_dual_mov_b32 v1, s9
	s_mov_b32 s0, exec_lo
	s_waitcnt vmcnt(0)
	s_delay_alu instid0(VALU_DEP_2)
	v_cmpx_o_f64_e32 v[2:3], v[2:3]
	s_cbranch_execz .LBB512_1180
; %bb.1177:
	v_dual_mov_b32 v0, s10 :: v_dual_mov_b32 v1, s11
	s_mov_b32 s1, exec_lo
	v_cmpx_neq_f64_e32 0x7ff00000, v[2:3]
; %bb.1178:
	v_cmp_eq_f64_e32 vcc_lo, 0xfff00000, v[2:3]
	v_cndmask_b32_e64 v1, v3, s13, vcc_lo
	v_cndmask_b32_e64 v0, v2, s12, vcc_lo
; %bb.1179:
	s_or_b32 exec_lo, exec_lo, s1
.LBB512_1180:
	s_delay_alu instid0(SALU_CYCLE_1) | instskip(SKIP_3) | instid1(VALU_DEP_1)
	s_or_b32 exec_lo, exec_lo, s0
	s_lshl_b32 s3, s3, 7
	v_cmp_gt_i16_e32 vcc_lo, 11, v13
	v_add_nc_u32_e32 v8, s3, v4
	v_ashrrev_i32_e32 v3, 31, v8
	v_add_co_u32 v2, s0, s6, v8
	s_delay_alu instid0(VALU_DEP_1)
	v_add_co_ci_u32_e64 v3, s0, s7, v3, s0
	s_cbranch_vccnz .LBB512_1187
; %bb.1181:
	v_cmp_lt_i16_e32 vcc_lo, 25, v13
	s_mov_b32 s19, 0
	s_cbranch_vccz .LBB512_1193
; %bb.1182:
	v_cmp_lt_i16_e32 vcc_lo, 28, v13
	s_cbranch_vccz .LBB512_1195
; %bb.1183:
	v_cmp_lt_i16_e32 vcc_lo, 43, v13
	;; [unrolled: 3-line block ×3, first 2 shown]
	s_cbranch_vccz .LBB512_1203
; %bb.1185:
	v_cmp_eq_u16_e32 vcc_lo, 46, v13
	s_mov_b32 s1, 0
	s_cbranch_vccz .LBB512_1247
; %bb.1186:
	global_load_b32 v4, v[2:3], off
	s_mov_b32 s18, 0
	s_mov_b32 s0, -1
	s_waitcnt vmcnt(0)
	v_lshlrev_b32_e32 v4, 16, v4
	s_delay_alu instid0(VALU_DEP_1)
	v_cvt_f64_f32_e32 v[4:5], v4
	s_branch .LBB512_1249
.LBB512_1187:
	s_mov_b32 s0, 0
                                        ; implicit-def: $vgpr4_vgpr5
	s_cbranch_execz .LBB512_1314
; %bb.1188:
	v_cmp_gt_i16_e32 vcc_lo, 5, v13
	s_cbranch_vccnz .LBB512_1194
; %bb.1189:
	v_cmp_gt_i16_e32 vcc_lo, 8, v13
	s_cbranch_vccnz .LBB512_1196
	;; [unrolled: 3-line block ×3, first 2 shown]
; %bb.1191:
	v_cmp_lt_i16_e32 vcc_lo, 9, v13
	s_cbranch_vccz .LBB512_1204
; %bb.1192:
	global_load_b64 v[4:5], v[2:3], off
	s_mov_b32 s0, 0
	s_branch .LBB512_1205
.LBB512_1193:
	s_mov_b32 s0, 0
	s_mov_b32 s18, 0
                                        ; implicit-def: $vgpr4_vgpr5
	s_cbranch_execnz .LBB512_1280
	s_branch .LBB512_1310
.LBB512_1194:
                                        ; implicit-def: $vgpr4_vgpr5
	s_branch .LBB512_1223
.LBB512_1195:
	s_mov_b32 s1, -1
	s_mov_b32 s0, 0
	s_mov_b32 s18, 0
                                        ; implicit-def: $vgpr4_vgpr5
	s_branch .LBB512_1259
.LBB512_1196:
	s_mov_b32 s0, -1
                                        ; implicit-def: $vgpr4_vgpr5
	s_branch .LBB512_1211
.LBB512_1197:
	s_mov_b32 s1, -1
	s_mov_b32 s0, 0
	s_mov_b32 s18, 0
                                        ; implicit-def: $vgpr4_vgpr5
	s_branch .LBB512_1254
.LBB512_1198:
	s_mov_b32 s0, -1
                                        ; implicit-def: $vgpr4_vgpr5
	s_branch .LBB512_1208
.LBB512_1199:
	s_cbranch_execnz .LBB512_1243
; %bb.1200:
	s_or_b32 s15, s17, exec_lo
                                        ; implicit-def: $vgpr2_vgpr3
	s_cbranch_execz .LBB512_1173
	s_branch .LBB512_1174
.LBB512_1201:
	s_or_saveexec_b32 s21, s21
                                        ; implicit-def: $sgpr22
	s_delay_alu instid0(SALU_CYCLE_1)
	s_xor_b32 exec_lo, exec_lo, s21
	s_cbranch_execz .LBB512_959
.LBB512_1202:
	v_add_f32_e64 v3, 0x46000000, |v2|
	s_and_not1_b32 s20, s20, exec_lo
	s_mov_b32 s22, 0
	s_delay_alu instid0(VALU_DEP_1) | instskip(NEXT) | instid1(VALU_DEP_1)
	v_and_b32_e32 v3, 0xff, v3
	v_cmp_ne_u32_e32 vcc_lo, 0, v3
	s_and_b32 s23, vcc_lo, exec_lo
	s_delay_alu instid0(SALU_CYCLE_1)
	s_or_b32 s20, s20, s23
	s_or_b32 exec_lo, exec_lo, s21
	v_mov_b32_e32 v7, s22
	s_and_saveexec_b32 s21, s20
	s_cbranch_execnz .LBB512_960
	s_branch .LBB512_961
.LBB512_1203:
	s_mov_b32 s1, -1
	s_mov_b32 s0, 0
	s_mov_b32 s18, 0
	s_branch .LBB512_1248
.LBB512_1204:
	s_mov_b32 s0, -1
                                        ; implicit-def: $vgpr4_vgpr5
.LBB512_1205:
	s_delay_alu instid0(SALU_CYCLE_1)
	s_and_not1_b32 vcc_lo, exec_lo, s0
	s_cbranch_vccnz .LBB512_1207
; %bb.1206:
	global_load_b32 v4, v[2:3], off
	s_waitcnt vmcnt(0)
	v_cvt_f64_f32_e32 v[4:5], v4
.LBB512_1207:
	s_mov_b32 s0, 0
.LBB512_1208:
	s_delay_alu instid0(SALU_CYCLE_1)
	s_and_not1_b32 vcc_lo, exec_lo, s0
	s_cbranch_vccnz .LBB512_1210
; %bb.1209:
	global_load_b32 v4, v[2:3], off
	s_waitcnt vmcnt(0)
	v_cvt_f32_f16_e32 v4, v4
	s_delay_alu instid0(VALU_DEP_1)
	v_cvt_f64_f32_e32 v[4:5], v4
.LBB512_1210:
	s_mov_b32 s0, 0
.LBB512_1211:
	s_delay_alu instid0(SALU_CYCLE_1)
	s_and_not1_b32 vcc_lo, exec_lo, s0
	s_cbranch_vccnz .LBB512_1222
; %bb.1212:
	v_cmp_gt_i16_e32 vcc_lo, 6, v13
	s_cbranch_vccnz .LBB512_1215
; %bb.1213:
	v_cmp_lt_i16_e32 vcc_lo, 6, v13
	s_cbranch_vccz .LBB512_1216
; %bb.1214:
	global_load_b64 v[4:5], v[2:3], off
	s_mov_b32 s0, 0
	s_branch .LBB512_1217
.LBB512_1215:
	s_mov_b32 s0, -1
                                        ; implicit-def: $vgpr4_vgpr5
	s_branch .LBB512_1220
.LBB512_1216:
	s_mov_b32 s0, -1
                                        ; implicit-def: $vgpr4_vgpr5
.LBB512_1217:
	s_delay_alu instid0(SALU_CYCLE_1)
	s_and_not1_b32 vcc_lo, exec_lo, s0
	s_cbranch_vccnz .LBB512_1219
; %bb.1218:
	global_load_b32 v4, v[2:3], off
	s_waitcnt vmcnt(0)
	v_cvt_f64_f32_e32 v[4:5], v4
.LBB512_1219:
	s_mov_b32 s0, 0
.LBB512_1220:
	s_delay_alu instid0(SALU_CYCLE_1)
	s_and_not1_b32 vcc_lo, exec_lo, s0
	s_cbranch_vccnz .LBB512_1222
; %bb.1221:
	global_load_u16 v4, v[2:3], off
	s_waitcnt vmcnt(0)
	v_cvt_f32_f16_e32 v4, v4
	s_delay_alu instid0(VALU_DEP_1)
	v_cvt_f64_f32_e32 v[4:5], v4
.LBB512_1222:
	s_cbranch_execnz .LBB512_1242
.LBB512_1223:
	v_cmp_gt_i16_e32 vcc_lo, 2, v13
	s_cbranch_vccnz .LBB512_1227
; %bb.1224:
	v_cmp_gt_i16_e32 vcc_lo, 3, v13
	s_cbranch_vccnz .LBB512_1228
; %bb.1225:
	v_cmp_lt_i16_e32 vcc_lo, 3, v13
	s_cbranch_vccz .LBB512_1229
; %bb.1226:
	global_load_b64 v[4:5], v[2:3], off
	s_mov_b32 s0, 0
	s_waitcnt vmcnt(0)
	v_cvt_f64_i32_e32 v[5:6], v5
	v_cvt_f64_u32_e32 v[9:10], v4
	s_delay_alu instid0(VALU_DEP_2) | instskip(NEXT) | instid1(VALU_DEP_1)
	v_ldexp_f64 v[5:6], v[5:6], 32
	v_add_f64 v[4:5], v[5:6], v[9:10]
	s_branch .LBB512_1230
.LBB512_1227:
	s_mov_b32 s0, -1
                                        ; implicit-def: $vgpr4_vgpr5
	s_branch .LBB512_1236
.LBB512_1228:
	s_mov_b32 s0, -1
                                        ; implicit-def: $vgpr4_vgpr5
	s_branch .LBB512_1233
.LBB512_1229:
	s_mov_b32 s0, -1
                                        ; implicit-def: $vgpr4_vgpr5
.LBB512_1230:
	s_delay_alu instid0(SALU_CYCLE_1)
	s_and_not1_b32 vcc_lo, exec_lo, s0
	s_cbranch_vccnz .LBB512_1232
; %bb.1231:
	global_load_b32 v4, v[2:3], off
	s_waitcnt vmcnt(0)
	v_cvt_f64_i32_e32 v[4:5], v4
.LBB512_1232:
	s_mov_b32 s0, 0
.LBB512_1233:
	s_delay_alu instid0(SALU_CYCLE_1)
	s_and_not1_b32 vcc_lo, exec_lo, s0
	s_cbranch_vccnz .LBB512_1235
; %bb.1234:
	global_load_i16 v4, v[2:3], off
	s_waitcnt vmcnt(0)
	v_cvt_f64_i32_e32 v[4:5], v4
.LBB512_1235:
	s_mov_b32 s0, 0
.LBB512_1236:
	s_delay_alu instid0(SALU_CYCLE_1)
	s_and_not1_b32 vcc_lo, exec_lo, s0
	s_cbranch_vccnz .LBB512_1242
; %bb.1237:
	v_cmp_lt_i16_e32 vcc_lo, 0, v13
	s_mov_b32 s0, 0
	s_cbranch_vccz .LBB512_1239
; %bb.1238:
	global_load_i8 v4, v[2:3], off
	s_waitcnt vmcnt(0)
	v_cvt_f64_i32_e32 v[4:5], v4
	s_branch .LBB512_1240
.LBB512_1239:
	s_mov_b32 s0, -1
                                        ; implicit-def: $vgpr4_vgpr5
.LBB512_1240:
	s_delay_alu instid0(SALU_CYCLE_1)
	s_and_not1_b32 vcc_lo, exec_lo, s0
	s_cbranch_vccnz .LBB512_1242
; %bb.1241:
	global_load_u8 v2, v[2:3], off
	s_waitcnt vmcnt(0)
	v_cvt_f64_u32_e32 v[4:5], v2
.LBB512_1242:
	s_branch .LBB512_1315
.LBB512_1243:
	s_trap 2
	s_sendmsg_rtn_b32 s0, sendmsg(MSG_RTN_GET_DOORBELL)
	s_mov_b32 ttmp2, m0
	s_waitcnt lgkmcnt(0)
	s_and_b32 s0, s0, 0x3ff
	s_delay_alu instid0(SALU_CYCLE_1) | instskip(NEXT) | instid1(SALU_CYCLE_1)
	s_bitset1_b32 s0, 10
	s_mov_b32 m0, s0
	s_sendmsg sendmsg(MSG_INTERRUPT)
	s_mov_b32 m0, ttmp2
.LBB512_1244:                           ; =>This Inner Loop Header: Depth=1
	s_sethalt 5
	s_branch .LBB512_1244
.LBB512_1245:
	s_or_saveexec_b32 s22, s22
                                        ; implicit-def: $sgpr23
	s_delay_alu instid0(SALU_CYCLE_1)
	s_xor_b32 exec_lo, exec_lo, s22
	s_cbranch_execz .LBB512_971
.LBB512_1246:
	v_add_f32_e64 v3, 0x42800000, |v2|
	s_and_not1_b32 s21, s21, exec_lo
	s_mov_b32 s23, 0
	s_delay_alu instid0(VALU_DEP_1) | instskip(NEXT) | instid1(VALU_DEP_1)
	v_and_b32_e32 v3, 0xff, v3
	v_cmp_ne_u32_e32 vcc_lo, 0, v3
	s_and_b32 s24, vcc_lo, exec_lo
	s_delay_alu instid0(SALU_CYCLE_1)
	s_or_b32 s21, s21, s24
	s_or_b32 exec_lo, exec_lo, s22
	v_mov_b32_e32 v7, s23
	s_and_saveexec_b32 s22, s21
	s_cbranch_execnz .LBB512_972
	s_branch .LBB512_973
.LBB512_1247:
	s_mov_b32 s18, -1
	s_mov_b32 s0, 0
.LBB512_1248:
                                        ; implicit-def: $vgpr4_vgpr5
.LBB512_1249:
	s_and_b32 vcc_lo, exec_lo, s1
	s_cbranch_vccz .LBB512_1253
; %bb.1250:
	v_cmp_eq_u16_e32 vcc_lo, 44, v13
	s_cbranch_vccz .LBB512_1252
; %bb.1251:
	global_load_u8 v6, v[2:3], off
	s_mov_b32 s18, 0
	s_mov_b32 s0, -1
	s_waitcnt vmcnt(0)
	v_cmp_ne_u32_e32 vcc_lo, 0xff, v6
	v_lshlrev_b32_e32 v4, 23, v6
	s_delay_alu instid0(VALU_DEP_1) | instskip(NEXT) | instid1(VALU_DEP_1)
	v_cvt_f64_f32_e32 v[4:5], v4
	v_cndmask_b32_e32 v5, 0x7ff80000, v5, vcc_lo
	s_delay_alu instid0(VALU_DEP_2) | instskip(SKIP_1) | instid1(VALU_DEP_3)
	v_cndmask_b32_e32 v4, 0x20000000, v4, vcc_lo
	v_cmp_ne_u32_e32 vcc_lo, 0, v6
	v_cndmask_b32_e32 v5, 0x38000000, v5, vcc_lo
	s_delay_alu instid0(VALU_DEP_3)
	v_cndmask_b32_e32 v4, 0, v4, vcc_lo
	s_branch .LBB512_1253
.LBB512_1252:
	s_mov_b32 s18, -1
                                        ; implicit-def: $vgpr4_vgpr5
.LBB512_1253:
	s_mov_b32 s1, 0
.LBB512_1254:
	s_delay_alu instid0(SALU_CYCLE_1)
	s_and_b32 vcc_lo, exec_lo, s1
	s_cbranch_vccz .LBB512_1258
; %bb.1255:
	v_cmp_eq_u16_e32 vcc_lo, 29, v13
	s_cbranch_vccz .LBB512_1257
; %bb.1256:
	global_load_b64 v[4:5], v[2:3], off
	s_mov_b32 s18, 0
	s_mov_b32 s0, -1
	s_mov_b32 s1, 0
	s_waitcnt vmcnt(0)
	v_cvt_f64_u32_e32 v[5:6], v5
	v_cvt_f64_u32_e32 v[9:10], v4
	s_delay_alu instid0(VALU_DEP_2) | instskip(NEXT) | instid1(VALU_DEP_1)
	v_ldexp_f64 v[5:6], v[5:6], 32
	v_add_f64 v[4:5], v[5:6], v[9:10]
	s_branch .LBB512_1259
.LBB512_1257:
	s_mov_b32 s18, -1
                                        ; implicit-def: $vgpr4_vgpr5
.LBB512_1258:
	s_mov_b32 s1, 0
.LBB512_1259:
	s_delay_alu instid0(SALU_CYCLE_1)
	s_and_b32 vcc_lo, exec_lo, s1
	s_cbranch_vccz .LBB512_1279
; %bb.1260:
	v_cmp_gt_i16_e32 vcc_lo, 27, v13
	s_cbranch_vccnz .LBB512_1263
; %bb.1261:
	v_cmp_lt_i16_e32 vcc_lo, 27, v13
	s_cbranch_vccz .LBB512_1264
; %bb.1262:
	global_load_b32 v4, v[2:3], off
	s_mov_b32 s0, 0
	s_waitcnt vmcnt(0)
	v_cvt_f64_u32_e32 v[4:5], v4
	s_branch .LBB512_1265
.LBB512_1263:
	s_mov_b32 s0, -1
                                        ; implicit-def: $vgpr4_vgpr5
	s_branch .LBB512_1268
.LBB512_1264:
	s_mov_b32 s0, -1
                                        ; implicit-def: $vgpr4_vgpr5
.LBB512_1265:
	s_delay_alu instid0(SALU_CYCLE_1)
	s_and_not1_b32 vcc_lo, exec_lo, s0
	s_cbranch_vccnz .LBB512_1267
; %bb.1266:
	global_load_u16 v4, v[2:3], off
	s_waitcnt vmcnt(0)
	v_cvt_f64_u32_e32 v[4:5], v4
.LBB512_1267:
	s_mov_b32 s0, 0
.LBB512_1268:
	s_delay_alu instid0(SALU_CYCLE_1)
	s_and_not1_b32 vcc_lo, exec_lo, s0
	s_cbranch_vccnz .LBB512_1278
; %bb.1269:
	global_load_u8 v6, v[2:3], off
	s_mov_b32 s20, 0
	s_mov_b32 s21, exec_lo
                                        ; implicit-def: $sgpr0_sgpr1
	s_waitcnt vmcnt(0)
	v_cmpx_lt_i16_e32 0x7f, v6
	s_xor_b32 s21, exec_lo, s21
	s_cbranch_execz .LBB512_1273
; %bb.1270:
	s_mov_b32 s22, -1
	s_mov_b32 s20, exec_lo
                                        ; implicit-def: $sgpr0_sgpr1
	v_cmpx_eq_u16_e32 0x80, v6
; %bb.1271:
	s_mov_b32 s1, 0x7ff80000
	s_brev_b32 s0, 4
	s_xor_b32 s22, exec_lo, -1
; %bb.1272:
	s_or_b32 exec_lo, exec_lo, s20
	s_delay_alu instid0(SALU_CYCLE_1)
	s_and_b32 s20, s22, exec_lo
.LBB512_1273:
	s_or_saveexec_b32 s21, s21
	v_dual_mov_b32 v5, s1 :: v_dual_mov_b32 v4, s0
	s_xor_b32 exec_lo, exec_lo, s21
; %bb.1274:
	v_cmp_ne_u16_e32 vcc_lo, 0, v6
	v_mov_b32_e32 v4, 0
	v_mov_b32_e32 v5, 0
	s_and_not1_b32 s0, s20, exec_lo
	s_and_b32 s1, vcc_lo, exec_lo
	s_delay_alu instid0(SALU_CYCLE_1)
	s_or_b32 s20, s0, s1
; %bb.1275:
	s_or_b32 exec_lo, exec_lo, s21
	s_and_saveexec_b32 s0, s20
	s_cbranch_execz .LBB512_1277
; %bb.1276:
	v_and_b32_e32 v4, 0xffff, v6
	v_lshlrev_b32_e32 v6, 24, v6
	s_delay_alu instid0(VALU_DEP_2) | instskip(NEXT) | instid1(VALU_DEP_2)
	v_and_b32_e32 v5, 7, v4
	v_and_b32_e32 v6, 0x80000000, v6
	s_delay_alu instid0(VALU_DEP_2) | instskip(NEXT) | instid1(VALU_DEP_1)
	v_clz_i32_u32_e32 v7, v5
	v_min_u32_e32 v7, 32, v7
	s_delay_alu instid0(VALU_DEP_1) | instskip(SKIP_1) | instid1(VALU_DEP_2)
	v_subrev_nc_u32_e32 v9, 28, v7
	v_sub_nc_u32_e32 v7, 29, v7
	v_lshlrev_b32_e32 v9, v9, v4
	v_bfe_u32 v4, v4, 3, 4
	s_delay_alu instid0(VALU_DEP_2) | instskip(NEXT) | instid1(VALU_DEP_2)
	v_and_b32_e32 v9, 7, v9
	v_cmp_eq_u32_e32 vcc_lo, 0, v4
	s_delay_alu instid0(VALU_DEP_2) | instskip(NEXT) | instid1(VALU_DEP_1)
	v_dual_cndmask_b32 v4, v4, v7 :: v_dual_cndmask_b32 v5, v5, v9
	v_lshl_add_u32 v4, v4, 23, 0x3b800000
	s_delay_alu instid0(VALU_DEP_2) | instskip(NEXT) | instid1(VALU_DEP_1)
	v_lshlrev_b32_e32 v5, 20, v5
	v_or3_b32 v4, v6, v4, v5
	s_delay_alu instid0(VALU_DEP_1)
	v_cvt_f64_f32_e32 v[4:5], v4
.LBB512_1277:
	s_or_b32 exec_lo, exec_lo, s0
.LBB512_1278:
	s_mov_b32 s0, -1
.LBB512_1279:
	s_branch .LBB512_1310
.LBB512_1280:
	v_cmp_lt_i16_e32 vcc_lo, 22, v13
	s_cbranch_vccz .LBB512_1292
; %bb.1281:
	v_cmp_gt_i16_e32 vcc_lo, 24, v13
	s_cbranch_vccnz .LBB512_1293
; %bb.1282:
	v_cmp_lt_i16_e32 vcc_lo, 24, v13
	s_cbranch_vccz .LBB512_1294
; %bb.1283:
	global_load_u8 v6, v[2:3], off
	s_mov_b32 s20, exec_lo
                                        ; implicit-def: $sgpr0_sgpr1
	s_waitcnt vmcnt(0)
	v_cmpx_lt_i16_e32 0x7f, v6
	s_xor_b32 s20, exec_lo, s20
	s_cbranch_execz .LBB512_1287
; %bb.1284:
	s_mov_b32 s21, -1
	s_mov_b32 s19, exec_lo
                                        ; implicit-def: $sgpr0_sgpr1
	v_cmpx_eq_u16_e32 0x80, v6
; %bb.1285:
	s_mov_b32 s1, 0x7ff80000
	s_brev_b32 s0, 4
	s_xor_b32 s21, exec_lo, -1
; %bb.1286:
	s_or_b32 exec_lo, exec_lo, s19
	s_delay_alu instid0(SALU_CYCLE_1)
	s_and_b32 s19, s21, exec_lo
.LBB512_1287:
	s_or_saveexec_b32 s20, s20
	v_dual_mov_b32 v5, s1 :: v_dual_mov_b32 v4, s0
	s_xor_b32 exec_lo, exec_lo, s20
; %bb.1288:
	v_cmp_ne_u16_e32 vcc_lo, 0, v6
	v_mov_b32_e32 v4, 0
	v_mov_b32_e32 v5, 0
	s_and_not1_b32 s0, s19, exec_lo
	s_and_b32 s1, vcc_lo, exec_lo
	s_delay_alu instid0(SALU_CYCLE_1)
	s_or_b32 s19, s0, s1
; %bb.1289:
	s_or_b32 exec_lo, exec_lo, s20
	s_and_saveexec_b32 s0, s19
	s_cbranch_execz .LBB512_1291
; %bb.1290:
	v_and_b32_e32 v4, 0xffff, v6
	v_lshlrev_b32_e32 v6, 24, v6
	s_delay_alu instid0(VALU_DEP_2) | instskip(NEXT) | instid1(VALU_DEP_2)
	v_and_b32_e32 v5, 3, v4
	v_and_b32_e32 v6, 0x80000000, v6
	s_delay_alu instid0(VALU_DEP_2) | instskip(NEXT) | instid1(VALU_DEP_1)
	v_clz_i32_u32_e32 v7, v5
	v_min_u32_e32 v7, 32, v7
	s_delay_alu instid0(VALU_DEP_1) | instskip(SKIP_1) | instid1(VALU_DEP_2)
	v_subrev_nc_u32_e32 v9, 29, v7
	v_sub_nc_u32_e32 v7, 30, v7
	v_lshlrev_b32_e32 v9, v9, v4
	v_bfe_u32 v4, v4, 2, 5
	s_delay_alu instid0(VALU_DEP_2) | instskip(NEXT) | instid1(VALU_DEP_2)
	v_and_b32_e32 v9, 3, v9
	v_cmp_eq_u32_e32 vcc_lo, 0, v4
	s_delay_alu instid0(VALU_DEP_2) | instskip(NEXT) | instid1(VALU_DEP_1)
	v_dual_cndmask_b32 v4, v4, v7 :: v_dual_cndmask_b32 v5, v5, v9
	v_lshl_add_u32 v4, v4, 23, 0x37800000
	s_delay_alu instid0(VALU_DEP_2) | instskip(NEXT) | instid1(VALU_DEP_1)
	v_lshlrev_b32_e32 v5, 21, v5
	v_or3_b32 v4, v6, v4, v5
	s_delay_alu instid0(VALU_DEP_1)
	v_cvt_f64_f32_e32 v[4:5], v4
.LBB512_1291:
	s_or_b32 exec_lo, exec_lo, s0
	s_mov_b32 s0, 0
	s_branch .LBB512_1295
.LBB512_1292:
	s_mov_b32 s1, -1
                                        ; implicit-def: $vgpr4_vgpr5
	s_branch .LBB512_1301
.LBB512_1293:
	s_mov_b32 s0, -1
                                        ; implicit-def: $vgpr4_vgpr5
	s_branch .LBB512_1298
.LBB512_1294:
	s_mov_b32 s0, -1
                                        ; implicit-def: $vgpr4_vgpr5
.LBB512_1295:
	s_delay_alu instid0(SALU_CYCLE_1)
	s_and_b32 vcc_lo, exec_lo, s0
	s_cbranch_vccz .LBB512_1297
; %bb.1296:
	global_load_u8 v4, v[2:3], off
	s_waitcnt vmcnt(0)
	v_lshlrev_b32_e32 v4, 24, v4
	s_delay_alu instid0(VALU_DEP_1) | instskip(NEXT) | instid1(VALU_DEP_1)
	v_and_b32_e32 v5, 0x7f000000, v4
	v_clz_i32_u32_e32 v6, v5
	v_add_nc_u32_e32 v9, 0x1000000, v5
	v_cmp_ne_u32_e32 vcc_lo, 0, v5
	s_delay_alu instid0(VALU_DEP_3) | instskip(NEXT) | instid1(VALU_DEP_1)
	v_min_u32_e32 v6, 32, v6
	v_sub_nc_u32_e64 v6, v6, 4 clamp
	s_delay_alu instid0(VALU_DEP_1) | instskip(SKIP_1) | instid1(VALU_DEP_2)
	v_lshlrev_b32_e32 v7, v6, v5
	v_lshlrev_b32_e32 v6, 23, v6
	v_lshrrev_b32_e32 v7, 4, v7
	s_delay_alu instid0(VALU_DEP_1) | instskip(SKIP_1) | instid1(VALU_DEP_2)
	v_sub_nc_u32_e32 v6, v7, v6
	v_ashrrev_i32_e32 v7, 8, v9
	v_add_nc_u32_e32 v6, 0x3c000000, v6
	s_delay_alu instid0(VALU_DEP_1) | instskip(NEXT) | instid1(VALU_DEP_1)
	v_and_or_b32 v6, 0x7f800000, v7, v6
	v_cndmask_b32_e32 v5, 0, v6, vcc_lo
	s_delay_alu instid0(VALU_DEP_1) | instskip(NEXT) | instid1(VALU_DEP_1)
	v_and_or_b32 v4, 0x80000000, v4, v5
	v_cvt_f64_f32_e32 v[4:5], v4
.LBB512_1297:
	s_mov_b32 s0, 0
.LBB512_1298:
	s_delay_alu instid0(SALU_CYCLE_1)
	s_and_not1_b32 vcc_lo, exec_lo, s0
	s_cbranch_vccnz .LBB512_1300
; %bb.1299:
	global_load_u8 v4, v[2:3], off
	s_waitcnt vmcnt(0)
	v_lshlrev_b32_e32 v5, 25, v4
	v_lshlrev_b16 v4, 8, v4
	s_delay_alu instid0(VALU_DEP_2) | instskip(NEXT) | instid1(VALU_DEP_2)
	v_lshrrev_b32_e32 v6, 4, v5
	v_and_or_b32 v7, 0x7f00, v4, 0.5
	v_bfe_i32 v4, v4, 0, 16
	s_delay_alu instid0(VALU_DEP_3) | instskip(NEXT) | instid1(VALU_DEP_1)
	v_or_b32_e32 v6, 0x70000000, v6
	v_dual_add_f32 v7, -0.5, v7 :: v_dual_mul_f32 v6, 0x7800000, v6
	v_cmp_gt_u32_e32 vcc_lo, 0x8000000, v5
	s_delay_alu instid0(VALU_DEP_2) | instskip(NEXT) | instid1(VALU_DEP_1)
	v_cndmask_b32_e32 v5, v6, v7, vcc_lo
	v_and_or_b32 v4, 0x80000000, v4, v5
	s_delay_alu instid0(VALU_DEP_1)
	v_cvt_f64_f32_e32 v[4:5], v4
.LBB512_1300:
	s_mov_b32 s1, 0
	s_mov_b32 s0, -1
.LBB512_1301:
	s_and_not1_b32 vcc_lo, exec_lo, s1
	s_mov_b32 s19, 0
	s_cbranch_vccnz .LBB512_1310
; %bb.1302:
	v_cmp_lt_i16_e32 vcc_lo, 14, v13
	s_cbranch_vccz .LBB512_1305
; %bb.1303:
	v_cmp_eq_u16_e32 vcc_lo, 15, v13
	s_cbranch_vccz .LBB512_1306
; %bb.1304:
	global_load_u16 v4, v[2:3], off
	s_mov_b32 s18, 0
	s_mov_b32 s0, -1
	s_waitcnt vmcnt(0)
	v_lshlrev_b32_e32 v4, 16, v4
	s_delay_alu instid0(VALU_DEP_1)
	v_cvt_f64_f32_e32 v[4:5], v4
	s_branch .LBB512_1307
.LBB512_1305:
	s_mov_b32 s1, -1
                                        ; implicit-def: $vgpr4_vgpr5
	s_branch .LBB512_1308
.LBB512_1306:
	s_mov_b32 s18, -1
                                        ; implicit-def: $vgpr4_vgpr5
.LBB512_1307:
	s_mov_b32 s1, 0
.LBB512_1308:
	s_delay_alu instid0(SALU_CYCLE_1)
	s_and_b32 vcc_lo, exec_lo, s1
	s_cbranch_vccz .LBB512_1310
; %bb.1309:
	v_cmp_ne_u16_e64 s18, 11, v13
	s_mov_b32 s19, -1
                                        ; implicit-def: $vgpr4_vgpr5
.LBB512_1310:
	s_delay_alu instid0(VALU_DEP_1)
	s_and_b32 vcc_lo, exec_lo, s18
	s_cbranch_vccnz .LBB512_1338
; %bb.1311:
	s_and_not1_b32 vcc_lo, exec_lo, s19
	s_cbranch_vccnz .LBB512_1313
.LBB512_1312:
	global_load_u8 v4, v[2:3], off
	s_mov_b32 s0, -1
	s_waitcnt vmcnt(0)
	v_cmp_ne_u16_e32 vcc_lo, 0, v4
	v_mov_b32_e32 v4, 0
	v_cndmask_b32_e64 v5, 0, 0x3ff00000, vcc_lo
.LBB512_1313:
.LBB512_1314:
	s_and_not1_b32 vcc_lo, exec_lo, s0
	s_cbranch_vccnz .LBB512_1672
.LBB512_1315:
	v_dual_mov_b32 v6, s8 :: v_dual_mov_b32 v7, s9
	s_mov_b32 s0, exec_lo
	s_waitcnt vmcnt(0)
	s_delay_alu instid0(VALU_DEP_2)
	v_cmpx_o_f64_e32 v[4:5], v[4:5]
	s_cbranch_execz .LBB512_1319
; %bb.1316:
	v_dual_mov_b32 v6, s10 :: v_dual_mov_b32 v7, s11
	s_mov_b32 s1, exec_lo
	v_cmpx_neq_f64_e32 0x7ff00000, v[4:5]
; %bb.1317:
	v_cmp_eq_f64_e32 vcc_lo, 0xfff00000, v[4:5]
	v_cndmask_b32_e64 v7, v5, s13, vcc_lo
	v_cndmask_b32_e64 v6, v4, s12, vcc_lo
; %bb.1318:
	s_or_b32 exec_lo, exec_lo, s1
.LBB512_1319:
	s_delay_alu instid0(SALU_CYCLE_1) | instskip(SKIP_2) | instid1(VALU_DEP_2)
	s_or_b32 exec_lo, exec_lo, s0
	v_add_nc_u32_e32 v8, s3, v8
	v_cmp_gt_i16_e32 vcc_lo, 11, v13
	v_ashrrev_i32_e32 v3, 31, v8
	v_add_co_u32 v2, s0, s6, v8
	s_delay_alu instid0(VALU_DEP_1)
	v_add_co_ci_u32_e64 v3, s0, s7, v3, s0
	s_cbranch_vccnz .LBB512_1326
; %bb.1320:
	v_cmp_lt_i16_e32 vcc_lo, 25, v13
	s_mov_b32 s19, 0
	s_cbranch_vccz .LBB512_1332
; %bb.1321:
	v_cmp_lt_i16_e32 vcc_lo, 28, v13
	s_cbranch_vccz .LBB512_1334
; %bb.1322:
	v_cmp_lt_i16_e32 vcc_lo, 43, v13
	;; [unrolled: 3-line block ×3, first 2 shown]
	s_cbranch_vccz .LBB512_1340
; %bb.1324:
	v_cmp_eq_u16_e32 vcc_lo, 46, v13
	s_mov_b32 s1, 0
	s_cbranch_vccz .LBB512_1383
; %bb.1325:
	global_load_b32 v4, v[2:3], off
	s_mov_b32 s18, 0
	s_mov_b32 s0, -1
	s_waitcnt vmcnt(0)
	v_lshlrev_b32_e32 v4, 16, v4
	s_delay_alu instid0(VALU_DEP_1)
	v_cvt_f64_f32_e32 v[4:5], v4
	s_branch .LBB512_1385
.LBB512_1326:
	s_mov_b32 s0, 0
                                        ; implicit-def: $vgpr4_vgpr5
	s_cbranch_execz .LBB512_1451
; %bb.1327:
	v_cmp_gt_i16_e32 vcc_lo, 5, v13
	s_cbranch_vccnz .LBB512_1333
; %bb.1328:
	v_cmp_gt_i16_e32 vcc_lo, 8, v13
	s_cbranch_vccnz .LBB512_1335
	;; [unrolled: 3-line block ×3, first 2 shown]
; %bb.1330:
	v_cmp_lt_i16_e32 vcc_lo, 9, v13
	s_cbranch_vccz .LBB512_1341
; %bb.1331:
	global_load_b64 v[4:5], v[2:3], off
	s_mov_b32 s0, 0
	s_branch .LBB512_1342
.LBB512_1332:
	s_mov_b32 s1, -1
	s_mov_b32 s0, 0
	s_mov_b32 s18, 0
                                        ; implicit-def: $vgpr4_vgpr5
	s_branch .LBB512_1416
.LBB512_1333:
	s_mov_b32 s0, -1
                                        ; implicit-def: $vgpr4_vgpr5
	s_branch .LBB512_1360
.LBB512_1334:
	s_mov_b32 s1, -1
	s_mov_b32 s0, 0
	s_mov_b32 s18, 0
                                        ; implicit-def: $vgpr4_vgpr5
	s_branch .LBB512_1395
.LBB512_1335:
	s_mov_b32 s0, -1
                                        ; implicit-def: $vgpr4_vgpr5
	s_branch .LBB512_1348
.LBB512_1336:
	s_mov_b32 s1, -1
	s_mov_b32 s0, 0
	s_mov_b32 s18, 0
                                        ; implicit-def: $vgpr4_vgpr5
	s_branch .LBB512_1390
.LBB512_1337:
	s_mov_b32 s0, -1
                                        ; implicit-def: $vgpr4_vgpr5
	s_branch .LBB512_1345
.LBB512_1338:
	s_cbranch_execnz .LBB512_1381
; %bb.1339:
	s_or_b32 s15, s15, exec_lo
                                        ; implicit-def: $vgpr4_vgpr5
	s_cbranch_execz .LBB512_1312
	s_branch .LBB512_1313
.LBB512_1340:
	s_mov_b32 s1, -1
	s_mov_b32 s0, 0
	s_mov_b32 s18, 0
	s_branch .LBB512_1384
.LBB512_1341:
	s_mov_b32 s0, -1
                                        ; implicit-def: $vgpr4_vgpr5
.LBB512_1342:
	s_delay_alu instid0(SALU_CYCLE_1)
	s_and_not1_b32 vcc_lo, exec_lo, s0
	s_cbranch_vccnz .LBB512_1344
; %bb.1343:
	global_load_b32 v4, v[2:3], off
	s_waitcnt vmcnt(0)
	v_cvt_f64_f32_e32 v[4:5], v4
.LBB512_1344:
	s_mov_b32 s0, 0
.LBB512_1345:
	s_delay_alu instid0(SALU_CYCLE_1)
	s_and_not1_b32 vcc_lo, exec_lo, s0
	s_cbranch_vccnz .LBB512_1347
; %bb.1346:
	global_load_b32 v4, v[2:3], off
	s_waitcnt vmcnt(0)
	v_cvt_f32_f16_e32 v4, v4
	s_delay_alu instid0(VALU_DEP_1)
	v_cvt_f64_f32_e32 v[4:5], v4
.LBB512_1347:
	s_mov_b32 s0, 0
.LBB512_1348:
	s_delay_alu instid0(SALU_CYCLE_1)
	s_and_not1_b32 vcc_lo, exec_lo, s0
	s_cbranch_vccnz .LBB512_1359
; %bb.1349:
	v_cmp_gt_i16_e32 vcc_lo, 6, v13
	s_cbranch_vccnz .LBB512_1352
; %bb.1350:
	v_cmp_lt_i16_e32 vcc_lo, 6, v13
	s_cbranch_vccz .LBB512_1353
; %bb.1351:
	global_load_b64 v[4:5], v[2:3], off
	s_mov_b32 s0, 0
	s_branch .LBB512_1354
.LBB512_1352:
	s_mov_b32 s0, -1
                                        ; implicit-def: $vgpr4_vgpr5
	s_branch .LBB512_1357
.LBB512_1353:
	s_mov_b32 s0, -1
                                        ; implicit-def: $vgpr4_vgpr5
.LBB512_1354:
	s_delay_alu instid0(SALU_CYCLE_1)
	s_and_not1_b32 vcc_lo, exec_lo, s0
	s_cbranch_vccnz .LBB512_1356
; %bb.1355:
	global_load_b32 v4, v[2:3], off
	s_waitcnt vmcnt(0)
	v_cvt_f64_f32_e32 v[4:5], v4
.LBB512_1356:
	s_mov_b32 s0, 0
.LBB512_1357:
	s_delay_alu instid0(SALU_CYCLE_1)
	s_and_not1_b32 vcc_lo, exec_lo, s0
	s_cbranch_vccnz .LBB512_1359
; %bb.1358:
	global_load_u16 v4, v[2:3], off
	s_waitcnt vmcnt(0)
	v_cvt_f32_f16_e32 v4, v4
	s_delay_alu instid0(VALU_DEP_1)
	v_cvt_f64_f32_e32 v[4:5], v4
.LBB512_1359:
	s_mov_b32 s0, 0
.LBB512_1360:
	s_delay_alu instid0(SALU_CYCLE_1)
	s_and_not1_b32 vcc_lo, exec_lo, s0
	s_cbranch_vccnz .LBB512_1380
; %bb.1361:
	v_cmp_gt_i16_e32 vcc_lo, 2, v13
	s_cbranch_vccnz .LBB512_1365
; %bb.1362:
	v_cmp_gt_i16_e32 vcc_lo, 3, v13
	s_cbranch_vccnz .LBB512_1366
; %bb.1363:
	v_cmp_lt_i16_e32 vcc_lo, 3, v13
	s_cbranch_vccz .LBB512_1367
; %bb.1364:
	global_load_b64 v[4:5], v[2:3], off
	s_mov_b32 s0, 0
	s_waitcnt vmcnt(0)
	v_cvt_f64_i32_e32 v[9:10], v5
	v_cvt_f64_u32_e32 v[4:5], v4
	s_delay_alu instid0(VALU_DEP_2) | instskip(NEXT) | instid1(VALU_DEP_1)
	v_ldexp_f64 v[9:10], v[9:10], 32
	v_add_f64 v[4:5], v[9:10], v[4:5]
	s_branch .LBB512_1368
.LBB512_1365:
	s_mov_b32 s0, -1
                                        ; implicit-def: $vgpr4_vgpr5
	s_branch .LBB512_1374
.LBB512_1366:
	s_mov_b32 s0, -1
                                        ; implicit-def: $vgpr4_vgpr5
	s_branch .LBB512_1371
.LBB512_1367:
	s_mov_b32 s0, -1
                                        ; implicit-def: $vgpr4_vgpr5
.LBB512_1368:
	s_delay_alu instid0(SALU_CYCLE_1)
	s_and_not1_b32 vcc_lo, exec_lo, s0
	s_cbranch_vccnz .LBB512_1370
; %bb.1369:
	global_load_b32 v4, v[2:3], off
	s_waitcnt vmcnt(0)
	v_cvt_f64_i32_e32 v[4:5], v4
.LBB512_1370:
	s_mov_b32 s0, 0
.LBB512_1371:
	s_delay_alu instid0(SALU_CYCLE_1)
	s_and_not1_b32 vcc_lo, exec_lo, s0
	s_cbranch_vccnz .LBB512_1373
; %bb.1372:
	global_load_i16 v4, v[2:3], off
	s_waitcnt vmcnt(0)
	v_cvt_f64_i32_e32 v[4:5], v4
.LBB512_1373:
	s_mov_b32 s0, 0
.LBB512_1374:
	s_delay_alu instid0(SALU_CYCLE_1)
	s_and_not1_b32 vcc_lo, exec_lo, s0
	s_cbranch_vccnz .LBB512_1380
; %bb.1375:
	v_cmp_lt_i16_e32 vcc_lo, 0, v13
	s_mov_b32 s0, 0
	s_cbranch_vccz .LBB512_1377
; %bb.1376:
	global_load_i8 v4, v[2:3], off
	s_waitcnt vmcnt(0)
	v_cvt_f64_i32_e32 v[4:5], v4
	s_branch .LBB512_1378
.LBB512_1377:
	s_mov_b32 s0, -1
                                        ; implicit-def: $vgpr4_vgpr5
.LBB512_1378:
	s_delay_alu instid0(SALU_CYCLE_1)
	s_and_not1_b32 vcc_lo, exec_lo, s0
	s_cbranch_vccnz .LBB512_1380
; %bb.1379:
	global_load_u8 v2, v[2:3], off
	s_waitcnt vmcnt(0)
	v_cvt_f64_u32_e32 v[4:5], v2
.LBB512_1380:
	s_branch .LBB512_1452
.LBB512_1381:
	s_trap 2
	s_sendmsg_rtn_b32 s0, sendmsg(MSG_RTN_GET_DOORBELL)
	s_mov_b32 ttmp2, m0
	s_waitcnt lgkmcnt(0)
	s_and_b32 s0, s0, 0x3ff
	s_delay_alu instid0(SALU_CYCLE_1) | instskip(NEXT) | instid1(SALU_CYCLE_1)
	s_bitset1_b32 s0, 10
	s_mov_b32 m0, s0
	s_sendmsg sendmsg(MSG_INTERRUPT)
	s_mov_b32 m0, ttmp2
.LBB512_1382:                           ; =>This Inner Loop Header: Depth=1
	s_sethalt 5
	s_branch .LBB512_1382
.LBB512_1383:
	s_mov_b32 s18, -1
	s_mov_b32 s0, 0
.LBB512_1384:
                                        ; implicit-def: $vgpr4_vgpr5
.LBB512_1385:
	s_and_b32 vcc_lo, exec_lo, s1
	s_cbranch_vccz .LBB512_1389
; %bb.1386:
	v_cmp_eq_u16_e32 vcc_lo, 44, v13
	s_cbranch_vccz .LBB512_1388
; %bb.1387:
	global_load_u8 v9, v[2:3], off
	s_mov_b32 s18, 0
	s_mov_b32 s0, -1
	s_waitcnt vmcnt(0)
	v_lshlrev_b32_e32 v4, 23, v9
	v_cmp_ne_u32_e32 vcc_lo, 0xff, v9
	s_delay_alu instid0(VALU_DEP_2) | instskip(NEXT) | instid1(VALU_DEP_1)
	v_cvt_f64_f32_e32 v[4:5], v4
	v_cndmask_b32_e32 v4, 0x20000000, v4, vcc_lo
	s_delay_alu instid0(VALU_DEP_2) | instskip(SKIP_1) | instid1(VALU_DEP_2)
	v_cndmask_b32_e32 v5, 0x7ff80000, v5, vcc_lo
	v_cmp_ne_u32_e32 vcc_lo, 0, v9
	v_cndmask_b32_e32 v5, 0x38000000, v5, vcc_lo
	s_delay_alu instid0(VALU_DEP_4)
	v_cndmask_b32_e32 v4, 0, v4, vcc_lo
	s_branch .LBB512_1389
.LBB512_1388:
	s_mov_b32 s18, -1
                                        ; implicit-def: $vgpr4_vgpr5
.LBB512_1389:
	s_mov_b32 s1, 0
.LBB512_1390:
	s_delay_alu instid0(SALU_CYCLE_1)
	s_and_b32 vcc_lo, exec_lo, s1
	s_cbranch_vccz .LBB512_1394
; %bb.1391:
	v_cmp_eq_u16_e32 vcc_lo, 29, v13
	s_cbranch_vccz .LBB512_1393
; %bb.1392:
	global_load_b64 v[4:5], v[2:3], off
	s_mov_b32 s18, 0
	s_mov_b32 s0, -1
	s_mov_b32 s1, 0
	s_waitcnt vmcnt(0)
	v_cvt_f64_u32_e32 v[9:10], v5
	v_cvt_f64_u32_e32 v[4:5], v4
	s_delay_alu instid0(VALU_DEP_2) | instskip(NEXT) | instid1(VALU_DEP_1)
	v_ldexp_f64 v[9:10], v[9:10], 32
	v_add_f64 v[4:5], v[9:10], v[4:5]
	s_branch .LBB512_1395
.LBB512_1393:
	s_mov_b32 s18, -1
                                        ; implicit-def: $vgpr4_vgpr5
.LBB512_1394:
	s_mov_b32 s1, 0
.LBB512_1395:
	s_delay_alu instid0(SALU_CYCLE_1)
	s_and_b32 vcc_lo, exec_lo, s1
	s_cbranch_vccz .LBB512_1415
; %bb.1396:
	v_cmp_gt_i16_e32 vcc_lo, 27, v13
	s_cbranch_vccnz .LBB512_1399
; %bb.1397:
	v_cmp_lt_i16_e32 vcc_lo, 27, v13
	s_cbranch_vccz .LBB512_1400
; %bb.1398:
	global_load_b32 v4, v[2:3], off
	s_mov_b32 s0, 0
	s_waitcnt vmcnt(0)
	v_cvt_f64_u32_e32 v[4:5], v4
	s_branch .LBB512_1401
.LBB512_1399:
	s_mov_b32 s0, -1
                                        ; implicit-def: $vgpr4_vgpr5
	s_branch .LBB512_1404
.LBB512_1400:
	s_mov_b32 s0, -1
                                        ; implicit-def: $vgpr4_vgpr5
.LBB512_1401:
	s_delay_alu instid0(SALU_CYCLE_1)
	s_and_not1_b32 vcc_lo, exec_lo, s0
	s_cbranch_vccnz .LBB512_1403
; %bb.1402:
	global_load_u16 v4, v[2:3], off
	s_waitcnt vmcnt(0)
	v_cvt_f64_u32_e32 v[4:5], v4
.LBB512_1403:
	s_mov_b32 s0, 0
.LBB512_1404:
	s_delay_alu instid0(SALU_CYCLE_1)
	s_and_not1_b32 vcc_lo, exec_lo, s0
	s_cbranch_vccnz .LBB512_1414
; %bb.1405:
	global_load_u8 v9, v[2:3], off
	s_mov_b32 s20, 0
	s_mov_b32 s21, exec_lo
                                        ; implicit-def: $sgpr0_sgpr1
	s_waitcnt vmcnt(0)
	v_cmpx_lt_i16_e32 0x7f, v9
	s_xor_b32 s21, exec_lo, s21
	s_cbranch_execz .LBB512_1409
; %bb.1406:
	s_mov_b32 s22, -1
	s_mov_b32 s20, exec_lo
                                        ; implicit-def: $sgpr0_sgpr1
	v_cmpx_eq_u16_e32 0x80, v9
; %bb.1407:
	s_mov_b32 s1, 0x7ff80000
	s_brev_b32 s0, 4
	s_xor_b32 s22, exec_lo, -1
; %bb.1408:
	s_or_b32 exec_lo, exec_lo, s20
	s_delay_alu instid0(SALU_CYCLE_1)
	s_and_b32 s20, s22, exec_lo
.LBB512_1409:
	s_or_saveexec_b32 s21, s21
	v_dual_mov_b32 v5, s1 :: v_dual_mov_b32 v4, s0
	s_xor_b32 exec_lo, exec_lo, s21
; %bb.1410:
	v_cmp_ne_u16_e32 vcc_lo, 0, v9
	v_mov_b32_e32 v4, 0
	v_mov_b32_e32 v5, 0
	s_and_not1_b32 s0, s20, exec_lo
	s_and_b32 s1, vcc_lo, exec_lo
	s_delay_alu instid0(SALU_CYCLE_1)
	s_or_b32 s20, s0, s1
; %bb.1411:
	s_or_b32 exec_lo, exec_lo, s21
	s_and_saveexec_b32 s0, s20
	s_cbranch_execz .LBB512_1413
; %bb.1412:
	v_and_b32_e32 v4, 0xffff, v9
	v_lshlrev_b32_e32 v9, 24, v9
	s_delay_alu instid0(VALU_DEP_2) | instskip(NEXT) | instid1(VALU_DEP_2)
	v_and_b32_e32 v5, 7, v4
	v_and_b32_e32 v9, 0x80000000, v9
	s_delay_alu instid0(VALU_DEP_2) | instskip(NEXT) | instid1(VALU_DEP_1)
	v_clz_i32_u32_e32 v10, v5
	v_min_u32_e32 v10, 32, v10
	s_delay_alu instid0(VALU_DEP_1) | instskip(SKIP_1) | instid1(VALU_DEP_2)
	v_subrev_nc_u32_e32 v11, 28, v10
	v_sub_nc_u32_e32 v10, 29, v10
	v_lshlrev_b32_e32 v11, v11, v4
	v_bfe_u32 v4, v4, 3, 4
	s_delay_alu instid0(VALU_DEP_2) | instskip(NEXT) | instid1(VALU_DEP_2)
	v_and_b32_e32 v11, 7, v11
	v_cmp_eq_u32_e32 vcc_lo, 0, v4
	s_delay_alu instid0(VALU_DEP_2) | instskip(NEXT) | instid1(VALU_DEP_1)
	v_dual_cndmask_b32 v4, v4, v10 :: v_dual_cndmask_b32 v5, v5, v11
	v_lshl_add_u32 v4, v4, 23, 0x3b800000
	s_delay_alu instid0(VALU_DEP_2) | instskip(NEXT) | instid1(VALU_DEP_1)
	v_lshlrev_b32_e32 v5, 20, v5
	v_or3_b32 v4, v9, v4, v5
	s_delay_alu instid0(VALU_DEP_1)
	v_cvt_f64_f32_e32 v[4:5], v4
.LBB512_1413:
	s_or_b32 exec_lo, exec_lo, s0
.LBB512_1414:
	s_mov_b32 s0, -1
.LBB512_1415:
	s_mov_b32 s1, 0
.LBB512_1416:
	s_delay_alu instid0(SALU_CYCLE_1)
	s_and_b32 vcc_lo, exec_lo, s1
	s_cbranch_vccz .LBB512_1447
; %bb.1417:
	v_cmp_lt_i16_e32 vcc_lo, 22, v13
	s_cbranch_vccz .LBB512_1429
; %bb.1418:
	v_cmp_gt_i16_e32 vcc_lo, 24, v13
	s_cbranch_vccnz .LBB512_1430
; %bb.1419:
	v_cmp_lt_i16_e32 vcc_lo, 24, v13
	s_cbranch_vccz .LBB512_1431
; %bb.1420:
	global_load_u8 v9, v[2:3], off
	s_mov_b32 s20, exec_lo
                                        ; implicit-def: $sgpr0_sgpr1
	s_waitcnt vmcnt(0)
	v_cmpx_lt_i16_e32 0x7f, v9
	s_xor_b32 s20, exec_lo, s20
	s_cbranch_execz .LBB512_1424
; %bb.1421:
	s_mov_b32 s21, -1
	s_mov_b32 s19, exec_lo
                                        ; implicit-def: $sgpr0_sgpr1
	v_cmpx_eq_u16_e32 0x80, v9
; %bb.1422:
	s_mov_b32 s1, 0x7ff80000
	s_brev_b32 s0, 4
	s_xor_b32 s21, exec_lo, -1
; %bb.1423:
	s_or_b32 exec_lo, exec_lo, s19
	s_delay_alu instid0(SALU_CYCLE_1)
	s_and_b32 s19, s21, exec_lo
.LBB512_1424:
	s_or_saveexec_b32 s20, s20
	v_dual_mov_b32 v5, s1 :: v_dual_mov_b32 v4, s0
	s_xor_b32 exec_lo, exec_lo, s20
; %bb.1425:
	v_cmp_ne_u16_e32 vcc_lo, 0, v9
	v_mov_b32_e32 v4, 0
	v_mov_b32_e32 v5, 0
	s_and_not1_b32 s0, s19, exec_lo
	s_and_b32 s1, vcc_lo, exec_lo
	s_delay_alu instid0(SALU_CYCLE_1)
	s_or_b32 s19, s0, s1
; %bb.1426:
	s_or_b32 exec_lo, exec_lo, s20
	s_and_saveexec_b32 s0, s19
	s_cbranch_execz .LBB512_1428
; %bb.1427:
	v_and_b32_e32 v4, 0xffff, v9
	v_lshlrev_b32_e32 v9, 24, v9
	s_delay_alu instid0(VALU_DEP_2) | instskip(NEXT) | instid1(VALU_DEP_2)
	v_and_b32_e32 v5, 3, v4
	v_and_b32_e32 v9, 0x80000000, v9
	s_delay_alu instid0(VALU_DEP_2) | instskip(NEXT) | instid1(VALU_DEP_1)
	v_clz_i32_u32_e32 v10, v5
	v_min_u32_e32 v10, 32, v10
	s_delay_alu instid0(VALU_DEP_1) | instskip(SKIP_1) | instid1(VALU_DEP_2)
	v_subrev_nc_u32_e32 v11, 29, v10
	v_sub_nc_u32_e32 v10, 30, v10
	v_lshlrev_b32_e32 v11, v11, v4
	v_bfe_u32 v4, v4, 2, 5
	s_delay_alu instid0(VALU_DEP_2) | instskip(NEXT) | instid1(VALU_DEP_2)
	v_and_b32_e32 v11, 3, v11
	v_cmp_eq_u32_e32 vcc_lo, 0, v4
	s_delay_alu instid0(VALU_DEP_2) | instskip(NEXT) | instid1(VALU_DEP_1)
	v_dual_cndmask_b32 v4, v4, v10 :: v_dual_cndmask_b32 v5, v5, v11
	v_lshl_add_u32 v4, v4, 23, 0x37800000
	s_delay_alu instid0(VALU_DEP_2) | instskip(NEXT) | instid1(VALU_DEP_1)
	v_lshlrev_b32_e32 v5, 21, v5
	v_or3_b32 v4, v9, v4, v5
	s_delay_alu instid0(VALU_DEP_1)
	v_cvt_f64_f32_e32 v[4:5], v4
.LBB512_1428:
	s_or_b32 exec_lo, exec_lo, s0
	s_mov_b32 s0, 0
	s_branch .LBB512_1432
.LBB512_1429:
	s_mov_b32 s1, -1
                                        ; implicit-def: $vgpr4_vgpr5
	s_branch .LBB512_1438
.LBB512_1430:
	s_mov_b32 s0, -1
                                        ; implicit-def: $vgpr4_vgpr5
	s_branch .LBB512_1435
.LBB512_1431:
	s_mov_b32 s0, -1
                                        ; implicit-def: $vgpr4_vgpr5
.LBB512_1432:
	s_delay_alu instid0(SALU_CYCLE_1)
	s_and_b32 vcc_lo, exec_lo, s0
	s_cbranch_vccz .LBB512_1434
; %bb.1433:
	global_load_u8 v4, v[2:3], off
	s_waitcnt vmcnt(0)
	v_lshlrev_b32_e32 v4, 24, v4
	s_delay_alu instid0(VALU_DEP_1) | instskip(NEXT) | instid1(VALU_DEP_1)
	v_and_b32_e32 v5, 0x7f000000, v4
	v_clz_i32_u32_e32 v9, v5
	v_add_nc_u32_e32 v11, 0x1000000, v5
	v_cmp_ne_u32_e32 vcc_lo, 0, v5
	s_delay_alu instid0(VALU_DEP_3) | instskip(NEXT) | instid1(VALU_DEP_1)
	v_min_u32_e32 v9, 32, v9
	v_sub_nc_u32_e64 v9, v9, 4 clamp
	s_delay_alu instid0(VALU_DEP_1) | instskip(SKIP_1) | instid1(VALU_DEP_2)
	v_lshlrev_b32_e32 v10, v9, v5
	v_lshlrev_b32_e32 v9, 23, v9
	v_lshrrev_b32_e32 v10, 4, v10
	s_delay_alu instid0(VALU_DEP_1) | instskip(SKIP_1) | instid1(VALU_DEP_2)
	v_sub_nc_u32_e32 v9, v10, v9
	v_ashrrev_i32_e32 v10, 8, v11
	v_add_nc_u32_e32 v9, 0x3c000000, v9
	s_delay_alu instid0(VALU_DEP_1) | instskip(NEXT) | instid1(VALU_DEP_1)
	v_and_or_b32 v9, 0x7f800000, v10, v9
	v_cndmask_b32_e32 v5, 0, v9, vcc_lo
	s_delay_alu instid0(VALU_DEP_1) | instskip(NEXT) | instid1(VALU_DEP_1)
	v_and_or_b32 v4, 0x80000000, v4, v5
	v_cvt_f64_f32_e32 v[4:5], v4
.LBB512_1434:
	s_mov_b32 s0, 0
.LBB512_1435:
	s_delay_alu instid0(SALU_CYCLE_1)
	s_and_not1_b32 vcc_lo, exec_lo, s0
	s_cbranch_vccnz .LBB512_1437
; %bb.1436:
	global_load_u8 v4, v[2:3], off
	s_waitcnt vmcnt(0)
	v_lshlrev_b32_e32 v5, 25, v4
	v_lshlrev_b16 v4, 8, v4
	s_delay_alu instid0(VALU_DEP_1) | instskip(SKIP_1) | instid1(VALU_DEP_2)
	v_and_or_b32 v10, 0x7f00, v4, 0.5
	v_bfe_i32 v4, v4, 0, 16
	v_add_f32_e32 v10, -0.5, v10
	v_lshrrev_b32_e32 v9, 4, v5
	v_cmp_gt_u32_e32 vcc_lo, 0x8000000, v5
	s_delay_alu instid0(VALU_DEP_2) | instskip(NEXT) | instid1(VALU_DEP_1)
	v_or_b32_e32 v9, 0x70000000, v9
	v_mul_f32_e32 v9, 0x7800000, v9
	s_delay_alu instid0(VALU_DEP_1) | instskip(NEXT) | instid1(VALU_DEP_1)
	v_cndmask_b32_e32 v5, v9, v10, vcc_lo
	v_and_or_b32 v4, 0x80000000, v4, v5
	s_delay_alu instid0(VALU_DEP_1)
	v_cvt_f64_f32_e32 v[4:5], v4
.LBB512_1437:
	s_mov_b32 s1, 0
	s_mov_b32 s0, -1
.LBB512_1438:
	s_and_not1_b32 vcc_lo, exec_lo, s1
	s_mov_b32 s19, 0
	s_cbranch_vccnz .LBB512_1447
; %bb.1439:
	v_cmp_lt_i16_e32 vcc_lo, 14, v13
	s_cbranch_vccz .LBB512_1442
; %bb.1440:
	v_cmp_eq_u16_e32 vcc_lo, 15, v13
	s_cbranch_vccz .LBB512_1443
; %bb.1441:
	global_load_u16 v4, v[2:3], off
	s_mov_b32 s18, 0
	s_mov_b32 s0, -1
	s_waitcnt vmcnt(0)
	v_lshlrev_b32_e32 v4, 16, v4
	s_delay_alu instid0(VALU_DEP_1)
	v_cvt_f64_f32_e32 v[4:5], v4
	s_branch .LBB512_1444
.LBB512_1442:
	s_mov_b32 s1, -1
                                        ; implicit-def: $vgpr4_vgpr5
	s_branch .LBB512_1445
.LBB512_1443:
	s_mov_b32 s18, -1
                                        ; implicit-def: $vgpr4_vgpr5
.LBB512_1444:
	s_mov_b32 s1, 0
.LBB512_1445:
	s_delay_alu instid0(SALU_CYCLE_1)
	s_and_b32 vcc_lo, exec_lo, s1
	s_cbranch_vccz .LBB512_1447
; %bb.1446:
	v_cmp_ne_u16_e64 s18, 11, v13
	s_mov_b32 s19, -1
                                        ; implicit-def: $vgpr4_vgpr5
.LBB512_1447:
	s_delay_alu instid0(VALU_DEP_1)
	s_and_b32 vcc_lo, exec_lo, s18
	s_cbranch_vccnz .LBB512_1467
; %bb.1448:
	s_and_not1_b32 vcc_lo, exec_lo, s19
	s_cbranch_vccnz .LBB512_1450
.LBB512_1449:
	global_load_u8 v4, v[2:3], off
	s_mov_b32 s0, -1
	s_waitcnt vmcnt(0)
	v_cmp_ne_u16_e32 vcc_lo, 0, v4
	v_mov_b32_e32 v4, 0
	v_cndmask_b32_e64 v5, 0, 0x3ff00000, vcc_lo
.LBB512_1450:
.LBB512_1451:
	s_and_not1_b32 vcc_lo, exec_lo, s0
	s_cbranch_vccnz .LBB512_1672
.LBB512_1452:
	v_dual_mov_b32 v11, s9 :: v_dual_mov_b32 v10, s8
	s_mov_b32 s0, exec_lo
	s_waitcnt vmcnt(0)
	s_delay_alu instid0(VALU_DEP_2)
	v_cmpx_o_f64_e32 v[4:5], v[4:5]
	s_cbranch_execz .LBB512_1456
; %bb.1453:
	v_dual_mov_b32 v10, s10 :: v_dual_mov_b32 v11, s11
	s_mov_b32 s1, exec_lo
	v_cmpx_neq_f64_e32 0x7ff00000, v[4:5]
; %bb.1454:
	v_cmp_eq_f64_e32 vcc_lo, 0xfff00000, v[4:5]
	v_cndmask_b32_e64 v11, v5, s13, vcc_lo
	v_cndmask_b32_e64 v10, v4, s12, vcc_lo
; %bb.1455:
	s_or_b32 exec_lo, exec_lo, s1
.LBB512_1456:
	s_delay_alu instid0(SALU_CYCLE_1) | instskip(SKIP_2) | instid1(VALU_DEP_2)
	s_or_b32 exec_lo, exec_lo, s0
	v_add_nc_u32_e32 v2, s3, v8
	v_cmp_gt_i16_e32 vcc_lo, 11, v13
	v_ashrrev_i32_e32 v3, 31, v2
	v_add_co_u32 v2, s0, s6, v2
	s_delay_alu instid0(VALU_DEP_1)
	v_add_co_ci_u32_e64 v3, s0, s7, v3, s0
	s_cbranch_vccnz .LBB512_1463
; %bb.1457:
	v_cmp_lt_i16_e32 vcc_lo, 25, v13
	s_mov_b32 s6, 0
	s_cbranch_vccz .LBB512_1464
; %bb.1458:
	v_cmp_lt_i16_e32 vcc_lo, 28, v13
	s_cbranch_vccz .LBB512_1465
; %bb.1459:
	v_cmp_lt_i16_e32 vcc_lo, 43, v13
	;; [unrolled: 3-line block ×3, first 2 shown]
	s_cbranch_vccz .LBB512_1469
; %bb.1461:
	v_cmp_eq_u16_e32 vcc_lo, 46, v13
	s_mov_b32 s1, 0
	s_cbranch_vccz .LBB512_1472
; %bb.1462:
	global_load_b32 v4, v[2:3], off
	s_mov_b32 s3, 0
	s_mov_b32 s0, -1
	s_waitcnt vmcnt(0)
	v_lshlrev_b32_e32 v4, 16, v4
	s_delay_alu instid0(VALU_DEP_1)
	v_cvt_f64_f32_e32 v[8:9], v4
	s_branch .LBB512_1474
.LBB512_1463:
	s_mov_b32 s1, -1
	s_mov_b32 s0, 0
                                        ; implicit-def: $vgpr8_vgpr9
	s_branch .LBB512_1540
.LBB512_1464:
	s_mov_b32 s1, -1
	s_mov_b32 s0, 0
	s_mov_b32 s3, 0
                                        ; implicit-def: $vgpr8_vgpr9
	s_branch .LBB512_1505
.LBB512_1465:
	s_mov_b32 s1, -1
	s_mov_b32 s0, 0
	s_mov_b32 s3, 0
                                        ; implicit-def: $vgpr8_vgpr9
	s_branch .LBB512_1484
.LBB512_1466:
	s_mov_b32 s1, -1
	s_mov_b32 s0, 0
	s_mov_b32 s3, 0
                                        ; implicit-def: $vgpr8_vgpr9
	s_branch .LBB512_1479
.LBB512_1467:
	s_cbranch_execnz .LBB512_1470
; %bb.1468:
	s_or_b32 s15, s15, exec_lo
                                        ; implicit-def: $vgpr4_vgpr5
	s_cbranch_execz .LBB512_1449
	s_branch .LBB512_1450
.LBB512_1469:
	s_mov_b32 s1, -1
	s_mov_b32 s0, 0
	s_mov_b32 s3, 0
	s_branch .LBB512_1473
.LBB512_1470:
	s_trap 2
	s_sendmsg_rtn_b32 s0, sendmsg(MSG_RTN_GET_DOORBELL)
	s_mov_b32 ttmp2, m0
	s_waitcnt lgkmcnt(0)
	s_and_b32 s0, s0, 0x3ff
	s_delay_alu instid0(SALU_CYCLE_1) | instskip(NEXT) | instid1(SALU_CYCLE_1)
	s_bitset1_b32 s0, 10
	s_mov_b32 m0, s0
	s_sendmsg sendmsg(MSG_INTERRUPT)
	s_mov_b32 m0, ttmp2
.LBB512_1471:                           ; =>This Inner Loop Header: Depth=1
	s_sethalt 5
	s_branch .LBB512_1471
.LBB512_1472:
	s_mov_b32 s3, -1
	s_mov_b32 s0, 0
.LBB512_1473:
                                        ; implicit-def: $vgpr8_vgpr9
.LBB512_1474:
	s_and_b32 vcc_lo, exec_lo, s1
	s_cbranch_vccz .LBB512_1478
; %bb.1475:
	v_cmp_eq_u16_e32 vcc_lo, 44, v13
	s_cbranch_vccz .LBB512_1477
; %bb.1476:
	global_load_u8 v8, v[2:3], off
	s_mov_b32 s3, 0
	s_mov_b32 s0, -1
	s_waitcnt vmcnt(0)
	v_cmp_ne_u32_e32 vcc_lo, 0xff, v8
	v_lshlrev_b32_e32 v4, 23, v8
	s_delay_alu instid0(VALU_DEP_1) | instskip(NEXT) | instid1(VALU_DEP_1)
	v_cvt_f64_f32_e32 v[4:5], v4
	v_cndmask_b32_e32 v5, 0x7ff80000, v5, vcc_lo
	s_delay_alu instid0(VALU_DEP_2) | instskip(SKIP_1) | instid1(VALU_DEP_3)
	v_cndmask_b32_e32 v4, 0x20000000, v4, vcc_lo
	v_cmp_ne_u32_e32 vcc_lo, 0, v8
	v_cndmask_b32_e32 v9, 0x38000000, v5, vcc_lo
	s_delay_alu instid0(VALU_DEP_3)
	v_cndmask_b32_e32 v8, 0, v4, vcc_lo
	s_branch .LBB512_1478
.LBB512_1477:
	s_mov_b32 s3, -1
                                        ; implicit-def: $vgpr8_vgpr9
.LBB512_1478:
	s_mov_b32 s1, 0
.LBB512_1479:
	s_delay_alu instid0(SALU_CYCLE_1)
	s_and_b32 vcc_lo, exec_lo, s1
	s_cbranch_vccz .LBB512_1483
; %bb.1480:
	v_cmp_eq_u16_e32 vcc_lo, 29, v13
	s_cbranch_vccz .LBB512_1482
; %bb.1481:
	global_load_b64 v[4:5], v[2:3], off
	s_mov_b32 s3, 0
	s_mov_b32 s0, -1
	s_mov_b32 s1, 0
	s_waitcnt vmcnt(0)
	v_cvt_f64_u32_e32 v[8:9], v5
	v_cvt_f64_u32_e32 v[4:5], v4
	s_delay_alu instid0(VALU_DEP_2) | instskip(NEXT) | instid1(VALU_DEP_1)
	v_ldexp_f64 v[8:9], v[8:9], 32
	v_add_f64 v[8:9], v[8:9], v[4:5]
	s_branch .LBB512_1484
.LBB512_1482:
	s_mov_b32 s3, -1
                                        ; implicit-def: $vgpr8_vgpr9
.LBB512_1483:
	s_mov_b32 s1, 0
.LBB512_1484:
	s_delay_alu instid0(SALU_CYCLE_1)
	s_and_b32 vcc_lo, exec_lo, s1
	s_cbranch_vccz .LBB512_1504
; %bb.1485:
	v_cmp_gt_i16_e32 vcc_lo, 27, v13
	s_cbranch_vccnz .LBB512_1488
; %bb.1486:
	v_cmp_lt_i16_e32 vcc_lo, 27, v13
	s_cbranch_vccz .LBB512_1489
; %bb.1487:
	global_load_b32 v4, v[2:3], off
	s_mov_b32 s0, 0
	s_waitcnt vmcnt(0)
	v_cvt_f64_u32_e32 v[8:9], v4
	s_branch .LBB512_1490
.LBB512_1488:
	s_mov_b32 s0, -1
                                        ; implicit-def: $vgpr8_vgpr9
	s_branch .LBB512_1493
.LBB512_1489:
	s_mov_b32 s0, -1
                                        ; implicit-def: $vgpr8_vgpr9
.LBB512_1490:
	s_delay_alu instid0(SALU_CYCLE_1)
	s_and_not1_b32 vcc_lo, exec_lo, s0
	s_cbranch_vccnz .LBB512_1492
; %bb.1491:
	global_load_u16 v4, v[2:3], off
	s_waitcnt vmcnt(0)
	v_cvt_f64_u32_e32 v[8:9], v4
.LBB512_1492:
	s_mov_b32 s0, 0
.LBB512_1493:
	s_delay_alu instid0(SALU_CYCLE_1)
	s_and_not1_b32 vcc_lo, exec_lo, s0
	s_cbranch_vccnz .LBB512_1503
; %bb.1494:
	global_load_u8 v4, v[2:3], off
	s_mov_b32 s7, 0
	s_mov_b32 s18, exec_lo
                                        ; implicit-def: $sgpr0_sgpr1
	s_waitcnt vmcnt(0)
	v_cmpx_lt_i16_e32 0x7f, v4
	s_xor_b32 s18, exec_lo, s18
	s_cbranch_execz .LBB512_1498
; %bb.1495:
	s_mov_b32 s19, -1
	s_mov_b32 s7, exec_lo
                                        ; implicit-def: $sgpr0_sgpr1
	v_cmpx_eq_u16_e32 0x80, v4
; %bb.1496:
	s_mov_b32 s1, 0x7ff80000
	s_brev_b32 s0, 4
	s_xor_b32 s19, exec_lo, -1
; %bb.1497:
	s_or_b32 exec_lo, exec_lo, s7
	s_delay_alu instid0(SALU_CYCLE_1)
	s_and_b32 s7, s19, exec_lo
.LBB512_1498:
	s_or_saveexec_b32 s18, s18
	v_dual_mov_b32 v9, s1 :: v_dual_mov_b32 v8, s0
	s_xor_b32 exec_lo, exec_lo, s18
; %bb.1499:
	v_cmp_ne_u16_e32 vcc_lo, 0, v4
	v_mov_b32_e32 v8, 0
	v_mov_b32_e32 v9, 0
	s_and_not1_b32 s0, s7, exec_lo
	s_and_b32 s1, vcc_lo, exec_lo
	s_delay_alu instid0(SALU_CYCLE_1)
	s_or_b32 s7, s0, s1
; %bb.1500:
	s_or_b32 exec_lo, exec_lo, s18
	s_and_saveexec_b32 s0, s7
	s_cbranch_execz .LBB512_1502
; %bb.1501:
	v_and_b32_e32 v5, 0xffff, v4
	v_lshlrev_b32_e32 v4, 24, v4
	s_delay_alu instid0(VALU_DEP_2) | instskip(NEXT) | instid1(VALU_DEP_2)
	v_and_b32_e32 v8, 7, v5
	v_and_b32_e32 v4, 0x80000000, v4
	s_delay_alu instid0(VALU_DEP_2) | instskip(NEXT) | instid1(VALU_DEP_1)
	v_clz_i32_u32_e32 v9, v8
	v_min_u32_e32 v9, 32, v9
	s_delay_alu instid0(VALU_DEP_1) | instskip(SKIP_1) | instid1(VALU_DEP_2)
	v_subrev_nc_u32_e32 v14, 28, v9
	v_sub_nc_u32_e32 v9, 29, v9
	v_lshlrev_b32_e32 v14, v14, v5
	v_bfe_u32 v5, v5, 3, 4
	s_delay_alu instid0(VALU_DEP_1) | instskip(NEXT) | instid1(VALU_DEP_3)
	v_cmp_eq_u32_e32 vcc_lo, 0, v5
	v_dual_cndmask_b32 v5, v5, v9 :: v_dual_and_b32 v14, 7, v14
	s_delay_alu instid0(VALU_DEP_1) | instskip(NEXT) | instid1(VALU_DEP_2)
	v_cndmask_b32_e32 v8, v8, v14, vcc_lo
	v_lshl_add_u32 v5, v5, 23, 0x3b800000
	s_delay_alu instid0(VALU_DEP_2) | instskip(NEXT) | instid1(VALU_DEP_1)
	v_lshlrev_b32_e32 v8, 20, v8
	v_or3_b32 v4, v4, v5, v8
	s_delay_alu instid0(VALU_DEP_1)
	v_cvt_f64_f32_e32 v[8:9], v4
.LBB512_1502:
	s_or_b32 exec_lo, exec_lo, s0
.LBB512_1503:
	s_mov_b32 s0, -1
.LBB512_1504:
	s_mov_b32 s1, 0
.LBB512_1505:
	s_delay_alu instid0(SALU_CYCLE_1)
	s_and_b32 vcc_lo, exec_lo, s1
	s_cbranch_vccz .LBB512_1536
; %bb.1506:
	v_cmp_lt_i16_e32 vcc_lo, 22, v13
	s_cbranch_vccz .LBB512_1518
; %bb.1507:
	v_cmp_gt_i16_e32 vcc_lo, 24, v13
	s_cbranch_vccnz .LBB512_1519
; %bb.1508:
	v_cmp_lt_i16_e32 vcc_lo, 24, v13
	s_cbranch_vccz .LBB512_1520
; %bb.1509:
	global_load_u8 v4, v[2:3], off
	s_mov_b32 s7, exec_lo
                                        ; implicit-def: $sgpr0_sgpr1
	s_waitcnt vmcnt(0)
	v_cmpx_lt_i16_e32 0x7f, v4
	s_xor_b32 s7, exec_lo, s7
	s_cbranch_execz .LBB512_1513
; %bb.1510:
	s_mov_b32 s18, -1
	s_mov_b32 s6, exec_lo
                                        ; implicit-def: $sgpr0_sgpr1
	v_cmpx_eq_u16_e32 0x80, v4
; %bb.1511:
	s_mov_b32 s1, 0x7ff80000
	s_brev_b32 s0, 4
	s_xor_b32 s18, exec_lo, -1
; %bb.1512:
	s_or_b32 exec_lo, exec_lo, s6
	s_delay_alu instid0(SALU_CYCLE_1)
	s_and_b32 s6, s18, exec_lo
.LBB512_1513:
	s_or_saveexec_b32 s7, s7
	v_dual_mov_b32 v9, s1 :: v_dual_mov_b32 v8, s0
	s_xor_b32 exec_lo, exec_lo, s7
; %bb.1514:
	v_cmp_ne_u16_e32 vcc_lo, 0, v4
	v_mov_b32_e32 v8, 0
	v_mov_b32_e32 v9, 0
	s_and_not1_b32 s0, s6, exec_lo
	s_and_b32 s1, vcc_lo, exec_lo
	s_delay_alu instid0(SALU_CYCLE_1)
	s_or_b32 s6, s0, s1
; %bb.1515:
	s_or_b32 exec_lo, exec_lo, s7
	s_and_saveexec_b32 s0, s6
	s_cbranch_execz .LBB512_1517
; %bb.1516:
	v_and_b32_e32 v5, 0xffff, v4
	v_lshlrev_b32_e32 v4, 24, v4
	s_delay_alu instid0(VALU_DEP_2) | instskip(NEXT) | instid1(VALU_DEP_2)
	v_and_b32_e32 v8, 3, v5
	v_and_b32_e32 v4, 0x80000000, v4
	s_delay_alu instid0(VALU_DEP_2) | instskip(NEXT) | instid1(VALU_DEP_1)
	v_clz_i32_u32_e32 v9, v8
	v_min_u32_e32 v9, 32, v9
	s_delay_alu instid0(VALU_DEP_1) | instskip(SKIP_1) | instid1(VALU_DEP_2)
	v_subrev_nc_u32_e32 v14, 29, v9
	v_sub_nc_u32_e32 v9, 30, v9
	v_lshlrev_b32_e32 v14, v14, v5
	v_bfe_u32 v5, v5, 2, 5
	s_delay_alu instid0(VALU_DEP_1) | instskip(NEXT) | instid1(VALU_DEP_3)
	v_cmp_eq_u32_e32 vcc_lo, 0, v5
	v_dual_cndmask_b32 v5, v5, v9 :: v_dual_and_b32 v14, 3, v14
	s_delay_alu instid0(VALU_DEP_1) | instskip(NEXT) | instid1(VALU_DEP_2)
	v_cndmask_b32_e32 v8, v8, v14, vcc_lo
	v_lshl_add_u32 v5, v5, 23, 0x37800000
	s_delay_alu instid0(VALU_DEP_2) | instskip(NEXT) | instid1(VALU_DEP_1)
	v_lshlrev_b32_e32 v8, 21, v8
	v_or3_b32 v4, v4, v5, v8
	s_delay_alu instid0(VALU_DEP_1)
	v_cvt_f64_f32_e32 v[8:9], v4
.LBB512_1517:
	s_or_b32 exec_lo, exec_lo, s0
	s_mov_b32 s0, 0
	s_branch .LBB512_1521
.LBB512_1518:
	s_mov_b32 s1, -1
                                        ; implicit-def: $vgpr8_vgpr9
	s_branch .LBB512_1527
.LBB512_1519:
	s_mov_b32 s0, -1
                                        ; implicit-def: $vgpr8_vgpr9
	s_branch .LBB512_1524
.LBB512_1520:
	s_mov_b32 s0, -1
                                        ; implicit-def: $vgpr8_vgpr9
.LBB512_1521:
	s_delay_alu instid0(SALU_CYCLE_1)
	s_and_b32 vcc_lo, exec_lo, s0
	s_cbranch_vccz .LBB512_1523
; %bb.1522:
	global_load_u8 v4, v[2:3], off
	s_waitcnt vmcnt(0)
	v_lshlrev_b32_e32 v4, 24, v4
	s_delay_alu instid0(VALU_DEP_1) | instskip(NEXT) | instid1(VALU_DEP_1)
	v_and_b32_e32 v5, 0x7f000000, v4
	v_clz_i32_u32_e32 v8, v5
	v_cmp_ne_u32_e32 vcc_lo, 0, v5
	v_add_nc_u32_e32 v14, 0x1000000, v5
	s_delay_alu instid0(VALU_DEP_3) | instskip(NEXT) | instid1(VALU_DEP_1)
	v_min_u32_e32 v8, 32, v8
	v_sub_nc_u32_e64 v8, v8, 4 clamp
	s_delay_alu instid0(VALU_DEP_1) | instskip(SKIP_1) | instid1(VALU_DEP_2)
	v_lshlrev_b32_e32 v9, v8, v5
	v_lshlrev_b32_e32 v8, 23, v8
	v_lshrrev_b32_e32 v9, 4, v9
	s_delay_alu instid0(VALU_DEP_1) | instskip(SKIP_1) | instid1(VALU_DEP_2)
	v_sub_nc_u32_e32 v8, v9, v8
	v_ashrrev_i32_e32 v9, 8, v14
	v_add_nc_u32_e32 v8, 0x3c000000, v8
	s_delay_alu instid0(VALU_DEP_1) | instskip(NEXT) | instid1(VALU_DEP_1)
	v_and_or_b32 v8, 0x7f800000, v9, v8
	v_cndmask_b32_e32 v5, 0, v8, vcc_lo
	s_delay_alu instid0(VALU_DEP_1) | instskip(NEXT) | instid1(VALU_DEP_1)
	v_and_or_b32 v4, 0x80000000, v4, v5
	v_cvt_f64_f32_e32 v[8:9], v4
.LBB512_1523:
	s_mov_b32 s0, 0
.LBB512_1524:
	s_delay_alu instid0(SALU_CYCLE_1)
	s_and_not1_b32 vcc_lo, exec_lo, s0
	s_cbranch_vccnz .LBB512_1526
; %bb.1525:
	global_load_u8 v4, v[2:3], off
	s_waitcnt vmcnt(0)
	v_lshlrev_b32_e32 v5, 25, v4
	v_lshlrev_b16 v4, 8, v4
	s_delay_alu instid0(VALU_DEP_2) | instskip(NEXT) | instid1(VALU_DEP_2)
	v_lshrrev_b32_e32 v8, 4, v5
	v_and_or_b32 v9, 0x7f00, v4, 0.5
	v_cmp_gt_u32_e32 vcc_lo, 0x8000000, v5
	v_bfe_i32 v4, v4, 0, 16
	s_delay_alu instid0(VALU_DEP_4) | instskip(NEXT) | instid1(VALU_DEP_1)
	v_or_b32_e32 v8, 0x70000000, v8
	v_dual_add_f32 v9, -0.5, v9 :: v_dual_mul_f32 v8, 0x7800000, v8
	s_delay_alu instid0(VALU_DEP_1) | instskip(NEXT) | instid1(VALU_DEP_1)
	v_cndmask_b32_e32 v5, v8, v9, vcc_lo
	v_and_or_b32 v4, 0x80000000, v4, v5
	s_delay_alu instid0(VALU_DEP_1)
	v_cvt_f64_f32_e32 v[8:9], v4
.LBB512_1526:
	s_mov_b32 s1, 0
	s_mov_b32 s0, -1
.LBB512_1527:
	s_and_not1_b32 vcc_lo, exec_lo, s1
	s_mov_b32 s6, 0
	s_cbranch_vccnz .LBB512_1536
; %bb.1528:
	v_cmp_lt_i16_e32 vcc_lo, 14, v13
	s_cbranch_vccz .LBB512_1531
; %bb.1529:
	v_cmp_eq_u16_e32 vcc_lo, 15, v13
	s_cbranch_vccz .LBB512_1532
; %bb.1530:
	global_load_u16 v4, v[2:3], off
	s_mov_b32 s3, 0
	s_mov_b32 s0, -1
	s_waitcnt vmcnt(0)
	v_lshlrev_b32_e32 v4, 16, v4
	s_delay_alu instid0(VALU_DEP_1)
	v_cvt_f64_f32_e32 v[8:9], v4
	s_branch .LBB512_1533
.LBB512_1531:
	s_mov_b32 s1, -1
                                        ; implicit-def: $vgpr8_vgpr9
	s_branch .LBB512_1534
.LBB512_1532:
	s_mov_b32 s3, -1
                                        ; implicit-def: $vgpr8_vgpr9
.LBB512_1533:
	s_mov_b32 s1, 0
.LBB512_1534:
	s_delay_alu instid0(SALU_CYCLE_1)
	s_and_b32 vcc_lo, exec_lo, s1
	s_cbranch_vccz .LBB512_1536
; %bb.1535:
	v_cmp_ne_u16_e64 s3, 11, v13
	s_mov_b32 s6, -1
                                        ; implicit-def: $vgpr8_vgpr9
.LBB512_1536:
	s_delay_alu instid0(VALU_DEP_1)
	s_and_b32 vcc_lo, exec_lo, s3
	s_cbranch_vccnz .LBB512_2074
; %bb.1537:
	s_and_not1_b32 vcc_lo, exec_lo, s6
	s_cbranch_vccnz .LBB512_1539
.LBB512_1538:
	global_load_u8 v4, v[2:3], off
	v_mov_b32_e32 v8, 0
	s_mov_b32 s0, -1
	s_waitcnt vmcnt(0)
	v_cmp_ne_u16_e32 vcc_lo, 0, v4
	v_cndmask_b32_e64 v9, 0, 0x3ff00000, vcc_lo
.LBB512_1539:
	s_mov_b32 s1, 0
.LBB512_1540:
	s_delay_alu instid0(SALU_CYCLE_1)
	s_and_b32 vcc_lo, exec_lo, s1
	s_cbranch_vccz .LBB512_1589
; %bb.1541:
	v_cmp_gt_i16_e32 vcc_lo, 5, v13
	s_cbranch_vccnz .LBB512_1546
; %bb.1542:
	v_cmp_gt_i16_e32 vcc_lo, 8, v13
	s_cbranch_vccnz .LBB512_1547
	;; [unrolled: 3-line block ×3, first 2 shown]
; %bb.1544:
	v_cmp_lt_i16_e32 vcc_lo, 9, v13
	s_cbranch_vccz .LBB512_1549
; %bb.1545:
	global_load_b64 v[8:9], v[2:3], off
	s_mov_b32 s0, 0
	s_branch .LBB512_1550
.LBB512_1546:
	s_mov_b32 s0, -1
                                        ; implicit-def: $vgpr8_vgpr9
	s_branch .LBB512_1568
.LBB512_1547:
	s_mov_b32 s0, -1
                                        ; implicit-def: $vgpr8_vgpr9
	s_branch .LBB512_1556
.LBB512_1548:
	s_mov_b32 s0, -1
                                        ; implicit-def: $vgpr8_vgpr9
	s_branch .LBB512_1553
.LBB512_1549:
	s_mov_b32 s0, -1
                                        ; implicit-def: $vgpr8_vgpr9
.LBB512_1550:
	s_delay_alu instid0(SALU_CYCLE_1)
	s_and_not1_b32 vcc_lo, exec_lo, s0
	s_cbranch_vccnz .LBB512_1552
; %bb.1551:
	global_load_b32 v4, v[2:3], off
	s_waitcnt vmcnt(0)
	v_cvt_f64_f32_e32 v[8:9], v4
.LBB512_1552:
	s_mov_b32 s0, 0
.LBB512_1553:
	s_delay_alu instid0(SALU_CYCLE_1)
	s_and_not1_b32 vcc_lo, exec_lo, s0
	s_cbranch_vccnz .LBB512_1555
; %bb.1554:
	global_load_b32 v4, v[2:3], off
	s_waitcnt vmcnt(0)
	v_cvt_f32_f16_e32 v4, v4
	s_delay_alu instid0(VALU_DEP_1)
	v_cvt_f64_f32_e32 v[8:9], v4
.LBB512_1555:
	s_mov_b32 s0, 0
.LBB512_1556:
	s_delay_alu instid0(SALU_CYCLE_1)
	s_and_not1_b32 vcc_lo, exec_lo, s0
	s_cbranch_vccnz .LBB512_1567
; %bb.1557:
	v_cmp_gt_i16_e32 vcc_lo, 6, v13
	s_cbranch_vccnz .LBB512_1560
; %bb.1558:
	v_cmp_lt_i16_e32 vcc_lo, 6, v13
	s_cbranch_vccz .LBB512_1561
; %bb.1559:
	global_load_b64 v[8:9], v[2:3], off
	s_mov_b32 s0, 0
	s_branch .LBB512_1562
.LBB512_1560:
	s_mov_b32 s0, -1
                                        ; implicit-def: $vgpr8_vgpr9
	s_branch .LBB512_1565
.LBB512_1561:
	s_mov_b32 s0, -1
                                        ; implicit-def: $vgpr8_vgpr9
.LBB512_1562:
	s_delay_alu instid0(SALU_CYCLE_1)
	s_and_not1_b32 vcc_lo, exec_lo, s0
	s_cbranch_vccnz .LBB512_1564
; %bb.1563:
	global_load_b32 v4, v[2:3], off
	s_waitcnt vmcnt(0)
	v_cvt_f64_f32_e32 v[8:9], v4
.LBB512_1564:
	s_mov_b32 s0, 0
.LBB512_1565:
	s_delay_alu instid0(SALU_CYCLE_1)
	s_and_not1_b32 vcc_lo, exec_lo, s0
	s_cbranch_vccnz .LBB512_1567
; %bb.1566:
	global_load_u16 v4, v[2:3], off
	s_waitcnt vmcnt(0)
	v_cvt_f32_f16_e32 v4, v4
	s_delay_alu instid0(VALU_DEP_1)
	v_cvt_f64_f32_e32 v[8:9], v4
.LBB512_1567:
	s_mov_b32 s0, 0
.LBB512_1568:
	s_delay_alu instid0(SALU_CYCLE_1)
	s_and_not1_b32 vcc_lo, exec_lo, s0
	s_cbranch_vccnz .LBB512_1588
; %bb.1569:
	v_cmp_gt_i16_e32 vcc_lo, 2, v13
	s_cbranch_vccnz .LBB512_1573
; %bb.1570:
	v_cmp_gt_i16_e32 vcc_lo, 3, v13
	s_cbranch_vccnz .LBB512_1574
; %bb.1571:
	v_cmp_lt_i16_e32 vcc_lo, 3, v13
	s_cbranch_vccz .LBB512_1575
; %bb.1572:
	global_load_b64 v[4:5], v[2:3], off
	s_mov_b32 s0, 0
	s_waitcnt vmcnt(0)
	v_cvt_f64_i32_e32 v[8:9], v5
	v_cvt_f64_u32_e32 v[4:5], v4
	s_delay_alu instid0(VALU_DEP_2) | instskip(NEXT) | instid1(VALU_DEP_1)
	v_ldexp_f64 v[8:9], v[8:9], 32
	v_add_f64 v[8:9], v[8:9], v[4:5]
	s_branch .LBB512_1576
.LBB512_1573:
	s_mov_b32 s0, -1
                                        ; implicit-def: $vgpr8_vgpr9
	s_branch .LBB512_1582
.LBB512_1574:
	s_mov_b32 s0, -1
                                        ; implicit-def: $vgpr8_vgpr9
	s_branch .LBB512_1579
.LBB512_1575:
	s_mov_b32 s0, -1
                                        ; implicit-def: $vgpr8_vgpr9
.LBB512_1576:
	s_delay_alu instid0(SALU_CYCLE_1)
	s_and_not1_b32 vcc_lo, exec_lo, s0
	s_cbranch_vccnz .LBB512_1578
; %bb.1577:
	global_load_b32 v4, v[2:3], off
	s_waitcnt vmcnt(0)
	v_cvt_f64_i32_e32 v[8:9], v4
.LBB512_1578:
	s_mov_b32 s0, 0
.LBB512_1579:
	s_delay_alu instid0(SALU_CYCLE_1)
	s_and_not1_b32 vcc_lo, exec_lo, s0
	s_cbranch_vccnz .LBB512_1581
; %bb.1580:
	global_load_i16 v4, v[2:3], off
	s_waitcnt vmcnt(0)
	v_cvt_f64_i32_e32 v[8:9], v4
.LBB512_1581:
	s_mov_b32 s0, 0
.LBB512_1582:
	s_delay_alu instid0(SALU_CYCLE_1)
	s_and_not1_b32 vcc_lo, exec_lo, s0
	s_cbranch_vccnz .LBB512_1588
; %bb.1583:
	v_cmp_lt_i16_e32 vcc_lo, 0, v13
	s_mov_b32 s0, 0
	s_cbranch_vccz .LBB512_1585
; %bb.1584:
	global_load_i8 v4, v[2:3], off
	s_waitcnt vmcnt(0)
	v_cvt_f64_i32_e32 v[8:9], v4
	s_branch .LBB512_1586
.LBB512_1585:
	s_mov_b32 s0, -1
                                        ; implicit-def: $vgpr8_vgpr9
.LBB512_1586:
	s_delay_alu instid0(SALU_CYCLE_1)
	s_and_not1_b32 vcc_lo, exec_lo, s0
	s_cbranch_vccnz .LBB512_1588
; %bb.1587:
	global_load_u8 v2, v[2:3], off
	s_waitcnt vmcnt(0)
	v_cvt_f64_u32_e32 v[8:9], v2
.LBB512_1588:
	s_mov_b32 s0, -1
.LBB512_1589:
	s_delay_alu instid0(SALU_CYCLE_1)
	s_and_not1_b32 vcc_lo, exec_lo, s0
	s_cbranch_vccnz .LBB512_1672
; %bb.1590:
	v_dual_mov_b32 v4, s8 :: v_dual_mov_b32 v5, s9
	s_mov_b32 s0, exec_lo
	s_waitcnt vmcnt(0)
	s_delay_alu instid0(VALU_DEP_2)
	v_cmpx_o_f64_e32 v[8:9], v[8:9]
	s_cbranch_execz .LBB512_1594
; %bb.1591:
	v_dual_mov_b32 v4, s10 :: v_dual_mov_b32 v5, s11
	s_mov_b32 s1, exec_lo
	v_cmpx_neq_f64_e32 0x7ff00000, v[8:9]
; %bb.1592:
	v_cmp_eq_f64_e32 vcc_lo, 0xfff00000, v[8:9]
	v_cndmask_b32_e64 v5, v9, s13, vcc_lo
	v_cndmask_b32_e64 v4, v8, s12, vcc_lo
; %bb.1593:
	s_or_b32 exec_lo, exec_lo, s1
.LBB512_1594:
	s_delay_alu instid0(SALU_CYCLE_1) | instskip(SKIP_2) | instid1(VALU_DEP_1)
	s_or_b32 exec_lo, exec_lo, s0
	v_mul_lo_u32 v12, s2, v12
	v_and_b32_e64 v14, 0xff, s14
	v_cmp_gt_i16_e32 vcc_lo, 11, v14
	s_delay_alu instid0(VALU_DEP_3) | instskip(SKIP_1) | instid1(VALU_DEP_1)
	v_ashrrev_i32_e32 v2, 31, v12
	v_add_co_u32 v8, s0, s4, v12
	v_add_co_ci_u32_e64 v9, s0, s5, v2, s0
	s_cbranch_vccnz .LBB512_1717
; %bb.1595:
	v_cmp_lt_i16_e32 vcc_lo, 25, v14
	s_mov_b32 s6, -1
	s_mov_b32 s1, 0
	s_mov_b32 s3, 0
	;; [unrolled: 1-line block ×3, first 2 shown]
	s_cbranch_vccz .LBB512_1628
; %bb.1596:
	v_cmp_lt_i16_e32 vcc_lo, 28, v14
	s_cbranch_vccz .LBB512_1611
; %bb.1597:
	v_cmp_lt_i16_e32 vcc_lo, 43, v14
	;; [unrolled: 3-line block ×3, first 2 shown]
	s_cbranch_vccz .LBB512_1601
; %bb.1599:
	v_cmp_eq_u16_e32 vcc_lo, 46, v14
	s_mov_b32 s0, -1
	s_mov_b32 s6, 0
	s_cbranch_vccz .LBB512_1601
; %bb.1600:
	v_cvt_f32_f64_e32 v2, v[0:1]
	s_mov_b32 s0, 0
	s_mov_b32 s3, -1
	s_delay_alu instid0(VALU_DEP_1) | instskip(SKIP_1) | instid1(VALU_DEP_2)
	v_bfe_u32 v3, v2, 16, 1
	v_cmp_o_f32_e32 vcc_lo, v2, v2
	v_add3_u32 v3, v2, v3, 0x7fff
	s_delay_alu instid0(VALU_DEP_1) | instskip(NEXT) | instid1(VALU_DEP_1)
	v_lshrrev_b32_e32 v3, 16, v3
	v_cndmask_b32_e32 v2, 0x7fc0, v3, vcc_lo
	global_store_b32 v[8:9], v2, off
.LBB512_1601:
	s_and_b32 vcc_lo, exec_lo, s6
	s_cbranch_vccz .LBB512_1606
; %bb.1602:
	v_cmp_eq_u16_e32 vcc_lo, 44, v14
	s_mov_b32 s0, -1
	s_cbranch_vccz .LBB512_1606
; %bb.1603:
	v_cvt_f32_f64_e32 v2, v[0:1]
	v_mov_b32_e32 v3, 0xff
	s_mov_b32 s3, exec_lo
	s_delay_alu instid0(VALU_DEP_2) | instskip(NEXT) | instid1(VALU_DEP_1)
	v_bfe_u32 v13, v2, 23, 8
	v_cmpx_ne_u32_e32 0xff, v13
; %bb.1604:
	v_and_b32_e32 v3, 0x400000, v2
	v_and_or_b32 v13, 0x3fffff, v2, v13
	v_lshrrev_b32_e32 v2, 23, v2
	s_delay_alu instid0(VALU_DEP_3) | instskip(NEXT) | instid1(VALU_DEP_3)
	v_cmp_ne_u32_e32 vcc_lo, 0, v3
	v_cmp_ne_u32_e64 s0, 0, v13
	s_delay_alu instid0(VALU_DEP_1) | instskip(NEXT) | instid1(SALU_CYCLE_1)
	s_and_b32 s0, vcc_lo, s0
	v_cndmask_b32_e64 v3, 0, 1, s0
	s_delay_alu instid0(VALU_DEP_1)
	v_add_nc_u32_e32 v3, v2, v3
; %bb.1605:
	s_or_b32 exec_lo, exec_lo, s3
	s_mov_b32 s0, 0
	s_mov_b32 s3, -1
	global_store_b8 v[8:9], v3, off
.LBB512_1606:
	s_mov_b32 s6, 0
.LBB512_1607:
	s_delay_alu instid0(SALU_CYCLE_1)
	s_and_b32 vcc_lo, exec_lo, s6
	s_cbranch_vccz .LBB512_1610
; %bb.1608:
	v_cmp_eq_u16_e32 vcc_lo, 29, v14
	s_mov_b32 s0, -1
	s_cbranch_vccz .LBB512_1610
; %bb.1609:
	v_trunc_f64_e32 v[2:3], v[0:1]
	s_mov_b32 s0, 0
	s_mov_b32 s3, -1
	s_delay_alu instid0(VALU_DEP_1) | instskip(NEXT) | instid1(VALU_DEP_1)
	v_ldexp_f64 v[15:16], v[2:3], 0xffffffe0
	v_floor_f64_e32 v[15:16], v[15:16]
	s_delay_alu instid0(VALU_DEP_1) | instskip(SKIP_1) | instid1(VALU_DEP_2)
	v_fma_f64 v[2:3], 0xc1f00000, v[15:16], v[2:3]
	v_cvt_u32_f64_e32 v16, v[15:16]
	v_cvt_u32_f64_e32 v15, v[2:3]
	global_store_b64 v[8:9], v[15:16], off
.LBB512_1610:
	s_mov_b32 s6, 0
.LBB512_1611:
	s_delay_alu instid0(SALU_CYCLE_1)
	s_and_b32 vcc_lo, exec_lo, s6
	s_cbranch_vccz .LBB512_1627
; %bb.1612:
	v_cmp_gt_i16_e32 vcc_lo, 27, v14
	s_mov_b32 s3, -1
	s_cbranch_vccnz .LBB512_1618
; %bb.1613:
	v_cvt_u32_f64_e32 v2, v[0:1]
	v_cmp_lt_i16_e32 vcc_lo, 27, v14
	s_cbranch_vccz .LBB512_1615
; %bb.1614:
	s_mov_b32 s3, 0
	global_store_b32 v[8:9], v2, off
.LBB512_1615:
	s_and_not1_b32 vcc_lo, exec_lo, s3
	s_cbranch_vccnz .LBB512_1617
; %bb.1616:
	global_store_b16 v[8:9], v2, off
.LBB512_1617:
	s_mov_b32 s3, 0
.LBB512_1618:
	s_delay_alu instid0(SALU_CYCLE_1)
	s_and_not1_b32 vcc_lo, exec_lo, s3
	s_cbranch_vccnz .LBB512_1626
; %bb.1619:
	v_cvt_f32_f64_e32 v2, v[0:1]
	v_mov_b32_e32 v13, 0x80
	s_mov_b32 s3, exec_lo
	s_delay_alu instid0(VALU_DEP_2) | instskip(NEXT) | instid1(VALU_DEP_1)
	v_and_b32_e32 v3, 0x7fffffff, v2
	v_cmpx_gt_u32_e32 0x43800000, v3
	s_cbranch_execz .LBB512_1625
; %bb.1620:
	v_cmp_lt_u32_e32 vcc_lo, 0x3bffffff, v3
	s_mov_b32 s6, 0
                                        ; implicit-def: $vgpr3
	s_and_saveexec_b32 s7, vcc_lo
	s_delay_alu instid0(SALU_CYCLE_1)
	s_xor_b32 s7, exec_lo, s7
	s_cbranch_execz .LBB512_2076
; %bb.1621:
	v_bfe_u32 v3, v2, 20, 1
	s_mov_b32 s6, exec_lo
	s_delay_alu instid0(VALU_DEP_1) | instskip(NEXT) | instid1(VALU_DEP_1)
	v_add3_u32 v3, v2, v3, 0x487ffff
	v_lshrrev_b32_e32 v3, 20, v3
	s_or_saveexec_b32 s7, s7
                                        ; implicit-def: $sgpr8
	s_delay_alu instid0(SALU_CYCLE_1)
	s_xor_b32 exec_lo, exec_lo, s7
	s_cbranch_execnz .LBB512_2077
.LBB512_1622:
	s_or_b32 exec_lo, exec_lo, s7
	v_mov_b32_e32 v13, s8
	s_and_saveexec_b32 s7, s6
.LBB512_1623:
	v_lshrrev_b32_e32 v2, 24, v2
	s_delay_alu instid0(VALU_DEP_1)
	v_and_or_b32 v13, 0x80, v2, v3
.LBB512_1624:
	s_or_b32 exec_lo, exec_lo, s7
.LBB512_1625:
	s_delay_alu instid0(SALU_CYCLE_1)
	s_or_b32 exec_lo, exec_lo, s3
	global_store_b8 v[8:9], v13, off
.LBB512_1626:
	s_mov_b32 s3, -1
.LBB512_1627:
	s_mov_b32 s6, 0
.LBB512_1628:
	s_delay_alu instid0(SALU_CYCLE_1)
	s_and_b32 vcc_lo, exec_lo, s6
	s_cbranch_vccz .LBB512_1668
; %bb.1629:
	v_cmp_lt_i16_e32 vcc_lo, 22, v14
	s_mov_b32 s1, -1
	s_cbranch_vccz .LBB512_1661
; %bb.1630:
	v_cmp_gt_i16_e32 vcc_lo, 24, v14
	s_cbranch_vccnz .LBB512_1650
; %bb.1631:
	v_cmp_lt_i16_e32 vcc_lo, 24, v14
	s_cbranch_vccz .LBB512_1639
; %bb.1632:
	v_cvt_f32_f64_e32 v2, v[0:1]
	v_mov_b32_e32 v13, 0x80
	s_mov_b32 s1, exec_lo
	s_delay_alu instid0(VALU_DEP_2) | instskip(NEXT) | instid1(VALU_DEP_1)
	v_and_b32_e32 v3, 0x7fffffff, v2
	v_cmpx_gt_u32_e32 0x47800000, v3
	s_cbranch_execz .LBB512_1638
; %bb.1633:
	v_cmp_lt_u32_e32 vcc_lo, 0x37ffffff, v3
	s_mov_b32 s3, 0
                                        ; implicit-def: $vgpr3
	s_and_saveexec_b32 s6, vcc_lo
	s_delay_alu instid0(SALU_CYCLE_1)
	s_xor_b32 s6, exec_lo, s6
	s_cbranch_execz .LBB512_2082
; %bb.1634:
	v_bfe_u32 v3, v2, 21, 1
	s_mov_b32 s3, exec_lo
	s_delay_alu instid0(VALU_DEP_1) | instskip(NEXT) | instid1(VALU_DEP_1)
	v_add3_u32 v3, v2, v3, 0x88fffff
	v_lshrrev_b32_e32 v3, 21, v3
	s_or_saveexec_b32 s6, s6
                                        ; implicit-def: $sgpr7
	s_delay_alu instid0(SALU_CYCLE_1)
	s_xor_b32 exec_lo, exec_lo, s6
	s_cbranch_execnz .LBB512_2083
.LBB512_1635:
	s_or_b32 exec_lo, exec_lo, s6
	v_mov_b32_e32 v13, s7
	s_and_saveexec_b32 s6, s3
.LBB512_1636:
	v_lshrrev_b32_e32 v2, 24, v2
	s_delay_alu instid0(VALU_DEP_1)
	v_and_or_b32 v13, 0x80, v2, v3
.LBB512_1637:
	s_or_b32 exec_lo, exec_lo, s6
.LBB512_1638:
	s_delay_alu instid0(SALU_CYCLE_1)
	s_or_b32 exec_lo, exec_lo, s1
	s_mov_b32 s1, 0
	global_store_b8 v[8:9], v13, off
.LBB512_1639:
	s_and_b32 vcc_lo, exec_lo, s1
	s_cbranch_vccz .LBB512_1649
; %bb.1640:
	v_cvt_f32_f64_e32 v2, v[0:1]
	s_mov_b32 s1, exec_lo
                                        ; implicit-def: $vgpr3
	s_delay_alu instid0(VALU_DEP_1) | instskip(NEXT) | instid1(VALU_DEP_1)
	v_and_b32_e32 v13, 0x7fffffff, v2
	v_cmpx_gt_u32_e32 0x43f00000, v13
	s_xor_b32 s1, exec_lo, s1
	s_cbranch_execz .LBB512_1646
; %bb.1641:
	s_mov_b32 s3, exec_lo
                                        ; implicit-def: $vgpr3
	v_cmpx_lt_u32_e32 0x3c7fffff, v13
	s_xor_b32 s3, exec_lo, s3
; %bb.1642:
	v_bfe_u32 v3, v2, 20, 1
	s_delay_alu instid0(VALU_DEP_1) | instskip(NEXT) | instid1(VALU_DEP_1)
	v_add3_u32 v3, v2, v3, 0x407ffff
	v_and_b32_e32 v13, 0xff00000, v3
	v_lshrrev_b32_e32 v3, 20, v3
	s_delay_alu instid0(VALU_DEP_2) | instskip(NEXT) | instid1(VALU_DEP_2)
	v_cmp_ne_u32_e32 vcc_lo, 0x7f00000, v13
	v_cndmask_b32_e32 v3, 0x7e, v3, vcc_lo
; %bb.1643:
	s_and_not1_saveexec_b32 s3, s3
; %bb.1644:
	v_add_f32_e64 v3, 0x46800000, |v2|
; %bb.1645:
	s_or_b32 exec_lo, exec_lo, s3
                                        ; implicit-def: $vgpr13
.LBB512_1646:
	s_and_not1_saveexec_b32 s1, s1
; %bb.1647:
	v_mov_b32_e32 v3, 0x7f
	v_cmp_lt_u32_e32 vcc_lo, 0x7f800000, v13
	s_delay_alu instid0(VALU_DEP_2)
	v_cndmask_b32_e32 v3, 0x7e, v3, vcc_lo
; %bb.1648:
	s_or_b32 exec_lo, exec_lo, s1
	v_lshrrev_b32_e32 v2, 24, v2
	s_delay_alu instid0(VALU_DEP_1)
	v_and_or_b32 v2, 0x80, v2, v3
	global_store_b8 v[8:9], v2, off
.LBB512_1649:
	s_mov_b32 s1, 0
.LBB512_1650:
	s_delay_alu instid0(SALU_CYCLE_1)
	s_and_not1_b32 vcc_lo, exec_lo, s1
	s_cbranch_vccnz .LBB512_1660
; %bb.1651:
	v_cvt_f32_f64_e32 v2, v[0:1]
	s_mov_b32 s1, exec_lo
                                        ; implicit-def: $vgpr3
	s_delay_alu instid0(VALU_DEP_1) | instskip(NEXT) | instid1(VALU_DEP_1)
	v_and_b32_e32 v13, 0x7fffffff, v2
	v_cmpx_gt_u32_e32 0x47800000, v13
	s_xor_b32 s1, exec_lo, s1
	s_cbranch_execz .LBB512_1657
; %bb.1652:
	s_mov_b32 s3, exec_lo
                                        ; implicit-def: $vgpr3
	v_cmpx_lt_u32_e32 0x387fffff, v13
	s_xor_b32 s3, exec_lo, s3
; %bb.1653:
	v_bfe_u32 v3, v2, 21, 1
	s_delay_alu instid0(VALU_DEP_1) | instskip(NEXT) | instid1(VALU_DEP_1)
	v_add3_u32 v3, v2, v3, 0x80fffff
	v_lshrrev_b32_e32 v3, 21, v3
; %bb.1654:
	s_and_not1_saveexec_b32 s3, s3
; %bb.1655:
	v_add_f32_e64 v3, 0x43000000, |v2|
; %bb.1656:
	s_or_b32 exec_lo, exec_lo, s3
                                        ; implicit-def: $vgpr13
.LBB512_1657:
	s_and_not1_saveexec_b32 s1, s1
; %bb.1658:
	v_mov_b32_e32 v3, 0x7f
	v_cmp_lt_u32_e32 vcc_lo, 0x7f800000, v13
	s_delay_alu instid0(VALU_DEP_2)
	v_cndmask_b32_e32 v3, 0x7c, v3, vcc_lo
; %bb.1659:
	s_or_b32 exec_lo, exec_lo, s1
	v_lshrrev_b32_e32 v2, 24, v2
	s_delay_alu instid0(VALU_DEP_1)
	v_and_or_b32 v2, 0x80, v2, v3
	global_store_b8 v[8:9], v2, off
.LBB512_1660:
	s_mov_b32 s1, 0
	s_mov_b32 s3, -1
.LBB512_1661:
	s_and_not1_b32 vcc_lo, exec_lo, s1
	s_mov_b32 s1, 0
	s_cbranch_vccnz .LBB512_1668
; %bb.1662:
	v_cmp_lt_i16_e32 vcc_lo, 14, v14
	s_mov_b32 s1, -1
	s_cbranch_vccz .LBB512_1666
; %bb.1663:
	v_cmp_eq_u16_e32 vcc_lo, 15, v14
	s_mov_b32 s0, -1
	s_cbranch_vccz .LBB512_1665
; %bb.1664:
	v_cvt_f32_f64_e32 v2, v[0:1]
	s_mov_b32 s0, 0
	s_mov_b32 s3, -1
	s_delay_alu instid0(VALU_DEP_1) | instskip(SKIP_1) | instid1(VALU_DEP_2)
	v_bfe_u32 v3, v2, 16, 1
	v_cmp_o_f32_e32 vcc_lo, v2, v2
	v_add3_u32 v3, v2, v3, 0x7fff
	s_delay_alu instid0(VALU_DEP_1) | instskip(NEXT) | instid1(VALU_DEP_1)
	v_lshrrev_b32_e32 v3, 16, v3
	v_cndmask_b32_e32 v2, 0x7fc0, v3, vcc_lo
	global_store_b16 v[8:9], v2, off
.LBB512_1665:
	s_mov_b32 s1, 0
.LBB512_1666:
	s_delay_alu instid0(SALU_CYCLE_1)
	s_and_b32 vcc_lo, exec_lo, s1
	s_mov_b32 s1, 0
	s_cbranch_vccz .LBB512_1668
; %bb.1667:
	v_cmp_ne_u16_e64 s0, 11, v14
	s_mov_b32 s1, -1
.LBB512_1668:
	s_delay_alu instid0(VALU_DEP_1)
	s_and_b32 vcc_lo, exec_lo, s0
	s_cbranch_vccnz .LBB512_2080
; %bb.1669:
	s_and_not1_b32 vcc_lo, exec_lo, s1
	s_cbranch_vccnz .LBB512_1671
.LBB512_1670:
	v_cmp_neq_f64_e32 vcc_lo, 0, v[0:1]
	s_mov_b32 s3, -1
	v_cndmask_b32_e64 v2, 0, 1, vcc_lo
	global_store_b8 v[8:9], v2, off
.LBB512_1671:
	s_mov_b32 s0, 0
	s_branch .LBB512_1718
.LBB512_1672:
	s_mov_b32 s0, 0
	s_mov_b32 s1, 0
                                        ; implicit-def: $vgpr14
                                        ; implicit-def: $vgpr0_vgpr1
                                        ; implicit-def: $vgpr4_vgpr5
.LBB512_1673:
	s_and_not1_b32 s2, s17, exec_lo
	s_and_b32 s3, s15, exec_lo
	s_and_b32 s0, s0, exec_lo
	;; [unrolled: 1-line block ×3, first 2 shown]
	s_or_b32 s17, s2, s3
.LBB512_1674:
	s_or_b32 exec_lo, exec_lo, s16
	s_and_saveexec_b32 s1, s17
	s_cbranch_execz .LBB512_1677
; %bb.1675:
	; divergent unreachable
	s_or_b32 exec_lo, exec_lo, s1
	s_and_saveexec_b32 s1, s15
	s_delay_alu instid0(SALU_CYCLE_1)
	s_xor_b32 s1, exec_lo, s1
	s_cbranch_execnz .LBB512_1678
.LBB512_1676:
	s_or_b32 exec_lo, exec_lo, s1
	s_and_saveexec_b32 s1, s0
	s_cbranch_execnz .LBB512_1679
	s_branch .LBB512_1716
.LBB512_1677:
	s_or_b32 exec_lo, exec_lo, s1
	s_and_saveexec_b32 s1, s15
	s_delay_alu instid0(SALU_CYCLE_1)
	s_xor_b32 s1, exec_lo, s1
	s_cbranch_execz .LBB512_1676
.LBB512_1678:
	s_waitcnt vmcnt(0)
	s_delay_alu instid0(VALU_DEP_1)
	v_cmp_neq_f64_e32 vcc_lo, 0, v[4:5]
	v_cndmask_b32_e64 v2, 0, 1, vcc_lo
	global_store_b8 v[0:1], v2, off
	s_or_b32 exec_lo, exec_lo, s1
	s_and_saveexec_b32 s1, s0
	s_cbranch_execz .LBB512_1716
.LBB512_1679:
	v_cmp_gt_i16_e32 vcc_lo, 5, v14
	s_mov_b32 s0, -1
	s_cbranch_vccnz .LBB512_1700
; %bb.1680:
	v_cmp_gt_i16_e32 vcc_lo, 8, v14
	s_cbranch_vccnz .LBB512_1690
; %bb.1681:
	v_cmp_gt_i16_e32 vcc_lo, 9, v14
	s_cbranch_vccnz .LBB512_1687
; %bb.1682:
	v_cmp_lt_i16_e32 vcc_lo, 9, v14
	s_cbranch_vccz .LBB512_1684
; %bb.1683:
	v_mov_b32_e32 v6, 0
	s_mov_b32 s0, 0
	s_delay_alu instid0(VALU_DEP_1)
	v_mov_b32_e32 v7, v6
	s_waitcnt vmcnt(0)
	global_store_b128 v[0:1], v[4:7], off
.LBB512_1684:
	s_and_not1_b32 vcc_lo, exec_lo, s0
	s_cbranch_vccnz .LBB512_1686
; %bb.1685:
	s_waitcnt vmcnt(0)
	v_cvt_f32_f64_e32 v2, v[4:5]
	v_mov_b32_e32 v3, 0
	global_store_b64 v[0:1], v[2:3], off
.LBB512_1686:
	s_mov_b32 s0, 0
.LBB512_1687:
	s_delay_alu instid0(SALU_CYCLE_1)
	s_and_not1_b32 vcc_lo, exec_lo, s0
	s_cbranch_vccnz .LBB512_1689
; %bb.1688:
	s_waitcnt vmcnt(0)
	v_cvt_f32_f64_e32 v2, v[4:5]
	s_delay_alu instid0(VALU_DEP_1) | instskip(NEXT) | instid1(VALU_DEP_1)
	v_cvt_f16_f32_e32 v2, v2
	v_and_b32_e32 v2, 0xffff, v2
	global_store_b32 v[0:1], v2, off
.LBB512_1689:
	s_mov_b32 s0, 0
.LBB512_1690:
	s_delay_alu instid0(SALU_CYCLE_1)
	s_and_not1_b32 vcc_lo, exec_lo, s0
	s_cbranch_vccnz .LBB512_1699
; %bb.1691:
	v_cmp_gt_i16_e32 vcc_lo, 6, v14
	s_mov_b32 s0, -1
	s_cbranch_vccnz .LBB512_1697
; %bb.1692:
	v_cmp_lt_i16_e32 vcc_lo, 6, v14
	s_cbranch_vccz .LBB512_1694
; %bb.1693:
	s_mov_b32 s0, 0
	s_waitcnt vmcnt(0)
	global_store_b64 v[0:1], v[4:5], off
.LBB512_1694:
	s_and_not1_b32 vcc_lo, exec_lo, s0
	s_cbranch_vccnz .LBB512_1696
; %bb.1695:
	s_waitcnt vmcnt(0)
	v_cvt_f32_f64_e32 v2, v[4:5]
	global_store_b32 v[0:1], v2, off
.LBB512_1696:
	s_mov_b32 s0, 0
.LBB512_1697:
	s_delay_alu instid0(SALU_CYCLE_1)
	s_and_not1_b32 vcc_lo, exec_lo, s0
	s_cbranch_vccnz .LBB512_1699
; %bb.1698:
	s_waitcnt vmcnt(0)
	v_cvt_f32_f64_e32 v2, v[4:5]
	s_delay_alu instid0(VALU_DEP_1)
	v_cvt_f16_f32_e32 v2, v2
	global_store_b16 v[0:1], v2, off
.LBB512_1699:
	s_mov_b32 s0, 0
.LBB512_1700:
	s_delay_alu instid0(SALU_CYCLE_1)
	s_and_not1_b32 vcc_lo, exec_lo, s0
	s_cbranch_vccnz .LBB512_1716
; %bb.1701:
	v_cmp_gt_i16_e32 vcc_lo, 2, v14
	s_mov_b32 s0, -1
	s_cbranch_vccnz .LBB512_1711
; %bb.1702:
	v_cmp_gt_i16_e32 vcc_lo, 3, v14
	s_cbranch_vccnz .LBB512_1708
; %bb.1703:
	v_cmp_lt_i16_e32 vcc_lo, 3, v14
	s_cbranch_vccz .LBB512_1705
; %bb.1704:
	s_waitcnt vmcnt(0)
	v_trunc_f64_e32 v[2:3], v[4:5]
	s_mov_b32 s0, 0
	s_delay_alu instid0(VALU_DEP_1) | instskip(NEXT) | instid1(VALU_DEP_1)
	v_ldexp_f64 v[6:7], v[2:3], 0xffffffe0
	v_floor_f64_e32 v[6:7], v[6:7]
	s_delay_alu instid0(VALU_DEP_1) | instskip(SKIP_1) | instid1(VALU_DEP_2)
	v_fma_f64 v[2:3], 0xc1f00000, v[6:7], v[2:3]
	v_cvt_i32_f64_e32 v7, v[6:7]
	v_cvt_u32_f64_e32 v6, v[2:3]
	global_store_b64 v[0:1], v[6:7], off
.LBB512_1705:
	s_and_not1_b32 vcc_lo, exec_lo, s0
	s_cbranch_vccnz .LBB512_1707
; %bb.1706:
	s_waitcnt vmcnt(0)
	v_cvt_i32_f64_e32 v2, v[4:5]
	global_store_b32 v[0:1], v2, off
.LBB512_1707:
	s_mov_b32 s0, 0
.LBB512_1708:
	s_delay_alu instid0(SALU_CYCLE_1)
	s_and_not1_b32 vcc_lo, exec_lo, s0
	s_cbranch_vccnz .LBB512_1710
; %bb.1709:
	s_waitcnt vmcnt(0)
	v_cvt_i32_f64_e32 v2, v[4:5]
	global_store_b16 v[0:1], v2, off
.LBB512_1710:
	s_mov_b32 s0, 0
.LBB512_1711:
	s_delay_alu instid0(SALU_CYCLE_1)
	s_and_not1_b32 vcc_lo, exec_lo, s0
	s_cbranch_vccnz .LBB512_1716
; %bb.1712:
	v_cmp_lt_i16_e32 vcc_lo, 0, v14
	s_mov_b32 s0, -1
	s_cbranch_vccz .LBB512_1714
; %bb.1713:
	s_waitcnt vmcnt(0)
	v_cvt_i32_f64_e32 v2, v[4:5]
	s_mov_b32 s0, 0
	global_store_b8 v[0:1], v2, off
.LBB512_1714:
	s_and_not1_b32 vcc_lo, exec_lo, s0
	s_cbranch_vccnz .LBB512_1716
; %bb.1715:
	s_waitcnt vmcnt(0)
	v_trunc_f64_e32 v[2:3], v[4:5]
	s_delay_alu instid0(VALU_DEP_1) | instskip(NEXT) | instid1(VALU_DEP_1)
	v_ldexp_f64 v[4:5], v[2:3], 0xffffffe0
	v_floor_f64_e32 v[4:5], v[4:5]
	s_delay_alu instid0(VALU_DEP_1) | instskip(NEXT) | instid1(VALU_DEP_1)
	v_fma_f64 v[2:3], 0xc1f00000, v[4:5], v[2:3]
	v_cvt_u32_f64_e32 v2, v[2:3]
	global_store_b8 v[0:1], v2, off
	s_nop 0
	s_sendmsg sendmsg(MSG_DEALLOC_VGPRS)
	s_endpgm
.LBB512_1716:
	s_nop 0
	s_sendmsg sendmsg(MSG_DEALLOC_VGPRS)
	s_endpgm
.LBB512_1717:
	s_mov_b32 s0, -1
	s_mov_b32 s3, 0
.LBB512_1718:
	s_and_b32 vcc_lo, exec_lo, s0
	s_cbranch_vccz .LBB512_1757
; %bb.1719:
	v_cmp_gt_i16_e32 vcc_lo, 5, v14
	s_mov_b32 s0, -1
	s_cbranch_vccnz .LBB512_1740
; %bb.1720:
	v_cmp_gt_i16_e32 vcc_lo, 8, v14
	s_cbranch_vccnz .LBB512_1730
; %bb.1721:
	v_cmp_gt_i16_e32 vcc_lo, 9, v14
	s_cbranch_vccnz .LBB512_1727
; %bb.1722:
	v_cmp_lt_i16_e32 vcc_lo, 9, v14
	s_cbranch_vccz .LBB512_1724
; %bb.1723:
	v_mov_b32_e32 v2, 0
	s_mov_b32 s0, 0
	s_delay_alu instid0(VALU_DEP_1)
	v_mov_b32_e32 v3, v2
	global_store_b128 v[8:9], v[0:3], off
.LBB512_1724:
	s_and_not1_b32 vcc_lo, exec_lo, s0
	s_cbranch_vccnz .LBB512_1726
; %bb.1725:
	v_cvt_f32_f64_e32 v2, v[0:1]
	v_mov_b32_e32 v3, 0
	global_store_b64 v[8:9], v[2:3], off
.LBB512_1726:
	s_mov_b32 s0, 0
.LBB512_1727:
	s_delay_alu instid0(SALU_CYCLE_1)
	s_and_not1_b32 vcc_lo, exec_lo, s0
	s_cbranch_vccnz .LBB512_1729
; %bb.1728:
	v_cvt_f32_f64_e32 v2, v[0:1]
	s_delay_alu instid0(VALU_DEP_1) | instskip(NEXT) | instid1(VALU_DEP_1)
	v_cvt_f16_f32_e32 v2, v2
	v_and_b32_e32 v2, 0xffff, v2
	global_store_b32 v[8:9], v2, off
.LBB512_1729:
	s_mov_b32 s0, 0
.LBB512_1730:
	s_delay_alu instid0(SALU_CYCLE_1)
	s_and_not1_b32 vcc_lo, exec_lo, s0
	s_cbranch_vccnz .LBB512_1739
; %bb.1731:
	v_cmp_gt_i16_e32 vcc_lo, 6, v14
	s_mov_b32 s0, -1
	s_cbranch_vccnz .LBB512_1737
; %bb.1732:
	v_cmp_lt_i16_e32 vcc_lo, 6, v14
	s_cbranch_vccz .LBB512_1734
; %bb.1733:
	s_mov_b32 s0, 0
	global_store_b64 v[8:9], v[0:1], off
.LBB512_1734:
	s_and_not1_b32 vcc_lo, exec_lo, s0
	s_cbranch_vccnz .LBB512_1736
; %bb.1735:
	v_cvt_f32_f64_e32 v2, v[0:1]
	global_store_b32 v[8:9], v2, off
.LBB512_1736:
	s_mov_b32 s0, 0
.LBB512_1737:
	s_delay_alu instid0(SALU_CYCLE_1)
	s_and_not1_b32 vcc_lo, exec_lo, s0
	s_cbranch_vccnz .LBB512_1739
; %bb.1738:
	v_cvt_f32_f64_e32 v2, v[0:1]
	s_delay_alu instid0(VALU_DEP_1)
	v_cvt_f16_f32_e32 v2, v2
	global_store_b16 v[8:9], v2, off
.LBB512_1739:
	s_mov_b32 s0, 0
.LBB512_1740:
	s_delay_alu instid0(SALU_CYCLE_1)
	s_and_not1_b32 vcc_lo, exec_lo, s0
	s_cbranch_vccnz .LBB512_1756
; %bb.1741:
	v_cmp_gt_i16_e32 vcc_lo, 2, v14
	s_mov_b32 s0, -1
	s_cbranch_vccnz .LBB512_1751
; %bb.1742:
	v_cmp_gt_i16_e32 vcc_lo, 3, v14
	s_cbranch_vccnz .LBB512_1748
; %bb.1743:
	v_cmp_lt_i16_e32 vcc_lo, 3, v14
	s_cbranch_vccz .LBB512_1745
; %bb.1744:
	v_trunc_f64_e32 v[2:3], v[0:1]
	s_mov_b32 s0, 0
	s_delay_alu instid0(VALU_DEP_1) | instskip(NEXT) | instid1(VALU_DEP_1)
	v_ldexp_f64 v[15:16], v[2:3], 0xffffffe0
	v_floor_f64_e32 v[15:16], v[15:16]
	s_delay_alu instid0(VALU_DEP_1) | instskip(SKIP_1) | instid1(VALU_DEP_2)
	v_fma_f64 v[2:3], 0xc1f00000, v[15:16], v[2:3]
	v_cvt_i32_f64_e32 v16, v[15:16]
	v_cvt_u32_f64_e32 v15, v[2:3]
	global_store_b64 v[8:9], v[15:16], off
.LBB512_1745:
	s_and_not1_b32 vcc_lo, exec_lo, s0
	s_cbranch_vccnz .LBB512_1747
; %bb.1746:
	v_cvt_i32_f64_e32 v2, v[0:1]
	global_store_b32 v[8:9], v2, off
.LBB512_1747:
	s_mov_b32 s0, 0
.LBB512_1748:
	s_delay_alu instid0(SALU_CYCLE_1)
	s_and_not1_b32 vcc_lo, exec_lo, s0
	s_cbranch_vccnz .LBB512_1750
; %bb.1749:
	v_cvt_i32_f64_e32 v2, v[0:1]
	global_store_b16 v[8:9], v2, off
.LBB512_1750:
	s_mov_b32 s0, 0
.LBB512_1751:
	s_delay_alu instid0(SALU_CYCLE_1)
	s_and_not1_b32 vcc_lo, exec_lo, s0
	s_cbranch_vccnz .LBB512_1756
; %bb.1752:
	v_cmp_lt_i16_e32 vcc_lo, 0, v14
	s_mov_b32 s0, -1
	s_cbranch_vccz .LBB512_1754
; %bb.1753:
	v_cvt_i32_f64_e32 v2, v[0:1]
	s_mov_b32 s0, 0
	global_store_b8 v[8:9], v2, off
.LBB512_1754:
	s_and_not1_b32 vcc_lo, exec_lo, s0
	s_cbranch_vccnz .LBB512_1756
; %bb.1755:
	v_trunc_f64_e32 v[0:1], v[0:1]
	s_delay_alu instid0(VALU_DEP_1) | instskip(NEXT) | instid1(VALU_DEP_1)
	v_ldexp_f64 v[2:3], v[0:1], 0xffffffe0
	v_floor_f64_e32 v[2:3], v[2:3]
	s_delay_alu instid0(VALU_DEP_1) | instskip(NEXT) | instid1(VALU_DEP_1)
	v_fma_f64 v[0:1], 0xc1f00000, v[2:3], v[0:1]
	v_cvt_u32_f64_e32 v0, v[0:1]
	global_store_b8 v[8:9], v0, off
.LBB512_1756:
	s_mov_b32 s3, -1
.LBB512_1757:
	s_delay_alu instid0(SALU_CYCLE_1)
	s_and_not1_b32 vcc_lo, exec_lo, s3
	s_cbranch_vccnz .LBB512_2072
; %bb.1758:
	s_lshl_b32 s1, s2, 7
	v_cmp_gt_i16_e32 vcc_lo, 11, v14
	v_add_nc_u32_e32 v2, s1, v12
	s_delay_alu instid0(VALU_DEP_1) | instskip(SKIP_1) | instid1(VALU_DEP_1)
	v_ashrrev_i32_e32 v1, 31, v2
	v_add_co_u32 v0, s0, s4, v2
	v_add_co_ci_u32_e64 v1, s0, s5, v1, s0
	s_cbranch_vccnz .LBB512_1836
; %bb.1759:
	v_cmp_lt_i16_e32 vcc_lo, 25, v14
	s_mov_b32 s6, -1
	s_mov_b32 s2, 0
	s_mov_b32 s3, 0
	;; [unrolled: 1-line block ×3, first 2 shown]
	s_cbranch_vccz .LBB512_1792
; %bb.1760:
	v_cmp_lt_i16_e32 vcc_lo, 28, v14
	s_cbranch_vccz .LBB512_1775
; %bb.1761:
	v_cmp_lt_i16_e32 vcc_lo, 43, v14
	;; [unrolled: 3-line block ×3, first 2 shown]
	s_cbranch_vccz .LBB512_1765
; %bb.1763:
	v_cmp_eq_u16_e32 vcc_lo, 46, v14
	s_mov_b32 s0, -1
	s_mov_b32 s6, 0
	s_cbranch_vccz .LBB512_1765
; %bb.1764:
	v_cvt_f32_f64_e32 v3, v[6:7]
	s_mov_b32 s0, 0
	s_mov_b32 s3, -1
	s_delay_alu instid0(VALU_DEP_1) | instskip(SKIP_1) | instid1(VALU_DEP_2)
	v_bfe_u32 v8, v3, 16, 1
	v_cmp_o_f32_e32 vcc_lo, v3, v3
	v_add3_u32 v8, v3, v8, 0x7fff
	s_delay_alu instid0(VALU_DEP_1) | instskip(NEXT) | instid1(VALU_DEP_1)
	v_lshrrev_b32_e32 v8, 16, v8
	v_cndmask_b32_e32 v3, 0x7fc0, v8, vcc_lo
	global_store_b32 v[0:1], v3, off
.LBB512_1765:
	s_and_b32 vcc_lo, exec_lo, s6
	s_cbranch_vccz .LBB512_1770
; %bb.1766:
	v_cmp_eq_u16_e32 vcc_lo, 44, v14
	s_mov_b32 s0, -1
	s_cbranch_vccz .LBB512_1770
; %bb.1767:
	v_cvt_f32_f64_e32 v3, v[6:7]
	v_mov_b32_e32 v8, 0xff
	s_mov_b32 s3, exec_lo
	s_delay_alu instid0(VALU_DEP_2) | instskip(NEXT) | instid1(VALU_DEP_1)
	v_bfe_u32 v9, v3, 23, 8
	v_cmpx_ne_u32_e32 0xff, v9
; %bb.1768:
	v_and_b32_e32 v8, 0x400000, v3
	v_and_or_b32 v9, 0x3fffff, v3, v9
	v_lshrrev_b32_e32 v3, 23, v3
	s_delay_alu instid0(VALU_DEP_3) | instskip(NEXT) | instid1(VALU_DEP_3)
	v_cmp_ne_u32_e32 vcc_lo, 0, v8
	v_cmp_ne_u32_e64 s0, 0, v9
	s_delay_alu instid0(VALU_DEP_1) | instskip(NEXT) | instid1(SALU_CYCLE_1)
	s_and_b32 s0, vcc_lo, s0
	v_cndmask_b32_e64 v8, 0, 1, s0
	s_delay_alu instid0(VALU_DEP_1)
	v_add_nc_u32_e32 v8, v3, v8
; %bb.1769:
	s_or_b32 exec_lo, exec_lo, s3
	s_mov_b32 s0, 0
	s_mov_b32 s3, -1
	global_store_b8 v[0:1], v8, off
.LBB512_1770:
	s_mov_b32 s6, 0
.LBB512_1771:
	s_delay_alu instid0(SALU_CYCLE_1)
	s_and_b32 vcc_lo, exec_lo, s6
	s_cbranch_vccz .LBB512_1774
; %bb.1772:
	v_cmp_eq_u16_e32 vcc_lo, 29, v14
	s_mov_b32 s0, -1
	s_cbranch_vccz .LBB512_1774
; %bb.1773:
	v_trunc_f64_e32 v[8:9], v[6:7]
	s_mov_b32 s0, 0
	s_mov_b32 s3, -1
	s_delay_alu instid0(VALU_DEP_1) | instskip(NEXT) | instid1(VALU_DEP_1)
	v_ldexp_f64 v[12:13], v[8:9], 0xffffffe0
	v_floor_f64_e32 v[12:13], v[12:13]
	s_delay_alu instid0(VALU_DEP_1) | instskip(SKIP_1) | instid1(VALU_DEP_2)
	v_fma_f64 v[8:9], 0xc1f00000, v[12:13], v[8:9]
	v_cvt_u32_f64_e32 v13, v[12:13]
	v_cvt_u32_f64_e32 v12, v[8:9]
	global_store_b64 v[0:1], v[12:13], off
.LBB512_1774:
	s_mov_b32 s6, 0
.LBB512_1775:
	s_delay_alu instid0(SALU_CYCLE_1)
	s_and_b32 vcc_lo, exec_lo, s6
	s_cbranch_vccz .LBB512_1791
; %bb.1776:
	v_cmp_gt_i16_e32 vcc_lo, 27, v14
	s_mov_b32 s3, -1
	s_cbranch_vccnz .LBB512_1782
; %bb.1777:
	v_cvt_u32_f64_e32 v3, v[6:7]
	v_cmp_lt_i16_e32 vcc_lo, 27, v14
	s_cbranch_vccz .LBB512_1779
; %bb.1778:
	s_mov_b32 s3, 0
	global_store_b32 v[0:1], v3, off
.LBB512_1779:
	s_and_not1_b32 vcc_lo, exec_lo, s3
	s_cbranch_vccnz .LBB512_1781
; %bb.1780:
	global_store_b16 v[0:1], v3, off
.LBB512_1781:
	s_mov_b32 s3, 0
.LBB512_1782:
	s_delay_alu instid0(SALU_CYCLE_1)
	s_and_not1_b32 vcc_lo, exec_lo, s3
	s_cbranch_vccnz .LBB512_1790
; %bb.1783:
	v_cvt_f32_f64_e32 v3, v[6:7]
	v_mov_b32_e32 v9, 0x80
	s_mov_b32 s3, exec_lo
	s_delay_alu instid0(VALU_DEP_2) | instskip(NEXT) | instid1(VALU_DEP_1)
	v_and_b32_e32 v8, 0x7fffffff, v3
	v_cmpx_gt_u32_e32 0x43800000, v8
	s_cbranch_execz .LBB512_1789
; %bb.1784:
	v_cmp_lt_u32_e32 vcc_lo, 0x3bffffff, v8
	s_mov_b32 s6, 0
                                        ; implicit-def: $vgpr8
	s_and_saveexec_b32 s7, vcc_lo
	s_delay_alu instid0(SALU_CYCLE_1)
	s_xor_b32 s7, exec_lo, s7
	s_cbranch_execz .LBB512_2084
; %bb.1785:
	v_bfe_u32 v8, v3, 20, 1
	s_mov_b32 s6, exec_lo
	s_delay_alu instid0(VALU_DEP_1) | instskip(NEXT) | instid1(VALU_DEP_1)
	v_add3_u32 v8, v3, v8, 0x487ffff
	v_lshrrev_b32_e32 v8, 20, v8
	s_or_saveexec_b32 s7, s7
                                        ; implicit-def: $sgpr8
	s_delay_alu instid0(SALU_CYCLE_1)
	s_xor_b32 exec_lo, exec_lo, s7
	s_cbranch_execnz .LBB512_2085
.LBB512_1786:
	s_or_b32 exec_lo, exec_lo, s7
	v_mov_b32_e32 v9, s8
	s_and_saveexec_b32 s7, s6
.LBB512_1787:
	v_lshrrev_b32_e32 v3, 24, v3
	s_delay_alu instid0(VALU_DEP_1)
	v_and_or_b32 v9, 0x80, v3, v8
.LBB512_1788:
	s_or_b32 exec_lo, exec_lo, s7
.LBB512_1789:
	s_delay_alu instid0(SALU_CYCLE_1)
	s_or_b32 exec_lo, exec_lo, s3
	global_store_b8 v[0:1], v9, off
.LBB512_1790:
	s_mov_b32 s3, -1
.LBB512_1791:
	s_mov_b32 s6, 0
.LBB512_1792:
	s_delay_alu instid0(SALU_CYCLE_1)
	s_and_b32 vcc_lo, exec_lo, s6
	s_cbranch_vccz .LBB512_1832
; %bb.1793:
	v_cmp_lt_i16_e32 vcc_lo, 22, v14
	s_mov_b32 s2, -1
	s_cbranch_vccz .LBB512_1825
; %bb.1794:
	v_cmp_gt_i16_e32 vcc_lo, 24, v14
	s_cbranch_vccnz .LBB512_1814
; %bb.1795:
	v_cmp_lt_i16_e32 vcc_lo, 24, v14
	s_cbranch_vccz .LBB512_1803
; %bb.1796:
	v_cvt_f32_f64_e32 v3, v[6:7]
	v_mov_b32_e32 v9, 0x80
	s_mov_b32 s2, exec_lo
	s_delay_alu instid0(VALU_DEP_2) | instskip(NEXT) | instid1(VALU_DEP_1)
	v_and_b32_e32 v8, 0x7fffffff, v3
	v_cmpx_gt_u32_e32 0x47800000, v8
	s_cbranch_execz .LBB512_1802
; %bb.1797:
	v_cmp_lt_u32_e32 vcc_lo, 0x37ffffff, v8
	s_mov_b32 s3, 0
                                        ; implicit-def: $vgpr8
	s_and_saveexec_b32 s6, vcc_lo
	s_delay_alu instid0(SALU_CYCLE_1)
	s_xor_b32 s6, exec_lo, s6
	s_cbranch_execz .LBB512_2090
; %bb.1798:
	v_bfe_u32 v8, v3, 21, 1
	s_mov_b32 s3, exec_lo
	s_delay_alu instid0(VALU_DEP_1) | instskip(NEXT) | instid1(VALU_DEP_1)
	v_add3_u32 v8, v3, v8, 0x88fffff
	v_lshrrev_b32_e32 v8, 21, v8
	s_or_saveexec_b32 s6, s6
                                        ; implicit-def: $sgpr7
	s_delay_alu instid0(SALU_CYCLE_1)
	s_xor_b32 exec_lo, exec_lo, s6
	s_cbranch_execnz .LBB512_2091
.LBB512_1799:
	s_or_b32 exec_lo, exec_lo, s6
	v_mov_b32_e32 v9, s7
	s_and_saveexec_b32 s6, s3
.LBB512_1800:
	v_lshrrev_b32_e32 v3, 24, v3
	s_delay_alu instid0(VALU_DEP_1)
	v_and_or_b32 v9, 0x80, v3, v8
.LBB512_1801:
	s_or_b32 exec_lo, exec_lo, s6
.LBB512_1802:
	s_delay_alu instid0(SALU_CYCLE_1)
	s_or_b32 exec_lo, exec_lo, s2
	s_mov_b32 s2, 0
	global_store_b8 v[0:1], v9, off
.LBB512_1803:
	s_and_b32 vcc_lo, exec_lo, s2
	s_cbranch_vccz .LBB512_1813
; %bb.1804:
	v_cvt_f32_f64_e32 v3, v[6:7]
	s_mov_b32 s2, exec_lo
                                        ; implicit-def: $vgpr8
	s_delay_alu instid0(VALU_DEP_1) | instskip(NEXT) | instid1(VALU_DEP_1)
	v_and_b32_e32 v9, 0x7fffffff, v3
	v_cmpx_gt_u32_e32 0x43f00000, v9
	s_xor_b32 s2, exec_lo, s2
	s_cbranch_execz .LBB512_1810
; %bb.1805:
	s_mov_b32 s3, exec_lo
                                        ; implicit-def: $vgpr8
	v_cmpx_lt_u32_e32 0x3c7fffff, v9
	s_xor_b32 s3, exec_lo, s3
; %bb.1806:
	v_bfe_u32 v8, v3, 20, 1
	s_delay_alu instid0(VALU_DEP_1) | instskip(NEXT) | instid1(VALU_DEP_1)
	v_add3_u32 v8, v3, v8, 0x407ffff
	v_and_b32_e32 v9, 0xff00000, v8
	v_lshrrev_b32_e32 v8, 20, v8
	s_delay_alu instid0(VALU_DEP_2) | instskip(NEXT) | instid1(VALU_DEP_2)
	v_cmp_ne_u32_e32 vcc_lo, 0x7f00000, v9
	v_cndmask_b32_e32 v8, 0x7e, v8, vcc_lo
; %bb.1807:
	s_and_not1_saveexec_b32 s3, s3
; %bb.1808:
	v_add_f32_e64 v8, 0x46800000, |v3|
; %bb.1809:
	s_or_b32 exec_lo, exec_lo, s3
                                        ; implicit-def: $vgpr9
.LBB512_1810:
	s_and_not1_saveexec_b32 s2, s2
; %bb.1811:
	v_mov_b32_e32 v8, 0x7f
	v_cmp_lt_u32_e32 vcc_lo, 0x7f800000, v9
	s_delay_alu instid0(VALU_DEP_2)
	v_cndmask_b32_e32 v8, 0x7e, v8, vcc_lo
; %bb.1812:
	s_or_b32 exec_lo, exec_lo, s2
	v_lshrrev_b32_e32 v3, 24, v3
	s_delay_alu instid0(VALU_DEP_1)
	v_and_or_b32 v3, 0x80, v3, v8
	global_store_b8 v[0:1], v3, off
.LBB512_1813:
	s_mov_b32 s2, 0
.LBB512_1814:
	s_delay_alu instid0(SALU_CYCLE_1)
	s_and_not1_b32 vcc_lo, exec_lo, s2
	s_cbranch_vccnz .LBB512_1824
; %bb.1815:
	v_cvt_f32_f64_e32 v3, v[6:7]
	s_mov_b32 s2, exec_lo
                                        ; implicit-def: $vgpr8
	s_delay_alu instid0(VALU_DEP_1) | instskip(NEXT) | instid1(VALU_DEP_1)
	v_and_b32_e32 v9, 0x7fffffff, v3
	v_cmpx_gt_u32_e32 0x47800000, v9
	s_xor_b32 s2, exec_lo, s2
	s_cbranch_execz .LBB512_1821
; %bb.1816:
	s_mov_b32 s3, exec_lo
                                        ; implicit-def: $vgpr8
	v_cmpx_lt_u32_e32 0x387fffff, v9
	s_xor_b32 s3, exec_lo, s3
; %bb.1817:
	v_bfe_u32 v8, v3, 21, 1
	s_delay_alu instid0(VALU_DEP_1) | instskip(NEXT) | instid1(VALU_DEP_1)
	v_add3_u32 v8, v3, v8, 0x80fffff
	v_lshrrev_b32_e32 v8, 21, v8
; %bb.1818:
	s_and_not1_saveexec_b32 s3, s3
; %bb.1819:
	v_add_f32_e64 v8, 0x43000000, |v3|
; %bb.1820:
	s_or_b32 exec_lo, exec_lo, s3
                                        ; implicit-def: $vgpr9
.LBB512_1821:
	s_and_not1_saveexec_b32 s2, s2
; %bb.1822:
	v_mov_b32_e32 v8, 0x7f
	v_cmp_lt_u32_e32 vcc_lo, 0x7f800000, v9
	s_delay_alu instid0(VALU_DEP_2)
	v_cndmask_b32_e32 v8, 0x7c, v8, vcc_lo
; %bb.1823:
	s_or_b32 exec_lo, exec_lo, s2
	v_lshrrev_b32_e32 v3, 24, v3
	s_delay_alu instid0(VALU_DEP_1)
	v_and_or_b32 v3, 0x80, v3, v8
	global_store_b8 v[0:1], v3, off
.LBB512_1824:
	s_mov_b32 s2, 0
	s_mov_b32 s3, -1
.LBB512_1825:
	s_and_not1_b32 vcc_lo, exec_lo, s2
	s_mov_b32 s2, 0
	s_cbranch_vccnz .LBB512_1832
; %bb.1826:
	v_cmp_lt_i16_e32 vcc_lo, 14, v14
	s_mov_b32 s2, -1
	s_cbranch_vccz .LBB512_1830
; %bb.1827:
	v_cmp_eq_u16_e32 vcc_lo, 15, v14
	s_mov_b32 s0, -1
	s_cbranch_vccz .LBB512_1829
; %bb.1828:
	v_cvt_f32_f64_e32 v3, v[6:7]
	s_mov_b32 s0, 0
	s_mov_b32 s3, -1
	s_delay_alu instid0(VALU_DEP_1) | instskip(SKIP_1) | instid1(VALU_DEP_2)
	v_bfe_u32 v8, v3, 16, 1
	v_cmp_o_f32_e32 vcc_lo, v3, v3
	v_add3_u32 v8, v3, v8, 0x7fff
	s_delay_alu instid0(VALU_DEP_1) | instskip(NEXT) | instid1(VALU_DEP_1)
	v_lshrrev_b32_e32 v8, 16, v8
	v_cndmask_b32_e32 v3, 0x7fc0, v8, vcc_lo
	global_store_b16 v[0:1], v3, off
.LBB512_1829:
	s_mov_b32 s2, 0
.LBB512_1830:
	s_delay_alu instid0(SALU_CYCLE_1)
	s_and_b32 vcc_lo, exec_lo, s2
	s_mov_b32 s2, 0
	s_cbranch_vccz .LBB512_1832
; %bb.1831:
	v_cmp_ne_u16_e64 s0, 11, v14
	s_mov_b32 s2, -1
.LBB512_1832:
	s_delay_alu instid0(VALU_DEP_1)
	s_and_b32 vcc_lo, exec_lo, s0
	s_cbranch_vccnz .LBB512_2088
; %bb.1833:
	s_and_not1_b32 vcc_lo, exec_lo, s2
	s_cbranch_vccnz .LBB512_1835
.LBB512_1834:
	v_cmp_neq_f64_e32 vcc_lo, 0, v[6:7]
	s_mov_b32 s3, -1
	v_cndmask_b32_e64 v3, 0, 1, vcc_lo
	global_store_b8 v[0:1], v3, off
.LBB512_1835:
	s_mov_b32 s0, 0
	s_branch .LBB512_1837
.LBB512_1836:
	s_mov_b32 s0, -1
	s_mov_b32 s3, 0
.LBB512_1837:
	s_and_b32 vcc_lo, exec_lo, s0
	s_cbranch_vccz .LBB512_1876
; %bb.1838:
	v_cmp_gt_i16_e32 vcc_lo, 5, v14
	s_mov_b32 s0, -1
	s_cbranch_vccnz .LBB512_1859
; %bb.1839:
	v_cmp_gt_i16_e32 vcc_lo, 8, v14
	s_cbranch_vccnz .LBB512_1849
; %bb.1840:
	v_cmp_gt_i16_e32 vcc_lo, 9, v14
	s_cbranch_vccnz .LBB512_1846
; %bb.1841:
	v_cmp_lt_i16_e32 vcc_lo, 9, v14
	s_cbranch_vccz .LBB512_1843
; %bb.1842:
	v_mov_b32_e32 v8, 0
	s_mov_b32 s0, 0
	s_delay_alu instid0(VALU_DEP_1)
	v_mov_b32_e32 v9, v8
	global_store_b128 v[0:1], v[6:9], off
.LBB512_1843:
	s_and_not1_b32 vcc_lo, exec_lo, s0
	s_cbranch_vccnz .LBB512_1845
; %bb.1844:
	v_cvt_f32_f64_e32 v8, v[6:7]
	v_mov_b32_e32 v9, 0
	global_store_b64 v[0:1], v[8:9], off
.LBB512_1845:
	s_mov_b32 s0, 0
.LBB512_1846:
	s_delay_alu instid0(SALU_CYCLE_1)
	s_and_not1_b32 vcc_lo, exec_lo, s0
	s_cbranch_vccnz .LBB512_1848
; %bb.1847:
	v_cvt_f32_f64_e32 v3, v[6:7]
	s_delay_alu instid0(VALU_DEP_1) | instskip(NEXT) | instid1(VALU_DEP_1)
	v_cvt_f16_f32_e32 v3, v3
	v_and_b32_e32 v3, 0xffff, v3
	global_store_b32 v[0:1], v3, off
.LBB512_1848:
	s_mov_b32 s0, 0
.LBB512_1849:
	s_delay_alu instid0(SALU_CYCLE_1)
	s_and_not1_b32 vcc_lo, exec_lo, s0
	s_cbranch_vccnz .LBB512_1858
; %bb.1850:
	v_cmp_gt_i16_e32 vcc_lo, 6, v14
	s_mov_b32 s0, -1
	s_cbranch_vccnz .LBB512_1856
; %bb.1851:
	v_cmp_lt_i16_e32 vcc_lo, 6, v14
	s_cbranch_vccz .LBB512_1853
; %bb.1852:
	s_mov_b32 s0, 0
	global_store_b64 v[0:1], v[6:7], off
.LBB512_1853:
	s_and_not1_b32 vcc_lo, exec_lo, s0
	s_cbranch_vccnz .LBB512_1855
; %bb.1854:
	v_cvt_f32_f64_e32 v3, v[6:7]
	global_store_b32 v[0:1], v3, off
.LBB512_1855:
	s_mov_b32 s0, 0
.LBB512_1856:
	s_delay_alu instid0(SALU_CYCLE_1)
	s_and_not1_b32 vcc_lo, exec_lo, s0
	s_cbranch_vccnz .LBB512_1858
; %bb.1857:
	v_cvt_f32_f64_e32 v3, v[6:7]
	s_delay_alu instid0(VALU_DEP_1)
	v_cvt_f16_f32_e32 v3, v3
	global_store_b16 v[0:1], v3, off
.LBB512_1858:
	s_mov_b32 s0, 0
.LBB512_1859:
	s_delay_alu instid0(SALU_CYCLE_1)
	s_and_not1_b32 vcc_lo, exec_lo, s0
	s_cbranch_vccnz .LBB512_1875
; %bb.1860:
	v_cmp_gt_i16_e32 vcc_lo, 2, v14
	s_mov_b32 s0, -1
	s_cbranch_vccnz .LBB512_1870
; %bb.1861:
	v_cmp_gt_i16_e32 vcc_lo, 3, v14
	s_cbranch_vccnz .LBB512_1867
; %bb.1862:
	v_cmp_lt_i16_e32 vcc_lo, 3, v14
	s_cbranch_vccz .LBB512_1864
; %bb.1863:
	v_trunc_f64_e32 v[8:9], v[6:7]
	s_mov_b32 s0, 0
	s_delay_alu instid0(VALU_DEP_1) | instskip(NEXT) | instid1(VALU_DEP_1)
	v_ldexp_f64 v[12:13], v[8:9], 0xffffffe0
	v_floor_f64_e32 v[12:13], v[12:13]
	s_delay_alu instid0(VALU_DEP_1) | instskip(SKIP_1) | instid1(VALU_DEP_2)
	v_fma_f64 v[8:9], 0xc1f00000, v[12:13], v[8:9]
	v_cvt_i32_f64_e32 v13, v[12:13]
	v_cvt_u32_f64_e32 v12, v[8:9]
	global_store_b64 v[0:1], v[12:13], off
.LBB512_1864:
	s_and_not1_b32 vcc_lo, exec_lo, s0
	s_cbranch_vccnz .LBB512_1866
; %bb.1865:
	v_cvt_i32_f64_e32 v3, v[6:7]
	global_store_b32 v[0:1], v3, off
.LBB512_1866:
	s_mov_b32 s0, 0
.LBB512_1867:
	s_delay_alu instid0(SALU_CYCLE_1)
	s_and_not1_b32 vcc_lo, exec_lo, s0
	s_cbranch_vccnz .LBB512_1869
; %bb.1868:
	v_cvt_i32_f64_e32 v3, v[6:7]
	global_store_b16 v[0:1], v3, off
.LBB512_1869:
	s_mov_b32 s0, 0
.LBB512_1870:
	s_delay_alu instid0(SALU_CYCLE_1)
	s_and_not1_b32 vcc_lo, exec_lo, s0
	s_cbranch_vccnz .LBB512_1875
; %bb.1871:
	v_cmp_lt_i16_e32 vcc_lo, 0, v14
	s_mov_b32 s0, -1
	s_cbranch_vccz .LBB512_1873
; %bb.1872:
	v_cvt_i32_f64_e32 v3, v[6:7]
	s_mov_b32 s0, 0
	global_store_b8 v[0:1], v3, off
.LBB512_1873:
	s_and_not1_b32 vcc_lo, exec_lo, s0
	s_cbranch_vccnz .LBB512_1875
; %bb.1874:
	v_trunc_f64_e32 v[6:7], v[6:7]
	s_delay_alu instid0(VALU_DEP_1) | instskip(NEXT) | instid1(VALU_DEP_1)
	v_ldexp_f64 v[8:9], v[6:7], 0xffffffe0
	v_floor_f64_e32 v[8:9], v[8:9]
	s_delay_alu instid0(VALU_DEP_1) | instskip(NEXT) | instid1(VALU_DEP_1)
	v_fma_f64 v[6:7], 0xc1f00000, v[8:9], v[6:7]
	v_cvt_u32_f64_e32 v3, v[6:7]
	global_store_b8 v[0:1], v3, off
.LBB512_1875:
	s_mov_b32 s3, -1
.LBB512_1876:
	s_delay_alu instid0(SALU_CYCLE_1)
	s_and_not1_b32 vcc_lo, exec_lo, s3
	s_cbranch_vccnz .LBB512_2072
; %bb.1877:
	v_add_nc_u32_e32 v2, s1, v2
	v_cmp_gt_i16_e32 vcc_lo, 11, v14
	s_delay_alu instid0(VALU_DEP_2) | instskip(SKIP_1) | instid1(VALU_DEP_1)
	v_ashrrev_i32_e32 v1, 31, v2
	v_add_co_u32 v0, s0, s4, v2
	v_add_co_ci_u32_e64 v1, s0, s5, v1, s0
	s_cbranch_vccnz .LBB512_1955
; %bb.1878:
	v_cmp_lt_i16_e32 vcc_lo, 25, v14
	s_mov_b32 s6, -1
	s_mov_b32 s2, 0
	s_mov_b32 s3, 0
	;; [unrolled: 1-line block ×3, first 2 shown]
	s_cbranch_vccz .LBB512_1911
; %bb.1879:
	v_cmp_lt_i16_e32 vcc_lo, 28, v14
	s_cbranch_vccz .LBB512_1894
; %bb.1880:
	v_cmp_lt_i16_e32 vcc_lo, 43, v14
	;; [unrolled: 3-line block ×3, first 2 shown]
	s_cbranch_vccz .LBB512_1884
; %bb.1882:
	v_cmp_eq_u16_e32 vcc_lo, 46, v14
	s_mov_b32 s0, -1
	s_mov_b32 s6, 0
	s_cbranch_vccz .LBB512_1884
; %bb.1883:
	v_cvt_f32_f64_e32 v3, v[10:11]
	s_mov_b32 s0, 0
	s_mov_b32 s3, -1
	s_delay_alu instid0(VALU_DEP_1) | instskip(SKIP_1) | instid1(VALU_DEP_2)
	v_bfe_u32 v6, v3, 16, 1
	v_cmp_o_f32_e32 vcc_lo, v3, v3
	v_add3_u32 v6, v3, v6, 0x7fff
	s_delay_alu instid0(VALU_DEP_1) | instskip(NEXT) | instid1(VALU_DEP_1)
	v_lshrrev_b32_e32 v6, 16, v6
	v_cndmask_b32_e32 v3, 0x7fc0, v6, vcc_lo
	global_store_b32 v[0:1], v3, off
.LBB512_1884:
	s_and_b32 vcc_lo, exec_lo, s6
	s_cbranch_vccz .LBB512_1889
; %bb.1885:
	v_cmp_eq_u16_e32 vcc_lo, 44, v14
	s_mov_b32 s0, -1
	s_cbranch_vccz .LBB512_1889
; %bb.1886:
	v_cvt_f32_f64_e32 v3, v[10:11]
	v_mov_b32_e32 v6, 0xff
	s_mov_b32 s3, exec_lo
	s_delay_alu instid0(VALU_DEP_2) | instskip(NEXT) | instid1(VALU_DEP_1)
	v_bfe_u32 v7, v3, 23, 8
	v_cmpx_ne_u32_e32 0xff, v7
; %bb.1887:
	v_and_b32_e32 v6, 0x400000, v3
	v_and_or_b32 v7, 0x3fffff, v3, v7
	v_lshrrev_b32_e32 v3, 23, v3
	s_delay_alu instid0(VALU_DEP_3) | instskip(NEXT) | instid1(VALU_DEP_3)
	v_cmp_ne_u32_e32 vcc_lo, 0, v6
	v_cmp_ne_u32_e64 s0, 0, v7
	s_delay_alu instid0(VALU_DEP_1) | instskip(NEXT) | instid1(SALU_CYCLE_1)
	s_and_b32 s0, vcc_lo, s0
	v_cndmask_b32_e64 v6, 0, 1, s0
	s_delay_alu instid0(VALU_DEP_1)
	v_add_nc_u32_e32 v6, v3, v6
; %bb.1888:
	s_or_b32 exec_lo, exec_lo, s3
	s_mov_b32 s0, 0
	s_mov_b32 s3, -1
	global_store_b8 v[0:1], v6, off
.LBB512_1889:
	s_mov_b32 s6, 0
.LBB512_1890:
	s_delay_alu instid0(SALU_CYCLE_1)
	s_and_b32 vcc_lo, exec_lo, s6
	s_cbranch_vccz .LBB512_1893
; %bb.1891:
	v_cmp_eq_u16_e32 vcc_lo, 29, v14
	s_mov_b32 s0, -1
	s_cbranch_vccz .LBB512_1893
; %bb.1892:
	v_trunc_f64_e32 v[6:7], v[10:11]
	s_mov_b32 s0, 0
	s_mov_b32 s3, -1
	s_delay_alu instid0(VALU_DEP_1) | instskip(NEXT) | instid1(VALU_DEP_1)
	v_ldexp_f64 v[8:9], v[6:7], 0xffffffe0
	v_floor_f64_e32 v[8:9], v[8:9]
	s_delay_alu instid0(VALU_DEP_1) | instskip(SKIP_1) | instid1(VALU_DEP_2)
	v_fma_f64 v[6:7], 0xc1f00000, v[8:9], v[6:7]
	v_cvt_u32_f64_e32 v8, v[8:9]
	v_cvt_u32_f64_e32 v7, v[6:7]
	global_store_b64 v[0:1], v[7:8], off
.LBB512_1893:
	s_mov_b32 s6, 0
.LBB512_1894:
	s_delay_alu instid0(SALU_CYCLE_1)
	s_and_b32 vcc_lo, exec_lo, s6
	s_cbranch_vccz .LBB512_1910
; %bb.1895:
	v_cmp_gt_i16_e32 vcc_lo, 27, v14
	s_mov_b32 s3, -1
	s_cbranch_vccnz .LBB512_1901
; %bb.1896:
	v_cvt_u32_f64_e32 v3, v[10:11]
	v_cmp_lt_i16_e32 vcc_lo, 27, v14
	s_cbranch_vccz .LBB512_1898
; %bb.1897:
	s_mov_b32 s3, 0
	global_store_b32 v[0:1], v3, off
.LBB512_1898:
	s_and_not1_b32 vcc_lo, exec_lo, s3
	s_cbranch_vccnz .LBB512_1900
; %bb.1899:
	global_store_b16 v[0:1], v3, off
.LBB512_1900:
	s_mov_b32 s3, 0
.LBB512_1901:
	s_delay_alu instid0(SALU_CYCLE_1)
	s_and_not1_b32 vcc_lo, exec_lo, s3
	s_cbranch_vccnz .LBB512_1909
; %bb.1902:
	v_cvt_f32_f64_e32 v3, v[10:11]
	v_mov_b32_e32 v7, 0x80
	s_mov_b32 s3, exec_lo
	s_delay_alu instid0(VALU_DEP_2) | instskip(NEXT) | instid1(VALU_DEP_1)
	v_and_b32_e32 v6, 0x7fffffff, v3
	v_cmpx_gt_u32_e32 0x43800000, v6
	s_cbranch_execz .LBB512_1908
; %bb.1903:
	v_cmp_lt_u32_e32 vcc_lo, 0x3bffffff, v6
	s_mov_b32 s6, 0
                                        ; implicit-def: $vgpr6
	s_and_saveexec_b32 s7, vcc_lo
	s_delay_alu instid0(SALU_CYCLE_1)
	s_xor_b32 s7, exec_lo, s7
	s_cbranch_execz .LBB512_2092
; %bb.1904:
	v_bfe_u32 v6, v3, 20, 1
	s_mov_b32 s6, exec_lo
	s_delay_alu instid0(VALU_DEP_1) | instskip(NEXT) | instid1(VALU_DEP_1)
	v_add3_u32 v6, v3, v6, 0x487ffff
	v_lshrrev_b32_e32 v6, 20, v6
	s_or_saveexec_b32 s7, s7
                                        ; implicit-def: $sgpr8
	s_delay_alu instid0(SALU_CYCLE_1)
	s_xor_b32 exec_lo, exec_lo, s7
	s_cbranch_execnz .LBB512_2093
.LBB512_1905:
	s_or_b32 exec_lo, exec_lo, s7
	v_mov_b32_e32 v7, s8
	s_and_saveexec_b32 s7, s6
.LBB512_1906:
	v_lshrrev_b32_e32 v3, 24, v3
	s_delay_alu instid0(VALU_DEP_1)
	v_and_or_b32 v7, 0x80, v3, v6
.LBB512_1907:
	s_or_b32 exec_lo, exec_lo, s7
.LBB512_1908:
	s_delay_alu instid0(SALU_CYCLE_1)
	s_or_b32 exec_lo, exec_lo, s3
	global_store_b8 v[0:1], v7, off
.LBB512_1909:
	s_mov_b32 s3, -1
.LBB512_1910:
	s_mov_b32 s6, 0
.LBB512_1911:
	s_delay_alu instid0(SALU_CYCLE_1)
	s_and_b32 vcc_lo, exec_lo, s6
	s_cbranch_vccz .LBB512_1951
; %bb.1912:
	v_cmp_lt_i16_e32 vcc_lo, 22, v14
	s_mov_b32 s2, -1
	s_cbranch_vccz .LBB512_1944
; %bb.1913:
	v_cmp_gt_i16_e32 vcc_lo, 24, v14
	s_cbranch_vccnz .LBB512_1933
; %bb.1914:
	v_cmp_lt_i16_e32 vcc_lo, 24, v14
	s_cbranch_vccz .LBB512_1922
; %bb.1915:
	v_cvt_f32_f64_e32 v3, v[10:11]
	v_mov_b32_e32 v7, 0x80
	s_mov_b32 s2, exec_lo
	s_delay_alu instid0(VALU_DEP_2) | instskip(NEXT) | instid1(VALU_DEP_1)
	v_and_b32_e32 v6, 0x7fffffff, v3
	v_cmpx_gt_u32_e32 0x47800000, v6
	s_cbranch_execz .LBB512_1921
; %bb.1916:
	v_cmp_lt_u32_e32 vcc_lo, 0x37ffffff, v6
	s_mov_b32 s3, 0
                                        ; implicit-def: $vgpr6
	s_and_saveexec_b32 s6, vcc_lo
	s_delay_alu instid0(SALU_CYCLE_1)
	s_xor_b32 s6, exec_lo, s6
	s_cbranch_execz .LBB512_2098
; %bb.1917:
	v_bfe_u32 v6, v3, 21, 1
	s_mov_b32 s3, exec_lo
	s_delay_alu instid0(VALU_DEP_1) | instskip(NEXT) | instid1(VALU_DEP_1)
	v_add3_u32 v6, v3, v6, 0x88fffff
	v_lshrrev_b32_e32 v6, 21, v6
	s_or_saveexec_b32 s6, s6
                                        ; implicit-def: $sgpr7
	s_delay_alu instid0(SALU_CYCLE_1)
	s_xor_b32 exec_lo, exec_lo, s6
	s_cbranch_execnz .LBB512_2099
.LBB512_1918:
	s_or_b32 exec_lo, exec_lo, s6
	v_mov_b32_e32 v7, s7
	s_and_saveexec_b32 s6, s3
.LBB512_1919:
	v_lshrrev_b32_e32 v3, 24, v3
	s_delay_alu instid0(VALU_DEP_1)
	v_and_or_b32 v7, 0x80, v3, v6
.LBB512_1920:
	s_or_b32 exec_lo, exec_lo, s6
.LBB512_1921:
	s_delay_alu instid0(SALU_CYCLE_1)
	s_or_b32 exec_lo, exec_lo, s2
	s_mov_b32 s2, 0
	global_store_b8 v[0:1], v7, off
.LBB512_1922:
	s_and_b32 vcc_lo, exec_lo, s2
	s_cbranch_vccz .LBB512_1932
; %bb.1923:
	v_cvt_f32_f64_e32 v3, v[10:11]
	s_mov_b32 s2, exec_lo
                                        ; implicit-def: $vgpr6
	s_delay_alu instid0(VALU_DEP_1) | instskip(NEXT) | instid1(VALU_DEP_1)
	v_and_b32_e32 v7, 0x7fffffff, v3
	v_cmpx_gt_u32_e32 0x43f00000, v7
	s_xor_b32 s2, exec_lo, s2
	s_cbranch_execz .LBB512_1929
; %bb.1924:
	s_mov_b32 s3, exec_lo
                                        ; implicit-def: $vgpr6
	v_cmpx_lt_u32_e32 0x3c7fffff, v7
	s_xor_b32 s3, exec_lo, s3
; %bb.1925:
	v_bfe_u32 v6, v3, 20, 1
	s_delay_alu instid0(VALU_DEP_1) | instskip(NEXT) | instid1(VALU_DEP_1)
	v_add3_u32 v6, v3, v6, 0x407ffff
	v_and_b32_e32 v7, 0xff00000, v6
	v_lshrrev_b32_e32 v6, 20, v6
	s_delay_alu instid0(VALU_DEP_2) | instskip(NEXT) | instid1(VALU_DEP_2)
	v_cmp_ne_u32_e32 vcc_lo, 0x7f00000, v7
	v_cndmask_b32_e32 v6, 0x7e, v6, vcc_lo
; %bb.1926:
	s_and_not1_saveexec_b32 s3, s3
; %bb.1927:
	v_add_f32_e64 v6, 0x46800000, |v3|
; %bb.1928:
	s_or_b32 exec_lo, exec_lo, s3
                                        ; implicit-def: $vgpr7
.LBB512_1929:
	s_and_not1_saveexec_b32 s2, s2
; %bb.1930:
	v_mov_b32_e32 v6, 0x7f
	v_cmp_lt_u32_e32 vcc_lo, 0x7f800000, v7
	s_delay_alu instid0(VALU_DEP_2)
	v_cndmask_b32_e32 v6, 0x7e, v6, vcc_lo
; %bb.1931:
	s_or_b32 exec_lo, exec_lo, s2
	v_lshrrev_b32_e32 v3, 24, v3
	s_delay_alu instid0(VALU_DEP_1)
	v_and_or_b32 v3, 0x80, v3, v6
	global_store_b8 v[0:1], v3, off
.LBB512_1932:
	s_mov_b32 s2, 0
.LBB512_1933:
	s_delay_alu instid0(SALU_CYCLE_1)
	s_and_not1_b32 vcc_lo, exec_lo, s2
	s_cbranch_vccnz .LBB512_1943
; %bb.1934:
	v_cvt_f32_f64_e32 v3, v[10:11]
	s_mov_b32 s2, exec_lo
                                        ; implicit-def: $vgpr6
	s_delay_alu instid0(VALU_DEP_1) | instskip(NEXT) | instid1(VALU_DEP_1)
	v_and_b32_e32 v7, 0x7fffffff, v3
	v_cmpx_gt_u32_e32 0x47800000, v7
	s_xor_b32 s2, exec_lo, s2
	s_cbranch_execz .LBB512_1940
; %bb.1935:
	s_mov_b32 s3, exec_lo
                                        ; implicit-def: $vgpr6
	v_cmpx_lt_u32_e32 0x387fffff, v7
	s_xor_b32 s3, exec_lo, s3
; %bb.1936:
	v_bfe_u32 v6, v3, 21, 1
	s_delay_alu instid0(VALU_DEP_1) | instskip(NEXT) | instid1(VALU_DEP_1)
	v_add3_u32 v6, v3, v6, 0x80fffff
	v_lshrrev_b32_e32 v6, 21, v6
; %bb.1937:
	s_and_not1_saveexec_b32 s3, s3
; %bb.1938:
	v_add_f32_e64 v6, 0x43000000, |v3|
; %bb.1939:
	s_or_b32 exec_lo, exec_lo, s3
                                        ; implicit-def: $vgpr7
.LBB512_1940:
	s_and_not1_saveexec_b32 s2, s2
; %bb.1941:
	v_mov_b32_e32 v6, 0x7f
	v_cmp_lt_u32_e32 vcc_lo, 0x7f800000, v7
	s_delay_alu instid0(VALU_DEP_2)
	v_cndmask_b32_e32 v6, 0x7c, v6, vcc_lo
; %bb.1942:
	s_or_b32 exec_lo, exec_lo, s2
	v_lshrrev_b32_e32 v3, 24, v3
	s_delay_alu instid0(VALU_DEP_1)
	v_and_or_b32 v3, 0x80, v3, v6
	global_store_b8 v[0:1], v3, off
.LBB512_1943:
	s_mov_b32 s2, 0
	s_mov_b32 s3, -1
.LBB512_1944:
	s_and_not1_b32 vcc_lo, exec_lo, s2
	s_mov_b32 s2, 0
	s_cbranch_vccnz .LBB512_1951
; %bb.1945:
	v_cmp_lt_i16_e32 vcc_lo, 14, v14
	s_mov_b32 s2, -1
	s_cbranch_vccz .LBB512_1949
; %bb.1946:
	v_cmp_eq_u16_e32 vcc_lo, 15, v14
	s_mov_b32 s0, -1
	s_cbranch_vccz .LBB512_1948
; %bb.1947:
	v_cvt_f32_f64_e32 v3, v[10:11]
	s_mov_b32 s0, 0
	s_mov_b32 s3, -1
	s_delay_alu instid0(VALU_DEP_1) | instskip(SKIP_1) | instid1(VALU_DEP_2)
	v_bfe_u32 v6, v3, 16, 1
	v_cmp_o_f32_e32 vcc_lo, v3, v3
	v_add3_u32 v6, v3, v6, 0x7fff
	s_delay_alu instid0(VALU_DEP_1) | instskip(NEXT) | instid1(VALU_DEP_1)
	v_lshrrev_b32_e32 v6, 16, v6
	v_cndmask_b32_e32 v3, 0x7fc0, v6, vcc_lo
	global_store_b16 v[0:1], v3, off
.LBB512_1948:
	s_mov_b32 s2, 0
.LBB512_1949:
	s_delay_alu instid0(SALU_CYCLE_1)
	s_and_b32 vcc_lo, exec_lo, s2
	s_mov_b32 s2, 0
	s_cbranch_vccz .LBB512_1951
; %bb.1950:
	v_cmp_ne_u16_e64 s0, 11, v14
	s_mov_b32 s2, -1
.LBB512_1951:
	s_delay_alu instid0(VALU_DEP_1)
	s_and_b32 vcc_lo, exec_lo, s0
	s_cbranch_vccnz .LBB512_2096
; %bb.1952:
	s_and_not1_b32 vcc_lo, exec_lo, s2
	s_cbranch_vccnz .LBB512_1954
.LBB512_1953:
	v_cmp_neq_f64_e32 vcc_lo, 0, v[10:11]
	s_mov_b32 s3, -1
	v_cndmask_b32_e64 v3, 0, 1, vcc_lo
	global_store_b8 v[0:1], v3, off
.LBB512_1954:
	s_mov_b32 s0, 0
	s_branch .LBB512_1956
.LBB512_1955:
	s_mov_b32 s0, -1
	s_mov_b32 s3, 0
.LBB512_1956:
	s_and_b32 vcc_lo, exec_lo, s0
	s_cbranch_vccz .LBB512_1995
; %bb.1957:
	v_cmp_gt_i16_e32 vcc_lo, 5, v14
	s_mov_b32 s0, -1
	s_cbranch_vccnz .LBB512_1978
; %bb.1958:
	v_cmp_gt_i16_e32 vcc_lo, 8, v14
	s_cbranch_vccnz .LBB512_1968
; %bb.1959:
	v_cmp_gt_i16_e32 vcc_lo, 9, v14
	s_cbranch_vccnz .LBB512_1965
; %bb.1960:
	v_cmp_lt_i16_e32 vcc_lo, 9, v14
	s_cbranch_vccz .LBB512_1962
; %bb.1961:
	v_mov_b32_e32 v12, 0
	s_mov_b32 s0, 0
	s_delay_alu instid0(VALU_DEP_1)
	v_mov_b32_e32 v13, v12
	global_store_b128 v[0:1], v[10:13], off
.LBB512_1962:
	s_and_not1_b32 vcc_lo, exec_lo, s0
	s_cbranch_vccnz .LBB512_1964
; %bb.1963:
	v_cvt_f32_f64_e32 v6, v[10:11]
	v_mov_b32_e32 v7, 0
	global_store_b64 v[0:1], v[6:7], off
.LBB512_1964:
	s_mov_b32 s0, 0
.LBB512_1965:
	s_delay_alu instid0(SALU_CYCLE_1)
	s_and_not1_b32 vcc_lo, exec_lo, s0
	s_cbranch_vccnz .LBB512_1967
; %bb.1966:
	v_cvt_f32_f64_e32 v3, v[10:11]
	s_delay_alu instid0(VALU_DEP_1) | instskip(NEXT) | instid1(VALU_DEP_1)
	v_cvt_f16_f32_e32 v3, v3
	v_and_b32_e32 v3, 0xffff, v3
	global_store_b32 v[0:1], v3, off
.LBB512_1967:
	s_mov_b32 s0, 0
.LBB512_1968:
	s_delay_alu instid0(SALU_CYCLE_1)
	s_and_not1_b32 vcc_lo, exec_lo, s0
	s_cbranch_vccnz .LBB512_1977
; %bb.1969:
	v_cmp_gt_i16_e32 vcc_lo, 6, v14
	s_mov_b32 s0, -1
	s_cbranch_vccnz .LBB512_1975
; %bb.1970:
	v_cmp_lt_i16_e32 vcc_lo, 6, v14
	s_cbranch_vccz .LBB512_1972
; %bb.1971:
	s_mov_b32 s0, 0
	global_store_b64 v[0:1], v[10:11], off
.LBB512_1972:
	s_and_not1_b32 vcc_lo, exec_lo, s0
	s_cbranch_vccnz .LBB512_1974
; %bb.1973:
	v_cvt_f32_f64_e32 v3, v[10:11]
	global_store_b32 v[0:1], v3, off
.LBB512_1974:
	s_mov_b32 s0, 0
.LBB512_1975:
	s_delay_alu instid0(SALU_CYCLE_1)
	s_and_not1_b32 vcc_lo, exec_lo, s0
	s_cbranch_vccnz .LBB512_1977
; %bb.1976:
	v_cvt_f32_f64_e32 v3, v[10:11]
	s_delay_alu instid0(VALU_DEP_1)
	v_cvt_f16_f32_e32 v3, v3
	global_store_b16 v[0:1], v3, off
.LBB512_1977:
	s_mov_b32 s0, 0
.LBB512_1978:
	s_delay_alu instid0(SALU_CYCLE_1)
	s_and_not1_b32 vcc_lo, exec_lo, s0
	s_cbranch_vccnz .LBB512_1994
; %bb.1979:
	v_cmp_gt_i16_e32 vcc_lo, 2, v14
	s_mov_b32 s0, -1
	s_cbranch_vccnz .LBB512_1989
; %bb.1980:
	v_cmp_gt_i16_e32 vcc_lo, 3, v14
	s_cbranch_vccnz .LBB512_1986
; %bb.1981:
	v_cmp_lt_i16_e32 vcc_lo, 3, v14
	s_cbranch_vccz .LBB512_1983
; %bb.1982:
	v_trunc_f64_e32 v[6:7], v[10:11]
	s_mov_b32 s0, 0
	s_delay_alu instid0(VALU_DEP_1) | instskip(NEXT) | instid1(VALU_DEP_1)
	v_ldexp_f64 v[8:9], v[6:7], 0xffffffe0
	v_floor_f64_e32 v[8:9], v[8:9]
	s_delay_alu instid0(VALU_DEP_1) | instskip(SKIP_1) | instid1(VALU_DEP_2)
	v_fma_f64 v[6:7], 0xc1f00000, v[8:9], v[6:7]
	v_cvt_i32_f64_e32 v8, v[8:9]
	v_cvt_u32_f64_e32 v7, v[6:7]
	global_store_b64 v[0:1], v[7:8], off
.LBB512_1983:
	s_and_not1_b32 vcc_lo, exec_lo, s0
	s_cbranch_vccnz .LBB512_1985
; %bb.1984:
	v_cvt_i32_f64_e32 v3, v[10:11]
	global_store_b32 v[0:1], v3, off
.LBB512_1985:
	s_mov_b32 s0, 0
.LBB512_1986:
	s_delay_alu instid0(SALU_CYCLE_1)
	s_and_not1_b32 vcc_lo, exec_lo, s0
	s_cbranch_vccnz .LBB512_1988
; %bb.1987:
	v_cvt_i32_f64_e32 v3, v[10:11]
	global_store_b16 v[0:1], v3, off
.LBB512_1988:
	s_mov_b32 s0, 0
.LBB512_1989:
	s_delay_alu instid0(SALU_CYCLE_1)
	s_and_not1_b32 vcc_lo, exec_lo, s0
	s_cbranch_vccnz .LBB512_1994
; %bb.1990:
	v_cmp_lt_i16_e32 vcc_lo, 0, v14
	s_mov_b32 s0, -1
	s_cbranch_vccz .LBB512_1992
; %bb.1991:
	v_cvt_i32_f64_e32 v3, v[10:11]
	s_mov_b32 s0, 0
	global_store_b8 v[0:1], v3, off
.LBB512_1992:
	s_and_not1_b32 vcc_lo, exec_lo, s0
	s_cbranch_vccnz .LBB512_1994
; %bb.1993:
	v_trunc_f64_e32 v[6:7], v[10:11]
	s_delay_alu instid0(VALU_DEP_1) | instskip(NEXT) | instid1(VALU_DEP_1)
	v_ldexp_f64 v[8:9], v[6:7], 0xffffffe0
	v_floor_f64_e32 v[8:9], v[8:9]
	s_delay_alu instid0(VALU_DEP_1) | instskip(NEXT) | instid1(VALU_DEP_1)
	v_fma_f64 v[6:7], 0xc1f00000, v[8:9], v[6:7]
	v_cvt_u32_f64_e32 v3, v[6:7]
	global_store_b8 v[0:1], v3, off
.LBB512_1994:
	s_mov_b32 s3, -1
.LBB512_1995:
	s_delay_alu instid0(SALU_CYCLE_1)
	s_and_not1_b32 vcc_lo, exec_lo, s3
	s_cbranch_vccnz .LBB512_2072
; %bb.1996:
	v_add_nc_u32_e32 v0, s1, v2
	v_cmp_gt_i16_e32 vcc_lo, 11, v14
	s_delay_alu instid0(VALU_DEP_2) | instskip(SKIP_1) | instid1(VALU_DEP_1)
	v_ashrrev_i32_e32 v1, 31, v0
	v_add_co_u32 v0, s0, s4, v0
	v_add_co_ci_u32_e64 v1, s0, s5, v1, s0
	s_cbranch_vccnz .LBB512_2073
; %bb.1997:
	v_cmp_lt_i16_e32 vcc_lo, 25, v14
	s_mov_b32 s2, -1
	s_mov_b32 s1, 0
	s_mov_b32 s0, 0
	s_cbranch_vccz .LBB512_2030
; %bb.1998:
	v_cmp_lt_i16_e32 vcc_lo, 28, v14
	s_cbranch_vccz .LBB512_2014
; %bb.1999:
	v_cmp_lt_i16_e32 vcc_lo, 43, v14
	;; [unrolled: 3-line block ×3, first 2 shown]
	s_cbranch_vccz .LBB512_2004
; %bb.2001:
	v_cmp_eq_u16_e32 vcc_lo, 46, v14
	s_mov_b32 s0, -1
	s_cbranch_vccz .LBB512_2003
; %bb.2002:
	v_cvt_f32_f64_e32 v2, v[4:5]
	s_mov_b32 s0, 0
	s_delay_alu instid0(VALU_DEP_1) | instskip(SKIP_1) | instid1(VALU_DEP_2)
	v_bfe_u32 v3, v2, 16, 1
	v_cmp_o_f32_e32 vcc_lo, v2, v2
	v_add3_u32 v3, v2, v3, 0x7fff
	s_delay_alu instid0(VALU_DEP_1) | instskip(NEXT) | instid1(VALU_DEP_1)
	v_lshrrev_b32_e32 v3, 16, v3
	v_cndmask_b32_e32 v2, 0x7fc0, v3, vcc_lo
	global_store_b32 v[0:1], v2, off
.LBB512_2003:
	s_mov_b32 s2, 0
.LBB512_2004:
	s_delay_alu instid0(SALU_CYCLE_1)
	s_and_b32 vcc_lo, exec_lo, s2
	s_cbranch_vccz .LBB512_2009
; %bb.2005:
	v_cmp_eq_u16_e32 vcc_lo, 44, v14
	s_mov_b32 s0, -1
	s_cbranch_vccz .LBB512_2009
; %bb.2006:
	v_cvt_f32_f64_e32 v2, v[4:5]
	v_mov_b32_e32 v3, 0xff
	s_mov_b32 s2, exec_lo
	s_delay_alu instid0(VALU_DEP_2) | instskip(NEXT) | instid1(VALU_DEP_1)
	v_bfe_u32 v6, v2, 23, 8
	v_cmpx_ne_u32_e32 0xff, v6
; %bb.2007:
	v_and_b32_e32 v3, 0x400000, v2
	v_and_or_b32 v6, 0x3fffff, v2, v6
	v_lshrrev_b32_e32 v2, 23, v2
	s_delay_alu instid0(VALU_DEP_3) | instskip(NEXT) | instid1(VALU_DEP_3)
	v_cmp_ne_u32_e32 vcc_lo, 0, v3
	v_cmp_ne_u32_e64 s0, 0, v6
	s_delay_alu instid0(VALU_DEP_1) | instskip(NEXT) | instid1(SALU_CYCLE_1)
	s_and_b32 s0, vcc_lo, s0
	v_cndmask_b32_e64 v3, 0, 1, s0
	s_delay_alu instid0(VALU_DEP_1)
	v_add_nc_u32_e32 v3, v2, v3
; %bb.2008:
	s_or_b32 exec_lo, exec_lo, s2
	s_mov_b32 s0, 0
	global_store_b8 v[0:1], v3, off
.LBB512_2009:
	s_mov_b32 s2, 0
.LBB512_2010:
	s_delay_alu instid0(SALU_CYCLE_1)
	s_and_b32 vcc_lo, exec_lo, s2
	s_cbranch_vccz .LBB512_2013
; %bb.2011:
	v_cmp_eq_u16_e32 vcc_lo, 29, v14
	s_mov_b32 s0, -1
	s_cbranch_vccz .LBB512_2013
; %bb.2012:
	v_trunc_f64_e32 v[2:3], v[4:5]
	s_mov_b32 s0, 0
	s_delay_alu instid0(VALU_DEP_1) | instskip(NEXT) | instid1(VALU_DEP_1)
	v_ldexp_f64 v[6:7], v[2:3], 0xffffffe0
	v_floor_f64_e32 v[6:7], v[6:7]
	s_delay_alu instid0(VALU_DEP_1) | instskip(SKIP_1) | instid1(VALU_DEP_2)
	v_fma_f64 v[2:3], 0xc1f00000, v[6:7], v[2:3]
	v_cvt_u32_f64_e32 v7, v[6:7]
	v_cvt_u32_f64_e32 v6, v[2:3]
	global_store_b64 v[0:1], v[6:7], off
.LBB512_2013:
	s_mov_b32 s2, 0
.LBB512_2014:
	s_delay_alu instid0(SALU_CYCLE_1)
	s_and_b32 vcc_lo, exec_lo, s2
	s_cbranch_vccz .LBB512_2029
; %bb.2015:
	v_cmp_gt_i16_e32 vcc_lo, 27, v14
	s_mov_b32 s2, -1
	s_cbranch_vccnz .LBB512_2021
; %bb.2016:
	v_cvt_u32_f64_e32 v2, v[4:5]
	v_cmp_lt_i16_e32 vcc_lo, 27, v14
	s_cbranch_vccz .LBB512_2018
; %bb.2017:
	s_mov_b32 s2, 0
	global_store_b32 v[0:1], v2, off
.LBB512_2018:
	s_and_not1_b32 vcc_lo, exec_lo, s2
	s_cbranch_vccnz .LBB512_2020
; %bb.2019:
	global_store_b16 v[0:1], v2, off
.LBB512_2020:
	s_mov_b32 s2, 0
.LBB512_2021:
	s_delay_alu instid0(SALU_CYCLE_1)
	s_and_not1_b32 vcc_lo, exec_lo, s2
	s_cbranch_vccnz .LBB512_2029
; %bb.2022:
	v_cvt_f32_f64_e32 v2, v[4:5]
	v_mov_b32_e32 v6, 0x80
	s_mov_b32 s2, exec_lo
	s_delay_alu instid0(VALU_DEP_2) | instskip(NEXT) | instid1(VALU_DEP_1)
	v_and_b32_e32 v3, 0x7fffffff, v2
	v_cmpx_gt_u32_e32 0x43800000, v3
	s_cbranch_execz .LBB512_2028
; %bb.2023:
	v_cmp_lt_u32_e32 vcc_lo, 0x3bffffff, v3
	s_mov_b32 s3, 0
                                        ; implicit-def: $vgpr3
	s_and_saveexec_b32 s4, vcc_lo
	s_delay_alu instid0(SALU_CYCLE_1)
	s_xor_b32 s4, exec_lo, s4
	s_cbranch_execz .LBB512_2100
; %bb.2024:
	v_bfe_u32 v3, v2, 20, 1
	s_mov_b32 s3, exec_lo
	s_delay_alu instid0(VALU_DEP_1) | instskip(NEXT) | instid1(VALU_DEP_1)
	v_add3_u32 v3, v2, v3, 0x487ffff
	v_lshrrev_b32_e32 v3, 20, v3
	s_or_saveexec_b32 s4, s4
                                        ; implicit-def: $sgpr5
	s_delay_alu instid0(SALU_CYCLE_1)
	s_xor_b32 exec_lo, exec_lo, s4
	s_cbranch_execnz .LBB512_2101
.LBB512_2025:
	s_or_b32 exec_lo, exec_lo, s4
	v_mov_b32_e32 v6, s5
	s_and_saveexec_b32 s4, s3
.LBB512_2026:
	v_lshrrev_b32_e32 v2, 24, v2
	s_delay_alu instid0(VALU_DEP_1)
	v_and_or_b32 v6, 0x80, v2, v3
.LBB512_2027:
	s_or_b32 exec_lo, exec_lo, s4
.LBB512_2028:
	s_delay_alu instid0(SALU_CYCLE_1)
	s_or_b32 exec_lo, exec_lo, s2
	global_store_b8 v[0:1], v6, off
.LBB512_2029:
	s_mov_b32 s2, 0
.LBB512_2030:
	s_delay_alu instid0(SALU_CYCLE_1)
	s_and_b32 vcc_lo, exec_lo, s2
	s_cbranch_vccz .LBB512_2070
; %bb.2031:
	v_cmp_lt_i16_e32 vcc_lo, 22, v14
	s_mov_b32 s1, -1
	s_cbranch_vccz .LBB512_2063
; %bb.2032:
	v_cmp_gt_i16_e32 vcc_lo, 24, v14
	s_cbranch_vccnz .LBB512_2052
; %bb.2033:
	v_cmp_lt_i16_e32 vcc_lo, 24, v14
	s_cbranch_vccz .LBB512_2041
; %bb.2034:
	v_cvt_f32_f64_e32 v2, v[4:5]
	v_mov_b32_e32 v6, 0x80
	s_mov_b32 s1, exec_lo
	s_delay_alu instid0(VALU_DEP_2) | instskip(NEXT) | instid1(VALU_DEP_1)
	v_and_b32_e32 v3, 0x7fffffff, v2
	v_cmpx_gt_u32_e32 0x47800000, v3
	s_cbranch_execz .LBB512_2040
; %bb.2035:
	v_cmp_lt_u32_e32 vcc_lo, 0x37ffffff, v3
	s_mov_b32 s2, 0
                                        ; implicit-def: $vgpr3
	s_and_saveexec_b32 s3, vcc_lo
	s_delay_alu instid0(SALU_CYCLE_1)
	s_xor_b32 s3, exec_lo, s3
	s_cbranch_execz .LBB512_2106
; %bb.2036:
	v_bfe_u32 v3, v2, 21, 1
	s_mov_b32 s2, exec_lo
	s_delay_alu instid0(VALU_DEP_1) | instskip(NEXT) | instid1(VALU_DEP_1)
	v_add3_u32 v3, v2, v3, 0x88fffff
	v_lshrrev_b32_e32 v3, 21, v3
	s_or_saveexec_b32 s3, s3
                                        ; implicit-def: $sgpr4
	s_delay_alu instid0(SALU_CYCLE_1)
	s_xor_b32 exec_lo, exec_lo, s3
	s_cbranch_execnz .LBB512_2107
.LBB512_2037:
	s_or_b32 exec_lo, exec_lo, s3
	v_mov_b32_e32 v6, s4
	s_and_saveexec_b32 s3, s2
.LBB512_2038:
	v_lshrrev_b32_e32 v2, 24, v2
	s_delay_alu instid0(VALU_DEP_1)
	v_and_or_b32 v6, 0x80, v2, v3
.LBB512_2039:
	s_or_b32 exec_lo, exec_lo, s3
.LBB512_2040:
	s_delay_alu instid0(SALU_CYCLE_1)
	s_or_b32 exec_lo, exec_lo, s1
	s_mov_b32 s1, 0
	global_store_b8 v[0:1], v6, off
.LBB512_2041:
	s_and_b32 vcc_lo, exec_lo, s1
	s_cbranch_vccz .LBB512_2051
; %bb.2042:
	v_cvt_f32_f64_e32 v2, v[4:5]
	s_mov_b32 s1, exec_lo
                                        ; implicit-def: $vgpr3
	s_delay_alu instid0(VALU_DEP_1) | instskip(NEXT) | instid1(VALU_DEP_1)
	v_and_b32_e32 v6, 0x7fffffff, v2
	v_cmpx_gt_u32_e32 0x43f00000, v6
	s_xor_b32 s1, exec_lo, s1
	s_cbranch_execz .LBB512_2048
; %bb.2043:
	s_mov_b32 s2, exec_lo
                                        ; implicit-def: $vgpr3
	v_cmpx_lt_u32_e32 0x3c7fffff, v6
	s_xor_b32 s2, exec_lo, s2
; %bb.2044:
	v_bfe_u32 v3, v2, 20, 1
	s_delay_alu instid0(VALU_DEP_1) | instskip(NEXT) | instid1(VALU_DEP_1)
	v_add3_u32 v3, v2, v3, 0x407ffff
	v_and_b32_e32 v6, 0xff00000, v3
	v_lshrrev_b32_e32 v3, 20, v3
	s_delay_alu instid0(VALU_DEP_2) | instskip(NEXT) | instid1(VALU_DEP_2)
	v_cmp_ne_u32_e32 vcc_lo, 0x7f00000, v6
	v_cndmask_b32_e32 v3, 0x7e, v3, vcc_lo
; %bb.2045:
	s_and_not1_saveexec_b32 s2, s2
; %bb.2046:
	v_add_f32_e64 v3, 0x46800000, |v2|
; %bb.2047:
	s_or_b32 exec_lo, exec_lo, s2
                                        ; implicit-def: $vgpr6
.LBB512_2048:
	s_and_not1_saveexec_b32 s1, s1
; %bb.2049:
	v_mov_b32_e32 v3, 0x7f
	v_cmp_lt_u32_e32 vcc_lo, 0x7f800000, v6
	s_delay_alu instid0(VALU_DEP_2)
	v_cndmask_b32_e32 v3, 0x7e, v3, vcc_lo
; %bb.2050:
	s_or_b32 exec_lo, exec_lo, s1
	v_lshrrev_b32_e32 v2, 24, v2
	s_delay_alu instid0(VALU_DEP_1)
	v_and_or_b32 v2, 0x80, v2, v3
	global_store_b8 v[0:1], v2, off
.LBB512_2051:
	s_mov_b32 s1, 0
.LBB512_2052:
	s_delay_alu instid0(SALU_CYCLE_1)
	s_and_not1_b32 vcc_lo, exec_lo, s1
	s_cbranch_vccnz .LBB512_2062
; %bb.2053:
	v_cvt_f32_f64_e32 v2, v[4:5]
	s_mov_b32 s1, exec_lo
                                        ; implicit-def: $vgpr3
	s_delay_alu instid0(VALU_DEP_1) | instskip(NEXT) | instid1(VALU_DEP_1)
	v_and_b32_e32 v6, 0x7fffffff, v2
	v_cmpx_gt_u32_e32 0x47800000, v6
	s_xor_b32 s1, exec_lo, s1
	s_cbranch_execz .LBB512_2059
; %bb.2054:
	s_mov_b32 s2, exec_lo
                                        ; implicit-def: $vgpr3
	v_cmpx_lt_u32_e32 0x387fffff, v6
	s_xor_b32 s2, exec_lo, s2
; %bb.2055:
	v_bfe_u32 v3, v2, 21, 1
	s_delay_alu instid0(VALU_DEP_1) | instskip(NEXT) | instid1(VALU_DEP_1)
	v_add3_u32 v3, v2, v3, 0x80fffff
	v_lshrrev_b32_e32 v3, 21, v3
; %bb.2056:
	s_and_not1_saveexec_b32 s2, s2
; %bb.2057:
	v_add_f32_e64 v3, 0x43000000, |v2|
; %bb.2058:
	s_or_b32 exec_lo, exec_lo, s2
                                        ; implicit-def: $vgpr6
.LBB512_2059:
	s_and_not1_saveexec_b32 s1, s1
; %bb.2060:
	v_mov_b32_e32 v3, 0x7f
	v_cmp_lt_u32_e32 vcc_lo, 0x7f800000, v6
	s_delay_alu instid0(VALU_DEP_2)
	v_cndmask_b32_e32 v3, 0x7c, v3, vcc_lo
; %bb.2061:
	s_or_b32 exec_lo, exec_lo, s1
	v_lshrrev_b32_e32 v2, 24, v2
	s_delay_alu instid0(VALU_DEP_1)
	v_and_or_b32 v2, 0x80, v2, v3
	global_store_b8 v[0:1], v2, off
.LBB512_2062:
	s_mov_b32 s1, 0
.LBB512_2063:
	s_delay_alu instid0(SALU_CYCLE_1)
	s_and_not1_b32 vcc_lo, exec_lo, s1
	s_mov_b32 s1, 0
	s_cbranch_vccnz .LBB512_2070
; %bb.2064:
	v_cmp_lt_i16_e32 vcc_lo, 14, v14
	s_mov_b32 s1, -1
	s_cbranch_vccz .LBB512_2068
; %bb.2065:
	v_cmp_eq_u16_e32 vcc_lo, 15, v14
	s_mov_b32 s0, -1
	s_cbranch_vccz .LBB512_2067
; %bb.2066:
	v_cvt_f32_f64_e32 v2, v[4:5]
	s_mov_b32 s0, 0
	s_delay_alu instid0(VALU_DEP_1) | instskip(SKIP_1) | instid1(VALU_DEP_2)
	v_bfe_u32 v3, v2, 16, 1
	v_cmp_o_f32_e32 vcc_lo, v2, v2
	v_add3_u32 v3, v2, v3, 0x7fff
	s_delay_alu instid0(VALU_DEP_1) | instskip(NEXT) | instid1(VALU_DEP_1)
	v_lshrrev_b32_e32 v3, 16, v3
	v_cndmask_b32_e32 v2, 0x7fc0, v3, vcc_lo
	global_store_b16 v[0:1], v2, off
.LBB512_2067:
	s_mov_b32 s1, 0
.LBB512_2068:
	s_delay_alu instid0(SALU_CYCLE_1)
	s_and_b32 vcc_lo, exec_lo, s1
	s_mov_b32 s1, 0
	s_cbranch_vccz .LBB512_2070
; %bb.2069:
	v_cmp_ne_u16_e64 s0, 11, v14
	s_mov_b32 s1, -1
.LBB512_2070:
	s_delay_alu instid0(VALU_DEP_1)
	s_and_b32 vcc_lo, exec_lo, s0
	s_cbranch_vccnz .LBB512_2104
.LBB512_2071:
	s_mov_b32 s0, 0
	s_branch .LBB512_1673
.LBB512_2072:
	s_mov_b32 s0, 0
	s_mov_b32 s1, 0
                                        ; implicit-def: $vgpr14
                                        ; implicit-def: $vgpr0_vgpr1
	s_branch .LBB512_1673
.LBB512_2073:
	s_mov_b32 s1, 0
	s_mov_b32 s0, -1
	s_branch .LBB512_1673
.LBB512_2074:
	s_cbranch_execnz .LBB512_2078
; %bb.2075:
	s_or_b32 s15, s15, exec_lo
                                        ; implicit-def: $vgpr8_vgpr9
	s_cbranch_execz .LBB512_1538
	s_branch .LBB512_1539
.LBB512_2076:
	s_or_saveexec_b32 s7, s7
                                        ; implicit-def: $sgpr8
	s_delay_alu instid0(SALU_CYCLE_1)
	s_xor_b32 exec_lo, exec_lo, s7
	s_cbranch_execz .LBB512_1622
.LBB512_2077:
	v_add_f32_e64 v3, 0x46000000, |v2|
	s_and_not1_b32 s6, s6, exec_lo
	s_mov_b32 s8, 0
	s_delay_alu instid0(VALU_DEP_1) | instskip(NEXT) | instid1(VALU_DEP_1)
	v_and_b32_e32 v3, 0xff, v3
	v_cmp_ne_u32_e32 vcc_lo, 0, v3
	s_and_b32 s9, vcc_lo, exec_lo
	s_delay_alu instid0(SALU_CYCLE_1)
	s_or_b32 s6, s6, s9
	s_or_b32 exec_lo, exec_lo, s7
	v_mov_b32_e32 v13, s8
	s_and_saveexec_b32 s7, s6
	s_cbranch_execnz .LBB512_1623
	s_branch .LBB512_1624
.LBB512_2078:
	s_trap 2
	s_sendmsg_rtn_b32 s0, sendmsg(MSG_RTN_GET_DOORBELL)
	s_mov_b32 ttmp2, m0
	s_waitcnt lgkmcnt(0)
	s_and_b32 s0, s0, 0x3ff
	s_delay_alu instid0(SALU_CYCLE_1) | instskip(NEXT) | instid1(SALU_CYCLE_1)
	s_bitset1_b32 s0, 10
	s_mov_b32 m0, s0
	s_sendmsg sendmsg(MSG_INTERRUPT)
	s_mov_b32 m0, ttmp2
.LBB512_2079:                           ; =>This Inner Loop Header: Depth=1
	s_sethalt 5
	s_branch .LBB512_2079
.LBB512_2080:
	s_cbranch_execnz .LBB512_2086
; %bb.2081:
	s_or_b32 s15, s15, exec_lo
	s_cbranch_execz .LBB512_1670
	s_branch .LBB512_1671
.LBB512_2082:
	s_or_saveexec_b32 s6, s6
                                        ; implicit-def: $sgpr7
	s_delay_alu instid0(SALU_CYCLE_1)
	s_xor_b32 exec_lo, exec_lo, s6
	s_cbranch_execz .LBB512_1635
.LBB512_2083:
	v_add_f32_e64 v3, 0x42800000, |v2|
	s_and_not1_b32 s3, s3, exec_lo
	s_mov_b32 s7, 0
	s_delay_alu instid0(VALU_DEP_1) | instskip(NEXT) | instid1(VALU_DEP_1)
	v_and_b32_e32 v3, 0xff, v3
	v_cmp_ne_u32_e32 vcc_lo, 0, v3
	s_and_b32 s8, vcc_lo, exec_lo
	s_delay_alu instid0(SALU_CYCLE_1)
	s_or_b32 s3, s3, s8
	s_or_b32 exec_lo, exec_lo, s6
	v_mov_b32_e32 v13, s7
	s_and_saveexec_b32 s6, s3
	s_cbranch_execnz .LBB512_1636
	s_branch .LBB512_1637
.LBB512_2084:
	s_or_saveexec_b32 s7, s7
                                        ; implicit-def: $sgpr8
	s_delay_alu instid0(SALU_CYCLE_1)
	s_xor_b32 exec_lo, exec_lo, s7
	s_cbranch_execz .LBB512_1786
.LBB512_2085:
	v_add_f32_e64 v8, 0x46000000, |v3|
	s_and_not1_b32 s6, s6, exec_lo
	s_mov_b32 s8, 0
	s_delay_alu instid0(VALU_DEP_1) | instskip(NEXT) | instid1(VALU_DEP_1)
	v_and_b32_e32 v8, 0xff, v8
	v_cmp_ne_u32_e32 vcc_lo, 0, v8
	s_and_b32 s9, vcc_lo, exec_lo
	s_delay_alu instid0(SALU_CYCLE_1)
	s_or_b32 s6, s6, s9
	s_or_b32 exec_lo, exec_lo, s7
	v_mov_b32_e32 v9, s8
	s_and_saveexec_b32 s7, s6
	s_cbranch_execnz .LBB512_1787
	s_branch .LBB512_1788
.LBB512_2086:
	s_trap 2
	s_sendmsg_rtn_b32 s0, sendmsg(MSG_RTN_GET_DOORBELL)
	s_mov_b32 ttmp2, m0
	s_waitcnt lgkmcnt(0)
	s_and_b32 s0, s0, 0x3ff
	s_delay_alu instid0(SALU_CYCLE_1) | instskip(NEXT) | instid1(SALU_CYCLE_1)
	s_bitset1_b32 s0, 10
	s_mov_b32 m0, s0
	s_sendmsg sendmsg(MSG_INTERRUPT)
	s_mov_b32 m0, ttmp2
.LBB512_2087:                           ; =>This Inner Loop Header: Depth=1
	s_sethalt 5
	s_branch .LBB512_2087
.LBB512_2088:
	s_cbranch_execnz .LBB512_2094
; %bb.2089:
	s_or_b32 s15, s15, exec_lo
	s_cbranch_execz .LBB512_1834
	s_branch .LBB512_1835
.LBB512_2090:
	s_or_saveexec_b32 s6, s6
                                        ; implicit-def: $sgpr7
	s_delay_alu instid0(SALU_CYCLE_1)
	s_xor_b32 exec_lo, exec_lo, s6
	s_cbranch_execz .LBB512_1799
.LBB512_2091:
	v_add_f32_e64 v8, 0x42800000, |v3|
	s_and_not1_b32 s3, s3, exec_lo
	s_mov_b32 s7, 0
	s_delay_alu instid0(VALU_DEP_1) | instskip(NEXT) | instid1(VALU_DEP_1)
	v_and_b32_e32 v8, 0xff, v8
	v_cmp_ne_u32_e32 vcc_lo, 0, v8
	s_and_b32 s8, vcc_lo, exec_lo
	s_delay_alu instid0(SALU_CYCLE_1)
	s_or_b32 s3, s3, s8
	s_or_b32 exec_lo, exec_lo, s6
	v_mov_b32_e32 v9, s7
	s_and_saveexec_b32 s6, s3
	s_cbranch_execnz .LBB512_1800
	s_branch .LBB512_1801
.LBB512_2092:
	s_or_saveexec_b32 s7, s7
                                        ; implicit-def: $sgpr8
	s_delay_alu instid0(SALU_CYCLE_1)
	s_xor_b32 exec_lo, exec_lo, s7
	s_cbranch_execz .LBB512_1905
.LBB512_2093:
	v_add_f32_e64 v6, 0x46000000, |v3|
	s_and_not1_b32 s6, s6, exec_lo
	s_mov_b32 s8, 0
	s_delay_alu instid0(VALU_DEP_1) | instskip(NEXT) | instid1(VALU_DEP_1)
	v_and_b32_e32 v6, 0xff, v6
	v_cmp_ne_u32_e32 vcc_lo, 0, v6
	s_and_b32 s9, vcc_lo, exec_lo
	s_delay_alu instid0(SALU_CYCLE_1)
	s_or_b32 s6, s6, s9
	s_or_b32 exec_lo, exec_lo, s7
	v_mov_b32_e32 v7, s8
	s_and_saveexec_b32 s7, s6
	s_cbranch_execnz .LBB512_1906
	s_branch .LBB512_1907
.LBB512_2094:
	s_trap 2
	s_sendmsg_rtn_b32 s0, sendmsg(MSG_RTN_GET_DOORBELL)
	s_mov_b32 ttmp2, m0
	s_waitcnt lgkmcnt(0)
	s_and_b32 s0, s0, 0x3ff
	s_delay_alu instid0(SALU_CYCLE_1) | instskip(NEXT) | instid1(SALU_CYCLE_1)
	s_bitset1_b32 s0, 10
	s_mov_b32 m0, s0
	s_sendmsg sendmsg(MSG_INTERRUPT)
	s_mov_b32 m0, ttmp2
.LBB512_2095:                           ; =>This Inner Loop Header: Depth=1
	s_sethalt 5
	s_branch .LBB512_2095
.LBB512_2096:
	s_cbranch_execnz .LBB512_2102
; %bb.2097:
	s_or_b32 s15, s15, exec_lo
	s_cbranch_execz .LBB512_1953
	s_branch .LBB512_1954
.LBB512_2098:
	s_or_saveexec_b32 s6, s6
                                        ; implicit-def: $sgpr7
	s_delay_alu instid0(SALU_CYCLE_1)
	s_xor_b32 exec_lo, exec_lo, s6
	s_cbranch_execz .LBB512_1918
.LBB512_2099:
	v_add_f32_e64 v6, 0x42800000, |v3|
	s_and_not1_b32 s3, s3, exec_lo
	s_mov_b32 s7, 0
	s_delay_alu instid0(VALU_DEP_1) | instskip(NEXT) | instid1(VALU_DEP_1)
	v_and_b32_e32 v6, 0xff, v6
	v_cmp_ne_u32_e32 vcc_lo, 0, v6
	s_and_b32 s8, vcc_lo, exec_lo
	s_delay_alu instid0(SALU_CYCLE_1)
	s_or_b32 s3, s3, s8
	s_or_b32 exec_lo, exec_lo, s6
	v_mov_b32_e32 v7, s7
	s_and_saveexec_b32 s6, s3
	s_cbranch_execnz .LBB512_1919
	s_branch .LBB512_1920
.LBB512_2100:
	s_or_saveexec_b32 s4, s4
                                        ; implicit-def: $sgpr5
	s_delay_alu instid0(SALU_CYCLE_1)
	s_xor_b32 exec_lo, exec_lo, s4
	s_cbranch_execz .LBB512_2025
.LBB512_2101:
	v_add_f32_e64 v3, 0x46000000, |v2|
	s_and_not1_b32 s3, s3, exec_lo
	s_mov_b32 s5, 0
	s_delay_alu instid0(VALU_DEP_1) | instskip(NEXT) | instid1(VALU_DEP_1)
	v_and_b32_e32 v3, 0xff, v3
	v_cmp_ne_u32_e32 vcc_lo, 0, v3
	s_and_b32 s6, vcc_lo, exec_lo
	s_delay_alu instid0(SALU_CYCLE_1)
	s_or_b32 s3, s3, s6
	s_or_b32 exec_lo, exec_lo, s4
	v_mov_b32_e32 v6, s5
	s_and_saveexec_b32 s4, s3
	s_cbranch_execnz .LBB512_2026
	s_branch .LBB512_2027
.LBB512_2102:
	s_trap 2
	s_sendmsg_rtn_b32 s0, sendmsg(MSG_RTN_GET_DOORBELL)
	s_mov_b32 ttmp2, m0
	s_waitcnt lgkmcnt(0)
	s_and_b32 s0, s0, 0x3ff
	s_delay_alu instid0(SALU_CYCLE_1) | instskip(NEXT) | instid1(SALU_CYCLE_1)
	s_bitset1_b32 s0, 10
	s_mov_b32 m0, s0
	s_sendmsg sendmsg(MSG_INTERRUPT)
	s_mov_b32 m0, ttmp2
.LBB512_2103:                           ; =>This Inner Loop Header: Depth=1
	s_sethalt 5
	s_branch .LBB512_2103
.LBB512_2104:
	s_cbranch_execnz .LBB512_2108
; %bb.2105:
	s_mov_b32 s1, 0
	s_or_b32 s15, s15, exec_lo
	s_branch .LBB512_2071
.LBB512_2106:
	s_or_saveexec_b32 s3, s3
                                        ; implicit-def: $sgpr4
	s_delay_alu instid0(SALU_CYCLE_1)
	s_xor_b32 exec_lo, exec_lo, s3
	s_cbranch_execz .LBB512_2037
.LBB512_2107:
	v_add_f32_e64 v3, 0x42800000, |v2|
	s_and_not1_b32 s2, s2, exec_lo
	s_mov_b32 s4, 0
	s_delay_alu instid0(VALU_DEP_1) | instskip(NEXT) | instid1(VALU_DEP_1)
	v_and_b32_e32 v3, 0xff, v3
	v_cmp_ne_u32_e32 vcc_lo, 0, v3
	s_and_b32 s5, vcc_lo, exec_lo
	s_delay_alu instid0(SALU_CYCLE_1)
	s_or_b32 s2, s2, s5
	s_or_b32 exec_lo, exec_lo, s3
	v_mov_b32_e32 v6, s4
	s_and_saveexec_b32 s3, s2
	s_cbranch_execnz .LBB512_2038
	s_branch .LBB512_2039
.LBB512_2108:
	s_trap 2
	s_sendmsg_rtn_b32 s0, sendmsg(MSG_RTN_GET_DOORBELL)
	s_mov_b32 ttmp2, m0
	s_waitcnt lgkmcnt(0)
	s_and_b32 s0, s0, 0x3ff
	s_delay_alu instid0(SALU_CYCLE_1) | instskip(NEXT) | instid1(SALU_CYCLE_1)
	s_bitset1_b32 s0, 10
	s_mov_b32 m0, s0
	s_sendmsg sendmsg(MSG_INTERRUPT)
	s_mov_b32 m0, ttmp2
.LBB512_2109:                           ; =>This Inner Loop Header: Depth=1
	s_sethalt 5
	s_branch .LBB512_2109
	.section	.rodata,"a",@progbits
	.p2align	6, 0x0
	.amdhsa_kernel _ZN2at6native32elementwise_kernel_manual_unrollILi128ELi4EZNS0_15gpu_kernel_implIZZZNS0_22nan_to_num_kernel_cudaERNS_18TensorIteratorBaseESt8optionalIdES6_S6_ENKUlvE0_clEvENKUlvE_clEvEUldE_EEvS4_RKT_EUlibE_EEviT1_
		.amdhsa_group_segment_fixed_size 0
		.amdhsa_private_segment_fixed_size 0
		.amdhsa_kernarg_size 64
		.amdhsa_user_sgpr_count 15
		.amdhsa_user_sgpr_dispatch_ptr 0
		.amdhsa_user_sgpr_queue_ptr 0
		.amdhsa_user_sgpr_kernarg_segment_ptr 1
		.amdhsa_user_sgpr_dispatch_id 0
		.amdhsa_user_sgpr_private_segment_size 0
		.amdhsa_wavefront_size32 1
		.amdhsa_uses_dynamic_stack 0
		.amdhsa_enable_private_segment 0
		.amdhsa_system_sgpr_workgroup_id_x 1
		.amdhsa_system_sgpr_workgroup_id_y 0
		.amdhsa_system_sgpr_workgroup_id_z 0
		.amdhsa_system_sgpr_workgroup_info 0
		.amdhsa_system_vgpr_workitem_id 0
		.amdhsa_next_free_vgpr 17
		.amdhsa_next_free_sgpr 32
		.amdhsa_reserve_vcc 1
		.amdhsa_float_round_mode_32 0
		.amdhsa_float_round_mode_16_64 0
		.amdhsa_float_denorm_mode_32 3
		.amdhsa_float_denorm_mode_16_64 3
		.amdhsa_dx10_clamp 1
		.amdhsa_ieee_mode 1
		.amdhsa_fp16_overflow 0
		.amdhsa_workgroup_processor_mode 1
		.amdhsa_memory_ordered 1
		.amdhsa_forward_progress 0
		.amdhsa_shared_vgpr_count 0
		.amdhsa_exception_fp_ieee_invalid_op 0
		.amdhsa_exception_fp_denorm_src 0
		.amdhsa_exception_fp_ieee_div_zero 0
		.amdhsa_exception_fp_ieee_overflow 0
		.amdhsa_exception_fp_ieee_underflow 0
		.amdhsa_exception_fp_ieee_inexact 0
		.amdhsa_exception_int_div_zero 0
	.end_amdhsa_kernel
	.section	.text._ZN2at6native32elementwise_kernel_manual_unrollILi128ELi4EZNS0_15gpu_kernel_implIZZZNS0_22nan_to_num_kernel_cudaERNS_18TensorIteratorBaseESt8optionalIdES6_S6_ENKUlvE0_clEvENKUlvE_clEvEUldE_EEvS4_RKT_EUlibE_EEviT1_,"axG",@progbits,_ZN2at6native32elementwise_kernel_manual_unrollILi128ELi4EZNS0_15gpu_kernel_implIZZZNS0_22nan_to_num_kernel_cudaERNS_18TensorIteratorBaseESt8optionalIdES6_S6_ENKUlvE0_clEvENKUlvE_clEvEUldE_EEvS4_RKT_EUlibE_EEviT1_,comdat
.Lfunc_end512:
	.size	_ZN2at6native32elementwise_kernel_manual_unrollILi128ELi4EZNS0_15gpu_kernel_implIZZZNS0_22nan_to_num_kernel_cudaERNS_18TensorIteratorBaseESt8optionalIdES6_S6_ENKUlvE0_clEvENKUlvE_clEvEUldE_EEvS4_RKT_EUlibE_EEviT1_, .Lfunc_end512-_ZN2at6native32elementwise_kernel_manual_unrollILi128ELi4EZNS0_15gpu_kernel_implIZZZNS0_22nan_to_num_kernel_cudaERNS_18TensorIteratorBaseESt8optionalIdES6_S6_ENKUlvE0_clEvENKUlvE_clEvEUldE_EEvS4_RKT_EUlibE_EEviT1_
                                        ; -- End function
	.section	.AMDGPU.csdata,"",@progbits
; Kernel info:
; codeLenInByte = 35908
; NumSgprs: 34
; NumVgprs: 17
; ScratchSize: 0
; MemoryBound: 1
; FloatMode: 240
; IeeeMode: 1
; LDSByteSize: 0 bytes/workgroup (compile time only)
; SGPRBlocks: 4
; VGPRBlocks: 2
; NumSGPRsForWavesPerEU: 34
; NumVGPRsForWavesPerEU: 17
; Occupancy: 16
; WaveLimiterHint : 0
; COMPUTE_PGM_RSRC2:SCRATCH_EN: 0
; COMPUTE_PGM_RSRC2:USER_SGPR: 15
; COMPUTE_PGM_RSRC2:TRAP_HANDLER: 0
; COMPUTE_PGM_RSRC2:TGID_X_EN: 1
; COMPUTE_PGM_RSRC2:TGID_Y_EN: 0
; COMPUTE_PGM_RSRC2:TGID_Z_EN: 0
; COMPUTE_PGM_RSRC2:TIDIG_COMP_CNT: 0
	.section	.text._ZN2at6native32elementwise_kernel_manual_unrollILi128ELi4EZNS0_15gpu_kernel_implIZZZNS0_22nan_to_num_kernel_cudaERNS_18TensorIteratorBaseESt8optionalIdES6_S6_ENKUlvE0_clEvENKUlvE_clEvEUldE_EEvS4_RKT_EUlibE0_EEviT1_,"axG",@progbits,_ZN2at6native32elementwise_kernel_manual_unrollILi128ELi4EZNS0_15gpu_kernel_implIZZZNS0_22nan_to_num_kernel_cudaERNS_18TensorIteratorBaseESt8optionalIdES6_S6_ENKUlvE0_clEvENKUlvE_clEvEUldE_EEvS4_RKT_EUlibE0_EEviT1_,comdat
	.globl	_ZN2at6native32elementwise_kernel_manual_unrollILi128ELi4EZNS0_15gpu_kernel_implIZZZNS0_22nan_to_num_kernel_cudaERNS_18TensorIteratorBaseESt8optionalIdES6_S6_ENKUlvE0_clEvENKUlvE_clEvEUldE_EEvS4_RKT_EUlibE0_EEviT1_ ; -- Begin function _ZN2at6native32elementwise_kernel_manual_unrollILi128ELi4EZNS0_15gpu_kernel_implIZZZNS0_22nan_to_num_kernel_cudaERNS_18TensorIteratorBaseESt8optionalIdES6_S6_ENKUlvE0_clEvENKUlvE_clEvEUldE_EEvS4_RKT_EUlibE0_EEviT1_
	.p2align	8
	.type	_ZN2at6native32elementwise_kernel_manual_unrollILi128ELi4EZNS0_15gpu_kernel_implIZZZNS0_22nan_to_num_kernel_cudaERNS_18TensorIteratorBaseESt8optionalIdES6_S6_ENKUlvE0_clEvENKUlvE_clEvEUldE_EEvS4_RKT_EUlibE0_EEviT1_,@function
_ZN2at6native32elementwise_kernel_manual_unrollILi128ELi4EZNS0_15gpu_kernel_implIZZZNS0_22nan_to_num_kernel_cudaERNS_18TensorIteratorBaseESt8optionalIdES6_S6_ENKUlvE0_clEvENKUlvE_clEvEUldE_EEvS4_RKT_EUlibE0_EEviT1_: ; @_ZN2at6native32elementwise_kernel_manual_unrollILi128ELi4EZNS0_15gpu_kernel_implIZZZNS0_22nan_to_num_kernel_cudaERNS_18TensorIteratorBaseESt8optionalIdES6_S6_ENKUlvE0_clEvENKUlvE_clEvEUldE_EEvS4_RKT_EUlibE0_EEviT1_
; %bb.0:
	s_clause 0x1
	s_load_b32 s30, s[0:1], 0x8
	s_load_b32 s38, s[0:1], 0x0
	v_lshl_or_b32 v9, s15, 9, v0
	s_or_b32 s20, s0, 8
	s_mov_b32 s3, -1
	s_mov_b32 s33, 0
	s_mov_b32 s21, s1
	v_or_b32_e32 v6, 0x180, v9
	s_mov_b32 s8, 0
	s_mov_b32 s2, exec_lo
	s_waitcnt lgkmcnt(0)
	s_add_i32 s31, s30, -1
	s_delay_alu instid0(SALU_CYCLE_1)
	s_cmp_gt_u32 s31, 1
	s_cselect_b32 s34, -1, 0
	v_cmpx_le_i32_e64 s38, v6
	s_xor_b32 s35, exec_lo, s2
	s_cbranch_execz .LBB513_1092
; %bb.1:
	s_clause 0x5
	s_load_b32 s36, s[20:21], 0x170
	s_load_b64 s[22:23], s[20:21], 0x168
	s_load_b128 s[16:19], s[20:21], 0x4
	s_load_b64 s[24:25], s[20:21], 0x14
	s_load_b128 s[12:15], s[20:21], 0xc4
	s_load_b256 s[4:11], s[20:21], 0x148
	s_cmp_lg_u32 s30, 0
	s_mov_b32 s44, 0
	s_cselect_b32 s40, -1, 0
	s_add_u32 s26, s20, 0xc4
	s_addc_u32 s27, s21, 0
	s_min_u32 s39, s31, 15
	s_cmp_gt_u32 s30, 1
	s_mov_b32 s42, 0
	s_cselect_b32 s37, -1, 0
	s_mov_b32 s41, 0
	s_mov_b32 s43, exec_lo
	s_waitcnt lgkmcnt(0)
	v_lshrrev_b16 v8, 8, s36
	v_cmpx_gt_i32_e64 s38, v9
	s_cbranch_execz .LBB513_267
; %bb.2:
	s_and_not1_b32 vcc_lo, exec_lo, s34
	s_cbranch_vccnz .LBB513_7
; %bb.3:
	v_mov_b32_e32 v2, 0
	v_mov_b32_e32 v0, 0
	s_and_not1_b32 vcc_lo, exec_lo, s40
	s_cbranch_vccnz .LBB513_12
; %bb.4:
	v_mov_b32_e32 v2, 0
	s_add_i32 s45, s39, 1
	s_cmp_eq_u32 s31, 2
	s_cbranch_scc1 .LBB513_8
; %bb.5:
	v_dual_mov_b32 v0, 0 :: v_dual_mov_b32 v1, v9
	v_mov_b32_e32 v2, 0
	s_and_b32 s42, s45, 28
	s_mov_b32 s46, 0
	s_mov_b64 s[2:3], s[26:27]
	s_mov_b64 s[28:29], s[20:21]
.LBB513_6:                              ; =>This Inner Loop Header: Depth=1
	s_clause 0x1
	s_load_b256 s[48:55], s[28:29], 0x4
	s_load_b128 s[64:67], s[28:29], 0x24
	s_load_b256 s[56:63], s[2:3], 0x0
	s_add_u32 s28, s28, 48
	s_addc_u32 s29, s29, 0
	s_add_i32 s46, s46, 4
	s_add_u32 s2, s2, 32
	s_addc_u32 s3, s3, 0
	s_cmp_lg_u32 s42, s46
	s_waitcnt lgkmcnt(0)
	v_mul_hi_u32 v3, s49, v1
	s_delay_alu instid0(VALU_DEP_1) | instskip(NEXT) | instid1(VALU_DEP_1)
	v_add_nc_u32_e32 v3, v1, v3
	v_lshrrev_b32_e32 v3, s50, v3
	s_delay_alu instid0(VALU_DEP_1) | instskip(SKIP_1) | instid1(VALU_DEP_2)
	v_mul_hi_u32 v4, s52, v3
	v_mul_lo_u32 v6, v3, s48
	v_add_nc_u32_e32 v4, v3, v4
	s_delay_alu instid0(VALU_DEP_2) | instskip(NEXT) | instid1(VALU_DEP_2)
	v_sub_nc_u32_e32 v1, v1, v6
	v_lshrrev_b32_e32 v4, s53, v4
	s_delay_alu instid0(VALU_DEP_2) | instskip(SKIP_1) | instid1(VALU_DEP_3)
	v_mul_lo_u32 v6, v1, s56
	v_mul_lo_u32 v10, v1, s57
	v_mul_hi_u32 v5, s55, v4
	s_delay_alu instid0(VALU_DEP_1) | instskip(NEXT) | instid1(VALU_DEP_1)
	v_add_nc_u32_e32 v5, v4, v5
	v_lshrrev_b32_e32 v5, s64, v5
	s_delay_alu instid0(VALU_DEP_1) | instskip(SKIP_1) | instid1(VALU_DEP_2)
	v_mul_hi_u32 v7, s66, v5
	v_mul_lo_u32 v11, v5, s54
	v_add_nc_u32_e32 v1, v5, v7
	v_mul_lo_u32 v7, v4, s51
	s_delay_alu instid0(VALU_DEP_3) | instskip(NEXT) | instid1(VALU_DEP_3)
	v_sub_nc_u32_e32 v4, v4, v11
	v_lshrrev_b32_e32 v1, s67, v1
	s_delay_alu instid0(VALU_DEP_2) | instskip(SKIP_2) | instid1(VALU_DEP_4)
	v_mul_lo_u32 v11, v4, s60
	v_mul_lo_u32 v4, v4, s61
	v_sub_nc_u32_e32 v3, v3, v7
	v_mul_lo_u32 v12, v1, s65
	s_delay_alu instid0(VALU_DEP_2) | instskip(SKIP_1) | instid1(VALU_DEP_3)
	v_mul_lo_u32 v7, v3, s58
	v_mul_lo_u32 v3, v3, s59
	v_sub_nc_u32_e32 v5, v5, v12
	s_delay_alu instid0(VALU_DEP_3) | instskip(NEXT) | instid1(VALU_DEP_2)
	v_add3_u32 v2, v6, v2, v7
	v_mul_lo_u32 v12, v5, s62
	v_mul_lo_u32 v5, v5, s63
	v_add3_u32 v0, v10, v0, v3
	s_delay_alu instid0(VALU_DEP_3) | instskip(NEXT) | instid1(VALU_DEP_2)
	v_add3_u32 v2, v11, v2, v12
	v_add3_u32 v0, v4, v0, v5
	s_cbranch_scc1 .LBB513_6
	s_branch .LBB513_9
.LBB513_7:
	s_mov_b32 s41, -1
                                        ; implicit-def: $vgpr2
                                        ; implicit-def: $vgpr0
	s_branch .LBB513_12
.LBB513_8:
	v_dual_mov_b32 v1, v9 :: v_dual_mov_b32 v0, 0
.LBB513_9:
	s_and_b32 s45, s45, 3
	s_delay_alu instid0(SALU_CYCLE_1)
	s_cmp_eq_u32 s45, 0
	s_cbranch_scc1 .LBB513_12
; %bb.10:
	s_lshl_b32 s2, s42, 3
	s_mul_i32 s28, s42, 12
	s_add_u32 s2, s2, s20
	s_addc_u32 s3, s21, 0
	s_add_u32 s2, s2, 0xc4
	s_addc_u32 s3, s3, 0
	;; [unrolled: 2-line block ×3, first 2 shown]
	.p2align	6
.LBB513_11:                             ; =>This Inner Loop Header: Depth=1
	s_clause 0x1
	s_load_b64 s[46:47], s[28:29], 0x4
	s_load_b32 s42, s[28:29], 0xc
	s_load_b64 s[48:49], s[2:3], 0x0
	s_add_u32 s28, s28, 12
	s_addc_u32 s29, s29, 0
	s_add_u32 s2, s2, 8
	s_addc_u32 s3, s3, 0
	s_add_i32 s45, s45, -1
	s_delay_alu instid0(SALU_CYCLE_1) | instskip(SKIP_2) | instid1(VALU_DEP_1)
	s_cmp_lg_u32 s45, 0
	s_waitcnt lgkmcnt(0)
	v_mul_hi_u32 v3, s47, v1
	v_add_nc_u32_e32 v3, v1, v3
	s_delay_alu instid0(VALU_DEP_1) | instskip(NEXT) | instid1(VALU_DEP_1)
	v_lshrrev_b32_e32 v6, s42, v3
	v_mul_lo_u32 v3, v6, s46
	s_delay_alu instid0(VALU_DEP_1) | instskip(NEXT) | instid1(VALU_DEP_1)
	v_sub_nc_u32_e32 v1, v1, v3
	v_mad_u64_u32 v[3:4], null, v1, s48, v[2:3]
	v_mad_u64_u32 v[4:5], null, v1, s49, v[0:1]
	s_delay_alu instid0(VALU_DEP_2) | instskip(NEXT) | instid1(VALU_DEP_2)
	v_dual_mov_b32 v1, v6 :: v_dual_mov_b32 v2, v3
	v_mov_b32_e32 v0, v4
	s_cbranch_scc1 .LBB513_11
.LBB513_12:
	s_and_not1_b32 vcc_lo, exec_lo, s41
	s_cbranch_vccnz .LBB513_15
; %bb.13:
	v_mul_hi_u32 v0, s17, v9
	s_and_not1_b32 vcc_lo, exec_lo, s37
	s_delay_alu instid0(VALU_DEP_1) | instskip(NEXT) | instid1(VALU_DEP_1)
	v_add_nc_u32_e32 v0, v9, v0
	v_lshrrev_b32_e32 v1, s18, v0
	s_delay_alu instid0(VALU_DEP_1) | instskip(NEXT) | instid1(VALU_DEP_1)
	v_mul_lo_u32 v0, v1, s16
	v_sub_nc_u32_e32 v0, v9, v0
	s_delay_alu instid0(VALU_DEP_1)
	v_mul_lo_u32 v2, v0, s12
	v_mul_lo_u32 v0, v0, s13
	s_cbranch_vccnz .LBB513_15
; %bb.14:
	v_mul_hi_u32 v3, s24, v1
	s_delay_alu instid0(VALU_DEP_1) | instskip(NEXT) | instid1(VALU_DEP_1)
	v_add_nc_u32_e32 v3, v1, v3
	v_lshrrev_b32_e32 v3, s25, v3
	s_delay_alu instid0(VALU_DEP_1) | instskip(NEXT) | instid1(VALU_DEP_1)
	v_mul_lo_u32 v3, v3, s19
	v_sub_nc_u32_e32 v5, v1, v3
	s_delay_alu instid0(VALU_DEP_1) | instskip(SKIP_1) | instid1(VALU_DEP_2)
	v_mad_u64_u32 v[3:4], null, v5, s14, v[2:3]
	v_mad_u64_u32 v[1:2], null, v5, s15, v[0:1]
	v_mov_b32_e32 v2, v3
	s_delay_alu instid0(VALU_DEP_2)
	v_mov_b32_e32 v0, v1
.LBB513_15:
	v_cmp_gt_i16_e32 vcc_lo, 11, v8
	s_delay_alu instid0(VALU_DEP_2) | instskip(NEXT) | instid1(VALU_DEP_1)
	v_add_co_u32 v0, s2, s6, v0
	v_add_co_ci_u32_e64 v1, null, s7, 0, s2
	s_mov_b32 s28, 0
	s_cbranch_vccnz .LBB513_22
; %bb.16:
	v_cmp_lt_i16_e32 vcc_lo, 25, v8
	s_cbranch_vccz .LBB513_145
; %bb.17:
	v_cmp_lt_i16_e32 vcc_lo, 28, v8
	s_cbranch_vccz .LBB513_146
	;; [unrolled: 3-line block ×4, first 2 shown]
; %bb.20:
	v_cmp_eq_u16_e32 vcc_lo, 46, v8
	s_mov_b32 s3, 0
	s_cbranch_vccz .LBB513_149
; %bb.21:
	global_load_b32 v3, v[0:1], off
	s_mov_b32 s2, -1
	s_waitcnt vmcnt(0)
	v_lshlrev_b32_e32 v3, 16, v3
	s_delay_alu instid0(VALU_DEP_1)
	v_cvt_f64_f32_e32 v[3:4], v3
	s_branch .LBB513_151
.LBB513_22:
	s_mov_b32 s2, 0
                                        ; implicit-def: $vgpr3_vgpr4
	s_cbranch_execnz .LBB513_217
.LBB513_23:
	s_and_not1_b32 vcc_lo, exec_lo, s2
	s_cbranch_vccnz .LBB513_264
.LBB513_24:
	v_dual_mov_b32 v0, s8 :: v_dual_mov_b32 v1, s9
	s_mov_b32 s2, exec_lo
	s_waitcnt vmcnt(0)
	s_delay_alu instid0(VALU_DEP_2)
	v_cmpx_o_f64_e32 v[3:4], v[3:4]
	s_cbranch_execz .LBB513_28
; %bb.25:
	v_dual_mov_b32 v0, s10 :: v_dual_mov_b32 v1, s11
	s_mov_b32 s3, exec_lo
	v_cmpx_neq_f64_e32 0x7ff00000, v[3:4]
; %bb.26:
	v_cmp_eq_f64_e32 vcc_lo, 0xfff00000, v[3:4]
	v_cndmask_b32_e64 v1, v4, s23, vcc_lo
	v_cndmask_b32_e64 v0, v3, s22, vcc_lo
; %bb.27:
	s_or_b32 exec_lo, exec_lo, s3
.LBB513_28:
	s_delay_alu instid0(SALU_CYCLE_1) | instskip(SKIP_2) | instid1(VALU_DEP_1)
	s_or_b32 exec_lo, exec_lo, s2
	v_and_b32_e64 v6, 0xff, s36
	v_add_co_u32 v4, s3, s4, v2
	v_add_co_ci_u32_e64 v5, null, s5, 0, s3
	s_delay_alu instid0(VALU_DEP_3)
	v_cmp_gt_i16_e32 vcc_lo, 11, v6
	s_mov_b32 s2, 0
	s_mov_b32 s29, -1
	s_mov_b32 s3, 0
	s_cbranch_vccnz .LBB513_105
; %bb.29:
	v_cmp_lt_i16_e32 vcc_lo, 25, v6
	s_cbranch_vccz .LBB513_62
; %bb.30:
	v_cmp_lt_i16_e32 vcc_lo, 28, v6
	s_cbranch_vccz .LBB513_45
	;; [unrolled: 3-line block ×4, first 2 shown]
; %bb.33:
	v_cmp_eq_u16_e32 vcc_lo, 46, v6
	s_mov_b32 s29, 0
	s_mov_b32 s2, -1
	s_cbranch_vccz .LBB513_35
; %bb.34:
	v_cvt_f32_f64_e32 v2, v[0:1]
	s_mov_b32 s3, -1
	s_mov_b32 s2, 0
	s_delay_alu instid0(VALU_DEP_1) | instskip(SKIP_1) | instid1(VALU_DEP_2)
	v_bfe_u32 v3, v2, 16, 1
	v_cmp_o_f32_e32 vcc_lo, v2, v2
	v_add3_u32 v3, v2, v3, 0x7fff
	s_delay_alu instid0(VALU_DEP_1) | instskip(NEXT) | instid1(VALU_DEP_1)
	v_lshrrev_b32_e32 v3, 16, v3
	v_cndmask_b32_e32 v2, 0x7fc0, v3, vcc_lo
	global_store_b32 v[4:5], v2, off
.LBB513_35:
	s_and_b32 vcc_lo, exec_lo, s29
	s_cbranch_vccz .LBB513_40
; %bb.36:
	v_cmp_eq_u16_e32 vcc_lo, 44, v6
	s_mov_b32 s2, -1
	s_cbranch_vccz .LBB513_40
; %bb.37:
	v_cvt_f32_f64_e32 v2, v[0:1]
	v_mov_b32_e32 v3, 0xff
	s_mov_b32 s3, exec_lo
	s_delay_alu instid0(VALU_DEP_2) | instskip(NEXT) | instid1(VALU_DEP_1)
	v_bfe_u32 v7, v2, 23, 8
	v_cmpx_ne_u32_e32 0xff, v7
; %bb.38:
	v_and_b32_e32 v3, 0x400000, v2
	v_and_or_b32 v7, 0x3fffff, v2, v7
	v_lshrrev_b32_e32 v2, 23, v2
	s_delay_alu instid0(VALU_DEP_3) | instskip(NEXT) | instid1(VALU_DEP_3)
	v_cmp_ne_u32_e32 vcc_lo, 0, v3
	v_cmp_ne_u32_e64 s2, 0, v7
	s_delay_alu instid0(VALU_DEP_1) | instskip(NEXT) | instid1(SALU_CYCLE_1)
	s_and_b32 s2, vcc_lo, s2
	v_cndmask_b32_e64 v3, 0, 1, s2
	s_delay_alu instid0(VALU_DEP_1)
	v_add_nc_u32_e32 v3, v2, v3
; %bb.39:
	s_or_b32 exec_lo, exec_lo, s3
	s_mov_b32 s3, -1
	s_mov_b32 s2, 0
	global_store_b8 v[4:5], v3, off
.LBB513_40:
	s_mov_b32 s29, 0
.LBB513_41:
	s_delay_alu instid0(SALU_CYCLE_1)
	s_and_b32 vcc_lo, exec_lo, s29
	s_cbranch_vccz .LBB513_44
; %bb.42:
	v_cmp_eq_u16_e32 vcc_lo, 29, v6
	s_mov_b32 s2, -1
	s_cbranch_vccz .LBB513_44
; %bb.43:
	v_trunc_f64_e32 v[2:3], v[0:1]
	s_mov_b32 s3, -1
	s_mov_b32 s2, 0
	s_delay_alu instid0(VALU_DEP_1) | instskip(NEXT) | instid1(VALU_DEP_1)
	v_ldexp_f64 v[10:11], v[2:3], 0xffffffe0
	v_floor_f64_e32 v[10:11], v[10:11]
	s_delay_alu instid0(VALU_DEP_1) | instskip(SKIP_1) | instid1(VALU_DEP_2)
	v_fma_f64 v[2:3], 0xc1f00000, v[10:11], v[2:3]
	v_cvt_u32_f64_e32 v11, v[10:11]
	v_cvt_u32_f64_e32 v10, v[2:3]
	global_store_b64 v[4:5], v[10:11], off
.LBB513_44:
	s_mov_b32 s29, 0
.LBB513_45:
	s_delay_alu instid0(SALU_CYCLE_1)
	s_and_b32 vcc_lo, exec_lo, s29
	s_cbranch_vccz .LBB513_61
; %bb.46:
	v_cmp_gt_i16_e32 vcc_lo, 27, v6
	s_mov_b32 s3, -1
	s_cbranch_vccnz .LBB513_52
; %bb.47:
	v_cmp_lt_i16_e32 vcc_lo, 27, v6
	s_cbranch_vccz .LBB513_49
; %bb.48:
	v_cvt_u32_f64_e32 v2, v[0:1]
	s_mov_b32 s3, 0
	global_store_b32 v[4:5], v2, off
.LBB513_49:
	s_and_not1_b32 vcc_lo, exec_lo, s3
	s_cbranch_vccnz .LBB513_51
; %bb.50:
	v_cvt_u32_f64_e32 v2, v[0:1]
	global_store_b16 v[4:5], v2, off
.LBB513_51:
	s_mov_b32 s3, 0
.LBB513_52:
	s_delay_alu instid0(SALU_CYCLE_1)
	s_and_not1_b32 vcc_lo, exec_lo, s3
	s_cbranch_vccnz .LBB513_60
; %bb.53:
	v_cvt_f32_f64_e32 v2, v[0:1]
	v_mov_b32_e32 v7, 0x80
	s_mov_b32 s3, exec_lo
	s_delay_alu instid0(VALU_DEP_2) | instskip(NEXT) | instid1(VALU_DEP_1)
	v_and_b32_e32 v3, 0x7fffffff, v2
	v_cmpx_gt_u32_e32 0x43800000, v3
	s_cbranch_execz .LBB513_59
; %bb.54:
	v_cmp_lt_u32_e32 vcc_lo, 0x3bffffff, v3
	s_mov_b32 s29, 0
                                        ; implicit-def: $vgpr3
	s_and_saveexec_b32 s41, vcc_lo
	s_delay_alu instid0(SALU_CYCLE_1)
	s_xor_b32 s41, exec_lo, s41
	s_cbranch_execz .LBB513_154
; %bb.55:
	v_bfe_u32 v3, v2, 20, 1
	s_mov_b32 s29, exec_lo
	s_delay_alu instid0(VALU_DEP_1) | instskip(NEXT) | instid1(VALU_DEP_1)
	v_add3_u32 v3, v2, v3, 0x487ffff
	v_lshrrev_b32_e32 v3, 20, v3
	s_or_saveexec_b32 s41, s41
                                        ; implicit-def: $sgpr42
	s_delay_alu instid0(SALU_CYCLE_1)
	s_xor_b32 exec_lo, exec_lo, s41
	s_cbranch_execnz .LBB513_155
.LBB513_56:
	s_or_b32 exec_lo, exec_lo, s41
	v_mov_b32_e32 v7, s42
	s_and_saveexec_b32 s41, s29
.LBB513_57:
	v_lshrrev_b32_e32 v2, 24, v2
	s_delay_alu instid0(VALU_DEP_1)
	v_and_or_b32 v7, 0x80, v2, v3
.LBB513_58:
	s_or_b32 exec_lo, exec_lo, s41
.LBB513_59:
	s_delay_alu instid0(SALU_CYCLE_1)
	s_or_b32 exec_lo, exec_lo, s3
	global_store_b8 v[4:5], v7, off
.LBB513_60:
	s_mov_b32 s3, -1
.LBB513_61:
	s_mov_b32 s29, 0
.LBB513_62:
	s_delay_alu instid0(SALU_CYCLE_1)
	s_and_b32 vcc_lo, exec_lo, s29
	s_cbranch_vccz .LBB513_103
; %bb.63:
	v_cmp_lt_i16_e32 vcc_lo, 22, v6
	s_mov_b32 s29, -1
	s_cbranch_vccz .LBB513_95
; %bb.64:
	v_cmp_gt_i16_e32 vcc_lo, 24, v6
	s_mov_b32 s3, -1
	s_cbranch_vccnz .LBB513_84
; %bb.65:
	v_cmp_lt_i16_e32 vcc_lo, 24, v6
	s_cbranch_vccz .LBB513_73
; %bb.66:
	v_cvt_f32_f64_e32 v2, v[0:1]
	v_mov_b32_e32 v7, 0x80
	s_mov_b32 s3, exec_lo
	s_delay_alu instid0(VALU_DEP_2) | instskip(NEXT) | instid1(VALU_DEP_1)
	v_and_b32_e32 v3, 0x7fffffff, v2
	v_cmpx_gt_u32_e32 0x47800000, v3
	s_cbranch_execz .LBB513_72
; %bb.67:
	v_cmp_lt_u32_e32 vcc_lo, 0x37ffffff, v3
	s_mov_b32 s29, 0
                                        ; implicit-def: $vgpr3
	s_and_saveexec_b32 s41, vcc_lo
	s_delay_alu instid0(SALU_CYCLE_1)
	s_xor_b32 s41, exec_lo, s41
	s_cbranch_execz .LBB513_349
; %bb.68:
	v_bfe_u32 v3, v2, 21, 1
	s_mov_b32 s29, exec_lo
	s_delay_alu instid0(VALU_DEP_1) | instskip(NEXT) | instid1(VALU_DEP_1)
	v_add3_u32 v3, v2, v3, 0x88fffff
	v_lshrrev_b32_e32 v3, 21, v3
	s_or_saveexec_b32 s41, s41
                                        ; implicit-def: $sgpr42
	s_delay_alu instid0(SALU_CYCLE_1)
	s_xor_b32 exec_lo, exec_lo, s41
	s_cbranch_execnz .LBB513_350
.LBB513_69:
	s_or_b32 exec_lo, exec_lo, s41
	v_mov_b32_e32 v7, s42
	s_and_saveexec_b32 s41, s29
.LBB513_70:
	v_lshrrev_b32_e32 v2, 24, v2
	s_delay_alu instid0(VALU_DEP_1)
	v_and_or_b32 v7, 0x80, v2, v3
.LBB513_71:
	s_or_b32 exec_lo, exec_lo, s41
.LBB513_72:
	s_delay_alu instid0(SALU_CYCLE_1)
	s_or_b32 exec_lo, exec_lo, s3
	s_mov_b32 s3, 0
	global_store_b8 v[4:5], v7, off
.LBB513_73:
	s_and_b32 vcc_lo, exec_lo, s3
	s_cbranch_vccz .LBB513_83
; %bb.74:
	v_cvt_f32_f64_e32 v2, v[0:1]
	s_mov_b32 s3, exec_lo
                                        ; implicit-def: $vgpr3
	s_delay_alu instid0(VALU_DEP_1) | instskip(NEXT) | instid1(VALU_DEP_1)
	v_and_b32_e32 v7, 0x7fffffff, v2
	v_cmpx_gt_u32_e32 0x43f00000, v7
	s_xor_b32 s3, exec_lo, s3
	s_cbranch_execz .LBB513_80
; %bb.75:
	s_mov_b32 s29, exec_lo
                                        ; implicit-def: $vgpr3
	v_cmpx_lt_u32_e32 0x3c7fffff, v7
	s_xor_b32 s29, exec_lo, s29
; %bb.76:
	v_bfe_u32 v3, v2, 20, 1
	s_delay_alu instid0(VALU_DEP_1) | instskip(NEXT) | instid1(VALU_DEP_1)
	v_add3_u32 v3, v2, v3, 0x407ffff
	v_and_b32_e32 v7, 0xff00000, v3
	v_lshrrev_b32_e32 v3, 20, v3
	s_delay_alu instid0(VALU_DEP_2) | instskip(NEXT) | instid1(VALU_DEP_2)
	v_cmp_ne_u32_e32 vcc_lo, 0x7f00000, v7
	v_cndmask_b32_e32 v3, 0x7e, v3, vcc_lo
; %bb.77:
	s_and_not1_saveexec_b32 s29, s29
; %bb.78:
	v_add_f32_e64 v3, 0x46800000, |v2|
; %bb.79:
	s_or_b32 exec_lo, exec_lo, s29
                                        ; implicit-def: $vgpr7
.LBB513_80:
	s_and_not1_saveexec_b32 s3, s3
; %bb.81:
	v_mov_b32_e32 v3, 0x7f
	v_cmp_lt_u32_e32 vcc_lo, 0x7f800000, v7
	s_delay_alu instid0(VALU_DEP_2)
	v_cndmask_b32_e32 v3, 0x7e, v3, vcc_lo
; %bb.82:
	s_or_b32 exec_lo, exec_lo, s3
	v_lshrrev_b32_e32 v2, 24, v2
	s_delay_alu instid0(VALU_DEP_1)
	v_and_or_b32 v2, 0x80, v2, v3
	global_store_b8 v[4:5], v2, off
.LBB513_83:
	s_mov_b32 s3, 0
.LBB513_84:
	s_delay_alu instid0(SALU_CYCLE_1)
	s_and_not1_b32 vcc_lo, exec_lo, s3
	s_cbranch_vccnz .LBB513_94
; %bb.85:
	v_cvt_f32_f64_e32 v2, v[0:1]
	s_mov_b32 s3, exec_lo
                                        ; implicit-def: $vgpr3
	s_delay_alu instid0(VALU_DEP_1) | instskip(NEXT) | instid1(VALU_DEP_1)
	v_and_b32_e32 v7, 0x7fffffff, v2
	v_cmpx_gt_u32_e32 0x47800000, v7
	s_xor_b32 s3, exec_lo, s3
	s_cbranch_execz .LBB513_91
; %bb.86:
	s_mov_b32 s29, exec_lo
                                        ; implicit-def: $vgpr3
	v_cmpx_lt_u32_e32 0x387fffff, v7
	s_xor_b32 s29, exec_lo, s29
; %bb.87:
	v_bfe_u32 v3, v2, 21, 1
	s_delay_alu instid0(VALU_DEP_1) | instskip(NEXT) | instid1(VALU_DEP_1)
	v_add3_u32 v3, v2, v3, 0x80fffff
	v_lshrrev_b32_e32 v3, 21, v3
; %bb.88:
	s_and_not1_saveexec_b32 s29, s29
; %bb.89:
	v_add_f32_e64 v3, 0x43000000, |v2|
; %bb.90:
	s_or_b32 exec_lo, exec_lo, s29
                                        ; implicit-def: $vgpr7
.LBB513_91:
	s_and_not1_saveexec_b32 s3, s3
; %bb.92:
	v_mov_b32_e32 v3, 0x7f
	v_cmp_lt_u32_e32 vcc_lo, 0x7f800000, v7
	s_delay_alu instid0(VALU_DEP_2)
	v_cndmask_b32_e32 v3, 0x7c, v3, vcc_lo
; %bb.93:
	s_or_b32 exec_lo, exec_lo, s3
	v_lshrrev_b32_e32 v2, 24, v2
	s_delay_alu instid0(VALU_DEP_1)
	v_and_or_b32 v2, 0x80, v2, v3
	global_store_b8 v[4:5], v2, off
.LBB513_94:
	s_mov_b32 s29, 0
	s_mov_b32 s3, -1
.LBB513_95:
	s_and_not1_b32 vcc_lo, exec_lo, s29
	s_cbranch_vccnz .LBB513_103
; %bb.96:
	v_cmp_lt_i16_e32 vcc_lo, 14, v6
	s_mov_b32 s29, -1
	s_cbranch_vccz .LBB513_100
; %bb.97:
	v_cmp_eq_u16_e32 vcc_lo, 15, v6
	s_mov_b32 s2, -1
	s_cbranch_vccz .LBB513_99
; %bb.98:
	v_cvt_f32_f64_e32 v2, v[0:1]
	s_mov_b32 s3, -1
	s_mov_b32 s2, 0
	s_delay_alu instid0(VALU_DEP_1) | instskip(SKIP_1) | instid1(VALU_DEP_2)
	v_bfe_u32 v3, v2, 16, 1
	v_cmp_o_f32_e32 vcc_lo, v2, v2
	v_add3_u32 v3, v2, v3, 0x7fff
	s_delay_alu instid0(VALU_DEP_1) | instskip(NEXT) | instid1(VALU_DEP_1)
	v_lshrrev_b32_e32 v3, 16, v3
	v_cndmask_b32_e32 v2, 0x7fc0, v3, vcc_lo
	global_store_b16 v[4:5], v2, off
.LBB513_99:
	s_mov_b32 s29, 0
.LBB513_100:
	s_delay_alu instid0(SALU_CYCLE_1)
	s_and_b32 vcc_lo, exec_lo, s29
	s_cbranch_vccz .LBB513_103
; %bb.101:
	v_cmp_eq_u16_e32 vcc_lo, 11, v6
	s_mov_b32 s2, -1
	s_cbranch_vccz .LBB513_103
; %bb.102:
	v_cmp_neq_f64_e32 vcc_lo, 0, v[0:1]
	s_mov_b32 s3, -1
	s_mov_b32 s2, 0
	v_cndmask_b32_e64 v2, 0, 1, vcc_lo
	global_store_b8 v[4:5], v2, off
.LBB513_103:
.LBB513_104:
	s_and_not1_b32 vcc_lo, exec_lo, s3
	s_cbranch_vccz .LBB513_144
	s_branch .LBB513_265
.LBB513_105:
	s_and_b32 vcc_lo, exec_lo, s29
	s_cbranch_vccz .LBB513_104
; %bb.106:
	v_cmp_gt_i16_e32 vcc_lo, 5, v6
	s_mov_b32 s3, -1
	s_cbranch_vccnz .LBB513_127
; %bb.107:
	v_cmp_gt_i16_e32 vcc_lo, 8, v6
	s_cbranch_vccnz .LBB513_117
; %bb.108:
	v_cmp_gt_i16_e32 vcc_lo, 9, v6
	s_cbranch_vccnz .LBB513_114
; %bb.109:
	v_cmp_lt_i16_e32 vcc_lo, 9, v6
	s_cbranch_vccz .LBB513_111
; %bb.110:
	v_mov_b32_e32 v2, 0
	s_mov_b32 s3, 0
	s_delay_alu instid0(VALU_DEP_1)
	v_mov_b32_e32 v3, v2
	global_store_b128 v[4:5], v[0:3], off
.LBB513_111:
	s_and_not1_b32 vcc_lo, exec_lo, s3
	s_cbranch_vccnz .LBB513_113
; %bb.112:
	v_cvt_f32_f64_e32 v2, v[0:1]
	v_mov_b32_e32 v3, 0
	global_store_b64 v[4:5], v[2:3], off
.LBB513_113:
	s_mov_b32 s3, 0
.LBB513_114:
	s_delay_alu instid0(SALU_CYCLE_1)
	s_and_not1_b32 vcc_lo, exec_lo, s3
	s_cbranch_vccnz .LBB513_116
; %bb.115:
	v_cvt_f32_f64_e32 v2, v[0:1]
	s_delay_alu instid0(VALU_DEP_1) | instskip(NEXT) | instid1(VALU_DEP_1)
	v_cvt_f16_f32_e32 v2, v2
	v_and_b32_e32 v2, 0xffff, v2
	global_store_b32 v[4:5], v2, off
.LBB513_116:
	s_mov_b32 s3, 0
.LBB513_117:
	s_delay_alu instid0(SALU_CYCLE_1)
	s_and_not1_b32 vcc_lo, exec_lo, s3
	s_cbranch_vccnz .LBB513_126
; %bb.118:
	v_cmp_gt_i16_e32 vcc_lo, 6, v6
	s_mov_b32 s3, -1
	s_cbranch_vccnz .LBB513_124
; %bb.119:
	v_cmp_lt_i16_e32 vcc_lo, 6, v6
	s_cbranch_vccz .LBB513_121
; %bb.120:
	s_mov_b32 s3, 0
	global_store_b64 v[4:5], v[0:1], off
.LBB513_121:
	s_and_not1_b32 vcc_lo, exec_lo, s3
	s_cbranch_vccnz .LBB513_123
; %bb.122:
	v_cvt_f32_f64_e32 v2, v[0:1]
	global_store_b32 v[4:5], v2, off
.LBB513_123:
	s_mov_b32 s3, 0
.LBB513_124:
	s_delay_alu instid0(SALU_CYCLE_1)
	s_and_not1_b32 vcc_lo, exec_lo, s3
	s_cbranch_vccnz .LBB513_126
; %bb.125:
	v_cvt_f32_f64_e32 v2, v[0:1]
	s_delay_alu instid0(VALU_DEP_1)
	v_cvt_f16_f32_e32 v2, v2
	global_store_b16 v[4:5], v2, off
.LBB513_126:
	s_mov_b32 s3, 0
.LBB513_127:
	s_delay_alu instid0(SALU_CYCLE_1)
	s_and_not1_b32 vcc_lo, exec_lo, s3
	s_cbranch_vccnz .LBB513_143
; %bb.128:
	v_cmp_gt_i16_e32 vcc_lo, 2, v6
	s_mov_b32 s3, -1
	s_cbranch_vccnz .LBB513_138
; %bb.129:
	v_cmp_gt_i16_e32 vcc_lo, 3, v6
	s_cbranch_vccnz .LBB513_135
; %bb.130:
	v_cmp_lt_i16_e32 vcc_lo, 3, v6
	s_cbranch_vccz .LBB513_132
; %bb.131:
	v_trunc_f64_e32 v[2:3], v[0:1]
	s_mov_b32 s3, 0
	s_delay_alu instid0(VALU_DEP_1) | instskip(NEXT) | instid1(VALU_DEP_1)
	v_ldexp_f64 v[10:11], v[2:3], 0xffffffe0
	v_floor_f64_e32 v[10:11], v[10:11]
	s_delay_alu instid0(VALU_DEP_1) | instskip(SKIP_1) | instid1(VALU_DEP_2)
	v_fma_f64 v[2:3], 0xc1f00000, v[10:11], v[2:3]
	v_cvt_i32_f64_e32 v11, v[10:11]
	v_cvt_u32_f64_e32 v10, v[2:3]
	global_store_b64 v[4:5], v[10:11], off
.LBB513_132:
	s_and_not1_b32 vcc_lo, exec_lo, s3
	s_cbranch_vccnz .LBB513_134
; %bb.133:
	v_cvt_i32_f64_e32 v2, v[0:1]
	global_store_b32 v[4:5], v2, off
.LBB513_134:
	s_mov_b32 s3, 0
.LBB513_135:
	s_delay_alu instid0(SALU_CYCLE_1)
	s_and_not1_b32 vcc_lo, exec_lo, s3
	s_cbranch_vccnz .LBB513_137
; %bb.136:
	v_cvt_i32_f64_e32 v2, v[0:1]
	global_store_b16 v[4:5], v2, off
.LBB513_137:
	s_mov_b32 s3, 0
.LBB513_138:
	s_delay_alu instid0(SALU_CYCLE_1)
	s_and_not1_b32 vcc_lo, exec_lo, s3
	s_cbranch_vccnz .LBB513_143
; %bb.139:
	v_cmp_lt_i16_e32 vcc_lo, 0, v6
	s_mov_b32 s3, -1
	s_cbranch_vccz .LBB513_141
; %bb.140:
	v_cvt_i32_f64_e32 v2, v[0:1]
	s_mov_b32 s3, 0
	global_store_b8 v[4:5], v2, off
.LBB513_141:
	s_and_not1_b32 vcc_lo, exec_lo, s3
	s_cbranch_vccnz .LBB513_143
; %bb.142:
	v_trunc_f64_e32 v[0:1], v[0:1]
	s_delay_alu instid0(VALU_DEP_1) | instskip(NEXT) | instid1(VALU_DEP_1)
	v_ldexp_f64 v[2:3], v[0:1], 0xffffffe0
	v_floor_f64_e32 v[2:3], v[2:3]
	s_delay_alu instid0(VALU_DEP_1) | instskip(NEXT) | instid1(VALU_DEP_1)
	v_fma_f64 v[0:1], 0xc1f00000, v[2:3], v[0:1]
	v_cvt_u32_f64_e32 v0, v[0:1]
	global_store_b8 v[4:5], v0, off
.LBB513_143:
.LBB513_144:
	v_add_nc_u32_e32 v9, 0x80, v9
	s_mov_b32 s3, -1
	s_branch .LBB513_266
.LBB513_145:
	s_mov_b32 s2, 0
                                        ; implicit-def: $vgpr3_vgpr4
	s_cbranch_execnz .LBB513_184
	s_branch .LBB513_216
.LBB513_146:
	s_mov_b32 s3, -1
	s_mov_b32 s2, 0
                                        ; implicit-def: $vgpr3_vgpr4
	s_branch .LBB513_163
.LBB513_147:
	s_mov_b32 s3, -1
	s_mov_b32 s2, 0
                                        ; implicit-def: $vgpr3_vgpr4
	s_branch .LBB513_158
.LBB513_148:
	s_mov_b32 s3, -1
	s_branch .LBB513_150
.LBB513_149:
	s_mov_b32 s28, -1
.LBB513_150:
	s_mov_b32 s2, 0
                                        ; implicit-def: $vgpr3_vgpr4
.LBB513_151:
	s_and_b32 vcc_lo, exec_lo, s3
	s_cbranch_vccz .LBB513_157
; %bb.152:
	v_cmp_eq_u16_e32 vcc_lo, 44, v8
	s_cbranch_vccz .LBB513_156
; %bb.153:
	global_load_u8 v5, v[0:1], off
	s_mov_b32 s28, 0
	s_mov_b32 s2, -1
	s_waitcnt vmcnt(0)
	v_cmp_ne_u32_e32 vcc_lo, 0xff, v5
	v_lshlrev_b32_e32 v3, 23, v5
	s_delay_alu instid0(VALU_DEP_1) | instskip(NEXT) | instid1(VALU_DEP_1)
	v_cvt_f64_f32_e32 v[3:4], v3
	v_cndmask_b32_e32 v4, 0x7ff80000, v4, vcc_lo
	s_delay_alu instid0(VALU_DEP_2) | instskip(SKIP_1) | instid1(VALU_DEP_3)
	v_cndmask_b32_e32 v3, 0x20000000, v3, vcc_lo
	v_cmp_ne_u32_e32 vcc_lo, 0, v5
	v_cndmask_b32_e32 v4, 0x38000000, v4, vcc_lo
	s_delay_alu instid0(VALU_DEP_3)
	v_cndmask_b32_e32 v3, 0, v3, vcc_lo
	s_branch .LBB513_157
.LBB513_154:
	s_or_saveexec_b32 s41, s41
                                        ; implicit-def: $sgpr42
	s_delay_alu instid0(SALU_CYCLE_1)
	s_xor_b32 exec_lo, exec_lo, s41
	s_cbranch_execz .LBB513_56
.LBB513_155:
	v_add_f32_e64 v3, 0x46000000, |v2|
	s_and_not1_b32 s29, s29, exec_lo
	s_mov_b32 s42, 0
	s_delay_alu instid0(VALU_DEP_1) | instskip(NEXT) | instid1(VALU_DEP_1)
	v_and_b32_e32 v3, 0xff, v3
	v_cmp_ne_u32_e32 vcc_lo, 0, v3
	s_and_b32 s45, vcc_lo, exec_lo
	s_delay_alu instid0(SALU_CYCLE_1)
	s_or_b32 s29, s29, s45
	s_or_b32 exec_lo, exec_lo, s41
	v_mov_b32_e32 v7, s42
	s_and_saveexec_b32 s41, s29
	s_cbranch_execnz .LBB513_57
	s_branch .LBB513_58
.LBB513_156:
	s_mov_b32 s28, -1
                                        ; implicit-def: $vgpr3_vgpr4
.LBB513_157:
	s_mov_b32 s3, 0
.LBB513_158:
	s_delay_alu instid0(SALU_CYCLE_1)
	s_and_b32 vcc_lo, exec_lo, s3
	s_cbranch_vccz .LBB513_162
; %bb.159:
	v_cmp_eq_u16_e32 vcc_lo, 29, v8
	s_cbranch_vccz .LBB513_161
; %bb.160:
	global_load_b64 v[3:4], v[0:1], off
	s_mov_b32 s2, -1
	s_mov_b32 s28, 0
	s_mov_b32 s3, 0
	s_waitcnt vmcnt(0)
	v_cvt_f64_u32_e32 v[4:5], v4
	v_cvt_f64_u32_e32 v[6:7], v3
	s_delay_alu instid0(VALU_DEP_2) | instskip(NEXT) | instid1(VALU_DEP_1)
	v_ldexp_f64 v[4:5], v[4:5], 32
	v_add_f64 v[3:4], v[4:5], v[6:7]
	s_branch .LBB513_163
.LBB513_161:
	s_mov_b32 s28, -1
                                        ; implicit-def: $vgpr3_vgpr4
.LBB513_162:
	s_mov_b32 s3, 0
.LBB513_163:
	s_delay_alu instid0(SALU_CYCLE_1)
	s_and_b32 vcc_lo, exec_lo, s3
	s_cbranch_vccz .LBB513_183
; %bb.164:
	v_cmp_gt_i16_e32 vcc_lo, 27, v8
	s_cbranch_vccnz .LBB513_167
; %bb.165:
	v_cmp_lt_i16_e32 vcc_lo, 27, v8
	s_cbranch_vccz .LBB513_168
; %bb.166:
	global_load_b32 v3, v[0:1], off
	s_mov_b32 s2, 0
	s_waitcnt vmcnt(0)
	v_cvt_f64_u32_e32 v[3:4], v3
	s_branch .LBB513_169
.LBB513_167:
	s_mov_b32 s2, -1
                                        ; implicit-def: $vgpr3_vgpr4
	s_branch .LBB513_172
.LBB513_168:
	s_mov_b32 s2, -1
                                        ; implicit-def: $vgpr3_vgpr4
.LBB513_169:
	s_delay_alu instid0(SALU_CYCLE_1)
	s_and_not1_b32 vcc_lo, exec_lo, s2
	s_cbranch_vccnz .LBB513_171
; %bb.170:
	global_load_u16 v3, v[0:1], off
	s_waitcnt vmcnt(0)
	v_cvt_f64_u32_e32 v[3:4], v3
.LBB513_171:
	s_mov_b32 s2, 0
.LBB513_172:
	s_delay_alu instid0(SALU_CYCLE_1)
	s_and_not1_b32 vcc_lo, exec_lo, s2
	s_cbranch_vccnz .LBB513_182
; %bb.173:
	global_load_u8 v5, v[0:1], off
	s_mov_b32 s29, 0
	s_mov_b32 s41, exec_lo
                                        ; implicit-def: $sgpr2_sgpr3
	s_waitcnt vmcnt(0)
	v_cmpx_lt_i16_e32 0x7f, v5
	s_xor_b32 s41, exec_lo, s41
	s_cbranch_execz .LBB513_177
; %bb.174:
	s_mov_b32 s42, -1
	s_mov_b32 s29, exec_lo
                                        ; implicit-def: $sgpr2_sgpr3
	v_cmpx_eq_u16_e32 0x80, v5
; %bb.175:
	s_mov_b32 s3, 0x7ff80000
	s_brev_b32 s2, 4
	s_xor_b32 s42, exec_lo, -1
; %bb.176:
	s_or_b32 exec_lo, exec_lo, s29
	s_delay_alu instid0(SALU_CYCLE_1)
	s_and_b32 s29, s42, exec_lo
.LBB513_177:
	s_or_saveexec_b32 s41, s41
	v_dual_mov_b32 v4, s3 :: v_dual_mov_b32 v3, s2
	s_xor_b32 exec_lo, exec_lo, s41
; %bb.178:
	v_cmp_ne_u16_e32 vcc_lo, 0, v5
	v_mov_b32_e32 v3, 0
	v_mov_b32_e32 v4, 0
	s_and_not1_b32 s2, s29, exec_lo
	s_and_b32 s3, vcc_lo, exec_lo
	s_delay_alu instid0(SALU_CYCLE_1)
	s_or_b32 s29, s2, s3
; %bb.179:
	s_or_b32 exec_lo, exec_lo, s41
	s_and_saveexec_b32 s2, s29
	s_cbranch_execz .LBB513_181
; %bb.180:
	v_and_b32_e32 v3, 0xffff, v5
	v_lshlrev_b32_e32 v5, 24, v5
	s_delay_alu instid0(VALU_DEP_2) | instskip(NEXT) | instid1(VALU_DEP_2)
	v_and_b32_e32 v4, 7, v3
	v_and_b32_e32 v5, 0x80000000, v5
	s_delay_alu instid0(VALU_DEP_2) | instskip(NEXT) | instid1(VALU_DEP_1)
	v_clz_i32_u32_e32 v6, v4
	v_min_u32_e32 v6, 32, v6
	s_delay_alu instid0(VALU_DEP_1) | instskip(SKIP_1) | instid1(VALU_DEP_2)
	v_subrev_nc_u32_e32 v7, 28, v6
	v_sub_nc_u32_e32 v6, 29, v6
	v_lshlrev_b32_e32 v7, v7, v3
	v_bfe_u32 v3, v3, 3, 4
	s_delay_alu instid0(VALU_DEP_2) | instskip(NEXT) | instid1(VALU_DEP_2)
	v_and_b32_e32 v7, 7, v7
	v_cmp_eq_u32_e32 vcc_lo, 0, v3
	s_delay_alu instid0(VALU_DEP_2) | instskip(NEXT) | instid1(VALU_DEP_1)
	v_dual_cndmask_b32 v3, v3, v6 :: v_dual_cndmask_b32 v4, v4, v7
	v_lshl_add_u32 v3, v3, 23, 0x3b800000
	s_delay_alu instid0(VALU_DEP_2) | instskip(NEXT) | instid1(VALU_DEP_1)
	v_lshlrev_b32_e32 v4, 20, v4
	v_or3_b32 v3, v5, v3, v4
	s_delay_alu instid0(VALU_DEP_1)
	v_cvt_f64_f32_e32 v[3:4], v3
.LBB513_181:
	s_or_b32 exec_lo, exec_lo, s2
.LBB513_182:
	s_mov_b32 s2, -1
.LBB513_183:
	s_branch .LBB513_216
.LBB513_184:
	v_cmp_lt_i16_e32 vcc_lo, 22, v8
	s_cbranch_vccz .LBB513_196
; %bb.185:
	v_cmp_gt_i16_e32 vcc_lo, 24, v8
	s_cbranch_vccnz .LBB513_197
; %bb.186:
	v_cmp_lt_i16_e32 vcc_lo, 24, v8
	s_cbranch_vccz .LBB513_198
; %bb.187:
	global_load_u8 v5, v[0:1], off
	s_mov_b32 s29, 0
	s_mov_b32 s41, exec_lo
                                        ; implicit-def: $sgpr2_sgpr3
	s_waitcnt vmcnt(0)
	v_cmpx_lt_i16_e32 0x7f, v5
	s_xor_b32 s41, exec_lo, s41
	s_cbranch_execz .LBB513_191
; %bb.188:
	s_mov_b32 s42, -1
	s_mov_b32 s29, exec_lo
                                        ; implicit-def: $sgpr2_sgpr3
	v_cmpx_eq_u16_e32 0x80, v5
; %bb.189:
	s_mov_b32 s3, 0x7ff80000
	s_brev_b32 s2, 4
	s_xor_b32 s42, exec_lo, -1
; %bb.190:
	s_or_b32 exec_lo, exec_lo, s29
	s_delay_alu instid0(SALU_CYCLE_1)
	s_and_b32 s29, s42, exec_lo
.LBB513_191:
	s_or_saveexec_b32 s41, s41
	v_dual_mov_b32 v4, s3 :: v_dual_mov_b32 v3, s2
	s_xor_b32 exec_lo, exec_lo, s41
; %bb.192:
	v_cmp_ne_u16_e32 vcc_lo, 0, v5
	v_mov_b32_e32 v3, 0
	v_mov_b32_e32 v4, 0
	s_and_not1_b32 s2, s29, exec_lo
	s_and_b32 s3, vcc_lo, exec_lo
	s_delay_alu instid0(SALU_CYCLE_1)
	s_or_b32 s29, s2, s3
; %bb.193:
	s_or_b32 exec_lo, exec_lo, s41
	s_and_saveexec_b32 s2, s29
	s_cbranch_execz .LBB513_195
; %bb.194:
	v_and_b32_e32 v3, 0xffff, v5
	v_lshlrev_b32_e32 v5, 24, v5
	s_delay_alu instid0(VALU_DEP_2) | instskip(NEXT) | instid1(VALU_DEP_2)
	v_and_b32_e32 v4, 3, v3
	v_and_b32_e32 v5, 0x80000000, v5
	s_delay_alu instid0(VALU_DEP_2) | instskip(NEXT) | instid1(VALU_DEP_1)
	v_clz_i32_u32_e32 v6, v4
	v_min_u32_e32 v6, 32, v6
	s_delay_alu instid0(VALU_DEP_1) | instskip(SKIP_1) | instid1(VALU_DEP_2)
	v_subrev_nc_u32_e32 v7, 29, v6
	v_sub_nc_u32_e32 v6, 30, v6
	v_lshlrev_b32_e32 v7, v7, v3
	v_bfe_u32 v3, v3, 2, 5
	s_delay_alu instid0(VALU_DEP_2) | instskip(NEXT) | instid1(VALU_DEP_2)
	v_and_b32_e32 v7, 3, v7
	v_cmp_eq_u32_e32 vcc_lo, 0, v3
	s_delay_alu instid0(VALU_DEP_2) | instskip(NEXT) | instid1(VALU_DEP_1)
	v_dual_cndmask_b32 v3, v3, v6 :: v_dual_cndmask_b32 v4, v4, v7
	v_lshl_add_u32 v3, v3, 23, 0x37800000
	s_delay_alu instid0(VALU_DEP_2) | instskip(NEXT) | instid1(VALU_DEP_1)
	v_lshlrev_b32_e32 v4, 21, v4
	v_or3_b32 v3, v5, v3, v4
	s_delay_alu instid0(VALU_DEP_1)
	v_cvt_f64_f32_e32 v[3:4], v3
.LBB513_195:
	s_or_b32 exec_lo, exec_lo, s2
	s_mov_b32 s2, 0
	s_branch .LBB513_199
.LBB513_196:
	s_mov_b32 s3, -1
                                        ; implicit-def: $vgpr3_vgpr4
	s_branch .LBB513_205
.LBB513_197:
	s_mov_b32 s2, -1
                                        ; implicit-def: $vgpr3_vgpr4
	s_branch .LBB513_202
.LBB513_198:
	s_mov_b32 s2, -1
                                        ; implicit-def: $vgpr3_vgpr4
.LBB513_199:
	s_delay_alu instid0(SALU_CYCLE_1)
	s_and_b32 vcc_lo, exec_lo, s2
	s_cbranch_vccz .LBB513_201
; %bb.200:
	global_load_u8 v3, v[0:1], off
	s_waitcnt vmcnt(0)
	v_lshlrev_b32_e32 v3, 24, v3
	s_delay_alu instid0(VALU_DEP_1) | instskip(NEXT) | instid1(VALU_DEP_1)
	v_and_b32_e32 v4, 0x7f000000, v3
	v_clz_i32_u32_e32 v5, v4
	v_add_nc_u32_e32 v7, 0x1000000, v4
	v_cmp_ne_u32_e32 vcc_lo, 0, v4
	s_delay_alu instid0(VALU_DEP_3) | instskip(NEXT) | instid1(VALU_DEP_1)
	v_min_u32_e32 v5, 32, v5
	v_sub_nc_u32_e64 v5, v5, 4 clamp
	s_delay_alu instid0(VALU_DEP_1) | instskip(SKIP_1) | instid1(VALU_DEP_2)
	v_lshlrev_b32_e32 v6, v5, v4
	v_lshlrev_b32_e32 v5, 23, v5
	v_lshrrev_b32_e32 v6, 4, v6
	s_delay_alu instid0(VALU_DEP_1) | instskip(SKIP_1) | instid1(VALU_DEP_2)
	v_sub_nc_u32_e32 v5, v6, v5
	v_ashrrev_i32_e32 v6, 8, v7
	v_add_nc_u32_e32 v5, 0x3c000000, v5
	s_delay_alu instid0(VALU_DEP_1) | instskip(NEXT) | instid1(VALU_DEP_1)
	v_and_or_b32 v5, 0x7f800000, v6, v5
	v_cndmask_b32_e32 v4, 0, v5, vcc_lo
	s_delay_alu instid0(VALU_DEP_1) | instskip(NEXT) | instid1(VALU_DEP_1)
	v_and_or_b32 v3, 0x80000000, v3, v4
	v_cvt_f64_f32_e32 v[3:4], v3
.LBB513_201:
	s_mov_b32 s2, 0
.LBB513_202:
	s_delay_alu instid0(SALU_CYCLE_1)
	s_and_not1_b32 vcc_lo, exec_lo, s2
	s_cbranch_vccnz .LBB513_204
; %bb.203:
	global_load_u8 v3, v[0:1], off
	s_waitcnt vmcnt(0)
	v_lshlrev_b32_e32 v4, 25, v3
	v_lshlrev_b16 v3, 8, v3
	s_delay_alu instid0(VALU_DEP_2) | instskip(NEXT) | instid1(VALU_DEP_2)
	v_lshrrev_b32_e32 v5, 4, v4
	v_and_or_b32 v6, 0x7f00, v3, 0.5
	v_bfe_i32 v3, v3, 0, 16
	s_delay_alu instid0(VALU_DEP_3) | instskip(NEXT) | instid1(VALU_DEP_1)
	v_or_b32_e32 v5, 0x70000000, v5
	v_dual_add_f32 v6, -0.5, v6 :: v_dual_mul_f32 v5, 0x7800000, v5
	v_cmp_gt_u32_e32 vcc_lo, 0x8000000, v4
	s_delay_alu instid0(VALU_DEP_2) | instskip(NEXT) | instid1(VALU_DEP_1)
	v_cndmask_b32_e32 v4, v5, v6, vcc_lo
	v_and_or_b32 v3, 0x80000000, v3, v4
	s_delay_alu instid0(VALU_DEP_1)
	v_cvt_f64_f32_e32 v[3:4], v3
.LBB513_204:
	s_mov_b32 s3, 0
	s_mov_b32 s2, -1
.LBB513_205:
	s_and_not1_b32 vcc_lo, exec_lo, s3
	s_cbranch_vccnz .LBB513_216
; %bb.206:
	v_cmp_lt_i16_e32 vcc_lo, 14, v8
	s_cbranch_vccz .LBB513_209
; %bb.207:
	v_cmp_eq_u16_e32 vcc_lo, 15, v8
	s_cbranch_vccz .LBB513_210
; %bb.208:
	global_load_u16 v3, v[0:1], off
	s_mov_b32 s2, -1
	s_mov_b32 s28, 0
	s_waitcnt vmcnt(0)
	v_lshlrev_b32_e32 v3, 16, v3
	s_delay_alu instid0(VALU_DEP_1)
	v_cvt_f64_f32_e32 v[3:4], v3
	s_branch .LBB513_211
.LBB513_209:
	s_mov_b32 s3, -1
                                        ; implicit-def: $vgpr3_vgpr4
	s_branch .LBB513_212
.LBB513_210:
	s_mov_b32 s28, -1
                                        ; implicit-def: $vgpr3_vgpr4
.LBB513_211:
	s_mov_b32 s3, 0
.LBB513_212:
	s_delay_alu instid0(SALU_CYCLE_1)
	s_and_b32 vcc_lo, exec_lo, s3
	s_cbranch_vccz .LBB513_216
; %bb.213:
	v_cmp_eq_u16_e32 vcc_lo, 11, v8
	s_cbranch_vccz .LBB513_215
; %bb.214:
	global_load_u8 v3, v[0:1], off
	s_mov_b32 s28, 0
	s_mov_b32 s2, -1
	s_waitcnt vmcnt(0)
	v_cmp_ne_u16_e32 vcc_lo, 0, v3
	v_mov_b32_e32 v3, 0
	v_cndmask_b32_e64 v4, 0, 0x3ff00000, vcc_lo
	s_branch .LBB513_216
.LBB513_215:
	s_mov_b32 s28, -1
                                        ; implicit-def: $vgpr3_vgpr4
.LBB513_216:
	s_branch .LBB513_23
.LBB513_217:
	v_cmp_gt_i16_e32 vcc_lo, 5, v8
	s_cbranch_vccnz .LBB513_222
; %bb.218:
	v_cmp_gt_i16_e32 vcc_lo, 8, v8
	s_cbranch_vccnz .LBB513_223
; %bb.219:
	;; [unrolled: 3-line block ×3, first 2 shown]
	v_cmp_lt_i16_e32 vcc_lo, 9, v8
	s_cbranch_vccz .LBB513_225
; %bb.221:
	global_load_b64 v[3:4], v[0:1], off
	s_mov_b32 s2, 0
	s_branch .LBB513_226
.LBB513_222:
                                        ; implicit-def: $vgpr3_vgpr4
	s_branch .LBB513_244
.LBB513_223:
	s_mov_b32 s2, -1
                                        ; implicit-def: $vgpr3_vgpr4
	s_branch .LBB513_232
.LBB513_224:
	s_mov_b32 s2, -1
                                        ; implicit-def: $vgpr3_vgpr4
	s_branch .LBB513_229
.LBB513_225:
	s_mov_b32 s2, -1
                                        ; implicit-def: $vgpr3_vgpr4
.LBB513_226:
	s_delay_alu instid0(SALU_CYCLE_1)
	s_and_not1_b32 vcc_lo, exec_lo, s2
	s_cbranch_vccnz .LBB513_228
; %bb.227:
	global_load_b32 v3, v[0:1], off
	s_waitcnt vmcnt(0)
	v_cvt_f64_f32_e32 v[3:4], v3
.LBB513_228:
	s_mov_b32 s2, 0
.LBB513_229:
	s_delay_alu instid0(SALU_CYCLE_1)
	s_and_not1_b32 vcc_lo, exec_lo, s2
	s_cbranch_vccnz .LBB513_231
; %bb.230:
	global_load_b32 v3, v[0:1], off
	s_waitcnt vmcnt(0)
	v_cvt_f32_f16_e32 v3, v3
	s_delay_alu instid0(VALU_DEP_1)
	v_cvt_f64_f32_e32 v[3:4], v3
.LBB513_231:
	s_mov_b32 s2, 0
.LBB513_232:
	s_delay_alu instid0(SALU_CYCLE_1)
	s_and_not1_b32 vcc_lo, exec_lo, s2
	s_cbranch_vccnz .LBB513_243
; %bb.233:
	v_cmp_gt_i16_e32 vcc_lo, 6, v8
	s_cbranch_vccnz .LBB513_236
; %bb.234:
	v_cmp_lt_i16_e32 vcc_lo, 6, v8
	s_cbranch_vccz .LBB513_237
; %bb.235:
	global_load_b64 v[3:4], v[0:1], off
	s_mov_b32 s2, 0
	s_branch .LBB513_238
.LBB513_236:
	s_mov_b32 s2, -1
                                        ; implicit-def: $vgpr3_vgpr4
	s_branch .LBB513_241
.LBB513_237:
	s_mov_b32 s2, -1
                                        ; implicit-def: $vgpr3_vgpr4
.LBB513_238:
	s_delay_alu instid0(SALU_CYCLE_1)
	s_and_not1_b32 vcc_lo, exec_lo, s2
	s_cbranch_vccnz .LBB513_240
; %bb.239:
	global_load_b32 v3, v[0:1], off
	s_waitcnt vmcnt(0)
	v_cvt_f64_f32_e32 v[3:4], v3
.LBB513_240:
	s_mov_b32 s2, 0
.LBB513_241:
	s_delay_alu instid0(SALU_CYCLE_1)
	s_and_not1_b32 vcc_lo, exec_lo, s2
	s_cbranch_vccnz .LBB513_243
; %bb.242:
	global_load_u16 v3, v[0:1], off
	s_waitcnt vmcnt(0)
	v_cvt_f32_f16_e32 v3, v3
	s_delay_alu instid0(VALU_DEP_1)
	v_cvt_f64_f32_e32 v[3:4], v3
.LBB513_243:
	s_cbranch_execnz .LBB513_263
.LBB513_244:
	v_cmp_gt_i16_e32 vcc_lo, 2, v8
	s_cbranch_vccnz .LBB513_248
; %bb.245:
	v_cmp_gt_i16_e32 vcc_lo, 3, v8
	s_cbranch_vccnz .LBB513_249
; %bb.246:
	v_cmp_lt_i16_e32 vcc_lo, 3, v8
	s_cbranch_vccz .LBB513_250
; %bb.247:
	global_load_b64 v[3:4], v[0:1], off
	s_mov_b32 s2, 0
	s_waitcnt vmcnt(0)
	v_cvt_f64_i32_e32 v[4:5], v4
	v_cvt_f64_u32_e32 v[6:7], v3
	s_delay_alu instid0(VALU_DEP_2) | instskip(NEXT) | instid1(VALU_DEP_1)
	v_ldexp_f64 v[4:5], v[4:5], 32
	v_add_f64 v[3:4], v[4:5], v[6:7]
	s_branch .LBB513_251
.LBB513_248:
	s_mov_b32 s2, -1
                                        ; implicit-def: $vgpr3_vgpr4
	s_branch .LBB513_257
.LBB513_249:
	s_mov_b32 s2, -1
                                        ; implicit-def: $vgpr3_vgpr4
	s_branch .LBB513_254
.LBB513_250:
	s_mov_b32 s2, -1
                                        ; implicit-def: $vgpr3_vgpr4
.LBB513_251:
	s_delay_alu instid0(SALU_CYCLE_1)
	s_and_not1_b32 vcc_lo, exec_lo, s2
	s_cbranch_vccnz .LBB513_253
; %bb.252:
	global_load_b32 v3, v[0:1], off
	s_waitcnt vmcnt(0)
	v_cvt_f64_i32_e32 v[3:4], v3
.LBB513_253:
	s_mov_b32 s2, 0
.LBB513_254:
	s_delay_alu instid0(SALU_CYCLE_1)
	s_and_not1_b32 vcc_lo, exec_lo, s2
	s_cbranch_vccnz .LBB513_256
; %bb.255:
	global_load_i16 v3, v[0:1], off
	s_waitcnt vmcnt(0)
	v_cvt_f64_i32_e32 v[3:4], v3
.LBB513_256:
	s_mov_b32 s2, 0
.LBB513_257:
	s_delay_alu instid0(SALU_CYCLE_1)
	s_and_not1_b32 vcc_lo, exec_lo, s2
	s_cbranch_vccnz .LBB513_263
; %bb.258:
	v_cmp_lt_i16_e32 vcc_lo, 0, v8
	s_mov_b32 s2, 0
	s_cbranch_vccz .LBB513_260
; %bb.259:
	global_load_i8 v3, v[0:1], off
	s_waitcnt vmcnt(0)
	v_cvt_f64_i32_e32 v[3:4], v3
	s_branch .LBB513_261
.LBB513_260:
	s_mov_b32 s2, -1
                                        ; implicit-def: $vgpr3_vgpr4
.LBB513_261:
	s_delay_alu instid0(SALU_CYCLE_1)
	s_and_not1_b32 vcc_lo, exec_lo, s2
	s_cbranch_vccnz .LBB513_263
; %bb.262:
	global_load_u8 v0, v[0:1], off
	s_waitcnt vmcnt(0)
	v_cvt_f64_u32_e32 v[3:4], v0
.LBB513_263:
	s_branch .LBB513_24
.LBB513_264:
	s_mov_b32 s2, 0
.LBB513_265:
	s_mov_b32 s3, 0
                                        ; implicit-def: $vgpr9
.LBB513_266:
	s_and_b32 s41, s2, exec_lo
	s_and_b32 s42, s28, exec_lo
	s_or_not1_b32 s3, s3, exec_lo
.LBB513_267:
	s_or_b32 exec_lo, exec_lo, s43
	s_mov_b32 s28, 0
	s_mov_b32 s2, 0
                                        ; implicit-def: $vgpr0_vgpr1
                                        ; implicit-def: $vgpr2
                                        ; implicit-def: $vgpr6_vgpr7
	s_and_saveexec_b32 s43, s3
	s_cbranch_execz .LBB513_918
; %bb.268:
	s_mov_b32 s2, -1
	s_mov_b32 s44, s42
	s_mov_b32 s45, s41
	s_mov_b32 s46, exec_lo
	v_cmpx_gt_i32_e64 s38, v9
	s_cbranch_execz .LBB513_541
; %bb.269:
	s_and_not1_b32 vcc_lo, exec_lo, s34
	s_cbranch_vccnz .LBB513_274
; %bb.270:
	v_mov_b32_e32 v2, 0
	v_mov_b32_e32 v0, 0
	s_and_not1_b32 vcc_lo, exec_lo, s40
	s_mov_b32 s44, 0
	s_cbranch_vccnz .LBB513_279
; %bb.271:
	v_mov_b32_e32 v2, 0
	s_add_i32 s47, s39, 1
	s_cmp_eq_u32 s31, 2
	s_mov_b32 s45, 0
	s_cbranch_scc1 .LBB513_275
; %bb.272:
	v_dual_mov_b32 v0, 0 :: v_dual_mov_b32 v1, v9
	v_mov_b32_e32 v2, 0
	s_and_b32 s45, s47, 28
	s_mov_b32 s48, 0
	s_mov_b64 s[2:3], s[26:27]
	s_mov_b64 s[28:29], s[20:21]
.LBB513_273:                            ; =>This Inner Loop Header: Depth=1
	s_clause 0x1
	s_load_b256 s[52:59], s[28:29], 0x4
	s_load_b128 s[68:71], s[28:29], 0x24
	s_load_b256 s[60:67], s[2:3], 0x0
	s_add_u32 s28, s28, 48
	s_addc_u32 s29, s29, 0
	s_add_i32 s48, s48, 4
	s_add_u32 s2, s2, 32
	s_addc_u32 s3, s3, 0
	s_cmp_eq_u32 s45, s48
	s_waitcnt vmcnt(0) lgkmcnt(0)
	v_mul_hi_u32 v3, s53, v1
	s_delay_alu instid0(VALU_DEP_1) | instskip(NEXT) | instid1(VALU_DEP_1)
	v_add_nc_u32_e32 v3, v1, v3
	v_lshrrev_b32_e32 v3, s54, v3
	s_delay_alu instid0(VALU_DEP_1) | instskip(SKIP_1) | instid1(VALU_DEP_2)
	v_mul_hi_u32 v4, s56, v3
	v_mul_lo_u32 v6, v3, s52
	v_add_nc_u32_e32 v4, v3, v4
	s_delay_alu instid0(VALU_DEP_2) | instskip(NEXT) | instid1(VALU_DEP_2)
	v_sub_nc_u32_e32 v1, v1, v6
	v_lshrrev_b32_e32 v4, s57, v4
	s_delay_alu instid0(VALU_DEP_2) | instskip(SKIP_1) | instid1(VALU_DEP_3)
	v_mul_lo_u32 v6, v1, s60
	v_mul_lo_u32 v10, v1, s61
	v_mul_hi_u32 v5, s59, v4
	s_delay_alu instid0(VALU_DEP_1) | instskip(NEXT) | instid1(VALU_DEP_1)
	v_add_nc_u32_e32 v5, v4, v5
	v_lshrrev_b32_e32 v5, s68, v5
	s_delay_alu instid0(VALU_DEP_1) | instskip(SKIP_1) | instid1(VALU_DEP_2)
	v_mul_hi_u32 v7, s70, v5
	v_mul_lo_u32 v11, v5, s58
	v_add_nc_u32_e32 v1, v5, v7
	v_mul_lo_u32 v7, v4, s55
	s_delay_alu instid0(VALU_DEP_3) | instskip(NEXT) | instid1(VALU_DEP_3)
	v_sub_nc_u32_e32 v4, v4, v11
	v_lshrrev_b32_e32 v1, s71, v1
	s_delay_alu instid0(VALU_DEP_2) | instskip(SKIP_2) | instid1(VALU_DEP_4)
	v_mul_lo_u32 v11, v4, s64
	v_mul_lo_u32 v4, v4, s65
	v_sub_nc_u32_e32 v3, v3, v7
	v_mul_lo_u32 v12, v1, s69
	s_delay_alu instid0(VALU_DEP_2) | instskip(SKIP_1) | instid1(VALU_DEP_3)
	v_mul_lo_u32 v7, v3, s62
	v_mul_lo_u32 v3, v3, s63
	v_sub_nc_u32_e32 v5, v5, v12
	s_delay_alu instid0(VALU_DEP_3) | instskip(NEXT) | instid1(VALU_DEP_2)
	v_add3_u32 v2, v6, v2, v7
	v_mul_lo_u32 v12, v5, s66
	v_mul_lo_u32 v5, v5, s67
	v_add3_u32 v0, v10, v0, v3
	s_delay_alu instid0(VALU_DEP_3) | instskip(NEXT) | instid1(VALU_DEP_2)
	v_add3_u32 v2, v11, v2, v12
	v_add3_u32 v0, v4, v0, v5
	s_cbranch_scc0 .LBB513_273
	s_branch .LBB513_276
.LBB513_274:
	s_mov_b32 s44, -1
                                        ; implicit-def: $vgpr2
                                        ; implicit-def: $vgpr0
	s_branch .LBB513_279
.LBB513_275:
	v_dual_mov_b32 v1, v9 :: v_dual_mov_b32 v0, 0
.LBB513_276:
	s_and_b32 s47, s47, 3
	s_delay_alu instid0(SALU_CYCLE_1)
	s_cmp_eq_u32 s47, 0
	s_cbranch_scc1 .LBB513_279
; %bb.277:
	s_lshl_b32 s2, s45, 3
	s_mul_i32 s28, s45, 12
	s_add_u32 s2, s2, s20
	s_addc_u32 s3, s21, 0
	s_add_u32 s2, s2, 0xc4
	s_addc_u32 s3, s3, 0
	;; [unrolled: 2-line block ×3, first 2 shown]
	.p2align	6
.LBB513_278:                            ; =>This Inner Loop Header: Depth=1
	s_clause 0x1
	s_load_b64 s[48:49], s[28:29], 0x4
	s_load_b32 s45, s[28:29], 0xc
	s_load_b64 s[50:51], s[2:3], 0x0
	s_add_u32 s28, s28, 12
	s_addc_u32 s29, s29, 0
	s_add_u32 s2, s2, 8
	s_addc_u32 s3, s3, 0
	s_add_i32 s47, s47, -1
	s_delay_alu instid0(SALU_CYCLE_1) | instskip(SKIP_2) | instid1(VALU_DEP_1)
	s_cmp_lg_u32 s47, 0
	s_waitcnt vmcnt(0) lgkmcnt(0)
	v_mul_hi_u32 v3, s49, v1
	v_add_nc_u32_e32 v3, v1, v3
	s_delay_alu instid0(VALU_DEP_1) | instskip(NEXT) | instid1(VALU_DEP_1)
	v_lshrrev_b32_e32 v6, s45, v3
	v_mul_lo_u32 v3, v6, s48
	s_delay_alu instid0(VALU_DEP_1) | instskip(NEXT) | instid1(VALU_DEP_1)
	v_sub_nc_u32_e32 v1, v1, v3
	v_mad_u64_u32 v[3:4], null, v1, s50, v[2:3]
	v_mad_u64_u32 v[4:5], null, v1, s51, v[0:1]
	s_delay_alu instid0(VALU_DEP_2) | instskip(NEXT) | instid1(VALU_DEP_2)
	v_dual_mov_b32 v1, v6 :: v_dual_mov_b32 v2, v3
	v_mov_b32_e32 v0, v4
	s_cbranch_scc1 .LBB513_278
.LBB513_279:
	s_and_not1_b32 vcc_lo, exec_lo, s44
	s_cbranch_vccnz .LBB513_282
; %bb.280:
	v_mul_hi_u32 v0, s17, v9
	s_and_not1_b32 vcc_lo, exec_lo, s37
	s_delay_alu instid0(VALU_DEP_1) | instskip(NEXT) | instid1(VALU_DEP_1)
	v_add_nc_u32_e32 v0, v9, v0
	v_lshrrev_b32_e32 v1, s18, v0
	s_delay_alu instid0(VALU_DEP_1) | instskip(NEXT) | instid1(VALU_DEP_1)
	v_mul_lo_u32 v0, v1, s16
	v_sub_nc_u32_e32 v0, v9, v0
	s_delay_alu instid0(VALU_DEP_1)
	v_mul_lo_u32 v2, v0, s12
	v_mul_lo_u32 v0, v0, s13
	s_cbranch_vccnz .LBB513_282
; %bb.281:
	s_waitcnt vmcnt(0)
	v_mul_hi_u32 v3, s24, v1
	s_delay_alu instid0(VALU_DEP_1) | instskip(NEXT) | instid1(VALU_DEP_1)
	v_add_nc_u32_e32 v3, v1, v3
	v_lshrrev_b32_e32 v3, s25, v3
	s_delay_alu instid0(VALU_DEP_1) | instskip(NEXT) | instid1(VALU_DEP_1)
	v_mul_lo_u32 v3, v3, s19
	v_sub_nc_u32_e32 v5, v1, v3
	s_delay_alu instid0(VALU_DEP_1) | instskip(SKIP_1) | instid1(VALU_DEP_2)
	v_mad_u64_u32 v[3:4], null, v5, s14, v[2:3]
	v_mad_u64_u32 v[1:2], null, v5, s15, v[0:1]
	v_mov_b32_e32 v2, v3
	s_delay_alu instid0(VALU_DEP_2)
	v_mov_b32_e32 v0, v1
.LBB513_282:
	v_cmp_gt_i16_e32 vcc_lo, 11, v8
	s_delay_alu instid0(VALU_DEP_2) | instskip(NEXT) | instid1(VALU_DEP_1)
	v_add_co_u32 v0, s2, s6, v0
	v_add_co_ci_u32_e64 v1, null, s7, 0, s2
	s_mov_b32 s2, 0
	s_cbranch_vccnz .LBB513_289
; %bb.283:
	v_cmp_lt_i16_e32 vcc_lo, 25, v8
	s_cbranch_vccz .LBB513_342
; %bb.284:
	v_cmp_lt_i16_e32 vcc_lo, 28, v8
	s_cbranch_vccz .LBB513_343
; %bb.285:
	v_cmp_lt_i16_e32 vcc_lo, 43, v8
	s_cbranch_vccz .LBB513_345
; %bb.286:
	v_cmp_lt_i16_e32 vcc_lo, 45, v8
	s_cbranch_vccz .LBB513_347
; %bb.287:
	v_cmp_eq_u16_e32 vcc_lo, 46, v8
	s_mov_b32 s3, 0
	s_cbranch_vccz .LBB513_351
; %bb.288:
	global_load_b32 v3, v[0:1], off
	s_mov_b32 s2, -1
	s_mov_b32 s28, 0
	s_waitcnt vmcnt(0)
	v_lshlrev_b32_e32 v3, 16, v3
	s_delay_alu instid0(VALU_DEP_1)
	v_cvt_f64_f32_e32 v[3:4], v3
	s_branch .LBB513_353
.LBB513_289:
	s_mov_b32 s28, s42
                                        ; implicit-def: $vgpr3_vgpr4
	s_cbranch_execnz .LBB513_490
.LBB513_290:
	s_and_not1_b32 vcc_lo, exec_lo, s2
	s_cbranch_vccnz .LBB513_538
.LBB513_291:
	v_dual_mov_b32 v0, s8 :: v_dual_mov_b32 v1, s9
	s_mov_b32 s2, exec_lo
	s_waitcnt vmcnt(0)
	s_delay_alu instid0(VALU_DEP_2)
	v_cmpx_o_f64_e32 v[3:4], v[3:4]
	s_cbranch_execz .LBB513_295
; %bb.292:
	v_dual_mov_b32 v0, s10 :: v_dual_mov_b32 v1, s11
	s_mov_b32 s3, exec_lo
	v_cmpx_neq_f64_e32 0x7ff00000, v[3:4]
; %bb.293:
	v_cmp_eq_f64_e32 vcc_lo, 0xfff00000, v[3:4]
	v_cndmask_b32_e64 v1, v4, s23, vcc_lo
	v_cndmask_b32_e64 v0, v3, s22, vcc_lo
; %bb.294:
	s_or_b32 exec_lo, exec_lo, s3
.LBB513_295:
	s_delay_alu instid0(SALU_CYCLE_1) | instskip(SKIP_2) | instid1(VALU_DEP_1)
	s_or_b32 exec_lo, exec_lo, s2
	v_and_b32_e64 v6, 0xff, s36
	v_add_co_u32 v4, s2, s4, v2
	v_add_co_ci_u32_e64 v5, null, s5, 0, s2
	s_delay_alu instid0(VALU_DEP_3)
	v_cmp_gt_i16_e32 vcc_lo, 11, v6
	s_mov_b32 s3, 0
	s_mov_b32 s29, -1
	s_mov_b32 s2, s41
	s_cbranch_vccnz .LBB513_302
; %bb.296:
	v_cmp_lt_i16_e32 vcc_lo, 25, v6
	s_cbranch_vccz .LBB513_344
; %bb.297:
	v_cmp_lt_i16_e32 vcc_lo, 28, v6
	s_cbranch_vccz .LBB513_346
	;; [unrolled: 3-line block ×4, first 2 shown]
; %bb.300:
	v_cmp_eq_u16_e32 vcc_lo, 46, v6
	s_mov_b32 s29, 0
	s_mov_b32 s2, -1
	s_cbranch_vccz .LBB513_357
; %bb.301:
	v_cvt_f32_f64_e32 v2, v[0:1]
	s_mov_b32 s3, -1
	s_mov_b32 s2, 0
	s_delay_alu instid0(VALU_DEP_1) | instskip(SKIP_1) | instid1(VALU_DEP_2)
	v_bfe_u32 v3, v2, 16, 1
	v_cmp_o_f32_e32 vcc_lo, v2, v2
	v_add3_u32 v3, v2, v3, 0x7fff
	s_delay_alu instid0(VALU_DEP_1) | instskip(NEXT) | instid1(VALU_DEP_1)
	v_lshrrev_b32_e32 v3, 16, v3
	v_cndmask_b32_e32 v2, 0x7fc0, v3, vcc_lo
	global_store_b32 v[4:5], v2, off
	s_branch .LBB513_357
.LBB513_302:
	s_and_b32 vcc_lo, exec_lo, s29
	s_cbranch_vccz .LBB513_426
; %bb.303:
	v_cmp_gt_i16_e32 vcc_lo, 5, v6
	s_mov_b32 s3, -1
	s_cbranch_vccnz .LBB513_324
; %bb.304:
	v_cmp_gt_i16_e32 vcc_lo, 8, v6
	s_cbranch_vccnz .LBB513_314
; %bb.305:
	v_cmp_gt_i16_e32 vcc_lo, 9, v6
	s_cbranch_vccnz .LBB513_311
; %bb.306:
	v_cmp_lt_i16_e32 vcc_lo, 9, v6
	s_cbranch_vccz .LBB513_308
; %bb.307:
	v_mov_b32_e32 v2, 0
	s_mov_b32 s3, 0
	s_delay_alu instid0(VALU_DEP_1)
	v_mov_b32_e32 v3, v2
	global_store_b128 v[4:5], v[0:3], off
.LBB513_308:
	s_and_not1_b32 vcc_lo, exec_lo, s3
	s_cbranch_vccnz .LBB513_310
; %bb.309:
	v_cvt_f32_f64_e32 v2, v[0:1]
	v_mov_b32_e32 v3, 0
	global_store_b64 v[4:5], v[2:3], off
.LBB513_310:
	s_mov_b32 s3, 0
.LBB513_311:
	s_delay_alu instid0(SALU_CYCLE_1)
	s_and_not1_b32 vcc_lo, exec_lo, s3
	s_cbranch_vccnz .LBB513_313
; %bb.312:
	v_cvt_f32_f64_e32 v2, v[0:1]
	s_delay_alu instid0(VALU_DEP_1) | instskip(NEXT) | instid1(VALU_DEP_1)
	v_cvt_f16_f32_e32 v2, v2
	v_and_b32_e32 v2, 0xffff, v2
	global_store_b32 v[4:5], v2, off
.LBB513_313:
	s_mov_b32 s3, 0
.LBB513_314:
	s_delay_alu instid0(SALU_CYCLE_1)
	s_and_not1_b32 vcc_lo, exec_lo, s3
	s_cbranch_vccnz .LBB513_323
; %bb.315:
	v_cmp_gt_i16_e32 vcc_lo, 6, v6
	s_mov_b32 s3, -1
	s_cbranch_vccnz .LBB513_321
; %bb.316:
	v_cmp_lt_i16_e32 vcc_lo, 6, v6
	s_cbranch_vccz .LBB513_318
; %bb.317:
	s_mov_b32 s3, 0
	global_store_b64 v[4:5], v[0:1], off
.LBB513_318:
	s_and_not1_b32 vcc_lo, exec_lo, s3
	s_cbranch_vccnz .LBB513_320
; %bb.319:
	v_cvt_f32_f64_e32 v2, v[0:1]
	global_store_b32 v[4:5], v2, off
.LBB513_320:
	s_mov_b32 s3, 0
.LBB513_321:
	s_delay_alu instid0(SALU_CYCLE_1)
	s_and_not1_b32 vcc_lo, exec_lo, s3
	s_cbranch_vccnz .LBB513_323
; %bb.322:
	v_cvt_f32_f64_e32 v2, v[0:1]
	s_delay_alu instid0(VALU_DEP_1)
	v_cvt_f16_f32_e32 v2, v2
	global_store_b16 v[4:5], v2, off
.LBB513_323:
	s_mov_b32 s3, 0
.LBB513_324:
	s_delay_alu instid0(SALU_CYCLE_1)
	s_and_not1_b32 vcc_lo, exec_lo, s3
	s_cbranch_vccnz .LBB513_340
; %bb.325:
	v_cmp_gt_i16_e32 vcc_lo, 2, v6
	s_mov_b32 s3, -1
	s_cbranch_vccnz .LBB513_335
; %bb.326:
	v_cmp_gt_i16_e32 vcc_lo, 3, v6
	s_cbranch_vccnz .LBB513_332
; %bb.327:
	v_cmp_lt_i16_e32 vcc_lo, 3, v6
	s_cbranch_vccz .LBB513_329
; %bb.328:
	v_trunc_f64_e32 v[2:3], v[0:1]
	s_mov_b32 s3, 0
	s_delay_alu instid0(VALU_DEP_1) | instskip(NEXT) | instid1(VALU_DEP_1)
	v_ldexp_f64 v[10:11], v[2:3], 0xffffffe0
	v_floor_f64_e32 v[10:11], v[10:11]
	s_delay_alu instid0(VALU_DEP_1) | instskip(SKIP_1) | instid1(VALU_DEP_2)
	v_fma_f64 v[2:3], 0xc1f00000, v[10:11], v[2:3]
	v_cvt_i32_f64_e32 v11, v[10:11]
	v_cvt_u32_f64_e32 v10, v[2:3]
	global_store_b64 v[4:5], v[10:11], off
.LBB513_329:
	s_and_not1_b32 vcc_lo, exec_lo, s3
	s_cbranch_vccnz .LBB513_331
; %bb.330:
	v_cvt_i32_f64_e32 v2, v[0:1]
	global_store_b32 v[4:5], v2, off
.LBB513_331:
	s_mov_b32 s3, 0
.LBB513_332:
	s_delay_alu instid0(SALU_CYCLE_1)
	s_and_not1_b32 vcc_lo, exec_lo, s3
	s_cbranch_vccnz .LBB513_334
; %bb.333:
	v_cvt_i32_f64_e32 v2, v[0:1]
	global_store_b16 v[4:5], v2, off
.LBB513_334:
	s_mov_b32 s3, 0
.LBB513_335:
	s_delay_alu instid0(SALU_CYCLE_1)
	s_and_not1_b32 vcc_lo, exec_lo, s3
	s_cbranch_vccnz .LBB513_340
; %bb.336:
	v_cmp_lt_i16_e32 vcc_lo, 0, v6
	s_mov_b32 s3, -1
	s_cbranch_vccz .LBB513_338
; %bb.337:
	v_cvt_i32_f64_e32 v2, v[0:1]
	s_mov_b32 s3, 0
	global_store_b8 v[4:5], v2, off
.LBB513_338:
	s_and_not1_b32 vcc_lo, exec_lo, s3
	s_cbranch_vccnz .LBB513_340
; %bb.339:
	v_trunc_f64_e32 v[0:1], v[0:1]
	s_delay_alu instid0(VALU_DEP_1) | instskip(NEXT) | instid1(VALU_DEP_1)
	v_ldexp_f64 v[2:3], v[0:1], 0xffffffe0
	v_floor_f64_e32 v[2:3], v[2:3]
	s_delay_alu instid0(VALU_DEP_1) | instskip(NEXT) | instid1(VALU_DEP_1)
	v_fma_f64 v[0:1], 0xc1f00000, v[2:3], v[0:1]
	v_cvt_u32_f64_e32 v0, v[0:1]
	global_store_b8 v[4:5], v0, off
.LBB513_340:
	s_branch .LBB513_427
.LBB513_341:
	s_mov_b32 s3, 0
	s_branch .LBB513_539
.LBB513_342:
	s_mov_b32 s3, -1
	s_mov_b32 s28, s42
                                        ; implicit-def: $vgpr3_vgpr4
	s_branch .LBB513_456
.LBB513_343:
	s_mov_b32 s3, -1
	s_mov_b32 s28, s42
                                        ; implicit-def: $vgpr3_vgpr4
	s_branch .LBB513_435
.LBB513_344:
	s_mov_b32 s2, s41
	s_branch .LBB513_384
.LBB513_345:
	s_mov_b32 s3, -1
	s_mov_b32 s28, s42
                                        ; implicit-def: $vgpr3_vgpr4
	s_branch .LBB513_430
.LBB513_346:
	s_mov_b32 s2, s41
	s_branch .LBB513_367
.LBB513_347:
	s_mov_b32 s3, -1
	s_mov_b32 s28, s42
	s_branch .LBB513_352
.LBB513_348:
	s_mov_b32 s2, s41
	s_branch .LBB513_363
.LBB513_349:
	s_or_saveexec_b32 s41, s41
                                        ; implicit-def: $sgpr42
	s_delay_alu instid0(SALU_CYCLE_1)
	s_xor_b32 exec_lo, exec_lo, s41
	s_cbranch_execz .LBB513_69
.LBB513_350:
	v_add_f32_e64 v3, 0x42800000, |v2|
	s_and_not1_b32 s29, s29, exec_lo
	s_mov_b32 s42, 0
	s_delay_alu instid0(VALU_DEP_1) | instskip(NEXT) | instid1(VALU_DEP_1)
	v_and_b32_e32 v3, 0xff, v3
	v_cmp_ne_u32_e32 vcc_lo, 0, v3
	s_and_b32 s45, vcc_lo, exec_lo
	s_delay_alu instid0(SALU_CYCLE_1)
	s_or_b32 s29, s29, s45
	s_or_b32 exec_lo, exec_lo, s41
	v_mov_b32_e32 v7, s42
	s_and_saveexec_b32 s41, s29
	s_cbranch_execnz .LBB513_70
	s_branch .LBB513_71
.LBB513_351:
	s_mov_b32 s28, -1
.LBB513_352:
                                        ; implicit-def: $vgpr3_vgpr4
.LBB513_353:
	s_and_b32 vcc_lo, exec_lo, s3
	s_cbranch_vccz .LBB513_429
; %bb.354:
	v_cmp_eq_u16_e32 vcc_lo, 44, v8
	s_cbranch_vccz .LBB513_428
; %bb.355:
	global_load_u8 v5, v[0:1], off
	s_mov_b32 s28, 0
	s_mov_b32 s2, -1
	s_waitcnt vmcnt(0)
	v_cmp_ne_u32_e32 vcc_lo, 0xff, v5
	v_lshlrev_b32_e32 v3, 23, v5
	s_delay_alu instid0(VALU_DEP_1) | instskip(NEXT) | instid1(VALU_DEP_1)
	v_cvt_f64_f32_e32 v[3:4], v3
	v_cndmask_b32_e32 v4, 0x7ff80000, v4, vcc_lo
	s_delay_alu instid0(VALU_DEP_2) | instskip(SKIP_1) | instid1(VALU_DEP_3)
	v_cndmask_b32_e32 v3, 0x20000000, v3, vcc_lo
	v_cmp_ne_u32_e32 vcc_lo, 0, v5
	v_cndmask_b32_e32 v4, 0x38000000, v4, vcc_lo
	s_delay_alu instid0(VALU_DEP_3)
	v_cndmask_b32_e32 v3, 0, v3, vcc_lo
	s_branch .LBB513_429
.LBB513_356:
	s_mov_b32 s2, s41
.LBB513_357:
	s_and_b32 vcc_lo, exec_lo, s29
	s_cbranch_vccz .LBB513_362
; %bb.358:
	v_cmp_eq_u16_e32 vcc_lo, 44, v6
	s_mov_b32 s2, -1
	s_cbranch_vccz .LBB513_362
; %bb.359:
	v_cvt_f32_f64_e32 v2, v[0:1]
	v_mov_b32_e32 v3, 0xff
	s_mov_b32 s3, exec_lo
	s_delay_alu instid0(VALU_DEP_2) | instskip(NEXT) | instid1(VALU_DEP_1)
	v_bfe_u32 v7, v2, 23, 8
	v_cmpx_ne_u32_e32 0xff, v7
; %bb.360:
	v_and_b32_e32 v3, 0x400000, v2
	v_and_or_b32 v7, 0x3fffff, v2, v7
	v_lshrrev_b32_e32 v2, 23, v2
	s_delay_alu instid0(VALU_DEP_3) | instskip(NEXT) | instid1(VALU_DEP_3)
	v_cmp_ne_u32_e32 vcc_lo, 0, v3
	v_cmp_ne_u32_e64 s2, 0, v7
	s_delay_alu instid0(VALU_DEP_1) | instskip(NEXT) | instid1(SALU_CYCLE_1)
	s_and_b32 s2, vcc_lo, s2
	v_cndmask_b32_e64 v3, 0, 1, s2
	s_delay_alu instid0(VALU_DEP_1)
	v_add_nc_u32_e32 v3, v2, v3
; %bb.361:
	s_or_b32 exec_lo, exec_lo, s3
	s_mov_b32 s3, -1
	s_mov_b32 s2, 0
	global_store_b8 v[4:5], v3, off
.LBB513_362:
	s_mov_b32 s29, 0
.LBB513_363:
	s_delay_alu instid0(SALU_CYCLE_1)
	s_and_b32 vcc_lo, exec_lo, s29
	s_cbranch_vccz .LBB513_366
; %bb.364:
	v_cmp_eq_u16_e32 vcc_lo, 29, v6
	s_mov_b32 s2, -1
	s_cbranch_vccz .LBB513_366
; %bb.365:
	v_trunc_f64_e32 v[2:3], v[0:1]
	s_mov_b32 s3, -1
	s_mov_b32 s2, 0
	s_mov_b32 s29, 0
	s_delay_alu instid0(VALU_DEP_1) | instskip(NEXT) | instid1(VALU_DEP_1)
	v_ldexp_f64 v[10:11], v[2:3], 0xffffffe0
	v_floor_f64_e32 v[10:11], v[10:11]
	s_delay_alu instid0(VALU_DEP_1) | instskip(SKIP_1) | instid1(VALU_DEP_2)
	v_fma_f64 v[2:3], 0xc1f00000, v[10:11], v[2:3]
	v_cvt_u32_f64_e32 v11, v[10:11]
	v_cvt_u32_f64_e32 v10, v[2:3]
	global_store_b64 v[4:5], v[10:11], off
	s_branch .LBB513_367
.LBB513_366:
	s_mov_b32 s29, 0
.LBB513_367:
	s_delay_alu instid0(SALU_CYCLE_1)
	s_and_b32 vcc_lo, exec_lo, s29
	s_cbranch_vccz .LBB513_383
; %bb.368:
	v_cmp_gt_i16_e32 vcc_lo, 27, v6
	s_mov_b32 s3, -1
	s_cbranch_vccnz .LBB513_374
; %bb.369:
	v_cmp_lt_i16_e32 vcc_lo, 27, v6
	s_cbranch_vccz .LBB513_371
; %bb.370:
	v_cvt_u32_f64_e32 v2, v[0:1]
	s_mov_b32 s3, 0
	global_store_b32 v[4:5], v2, off
.LBB513_371:
	s_and_not1_b32 vcc_lo, exec_lo, s3
	s_cbranch_vccnz .LBB513_373
; %bb.372:
	v_cvt_u32_f64_e32 v2, v[0:1]
	global_store_b16 v[4:5], v2, off
.LBB513_373:
	s_mov_b32 s3, 0
.LBB513_374:
	s_delay_alu instid0(SALU_CYCLE_1)
	s_and_not1_b32 vcc_lo, exec_lo, s3
	s_cbranch_vccnz .LBB513_382
; %bb.375:
	v_cvt_f32_f64_e32 v2, v[0:1]
	v_mov_b32_e32 v7, 0x80
	s_mov_b32 s3, exec_lo
	s_delay_alu instid0(VALU_DEP_2) | instskip(NEXT) | instid1(VALU_DEP_1)
	v_and_b32_e32 v3, 0x7fffffff, v2
	v_cmpx_gt_u32_e32 0x43800000, v3
	s_cbranch_execz .LBB513_381
; %bb.376:
	v_cmp_lt_u32_e32 vcc_lo, 0x3bffffff, v3
	s_mov_b32 s29, 0
                                        ; implicit-def: $vgpr3
	s_and_saveexec_b32 s44, vcc_lo
	s_delay_alu instid0(SALU_CYCLE_1)
	s_xor_b32 s44, exec_lo, s44
	s_cbranch_execz .LBB513_567
; %bb.377:
	v_bfe_u32 v3, v2, 20, 1
	s_mov_b32 s29, exec_lo
	s_delay_alu instid0(VALU_DEP_1) | instskip(NEXT) | instid1(VALU_DEP_1)
	v_add3_u32 v3, v2, v3, 0x487ffff
	v_lshrrev_b32_e32 v3, 20, v3
	s_or_saveexec_b32 s44, s44
                                        ; implicit-def: $sgpr45
	s_delay_alu instid0(SALU_CYCLE_1)
	s_xor_b32 exec_lo, exec_lo, s44
	s_cbranch_execnz .LBB513_568
.LBB513_378:
	s_or_b32 exec_lo, exec_lo, s44
	v_mov_b32_e32 v7, s45
	s_and_saveexec_b32 s44, s29
.LBB513_379:
	v_lshrrev_b32_e32 v2, 24, v2
	s_delay_alu instid0(VALU_DEP_1)
	v_and_or_b32 v7, 0x80, v2, v3
.LBB513_380:
	s_or_b32 exec_lo, exec_lo, s44
.LBB513_381:
	s_delay_alu instid0(SALU_CYCLE_1)
	s_or_b32 exec_lo, exec_lo, s3
	global_store_b8 v[4:5], v7, off
.LBB513_382:
	s_mov_b32 s3, -1
.LBB513_383:
	s_mov_b32 s29, 0
.LBB513_384:
	s_delay_alu instid0(SALU_CYCLE_1)
	s_and_b32 vcc_lo, exec_lo, s29
	s_cbranch_vccz .LBB513_425
; %bb.385:
	v_cmp_lt_i16_e32 vcc_lo, 22, v6
	s_mov_b32 s29, -1
	s_cbranch_vccz .LBB513_417
; %bb.386:
	v_cmp_gt_i16_e32 vcc_lo, 24, v6
	s_mov_b32 s3, -1
	s_cbranch_vccnz .LBB513_406
; %bb.387:
	v_cmp_lt_i16_e32 vcc_lo, 24, v6
	s_cbranch_vccz .LBB513_395
; %bb.388:
	v_cvt_f32_f64_e32 v2, v[0:1]
	v_mov_b32_e32 v7, 0x80
	s_mov_b32 s3, exec_lo
	s_delay_alu instid0(VALU_DEP_2) | instskip(NEXT) | instid1(VALU_DEP_1)
	v_and_b32_e32 v3, 0x7fffffff, v2
	v_cmpx_gt_u32_e32 0x47800000, v3
	s_cbranch_execz .LBB513_394
; %bb.389:
	v_cmp_lt_u32_e32 vcc_lo, 0x37ffffff, v3
	s_mov_b32 s29, 0
                                        ; implicit-def: $vgpr3
	s_and_saveexec_b32 s44, vcc_lo
	s_delay_alu instid0(SALU_CYCLE_1)
	s_xor_b32 s44, exec_lo, s44
	s_cbranch_execz .LBB513_570
; %bb.390:
	v_bfe_u32 v3, v2, 21, 1
	s_mov_b32 s29, exec_lo
	s_delay_alu instid0(VALU_DEP_1) | instskip(NEXT) | instid1(VALU_DEP_1)
	v_add3_u32 v3, v2, v3, 0x88fffff
	v_lshrrev_b32_e32 v3, 21, v3
	s_or_saveexec_b32 s44, s44
                                        ; implicit-def: $sgpr45
	s_delay_alu instid0(SALU_CYCLE_1)
	s_xor_b32 exec_lo, exec_lo, s44
	s_cbranch_execnz .LBB513_571
.LBB513_391:
	s_or_b32 exec_lo, exec_lo, s44
	v_mov_b32_e32 v7, s45
	s_and_saveexec_b32 s44, s29
.LBB513_392:
	v_lshrrev_b32_e32 v2, 24, v2
	s_delay_alu instid0(VALU_DEP_1)
	v_and_or_b32 v7, 0x80, v2, v3
.LBB513_393:
	s_or_b32 exec_lo, exec_lo, s44
.LBB513_394:
	s_delay_alu instid0(SALU_CYCLE_1)
	s_or_b32 exec_lo, exec_lo, s3
	s_mov_b32 s3, 0
	global_store_b8 v[4:5], v7, off
.LBB513_395:
	s_and_b32 vcc_lo, exec_lo, s3
	s_cbranch_vccz .LBB513_405
; %bb.396:
	v_cvt_f32_f64_e32 v2, v[0:1]
	s_mov_b32 s3, exec_lo
                                        ; implicit-def: $vgpr3
	s_delay_alu instid0(VALU_DEP_1) | instskip(NEXT) | instid1(VALU_DEP_1)
	v_and_b32_e32 v7, 0x7fffffff, v2
	v_cmpx_gt_u32_e32 0x43f00000, v7
	s_xor_b32 s3, exec_lo, s3
	s_cbranch_execz .LBB513_402
; %bb.397:
	s_mov_b32 s29, exec_lo
                                        ; implicit-def: $vgpr3
	v_cmpx_lt_u32_e32 0x3c7fffff, v7
	s_xor_b32 s29, exec_lo, s29
; %bb.398:
	v_bfe_u32 v3, v2, 20, 1
	s_delay_alu instid0(VALU_DEP_1) | instskip(NEXT) | instid1(VALU_DEP_1)
	v_add3_u32 v3, v2, v3, 0x407ffff
	v_and_b32_e32 v7, 0xff00000, v3
	v_lshrrev_b32_e32 v3, 20, v3
	s_delay_alu instid0(VALU_DEP_2) | instskip(NEXT) | instid1(VALU_DEP_2)
	v_cmp_ne_u32_e32 vcc_lo, 0x7f00000, v7
	v_cndmask_b32_e32 v3, 0x7e, v3, vcc_lo
; %bb.399:
	s_and_not1_saveexec_b32 s29, s29
; %bb.400:
	v_add_f32_e64 v3, 0x46800000, |v2|
; %bb.401:
	s_or_b32 exec_lo, exec_lo, s29
                                        ; implicit-def: $vgpr7
.LBB513_402:
	s_and_not1_saveexec_b32 s3, s3
; %bb.403:
	v_mov_b32_e32 v3, 0x7f
	v_cmp_lt_u32_e32 vcc_lo, 0x7f800000, v7
	s_delay_alu instid0(VALU_DEP_2)
	v_cndmask_b32_e32 v3, 0x7e, v3, vcc_lo
; %bb.404:
	s_or_b32 exec_lo, exec_lo, s3
	v_lshrrev_b32_e32 v2, 24, v2
	s_delay_alu instid0(VALU_DEP_1)
	v_and_or_b32 v2, 0x80, v2, v3
	global_store_b8 v[4:5], v2, off
.LBB513_405:
	s_mov_b32 s3, 0
.LBB513_406:
	s_delay_alu instid0(SALU_CYCLE_1)
	s_and_not1_b32 vcc_lo, exec_lo, s3
	s_cbranch_vccnz .LBB513_416
; %bb.407:
	v_cvt_f32_f64_e32 v2, v[0:1]
	s_mov_b32 s3, exec_lo
                                        ; implicit-def: $vgpr3
	s_delay_alu instid0(VALU_DEP_1) | instskip(NEXT) | instid1(VALU_DEP_1)
	v_and_b32_e32 v7, 0x7fffffff, v2
	v_cmpx_gt_u32_e32 0x47800000, v7
	s_xor_b32 s3, exec_lo, s3
	s_cbranch_execz .LBB513_413
; %bb.408:
	s_mov_b32 s29, exec_lo
                                        ; implicit-def: $vgpr3
	v_cmpx_lt_u32_e32 0x387fffff, v7
	s_xor_b32 s29, exec_lo, s29
; %bb.409:
	v_bfe_u32 v3, v2, 21, 1
	s_delay_alu instid0(VALU_DEP_1) | instskip(NEXT) | instid1(VALU_DEP_1)
	v_add3_u32 v3, v2, v3, 0x80fffff
	v_lshrrev_b32_e32 v3, 21, v3
; %bb.410:
	s_and_not1_saveexec_b32 s29, s29
; %bb.411:
	v_add_f32_e64 v3, 0x43000000, |v2|
; %bb.412:
	s_or_b32 exec_lo, exec_lo, s29
                                        ; implicit-def: $vgpr7
.LBB513_413:
	s_and_not1_saveexec_b32 s3, s3
; %bb.414:
	v_mov_b32_e32 v3, 0x7f
	v_cmp_lt_u32_e32 vcc_lo, 0x7f800000, v7
	s_delay_alu instid0(VALU_DEP_2)
	v_cndmask_b32_e32 v3, 0x7c, v3, vcc_lo
; %bb.415:
	s_or_b32 exec_lo, exec_lo, s3
	v_lshrrev_b32_e32 v2, 24, v2
	s_delay_alu instid0(VALU_DEP_1)
	v_and_or_b32 v2, 0x80, v2, v3
	global_store_b8 v[4:5], v2, off
.LBB513_416:
	s_mov_b32 s29, 0
	s_mov_b32 s3, -1
.LBB513_417:
	s_and_not1_b32 vcc_lo, exec_lo, s29
	s_cbranch_vccnz .LBB513_425
; %bb.418:
	v_cmp_lt_i16_e32 vcc_lo, 14, v6
	s_mov_b32 s29, -1
	s_cbranch_vccz .LBB513_422
; %bb.419:
	v_cmp_eq_u16_e32 vcc_lo, 15, v6
	s_mov_b32 s2, -1
	s_cbranch_vccz .LBB513_421
; %bb.420:
	v_cvt_f32_f64_e32 v2, v[0:1]
	s_mov_b32 s3, -1
	s_mov_b32 s2, 0
	s_delay_alu instid0(VALU_DEP_1) | instskip(SKIP_1) | instid1(VALU_DEP_2)
	v_bfe_u32 v3, v2, 16, 1
	v_cmp_o_f32_e32 vcc_lo, v2, v2
	v_add3_u32 v3, v2, v3, 0x7fff
	s_delay_alu instid0(VALU_DEP_1) | instskip(NEXT) | instid1(VALU_DEP_1)
	v_lshrrev_b32_e32 v3, 16, v3
	v_cndmask_b32_e32 v2, 0x7fc0, v3, vcc_lo
	global_store_b16 v[4:5], v2, off
.LBB513_421:
	s_mov_b32 s29, 0
.LBB513_422:
	s_delay_alu instid0(SALU_CYCLE_1)
	s_and_b32 vcc_lo, exec_lo, s29
	s_cbranch_vccz .LBB513_425
; %bb.423:
	v_cmp_eq_u16_e32 vcc_lo, 11, v6
	s_mov_b32 s2, -1
	s_cbranch_vccz .LBB513_425
; %bb.424:
	v_cmp_neq_f64_e32 vcc_lo, 0, v[0:1]
	s_mov_b32 s3, -1
	s_mov_b32 s2, 0
	v_cndmask_b32_e64 v2, 0, 1, vcc_lo
	global_store_b8 v[4:5], v2, off
.LBB513_425:
.LBB513_426:
	s_and_not1_b32 vcc_lo, exec_lo, s3
	s_cbranch_vccnz .LBB513_341
.LBB513_427:
	v_add_nc_u32_e32 v9, 0x80, v9
	s_mov_b32 s3, -1
	s_branch .LBB513_540
.LBB513_428:
	s_mov_b32 s28, -1
                                        ; implicit-def: $vgpr3_vgpr4
.LBB513_429:
	s_mov_b32 s3, 0
.LBB513_430:
	s_delay_alu instid0(SALU_CYCLE_1)
	s_and_b32 vcc_lo, exec_lo, s3
	s_cbranch_vccz .LBB513_434
; %bb.431:
	v_cmp_eq_u16_e32 vcc_lo, 29, v8
	s_cbranch_vccz .LBB513_433
; %bb.432:
	global_load_b64 v[3:4], v[0:1], off
	s_mov_b32 s2, -1
	s_mov_b32 s28, 0
	s_mov_b32 s3, 0
	s_waitcnt vmcnt(0)
	v_cvt_f64_u32_e32 v[4:5], v4
	v_cvt_f64_u32_e32 v[6:7], v3
	s_delay_alu instid0(VALU_DEP_2) | instskip(NEXT) | instid1(VALU_DEP_1)
	v_ldexp_f64 v[4:5], v[4:5], 32
	v_add_f64 v[3:4], v[4:5], v[6:7]
	s_branch .LBB513_435
.LBB513_433:
	s_mov_b32 s28, -1
                                        ; implicit-def: $vgpr3_vgpr4
.LBB513_434:
	s_mov_b32 s3, 0
.LBB513_435:
	s_delay_alu instid0(SALU_CYCLE_1)
	s_and_b32 vcc_lo, exec_lo, s3
	s_cbranch_vccz .LBB513_455
; %bb.436:
	v_cmp_gt_i16_e32 vcc_lo, 27, v8
	s_cbranch_vccnz .LBB513_439
; %bb.437:
	v_cmp_lt_i16_e32 vcc_lo, 27, v8
	s_cbranch_vccz .LBB513_440
; %bb.438:
	global_load_b32 v3, v[0:1], off
	s_mov_b32 s2, 0
	s_waitcnt vmcnt(0)
	v_cvt_f64_u32_e32 v[3:4], v3
	s_branch .LBB513_441
.LBB513_439:
	s_mov_b32 s2, -1
                                        ; implicit-def: $vgpr3_vgpr4
	s_branch .LBB513_444
.LBB513_440:
	s_mov_b32 s2, -1
                                        ; implicit-def: $vgpr3_vgpr4
.LBB513_441:
	s_delay_alu instid0(SALU_CYCLE_1)
	s_and_not1_b32 vcc_lo, exec_lo, s2
	s_cbranch_vccnz .LBB513_443
; %bb.442:
	global_load_u16 v3, v[0:1], off
	s_waitcnt vmcnt(0)
	v_cvt_f64_u32_e32 v[3:4], v3
.LBB513_443:
	s_mov_b32 s2, 0
.LBB513_444:
	s_delay_alu instid0(SALU_CYCLE_1)
	s_and_not1_b32 vcc_lo, exec_lo, s2
	s_cbranch_vccnz .LBB513_454
; %bb.445:
	global_load_u8 v5, v[0:1], off
	s_mov_b32 s29, 0
	s_mov_b32 s44, exec_lo
                                        ; implicit-def: $sgpr2_sgpr3
	s_waitcnt vmcnt(0)
	v_cmpx_lt_i16_e32 0x7f, v5
	s_xor_b32 s44, exec_lo, s44
	s_cbranch_execz .LBB513_449
; %bb.446:
	s_mov_b32 s45, -1
	s_mov_b32 s29, exec_lo
                                        ; implicit-def: $sgpr2_sgpr3
	v_cmpx_eq_u16_e32 0x80, v5
; %bb.447:
	s_mov_b32 s3, 0x7ff80000
	s_brev_b32 s2, 4
	s_xor_b32 s45, exec_lo, -1
; %bb.448:
	s_or_b32 exec_lo, exec_lo, s29
	s_delay_alu instid0(SALU_CYCLE_1)
	s_and_b32 s29, s45, exec_lo
.LBB513_449:
	s_or_saveexec_b32 s44, s44
	v_dual_mov_b32 v4, s3 :: v_dual_mov_b32 v3, s2
	s_xor_b32 exec_lo, exec_lo, s44
; %bb.450:
	v_cmp_ne_u16_e32 vcc_lo, 0, v5
	v_mov_b32_e32 v3, 0
	v_mov_b32_e32 v4, 0
	s_and_not1_b32 s2, s29, exec_lo
	s_and_b32 s3, vcc_lo, exec_lo
	s_delay_alu instid0(SALU_CYCLE_1)
	s_or_b32 s29, s2, s3
; %bb.451:
	s_or_b32 exec_lo, exec_lo, s44
	s_and_saveexec_b32 s2, s29
	s_cbranch_execz .LBB513_453
; %bb.452:
	v_and_b32_e32 v3, 0xffff, v5
	v_lshlrev_b32_e32 v5, 24, v5
	s_delay_alu instid0(VALU_DEP_2) | instskip(NEXT) | instid1(VALU_DEP_2)
	v_and_b32_e32 v4, 7, v3
	v_and_b32_e32 v5, 0x80000000, v5
	s_delay_alu instid0(VALU_DEP_2) | instskip(NEXT) | instid1(VALU_DEP_1)
	v_clz_i32_u32_e32 v6, v4
	v_min_u32_e32 v6, 32, v6
	s_delay_alu instid0(VALU_DEP_1) | instskip(SKIP_1) | instid1(VALU_DEP_2)
	v_subrev_nc_u32_e32 v7, 28, v6
	v_sub_nc_u32_e32 v6, 29, v6
	v_lshlrev_b32_e32 v7, v7, v3
	v_bfe_u32 v3, v3, 3, 4
	s_delay_alu instid0(VALU_DEP_2) | instskip(NEXT) | instid1(VALU_DEP_2)
	v_and_b32_e32 v7, 7, v7
	v_cmp_eq_u32_e32 vcc_lo, 0, v3
	s_delay_alu instid0(VALU_DEP_2) | instskip(NEXT) | instid1(VALU_DEP_1)
	v_dual_cndmask_b32 v3, v3, v6 :: v_dual_cndmask_b32 v4, v4, v7
	v_lshl_add_u32 v3, v3, 23, 0x3b800000
	s_delay_alu instid0(VALU_DEP_2) | instskip(NEXT) | instid1(VALU_DEP_1)
	v_lshlrev_b32_e32 v4, 20, v4
	v_or3_b32 v3, v5, v3, v4
	s_delay_alu instid0(VALU_DEP_1)
	v_cvt_f64_f32_e32 v[3:4], v3
.LBB513_453:
	s_or_b32 exec_lo, exec_lo, s2
.LBB513_454:
	s_mov_b32 s2, -1
.LBB513_455:
	s_mov_b32 s3, 0
.LBB513_456:
	s_delay_alu instid0(SALU_CYCLE_1)
	s_and_b32 vcc_lo, exec_lo, s3
	s_cbranch_vccz .LBB513_489
; %bb.457:
	v_cmp_lt_i16_e32 vcc_lo, 22, v8
	s_cbranch_vccz .LBB513_469
; %bb.458:
	v_cmp_gt_i16_e32 vcc_lo, 24, v8
	s_cbranch_vccnz .LBB513_470
; %bb.459:
	v_cmp_lt_i16_e32 vcc_lo, 24, v8
	s_cbranch_vccz .LBB513_471
; %bb.460:
	global_load_u8 v5, v[0:1], off
	s_mov_b32 s29, 0
	s_mov_b32 s44, exec_lo
                                        ; implicit-def: $sgpr2_sgpr3
	s_waitcnt vmcnt(0)
	v_cmpx_lt_i16_e32 0x7f, v5
	s_xor_b32 s44, exec_lo, s44
	s_cbranch_execz .LBB513_464
; %bb.461:
	s_mov_b32 s45, -1
	s_mov_b32 s29, exec_lo
                                        ; implicit-def: $sgpr2_sgpr3
	v_cmpx_eq_u16_e32 0x80, v5
; %bb.462:
	s_mov_b32 s3, 0x7ff80000
	s_brev_b32 s2, 4
	s_xor_b32 s45, exec_lo, -1
; %bb.463:
	s_or_b32 exec_lo, exec_lo, s29
	s_delay_alu instid0(SALU_CYCLE_1)
	s_and_b32 s29, s45, exec_lo
.LBB513_464:
	s_or_saveexec_b32 s44, s44
	v_dual_mov_b32 v4, s3 :: v_dual_mov_b32 v3, s2
	s_xor_b32 exec_lo, exec_lo, s44
; %bb.465:
	v_cmp_ne_u16_e32 vcc_lo, 0, v5
	v_mov_b32_e32 v3, 0
	v_mov_b32_e32 v4, 0
	s_and_not1_b32 s2, s29, exec_lo
	s_and_b32 s3, vcc_lo, exec_lo
	s_delay_alu instid0(SALU_CYCLE_1)
	s_or_b32 s29, s2, s3
; %bb.466:
	s_or_b32 exec_lo, exec_lo, s44
	s_and_saveexec_b32 s2, s29
	s_cbranch_execz .LBB513_468
; %bb.467:
	v_and_b32_e32 v3, 0xffff, v5
	v_lshlrev_b32_e32 v5, 24, v5
	s_delay_alu instid0(VALU_DEP_2) | instskip(NEXT) | instid1(VALU_DEP_2)
	v_and_b32_e32 v4, 3, v3
	v_and_b32_e32 v5, 0x80000000, v5
	s_delay_alu instid0(VALU_DEP_2) | instskip(NEXT) | instid1(VALU_DEP_1)
	v_clz_i32_u32_e32 v6, v4
	v_min_u32_e32 v6, 32, v6
	s_delay_alu instid0(VALU_DEP_1) | instskip(SKIP_1) | instid1(VALU_DEP_2)
	v_subrev_nc_u32_e32 v7, 29, v6
	v_sub_nc_u32_e32 v6, 30, v6
	v_lshlrev_b32_e32 v7, v7, v3
	v_bfe_u32 v3, v3, 2, 5
	s_delay_alu instid0(VALU_DEP_2) | instskip(NEXT) | instid1(VALU_DEP_2)
	v_and_b32_e32 v7, 3, v7
	v_cmp_eq_u32_e32 vcc_lo, 0, v3
	s_delay_alu instid0(VALU_DEP_2) | instskip(NEXT) | instid1(VALU_DEP_1)
	v_dual_cndmask_b32 v3, v3, v6 :: v_dual_cndmask_b32 v4, v4, v7
	v_lshl_add_u32 v3, v3, 23, 0x37800000
	s_delay_alu instid0(VALU_DEP_2) | instskip(NEXT) | instid1(VALU_DEP_1)
	v_lshlrev_b32_e32 v4, 21, v4
	v_or3_b32 v3, v5, v3, v4
	s_delay_alu instid0(VALU_DEP_1)
	v_cvt_f64_f32_e32 v[3:4], v3
.LBB513_468:
	s_or_b32 exec_lo, exec_lo, s2
	s_mov_b32 s2, 0
	s_branch .LBB513_472
.LBB513_469:
	s_mov_b32 s3, -1
                                        ; implicit-def: $vgpr3_vgpr4
	s_branch .LBB513_478
.LBB513_470:
	s_mov_b32 s2, -1
                                        ; implicit-def: $vgpr3_vgpr4
	s_branch .LBB513_475
.LBB513_471:
	s_mov_b32 s2, -1
                                        ; implicit-def: $vgpr3_vgpr4
.LBB513_472:
	s_delay_alu instid0(SALU_CYCLE_1)
	s_and_b32 vcc_lo, exec_lo, s2
	s_cbranch_vccz .LBB513_474
; %bb.473:
	global_load_u8 v3, v[0:1], off
	s_waitcnt vmcnt(0)
	v_lshlrev_b32_e32 v3, 24, v3
	s_delay_alu instid0(VALU_DEP_1) | instskip(NEXT) | instid1(VALU_DEP_1)
	v_and_b32_e32 v4, 0x7f000000, v3
	v_clz_i32_u32_e32 v5, v4
	v_add_nc_u32_e32 v7, 0x1000000, v4
	v_cmp_ne_u32_e32 vcc_lo, 0, v4
	s_delay_alu instid0(VALU_DEP_3) | instskip(NEXT) | instid1(VALU_DEP_1)
	v_min_u32_e32 v5, 32, v5
	v_sub_nc_u32_e64 v5, v5, 4 clamp
	s_delay_alu instid0(VALU_DEP_1) | instskip(SKIP_1) | instid1(VALU_DEP_2)
	v_lshlrev_b32_e32 v6, v5, v4
	v_lshlrev_b32_e32 v5, 23, v5
	v_lshrrev_b32_e32 v6, 4, v6
	s_delay_alu instid0(VALU_DEP_1) | instskip(SKIP_1) | instid1(VALU_DEP_2)
	v_sub_nc_u32_e32 v5, v6, v5
	v_ashrrev_i32_e32 v6, 8, v7
	v_add_nc_u32_e32 v5, 0x3c000000, v5
	s_delay_alu instid0(VALU_DEP_1) | instskip(NEXT) | instid1(VALU_DEP_1)
	v_and_or_b32 v5, 0x7f800000, v6, v5
	v_cndmask_b32_e32 v4, 0, v5, vcc_lo
	s_delay_alu instid0(VALU_DEP_1) | instskip(NEXT) | instid1(VALU_DEP_1)
	v_and_or_b32 v3, 0x80000000, v3, v4
	v_cvt_f64_f32_e32 v[3:4], v3
.LBB513_474:
	s_mov_b32 s2, 0
.LBB513_475:
	s_delay_alu instid0(SALU_CYCLE_1)
	s_and_not1_b32 vcc_lo, exec_lo, s2
	s_cbranch_vccnz .LBB513_477
; %bb.476:
	global_load_u8 v3, v[0:1], off
	s_waitcnt vmcnt(0)
	v_lshlrev_b32_e32 v4, 25, v3
	v_lshlrev_b16 v3, 8, v3
	s_delay_alu instid0(VALU_DEP_2) | instskip(NEXT) | instid1(VALU_DEP_2)
	v_lshrrev_b32_e32 v5, 4, v4
	v_and_or_b32 v6, 0x7f00, v3, 0.5
	v_bfe_i32 v3, v3, 0, 16
	s_delay_alu instid0(VALU_DEP_3) | instskip(NEXT) | instid1(VALU_DEP_1)
	v_or_b32_e32 v5, 0x70000000, v5
	v_dual_add_f32 v6, -0.5, v6 :: v_dual_mul_f32 v5, 0x7800000, v5
	v_cmp_gt_u32_e32 vcc_lo, 0x8000000, v4
	s_delay_alu instid0(VALU_DEP_2) | instskip(NEXT) | instid1(VALU_DEP_1)
	v_cndmask_b32_e32 v4, v5, v6, vcc_lo
	v_and_or_b32 v3, 0x80000000, v3, v4
	s_delay_alu instid0(VALU_DEP_1)
	v_cvt_f64_f32_e32 v[3:4], v3
.LBB513_477:
	s_mov_b32 s3, 0
	s_mov_b32 s2, -1
.LBB513_478:
	s_and_not1_b32 vcc_lo, exec_lo, s3
	s_cbranch_vccnz .LBB513_489
; %bb.479:
	v_cmp_lt_i16_e32 vcc_lo, 14, v8
	s_cbranch_vccz .LBB513_482
; %bb.480:
	v_cmp_eq_u16_e32 vcc_lo, 15, v8
	s_cbranch_vccz .LBB513_483
; %bb.481:
	global_load_u16 v3, v[0:1], off
	s_mov_b32 s2, -1
	s_mov_b32 s28, 0
	s_waitcnt vmcnt(0)
	v_lshlrev_b32_e32 v3, 16, v3
	s_delay_alu instid0(VALU_DEP_1)
	v_cvt_f64_f32_e32 v[3:4], v3
	s_branch .LBB513_484
.LBB513_482:
	s_mov_b32 s3, -1
                                        ; implicit-def: $vgpr3_vgpr4
	s_branch .LBB513_485
.LBB513_483:
	s_mov_b32 s28, -1
                                        ; implicit-def: $vgpr3_vgpr4
.LBB513_484:
	s_mov_b32 s3, 0
.LBB513_485:
	s_delay_alu instid0(SALU_CYCLE_1)
	s_and_b32 vcc_lo, exec_lo, s3
	s_cbranch_vccz .LBB513_489
; %bb.486:
	v_cmp_eq_u16_e32 vcc_lo, 11, v8
	s_cbranch_vccz .LBB513_488
; %bb.487:
	global_load_u8 v3, v[0:1], off
	s_mov_b32 s28, 0
	s_mov_b32 s2, -1
	s_waitcnt vmcnt(0)
	v_cmp_ne_u16_e32 vcc_lo, 0, v3
	v_mov_b32_e32 v3, 0
	v_cndmask_b32_e64 v4, 0, 0x3ff00000, vcc_lo
	s_branch .LBB513_489
.LBB513_488:
	s_mov_b32 s28, -1
                                        ; implicit-def: $vgpr3_vgpr4
.LBB513_489:
	s_branch .LBB513_290
.LBB513_490:
	v_cmp_gt_i16_e32 vcc_lo, 5, v8
	s_cbranch_vccnz .LBB513_495
; %bb.491:
	v_cmp_gt_i16_e32 vcc_lo, 8, v8
	s_cbranch_vccnz .LBB513_496
; %bb.492:
	v_cmp_gt_i16_e32 vcc_lo, 9, v8
	s_cbranch_vccnz .LBB513_497
; %bb.493:
	v_cmp_lt_i16_e32 vcc_lo, 9, v8
	s_cbranch_vccz .LBB513_498
; %bb.494:
	global_load_b64 v[3:4], v[0:1], off
	s_mov_b32 s2, 0
	s_branch .LBB513_499
.LBB513_495:
	s_mov_b32 s2, -1
                                        ; implicit-def: $vgpr3_vgpr4
	s_branch .LBB513_517
.LBB513_496:
	s_mov_b32 s2, -1
                                        ; implicit-def: $vgpr3_vgpr4
	s_branch .LBB513_505
.LBB513_497:
	s_mov_b32 s2, -1
                                        ; implicit-def: $vgpr3_vgpr4
	s_branch .LBB513_502
.LBB513_498:
	s_mov_b32 s2, -1
                                        ; implicit-def: $vgpr3_vgpr4
.LBB513_499:
	s_delay_alu instid0(SALU_CYCLE_1)
	s_and_not1_b32 vcc_lo, exec_lo, s2
	s_cbranch_vccnz .LBB513_501
; %bb.500:
	global_load_b32 v3, v[0:1], off
	s_waitcnt vmcnt(0)
	v_cvt_f64_f32_e32 v[3:4], v3
.LBB513_501:
	s_mov_b32 s2, 0
.LBB513_502:
	s_delay_alu instid0(SALU_CYCLE_1)
	s_and_not1_b32 vcc_lo, exec_lo, s2
	s_cbranch_vccnz .LBB513_504
; %bb.503:
	global_load_b32 v3, v[0:1], off
	s_waitcnt vmcnt(0)
	v_cvt_f32_f16_e32 v3, v3
	s_delay_alu instid0(VALU_DEP_1)
	v_cvt_f64_f32_e32 v[3:4], v3
.LBB513_504:
	s_mov_b32 s2, 0
.LBB513_505:
	s_delay_alu instid0(SALU_CYCLE_1)
	s_and_not1_b32 vcc_lo, exec_lo, s2
	s_cbranch_vccnz .LBB513_516
; %bb.506:
	v_cmp_gt_i16_e32 vcc_lo, 6, v8
	s_cbranch_vccnz .LBB513_509
; %bb.507:
	v_cmp_lt_i16_e32 vcc_lo, 6, v8
	s_cbranch_vccz .LBB513_510
; %bb.508:
	global_load_b64 v[3:4], v[0:1], off
	s_mov_b32 s2, 0
	s_branch .LBB513_511
.LBB513_509:
	s_mov_b32 s2, -1
                                        ; implicit-def: $vgpr3_vgpr4
	s_branch .LBB513_514
.LBB513_510:
	s_mov_b32 s2, -1
                                        ; implicit-def: $vgpr3_vgpr4
.LBB513_511:
	s_delay_alu instid0(SALU_CYCLE_1)
	s_and_not1_b32 vcc_lo, exec_lo, s2
	s_cbranch_vccnz .LBB513_513
; %bb.512:
	global_load_b32 v3, v[0:1], off
	s_waitcnt vmcnt(0)
	v_cvt_f64_f32_e32 v[3:4], v3
.LBB513_513:
	s_mov_b32 s2, 0
.LBB513_514:
	s_delay_alu instid0(SALU_CYCLE_1)
	s_and_not1_b32 vcc_lo, exec_lo, s2
	s_cbranch_vccnz .LBB513_516
; %bb.515:
	global_load_u16 v3, v[0:1], off
	s_waitcnt vmcnt(0)
	v_cvt_f32_f16_e32 v3, v3
	s_delay_alu instid0(VALU_DEP_1)
	v_cvt_f64_f32_e32 v[3:4], v3
.LBB513_516:
	s_mov_b32 s2, 0
.LBB513_517:
	s_delay_alu instid0(SALU_CYCLE_1)
	s_and_not1_b32 vcc_lo, exec_lo, s2
	s_cbranch_vccnz .LBB513_537
; %bb.518:
	v_cmp_gt_i16_e32 vcc_lo, 2, v8
	s_cbranch_vccnz .LBB513_522
; %bb.519:
	v_cmp_gt_i16_e32 vcc_lo, 3, v8
	s_cbranch_vccnz .LBB513_523
; %bb.520:
	v_cmp_lt_i16_e32 vcc_lo, 3, v8
	s_cbranch_vccz .LBB513_524
; %bb.521:
	global_load_b64 v[3:4], v[0:1], off
	s_mov_b32 s2, 0
	s_waitcnt vmcnt(0)
	v_cvt_f64_i32_e32 v[4:5], v4
	v_cvt_f64_u32_e32 v[6:7], v3
	s_delay_alu instid0(VALU_DEP_2) | instskip(NEXT) | instid1(VALU_DEP_1)
	v_ldexp_f64 v[4:5], v[4:5], 32
	v_add_f64 v[3:4], v[4:5], v[6:7]
	s_branch .LBB513_525
.LBB513_522:
	s_mov_b32 s2, -1
                                        ; implicit-def: $vgpr3_vgpr4
	s_branch .LBB513_531
.LBB513_523:
	s_mov_b32 s2, -1
                                        ; implicit-def: $vgpr3_vgpr4
	s_branch .LBB513_528
.LBB513_524:
	s_mov_b32 s2, -1
                                        ; implicit-def: $vgpr3_vgpr4
.LBB513_525:
	s_delay_alu instid0(SALU_CYCLE_1)
	s_and_not1_b32 vcc_lo, exec_lo, s2
	s_cbranch_vccnz .LBB513_527
; %bb.526:
	global_load_b32 v3, v[0:1], off
	s_waitcnt vmcnt(0)
	v_cvt_f64_i32_e32 v[3:4], v3
.LBB513_527:
	s_mov_b32 s2, 0
.LBB513_528:
	s_delay_alu instid0(SALU_CYCLE_1)
	s_and_not1_b32 vcc_lo, exec_lo, s2
	s_cbranch_vccnz .LBB513_530
; %bb.529:
	global_load_i16 v3, v[0:1], off
	s_waitcnt vmcnt(0)
	v_cvt_f64_i32_e32 v[3:4], v3
.LBB513_530:
	s_mov_b32 s2, 0
.LBB513_531:
	s_delay_alu instid0(SALU_CYCLE_1)
	s_and_not1_b32 vcc_lo, exec_lo, s2
	s_cbranch_vccnz .LBB513_537
; %bb.532:
	v_cmp_lt_i16_e32 vcc_lo, 0, v8
	s_mov_b32 s2, 0
	s_cbranch_vccz .LBB513_534
; %bb.533:
	global_load_i8 v3, v[0:1], off
	s_waitcnt vmcnt(0)
	v_cvt_f64_i32_e32 v[3:4], v3
	s_branch .LBB513_535
.LBB513_534:
	s_mov_b32 s2, -1
                                        ; implicit-def: $vgpr3_vgpr4
.LBB513_535:
	s_delay_alu instid0(SALU_CYCLE_1)
	s_and_not1_b32 vcc_lo, exec_lo, s2
	s_cbranch_vccnz .LBB513_537
; %bb.536:
	global_load_u8 v0, v[0:1], off
	s_waitcnt vmcnt(0)
	v_cvt_f64_u32_e32 v[3:4], v0
.LBB513_537:
	s_branch .LBB513_291
.LBB513_538:
	s_mov_b32 s3, 0
	s_mov_b32 s2, s41
.LBB513_539:
                                        ; implicit-def: $vgpr9
.LBB513_540:
	s_and_not1_b32 s29, s41, exec_lo
	s_and_b32 s2, s2, exec_lo
	s_and_not1_b32 s44, s42, exec_lo
	s_and_b32 s28, s28, exec_lo
	s_or_b32 s45, s29, s2
	s_or_b32 s44, s44, s28
	s_or_not1_b32 s2, s3, exec_lo
.LBB513_541:
	s_or_b32 exec_lo, exec_lo, s46
	s_mov_b32 s3, 0
	s_mov_b32 s29, 0
	;; [unrolled: 1-line block ×3, first 2 shown]
                                        ; implicit-def: $vgpr0_vgpr1
                                        ; implicit-def: $vgpr2
                                        ; implicit-def: $vgpr6_vgpr7
	s_and_saveexec_b32 s46, s2
	s_cbranch_execz .LBB513_917
; %bb.542:
	s_mov_b32 s49, -1
	s_mov_b32 s28, s44
	s_mov_b32 s29, s45
	s_mov_b32 s47, exec_lo
	v_cmpx_gt_i32_e64 s38, v9
	s_cbranch_execz .LBB513_818
; %bb.543:
	s_and_not1_b32 vcc_lo, exec_lo, s34
	s_cbranch_vccnz .LBB513_548
; %bb.544:
	v_mov_b32_e32 v2, 0
	v_mov_b32_e32 v0, 0
	s_and_not1_b32 vcc_lo, exec_lo, s40
	s_mov_b32 s48, 0
	s_cbranch_vccnz .LBB513_553
; %bb.545:
	v_mov_b32_e32 v2, 0
	s_add_i32 s50, s39, 1
	s_cmp_eq_u32 s31, 2
	s_mov_b32 s49, 0
	s_cbranch_scc1 .LBB513_549
; %bb.546:
	v_dual_mov_b32 v0, 0 :: v_dual_mov_b32 v1, v9
	v_mov_b32_e32 v2, 0
	s_and_b32 s49, s50, 28
	s_mov_b32 s51, 0
	s_mov_b64 s[2:3], s[26:27]
	s_mov_b64 s[28:29], s[20:21]
.LBB513_547:                            ; =>This Inner Loop Header: Depth=1
	s_clause 0x1
	s_load_b256 s[52:59], s[28:29], 0x4
	s_load_b128 s[68:71], s[28:29], 0x24
	s_load_b256 s[60:67], s[2:3], 0x0
	s_add_u32 s28, s28, 48
	s_addc_u32 s29, s29, 0
	s_add_i32 s51, s51, 4
	s_add_u32 s2, s2, 32
	s_addc_u32 s3, s3, 0
	s_cmp_eq_u32 s49, s51
	s_waitcnt vmcnt(0) lgkmcnt(0)
	v_mul_hi_u32 v3, s53, v1
	s_delay_alu instid0(VALU_DEP_1) | instskip(NEXT) | instid1(VALU_DEP_1)
	v_add_nc_u32_e32 v3, v1, v3
	v_lshrrev_b32_e32 v3, s54, v3
	s_delay_alu instid0(VALU_DEP_1) | instskip(SKIP_1) | instid1(VALU_DEP_2)
	v_mul_hi_u32 v4, s56, v3
	v_mul_lo_u32 v6, v3, s52
	v_add_nc_u32_e32 v4, v3, v4
	s_delay_alu instid0(VALU_DEP_2) | instskip(NEXT) | instid1(VALU_DEP_2)
	v_sub_nc_u32_e32 v1, v1, v6
	v_lshrrev_b32_e32 v4, s57, v4
	s_delay_alu instid0(VALU_DEP_2) | instskip(SKIP_1) | instid1(VALU_DEP_3)
	v_mul_lo_u32 v6, v1, s60
	v_mul_lo_u32 v10, v1, s61
	v_mul_hi_u32 v5, s59, v4
	s_delay_alu instid0(VALU_DEP_1) | instskip(NEXT) | instid1(VALU_DEP_1)
	v_add_nc_u32_e32 v5, v4, v5
	v_lshrrev_b32_e32 v5, s68, v5
	s_delay_alu instid0(VALU_DEP_1) | instskip(SKIP_1) | instid1(VALU_DEP_2)
	v_mul_hi_u32 v7, s70, v5
	v_mul_lo_u32 v11, v5, s58
	v_add_nc_u32_e32 v1, v5, v7
	v_mul_lo_u32 v7, v4, s55
	s_delay_alu instid0(VALU_DEP_3) | instskip(NEXT) | instid1(VALU_DEP_3)
	v_sub_nc_u32_e32 v4, v4, v11
	v_lshrrev_b32_e32 v1, s71, v1
	s_delay_alu instid0(VALU_DEP_2) | instskip(SKIP_2) | instid1(VALU_DEP_4)
	v_mul_lo_u32 v11, v4, s64
	v_mul_lo_u32 v4, v4, s65
	v_sub_nc_u32_e32 v3, v3, v7
	v_mul_lo_u32 v12, v1, s69
	s_delay_alu instid0(VALU_DEP_2) | instskip(SKIP_1) | instid1(VALU_DEP_3)
	v_mul_lo_u32 v7, v3, s62
	v_mul_lo_u32 v3, v3, s63
	v_sub_nc_u32_e32 v5, v5, v12
	s_delay_alu instid0(VALU_DEP_3) | instskip(NEXT) | instid1(VALU_DEP_2)
	v_add3_u32 v2, v6, v2, v7
	v_mul_lo_u32 v12, v5, s66
	v_mul_lo_u32 v5, v5, s67
	v_add3_u32 v0, v10, v0, v3
	s_delay_alu instid0(VALU_DEP_3) | instskip(NEXT) | instid1(VALU_DEP_2)
	v_add3_u32 v2, v11, v2, v12
	v_add3_u32 v0, v4, v0, v5
	s_cbranch_scc0 .LBB513_547
	s_branch .LBB513_550
.LBB513_548:
	s_mov_b32 s48, -1
                                        ; implicit-def: $vgpr2
                                        ; implicit-def: $vgpr0
	s_branch .LBB513_553
.LBB513_549:
	v_dual_mov_b32 v1, v9 :: v_dual_mov_b32 v0, 0
.LBB513_550:
	s_and_b32 s50, s50, 3
	s_delay_alu instid0(SALU_CYCLE_1)
	s_cmp_eq_u32 s50, 0
	s_cbranch_scc1 .LBB513_553
; %bb.551:
	s_lshl_b32 s2, s49, 3
	s_mul_i32 s28, s49, 12
	s_add_u32 s2, s2, s20
	s_addc_u32 s3, s21, 0
	s_add_u32 s2, s2, 0xc4
	s_addc_u32 s3, s3, 0
	;; [unrolled: 2-line block ×3, first 2 shown]
	.p2align	6
.LBB513_552:                            ; =>This Inner Loop Header: Depth=1
	s_clause 0x1
	s_load_b64 s[52:53], s[28:29], 0x4
	s_load_b32 s49, s[28:29], 0xc
	s_load_b64 s[54:55], s[2:3], 0x0
	s_add_u32 s28, s28, 12
	s_addc_u32 s29, s29, 0
	s_add_u32 s2, s2, 8
	s_addc_u32 s3, s3, 0
	s_add_i32 s50, s50, -1
	s_delay_alu instid0(SALU_CYCLE_1) | instskip(SKIP_2) | instid1(VALU_DEP_1)
	s_cmp_lg_u32 s50, 0
	s_waitcnt vmcnt(0) lgkmcnt(0)
	v_mul_hi_u32 v3, s53, v1
	v_add_nc_u32_e32 v3, v1, v3
	s_delay_alu instid0(VALU_DEP_1) | instskip(NEXT) | instid1(VALU_DEP_1)
	v_lshrrev_b32_e32 v6, s49, v3
	v_mul_lo_u32 v3, v6, s52
	s_delay_alu instid0(VALU_DEP_1) | instskip(NEXT) | instid1(VALU_DEP_1)
	v_sub_nc_u32_e32 v1, v1, v3
	v_mad_u64_u32 v[3:4], null, v1, s54, v[2:3]
	v_mad_u64_u32 v[4:5], null, v1, s55, v[0:1]
	s_delay_alu instid0(VALU_DEP_2) | instskip(NEXT) | instid1(VALU_DEP_2)
	v_dual_mov_b32 v1, v6 :: v_dual_mov_b32 v2, v3
	v_mov_b32_e32 v0, v4
	s_cbranch_scc1 .LBB513_552
.LBB513_553:
	s_and_not1_b32 vcc_lo, exec_lo, s48
	s_cbranch_vccnz .LBB513_556
; %bb.554:
	v_mul_hi_u32 v0, s17, v9
	s_and_not1_b32 vcc_lo, exec_lo, s37
	s_delay_alu instid0(VALU_DEP_1) | instskip(NEXT) | instid1(VALU_DEP_1)
	v_add_nc_u32_e32 v0, v9, v0
	v_lshrrev_b32_e32 v1, s18, v0
	s_delay_alu instid0(VALU_DEP_1) | instskip(NEXT) | instid1(VALU_DEP_1)
	v_mul_lo_u32 v0, v1, s16
	v_sub_nc_u32_e32 v0, v9, v0
	s_delay_alu instid0(VALU_DEP_1)
	v_mul_lo_u32 v2, v0, s12
	v_mul_lo_u32 v0, v0, s13
	s_cbranch_vccnz .LBB513_556
; %bb.555:
	s_waitcnt vmcnt(0)
	v_mul_hi_u32 v3, s24, v1
	s_delay_alu instid0(VALU_DEP_1) | instskip(NEXT) | instid1(VALU_DEP_1)
	v_add_nc_u32_e32 v3, v1, v3
	v_lshrrev_b32_e32 v3, s25, v3
	s_delay_alu instid0(VALU_DEP_1) | instskip(NEXT) | instid1(VALU_DEP_1)
	v_mul_lo_u32 v3, v3, s19
	v_sub_nc_u32_e32 v5, v1, v3
	s_delay_alu instid0(VALU_DEP_1) | instskip(SKIP_1) | instid1(VALU_DEP_2)
	v_mad_u64_u32 v[3:4], null, v5, s14, v[2:3]
	v_mad_u64_u32 v[1:2], null, v5, s15, v[0:1]
	v_mov_b32_e32 v2, v3
	s_delay_alu instid0(VALU_DEP_2)
	v_mov_b32_e32 v0, v1
.LBB513_556:
	v_cmp_gt_i16_e32 vcc_lo, 11, v8
	s_delay_alu instid0(VALU_DEP_2) | instskip(NEXT) | instid1(VALU_DEP_1)
	v_add_co_u32 v0, s2, s6, v0
	v_add_co_ci_u32_e64 v1, null, s7, 0, s2
	s_mov_b32 s2, 0
	s_cbranch_vccnz .LBB513_563
; %bb.557:
	v_cmp_lt_i16_e32 vcc_lo, 25, v8
	s_cbranch_vccz .LBB513_564
; %bb.558:
	v_cmp_lt_i16_e32 vcc_lo, 28, v8
	s_cbranch_vccz .LBB513_565
	;; [unrolled: 3-line block ×4, first 2 shown]
; %bb.561:
	v_cmp_eq_u16_e32 vcc_lo, 46, v8
	s_mov_b32 s3, 0
	s_cbranch_vccz .LBB513_572
; %bb.562:
	global_load_b32 v3, v[0:1], off
	s_mov_b32 s2, -1
	s_mov_b32 s28, 0
	s_waitcnt vmcnt(0)
	v_lshlrev_b32_e32 v3, 16, v3
	s_delay_alu instid0(VALU_DEP_1)
	v_cvt_f64_f32_e32 v[3:4], v3
	s_branch .LBB513_574
.LBB513_563:
	s_mov_b32 s3, -1
	s_mov_b32 s28, s44
                                        ; implicit-def: $vgpr3_vgpr4
	s_branch .LBB513_639
.LBB513_564:
	s_mov_b32 s3, -1
	s_mov_b32 s28, s44
                                        ; implicit-def: $vgpr3_vgpr4
	s_branch .LBB513_605
.LBB513_565:
	s_mov_b32 s3, -1
	s_mov_b32 s28, s44
                                        ; implicit-def: $vgpr3_vgpr4
	s_branch .LBB513_584
.LBB513_566:
	s_mov_b32 s3, -1
	s_mov_b32 s28, s44
                                        ; implicit-def: $vgpr3_vgpr4
	s_branch .LBB513_579
.LBB513_567:
	s_or_saveexec_b32 s44, s44
                                        ; implicit-def: $sgpr45
	s_delay_alu instid0(SALU_CYCLE_1)
	s_xor_b32 exec_lo, exec_lo, s44
	s_cbranch_execz .LBB513_378
.LBB513_568:
	v_add_f32_e64 v3, 0x46000000, |v2|
	s_and_not1_b32 s29, s29, exec_lo
	s_mov_b32 s45, 0
	s_delay_alu instid0(VALU_DEP_1) | instskip(NEXT) | instid1(VALU_DEP_1)
	v_and_b32_e32 v3, 0xff, v3
	v_cmp_ne_u32_e32 vcc_lo, 0, v3
	s_and_b32 s47, vcc_lo, exec_lo
	s_delay_alu instid0(SALU_CYCLE_1)
	s_or_b32 s29, s29, s47
	s_or_b32 exec_lo, exec_lo, s44
	v_mov_b32_e32 v7, s45
	s_and_saveexec_b32 s44, s29
	s_cbranch_execnz .LBB513_379
	s_branch .LBB513_380
.LBB513_569:
	s_mov_b32 s3, -1
	s_mov_b32 s28, s44
	s_branch .LBB513_573
.LBB513_570:
	s_or_saveexec_b32 s44, s44
                                        ; implicit-def: $sgpr45
	s_delay_alu instid0(SALU_CYCLE_1)
	s_xor_b32 exec_lo, exec_lo, s44
	s_cbranch_execz .LBB513_391
.LBB513_571:
	v_add_f32_e64 v3, 0x42800000, |v2|
	s_and_not1_b32 s29, s29, exec_lo
	s_mov_b32 s45, 0
	s_delay_alu instid0(VALU_DEP_1) | instskip(NEXT) | instid1(VALU_DEP_1)
	v_and_b32_e32 v3, 0xff, v3
	v_cmp_ne_u32_e32 vcc_lo, 0, v3
	s_and_b32 s47, vcc_lo, exec_lo
	s_delay_alu instid0(SALU_CYCLE_1)
	s_or_b32 s29, s29, s47
	s_or_b32 exec_lo, exec_lo, s44
	v_mov_b32_e32 v7, s45
	s_and_saveexec_b32 s44, s29
	s_cbranch_execnz .LBB513_392
	s_branch .LBB513_393
.LBB513_572:
	s_mov_b32 s28, -1
.LBB513_573:
                                        ; implicit-def: $vgpr3_vgpr4
.LBB513_574:
	s_and_b32 vcc_lo, exec_lo, s3
	s_cbranch_vccz .LBB513_578
; %bb.575:
	v_cmp_eq_u16_e32 vcc_lo, 44, v8
	s_cbranch_vccz .LBB513_577
; %bb.576:
	global_load_u8 v5, v[0:1], off
	s_mov_b32 s28, 0
	s_mov_b32 s2, -1
	s_waitcnt vmcnt(0)
	v_cmp_ne_u32_e32 vcc_lo, 0xff, v5
	v_lshlrev_b32_e32 v3, 23, v5
	s_delay_alu instid0(VALU_DEP_1) | instskip(NEXT) | instid1(VALU_DEP_1)
	v_cvt_f64_f32_e32 v[3:4], v3
	v_cndmask_b32_e32 v4, 0x7ff80000, v4, vcc_lo
	s_delay_alu instid0(VALU_DEP_2) | instskip(SKIP_1) | instid1(VALU_DEP_3)
	v_cndmask_b32_e32 v3, 0x20000000, v3, vcc_lo
	v_cmp_ne_u32_e32 vcc_lo, 0, v5
	v_cndmask_b32_e32 v4, 0x38000000, v4, vcc_lo
	s_delay_alu instid0(VALU_DEP_3)
	v_cndmask_b32_e32 v3, 0, v3, vcc_lo
	s_branch .LBB513_578
.LBB513_577:
	s_mov_b32 s28, -1
                                        ; implicit-def: $vgpr3_vgpr4
.LBB513_578:
	s_mov_b32 s3, 0
.LBB513_579:
	s_delay_alu instid0(SALU_CYCLE_1)
	s_and_b32 vcc_lo, exec_lo, s3
	s_cbranch_vccz .LBB513_583
; %bb.580:
	v_cmp_eq_u16_e32 vcc_lo, 29, v8
	s_cbranch_vccz .LBB513_582
; %bb.581:
	global_load_b64 v[3:4], v[0:1], off
	s_mov_b32 s2, -1
	s_mov_b32 s28, 0
	s_mov_b32 s3, 0
	s_waitcnt vmcnt(0)
	v_cvt_f64_u32_e32 v[4:5], v4
	v_cvt_f64_u32_e32 v[6:7], v3
	s_delay_alu instid0(VALU_DEP_2) | instskip(NEXT) | instid1(VALU_DEP_1)
	v_ldexp_f64 v[4:5], v[4:5], 32
	v_add_f64 v[3:4], v[4:5], v[6:7]
	s_branch .LBB513_584
.LBB513_582:
	s_mov_b32 s28, -1
                                        ; implicit-def: $vgpr3_vgpr4
.LBB513_583:
	s_mov_b32 s3, 0
.LBB513_584:
	s_delay_alu instid0(SALU_CYCLE_1)
	s_and_b32 vcc_lo, exec_lo, s3
	s_cbranch_vccz .LBB513_604
; %bb.585:
	v_cmp_gt_i16_e32 vcc_lo, 27, v8
	s_cbranch_vccnz .LBB513_588
; %bb.586:
	v_cmp_lt_i16_e32 vcc_lo, 27, v8
	s_cbranch_vccz .LBB513_589
; %bb.587:
	global_load_b32 v3, v[0:1], off
	s_mov_b32 s2, 0
	s_waitcnt vmcnt(0)
	v_cvt_f64_u32_e32 v[3:4], v3
	s_branch .LBB513_590
.LBB513_588:
	s_mov_b32 s2, -1
                                        ; implicit-def: $vgpr3_vgpr4
	s_branch .LBB513_593
.LBB513_589:
	s_mov_b32 s2, -1
                                        ; implicit-def: $vgpr3_vgpr4
.LBB513_590:
	s_delay_alu instid0(SALU_CYCLE_1)
	s_and_not1_b32 vcc_lo, exec_lo, s2
	s_cbranch_vccnz .LBB513_592
; %bb.591:
	global_load_u16 v3, v[0:1], off
	s_waitcnt vmcnt(0)
	v_cvt_f64_u32_e32 v[3:4], v3
.LBB513_592:
	s_mov_b32 s2, 0
.LBB513_593:
	s_delay_alu instid0(SALU_CYCLE_1)
	s_and_not1_b32 vcc_lo, exec_lo, s2
	s_cbranch_vccnz .LBB513_603
; %bb.594:
	global_load_u8 v5, v[0:1], off
	s_mov_b32 s29, 0
	s_mov_b32 s48, exec_lo
                                        ; implicit-def: $sgpr2_sgpr3
	s_waitcnt vmcnt(0)
	v_cmpx_lt_i16_e32 0x7f, v5
	s_xor_b32 s48, exec_lo, s48
	s_cbranch_execz .LBB513_598
; %bb.595:
	s_mov_b32 s49, -1
	s_mov_b32 s29, exec_lo
                                        ; implicit-def: $sgpr2_sgpr3
	v_cmpx_eq_u16_e32 0x80, v5
; %bb.596:
	s_mov_b32 s3, 0x7ff80000
	s_brev_b32 s2, 4
	s_xor_b32 s49, exec_lo, -1
; %bb.597:
	s_or_b32 exec_lo, exec_lo, s29
	s_delay_alu instid0(SALU_CYCLE_1)
	s_and_b32 s29, s49, exec_lo
.LBB513_598:
	s_or_saveexec_b32 s48, s48
	v_dual_mov_b32 v4, s3 :: v_dual_mov_b32 v3, s2
	s_xor_b32 exec_lo, exec_lo, s48
; %bb.599:
	v_cmp_ne_u16_e32 vcc_lo, 0, v5
	v_mov_b32_e32 v3, 0
	v_mov_b32_e32 v4, 0
	s_and_not1_b32 s2, s29, exec_lo
	s_and_b32 s3, vcc_lo, exec_lo
	s_delay_alu instid0(SALU_CYCLE_1)
	s_or_b32 s29, s2, s3
; %bb.600:
	s_or_b32 exec_lo, exec_lo, s48
	s_and_saveexec_b32 s2, s29
	s_cbranch_execz .LBB513_602
; %bb.601:
	v_and_b32_e32 v3, 0xffff, v5
	v_lshlrev_b32_e32 v5, 24, v5
	s_delay_alu instid0(VALU_DEP_2) | instskip(NEXT) | instid1(VALU_DEP_2)
	v_and_b32_e32 v4, 7, v3
	v_and_b32_e32 v5, 0x80000000, v5
	s_delay_alu instid0(VALU_DEP_2) | instskip(NEXT) | instid1(VALU_DEP_1)
	v_clz_i32_u32_e32 v6, v4
	v_min_u32_e32 v6, 32, v6
	s_delay_alu instid0(VALU_DEP_1) | instskip(SKIP_1) | instid1(VALU_DEP_2)
	v_subrev_nc_u32_e32 v7, 28, v6
	v_sub_nc_u32_e32 v6, 29, v6
	v_lshlrev_b32_e32 v7, v7, v3
	v_bfe_u32 v3, v3, 3, 4
	s_delay_alu instid0(VALU_DEP_2) | instskip(NEXT) | instid1(VALU_DEP_2)
	v_and_b32_e32 v7, 7, v7
	v_cmp_eq_u32_e32 vcc_lo, 0, v3
	s_delay_alu instid0(VALU_DEP_2) | instskip(NEXT) | instid1(VALU_DEP_1)
	v_dual_cndmask_b32 v3, v3, v6 :: v_dual_cndmask_b32 v4, v4, v7
	v_lshl_add_u32 v3, v3, 23, 0x3b800000
	s_delay_alu instid0(VALU_DEP_2) | instskip(NEXT) | instid1(VALU_DEP_1)
	v_lshlrev_b32_e32 v4, 20, v4
	v_or3_b32 v3, v5, v3, v4
	s_delay_alu instid0(VALU_DEP_1)
	v_cvt_f64_f32_e32 v[3:4], v3
.LBB513_602:
	s_or_b32 exec_lo, exec_lo, s2
.LBB513_603:
	s_mov_b32 s2, -1
.LBB513_604:
	s_mov_b32 s3, 0
.LBB513_605:
	s_delay_alu instid0(SALU_CYCLE_1)
	s_and_b32 vcc_lo, exec_lo, s3
	s_cbranch_vccz .LBB513_638
; %bb.606:
	v_cmp_lt_i16_e32 vcc_lo, 22, v8
	s_cbranch_vccz .LBB513_618
; %bb.607:
	v_cmp_gt_i16_e32 vcc_lo, 24, v8
	s_cbranch_vccnz .LBB513_619
; %bb.608:
	v_cmp_lt_i16_e32 vcc_lo, 24, v8
	s_cbranch_vccz .LBB513_620
; %bb.609:
	global_load_u8 v5, v[0:1], off
	s_mov_b32 s29, 0
	s_mov_b32 s48, exec_lo
                                        ; implicit-def: $sgpr2_sgpr3
	s_waitcnt vmcnt(0)
	v_cmpx_lt_i16_e32 0x7f, v5
	s_xor_b32 s48, exec_lo, s48
	s_cbranch_execz .LBB513_613
; %bb.610:
	s_mov_b32 s49, -1
	s_mov_b32 s29, exec_lo
                                        ; implicit-def: $sgpr2_sgpr3
	v_cmpx_eq_u16_e32 0x80, v5
; %bb.611:
	s_mov_b32 s3, 0x7ff80000
	s_brev_b32 s2, 4
	s_xor_b32 s49, exec_lo, -1
; %bb.612:
	s_or_b32 exec_lo, exec_lo, s29
	s_delay_alu instid0(SALU_CYCLE_1)
	s_and_b32 s29, s49, exec_lo
.LBB513_613:
	s_or_saveexec_b32 s48, s48
	v_dual_mov_b32 v4, s3 :: v_dual_mov_b32 v3, s2
	s_xor_b32 exec_lo, exec_lo, s48
; %bb.614:
	v_cmp_ne_u16_e32 vcc_lo, 0, v5
	v_mov_b32_e32 v3, 0
	v_mov_b32_e32 v4, 0
	s_and_not1_b32 s2, s29, exec_lo
	s_and_b32 s3, vcc_lo, exec_lo
	s_delay_alu instid0(SALU_CYCLE_1)
	s_or_b32 s29, s2, s3
; %bb.615:
	s_or_b32 exec_lo, exec_lo, s48
	s_and_saveexec_b32 s2, s29
	s_cbranch_execz .LBB513_617
; %bb.616:
	v_and_b32_e32 v3, 0xffff, v5
	v_lshlrev_b32_e32 v5, 24, v5
	s_delay_alu instid0(VALU_DEP_2) | instskip(NEXT) | instid1(VALU_DEP_2)
	v_and_b32_e32 v4, 3, v3
	v_and_b32_e32 v5, 0x80000000, v5
	s_delay_alu instid0(VALU_DEP_2) | instskip(NEXT) | instid1(VALU_DEP_1)
	v_clz_i32_u32_e32 v6, v4
	v_min_u32_e32 v6, 32, v6
	s_delay_alu instid0(VALU_DEP_1) | instskip(SKIP_1) | instid1(VALU_DEP_2)
	v_subrev_nc_u32_e32 v7, 29, v6
	v_sub_nc_u32_e32 v6, 30, v6
	v_lshlrev_b32_e32 v7, v7, v3
	v_bfe_u32 v3, v3, 2, 5
	s_delay_alu instid0(VALU_DEP_2) | instskip(NEXT) | instid1(VALU_DEP_2)
	v_and_b32_e32 v7, 3, v7
	v_cmp_eq_u32_e32 vcc_lo, 0, v3
	s_delay_alu instid0(VALU_DEP_2) | instskip(NEXT) | instid1(VALU_DEP_1)
	v_dual_cndmask_b32 v3, v3, v6 :: v_dual_cndmask_b32 v4, v4, v7
	v_lshl_add_u32 v3, v3, 23, 0x37800000
	s_delay_alu instid0(VALU_DEP_2) | instskip(NEXT) | instid1(VALU_DEP_1)
	v_lshlrev_b32_e32 v4, 21, v4
	v_or3_b32 v3, v5, v3, v4
	s_delay_alu instid0(VALU_DEP_1)
	v_cvt_f64_f32_e32 v[3:4], v3
.LBB513_617:
	s_or_b32 exec_lo, exec_lo, s2
	s_mov_b32 s2, 0
	s_branch .LBB513_621
.LBB513_618:
	s_mov_b32 s3, -1
                                        ; implicit-def: $vgpr3_vgpr4
	s_branch .LBB513_627
.LBB513_619:
	s_mov_b32 s2, -1
                                        ; implicit-def: $vgpr3_vgpr4
	s_branch .LBB513_624
.LBB513_620:
	s_mov_b32 s2, -1
                                        ; implicit-def: $vgpr3_vgpr4
.LBB513_621:
	s_delay_alu instid0(SALU_CYCLE_1)
	s_and_b32 vcc_lo, exec_lo, s2
	s_cbranch_vccz .LBB513_623
; %bb.622:
	global_load_u8 v3, v[0:1], off
	s_waitcnt vmcnt(0)
	v_lshlrev_b32_e32 v3, 24, v3
	s_delay_alu instid0(VALU_DEP_1) | instskip(NEXT) | instid1(VALU_DEP_1)
	v_and_b32_e32 v4, 0x7f000000, v3
	v_clz_i32_u32_e32 v5, v4
	v_add_nc_u32_e32 v7, 0x1000000, v4
	v_cmp_ne_u32_e32 vcc_lo, 0, v4
	s_delay_alu instid0(VALU_DEP_3) | instskip(NEXT) | instid1(VALU_DEP_1)
	v_min_u32_e32 v5, 32, v5
	v_sub_nc_u32_e64 v5, v5, 4 clamp
	s_delay_alu instid0(VALU_DEP_1) | instskip(SKIP_1) | instid1(VALU_DEP_2)
	v_lshlrev_b32_e32 v6, v5, v4
	v_lshlrev_b32_e32 v5, 23, v5
	v_lshrrev_b32_e32 v6, 4, v6
	s_delay_alu instid0(VALU_DEP_1) | instskip(SKIP_1) | instid1(VALU_DEP_2)
	v_sub_nc_u32_e32 v5, v6, v5
	v_ashrrev_i32_e32 v6, 8, v7
	v_add_nc_u32_e32 v5, 0x3c000000, v5
	s_delay_alu instid0(VALU_DEP_1) | instskip(NEXT) | instid1(VALU_DEP_1)
	v_and_or_b32 v5, 0x7f800000, v6, v5
	v_cndmask_b32_e32 v4, 0, v5, vcc_lo
	s_delay_alu instid0(VALU_DEP_1) | instskip(NEXT) | instid1(VALU_DEP_1)
	v_and_or_b32 v3, 0x80000000, v3, v4
	v_cvt_f64_f32_e32 v[3:4], v3
.LBB513_623:
	s_mov_b32 s2, 0
.LBB513_624:
	s_delay_alu instid0(SALU_CYCLE_1)
	s_and_not1_b32 vcc_lo, exec_lo, s2
	s_cbranch_vccnz .LBB513_626
; %bb.625:
	global_load_u8 v3, v[0:1], off
	s_waitcnt vmcnt(0)
	v_lshlrev_b32_e32 v4, 25, v3
	v_lshlrev_b16 v3, 8, v3
	s_delay_alu instid0(VALU_DEP_2) | instskip(NEXT) | instid1(VALU_DEP_2)
	v_lshrrev_b32_e32 v5, 4, v4
	v_and_or_b32 v6, 0x7f00, v3, 0.5
	v_bfe_i32 v3, v3, 0, 16
	s_delay_alu instid0(VALU_DEP_3) | instskip(NEXT) | instid1(VALU_DEP_1)
	v_or_b32_e32 v5, 0x70000000, v5
	v_dual_add_f32 v6, -0.5, v6 :: v_dual_mul_f32 v5, 0x7800000, v5
	v_cmp_gt_u32_e32 vcc_lo, 0x8000000, v4
	s_delay_alu instid0(VALU_DEP_2) | instskip(NEXT) | instid1(VALU_DEP_1)
	v_cndmask_b32_e32 v4, v5, v6, vcc_lo
	v_and_or_b32 v3, 0x80000000, v3, v4
	s_delay_alu instid0(VALU_DEP_1)
	v_cvt_f64_f32_e32 v[3:4], v3
.LBB513_626:
	s_mov_b32 s3, 0
	s_mov_b32 s2, -1
.LBB513_627:
	s_and_not1_b32 vcc_lo, exec_lo, s3
	s_cbranch_vccnz .LBB513_638
; %bb.628:
	v_cmp_lt_i16_e32 vcc_lo, 14, v8
	s_cbranch_vccz .LBB513_631
; %bb.629:
	v_cmp_eq_u16_e32 vcc_lo, 15, v8
	s_cbranch_vccz .LBB513_632
; %bb.630:
	global_load_u16 v3, v[0:1], off
	s_mov_b32 s2, -1
	s_mov_b32 s28, 0
	s_waitcnt vmcnt(0)
	v_lshlrev_b32_e32 v3, 16, v3
	s_delay_alu instid0(VALU_DEP_1)
	v_cvt_f64_f32_e32 v[3:4], v3
	s_branch .LBB513_633
.LBB513_631:
	s_mov_b32 s3, -1
                                        ; implicit-def: $vgpr3_vgpr4
	s_branch .LBB513_634
.LBB513_632:
	s_mov_b32 s28, -1
                                        ; implicit-def: $vgpr3_vgpr4
.LBB513_633:
	s_mov_b32 s3, 0
.LBB513_634:
	s_delay_alu instid0(SALU_CYCLE_1)
	s_and_b32 vcc_lo, exec_lo, s3
	s_cbranch_vccz .LBB513_638
; %bb.635:
	v_cmp_eq_u16_e32 vcc_lo, 11, v8
	s_cbranch_vccz .LBB513_637
; %bb.636:
	global_load_u8 v3, v[0:1], off
	s_mov_b32 s28, 0
	s_mov_b32 s2, -1
	s_waitcnt vmcnt(0)
	v_cmp_ne_u16_e32 vcc_lo, 0, v3
	v_mov_b32_e32 v3, 0
	v_cndmask_b32_e64 v4, 0, 0x3ff00000, vcc_lo
	s_branch .LBB513_638
.LBB513_637:
	s_mov_b32 s28, -1
                                        ; implicit-def: $vgpr3_vgpr4
.LBB513_638:
	s_mov_b32 s3, 0
.LBB513_639:
	s_delay_alu instid0(SALU_CYCLE_1)
	s_and_b32 vcc_lo, exec_lo, s3
	s_cbranch_vccz .LBB513_688
; %bb.640:
	v_cmp_gt_i16_e32 vcc_lo, 5, v8
	s_cbranch_vccnz .LBB513_645
; %bb.641:
	v_cmp_gt_i16_e32 vcc_lo, 8, v8
	s_cbranch_vccnz .LBB513_646
	;; [unrolled: 3-line block ×3, first 2 shown]
; %bb.643:
	v_cmp_lt_i16_e32 vcc_lo, 9, v8
	s_cbranch_vccz .LBB513_648
; %bb.644:
	global_load_b64 v[3:4], v[0:1], off
	s_mov_b32 s2, 0
	s_branch .LBB513_649
.LBB513_645:
	s_mov_b32 s2, -1
                                        ; implicit-def: $vgpr3_vgpr4
	s_branch .LBB513_667
.LBB513_646:
	s_mov_b32 s2, -1
                                        ; implicit-def: $vgpr3_vgpr4
	s_branch .LBB513_655
.LBB513_647:
	s_mov_b32 s2, -1
                                        ; implicit-def: $vgpr3_vgpr4
	s_branch .LBB513_652
.LBB513_648:
	s_mov_b32 s2, -1
                                        ; implicit-def: $vgpr3_vgpr4
.LBB513_649:
	s_delay_alu instid0(SALU_CYCLE_1)
	s_and_not1_b32 vcc_lo, exec_lo, s2
	s_cbranch_vccnz .LBB513_651
; %bb.650:
	global_load_b32 v3, v[0:1], off
	s_waitcnt vmcnt(0)
	v_cvt_f64_f32_e32 v[3:4], v3
.LBB513_651:
	s_mov_b32 s2, 0
.LBB513_652:
	s_delay_alu instid0(SALU_CYCLE_1)
	s_and_not1_b32 vcc_lo, exec_lo, s2
	s_cbranch_vccnz .LBB513_654
; %bb.653:
	global_load_b32 v3, v[0:1], off
	s_waitcnt vmcnt(0)
	v_cvt_f32_f16_e32 v3, v3
	s_delay_alu instid0(VALU_DEP_1)
	v_cvt_f64_f32_e32 v[3:4], v3
.LBB513_654:
	s_mov_b32 s2, 0
.LBB513_655:
	s_delay_alu instid0(SALU_CYCLE_1)
	s_and_not1_b32 vcc_lo, exec_lo, s2
	s_cbranch_vccnz .LBB513_666
; %bb.656:
	v_cmp_gt_i16_e32 vcc_lo, 6, v8
	s_cbranch_vccnz .LBB513_659
; %bb.657:
	v_cmp_lt_i16_e32 vcc_lo, 6, v8
	s_cbranch_vccz .LBB513_660
; %bb.658:
	global_load_b64 v[3:4], v[0:1], off
	s_mov_b32 s2, 0
	s_branch .LBB513_661
.LBB513_659:
	s_mov_b32 s2, -1
                                        ; implicit-def: $vgpr3_vgpr4
	s_branch .LBB513_664
.LBB513_660:
	s_mov_b32 s2, -1
                                        ; implicit-def: $vgpr3_vgpr4
.LBB513_661:
	s_delay_alu instid0(SALU_CYCLE_1)
	s_and_not1_b32 vcc_lo, exec_lo, s2
	s_cbranch_vccnz .LBB513_663
; %bb.662:
	global_load_b32 v3, v[0:1], off
	s_waitcnt vmcnt(0)
	v_cvt_f64_f32_e32 v[3:4], v3
.LBB513_663:
	s_mov_b32 s2, 0
.LBB513_664:
	s_delay_alu instid0(SALU_CYCLE_1)
	s_and_not1_b32 vcc_lo, exec_lo, s2
	s_cbranch_vccnz .LBB513_666
; %bb.665:
	global_load_u16 v3, v[0:1], off
	s_waitcnt vmcnt(0)
	v_cvt_f32_f16_e32 v3, v3
	s_delay_alu instid0(VALU_DEP_1)
	v_cvt_f64_f32_e32 v[3:4], v3
.LBB513_666:
	s_mov_b32 s2, 0
.LBB513_667:
	s_delay_alu instid0(SALU_CYCLE_1)
	s_and_not1_b32 vcc_lo, exec_lo, s2
	s_cbranch_vccnz .LBB513_687
; %bb.668:
	v_cmp_gt_i16_e32 vcc_lo, 2, v8
	s_cbranch_vccnz .LBB513_672
; %bb.669:
	v_cmp_gt_i16_e32 vcc_lo, 3, v8
	s_cbranch_vccnz .LBB513_673
; %bb.670:
	v_cmp_lt_i16_e32 vcc_lo, 3, v8
	s_cbranch_vccz .LBB513_674
; %bb.671:
	global_load_b64 v[3:4], v[0:1], off
	s_mov_b32 s2, 0
	s_waitcnt vmcnt(0)
	v_cvt_f64_i32_e32 v[4:5], v4
	v_cvt_f64_u32_e32 v[6:7], v3
	s_delay_alu instid0(VALU_DEP_2) | instskip(NEXT) | instid1(VALU_DEP_1)
	v_ldexp_f64 v[4:5], v[4:5], 32
	v_add_f64 v[3:4], v[4:5], v[6:7]
	s_branch .LBB513_675
.LBB513_672:
	s_mov_b32 s2, -1
                                        ; implicit-def: $vgpr3_vgpr4
	s_branch .LBB513_681
.LBB513_673:
	s_mov_b32 s2, -1
                                        ; implicit-def: $vgpr3_vgpr4
	s_branch .LBB513_678
.LBB513_674:
	s_mov_b32 s2, -1
                                        ; implicit-def: $vgpr3_vgpr4
.LBB513_675:
	s_delay_alu instid0(SALU_CYCLE_1)
	s_and_not1_b32 vcc_lo, exec_lo, s2
	s_cbranch_vccnz .LBB513_677
; %bb.676:
	global_load_b32 v3, v[0:1], off
	s_waitcnt vmcnt(0)
	v_cvt_f64_i32_e32 v[3:4], v3
.LBB513_677:
	s_mov_b32 s2, 0
.LBB513_678:
	s_delay_alu instid0(SALU_CYCLE_1)
	s_and_not1_b32 vcc_lo, exec_lo, s2
	s_cbranch_vccnz .LBB513_680
; %bb.679:
	global_load_i16 v3, v[0:1], off
	s_waitcnt vmcnt(0)
	v_cvt_f64_i32_e32 v[3:4], v3
.LBB513_680:
	s_mov_b32 s2, 0
.LBB513_681:
	s_delay_alu instid0(SALU_CYCLE_1)
	s_and_not1_b32 vcc_lo, exec_lo, s2
	s_cbranch_vccnz .LBB513_687
; %bb.682:
	v_cmp_lt_i16_e32 vcc_lo, 0, v8
	s_mov_b32 s2, 0
	s_cbranch_vccz .LBB513_684
; %bb.683:
	global_load_i8 v3, v[0:1], off
	s_waitcnt vmcnt(0)
	v_cvt_f64_i32_e32 v[3:4], v3
	s_branch .LBB513_685
.LBB513_684:
	s_mov_b32 s2, -1
                                        ; implicit-def: $vgpr3_vgpr4
.LBB513_685:
	s_delay_alu instid0(SALU_CYCLE_1)
	s_and_not1_b32 vcc_lo, exec_lo, s2
	s_cbranch_vccnz .LBB513_687
; %bb.686:
	global_load_u8 v0, v[0:1], off
	s_waitcnt vmcnt(0)
	v_cvt_f64_u32_e32 v[3:4], v0
.LBB513_687:
	s_mov_b32 s2, -1
.LBB513_688:
	s_delay_alu instid0(SALU_CYCLE_1)
	s_and_not1_b32 vcc_lo, exec_lo, s2
	s_cbranch_vccnz .LBB513_700
; %bb.689:
	v_dual_mov_b32 v0, s8 :: v_dual_mov_b32 v1, s9
	s_mov_b32 s2, exec_lo
	s_waitcnt vmcnt(0)
	s_delay_alu instid0(VALU_DEP_2)
	v_cmpx_o_f64_e32 v[3:4], v[3:4]
	s_cbranch_execz .LBB513_693
; %bb.690:
	v_dual_mov_b32 v0, s10 :: v_dual_mov_b32 v1, s11
	s_mov_b32 s3, exec_lo
	v_cmpx_neq_f64_e32 0x7ff00000, v[3:4]
; %bb.691:
	v_cmp_eq_f64_e32 vcc_lo, 0xfff00000, v[3:4]
	v_cndmask_b32_e64 v1, v4, s23, vcc_lo
	v_cndmask_b32_e64 v0, v3, s22, vcc_lo
; %bb.692:
	s_or_b32 exec_lo, exec_lo, s3
.LBB513_693:
	s_delay_alu instid0(SALU_CYCLE_1) | instskip(SKIP_2) | instid1(VALU_DEP_1)
	s_or_b32 exec_lo, exec_lo, s2
	v_and_b32_e64 v6, 0xff, s36
	v_add_co_u32 v4, s2, s4, v2
	v_add_co_ci_u32_e64 v5, null, s5, 0, s2
	s_delay_alu instid0(VALU_DEP_3)
	v_cmp_gt_i16_e32 vcc_lo, 11, v6
	s_mov_b32 s3, 0
	s_mov_b32 s29, -1
	s_mov_b32 s2, s45
	s_cbranch_vccnz .LBB513_701
; %bb.694:
	v_cmp_lt_i16_e32 vcc_lo, 25, v6
	s_cbranch_vccz .LBB513_742
; %bb.695:
	v_cmp_lt_i16_e32 vcc_lo, 28, v6
	s_cbranch_vccz .LBB513_743
; %bb.696:
	v_cmp_lt_i16_e32 vcc_lo, 43, v6
	s_cbranch_vccz .LBB513_744
; %bb.697:
	v_cmp_lt_i16_e32 vcc_lo, 45, v6
	s_cbranch_vccz .LBB513_745
; %bb.698:
	v_cmp_eq_u16_e32 vcc_lo, 46, v6
	s_mov_b32 s29, 0
	s_mov_b32 s2, -1
	s_cbranch_vccz .LBB513_746
; %bb.699:
	v_cvt_f32_f64_e32 v2, v[0:1]
	s_mov_b32 s3, -1
	s_mov_b32 s2, 0
	s_delay_alu instid0(VALU_DEP_1) | instskip(SKIP_1) | instid1(VALU_DEP_2)
	v_bfe_u32 v3, v2, 16, 1
	v_cmp_o_f32_e32 vcc_lo, v2, v2
	v_add3_u32 v3, v2, v3, 0x7fff
	s_delay_alu instid0(VALU_DEP_1) | instskip(NEXT) | instid1(VALU_DEP_1)
	v_lshrrev_b32_e32 v3, 16, v3
	v_cndmask_b32_e32 v2, 0x7fc0, v3, vcc_lo
	global_store_b32 v[4:5], v2, off
	s_branch .LBB513_746
.LBB513_700:
	s_mov_b32 s3, 0
	s_mov_b32 s2, s45
	s_branch .LBB513_741
.LBB513_701:
	s_and_b32 vcc_lo, exec_lo, s29
	s_cbranch_vccz .LBB513_815
; %bb.702:
	v_cmp_gt_i16_e32 vcc_lo, 5, v6
	s_mov_b32 s3, -1
	s_cbranch_vccnz .LBB513_723
; %bb.703:
	v_cmp_gt_i16_e32 vcc_lo, 8, v6
	s_cbranch_vccnz .LBB513_713
; %bb.704:
	v_cmp_gt_i16_e32 vcc_lo, 9, v6
	s_cbranch_vccnz .LBB513_710
; %bb.705:
	v_cmp_lt_i16_e32 vcc_lo, 9, v6
	s_cbranch_vccz .LBB513_707
; %bb.706:
	v_mov_b32_e32 v2, 0
	s_mov_b32 s3, 0
	s_delay_alu instid0(VALU_DEP_1)
	v_mov_b32_e32 v3, v2
	global_store_b128 v[4:5], v[0:3], off
.LBB513_707:
	s_and_not1_b32 vcc_lo, exec_lo, s3
	s_cbranch_vccnz .LBB513_709
; %bb.708:
	v_cvt_f32_f64_e32 v2, v[0:1]
	v_mov_b32_e32 v3, 0
	global_store_b64 v[4:5], v[2:3], off
.LBB513_709:
	s_mov_b32 s3, 0
.LBB513_710:
	s_delay_alu instid0(SALU_CYCLE_1)
	s_and_not1_b32 vcc_lo, exec_lo, s3
	s_cbranch_vccnz .LBB513_712
; %bb.711:
	v_cvt_f32_f64_e32 v2, v[0:1]
	s_delay_alu instid0(VALU_DEP_1) | instskip(NEXT) | instid1(VALU_DEP_1)
	v_cvt_f16_f32_e32 v2, v2
	v_and_b32_e32 v2, 0xffff, v2
	global_store_b32 v[4:5], v2, off
.LBB513_712:
	s_mov_b32 s3, 0
.LBB513_713:
	s_delay_alu instid0(SALU_CYCLE_1)
	s_and_not1_b32 vcc_lo, exec_lo, s3
	s_cbranch_vccnz .LBB513_722
; %bb.714:
	v_cmp_gt_i16_e32 vcc_lo, 6, v6
	s_mov_b32 s3, -1
	s_cbranch_vccnz .LBB513_720
; %bb.715:
	v_cmp_lt_i16_e32 vcc_lo, 6, v6
	s_cbranch_vccz .LBB513_717
; %bb.716:
	s_mov_b32 s3, 0
	global_store_b64 v[4:5], v[0:1], off
.LBB513_717:
	s_and_not1_b32 vcc_lo, exec_lo, s3
	s_cbranch_vccnz .LBB513_719
; %bb.718:
	v_cvt_f32_f64_e32 v2, v[0:1]
	global_store_b32 v[4:5], v2, off
.LBB513_719:
	s_mov_b32 s3, 0
.LBB513_720:
	s_delay_alu instid0(SALU_CYCLE_1)
	s_and_not1_b32 vcc_lo, exec_lo, s3
	s_cbranch_vccnz .LBB513_722
; %bb.721:
	v_cvt_f32_f64_e32 v2, v[0:1]
	s_delay_alu instid0(VALU_DEP_1)
	v_cvt_f16_f32_e32 v2, v2
	global_store_b16 v[4:5], v2, off
.LBB513_722:
	s_mov_b32 s3, 0
.LBB513_723:
	s_delay_alu instid0(SALU_CYCLE_1)
	s_and_not1_b32 vcc_lo, exec_lo, s3
	s_cbranch_vccnz .LBB513_739
; %bb.724:
	v_cmp_gt_i16_e32 vcc_lo, 2, v6
	s_mov_b32 s3, -1
	s_cbranch_vccnz .LBB513_734
; %bb.725:
	v_cmp_gt_i16_e32 vcc_lo, 3, v6
	s_cbranch_vccnz .LBB513_731
; %bb.726:
	v_cmp_lt_i16_e32 vcc_lo, 3, v6
	s_cbranch_vccz .LBB513_728
; %bb.727:
	v_trunc_f64_e32 v[2:3], v[0:1]
	s_mov_b32 s3, 0
	s_delay_alu instid0(VALU_DEP_1) | instskip(NEXT) | instid1(VALU_DEP_1)
	v_ldexp_f64 v[10:11], v[2:3], 0xffffffe0
	v_floor_f64_e32 v[10:11], v[10:11]
	s_delay_alu instid0(VALU_DEP_1) | instskip(SKIP_1) | instid1(VALU_DEP_2)
	v_fma_f64 v[2:3], 0xc1f00000, v[10:11], v[2:3]
	v_cvt_i32_f64_e32 v11, v[10:11]
	v_cvt_u32_f64_e32 v10, v[2:3]
	global_store_b64 v[4:5], v[10:11], off
.LBB513_728:
	s_and_not1_b32 vcc_lo, exec_lo, s3
	s_cbranch_vccnz .LBB513_730
; %bb.729:
	v_cvt_i32_f64_e32 v2, v[0:1]
	global_store_b32 v[4:5], v2, off
.LBB513_730:
	s_mov_b32 s3, 0
.LBB513_731:
	s_delay_alu instid0(SALU_CYCLE_1)
	s_and_not1_b32 vcc_lo, exec_lo, s3
	s_cbranch_vccnz .LBB513_733
; %bb.732:
	v_cvt_i32_f64_e32 v2, v[0:1]
	global_store_b16 v[4:5], v2, off
.LBB513_733:
	s_mov_b32 s3, 0
.LBB513_734:
	s_delay_alu instid0(SALU_CYCLE_1)
	s_and_not1_b32 vcc_lo, exec_lo, s3
	s_cbranch_vccnz .LBB513_739
; %bb.735:
	v_cmp_lt_i16_e32 vcc_lo, 0, v6
	s_mov_b32 s3, -1
	s_cbranch_vccz .LBB513_737
; %bb.736:
	v_cvt_i32_f64_e32 v2, v[0:1]
	s_mov_b32 s3, 0
	global_store_b8 v[4:5], v2, off
.LBB513_737:
	s_and_not1_b32 vcc_lo, exec_lo, s3
	s_cbranch_vccnz .LBB513_739
; %bb.738:
	v_trunc_f64_e32 v[0:1], v[0:1]
	s_delay_alu instid0(VALU_DEP_1) | instskip(NEXT) | instid1(VALU_DEP_1)
	v_ldexp_f64 v[2:3], v[0:1], 0xffffffe0
	v_floor_f64_e32 v[2:3], v[2:3]
	s_delay_alu instid0(VALU_DEP_1) | instskip(NEXT) | instid1(VALU_DEP_1)
	v_fma_f64 v[0:1], 0xc1f00000, v[2:3], v[0:1]
	v_cvt_u32_f64_e32 v0, v[0:1]
	global_store_b8 v[4:5], v0, off
.LBB513_739:
	s_branch .LBB513_816
.LBB513_740:
	s_mov_b32 s3, 0
.LBB513_741:
                                        ; implicit-def: $vgpr9
	s_branch .LBB513_817
.LBB513_742:
	s_mov_b32 s2, s45
	s_branch .LBB513_773
.LBB513_743:
	s_mov_b32 s2, s45
	s_branch .LBB513_756
.LBB513_744:
	s_mov_b32 s2, s45
	s_branch .LBB513_752
.LBB513_745:
	s_mov_b32 s2, s45
.LBB513_746:
	s_and_b32 vcc_lo, exec_lo, s29
	s_cbranch_vccz .LBB513_751
; %bb.747:
	v_cmp_eq_u16_e32 vcc_lo, 44, v6
	s_mov_b32 s2, -1
	s_cbranch_vccz .LBB513_751
; %bb.748:
	v_cvt_f32_f64_e32 v2, v[0:1]
	v_mov_b32_e32 v3, 0xff
	s_mov_b32 s3, exec_lo
	s_delay_alu instid0(VALU_DEP_2) | instskip(NEXT) | instid1(VALU_DEP_1)
	v_bfe_u32 v7, v2, 23, 8
	v_cmpx_ne_u32_e32 0xff, v7
; %bb.749:
	v_and_b32_e32 v3, 0x400000, v2
	v_and_or_b32 v7, 0x3fffff, v2, v7
	v_lshrrev_b32_e32 v2, 23, v2
	s_delay_alu instid0(VALU_DEP_3) | instskip(NEXT) | instid1(VALU_DEP_3)
	v_cmp_ne_u32_e32 vcc_lo, 0, v3
	v_cmp_ne_u32_e64 s2, 0, v7
	s_delay_alu instid0(VALU_DEP_1) | instskip(NEXT) | instid1(SALU_CYCLE_1)
	s_and_b32 s2, vcc_lo, s2
	v_cndmask_b32_e64 v3, 0, 1, s2
	s_delay_alu instid0(VALU_DEP_1)
	v_add_nc_u32_e32 v3, v2, v3
; %bb.750:
	s_or_b32 exec_lo, exec_lo, s3
	s_mov_b32 s3, -1
	s_mov_b32 s2, 0
	global_store_b8 v[4:5], v3, off
.LBB513_751:
	s_mov_b32 s29, 0
.LBB513_752:
	s_delay_alu instid0(SALU_CYCLE_1)
	s_and_b32 vcc_lo, exec_lo, s29
	s_cbranch_vccz .LBB513_755
; %bb.753:
	v_cmp_eq_u16_e32 vcc_lo, 29, v6
	s_mov_b32 s2, -1
	s_cbranch_vccz .LBB513_755
; %bb.754:
	v_trunc_f64_e32 v[2:3], v[0:1]
	s_mov_b32 s3, -1
	s_mov_b32 s2, 0
	s_mov_b32 s29, 0
	s_delay_alu instid0(VALU_DEP_1) | instskip(NEXT) | instid1(VALU_DEP_1)
	v_ldexp_f64 v[10:11], v[2:3], 0xffffffe0
	v_floor_f64_e32 v[10:11], v[10:11]
	s_delay_alu instid0(VALU_DEP_1) | instskip(SKIP_1) | instid1(VALU_DEP_2)
	v_fma_f64 v[2:3], 0xc1f00000, v[10:11], v[2:3]
	v_cvt_u32_f64_e32 v11, v[10:11]
	v_cvt_u32_f64_e32 v10, v[2:3]
	global_store_b64 v[4:5], v[10:11], off
	s_branch .LBB513_756
.LBB513_755:
	s_mov_b32 s29, 0
.LBB513_756:
	s_delay_alu instid0(SALU_CYCLE_1)
	s_and_b32 vcc_lo, exec_lo, s29
	s_cbranch_vccz .LBB513_772
; %bb.757:
	v_cmp_gt_i16_e32 vcc_lo, 27, v6
	s_mov_b32 s3, -1
	s_cbranch_vccnz .LBB513_763
; %bb.758:
	v_cmp_lt_i16_e32 vcc_lo, 27, v6
	s_cbranch_vccz .LBB513_760
; %bb.759:
	v_cvt_u32_f64_e32 v2, v[0:1]
	s_mov_b32 s3, 0
	global_store_b32 v[4:5], v2, off
.LBB513_760:
	s_and_not1_b32 vcc_lo, exec_lo, s3
	s_cbranch_vccnz .LBB513_762
; %bb.761:
	v_cvt_u32_f64_e32 v2, v[0:1]
	global_store_b16 v[4:5], v2, off
.LBB513_762:
	s_mov_b32 s3, 0
.LBB513_763:
	s_delay_alu instid0(SALU_CYCLE_1)
	s_and_not1_b32 vcc_lo, exec_lo, s3
	s_cbranch_vccnz .LBB513_771
; %bb.764:
	v_cvt_f32_f64_e32 v2, v[0:1]
	v_mov_b32_e32 v7, 0x80
	s_mov_b32 s3, exec_lo
	s_delay_alu instid0(VALU_DEP_2) | instskip(NEXT) | instid1(VALU_DEP_1)
	v_and_b32_e32 v3, 0x7fffffff, v2
	v_cmpx_gt_u32_e32 0x43800000, v3
	s_cbranch_execz .LBB513_770
; %bb.765:
	v_cmp_lt_u32_e32 vcc_lo, 0x3bffffff, v3
	s_mov_b32 s29, 0
                                        ; implicit-def: $vgpr3
	s_and_saveexec_b32 s48, vcc_lo
	s_delay_alu instid0(SALU_CYCLE_1)
	s_xor_b32 s48, exec_lo, s48
	s_cbranch_execz .LBB513_844
; %bb.766:
	v_bfe_u32 v3, v2, 20, 1
	s_mov_b32 s29, exec_lo
	s_delay_alu instid0(VALU_DEP_1) | instskip(NEXT) | instid1(VALU_DEP_1)
	v_add3_u32 v3, v2, v3, 0x487ffff
	v_lshrrev_b32_e32 v3, 20, v3
	s_or_saveexec_b32 s48, s48
                                        ; implicit-def: $sgpr49
	s_delay_alu instid0(SALU_CYCLE_1)
	s_xor_b32 exec_lo, exec_lo, s48
	s_cbranch_execnz .LBB513_845
.LBB513_767:
	s_or_b32 exec_lo, exec_lo, s48
	v_mov_b32_e32 v7, s49
	s_and_saveexec_b32 s48, s29
.LBB513_768:
	v_lshrrev_b32_e32 v2, 24, v2
	s_delay_alu instid0(VALU_DEP_1)
	v_and_or_b32 v7, 0x80, v2, v3
.LBB513_769:
	s_or_b32 exec_lo, exec_lo, s48
.LBB513_770:
	s_delay_alu instid0(SALU_CYCLE_1)
	s_or_b32 exec_lo, exec_lo, s3
	global_store_b8 v[4:5], v7, off
.LBB513_771:
	s_mov_b32 s3, -1
.LBB513_772:
	s_mov_b32 s29, 0
.LBB513_773:
	s_delay_alu instid0(SALU_CYCLE_1)
	s_and_b32 vcc_lo, exec_lo, s29
	s_cbranch_vccz .LBB513_814
; %bb.774:
	v_cmp_lt_i16_e32 vcc_lo, 22, v6
	s_mov_b32 s29, -1
	s_cbranch_vccz .LBB513_806
; %bb.775:
	v_cmp_gt_i16_e32 vcc_lo, 24, v6
	s_mov_b32 s3, -1
	s_cbranch_vccnz .LBB513_795
; %bb.776:
	v_cmp_lt_i16_e32 vcc_lo, 24, v6
	s_cbranch_vccz .LBB513_784
; %bb.777:
	v_cvt_f32_f64_e32 v2, v[0:1]
	v_mov_b32_e32 v7, 0x80
	s_mov_b32 s3, exec_lo
	s_delay_alu instid0(VALU_DEP_2) | instskip(NEXT) | instid1(VALU_DEP_1)
	v_and_b32_e32 v3, 0x7fffffff, v2
	v_cmpx_gt_u32_e32 0x47800000, v3
	s_cbranch_execz .LBB513_783
; %bb.778:
	v_cmp_lt_u32_e32 vcc_lo, 0x37ffffff, v3
	s_mov_b32 s29, 0
                                        ; implicit-def: $vgpr3
	s_and_saveexec_b32 s48, vcc_lo
	s_delay_alu instid0(SALU_CYCLE_1)
	s_xor_b32 s48, exec_lo, s48
	s_cbranch_execz .LBB513_847
; %bb.779:
	v_bfe_u32 v3, v2, 21, 1
	s_mov_b32 s29, exec_lo
	s_delay_alu instid0(VALU_DEP_1) | instskip(NEXT) | instid1(VALU_DEP_1)
	v_add3_u32 v3, v2, v3, 0x88fffff
	v_lshrrev_b32_e32 v3, 21, v3
	s_or_saveexec_b32 s48, s48
                                        ; implicit-def: $sgpr49
	s_delay_alu instid0(SALU_CYCLE_1)
	s_xor_b32 exec_lo, exec_lo, s48
	s_cbranch_execnz .LBB513_848
.LBB513_780:
	s_or_b32 exec_lo, exec_lo, s48
	v_mov_b32_e32 v7, s49
	s_and_saveexec_b32 s48, s29
.LBB513_781:
	v_lshrrev_b32_e32 v2, 24, v2
	s_delay_alu instid0(VALU_DEP_1)
	v_and_or_b32 v7, 0x80, v2, v3
.LBB513_782:
	s_or_b32 exec_lo, exec_lo, s48
.LBB513_783:
	s_delay_alu instid0(SALU_CYCLE_1)
	s_or_b32 exec_lo, exec_lo, s3
	s_mov_b32 s3, 0
	global_store_b8 v[4:5], v7, off
.LBB513_784:
	s_and_b32 vcc_lo, exec_lo, s3
	s_cbranch_vccz .LBB513_794
; %bb.785:
	v_cvt_f32_f64_e32 v2, v[0:1]
	s_mov_b32 s3, exec_lo
                                        ; implicit-def: $vgpr3
	s_delay_alu instid0(VALU_DEP_1) | instskip(NEXT) | instid1(VALU_DEP_1)
	v_and_b32_e32 v7, 0x7fffffff, v2
	v_cmpx_gt_u32_e32 0x43f00000, v7
	s_xor_b32 s3, exec_lo, s3
	s_cbranch_execz .LBB513_791
; %bb.786:
	s_mov_b32 s29, exec_lo
                                        ; implicit-def: $vgpr3
	v_cmpx_lt_u32_e32 0x3c7fffff, v7
	s_xor_b32 s29, exec_lo, s29
; %bb.787:
	v_bfe_u32 v3, v2, 20, 1
	s_delay_alu instid0(VALU_DEP_1) | instskip(NEXT) | instid1(VALU_DEP_1)
	v_add3_u32 v3, v2, v3, 0x407ffff
	v_and_b32_e32 v7, 0xff00000, v3
	v_lshrrev_b32_e32 v3, 20, v3
	s_delay_alu instid0(VALU_DEP_2) | instskip(NEXT) | instid1(VALU_DEP_2)
	v_cmp_ne_u32_e32 vcc_lo, 0x7f00000, v7
	v_cndmask_b32_e32 v3, 0x7e, v3, vcc_lo
; %bb.788:
	s_and_not1_saveexec_b32 s29, s29
; %bb.789:
	v_add_f32_e64 v3, 0x46800000, |v2|
; %bb.790:
	s_or_b32 exec_lo, exec_lo, s29
                                        ; implicit-def: $vgpr7
.LBB513_791:
	s_and_not1_saveexec_b32 s3, s3
; %bb.792:
	v_mov_b32_e32 v3, 0x7f
	v_cmp_lt_u32_e32 vcc_lo, 0x7f800000, v7
	s_delay_alu instid0(VALU_DEP_2)
	v_cndmask_b32_e32 v3, 0x7e, v3, vcc_lo
; %bb.793:
	s_or_b32 exec_lo, exec_lo, s3
	v_lshrrev_b32_e32 v2, 24, v2
	s_delay_alu instid0(VALU_DEP_1)
	v_and_or_b32 v2, 0x80, v2, v3
	global_store_b8 v[4:5], v2, off
.LBB513_794:
	s_mov_b32 s3, 0
.LBB513_795:
	s_delay_alu instid0(SALU_CYCLE_1)
	s_and_not1_b32 vcc_lo, exec_lo, s3
	s_cbranch_vccnz .LBB513_805
; %bb.796:
	v_cvt_f32_f64_e32 v2, v[0:1]
	s_mov_b32 s3, exec_lo
                                        ; implicit-def: $vgpr3
	s_delay_alu instid0(VALU_DEP_1) | instskip(NEXT) | instid1(VALU_DEP_1)
	v_and_b32_e32 v7, 0x7fffffff, v2
	v_cmpx_gt_u32_e32 0x47800000, v7
	s_xor_b32 s3, exec_lo, s3
	s_cbranch_execz .LBB513_802
; %bb.797:
	s_mov_b32 s29, exec_lo
                                        ; implicit-def: $vgpr3
	v_cmpx_lt_u32_e32 0x387fffff, v7
	s_xor_b32 s29, exec_lo, s29
; %bb.798:
	v_bfe_u32 v3, v2, 21, 1
	s_delay_alu instid0(VALU_DEP_1) | instskip(NEXT) | instid1(VALU_DEP_1)
	v_add3_u32 v3, v2, v3, 0x80fffff
	v_lshrrev_b32_e32 v3, 21, v3
; %bb.799:
	s_and_not1_saveexec_b32 s29, s29
; %bb.800:
	v_add_f32_e64 v3, 0x43000000, |v2|
; %bb.801:
	s_or_b32 exec_lo, exec_lo, s29
                                        ; implicit-def: $vgpr7
.LBB513_802:
	s_and_not1_saveexec_b32 s3, s3
; %bb.803:
	v_mov_b32_e32 v3, 0x7f
	v_cmp_lt_u32_e32 vcc_lo, 0x7f800000, v7
	s_delay_alu instid0(VALU_DEP_2)
	v_cndmask_b32_e32 v3, 0x7c, v3, vcc_lo
; %bb.804:
	s_or_b32 exec_lo, exec_lo, s3
	v_lshrrev_b32_e32 v2, 24, v2
	s_delay_alu instid0(VALU_DEP_1)
	v_and_or_b32 v2, 0x80, v2, v3
	global_store_b8 v[4:5], v2, off
.LBB513_805:
	s_mov_b32 s29, 0
	s_mov_b32 s3, -1
.LBB513_806:
	s_and_not1_b32 vcc_lo, exec_lo, s29
	s_cbranch_vccnz .LBB513_814
; %bb.807:
	v_cmp_lt_i16_e32 vcc_lo, 14, v6
	s_mov_b32 s29, -1
	s_cbranch_vccz .LBB513_811
; %bb.808:
	v_cmp_eq_u16_e32 vcc_lo, 15, v6
	s_mov_b32 s2, -1
	s_cbranch_vccz .LBB513_810
; %bb.809:
	v_cvt_f32_f64_e32 v2, v[0:1]
	s_mov_b32 s3, -1
	s_mov_b32 s2, 0
	s_delay_alu instid0(VALU_DEP_1) | instskip(SKIP_1) | instid1(VALU_DEP_2)
	v_bfe_u32 v3, v2, 16, 1
	v_cmp_o_f32_e32 vcc_lo, v2, v2
	v_add3_u32 v3, v2, v3, 0x7fff
	s_delay_alu instid0(VALU_DEP_1) | instskip(NEXT) | instid1(VALU_DEP_1)
	v_lshrrev_b32_e32 v3, 16, v3
	v_cndmask_b32_e32 v2, 0x7fc0, v3, vcc_lo
	global_store_b16 v[4:5], v2, off
.LBB513_810:
	s_mov_b32 s29, 0
.LBB513_811:
	s_delay_alu instid0(SALU_CYCLE_1)
	s_and_b32 vcc_lo, exec_lo, s29
	s_cbranch_vccz .LBB513_814
; %bb.812:
	v_cmp_eq_u16_e32 vcc_lo, 11, v6
	s_mov_b32 s2, -1
	s_cbranch_vccz .LBB513_814
; %bb.813:
	v_cmp_neq_f64_e32 vcc_lo, 0, v[0:1]
	s_mov_b32 s3, -1
	s_mov_b32 s2, 0
	v_cndmask_b32_e64 v2, 0, 1, vcc_lo
	global_store_b8 v[4:5], v2, off
.LBB513_814:
.LBB513_815:
	s_and_not1_b32 vcc_lo, exec_lo, s3
	s_cbranch_vccnz .LBB513_740
.LBB513_816:
	v_add_nc_u32_e32 v9, 0x80, v9
	s_mov_b32 s3, -1
.LBB513_817:
	s_and_not1_b32 s29, s45, exec_lo
	s_and_b32 s2, s2, exec_lo
	s_and_not1_b32 s48, s44, exec_lo
	s_and_b32 s28, s28, exec_lo
	s_or_b32 s29, s29, s2
	s_or_b32 s28, s48, s28
	s_or_not1_b32 s49, s3, exec_lo
.LBB513_818:
	s_or_b32 exec_lo, exec_lo, s47
	s_mov_b32 s2, 0
	s_mov_b32 s3, 0
	;; [unrolled: 1-line block ×3, first 2 shown]
                                        ; implicit-def: $vgpr0_vgpr1
                                        ; implicit-def: $vgpr2
                                        ; implicit-def: $vgpr6_vgpr7
	s_and_saveexec_b32 s47, s49
	s_cbranch_execz .LBB513_916
; %bb.819:
	v_cmp_gt_i32_e32 vcc_lo, s38, v9
	s_mov_b32 s49, s28
                                        ; implicit-def: $vgpr0_vgpr1
                                        ; implicit-def: $vgpr2
                                        ; implicit-def: $vgpr6_vgpr7
	s_and_saveexec_b32 s38, vcc_lo
	s_cbranch_execz .LBB513_915
; %bb.820:
	s_and_not1_b32 vcc_lo, exec_lo, s34
	s_cbranch_vccnz .LBB513_825
; %bb.821:
	v_mov_b32_e32 v2, 0
	v_mov_b32_e32 v0, 0
	s_and_not1_b32 vcc_lo, exec_lo, s40
	s_mov_b32 s40, 0
	s_cbranch_vccnz .LBB513_830
; %bb.822:
	v_mov_b32_e32 v2, 0
	s_add_i32 s48, s39, 1
	s_cmp_eq_u32 s31, 2
	s_mov_b32 s39, 0
	s_cbranch_scc1 .LBB513_826
; %bb.823:
	v_dual_mov_b32 v0, 0 :: v_dual_mov_b32 v1, v9
	v_mov_b32_e32 v2, 0
	s_and_b32 s39, s48, 28
	s_mov_b32 s49, 0
	s_mov_b64 s[2:3], s[20:21]
.LBB513_824:                            ; =>This Inner Loop Header: Depth=1
	s_clause 0x1
	s_load_b256 s[52:59], s[2:3], 0x4
	s_load_b128 s[68:71], s[2:3], 0x24
	s_load_b256 s[60:67], s[26:27], 0x0
	s_add_u32 s2, s2, 48
	s_addc_u32 s3, s3, 0
	s_add_i32 s49, s49, 4
	s_add_u32 s26, s26, 32
	s_addc_u32 s27, s27, 0
	s_cmp_eq_u32 s39, s49
	s_waitcnt vmcnt(0) lgkmcnt(0)
	v_mul_hi_u32 v3, s53, v1
	s_delay_alu instid0(VALU_DEP_1) | instskip(NEXT) | instid1(VALU_DEP_1)
	v_add_nc_u32_e32 v3, v1, v3
	v_lshrrev_b32_e32 v3, s54, v3
	s_delay_alu instid0(VALU_DEP_1) | instskip(SKIP_1) | instid1(VALU_DEP_2)
	v_mul_hi_u32 v4, s56, v3
	v_mul_lo_u32 v6, v3, s52
	v_add_nc_u32_e32 v4, v3, v4
	s_delay_alu instid0(VALU_DEP_2) | instskip(NEXT) | instid1(VALU_DEP_2)
	v_sub_nc_u32_e32 v1, v1, v6
	v_lshrrev_b32_e32 v4, s57, v4
	s_delay_alu instid0(VALU_DEP_2) | instskip(SKIP_1) | instid1(VALU_DEP_3)
	v_mul_lo_u32 v6, v1, s60
	v_mul_lo_u32 v10, v1, s61
	v_mul_hi_u32 v5, s59, v4
	s_delay_alu instid0(VALU_DEP_1) | instskip(NEXT) | instid1(VALU_DEP_1)
	v_add_nc_u32_e32 v5, v4, v5
	v_lshrrev_b32_e32 v5, s68, v5
	s_delay_alu instid0(VALU_DEP_1) | instskip(SKIP_1) | instid1(VALU_DEP_2)
	v_mul_hi_u32 v7, s70, v5
	v_mul_lo_u32 v11, v5, s58
	v_add_nc_u32_e32 v1, v5, v7
	v_mul_lo_u32 v7, v4, s55
	s_delay_alu instid0(VALU_DEP_3) | instskip(NEXT) | instid1(VALU_DEP_3)
	v_sub_nc_u32_e32 v4, v4, v11
	v_lshrrev_b32_e32 v1, s71, v1
	s_delay_alu instid0(VALU_DEP_2) | instskip(SKIP_2) | instid1(VALU_DEP_4)
	v_mul_lo_u32 v11, v4, s64
	v_mul_lo_u32 v4, v4, s65
	v_sub_nc_u32_e32 v3, v3, v7
	v_mul_lo_u32 v12, v1, s69
	s_delay_alu instid0(VALU_DEP_2) | instskip(SKIP_1) | instid1(VALU_DEP_3)
	v_mul_lo_u32 v7, v3, s62
	v_mul_lo_u32 v3, v3, s63
	v_sub_nc_u32_e32 v5, v5, v12
	s_delay_alu instid0(VALU_DEP_3) | instskip(NEXT) | instid1(VALU_DEP_2)
	v_add3_u32 v2, v6, v2, v7
	v_mul_lo_u32 v12, v5, s66
	v_mul_lo_u32 v5, v5, s67
	v_add3_u32 v0, v10, v0, v3
	s_delay_alu instid0(VALU_DEP_3) | instskip(NEXT) | instid1(VALU_DEP_2)
	v_add3_u32 v2, v11, v2, v12
	v_add3_u32 v0, v4, v0, v5
	s_cbranch_scc0 .LBB513_824
	s_branch .LBB513_827
.LBB513_825:
	s_mov_b32 s40, -1
                                        ; implicit-def: $vgpr2
                                        ; implicit-def: $vgpr0
	s_branch .LBB513_830
.LBB513_826:
	v_dual_mov_b32 v1, v9 :: v_dual_mov_b32 v0, 0
.LBB513_827:
	s_and_b32 s48, s48, 3
	s_delay_alu instid0(SALU_CYCLE_1)
	s_cmp_eq_u32 s48, 0
	s_cbranch_scc1 .LBB513_830
; %bb.828:
	s_lshl_b32 s2, s39, 3
	s_mul_i32 s26, s39, 12
	s_add_u32 s2, s2, s20
	s_addc_u32 s3, s21, 0
	s_add_u32 s2, s2, 0xc4
	s_addc_u32 s3, s3, 0
	;; [unrolled: 2-line block ×3, first 2 shown]
.LBB513_829:                            ; =>This Inner Loop Header: Depth=1
	s_clause 0x1
	s_load_b64 s[50:51], s[26:27], 0x4
	s_load_b32 s39, s[26:27], 0xc
	s_load_b64 s[52:53], s[2:3], 0x0
	s_add_u32 s26, s26, 12
	s_addc_u32 s27, s27, 0
	s_add_u32 s2, s2, 8
	s_addc_u32 s3, s3, 0
	s_add_i32 s48, s48, -1
	s_delay_alu instid0(SALU_CYCLE_1) | instskip(SKIP_2) | instid1(VALU_DEP_1)
	s_cmp_lg_u32 s48, 0
	s_waitcnt vmcnt(0) lgkmcnt(0)
	v_mul_hi_u32 v3, s51, v1
	v_add_nc_u32_e32 v3, v1, v3
	s_delay_alu instid0(VALU_DEP_1) | instskip(NEXT) | instid1(VALU_DEP_1)
	v_lshrrev_b32_e32 v6, s39, v3
	v_mul_lo_u32 v3, v6, s50
	s_delay_alu instid0(VALU_DEP_1) | instskip(NEXT) | instid1(VALU_DEP_1)
	v_sub_nc_u32_e32 v1, v1, v3
	v_mad_u64_u32 v[3:4], null, v1, s52, v[2:3]
	v_mad_u64_u32 v[4:5], null, v1, s53, v[0:1]
	s_delay_alu instid0(VALU_DEP_2) | instskip(NEXT) | instid1(VALU_DEP_2)
	v_dual_mov_b32 v1, v6 :: v_dual_mov_b32 v2, v3
	v_mov_b32_e32 v0, v4
	s_cbranch_scc1 .LBB513_829
.LBB513_830:
	s_and_not1_b32 vcc_lo, exec_lo, s40
	s_cbranch_vccnz .LBB513_833
; %bb.831:
	v_mul_hi_u32 v0, s17, v9
	s_and_not1_b32 vcc_lo, exec_lo, s37
	s_delay_alu instid0(VALU_DEP_1) | instskip(NEXT) | instid1(VALU_DEP_1)
	v_add_nc_u32_e32 v0, v9, v0
	v_lshrrev_b32_e32 v1, s18, v0
	s_delay_alu instid0(VALU_DEP_1) | instskip(NEXT) | instid1(VALU_DEP_1)
	v_mul_lo_u32 v0, v1, s16
	v_sub_nc_u32_e32 v0, v9, v0
	s_delay_alu instid0(VALU_DEP_1)
	v_mul_lo_u32 v2, v0, s12
	v_mul_lo_u32 v0, v0, s13
	s_cbranch_vccnz .LBB513_833
; %bb.832:
	s_waitcnt vmcnt(0)
	v_mul_hi_u32 v3, s24, v1
	s_delay_alu instid0(VALU_DEP_1) | instskip(NEXT) | instid1(VALU_DEP_1)
	v_add_nc_u32_e32 v3, v1, v3
	v_lshrrev_b32_e32 v3, s25, v3
	s_delay_alu instid0(VALU_DEP_1) | instskip(NEXT) | instid1(VALU_DEP_1)
	v_mul_lo_u32 v3, v3, s19
	v_sub_nc_u32_e32 v5, v1, v3
	s_delay_alu instid0(VALU_DEP_1) | instskip(SKIP_1) | instid1(VALU_DEP_2)
	v_mad_u64_u32 v[3:4], null, v5, s14, v[2:3]
	v_mad_u64_u32 v[1:2], null, v5, s15, v[0:1]
	v_mov_b32_e32 v2, v3
	s_delay_alu instid0(VALU_DEP_2)
	v_mov_b32_e32 v0, v1
.LBB513_833:
	v_cmp_gt_i16_e32 vcc_lo, 11, v8
	s_delay_alu instid0(VALU_DEP_2) | instskip(NEXT) | instid1(VALU_DEP_1)
	v_add_co_u32 v0, s2, s6, v0
	v_add_co_ci_u32_e64 v1, null, s7, 0, s2
	s_mov_b32 s2, 0
	s_cbranch_vccnz .LBB513_840
; %bb.834:
	v_cmp_lt_i16_e32 vcc_lo, 25, v8
	s_mov_b32 s7, 0
	s_cbranch_vccz .LBB513_841
; %bb.835:
	v_cmp_lt_i16_e32 vcc_lo, 28, v8
	s_cbranch_vccz .LBB513_842
; %bb.836:
	v_cmp_lt_i16_e32 vcc_lo, 43, v8
	;; [unrolled: 3-line block ×3, first 2 shown]
	s_cbranch_vccz .LBB513_846
; %bb.838:
	v_cmp_eq_u16_e32 vcc_lo, 46, v8
	s_mov_b32 s3, 0
	s_cbranch_vccz .LBB513_849
; %bb.839:
	global_load_b32 v3, v[0:1], off
	s_mov_b32 s6, 0
	s_mov_b32 s2, -1
	s_waitcnt vmcnt(0)
	v_lshlrev_b32_e32 v3, 16, v3
	s_delay_alu instid0(VALU_DEP_1)
	v_cvt_f64_f32_e32 v[6:7], v3
	s_branch .LBB513_851
.LBB513_840:
	s_mov_b32 s3, -1
	s_mov_b32 s7, 0
	s_mov_b32 s6, s28
                                        ; implicit-def: $vgpr6_vgpr7
	s_branch .LBB513_914
.LBB513_841:
	s_mov_b32 s3, -1
	s_mov_b32 s6, s28
                                        ; implicit-def: $vgpr6_vgpr7
	s_branch .LBB513_882
.LBB513_842:
	s_mov_b32 s3, -1
	s_mov_b32 s6, s28
                                        ; implicit-def: $vgpr6_vgpr7
	s_branch .LBB513_861
.LBB513_843:
	s_mov_b32 s3, -1
	s_mov_b32 s6, s28
                                        ; implicit-def: $vgpr6_vgpr7
	s_branch .LBB513_856
.LBB513_844:
	s_or_saveexec_b32 s48, s48
                                        ; implicit-def: $sgpr49
	s_delay_alu instid0(SALU_CYCLE_1)
	s_xor_b32 exec_lo, exec_lo, s48
	s_cbranch_execz .LBB513_767
.LBB513_845:
	v_add_f32_e64 v3, 0x46000000, |v2|
	s_and_not1_b32 s29, s29, exec_lo
	s_mov_b32 s49, 0
	s_delay_alu instid0(VALU_DEP_1) | instskip(NEXT) | instid1(VALU_DEP_1)
	v_and_b32_e32 v3, 0xff, v3
	v_cmp_ne_u32_e32 vcc_lo, 0, v3
	s_and_b32 s50, vcc_lo, exec_lo
	s_delay_alu instid0(SALU_CYCLE_1)
	s_or_b32 s29, s29, s50
	s_or_b32 exec_lo, exec_lo, s48
	v_mov_b32_e32 v7, s49
	s_and_saveexec_b32 s48, s29
	s_cbranch_execnz .LBB513_768
	s_branch .LBB513_769
.LBB513_846:
	s_mov_b32 s3, -1
	s_mov_b32 s6, s28
	s_branch .LBB513_850
.LBB513_847:
	s_or_saveexec_b32 s48, s48
                                        ; implicit-def: $sgpr49
	s_delay_alu instid0(SALU_CYCLE_1)
	s_xor_b32 exec_lo, exec_lo, s48
	s_cbranch_execz .LBB513_780
.LBB513_848:
	v_add_f32_e64 v3, 0x42800000, |v2|
	s_and_not1_b32 s29, s29, exec_lo
	s_mov_b32 s49, 0
	s_delay_alu instid0(VALU_DEP_1) | instskip(NEXT) | instid1(VALU_DEP_1)
	v_and_b32_e32 v3, 0xff, v3
	v_cmp_ne_u32_e32 vcc_lo, 0, v3
	s_and_b32 s50, vcc_lo, exec_lo
	s_delay_alu instid0(SALU_CYCLE_1)
	s_or_b32 s29, s29, s50
	s_or_b32 exec_lo, exec_lo, s48
	v_mov_b32_e32 v7, s49
	s_and_saveexec_b32 s48, s29
	s_cbranch_execnz .LBB513_781
	s_branch .LBB513_782
.LBB513_849:
	s_mov_b32 s6, -1
.LBB513_850:
                                        ; implicit-def: $vgpr6_vgpr7
.LBB513_851:
	s_and_b32 vcc_lo, exec_lo, s3
	s_cbranch_vccz .LBB513_855
; %bb.852:
	v_cmp_eq_u16_e32 vcc_lo, 44, v8
	s_cbranch_vccz .LBB513_854
; %bb.853:
	global_load_u8 v5, v[0:1], off
	s_mov_b32 s6, 0
	s_mov_b32 s2, -1
	s_waitcnt vmcnt(0)
	v_cmp_ne_u32_e32 vcc_lo, 0xff, v5
	v_lshlrev_b32_e32 v3, 23, v5
	s_delay_alu instid0(VALU_DEP_1) | instskip(NEXT) | instid1(VALU_DEP_1)
	v_cvt_f64_f32_e32 v[3:4], v3
	v_cndmask_b32_e32 v4, 0x7ff80000, v4, vcc_lo
	s_delay_alu instid0(VALU_DEP_2) | instskip(SKIP_1) | instid1(VALU_DEP_3)
	v_cndmask_b32_e32 v3, 0x20000000, v3, vcc_lo
	v_cmp_ne_u32_e32 vcc_lo, 0, v5
	v_cndmask_b32_e32 v7, 0x38000000, v4, vcc_lo
	s_delay_alu instid0(VALU_DEP_3)
	v_cndmask_b32_e32 v6, 0, v3, vcc_lo
	s_branch .LBB513_855
.LBB513_854:
	s_mov_b32 s6, -1
                                        ; implicit-def: $vgpr6_vgpr7
.LBB513_855:
	s_mov_b32 s3, 0
.LBB513_856:
	s_delay_alu instid0(SALU_CYCLE_1)
	s_and_b32 vcc_lo, exec_lo, s3
	s_cbranch_vccz .LBB513_860
; %bb.857:
	v_cmp_eq_u16_e32 vcc_lo, 29, v8
	s_cbranch_vccz .LBB513_859
; %bb.858:
	global_load_b64 v[3:4], v[0:1], off
	s_mov_b32 s6, 0
	s_mov_b32 s2, -1
	s_mov_b32 s3, 0
	s_waitcnt vmcnt(0)
	v_cvt_f64_u32_e32 v[4:5], v4
	v_cvt_f64_u32_e32 v[6:7], v3
	s_delay_alu instid0(VALU_DEP_2) | instskip(NEXT) | instid1(VALU_DEP_1)
	v_ldexp_f64 v[4:5], v[4:5], 32
	v_add_f64 v[6:7], v[4:5], v[6:7]
	s_branch .LBB513_861
.LBB513_859:
	s_mov_b32 s6, -1
                                        ; implicit-def: $vgpr6_vgpr7
.LBB513_860:
	s_mov_b32 s3, 0
.LBB513_861:
	s_delay_alu instid0(SALU_CYCLE_1)
	s_and_b32 vcc_lo, exec_lo, s3
	s_cbranch_vccz .LBB513_881
; %bb.862:
	v_cmp_gt_i16_e32 vcc_lo, 27, v8
	s_cbranch_vccnz .LBB513_865
; %bb.863:
	v_cmp_lt_i16_e32 vcc_lo, 27, v8
	s_cbranch_vccz .LBB513_866
; %bb.864:
	global_load_b32 v3, v[0:1], off
	s_mov_b32 s2, 0
	s_waitcnt vmcnt(0)
	v_cvt_f64_u32_e32 v[6:7], v3
	s_branch .LBB513_867
.LBB513_865:
	s_mov_b32 s2, -1
                                        ; implicit-def: $vgpr6_vgpr7
	s_branch .LBB513_870
.LBB513_866:
	s_mov_b32 s2, -1
                                        ; implicit-def: $vgpr6_vgpr7
.LBB513_867:
	s_delay_alu instid0(SALU_CYCLE_1)
	s_and_not1_b32 vcc_lo, exec_lo, s2
	s_cbranch_vccnz .LBB513_869
; %bb.868:
	global_load_u16 v3, v[0:1], off
	s_waitcnt vmcnt(0)
	v_cvt_f64_u32_e32 v[6:7], v3
.LBB513_869:
	s_mov_b32 s2, 0
.LBB513_870:
	s_delay_alu instid0(SALU_CYCLE_1)
	s_and_not1_b32 vcc_lo, exec_lo, s2
	s_cbranch_vccnz .LBB513_880
; %bb.871:
	global_load_u8 v3, v[0:1], off
	s_mov_b32 s12, 0
	s_mov_b32 s13, exec_lo
                                        ; implicit-def: $sgpr2_sgpr3
	s_waitcnt vmcnt(0)
	v_cmpx_lt_i16_e32 0x7f, v3
	s_xor_b32 s13, exec_lo, s13
	s_cbranch_execz .LBB513_875
; %bb.872:
	s_mov_b32 s14, -1
	s_mov_b32 s12, exec_lo
                                        ; implicit-def: $sgpr2_sgpr3
	v_cmpx_eq_u16_e32 0x80, v3
; %bb.873:
	s_mov_b32 s3, 0x7ff80000
	s_brev_b32 s2, 4
	s_xor_b32 s14, exec_lo, -1
; %bb.874:
	s_or_b32 exec_lo, exec_lo, s12
	s_delay_alu instid0(SALU_CYCLE_1)
	s_and_b32 s12, s14, exec_lo
.LBB513_875:
	s_or_saveexec_b32 s13, s13
	v_dual_mov_b32 v7, s3 :: v_dual_mov_b32 v6, s2
	s_xor_b32 exec_lo, exec_lo, s13
; %bb.876:
	v_cmp_ne_u16_e32 vcc_lo, 0, v3
	v_mov_b32_e32 v6, 0
	v_mov_b32_e32 v7, 0
	s_and_not1_b32 s2, s12, exec_lo
	s_and_b32 s3, vcc_lo, exec_lo
	s_delay_alu instid0(SALU_CYCLE_1)
	s_or_b32 s12, s2, s3
; %bb.877:
	s_or_b32 exec_lo, exec_lo, s13
	s_and_saveexec_b32 s2, s12
	s_cbranch_execz .LBB513_879
; %bb.878:
	v_and_b32_e32 v4, 0xffff, v3
	v_lshlrev_b32_e32 v3, 24, v3
	s_delay_alu instid0(VALU_DEP_2) | instskip(NEXT) | instid1(VALU_DEP_2)
	v_and_b32_e32 v5, 7, v4
	v_and_b32_e32 v3, 0x80000000, v3
	s_delay_alu instid0(VALU_DEP_2) | instskip(NEXT) | instid1(VALU_DEP_1)
	v_clz_i32_u32_e32 v6, v5
	v_min_u32_e32 v6, 32, v6
	s_delay_alu instid0(VALU_DEP_1) | instskip(SKIP_1) | instid1(VALU_DEP_2)
	v_subrev_nc_u32_e32 v7, 28, v6
	v_sub_nc_u32_e32 v6, 29, v6
	v_lshlrev_b32_e32 v7, v7, v4
	v_bfe_u32 v4, v4, 3, 4
	s_delay_alu instid0(VALU_DEP_2) | instskip(NEXT) | instid1(VALU_DEP_2)
	v_and_b32_e32 v7, 7, v7
	v_cmp_eq_u32_e32 vcc_lo, 0, v4
	s_delay_alu instid0(VALU_DEP_2) | instskip(NEXT) | instid1(VALU_DEP_1)
	v_dual_cndmask_b32 v4, v4, v6 :: v_dual_cndmask_b32 v5, v5, v7
	v_lshl_add_u32 v4, v4, 23, 0x3b800000
	s_delay_alu instid0(VALU_DEP_2) | instskip(NEXT) | instid1(VALU_DEP_1)
	v_lshlrev_b32_e32 v5, 20, v5
	v_or3_b32 v3, v3, v4, v5
	s_delay_alu instid0(VALU_DEP_1)
	v_cvt_f64_f32_e32 v[6:7], v3
.LBB513_879:
	s_or_b32 exec_lo, exec_lo, s2
.LBB513_880:
	s_mov_b32 s2, -1
.LBB513_881:
	s_mov_b32 s3, 0
.LBB513_882:
	s_delay_alu instid0(SALU_CYCLE_1)
	s_and_b32 vcc_lo, exec_lo, s3
	s_cbranch_vccz .LBB513_913
; %bb.883:
	v_cmp_lt_i16_e32 vcc_lo, 22, v8
	s_cbranch_vccz .LBB513_895
; %bb.884:
	v_cmp_gt_i16_e32 vcc_lo, 24, v8
	s_cbranch_vccnz .LBB513_896
; %bb.885:
	v_cmp_lt_i16_e32 vcc_lo, 24, v8
	s_cbranch_vccz .LBB513_897
; %bb.886:
	global_load_u8 v3, v[0:1], off
	s_mov_b32 s12, exec_lo
                                        ; implicit-def: $sgpr2_sgpr3
	s_waitcnt vmcnt(0)
	v_cmpx_lt_i16_e32 0x7f, v3
	s_xor_b32 s12, exec_lo, s12
	s_cbranch_execz .LBB513_890
; %bb.887:
	s_mov_b32 s13, -1
	s_mov_b32 s7, exec_lo
                                        ; implicit-def: $sgpr2_sgpr3
	v_cmpx_eq_u16_e32 0x80, v3
; %bb.888:
	s_mov_b32 s3, 0x7ff80000
	s_brev_b32 s2, 4
	s_xor_b32 s13, exec_lo, -1
; %bb.889:
	s_or_b32 exec_lo, exec_lo, s7
	s_delay_alu instid0(SALU_CYCLE_1)
	s_and_b32 s7, s13, exec_lo
.LBB513_890:
	s_or_saveexec_b32 s12, s12
	v_dual_mov_b32 v7, s3 :: v_dual_mov_b32 v6, s2
	s_xor_b32 exec_lo, exec_lo, s12
; %bb.891:
	v_cmp_ne_u16_e32 vcc_lo, 0, v3
	v_mov_b32_e32 v6, 0
	v_mov_b32_e32 v7, 0
	s_and_not1_b32 s2, s7, exec_lo
	s_and_b32 s3, vcc_lo, exec_lo
	s_delay_alu instid0(SALU_CYCLE_1)
	s_or_b32 s7, s2, s3
; %bb.892:
	s_or_b32 exec_lo, exec_lo, s12
	s_and_saveexec_b32 s2, s7
	s_cbranch_execz .LBB513_894
; %bb.893:
	v_and_b32_e32 v4, 0xffff, v3
	v_lshlrev_b32_e32 v3, 24, v3
	s_delay_alu instid0(VALU_DEP_2) | instskip(NEXT) | instid1(VALU_DEP_2)
	v_and_b32_e32 v5, 3, v4
	v_and_b32_e32 v3, 0x80000000, v3
	s_delay_alu instid0(VALU_DEP_2) | instskip(NEXT) | instid1(VALU_DEP_1)
	v_clz_i32_u32_e32 v6, v5
	v_min_u32_e32 v6, 32, v6
	s_delay_alu instid0(VALU_DEP_1) | instskip(SKIP_1) | instid1(VALU_DEP_2)
	v_subrev_nc_u32_e32 v7, 29, v6
	v_sub_nc_u32_e32 v6, 30, v6
	v_lshlrev_b32_e32 v7, v7, v4
	v_bfe_u32 v4, v4, 2, 5
	s_delay_alu instid0(VALU_DEP_2) | instskip(NEXT) | instid1(VALU_DEP_2)
	v_and_b32_e32 v7, 3, v7
	v_cmp_eq_u32_e32 vcc_lo, 0, v4
	s_delay_alu instid0(VALU_DEP_2) | instskip(NEXT) | instid1(VALU_DEP_1)
	v_dual_cndmask_b32 v4, v4, v6 :: v_dual_cndmask_b32 v5, v5, v7
	v_lshl_add_u32 v4, v4, 23, 0x37800000
	s_delay_alu instid0(VALU_DEP_2) | instskip(NEXT) | instid1(VALU_DEP_1)
	v_lshlrev_b32_e32 v5, 21, v5
	v_or3_b32 v3, v3, v4, v5
	s_delay_alu instid0(VALU_DEP_1)
	v_cvt_f64_f32_e32 v[6:7], v3
.LBB513_894:
	s_or_b32 exec_lo, exec_lo, s2
	s_mov_b32 s2, 0
	s_branch .LBB513_898
.LBB513_895:
	s_mov_b32 s3, -1
                                        ; implicit-def: $vgpr6_vgpr7
	s_branch .LBB513_904
.LBB513_896:
	s_mov_b32 s2, -1
                                        ; implicit-def: $vgpr6_vgpr7
	s_branch .LBB513_901
.LBB513_897:
	s_mov_b32 s2, -1
                                        ; implicit-def: $vgpr6_vgpr7
.LBB513_898:
	s_delay_alu instid0(SALU_CYCLE_1)
	s_and_b32 vcc_lo, exec_lo, s2
	s_cbranch_vccz .LBB513_900
; %bb.899:
	global_load_u8 v3, v[0:1], off
	s_waitcnt vmcnt(0)
	v_lshlrev_b32_e32 v3, 24, v3
	s_delay_alu instid0(VALU_DEP_1) | instskip(NEXT) | instid1(VALU_DEP_1)
	v_and_b32_e32 v4, 0x7f000000, v3
	v_clz_i32_u32_e32 v5, v4
	v_add_nc_u32_e32 v7, 0x1000000, v4
	v_cmp_ne_u32_e32 vcc_lo, 0, v4
	s_delay_alu instid0(VALU_DEP_3) | instskip(NEXT) | instid1(VALU_DEP_1)
	v_min_u32_e32 v5, 32, v5
	v_sub_nc_u32_e64 v5, v5, 4 clamp
	s_delay_alu instid0(VALU_DEP_1) | instskip(SKIP_1) | instid1(VALU_DEP_2)
	v_lshlrev_b32_e32 v6, v5, v4
	v_lshlrev_b32_e32 v5, 23, v5
	v_lshrrev_b32_e32 v6, 4, v6
	s_delay_alu instid0(VALU_DEP_1) | instskip(SKIP_1) | instid1(VALU_DEP_2)
	v_sub_nc_u32_e32 v5, v6, v5
	v_ashrrev_i32_e32 v6, 8, v7
	v_add_nc_u32_e32 v5, 0x3c000000, v5
	s_delay_alu instid0(VALU_DEP_1) | instskip(NEXT) | instid1(VALU_DEP_1)
	v_and_or_b32 v5, 0x7f800000, v6, v5
	v_cndmask_b32_e32 v4, 0, v5, vcc_lo
	s_delay_alu instid0(VALU_DEP_1) | instskip(NEXT) | instid1(VALU_DEP_1)
	v_and_or_b32 v3, 0x80000000, v3, v4
	v_cvt_f64_f32_e32 v[6:7], v3
.LBB513_900:
	s_mov_b32 s2, 0
.LBB513_901:
	s_delay_alu instid0(SALU_CYCLE_1)
	s_and_not1_b32 vcc_lo, exec_lo, s2
	s_cbranch_vccnz .LBB513_903
; %bb.902:
	global_load_u8 v3, v[0:1], off
	s_waitcnt vmcnt(0)
	v_lshlrev_b32_e32 v4, 25, v3
	v_lshlrev_b16 v3, 8, v3
	s_delay_alu instid0(VALU_DEP_2) | instskip(NEXT) | instid1(VALU_DEP_2)
	v_lshrrev_b32_e32 v5, 4, v4
	v_and_or_b32 v6, 0x7f00, v3, 0.5
	v_bfe_i32 v3, v3, 0, 16
	s_delay_alu instid0(VALU_DEP_3) | instskip(NEXT) | instid1(VALU_DEP_1)
	v_or_b32_e32 v5, 0x70000000, v5
	v_dual_add_f32 v6, -0.5, v6 :: v_dual_mul_f32 v5, 0x7800000, v5
	v_cmp_gt_u32_e32 vcc_lo, 0x8000000, v4
	s_delay_alu instid0(VALU_DEP_2) | instskip(NEXT) | instid1(VALU_DEP_1)
	v_cndmask_b32_e32 v4, v5, v6, vcc_lo
	v_and_or_b32 v3, 0x80000000, v3, v4
	s_delay_alu instid0(VALU_DEP_1)
	v_cvt_f64_f32_e32 v[6:7], v3
.LBB513_903:
	s_mov_b32 s3, 0
	s_mov_b32 s2, -1
.LBB513_904:
	s_and_not1_b32 vcc_lo, exec_lo, s3
	s_mov_b32 s7, 0
	s_cbranch_vccnz .LBB513_913
; %bb.905:
	v_cmp_lt_i16_e32 vcc_lo, 14, v8
	s_cbranch_vccz .LBB513_908
; %bb.906:
	v_cmp_eq_u16_e32 vcc_lo, 15, v8
	s_cbranch_vccz .LBB513_909
; %bb.907:
	global_load_u16 v3, v[0:1], off
	s_mov_b32 s6, 0
	s_mov_b32 s2, -1
	s_waitcnt vmcnt(0)
	v_lshlrev_b32_e32 v3, 16, v3
	s_delay_alu instid0(VALU_DEP_1)
	v_cvt_f64_f32_e32 v[6:7], v3
	s_branch .LBB513_910
.LBB513_908:
	s_mov_b32 s3, -1
                                        ; implicit-def: $vgpr6_vgpr7
	s_branch .LBB513_911
.LBB513_909:
	s_mov_b32 s6, -1
                                        ; implicit-def: $vgpr6_vgpr7
.LBB513_910:
	s_mov_b32 s3, 0
.LBB513_911:
	s_delay_alu instid0(SALU_CYCLE_1)
	s_and_b32 vcc_lo, exec_lo, s3
	s_cbranch_vccz .LBB513_913
; %bb.912:
	v_cmp_ne_u16_e32 vcc_lo, 11, v8
	s_and_not1_b32 s3, s6, exec_lo
	s_mov_b32 s7, -1
                                        ; implicit-def: $vgpr6_vgpr7
	s_and_b32 s6, vcc_lo, exec_lo
	s_delay_alu instid0(SALU_CYCLE_1)
	s_or_b32 s6, s3, s6
.LBB513_913:
	s_mov_b32 s3, 0
.LBB513_914:
	s_and_not1_b32 s12, s28, exec_lo
	s_and_b32 s6, s6, exec_lo
	s_and_b32 s48, s2, exec_lo
	s_and_b32 s3, s3, exec_lo
	s_and_b32 s2, s7, exec_lo
	s_or_b32 s49, s12, s6
.LBB513_915:
	s_or_b32 exec_lo, exec_lo, s38
	s_delay_alu instid0(SALU_CYCLE_1)
	s_and_not1_b32 s6, s28, exec_lo
	s_and_b32 s7, s49, exec_lo
	s_and_b32 s48, s48, exec_lo
	;; [unrolled: 1-line block ×4, first 2 shown]
	s_or_b32 s28, s6, s7
.LBB513_916:
	s_or_b32 exec_lo, exec_lo, s47
	s_delay_alu instid0(SALU_CYCLE_1)
	s_and_not1_b32 s6, s45, exec_lo
	s_and_b32 s7, s29, exec_lo
	s_and_b32 s47, s48, exec_lo
	s_or_b32 s45, s6, s7
	s_and_not1_b32 s6, s44, exec_lo
	s_and_b32 s7, s28, exec_lo
	s_and_b32 s29, s3, exec_lo
	s_and_b32 s3, s2, exec_lo
	s_or_b32 s44, s6, s7
.LBB513_917:
	s_or_b32 exec_lo, exec_lo, s46
	s_delay_alu instid0(SALU_CYCLE_1)
	s_and_not1_b32 s2, s41, exec_lo
	s_and_b32 s6, s45, exec_lo
	s_and_b32 s7, s44, exec_lo
	s_or_b32 s41, s2, s6
	s_and_not1_b32 s6, s42, exec_lo
	s_and_b32 s2, s47, exec_lo
	s_and_b32 s28, s29, exec_lo
	;; [unrolled: 1-line block ×3, first 2 shown]
	s_or_b32 s42, s6, s7
.LBB513_918:
	s_or_b32 exec_lo, exec_lo, s43
	s_mov_b32 s3, 0
	s_and_saveexec_b32 s6, s42
	s_cbranch_execnz .LBB513_930
; %bb.919:
	s_or_b32 exec_lo, exec_lo, s6
	s_and_saveexec_b32 s6, s44
	s_delay_alu instid0(SALU_CYCLE_1)
	s_xor_b32 s6, exec_lo, s6
	s_cbranch_execz .LBB513_921
.LBB513_920:
	global_load_u8 v3, v[0:1], off
	v_mov_b32_e32 v6, 0
	s_or_b32 s2, s2, exec_lo
	s_waitcnt vmcnt(0)
	v_cmp_ne_u16_e32 vcc_lo, 0, v3
	v_cndmask_b32_e64 v7, 0, 0x3ff00000, vcc_lo
.LBB513_921:
	s_or_b32 exec_lo, exec_lo, s6
	s_and_saveexec_b32 s6, s28
	s_cbranch_execz .LBB513_969
; %bb.922:
	v_cmp_gt_i16_e32 vcc_lo, 5, v8
	s_cbranch_vccnz .LBB513_927
; %bb.923:
	v_cmp_gt_i16_e32 vcc_lo, 8, v8
	s_cbranch_vccnz .LBB513_928
	;; [unrolled: 3-line block ×3, first 2 shown]
; %bb.925:
	v_cmp_lt_i16_e32 vcc_lo, 9, v8
	s_cbranch_vccz .LBB513_932
; %bb.926:
	global_load_b64 v[6:7], v[0:1], off
	s_mov_b32 s7, 0
	s_branch .LBB513_933
.LBB513_927:
                                        ; implicit-def: $vgpr6_vgpr7
	s_branch .LBB513_950
.LBB513_928:
                                        ; implicit-def: $vgpr6_vgpr7
	s_branch .LBB513_939
.LBB513_929:
	s_mov_b32 s7, -1
                                        ; implicit-def: $vgpr6_vgpr7
	s_branch .LBB513_936
.LBB513_930:
	s_cbranch_execnz .LBB513_1204
; %bb.931:
	s_mov_b32 s3, exec_lo
	s_and_not1_b32 s44, s44, exec_lo
                                        ; implicit-def: $vgpr6_vgpr7
	s_or_b32 exec_lo, exec_lo, s6
	s_and_saveexec_b32 s6, s44
	s_delay_alu instid0(SALU_CYCLE_1)
	s_xor_b32 s6, exec_lo, s6
	s_cbranch_execnz .LBB513_920
	s_branch .LBB513_921
.LBB513_932:
	s_mov_b32 s7, -1
                                        ; implicit-def: $vgpr6_vgpr7
.LBB513_933:
	s_delay_alu instid0(SALU_CYCLE_1)
	s_and_not1_b32 vcc_lo, exec_lo, s7
	s_cbranch_vccnz .LBB513_935
; %bb.934:
	global_load_b32 v3, v[0:1], off
	s_waitcnt vmcnt(0)
	v_cvt_f64_f32_e32 v[6:7], v3
.LBB513_935:
	s_mov_b32 s7, 0
.LBB513_936:
	s_delay_alu instid0(SALU_CYCLE_1)
	s_and_not1_b32 vcc_lo, exec_lo, s7
	s_cbranch_vccnz .LBB513_938
; %bb.937:
	global_load_b32 v3, v[0:1], off
	s_waitcnt vmcnt(0)
	v_cvt_f32_f16_e32 v3, v3
	s_delay_alu instid0(VALU_DEP_1)
	v_cvt_f64_f32_e32 v[6:7], v3
.LBB513_938:
	s_cbranch_execnz .LBB513_949
.LBB513_939:
	v_cmp_gt_i16_e32 vcc_lo, 6, v8
	s_cbranch_vccnz .LBB513_942
; %bb.940:
	v_cmp_lt_i16_e32 vcc_lo, 6, v8
	s_cbranch_vccz .LBB513_943
; %bb.941:
	global_load_b64 v[6:7], v[0:1], off
	s_mov_b32 s7, 0
	s_branch .LBB513_944
.LBB513_942:
	s_mov_b32 s7, -1
                                        ; implicit-def: $vgpr6_vgpr7
	s_branch .LBB513_947
.LBB513_943:
	s_mov_b32 s7, -1
                                        ; implicit-def: $vgpr6_vgpr7
.LBB513_944:
	s_delay_alu instid0(SALU_CYCLE_1)
	s_and_not1_b32 vcc_lo, exec_lo, s7
	s_cbranch_vccnz .LBB513_946
; %bb.945:
	global_load_b32 v3, v[0:1], off
	s_waitcnt vmcnt(0)
	v_cvt_f64_f32_e32 v[6:7], v3
.LBB513_946:
	s_mov_b32 s7, 0
.LBB513_947:
	s_delay_alu instid0(SALU_CYCLE_1)
	s_and_not1_b32 vcc_lo, exec_lo, s7
	s_cbranch_vccnz .LBB513_949
; %bb.948:
	global_load_u16 v3, v[0:1], off
	s_waitcnt vmcnt(0)
	v_cvt_f32_f16_e32 v3, v3
	s_delay_alu instid0(VALU_DEP_1)
	v_cvt_f64_f32_e32 v[6:7], v3
.LBB513_949:
	s_cbranch_execnz .LBB513_968
.LBB513_950:
	v_cmp_gt_i16_e32 vcc_lo, 2, v8
	s_cbranch_vccnz .LBB513_954
; %bb.951:
	v_cmp_gt_i16_e32 vcc_lo, 3, v8
	s_cbranch_vccnz .LBB513_955
; %bb.952:
	v_cmp_lt_i16_e32 vcc_lo, 3, v8
	s_cbranch_vccz .LBB513_956
; %bb.953:
	global_load_b64 v[3:4], v[0:1], off
	s_mov_b32 s7, 0
	s_waitcnt vmcnt(0)
	v_cvt_f64_i32_e32 v[4:5], v4
	v_cvt_f64_u32_e32 v[6:7], v3
	s_delay_alu instid0(VALU_DEP_2) | instskip(NEXT) | instid1(VALU_DEP_1)
	v_ldexp_f64 v[4:5], v[4:5], 32
	v_add_f64 v[6:7], v[4:5], v[6:7]
	s_branch .LBB513_957
.LBB513_954:
                                        ; implicit-def: $vgpr6_vgpr7
	s_branch .LBB513_963
.LBB513_955:
	s_mov_b32 s7, -1
                                        ; implicit-def: $vgpr6_vgpr7
	s_branch .LBB513_960
.LBB513_956:
	s_mov_b32 s7, -1
                                        ; implicit-def: $vgpr6_vgpr7
.LBB513_957:
	s_delay_alu instid0(SALU_CYCLE_1)
	s_and_not1_b32 vcc_lo, exec_lo, s7
	s_cbranch_vccnz .LBB513_959
; %bb.958:
	global_load_b32 v3, v[0:1], off
	s_waitcnt vmcnt(0)
	v_cvt_f64_i32_e32 v[6:7], v3
.LBB513_959:
	s_mov_b32 s7, 0
.LBB513_960:
	s_delay_alu instid0(SALU_CYCLE_1)
	s_and_not1_b32 vcc_lo, exec_lo, s7
	s_cbranch_vccnz .LBB513_962
; %bb.961:
	global_load_i16 v3, v[0:1], off
	s_waitcnt vmcnt(0)
	v_cvt_f64_i32_e32 v[6:7], v3
.LBB513_962:
	s_cbranch_execnz .LBB513_968
.LBB513_963:
	v_cmp_lt_i16_e32 vcc_lo, 0, v8
	s_mov_b32 s7, 0
	s_cbranch_vccz .LBB513_965
; %bb.964:
	global_load_i8 v3, v[0:1], off
	s_waitcnt vmcnt(0)
	v_cvt_f64_i32_e32 v[6:7], v3
	s_branch .LBB513_966
.LBB513_965:
	s_mov_b32 s7, -1
                                        ; implicit-def: $vgpr6_vgpr7
.LBB513_966:
	s_delay_alu instid0(SALU_CYCLE_1)
	s_and_not1_b32 vcc_lo, exec_lo, s7
	s_cbranch_vccnz .LBB513_968
; %bb.967:
	global_load_u8 v0, v[0:1], off
	s_waitcnt vmcnt(0)
	v_cvt_f64_u32_e32 v[6:7], v0
.LBB513_968:
	s_or_b32 s2, s2, exec_lo
.LBB513_969:
	s_or_b32 exec_lo, exec_lo, s6
	s_mov_b32 s12, 0
	s_mov_b32 s7, 0
                                        ; implicit-def: $vgpr8
                                        ; implicit-def: $vgpr4_vgpr5
                                        ; implicit-def: $vgpr0_vgpr1
	s_and_saveexec_b32 s6, s2
	s_cbranch_execz .LBB513_1050
; %bb.970:
	v_dual_mov_b32 v0, s8 :: v_dual_mov_b32 v1, s9
	s_mov_b32 s2, exec_lo
	s_waitcnt vmcnt(0)
	s_delay_alu instid0(VALU_DEP_2)
	v_cmpx_o_f64_e32 v[6:7], v[6:7]
	s_cbranch_execz .LBB513_974
; %bb.971:
	v_dual_mov_b32 v0, s10 :: v_dual_mov_b32 v1, s11
	s_mov_b32 s7, exec_lo
	v_cmpx_neq_f64_e32 0x7ff00000, v[6:7]
; %bb.972:
	v_cmp_eq_f64_e32 vcc_lo, 0xfff00000, v[6:7]
	v_cndmask_b32_e64 v1, v7, s23, vcc_lo
	v_cndmask_b32_e64 v0, v6, s22, vcc_lo
; %bb.973:
	s_or_b32 exec_lo, exec_lo, s7
.LBB513_974:
	s_delay_alu instid0(SALU_CYCLE_1) | instskip(SKIP_2) | instid1(VALU_DEP_1)
	s_or_b32 exec_lo, exec_lo, s2
	v_and_b32_e64 v8, 0xff, s36
	v_add_co_u32 v4, s2, s4, v2
	v_add_co_ci_u32_e64 v5, null, s5, 0, s2
	s_delay_alu instid0(VALU_DEP_3)
	v_cmp_gt_i16_e32 vcc_lo, 11, v8
	s_mov_b32 s8, 0
	s_mov_b32 s4, -1
	s_mov_b32 s2, s41
	s_cbranch_vccnz .LBB513_1049
; %bb.975:
	v_cmp_lt_i16_e32 vcc_lo, 25, v8
	s_mov_b32 s2, s41
	s_cbranch_vccz .LBB513_1008
; %bb.976:
	v_cmp_lt_i16_e32 vcc_lo, 28, v8
	s_mov_b32 s2, s41
	s_cbranch_vccz .LBB513_992
	;; [unrolled: 4-line block ×4, first 2 shown]
; %bb.979:
	v_cmp_eq_u16_e32 vcc_lo, 46, v8
	s_mov_b32 s2, -1
	s_cbranch_vccz .LBB513_981
; %bb.980:
	v_cvt_f32_f64_e32 v2, v[0:1]
	s_mov_b32 s2, 0
	s_delay_alu instid0(VALU_DEP_1) | instskip(SKIP_1) | instid1(VALU_DEP_2)
	v_bfe_u32 v3, v2, 16, 1
	v_cmp_o_f32_e32 vcc_lo, v2, v2
	v_add3_u32 v3, v2, v3, 0x7fff
	s_delay_alu instid0(VALU_DEP_1) | instskip(NEXT) | instid1(VALU_DEP_1)
	v_lshrrev_b32_e32 v3, 16, v3
	v_cndmask_b32_e32 v2, 0x7fc0, v3, vcc_lo
	global_store_b32 v[4:5], v2, off
.LBB513_981:
	s_mov_b32 s4, 0
.LBB513_982:
	s_delay_alu instid0(SALU_CYCLE_1)
	s_and_b32 vcc_lo, exec_lo, s4
	s_cbranch_vccz .LBB513_987
; %bb.983:
	v_cmp_eq_u16_e32 vcc_lo, 44, v8
	s_mov_b32 s2, -1
	s_cbranch_vccz .LBB513_987
; %bb.984:
	v_cvt_f32_f64_e32 v2, v[0:1]
	v_mov_b32_e32 v3, 0xff
	s_mov_b32 s4, exec_lo
	s_delay_alu instid0(VALU_DEP_2) | instskip(NEXT) | instid1(VALU_DEP_1)
	v_bfe_u32 v6, v2, 23, 8
	v_cmpx_ne_u32_e32 0xff, v6
; %bb.985:
	v_and_b32_e32 v3, 0x400000, v2
	v_and_or_b32 v6, 0x3fffff, v2, v6
	v_lshrrev_b32_e32 v2, 23, v2
	s_delay_alu instid0(VALU_DEP_3) | instskip(NEXT) | instid1(VALU_DEP_3)
	v_cmp_ne_u32_e32 vcc_lo, 0, v3
	v_cmp_ne_u32_e64 s2, 0, v6
	s_delay_alu instid0(VALU_DEP_1) | instskip(NEXT) | instid1(SALU_CYCLE_1)
	s_and_b32 s2, vcc_lo, s2
	v_cndmask_b32_e64 v3, 0, 1, s2
	s_delay_alu instid0(VALU_DEP_1)
	v_add_nc_u32_e32 v3, v2, v3
; %bb.986:
	s_or_b32 exec_lo, exec_lo, s4
	s_mov_b32 s2, 0
	global_store_b8 v[4:5], v3, off
.LBB513_987:
	s_mov_b32 s4, 0
.LBB513_988:
	s_delay_alu instid0(SALU_CYCLE_1)
	s_and_b32 vcc_lo, exec_lo, s4
	s_cbranch_vccz .LBB513_991
; %bb.989:
	v_cmp_eq_u16_e32 vcc_lo, 29, v8
	s_mov_b32 s2, -1
	s_cbranch_vccz .LBB513_991
; %bb.990:
	v_trunc_f64_e32 v[2:3], v[0:1]
	s_mov_b32 s2, 0
	s_delay_alu instid0(VALU_DEP_1) | instskip(NEXT) | instid1(VALU_DEP_1)
	v_ldexp_f64 v[6:7], v[2:3], 0xffffffe0
	v_floor_f64_e32 v[6:7], v[6:7]
	s_delay_alu instid0(VALU_DEP_1) | instskip(SKIP_1) | instid1(VALU_DEP_2)
	v_fma_f64 v[2:3], 0xc1f00000, v[6:7], v[2:3]
	v_cvt_u32_f64_e32 v7, v[6:7]
	v_cvt_u32_f64_e32 v6, v[2:3]
	global_store_b64 v[4:5], v[6:7], off
.LBB513_991:
	s_mov_b32 s4, 0
.LBB513_992:
	s_delay_alu instid0(SALU_CYCLE_1)
	s_and_b32 vcc_lo, exec_lo, s4
	s_cbranch_vccz .LBB513_1007
; %bb.993:
	v_cmp_gt_i16_e32 vcc_lo, 27, v8
	s_mov_b32 s4, -1
	s_cbranch_vccnz .LBB513_999
; %bb.994:
	v_cvt_u32_f64_e32 v2, v[0:1]
	v_cmp_lt_i16_e32 vcc_lo, 27, v8
	s_cbranch_vccz .LBB513_996
; %bb.995:
	s_mov_b32 s4, 0
	global_store_b32 v[4:5], v2, off
.LBB513_996:
	s_and_not1_b32 vcc_lo, exec_lo, s4
	s_cbranch_vccnz .LBB513_998
; %bb.997:
	global_store_b16 v[4:5], v2, off
.LBB513_998:
	s_mov_b32 s4, 0
.LBB513_999:
	s_delay_alu instid0(SALU_CYCLE_1)
	s_and_not1_b32 vcc_lo, exec_lo, s4
	s_cbranch_vccnz .LBB513_1007
; %bb.1000:
	v_cvt_f32_f64_e32 v2, v[0:1]
	v_mov_b32_e32 v6, 0x80
	s_mov_b32 s4, exec_lo
	s_delay_alu instid0(VALU_DEP_2) | instskip(NEXT) | instid1(VALU_DEP_1)
	v_and_b32_e32 v3, 0x7fffffff, v2
	v_cmpx_gt_u32_e32 0x43800000, v3
	s_cbranch_execz .LBB513_1006
; %bb.1001:
	v_cmp_lt_u32_e32 vcc_lo, 0x3bffffff, v3
	s_mov_b32 s5, 0
                                        ; implicit-def: $vgpr3
	s_and_saveexec_b32 s7, vcc_lo
	s_delay_alu instid0(SALU_CYCLE_1)
	s_xor_b32 s7, exec_lo, s7
	s_cbranch_execz .LBB513_1299
; %bb.1002:
	v_bfe_u32 v3, v2, 20, 1
	s_mov_b32 s5, exec_lo
	s_delay_alu instid0(VALU_DEP_1) | instskip(NEXT) | instid1(VALU_DEP_1)
	v_add3_u32 v3, v2, v3, 0x487ffff
	v_lshrrev_b32_e32 v3, 20, v3
	s_or_saveexec_b32 s7, s7
                                        ; implicit-def: $sgpr8
	s_delay_alu instid0(SALU_CYCLE_1)
	s_xor_b32 exec_lo, exec_lo, s7
	s_cbranch_execnz .LBB513_1300
.LBB513_1003:
	s_or_b32 exec_lo, exec_lo, s7
	v_mov_b32_e32 v6, s8
	s_and_saveexec_b32 s7, s5
.LBB513_1004:
	v_lshrrev_b32_e32 v2, 24, v2
	s_delay_alu instid0(VALU_DEP_1)
	v_and_or_b32 v6, 0x80, v2, v3
.LBB513_1005:
	s_or_b32 exec_lo, exec_lo, s7
.LBB513_1006:
	s_delay_alu instid0(SALU_CYCLE_1)
	s_or_b32 exec_lo, exec_lo, s4
	global_store_b8 v[4:5], v6, off
.LBB513_1007:
	s_mov_b32 s4, 0
.LBB513_1008:
	s_delay_alu instid0(SALU_CYCLE_1)
	s_and_b32 vcc_lo, exec_lo, s4
	s_mov_b32 s4, 0
	s_cbranch_vccz .LBB513_1048
; %bb.1009:
	v_cmp_lt_i16_e32 vcc_lo, 22, v8
	s_mov_b32 s5, -1
	s_cbranch_vccz .LBB513_1041
; %bb.1010:
	v_cmp_gt_i16_e32 vcc_lo, 24, v8
	s_cbranch_vccnz .LBB513_1030
; %bb.1011:
	v_cmp_lt_i16_e32 vcc_lo, 24, v8
	s_cbranch_vccz .LBB513_1019
; %bb.1012:
	v_cvt_f32_f64_e32 v2, v[0:1]
	v_mov_b32_e32 v6, 0x80
	s_mov_b32 s5, exec_lo
	s_delay_alu instid0(VALU_DEP_2) | instskip(NEXT) | instid1(VALU_DEP_1)
	v_and_b32_e32 v3, 0x7fffffff, v2
	v_cmpx_gt_u32_e32 0x47800000, v3
	s_cbranch_execz .LBB513_1018
; %bb.1013:
	v_cmp_lt_u32_e32 vcc_lo, 0x37ffffff, v3
	s_mov_b32 s7, 0
                                        ; implicit-def: $vgpr3
	s_and_saveexec_b32 s8, vcc_lo
	s_delay_alu instid0(SALU_CYCLE_1)
	s_xor_b32 s8, exec_lo, s8
	s_cbranch_execz .LBB513_1343
; %bb.1014:
	v_bfe_u32 v3, v2, 21, 1
	s_mov_b32 s7, exec_lo
	s_delay_alu instid0(VALU_DEP_1) | instskip(NEXT) | instid1(VALU_DEP_1)
	v_add3_u32 v3, v2, v3, 0x88fffff
	v_lshrrev_b32_e32 v3, 21, v3
	s_or_saveexec_b32 s8, s8
                                        ; implicit-def: $sgpr9
	s_delay_alu instid0(SALU_CYCLE_1)
	s_xor_b32 exec_lo, exec_lo, s8
	s_cbranch_execnz .LBB513_1344
.LBB513_1015:
	s_or_b32 exec_lo, exec_lo, s8
	v_mov_b32_e32 v6, s9
	s_and_saveexec_b32 s8, s7
.LBB513_1016:
	v_lshrrev_b32_e32 v2, 24, v2
	s_delay_alu instid0(VALU_DEP_1)
	v_and_or_b32 v6, 0x80, v2, v3
.LBB513_1017:
	s_or_b32 exec_lo, exec_lo, s8
.LBB513_1018:
	s_delay_alu instid0(SALU_CYCLE_1)
	s_or_b32 exec_lo, exec_lo, s5
	s_mov_b32 s5, 0
	global_store_b8 v[4:5], v6, off
.LBB513_1019:
	s_and_b32 vcc_lo, exec_lo, s5
	s_cbranch_vccz .LBB513_1029
; %bb.1020:
	v_cvt_f32_f64_e32 v2, v[0:1]
	s_mov_b32 s5, exec_lo
                                        ; implicit-def: $vgpr3
	s_delay_alu instid0(VALU_DEP_1) | instskip(NEXT) | instid1(VALU_DEP_1)
	v_and_b32_e32 v6, 0x7fffffff, v2
	v_cmpx_gt_u32_e32 0x43f00000, v6
	s_xor_b32 s5, exec_lo, s5
	s_cbranch_execz .LBB513_1026
; %bb.1021:
	s_mov_b32 s7, exec_lo
                                        ; implicit-def: $vgpr3
	v_cmpx_lt_u32_e32 0x3c7fffff, v6
	s_xor_b32 s7, exec_lo, s7
; %bb.1022:
	v_bfe_u32 v3, v2, 20, 1
	s_delay_alu instid0(VALU_DEP_1) | instskip(NEXT) | instid1(VALU_DEP_1)
	v_add3_u32 v3, v2, v3, 0x407ffff
	v_and_b32_e32 v6, 0xff00000, v3
	v_lshrrev_b32_e32 v3, 20, v3
	s_delay_alu instid0(VALU_DEP_2) | instskip(NEXT) | instid1(VALU_DEP_2)
	v_cmp_ne_u32_e32 vcc_lo, 0x7f00000, v6
	v_cndmask_b32_e32 v3, 0x7e, v3, vcc_lo
; %bb.1023:
	s_and_not1_saveexec_b32 s7, s7
; %bb.1024:
	v_add_f32_e64 v3, 0x46800000, |v2|
; %bb.1025:
	s_or_b32 exec_lo, exec_lo, s7
                                        ; implicit-def: $vgpr6
.LBB513_1026:
	s_and_not1_saveexec_b32 s5, s5
; %bb.1027:
	v_mov_b32_e32 v3, 0x7f
	v_cmp_lt_u32_e32 vcc_lo, 0x7f800000, v6
	s_delay_alu instid0(VALU_DEP_2)
	v_cndmask_b32_e32 v3, 0x7e, v3, vcc_lo
; %bb.1028:
	s_or_b32 exec_lo, exec_lo, s5
	v_lshrrev_b32_e32 v2, 24, v2
	s_delay_alu instid0(VALU_DEP_1)
	v_and_or_b32 v2, 0x80, v2, v3
	global_store_b8 v[4:5], v2, off
.LBB513_1029:
	s_mov_b32 s5, 0
.LBB513_1030:
	s_delay_alu instid0(SALU_CYCLE_1)
	s_and_not1_b32 vcc_lo, exec_lo, s5
	s_cbranch_vccnz .LBB513_1040
; %bb.1031:
	v_cvt_f32_f64_e32 v2, v[0:1]
	s_mov_b32 s5, exec_lo
                                        ; implicit-def: $vgpr3
	s_delay_alu instid0(VALU_DEP_1) | instskip(NEXT) | instid1(VALU_DEP_1)
	v_and_b32_e32 v6, 0x7fffffff, v2
	v_cmpx_gt_u32_e32 0x47800000, v6
	s_xor_b32 s5, exec_lo, s5
	s_cbranch_execz .LBB513_1037
; %bb.1032:
	s_mov_b32 s7, exec_lo
                                        ; implicit-def: $vgpr3
	v_cmpx_lt_u32_e32 0x387fffff, v6
	s_xor_b32 s7, exec_lo, s7
; %bb.1033:
	v_bfe_u32 v3, v2, 21, 1
	s_delay_alu instid0(VALU_DEP_1) | instskip(NEXT) | instid1(VALU_DEP_1)
	v_add3_u32 v3, v2, v3, 0x80fffff
	v_lshrrev_b32_e32 v3, 21, v3
; %bb.1034:
	s_and_not1_saveexec_b32 s7, s7
; %bb.1035:
	v_add_f32_e64 v3, 0x43000000, |v2|
; %bb.1036:
	s_or_b32 exec_lo, exec_lo, s7
                                        ; implicit-def: $vgpr6
.LBB513_1037:
	s_and_not1_saveexec_b32 s5, s5
; %bb.1038:
	v_mov_b32_e32 v3, 0x7f
	v_cmp_lt_u32_e32 vcc_lo, 0x7f800000, v6
	s_delay_alu instid0(VALU_DEP_2)
	v_cndmask_b32_e32 v3, 0x7c, v3, vcc_lo
; %bb.1039:
	s_or_b32 exec_lo, exec_lo, s5
	v_lshrrev_b32_e32 v2, 24, v2
	s_delay_alu instid0(VALU_DEP_1)
	v_and_or_b32 v2, 0x80, v2, v3
	global_store_b8 v[4:5], v2, off
.LBB513_1040:
	s_mov_b32 s5, 0
.LBB513_1041:
	s_delay_alu instid0(SALU_CYCLE_1)
	s_and_not1_b32 vcc_lo, exec_lo, s5
	s_mov_b32 s8, 0
	s_cbranch_vccnz .LBB513_1049
; %bb.1042:
	v_cmp_lt_i16_e32 vcc_lo, 14, v8
	s_mov_b32 s5, -1
	s_cbranch_vccz .LBB513_1046
; %bb.1043:
	v_cmp_eq_u16_e32 vcc_lo, 15, v8
	s_mov_b32 s2, -1
	s_cbranch_vccz .LBB513_1045
; %bb.1044:
	v_cvt_f32_f64_e32 v2, v[0:1]
	s_mov_b32 s2, 0
	s_delay_alu instid0(VALU_DEP_1) | instskip(SKIP_1) | instid1(VALU_DEP_2)
	v_bfe_u32 v3, v2, 16, 1
	v_cmp_o_f32_e32 vcc_lo, v2, v2
	v_add3_u32 v3, v2, v3, 0x7fff
	s_delay_alu instid0(VALU_DEP_1) | instskip(NEXT) | instid1(VALU_DEP_1)
	v_lshrrev_b32_e32 v3, 16, v3
	v_cndmask_b32_e32 v2, 0x7fc0, v3, vcc_lo
	global_store_b16 v[4:5], v2, off
.LBB513_1045:
	s_mov_b32 s5, 0
.LBB513_1046:
	s_delay_alu instid0(SALU_CYCLE_1)
	s_and_b32 vcc_lo, exec_lo, s5
	s_cbranch_vccz .LBB513_1049
; %bb.1047:
	v_cmp_ne_u16_e32 vcc_lo, 11, v8
	s_and_not1_b32 s2, s2, exec_lo
	s_mov_b32 s8, -1
	s_and_b32 s5, vcc_lo, exec_lo
	s_delay_alu instid0(SALU_CYCLE_1)
	s_or_b32 s2, s2, s5
	s_branch .LBB513_1049
.LBB513_1048:
	s_mov_b32 s8, 0
.LBB513_1049:
	s_and_b32 s7, s4, exec_lo
	s_and_not1_b32 s4, s41, exec_lo
	s_and_b32 s2, s2, exec_lo
	s_and_b32 s12, s8, exec_lo
	s_or_b32 s41, s4, s2
.LBB513_1050:
	s_or_b32 exec_lo, exec_lo, s6
	s_and_saveexec_b32 s2, s41
	s_cbranch_execnz .LBB513_1164
; %bb.1051:
	s_or_b32 exec_lo, exec_lo, s2
	s_and_saveexec_b32 s2, s12
	s_delay_alu instid0(SALU_CYCLE_1)
	s_xor_b32 s2, exec_lo, s2
	s_cbranch_execz .LBB513_1053
.LBB513_1052:
	v_cmp_neq_f64_e32 vcc_lo, 0, v[0:1]
	v_cndmask_b32_e64 v2, 0, 1, vcc_lo
	s_waitcnt vmcnt(0)
	global_store_b8 v[4:5], v2, off
.LBB513_1053:
	s_or_b32 exec_lo, exec_lo, s2
	s_and_saveexec_b32 s2, s7
	s_delay_alu instid0(SALU_CYCLE_1)
	s_xor_b32 s2, exec_lo, s2
	s_cbranch_execz .LBB513_1091
; %bb.1054:
	v_cmp_gt_i16_e32 vcc_lo, 5, v8
	s_mov_b32 s4, -1
	s_cbranch_vccnz .LBB513_1075
; %bb.1055:
	v_cmp_gt_i16_e32 vcc_lo, 8, v8
	s_cbranch_vccnz .LBB513_1065
; %bb.1056:
	v_cmp_gt_i16_e32 vcc_lo, 9, v8
	s_cbranch_vccnz .LBB513_1062
; %bb.1057:
	v_cmp_lt_i16_e32 vcc_lo, 9, v8
	s_cbranch_vccz .LBB513_1059
; %bb.1058:
	v_mov_b32_e32 v2, 0
	s_mov_b32 s4, 0
	s_waitcnt vmcnt(0)
	s_delay_alu instid0(VALU_DEP_1)
	v_mov_b32_e32 v3, v2
	global_store_b128 v[4:5], v[0:3], off
.LBB513_1059:
	s_and_not1_b32 vcc_lo, exec_lo, s4
	s_cbranch_vccnz .LBB513_1061
; %bb.1060:
	v_cvt_f32_f64_e32 v2, v[0:1]
	s_waitcnt vmcnt(0)
	v_mov_b32_e32 v3, 0
	global_store_b64 v[4:5], v[2:3], off
.LBB513_1061:
	s_mov_b32 s4, 0
.LBB513_1062:
	s_delay_alu instid0(SALU_CYCLE_1)
	s_and_not1_b32 vcc_lo, exec_lo, s4
	s_cbranch_vccnz .LBB513_1064
; %bb.1063:
	v_cvt_f32_f64_e32 v2, v[0:1]
	s_delay_alu instid0(VALU_DEP_1) | instskip(NEXT) | instid1(VALU_DEP_1)
	v_cvt_f16_f32_e32 v2, v2
	v_and_b32_e32 v2, 0xffff, v2
	s_waitcnt vmcnt(0)
	global_store_b32 v[4:5], v2, off
.LBB513_1064:
	s_mov_b32 s4, 0
.LBB513_1065:
	s_delay_alu instid0(SALU_CYCLE_1)
	s_and_not1_b32 vcc_lo, exec_lo, s4
	s_cbranch_vccnz .LBB513_1074
; %bb.1066:
	v_cmp_gt_i16_e32 vcc_lo, 6, v8
	s_mov_b32 s4, -1
	s_cbranch_vccnz .LBB513_1072
; %bb.1067:
	v_cmp_lt_i16_e32 vcc_lo, 6, v8
	s_cbranch_vccz .LBB513_1069
; %bb.1068:
	s_mov_b32 s4, 0
	s_waitcnt vmcnt(0)
	global_store_b64 v[4:5], v[0:1], off
.LBB513_1069:
	s_and_not1_b32 vcc_lo, exec_lo, s4
	s_cbranch_vccnz .LBB513_1071
; %bb.1070:
	v_cvt_f32_f64_e32 v2, v[0:1]
	s_waitcnt vmcnt(0)
	global_store_b32 v[4:5], v2, off
.LBB513_1071:
	s_mov_b32 s4, 0
.LBB513_1072:
	s_delay_alu instid0(SALU_CYCLE_1)
	s_and_not1_b32 vcc_lo, exec_lo, s4
	s_cbranch_vccnz .LBB513_1074
; %bb.1073:
	v_cvt_f32_f64_e32 v2, v[0:1]
	s_delay_alu instid0(VALU_DEP_1)
	v_cvt_f16_f32_e32 v2, v2
	s_waitcnt vmcnt(0)
	global_store_b16 v[4:5], v2, off
.LBB513_1074:
	s_mov_b32 s4, 0
.LBB513_1075:
	s_delay_alu instid0(SALU_CYCLE_1)
	s_and_not1_b32 vcc_lo, exec_lo, s4
	s_cbranch_vccnz .LBB513_1091
; %bb.1076:
	v_cmp_gt_i16_e32 vcc_lo, 2, v8
	s_mov_b32 s4, -1
	s_cbranch_vccnz .LBB513_1086
; %bb.1077:
	v_cmp_gt_i16_e32 vcc_lo, 3, v8
	s_cbranch_vccnz .LBB513_1083
; %bb.1078:
	v_cmp_lt_i16_e32 vcc_lo, 3, v8
	s_cbranch_vccz .LBB513_1080
; %bb.1079:
	s_waitcnt vmcnt(0)
	v_trunc_f64_e32 v[2:3], v[0:1]
	s_mov_b32 s4, 0
	s_delay_alu instid0(VALU_DEP_1) | instskip(NEXT) | instid1(VALU_DEP_1)
	v_ldexp_f64 v[6:7], v[2:3], 0xffffffe0
	v_floor_f64_e32 v[6:7], v[6:7]
	s_delay_alu instid0(VALU_DEP_1) | instskip(SKIP_1) | instid1(VALU_DEP_2)
	v_fma_f64 v[2:3], 0xc1f00000, v[6:7], v[2:3]
	v_cvt_i32_f64_e32 v7, v[6:7]
	v_cvt_u32_f64_e32 v6, v[2:3]
	global_store_b64 v[4:5], v[6:7], off
.LBB513_1080:
	s_and_not1_b32 vcc_lo, exec_lo, s4
	s_cbranch_vccnz .LBB513_1082
; %bb.1081:
	v_cvt_i32_f64_e32 v2, v[0:1]
	s_waitcnt vmcnt(0)
	global_store_b32 v[4:5], v2, off
.LBB513_1082:
	s_mov_b32 s4, 0
.LBB513_1083:
	s_delay_alu instid0(SALU_CYCLE_1)
	s_and_not1_b32 vcc_lo, exec_lo, s4
	s_cbranch_vccnz .LBB513_1085
; %bb.1084:
	v_cvt_i32_f64_e32 v2, v[0:1]
	s_waitcnt vmcnt(0)
	global_store_b16 v[4:5], v2, off
.LBB513_1085:
	s_mov_b32 s4, 0
.LBB513_1086:
	s_delay_alu instid0(SALU_CYCLE_1)
	s_and_not1_b32 vcc_lo, exec_lo, s4
	s_cbranch_vccnz .LBB513_1091
; %bb.1087:
	v_cmp_lt_i16_e32 vcc_lo, 0, v8
	s_mov_b32 s4, -1
	s_cbranch_vccz .LBB513_1089
; %bb.1088:
	v_cvt_i32_f64_e32 v2, v[0:1]
	s_mov_b32 s4, 0
	s_waitcnt vmcnt(0)
	global_store_b8 v[4:5], v2, off
.LBB513_1089:
	s_and_not1_b32 vcc_lo, exec_lo, s4
	s_cbranch_vccnz .LBB513_1091
; %bb.1090:
	v_trunc_f64_e32 v[0:1], v[0:1]
	s_waitcnt vmcnt(0)
	s_delay_alu instid0(VALU_DEP_1) | instskip(NEXT) | instid1(VALU_DEP_1)
	v_ldexp_f64 v[2:3], v[0:1], 0xffffffe0
	v_floor_f64_e32 v[2:3], v[2:3]
	s_delay_alu instid0(VALU_DEP_1) | instskip(NEXT) | instid1(VALU_DEP_1)
	v_fma_f64 v[0:1], 0xc1f00000, v[2:3], v[0:1]
	v_cvt_u32_f64_e32 v0, v[0:1]
	global_store_b8 v[4:5], v0, off
.LBB513_1091:
	s_or_b32 exec_lo, exec_lo, s2
	s_delay_alu instid0(SALU_CYCLE_1)
	s_and_b32 s8, s3, exec_lo
                                        ; implicit-def: $vgpr6
                                        ; implicit-def: $vgpr9
.LBB513_1092:
	s_or_saveexec_b32 s9, s35
	s_mov_b32 s3, 0
                                        ; implicit-def: $vgpr0_vgpr1
                                        ; implicit-def: $sgpr2
                                        ; implicit-def: $vgpr4_vgpr5
	s_xor_b32 exec_lo, exec_lo, s9
	s_cbranch_execz .LBB513_1701
; %bb.1093:
	v_cndmask_b32_e64 v1, 0, 1, s34
	s_and_not1_b32 vcc_lo, exec_lo, s34
	s_cbranch_vccnz .LBB513_1099
; %bb.1094:
	v_mov_b32_e32 v2, 0
	v_mov_b32_e32 v0, 0
	s_cmp_lg_u32 s30, 0
	s_mov_b32 s6, 0
	s_cbranch_scc0 .LBB513_1103
; %bb.1095:
	s_min_u32 s7, s31, 15
	v_mov_b32_e32 v2, 0
	s_add_i32 s7, s7, 1
	s_cmp_eq_u32 s31, 2
	s_mov_b32 s10, 0
	s_cbranch_scc1 .LBB513_1100
; %bb.1096:
	s_waitcnt vmcnt(0)
	v_dual_mov_b32 v0, 0 :: v_dual_mov_b32 v3, v9
	v_mov_b32_e32 v2, 0
	s_add_u32 s2, s20, 0xc4
	s_addc_u32 s3, s21, 0
	s_and_b32 s10, s7, 28
	s_mov_b32 s11, 0
	s_mov_b64 s[4:5], s[20:21]
.LBB513_1097:                           ; =>This Inner Loop Header: Depth=1
	s_clause 0x1
	s_load_b256 s[12:19], s[4:5], 0x4
	s_load_b128 s[24:27], s[4:5], 0x24
	s_load_b256 s[36:43], s[2:3], 0x0
	s_add_u32 s4, s4, 48
	s_addc_u32 s5, s5, 0
	s_add_i32 s11, s11, 4
	s_add_u32 s2, s2, 32
	s_addc_u32 s3, s3, 0
	s_cmp_lg_u32 s10, s11
	s_waitcnt lgkmcnt(0)
	v_mul_hi_u32 v4, s13, v3
	s_delay_alu instid0(VALU_DEP_1) | instskip(NEXT) | instid1(VALU_DEP_1)
	v_add_nc_u32_e32 v4, v3, v4
	v_lshrrev_b32_e32 v4, s14, v4
	s_delay_alu instid0(VALU_DEP_1) | instskip(SKIP_1) | instid1(VALU_DEP_2)
	v_mul_hi_u32 v5, s16, v4
	v_mul_lo_u32 v8, v4, s12
	v_add_nc_u32_e32 v5, v4, v5
	s_delay_alu instid0(VALU_DEP_2) | instskip(NEXT) | instid1(VALU_DEP_2)
	v_sub_nc_u32_e32 v3, v3, v8
	v_lshrrev_b32_e32 v5, s17, v5
	s_delay_alu instid0(VALU_DEP_2) | instskip(SKIP_1) | instid1(VALU_DEP_3)
	v_mul_lo_u32 v8, v3, s36
	v_mul_lo_u32 v11, v3, s37
	v_mul_hi_u32 v7, s19, v5
	s_delay_alu instid0(VALU_DEP_1) | instskip(NEXT) | instid1(VALU_DEP_1)
	v_add_nc_u32_e32 v7, v5, v7
	v_lshrrev_b32_e32 v7, s24, v7
	s_delay_alu instid0(VALU_DEP_1) | instskip(SKIP_1) | instid1(VALU_DEP_2)
	v_mul_hi_u32 v10, s26, v7
	v_mul_lo_u32 v12, v7, s18
	v_add_nc_u32_e32 v3, v7, v10
	v_mul_lo_u32 v10, v5, s15
	s_delay_alu instid0(VALU_DEP_3) | instskip(NEXT) | instid1(VALU_DEP_3)
	v_sub_nc_u32_e32 v5, v5, v12
	v_lshrrev_b32_e32 v3, s27, v3
	s_delay_alu instid0(VALU_DEP_2) | instskip(SKIP_2) | instid1(VALU_DEP_4)
	v_mul_lo_u32 v12, v5, s40
	v_mul_lo_u32 v5, v5, s41
	v_sub_nc_u32_e32 v4, v4, v10
	v_mul_lo_u32 v13, v3, s25
	s_delay_alu instid0(VALU_DEP_2) | instskip(SKIP_1) | instid1(VALU_DEP_3)
	v_mul_lo_u32 v10, v4, s38
	v_mul_lo_u32 v4, v4, s39
	v_sub_nc_u32_e32 v7, v7, v13
	s_delay_alu instid0(VALU_DEP_3) | instskip(NEXT) | instid1(VALU_DEP_2)
	v_add3_u32 v2, v8, v2, v10
	v_mul_lo_u32 v13, v7, s42
	v_mul_lo_u32 v7, v7, s43
	v_add3_u32 v0, v11, v0, v4
	s_delay_alu instid0(VALU_DEP_3) | instskip(NEXT) | instid1(VALU_DEP_2)
	v_add3_u32 v2, v12, v2, v13
	v_add3_u32 v0, v5, v0, v7
	s_cbranch_scc1 .LBB513_1097
; %bb.1098:
	s_and_b32 s7, s7, 3
	s_delay_alu instid0(SALU_CYCLE_1)
	s_cmp_eq_u32 s7, 0
	s_cbranch_scc0 .LBB513_1101
	s_branch .LBB513_1103
.LBB513_1099:
	s_mov_b32 s6, -1
                                        ; implicit-def: $vgpr2
                                        ; implicit-def: $vgpr0
	s_branch .LBB513_1103
.LBB513_1100:
	s_waitcnt vmcnt(0)
	v_dual_mov_b32 v3, v9 :: v_dual_mov_b32 v0, 0
	s_and_b32 s7, s7, 3
	s_delay_alu instid0(SALU_CYCLE_1)
	s_cmp_eq_u32 s7, 0
	s_cbranch_scc1 .LBB513_1103
.LBB513_1101:
	s_lshl_b32 s2, s10, 3
	s_mul_i32 s4, s10, 12
	s_add_u32 s2, s2, s20
	s_addc_u32 s3, 0, s21
	s_add_u32 s2, s2, 0xc4
	s_addc_u32 s3, s3, 0
	s_add_u32 s4, s20, s4
	s_addc_u32 s5, 0, s21
	.p2align	6
.LBB513_1102:                           ; =>This Inner Loop Header: Depth=1
	s_clause 0x1
	s_load_b64 s[10:11], s[4:5], 0x4
	s_load_b32 s14, s[4:5], 0xc
	s_load_b64 s[12:13], s[2:3], 0x0
	s_add_u32 s4, s4, 12
	s_addc_u32 s5, s5, 0
	s_add_u32 s2, s2, 8
	s_addc_u32 s3, s3, 0
	s_add_i32 s7, s7, -1
	s_delay_alu instid0(SALU_CYCLE_1) | instskip(SKIP_2) | instid1(VALU_DEP_1)
	s_cmp_lg_u32 s7, 0
	s_waitcnt lgkmcnt(0)
	v_mul_hi_u32 v4, s11, v3
	v_add_nc_u32_e32 v4, v3, v4
	s_delay_alu instid0(VALU_DEP_1) | instskip(NEXT) | instid1(VALU_DEP_1)
	v_lshrrev_b32_e32 v10, s14, v4
	v_mul_lo_u32 v4, v10, s10
	s_delay_alu instid0(VALU_DEP_1) | instskip(NEXT) | instid1(VALU_DEP_1)
	v_sub_nc_u32_e32 v3, v3, v4
	v_mad_u64_u32 v[4:5], null, v3, s12, v[2:3]
	v_mad_u64_u32 v[7:8], null, v3, s13, v[0:1]
	s_delay_alu instid0(VALU_DEP_2) | instskip(NEXT) | instid1(VALU_DEP_2)
	v_dual_mov_b32 v3, v10 :: v_dual_mov_b32 v2, v4
	v_mov_b32_e32 v0, v7
	s_cbranch_scc1 .LBB513_1102
.LBB513_1103:
	s_and_not1_b32 vcc_lo, exec_lo, s6
	s_cbranch_vccnz .LBB513_1106
; %bb.1104:
	s_clause 0x1
	s_load_b128 s[4:7], s[20:21], 0x4
	s_load_b64 s[2:3], s[20:21], 0xc4
	s_cmp_lt_u32 s30, 2
	s_waitcnt lgkmcnt(0)
	v_mul_hi_u32 v0, s5, v9
	s_delay_alu instid0(VALU_DEP_1) | instskip(SKIP_1) | instid1(VALU_DEP_1)
	v_add_nc_u32_e32 v0, v9, v0
	s_waitcnt vmcnt(0)
	v_lshrrev_b32_e32 v3, s6, v0
	s_delay_alu instid0(VALU_DEP_1) | instskip(NEXT) | instid1(VALU_DEP_1)
	v_mul_lo_u32 v0, v3, s4
	v_sub_nc_u32_e32 v0, v9, v0
	s_delay_alu instid0(VALU_DEP_1)
	v_mul_lo_u32 v2, v0, s2
	v_mul_lo_u32 v0, v0, s3
	s_cbranch_scc1 .LBB513_1106
; %bb.1105:
	s_clause 0x1
	s_load_b128 s[4:7], s[20:21], 0x10
	s_load_b64 s[2:3], s[20:21], 0xcc
	s_waitcnt lgkmcnt(0)
	v_mul_hi_u32 v4, s5, v3
	s_delay_alu instid0(VALU_DEP_1) | instskip(NEXT) | instid1(VALU_DEP_1)
	v_add_nc_u32_e32 v4, v3, v4
	v_lshrrev_b32_e32 v4, s6, v4
	s_delay_alu instid0(VALU_DEP_1) | instskip(NEXT) | instid1(VALU_DEP_1)
	v_mul_lo_u32 v4, v4, s4
	v_sub_nc_u32_e32 v7, v3, v4
	s_delay_alu instid0(VALU_DEP_1) | instskip(SKIP_1) | instid1(VALU_DEP_2)
	v_mad_u64_u32 v[3:4], null, v7, s2, v[2:3]
	v_mad_u64_u32 v[4:5], null, v7, s3, v[0:1]
	v_mov_b32_e32 v2, v3
	s_delay_alu instid0(VALU_DEP_2)
	v_mov_b32_e32 v0, v4
.LBB513_1106:
	v_cmp_ne_u32_e32 vcc_lo, 1, v1
	s_waitcnt vmcnt(0)
	v_add_nc_u32_e32 v3, 0x80, v9
	s_cbranch_vccnz .LBB513_1112
; %bb.1107:
	v_dual_mov_b32 v8, 0 :: v_dual_mov_b32 v5, 0
	s_cmp_lg_u32 s30, 0
	s_mov_b32 s6, 0
	s_cbranch_scc0 .LBB513_1116
; %bb.1108:
	s_min_u32 s7, s31, 15
	v_mov_b32_e32 v8, 0
	s_add_i32 s7, s7, 1
	s_cmp_eq_u32 s31, 2
	s_mov_b32 s10, 0
	s_cbranch_scc1 .LBB513_1113
; %bb.1109:
	v_dual_mov_b32 v5, 0 :: v_dual_mov_b32 v8, 0
	v_mov_b32_e32 v4, v3
	s_add_u32 s2, s20, 0xc4
	s_addc_u32 s3, s21, 0
	s_and_b32 s10, s7, 28
	s_mov_b32 s11, 0
	s_mov_b64 s[4:5], s[20:21]
.LBB513_1110:                           ; =>This Inner Loop Header: Depth=1
	s_clause 0x1
	s_load_b256 s[12:19], s[4:5], 0x4
	s_load_b128 s[24:27], s[4:5], 0x24
	s_load_b256 s[36:43], s[2:3], 0x0
	s_add_u32 s4, s4, 48
	s_addc_u32 s5, s5, 0
	s_add_i32 s11, s11, 4
	s_add_u32 s2, s2, 32
	s_addc_u32 s3, s3, 0
	s_cmp_lg_u32 s10, s11
	s_waitcnt lgkmcnt(0)
	v_mul_hi_u32 v7, s13, v4
	s_delay_alu instid0(VALU_DEP_1) | instskip(NEXT) | instid1(VALU_DEP_1)
	v_add_nc_u32_e32 v7, v4, v7
	v_lshrrev_b32_e32 v7, s14, v7
	s_delay_alu instid0(VALU_DEP_1) | instskip(SKIP_1) | instid1(VALU_DEP_2)
	v_mul_hi_u32 v10, s16, v7
	v_mul_lo_u32 v12, v7, s12
	v_add_nc_u32_e32 v10, v7, v10
	s_delay_alu instid0(VALU_DEP_2) | instskip(NEXT) | instid1(VALU_DEP_2)
	v_sub_nc_u32_e32 v4, v4, v12
	v_lshrrev_b32_e32 v10, s17, v10
	s_delay_alu instid0(VALU_DEP_2) | instskip(SKIP_1) | instid1(VALU_DEP_3)
	v_mul_lo_u32 v12, v4, s36
	v_mul_lo_u32 v14, v4, s37
	v_mul_hi_u32 v11, s19, v10
	s_delay_alu instid0(VALU_DEP_1) | instskip(NEXT) | instid1(VALU_DEP_1)
	v_add_nc_u32_e32 v11, v10, v11
	v_lshrrev_b32_e32 v11, s24, v11
	s_delay_alu instid0(VALU_DEP_1) | instskip(SKIP_1) | instid1(VALU_DEP_2)
	v_mul_hi_u32 v13, s26, v11
	v_mul_lo_u32 v15, v11, s18
	v_add_nc_u32_e32 v4, v11, v13
	v_mul_lo_u32 v13, v10, s15
	s_delay_alu instid0(VALU_DEP_3) | instskip(NEXT) | instid1(VALU_DEP_3)
	v_sub_nc_u32_e32 v10, v10, v15
	v_lshrrev_b32_e32 v4, s27, v4
	s_delay_alu instid0(VALU_DEP_2) | instskip(SKIP_2) | instid1(VALU_DEP_4)
	v_mul_lo_u32 v15, v10, s40
	v_mul_lo_u32 v10, v10, s41
	v_sub_nc_u32_e32 v7, v7, v13
	v_mul_lo_u32 v16, v4, s25
	s_delay_alu instid0(VALU_DEP_2) | instskip(SKIP_1) | instid1(VALU_DEP_3)
	v_mul_lo_u32 v13, v7, s38
	v_mul_lo_u32 v7, v7, s39
	v_sub_nc_u32_e32 v11, v11, v16
	s_delay_alu instid0(VALU_DEP_3) | instskip(NEXT) | instid1(VALU_DEP_2)
	v_add3_u32 v8, v12, v8, v13
	v_mul_lo_u32 v16, v11, s42
	v_mul_lo_u32 v11, v11, s43
	v_add3_u32 v5, v14, v5, v7
	s_delay_alu instid0(VALU_DEP_3) | instskip(NEXT) | instid1(VALU_DEP_2)
	v_add3_u32 v8, v15, v8, v16
	v_add3_u32 v5, v10, v5, v11
	s_cbranch_scc1 .LBB513_1110
; %bb.1111:
	s_and_b32 s7, s7, 3
	s_delay_alu instid0(SALU_CYCLE_1)
	s_cmp_eq_u32 s7, 0
	s_cbranch_scc0 .LBB513_1114
	s_branch .LBB513_1116
.LBB513_1112:
	s_mov_b32 s6, -1
                                        ; implicit-def: $vgpr8
                                        ; implicit-def: $vgpr5
	s_branch .LBB513_1116
.LBB513_1113:
	v_dual_mov_b32 v4, v3 :: v_dual_mov_b32 v5, 0
	s_and_b32 s7, s7, 3
	s_delay_alu instid0(SALU_CYCLE_1)
	s_cmp_eq_u32 s7, 0
	s_cbranch_scc1 .LBB513_1116
.LBB513_1114:
	s_lshl_b32 s2, s10, 3
	s_mul_i32 s4, s10, 12
	s_add_u32 s2, s2, s20
	s_addc_u32 s3, 0, s21
	s_add_u32 s2, s2, 0xc4
	s_addc_u32 s3, s3, 0
	;; [unrolled: 2-line block ×3, first 2 shown]
	.p2align	6
.LBB513_1115:                           ; =>This Inner Loop Header: Depth=1
	s_clause 0x1
	s_load_b64 s[10:11], s[4:5], 0x4
	s_load_b32 s14, s[4:5], 0xc
	s_load_b64 s[12:13], s[2:3], 0x0
	s_add_u32 s4, s4, 12
	s_addc_u32 s5, s5, 0
	s_add_u32 s2, s2, 8
	s_addc_u32 s3, s3, 0
	s_add_i32 s7, s7, -1
	s_delay_alu instid0(SALU_CYCLE_1) | instskip(SKIP_2) | instid1(VALU_DEP_1)
	s_cmp_lg_u32 s7, 0
	s_waitcnt lgkmcnt(0)
	v_mul_hi_u32 v7, s11, v4
	v_add_nc_u32_e32 v7, v4, v7
	s_delay_alu instid0(VALU_DEP_1) | instskip(NEXT) | instid1(VALU_DEP_1)
	v_lshrrev_b32_e32 v12, s14, v7
	v_mul_lo_u32 v7, v12, s10
	s_delay_alu instid0(VALU_DEP_1) | instskip(NEXT) | instid1(VALU_DEP_1)
	v_sub_nc_u32_e32 v4, v4, v7
	v_mad_u64_u32 v[10:11], null, v4, s12, v[8:9]
	v_mad_u64_u32 v[7:8], null, v4, s13, v[5:6]
	v_mov_b32_e32 v4, v12
	s_delay_alu instid0(VALU_DEP_2)
	v_dual_mov_b32 v8, v10 :: v_dual_mov_b32 v5, v7
	s_cbranch_scc1 .LBB513_1115
.LBB513_1116:
	s_and_not1_b32 vcc_lo, exec_lo, s6
	s_cbranch_vccnz .LBB513_1119
; %bb.1117:
	s_clause 0x1
	s_load_b128 s[4:7], s[20:21], 0x4
	s_load_b64 s[2:3], s[20:21], 0xc4
	s_cmp_lt_u32 s30, 2
	s_waitcnt lgkmcnt(0)
	v_mul_hi_u32 v4, s5, v3
	s_delay_alu instid0(VALU_DEP_1) | instskip(NEXT) | instid1(VALU_DEP_1)
	v_add_nc_u32_e32 v4, v3, v4
	v_lshrrev_b32_e32 v4, s6, v4
	s_delay_alu instid0(VALU_DEP_1) | instskip(NEXT) | instid1(VALU_DEP_1)
	v_mul_lo_u32 v5, v4, s4
	v_sub_nc_u32_e32 v3, v3, v5
	s_delay_alu instid0(VALU_DEP_1)
	v_mul_lo_u32 v8, v3, s2
	v_mul_lo_u32 v5, v3, s3
	s_cbranch_scc1 .LBB513_1119
; %bb.1118:
	s_clause 0x1
	s_load_b128 s[4:7], s[20:21], 0x10
	s_load_b64 s[2:3], s[20:21], 0xcc
	s_waitcnt lgkmcnt(0)
	v_mul_hi_u32 v3, s5, v4
	s_delay_alu instid0(VALU_DEP_1) | instskip(NEXT) | instid1(VALU_DEP_1)
	v_add_nc_u32_e32 v3, v4, v3
	v_lshrrev_b32_e32 v3, s6, v3
	s_delay_alu instid0(VALU_DEP_1) | instskip(NEXT) | instid1(VALU_DEP_1)
	v_mul_lo_u32 v3, v3, s4
	v_sub_nc_u32_e32 v10, v4, v3
	s_delay_alu instid0(VALU_DEP_1) | instskip(SKIP_1) | instid1(VALU_DEP_2)
	v_mad_u64_u32 v[3:4], null, v10, s2, v[8:9]
	v_mad_u64_u32 v[7:8], null, v10, s3, v[5:6]
	v_mov_b32_e32 v8, v3
	s_delay_alu instid0(VALU_DEP_2)
	v_mov_b32_e32 v5, v7
.LBB513_1119:
	v_cmp_ne_u32_e32 vcc_lo, 1, v1
	v_add_nc_u32_e32 v3, 0x100, v9
	s_cbranch_vccnz .LBB513_1125
; %bb.1120:
	v_mov_b32_e32 v12, 0
	v_mov_b32_e32 v4, 0
	s_cmp_lg_u32 s30, 0
	s_mov_b32 s6, 0
	s_cbranch_scc0 .LBB513_1129
; %bb.1121:
	s_min_u32 s7, s31, 15
	v_mov_b32_e32 v12, 0
	s_add_i32 s7, s7, 1
	s_cmp_eq_u32 s31, 2
	s_mov_b32 s10, 0
	s_cbranch_scc1 .LBB513_1126
; %bb.1122:
	v_dual_mov_b32 v4, 0 :: v_dual_mov_b32 v7, v3
	v_mov_b32_e32 v12, 0
	s_add_u32 s2, s20, 0xc4
	s_addc_u32 s3, s21, 0
	s_and_b32 s10, s7, 28
	s_mov_b32 s11, 0
	s_mov_b64 s[4:5], s[20:21]
.LBB513_1123:                           ; =>This Inner Loop Header: Depth=1
	s_clause 0x1
	s_load_b256 s[12:19], s[4:5], 0x4
	s_load_b128 s[24:27], s[4:5], 0x24
	s_load_b256 s[36:43], s[2:3], 0x0
	s_add_u32 s4, s4, 48
	s_addc_u32 s5, s5, 0
	s_add_i32 s11, s11, 4
	s_add_u32 s2, s2, 32
	s_addc_u32 s3, s3, 0
	s_cmp_lg_u32 s10, s11
	s_waitcnt lgkmcnt(0)
	v_mul_hi_u32 v9, s13, v7
	s_delay_alu instid0(VALU_DEP_1) | instskip(NEXT) | instid1(VALU_DEP_1)
	v_add_nc_u32_e32 v9, v7, v9
	v_lshrrev_b32_e32 v9, s14, v9
	s_delay_alu instid0(VALU_DEP_1) | instskip(SKIP_1) | instid1(VALU_DEP_2)
	v_mul_hi_u32 v10, s16, v9
	v_mul_lo_u32 v13, v9, s12
	v_add_nc_u32_e32 v10, v9, v10
	s_delay_alu instid0(VALU_DEP_2) | instskip(NEXT) | instid1(VALU_DEP_2)
	v_sub_nc_u32_e32 v7, v7, v13
	v_lshrrev_b32_e32 v10, s17, v10
	s_delay_alu instid0(VALU_DEP_2) | instskip(SKIP_1) | instid1(VALU_DEP_3)
	v_mul_lo_u32 v13, v7, s36
	v_mul_lo_u32 v15, v7, s37
	v_mul_hi_u32 v11, s19, v10
	s_delay_alu instid0(VALU_DEP_1) | instskip(NEXT) | instid1(VALU_DEP_1)
	v_add_nc_u32_e32 v11, v10, v11
	v_lshrrev_b32_e32 v11, s24, v11
	s_delay_alu instid0(VALU_DEP_1) | instskip(SKIP_1) | instid1(VALU_DEP_2)
	v_mul_hi_u32 v14, s26, v11
	v_mul_lo_u32 v16, v11, s18
	v_add_nc_u32_e32 v7, v11, v14
	v_mul_lo_u32 v14, v10, s15
	s_delay_alu instid0(VALU_DEP_3) | instskip(NEXT) | instid1(VALU_DEP_3)
	v_sub_nc_u32_e32 v10, v10, v16
	v_lshrrev_b32_e32 v7, s27, v7
	s_delay_alu instid0(VALU_DEP_2) | instskip(SKIP_2) | instid1(VALU_DEP_4)
	v_mul_lo_u32 v16, v10, s40
	v_mul_lo_u32 v10, v10, s41
	v_sub_nc_u32_e32 v9, v9, v14
	v_mul_lo_u32 v17, v7, s25
	s_delay_alu instid0(VALU_DEP_2) | instskip(SKIP_1) | instid1(VALU_DEP_3)
	v_mul_lo_u32 v14, v9, s38
	v_mul_lo_u32 v9, v9, s39
	v_sub_nc_u32_e32 v11, v11, v17
	s_delay_alu instid0(VALU_DEP_3) | instskip(NEXT) | instid1(VALU_DEP_2)
	v_add3_u32 v12, v13, v12, v14
	v_mul_lo_u32 v17, v11, s42
	v_mul_lo_u32 v11, v11, s43
	v_add3_u32 v4, v15, v4, v9
	s_delay_alu instid0(VALU_DEP_3) | instskip(NEXT) | instid1(VALU_DEP_2)
	v_add3_u32 v12, v16, v12, v17
	v_add3_u32 v4, v10, v4, v11
	s_cbranch_scc1 .LBB513_1123
; %bb.1124:
	s_and_b32 s7, s7, 3
	s_delay_alu instid0(SALU_CYCLE_1)
	s_cmp_eq_u32 s7, 0
	s_cbranch_scc0 .LBB513_1127
	s_branch .LBB513_1129
.LBB513_1125:
	s_mov_b32 s6, -1
                                        ; implicit-def: $vgpr12
                                        ; implicit-def: $vgpr4
	s_branch .LBB513_1129
.LBB513_1126:
	v_dual_mov_b32 v7, v3 :: v_dual_mov_b32 v4, 0
	s_and_b32 s7, s7, 3
	s_delay_alu instid0(SALU_CYCLE_1)
	s_cmp_eq_u32 s7, 0
	s_cbranch_scc1 .LBB513_1129
.LBB513_1127:
	s_lshl_b32 s2, s10, 3
	s_mul_i32 s4, s10, 12
	s_add_u32 s2, s2, s20
	s_addc_u32 s3, 0, s21
	s_add_u32 s2, s2, 0xc4
	s_addc_u32 s3, s3, 0
	;; [unrolled: 2-line block ×3, first 2 shown]
	.p2align	6
.LBB513_1128:                           ; =>This Inner Loop Header: Depth=1
	s_clause 0x1
	s_load_b64 s[10:11], s[4:5], 0x4
	s_load_b32 s14, s[4:5], 0xc
	s_load_b64 s[12:13], s[2:3], 0x0
	s_add_u32 s4, s4, 12
	s_addc_u32 s5, s5, 0
	s_add_u32 s2, s2, 8
	s_addc_u32 s3, s3, 0
	s_add_i32 s7, s7, -1
	s_delay_alu instid0(SALU_CYCLE_1) | instskip(SKIP_2) | instid1(VALU_DEP_1)
	s_cmp_lg_u32 s7, 0
	s_waitcnt lgkmcnt(0)
	v_mul_hi_u32 v9, s11, v7
	v_add_nc_u32_e32 v9, v7, v9
	s_delay_alu instid0(VALU_DEP_1) | instskip(NEXT) | instid1(VALU_DEP_1)
	v_lshrrev_b32_e32 v13, s14, v9
	v_mul_lo_u32 v9, v13, s10
	s_delay_alu instid0(VALU_DEP_1) | instskip(NEXT) | instid1(VALU_DEP_1)
	v_sub_nc_u32_e32 v7, v7, v9
	v_mad_u64_u32 v[9:10], null, v7, s12, v[12:13]
	v_mad_u64_u32 v[10:11], null, v7, s13, v[4:5]
	v_mov_b32_e32 v7, v13
	s_delay_alu instid0(VALU_DEP_3) | instskip(NEXT) | instid1(VALU_DEP_3)
	v_mov_b32_e32 v12, v9
	v_mov_b32_e32 v4, v10
	s_cbranch_scc1 .LBB513_1128
.LBB513_1129:
	s_and_not1_b32 vcc_lo, exec_lo, s6
	s_cbranch_vccnz .LBB513_1132
; %bb.1130:
	s_clause 0x1
	s_load_b128 s[4:7], s[20:21], 0x4
	s_load_b64 s[2:3], s[20:21], 0xc4
	s_cmp_lt_u32 s30, 2
	s_waitcnt lgkmcnt(0)
	v_mul_hi_u32 v4, s5, v3
	s_delay_alu instid0(VALU_DEP_1) | instskip(NEXT) | instid1(VALU_DEP_1)
	v_add_nc_u32_e32 v4, v3, v4
	v_lshrrev_b32_e32 v7, s6, v4
	s_delay_alu instid0(VALU_DEP_1) | instskip(NEXT) | instid1(VALU_DEP_1)
	v_mul_lo_u32 v4, v7, s4
	v_sub_nc_u32_e32 v3, v3, v4
	s_delay_alu instid0(VALU_DEP_1)
	v_mul_lo_u32 v12, v3, s2
	v_mul_lo_u32 v4, v3, s3
	s_cbranch_scc1 .LBB513_1132
; %bb.1131:
	s_clause 0x1
	s_load_b128 s[4:7], s[20:21], 0x10
	s_load_b64 s[2:3], s[20:21], 0xcc
	s_waitcnt lgkmcnt(0)
	v_mul_hi_u32 v3, s5, v7
	s_delay_alu instid0(VALU_DEP_1) | instskip(NEXT) | instid1(VALU_DEP_1)
	v_add_nc_u32_e32 v3, v7, v3
	v_lshrrev_b32_e32 v3, s6, v3
	s_delay_alu instid0(VALU_DEP_1) | instskip(NEXT) | instid1(VALU_DEP_1)
	v_mul_lo_u32 v3, v3, s4
	v_sub_nc_u32_e32 v3, v7, v3
	s_delay_alu instid0(VALU_DEP_1) | instskip(SKIP_1) | instid1(VALU_DEP_2)
	v_mad_u64_u32 v[9:10], null, v3, s2, v[12:13]
	v_mad_u64_u32 v[10:11], null, v3, s3, v[4:5]
	v_mov_b32_e32 v12, v9
	s_delay_alu instid0(VALU_DEP_2)
	v_mov_b32_e32 v4, v10
.LBB513_1132:
	v_cmp_ne_u32_e32 vcc_lo, 1, v1
	s_cbranch_vccnz .LBB513_1138
; %bb.1133:
	v_dual_mov_b32 v14, 0 :: v_dual_mov_b32 v3, 0
	s_cmp_lg_u32 s30, 0
	s_mov_b32 s6, 0
	s_cbranch_scc0 .LBB513_1142
; %bb.1134:
	s_min_u32 s7, s31, 15
	v_mov_b32_e32 v14, 0
	s_add_i32 s7, s7, 1
	s_cmp_eq_u32 s31, 2
	s_mov_b32 s10, 0
	s_cbranch_scc1 .LBB513_1139
; %bb.1135:
	v_dual_mov_b32 v3, 0 :: v_dual_mov_b32 v14, 0
	v_mov_b32_e32 v1, v6
	s_add_u32 s2, s20, 0xc4
	s_addc_u32 s3, s21, 0
	s_and_b32 s10, s7, 28
	s_mov_b32 s11, 0
	s_mov_b64 s[4:5], s[20:21]
.LBB513_1136:                           ; =>This Inner Loop Header: Depth=1
	s_clause 0x1
	s_load_b256 s[12:19], s[4:5], 0x4
	s_load_b128 s[24:27], s[4:5], 0x24
	s_load_b256 s[36:43], s[2:3], 0x0
	s_add_u32 s4, s4, 48
	s_addc_u32 s5, s5, 0
	s_add_i32 s11, s11, 4
	s_add_u32 s2, s2, 32
	s_addc_u32 s3, s3, 0
	s_cmp_lg_u32 s10, s11
	s_waitcnt lgkmcnt(0)
	v_mul_hi_u32 v7, s13, v1
	s_delay_alu instid0(VALU_DEP_1) | instskip(NEXT) | instid1(VALU_DEP_1)
	v_add_nc_u32_e32 v7, v1, v7
	v_lshrrev_b32_e32 v7, s14, v7
	s_delay_alu instid0(VALU_DEP_1) | instskip(SKIP_1) | instid1(VALU_DEP_2)
	v_mul_hi_u32 v9, s16, v7
	v_mul_lo_u32 v11, v7, s12
	v_add_nc_u32_e32 v9, v7, v9
	s_delay_alu instid0(VALU_DEP_2) | instskip(NEXT) | instid1(VALU_DEP_2)
	v_sub_nc_u32_e32 v1, v1, v11
	v_lshrrev_b32_e32 v9, s17, v9
	s_delay_alu instid0(VALU_DEP_2) | instskip(SKIP_1) | instid1(VALU_DEP_3)
	v_mul_lo_u32 v11, v1, s36
	v_mul_lo_u32 v15, v1, s37
	v_mul_hi_u32 v10, s19, v9
	s_delay_alu instid0(VALU_DEP_1) | instskip(NEXT) | instid1(VALU_DEP_1)
	v_add_nc_u32_e32 v10, v9, v10
	v_lshrrev_b32_e32 v10, s24, v10
	s_delay_alu instid0(VALU_DEP_1) | instskip(SKIP_1) | instid1(VALU_DEP_2)
	v_mul_hi_u32 v13, s26, v10
	v_mul_lo_u32 v16, v10, s18
	v_add_nc_u32_e32 v1, v10, v13
	v_mul_lo_u32 v13, v9, s15
	s_delay_alu instid0(VALU_DEP_3) | instskip(NEXT) | instid1(VALU_DEP_3)
	v_sub_nc_u32_e32 v9, v9, v16
	v_lshrrev_b32_e32 v1, s27, v1
	s_delay_alu instid0(VALU_DEP_2) | instskip(SKIP_2) | instid1(VALU_DEP_4)
	v_mul_lo_u32 v16, v9, s40
	v_mul_lo_u32 v9, v9, s41
	v_sub_nc_u32_e32 v7, v7, v13
	v_mul_lo_u32 v17, v1, s25
	s_delay_alu instid0(VALU_DEP_2) | instskip(SKIP_1) | instid1(VALU_DEP_3)
	v_mul_lo_u32 v13, v7, s38
	v_mul_lo_u32 v7, v7, s39
	v_sub_nc_u32_e32 v10, v10, v17
	s_delay_alu instid0(VALU_DEP_3) | instskip(NEXT) | instid1(VALU_DEP_2)
	v_add3_u32 v11, v11, v14, v13
	v_mul_lo_u32 v17, v10, s42
	v_mul_lo_u32 v10, v10, s43
	v_add3_u32 v3, v15, v3, v7
	s_delay_alu instid0(VALU_DEP_3) | instskip(NEXT) | instid1(VALU_DEP_2)
	v_add3_u32 v14, v16, v11, v17
	v_add3_u32 v3, v9, v3, v10
	s_cbranch_scc1 .LBB513_1136
; %bb.1137:
	s_and_b32 s7, s7, 3
	s_delay_alu instid0(SALU_CYCLE_1)
	s_cmp_eq_u32 s7, 0
	s_cbranch_scc0 .LBB513_1140
	s_branch .LBB513_1142
.LBB513_1138:
	s_mov_b32 s6, -1
                                        ; implicit-def: $vgpr14
                                        ; implicit-def: $vgpr3
	s_branch .LBB513_1142
.LBB513_1139:
	v_mov_b32_e32 v1, v6
	v_mov_b32_e32 v3, 0
	s_and_b32 s7, s7, 3
	s_delay_alu instid0(SALU_CYCLE_1)
	s_cmp_eq_u32 s7, 0
	s_cbranch_scc1 .LBB513_1142
.LBB513_1140:
	s_lshl_b32 s2, s10, 3
	s_mul_i32 s4, s10, 12
	s_add_u32 s2, s2, s20
	s_addc_u32 s3, 0, s21
	s_add_u32 s2, s2, 0xc4
	s_addc_u32 s3, s3, 0
	;; [unrolled: 2-line block ×3, first 2 shown]
	.p2align	6
.LBB513_1141:                           ; =>This Inner Loop Header: Depth=1
	s_clause 0x1
	s_load_b64 s[10:11], s[4:5], 0x4
	s_load_b32 s14, s[4:5], 0xc
	s_load_b64 s[12:13], s[2:3], 0x0
	s_add_u32 s4, s4, 12
	s_addc_u32 s5, s5, 0
	s_add_u32 s2, s2, 8
	s_addc_u32 s3, s3, 0
	s_add_i32 s7, s7, -1
	s_delay_alu instid0(SALU_CYCLE_1) | instskip(SKIP_2) | instid1(VALU_DEP_1)
	s_cmp_lg_u32 s7, 0
	s_waitcnt lgkmcnt(0)
	v_mul_hi_u32 v7, s11, v1
	v_add_nc_u32_e32 v7, v1, v7
	s_delay_alu instid0(VALU_DEP_1) | instskip(NEXT) | instid1(VALU_DEP_1)
	v_lshrrev_b32_e32 v7, s14, v7
	v_mul_lo_u32 v9, v7, s10
	s_delay_alu instid0(VALU_DEP_1) | instskip(NEXT) | instid1(VALU_DEP_1)
	v_sub_nc_u32_e32 v1, v1, v9
	v_mad_u64_u32 v[9:10], null, v1, s12, v[14:15]
	v_mad_u64_u32 v[10:11], null, v1, s13, v[3:4]
	s_delay_alu instid0(VALU_DEP_2) | instskip(NEXT) | instid1(VALU_DEP_2)
	v_dual_mov_b32 v1, v7 :: v_dual_mov_b32 v14, v9
	v_mov_b32_e32 v3, v10
	s_cbranch_scc1 .LBB513_1141
.LBB513_1142:
	s_and_not1_b32 vcc_lo, exec_lo, s6
	s_cbranch_vccnz .LBB513_1145
; %bb.1143:
	s_clause 0x1
	s_load_b128 s[4:7], s[20:21], 0x4
	s_load_b64 s[2:3], s[20:21], 0xc4
	s_cmp_lt_u32 s30, 2
	s_waitcnt lgkmcnt(0)
	v_mul_hi_u32 v1, s5, v6
	s_delay_alu instid0(VALU_DEP_1) | instskip(NEXT) | instid1(VALU_DEP_1)
	v_add_nc_u32_e32 v1, v6, v1
	v_lshrrev_b32_e32 v1, s6, v1
	s_delay_alu instid0(VALU_DEP_1) | instskip(NEXT) | instid1(VALU_DEP_1)
	v_mul_lo_u32 v3, v1, s4
	v_sub_nc_u32_e32 v3, v6, v3
	s_delay_alu instid0(VALU_DEP_1)
	v_mul_lo_u32 v14, v3, s2
	v_mul_lo_u32 v3, v3, s3
	s_cbranch_scc1 .LBB513_1145
; %bb.1144:
	s_clause 0x1
	s_load_b128 s[4:7], s[20:21], 0x10
	s_load_b64 s[2:3], s[20:21], 0xcc
	s_waitcnt lgkmcnt(0)
	v_mul_hi_u32 v6, s5, v1
	s_delay_alu instid0(VALU_DEP_1) | instskip(NEXT) | instid1(VALU_DEP_1)
	v_add_nc_u32_e32 v6, v1, v6
	v_lshrrev_b32_e32 v6, s6, v6
	s_delay_alu instid0(VALU_DEP_1) | instskip(NEXT) | instid1(VALU_DEP_1)
	v_mul_lo_u32 v6, v6, s4
	v_sub_nc_u32_e32 v1, v1, v6
	s_delay_alu instid0(VALU_DEP_1) | instskip(SKIP_1) | instid1(VALU_DEP_1)
	v_mad_u64_u32 v[6:7], null, v1, s2, v[14:15]
	v_mad_u64_u32 v[9:10], null, v1, s3, v[3:4]
	v_dual_mov_b32 v14, v6 :: v_dual_mov_b32 v3, v9
.LBB513_1145:
	s_clause 0x1
	s_load_b32 s0, s[0:1], 0x178
	s_load_b128 s[4:7], s[20:21], 0x148
	s_waitcnt lgkmcnt(0)
	s_lshr_b32 s0, s0, 8
	s_delay_alu instid0(SALU_CYCLE_1) | instskip(SKIP_1) | instid1(VALU_DEP_1)
	v_and_b32_e64 v13, 0xff, s0
	v_add_co_u32 v0, s0, s6, v0
	v_add_co_ci_u32_e64 v1, null, s7, 0, s0
	s_delay_alu instid0(VALU_DEP_3)
	v_cmp_gt_i16_e32 vcc_lo, 11, v13
	s_mov_b32 s0, 0
	s_cbranch_vccnz .LBB513_1152
; %bb.1146:
	v_cmp_lt_i16_e32 vcc_lo, 25, v13
	s_mov_b32 s3, 0
	s_cbranch_vccz .LBB513_1158
; %bb.1147:
	v_cmp_lt_i16_e32 vcc_lo, 28, v13
	s_cbranch_vccz .LBB513_1160
; %bb.1148:
	v_cmp_lt_i16_e32 vcc_lo, 43, v13
	;; [unrolled: 3-line block ×3, first 2 shown]
	s_cbranch_vccz .LBB513_1166
; %bb.1150:
	v_cmp_eq_u16_e32 vcc_lo, 46, v13
	s_mov_b32 s1, 0
	s_cbranch_vccz .LBB513_1208
; %bb.1151:
	global_load_b32 v6, v[0:1], off
	s_mov_b32 s2, 0
	s_mov_b32 s0, -1
	s_waitcnt vmcnt(0)
	v_lshlrev_b32_e32 v6, 16, v6
	s_delay_alu instid0(VALU_DEP_1)
	v_cvt_f64_f32_e32 v[6:7], v6
	s_branch .LBB513_1210
.LBB513_1152:
	s_mov_b32 s10, s8
                                        ; implicit-def: $vgpr6_vgpr7
	s_cbranch_execz .LBB513_1273
; %bb.1153:
	v_cmp_gt_i16_e32 vcc_lo, 5, v13
	s_cbranch_vccnz .LBB513_1159
; %bb.1154:
	v_cmp_gt_i16_e32 vcc_lo, 8, v13
	s_cbranch_vccnz .LBB513_1161
	;; [unrolled: 3-line block ×3, first 2 shown]
; %bb.1156:
	v_cmp_lt_i16_e32 vcc_lo, 9, v13
	s_cbranch_vccz .LBB513_1167
; %bb.1157:
	global_load_b64 v[6:7], v[0:1], off
	s_mov_b32 s0, 0
	s_branch .LBB513_1168
.LBB513_1158:
	s_mov_b32 s2, 0
                                        ; implicit-def: $vgpr6_vgpr7
	s_cbranch_execnz .LBB513_1240
	s_branch .LBB513_1269
.LBB513_1159:
                                        ; implicit-def: $vgpr6_vgpr7
	s_branch .LBB513_1185
.LBB513_1160:
	s_mov_b32 s1, -1
	s_mov_b32 s2, 0
                                        ; implicit-def: $vgpr6_vgpr7
	s_branch .LBB513_1219
.LBB513_1161:
                                        ; implicit-def: $vgpr6_vgpr7
	s_branch .LBB513_1174
.LBB513_1162:
	s_mov_b32 s2, 0
                                        ; implicit-def: $vgpr6_vgpr7
	s_cbranch_execnz .LBB513_1215
	s_branch .LBB513_1218
.LBB513_1163:
	s_mov_b32 s0, -1
                                        ; implicit-def: $vgpr6_vgpr7
	s_branch .LBB513_1171
.LBB513_1164:
	s_cbranch_execnz .LBB513_1206
; %bb.1165:
	s_or_b32 s3, s3, exec_lo
	s_and_not1_b32 s12, s12, exec_lo
	s_or_b32 exec_lo, exec_lo, s2
	s_and_saveexec_b32 s2, s12
	s_delay_alu instid0(SALU_CYCLE_1)
	s_xor_b32 s2, exec_lo, s2
	s_cbranch_execnz .LBB513_1052
	s_branch .LBB513_1053
.LBB513_1166:
	s_mov_b32 s1, -1
	s_mov_b32 s2, 0
	s_branch .LBB513_1209
.LBB513_1167:
	s_mov_b32 s0, -1
                                        ; implicit-def: $vgpr6_vgpr7
.LBB513_1168:
	s_delay_alu instid0(SALU_CYCLE_1)
	s_and_not1_b32 vcc_lo, exec_lo, s0
	s_cbranch_vccnz .LBB513_1170
; %bb.1169:
	global_load_b32 v6, v[0:1], off
	s_waitcnt vmcnt(0)
	v_cvt_f64_f32_e32 v[6:7], v6
.LBB513_1170:
	s_mov_b32 s0, 0
.LBB513_1171:
	s_delay_alu instid0(SALU_CYCLE_1)
	s_and_not1_b32 vcc_lo, exec_lo, s0
	s_cbranch_vccnz .LBB513_1173
; %bb.1172:
	global_load_b32 v6, v[0:1], off
	s_waitcnt vmcnt(0)
	v_cvt_f32_f16_e32 v6, v6
	s_delay_alu instid0(VALU_DEP_1)
	v_cvt_f64_f32_e32 v[6:7], v6
.LBB513_1173:
	s_cbranch_execnz .LBB513_1184
.LBB513_1174:
	v_cmp_gt_i16_e32 vcc_lo, 6, v13
	s_cbranch_vccnz .LBB513_1177
; %bb.1175:
	v_cmp_lt_i16_e32 vcc_lo, 6, v13
	s_cbranch_vccz .LBB513_1178
; %bb.1176:
	global_load_b64 v[6:7], v[0:1], off
	s_mov_b32 s0, 0
	s_branch .LBB513_1179
.LBB513_1177:
	s_mov_b32 s0, -1
                                        ; implicit-def: $vgpr6_vgpr7
	s_branch .LBB513_1182
.LBB513_1178:
	s_mov_b32 s0, -1
                                        ; implicit-def: $vgpr6_vgpr7
.LBB513_1179:
	s_delay_alu instid0(SALU_CYCLE_1)
	s_and_not1_b32 vcc_lo, exec_lo, s0
	s_cbranch_vccnz .LBB513_1181
; %bb.1180:
	global_load_b32 v6, v[0:1], off
	s_waitcnt vmcnt(0)
	v_cvt_f64_f32_e32 v[6:7], v6
.LBB513_1181:
	s_mov_b32 s0, 0
.LBB513_1182:
	s_delay_alu instid0(SALU_CYCLE_1)
	s_and_not1_b32 vcc_lo, exec_lo, s0
	s_cbranch_vccnz .LBB513_1184
; %bb.1183:
	global_load_u16 v6, v[0:1], off
	s_waitcnt vmcnt(0)
	v_cvt_f32_f16_e32 v6, v6
	s_delay_alu instid0(VALU_DEP_1)
	v_cvt_f64_f32_e32 v[6:7], v6
.LBB513_1184:
	s_cbranch_execnz .LBB513_1203
.LBB513_1185:
	v_cmp_gt_i16_e32 vcc_lo, 2, v13
	s_cbranch_vccnz .LBB513_1189
; %bb.1186:
	v_cmp_gt_i16_e32 vcc_lo, 3, v13
	s_cbranch_vccnz .LBB513_1190
; %bb.1187:
	v_cmp_lt_i16_e32 vcc_lo, 3, v13
	s_cbranch_vccz .LBB513_1191
; %bb.1188:
	global_load_b64 v[6:7], v[0:1], off
	s_mov_b32 s0, 0
	s_waitcnt vmcnt(0)
	v_cvt_f64_i32_e32 v[9:10], v7
	v_cvt_f64_u32_e32 v[6:7], v6
	s_delay_alu instid0(VALU_DEP_2) | instskip(NEXT) | instid1(VALU_DEP_1)
	v_ldexp_f64 v[9:10], v[9:10], 32
	v_add_f64 v[6:7], v[9:10], v[6:7]
	s_branch .LBB513_1192
.LBB513_1189:
                                        ; implicit-def: $vgpr6_vgpr7
	s_branch .LBB513_1198
.LBB513_1190:
	s_mov_b32 s0, -1
                                        ; implicit-def: $vgpr6_vgpr7
	s_branch .LBB513_1195
.LBB513_1191:
	s_mov_b32 s0, -1
                                        ; implicit-def: $vgpr6_vgpr7
.LBB513_1192:
	s_delay_alu instid0(SALU_CYCLE_1)
	s_and_not1_b32 vcc_lo, exec_lo, s0
	s_cbranch_vccnz .LBB513_1194
; %bb.1193:
	global_load_b32 v6, v[0:1], off
	s_waitcnt vmcnt(0)
	v_cvt_f64_i32_e32 v[6:7], v6
.LBB513_1194:
	s_mov_b32 s0, 0
.LBB513_1195:
	s_delay_alu instid0(SALU_CYCLE_1)
	s_and_not1_b32 vcc_lo, exec_lo, s0
	s_cbranch_vccnz .LBB513_1197
; %bb.1196:
	global_load_i16 v6, v[0:1], off
	s_waitcnt vmcnt(0)
	v_cvt_f64_i32_e32 v[6:7], v6
.LBB513_1197:
	s_cbranch_execnz .LBB513_1203
.LBB513_1198:
	v_cmp_lt_i16_e32 vcc_lo, 0, v13
	s_mov_b32 s0, 0
	s_cbranch_vccz .LBB513_1200
; %bb.1199:
	global_load_i8 v6, v[0:1], off
	s_waitcnt vmcnt(0)
	v_cvt_f64_i32_e32 v[6:7], v6
	s_branch .LBB513_1201
.LBB513_1200:
	s_mov_b32 s0, -1
                                        ; implicit-def: $vgpr6_vgpr7
.LBB513_1201:
	s_delay_alu instid0(SALU_CYCLE_1)
	s_and_not1_b32 vcc_lo, exec_lo, s0
	s_cbranch_vccnz .LBB513_1203
; %bb.1202:
	global_load_u8 v0, v[0:1], off
	s_waitcnt vmcnt(0)
	v_cvt_f64_u32_e32 v[6:7], v0
.LBB513_1203:
	s_branch .LBB513_1274
.LBB513_1204:
	s_trap 2
	s_sendmsg_rtn_b32 s0, sendmsg(MSG_RTN_GET_DOORBELL)
	s_mov_b32 ttmp2, m0
	s_waitcnt lgkmcnt(0)
	s_and_b32 s0, s0, 0x3ff
	s_delay_alu instid0(SALU_CYCLE_1) | instskip(NEXT) | instid1(SALU_CYCLE_1)
	s_bitset1_b32 s0, 10
	s_mov_b32 m0, s0
	s_sendmsg sendmsg(MSG_INTERRUPT)
	s_mov_b32 m0, ttmp2
.LBB513_1205:                           ; =>This Inner Loop Header: Depth=1
	s_sethalt 5
	s_branch .LBB513_1205
.LBB513_1206:
	s_trap 2
	s_sendmsg_rtn_b32 s0, sendmsg(MSG_RTN_GET_DOORBELL)
	s_mov_b32 ttmp2, m0
	s_waitcnt lgkmcnt(0)
	s_and_b32 s0, s0, 0x3ff
	s_delay_alu instid0(SALU_CYCLE_1) | instskip(NEXT) | instid1(SALU_CYCLE_1)
	s_bitset1_b32 s0, 10
	s_mov_b32 m0, s0
	s_sendmsg sendmsg(MSG_INTERRUPT)
	s_mov_b32 m0, ttmp2
.LBB513_1207:                           ; =>This Inner Loop Header: Depth=1
	s_sethalt 5
	s_branch .LBB513_1207
.LBB513_1208:
	s_mov_b32 s2, -1
.LBB513_1209:
                                        ; implicit-def: $vgpr6_vgpr7
.LBB513_1210:
	s_and_b32 vcc_lo, exec_lo, s1
	s_cbranch_vccz .LBB513_1213
; %bb.1211:
	v_cmp_eq_u16_e32 vcc_lo, 44, v13
	s_cbranch_vccz .LBB513_1214
; %bb.1212:
	global_load_u8 v9, v[0:1], off
	s_mov_b32 s2, 0
	s_mov_b32 s0, -1
	s_waitcnt vmcnt(0)
	v_cmp_ne_u32_e32 vcc_lo, 0xff, v9
	v_lshlrev_b32_e32 v6, 23, v9
	s_delay_alu instid0(VALU_DEP_1) | instskip(NEXT) | instid1(VALU_DEP_1)
	v_cvt_f64_f32_e32 v[6:7], v6
	v_cndmask_b32_e32 v7, 0x7ff80000, v7, vcc_lo
	s_delay_alu instid0(VALU_DEP_2) | instskip(SKIP_1) | instid1(VALU_DEP_3)
	v_cndmask_b32_e32 v6, 0x20000000, v6, vcc_lo
	v_cmp_ne_u32_e32 vcc_lo, 0, v9
	v_cndmask_b32_e32 v7, 0x38000000, v7, vcc_lo
	s_delay_alu instid0(VALU_DEP_3)
	v_cndmask_b32_e32 v6, 0, v6, vcc_lo
.LBB513_1213:
	s_branch .LBB513_1218
.LBB513_1214:
	s_mov_b32 s2, -1
                                        ; implicit-def: $vgpr6_vgpr7
	s_branch .LBB513_1218
.LBB513_1215:
	v_cmp_eq_u16_e32 vcc_lo, 29, v13
	s_cbranch_vccz .LBB513_1217
; %bb.1216:
	global_load_b64 v[6:7], v[0:1], off
	s_mov_b32 s2, 0
	s_mov_b32 s0, -1
	s_mov_b32 s1, 0
	s_waitcnt vmcnt(0)
	v_cvt_f64_u32_e32 v[9:10], v7
	v_cvt_f64_u32_e32 v[6:7], v6
	s_delay_alu instid0(VALU_DEP_2) | instskip(NEXT) | instid1(VALU_DEP_1)
	v_ldexp_f64 v[9:10], v[9:10], 32
	v_add_f64 v[6:7], v[9:10], v[6:7]
	s_branch .LBB513_1219
.LBB513_1217:
	s_mov_b32 s2, -1
                                        ; implicit-def: $vgpr6_vgpr7
.LBB513_1218:
	s_mov_b32 s1, 0
.LBB513_1219:
	s_delay_alu instid0(SALU_CYCLE_1)
	s_and_b32 vcc_lo, exec_lo, s1
	s_cbranch_vccz .LBB513_1239
; %bb.1220:
	v_cmp_gt_i16_e32 vcc_lo, 27, v13
	s_cbranch_vccnz .LBB513_1223
; %bb.1221:
	v_cmp_lt_i16_e32 vcc_lo, 27, v13
	s_cbranch_vccz .LBB513_1224
; %bb.1222:
	global_load_b32 v6, v[0:1], off
	s_mov_b32 s0, 0
	s_waitcnt vmcnt(0)
	v_cvt_f64_u32_e32 v[6:7], v6
	s_branch .LBB513_1225
.LBB513_1223:
	s_mov_b32 s0, -1
                                        ; implicit-def: $vgpr6_vgpr7
	s_branch .LBB513_1228
.LBB513_1224:
	s_mov_b32 s0, -1
                                        ; implicit-def: $vgpr6_vgpr7
.LBB513_1225:
	s_delay_alu instid0(SALU_CYCLE_1)
	s_and_not1_b32 vcc_lo, exec_lo, s0
	s_cbranch_vccnz .LBB513_1227
; %bb.1226:
	global_load_u16 v6, v[0:1], off
	s_waitcnt vmcnt(0)
	v_cvt_f64_u32_e32 v[6:7], v6
.LBB513_1227:
	s_mov_b32 s0, 0
.LBB513_1228:
	s_delay_alu instid0(SALU_CYCLE_1)
	s_and_not1_b32 vcc_lo, exec_lo, s0
	s_cbranch_vccnz .LBB513_1238
; %bb.1229:
	global_load_u8 v9, v[0:1], off
	s_mov_b32 s10, 0
	s_mov_b32 s11, exec_lo
                                        ; implicit-def: $sgpr0_sgpr1
	s_waitcnt vmcnt(0)
	v_cmpx_lt_i16_e32 0x7f, v9
	s_xor_b32 s11, exec_lo, s11
	s_cbranch_execz .LBB513_1233
; %bb.1230:
	s_mov_b32 s12, -1
	s_mov_b32 s10, exec_lo
                                        ; implicit-def: $sgpr0_sgpr1
	v_cmpx_eq_u16_e32 0x80, v9
; %bb.1231:
	s_mov_b32 s1, 0x7ff80000
	s_brev_b32 s0, 4
	s_xor_b32 s12, exec_lo, -1
; %bb.1232:
	s_or_b32 exec_lo, exec_lo, s10
	s_delay_alu instid0(SALU_CYCLE_1)
	s_and_b32 s10, s12, exec_lo
.LBB513_1233:
	s_or_saveexec_b32 s11, s11
	v_dual_mov_b32 v7, s1 :: v_dual_mov_b32 v6, s0
	s_xor_b32 exec_lo, exec_lo, s11
; %bb.1234:
	v_cmp_ne_u16_e32 vcc_lo, 0, v9
	v_mov_b32_e32 v6, 0
	v_mov_b32_e32 v7, 0
	s_and_not1_b32 s0, s10, exec_lo
	s_and_b32 s1, vcc_lo, exec_lo
	s_delay_alu instid0(SALU_CYCLE_1)
	s_or_b32 s10, s0, s1
; %bb.1235:
	s_or_b32 exec_lo, exec_lo, s11
	s_and_saveexec_b32 s0, s10
	s_cbranch_execz .LBB513_1237
; %bb.1236:
	v_and_b32_e32 v6, 0xffff, v9
	v_lshlrev_b32_e32 v9, 24, v9
	s_delay_alu instid0(VALU_DEP_2) | instskip(NEXT) | instid1(VALU_DEP_2)
	v_and_b32_e32 v7, 7, v6
	v_and_b32_e32 v9, 0x80000000, v9
	s_delay_alu instid0(VALU_DEP_2) | instskip(NEXT) | instid1(VALU_DEP_1)
	v_clz_i32_u32_e32 v10, v7
	v_min_u32_e32 v10, 32, v10
	s_delay_alu instid0(VALU_DEP_1) | instskip(SKIP_1) | instid1(VALU_DEP_2)
	v_subrev_nc_u32_e32 v11, 28, v10
	v_sub_nc_u32_e32 v10, 29, v10
	v_lshlrev_b32_e32 v11, v11, v6
	v_bfe_u32 v6, v6, 3, 4
	s_delay_alu instid0(VALU_DEP_1) | instskip(NEXT) | instid1(VALU_DEP_3)
	v_cmp_eq_u32_e32 vcc_lo, 0, v6
	v_dual_cndmask_b32 v6, v6, v10 :: v_dual_and_b32 v11, 7, v11
	s_delay_alu instid0(VALU_DEP_1) | instskip(NEXT) | instid1(VALU_DEP_2)
	v_cndmask_b32_e32 v7, v7, v11, vcc_lo
	v_lshl_add_u32 v6, v6, 23, 0x3b800000
	s_delay_alu instid0(VALU_DEP_2) | instskip(NEXT) | instid1(VALU_DEP_1)
	v_lshlrev_b32_e32 v7, 20, v7
	v_or3_b32 v6, v9, v6, v7
	s_delay_alu instid0(VALU_DEP_1)
	v_cvt_f64_f32_e32 v[6:7], v6
.LBB513_1237:
	s_or_b32 exec_lo, exec_lo, s0
.LBB513_1238:
	s_mov_b32 s0, -1
.LBB513_1239:
	s_branch .LBB513_1269
.LBB513_1240:
	v_cmp_lt_i16_e32 vcc_lo, 22, v13
	s_cbranch_vccz .LBB513_1252
; %bb.1241:
	v_cmp_gt_i16_e32 vcc_lo, 24, v13
	s_cbranch_vccnz .LBB513_1253
; %bb.1242:
	v_cmp_lt_i16_e32 vcc_lo, 24, v13
	s_cbranch_vccz .LBB513_1254
; %bb.1243:
	global_load_u8 v9, v[0:1], off
	s_mov_b32 s10, exec_lo
                                        ; implicit-def: $sgpr0_sgpr1
	s_waitcnt vmcnt(0)
	v_cmpx_lt_i16_e32 0x7f, v9
	s_xor_b32 s10, exec_lo, s10
	s_cbranch_execz .LBB513_1247
; %bb.1244:
	s_mov_b32 s11, -1
	s_mov_b32 s3, exec_lo
                                        ; implicit-def: $sgpr0_sgpr1
	v_cmpx_eq_u16_e32 0x80, v9
; %bb.1245:
	s_mov_b32 s1, 0x7ff80000
	s_brev_b32 s0, 4
	s_xor_b32 s11, exec_lo, -1
; %bb.1246:
	s_or_b32 exec_lo, exec_lo, s3
	s_delay_alu instid0(SALU_CYCLE_1)
	s_and_b32 s3, s11, exec_lo
.LBB513_1247:
	s_or_saveexec_b32 s10, s10
	v_dual_mov_b32 v7, s1 :: v_dual_mov_b32 v6, s0
	s_xor_b32 exec_lo, exec_lo, s10
; %bb.1248:
	v_cmp_ne_u16_e32 vcc_lo, 0, v9
	v_mov_b32_e32 v6, 0
	v_mov_b32_e32 v7, 0
	s_and_not1_b32 s0, s3, exec_lo
	s_and_b32 s1, vcc_lo, exec_lo
	s_delay_alu instid0(SALU_CYCLE_1)
	s_or_b32 s3, s0, s1
; %bb.1249:
	s_or_b32 exec_lo, exec_lo, s10
	s_and_saveexec_b32 s0, s3
	s_cbranch_execz .LBB513_1251
; %bb.1250:
	v_and_b32_e32 v6, 0xffff, v9
	v_lshlrev_b32_e32 v9, 24, v9
	s_delay_alu instid0(VALU_DEP_2) | instskip(NEXT) | instid1(VALU_DEP_2)
	v_and_b32_e32 v7, 3, v6
	v_and_b32_e32 v9, 0x80000000, v9
	s_delay_alu instid0(VALU_DEP_2) | instskip(NEXT) | instid1(VALU_DEP_1)
	v_clz_i32_u32_e32 v10, v7
	v_min_u32_e32 v10, 32, v10
	s_delay_alu instid0(VALU_DEP_1) | instskip(SKIP_1) | instid1(VALU_DEP_2)
	v_subrev_nc_u32_e32 v11, 29, v10
	v_sub_nc_u32_e32 v10, 30, v10
	v_lshlrev_b32_e32 v11, v11, v6
	v_bfe_u32 v6, v6, 2, 5
	s_delay_alu instid0(VALU_DEP_1) | instskip(NEXT) | instid1(VALU_DEP_3)
	v_cmp_eq_u32_e32 vcc_lo, 0, v6
	v_dual_cndmask_b32 v6, v6, v10 :: v_dual_and_b32 v11, 3, v11
	s_delay_alu instid0(VALU_DEP_1) | instskip(NEXT) | instid1(VALU_DEP_2)
	v_cndmask_b32_e32 v7, v7, v11, vcc_lo
	v_lshl_add_u32 v6, v6, 23, 0x37800000
	s_delay_alu instid0(VALU_DEP_2) | instskip(NEXT) | instid1(VALU_DEP_1)
	v_lshlrev_b32_e32 v7, 21, v7
	v_or3_b32 v6, v9, v6, v7
	s_delay_alu instid0(VALU_DEP_1)
	v_cvt_f64_f32_e32 v[6:7], v6
.LBB513_1251:
	s_or_b32 exec_lo, exec_lo, s0
	s_mov_b32 s0, 0
	s_branch .LBB513_1255
.LBB513_1252:
                                        ; implicit-def: $vgpr6_vgpr7
	s_mov_b32 s3, 0
	s_branch .LBB513_1261
.LBB513_1253:
	s_mov_b32 s0, -1
                                        ; implicit-def: $vgpr6_vgpr7
	s_branch .LBB513_1258
.LBB513_1254:
	s_mov_b32 s0, -1
                                        ; implicit-def: $vgpr6_vgpr7
.LBB513_1255:
	s_delay_alu instid0(SALU_CYCLE_1)
	s_and_b32 vcc_lo, exec_lo, s0
	s_cbranch_vccz .LBB513_1257
; %bb.1256:
	global_load_u8 v6, v[0:1], off
	s_waitcnt vmcnt(0)
	v_lshlrev_b32_e32 v6, 24, v6
	s_delay_alu instid0(VALU_DEP_1) | instskip(NEXT) | instid1(VALU_DEP_1)
	v_and_b32_e32 v7, 0x7f000000, v6
	v_clz_i32_u32_e32 v9, v7
	v_add_nc_u32_e32 v11, 0x1000000, v7
	v_cmp_ne_u32_e32 vcc_lo, 0, v7
	s_delay_alu instid0(VALU_DEP_3) | instskip(NEXT) | instid1(VALU_DEP_1)
	v_min_u32_e32 v9, 32, v9
	v_sub_nc_u32_e64 v9, v9, 4 clamp
	s_delay_alu instid0(VALU_DEP_1) | instskip(SKIP_1) | instid1(VALU_DEP_2)
	v_lshlrev_b32_e32 v10, v9, v7
	v_lshlrev_b32_e32 v9, 23, v9
	v_lshrrev_b32_e32 v10, 4, v10
	s_delay_alu instid0(VALU_DEP_1) | instskip(SKIP_1) | instid1(VALU_DEP_2)
	v_sub_nc_u32_e32 v9, v10, v9
	v_ashrrev_i32_e32 v10, 8, v11
	v_add_nc_u32_e32 v9, 0x3c000000, v9
	s_delay_alu instid0(VALU_DEP_1) | instskip(NEXT) | instid1(VALU_DEP_1)
	v_and_or_b32 v9, 0x7f800000, v10, v9
	v_cndmask_b32_e32 v7, 0, v9, vcc_lo
	s_delay_alu instid0(VALU_DEP_1) | instskip(NEXT) | instid1(VALU_DEP_1)
	v_and_or_b32 v6, 0x80000000, v6, v7
	v_cvt_f64_f32_e32 v[6:7], v6
.LBB513_1257:
	s_mov_b32 s0, 0
.LBB513_1258:
	s_delay_alu instid0(SALU_CYCLE_1)
	s_and_not1_b32 vcc_lo, exec_lo, s0
	s_cbranch_vccnz .LBB513_1260
; %bb.1259:
	global_load_u8 v6, v[0:1], off
	s_waitcnt vmcnt(0)
	v_lshlrev_b32_e32 v7, 25, v6
	v_lshlrev_b16 v6, 8, v6
	s_delay_alu instid0(VALU_DEP_2) | instskip(NEXT) | instid1(VALU_DEP_2)
	v_lshrrev_b32_e32 v9, 4, v7
	v_and_or_b32 v10, 0x7f00, v6, 0.5
	v_cmp_gt_u32_e32 vcc_lo, 0x8000000, v7
	v_bfe_i32 v6, v6, 0, 16
	s_delay_alu instid0(VALU_DEP_4) | instskip(NEXT) | instid1(VALU_DEP_1)
	v_or_b32_e32 v9, 0x70000000, v9
	v_dual_add_f32 v10, -0.5, v10 :: v_dual_mul_f32 v9, 0x7800000, v9
	s_delay_alu instid0(VALU_DEP_1) | instskip(NEXT) | instid1(VALU_DEP_1)
	v_cndmask_b32_e32 v7, v9, v10, vcc_lo
	v_and_or_b32 v6, 0x80000000, v6, v7
	s_delay_alu instid0(VALU_DEP_1)
	v_cvt_f64_f32_e32 v[6:7], v6
.LBB513_1260:
	s_mov_b32 s0, -1
	s_mov_b32 s3, 0
	s_cbranch_execnz .LBB513_1269
.LBB513_1261:
	v_cmp_lt_i16_e32 vcc_lo, 14, v13
	s_cbranch_vccz .LBB513_1264
; %bb.1262:
	v_cmp_eq_u16_e32 vcc_lo, 15, v13
	s_cbranch_vccz .LBB513_1265
; %bb.1263:
	global_load_u16 v6, v[0:1], off
	s_mov_b32 s2, 0
	s_mov_b32 s0, -1
	s_waitcnt vmcnt(0)
	v_lshlrev_b32_e32 v6, 16, v6
	s_delay_alu instid0(VALU_DEP_1)
	v_cvt_f64_f32_e32 v[6:7], v6
	s_branch .LBB513_1266
.LBB513_1264:
	s_mov_b32 s1, -1
                                        ; implicit-def: $vgpr6_vgpr7
	s_branch .LBB513_1267
.LBB513_1265:
	s_mov_b32 s2, -1
                                        ; implicit-def: $vgpr6_vgpr7
.LBB513_1266:
	s_mov_b32 s1, 0
.LBB513_1267:
	s_delay_alu instid0(SALU_CYCLE_1)
	s_and_b32 vcc_lo, exec_lo, s1
	s_cbranch_vccz .LBB513_1269
; %bb.1268:
	v_cmp_ne_u16_e64 s2, 11, v13
	s_mov_b32 s3, -1
                                        ; implicit-def: $vgpr6_vgpr7
.LBB513_1269:
	s_delay_alu instid0(VALU_DEP_1)
	s_and_b32 vcc_lo, exec_lo, s2
	s_mov_b32 s10, s8
	s_cbranch_vccnz .LBB513_1297
; %bb.1270:
	s_and_not1_b32 vcc_lo, exec_lo, s3
	s_cbranch_vccnz .LBB513_1272
.LBB513_1271:
	global_load_u8 v6, v[0:1], off
	s_mov_b32 s0, -1
	s_waitcnt vmcnt(0)
	v_cmp_ne_u16_e32 vcc_lo, 0, v6
	v_mov_b32_e32 v6, 0
	v_cndmask_b32_e64 v7, 0, 0x3ff00000, vcc_lo
.LBB513_1272:
.LBB513_1273:
	s_and_not1_b32 vcc_lo, exec_lo, s0
	s_cbranch_vccnz .LBB513_1699
.LBB513_1274:
	s_load_b64 s[0:1], s[20:21], 0x158
	s_mov_b32 s2, exec_lo
	s_waitcnt lgkmcnt(0)
	v_dual_mov_b32 v0, s0 :: v_dual_mov_b32 v1, s1
	s_waitcnt vmcnt(0)
	s_delay_alu instid0(VALU_DEP_2)
	v_cmpx_o_f64_e32 v[6:7], v[6:7]
	s_cbranch_execz .LBB513_1278
; %bb.1275:
	s_load_b64 s[12:13], s[20:21], 0x160
	s_mov_b32 s3, exec_lo
	s_waitcnt lgkmcnt(0)
	v_dual_mov_b32 v0, s12 :: v_dual_mov_b32 v1, s13
	v_cmpx_neq_f64_e32 0x7ff00000, v[6:7]
	s_cbranch_execz .LBB513_1277
; %bb.1276:
	v_cmp_eq_f64_e32 vcc_lo, 0xfff00000, v[6:7]
	s_load_b64 s[12:13], s[20:21], 0x168
	s_waitcnt lgkmcnt(0)
	v_cndmask_b32_e64 v1, v7, s13, vcc_lo
	v_cndmask_b32_e64 v0, v6, s12, vcc_lo
.LBB513_1277:
	s_or_b32 exec_lo, exec_lo, s3
.LBB513_1278:
	s_delay_alu instid0(SALU_CYCLE_1) | instskip(SKIP_2) | instid1(VALU_DEP_1)
	s_or_b32 exec_lo, exec_lo, s2
	v_cmp_gt_i16_e32 vcc_lo, 11, v13
	v_add_co_u32 v5, s2, s6, v5
	v_add_co_ci_u32_e64 v6, null, s7, 0, s2
	s_mov_b32 s2, 0
	s_cbranch_vccnz .LBB513_1285
; %bb.1279:
	v_cmp_lt_i16_e32 vcc_lo, 25, v13
	s_mov_b32 s12, 0
	s_cbranch_vccz .LBB513_1291
; %bb.1280:
	v_cmp_lt_i16_e32 vcc_lo, 28, v13
	s_cbranch_vccz .LBB513_1293
; %bb.1281:
	v_cmp_lt_i16_e32 vcc_lo, 43, v13
	;; [unrolled: 3-line block ×3, first 2 shown]
	s_cbranch_vccz .LBB513_1301
; %bb.1283:
	v_cmp_eq_u16_e32 vcc_lo, 46, v13
	s_mov_b32 s3, 0
	s_cbranch_vccz .LBB513_1345
; %bb.1284:
	global_load_b32 v7, v[5:6], off
	s_mov_b32 s11, 0
	s_mov_b32 s2, -1
	s_waitcnt vmcnt(0)
	v_lshlrev_b32_e32 v7, 16, v7
	s_delay_alu instid0(VALU_DEP_1)
	v_cvt_f64_f32_e32 v[9:10], v7
	s_branch .LBB513_1347
.LBB513_1285:
                                        ; implicit-def: $vgpr9_vgpr10
	s_cbranch_execz .LBB513_1412
; %bb.1286:
	v_cmp_gt_i16_e32 vcc_lo, 5, v13
	s_cbranch_vccnz .LBB513_1292
; %bb.1287:
	v_cmp_gt_i16_e32 vcc_lo, 8, v13
	s_cbranch_vccnz .LBB513_1294
	;; [unrolled: 3-line block ×3, first 2 shown]
; %bb.1289:
	v_cmp_lt_i16_e32 vcc_lo, 9, v13
	s_cbranch_vccz .LBB513_1302
; %bb.1290:
	global_load_b64 v[9:10], v[5:6], off
	s_mov_b32 s2, 0
	s_branch .LBB513_1303
.LBB513_1291:
	s_mov_b32 s11, 0
                                        ; implicit-def: $vgpr9_vgpr10
	s_cbranch_execnz .LBB513_1378
	s_branch .LBB513_1408
.LBB513_1292:
                                        ; implicit-def: $vgpr9_vgpr10
	s_branch .LBB513_1321
.LBB513_1293:
	s_mov_b32 s3, -1
	s_mov_b32 s11, 0
                                        ; implicit-def: $vgpr9_vgpr10
	s_branch .LBB513_1357
.LBB513_1294:
	s_mov_b32 s2, -1
                                        ; implicit-def: $vgpr9_vgpr10
	s_branch .LBB513_1309
.LBB513_1295:
	s_mov_b32 s3, -1
	s_mov_b32 s11, 0
                                        ; implicit-def: $vgpr9_vgpr10
	s_branch .LBB513_1352
.LBB513_1296:
	s_mov_b32 s2, -1
                                        ; implicit-def: $vgpr9_vgpr10
	s_branch .LBB513_1306
.LBB513_1297:
	s_cbranch_execnz .LBB513_1341
; %bb.1298:
	s_or_b32 s10, s8, exec_lo
                                        ; implicit-def: $vgpr6_vgpr7
	s_cbranch_execz .LBB513_1271
	s_branch .LBB513_1272
.LBB513_1299:
	s_or_saveexec_b32 s7, s7
                                        ; implicit-def: $sgpr8
	s_delay_alu instid0(SALU_CYCLE_1)
	s_xor_b32 exec_lo, exec_lo, s7
	s_cbranch_execz .LBB513_1003
.LBB513_1300:
	v_add_f32_e64 v3, 0x46000000, |v2|
	s_and_not1_b32 s5, s5, exec_lo
	s_mov_b32 s8, 0
	s_delay_alu instid0(VALU_DEP_1) | instskip(NEXT) | instid1(VALU_DEP_1)
	v_and_b32_e32 v3, 0xff, v3
	v_cmp_ne_u32_e32 vcc_lo, 0, v3
	s_and_b32 s9, vcc_lo, exec_lo
	s_delay_alu instid0(SALU_CYCLE_1)
	s_or_b32 s5, s5, s9
	s_or_b32 exec_lo, exec_lo, s7
	v_mov_b32_e32 v6, s8
	s_and_saveexec_b32 s7, s5
	s_cbranch_execnz .LBB513_1004
	s_branch .LBB513_1005
.LBB513_1301:
	s_mov_b32 s3, -1
	s_mov_b32 s11, 0
	s_branch .LBB513_1346
.LBB513_1302:
	s_mov_b32 s2, -1
                                        ; implicit-def: $vgpr9_vgpr10
.LBB513_1303:
	s_delay_alu instid0(SALU_CYCLE_1)
	s_and_not1_b32 vcc_lo, exec_lo, s2
	s_cbranch_vccnz .LBB513_1305
; %bb.1304:
	global_load_b32 v7, v[5:6], off
	s_waitcnt vmcnt(0)
	v_cvt_f64_f32_e32 v[9:10], v7
.LBB513_1305:
	s_mov_b32 s2, 0
.LBB513_1306:
	s_delay_alu instid0(SALU_CYCLE_1)
	s_and_not1_b32 vcc_lo, exec_lo, s2
	s_cbranch_vccnz .LBB513_1308
; %bb.1307:
	global_load_b32 v7, v[5:6], off
	s_waitcnt vmcnt(0)
	v_cvt_f32_f16_e32 v7, v7
	s_delay_alu instid0(VALU_DEP_1)
	v_cvt_f64_f32_e32 v[9:10], v7
.LBB513_1308:
	s_mov_b32 s2, 0
.LBB513_1309:
	s_delay_alu instid0(SALU_CYCLE_1)
	s_and_not1_b32 vcc_lo, exec_lo, s2
	s_cbranch_vccnz .LBB513_1320
; %bb.1310:
	v_cmp_gt_i16_e32 vcc_lo, 6, v13
	s_cbranch_vccnz .LBB513_1313
; %bb.1311:
	v_cmp_lt_i16_e32 vcc_lo, 6, v13
	s_cbranch_vccz .LBB513_1314
; %bb.1312:
	global_load_b64 v[9:10], v[5:6], off
	s_mov_b32 s2, 0
	s_branch .LBB513_1315
.LBB513_1313:
	s_mov_b32 s2, -1
                                        ; implicit-def: $vgpr9_vgpr10
	s_branch .LBB513_1318
.LBB513_1314:
	s_mov_b32 s2, -1
                                        ; implicit-def: $vgpr9_vgpr10
.LBB513_1315:
	s_delay_alu instid0(SALU_CYCLE_1)
	s_and_not1_b32 vcc_lo, exec_lo, s2
	s_cbranch_vccnz .LBB513_1317
; %bb.1316:
	global_load_b32 v7, v[5:6], off
	s_waitcnt vmcnt(0)
	v_cvt_f64_f32_e32 v[9:10], v7
.LBB513_1317:
	s_mov_b32 s2, 0
.LBB513_1318:
	s_delay_alu instid0(SALU_CYCLE_1)
	s_and_not1_b32 vcc_lo, exec_lo, s2
	s_cbranch_vccnz .LBB513_1320
; %bb.1319:
	global_load_u16 v7, v[5:6], off
	s_waitcnt vmcnt(0)
	v_cvt_f32_f16_e32 v7, v7
	s_delay_alu instid0(VALU_DEP_1)
	v_cvt_f64_f32_e32 v[9:10], v7
.LBB513_1320:
	s_cbranch_execnz .LBB513_1340
.LBB513_1321:
	v_cmp_gt_i16_e32 vcc_lo, 2, v13
	s_cbranch_vccnz .LBB513_1325
; %bb.1322:
	v_cmp_gt_i16_e32 vcc_lo, 3, v13
	s_cbranch_vccnz .LBB513_1326
; %bb.1323:
	v_cmp_lt_i16_e32 vcc_lo, 3, v13
	s_cbranch_vccz .LBB513_1327
; %bb.1324:
	global_load_b64 v[9:10], v[5:6], off
	s_mov_b32 s2, 0
	s_waitcnt vmcnt(0)
	v_cvt_f64_i32_e32 v[10:11], v10
	v_cvt_f64_u32_e32 v[15:16], v9
	s_delay_alu instid0(VALU_DEP_2) | instskip(NEXT) | instid1(VALU_DEP_1)
	v_ldexp_f64 v[10:11], v[10:11], 32
	v_add_f64 v[9:10], v[10:11], v[15:16]
	s_branch .LBB513_1328
.LBB513_1325:
	s_mov_b32 s2, -1
                                        ; implicit-def: $vgpr9_vgpr10
	s_branch .LBB513_1334
.LBB513_1326:
	s_mov_b32 s2, -1
                                        ; implicit-def: $vgpr9_vgpr10
	s_branch .LBB513_1331
.LBB513_1327:
	s_mov_b32 s2, -1
                                        ; implicit-def: $vgpr9_vgpr10
.LBB513_1328:
	s_delay_alu instid0(SALU_CYCLE_1)
	s_and_not1_b32 vcc_lo, exec_lo, s2
	s_cbranch_vccnz .LBB513_1330
; %bb.1329:
	global_load_b32 v7, v[5:6], off
	s_waitcnt vmcnt(0)
	v_cvt_f64_i32_e32 v[9:10], v7
.LBB513_1330:
	s_mov_b32 s2, 0
.LBB513_1331:
	s_delay_alu instid0(SALU_CYCLE_1)
	s_and_not1_b32 vcc_lo, exec_lo, s2
	s_cbranch_vccnz .LBB513_1333
; %bb.1332:
	global_load_i16 v7, v[5:6], off
	s_waitcnt vmcnt(0)
	v_cvt_f64_i32_e32 v[9:10], v7
.LBB513_1333:
	s_mov_b32 s2, 0
.LBB513_1334:
	s_delay_alu instid0(SALU_CYCLE_1)
	s_and_not1_b32 vcc_lo, exec_lo, s2
	s_cbranch_vccnz .LBB513_1340
; %bb.1335:
	v_cmp_lt_i16_e32 vcc_lo, 0, v13
	s_mov_b32 s2, 0
	s_cbranch_vccz .LBB513_1337
; %bb.1336:
	global_load_i8 v7, v[5:6], off
	s_waitcnt vmcnt(0)
	v_cvt_f64_i32_e32 v[9:10], v7
	s_branch .LBB513_1338
.LBB513_1337:
	s_mov_b32 s2, -1
                                        ; implicit-def: $vgpr9_vgpr10
.LBB513_1338:
	s_delay_alu instid0(SALU_CYCLE_1)
	s_and_not1_b32 vcc_lo, exec_lo, s2
	s_cbranch_vccnz .LBB513_1340
; %bb.1339:
	global_load_u8 v5, v[5:6], off
	s_waitcnt vmcnt(0)
	v_cvt_f64_u32_e32 v[9:10], v5
.LBB513_1340:
	s_branch .LBB513_1413
.LBB513_1341:
	s_trap 2
	s_sendmsg_rtn_b32 s0, sendmsg(MSG_RTN_GET_DOORBELL)
	s_mov_b32 ttmp2, m0
	s_waitcnt lgkmcnt(0)
	s_and_b32 s0, s0, 0x3ff
	s_delay_alu instid0(SALU_CYCLE_1) | instskip(NEXT) | instid1(SALU_CYCLE_1)
	s_bitset1_b32 s0, 10
	s_mov_b32 m0, s0
	s_sendmsg sendmsg(MSG_INTERRUPT)
	s_mov_b32 m0, ttmp2
.LBB513_1342:                           ; =>This Inner Loop Header: Depth=1
	s_sethalt 5
	s_branch .LBB513_1342
.LBB513_1343:
	s_or_saveexec_b32 s8, s8
                                        ; implicit-def: $sgpr9
	s_delay_alu instid0(SALU_CYCLE_1)
	s_xor_b32 exec_lo, exec_lo, s8
	s_cbranch_execz .LBB513_1015
.LBB513_1344:
	v_add_f32_e64 v3, 0x42800000, |v2|
	s_and_not1_b32 s7, s7, exec_lo
	s_mov_b32 s9, 0
	s_delay_alu instid0(VALU_DEP_1) | instskip(NEXT) | instid1(VALU_DEP_1)
	v_and_b32_e32 v3, 0xff, v3
	v_cmp_ne_u32_e32 vcc_lo, 0, v3
	s_and_b32 s10, vcc_lo, exec_lo
	s_delay_alu instid0(SALU_CYCLE_1)
	s_or_b32 s7, s7, s10
	s_or_b32 exec_lo, exec_lo, s8
	v_mov_b32_e32 v6, s9
	s_and_saveexec_b32 s8, s7
	s_cbranch_execnz .LBB513_1016
	s_branch .LBB513_1017
.LBB513_1345:
	s_mov_b32 s11, -1
.LBB513_1346:
                                        ; implicit-def: $vgpr9_vgpr10
.LBB513_1347:
	s_and_b32 vcc_lo, exec_lo, s3
	s_cbranch_vccz .LBB513_1351
; %bb.1348:
	v_cmp_eq_u16_e32 vcc_lo, 44, v13
	s_cbranch_vccz .LBB513_1350
; %bb.1349:
	global_load_u8 v7, v[5:6], off
	s_mov_b32 s11, 0
	s_mov_b32 s2, -1
	s_waitcnt vmcnt(0)
	v_cmp_ne_u32_e32 vcc_lo, 0xff, v7
	v_lshlrev_b32_e32 v9, 23, v7
	s_delay_alu instid0(VALU_DEP_1) | instskip(NEXT) | instid1(VALU_DEP_1)
	v_cvt_f64_f32_e32 v[9:10], v9
	v_cndmask_b32_e32 v10, 0x7ff80000, v10, vcc_lo
	s_delay_alu instid0(VALU_DEP_2) | instskip(SKIP_1) | instid1(VALU_DEP_3)
	v_cndmask_b32_e32 v9, 0x20000000, v9, vcc_lo
	v_cmp_ne_u32_e32 vcc_lo, 0, v7
	v_cndmask_b32_e32 v10, 0x38000000, v10, vcc_lo
	s_delay_alu instid0(VALU_DEP_3)
	v_cndmask_b32_e32 v9, 0, v9, vcc_lo
	s_branch .LBB513_1351
.LBB513_1350:
	s_mov_b32 s11, -1
                                        ; implicit-def: $vgpr9_vgpr10
.LBB513_1351:
	s_mov_b32 s3, 0
.LBB513_1352:
	s_delay_alu instid0(SALU_CYCLE_1)
	s_and_b32 vcc_lo, exec_lo, s3
	s_cbranch_vccz .LBB513_1356
; %bb.1353:
	v_cmp_eq_u16_e32 vcc_lo, 29, v13
	s_cbranch_vccz .LBB513_1355
; %bb.1354:
	global_load_b64 v[9:10], v[5:6], off
	s_mov_b32 s11, 0
	s_mov_b32 s2, -1
	s_mov_b32 s3, 0
	s_waitcnt vmcnt(0)
	v_cvt_f64_u32_e32 v[10:11], v10
	v_cvt_f64_u32_e32 v[15:16], v9
	s_delay_alu instid0(VALU_DEP_2) | instskip(NEXT) | instid1(VALU_DEP_1)
	v_ldexp_f64 v[10:11], v[10:11], 32
	v_add_f64 v[9:10], v[10:11], v[15:16]
	s_branch .LBB513_1357
.LBB513_1355:
	s_mov_b32 s11, -1
                                        ; implicit-def: $vgpr9_vgpr10
.LBB513_1356:
	s_mov_b32 s3, 0
.LBB513_1357:
	s_delay_alu instid0(SALU_CYCLE_1)
	s_and_b32 vcc_lo, exec_lo, s3
	s_cbranch_vccz .LBB513_1377
; %bb.1358:
	v_cmp_gt_i16_e32 vcc_lo, 27, v13
	s_cbranch_vccnz .LBB513_1361
; %bb.1359:
	v_cmp_lt_i16_e32 vcc_lo, 27, v13
	s_cbranch_vccz .LBB513_1362
; %bb.1360:
	global_load_b32 v7, v[5:6], off
	s_mov_b32 s2, 0
	s_waitcnt vmcnt(0)
	v_cvt_f64_u32_e32 v[9:10], v7
	s_branch .LBB513_1363
.LBB513_1361:
	s_mov_b32 s2, -1
                                        ; implicit-def: $vgpr9_vgpr10
	s_branch .LBB513_1366
.LBB513_1362:
	s_mov_b32 s2, -1
                                        ; implicit-def: $vgpr9_vgpr10
.LBB513_1363:
	s_delay_alu instid0(SALU_CYCLE_1)
	s_and_not1_b32 vcc_lo, exec_lo, s2
	s_cbranch_vccnz .LBB513_1365
; %bb.1364:
	global_load_u16 v7, v[5:6], off
	s_waitcnt vmcnt(0)
	v_cvt_f64_u32_e32 v[9:10], v7
.LBB513_1365:
	s_mov_b32 s2, 0
.LBB513_1366:
	s_delay_alu instid0(SALU_CYCLE_1)
	s_and_not1_b32 vcc_lo, exec_lo, s2
	s_cbranch_vccnz .LBB513_1376
; %bb.1367:
	global_load_u8 v7, v[5:6], off
	s_mov_b32 s13, 0
	s_mov_b32 s14, exec_lo
                                        ; implicit-def: $sgpr2_sgpr3
	s_waitcnt vmcnt(0)
	v_cmpx_lt_i16_e32 0x7f, v7
	s_xor_b32 s14, exec_lo, s14
	s_cbranch_execz .LBB513_1371
; %bb.1368:
	s_mov_b32 s15, -1
	s_mov_b32 s13, exec_lo
                                        ; implicit-def: $sgpr2_sgpr3
	v_cmpx_eq_u16_e32 0x80, v7
; %bb.1369:
	s_mov_b32 s3, 0x7ff80000
	s_brev_b32 s2, 4
	s_xor_b32 s15, exec_lo, -1
; %bb.1370:
	s_or_b32 exec_lo, exec_lo, s13
	s_delay_alu instid0(SALU_CYCLE_1)
	s_and_b32 s13, s15, exec_lo
.LBB513_1371:
	s_or_saveexec_b32 s14, s14
	v_dual_mov_b32 v10, s3 :: v_dual_mov_b32 v9, s2
	s_xor_b32 exec_lo, exec_lo, s14
; %bb.1372:
	v_cmp_ne_u16_e32 vcc_lo, 0, v7
	v_mov_b32_e32 v9, 0
	v_mov_b32_e32 v10, 0
	s_and_not1_b32 s2, s13, exec_lo
	s_and_b32 s3, vcc_lo, exec_lo
	s_delay_alu instid0(SALU_CYCLE_1)
	s_or_b32 s13, s2, s3
; %bb.1373:
	s_or_b32 exec_lo, exec_lo, s14
	s_and_saveexec_b32 s2, s13
	s_cbranch_execz .LBB513_1375
; %bb.1374:
	v_and_b32_e32 v9, 0xffff, v7
	v_lshlrev_b32_e32 v7, 24, v7
	s_delay_alu instid0(VALU_DEP_2) | instskip(NEXT) | instid1(VALU_DEP_2)
	v_and_b32_e32 v10, 7, v9
	v_and_b32_e32 v7, 0x80000000, v7
	s_delay_alu instid0(VALU_DEP_2) | instskip(NEXT) | instid1(VALU_DEP_1)
	v_clz_i32_u32_e32 v11, v10
	v_min_u32_e32 v11, 32, v11
	s_delay_alu instid0(VALU_DEP_1) | instskip(SKIP_1) | instid1(VALU_DEP_2)
	v_subrev_nc_u32_e32 v15, 28, v11
	v_sub_nc_u32_e32 v11, 29, v11
	v_lshlrev_b32_e32 v15, v15, v9
	v_bfe_u32 v9, v9, 3, 4
	s_delay_alu instid0(VALU_DEP_2) | instskip(NEXT) | instid1(VALU_DEP_2)
	v_and_b32_e32 v15, 7, v15
	v_cmp_eq_u32_e32 vcc_lo, 0, v9
	v_cndmask_b32_e32 v9, v9, v11, vcc_lo
	s_delay_alu instid0(VALU_DEP_3) | instskip(NEXT) | instid1(VALU_DEP_2)
	v_cndmask_b32_e32 v10, v10, v15, vcc_lo
	v_lshl_add_u32 v9, v9, 23, 0x3b800000
	s_delay_alu instid0(VALU_DEP_2) | instskip(NEXT) | instid1(VALU_DEP_1)
	v_lshlrev_b32_e32 v10, 20, v10
	v_or3_b32 v7, v7, v9, v10
	s_delay_alu instid0(VALU_DEP_1)
	v_cvt_f64_f32_e32 v[9:10], v7
.LBB513_1375:
	s_or_b32 exec_lo, exec_lo, s2
.LBB513_1376:
	s_mov_b32 s2, -1
.LBB513_1377:
	s_branch .LBB513_1408
.LBB513_1378:
	v_cmp_lt_i16_e32 vcc_lo, 22, v13
	s_cbranch_vccz .LBB513_1390
; %bb.1379:
	v_cmp_gt_i16_e32 vcc_lo, 24, v13
	s_cbranch_vccnz .LBB513_1391
; %bb.1380:
	v_cmp_lt_i16_e32 vcc_lo, 24, v13
	s_cbranch_vccz .LBB513_1392
; %bb.1381:
	global_load_u8 v7, v[5:6], off
	s_mov_b32 s13, exec_lo
                                        ; implicit-def: $sgpr2_sgpr3
	s_waitcnt vmcnt(0)
	v_cmpx_lt_i16_e32 0x7f, v7
	s_xor_b32 s13, exec_lo, s13
	s_cbranch_execz .LBB513_1385
; %bb.1382:
	s_mov_b32 s14, -1
	s_mov_b32 s12, exec_lo
                                        ; implicit-def: $sgpr2_sgpr3
	v_cmpx_eq_u16_e32 0x80, v7
; %bb.1383:
	s_mov_b32 s3, 0x7ff80000
	s_brev_b32 s2, 4
	s_xor_b32 s14, exec_lo, -1
; %bb.1384:
	s_or_b32 exec_lo, exec_lo, s12
	s_delay_alu instid0(SALU_CYCLE_1)
	s_and_b32 s12, s14, exec_lo
.LBB513_1385:
	s_or_saveexec_b32 s13, s13
	v_dual_mov_b32 v10, s3 :: v_dual_mov_b32 v9, s2
	s_xor_b32 exec_lo, exec_lo, s13
; %bb.1386:
	v_cmp_ne_u16_e32 vcc_lo, 0, v7
	v_mov_b32_e32 v9, 0
	v_mov_b32_e32 v10, 0
	s_and_not1_b32 s2, s12, exec_lo
	s_and_b32 s3, vcc_lo, exec_lo
	s_delay_alu instid0(SALU_CYCLE_1)
	s_or_b32 s12, s2, s3
; %bb.1387:
	s_or_b32 exec_lo, exec_lo, s13
	s_and_saveexec_b32 s2, s12
	s_cbranch_execz .LBB513_1389
; %bb.1388:
	v_and_b32_e32 v9, 0xffff, v7
	v_lshlrev_b32_e32 v7, 24, v7
	s_delay_alu instid0(VALU_DEP_2) | instskip(NEXT) | instid1(VALU_DEP_2)
	v_and_b32_e32 v10, 3, v9
	v_and_b32_e32 v7, 0x80000000, v7
	s_delay_alu instid0(VALU_DEP_2) | instskip(NEXT) | instid1(VALU_DEP_1)
	v_clz_i32_u32_e32 v11, v10
	v_min_u32_e32 v11, 32, v11
	s_delay_alu instid0(VALU_DEP_1) | instskip(SKIP_1) | instid1(VALU_DEP_2)
	v_subrev_nc_u32_e32 v15, 29, v11
	v_sub_nc_u32_e32 v11, 30, v11
	v_lshlrev_b32_e32 v15, v15, v9
	v_bfe_u32 v9, v9, 2, 5
	s_delay_alu instid0(VALU_DEP_2) | instskip(NEXT) | instid1(VALU_DEP_2)
	v_and_b32_e32 v15, 3, v15
	v_cmp_eq_u32_e32 vcc_lo, 0, v9
	v_cndmask_b32_e32 v9, v9, v11, vcc_lo
	s_delay_alu instid0(VALU_DEP_3) | instskip(NEXT) | instid1(VALU_DEP_2)
	v_cndmask_b32_e32 v10, v10, v15, vcc_lo
	v_lshl_add_u32 v9, v9, 23, 0x37800000
	s_delay_alu instid0(VALU_DEP_2) | instskip(NEXT) | instid1(VALU_DEP_1)
	v_lshlrev_b32_e32 v10, 21, v10
	v_or3_b32 v7, v7, v9, v10
	s_delay_alu instid0(VALU_DEP_1)
	v_cvt_f64_f32_e32 v[9:10], v7
.LBB513_1389:
	s_or_b32 exec_lo, exec_lo, s2
	s_mov_b32 s2, 0
	s_branch .LBB513_1393
.LBB513_1390:
	s_mov_b32 s3, -1
                                        ; implicit-def: $vgpr9_vgpr10
	s_branch .LBB513_1399
.LBB513_1391:
	s_mov_b32 s2, -1
                                        ; implicit-def: $vgpr9_vgpr10
	s_branch .LBB513_1396
.LBB513_1392:
	s_mov_b32 s2, -1
                                        ; implicit-def: $vgpr9_vgpr10
.LBB513_1393:
	s_delay_alu instid0(SALU_CYCLE_1)
	s_and_b32 vcc_lo, exec_lo, s2
	s_cbranch_vccz .LBB513_1395
; %bb.1394:
	global_load_u8 v7, v[5:6], off
	s_waitcnt vmcnt(0)
	v_lshlrev_b32_e32 v7, 24, v7
	s_delay_alu instid0(VALU_DEP_1) | instskip(NEXT) | instid1(VALU_DEP_1)
	v_and_b32_e32 v9, 0x7f000000, v7
	v_clz_i32_u32_e32 v10, v9
	v_add_nc_u32_e32 v15, 0x1000000, v9
	v_cmp_ne_u32_e32 vcc_lo, 0, v9
	s_delay_alu instid0(VALU_DEP_3) | instskip(NEXT) | instid1(VALU_DEP_1)
	v_min_u32_e32 v10, 32, v10
	v_sub_nc_u32_e64 v10, v10, 4 clamp
	s_delay_alu instid0(VALU_DEP_1) | instskip(SKIP_1) | instid1(VALU_DEP_2)
	v_lshlrev_b32_e32 v11, v10, v9
	v_lshlrev_b32_e32 v10, 23, v10
	v_lshrrev_b32_e32 v11, 4, v11
	s_delay_alu instid0(VALU_DEP_1) | instskip(SKIP_1) | instid1(VALU_DEP_2)
	v_sub_nc_u32_e32 v10, v11, v10
	v_ashrrev_i32_e32 v11, 8, v15
	v_add_nc_u32_e32 v10, 0x3c000000, v10
	s_delay_alu instid0(VALU_DEP_1) | instskip(NEXT) | instid1(VALU_DEP_1)
	v_and_or_b32 v10, 0x7f800000, v11, v10
	v_cndmask_b32_e32 v9, 0, v10, vcc_lo
	s_delay_alu instid0(VALU_DEP_1) | instskip(NEXT) | instid1(VALU_DEP_1)
	v_and_or_b32 v7, 0x80000000, v7, v9
	v_cvt_f64_f32_e32 v[9:10], v7
.LBB513_1395:
	s_mov_b32 s2, 0
.LBB513_1396:
	s_delay_alu instid0(SALU_CYCLE_1)
	s_and_not1_b32 vcc_lo, exec_lo, s2
	s_cbranch_vccnz .LBB513_1398
; %bb.1397:
	global_load_u8 v7, v[5:6], off
	s_waitcnt vmcnt(0)
	v_lshlrev_b32_e32 v9, 25, v7
	v_lshlrev_b16 v7, 8, v7
	s_delay_alu instid0(VALU_DEP_2) | instskip(NEXT) | instid1(VALU_DEP_2)
	v_lshrrev_b32_e32 v10, 4, v9
	v_and_or_b32 v11, 0x7f00, v7, 0.5
	v_bfe_i32 v7, v7, 0, 16
	s_delay_alu instid0(VALU_DEP_3) | instskip(NEXT) | instid1(VALU_DEP_1)
	v_or_b32_e32 v10, 0x70000000, v10
	v_dual_add_f32 v11, -0.5, v11 :: v_dual_mul_f32 v10, 0x7800000, v10
	v_cmp_gt_u32_e32 vcc_lo, 0x8000000, v9
	s_delay_alu instid0(VALU_DEP_2) | instskip(NEXT) | instid1(VALU_DEP_1)
	v_cndmask_b32_e32 v9, v10, v11, vcc_lo
	v_and_or_b32 v7, 0x80000000, v7, v9
	s_delay_alu instid0(VALU_DEP_1)
	v_cvt_f64_f32_e32 v[9:10], v7
.LBB513_1398:
	s_mov_b32 s3, 0
	s_mov_b32 s2, -1
.LBB513_1399:
	s_and_not1_b32 vcc_lo, exec_lo, s3
	s_mov_b32 s12, 0
	s_cbranch_vccnz .LBB513_1408
; %bb.1400:
	v_cmp_lt_i16_e32 vcc_lo, 14, v13
	s_cbranch_vccz .LBB513_1403
; %bb.1401:
	v_cmp_eq_u16_e32 vcc_lo, 15, v13
	s_cbranch_vccz .LBB513_1404
; %bb.1402:
	global_load_u16 v7, v[5:6], off
	s_mov_b32 s11, 0
	s_mov_b32 s2, -1
	s_waitcnt vmcnt(0)
	v_lshlrev_b32_e32 v7, 16, v7
	s_delay_alu instid0(VALU_DEP_1)
	v_cvt_f64_f32_e32 v[9:10], v7
	s_branch .LBB513_1405
.LBB513_1403:
	s_mov_b32 s3, -1
                                        ; implicit-def: $vgpr9_vgpr10
	s_branch .LBB513_1406
.LBB513_1404:
	s_mov_b32 s11, -1
                                        ; implicit-def: $vgpr9_vgpr10
.LBB513_1405:
	s_mov_b32 s3, 0
.LBB513_1406:
	s_delay_alu instid0(SALU_CYCLE_1)
	s_and_b32 vcc_lo, exec_lo, s3
	s_cbranch_vccz .LBB513_1408
; %bb.1407:
	v_cmp_ne_u16_e64 s11, 11, v13
	s_mov_b32 s12, -1
                                        ; implicit-def: $vgpr9_vgpr10
.LBB513_1408:
	s_delay_alu instid0(VALU_DEP_1)
	s_and_b32 vcc_lo, exec_lo, s11
	s_cbranch_vccnz .LBB513_1436
; %bb.1409:
	s_and_not1_b32 vcc_lo, exec_lo, s12
	s_cbranch_vccnz .LBB513_1411
.LBB513_1410:
	global_load_u8 v7, v[5:6], off
	v_mov_b32_e32 v9, 0
	s_mov_b32 s2, -1
	s_waitcnt vmcnt(0)
	v_cmp_ne_u16_e32 vcc_lo, 0, v7
	v_cndmask_b32_e64 v10, 0, 0x3ff00000, vcc_lo
.LBB513_1411:
.LBB513_1412:
	s_and_not1_b32 vcc_lo, exec_lo, s2
	s_cbranch_vccnz .LBB513_1699
.LBB513_1413:
	v_dual_mov_b32 v7, s1 :: v_dual_mov_b32 v6, s0
	s_mov_b32 s2, exec_lo
	s_waitcnt vmcnt(0)
	s_delay_alu instid0(VALU_DEP_2)
	v_cmpx_o_f64_e32 v[9:10], v[9:10]
	s_cbranch_execz .LBB513_1417
; %bb.1414:
	s_load_b64 s[12:13], s[20:21], 0x160
	s_mov_b32 s3, exec_lo
	s_waitcnt lgkmcnt(0)
	v_dual_mov_b32 v6, s12 :: v_dual_mov_b32 v7, s13
	v_cmpx_neq_f64_e32 0x7ff00000, v[9:10]
	s_cbranch_execz .LBB513_1416
; %bb.1415:
	v_cmp_eq_f64_e32 vcc_lo, 0xfff00000, v[9:10]
	s_load_b64 s[12:13], s[20:21], 0x168
	s_waitcnt lgkmcnt(0)
	v_cndmask_b32_e64 v7, v10, s13, vcc_lo
	v_cndmask_b32_e64 v6, v9, s12, vcc_lo
.LBB513_1416:
	s_or_b32 exec_lo, exec_lo, s3
.LBB513_1417:
	s_delay_alu instid0(SALU_CYCLE_1) | instskip(SKIP_2) | instid1(VALU_DEP_1)
	s_or_b32 exec_lo, exec_lo, s2
	v_cmp_gt_i16_e32 vcc_lo, 11, v13
	v_add_co_u32 v4, s2, s6, v4
	v_add_co_ci_u32_e64 v5, null, s7, 0, s2
	s_mov_b32 s2, 0
	s_cbranch_vccnz .LBB513_1424
; %bb.1418:
	v_cmp_lt_i16_e32 vcc_lo, 25, v13
	s_mov_b32 s12, 0
	s_cbranch_vccz .LBB513_1430
; %bb.1419:
	v_cmp_lt_i16_e32 vcc_lo, 28, v13
	s_cbranch_vccz .LBB513_1432
; %bb.1420:
	v_cmp_lt_i16_e32 vcc_lo, 43, v13
	;; [unrolled: 3-line block ×3, first 2 shown]
	s_cbranch_vccz .LBB513_1438
; %bb.1422:
	v_cmp_eq_u16_e32 vcc_lo, 46, v13
	s_mov_b32 s3, 0
	s_cbranch_vccz .LBB513_1481
; %bb.1423:
	global_load_b32 v9, v[4:5], off
	s_mov_b32 s11, 0
	s_mov_b32 s2, -1
	s_waitcnt vmcnt(0)
	v_lshlrev_b32_e32 v9, 16, v9
	s_delay_alu instid0(VALU_DEP_1)
	v_cvt_f64_f32_e32 v[15:16], v9
	s_branch .LBB513_1483
.LBB513_1424:
                                        ; implicit-def: $vgpr15_vgpr16
	s_cbranch_execz .LBB513_1549
; %bb.1425:
	v_cmp_gt_i16_e32 vcc_lo, 5, v13
	s_cbranch_vccnz .LBB513_1431
; %bb.1426:
	v_cmp_gt_i16_e32 vcc_lo, 8, v13
	s_cbranch_vccnz .LBB513_1433
; %bb.1427:
	v_cmp_gt_i16_e32 vcc_lo, 9, v13
	s_cbranch_vccnz .LBB513_1435
; %bb.1428:
	v_cmp_lt_i16_e32 vcc_lo, 9, v13
	s_cbranch_vccz .LBB513_1439
; %bb.1429:
	global_load_b64 v[15:16], v[4:5], off
	s_mov_b32 s2, 0
	s_branch .LBB513_1440
.LBB513_1430:
	s_mov_b32 s3, -1
	s_mov_b32 s11, 0
                                        ; implicit-def: $vgpr15_vgpr16
	s_branch .LBB513_1514
.LBB513_1431:
	s_mov_b32 s2, -1
                                        ; implicit-def: $vgpr15_vgpr16
	s_branch .LBB513_1458
.LBB513_1432:
	s_mov_b32 s3, -1
	s_mov_b32 s11, 0
                                        ; implicit-def: $vgpr15_vgpr16
	s_branch .LBB513_1493
.LBB513_1433:
	s_mov_b32 s2, -1
                                        ; implicit-def: $vgpr15_vgpr16
	s_branch .LBB513_1446
.LBB513_1434:
	s_mov_b32 s3, -1
	s_mov_b32 s11, 0
                                        ; implicit-def: $vgpr15_vgpr16
	s_branch .LBB513_1488
.LBB513_1435:
	s_mov_b32 s2, -1
                                        ; implicit-def: $vgpr15_vgpr16
	s_branch .LBB513_1443
.LBB513_1436:
	s_cbranch_execnz .LBB513_1479
; %bb.1437:
	s_or_b32 s10, s10, exec_lo
                                        ; implicit-def: $vgpr9_vgpr10
	s_cbranch_execz .LBB513_1410
	s_branch .LBB513_1411
.LBB513_1438:
	s_mov_b32 s3, -1
	s_mov_b32 s11, 0
	s_branch .LBB513_1482
.LBB513_1439:
	s_mov_b32 s2, -1
                                        ; implicit-def: $vgpr15_vgpr16
.LBB513_1440:
	s_delay_alu instid0(SALU_CYCLE_1)
	s_and_not1_b32 vcc_lo, exec_lo, s2
	s_cbranch_vccnz .LBB513_1442
; %bb.1441:
	global_load_b32 v9, v[4:5], off
	s_waitcnt vmcnt(0)
	v_cvt_f64_f32_e32 v[15:16], v9
.LBB513_1442:
	s_mov_b32 s2, 0
.LBB513_1443:
	s_delay_alu instid0(SALU_CYCLE_1)
	s_and_not1_b32 vcc_lo, exec_lo, s2
	s_cbranch_vccnz .LBB513_1445
; %bb.1444:
	global_load_b32 v9, v[4:5], off
	s_waitcnt vmcnt(0)
	v_cvt_f32_f16_e32 v9, v9
	s_delay_alu instid0(VALU_DEP_1)
	v_cvt_f64_f32_e32 v[15:16], v9
.LBB513_1445:
	s_mov_b32 s2, 0
.LBB513_1446:
	s_delay_alu instid0(SALU_CYCLE_1)
	s_and_not1_b32 vcc_lo, exec_lo, s2
	s_cbranch_vccnz .LBB513_1457
; %bb.1447:
	v_cmp_gt_i16_e32 vcc_lo, 6, v13
	s_cbranch_vccnz .LBB513_1450
; %bb.1448:
	v_cmp_lt_i16_e32 vcc_lo, 6, v13
	s_cbranch_vccz .LBB513_1451
; %bb.1449:
	global_load_b64 v[15:16], v[4:5], off
	s_mov_b32 s2, 0
	s_branch .LBB513_1452
.LBB513_1450:
	s_mov_b32 s2, -1
                                        ; implicit-def: $vgpr15_vgpr16
	s_branch .LBB513_1455
.LBB513_1451:
	s_mov_b32 s2, -1
                                        ; implicit-def: $vgpr15_vgpr16
.LBB513_1452:
	s_delay_alu instid0(SALU_CYCLE_1)
	s_and_not1_b32 vcc_lo, exec_lo, s2
	s_cbranch_vccnz .LBB513_1454
; %bb.1453:
	global_load_b32 v9, v[4:5], off
	s_waitcnt vmcnt(0)
	v_cvt_f64_f32_e32 v[15:16], v9
.LBB513_1454:
	s_mov_b32 s2, 0
.LBB513_1455:
	s_delay_alu instid0(SALU_CYCLE_1)
	s_and_not1_b32 vcc_lo, exec_lo, s2
	s_cbranch_vccnz .LBB513_1457
; %bb.1456:
	global_load_u16 v9, v[4:5], off
	s_waitcnt vmcnt(0)
	v_cvt_f32_f16_e32 v9, v9
	s_delay_alu instid0(VALU_DEP_1)
	v_cvt_f64_f32_e32 v[15:16], v9
.LBB513_1457:
	s_mov_b32 s2, 0
.LBB513_1458:
	s_delay_alu instid0(SALU_CYCLE_1)
	s_and_not1_b32 vcc_lo, exec_lo, s2
	s_cbranch_vccnz .LBB513_1478
; %bb.1459:
	v_cmp_gt_i16_e32 vcc_lo, 2, v13
	s_cbranch_vccnz .LBB513_1463
; %bb.1460:
	v_cmp_gt_i16_e32 vcc_lo, 3, v13
	s_cbranch_vccnz .LBB513_1464
; %bb.1461:
	v_cmp_lt_i16_e32 vcc_lo, 3, v13
	s_cbranch_vccz .LBB513_1465
; %bb.1462:
	global_load_b64 v[9:10], v[4:5], off
	s_mov_b32 s2, 0
	s_waitcnt vmcnt(0)
	v_cvt_f64_i32_e32 v[10:11], v10
	v_cvt_f64_u32_e32 v[15:16], v9
	s_delay_alu instid0(VALU_DEP_2) | instskip(NEXT) | instid1(VALU_DEP_1)
	v_ldexp_f64 v[10:11], v[10:11], 32
	v_add_f64 v[15:16], v[10:11], v[15:16]
	s_branch .LBB513_1466
.LBB513_1463:
	s_mov_b32 s2, -1
                                        ; implicit-def: $vgpr15_vgpr16
	s_branch .LBB513_1472
.LBB513_1464:
	s_mov_b32 s2, -1
                                        ; implicit-def: $vgpr15_vgpr16
	s_branch .LBB513_1469
.LBB513_1465:
	s_mov_b32 s2, -1
                                        ; implicit-def: $vgpr15_vgpr16
.LBB513_1466:
	s_delay_alu instid0(SALU_CYCLE_1)
	s_and_not1_b32 vcc_lo, exec_lo, s2
	s_cbranch_vccnz .LBB513_1468
; %bb.1467:
	global_load_b32 v9, v[4:5], off
	s_waitcnt vmcnt(0)
	v_cvt_f64_i32_e32 v[15:16], v9
.LBB513_1468:
	s_mov_b32 s2, 0
.LBB513_1469:
	s_delay_alu instid0(SALU_CYCLE_1)
	s_and_not1_b32 vcc_lo, exec_lo, s2
	s_cbranch_vccnz .LBB513_1471
; %bb.1470:
	global_load_i16 v9, v[4:5], off
	s_waitcnt vmcnt(0)
	v_cvt_f64_i32_e32 v[15:16], v9
.LBB513_1471:
	s_mov_b32 s2, 0
.LBB513_1472:
	s_delay_alu instid0(SALU_CYCLE_1)
	s_and_not1_b32 vcc_lo, exec_lo, s2
	s_cbranch_vccnz .LBB513_1478
; %bb.1473:
	v_cmp_lt_i16_e32 vcc_lo, 0, v13
	s_mov_b32 s2, 0
	s_cbranch_vccz .LBB513_1475
; %bb.1474:
	global_load_i8 v9, v[4:5], off
	s_waitcnt vmcnt(0)
	v_cvt_f64_i32_e32 v[15:16], v9
	s_branch .LBB513_1476
.LBB513_1475:
	s_mov_b32 s2, -1
                                        ; implicit-def: $vgpr15_vgpr16
.LBB513_1476:
	s_delay_alu instid0(SALU_CYCLE_1)
	s_and_not1_b32 vcc_lo, exec_lo, s2
	s_cbranch_vccnz .LBB513_1478
; %bb.1477:
	global_load_u8 v4, v[4:5], off
	s_waitcnt vmcnt(0)
	v_cvt_f64_u32_e32 v[15:16], v4
.LBB513_1478:
	s_branch .LBB513_1550
.LBB513_1479:
	s_trap 2
	s_sendmsg_rtn_b32 s0, sendmsg(MSG_RTN_GET_DOORBELL)
	s_mov_b32 ttmp2, m0
	s_waitcnt lgkmcnt(0)
	s_and_b32 s0, s0, 0x3ff
	s_delay_alu instid0(SALU_CYCLE_1) | instskip(NEXT) | instid1(SALU_CYCLE_1)
	s_bitset1_b32 s0, 10
	s_mov_b32 m0, s0
	s_sendmsg sendmsg(MSG_INTERRUPT)
	s_mov_b32 m0, ttmp2
.LBB513_1480:                           ; =>This Inner Loop Header: Depth=1
	s_sethalt 5
	s_branch .LBB513_1480
.LBB513_1481:
	s_mov_b32 s11, -1
.LBB513_1482:
                                        ; implicit-def: $vgpr15_vgpr16
.LBB513_1483:
	s_and_b32 vcc_lo, exec_lo, s3
	s_cbranch_vccz .LBB513_1487
; %bb.1484:
	v_cmp_eq_u16_e32 vcc_lo, 44, v13
	s_cbranch_vccz .LBB513_1486
; %bb.1485:
	global_load_u8 v11, v[4:5], off
	s_mov_b32 s11, 0
	s_mov_b32 s2, -1
	s_waitcnt vmcnt(0)
	v_cmp_ne_u32_e32 vcc_lo, 0xff, v11
	v_lshlrev_b32_e32 v9, 23, v11
	s_delay_alu instid0(VALU_DEP_1) | instskip(NEXT) | instid1(VALU_DEP_1)
	v_cvt_f64_f32_e32 v[9:10], v9
	v_cndmask_b32_e32 v10, 0x7ff80000, v10, vcc_lo
	s_delay_alu instid0(VALU_DEP_2) | instskip(SKIP_1) | instid1(VALU_DEP_3)
	v_cndmask_b32_e32 v9, 0x20000000, v9, vcc_lo
	v_cmp_ne_u32_e32 vcc_lo, 0, v11
	v_cndmask_b32_e32 v16, 0x38000000, v10, vcc_lo
	s_delay_alu instid0(VALU_DEP_3)
	v_cndmask_b32_e32 v15, 0, v9, vcc_lo
	s_branch .LBB513_1487
.LBB513_1486:
	s_mov_b32 s11, -1
                                        ; implicit-def: $vgpr15_vgpr16
.LBB513_1487:
	s_mov_b32 s3, 0
.LBB513_1488:
	s_delay_alu instid0(SALU_CYCLE_1)
	s_and_b32 vcc_lo, exec_lo, s3
	s_cbranch_vccz .LBB513_1492
; %bb.1489:
	v_cmp_eq_u16_e32 vcc_lo, 29, v13
	s_cbranch_vccz .LBB513_1491
; %bb.1490:
	global_load_b64 v[9:10], v[4:5], off
	s_mov_b32 s11, 0
	s_mov_b32 s2, -1
	s_mov_b32 s3, 0
	s_waitcnt vmcnt(0)
	v_cvt_f64_u32_e32 v[10:11], v10
	v_cvt_f64_u32_e32 v[15:16], v9
	s_delay_alu instid0(VALU_DEP_2) | instskip(NEXT) | instid1(VALU_DEP_1)
	v_ldexp_f64 v[10:11], v[10:11], 32
	v_add_f64 v[15:16], v[10:11], v[15:16]
	s_branch .LBB513_1493
.LBB513_1491:
	s_mov_b32 s11, -1
                                        ; implicit-def: $vgpr15_vgpr16
.LBB513_1492:
	s_mov_b32 s3, 0
.LBB513_1493:
	s_delay_alu instid0(SALU_CYCLE_1)
	s_and_b32 vcc_lo, exec_lo, s3
	s_cbranch_vccz .LBB513_1513
; %bb.1494:
	v_cmp_gt_i16_e32 vcc_lo, 27, v13
	s_cbranch_vccnz .LBB513_1497
; %bb.1495:
	v_cmp_lt_i16_e32 vcc_lo, 27, v13
	s_cbranch_vccz .LBB513_1498
; %bb.1496:
	global_load_b32 v9, v[4:5], off
	s_mov_b32 s2, 0
	s_waitcnt vmcnt(0)
	v_cvt_f64_u32_e32 v[15:16], v9
	s_branch .LBB513_1499
.LBB513_1497:
	s_mov_b32 s2, -1
                                        ; implicit-def: $vgpr15_vgpr16
	s_branch .LBB513_1502
.LBB513_1498:
	s_mov_b32 s2, -1
                                        ; implicit-def: $vgpr15_vgpr16
.LBB513_1499:
	s_delay_alu instid0(SALU_CYCLE_1)
	s_and_not1_b32 vcc_lo, exec_lo, s2
	s_cbranch_vccnz .LBB513_1501
; %bb.1500:
	global_load_u16 v9, v[4:5], off
	s_waitcnt vmcnt(0)
	v_cvt_f64_u32_e32 v[15:16], v9
.LBB513_1501:
	s_mov_b32 s2, 0
.LBB513_1502:
	s_delay_alu instid0(SALU_CYCLE_1)
	s_and_not1_b32 vcc_lo, exec_lo, s2
	s_cbranch_vccnz .LBB513_1512
; %bb.1503:
	global_load_u8 v9, v[4:5], off
	s_mov_b32 s13, 0
	s_mov_b32 s14, exec_lo
                                        ; implicit-def: $sgpr2_sgpr3
	s_waitcnt vmcnt(0)
	v_cmpx_lt_i16_e32 0x7f, v9
	s_xor_b32 s14, exec_lo, s14
	s_cbranch_execz .LBB513_1507
; %bb.1504:
	s_mov_b32 s15, -1
	s_mov_b32 s13, exec_lo
                                        ; implicit-def: $sgpr2_sgpr3
	v_cmpx_eq_u16_e32 0x80, v9
; %bb.1505:
	s_mov_b32 s3, 0x7ff80000
	s_brev_b32 s2, 4
	s_xor_b32 s15, exec_lo, -1
; %bb.1506:
	s_or_b32 exec_lo, exec_lo, s13
	s_delay_alu instid0(SALU_CYCLE_1)
	s_and_b32 s13, s15, exec_lo
.LBB513_1507:
	s_or_saveexec_b32 s14, s14
	v_dual_mov_b32 v16, s3 :: v_dual_mov_b32 v15, s2
	s_xor_b32 exec_lo, exec_lo, s14
; %bb.1508:
	v_cmp_ne_u16_e32 vcc_lo, 0, v9
	v_mov_b32_e32 v15, 0
	v_mov_b32_e32 v16, 0
	s_and_not1_b32 s2, s13, exec_lo
	s_and_b32 s3, vcc_lo, exec_lo
	s_delay_alu instid0(SALU_CYCLE_1)
	s_or_b32 s13, s2, s3
; %bb.1509:
	s_or_b32 exec_lo, exec_lo, s14
	s_and_saveexec_b32 s2, s13
	s_cbranch_execz .LBB513_1511
; %bb.1510:
	v_and_b32_e32 v10, 0xffff, v9
	v_lshlrev_b32_e32 v9, 24, v9
	s_delay_alu instid0(VALU_DEP_2) | instskip(NEXT) | instid1(VALU_DEP_2)
	v_and_b32_e32 v11, 7, v10
	v_and_b32_e32 v9, 0x80000000, v9
	s_delay_alu instid0(VALU_DEP_2) | instskip(NEXT) | instid1(VALU_DEP_1)
	v_clz_i32_u32_e32 v15, v11
	v_min_u32_e32 v15, 32, v15
	s_delay_alu instid0(VALU_DEP_1) | instskip(SKIP_1) | instid1(VALU_DEP_2)
	v_subrev_nc_u32_e32 v16, 28, v15
	v_sub_nc_u32_e32 v15, 29, v15
	v_lshlrev_b32_e32 v16, v16, v10
	v_bfe_u32 v10, v10, 3, 4
	s_delay_alu instid0(VALU_DEP_2) | instskip(NEXT) | instid1(VALU_DEP_2)
	v_and_b32_e32 v16, 7, v16
	v_cmp_eq_u32_e32 vcc_lo, 0, v10
	s_delay_alu instid0(VALU_DEP_2) | instskip(NEXT) | instid1(VALU_DEP_1)
	v_dual_cndmask_b32 v10, v10, v15 :: v_dual_cndmask_b32 v11, v11, v16
	v_lshl_add_u32 v10, v10, 23, 0x3b800000
	s_delay_alu instid0(VALU_DEP_2) | instskip(NEXT) | instid1(VALU_DEP_1)
	v_lshlrev_b32_e32 v11, 20, v11
	v_or3_b32 v9, v9, v10, v11
	s_delay_alu instid0(VALU_DEP_1)
	v_cvt_f64_f32_e32 v[15:16], v9
.LBB513_1511:
	s_or_b32 exec_lo, exec_lo, s2
.LBB513_1512:
	s_mov_b32 s2, -1
.LBB513_1513:
	s_mov_b32 s3, 0
.LBB513_1514:
	s_delay_alu instid0(SALU_CYCLE_1)
	s_and_b32 vcc_lo, exec_lo, s3
	s_cbranch_vccz .LBB513_1545
; %bb.1515:
	v_cmp_lt_i16_e32 vcc_lo, 22, v13
	s_cbranch_vccz .LBB513_1527
; %bb.1516:
	v_cmp_gt_i16_e32 vcc_lo, 24, v13
	s_cbranch_vccnz .LBB513_1528
; %bb.1517:
	v_cmp_lt_i16_e32 vcc_lo, 24, v13
	s_cbranch_vccz .LBB513_1529
; %bb.1518:
	global_load_u8 v9, v[4:5], off
	s_mov_b32 s13, exec_lo
                                        ; implicit-def: $sgpr2_sgpr3
	s_waitcnt vmcnt(0)
	v_cmpx_lt_i16_e32 0x7f, v9
	s_xor_b32 s13, exec_lo, s13
	s_cbranch_execz .LBB513_1522
; %bb.1519:
	s_mov_b32 s14, -1
	s_mov_b32 s12, exec_lo
                                        ; implicit-def: $sgpr2_sgpr3
	v_cmpx_eq_u16_e32 0x80, v9
; %bb.1520:
	s_mov_b32 s3, 0x7ff80000
	s_brev_b32 s2, 4
	s_xor_b32 s14, exec_lo, -1
; %bb.1521:
	s_or_b32 exec_lo, exec_lo, s12
	s_delay_alu instid0(SALU_CYCLE_1)
	s_and_b32 s12, s14, exec_lo
.LBB513_1522:
	s_or_saveexec_b32 s13, s13
	v_dual_mov_b32 v16, s3 :: v_dual_mov_b32 v15, s2
	s_xor_b32 exec_lo, exec_lo, s13
; %bb.1523:
	v_cmp_ne_u16_e32 vcc_lo, 0, v9
	v_mov_b32_e32 v15, 0
	v_mov_b32_e32 v16, 0
	s_and_not1_b32 s2, s12, exec_lo
	s_and_b32 s3, vcc_lo, exec_lo
	s_delay_alu instid0(SALU_CYCLE_1)
	s_or_b32 s12, s2, s3
; %bb.1524:
	s_or_b32 exec_lo, exec_lo, s13
	s_and_saveexec_b32 s2, s12
	s_cbranch_execz .LBB513_1526
; %bb.1525:
	v_and_b32_e32 v10, 0xffff, v9
	v_lshlrev_b32_e32 v9, 24, v9
	s_delay_alu instid0(VALU_DEP_2) | instskip(NEXT) | instid1(VALU_DEP_2)
	v_and_b32_e32 v11, 3, v10
	v_and_b32_e32 v9, 0x80000000, v9
	s_delay_alu instid0(VALU_DEP_2) | instskip(NEXT) | instid1(VALU_DEP_1)
	v_clz_i32_u32_e32 v15, v11
	v_min_u32_e32 v15, 32, v15
	s_delay_alu instid0(VALU_DEP_1) | instskip(SKIP_1) | instid1(VALU_DEP_2)
	v_subrev_nc_u32_e32 v16, 29, v15
	v_sub_nc_u32_e32 v15, 30, v15
	v_lshlrev_b32_e32 v16, v16, v10
	v_bfe_u32 v10, v10, 2, 5
	s_delay_alu instid0(VALU_DEP_2) | instskip(NEXT) | instid1(VALU_DEP_2)
	v_and_b32_e32 v16, 3, v16
	v_cmp_eq_u32_e32 vcc_lo, 0, v10
	s_delay_alu instid0(VALU_DEP_2) | instskip(NEXT) | instid1(VALU_DEP_1)
	v_dual_cndmask_b32 v10, v10, v15 :: v_dual_cndmask_b32 v11, v11, v16
	v_lshl_add_u32 v10, v10, 23, 0x37800000
	s_delay_alu instid0(VALU_DEP_2) | instskip(NEXT) | instid1(VALU_DEP_1)
	v_lshlrev_b32_e32 v11, 21, v11
	v_or3_b32 v9, v9, v10, v11
	s_delay_alu instid0(VALU_DEP_1)
	v_cvt_f64_f32_e32 v[15:16], v9
.LBB513_1526:
	s_or_b32 exec_lo, exec_lo, s2
	s_mov_b32 s2, 0
	s_branch .LBB513_1530
.LBB513_1527:
	s_mov_b32 s3, -1
                                        ; implicit-def: $vgpr15_vgpr16
	s_branch .LBB513_1536
.LBB513_1528:
	s_mov_b32 s2, -1
                                        ; implicit-def: $vgpr15_vgpr16
	s_branch .LBB513_1533
.LBB513_1529:
	s_mov_b32 s2, -1
                                        ; implicit-def: $vgpr15_vgpr16
.LBB513_1530:
	s_delay_alu instid0(SALU_CYCLE_1)
	s_and_b32 vcc_lo, exec_lo, s2
	s_cbranch_vccz .LBB513_1532
; %bb.1531:
	global_load_u8 v9, v[4:5], off
	s_waitcnt vmcnt(0)
	v_lshlrev_b32_e32 v9, 24, v9
	s_delay_alu instid0(VALU_DEP_1) | instskip(NEXT) | instid1(VALU_DEP_1)
	v_and_b32_e32 v10, 0x7f000000, v9
	v_clz_i32_u32_e32 v11, v10
	v_add_nc_u32_e32 v16, 0x1000000, v10
	v_cmp_ne_u32_e32 vcc_lo, 0, v10
	s_delay_alu instid0(VALU_DEP_3) | instskip(NEXT) | instid1(VALU_DEP_1)
	v_min_u32_e32 v11, 32, v11
	v_sub_nc_u32_e64 v11, v11, 4 clamp
	s_delay_alu instid0(VALU_DEP_1) | instskip(SKIP_1) | instid1(VALU_DEP_2)
	v_lshlrev_b32_e32 v15, v11, v10
	v_lshlrev_b32_e32 v11, 23, v11
	v_lshrrev_b32_e32 v15, 4, v15
	s_delay_alu instid0(VALU_DEP_1) | instskip(SKIP_1) | instid1(VALU_DEP_2)
	v_sub_nc_u32_e32 v11, v15, v11
	v_ashrrev_i32_e32 v15, 8, v16
	v_add_nc_u32_e32 v11, 0x3c000000, v11
	s_delay_alu instid0(VALU_DEP_1) | instskip(NEXT) | instid1(VALU_DEP_1)
	v_and_or_b32 v11, 0x7f800000, v15, v11
	v_cndmask_b32_e32 v10, 0, v11, vcc_lo
	s_delay_alu instid0(VALU_DEP_1) | instskip(NEXT) | instid1(VALU_DEP_1)
	v_and_or_b32 v9, 0x80000000, v9, v10
	v_cvt_f64_f32_e32 v[15:16], v9
.LBB513_1532:
	s_mov_b32 s2, 0
.LBB513_1533:
	s_delay_alu instid0(SALU_CYCLE_1)
	s_and_not1_b32 vcc_lo, exec_lo, s2
	s_cbranch_vccnz .LBB513_1535
; %bb.1534:
	global_load_u8 v9, v[4:5], off
	s_waitcnt vmcnt(0)
	v_lshlrev_b32_e32 v10, 25, v9
	v_lshlrev_b16 v9, 8, v9
	s_delay_alu instid0(VALU_DEP_1) | instskip(SKIP_1) | instid1(VALU_DEP_2)
	v_and_or_b32 v15, 0x7f00, v9, 0.5
	v_bfe_i32 v9, v9, 0, 16
	v_add_f32_e32 v15, -0.5, v15
	v_lshrrev_b32_e32 v11, 4, v10
	v_cmp_gt_u32_e32 vcc_lo, 0x8000000, v10
	s_delay_alu instid0(VALU_DEP_2) | instskip(NEXT) | instid1(VALU_DEP_1)
	v_or_b32_e32 v11, 0x70000000, v11
	v_mul_f32_e32 v11, 0x7800000, v11
	s_delay_alu instid0(VALU_DEP_1) | instskip(NEXT) | instid1(VALU_DEP_1)
	v_cndmask_b32_e32 v10, v11, v15, vcc_lo
	v_and_or_b32 v9, 0x80000000, v9, v10
	s_delay_alu instid0(VALU_DEP_1)
	v_cvt_f64_f32_e32 v[15:16], v9
.LBB513_1535:
	s_mov_b32 s3, 0
	s_mov_b32 s2, -1
.LBB513_1536:
	s_and_not1_b32 vcc_lo, exec_lo, s3
	s_mov_b32 s12, 0
	s_cbranch_vccnz .LBB513_1545
; %bb.1537:
	v_cmp_lt_i16_e32 vcc_lo, 14, v13
	s_cbranch_vccz .LBB513_1540
; %bb.1538:
	v_cmp_eq_u16_e32 vcc_lo, 15, v13
	s_cbranch_vccz .LBB513_1541
; %bb.1539:
	global_load_u16 v9, v[4:5], off
	s_mov_b32 s11, 0
	s_mov_b32 s2, -1
	s_waitcnt vmcnt(0)
	v_lshlrev_b32_e32 v9, 16, v9
	s_delay_alu instid0(VALU_DEP_1)
	v_cvt_f64_f32_e32 v[15:16], v9
	s_branch .LBB513_1542
.LBB513_1540:
	s_mov_b32 s3, -1
                                        ; implicit-def: $vgpr15_vgpr16
	s_branch .LBB513_1543
.LBB513_1541:
	s_mov_b32 s11, -1
                                        ; implicit-def: $vgpr15_vgpr16
.LBB513_1542:
	s_mov_b32 s3, 0
.LBB513_1543:
	s_delay_alu instid0(SALU_CYCLE_1)
	s_and_b32 vcc_lo, exec_lo, s3
	s_cbranch_vccz .LBB513_1545
; %bb.1544:
	v_cmp_ne_u16_e64 s11, 11, v13
	s_mov_b32 s12, -1
                                        ; implicit-def: $vgpr15_vgpr16
.LBB513_1545:
	s_delay_alu instid0(VALU_DEP_1)
	s_and_b32 vcc_lo, exec_lo, s11
	s_cbranch_vccnz .LBB513_1565
; %bb.1546:
	s_and_not1_b32 vcc_lo, exec_lo, s12
	s_cbranch_vccnz .LBB513_1548
.LBB513_1547:
	global_load_u8 v9, v[4:5], off
	v_mov_b32_e32 v15, 0
	s_mov_b32 s2, -1
	s_waitcnt vmcnt(0)
	v_cmp_ne_u16_e32 vcc_lo, 0, v9
	v_cndmask_b32_e64 v16, 0, 0x3ff00000, vcc_lo
.LBB513_1548:
.LBB513_1549:
	s_and_not1_b32 vcc_lo, exec_lo, s2
	s_cbranch_vccnz .LBB513_1699
.LBB513_1550:
	v_dual_mov_b32 v11, s1 :: v_dual_mov_b32 v10, s0
	s_mov_b32 s2, exec_lo
	s_waitcnt vmcnt(0)
	s_delay_alu instid0(VALU_DEP_2)
	v_cmpx_o_f64_e32 v[15:16], v[15:16]
	s_cbranch_execz .LBB513_1554
; %bb.1551:
	s_load_b64 s[12:13], s[20:21], 0x160
	s_mov_b32 s3, exec_lo
	s_waitcnt lgkmcnt(0)
	v_dual_mov_b32 v10, s12 :: v_dual_mov_b32 v11, s13
	v_cmpx_neq_f64_e32 0x7ff00000, v[15:16]
	s_cbranch_execz .LBB513_1553
; %bb.1552:
	v_cmp_eq_f64_e32 vcc_lo, 0xfff00000, v[15:16]
	s_load_b64 s[12:13], s[20:21], 0x168
	s_waitcnt lgkmcnt(0)
	v_cndmask_b32_e64 v11, v16, s13, vcc_lo
	v_cndmask_b32_e64 v10, v15, s12, vcc_lo
.LBB513_1553:
	s_or_b32 exec_lo, exec_lo, s3
.LBB513_1554:
	s_delay_alu instid0(SALU_CYCLE_1) | instskip(SKIP_2) | instid1(VALU_DEP_1)
	s_or_b32 exec_lo, exec_lo, s2
	v_cmp_gt_i16_e32 vcc_lo, 11, v13
	v_add_co_u32 v3, s2, s6, v3
	v_add_co_ci_u32_e64 v4, null, s7, 0, s2
	s_mov_b32 s2, 0
	s_cbranch_vccnz .LBB513_1561
; %bb.1555:
	v_cmp_lt_i16_e32 vcc_lo, 25, v13
	s_mov_b32 s7, 0
	s_cbranch_vccz .LBB513_1562
; %bb.1556:
	v_cmp_lt_i16_e32 vcc_lo, 28, v13
	s_cbranch_vccz .LBB513_1563
; %bb.1557:
	v_cmp_lt_i16_e32 vcc_lo, 43, v13
	;; [unrolled: 3-line block ×3, first 2 shown]
	s_cbranch_vccz .LBB513_1567
; %bb.1559:
	v_cmp_eq_u16_e32 vcc_lo, 46, v13
	s_mov_b32 s3, 0
	s_cbranch_vccz .LBB513_1570
; %bb.1560:
	global_load_b32 v5, v[3:4], off
	s_mov_b32 s6, 0
	s_mov_b32 s2, -1
	s_waitcnt vmcnt(0)
	v_lshlrev_b32_e32 v5, 16, v5
	s_delay_alu instid0(VALU_DEP_1)
	v_cvt_f64_f32_e32 v[15:16], v5
	s_branch .LBB513_1572
.LBB513_1561:
	s_mov_b32 s3, -1
                                        ; implicit-def: $vgpr15_vgpr16
	s_branch .LBB513_1638
.LBB513_1562:
	s_mov_b32 s3, -1
	s_mov_b32 s6, 0
                                        ; implicit-def: $vgpr15_vgpr16
	s_branch .LBB513_1603
.LBB513_1563:
	s_mov_b32 s3, -1
	s_mov_b32 s6, 0
                                        ; implicit-def: $vgpr15_vgpr16
	s_branch .LBB513_1582
.LBB513_1564:
	s_mov_b32 s3, -1
	s_mov_b32 s6, 0
                                        ; implicit-def: $vgpr15_vgpr16
	s_branch .LBB513_1577
.LBB513_1565:
	s_cbranch_execnz .LBB513_1568
; %bb.1566:
	s_or_b32 s10, s10, exec_lo
                                        ; implicit-def: $vgpr15_vgpr16
	s_cbranch_execz .LBB513_1547
	s_branch .LBB513_1548
.LBB513_1567:
	s_mov_b32 s3, -1
	s_mov_b32 s6, 0
	s_branch .LBB513_1571
.LBB513_1568:
	s_trap 2
	s_sendmsg_rtn_b32 s0, sendmsg(MSG_RTN_GET_DOORBELL)
	s_mov_b32 ttmp2, m0
	s_waitcnt lgkmcnt(0)
	s_and_b32 s0, s0, 0x3ff
	s_delay_alu instid0(SALU_CYCLE_1) | instskip(NEXT) | instid1(SALU_CYCLE_1)
	s_bitset1_b32 s0, 10
	s_mov_b32 m0, s0
	s_sendmsg sendmsg(MSG_INTERRUPT)
	s_mov_b32 m0, ttmp2
.LBB513_1569:                           ; =>This Inner Loop Header: Depth=1
	s_sethalt 5
	s_branch .LBB513_1569
.LBB513_1570:
	s_mov_b32 s6, -1
.LBB513_1571:
                                        ; implicit-def: $vgpr15_vgpr16
.LBB513_1572:
	s_and_b32 vcc_lo, exec_lo, s3
	s_cbranch_vccz .LBB513_1576
; %bb.1573:
	v_cmp_eq_u16_e32 vcc_lo, 44, v13
	s_cbranch_vccz .LBB513_1575
; %bb.1574:
	global_load_u8 v5, v[3:4], off
	s_mov_b32 s6, 0
	s_mov_b32 s2, -1
	s_waitcnt vmcnt(0)
	v_lshlrev_b32_e32 v9, 23, v5
	v_cmp_ne_u32_e32 vcc_lo, 0xff, v5
	s_delay_alu instid0(VALU_DEP_2) | instskip(NEXT) | instid1(VALU_DEP_1)
	v_cvt_f64_f32_e32 v[15:16], v9
	v_cndmask_b32_e32 v9, 0x20000000, v15, vcc_lo
	s_delay_alu instid0(VALU_DEP_2) | instskip(SKIP_1) | instid1(VALU_DEP_2)
	v_cndmask_b32_e32 v15, 0x7ff80000, v16, vcc_lo
	v_cmp_ne_u32_e32 vcc_lo, 0, v5
	v_cndmask_b32_e32 v16, 0x38000000, v15, vcc_lo
	s_delay_alu instid0(VALU_DEP_4)
	v_cndmask_b32_e32 v15, 0, v9, vcc_lo
	s_branch .LBB513_1576
.LBB513_1575:
	s_mov_b32 s6, -1
                                        ; implicit-def: $vgpr15_vgpr16
.LBB513_1576:
	s_mov_b32 s3, 0
.LBB513_1577:
	s_delay_alu instid0(SALU_CYCLE_1)
	s_and_b32 vcc_lo, exec_lo, s3
	s_cbranch_vccz .LBB513_1581
; %bb.1578:
	v_cmp_eq_u16_e32 vcc_lo, 29, v13
	s_cbranch_vccz .LBB513_1580
; %bb.1579:
	global_load_b64 v[15:16], v[3:4], off
	s_mov_b32 s6, 0
	s_mov_b32 s2, -1
	s_mov_b32 s3, 0
	s_waitcnt vmcnt(0)
	v_cvt_f64_u32_e32 v[16:17], v16
	v_cvt_f64_u32_e32 v[18:19], v15
	s_delay_alu instid0(VALU_DEP_2) | instskip(NEXT) | instid1(VALU_DEP_1)
	v_ldexp_f64 v[16:17], v[16:17], 32
	v_add_f64 v[15:16], v[16:17], v[18:19]
	s_branch .LBB513_1582
.LBB513_1580:
	s_mov_b32 s6, -1
                                        ; implicit-def: $vgpr15_vgpr16
.LBB513_1581:
	s_mov_b32 s3, 0
.LBB513_1582:
	s_delay_alu instid0(SALU_CYCLE_1)
	s_and_b32 vcc_lo, exec_lo, s3
	s_cbranch_vccz .LBB513_1602
; %bb.1583:
	v_cmp_gt_i16_e32 vcc_lo, 27, v13
	s_cbranch_vccnz .LBB513_1586
; %bb.1584:
	v_cmp_lt_i16_e32 vcc_lo, 27, v13
	s_cbranch_vccz .LBB513_1587
; %bb.1585:
	global_load_b32 v5, v[3:4], off
	s_mov_b32 s2, 0
	s_waitcnt vmcnt(0)
	v_cvt_f64_u32_e32 v[15:16], v5
	s_branch .LBB513_1588
.LBB513_1586:
	s_mov_b32 s2, -1
                                        ; implicit-def: $vgpr15_vgpr16
	s_branch .LBB513_1591
.LBB513_1587:
	s_mov_b32 s2, -1
                                        ; implicit-def: $vgpr15_vgpr16
.LBB513_1588:
	s_delay_alu instid0(SALU_CYCLE_1)
	s_and_not1_b32 vcc_lo, exec_lo, s2
	s_cbranch_vccnz .LBB513_1590
; %bb.1589:
	global_load_u16 v5, v[3:4], off
	s_waitcnt vmcnt(0)
	v_cvt_f64_u32_e32 v[15:16], v5
.LBB513_1590:
	s_mov_b32 s2, 0
.LBB513_1591:
	s_delay_alu instid0(SALU_CYCLE_1)
	s_and_not1_b32 vcc_lo, exec_lo, s2
	s_cbranch_vccnz .LBB513_1601
; %bb.1592:
	global_load_u8 v5, v[3:4], off
	s_mov_b32 s11, 0
	s_mov_b32 s12, exec_lo
                                        ; implicit-def: $sgpr2_sgpr3
	s_waitcnt vmcnt(0)
	v_cmpx_lt_i16_e32 0x7f, v5
	s_xor_b32 s12, exec_lo, s12
	s_cbranch_execz .LBB513_1596
; %bb.1593:
	s_mov_b32 s13, -1
	s_mov_b32 s11, exec_lo
                                        ; implicit-def: $sgpr2_sgpr3
	v_cmpx_eq_u16_e32 0x80, v5
; %bb.1594:
	s_mov_b32 s3, 0x7ff80000
	s_brev_b32 s2, 4
	s_xor_b32 s13, exec_lo, -1
; %bb.1595:
	s_or_b32 exec_lo, exec_lo, s11
	s_delay_alu instid0(SALU_CYCLE_1)
	s_and_b32 s11, s13, exec_lo
.LBB513_1596:
	s_or_saveexec_b32 s12, s12
	v_dual_mov_b32 v16, s3 :: v_dual_mov_b32 v15, s2
	s_xor_b32 exec_lo, exec_lo, s12
; %bb.1597:
	v_cmp_ne_u16_e32 vcc_lo, 0, v5
	v_mov_b32_e32 v15, 0
	v_mov_b32_e32 v16, 0
	s_and_not1_b32 s2, s11, exec_lo
	s_and_b32 s3, vcc_lo, exec_lo
	s_delay_alu instid0(SALU_CYCLE_1)
	s_or_b32 s11, s2, s3
; %bb.1598:
	s_or_b32 exec_lo, exec_lo, s12
	s_and_saveexec_b32 s2, s11
	s_cbranch_execz .LBB513_1600
; %bb.1599:
	v_and_b32_e32 v9, 0xffff, v5
	v_lshlrev_b32_e32 v5, 24, v5
	s_delay_alu instid0(VALU_DEP_2) | instskip(NEXT) | instid1(VALU_DEP_2)
	v_and_b32_e32 v15, 7, v9
	v_and_b32_e32 v5, 0x80000000, v5
	s_delay_alu instid0(VALU_DEP_2) | instskip(NEXT) | instid1(VALU_DEP_1)
	v_clz_i32_u32_e32 v16, v15
	v_min_u32_e32 v16, 32, v16
	s_delay_alu instid0(VALU_DEP_1) | instskip(SKIP_1) | instid1(VALU_DEP_2)
	v_subrev_nc_u32_e32 v17, 28, v16
	v_sub_nc_u32_e32 v16, 29, v16
	v_lshlrev_b32_e32 v17, v17, v9
	v_bfe_u32 v9, v9, 3, 4
	s_delay_alu instid0(VALU_DEP_2) | instskip(NEXT) | instid1(VALU_DEP_2)
	v_and_b32_e32 v17, 7, v17
	v_cmp_eq_u32_e32 vcc_lo, 0, v9
	v_cndmask_b32_e32 v9, v9, v16, vcc_lo
	s_delay_alu instid0(VALU_DEP_3) | instskip(NEXT) | instid1(VALU_DEP_2)
	v_cndmask_b32_e32 v15, v15, v17, vcc_lo
	v_lshl_add_u32 v9, v9, 23, 0x3b800000
	s_delay_alu instid0(VALU_DEP_2) | instskip(NEXT) | instid1(VALU_DEP_1)
	v_lshlrev_b32_e32 v15, 20, v15
	v_or3_b32 v5, v5, v9, v15
	s_delay_alu instid0(VALU_DEP_1)
	v_cvt_f64_f32_e32 v[15:16], v5
.LBB513_1600:
	s_or_b32 exec_lo, exec_lo, s2
.LBB513_1601:
	s_mov_b32 s2, -1
.LBB513_1602:
	s_mov_b32 s3, 0
.LBB513_1603:
	s_delay_alu instid0(SALU_CYCLE_1)
	s_and_b32 vcc_lo, exec_lo, s3
	s_cbranch_vccz .LBB513_1634
; %bb.1604:
	v_cmp_lt_i16_e32 vcc_lo, 22, v13
	s_cbranch_vccz .LBB513_1616
; %bb.1605:
	v_cmp_gt_i16_e32 vcc_lo, 24, v13
	s_cbranch_vccnz .LBB513_1617
; %bb.1606:
	v_cmp_lt_i16_e32 vcc_lo, 24, v13
	s_cbranch_vccz .LBB513_1618
; %bb.1607:
	global_load_u8 v5, v[3:4], off
	s_mov_b32 s11, exec_lo
                                        ; implicit-def: $sgpr2_sgpr3
	s_waitcnt vmcnt(0)
	v_cmpx_lt_i16_e32 0x7f, v5
	s_xor_b32 s11, exec_lo, s11
	s_cbranch_execz .LBB513_1611
; %bb.1608:
	s_mov_b32 s12, -1
	s_mov_b32 s7, exec_lo
                                        ; implicit-def: $sgpr2_sgpr3
	v_cmpx_eq_u16_e32 0x80, v5
; %bb.1609:
	s_mov_b32 s3, 0x7ff80000
	s_brev_b32 s2, 4
	s_xor_b32 s12, exec_lo, -1
; %bb.1610:
	s_or_b32 exec_lo, exec_lo, s7
	s_delay_alu instid0(SALU_CYCLE_1)
	s_and_b32 s7, s12, exec_lo
.LBB513_1611:
	s_or_saveexec_b32 s11, s11
	v_dual_mov_b32 v16, s3 :: v_dual_mov_b32 v15, s2
	s_xor_b32 exec_lo, exec_lo, s11
; %bb.1612:
	v_cmp_ne_u16_e32 vcc_lo, 0, v5
	v_mov_b32_e32 v15, 0
	v_mov_b32_e32 v16, 0
	s_and_not1_b32 s2, s7, exec_lo
	s_and_b32 s3, vcc_lo, exec_lo
	s_delay_alu instid0(SALU_CYCLE_1)
	s_or_b32 s7, s2, s3
; %bb.1613:
	s_or_b32 exec_lo, exec_lo, s11
	s_and_saveexec_b32 s2, s7
	s_cbranch_execz .LBB513_1615
; %bb.1614:
	v_and_b32_e32 v9, 0xffff, v5
	v_lshlrev_b32_e32 v5, 24, v5
	s_delay_alu instid0(VALU_DEP_2) | instskip(NEXT) | instid1(VALU_DEP_2)
	v_and_b32_e32 v15, 3, v9
	v_and_b32_e32 v5, 0x80000000, v5
	s_delay_alu instid0(VALU_DEP_2) | instskip(NEXT) | instid1(VALU_DEP_1)
	v_clz_i32_u32_e32 v16, v15
	v_min_u32_e32 v16, 32, v16
	s_delay_alu instid0(VALU_DEP_1) | instskip(SKIP_1) | instid1(VALU_DEP_2)
	v_subrev_nc_u32_e32 v17, 29, v16
	v_sub_nc_u32_e32 v16, 30, v16
	v_lshlrev_b32_e32 v17, v17, v9
	v_bfe_u32 v9, v9, 2, 5
	s_delay_alu instid0(VALU_DEP_2) | instskip(NEXT) | instid1(VALU_DEP_2)
	v_and_b32_e32 v17, 3, v17
	v_cmp_eq_u32_e32 vcc_lo, 0, v9
	v_cndmask_b32_e32 v9, v9, v16, vcc_lo
	s_delay_alu instid0(VALU_DEP_3) | instskip(NEXT) | instid1(VALU_DEP_2)
	v_cndmask_b32_e32 v15, v15, v17, vcc_lo
	v_lshl_add_u32 v9, v9, 23, 0x37800000
	s_delay_alu instid0(VALU_DEP_2) | instskip(NEXT) | instid1(VALU_DEP_1)
	v_lshlrev_b32_e32 v15, 21, v15
	v_or3_b32 v5, v5, v9, v15
	s_delay_alu instid0(VALU_DEP_1)
	v_cvt_f64_f32_e32 v[15:16], v5
.LBB513_1615:
	s_or_b32 exec_lo, exec_lo, s2
	s_mov_b32 s2, 0
	s_branch .LBB513_1619
.LBB513_1616:
	s_mov_b32 s3, -1
                                        ; implicit-def: $vgpr15_vgpr16
	s_branch .LBB513_1625
.LBB513_1617:
	s_mov_b32 s2, -1
                                        ; implicit-def: $vgpr15_vgpr16
	s_branch .LBB513_1622
.LBB513_1618:
	s_mov_b32 s2, -1
                                        ; implicit-def: $vgpr15_vgpr16
.LBB513_1619:
	s_delay_alu instid0(SALU_CYCLE_1)
	s_and_b32 vcc_lo, exec_lo, s2
	s_cbranch_vccz .LBB513_1621
; %bb.1620:
	global_load_u8 v5, v[3:4], off
	s_waitcnt vmcnt(0)
	v_lshlrev_b32_e32 v5, 24, v5
	s_delay_alu instid0(VALU_DEP_1) | instskip(NEXT) | instid1(VALU_DEP_1)
	v_and_b32_e32 v9, 0x7f000000, v5
	v_clz_i32_u32_e32 v15, v9
	v_cmp_ne_u32_e32 vcc_lo, 0, v9
	v_add_nc_u32_e32 v17, 0x1000000, v9
	s_delay_alu instid0(VALU_DEP_3) | instskip(NEXT) | instid1(VALU_DEP_1)
	v_min_u32_e32 v15, 32, v15
	v_sub_nc_u32_e64 v15, v15, 4 clamp
	s_delay_alu instid0(VALU_DEP_1) | instskip(SKIP_1) | instid1(VALU_DEP_2)
	v_lshlrev_b32_e32 v16, v15, v9
	v_lshlrev_b32_e32 v15, 23, v15
	v_lshrrev_b32_e32 v16, 4, v16
	s_delay_alu instid0(VALU_DEP_1) | instskip(SKIP_1) | instid1(VALU_DEP_2)
	v_sub_nc_u32_e32 v15, v16, v15
	v_ashrrev_i32_e32 v16, 8, v17
	v_add_nc_u32_e32 v15, 0x3c000000, v15
	s_delay_alu instid0(VALU_DEP_1) | instskip(NEXT) | instid1(VALU_DEP_1)
	v_and_or_b32 v15, 0x7f800000, v16, v15
	v_cndmask_b32_e32 v9, 0, v15, vcc_lo
	s_delay_alu instid0(VALU_DEP_1) | instskip(NEXT) | instid1(VALU_DEP_1)
	v_and_or_b32 v5, 0x80000000, v5, v9
	v_cvt_f64_f32_e32 v[15:16], v5
.LBB513_1621:
	s_mov_b32 s2, 0
.LBB513_1622:
	s_delay_alu instid0(SALU_CYCLE_1)
	s_and_not1_b32 vcc_lo, exec_lo, s2
	s_cbranch_vccnz .LBB513_1624
; %bb.1623:
	global_load_u8 v5, v[3:4], off
	s_waitcnt vmcnt(0)
	v_lshlrev_b32_e32 v9, 25, v5
	v_lshlrev_b16 v5, 8, v5
	s_delay_alu instid0(VALU_DEP_1) | instskip(SKIP_1) | instid1(VALU_DEP_2)
	v_and_or_b32 v16, 0x7f00, v5, 0.5
	v_bfe_i32 v5, v5, 0, 16
	v_add_f32_e32 v16, -0.5, v16
	v_lshrrev_b32_e32 v15, 4, v9
	v_cmp_gt_u32_e32 vcc_lo, 0x8000000, v9
	s_delay_alu instid0(VALU_DEP_2) | instskip(NEXT) | instid1(VALU_DEP_1)
	v_or_b32_e32 v15, 0x70000000, v15
	v_mul_f32_e32 v15, 0x7800000, v15
	s_delay_alu instid0(VALU_DEP_1) | instskip(NEXT) | instid1(VALU_DEP_1)
	v_cndmask_b32_e32 v9, v15, v16, vcc_lo
	v_and_or_b32 v5, 0x80000000, v5, v9
	s_delay_alu instid0(VALU_DEP_1)
	v_cvt_f64_f32_e32 v[15:16], v5
.LBB513_1624:
	s_mov_b32 s3, 0
	s_mov_b32 s2, -1
.LBB513_1625:
	s_and_not1_b32 vcc_lo, exec_lo, s3
	s_mov_b32 s7, 0
	s_cbranch_vccnz .LBB513_1634
; %bb.1626:
	v_cmp_lt_i16_e32 vcc_lo, 14, v13
	s_cbranch_vccz .LBB513_1629
; %bb.1627:
	v_cmp_eq_u16_e32 vcc_lo, 15, v13
	s_cbranch_vccz .LBB513_1630
; %bb.1628:
	global_load_u16 v5, v[3:4], off
	s_mov_b32 s6, 0
	s_mov_b32 s2, -1
	s_waitcnt vmcnt(0)
	v_lshlrev_b32_e32 v5, 16, v5
	s_delay_alu instid0(VALU_DEP_1)
	v_cvt_f64_f32_e32 v[15:16], v5
	s_branch .LBB513_1631
.LBB513_1629:
	s_mov_b32 s3, -1
                                        ; implicit-def: $vgpr15_vgpr16
	s_branch .LBB513_1632
.LBB513_1630:
	s_mov_b32 s6, -1
                                        ; implicit-def: $vgpr15_vgpr16
.LBB513_1631:
	s_mov_b32 s3, 0
.LBB513_1632:
	s_delay_alu instid0(SALU_CYCLE_1)
	s_and_b32 vcc_lo, exec_lo, s3
	s_cbranch_vccz .LBB513_1634
; %bb.1633:
	v_cmp_ne_u16_e64 s6, 11, v13
	s_mov_b32 s7, -1
                                        ; implicit-def: $vgpr15_vgpr16
.LBB513_1634:
	s_delay_alu instid0(VALU_DEP_1)
	s_and_b32 vcc_lo, exec_lo, s6
	s_cbranch_vccnz .LBB513_1746
; %bb.1635:
	s_and_not1_b32 vcc_lo, exec_lo, s7
	s_cbranch_vccnz .LBB513_1637
.LBB513_1636:
	global_load_u8 v5, v[3:4], off
	v_mov_b32_e32 v15, 0
	s_mov_b32 s2, -1
	s_waitcnt vmcnt(0)
	v_cmp_ne_u16_e32 vcc_lo, 0, v5
	v_cndmask_b32_e64 v16, 0, 0x3ff00000, vcc_lo
.LBB513_1637:
	s_mov_b32 s3, 0
.LBB513_1638:
	s_delay_alu instid0(SALU_CYCLE_1)
	s_and_b32 vcc_lo, exec_lo, s3
	s_cbranch_vccz .LBB513_1687
; %bb.1639:
	v_cmp_gt_i16_e32 vcc_lo, 5, v13
	s_cbranch_vccnz .LBB513_1644
; %bb.1640:
	v_cmp_gt_i16_e32 vcc_lo, 8, v13
	s_cbranch_vccnz .LBB513_1645
	;; [unrolled: 3-line block ×3, first 2 shown]
; %bb.1642:
	v_cmp_lt_i16_e32 vcc_lo, 9, v13
	s_cbranch_vccz .LBB513_1647
; %bb.1643:
	global_load_b64 v[15:16], v[3:4], off
	s_mov_b32 s2, 0
	s_branch .LBB513_1648
.LBB513_1644:
	s_mov_b32 s2, -1
                                        ; implicit-def: $vgpr15_vgpr16
	s_branch .LBB513_1666
.LBB513_1645:
	s_mov_b32 s2, -1
                                        ; implicit-def: $vgpr15_vgpr16
	s_branch .LBB513_1654
.LBB513_1646:
	s_mov_b32 s2, -1
                                        ; implicit-def: $vgpr15_vgpr16
	s_branch .LBB513_1651
.LBB513_1647:
	s_mov_b32 s2, -1
                                        ; implicit-def: $vgpr15_vgpr16
.LBB513_1648:
	s_delay_alu instid0(SALU_CYCLE_1)
	s_and_not1_b32 vcc_lo, exec_lo, s2
	s_cbranch_vccnz .LBB513_1650
; %bb.1649:
	global_load_b32 v5, v[3:4], off
	s_waitcnt vmcnt(0)
	v_cvt_f64_f32_e32 v[15:16], v5
.LBB513_1650:
	s_mov_b32 s2, 0
.LBB513_1651:
	s_delay_alu instid0(SALU_CYCLE_1)
	s_and_not1_b32 vcc_lo, exec_lo, s2
	s_cbranch_vccnz .LBB513_1653
; %bb.1652:
	global_load_b32 v5, v[3:4], off
	s_waitcnt vmcnt(0)
	v_cvt_f32_f16_e32 v5, v5
	s_delay_alu instid0(VALU_DEP_1)
	v_cvt_f64_f32_e32 v[15:16], v5
.LBB513_1653:
	s_mov_b32 s2, 0
.LBB513_1654:
	s_delay_alu instid0(SALU_CYCLE_1)
	s_and_not1_b32 vcc_lo, exec_lo, s2
	s_cbranch_vccnz .LBB513_1665
; %bb.1655:
	v_cmp_gt_i16_e32 vcc_lo, 6, v13
	s_cbranch_vccnz .LBB513_1658
; %bb.1656:
	v_cmp_lt_i16_e32 vcc_lo, 6, v13
	s_cbranch_vccz .LBB513_1659
; %bb.1657:
	global_load_b64 v[15:16], v[3:4], off
	s_mov_b32 s2, 0
	s_branch .LBB513_1660
.LBB513_1658:
	s_mov_b32 s2, -1
                                        ; implicit-def: $vgpr15_vgpr16
	s_branch .LBB513_1663
.LBB513_1659:
	s_mov_b32 s2, -1
                                        ; implicit-def: $vgpr15_vgpr16
.LBB513_1660:
	s_delay_alu instid0(SALU_CYCLE_1)
	s_and_not1_b32 vcc_lo, exec_lo, s2
	s_cbranch_vccnz .LBB513_1662
; %bb.1661:
	global_load_b32 v5, v[3:4], off
	s_waitcnt vmcnt(0)
	v_cvt_f64_f32_e32 v[15:16], v5
.LBB513_1662:
	s_mov_b32 s2, 0
.LBB513_1663:
	s_delay_alu instid0(SALU_CYCLE_1)
	s_and_not1_b32 vcc_lo, exec_lo, s2
	s_cbranch_vccnz .LBB513_1665
; %bb.1664:
	global_load_u16 v5, v[3:4], off
	s_waitcnt vmcnt(0)
	v_cvt_f32_f16_e32 v5, v5
	s_delay_alu instid0(VALU_DEP_1)
	v_cvt_f64_f32_e32 v[15:16], v5
.LBB513_1665:
	s_mov_b32 s2, 0
.LBB513_1666:
	s_delay_alu instid0(SALU_CYCLE_1)
	s_and_not1_b32 vcc_lo, exec_lo, s2
	s_cbranch_vccnz .LBB513_1686
; %bb.1667:
	v_cmp_gt_i16_e32 vcc_lo, 2, v13
	s_cbranch_vccnz .LBB513_1671
; %bb.1668:
	v_cmp_gt_i16_e32 vcc_lo, 3, v13
	s_cbranch_vccnz .LBB513_1672
; %bb.1669:
	v_cmp_lt_i16_e32 vcc_lo, 3, v13
	s_cbranch_vccz .LBB513_1673
; %bb.1670:
	global_load_b64 v[15:16], v[3:4], off
	s_mov_b32 s2, 0
	s_waitcnt vmcnt(0)
	v_cvt_f64_i32_e32 v[16:17], v16
	v_cvt_f64_u32_e32 v[18:19], v15
	s_delay_alu instid0(VALU_DEP_2) | instskip(NEXT) | instid1(VALU_DEP_1)
	v_ldexp_f64 v[16:17], v[16:17], 32
	v_add_f64 v[15:16], v[16:17], v[18:19]
	s_branch .LBB513_1674
.LBB513_1671:
	s_mov_b32 s2, -1
                                        ; implicit-def: $vgpr15_vgpr16
	s_branch .LBB513_1680
.LBB513_1672:
	s_mov_b32 s2, -1
                                        ; implicit-def: $vgpr15_vgpr16
	s_branch .LBB513_1677
.LBB513_1673:
	s_mov_b32 s2, -1
                                        ; implicit-def: $vgpr15_vgpr16
.LBB513_1674:
	s_delay_alu instid0(SALU_CYCLE_1)
	s_and_not1_b32 vcc_lo, exec_lo, s2
	s_cbranch_vccnz .LBB513_1676
; %bb.1675:
	global_load_b32 v5, v[3:4], off
	s_waitcnt vmcnt(0)
	v_cvt_f64_i32_e32 v[15:16], v5
.LBB513_1676:
	s_mov_b32 s2, 0
.LBB513_1677:
	s_delay_alu instid0(SALU_CYCLE_1)
	s_and_not1_b32 vcc_lo, exec_lo, s2
	s_cbranch_vccnz .LBB513_1679
; %bb.1678:
	global_load_i16 v5, v[3:4], off
	s_waitcnt vmcnt(0)
	v_cvt_f64_i32_e32 v[15:16], v5
.LBB513_1679:
	s_mov_b32 s2, 0
.LBB513_1680:
	s_delay_alu instid0(SALU_CYCLE_1)
	s_and_not1_b32 vcc_lo, exec_lo, s2
	s_cbranch_vccnz .LBB513_1686
; %bb.1681:
	v_cmp_lt_i16_e32 vcc_lo, 0, v13
	s_mov_b32 s2, 0
	s_cbranch_vccz .LBB513_1683
; %bb.1682:
	global_load_i8 v5, v[3:4], off
	s_waitcnt vmcnt(0)
	v_cvt_f64_i32_e32 v[15:16], v5
	s_branch .LBB513_1684
.LBB513_1683:
	s_mov_b32 s2, -1
                                        ; implicit-def: $vgpr15_vgpr16
.LBB513_1684:
	s_delay_alu instid0(SALU_CYCLE_1)
	s_and_not1_b32 vcc_lo, exec_lo, s2
	s_cbranch_vccnz .LBB513_1686
; %bb.1685:
	global_load_u8 v3, v[3:4], off
	s_waitcnt vmcnt(0)
	v_cvt_f64_u32_e32 v[15:16], v3
.LBB513_1686:
	s_mov_b32 s2, -1
.LBB513_1687:
	s_delay_alu instid0(SALU_CYCLE_1)
	s_and_not1_b32 vcc_lo, exec_lo, s2
	s_cbranch_vccnz .LBB513_1699
; %bb.1688:
	v_dual_mov_b32 v5, s1 :: v_dual_mov_b32 v4, s0
	s_mov_b32 s0, exec_lo
	s_waitcnt vmcnt(0)
	s_delay_alu instid0(VALU_DEP_2)
	v_cmpx_o_f64_e32 v[15:16], v[15:16]
	s_cbranch_execz .LBB513_1692
; %bb.1689:
	s_load_b64 s[2:3], s[20:21], 0x160
	s_mov_b32 s1, exec_lo
	s_waitcnt lgkmcnt(0)
	v_dual_mov_b32 v5, s3 :: v_dual_mov_b32 v4, s2
	v_cmpx_neq_f64_e32 0x7ff00000, v[15:16]
	s_cbranch_execz .LBB513_1691
; %bb.1690:
	v_cmp_eq_f64_e32 vcc_lo, 0xfff00000, v[15:16]
	s_load_b64 s[2:3], s[20:21], 0x168
	s_waitcnt lgkmcnt(0)
	v_cndmask_b32_e64 v5, v16, s3, vcc_lo
	v_cndmask_b32_e64 v4, v15, s2, vcc_lo
.LBB513_1691:
	s_or_b32 exec_lo, exec_lo, s1
.LBB513_1692:
	s_delay_alu instid0(SALU_CYCLE_1) | instskip(SKIP_2) | instid1(VALU_DEP_1)
	s_or_b32 exec_lo, exec_lo, s0
	s_load_b32 s0, s[20:21], 0x170
	v_add_co_u32 v15, s1, s4, v2
	v_add_co_ci_u32_e64 v16, null, s5, 0, s1
	s_mov_b32 s3, 0
	s_waitcnt lgkmcnt(0)
	s_and_b32 s2, s0, 0xff
	s_delay_alu instid0(SALU_CYCLE_1) | instskip(NEXT) | instid1(VALU_DEP_1)
	v_cmp_lt_i16_e64 s0, s2, 11
	s_and_b32 vcc_lo, exec_lo, s0
	s_mov_b32 s0, -1
	s_cbranch_vccnz .LBB513_1820
; %bb.1693:
	v_cmp_gt_i16_e64 s0, s2, 25
	s_mov_b32 s6, -1
	s_mov_b32 s1, 0
	s_delay_alu instid0(VALU_DEP_1)
	s_and_b32 vcc_lo, exec_lo, s0
	s_mov_b32 s0, 0
	s_cbranch_vccz .LBB513_1776
; %bb.1694:
	v_cmp_gt_i16_e64 s0, s2, 28
	s_delay_alu instid0(VALU_DEP_1)
	s_and_b32 vcc_lo, exec_lo, s0
	s_cbranch_vccz .LBB513_1744
; %bb.1695:
	v_cmp_gt_i16_e64 s0, s2, 43
	s_delay_alu instid0(VALU_DEP_1)
	s_and_b32 vcc_lo, exec_lo, s0
	;; [unrolled: 5-line block ×3, first 2 shown]
	s_cbranch_vccz .LBB513_1748
; %bb.1697:
	v_cmp_eq_u16_e64 s3, s2, 46
	s_mov_b32 s0, -1
	s_mov_b32 s6, 0
	s_delay_alu instid0(VALU_DEP_1)
	s_and_b32 vcc_lo, exec_lo, s3
	s_mov_b32 s3, 0
	s_cbranch_vccz .LBB513_1749
; %bb.1698:
	v_cvt_f32_f64_e32 v2, v[0:1]
	s_mov_b32 s0, 0
	s_mov_b32 s3, -1
	s_delay_alu instid0(VALU_DEP_1) | instskip(SKIP_1) | instid1(VALU_DEP_2)
	v_bfe_u32 v3, v2, 16, 1
	v_cmp_o_f32_e32 vcc_lo, v2, v2
	v_add3_u32 v3, v2, v3, 0x7fff
	s_delay_alu instid0(VALU_DEP_1) | instskip(NEXT) | instid1(VALU_DEP_1)
	v_lshrrev_b32_e32 v3, 16, v3
	v_cndmask_b32_e32 v2, 0x7fc0, v3, vcc_lo
	global_store_b32 v[15:16], v2, off
	s_branch .LBB513_1749
.LBB513_1699:
	s_mov_b32 s0, 0
	s_mov_b32 s1, 0
                                        ; implicit-def: $vgpr0_vgpr1
                                        ; implicit-def: $sgpr2
                                        ; implicit-def: $vgpr4_vgpr5
.LBB513_1700:
	s_and_b32 s3, s0, exec_lo
	s_and_not1_b32 s0, s8, exec_lo
	s_and_b32 s4, s10, exec_lo
	s_and_b32 s33, s1, exec_lo
	s_or_b32 s8, s0, s4
.LBB513_1701:
	s_or_b32 exec_lo, exec_lo, s9
	s_and_saveexec_b32 s0, s8
	s_cbranch_execz .LBB513_1704
; %bb.1702:
	; divergent unreachable
	s_or_b32 exec_lo, exec_lo, s0
	s_and_saveexec_b32 s0, s33
	s_delay_alu instid0(SALU_CYCLE_1)
	s_xor_b32 s0, exec_lo, s0
	s_cbranch_execnz .LBB513_1705
.LBB513_1703:
	s_or_b32 exec_lo, exec_lo, s0
	s_and_saveexec_b32 s0, s3
	s_cbranch_execnz .LBB513_1706
	s_branch .LBB513_1743
.LBB513_1704:
	s_or_b32 exec_lo, exec_lo, s0
	s_and_saveexec_b32 s0, s33
	s_delay_alu instid0(SALU_CYCLE_1)
	s_xor_b32 s0, exec_lo, s0
	s_cbranch_execz .LBB513_1703
.LBB513_1705:
	s_waitcnt vmcnt(0)
	v_cmp_neq_f64_e32 vcc_lo, 0, v[4:5]
	v_cndmask_b32_e64 v2, 0, 1, vcc_lo
	global_store_b8 v[0:1], v2, off
	s_or_b32 exec_lo, exec_lo, s0
	s_and_saveexec_b32 s0, s3
	s_cbranch_execz .LBB513_1743
.LBB513_1706:
	v_cmp_lt_i16_e64 s0, s2, 5
	s_delay_alu instid0(VALU_DEP_1)
	s_and_b32 vcc_lo, exec_lo, s0
	s_mov_b32 s0, -1
	s_cbranch_vccnz .LBB513_1727
; %bb.1707:
	v_cmp_lt_i16_e64 s0, s2, 8
	s_delay_alu instid0(VALU_DEP_1)
	s_and_b32 vcc_lo, exec_lo, s0
	s_mov_b32 s0, -1
	s_cbranch_vccnz .LBB513_1717
; %bb.1708:
	;; [unrolled: 6-line block ×3, first 2 shown]
	v_cmp_gt_i16_e64 s0, s2, 9
	s_delay_alu instid0(VALU_DEP_1)
	s_and_b32 vcc_lo, exec_lo, s0
	s_mov_b32 s0, -1
	s_cbranch_vccz .LBB513_1711
; %bb.1710:
	s_waitcnt vmcnt(0)
	v_mov_b32_e32 v6, 0
	s_mov_b32 s0, 0
	s_delay_alu instid0(VALU_DEP_1)
	v_mov_b32_e32 v7, v6
	global_store_b128 v[0:1], v[4:7], off
.LBB513_1711:
	s_and_not1_b32 vcc_lo, exec_lo, s0
	s_cbranch_vccnz .LBB513_1713
; %bb.1712:
	s_waitcnt vmcnt(0)
	v_cvt_f32_f64_e32 v2, v[4:5]
	v_mov_b32_e32 v3, 0
	global_store_b64 v[0:1], v[2:3], off
.LBB513_1713:
	s_mov_b32 s0, 0
.LBB513_1714:
	s_delay_alu instid0(SALU_CYCLE_1)
	s_and_not1_b32 vcc_lo, exec_lo, s0
	s_cbranch_vccnz .LBB513_1716
; %bb.1715:
	s_waitcnt vmcnt(0)
	v_cvt_f32_f64_e32 v2, v[4:5]
	s_delay_alu instid0(VALU_DEP_1) | instskip(NEXT) | instid1(VALU_DEP_1)
	v_cvt_f16_f32_e32 v2, v2
	v_and_b32_e32 v2, 0xffff, v2
	global_store_b32 v[0:1], v2, off
.LBB513_1716:
	s_mov_b32 s0, 0
.LBB513_1717:
	s_delay_alu instid0(SALU_CYCLE_1)
	s_and_not1_b32 vcc_lo, exec_lo, s0
	s_cbranch_vccnz .LBB513_1726
; %bb.1718:
	v_cmp_lt_i16_e64 s0, s2, 6
	s_delay_alu instid0(VALU_DEP_1)
	s_and_b32 vcc_lo, exec_lo, s0
	s_mov_b32 s0, -1
	s_cbranch_vccnz .LBB513_1724
; %bb.1719:
	v_cmp_gt_i16_e64 s0, s2, 6
	s_delay_alu instid0(VALU_DEP_1)
	s_and_b32 vcc_lo, exec_lo, s0
	s_mov_b32 s0, -1
	s_cbranch_vccz .LBB513_1721
; %bb.1720:
	s_mov_b32 s0, 0
	s_waitcnt vmcnt(0)
	global_store_b64 v[0:1], v[4:5], off
.LBB513_1721:
	s_and_not1_b32 vcc_lo, exec_lo, s0
	s_cbranch_vccnz .LBB513_1723
; %bb.1722:
	s_waitcnt vmcnt(0)
	v_cvt_f32_f64_e32 v2, v[4:5]
	global_store_b32 v[0:1], v2, off
.LBB513_1723:
	s_mov_b32 s0, 0
.LBB513_1724:
	s_delay_alu instid0(SALU_CYCLE_1)
	s_and_not1_b32 vcc_lo, exec_lo, s0
	s_cbranch_vccnz .LBB513_1726
; %bb.1725:
	s_waitcnt vmcnt(0)
	v_cvt_f32_f64_e32 v2, v[4:5]
	s_delay_alu instid0(VALU_DEP_1)
	v_cvt_f16_f32_e32 v2, v2
	global_store_b16 v[0:1], v2, off
.LBB513_1726:
	s_mov_b32 s0, 0
.LBB513_1727:
	s_delay_alu instid0(SALU_CYCLE_1)
	s_and_not1_b32 vcc_lo, exec_lo, s0
	s_cbranch_vccnz .LBB513_1743
; %bb.1728:
	v_cmp_lt_i16_e64 s0, s2, 2
	s_delay_alu instid0(VALU_DEP_1)
	s_and_b32 vcc_lo, exec_lo, s0
	s_mov_b32 s0, -1
	s_cbranch_vccnz .LBB513_1738
; %bb.1729:
	v_cmp_lt_i16_e64 s0, s2, 3
	s_delay_alu instid0(VALU_DEP_1)
	s_and_b32 vcc_lo, exec_lo, s0
	s_mov_b32 s0, -1
	s_cbranch_vccnz .LBB513_1735
; %bb.1730:
	v_cmp_gt_i16_e64 s0, s2, 3
	s_delay_alu instid0(VALU_DEP_1)
	s_and_b32 vcc_lo, exec_lo, s0
	s_mov_b32 s0, -1
	s_cbranch_vccz .LBB513_1732
; %bb.1731:
	s_waitcnt vmcnt(0)
	v_trunc_f64_e32 v[2:3], v[4:5]
	s_mov_b32 s0, 0
	s_delay_alu instid0(VALU_DEP_1) | instskip(NEXT) | instid1(VALU_DEP_1)
	v_ldexp_f64 v[6:7], v[2:3], 0xffffffe0
	v_floor_f64_e32 v[6:7], v[6:7]
	s_delay_alu instid0(VALU_DEP_1) | instskip(SKIP_1) | instid1(VALU_DEP_2)
	v_fma_f64 v[2:3], 0xc1f00000, v[6:7], v[2:3]
	v_cvt_i32_f64_e32 v7, v[6:7]
	v_cvt_u32_f64_e32 v6, v[2:3]
	global_store_b64 v[0:1], v[6:7], off
.LBB513_1732:
	s_and_not1_b32 vcc_lo, exec_lo, s0
	s_cbranch_vccnz .LBB513_1734
; %bb.1733:
	s_waitcnt vmcnt(0)
	v_cvt_i32_f64_e32 v2, v[4:5]
	global_store_b32 v[0:1], v2, off
.LBB513_1734:
	s_mov_b32 s0, 0
.LBB513_1735:
	s_delay_alu instid0(SALU_CYCLE_1)
	s_and_not1_b32 vcc_lo, exec_lo, s0
	s_cbranch_vccnz .LBB513_1737
; %bb.1736:
	s_waitcnt vmcnt(0)
	v_cvt_i32_f64_e32 v2, v[4:5]
	global_store_b16 v[0:1], v2, off
.LBB513_1737:
	s_mov_b32 s0, 0
.LBB513_1738:
	s_delay_alu instid0(SALU_CYCLE_1)
	s_and_not1_b32 vcc_lo, exec_lo, s0
	s_cbranch_vccnz .LBB513_1743
; %bb.1739:
	v_cmp_gt_i16_e64 s0, s2, 0
	s_delay_alu instid0(VALU_DEP_1)
	s_and_b32 vcc_lo, exec_lo, s0
	s_mov_b32 s0, -1
	s_cbranch_vccz .LBB513_1741
; %bb.1740:
	s_waitcnt vmcnt(0)
	v_cvt_i32_f64_e32 v2, v[4:5]
	s_mov_b32 s0, 0
	global_store_b8 v[0:1], v2, off
.LBB513_1741:
	s_and_not1_b32 vcc_lo, exec_lo, s0
	s_cbranch_vccnz .LBB513_1743
; %bb.1742:
	s_waitcnt vmcnt(0)
	v_trunc_f64_e32 v[2:3], v[4:5]
	s_delay_alu instid0(VALU_DEP_1) | instskip(NEXT) | instid1(VALU_DEP_1)
	v_ldexp_f64 v[4:5], v[2:3], 0xffffffe0
	v_floor_f64_e32 v[4:5], v[4:5]
	s_delay_alu instid0(VALU_DEP_1) | instskip(NEXT) | instid1(VALU_DEP_1)
	v_fma_f64 v[2:3], 0xc1f00000, v[4:5], v[2:3]
	v_cvt_u32_f64_e32 v2, v[2:3]
	global_store_b8 v[0:1], v2, off
	s_nop 0
	s_sendmsg sendmsg(MSG_DEALLOC_VGPRS)
	s_endpgm
.LBB513_1743:
	s_nop 0
	s_sendmsg sendmsg(MSG_DEALLOC_VGPRS)
	s_endpgm
.LBB513_1744:
	s_mov_b32 s0, 0
	s_branch .LBB513_1759
.LBB513_1745:
	s_mov_b32 s0, 0
	s_branch .LBB513_1755
.LBB513_1746:
	s_cbranch_execnz .LBB513_1871
; %bb.1747:
	s_or_b32 s10, s10, exec_lo
                                        ; implicit-def: $vgpr15_vgpr16
	s_cbranch_execz .LBB513_1636
	s_branch .LBB513_1637
.LBB513_1748:
	s_mov_b32 s0, 0
.LBB513_1749:
	s_and_b32 vcc_lo, exec_lo, s6
	s_cbranch_vccz .LBB513_1754
; %bb.1750:
	v_cmp_eq_u16_e64 s0, s2, 44
	s_delay_alu instid0(VALU_DEP_1)
	s_and_b32 vcc_lo, exec_lo, s0
	s_mov_b32 s0, -1
	s_cbranch_vccz .LBB513_1754
; %bb.1751:
	v_cvt_f32_f64_e32 v2, v[0:1]
	v_mov_b32_e32 v3, 0xff
	s_mov_b32 s3, exec_lo
	s_delay_alu instid0(VALU_DEP_2) | instskip(NEXT) | instid1(VALU_DEP_1)
	v_bfe_u32 v9, v2, 23, 8
	v_cmpx_ne_u32_e32 0xff, v9
; %bb.1752:
	v_and_b32_e32 v3, 0x400000, v2
	v_and_or_b32 v9, 0x3fffff, v2, v9
	v_lshrrev_b32_e32 v2, 23, v2
	s_delay_alu instid0(VALU_DEP_3) | instskip(NEXT) | instid1(VALU_DEP_3)
	v_cmp_ne_u32_e32 vcc_lo, 0, v3
	v_cmp_ne_u32_e64 s0, 0, v9
	s_delay_alu instid0(VALU_DEP_1) | instskip(NEXT) | instid1(SALU_CYCLE_1)
	s_and_b32 s0, vcc_lo, s0
	v_cndmask_b32_e64 v3, 0, 1, s0
	s_delay_alu instid0(VALU_DEP_1)
	v_add_nc_u32_e32 v3, v2, v3
; %bb.1753:
	s_or_b32 exec_lo, exec_lo, s3
	s_mov_b32 s0, 0
	s_mov_b32 s3, -1
	global_store_b8 v[15:16], v3, off
.LBB513_1754:
	s_mov_b32 s6, 0
.LBB513_1755:
	s_delay_alu instid0(SALU_CYCLE_1)
	s_and_b32 vcc_lo, exec_lo, s6
	s_cbranch_vccz .LBB513_1758
; %bb.1756:
	v_cmp_eq_u16_e64 s0, s2, 29
	s_delay_alu instid0(VALU_DEP_1)
	s_and_b32 vcc_lo, exec_lo, s0
	s_mov_b32 s0, -1
	s_cbranch_vccz .LBB513_1758
; %bb.1757:
	v_trunc_f64_e32 v[2:3], v[0:1]
	s_mov_b32 s0, 0
	s_mov_b32 s3, -1
	s_mov_b32 s6, 0
	s_delay_alu instid0(VALU_DEP_1) | instskip(NEXT) | instid1(VALU_DEP_1)
	v_ldexp_f64 v[17:18], v[2:3], 0xffffffe0
	v_floor_f64_e32 v[17:18], v[17:18]
	s_delay_alu instid0(VALU_DEP_1) | instskip(SKIP_1) | instid1(VALU_DEP_2)
	v_fma_f64 v[2:3], 0xc1f00000, v[17:18], v[2:3]
	v_cvt_u32_f64_e32 v18, v[17:18]
	v_cvt_u32_f64_e32 v17, v[2:3]
	global_store_b64 v[15:16], v[17:18], off
	s_branch .LBB513_1759
.LBB513_1758:
	s_mov_b32 s6, 0
.LBB513_1759:
	s_delay_alu instid0(SALU_CYCLE_1)
	s_and_b32 vcc_lo, exec_lo, s6
	s_cbranch_vccz .LBB513_1775
; %bb.1760:
	v_cmp_lt_i16_e64 s3, s2, 27
	s_delay_alu instid0(VALU_DEP_1)
	s_and_b32 vcc_lo, exec_lo, s3
	s_mov_b32 s3, -1
	s_cbranch_vccnz .LBB513_1766
; %bb.1761:
	v_cvt_u32_f64_e32 v2, v[0:1]
	v_cmp_gt_i16_e64 s3, s2, 27
	s_delay_alu instid0(VALU_DEP_1)
	s_and_b32 vcc_lo, exec_lo, s3
	s_mov_b32 s3, -1
	s_cbranch_vccz .LBB513_1763
; %bb.1762:
	s_mov_b32 s3, 0
	global_store_b32 v[15:16], v2, off
.LBB513_1763:
	s_and_not1_b32 vcc_lo, exec_lo, s3
	s_cbranch_vccnz .LBB513_1765
; %bb.1764:
	global_store_b16 v[15:16], v2, off
.LBB513_1765:
	s_mov_b32 s3, 0
.LBB513_1766:
	s_delay_alu instid0(SALU_CYCLE_1)
	s_and_not1_b32 vcc_lo, exec_lo, s3
	s_cbranch_vccnz .LBB513_1774
; %bb.1767:
	v_cvt_f32_f64_e32 v2, v[0:1]
	v_mov_b32_e32 v9, 0x80
	s_mov_b32 s3, exec_lo
	s_delay_alu instid0(VALU_DEP_2) | instskip(NEXT) | instid1(VALU_DEP_1)
	v_and_b32_e32 v3, 0x7fffffff, v2
	v_cmpx_gt_u32_e32 0x43800000, v3
	s_cbranch_execz .LBB513_1773
; %bb.1768:
	v_cmp_lt_u32_e32 vcc_lo, 0x3bffffff, v3
	s_mov_b32 s6, 0
                                        ; implicit-def: $vgpr3
	s_and_saveexec_b32 s7, vcc_lo
	s_delay_alu instid0(SALU_CYCLE_1)
	s_xor_b32 s7, exec_lo, s7
	s_cbranch_execz .LBB513_1868
; %bb.1769:
	v_bfe_u32 v3, v2, 20, 1
	s_mov_b32 s6, exec_lo
	s_delay_alu instid0(VALU_DEP_1) | instskip(NEXT) | instid1(VALU_DEP_1)
	v_add3_u32 v3, v2, v3, 0x487ffff
	v_lshrrev_b32_e32 v3, 20, v3
	s_or_saveexec_b32 s7, s7
                                        ; implicit-def: $sgpr11
	s_delay_alu instid0(SALU_CYCLE_1)
	s_xor_b32 exec_lo, exec_lo, s7
	s_cbranch_execnz .LBB513_1869
.LBB513_1770:
	s_or_b32 exec_lo, exec_lo, s7
	v_mov_b32_e32 v9, s11
	s_and_saveexec_b32 s7, s6
.LBB513_1771:
	v_lshrrev_b32_e32 v2, 24, v2
	s_delay_alu instid0(VALU_DEP_1)
	v_and_or_b32 v9, 0x80, v2, v3
.LBB513_1772:
	s_or_b32 exec_lo, exec_lo, s7
.LBB513_1773:
	s_delay_alu instid0(SALU_CYCLE_1)
	s_or_b32 exec_lo, exec_lo, s3
	global_store_b8 v[15:16], v9, off
.LBB513_1774:
	s_mov_b32 s3, -1
.LBB513_1775:
	s_mov_b32 s6, 0
.LBB513_1776:
	s_delay_alu instid0(SALU_CYCLE_1)
	s_and_b32 vcc_lo, exec_lo, s6
	s_cbranch_vccz .LBB513_1816
; %bb.1777:
	v_cmp_gt_i16_e64 s1, s2, 22
	s_delay_alu instid0(VALU_DEP_1)
	s_and_b32 vcc_lo, exec_lo, s1
	s_mov_b32 s1, -1
	s_cbranch_vccz .LBB513_1809
; %bb.1778:
	v_cmp_lt_i16_e64 s1, s2, 24
	s_delay_alu instid0(VALU_DEP_1)
	s_and_b32 vcc_lo, exec_lo, s1
	s_mov_b32 s1, -1
	s_cbranch_vccnz .LBB513_1798
; %bb.1779:
	v_cmp_gt_i16_e64 s1, s2, 24
	s_delay_alu instid0(VALU_DEP_1)
	s_and_b32 vcc_lo, exec_lo, s1
	s_mov_b32 s1, -1
	s_cbranch_vccz .LBB513_1787
; %bb.1780:
	v_cvt_f32_f64_e32 v2, v[0:1]
	v_mov_b32_e32 v9, 0x80
	s_mov_b32 s1, exec_lo
	s_delay_alu instid0(VALU_DEP_2) | instskip(NEXT) | instid1(VALU_DEP_1)
	v_and_b32_e32 v3, 0x7fffffff, v2
	v_cmpx_gt_u32_e32 0x47800000, v3
	s_cbranch_execz .LBB513_1786
; %bb.1781:
	v_cmp_lt_u32_e32 vcc_lo, 0x37ffffff, v3
	s_mov_b32 s3, 0
                                        ; implicit-def: $vgpr3
	s_and_saveexec_b32 s6, vcc_lo
	s_delay_alu instid0(SALU_CYCLE_1)
	s_xor_b32 s6, exec_lo, s6
	s_cbranch_execz .LBB513_1875
; %bb.1782:
	v_bfe_u32 v3, v2, 21, 1
	s_mov_b32 s3, exec_lo
	s_delay_alu instid0(VALU_DEP_1) | instskip(NEXT) | instid1(VALU_DEP_1)
	v_add3_u32 v3, v2, v3, 0x88fffff
	v_lshrrev_b32_e32 v3, 21, v3
	s_or_saveexec_b32 s6, s6
                                        ; implicit-def: $sgpr7
	s_delay_alu instid0(SALU_CYCLE_1)
	s_xor_b32 exec_lo, exec_lo, s6
	s_cbranch_execnz .LBB513_1876
.LBB513_1783:
	s_or_b32 exec_lo, exec_lo, s6
	v_mov_b32_e32 v9, s7
	s_and_saveexec_b32 s6, s3
.LBB513_1784:
	v_lshrrev_b32_e32 v2, 24, v2
	s_delay_alu instid0(VALU_DEP_1)
	v_and_or_b32 v9, 0x80, v2, v3
.LBB513_1785:
	s_or_b32 exec_lo, exec_lo, s6
.LBB513_1786:
	s_delay_alu instid0(SALU_CYCLE_1)
	s_or_b32 exec_lo, exec_lo, s1
	s_mov_b32 s1, 0
	global_store_b8 v[15:16], v9, off
.LBB513_1787:
	s_and_b32 vcc_lo, exec_lo, s1
	s_cbranch_vccz .LBB513_1797
; %bb.1788:
	v_cvt_f32_f64_e32 v2, v[0:1]
	s_mov_b32 s1, exec_lo
                                        ; implicit-def: $vgpr3
	s_delay_alu instid0(VALU_DEP_1) | instskip(NEXT) | instid1(VALU_DEP_1)
	v_and_b32_e32 v9, 0x7fffffff, v2
	v_cmpx_gt_u32_e32 0x43f00000, v9
	s_xor_b32 s1, exec_lo, s1
	s_cbranch_execz .LBB513_1794
; %bb.1789:
	s_mov_b32 s3, exec_lo
                                        ; implicit-def: $vgpr3
	v_cmpx_lt_u32_e32 0x3c7fffff, v9
	s_xor_b32 s3, exec_lo, s3
; %bb.1790:
	v_bfe_u32 v3, v2, 20, 1
	s_delay_alu instid0(VALU_DEP_1) | instskip(NEXT) | instid1(VALU_DEP_1)
	v_add3_u32 v3, v2, v3, 0x407ffff
	v_and_b32_e32 v9, 0xff00000, v3
	v_lshrrev_b32_e32 v3, 20, v3
	s_delay_alu instid0(VALU_DEP_2) | instskip(NEXT) | instid1(VALU_DEP_2)
	v_cmp_ne_u32_e32 vcc_lo, 0x7f00000, v9
	v_cndmask_b32_e32 v3, 0x7e, v3, vcc_lo
; %bb.1791:
	s_and_not1_saveexec_b32 s3, s3
; %bb.1792:
	v_add_f32_e64 v3, 0x46800000, |v2|
; %bb.1793:
	s_or_b32 exec_lo, exec_lo, s3
                                        ; implicit-def: $vgpr9
.LBB513_1794:
	s_and_not1_saveexec_b32 s1, s1
; %bb.1795:
	v_mov_b32_e32 v3, 0x7f
	v_cmp_lt_u32_e32 vcc_lo, 0x7f800000, v9
	s_delay_alu instid0(VALU_DEP_2)
	v_cndmask_b32_e32 v3, 0x7e, v3, vcc_lo
; %bb.1796:
	s_or_b32 exec_lo, exec_lo, s1
	v_lshrrev_b32_e32 v2, 24, v2
	s_delay_alu instid0(VALU_DEP_1)
	v_and_or_b32 v2, 0x80, v2, v3
	global_store_b8 v[15:16], v2, off
.LBB513_1797:
	s_mov_b32 s1, 0
.LBB513_1798:
	s_delay_alu instid0(SALU_CYCLE_1)
	s_and_not1_b32 vcc_lo, exec_lo, s1
	s_cbranch_vccnz .LBB513_1808
; %bb.1799:
	v_cvt_f32_f64_e32 v2, v[0:1]
	s_mov_b32 s1, exec_lo
                                        ; implicit-def: $vgpr3
	s_delay_alu instid0(VALU_DEP_1) | instskip(NEXT) | instid1(VALU_DEP_1)
	v_and_b32_e32 v9, 0x7fffffff, v2
	v_cmpx_gt_u32_e32 0x47800000, v9
	s_xor_b32 s1, exec_lo, s1
	s_cbranch_execz .LBB513_1805
; %bb.1800:
	s_mov_b32 s3, exec_lo
                                        ; implicit-def: $vgpr3
	v_cmpx_lt_u32_e32 0x387fffff, v9
	s_xor_b32 s3, exec_lo, s3
; %bb.1801:
	v_bfe_u32 v3, v2, 21, 1
	s_delay_alu instid0(VALU_DEP_1) | instskip(NEXT) | instid1(VALU_DEP_1)
	v_add3_u32 v3, v2, v3, 0x80fffff
	v_lshrrev_b32_e32 v3, 21, v3
; %bb.1802:
	s_and_not1_saveexec_b32 s3, s3
; %bb.1803:
	v_add_f32_e64 v3, 0x43000000, |v2|
; %bb.1804:
	s_or_b32 exec_lo, exec_lo, s3
                                        ; implicit-def: $vgpr9
.LBB513_1805:
	s_and_not1_saveexec_b32 s1, s1
; %bb.1806:
	v_mov_b32_e32 v3, 0x7f
	v_cmp_lt_u32_e32 vcc_lo, 0x7f800000, v9
	s_delay_alu instid0(VALU_DEP_2)
	v_cndmask_b32_e32 v3, 0x7c, v3, vcc_lo
; %bb.1807:
	s_or_b32 exec_lo, exec_lo, s1
	v_lshrrev_b32_e32 v2, 24, v2
	s_delay_alu instid0(VALU_DEP_1)
	v_and_or_b32 v2, 0x80, v2, v3
	global_store_b8 v[15:16], v2, off
.LBB513_1808:
	s_mov_b32 s1, 0
	s_mov_b32 s3, -1
.LBB513_1809:
	s_and_not1_b32 vcc_lo, exec_lo, s1
	s_mov_b32 s1, 0
	s_cbranch_vccnz .LBB513_1816
; %bb.1810:
	v_cmp_gt_i16_e64 s1, s2, 14
	s_delay_alu instid0(VALU_DEP_1)
	s_and_b32 vcc_lo, exec_lo, s1
	s_mov_b32 s1, -1
	s_cbranch_vccz .LBB513_1814
; %bb.1811:
	v_cmp_eq_u16_e64 s0, s2, 15
	s_delay_alu instid0(VALU_DEP_1)
	s_and_b32 vcc_lo, exec_lo, s0
	s_mov_b32 s0, -1
	s_cbranch_vccz .LBB513_1813
; %bb.1812:
	v_cvt_f32_f64_e32 v2, v[0:1]
	s_mov_b32 s0, 0
	s_mov_b32 s3, -1
	s_delay_alu instid0(VALU_DEP_1) | instskip(SKIP_1) | instid1(VALU_DEP_2)
	v_bfe_u32 v3, v2, 16, 1
	v_cmp_o_f32_e32 vcc_lo, v2, v2
	v_add3_u32 v3, v2, v3, 0x7fff
	s_delay_alu instid0(VALU_DEP_1) | instskip(NEXT) | instid1(VALU_DEP_1)
	v_lshrrev_b32_e32 v3, 16, v3
	v_cndmask_b32_e32 v2, 0x7fc0, v3, vcc_lo
	global_store_b16 v[15:16], v2, off
.LBB513_1813:
	s_mov_b32 s1, 0
.LBB513_1814:
	s_delay_alu instid0(SALU_CYCLE_1)
	s_and_b32 vcc_lo, exec_lo, s1
	s_mov_b32 s1, 0
	s_cbranch_vccz .LBB513_1816
; %bb.1815:
	v_cmp_ne_u16_e64 s0, s2, 11
	s_mov_b32 s1, -1
.LBB513_1816:
	s_delay_alu instid0(VALU_DEP_1)
	s_and_b32 vcc_lo, exec_lo, s0
	s_cbranch_vccnz .LBB513_1873
; %bb.1817:
	s_and_not1_b32 vcc_lo, exec_lo, s1
	s_cbranch_vccnz .LBB513_1819
.LBB513_1818:
	v_cmp_neq_f64_e32 vcc_lo, 0, v[0:1]
	s_mov_b32 s3, -1
	v_cndmask_b32_e64 v2, 0, 1, vcc_lo
	global_store_b8 v[15:16], v2, off
.LBB513_1819:
	s_mov_b32 s0, 0
.LBB513_1820:
	s_delay_alu instid0(SALU_CYCLE_1)
	s_and_b32 vcc_lo, exec_lo, s0
	s_cbranch_vccz .LBB513_1859
; %bb.1821:
	v_cmp_lt_i16_e64 s0, s2, 5
	s_delay_alu instid0(VALU_DEP_1)
	s_and_b32 vcc_lo, exec_lo, s0
	s_mov_b32 s0, -1
	s_cbranch_vccnz .LBB513_1842
; %bb.1822:
	v_cmp_lt_i16_e64 s0, s2, 8
	s_delay_alu instid0(VALU_DEP_1)
	s_and_b32 vcc_lo, exec_lo, s0
	s_mov_b32 s0, -1
	s_cbranch_vccnz .LBB513_1832
	;; [unrolled: 6-line block ×3, first 2 shown]
; %bb.1824:
	v_cmp_gt_i16_e64 s0, s2, 9
	s_delay_alu instid0(VALU_DEP_1)
	s_and_b32 vcc_lo, exec_lo, s0
	s_mov_b32 s0, -1
	s_cbranch_vccz .LBB513_1826
; %bb.1825:
	v_mov_b32_e32 v2, 0
	s_mov_b32 s0, 0
	s_delay_alu instid0(VALU_DEP_1)
	v_mov_b32_e32 v3, v2
	global_store_b128 v[15:16], v[0:3], off
.LBB513_1826:
	s_and_not1_b32 vcc_lo, exec_lo, s0
	s_cbranch_vccnz .LBB513_1828
; %bb.1827:
	v_cvt_f32_f64_e32 v2, v[0:1]
	v_mov_b32_e32 v3, 0
	global_store_b64 v[15:16], v[2:3], off
.LBB513_1828:
	s_mov_b32 s0, 0
.LBB513_1829:
	s_delay_alu instid0(SALU_CYCLE_1)
	s_and_not1_b32 vcc_lo, exec_lo, s0
	s_cbranch_vccnz .LBB513_1831
; %bb.1830:
	v_cvt_f32_f64_e32 v2, v[0:1]
	s_delay_alu instid0(VALU_DEP_1) | instskip(NEXT) | instid1(VALU_DEP_1)
	v_cvt_f16_f32_e32 v2, v2
	v_and_b32_e32 v2, 0xffff, v2
	global_store_b32 v[15:16], v2, off
.LBB513_1831:
	s_mov_b32 s0, 0
.LBB513_1832:
	s_delay_alu instid0(SALU_CYCLE_1)
	s_and_not1_b32 vcc_lo, exec_lo, s0
	s_cbranch_vccnz .LBB513_1841
; %bb.1833:
	v_cmp_lt_i16_e64 s0, s2, 6
	s_delay_alu instid0(VALU_DEP_1)
	s_and_b32 vcc_lo, exec_lo, s0
	s_mov_b32 s0, -1
	s_cbranch_vccnz .LBB513_1839
; %bb.1834:
	v_cmp_gt_i16_e64 s0, s2, 6
	s_delay_alu instid0(VALU_DEP_1)
	s_and_b32 vcc_lo, exec_lo, s0
	s_mov_b32 s0, -1
	s_cbranch_vccz .LBB513_1836
; %bb.1835:
	s_mov_b32 s0, 0
	global_store_b64 v[15:16], v[0:1], off
.LBB513_1836:
	s_and_not1_b32 vcc_lo, exec_lo, s0
	s_cbranch_vccnz .LBB513_1838
; %bb.1837:
	v_cvt_f32_f64_e32 v2, v[0:1]
	global_store_b32 v[15:16], v2, off
.LBB513_1838:
	s_mov_b32 s0, 0
.LBB513_1839:
	s_delay_alu instid0(SALU_CYCLE_1)
	s_and_not1_b32 vcc_lo, exec_lo, s0
	s_cbranch_vccnz .LBB513_1841
; %bb.1840:
	v_cvt_f32_f64_e32 v2, v[0:1]
	s_delay_alu instid0(VALU_DEP_1)
	v_cvt_f16_f32_e32 v2, v2
	global_store_b16 v[15:16], v2, off
.LBB513_1841:
	s_mov_b32 s0, 0
.LBB513_1842:
	s_delay_alu instid0(SALU_CYCLE_1)
	s_and_not1_b32 vcc_lo, exec_lo, s0
	s_cbranch_vccnz .LBB513_1858
; %bb.1843:
	v_cmp_lt_i16_e64 s0, s2, 2
	s_delay_alu instid0(VALU_DEP_1)
	s_and_b32 vcc_lo, exec_lo, s0
	s_mov_b32 s0, -1
	s_cbranch_vccnz .LBB513_1853
; %bb.1844:
	v_cmp_lt_i16_e64 s0, s2, 3
	s_delay_alu instid0(VALU_DEP_1)
	s_and_b32 vcc_lo, exec_lo, s0
	s_mov_b32 s0, -1
	s_cbranch_vccnz .LBB513_1850
; %bb.1845:
	v_cmp_gt_i16_e64 s0, s2, 3
	s_delay_alu instid0(VALU_DEP_1)
	s_and_b32 vcc_lo, exec_lo, s0
	s_mov_b32 s0, -1
	s_cbranch_vccz .LBB513_1847
; %bb.1846:
	v_trunc_f64_e32 v[2:3], v[0:1]
	s_mov_b32 s0, 0
	s_delay_alu instid0(VALU_DEP_1) | instskip(NEXT) | instid1(VALU_DEP_1)
	v_ldexp_f64 v[17:18], v[2:3], 0xffffffe0
	v_floor_f64_e32 v[17:18], v[17:18]
	s_delay_alu instid0(VALU_DEP_1) | instskip(SKIP_1) | instid1(VALU_DEP_2)
	v_fma_f64 v[2:3], 0xc1f00000, v[17:18], v[2:3]
	v_cvt_i32_f64_e32 v18, v[17:18]
	v_cvt_u32_f64_e32 v17, v[2:3]
	global_store_b64 v[15:16], v[17:18], off
.LBB513_1847:
	s_and_not1_b32 vcc_lo, exec_lo, s0
	s_cbranch_vccnz .LBB513_1849
; %bb.1848:
	v_cvt_i32_f64_e32 v2, v[0:1]
	global_store_b32 v[15:16], v2, off
.LBB513_1849:
	s_mov_b32 s0, 0
.LBB513_1850:
	s_delay_alu instid0(SALU_CYCLE_1)
	s_and_not1_b32 vcc_lo, exec_lo, s0
	s_cbranch_vccnz .LBB513_1852
; %bb.1851:
	v_cvt_i32_f64_e32 v2, v[0:1]
	global_store_b16 v[15:16], v2, off
.LBB513_1852:
	s_mov_b32 s0, 0
.LBB513_1853:
	s_delay_alu instid0(SALU_CYCLE_1)
	s_and_not1_b32 vcc_lo, exec_lo, s0
	s_cbranch_vccnz .LBB513_1858
; %bb.1854:
	v_cmp_gt_i16_e64 s0, s2, 0
	s_delay_alu instid0(VALU_DEP_1)
	s_and_b32 vcc_lo, exec_lo, s0
	s_mov_b32 s0, -1
	s_cbranch_vccz .LBB513_1856
; %bb.1855:
	v_cvt_i32_f64_e32 v2, v[0:1]
	s_mov_b32 s0, 0
	global_store_b8 v[15:16], v2, off
.LBB513_1856:
	s_and_not1_b32 vcc_lo, exec_lo, s0
	s_cbranch_vccnz .LBB513_1858
; %bb.1857:
	v_trunc_f64_e32 v[0:1], v[0:1]
	s_delay_alu instid0(VALU_DEP_1) | instskip(NEXT) | instid1(VALU_DEP_1)
	v_ldexp_f64 v[2:3], v[0:1], 0xffffffe0
	v_floor_f64_e32 v[2:3], v[2:3]
	s_delay_alu instid0(VALU_DEP_1) | instskip(NEXT) | instid1(VALU_DEP_1)
	v_fma_f64 v[0:1], 0xc1f00000, v[2:3], v[0:1]
	v_cvt_u32_f64_e32 v0, v[0:1]
	global_store_b8 v[15:16], v0, off
.LBB513_1858:
	s_mov_b32 s3, -1
.LBB513_1859:
	s_delay_alu instid0(SALU_CYCLE_1)
	s_and_not1_b32 vcc_lo, exec_lo, s3
	s_cbranch_vccnz .LBB513_2126
; %bb.1860:
	v_cmp_lt_i16_e64 s0, s2, 11
	v_add_co_u32 v0, s1, s4, v8
	s_delay_alu instid0(VALU_DEP_1) | instskip(SKIP_1) | instid1(VALU_DEP_3)
	v_add_co_ci_u32_e64 v1, null, s5, 0, s1
	s_mov_b32 s3, 0
	s_and_b32 vcc_lo, exec_lo, s0
	s_mov_b32 s0, -1
	s_cbranch_vccnz .LBB513_1949
; %bb.1861:
	v_cmp_gt_i16_e64 s0, s2, 25
	s_mov_b32 s6, -1
	s_mov_b32 s1, 0
	s_delay_alu instid0(VALU_DEP_1)
	s_and_b32 vcc_lo, exec_lo, s0
	s_mov_b32 s0, 0
	s_cbranch_vccz .LBB513_1905
; %bb.1862:
	v_cmp_gt_i16_e64 s0, s2, 28
	s_delay_alu instid0(VALU_DEP_1)
	s_and_b32 vcc_lo, exec_lo, s0
	s_cbranch_vccz .LBB513_1867
; %bb.1863:
	v_cmp_gt_i16_e64 s0, s2, 43
	s_delay_alu instid0(VALU_DEP_1)
	s_and_b32 vcc_lo, exec_lo, s0
	;; [unrolled: 5-line block ×3, first 2 shown]
	s_cbranch_vccz .LBB513_1877
; %bb.1865:
	v_cmp_eq_u16_e64 s3, s2, 46
	s_mov_b32 s0, -1
	s_mov_b32 s6, 0
	s_delay_alu instid0(VALU_DEP_1)
	s_and_b32 vcc_lo, exec_lo, s3
	s_mov_b32 s3, 0
	s_cbranch_vccz .LBB513_1878
; %bb.1866:
	v_cvt_f32_f64_e32 v2, v[6:7]
	s_mov_b32 s0, 0
	s_mov_b32 s3, -1
	s_delay_alu instid0(VALU_DEP_1) | instskip(SKIP_1) | instid1(VALU_DEP_2)
	v_bfe_u32 v3, v2, 16, 1
	v_cmp_o_f32_e32 vcc_lo, v2, v2
	v_add3_u32 v3, v2, v3, 0x7fff
	s_delay_alu instid0(VALU_DEP_1) | instskip(NEXT) | instid1(VALU_DEP_1)
	v_lshrrev_b32_e32 v3, 16, v3
	v_cndmask_b32_e32 v2, 0x7fc0, v3, vcc_lo
	global_store_b32 v[0:1], v2, off
	s_branch .LBB513_1878
.LBB513_1867:
	s_mov_b32 s0, 0
	s_branch .LBB513_1888
.LBB513_1868:
	s_or_saveexec_b32 s7, s7
                                        ; implicit-def: $sgpr11
	s_delay_alu instid0(SALU_CYCLE_1)
	s_xor_b32 exec_lo, exec_lo, s7
	s_cbranch_execz .LBB513_1770
.LBB513_1869:
	v_add_f32_e64 v3, 0x46000000, |v2|
	s_and_not1_b32 s6, s6, exec_lo
	s_mov_b32 s11, 0
	s_delay_alu instid0(VALU_DEP_1) | instskip(NEXT) | instid1(VALU_DEP_1)
	v_and_b32_e32 v3, 0xff, v3
	v_cmp_ne_u32_e32 vcc_lo, 0, v3
	s_and_b32 s12, vcc_lo, exec_lo
	s_delay_alu instid0(SALU_CYCLE_1)
	s_or_b32 s6, s6, s12
	s_or_b32 exec_lo, exec_lo, s7
	v_mov_b32_e32 v9, s11
	s_and_saveexec_b32 s7, s6
	s_cbranch_execnz .LBB513_1771
	s_branch .LBB513_1772
.LBB513_1870:
	s_mov_b32 s0, 0
	s_branch .LBB513_1884
.LBB513_1871:
	s_trap 2
	s_sendmsg_rtn_b32 s0, sendmsg(MSG_RTN_GET_DOORBELL)
	s_mov_b32 ttmp2, m0
	s_waitcnt lgkmcnt(0)
	s_and_b32 s0, s0, 0x3ff
	s_delay_alu instid0(SALU_CYCLE_1) | instskip(NEXT) | instid1(SALU_CYCLE_1)
	s_bitset1_b32 s0, 10
	s_mov_b32 m0, s0
	s_sendmsg sendmsg(MSG_INTERRUPT)
	s_mov_b32 m0, ttmp2
.LBB513_1872:                           ; =>This Inner Loop Header: Depth=1
	s_sethalt 5
	s_branch .LBB513_1872
.LBB513_1873:
	s_cbranch_execnz .LBB513_2000
; %bb.1874:
	s_or_b32 s10, s10, exec_lo
	s_cbranch_execz .LBB513_1818
	s_branch .LBB513_1819
.LBB513_1875:
	s_or_saveexec_b32 s6, s6
                                        ; implicit-def: $sgpr7
	s_delay_alu instid0(SALU_CYCLE_1)
	s_xor_b32 exec_lo, exec_lo, s6
	s_cbranch_execz .LBB513_1783
.LBB513_1876:
	v_add_f32_e64 v3, 0x42800000, |v2|
	s_and_not1_b32 s3, s3, exec_lo
	s_mov_b32 s7, 0
	s_delay_alu instid0(VALU_DEP_1) | instskip(NEXT) | instid1(VALU_DEP_1)
	v_and_b32_e32 v3, 0xff, v3
	v_cmp_ne_u32_e32 vcc_lo, 0, v3
	s_and_b32 s11, vcc_lo, exec_lo
	s_delay_alu instid0(SALU_CYCLE_1)
	s_or_b32 s3, s3, s11
	s_or_b32 exec_lo, exec_lo, s6
	v_mov_b32_e32 v9, s7
	s_and_saveexec_b32 s6, s3
	s_cbranch_execnz .LBB513_1784
	s_branch .LBB513_1785
.LBB513_1877:
	s_mov_b32 s0, 0
.LBB513_1878:
	s_and_b32 vcc_lo, exec_lo, s6
	s_cbranch_vccz .LBB513_1883
; %bb.1879:
	v_cmp_eq_u16_e64 s0, s2, 44
	s_delay_alu instid0(VALU_DEP_1)
	s_and_b32 vcc_lo, exec_lo, s0
	s_mov_b32 s0, -1
	s_cbranch_vccz .LBB513_1883
; %bb.1880:
	v_cvt_f32_f64_e32 v2, v[6:7]
	v_mov_b32_e32 v3, 0xff
	s_mov_b32 s3, exec_lo
	s_delay_alu instid0(VALU_DEP_2) | instskip(NEXT) | instid1(VALU_DEP_1)
	v_bfe_u32 v8, v2, 23, 8
	v_cmpx_ne_u32_e32 0xff, v8
; %bb.1881:
	v_and_b32_e32 v3, 0x400000, v2
	v_and_or_b32 v8, 0x3fffff, v2, v8
	v_lshrrev_b32_e32 v2, 23, v2
	s_delay_alu instid0(VALU_DEP_3) | instskip(NEXT) | instid1(VALU_DEP_3)
	v_cmp_ne_u32_e32 vcc_lo, 0, v3
	v_cmp_ne_u32_e64 s0, 0, v8
	s_delay_alu instid0(VALU_DEP_1) | instskip(NEXT) | instid1(SALU_CYCLE_1)
	s_and_b32 s0, vcc_lo, s0
	v_cndmask_b32_e64 v3, 0, 1, s0
	s_delay_alu instid0(VALU_DEP_1)
	v_add_nc_u32_e32 v3, v2, v3
; %bb.1882:
	s_or_b32 exec_lo, exec_lo, s3
	s_mov_b32 s0, 0
	s_mov_b32 s3, -1
	global_store_b8 v[0:1], v3, off
.LBB513_1883:
	s_mov_b32 s6, 0
.LBB513_1884:
	s_delay_alu instid0(SALU_CYCLE_1)
	s_and_b32 vcc_lo, exec_lo, s6
	s_cbranch_vccz .LBB513_1887
; %bb.1885:
	v_cmp_eq_u16_e64 s0, s2, 29
	s_delay_alu instid0(VALU_DEP_1)
	s_and_b32 vcc_lo, exec_lo, s0
	s_mov_b32 s0, -1
	s_cbranch_vccz .LBB513_1887
; %bb.1886:
	v_trunc_f64_e32 v[2:3], v[6:7]
	s_mov_b32 s0, 0
	s_mov_b32 s3, -1
	s_mov_b32 s6, 0
	s_delay_alu instid0(VALU_DEP_1) | instskip(NEXT) | instid1(VALU_DEP_1)
	v_ldexp_f64 v[8:9], v[2:3], 0xffffffe0
	v_floor_f64_e32 v[8:9], v[8:9]
	s_delay_alu instid0(VALU_DEP_1) | instskip(SKIP_1) | instid1(VALU_DEP_2)
	v_fma_f64 v[2:3], 0xc1f00000, v[8:9], v[2:3]
	v_cvt_u32_f64_e32 v9, v[8:9]
	v_cvt_u32_f64_e32 v8, v[2:3]
	global_store_b64 v[0:1], v[8:9], off
	s_branch .LBB513_1888
.LBB513_1887:
	s_mov_b32 s6, 0
.LBB513_1888:
	s_delay_alu instid0(SALU_CYCLE_1)
	s_and_b32 vcc_lo, exec_lo, s6
	s_cbranch_vccz .LBB513_1904
; %bb.1889:
	v_cmp_lt_i16_e64 s3, s2, 27
	s_delay_alu instid0(VALU_DEP_1)
	s_and_b32 vcc_lo, exec_lo, s3
	s_mov_b32 s3, -1
	s_cbranch_vccnz .LBB513_1895
; %bb.1890:
	v_cvt_u32_f64_e32 v2, v[6:7]
	v_cmp_gt_i16_e64 s3, s2, 27
	s_delay_alu instid0(VALU_DEP_1)
	s_and_b32 vcc_lo, exec_lo, s3
	s_mov_b32 s3, -1
	s_cbranch_vccz .LBB513_1892
; %bb.1891:
	s_mov_b32 s3, 0
	global_store_b32 v[0:1], v2, off
.LBB513_1892:
	s_and_not1_b32 vcc_lo, exec_lo, s3
	s_cbranch_vccnz .LBB513_1894
; %bb.1893:
	global_store_b16 v[0:1], v2, off
.LBB513_1894:
	s_mov_b32 s3, 0
.LBB513_1895:
	s_delay_alu instid0(SALU_CYCLE_1)
	s_and_not1_b32 vcc_lo, exec_lo, s3
	s_cbranch_vccnz .LBB513_1903
; %bb.1896:
	v_cvt_f32_f64_e32 v2, v[6:7]
	v_mov_b32_e32 v8, 0x80
	s_mov_b32 s3, exec_lo
	s_delay_alu instid0(VALU_DEP_2) | instskip(NEXT) | instid1(VALU_DEP_1)
	v_and_b32_e32 v3, 0x7fffffff, v2
	v_cmpx_gt_u32_e32 0x43800000, v3
	s_cbranch_execz .LBB513_1902
; %bb.1897:
	v_cmp_lt_u32_e32 vcc_lo, 0x3bffffff, v3
	s_mov_b32 s6, 0
                                        ; implicit-def: $vgpr3
	s_and_saveexec_b32 s7, vcc_lo
	s_delay_alu instid0(SALU_CYCLE_1)
	s_xor_b32 s7, exec_lo, s7
	s_cbranch_execz .LBB513_1997
; %bb.1898:
	v_bfe_u32 v3, v2, 20, 1
	s_mov_b32 s6, exec_lo
	s_delay_alu instid0(VALU_DEP_1) | instskip(NEXT) | instid1(VALU_DEP_1)
	v_add3_u32 v3, v2, v3, 0x487ffff
	v_lshrrev_b32_e32 v3, 20, v3
	s_or_saveexec_b32 s7, s7
                                        ; implicit-def: $sgpr11
	s_delay_alu instid0(SALU_CYCLE_1)
	s_xor_b32 exec_lo, exec_lo, s7
	s_cbranch_execnz .LBB513_1998
.LBB513_1899:
	s_or_b32 exec_lo, exec_lo, s7
	v_mov_b32_e32 v8, s11
	s_and_saveexec_b32 s7, s6
.LBB513_1900:
	v_lshrrev_b32_e32 v2, 24, v2
	s_delay_alu instid0(VALU_DEP_1)
	v_and_or_b32 v8, 0x80, v2, v3
.LBB513_1901:
	s_or_b32 exec_lo, exec_lo, s7
.LBB513_1902:
	s_delay_alu instid0(SALU_CYCLE_1)
	s_or_b32 exec_lo, exec_lo, s3
	global_store_b8 v[0:1], v8, off
.LBB513_1903:
	s_mov_b32 s3, -1
.LBB513_1904:
	s_mov_b32 s6, 0
.LBB513_1905:
	s_delay_alu instid0(SALU_CYCLE_1)
	s_and_b32 vcc_lo, exec_lo, s6
	s_cbranch_vccz .LBB513_1945
; %bb.1906:
	v_cmp_gt_i16_e64 s1, s2, 22
	s_delay_alu instid0(VALU_DEP_1)
	s_and_b32 vcc_lo, exec_lo, s1
	s_mov_b32 s1, -1
	s_cbranch_vccz .LBB513_1938
; %bb.1907:
	v_cmp_lt_i16_e64 s1, s2, 24
	s_delay_alu instid0(VALU_DEP_1)
	s_and_b32 vcc_lo, exec_lo, s1
	s_mov_b32 s1, -1
	s_cbranch_vccnz .LBB513_1927
; %bb.1908:
	v_cmp_gt_i16_e64 s1, s2, 24
	s_delay_alu instid0(VALU_DEP_1)
	s_and_b32 vcc_lo, exec_lo, s1
	s_mov_b32 s1, -1
	s_cbranch_vccz .LBB513_1916
; %bb.1909:
	v_cvt_f32_f64_e32 v2, v[6:7]
	v_mov_b32_e32 v8, 0x80
	s_mov_b32 s1, exec_lo
	s_delay_alu instid0(VALU_DEP_2) | instskip(NEXT) | instid1(VALU_DEP_1)
	v_and_b32_e32 v3, 0x7fffffff, v2
	v_cmpx_gt_u32_e32 0x47800000, v3
	s_cbranch_execz .LBB513_1915
; %bb.1910:
	v_cmp_lt_u32_e32 vcc_lo, 0x37ffffff, v3
	s_mov_b32 s3, 0
                                        ; implicit-def: $vgpr3
	s_and_saveexec_b32 s6, vcc_lo
	s_delay_alu instid0(SALU_CYCLE_1)
	s_xor_b32 s6, exec_lo, s6
	s_cbranch_execz .LBB513_2004
; %bb.1911:
	v_bfe_u32 v3, v2, 21, 1
	s_mov_b32 s3, exec_lo
	s_delay_alu instid0(VALU_DEP_1) | instskip(NEXT) | instid1(VALU_DEP_1)
	v_add3_u32 v3, v2, v3, 0x88fffff
	v_lshrrev_b32_e32 v3, 21, v3
	s_or_saveexec_b32 s6, s6
                                        ; implicit-def: $sgpr7
	s_delay_alu instid0(SALU_CYCLE_1)
	s_xor_b32 exec_lo, exec_lo, s6
	s_cbranch_execnz .LBB513_2005
.LBB513_1912:
	s_or_b32 exec_lo, exec_lo, s6
	v_mov_b32_e32 v8, s7
	s_and_saveexec_b32 s6, s3
.LBB513_1913:
	v_lshrrev_b32_e32 v2, 24, v2
	s_delay_alu instid0(VALU_DEP_1)
	v_and_or_b32 v8, 0x80, v2, v3
.LBB513_1914:
	s_or_b32 exec_lo, exec_lo, s6
.LBB513_1915:
	s_delay_alu instid0(SALU_CYCLE_1)
	s_or_b32 exec_lo, exec_lo, s1
	s_mov_b32 s1, 0
	global_store_b8 v[0:1], v8, off
.LBB513_1916:
	s_and_b32 vcc_lo, exec_lo, s1
	s_cbranch_vccz .LBB513_1926
; %bb.1917:
	v_cvt_f32_f64_e32 v2, v[6:7]
	s_mov_b32 s1, exec_lo
                                        ; implicit-def: $vgpr3
	s_delay_alu instid0(VALU_DEP_1) | instskip(NEXT) | instid1(VALU_DEP_1)
	v_and_b32_e32 v8, 0x7fffffff, v2
	v_cmpx_gt_u32_e32 0x43f00000, v8
	s_xor_b32 s1, exec_lo, s1
	s_cbranch_execz .LBB513_1923
; %bb.1918:
	s_mov_b32 s3, exec_lo
                                        ; implicit-def: $vgpr3
	v_cmpx_lt_u32_e32 0x3c7fffff, v8
	s_xor_b32 s3, exec_lo, s3
; %bb.1919:
	v_bfe_u32 v3, v2, 20, 1
	s_delay_alu instid0(VALU_DEP_1) | instskip(NEXT) | instid1(VALU_DEP_1)
	v_add3_u32 v3, v2, v3, 0x407ffff
	v_and_b32_e32 v8, 0xff00000, v3
	v_lshrrev_b32_e32 v3, 20, v3
	s_delay_alu instid0(VALU_DEP_2) | instskip(NEXT) | instid1(VALU_DEP_2)
	v_cmp_ne_u32_e32 vcc_lo, 0x7f00000, v8
	v_cndmask_b32_e32 v3, 0x7e, v3, vcc_lo
; %bb.1920:
	s_and_not1_saveexec_b32 s3, s3
; %bb.1921:
	v_add_f32_e64 v3, 0x46800000, |v2|
; %bb.1922:
	s_or_b32 exec_lo, exec_lo, s3
                                        ; implicit-def: $vgpr8
.LBB513_1923:
	s_and_not1_saveexec_b32 s1, s1
; %bb.1924:
	v_mov_b32_e32 v3, 0x7f
	v_cmp_lt_u32_e32 vcc_lo, 0x7f800000, v8
	s_delay_alu instid0(VALU_DEP_2)
	v_cndmask_b32_e32 v3, 0x7e, v3, vcc_lo
; %bb.1925:
	s_or_b32 exec_lo, exec_lo, s1
	v_lshrrev_b32_e32 v2, 24, v2
	s_delay_alu instid0(VALU_DEP_1)
	v_and_or_b32 v2, 0x80, v2, v3
	global_store_b8 v[0:1], v2, off
.LBB513_1926:
	s_mov_b32 s1, 0
.LBB513_1927:
	s_delay_alu instid0(SALU_CYCLE_1)
	s_and_not1_b32 vcc_lo, exec_lo, s1
	s_cbranch_vccnz .LBB513_1937
; %bb.1928:
	v_cvt_f32_f64_e32 v2, v[6:7]
	s_mov_b32 s1, exec_lo
                                        ; implicit-def: $vgpr3
	s_delay_alu instid0(VALU_DEP_1) | instskip(NEXT) | instid1(VALU_DEP_1)
	v_and_b32_e32 v8, 0x7fffffff, v2
	v_cmpx_gt_u32_e32 0x47800000, v8
	s_xor_b32 s1, exec_lo, s1
	s_cbranch_execz .LBB513_1934
; %bb.1929:
	s_mov_b32 s3, exec_lo
                                        ; implicit-def: $vgpr3
	v_cmpx_lt_u32_e32 0x387fffff, v8
	s_xor_b32 s3, exec_lo, s3
; %bb.1930:
	v_bfe_u32 v3, v2, 21, 1
	s_delay_alu instid0(VALU_DEP_1) | instskip(NEXT) | instid1(VALU_DEP_1)
	v_add3_u32 v3, v2, v3, 0x80fffff
	v_lshrrev_b32_e32 v3, 21, v3
; %bb.1931:
	s_and_not1_saveexec_b32 s3, s3
; %bb.1932:
	v_add_f32_e64 v3, 0x43000000, |v2|
; %bb.1933:
	s_or_b32 exec_lo, exec_lo, s3
                                        ; implicit-def: $vgpr8
.LBB513_1934:
	s_and_not1_saveexec_b32 s1, s1
; %bb.1935:
	v_mov_b32_e32 v3, 0x7f
	v_cmp_lt_u32_e32 vcc_lo, 0x7f800000, v8
	s_delay_alu instid0(VALU_DEP_2)
	v_cndmask_b32_e32 v3, 0x7c, v3, vcc_lo
; %bb.1936:
	s_or_b32 exec_lo, exec_lo, s1
	v_lshrrev_b32_e32 v2, 24, v2
	s_delay_alu instid0(VALU_DEP_1)
	v_and_or_b32 v2, 0x80, v2, v3
	global_store_b8 v[0:1], v2, off
.LBB513_1937:
	s_mov_b32 s1, 0
	s_mov_b32 s3, -1
.LBB513_1938:
	s_and_not1_b32 vcc_lo, exec_lo, s1
	s_mov_b32 s1, 0
	s_cbranch_vccnz .LBB513_1945
; %bb.1939:
	v_cmp_gt_i16_e64 s1, s2, 14
	s_delay_alu instid0(VALU_DEP_1)
	s_and_b32 vcc_lo, exec_lo, s1
	s_mov_b32 s1, -1
	s_cbranch_vccz .LBB513_1943
; %bb.1940:
	v_cmp_eq_u16_e64 s0, s2, 15
	s_delay_alu instid0(VALU_DEP_1)
	s_and_b32 vcc_lo, exec_lo, s0
	s_mov_b32 s0, -1
	s_cbranch_vccz .LBB513_1942
; %bb.1941:
	v_cvt_f32_f64_e32 v2, v[6:7]
	s_mov_b32 s0, 0
	s_mov_b32 s3, -1
	s_delay_alu instid0(VALU_DEP_1) | instskip(SKIP_1) | instid1(VALU_DEP_2)
	v_bfe_u32 v3, v2, 16, 1
	v_cmp_o_f32_e32 vcc_lo, v2, v2
	v_add3_u32 v3, v2, v3, 0x7fff
	s_delay_alu instid0(VALU_DEP_1) | instskip(NEXT) | instid1(VALU_DEP_1)
	v_lshrrev_b32_e32 v3, 16, v3
	v_cndmask_b32_e32 v2, 0x7fc0, v3, vcc_lo
	global_store_b16 v[0:1], v2, off
.LBB513_1942:
	s_mov_b32 s1, 0
.LBB513_1943:
	s_delay_alu instid0(SALU_CYCLE_1)
	s_and_b32 vcc_lo, exec_lo, s1
	s_mov_b32 s1, 0
	s_cbranch_vccz .LBB513_1945
; %bb.1944:
	v_cmp_ne_u16_e64 s0, s2, 11
	s_mov_b32 s1, -1
.LBB513_1945:
	s_delay_alu instid0(VALU_DEP_1)
	s_and_b32 vcc_lo, exec_lo, s0
	s_cbranch_vccnz .LBB513_2002
; %bb.1946:
	s_and_not1_b32 vcc_lo, exec_lo, s1
	s_cbranch_vccnz .LBB513_1948
.LBB513_1947:
	v_cmp_neq_f64_e32 vcc_lo, 0, v[6:7]
	s_mov_b32 s3, -1
	v_cndmask_b32_e64 v2, 0, 1, vcc_lo
	global_store_b8 v[0:1], v2, off
.LBB513_1948:
	s_mov_b32 s0, 0
.LBB513_1949:
	s_delay_alu instid0(SALU_CYCLE_1)
	s_and_b32 vcc_lo, exec_lo, s0
	s_cbranch_vccz .LBB513_1988
; %bb.1950:
	v_cmp_lt_i16_e64 s0, s2, 5
	s_delay_alu instid0(VALU_DEP_1)
	s_and_b32 vcc_lo, exec_lo, s0
	s_mov_b32 s0, -1
	s_cbranch_vccnz .LBB513_1971
; %bb.1951:
	v_cmp_lt_i16_e64 s0, s2, 8
	s_delay_alu instid0(VALU_DEP_1)
	s_and_b32 vcc_lo, exec_lo, s0
	s_mov_b32 s0, -1
	s_cbranch_vccnz .LBB513_1961
	;; [unrolled: 6-line block ×3, first 2 shown]
; %bb.1953:
	v_cmp_gt_i16_e64 s0, s2, 9
	s_delay_alu instid0(VALU_DEP_1)
	s_and_b32 vcc_lo, exec_lo, s0
	s_mov_b32 s0, -1
	s_cbranch_vccz .LBB513_1955
; %bb.1954:
	v_mov_b32_e32 v8, 0
	s_mov_b32 s0, 0
	s_delay_alu instid0(VALU_DEP_1)
	v_mov_b32_e32 v9, v8
	global_store_b128 v[0:1], v[6:9], off
.LBB513_1955:
	s_and_not1_b32 vcc_lo, exec_lo, s0
	s_cbranch_vccnz .LBB513_1957
; %bb.1956:
	v_cvt_f32_f64_e32 v2, v[6:7]
	v_mov_b32_e32 v3, 0
	global_store_b64 v[0:1], v[2:3], off
.LBB513_1957:
	s_mov_b32 s0, 0
.LBB513_1958:
	s_delay_alu instid0(SALU_CYCLE_1)
	s_and_not1_b32 vcc_lo, exec_lo, s0
	s_cbranch_vccnz .LBB513_1960
; %bb.1959:
	v_cvt_f32_f64_e32 v2, v[6:7]
	s_delay_alu instid0(VALU_DEP_1) | instskip(NEXT) | instid1(VALU_DEP_1)
	v_cvt_f16_f32_e32 v2, v2
	v_and_b32_e32 v2, 0xffff, v2
	global_store_b32 v[0:1], v2, off
.LBB513_1960:
	s_mov_b32 s0, 0
.LBB513_1961:
	s_delay_alu instid0(SALU_CYCLE_1)
	s_and_not1_b32 vcc_lo, exec_lo, s0
	s_cbranch_vccnz .LBB513_1970
; %bb.1962:
	v_cmp_lt_i16_e64 s0, s2, 6
	s_delay_alu instid0(VALU_DEP_1)
	s_and_b32 vcc_lo, exec_lo, s0
	s_mov_b32 s0, -1
	s_cbranch_vccnz .LBB513_1968
; %bb.1963:
	v_cmp_gt_i16_e64 s0, s2, 6
	s_delay_alu instid0(VALU_DEP_1)
	s_and_b32 vcc_lo, exec_lo, s0
	s_mov_b32 s0, -1
	s_cbranch_vccz .LBB513_1965
; %bb.1964:
	s_mov_b32 s0, 0
	global_store_b64 v[0:1], v[6:7], off
.LBB513_1965:
	s_and_not1_b32 vcc_lo, exec_lo, s0
	s_cbranch_vccnz .LBB513_1967
; %bb.1966:
	v_cvt_f32_f64_e32 v2, v[6:7]
	global_store_b32 v[0:1], v2, off
.LBB513_1967:
	s_mov_b32 s0, 0
.LBB513_1968:
	s_delay_alu instid0(SALU_CYCLE_1)
	s_and_not1_b32 vcc_lo, exec_lo, s0
	s_cbranch_vccnz .LBB513_1970
; %bb.1969:
	v_cvt_f32_f64_e32 v2, v[6:7]
	s_delay_alu instid0(VALU_DEP_1)
	v_cvt_f16_f32_e32 v2, v2
	global_store_b16 v[0:1], v2, off
.LBB513_1970:
	s_mov_b32 s0, 0
.LBB513_1971:
	s_delay_alu instid0(SALU_CYCLE_1)
	s_and_not1_b32 vcc_lo, exec_lo, s0
	s_cbranch_vccnz .LBB513_1987
; %bb.1972:
	v_cmp_lt_i16_e64 s0, s2, 2
	s_delay_alu instid0(VALU_DEP_1)
	s_and_b32 vcc_lo, exec_lo, s0
	s_mov_b32 s0, -1
	s_cbranch_vccnz .LBB513_1982
; %bb.1973:
	v_cmp_lt_i16_e64 s0, s2, 3
	s_delay_alu instid0(VALU_DEP_1)
	s_and_b32 vcc_lo, exec_lo, s0
	s_mov_b32 s0, -1
	s_cbranch_vccnz .LBB513_1979
; %bb.1974:
	v_cmp_gt_i16_e64 s0, s2, 3
	s_delay_alu instid0(VALU_DEP_1)
	s_and_b32 vcc_lo, exec_lo, s0
	s_mov_b32 s0, -1
	s_cbranch_vccz .LBB513_1976
; %bb.1975:
	v_trunc_f64_e32 v[2:3], v[6:7]
	s_mov_b32 s0, 0
	s_delay_alu instid0(VALU_DEP_1) | instskip(NEXT) | instid1(VALU_DEP_1)
	v_ldexp_f64 v[8:9], v[2:3], 0xffffffe0
	v_floor_f64_e32 v[8:9], v[8:9]
	s_delay_alu instid0(VALU_DEP_1) | instskip(SKIP_1) | instid1(VALU_DEP_2)
	v_fma_f64 v[2:3], 0xc1f00000, v[8:9], v[2:3]
	v_cvt_i32_f64_e32 v9, v[8:9]
	v_cvt_u32_f64_e32 v8, v[2:3]
	global_store_b64 v[0:1], v[8:9], off
.LBB513_1976:
	s_and_not1_b32 vcc_lo, exec_lo, s0
	s_cbranch_vccnz .LBB513_1978
; %bb.1977:
	v_cvt_i32_f64_e32 v2, v[6:7]
	global_store_b32 v[0:1], v2, off
.LBB513_1978:
	s_mov_b32 s0, 0
.LBB513_1979:
	s_delay_alu instid0(SALU_CYCLE_1)
	s_and_not1_b32 vcc_lo, exec_lo, s0
	s_cbranch_vccnz .LBB513_1981
; %bb.1980:
	v_cvt_i32_f64_e32 v2, v[6:7]
	global_store_b16 v[0:1], v2, off
.LBB513_1981:
	s_mov_b32 s0, 0
.LBB513_1982:
	s_delay_alu instid0(SALU_CYCLE_1)
	s_and_not1_b32 vcc_lo, exec_lo, s0
	s_cbranch_vccnz .LBB513_1987
; %bb.1983:
	v_cmp_gt_i16_e64 s0, s2, 0
	s_delay_alu instid0(VALU_DEP_1)
	s_and_b32 vcc_lo, exec_lo, s0
	s_mov_b32 s0, -1
	s_cbranch_vccz .LBB513_1985
; %bb.1984:
	v_cvt_i32_f64_e32 v2, v[6:7]
	s_mov_b32 s0, 0
	global_store_b8 v[0:1], v2, off
.LBB513_1985:
	s_and_not1_b32 vcc_lo, exec_lo, s0
	s_cbranch_vccnz .LBB513_1987
; %bb.1986:
	v_trunc_f64_e32 v[2:3], v[6:7]
	s_delay_alu instid0(VALU_DEP_1) | instskip(NEXT) | instid1(VALU_DEP_1)
	v_ldexp_f64 v[6:7], v[2:3], 0xffffffe0
	v_floor_f64_e32 v[6:7], v[6:7]
	s_delay_alu instid0(VALU_DEP_1) | instskip(NEXT) | instid1(VALU_DEP_1)
	v_fma_f64 v[2:3], 0xc1f00000, v[6:7], v[2:3]
	v_cvt_u32_f64_e32 v2, v[2:3]
	global_store_b8 v[0:1], v2, off
.LBB513_1987:
	s_mov_b32 s3, -1
.LBB513_1988:
	s_delay_alu instid0(SALU_CYCLE_1)
	s_and_not1_b32 vcc_lo, exec_lo, s3
	s_cbranch_vccnz .LBB513_2126
; %bb.1989:
	v_cmp_lt_i16_e64 s0, s2, 11
	v_add_co_u32 v0, s1, s4, v12
	s_delay_alu instid0(VALU_DEP_1) | instskip(SKIP_1) | instid1(VALU_DEP_3)
	v_add_co_ci_u32_e64 v1, null, s5, 0, s1
	s_mov_b32 s3, 0
	s_and_b32 vcc_lo, exec_lo, s0
	s_mov_b32 s0, -1
	s_cbranch_vccnz .LBB513_2078
; %bb.1990:
	v_cmp_gt_i16_e64 s0, s2, 25
	s_mov_b32 s6, -1
	s_mov_b32 s1, 0
	s_delay_alu instid0(VALU_DEP_1)
	s_and_b32 vcc_lo, exec_lo, s0
	s_mov_b32 s0, 0
	s_cbranch_vccz .LBB513_2034
; %bb.1991:
	v_cmp_gt_i16_e64 s0, s2, 28
	s_delay_alu instid0(VALU_DEP_1)
	s_and_b32 vcc_lo, exec_lo, s0
	s_cbranch_vccz .LBB513_1996
; %bb.1992:
	v_cmp_gt_i16_e64 s0, s2, 43
	s_delay_alu instid0(VALU_DEP_1)
	s_and_b32 vcc_lo, exec_lo, s0
	;; [unrolled: 5-line block ×3, first 2 shown]
	s_cbranch_vccz .LBB513_2006
; %bb.1994:
	v_cmp_eq_u16_e64 s3, s2, 46
	s_mov_b32 s0, -1
	s_mov_b32 s6, 0
	s_delay_alu instid0(VALU_DEP_1)
	s_and_b32 vcc_lo, exec_lo, s3
	s_mov_b32 s3, 0
	s_cbranch_vccz .LBB513_2007
; %bb.1995:
	v_cvt_f32_f64_e32 v2, v[10:11]
	s_mov_b32 s0, 0
	s_mov_b32 s3, -1
	s_delay_alu instid0(VALU_DEP_1) | instskip(SKIP_1) | instid1(VALU_DEP_2)
	v_bfe_u32 v3, v2, 16, 1
	v_cmp_o_f32_e32 vcc_lo, v2, v2
	v_add3_u32 v3, v2, v3, 0x7fff
	s_delay_alu instid0(VALU_DEP_1) | instskip(NEXT) | instid1(VALU_DEP_1)
	v_lshrrev_b32_e32 v3, 16, v3
	v_cndmask_b32_e32 v2, 0x7fc0, v3, vcc_lo
	global_store_b32 v[0:1], v2, off
	s_branch .LBB513_2007
.LBB513_1996:
	s_mov_b32 s0, 0
	s_branch .LBB513_2017
.LBB513_1997:
	s_or_saveexec_b32 s7, s7
                                        ; implicit-def: $sgpr11
	s_delay_alu instid0(SALU_CYCLE_1)
	s_xor_b32 exec_lo, exec_lo, s7
	s_cbranch_execz .LBB513_1899
.LBB513_1998:
	v_add_f32_e64 v3, 0x46000000, |v2|
	s_and_not1_b32 s6, s6, exec_lo
	s_mov_b32 s11, 0
	s_delay_alu instid0(VALU_DEP_1) | instskip(NEXT) | instid1(VALU_DEP_1)
	v_and_b32_e32 v3, 0xff, v3
	v_cmp_ne_u32_e32 vcc_lo, 0, v3
	s_and_b32 s12, vcc_lo, exec_lo
	s_delay_alu instid0(SALU_CYCLE_1)
	s_or_b32 s6, s6, s12
	s_or_b32 exec_lo, exec_lo, s7
	v_mov_b32_e32 v8, s11
	s_and_saveexec_b32 s7, s6
	s_cbranch_execnz .LBB513_1900
	s_branch .LBB513_1901
.LBB513_1999:
	s_mov_b32 s0, 0
	s_branch .LBB513_2013
.LBB513_2000:
	s_trap 2
	s_sendmsg_rtn_b32 s0, sendmsg(MSG_RTN_GET_DOORBELL)
	s_mov_b32 ttmp2, m0
	s_waitcnt lgkmcnt(0)
	s_and_b32 s0, s0, 0x3ff
	s_delay_alu instid0(SALU_CYCLE_1) | instskip(NEXT) | instid1(SALU_CYCLE_1)
	s_bitset1_b32 s0, 10
	s_mov_b32 m0, s0
	s_sendmsg sendmsg(MSG_INTERRUPT)
	s_mov_b32 m0, ttmp2
.LBB513_2001:                           ; =>This Inner Loop Header: Depth=1
	s_sethalt 5
	s_branch .LBB513_2001
.LBB513_2002:
	s_cbranch_execnz .LBB513_2131
; %bb.2003:
	s_or_b32 s10, s10, exec_lo
	s_cbranch_execz .LBB513_1947
	s_branch .LBB513_1948
.LBB513_2004:
	s_or_saveexec_b32 s6, s6
                                        ; implicit-def: $sgpr7
	s_delay_alu instid0(SALU_CYCLE_1)
	s_xor_b32 exec_lo, exec_lo, s6
	s_cbranch_execz .LBB513_1912
.LBB513_2005:
	v_add_f32_e64 v3, 0x42800000, |v2|
	s_and_not1_b32 s3, s3, exec_lo
	s_mov_b32 s7, 0
	s_delay_alu instid0(VALU_DEP_1) | instskip(NEXT) | instid1(VALU_DEP_1)
	v_and_b32_e32 v3, 0xff, v3
	v_cmp_ne_u32_e32 vcc_lo, 0, v3
	s_and_b32 s11, vcc_lo, exec_lo
	s_delay_alu instid0(SALU_CYCLE_1)
	s_or_b32 s3, s3, s11
	s_or_b32 exec_lo, exec_lo, s6
	v_mov_b32_e32 v8, s7
	s_and_saveexec_b32 s6, s3
	s_cbranch_execnz .LBB513_1913
	s_branch .LBB513_1914
.LBB513_2006:
	s_mov_b32 s0, 0
.LBB513_2007:
	s_and_b32 vcc_lo, exec_lo, s6
	s_cbranch_vccz .LBB513_2012
; %bb.2008:
	v_cmp_eq_u16_e64 s0, s2, 44
	s_delay_alu instid0(VALU_DEP_1)
	s_and_b32 vcc_lo, exec_lo, s0
	s_mov_b32 s0, -1
	s_cbranch_vccz .LBB513_2012
; %bb.2009:
	v_cvt_f32_f64_e32 v2, v[10:11]
	v_mov_b32_e32 v3, 0xff
	s_mov_b32 s3, exec_lo
	s_delay_alu instid0(VALU_DEP_2) | instskip(NEXT) | instid1(VALU_DEP_1)
	v_bfe_u32 v6, v2, 23, 8
	v_cmpx_ne_u32_e32 0xff, v6
; %bb.2010:
	v_and_b32_e32 v3, 0x400000, v2
	v_and_or_b32 v6, 0x3fffff, v2, v6
	v_lshrrev_b32_e32 v2, 23, v2
	s_delay_alu instid0(VALU_DEP_3) | instskip(NEXT) | instid1(VALU_DEP_3)
	v_cmp_ne_u32_e32 vcc_lo, 0, v3
	v_cmp_ne_u32_e64 s0, 0, v6
	s_delay_alu instid0(VALU_DEP_1) | instskip(NEXT) | instid1(SALU_CYCLE_1)
	s_and_b32 s0, vcc_lo, s0
	v_cndmask_b32_e64 v3, 0, 1, s0
	s_delay_alu instid0(VALU_DEP_1)
	v_add_nc_u32_e32 v3, v2, v3
; %bb.2011:
	s_or_b32 exec_lo, exec_lo, s3
	s_mov_b32 s0, 0
	s_mov_b32 s3, -1
	global_store_b8 v[0:1], v3, off
.LBB513_2012:
	s_mov_b32 s6, 0
.LBB513_2013:
	s_delay_alu instid0(SALU_CYCLE_1)
	s_and_b32 vcc_lo, exec_lo, s6
	s_cbranch_vccz .LBB513_2016
; %bb.2014:
	v_cmp_eq_u16_e64 s0, s2, 29
	s_delay_alu instid0(VALU_DEP_1)
	s_and_b32 vcc_lo, exec_lo, s0
	s_mov_b32 s0, -1
	s_cbranch_vccz .LBB513_2016
; %bb.2015:
	v_trunc_f64_e32 v[2:3], v[10:11]
	s_mov_b32 s0, 0
	s_mov_b32 s3, -1
	s_mov_b32 s6, 0
	s_delay_alu instid0(VALU_DEP_1) | instskip(NEXT) | instid1(VALU_DEP_1)
	v_ldexp_f64 v[6:7], v[2:3], 0xffffffe0
	v_floor_f64_e32 v[6:7], v[6:7]
	s_delay_alu instid0(VALU_DEP_1) | instskip(SKIP_1) | instid1(VALU_DEP_2)
	v_fma_f64 v[2:3], 0xc1f00000, v[6:7], v[2:3]
	v_cvt_u32_f64_e32 v7, v[6:7]
	v_cvt_u32_f64_e32 v6, v[2:3]
	global_store_b64 v[0:1], v[6:7], off
	s_branch .LBB513_2017
.LBB513_2016:
	s_mov_b32 s6, 0
.LBB513_2017:
	s_delay_alu instid0(SALU_CYCLE_1)
	s_and_b32 vcc_lo, exec_lo, s6
	s_cbranch_vccz .LBB513_2033
; %bb.2018:
	v_cmp_lt_i16_e64 s3, s2, 27
	s_delay_alu instid0(VALU_DEP_1)
	s_and_b32 vcc_lo, exec_lo, s3
	s_mov_b32 s3, -1
	s_cbranch_vccnz .LBB513_2024
; %bb.2019:
	v_cvt_u32_f64_e32 v2, v[10:11]
	v_cmp_gt_i16_e64 s3, s2, 27
	s_delay_alu instid0(VALU_DEP_1)
	s_and_b32 vcc_lo, exec_lo, s3
	s_mov_b32 s3, -1
	s_cbranch_vccz .LBB513_2021
; %bb.2020:
	s_mov_b32 s3, 0
	global_store_b32 v[0:1], v2, off
.LBB513_2021:
	s_and_not1_b32 vcc_lo, exec_lo, s3
	s_cbranch_vccnz .LBB513_2023
; %bb.2022:
	global_store_b16 v[0:1], v2, off
.LBB513_2023:
	s_mov_b32 s3, 0
.LBB513_2024:
	s_delay_alu instid0(SALU_CYCLE_1)
	s_and_not1_b32 vcc_lo, exec_lo, s3
	s_cbranch_vccnz .LBB513_2032
; %bb.2025:
	v_cvt_f32_f64_e32 v2, v[10:11]
	v_mov_b32_e32 v6, 0x80
	s_mov_b32 s3, exec_lo
	s_delay_alu instid0(VALU_DEP_2) | instskip(NEXT) | instid1(VALU_DEP_1)
	v_and_b32_e32 v3, 0x7fffffff, v2
	v_cmpx_gt_u32_e32 0x43800000, v3
	s_cbranch_execz .LBB513_2031
; %bb.2026:
	v_cmp_lt_u32_e32 vcc_lo, 0x3bffffff, v3
	s_mov_b32 s6, 0
                                        ; implicit-def: $vgpr3
	s_and_saveexec_b32 s7, vcc_lo
	s_delay_alu instid0(SALU_CYCLE_1)
	s_xor_b32 s7, exec_lo, s7
	s_cbranch_execz .LBB513_2128
; %bb.2027:
	v_bfe_u32 v3, v2, 20, 1
	s_mov_b32 s6, exec_lo
	s_delay_alu instid0(VALU_DEP_1) | instskip(NEXT) | instid1(VALU_DEP_1)
	v_add3_u32 v3, v2, v3, 0x487ffff
	v_lshrrev_b32_e32 v3, 20, v3
	s_or_saveexec_b32 s7, s7
                                        ; implicit-def: $sgpr11
	s_delay_alu instid0(SALU_CYCLE_1)
	s_xor_b32 exec_lo, exec_lo, s7
	s_cbranch_execnz .LBB513_2129
.LBB513_2028:
	s_or_b32 exec_lo, exec_lo, s7
	v_mov_b32_e32 v6, s11
	s_and_saveexec_b32 s7, s6
.LBB513_2029:
	v_lshrrev_b32_e32 v2, 24, v2
	s_delay_alu instid0(VALU_DEP_1)
	v_and_or_b32 v6, 0x80, v2, v3
.LBB513_2030:
	s_or_b32 exec_lo, exec_lo, s7
.LBB513_2031:
	s_delay_alu instid0(SALU_CYCLE_1)
	s_or_b32 exec_lo, exec_lo, s3
	global_store_b8 v[0:1], v6, off
.LBB513_2032:
	s_mov_b32 s3, -1
.LBB513_2033:
	s_mov_b32 s6, 0
.LBB513_2034:
	s_delay_alu instid0(SALU_CYCLE_1)
	s_and_b32 vcc_lo, exec_lo, s6
	s_cbranch_vccz .LBB513_2074
; %bb.2035:
	v_cmp_gt_i16_e64 s1, s2, 22
	s_delay_alu instid0(VALU_DEP_1)
	s_and_b32 vcc_lo, exec_lo, s1
	s_mov_b32 s1, -1
	s_cbranch_vccz .LBB513_2067
; %bb.2036:
	v_cmp_lt_i16_e64 s1, s2, 24
	s_delay_alu instid0(VALU_DEP_1)
	s_and_b32 vcc_lo, exec_lo, s1
	s_mov_b32 s1, -1
	s_cbranch_vccnz .LBB513_2056
; %bb.2037:
	v_cmp_gt_i16_e64 s1, s2, 24
	s_delay_alu instid0(VALU_DEP_1)
	s_and_b32 vcc_lo, exec_lo, s1
	s_mov_b32 s1, -1
	s_cbranch_vccz .LBB513_2045
; %bb.2038:
	v_cvt_f32_f64_e32 v2, v[10:11]
	v_mov_b32_e32 v6, 0x80
	s_mov_b32 s1, exec_lo
	s_delay_alu instid0(VALU_DEP_2) | instskip(NEXT) | instid1(VALU_DEP_1)
	v_and_b32_e32 v3, 0x7fffffff, v2
	v_cmpx_gt_u32_e32 0x47800000, v3
	s_cbranch_execz .LBB513_2044
; %bb.2039:
	v_cmp_lt_u32_e32 vcc_lo, 0x37ffffff, v3
	s_mov_b32 s3, 0
                                        ; implicit-def: $vgpr3
	s_and_saveexec_b32 s6, vcc_lo
	s_delay_alu instid0(SALU_CYCLE_1)
	s_xor_b32 s6, exec_lo, s6
	s_cbranch_execz .LBB513_2135
; %bb.2040:
	v_bfe_u32 v3, v2, 21, 1
	s_mov_b32 s3, exec_lo
	s_delay_alu instid0(VALU_DEP_1) | instskip(NEXT) | instid1(VALU_DEP_1)
	v_add3_u32 v3, v2, v3, 0x88fffff
	v_lshrrev_b32_e32 v3, 21, v3
	s_or_saveexec_b32 s6, s6
                                        ; implicit-def: $sgpr7
	s_delay_alu instid0(SALU_CYCLE_1)
	s_xor_b32 exec_lo, exec_lo, s6
	s_cbranch_execnz .LBB513_2136
.LBB513_2041:
	s_or_b32 exec_lo, exec_lo, s6
	v_mov_b32_e32 v6, s7
	s_and_saveexec_b32 s6, s3
.LBB513_2042:
	v_lshrrev_b32_e32 v2, 24, v2
	s_delay_alu instid0(VALU_DEP_1)
	v_and_or_b32 v6, 0x80, v2, v3
.LBB513_2043:
	s_or_b32 exec_lo, exec_lo, s6
.LBB513_2044:
	s_delay_alu instid0(SALU_CYCLE_1)
	s_or_b32 exec_lo, exec_lo, s1
	s_mov_b32 s1, 0
	global_store_b8 v[0:1], v6, off
.LBB513_2045:
	s_and_b32 vcc_lo, exec_lo, s1
	s_cbranch_vccz .LBB513_2055
; %bb.2046:
	v_cvt_f32_f64_e32 v2, v[10:11]
	s_mov_b32 s1, exec_lo
                                        ; implicit-def: $vgpr3
	s_delay_alu instid0(VALU_DEP_1) | instskip(NEXT) | instid1(VALU_DEP_1)
	v_and_b32_e32 v6, 0x7fffffff, v2
	v_cmpx_gt_u32_e32 0x43f00000, v6
	s_xor_b32 s1, exec_lo, s1
	s_cbranch_execz .LBB513_2052
; %bb.2047:
	s_mov_b32 s3, exec_lo
                                        ; implicit-def: $vgpr3
	v_cmpx_lt_u32_e32 0x3c7fffff, v6
	s_xor_b32 s3, exec_lo, s3
; %bb.2048:
	v_bfe_u32 v3, v2, 20, 1
	s_delay_alu instid0(VALU_DEP_1) | instskip(NEXT) | instid1(VALU_DEP_1)
	v_add3_u32 v3, v2, v3, 0x407ffff
	v_and_b32_e32 v6, 0xff00000, v3
	v_lshrrev_b32_e32 v3, 20, v3
	s_delay_alu instid0(VALU_DEP_2) | instskip(NEXT) | instid1(VALU_DEP_2)
	v_cmp_ne_u32_e32 vcc_lo, 0x7f00000, v6
	v_cndmask_b32_e32 v3, 0x7e, v3, vcc_lo
; %bb.2049:
	s_and_not1_saveexec_b32 s3, s3
; %bb.2050:
	v_add_f32_e64 v3, 0x46800000, |v2|
; %bb.2051:
	s_or_b32 exec_lo, exec_lo, s3
                                        ; implicit-def: $vgpr6
.LBB513_2052:
	s_and_not1_saveexec_b32 s1, s1
; %bb.2053:
	v_mov_b32_e32 v3, 0x7f
	v_cmp_lt_u32_e32 vcc_lo, 0x7f800000, v6
	s_delay_alu instid0(VALU_DEP_2)
	v_cndmask_b32_e32 v3, 0x7e, v3, vcc_lo
; %bb.2054:
	s_or_b32 exec_lo, exec_lo, s1
	v_lshrrev_b32_e32 v2, 24, v2
	s_delay_alu instid0(VALU_DEP_1)
	v_and_or_b32 v2, 0x80, v2, v3
	global_store_b8 v[0:1], v2, off
.LBB513_2055:
	s_mov_b32 s1, 0
.LBB513_2056:
	s_delay_alu instid0(SALU_CYCLE_1)
	s_and_not1_b32 vcc_lo, exec_lo, s1
	s_cbranch_vccnz .LBB513_2066
; %bb.2057:
	v_cvt_f32_f64_e32 v2, v[10:11]
	s_mov_b32 s1, exec_lo
                                        ; implicit-def: $vgpr3
	s_delay_alu instid0(VALU_DEP_1) | instskip(NEXT) | instid1(VALU_DEP_1)
	v_and_b32_e32 v6, 0x7fffffff, v2
	v_cmpx_gt_u32_e32 0x47800000, v6
	s_xor_b32 s1, exec_lo, s1
	s_cbranch_execz .LBB513_2063
; %bb.2058:
	s_mov_b32 s3, exec_lo
                                        ; implicit-def: $vgpr3
	v_cmpx_lt_u32_e32 0x387fffff, v6
	s_xor_b32 s3, exec_lo, s3
; %bb.2059:
	v_bfe_u32 v3, v2, 21, 1
	s_delay_alu instid0(VALU_DEP_1) | instskip(NEXT) | instid1(VALU_DEP_1)
	v_add3_u32 v3, v2, v3, 0x80fffff
	v_lshrrev_b32_e32 v3, 21, v3
; %bb.2060:
	s_and_not1_saveexec_b32 s3, s3
; %bb.2061:
	v_add_f32_e64 v3, 0x43000000, |v2|
; %bb.2062:
	s_or_b32 exec_lo, exec_lo, s3
                                        ; implicit-def: $vgpr6
.LBB513_2063:
	s_and_not1_saveexec_b32 s1, s1
; %bb.2064:
	v_mov_b32_e32 v3, 0x7f
	v_cmp_lt_u32_e32 vcc_lo, 0x7f800000, v6
	s_delay_alu instid0(VALU_DEP_2)
	v_cndmask_b32_e32 v3, 0x7c, v3, vcc_lo
; %bb.2065:
	s_or_b32 exec_lo, exec_lo, s1
	v_lshrrev_b32_e32 v2, 24, v2
	s_delay_alu instid0(VALU_DEP_1)
	v_and_or_b32 v2, 0x80, v2, v3
	global_store_b8 v[0:1], v2, off
.LBB513_2066:
	s_mov_b32 s1, 0
	s_mov_b32 s3, -1
.LBB513_2067:
	s_and_not1_b32 vcc_lo, exec_lo, s1
	s_mov_b32 s1, 0
	s_cbranch_vccnz .LBB513_2074
; %bb.2068:
	v_cmp_gt_i16_e64 s1, s2, 14
	s_delay_alu instid0(VALU_DEP_1)
	s_and_b32 vcc_lo, exec_lo, s1
	s_mov_b32 s1, -1
	s_cbranch_vccz .LBB513_2072
; %bb.2069:
	v_cmp_eq_u16_e64 s0, s2, 15
	s_delay_alu instid0(VALU_DEP_1)
	s_and_b32 vcc_lo, exec_lo, s0
	s_mov_b32 s0, -1
	s_cbranch_vccz .LBB513_2071
; %bb.2070:
	v_cvt_f32_f64_e32 v2, v[10:11]
	s_mov_b32 s0, 0
	s_mov_b32 s3, -1
	s_delay_alu instid0(VALU_DEP_1) | instskip(SKIP_1) | instid1(VALU_DEP_2)
	v_bfe_u32 v3, v2, 16, 1
	v_cmp_o_f32_e32 vcc_lo, v2, v2
	v_add3_u32 v3, v2, v3, 0x7fff
	s_delay_alu instid0(VALU_DEP_1) | instskip(NEXT) | instid1(VALU_DEP_1)
	v_lshrrev_b32_e32 v3, 16, v3
	v_cndmask_b32_e32 v2, 0x7fc0, v3, vcc_lo
	global_store_b16 v[0:1], v2, off
.LBB513_2071:
	s_mov_b32 s1, 0
.LBB513_2072:
	s_delay_alu instid0(SALU_CYCLE_1)
	s_and_b32 vcc_lo, exec_lo, s1
	s_mov_b32 s1, 0
	s_cbranch_vccz .LBB513_2074
; %bb.2073:
	v_cmp_ne_u16_e64 s0, s2, 11
	s_mov_b32 s1, -1
.LBB513_2074:
	s_delay_alu instid0(VALU_DEP_1)
	s_and_b32 vcc_lo, exec_lo, s0
	s_cbranch_vccnz .LBB513_2133
; %bb.2075:
	s_and_not1_b32 vcc_lo, exec_lo, s1
	s_cbranch_vccnz .LBB513_2077
.LBB513_2076:
	v_cmp_neq_f64_e32 vcc_lo, 0, v[10:11]
	s_mov_b32 s3, -1
	v_cndmask_b32_e64 v2, 0, 1, vcc_lo
	global_store_b8 v[0:1], v2, off
.LBB513_2077:
	s_mov_b32 s0, 0
.LBB513_2078:
	s_delay_alu instid0(SALU_CYCLE_1)
	s_and_b32 vcc_lo, exec_lo, s0
	s_cbranch_vccz .LBB513_2117
; %bb.2079:
	v_cmp_lt_i16_e64 s0, s2, 5
	s_delay_alu instid0(VALU_DEP_1)
	s_and_b32 vcc_lo, exec_lo, s0
	s_mov_b32 s0, -1
	s_cbranch_vccnz .LBB513_2100
; %bb.2080:
	v_cmp_lt_i16_e64 s0, s2, 8
	s_delay_alu instid0(VALU_DEP_1)
	s_and_b32 vcc_lo, exec_lo, s0
	s_mov_b32 s0, -1
	s_cbranch_vccnz .LBB513_2090
	;; [unrolled: 6-line block ×3, first 2 shown]
; %bb.2082:
	v_cmp_gt_i16_e64 s0, s2, 9
	s_delay_alu instid0(VALU_DEP_1)
	s_and_b32 vcc_lo, exec_lo, s0
	s_mov_b32 s0, -1
	s_cbranch_vccz .LBB513_2084
; %bb.2083:
	v_mov_b32_e32 v12, 0
	s_mov_b32 s0, 0
	s_delay_alu instid0(VALU_DEP_1)
	v_mov_b32_e32 v13, v12
	global_store_b128 v[0:1], v[10:13], off
.LBB513_2084:
	s_and_not1_b32 vcc_lo, exec_lo, s0
	s_cbranch_vccnz .LBB513_2086
; %bb.2085:
	v_cvt_f32_f64_e32 v2, v[10:11]
	v_mov_b32_e32 v3, 0
	global_store_b64 v[0:1], v[2:3], off
.LBB513_2086:
	s_mov_b32 s0, 0
.LBB513_2087:
	s_delay_alu instid0(SALU_CYCLE_1)
	s_and_not1_b32 vcc_lo, exec_lo, s0
	s_cbranch_vccnz .LBB513_2089
; %bb.2088:
	v_cvt_f32_f64_e32 v2, v[10:11]
	s_delay_alu instid0(VALU_DEP_1) | instskip(NEXT) | instid1(VALU_DEP_1)
	v_cvt_f16_f32_e32 v2, v2
	v_and_b32_e32 v2, 0xffff, v2
	global_store_b32 v[0:1], v2, off
.LBB513_2089:
	s_mov_b32 s0, 0
.LBB513_2090:
	s_delay_alu instid0(SALU_CYCLE_1)
	s_and_not1_b32 vcc_lo, exec_lo, s0
	s_cbranch_vccnz .LBB513_2099
; %bb.2091:
	v_cmp_lt_i16_e64 s0, s2, 6
	s_delay_alu instid0(VALU_DEP_1)
	s_and_b32 vcc_lo, exec_lo, s0
	s_mov_b32 s0, -1
	s_cbranch_vccnz .LBB513_2097
; %bb.2092:
	v_cmp_gt_i16_e64 s0, s2, 6
	s_delay_alu instid0(VALU_DEP_1)
	s_and_b32 vcc_lo, exec_lo, s0
	s_mov_b32 s0, -1
	s_cbranch_vccz .LBB513_2094
; %bb.2093:
	s_mov_b32 s0, 0
	global_store_b64 v[0:1], v[10:11], off
.LBB513_2094:
	s_and_not1_b32 vcc_lo, exec_lo, s0
	s_cbranch_vccnz .LBB513_2096
; %bb.2095:
	v_cvt_f32_f64_e32 v2, v[10:11]
	global_store_b32 v[0:1], v2, off
.LBB513_2096:
	s_mov_b32 s0, 0
.LBB513_2097:
	s_delay_alu instid0(SALU_CYCLE_1)
	s_and_not1_b32 vcc_lo, exec_lo, s0
	s_cbranch_vccnz .LBB513_2099
; %bb.2098:
	v_cvt_f32_f64_e32 v2, v[10:11]
	s_delay_alu instid0(VALU_DEP_1)
	v_cvt_f16_f32_e32 v2, v2
	global_store_b16 v[0:1], v2, off
.LBB513_2099:
	s_mov_b32 s0, 0
.LBB513_2100:
	s_delay_alu instid0(SALU_CYCLE_1)
	s_and_not1_b32 vcc_lo, exec_lo, s0
	s_cbranch_vccnz .LBB513_2116
; %bb.2101:
	v_cmp_lt_i16_e64 s0, s2, 2
	s_delay_alu instid0(VALU_DEP_1)
	s_and_b32 vcc_lo, exec_lo, s0
	s_mov_b32 s0, -1
	s_cbranch_vccnz .LBB513_2111
; %bb.2102:
	v_cmp_lt_i16_e64 s0, s2, 3
	s_delay_alu instid0(VALU_DEP_1)
	s_and_b32 vcc_lo, exec_lo, s0
	s_mov_b32 s0, -1
	s_cbranch_vccnz .LBB513_2108
; %bb.2103:
	v_cmp_gt_i16_e64 s0, s2, 3
	s_delay_alu instid0(VALU_DEP_1)
	s_and_b32 vcc_lo, exec_lo, s0
	s_mov_b32 s0, -1
	s_cbranch_vccz .LBB513_2105
; %bb.2104:
	v_trunc_f64_e32 v[2:3], v[10:11]
	s_mov_b32 s0, 0
	s_delay_alu instid0(VALU_DEP_1) | instskip(NEXT) | instid1(VALU_DEP_1)
	v_ldexp_f64 v[6:7], v[2:3], 0xffffffe0
	v_floor_f64_e32 v[6:7], v[6:7]
	s_delay_alu instid0(VALU_DEP_1) | instskip(SKIP_1) | instid1(VALU_DEP_2)
	v_fma_f64 v[2:3], 0xc1f00000, v[6:7], v[2:3]
	v_cvt_i32_f64_e32 v7, v[6:7]
	v_cvt_u32_f64_e32 v6, v[2:3]
	global_store_b64 v[0:1], v[6:7], off
.LBB513_2105:
	s_and_not1_b32 vcc_lo, exec_lo, s0
	s_cbranch_vccnz .LBB513_2107
; %bb.2106:
	v_cvt_i32_f64_e32 v2, v[10:11]
	global_store_b32 v[0:1], v2, off
.LBB513_2107:
	s_mov_b32 s0, 0
.LBB513_2108:
	s_delay_alu instid0(SALU_CYCLE_1)
	s_and_not1_b32 vcc_lo, exec_lo, s0
	s_cbranch_vccnz .LBB513_2110
; %bb.2109:
	v_cvt_i32_f64_e32 v2, v[10:11]
	global_store_b16 v[0:1], v2, off
.LBB513_2110:
	s_mov_b32 s0, 0
.LBB513_2111:
	s_delay_alu instid0(SALU_CYCLE_1)
	s_and_not1_b32 vcc_lo, exec_lo, s0
	s_cbranch_vccnz .LBB513_2116
; %bb.2112:
	v_cmp_gt_i16_e64 s0, s2, 0
	s_delay_alu instid0(VALU_DEP_1)
	s_and_b32 vcc_lo, exec_lo, s0
	s_mov_b32 s0, -1
	s_cbranch_vccz .LBB513_2114
; %bb.2113:
	v_cvt_i32_f64_e32 v2, v[10:11]
	s_mov_b32 s0, 0
	global_store_b8 v[0:1], v2, off
.LBB513_2114:
	s_and_not1_b32 vcc_lo, exec_lo, s0
	s_cbranch_vccnz .LBB513_2116
; %bb.2115:
	v_trunc_f64_e32 v[2:3], v[10:11]
	s_delay_alu instid0(VALU_DEP_1) | instskip(NEXT) | instid1(VALU_DEP_1)
	v_ldexp_f64 v[6:7], v[2:3], 0xffffffe0
	v_floor_f64_e32 v[6:7], v[6:7]
	s_delay_alu instid0(VALU_DEP_1) | instskip(NEXT) | instid1(VALU_DEP_1)
	v_fma_f64 v[2:3], 0xc1f00000, v[6:7], v[2:3]
	v_cvt_u32_f64_e32 v2, v[2:3]
	global_store_b8 v[0:1], v2, off
.LBB513_2116:
	s_mov_b32 s3, -1
.LBB513_2117:
	s_delay_alu instid0(SALU_CYCLE_1)
	s_and_not1_b32 vcc_lo, exec_lo, s3
	s_cbranch_vccnz .LBB513_2126
; %bb.2118:
	v_cmp_lt_i16_e64 s0, s2, 11
	v_add_co_u32 v0, s3, s4, v14
	s_delay_alu instid0(VALU_DEP_1) | instskip(SKIP_1) | instid1(VALU_DEP_3)
	v_add_co_ci_u32_e64 v1, null, s5, 0, s3
	s_mov_b32 s1, 0
	s_and_b32 vcc_lo, exec_lo, s0
	s_mov_b32 s0, -1
	s_cbranch_vccnz .LBB513_1700
; %bb.2119:
	v_cmp_gt_i16_e64 s0, s2, 25
	s_mov_b32 s3, -1
	s_delay_alu instid0(VALU_DEP_1)
	s_and_b32 vcc_lo, exec_lo, s0
	s_mov_b32 s0, 0
	s_cbranch_vccz .LBB513_2164
; %bb.2120:
	v_cmp_gt_i16_e64 s0, s2, 28
	s_delay_alu instid0(VALU_DEP_1)
	s_and_b32 vcc_lo, exec_lo, s0
	s_cbranch_vccz .LBB513_2127
; %bb.2121:
	v_cmp_gt_i16_e64 s0, s2, 43
	s_delay_alu instid0(VALU_DEP_1)
	s_and_b32 vcc_lo, exec_lo, s0
	;; [unrolled: 5-line block ×3, first 2 shown]
	s_cbranch_vccz .LBB513_2137
; %bb.2123:
	v_cmp_eq_u16_e64 s0, s2, 46
	s_delay_alu instid0(VALU_DEP_1)
	s_and_b32 vcc_lo, exec_lo, s0
	s_mov_b32 s0, -1
	s_cbranch_vccz .LBB513_2125
; %bb.2124:
	v_cvt_f32_f64_e32 v2, v[4:5]
	s_mov_b32 s0, 0
	s_delay_alu instid0(VALU_DEP_1) | instskip(SKIP_1) | instid1(VALU_DEP_2)
	v_bfe_u32 v3, v2, 16, 1
	v_cmp_o_f32_e32 vcc_lo, v2, v2
	v_add3_u32 v3, v2, v3, 0x7fff
	s_delay_alu instid0(VALU_DEP_1) | instskip(NEXT) | instid1(VALU_DEP_1)
	v_lshrrev_b32_e32 v3, 16, v3
	v_cndmask_b32_e32 v2, 0x7fc0, v3, vcc_lo
	global_store_b32 v[0:1], v2, off
.LBB513_2125:
	s_mov_b32 s3, 0
	s_branch .LBB513_2138
.LBB513_2126:
	s_mov_b32 s0, 0
	s_mov_b32 s1, 0
                                        ; implicit-def: $vgpr0_vgpr1
                                        ; implicit-def: $sgpr2
	s_branch .LBB513_1700
.LBB513_2127:
	s_mov_b32 s0, 0
	s_branch .LBB513_2148
.LBB513_2128:
	s_or_saveexec_b32 s7, s7
                                        ; implicit-def: $sgpr11
	s_delay_alu instid0(SALU_CYCLE_1)
	s_xor_b32 exec_lo, exec_lo, s7
	s_cbranch_execz .LBB513_2028
.LBB513_2129:
	v_add_f32_e64 v3, 0x46000000, |v2|
	s_and_not1_b32 s6, s6, exec_lo
	s_mov_b32 s11, 0
	s_delay_alu instid0(VALU_DEP_1) | instskip(NEXT) | instid1(VALU_DEP_1)
	v_and_b32_e32 v3, 0xff, v3
	v_cmp_ne_u32_e32 vcc_lo, 0, v3
	s_and_b32 s12, vcc_lo, exec_lo
	s_delay_alu instid0(SALU_CYCLE_1)
	s_or_b32 s6, s6, s12
	s_or_b32 exec_lo, exec_lo, s7
	v_mov_b32_e32 v6, s11
	s_and_saveexec_b32 s7, s6
	s_cbranch_execnz .LBB513_2029
	s_branch .LBB513_2030
.LBB513_2130:
	s_mov_b32 s0, 0
	s_branch .LBB513_2144
.LBB513_2131:
	s_trap 2
	s_sendmsg_rtn_b32 s0, sendmsg(MSG_RTN_GET_DOORBELL)
	s_mov_b32 ttmp2, m0
	s_waitcnt lgkmcnt(0)
	s_and_b32 s0, s0, 0x3ff
	s_delay_alu instid0(SALU_CYCLE_1) | instskip(NEXT) | instid1(SALU_CYCLE_1)
	s_bitset1_b32 s0, 10
	s_mov_b32 m0, s0
	s_sendmsg sendmsg(MSG_INTERRUPT)
	s_mov_b32 m0, ttmp2
.LBB513_2132:                           ; =>This Inner Loop Header: Depth=1
	s_sethalt 5
	s_branch .LBB513_2132
.LBB513_2133:
	s_cbranch_execnz .LBB513_2208
; %bb.2134:
	s_or_b32 s10, s10, exec_lo
	s_cbranch_execz .LBB513_2076
	s_branch .LBB513_2077
.LBB513_2135:
	s_or_saveexec_b32 s6, s6
                                        ; implicit-def: $sgpr7
	s_delay_alu instid0(SALU_CYCLE_1)
	s_xor_b32 exec_lo, exec_lo, s6
	s_cbranch_execz .LBB513_2041
.LBB513_2136:
	v_add_f32_e64 v3, 0x42800000, |v2|
	s_and_not1_b32 s3, s3, exec_lo
	s_mov_b32 s7, 0
	s_delay_alu instid0(VALU_DEP_1) | instskip(NEXT) | instid1(VALU_DEP_1)
	v_and_b32_e32 v3, 0xff, v3
	v_cmp_ne_u32_e32 vcc_lo, 0, v3
	s_and_b32 s11, vcc_lo, exec_lo
	s_delay_alu instid0(SALU_CYCLE_1)
	s_or_b32 s3, s3, s11
	s_or_b32 exec_lo, exec_lo, s6
	v_mov_b32_e32 v6, s7
	s_and_saveexec_b32 s6, s3
	s_cbranch_execnz .LBB513_2042
	s_branch .LBB513_2043
.LBB513_2137:
	s_mov_b32 s0, 0
.LBB513_2138:
	s_and_b32 vcc_lo, exec_lo, s3
	s_cbranch_vccz .LBB513_2143
; %bb.2139:
	v_cmp_eq_u16_e64 s0, s2, 44
	s_delay_alu instid0(VALU_DEP_1)
	s_and_b32 vcc_lo, exec_lo, s0
	s_mov_b32 s0, -1
	s_cbranch_vccz .LBB513_2143
; %bb.2140:
	v_cvt_f32_f64_e32 v2, v[4:5]
	v_mov_b32_e32 v3, 0xff
	s_mov_b32 s3, exec_lo
	s_delay_alu instid0(VALU_DEP_2) | instskip(NEXT) | instid1(VALU_DEP_1)
	v_bfe_u32 v6, v2, 23, 8
	v_cmpx_ne_u32_e32 0xff, v6
; %bb.2141:
	v_and_b32_e32 v3, 0x400000, v2
	v_and_or_b32 v6, 0x3fffff, v2, v6
	v_lshrrev_b32_e32 v2, 23, v2
	s_delay_alu instid0(VALU_DEP_3) | instskip(NEXT) | instid1(VALU_DEP_3)
	v_cmp_ne_u32_e32 vcc_lo, 0, v3
	v_cmp_ne_u32_e64 s0, 0, v6
	s_delay_alu instid0(VALU_DEP_1) | instskip(NEXT) | instid1(SALU_CYCLE_1)
	s_and_b32 s0, vcc_lo, s0
	v_cndmask_b32_e64 v3, 0, 1, s0
	s_delay_alu instid0(VALU_DEP_1)
	v_add_nc_u32_e32 v3, v2, v3
; %bb.2142:
	s_or_b32 exec_lo, exec_lo, s3
	s_mov_b32 s0, 0
	global_store_b8 v[0:1], v3, off
.LBB513_2143:
	s_mov_b32 s3, 0
.LBB513_2144:
	s_delay_alu instid0(SALU_CYCLE_1)
	s_and_b32 vcc_lo, exec_lo, s3
	s_cbranch_vccz .LBB513_2147
; %bb.2145:
	v_cmp_eq_u16_e64 s0, s2, 29
	s_delay_alu instid0(VALU_DEP_1)
	s_and_b32 vcc_lo, exec_lo, s0
	s_mov_b32 s0, -1
	s_cbranch_vccz .LBB513_2147
; %bb.2146:
	v_trunc_f64_e32 v[2:3], v[4:5]
	s_mov_b32 s0, 0
	s_delay_alu instid0(VALU_DEP_1) | instskip(NEXT) | instid1(VALU_DEP_1)
	v_ldexp_f64 v[6:7], v[2:3], 0xffffffe0
	v_floor_f64_e32 v[6:7], v[6:7]
	s_delay_alu instid0(VALU_DEP_1) | instskip(SKIP_1) | instid1(VALU_DEP_2)
	v_fma_f64 v[2:3], 0xc1f00000, v[6:7], v[2:3]
	v_cvt_u32_f64_e32 v7, v[6:7]
	v_cvt_u32_f64_e32 v6, v[2:3]
	global_store_b64 v[0:1], v[6:7], off
.LBB513_2147:
	s_mov_b32 s3, 0
.LBB513_2148:
	s_delay_alu instid0(SALU_CYCLE_1)
	s_and_b32 vcc_lo, exec_lo, s3
	s_cbranch_vccz .LBB513_2163
; %bb.2149:
	v_cmp_lt_i16_e64 s3, s2, 27
	s_delay_alu instid0(VALU_DEP_1)
	s_and_b32 vcc_lo, exec_lo, s3
	s_mov_b32 s3, -1
	s_cbranch_vccnz .LBB513_2155
; %bb.2150:
	v_cvt_u32_f64_e32 v2, v[4:5]
	v_cmp_gt_i16_e64 s3, s2, 27
	s_delay_alu instid0(VALU_DEP_1)
	s_and_b32 vcc_lo, exec_lo, s3
	s_mov_b32 s3, -1
	s_cbranch_vccz .LBB513_2152
; %bb.2151:
	s_mov_b32 s3, 0
	global_store_b32 v[0:1], v2, off
.LBB513_2152:
	s_and_not1_b32 vcc_lo, exec_lo, s3
	s_cbranch_vccnz .LBB513_2154
; %bb.2153:
	global_store_b16 v[0:1], v2, off
.LBB513_2154:
	s_mov_b32 s3, 0
.LBB513_2155:
	s_delay_alu instid0(SALU_CYCLE_1)
	s_and_not1_b32 vcc_lo, exec_lo, s3
	s_cbranch_vccnz .LBB513_2163
; %bb.2156:
	v_cvt_f32_f64_e32 v2, v[4:5]
	v_mov_b32_e32 v6, 0x80
	s_mov_b32 s3, exec_lo
	s_delay_alu instid0(VALU_DEP_2) | instskip(NEXT) | instid1(VALU_DEP_1)
	v_and_b32_e32 v3, 0x7fffffff, v2
	v_cmpx_gt_u32_e32 0x43800000, v3
	s_cbranch_execz .LBB513_2162
; %bb.2157:
	v_cmp_lt_u32_e32 vcc_lo, 0x3bffffff, v3
	s_mov_b32 s4, 0
                                        ; implicit-def: $vgpr3
	s_and_saveexec_b32 s5, vcc_lo
	s_delay_alu instid0(SALU_CYCLE_1)
	s_xor_b32 s5, exec_lo, s5
	s_cbranch_execz .LBB513_2206
; %bb.2158:
	v_bfe_u32 v3, v2, 20, 1
	s_mov_b32 s4, exec_lo
	s_delay_alu instid0(VALU_DEP_1) | instskip(NEXT) | instid1(VALU_DEP_1)
	v_add3_u32 v3, v2, v3, 0x487ffff
	v_lshrrev_b32_e32 v3, 20, v3
	s_or_saveexec_b32 s5, s5
                                        ; implicit-def: $sgpr6
	s_delay_alu instid0(SALU_CYCLE_1)
	s_xor_b32 exec_lo, exec_lo, s5
	s_cbranch_execnz .LBB513_2207
.LBB513_2159:
	s_or_b32 exec_lo, exec_lo, s5
	v_mov_b32_e32 v6, s6
	s_and_saveexec_b32 s5, s4
.LBB513_2160:
	v_lshrrev_b32_e32 v2, 24, v2
	s_delay_alu instid0(VALU_DEP_1)
	v_and_or_b32 v6, 0x80, v2, v3
.LBB513_2161:
	s_or_b32 exec_lo, exec_lo, s5
.LBB513_2162:
	s_delay_alu instid0(SALU_CYCLE_1)
	s_or_b32 exec_lo, exec_lo, s3
	global_store_b8 v[0:1], v6, off
.LBB513_2163:
	s_mov_b32 s3, 0
.LBB513_2164:
	s_delay_alu instid0(SALU_CYCLE_1)
	s_and_b32 vcc_lo, exec_lo, s3
	s_cbranch_vccz .LBB513_2204
; %bb.2165:
	v_cmp_gt_i16_e64 s1, s2, 22
	s_delay_alu instid0(VALU_DEP_1)
	s_and_b32 vcc_lo, exec_lo, s1
	s_mov_b32 s1, -1
	s_cbranch_vccz .LBB513_2197
; %bb.2166:
	v_cmp_lt_i16_e64 s1, s2, 24
	s_delay_alu instid0(VALU_DEP_1)
	s_and_b32 vcc_lo, exec_lo, s1
	s_mov_b32 s1, -1
	s_cbranch_vccnz .LBB513_2186
; %bb.2167:
	v_cmp_gt_i16_e64 s1, s2, 24
	s_delay_alu instid0(VALU_DEP_1)
	s_and_b32 vcc_lo, exec_lo, s1
	s_mov_b32 s1, -1
	s_cbranch_vccz .LBB513_2175
; %bb.2168:
	v_cvt_f32_f64_e32 v2, v[4:5]
	v_mov_b32_e32 v6, 0x80
	s_mov_b32 s1, exec_lo
	s_delay_alu instid0(VALU_DEP_2) | instskip(NEXT) | instid1(VALU_DEP_1)
	v_and_b32_e32 v3, 0x7fffffff, v2
	v_cmpx_gt_u32_e32 0x47800000, v3
	s_cbranch_execz .LBB513_2174
; %bb.2169:
	v_cmp_lt_u32_e32 vcc_lo, 0x37ffffff, v3
	s_mov_b32 s3, 0
                                        ; implicit-def: $vgpr3
	s_and_saveexec_b32 s4, vcc_lo
	s_delay_alu instid0(SALU_CYCLE_1)
	s_xor_b32 s4, exec_lo, s4
	s_cbranch_execz .LBB513_2212
; %bb.2170:
	v_bfe_u32 v3, v2, 21, 1
	s_mov_b32 s3, exec_lo
	s_delay_alu instid0(VALU_DEP_1) | instskip(NEXT) | instid1(VALU_DEP_1)
	v_add3_u32 v3, v2, v3, 0x88fffff
	v_lshrrev_b32_e32 v3, 21, v3
	s_or_saveexec_b32 s4, s4
                                        ; implicit-def: $sgpr5
	s_delay_alu instid0(SALU_CYCLE_1)
	s_xor_b32 exec_lo, exec_lo, s4
	s_cbranch_execnz .LBB513_2213
.LBB513_2171:
	s_or_b32 exec_lo, exec_lo, s4
	v_mov_b32_e32 v6, s5
	s_and_saveexec_b32 s4, s3
.LBB513_2172:
	v_lshrrev_b32_e32 v2, 24, v2
	s_delay_alu instid0(VALU_DEP_1)
	v_and_or_b32 v6, 0x80, v2, v3
.LBB513_2173:
	s_or_b32 exec_lo, exec_lo, s4
.LBB513_2174:
	s_delay_alu instid0(SALU_CYCLE_1)
	s_or_b32 exec_lo, exec_lo, s1
	s_mov_b32 s1, 0
	global_store_b8 v[0:1], v6, off
.LBB513_2175:
	s_and_b32 vcc_lo, exec_lo, s1
	s_cbranch_vccz .LBB513_2185
; %bb.2176:
	v_cvt_f32_f64_e32 v2, v[4:5]
	s_mov_b32 s1, exec_lo
                                        ; implicit-def: $vgpr3
	s_delay_alu instid0(VALU_DEP_1) | instskip(NEXT) | instid1(VALU_DEP_1)
	v_and_b32_e32 v6, 0x7fffffff, v2
	v_cmpx_gt_u32_e32 0x43f00000, v6
	s_xor_b32 s1, exec_lo, s1
	s_cbranch_execz .LBB513_2182
; %bb.2177:
	s_mov_b32 s3, exec_lo
                                        ; implicit-def: $vgpr3
	v_cmpx_lt_u32_e32 0x3c7fffff, v6
	s_xor_b32 s3, exec_lo, s3
; %bb.2178:
	v_bfe_u32 v3, v2, 20, 1
	s_delay_alu instid0(VALU_DEP_1) | instskip(NEXT) | instid1(VALU_DEP_1)
	v_add3_u32 v3, v2, v3, 0x407ffff
	v_and_b32_e32 v6, 0xff00000, v3
	v_lshrrev_b32_e32 v3, 20, v3
	s_delay_alu instid0(VALU_DEP_2) | instskip(NEXT) | instid1(VALU_DEP_2)
	v_cmp_ne_u32_e32 vcc_lo, 0x7f00000, v6
	v_cndmask_b32_e32 v3, 0x7e, v3, vcc_lo
; %bb.2179:
	s_and_not1_saveexec_b32 s3, s3
; %bb.2180:
	v_add_f32_e64 v3, 0x46800000, |v2|
; %bb.2181:
	s_or_b32 exec_lo, exec_lo, s3
                                        ; implicit-def: $vgpr6
.LBB513_2182:
	s_and_not1_saveexec_b32 s1, s1
; %bb.2183:
	v_mov_b32_e32 v3, 0x7f
	v_cmp_lt_u32_e32 vcc_lo, 0x7f800000, v6
	s_delay_alu instid0(VALU_DEP_2)
	v_cndmask_b32_e32 v3, 0x7e, v3, vcc_lo
; %bb.2184:
	s_or_b32 exec_lo, exec_lo, s1
	v_lshrrev_b32_e32 v2, 24, v2
	s_delay_alu instid0(VALU_DEP_1)
	v_and_or_b32 v2, 0x80, v2, v3
	global_store_b8 v[0:1], v2, off
.LBB513_2185:
	s_mov_b32 s1, 0
.LBB513_2186:
	s_delay_alu instid0(SALU_CYCLE_1)
	s_and_not1_b32 vcc_lo, exec_lo, s1
	s_cbranch_vccnz .LBB513_2196
; %bb.2187:
	v_cvt_f32_f64_e32 v2, v[4:5]
	s_mov_b32 s1, exec_lo
                                        ; implicit-def: $vgpr3
	s_delay_alu instid0(VALU_DEP_1) | instskip(NEXT) | instid1(VALU_DEP_1)
	v_and_b32_e32 v6, 0x7fffffff, v2
	v_cmpx_gt_u32_e32 0x47800000, v6
	s_xor_b32 s1, exec_lo, s1
	s_cbranch_execz .LBB513_2193
; %bb.2188:
	s_mov_b32 s3, exec_lo
                                        ; implicit-def: $vgpr3
	v_cmpx_lt_u32_e32 0x387fffff, v6
	s_xor_b32 s3, exec_lo, s3
; %bb.2189:
	v_bfe_u32 v3, v2, 21, 1
	s_delay_alu instid0(VALU_DEP_1) | instskip(NEXT) | instid1(VALU_DEP_1)
	v_add3_u32 v3, v2, v3, 0x80fffff
	v_lshrrev_b32_e32 v3, 21, v3
; %bb.2190:
	s_and_not1_saveexec_b32 s3, s3
; %bb.2191:
	v_add_f32_e64 v3, 0x43000000, |v2|
; %bb.2192:
	s_or_b32 exec_lo, exec_lo, s3
                                        ; implicit-def: $vgpr6
.LBB513_2193:
	s_and_not1_saveexec_b32 s1, s1
; %bb.2194:
	v_mov_b32_e32 v3, 0x7f
	v_cmp_lt_u32_e32 vcc_lo, 0x7f800000, v6
	s_delay_alu instid0(VALU_DEP_2)
	v_cndmask_b32_e32 v3, 0x7c, v3, vcc_lo
; %bb.2195:
	s_or_b32 exec_lo, exec_lo, s1
	v_lshrrev_b32_e32 v2, 24, v2
	s_delay_alu instid0(VALU_DEP_1)
	v_and_or_b32 v2, 0x80, v2, v3
	global_store_b8 v[0:1], v2, off
.LBB513_2196:
	s_mov_b32 s1, 0
.LBB513_2197:
	s_delay_alu instid0(SALU_CYCLE_1)
	s_and_not1_b32 vcc_lo, exec_lo, s1
	s_mov_b32 s1, 0
	s_cbranch_vccnz .LBB513_2204
; %bb.2198:
	v_cmp_gt_i16_e64 s1, s2, 14
	s_delay_alu instid0(VALU_DEP_1)
	s_and_b32 vcc_lo, exec_lo, s1
	s_mov_b32 s1, -1
	s_cbranch_vccz .LBB513_2202
; %bb.2199:
	v_cmp_eq_u16_e64 s0, s2, 15
	s_delay_alu instid0(VALU_DEP_1)
	s_and_b32 vcc_lo, exec_lo, s0
	s_mov_b32 s0, -1
	s_cbranch_vccz .LBB513_2201
; %bb.2200:
	v_cvt_f32_f64_e32 v2, v[4:5]
	s_mov_b32 s0, 0
	s_delay_alu instid0(VALU_DEP_1) | instskip(SKIP_1) | instid1(VALU_DEP_2)
	v_bfe_u32 v3, v2, 16, 1
	v_cmp_o_f32_e32 vcc_lo, v2, v2
	v_add3_u32 v3, v2, v3, 0x7fff
	s_delay_alu instid0(VALU_DEP_1) | instskip(NEXT) | instid1(VALU_DEP_1)
	v_lshrrev_b32_e32 v3, 16, v3
	v_cndmask_b32_e32 v2, 0x7fc0, v3, vcc_lo
	global_store_b16 v[0:1], v2, off
.LBB513_2201:
	s_mov_b32 s1, 0
.LBB513_2202:
	s_delay_alu instid0(SALU_CYCLE_1)
	s_and_b32 vcc_lo, exec_lo, s1
	s_mov_b32 s1, 0
	s_cbranch_vccz .LBB513_2204
; %bb.2203:
	v_cmp_ne_u16_e64 s0, s2, 11
	s_mov_b32 s1, -1
.LBB513_2204:
	s_delay_alu instid0(VALU_DEP_1)
	s_and_b32 vcc_lo, exec_lo, s0
	s_cbranch_vccnz .LBB513_2210
.LBB513_2205:
	s_mov_b32 s0, 0
	s_branch .LBB513_1700
.LBB513_2206:
	s_or_saveexec_b32 s5, s5
                                        ; implicit-def: $sgpr6
	s_delay_alu instid0(SALU_CYCLE_1)
	s_xor_b32 exec_lo, exec_lo, s5
	s_cbranch_execz .LBB513_2159
.LBB513_2207:
	v_add_f32_e64 v3, 0x46000000, |v2|
	s_and_not1_b32 s4, s4, exec_lo
	s_mov_b32 s6, 0
	s_delay_alu instid0(VALU_DEP_1) | instskip(NEXT) | instid1(VALU_DEP_1)
	v_and_b32_e32 v3, 0xff, v3
	v_cmp_ne_u32_e32 vcc_lo, 0, v3
	s_and_b32 s7, vcc_lo, exec_lo
	s_delay_alu instid0(SALU_CYCLE_1)
	s_or_b32 s4, s4, s7
	s_or_b32 exec_lo, exec_lo, s5
	v_mov_b32_e32 v6, s6
	s_and_saveexec_b32 s5, s4
	s_cbranch_execnz .LBB513_2160
	s_branch .LBB513_2161
.LBB513_2208:
	s_trap 2
	s_sendmsg_rtn_b32 s0, sendmsg(MSG_RTN_GET_DOORBELL)
	s_mov_b32 ttmp2, m0
	s_waitcnt lgkmcnt(0)
	s_and_b32 s0, s0, 0x3ff
	s_delay_alu instid0(SALU_CYCLE_1) | instskip(NEXT) | instid1(SALU_CYCLE_1)
	s_bitset1_b32 s0, 10
	s_mov_b32 m0, s0
	s_sendmsg sendmsg(MSG_INTERRUPT)
	s_mov_b32 m0, ttmp2
.LBB513_2209:                           ; =>This Inner Loop Header: Depth=1
	s_sethalt 5
	s_branch .LBB513_2209
.LBB513_2210:
	s_cbranch_execnz .LBB513_2214
; %bb.2211:
	s_mov_b32 s1, 0
	s_or_b32 s10, s10, exec_lo
	s_branch .LBB513_2205
.LBB513_2212:
	s_or_saveexec_b32 s4, s4
                                        ; implicit-def: $sgpr5
	s_delay_alu instid0(SALU_CYCLE_1)
	s_xor_b32 exec_lo, exec_lo, s4
	s_cbranch_execz .LBB513_2171
.LBB513_2213:
	v_add_f32_e64 v3, 0x42800000, |v2|
	s_and_not1_b32 s3, s3, exec_lo
	s_mov_b32 s5, 0
	s_delay_alu instid0(VALU_DEP_1) | instskip(NEXT) | instid1(VALU_DEP_1)
	v_and_b32_e32 v3, 0xff, v3
	v_cmp_ne_u32_e32 vcc_lo, 0, v3
	s_and_b32 s6, vcc_lo, exec_lo
	s_delay_alu instid0(SALU_CYCLE_1)
	s_or_b32 s3, s3, s6
	s_or_b32 exec_lo, exec_lo, s4
	v_mov_b32_e32 v6, s5
	s_and_saveexec_b32 s4, s3
	s_cbranch_execnz .LBB513_2172
	s_branch .LBB513_2173
.LBB513_2214:
	s_trap 2
	s_sendmsg_rtn_b32 s0, sendmsg(MSG_RTN_GET_DOORBELL)
	s_mov_b32 ttmp2, m0
	s_waitcnt lgkmcnt(0)
	s_and_b32 s0, s0, 0x3ff
	s_delay_alu instid0(SALU_CYCLE_1) | instskip(NEXT) | instid1(SALU_CYCLE_1)
	s_bitset1_b32 s0, 10
	s_mov_b32 m0, s0
	s_sendmsg sendmsg(MSG_INTERRUPT)
	s_mov_b32 m0, ttmp2
.LBB513_2215:                           ; =>This Inner Loop Header: Depth=1
	s_sethalt 5
	s_branch .LBB513_2215
	.section	.rodata,"a",@progbits
	.p2align	6, 0x0
	.amdhsa_kernel _ZN2at6native32elementwise_kernel_manual_unrollILi128ELi4EZNS0_15gpu_kernel_implIZZZNS0_22nan_to_num_kernel_cudaERNS_18TensorIteratorBaseESt8optionalIdES6_S6_ENKUlvE0_clEvENKUlvE_clEvEUldE_EEvS4_RKT_EUlibE0_EEviT1_
		.amdhsa_group_segment_fixed_size 0
		.amdhsa_private_segment_fixed_size 0
		.amdhsa_kernarg_size 384
		.amdhsa_user_sgpr_count 15
		.amdhsa_user_sgpr_dispatch_ptr 0
		.amdhsa_user_sgpr_queue_ptr 0
		.amdhsa_user_sgpr_kernarg_segment_ptr 1
		.amdhsa_user_sgpr_dispatch_id 0
		.amdhsa_user_sgpr_private_segment_size 0
		.amdhsa_wavefront_size32 1
		.amdhsa_uses_dynamic_stack 0
		.amdhsa_enable_private_segment 0
		.amdhsa_system_sgpr_workgroup_id_x 1
		.amdhsa_system_sgpr_workgroup_id_y 0
		.amdhsa_system_sgpr_workgroup_id_z 0
		.amdhsa_system_sgpr_workgroup_info 0
		.amdhsa_system_vgpr_workitem_id 0
		.amdhsa_next_free_vgpr 20
		.amdhsa_next_free_sgpr 72
		.amdhsa_reserve_vcc 1
		.amdhsa_float_round_mode_32 0
		.amdhsa_float_round_mode_16_64 0
		.amdhsa_float_denorm_mode_32 3
		.amdhsa_float_denorm_mode_16_64 3
		.amdhsa_dx10_clamp 1
		.amdhsa_ieee_mode 1
		.amdhsa_fp16_overflow 0
		.amdhsa_workgroup_processor_mode 1
		.amdhsa_memory_ordered 1
		.amdhsa_forward_progress 0
		.amdhsa_shared_vgpr_count 0
		.amdhsa_exception_fp_ieee_invalid_op 0
		.amdhsa_exception_fp_denorm_src 0
		.amdhsa_exception_fp_ieee_div_zero 0
		.amdhsa_exception_fp_ieee_overflow 0
		.amdhsa_exception_fp_ieee_underflow 0
		.amdhsa_exception_fp_ieee_inexact 0
		.amdhsa_exception_int_div_zero 0
	.end_amdhsa_kernel
	.section	.text._ZN2at6native32elementwise_kernel_manual_unrollILi128ELi4EZNS0_15gpu_kernel_implIZZZNS0_22nan_to_num_kernel_cudaERNS_18TensorIteratorBaseESt8optionalIdES6_S6_ENKUlvE0_clEvENKUlvE_clEvEUldE_EEvS4_RKT_EUlibE0_EEviT1_,"axG",@progbits,_ZN2at6native32elementwise_kernel_manual_unrollILi128ELi4EZNS0_15gpu_kernel_implIZZZNS0_22nan_to_num_kernel_cudaERNS_18TensorIteratorBaseESt8optionalIdES6_S6_ENKUlvE0_clEvENKUlvE_clEvEUldE_EEvS4_RKT_EUlibE0_EEviT1_,comdat
.Lfunc_end513:
	.size	_ZN2at6native32elementwise_kernel_manual_unrollILi128ELi4EZNS0_15gpu_kernel_implIZZZNS0_22nan_to_num_kernel_cudaERNS_18TensorIteratorBaseESt8optionalIdES6_S6_ENKUlvE0_clEvENKUlvE_clEvEUldE_EEvS4_RKT_EUlibE0_EEviT1_, .Lfunc_end513-_ZN2at6native32elementwise_kernel_manual_unrollILi128ELi4EZNS0_15gpu_kernel_implIZZZNS0_22nan_to_num_kernel_cudaERNS_18TensorIteratorBaseESt8optionalIdES6_S6_ENKUlvE0_clEvENKUlvE_clEvEUldE_EEvS4_RKT_EUlibE0_EEviT1_
                                        ; -- End function
	.section	.AMDGPU.csdata,"",@progbits
; Kernel info:
; codeLenInByte = 43328
; NumSgprs: 74
; NumVgprs: 20
; ScratchSize: 0
; MemoryBound: 1
; FloatMode: 240
; IeeeMode: 1
; LDSByteSize: 0 bytes/workgroup (compile time only)
; SGPRBlocks: 9
; VGPRBlocks: 2
; NumSGPRsForWavesPerEU: 74
; NumVGPRsForWavesPerEU: 20
; Occupancy: 16
; WaveLimiterHint : 1
; COMPUTE_PGM_RSRC2:SCRATCH_EN: 0
; COMPUTE_PGM_RSRC2:USER_SGPR: 15
; COMPUTE_PGM_RSRC2:TRAP_HANDLER: 0
; COMPUTE_PGM_RSRC2:TGID_X_EN: 1
; COMPUTE_PGM_RSRC2:TGID_Y_EN: 0
; COMPUTE_PGM_RSRC2:TGID_Z_EN: 0
; COMPUTE_PGM_RSRC2:TIDIG_COMP_CNT: 0
	.section	.text._ZN2at6native29vectorized_elementwise_kernelILi16EZZZNS0_22nan_to_num_kernel_cudaERNS_18TensorIteratorBaseESt8optionalIdES5_S5_ENKUlvE0_clEvENKUlvE0_clEvEUlfE_St5arrayIPcLm2EEEEviT0_T1_,"axG",@progbits,_ZN2at6native29vectorized_elementwise_kernelILi16EZZZNS0_22nan_to_num_kernel_cudaERNS_18TensorIteratorBaseESt8optionalIdES5_S5_ENKUlvE0_clEvENKUlvE0_clEvEUlfE_St5arrayIPcLm2EEEEviT0_T1_,comdat
	.globl	_ZN2at6native29vectorized_elementwise_kernelILi16EZZZNS0_22nan_to_num_kernel_cudaERNS_18TensorIteratorBaseESt8optionalIdES5_S5_ENKUlvE0_clEvENKUlvE0_clEvEUlfE_St5arrayIPcLm2EEEEviT0_T1_ ; -- Begin function _ZN2at6native29vectorized_elementwise_kernelILi16EZZZNS0_22nan_to_num_kernel_cudaERNS_18TensorIteratorBaseESt8optionalIdES5_S5_ENKUlvE0_clEvENKUlvE0_clEvEUlfE_St5arrayIPcLm2EEEEviT0_T1_
	.p2align	8
	.type	_ZN2at6native29vectorized_elementwise_kernelILi16EZZZNS0_22nan_to_num_kernel_cudaERNS_18TensorIteratorBaseESt8optionalIdES5_S5_ENKUlvE0_clEvENKUlvE0_clEvEUlfE_St5arrayIPcLm2EEEEviT0_T1_,@function
_ZN2at6native29vectorized_elementwise_kernelILi16EZZZNS0_22nan_to_num_kernel_cudaERNS_18TensorIteratorBaseESt8optionalIdES5_S5_ENKUlvE0_clEvENKUlvE0_clEvEUlfE_St5arrayIPcLm2EEEEviT0_T1_: ; @_ZN2at6native29vectorized_elementwise_kernelILi16EZZZNS0_22nan_to_num_kernel_cudaERNS_18TensorIteratorBaseESt8optionalIdES5_S5_ENKUlvE0_clEvENKUlvE0_clEvEUlfE_St5arrayIPcLm2EEEEviT0_T1_
; %bb.0:
	s_load_b256 s[0:7], s[0:1], 0x0
	s_lshl_b32 s8, s15, 10
	s_waitcnt lgkmcnt(0)
	s_sub_i32 s12, s0, s8
	s_mov_b32 s0, -1
	s_cmpk_gt_i32 s12, 0x3ff
	s_cbranch_scc0 .LBB514_18
; %bb.1:
	s_ashr_i32 s9, s8, 31
	v_dual_mov_b32 v1, s1 :: v_dual_lshlrev_b32 v6, 4, v0
	s_lshl_b64 s[10:11], s[8:9], 2
	s_mov_b32 s0, exec_lo
	s_add_u32 s14, s6, s10
	s_addc_u32 s15, s7, s11
	global_load_b128 v[2:5], v6, s[14:15]
	s_waitcnt vmcnt(0)
	v_cmpx_o_f32_e32 v2, v2
	s_cbranch_execz .LBB514_5
; %bb.2:
	v_mov_b32_e32 v1, s2
	s_mov_b32 s9, exec_lo
	v_cmpx_neq_f32_e32 0x7f800000, v2
; %bb.3:
	v_cmp_eq_f32_e32 vcc_lo, 0xff800000, v2
	v_cndmask_b32_e64 v1, v2, s3, vcc_lo
; %bb.4:
	s_or_b32 exec_lo, exec_lo, s9
.LBB514_5:
	s_delay_alu instid0(SALU_CYCLE_1)
	s_or_b32 exec_lo, exec_lo, s0
	v_mov_b32_e32 v2, s1
	s_mov_b32 s0, exec_lo
	v_cmpx_o_f32_e32 v3, v3
	s_cbranch_execz .LBB514_9
; %bb.6:
	v_mov_b32_e32 v2, s2
	s_mov_b32 s9, exec_lo
	v_cmpx_neq_f32_e32 0x7f800000, v3
; %bb.7:
	v_cmp_eq_f32_e32 vcc_lo, 0xff800000, v3
	v_cndmask_b32_e64 v2, v3, s3, vcc_lo
; %bb.8:
	s_or_b32 exec_lo, exec_lo, s9
.LBB514_9:
	s_delay_alu instid0(SALU_CYCLE_1)
	s_or_b32 exec_lo, exec_lo, s0
	v_mov_b32_e32 v3, s1
	s_mov_b32 s0, exec_lo
	v_cmpx_o_f32_e32 v4, v4
	s_cbranch_execz .LBB514_13
; %bb.10:
	v_mov_b32_e32 v3, s2
	s_mov_b32 s9, exec_lo
	v_cmpx_neq_f32_e32 0x7f800000, v4
; %bb.11:
	v_cmp_eq_f32_e32 vcc_lo, 0xff800000, v4
	v_cndmask_b32_e64 v3, v4, s3, vcc_lo
; %bb.12:
	s_or_b32 exec_lo, exec_lo, s9
.LBB514_13:
	s_delay_alu instid0(SALU_CYCLE_1)
	s_or_b32 exec_lo, exec_lo, s0
	v_mov_b32_e32 v4, s1
	s_mov_b32 s0, exec_lo
	v_cmpx_o_f32_e32 v5, v5
	s_cbranch_execz .LBB514_17
; %bb.14:
	v_mov_b32_e32 v4, s2
	s_mov_b32 s9, exec_lo
	v_cmpx_neq_f32_e32 0x7f800000, v5
; %bb.15:
	v_cmp_eq_f32_e32 vcc_lo, 0xff800000, v5
	v_cndmask_b32_e64 v4, v5, s3, vcc_lo
; %bb.16:
	s_or_b32 exec_lo, exec_lo, s9
.LBB514_17:
	s_delay_alu instid0(SALU_CYCLE_1)
	s_or_b32 exec_lo, exec_lo, s0
	s_add_u32 s10, s4, s10
	s_addc_u32 s11, s5, s11
	s_mov_b32 s0, 0
	global_store_b128 v6, v[1:4], s[10:11]
.LBB514_18:
	s_and_b32 vcc_lo, exec_lo, s0
	s_cbranch_vccz .LBB514_51
; %bb.19:
	v_cmp_gt_i32_e32 vcc_lo, s12, v0
	v_dual_mov_b32 v8, 0 :: v_dual_mov_b32 v1, v0
	v_or_b32_e32 v5, s8, v0
	v_or_b32_e32 v7, 0x100, v0
	v_mov_b32_e32 v10, 0
	s_and_saveexec_b32 s9, vcc_lo
	s_cbranch_execz .LBB514_21
; %bb.20:
	v_mov_b32_e32 v6, 0
	s_delay_alu instid0(VALU_DEP_1) | instskip(NEXT) | instid1(VALU_DEP_1)
	v_lshlrev_b64 v[1:2], 2, v[5:6]
	v_add_co_u32 v1, s0, s6, v1
	s_delay_alu instid0(VALU_DEP_1)
	v_add_co_ci_u32_e64 v2, s0, s7, v2, s0
	global_load_b32 v10, v[1:2], off
	v_or_b32_e32 v1, 0x100, v0
.LBB514_21:
	s_or_b32 exec_lo, exec_lo, s9
	s_delay_alu instid0(SALU_CYCLE_1) | instskip(NEXT) | instid1(VALU_DEP_1)
	s_mov_b32 s9, exec_lo
	v_cmpx_gt_i32_e64 s12, v1
	s_cbranch_execz .LBB514_23
; %bb.22:
	v_dual_mov_b32 v3, 0 :: v_dual_add_nc_u32 v2, s8, v1
	v_add_nc_u32_e32 v1, 0x100, v1
	s_delay_alu instid0(VALU_DEP_2) | instskip(NEXT) | instid1(VALU_DEP_1)
	v_lshlrev_b64 v[2:3], 2, v[2:3]
	v_add_co_u32 v2, s0, s6, v2
	s_delay_alu instid0(VALU_DEP_1)
	v_add_co_ci_u32_e64 v3, s0, s7, v3, s0
	global_load_b32 v8, v[2:3], off
.LBB514_23:
	s_or_b32 exec_lo, exec_lo, s9
	v_dual_mov_b32 v6, 0 :: v_dual_mov_b32 v9, 0
	s_mov_b32 s9, exec_lo
	v_cmpx_gt_i32_e64 s12, v1
	s_cbranch_execnz .LBB514_27
; %bb.24:
	s_or_b32 exec_lo, exec_lo, s9
	s_delay_alu instid0(SALU_CYCLE_1)
	s_mov_b32 s9, exec_lo
	v_cmpx_gt_i32_e64 s12, v1
	s_cbranch_execnz .LBB514_28
.LBB514_25:
	s_or_b32 exec_lo, exec_lo, s9
                                        ; implicit-def: $vgpr1_vgpr2_vgpr3_vgpr4
	s_and_saveexec_b32 s6, vcc_lo
	s_cbranch_execnz .LBB514_29
.LBB514_26:
	s_or_b32 exec_lo, exec_lo, s6
	s_delay_alu instid0(SALU_CYCLE_1)
	s_mov_b32 s6, exec_lo
	v_cmpx_gt_i32_e64 s12, v7
	s_cbranch_execnz .LBB514_34
	s_branch .LBB514_39
.LBB514_27:
	v_dual_mov_b32 v3, 0 :: v_dual_add_nc_u32 v2, s8, v1
	v_add_nc_u32_e32 v1, 0x100, v1
	s_delay_alu instid0(VALU_DEP_2) | instskip(NEXT) | instid1(VALU_DEP_1)
	v_lshlrev_b64 v[2:3], 2, v[2:3]
	v_add_co_u32 v2, s0, s6, v2
	s_delay_alu instid0(VALU_DEP_1) | instskip(SKIP_2) | instid1(SALU_CYCLE_1)
	v_add_co_ci_u32_e64 v3, s0, s7, v3, s0
	global_load_b32 v9, v[2:3], off
	s_or_b32 exec_lo, exec_lo, s9
	s_mov_b32 s9, exec_lo
	v_cmpx_gt_i32_e64 s12, v1
	s_cbranch_execz .LBB514_25
.LBB514_28:
	v_dual_mov_b32 v2, 0 :: v_dual_add_nc_u32 v1, s8, v1
	s_delay_alu instid0(VALU_DEP_1) | instskip(NEXT) | instid1(VALU_DEP_1)
	v_lshlrev_b64 v[1:2], 2, v[1:2]
	v_add_co_u32 v1, s0, s6, v1
	s_delay_alu instid0(VALU_DEP_1)
	v_add_co_ci_u32_e64 v2, s0, s7, v2, s0
	global_load_b32 v6, v[1:2], off
	s_or_b32 exec_lo, exec_lo, s9
                                        ; implicit-def: $vgpr1_vgpr2_vgpr3_vgpr4
	s_and_saveexec_b32 s6, vcc_lo
	s_cbranch_execz .LBB514_26
.LBB514_29:
	v_mov_b32_e32 v1, s1
	s_mov_b32 s7, exec_lo
	s_waitcnt vmcnt(0)
	v_cmpx_o_f32_e32 v10, v10
	s_cbranch_execz .LBB514_33
; %bb.30:
	v_mov_b32_e32 v1, s2
	s_mov_b32 s9, exec_lo
	v_cmpx_neq_f32_e32 0x7f800000, v10
; %bb.31:
	v_cmp_eq_f32_e64 s0, 0xff800000, v10
	s_delay_alu instid0(VALU_DEP_1)
	v_cndmask_b32_e64 v1, v10, s3, s0
; %bb.32:
	s_or_b32 exec_lo, exec_lo, s9
.LBB514_33:
	s_delay_alu instid0(SALU_CYCLE_1) | instskip(NEXT) | instid1(SALU_CYCLE_1)
	s_or_b32 exec_lo, exec_lo, s7
	s_or_b32 exec_lo, exec_lo, s6
	s_delay_alu instid0(SALU_CYCLE_1)
	s_mov_b32 s6, exec_lo
	v_cmpx_gt_i32_e64 s12, v7
	s_cbranch_execz .LBB514_39
.LBB514_34:
	v_mov_b32_e32 v2, s1
	s_mov_b32 s7, exec_lo
	s_waitcnt vmcnt(0)
	v_cmpx_o_f32_e32 v8, v8
	s_cbranch_execz .LBB514_38
; %bb.35:
	v_mov_b32_e32 v2, s2
	s_mov_b32 s9, exec_lo
	v_cmpx_neq_f32_e32 0x7f800000, v8
; %bb.36:
	v_cmp_eq_f32_e64 s0, 0xff800000, v8
	s_delay_alu instid0(VALU_DEP_1)
	v_cndmask_b32_e64 v2, v8, s3, s0
; %bb.37:
	s_or_b32 exec_lo, exec_lo, s9
.LBB514_38:
	s_delay_alu instid0(SALU_CYCLE_1)
	s_or_b32 exec_lo, exec_lo, s7
.LBB514_39:
	s_delay_alu instid0(SALU_CYCLE_1) | instskip(SKIP_3) | instid1(VALU_DEP_1)
	s_or_b32 exec_lo, exec_lo, s6
	s_waitcnt vmcnt(0)
	v_or_b32_e32 v8, 0x200, v0
	s_mov_b32 s6, exec_lo
	v_cmpx_gt_i32_e64 s12, v8
	s_cbranch_execz .LBB514_45
; %bb.40:
	v_mov_b32_e32 v3, s1
	s_mov_b32 s7, exec_lo
	v_cmpx_o_f32_e32 v9, v9
	s_cbranch_execz .LBB514_44
; %bb.41:
	v_mov_b32_e32 v3, s2
	s_mov_b32 s9, exec_lo
	v_cmpx_neq_f32_e32 0x7f800000, v9
; %bb.42:
	v_cmp_eq_f32_e64 s0, 0xff800000, v9
	s_delay_alu instid0(VALU_DEP_1)
	v_cndmask_b32_e64 v3, v9, s3, s0
; %bb.43:
	s_or_b32 exec_lo, exec_lo, s9
.LBB514_44:
	s_delay_alu instid0(SALU_CYCLE_1)
	s_or_b32 exec_lo, exec_lo, s7
.LBB514_45:
	s_delay_alu instid0(SALU_CYCLE_1) | instskip(SKIP_2) | instid1(VALU_DEP_1)
	s_or_b32 exec_lo, exec_lo, s6
	v_or_b32_e32 v8, 0x300, v0
	s_mov_b32 s6, exec_lo
	v_cmpx_gt_i32_e64 s12, v8
	s_cbranch_execnz .LBB514_52
; %bb.46:
	s_or_b32 exec_lo, exec_lo, s6
	s_and_saveexec_b32 s0, vcc_lo
	s_delay_alu instid0(SALU_CYCLE_1)
	s_xor_b32 s0, exec_lo, s0
	s_cbranch_execnz .LBB514_57
.LBB514_47:
	s_or_b32 exec_lo, exec_lo, s0
	s_delay_alu instid0(SALU_CYCLE_1)
	s_mov_b32 s0, exec_lo
	v_cmpx_gt_i32_e64 s12, v0
	s_cbranch_execnz .LBB514_58
.LBB514_48:
	s_or_b32 exec_lo, exec_lo, s0
	s_delay_alu instid0(SALU_CYCLE_1)
	s_mov_b32 s0, exec_lo
	v_cmpx_gt_i32_e64 s12, v0
	s_cbranch_execnz .LBB514_59
.LBB514_49:
	s_or_b32 exec_lo, exec_lo, s0
	s_delay_alu instid0(SALU_CYCLE_1)
	s_mov_b32 s0, exec_lo
	v_cmpx_gt_i32_e64 s12, v0
	s_cbranch_execz .LBB514_51
.LBB514_50:
	v_dual_mov_b32 v1, 0 :: v_dual_add_nc_u32 v0, s8, v0
	s_delay_alu instid0(VALU_DEP_1) | instskip(NEXT) | instid1(VALU_DEP_1)
	v_lshlrev_b64 v[0:1], 2, v[0:1]
	v_add_co_u32 v0, vcc_lo, s4, v0
	s_delay_alu instid0(VALU_DEP_2)
	v_add_co_ci_u32_e32 v1, vcc_lo, s5, v1, vcc_lo
	global_store_b32 v[0:1], v4, off
.LBB514_51:
	s_nop 0
	s_sendmsg sendmsg(MSG_DEALLOC_VGPRS)
	s_endpgm
.LBB514_52:
	v_mov_b32_e32 v4, s1
	s_mov_b32 s1, exec_lo
	v_cmpx_o_f32_e32 v6, v6
	s_cbranch_execz .LBB514_56
; %bb.53:
	v_mov_b32_e32 v4, s2
	s_mov_b32 s2, exec_lo
	v_cmpx_neq_f32_e32 0x7f800000, v6
; %bb.54:
	v_cmp_eq_f32_e64 s0, 0xff800000, v6
	s_delay_alu instid0(VALU_DEP_1)
	v_cndmask_b32_e64 v4, v6, s3, s0
; %bb.55:
	s_or_b32 exec_lo, exec_lo, s2
.LBB514_56:
	s_delay_alu instid0(SALU_CYCLE_1) | instskip(NEXT) | instid1(SALU_CYCLE_1)
	s_or_b32 exec_lo, exec_lo, s1
	s_or_b32 exec_lo, exec_lo, s6
	s_and_saveexec_b32 s0, vcc_lo
	s_delay_alu instid0(SALU_CYCLE_1)
	s_xor_b32 s0, exec_lo, s0
	s_cbranch_execz .LBB514_47
.LBB514_57:
	v_mov_b32_e32 v6, 0
	v_mov_b32_e32 v0, v7
	s_delay_alu instid0(VALU_DEP_2) | instskip(NEXT) | instid1(VALU_DEP_1)
	v_lshlrev_b64 v[5:6], 2, v[5:6]
	v_add_co_u32 v5, vcc_lo, s4, v5
	s_delay_alu instid0(VALU_DEP_2) | instskip(SKIP_2) | instid1(SALU_CYCLE_1)
	v_add_co_ci_u32_e32 v6, vcc_lo, s5, v6, vcc_lo
	global_store_b32 v[5:6], v1, off
	s_or_b32 exec_lo, exec_lo, s0
	s_mov_b32 s0, exec_lo
	v_cmpx_gt_i32_e64 s12, v0
	s_cbranch_execz .LBB514_48
.LBB514_58:
	v_dual_mov_b32 v6, 0 :: v_dual_add_nc_u32 v5, s8, v0
	v_add_nc_u32_e32 v0, 0x100, v0
	s_delay_alu instid0(VALU_DEP_2) | instskip(NEXT) | instid1(VALU_DEP_1)
	v_lshlrev_b64 v[5:6], 2, v[5:6]
	v_add_co_u32 v5, vcc_lo, s4, v5
	s_delay_alu instid0(VALU_DEP_2) | instskip(SKIP_2) | instid1(SALU_CYCLE_1)
	v_add_co_ci_u32_e32 v6, vcc_lo, s5, v6, vcc_lo
	global_store_b32 v[5:6], v2, off
	s_or_b32 exec_lo, exec_lo, s0
	s_mov_b32 s0, exec_lo
	v_cmpx_gt_i32_e64 s12, v0
	s_cbranch_execz .LBB514_49
.LBB514_59:
	v_dual_mov_b32 v2, 0 :: v_dual_add_nc_u32 v1, s8, v0
	v_add_nc_u32_e32 v0, 0x100, v0
	s_delay_alu instid0(VALU_DEP_2) | instskip(NEXT) | instid1(VALU_DEP_1)
	v_lshlrev_b64 v[1:2], 2, v[1:2]
	v_add_co_u32 v1, vcc_lo, s4, v1
	s_delay_alu instid0(VALU_DEP_2) | instskip(SKIP_2) | instid1(SALU_CYCLE_1)
	v_add_co_ci_u32_e32 v2, vcc_lo, s5, v2, vcc_lo
	global_store_b32 v[1:2], v3, off
	s_or_b32 exec_lo, exec_lo, s0
	s_mov_b32 s0, exec_lo
	v_cmpx_gt_i32_e64 s12, v0
	s_cbranch_execnz .LBB514_50
	s_branch .LBB514_51
	.section	.rodata,"a",@progbits
	.p2align	6, 0x0
	.amdhsa_kernel _ZN2at6native29vectorized_elementwise_kernelILi16EZZZNS0_22nan_to_num_kernel_cudaERNS_18TensorIteratorBaseESt8optionalIdES5_S5_ENKUlvE0_clEvENKUlvE0_clEvEUlfE_St5arrayIPcLm2EEEEviT0_T1_
		.amdhsa_group_segment_fixed_size 0
		.amdhsa_private_segment_fixed_size 0
		.amdhsa_kernarg_size 32
		.amdhsa_user_sgpr_count 15
		.amdhsa_user_sgpr_dispatch_ptr 0
		.amdhsa_user_sgpr_queue_ptr 0
		.amdhsa_user_sgpr_kernarg_segment_ptr 1
		.amdhsa_user_sgpr_dispatch_id 0
		.amdhsa_user_sgpr_private_segment_size 0
		.amdhsa_wavefront_size32 1
		.amdhsa_uses_dynamic_stack 0
		.amdhsa_enable_private_segment 0
		.amdhsa_system_sgpr_workgroup_id_x 1
		.amdhsa_system_sgpr_workgroup_id_y 0
		.amdhsa_system_sgpr_workgroup_id_z 0
		.amdhsa_system_sgpr_workgroup_info 0
		.amdhsa_system_vgpr_workitem_id 0
		.amdhsa_next_free_vgpr 11
		.amdhsa_next_free_sgpr 16
		.amdhsa_reserve_vcc 1
		.amdhsa_float_round_mode_32 0
		.amdhsa_float_round_mode_16_64 0
		.amdhsa_float_denorm_mode_32 3
		.amdhsa_float_denorm_mode_16_64 3
		.amdhsa_dx10_clamp 1
		.amdhsa_ieee_mode 1
		.amdhsa_fp16_overflow 0
		.amdhsa_workgroup_processor_mode 1
		.amdhsa_memory_ordered 1
		.amdhsa_forward_progress 0
		.amdhsa_shared_vgpr_count 0
		.amdhsa_exception_fp_ieee_invalid_op 0
		.amdhsa_exception_fp_denorm_src 0
		.amdhsa_exception_fp_ieee_div_zero 0
		.amdhsa_exception_fp_ieee_overflow 0
		.amdhsa_exception_fp_ieee_underflow 0
		.amdhsa_exception_fp_ieee_inexact 0
		.amdhsa_exception_int_div_zero 0
	.end_amdhsa_kernel
	.section	.text._ZN2at6native29vectorized_elementwise_kernelILi16EZZZNS0_22nan_to_num_kernel_cudaERNS_18TensorIteratorBaseESt8optionalIdES5_S5_ENKUlvE0_clEvENKUlvE0_clEvEUlfE_St5arrayIPcLm2EEEEviT0_T1_,"axG",@progbits,_ZN2at6native29vectorized_elementwise_kernelILi16EZZZNS0_22nan_to_num_kernel_cudaERNS_18TensorIteratorBaseESt8optionalIdES5_S5_ENKUlvE0_clEvENKUlvE0_clEvEUlfE_St5arrayIPcLm2EEEEviT0_T1_,comdat
.Lfunc_end514:
	.size	_ZN2at6native29vectorized_elementwise_kernelILi16EZZZNS0_22nan_to_num_kernel_cudaERNS_18TensorIteratorBaseESt8optionalIdES5_S5_ENKUlvE0_clEvENKUlvE0_clEvEUlfE_St5arrayIPcLm2EEEEviT0_T1_, .Lfunc_end514-_ZN2at6native29vectorized_elementwise_kernelILi16EZZZNS0_22nan_to_num_kernel_cudaERNS_18TensorIteratorBaseESt8optionalIdES5_S5_ENKUlvE0_clEvENKUlvE0_clEvEUlfE_St5arrayIPcLm2EEEEviT0_T1_
                                        ; -- End function
	.section	.AMDGPU.csdata,"",@progbits
; Kernel info:
; codeLenInByte = 1480
; NumSgprs: 18
; NumVgprs: 11
; ScratchSize: 0
; MemoryBound: 0
; FloatMode: 240
; IeeeMode: 1
; LDSByteSize: 0 bytes/workgroup (compile time only)
; SGPRBlocks: 2
; VGPRBlocks: 1
; NumSGPRsForWavesPerEU: 18
; NumVGPRsForWavesPerEU: 11
; Occupancy: 16
; WaveLimiterHint : 0
; COMPUTE_PGM_RSRC2:SCRATCH_EN: 0
; COMPUTE_PGM_RSRC2:USER_SGPR: 15
; COMPUTE_PGM_RSRC2:TRAP_HANDLER: 0
; COMPUTE_PGM_RSRC2:TGID_X_EN: 1
; COMPUTE_PGM_RSRC2:TGID_Y_EN: 0
; COMPUTE_PGM_RSRC2:TGID_Z_EN: 0
; COMPUTE_PGM_RSRC2:TIDIG_COMP_CNT: 0
	.section	.text._ZN2at6native29vectorized_elementwise_kernelILi8EZZZNS0_22nan_to_num_kernel_cudaERNS_18TensorIteratorBaseESt8optionalIdES5_S5_ENKUlvE0_clEvENKUlvE0_clEvEUlfE_St5arrayIPcLm2EEEEviT0_T1_,"axG",@progbits,_ZN2at6native29vectorized_elementwise_kernelILi8EZZZNS0_22nan_to_num_kernel_cudaERNS_18TensorIteratorBaseESt8optionalIdES5_S5_ENKUlvE0_clEvENKUlvE0_clEvEUlfE_St5arrayIPcLm2EEEEviT0_T1_,comdat
	.globl	_ZN2at6native29vectorized_elementwise_kernelILi8EZZZNS0_22nan_to_num_kernel_cudaERNS_18TensorIteratorBaseESt8optionalIdES5_S5_ENKUlvE0_clEvENKUlvE0_clEvEUlfE_St5arrayIPcLm2EEEEviT0_T1_ ; -- Begin function _ZN2at6native29vectorized_elementwise_kernelILi8EZZZNS0_22nan_to_num_kernel_cudaERNS_18TensorIteratorBaseESt8optionalIdES5_S5_ENKUlvE0_clEvENKUlvE0_clEvEUlfE_St5arrayIPcLm2EEEEviT0_T1_
	.p2align	8
	.type	_ZN2at6native29vectorized_elementwise_kernelILi8EZZZNS0_22nan_to_num_kernel_cudaERNS_18TensorIteratorBaseESt8optionalIdES5_S5_ENKUlvE0_clEvENKUlvE0_clEvEUlfE_St5arrayIPcLm2EEEEviT0_T1_,@function
_ZN2at6native29vectorized_elementwise_kernelILi8EZZZNS0_22nan_to_num_kernel_cudaERNS_18TensorIteratorBaseESt8optionalIdES5_S5_ENKUlvE0_clEvENKUlvE0_clEvEUlfE_St5arrayIPcLm2EEEEviT0_T1_: ; @_ZN2at6native29vectorized_elementwise_kernelILi8EZZZNS0_22nan_to_num_kernel_cudaERNS_18TensorIteratorBaseESt8optionalIdES5_S5_ENKUlvE0_clEvENKUlvE0_clEvEUlfE_St5arrayIPcLm2EEEEviT0_T1_
; %bb.0:
	s_load_b256 s[0:7], s[0:1], 0x0
	s_lshl_b32 s8, s15, 10
	s_waitcnt lgkmcnt(0)
	s_sub_i32 s12, s0, s8
	s_mov_b32 s0, -1
	s_cmpk_gt_i32 s12, 0x3ff
	s_cbranch_scc0 .LBB515_18
; %bb.1:
	s_ashr_i32 s9, s8, 31
	v_dual_mov_b32 v1, s1 :: v_dual_lshlrev_b32 v6, 4, v0
	s_lshl_b64 s[10:11], s[8:9], 2
	s_mov_b32 s0, exec_lo
	s_add_u32 s14, s6, s10
	s_addc_u32 s15, s7, s11
	global_load_b128 v[2:5], v6, s[14:15]
	s_waitcnt vmcnt(0)
	v_cmpx_o_f32_e32 v2, v2
	s_cbranch_execz .LBB515_5
; %bb.2:
	v_mov_b32_e32 v1, s2
	s_mov_b32 s9, exec_lo
	v_cmpx_neq_f32_e32 0x7f800000, v2
; %bb.3:
	v_cmp_eq_f32_e32 vcc_lo, 0xff800000, v2
	v_cndmask_b32_e64 v1, v2, s3, vcc_lo
; %bb.4:
	s_or_b32 exec_lo, exec_lo, s9
.LBB515_5:
	s_delay_alu instid0(SALU_CYCLE_1)
	s_or_b32 exec_lo, exec_lo, s0
	v_mov_b32_e32 v2, s1
	s_mov_b32 s0, exec_lo
	v_cmpx_o_f32_e32 v3, v3
	s_cbranch_execz .LBB515_9
; %bb.6:
	v_mov_b32_e32 v2, s2
	s_mov_b32 s9, exec_lo
	v_cmpx_neq_f32_e32 0x7f800000, v3
; %bb.7:
	v_cmp_eq_f32_e32 vcc_lo, 0xff800000, v3
	v_cndmask_b32_e64 v2, v3, s3, vcc_lo
; %bb.8:
	s_or_b32 exec_lo, exec_lo, s9
.LBB515_9:
	s_delay_alu instid0(SALU_CYCLE_1)
	s_or_b32 exec_lo, exec_lo, s0
	v_mov_b32_e32 v3, s1
	s_mov_b32 s0, exec_lo
	v_cmpx_o_f32_e32 v4, v4
	s_cbranch_execz .LBB515_13
; %bb.10:
	v_mov_b32_e32 v3, s2
	s_mov_b32 s9, exec_lo
	v_cmpx_neq_f32_e32 0x7f800000, v4
; %bb.11:
	v_cmp_eq_f32_e32 vcc_lo, 0xff800000, v4
	v_cndmask_b32_e64 v3, v4, s3, vcc_lo
; %bb.12:
	s_or_b32 exec_lo, exec_lo, s9
.LBB515_13:
	s_delay_alu instid0(SALU_CYCLE_1)
	s_or_b32 exec_lo, exec_lo, s0
	v_mov_b32_e32 v4, s1
	s_mov_b32 s0, exec_lo
	v_cmpx_o_f32_e32 v5, v5
	s_cbranch_execz .LBB515_17
; %bb.14:
	v_mov_b32_e32 v4, s2
	s_mov_b32 s9, exec_lo
	v_cmpx_neq_f32_e32 0x7f800000, v5
; %bb.15:
	v_cmp_eq_f32_e32 vcc_lo, 0xff800000, v5
	v_cndmask_b32_e64 v4, v5, s3, vcc_lo
; %bb.16:
	s_or_b32 exec_lo, exec_lo, s9
.LBB515_17:
	s_delay_alu instid0(SALU_CYCLE_1)
	s_or_b32 exec_lo, exec_lo, s0
	s_add_u32 s10, s4, s10
	s_addc_u32 s11, s5, s11
	s_mov_b32 s0, 0
	global_store_b128 v6, v[1:4], s[10:11]
.LBB515_18:
	s_and_b32 vcc_lo, exec_lo, s0
	s_cbranch_vccz .LBB515_51
; %bb.19:
	v_cmp_gt_i32_e32 vcc_lo, s12, v0
	v_dual_mov_b32 v8, 0 :: v_dual_mov_b32 v1, v0
	v_or_b32_e32 v5, s8, v0
	v_or_b32_e32 v7, 0x100, v0
	v_mov_b32_e32 v10, 0
	s_and_saveexec_b32 s9, vcc_lo
	s_cbranch_execz .LBB515_21
; %bb.20:
	v_mov_b32_e32 v6, 0
	s_delay_alu instid0(VALU_DEP_1) | instskip(NEXT) | instid1(VALU_DEP_1)
	v_lshlrev_b64 v[1:2], 2, v[5:6]
	v_add_co_u32 v1, s0, s6, v1
	s_delay_alu instid0(VALU_DEP_1)
	v_add_co_ci_u32_e64 v2, s0, s7, v2, s0
	global_load_b32 v10, v[1:2], off
	v_or_b32_e32 v1, 0x100, v0
.LBB515_21:
	s_or_b32 exec_lo, exec_lo, s9
	s_delay_alu instid0(SALU_CYCLE_1) | instskip(NEXT) | instid1(VALU_DEP_1)
	s_mov_b32 s9, exec_lo
	v_cmpx_gt_i32_e64 s12, v1
	s_cbranch_execz .LBB515_23
; %bb.22:
	v_dual_mov_b32 v3, 0 :: v_dual_add_nc_u32 v2, s8, v1
	v_add_nc_u32_e32 v1, 0x100, v1
	s_delay_alu instid0(VALU_DEP_2) | instskip(NEXT) | instid1(VALU_DEP_1)
	v_lshlrev_b64 v[2:3], 2, v[2:3]
	v_add_co_u32 v2, s0, s6, v2
	s_delay_alu instid0(VALU_DEP_1)
	v_add_co_ci_u32_e64 v3, s0, s7, v3, s0
	global_load_b32 v8, v[2:3], off
.LBB515_23:
	s_or_b32 exec_lo, exec_lo, s9
	v_dual_mov_b32 v6, 0 :: v_dual_mov_b32 v9, 0
	s_mov_b32 s9, exec_lo
	v_cmpx_gt_i32_e64 s12, v1
	s_cbranch_execnz .LBB515_27
; %bb.24:
	s_or_b32 exec_lo, exec_lo, s9
	s_delay_alu instid0(SALU_CYCLE_1)
	s_mov_b32 s9, exec_lo
	v_cmpx_gt_i32_e64 s12, v1
	s_cbranch_execnz .LBB515_28
.LBB515_25:
	s_or_b32 exec_lo, exec_lo, s9
                                        ; implicit-def: $vgpr1_vgpr2_vgpr3_vgpr4
	s_and_saveexec_b32 s6, vcc_lo
	s_cbranch_execnz .LBB515_29
.LBB515_26:
	s_or_b32 exec_lo, exec_lo, s6
	s_delay_alu instid0(SALU_CYCLE_1)
	s_mov_b32 s6, exec_lo
	v_cmpx_gt_i32_e64 s12, v7
	s_cbranch_execnz .LBB515_34
	s_branch .LBB515_39
.LBB515_27:
	v_dual_mov_b32 v3, 0 :: v_dual_add_nc_u32 v2, s8, v1
	v_add_nc_u32_e32 v1, 0x100, v1
	s_delay_alu instid0(VALU_DEP_2) | instskip(NEXT) | instid1(VALU_DEP_1)
	v_lshlrev_b64 v[2:3], 2, v[2:3]
	v_add_co_u32 v2, s0, s6, v2
	s_delay_alu instid0(VALU_DEP_1) | instskip(SKIP_2) | instid1(SALU_CYCLE_1)
	v_add_co_ci_u32_e64 v3, s0, s7, v3, s0
	global_load_b32 v9, v[2:3], off
	s_or_b32 exec_lo, exec_lo, s9
	s_mov_b32 s9, exec_lo
	v_cmpx_gt_i32_e64 s12, v1
	s_cbranch_execz .LBB515_25
.LBB515_28:
	v_dual_mov_b32 v2, 0 :: v_dual_add_nc_u32 v1, s8, v1
	s_delay_alu instid0(VALU_DEP_1) | instskip(NEXT) | instid1(VALU_DEP_1)
	v_lshlrev_b64 v[1:2], 2, v[1:2]
	v_add_co_u32 v1, s0, s6, v1
	s_delay_alu instid0(VALU_DEP_1)
	v_add_co_ci_u32_e64 v2, s0, s7, v2, s0
	global_load_b32 v6, v[1:2], off
	s_or_b32 exec_lo, exec_lo, s9
                                        ; implicit-def: $vgpr1_vgpr2_vgpr3_vgpr4
	s_and_saveexec_b32 s6, vcc_lo
	s_cbranch_execz .LBB515_26
.LBB515_29:
	v_mov_b32_e32 v1, s1
	s_mov_b32 s7, exec_lo
	s_waitcnt vmcnt(0)
	v_cmpx_o_f32_e32 v10, v10
	s_cbranch_execz .LBB515_33
; %bb.30:
	v_mov_b32_e32 v1, s2
	s_mov_b32 s9, exec_lo
	v_cmpx_neq_f32_e32 0x7f800000, v10
; %bb.31:
	v_cmp_eq_f32_e64 s0, 0xff800000, v10
	s_delay_alu instid0(VALU_DEP_1)
	v_cndmask_b32_e64 v1, v10, s3, s0
; %bb.32:
	s_or_b32 exec_lo, exec_lo, s9
.LBB515_33:
	s_delay_alu instid0(SALU_CYCLE_1) | instskip(NEXT) | instid1(SALU_CYCLE_1)
	s_or_b32 exec_lo, exec_lo, s7
	s_or_b32 exec_lo, exec_lo, s6
	s_delay_alu instid0(SALU_CYCLE_1)
	s_mov_b32 s6, exec_lo
	v_cmpx_gt_i32_e64 s12, v7
	s_cbranch_execz .LBB515_39
.LBB515_34:
	v_mov_b32_e32 v2, s1
	s_mov_b32 s7, exec_lo
	s_waitcnt vmcnt(0)
	v_cmpx_o_f32_e32 v8, v8
	s_cbranch_execz .LBB515_38
; %bb.35:
	v_mov_b32_e32 v2, s2
	s_mov_b32 s9, exec_lo
	v_cmpx_neq_f32_e32 0x7f800000, v8
; %bb.36:
	v_cmp_eq_f32_e64 s0, 0xff800000, v8
	s_delay_alu instid0(VALU_DEP_1)
	v_cndmask_b32_e64 v2, v8, s3, s0
; %bb.37:
	s_or_b32 exec_lo, exec_lo, s9
.LBB515_38:
	s_delay_alu instid0(SALU_CYCLE_1)
	s_or_b32 exec_lo, exec_lo, s7
.LBB515_39:
	s_delay_alu instid0(SALU_CYCLE_1) | instskip(SKIP_3) | instid1(VALU_DEP_1)
	s_or_b32 exec_lo, exec_lo, s6
	s_waitcnt vmcnt(0)
	v_or_b32_e32 v8, 0x200, v0
	s_mov_b32 s6, exec_lo
	v_cmpx_gt_i32_e64 s12, v8
	s_cbranch_execz .LBB515_45
; %bb.40:
	v_mov_b32_e32 v3, s1
	s_mov_b32 s7, exec_lo
	v_cmpx_o_f32_e32 v9, v9
	s_cbranch_execz .LBB515_44
; %bb.41:
	v_mov_b32_e32 v3, s2
	s_mov_b32 s9, exec_lo
	v_cmpx_neq_f32_e32 0x7f800000, v9
; %bb.42:
	v_cmp_eq_f32_e64 s0, 0xff800000, v9
	s_delay_alu instid0(VALU_DEP_1)
	v_cndmask_b32_e64 v3, v9, s3, s0
; %bb.43:
	s_or_b32 exec_lo, exec_lo, s9
.LBB515_44:
	s_delay_alu instid0(SALU_CYCLE_1)
	s_or_b32 exec_lo, exec_lo, s7
.LBB515_45:
	s_delay_alu instid0(SALU_CYCLE_1) | instskip(SKIP_2) | instid1(VALU_DEP_1)
	s_or_b32 exec_lo, exec_lo, s6
	v_or_b32_e32 v8, 0x300, v0
	s_mov_b32 s6, exec_lo
	v_cmpx_gt_i32_e64 s12, v8
	s_cbranch_execnz .LBB515_52
; %bb.46:
	s_or_b32 exec_lo, exec_lo, s6
	s_and_saveexec_b32 s0, vcc_lo
	s_delay_alu instid0(SALU_CYCLE_1)
	s_xor_b32 s0, exec_lo, s0
	s_cbranch_execnz .LBB515_57
.LBB515_47:
	s_or_b32 exec_lo, exec_lo, s0
	s_delay_alu instid0(SALU_CYCLE_1)
	s_mov_b32 s0, exec_lo
	v_cmpx_gt_i32_e64 s12, v0
	s_cbranch_execnz .LBB515_58
.LBB515_48:
	s_or_b32 exec_lo, exec_lo, s0
	s_delay_alu instid0(SALU_CYCLE_1)
	s_mov_b32 s0, exec_lo
	v_cmpx_gt_i32_e64 s12, v0
	s_cbranch_execnz .LBB515_59
.LBB515_49:
	s_or_b32 exec_lo, exec_lo, s0
	s_delay_alu instid0(SALU_CYCLE_1)
	s_mov_b32 s0, exec_lo
	v_cmpx_gt_i32_e64 s12, v0
	s_cbranch_execz .LBB515_51
.LBB515_50:
	v_dual_mov_b32 v1, 0 :: v_dual_add_nc_u32 v0, s8, v0
	s_delay_alu instid0(VALU_DEP_1) | instskip(NEXT) | instid1(VALU_DEP_1)
	v_lshlrev_b64 v[0:1], 2, v[0:1]
	v_add_co_u32 v0, vcc_lo, s4, v0
	s_delay_alu instid0(VALU_DEP_2)
	v_add_co_ci_u32_e32 v1, vcc_lo, s5, v1, vcc_lo
	global_store_b32 v[0:1], v4, off
.LBB515_51:
	s_nop 0
	s_sendmsg sendmsg(MSG_DEALLOC_VGPRS)
	s_endpgm
.LBB515_52:
	v_mov_b32_e32 v4, s1
	s_mov_b32 s1, exec_lo
	v_cmpx_o_f32_e32 v6, v6
	s_cbranch_execz .LBB515_56
; %bb.53:
	v_mov_b32_e32 v4, s2
	s_mov_b32 s2, exec_lo
	v_cmpx_neq_f32_e32 0x7f800000, v6
; %bb.54:
	v_cmp_eq_f32_e64 s0, 0xff800000, v6
	s_delay_alu instid0(VALU_DEP_1)
	v_cndmask_b32_e64 v4, v6, s3, s0
; %bb.55:
	s_or_b32 exec_lo, exec_lo, s2
.LBB515_56:
	s_delay_alu instid0(SALU_CYCLE_1) | instskip(NEXT) | instid1(SALU_CYCLE_1)
	s_or_b32 exec_lo, exec_lo, s1
	s_or_b32 exec_lo, exec_lo, s6
	s_and_saveexec_b32 s0, vcc_lo
	s_delay_alu instid0(SALU_CYCLE_1)
	s_xor_b32 s0, exec_lo, s0
	s_cbranch_execz .LBB515_47
.LBB515_57:
	v_mov_b32_e32 v6, 0
	v_mov_b32_e32 v0, v7
	s_delay_alu instid0(VALU_DEP_2) | instskip(NEXT) | instid1(VALU_DEP_1)
	v_lshlrev_b64 v[5:6], 2, v[5:6]
	v_add_co_u32 v5, vcc_lo, s4, v5
	s_delay_alu instid0(VALU_DEP_2) | instskip(SKIP_2) | instid1(SALU_CYCLE_1)
	v_add_co_ci_u32_e32 v6, vcc_lo, s5, v6, vcc_lo
	global_store_b32 v[5:6], v1, off
	s_or_b32 exec_lo, exec_lo, s0
	s_mov_b32 s0, exec_lo
	v_cmpx_gt_i32_e64 s12, v0
	s_cbranch_execz .LBB515_48
.LBB515_58:
	v_dual_mov_b32 v6, 0 :: v_dual_add_nc_u32 v5, s8, v0
	v_add_nc_u32_e32 v0, 0x100, v0
	s_delay_alu instid0(VALU_DEP_2) | instskip(NEXT) | instid1(VALU_DEP_1)
	v_lshlrev_b64 v[5:6], 2, v[5:6]
	v_add_co_u32 v5, vcc_lo, s4, v5
	s_delay_alu instid0(VALU_DEP_2) | instskip(SKIP_2) | instid1(SALU_CYCLE_1)
	v_add_co_ci_u32_e32 v6, vcc_lo, s5, v6, vcc_lo
	global_store_b32 v[5:6], v2, off
	s_or_b32 exec_lo, exec_lo, s0
	s_mov_b32 s0, exec_lo
	v_cmpx_gt_i32_e64 s12, v0
	s_cbranch_execz .LBB515_49
.LBB515_59:
	v_dual_mov_b32 v2, 0 :: v_dual_add_nc_u32 v1, s8, v0
	v_add_nc_u32_e32 v0, 0x100, v0
	s_delay_alu instid0(VALU_DEP_2) | instskip(NEXT) | instid1(VALU_DEP_1)
	v_lshlrev_b64 v[1:2], 2, v[1:2]
	v_add_co_u32 v1, vcc_lo, s4, v1
	s_delay_alu instid0(VALU_DEP_2) | instskip(SKIP_2) | instid1(SALU_CYCLE_1)
	v_add_co_ci_u32_e32 v2, vcc_lo, s5, v2, vcc_lo
	global_store_b32 v[1:2], v3, off
	s_or_b32 exec_lo, exec_lo, s0
	s_mov_b32 s0, exec_lo
	v_cmpx_gt_i32_e64 s12, v0
	s_cbranch_execnz .LBB515_50
	s_branch .LBB515_51
	.section	.rodata,"a",@progbits
	.p2align	6, 0x0
	.amdhsa_kernel _ZN2at6native29vectorized_elementwise_kernelILi8EZZZNS0_22nan_to_num_kernel_cudaERNS_18TensorIteratorBaseESt8optionalIdES5_S5_ENKUlvE0_clEvENKUlvE0_clEvEUlfE_St5arrayIPcLm2EEEEviT0_T1_
		.amdhsa_group_segment_fixed_size 0
		.amdhsa_private_segment_fixed_size 0
		.amdhsa_kernarg_size 32
		.amdhsa_user_sgpr_count 15
		.amdhsa_user_sgpr_dispatch_ptr 0
		.amdhsa_user_sgpr_queue_ptr 0
		.amdhsa_user_sgpr_kernarg_segment_ptr 1
		.amdhsa_user_sgpr_dispatch_id 0
		.amdhsa_user_sgpr_private_segment_size 0
		.amdhsa_wavefront_size32 1
		.amdhsa_uses_dynamic_stack 0
		.amdhsa_enable_private_segment 0
		.amdhsa_system_sgpr_workgroup_id_x 1
		.amdhsa_system_sgpr_workgroup_id_y 0
		.amdhsa_system_sgpr_workgroup_id_z 0
		.amdhsa_system_sgpr_workgroup_info 0
		.amdhsa_system_vgpr_workitem_id 0
		.amdhsa_next_free_vgpr 11
		.amdhsa_next_free_sgpr 16
		.amdhsa_reserve_vcc 1
		.amdhsa_float_round_mode_32 0
		.amdhsa_float_round_mode_16_64 0
		.amdhsa_float_denorm_mode_32 3
		.amdhsa_float_denorm_mode_16_64 3
		.amdhsa_dx10_clamp 1
		.amdhsa_ieee_mode 1
		.amdhsa_fp16_overflow 0
		.amdhsa_workgroup_processor_mode 1
		.amdhsa_memory_ordered 1
		.amdhsa_forward_progress 0
		.amdhsa_shared_vgpr_count 0
		.amdhsa_exception_fp_ieee_invalid_op 0
		.amdhsa_exception_fp_denorm_src 0
		.amdhsa_exception_fp_ieee_div_zero 0
		.amdhsa_exception_fp_ieee_overflow 0
		.amdhsa_exception_fp_ieee_underflow 0
		.amdhsa_exception_fp_ieee_inexact 0
		.amdhsa_exception_int_div_zero 0
	.end_amdhsa_kernel
	.section	.text._ZN2at6native29vectorized_elementwise_kernelILi8EZZZNS0_22nan_to_num_kernel_cudaERNS_18TensorIteratorBaseESt8optionalIdES5_S5_ENKUlvE0_clEvENKUlvE0_clEvEUlfE_St5arrayIPcLm2EEEEviT0_T1_,"axG",@progbits,_ZN2at6native29vectorized_elementwise_kernelILi8EZZZNS0_22nan_to_num_kernel_cudaERNS_18TensorIteratorBaseESt8optionalIdES5_S5_ENKUlvE0_clEvENKUlvE0_clEvEUlfE_St5arrayIPcLm2EEEEviT0_T1_,comdat
.Lfunc_end515:
	.size	_ZN2at6native29vectorized_elementwise_kernelILi8EZZZNS0_22nan_to_num_kernel_cudaERNS_18TensorIteratorBaseESt8optionalIdES5_S5_ENKUlvE0_clEvENKUlvE0_clEvEUlfE_St5arrayIPcLm2EEEEviT0_T1_, .Lfunc_end515-_ZN2at6native29vectorized_elementwise_kernelILi8EZZZNS0_22nan_to_num_kernel_cudaERNS_18TensorIteratorBaseESt8optionalIdES5_S5_ENKUlvE0_clEvENKUlvE0_clEvEUlfE_St5arrayIPcLm2EEEEviT0_T1_
                                        ; -- End function
	.section	.AMDGPU.csdata,"",@progbits
; Kernel info:
; codeLenInByte = 1480
; NumSgprs: 18
; NumVgprs: 11
; ScratchSize: 0
; MemoryBound: 0
; FloatMode: 240
; IeeeMode: 1
; LDSByteSize: 0 bytes/workgroup (compile time only)
; SGPRBlocks: 2
; VGPRBlocks: 1
; NumSGPRsForWavesPerEU: 18
; NumVGPRsForWavesPerEU: 11
; Occupancy: 16
; WaveLimiterHint : 0
; COMPUTE_PGM_RSRC2:SCRATCH_EN: 0
; COMPUTE_PGM_RSRC2:USER_SGPR: 15
; COMPUTE_PGM_RSRC2:TRAP_HANDLER: 0
; COMPUTE_PGM_RSRC2:TGID_X_EN: 1
; COMPUTE_PGM_RSRC2:TGID_Y_EN: 0
; COMPUTE_PGM_RSRC2:TGID_Z_EN: 0
; COMPUTE_PGM_RSRC2:TIDIG_COMP_CNT: 0
	.section	.text._ZN2at6native29vectorized_elementwise_kernelILi4EZZZNS0_22nan_to_num_kernel_cudaERNS_18TensorIteratorBaseESt8optionalIdES5_S5_ENKUlvE0_clEvENKUlvE0_clEvEUlfE_St5arrayIPcLm2EEEEviT0_T1_,"axG",@progbits,_ZN2at6native29vectorized_elementwise_kernelILi4EZZZNS0_22nan_to_num_kernel_cudaERNS_18TensorIteratorBaseESt8optionalIdES5_S5_ENKUlvE0_clEvENKUlvE0_clEvEUlfE_St5arrayIPcLm2EEEEviT0_T1_,comdat
	.globl	_ZN2at6native29vectorized_elementwise_kernelILi4EZZZNS0_22nan_to_num_kernel_cudaERNS_18TensorIteratorBaseESt8optionalIdES5_S5_ENKUlvE0_clEvENKUlvE0_clEvEUlfE_St5arrayIPcLm2EEEEviT0_T1_ ; -- Begin function _ZN2at6native29vectorized_elementwise_kernelILi4EZZZNS0_22nan_to_num_kernel_cudaERNS_18TensorIteratorBaseESt8optionalIdES5_S5_ENKUlvE0_clEvENKUlvE0_clEvEUlfE_St5arrayIPcLm2EEEEviT0_T1_
	.p2align	8
	.type	_ZN2at6native29vectorized_elementwise_kernelILi4EZZZNS0_22nan_to_num_kernel_cudaERNS_18TensorIteratorBaseESt8optionalIdES5_S5_ENKUlvE0_clEvENKUlvE0_clEvEUlfE_St5arrayIPcLm2EEEEviT0_T1_,@function
_ZN2at6native29vectorized_elementwise_kernelILi4EZZZNS0_22nan_to_num_kernel_cudaERNS_18TensorIteratorBaseESt8optionalIdES5_S5_ENKUlvE0_clEvENKUlvE0_clEvEUlfE_St5arrayIPcLm2EEEEviT0_T1_: ; @_ZN2at6native29vectorized_elementwise_kernelILi4EZZZNS0_22nan_to_num_kernel_cudaERNS_18TensorIteratorBaseESt8optionalIdES5_S5_ENKUlvE0_clEvENKUlvE0_clEvEUlfE_St5arrayIPcLm2EEEEviT0_T1_
; %bb.0:
	s_load_b256 s[0:7], s[0:1], 0x0
	s_lshl_b32 s8, s15, 10
	s_waitcnt lgkmcnt(0)
	s_sub_i32 s12, s0, s8
	s_mov_b32 s0, -1
	s_cmpk_gt_i32 s12, 0x3ff
	s_cbranch_scc0 .LBB516_18
; %bb.1:
	s_ashr_i32 s9, s8, 31
	v_dual_mov_b32 v1, s1 :: v_dual_lshlrev_b32 v6, 4, v0
	s_lshl_b64 s[10:11], s[8:9], 2
	s_mov_b32 s0, exec_lo
	s_add_u32 s14, s6, s10
	s_addc_u32 s15, s7, s11
	global_load_b128 v[2:5], v6, s[14:15]
	s_waitcnt vmcnt(0)
	v_cmpx_o_f32_e32 v2, v2
	s_cbranch_execz .LBB516_5
; %bb.2:
	v_mov_b32_e32 v1, s2
	s_mov_b32 s9, exec_lo
	v_cmpx_neq_f32_e32 0x7f800000, v2
; %bb.3:
	v_cmp_eq_f32_e32 vcc_lo, 0xff800000, v2
	v_cndmask_b32_e64 v1, v2, s3, vcc_lo
; %bb.4:
	s_or_b32 exec_lo, exec_lo, s9
.LBB516_5:
	s_delay_alu instid0(SALU_CYCLE_1)
	s_or_b32 exec_lo, exec_lo, s0
	v_mov_b32_e32 v2, s1
	s_mov_b32 s0, exec_lo
	v_cmpx_o_f32_e32 v3, v3
	s_cbranch_execz .LBB516_9
; %bb.6:
	v_mov_b32_e32 v2, s2
	s_mov_b32 s9, exec_lo
	v_cmpx_neq_f32_e32 0x7f800000, v3
; %bb.7:
	v_cmp_eq_f32_e32 vcc_lo, 0xff800000, v3
	v_cndmask_b32_e64 v2, v3, s3, vcc_lo
; %bb.8:
	s_or_b32 exec_lo, exec_lo, s9
.LBB516_9:
	s_delay_alu instid0(SALU_CYCLE_1)
	s_or_b32 exec_lo, exec_lo, s0
	v_mov_b32_e32 v3, s1
	s_mov_b32 s0, exec_lo
	v_cmpx_o_f32_e32 v4, v4
	s_cbranch_execz .LBB516_13
; %bb.10:
	v_mov_b32_e32 v3, s2
	s_mov_b32 s9, exec_lo
	v_cmpx_neq_f32_e32 0x7f800000, v4
; %bb.11:
	v_cmp_eq_f32_e32 vcc_lo, 0xff800000, v4
	v_cndmask_b32_e64 v3, v4, s3, vcc_lo
; %bb.12:
	s_or_b32 exec_lo, exec_lo, s9
.LBB516_13:
	s_delay_alu instid0(SALU_CYCLE_1)
	s_or_b32 exec_lo, exec_lo, s0
	v_mov_b32_e32 v4, s1
	s_mov_b32 s0, exec_lo
	v_cmpx_o_f32_e32 v5, v5
	s_cbranch_execz .LBB516_17
; %bb.14:
	v_mov_b32_e32 v4, s2
	s_mov_b32 s9, exec_lo
	v_cmpx_neq_f32_e32 0x7f800000, v5
; %bb.15:
	v_cmp_eq_f32_e32 vcc_lo, 0xff800000, v5
	v_cndmask_b32_e64 v4, v5, s3, vcc_lo
; %bb.16:
	s_or_b32 exec_lo, exec_lo, s9
.LBB516_17:
	s_delay_alu instid0(SALU_CYCLE_1)
	s_or_b32 exec_lo, exec_lo, s0
	s_add_u32 s10, s4, s10
	s_addc_u32 s11, s5, s11
	s_mov_b32 s0, 0
	global_store_b128 v6, v[1:4], s[10:11]
.LBB516_18:
	s_and_b32 vcc_lo, exec_lo, s0
	s_cbranch_vccz .LBB516_51
; %bb.19:
	v_cmp_gt_i32_e32 vcc_lo, s12, v0
	v_dual_mov_b32 v8, 0 :: v_dual_mov_b32 v1, v0
	v_or_b32_e32 v5, s8, v0
	v_or_b32_e32 v7, 0x100, v0
	v_mov_b32_e32 v10, 0
	s_and_saveexec_b32 s9, vcc_lo
	s_cbranch_execz .LBB516_21
; %bb.20:
	v_mov_b32_e32 v6, 0
	s_delay_alu instid0(VALU_DEP_1) | instskip(NEXT) | instid1(VALU_DEP_1)
	v_lshlrev_b64 v[1:2], 2, v[5:6]
	v_add_co_u32 v1, s0, s6, v1
	s_delay_alu instid0(VALU_DEP_1)
	v_add_co_ci_u32_e64 v2, s0, s7, v2, s0
	global_load_b32 v10, v[1:2], off
	v_or_b32_e32 v1, 0x100, v0
.LBB516_21:
	s_or_b32 exec_lo, exec_lo, s9
	s_delay_alu instid0(SALU_CYCLE_1) | instskip(NEXT) | instid1(VALU_DEP_1)
	s_mov_b32 s9, exec_lo
	v_cmpx_gt_i32_e64 s12, v1
	s_cbranch_execz .LBB516_23
; %bb.22:
	v_dual_mov_b32 v3, 0 :: v_dual_add_nc_u32 v2, s8, v1
	v_add_nc_u32_e32 v1, 0x100, v1
	s_delay_alu instid0(VALU_DEP_2) | instskip(NEXT) | instid1(VALU_DEP_1)
	v_lshlrev_b64 v[2:3], 2, v[2:3]
	v_add_co_u32 v2, s0, s6, v2
	s_delay_alu instid0(VALU_DEP_1)
	v_add_co_ci_u32_e64 v3, s0, s7, v3, s0
	global_load_b32 v8, v[2:3], off
.LBB516_23:
	s_or_b32 exec_lo, exec_lo, s9
	v_dual_mov_b32 v6, 0 :: v_dual_mov_b32 v9, 0
	s_mov_b32 s9, exec_lo
	v_cmpx_gt_i32_e64 s12, v1
	s_cbranch_execnz .LBB516_27
; %bb.24:
	s_or_b32 exec_lo, exec_lo, s9
	s_delay_alu instid0(SALU_CYCLE_1)
	s_mov_b32 s9, exec_lo
	v_cmpx_gt_i32_e64 s12, v1
	s_cbranch_execnz .LBB516_28
.LBB516_25:
	s_or_b32 exec_lo, exec_lo, s9
                                        ; implicit-def: $vgpr1_vgpr2_vgpr3_vgpr4
	s_and_saveexec_b32 s6, vcc_lo
	s_cbranch_execnz .LBB516_29
.LBB516_26:
	s_or_b32 exec_lo, exec_lo, s6
	s_delay_alu instid0(SALU_CYCLE_1)
	s_mov_b32 s6, exec_lo
	v_cmpx_gt_i32_e64 s12, v7
	s_cbranch_execnz .LBB516_34
	s_branch .LBB516_39
.LBB516_27:
	v_dual_mov_b32 v3, 0 :: v_dual_add_nc_u32 v2, s8, v1
	v_add_nc_u32_e32 v1, 0x100, v1
	s_delay_alu instid0(VALU_DEP_2) | instskip(NEXT) | instid1(VALU_DEP_1)
	v_lshlrev_b64 v[2:3], 2, v[2:3]
	v_add_co_u32 v2, s0, s6, v2
	s_delay_alu instid0(VALU_DEP_1) | instskip(SKIP_2) | instid1(SALU_CYCLE_1)
	v_add_co_ci_u32_e64 v3, s0, s7, v3, s0
	global_load_b32 v9, v[2:3], off
	s_or_b32 exec_lo, exec_lo, s9
	s_mov_b32 s9, exec_lo
	v_cmpx_gt_i32_e64 s12, v1
	s_cbranch_execz .LBB516_25
.LBB516_28:
	v_dual_mov_b32 v2, 0 :: v_dual_add_nc_u32 v1, s8, v1
	s_delay_alu instid0(VALU_DEP_1) | instskip(NEXT) | instid1(VALU_DEP_1)
	v_lshlrev_b64 v[1:2], 2, v[1:2]
	v_add_co_u32 v1, s0, s6, v1
	s_delay_alu instid0(VALU_DEP_1)
	v_add_co_ci_u32_e64 v2, s0, s7, v2, s0
	global_load_b32 v6, v[1:2], off
	s_or_b32 exec_lo, exec_lo, s9
                                        ; implicit-def: $vgpr1_vgpr2_vgpr3_vgpr4
	s_and_saveexec_b32 s6, vcc_lo
	s_cbranch_execz .LBB516_26
.LBB516_29:
	v_mov_b32_e32 v1, s1
	s_mov_b32 s7, exec_lo
	s_waitcnt vmcnt(0)
	v_cmpx_o_f32_e32 v10, v10
	s_cbranch_execz .LBB516_33
; %bb.30:
	v_mov_b32_e32 v1, s2
	s_mov_b32 s9, exec_lo
	v_cmpx_neq_f32_e32 0x7f800000, v10
; %bb.31:
	v_cmp_eq_f32_e64 s0, 0xff800000, v10
	s_delay_alu instid0(VALU_DEP_1)
	v_cndmask_b32_e64 v1, v10, s3, s0
; %bb.32:
	s_or_b32 exec_lo, exec_lo, s9
.LBB516_33:
	s_delay_alu instid0(SALU_CYCLE_1) | instskip(NEXT) | instid1(SALU_CYCLE_1)
	s_or_b32 exec_lo, exec_lo, s7
	s_or_b32 exec_lo, exec_lo, s6
	s_delay_alu instid0(SALU_CYCLE_1)
	s_mov_b32 s6, exec_lo
	v_cmpx_gt_i32_e64 s12, v7
	s_cbranch_execz .LBB516_39
.LBB516_34:
	v_mov_b32_e32 v2, s1
	s_mov_b32 s7, exec_lo
	s_waitcnt vmcnt(0)
	v_cmpx_o_f32_e32 v8, v8
	s_cbranch_execz .LBB516_38
; %bb.35:
	v_mov_b32_e32 v2, s2
	s_mov_b32 s9, exec_lo
	v_cmpx_neq_f32_e32 0x7f800000, v8
; %bb.36:
	v_cmp_eq_f32_e64 s0, 0xff800000, v8
	s_delay_alu instid0(VALU_DEP_1)
	v_cndmask_b32_e64 v2, v8, s3, s0
; %bb.37:
	s_or_b32 exec_lo, exec_lo, s9
.LBB516_38:
	s_delay_alu instid0(SALU_CYCLE_1)
	s_or_b32 exec_lo, exec_lo, s7
.LBB516_39:
	s_delay_alu instid0(SALU_CYCLE_1) | instskip(SKIP_3) | instid1(VALU_DEP_1)
	s_or_b32 exec_lo, exec_lo, s6
	s_waitcnt vmcnt(0)
	v_or_b32_e32 v8, 0x200, v0
	s_mov_b32 s6, exec_lo
	v_cmpx_gt_i32_e64 s12, v8
	s_cbranch_execz .LBB516_45
; %bb.40:
	v_mov_b32_e32 v3, s1
	s_mov_b32 s7, exec_lo
	v_cmpx_o_f32_e32 v9, v9
	s_cbranch_execz .LBB516_44
; %bb.41:
	v_mov_b32_e32 v3, s2
	s_mov_b32 s9, exec_lo
	v_cmpx_neq_f32_e32 0x7f800000, v9
; %bb.42:
	v_cmp_eq_f32_e64 s0, 0xff800000, v9
	s_delay_alu instid0(VALU_DEP_1)
	v_cndmask_b32_e64 v3, v9, s3, s0
; %bb.43:
	s_or_b32 exec_lo, exec_lo, s9
.LBB516_44:
	s_delay_alu instid0(SALU_CYCLE_1)
	s_or_b32 exec_lo, exec_lo, s7
.LBB516_45:
	s_delay_alu instid0(SALU_CYCLE_1) | instskip(SKIP_2) | instid1(VALU_DEP_1)
	s_or_b32 exec_lo, exec_lo, s6
	v_or_b32_e32 v8, 0x300, v0
	s_mov_b32 s6, exec_lo
	v_cmpx_gt_i32_e64 s12, v8
	s_cbranch_execnz .LBB516_52
; %bb.46:
	s_or_b32 exec_lo, exec_lo, s6
	s_and_saveexec_b32 s0, vcc_lo
	s_delay_alu instid0(SALU_CYCLE_1)
	s_xor_b32 s0, exec_lo, s0
	s_cbranch_execnz .LBB516_57
.LBB516_47:
	s_or_b32 exec_lo, exec_lo, s0
	s_delay_alu instid0(SALU_CYCLE_1)
	s_mov_b32 s0, exec_lo
	v_cmpx_gt_i32_e64 s12, v0
	s_cbranch_execnz .LBB516_58
.LBB516_48:
	s_or_b32 exec_lo, exec_lo, s0
	s_delay_alu instid0(SALU_CYCLE_1)
	s_mov_b32 s0, exec_lo
	v_cmpx_gt_i32_e64 s12, v0
	s_cbranch_execnz .LBB516_59
.LBB516_49:
	s_or_b32 exec_lo, exec_lo, s0
	s_delay_alu instid0(SALU_CYCLE_1)
	s_mov_b32 s0, exec_lo
	v_cmpx_gt_i32_e64 s12, v0
	s_cbranch_execz .LBB516_51
.LBB516_50:
	v_dual_mov_b32 v1, 0 :: v_dual_add_nc_u32 v0, s8, v0
	s_delay_alu instid0(VALU_DEP_1) | instskip(NEXT) | instid1(VALU_DEP_1)
	v_lshlrev_b64 v[0:1], 2, v[0:1]
	v_add_co_u32 v0, vcc_lo, s4, v0
	s_delay_alu instid0(VALU_DEP_2)
	v_add_co_ci_u32_e32 v1, vcc_lo, s5, v1, vcc_lo
	global_store_b32 v[0:1], v4, off
.LBB516_51:
	s_nop 0
	s_sendmsg sendmsg(MSG_DEALLOC_VGPRS)
	s_endpgm
.LBB516_52:
	v_mov_b32_e32 v4, s1
	s_mov_b32 s1, exec_lo
	v_cmpx_o_f32_e32 v6, v6
	s_cbranch_execz .LBB516_56
; %bb.53:
	v_mov_b32_e32 v4, s2
	s_mov_b32 s2, exec_lo
	v_cmpx_neq_f32_e32 0x7f800000, v6
; %bb.54:
	v_cmp_eq_f32_e64 s0, 0xff800000, v6
	s_delay_alu instid0(VALU_DEP_1)
	v_cndmask_b32_e64 v4, v6, s3, s0
; %bb.55:
	s_or_b32 exec_lo, exec_lo, s2
.LBB516_56:
	s_delay_alu instid0(SALU_CYCLE_1) | instskip(NEXT) | instid1(SALU_CYCLE_1)
	s_or_b32 exec_lo, exec_lo, s1
	s_or_b32 exec_lo, exec_lo, s6
	s_and_saveexec_b32 s0, vcc_lo
	s_delay_alu instid0(SALU_CYCLE_1)
	s_xor_b32 s0, exec_lo, s0
	s_cbranch_execz .LBB516_47
.LBB516_57:
	v_mov_b32_e32 v6, 0
	v_mov_b32_e32 v0, v7
	s_delay_alu instid0(VALU_DEP_2) | instskip(NEXT) | instid1(VALU_DEP_1)
	v_lshlrev_b64 v[5:6], 2, v[5:6]
	v_add_co_u32 v5, vcc_lo, s4, v5
	s_delay_alu instid0(VALU_DEP_2) | instskip(SKIP_2) | instid1(SALU_CYCLE_1)
	v_add_co_ci_u32_e32 v6, vcc_lo, s5, v6, vcc_lo
	global_store_b32 v[5:6], v1, off
	s_or_b32 exec_lo, exec_lo, s0
	s_mov_b32 s0, exec_lo
	v_cmpx_gt_i32_e64 s12, v0
	s_cbranch_execz .LBB516_48
.LBB516_58:
	v_dual_mov_b32 v6, 0 :: v_dual_add_nc_u32 v5, s8, v0
	v_add_nc_u32_e32 v0, 0x100, v0
	s_delay_alu instid0(VALU_DEP_2) | instskip(NEXT) | instid1(VALU_DEP_1)
	v_lshlrev_b64 v[5:6], 2, v[5:6]
	v_add_co_u32 v5, vcc_lo, s4, v5
	s_delay_alu instid0(VALU_DEP_2) | instskip(SKIP_2) | instid1(SALU_CYCLE_1)
	v_add_co_ci_u32_e32 v6, vcc_lo, s5, v6, vcc_lo
	global_store_b32 v[5:6], v2, off
	s_or_b32 exec_lo, exec_lo, s0
	s_mov_b32 s0, exec_lo
	v_cmpx_gt_i32_e64 s12, v0
	s_cbranch_execz .LBB516_49
.LBB516_59:
	v_dual_mov_b32 v2, 0 :: v_dual_add_nc_u32 v1, s8, v0
	v_add_nc_u32_e32 v0, 0x100, v0
	s_delay_alu instid0(VALU_DEP_2) | instskip(NEXT) | instid1(VALU_DEP_1)
	v_lshlrev_b64 v[1:2], 2, v[1:2]
	v_add_co_u32 v1, vcc_lo, s4, v1
	s_delay_alu instid0(VALU_DEP_2) | instskip(SKIP_2) | instid1(SALU_CYCLE_1)
	v_add_co_ci_u32_e32 v2, vcc_lo, s5, v2, vcc_lo
	global_store_b32 v[1:2], v3, off
	s_or_b32 exec_lo, exec_lo, s0
	s_mov_b32 s0, exec_lo
	v_cmpx_gt_i32_e64 s12, v0
	s_cbranch_execnz .LBB516_50
	s_branch .LBB516_51
	.section	.rodata,"a",@progbits
	.p2align	6, 0x0
	.amdhsa_kernel _ZN2at6native29vectorized_elementwise_kernelILi4EZZZNS0_22nan_to_num_kernel_cudaERNS_18TensorIteratorBaseESt8optionalIdES5_S5_ENKUlvE0_clEvENKUlvE0_clEvEUlfE_St5arrayIPcLm2EEEEviT0_T1_
		.amdhsa_group_segment_fixed_size 0
		.amdhsa_private_segment_fixed_size 0
		.amdhsa_kernarg_size 32
		.amdhsa_user_sgpr_count 15
		.amdhsa_user_sgpr_dispatch_ptr 0
		.amdhsa_user_sgpr_queue_ptr 0
		.amdhsa_user_sgpr_kernarg_segment_ptr 1
		.amdhsa_user_sgpr_dispatch_id 0
		.amdhsa_user_sgpr_private_segment_size 0
		.amdhsa_wavefront_size32 1
		.amdhsa_uses_dynamic_stack 0
		.amdhsa_enable_private_segment 0
		.amdhsa_system_sgpr_workgroup_id_x 1
		.amdhsa_system_sgpr_workgroup_id_y 0
		.amdhsa_system_sgpr_workgroup_id_z 0
		.amdhsa_system_sgpr_workgroup_info 0
		.amdhsa_system_vgpr_workitem_id 0
		.amdhsa_next_free_vgpr 11
		.amdhsa_next_free_sgpr 16
		.amdhsa_reserve_vcc 1
		.amdhsa_float_round_mode_32 0
		.amdhsa_float_round_mode_16_64 0
		.amdhsa_float_denorm_mode_32 3
		.amdhsa_float_denorm_mode_16_64 3
		.amdhsa_dx10_clamp 1
		.amdhsa_ieee_mode 1
		.amdhsa_fp16_overflow 0
		.amdhsa_workgroup_processor_mode 1
		.amdhsa_memory_ordered 1
		.amdhsa_forward_progress 0
		.amdhsa_shared_vgpr_count 0
		.amdhsa_exception_fp_ieee_invalid_op 0
		.amdhsa_exception_fp_denorm_src 0
		.amdhsa_exception_fp_ieee_div_zero 0
		.amdhsa_exception_fp_ieee_overflow 0
		.amdhsa_exception_fp_ieee_underflow 0
		.amdhsa_exception_fp_ieee_inexact 0
		.amdhsa_exception_int_div_zero 0
	.end_amdhsa_kernel
	.section	.text._ZN2at6native29vectorized_elementwise_kernelILi4EZZZNS0_22nan_to_num_kernel_cudaERNS_18TensorIteratorBaseESt8optionalIdES5_S5_ENKUlvE0_clEvENKUlvE0_clEvEUlfE_St5arrayIPcLm2EEEEviT0_T1_,"axG",@progbits,_ZN2at6native29vectorized_elementwise_kernelILi4EZZZNS0_22nan_to_num_kernel_cudaERNS_18TensorIteratorBaseESt8optionalIdES5_S5_ENKUlvE0_clEvENKUlvE0_clEvEUlfE_St5arrayIPcLm2EEEEviT0_T1_,comdat
.Lfunc_end516:
	.size	_ZN2at6native29vectorized_elementwise_kernelILi4EZZZNS0_22nan_to_num_kernel_cudaERNS_18TensorIteratorBaseESt8optionalIdES5_S5_ENKUlvE0_clEvENKUlvE0_clEvEUlfE_St5arrayIPcLm2EEEEviT0_T1_, .Lfunc_end516-_ZN2at6native29vectorized_elementwise_kernelILi4EZZZNS0_22nan_to_num_kernel_cudaERNS_18TensorIteratorBaseESt8optionalIdES5_S5_ENKUlvE0_clEvENKUlvE0_clEvEUlfE_St5arrayIPcLm2EEEEviT0_T1_
                                        ; -- End function
	.section	.AMDGPU.csdata,"",@progbits
; Kernel info:
; codeLenInByte = 1480
; NumSgprs: 18
; NumVgprs: 11
; ScratchSize: 0
; MemoryBound: 0
; FloatMode: 240
; IeeeMode: 1
; LDSByteSize: 0 bytes/workgroup (compile time only)
; SGPRBlocks: 2
; VGPRBlocks: 1
; NumSGPRsForWavesPerEU: 18
; NumVGPRsForWavesPerEU: 11
; Occupancy: 16
; WaveLimiterHint : 0
; COMPUTE_PGM_RSRC2:SCRATCH_EN: 0
; COMPUTE_PGM_RSRC2:USER_SGPR: 15
; COMPUTE_PGM_RSRC2:TRAP_HANDLER: 0
; COMPUTE_PGM_RSRC2:TGID_X_EN: 1
; COMPUTE_PGM_RSRC2:TGID_Y_EN: 0
; COMPUTE_PGM_RSRC2:TGID_Z_EN: 0
; COMPUTE_PGM_RSRC2:TIDIG_COMP_CNT: 0
	.section	.text._ZN2at6native29vectorized_elementwise_kernelILi2EZZZNS0_22nan_to_num_kernel_cudaERNS_18TensorIteratorBaseESt8optionalIdES5_S5_ENKUlvE0_clEvENKUlvE0_clEvEUlfE_St5arrayIPcLm2EEEEviT0_T1_,"axG",@progbits,_ZN2at6native29vectorized_elementwise_kernelILi2EZZZNS0_22nan_to_num_kernel_cudaERNS_18TensorIteratorBaseESt8optionalIdES5_S5_ENKUlvE0_clEvENKUlvE0_clEvEUlfE_St5arrayIPcLm2EEEEviT0_T1_,comdat
	.globl	_ZN2at6native29vectorized_elementwise_kernelILi2EZZZNS0_22nan_to_num_kernel_cudaERNS_18TensorIteratorBaseESt8optionalIdES5_S5_ENKUlvE0_clEvENKUlvE0_clEvEUlfE_St5arrayIPcLm2EEEEviT0_T1_ ; -- Begin function _ZN2at6native29vectorized_elementwise_kernelILi2EZZZNS0_22nan_to_num_kernel_cudaERNS_18TensorIteratorBaseESt8optionalIdES5_S5_ENKUlvE0_clEvENKUlvE0_clEvEUlfE_St5arrayIPcLm2EEEEviT0_T1_
	.p2align	8
	.type	_ZN2at6native29vectorized_elementwise_kernelILi2EZZZNS0_22nan_to_num_kernel_cudaERNS_18TensorIteratorBaseESt8optionalIdES5_S5_ENKUlvE0_clEvENKUlvE0_clEvEUlfE_St5arrayIPcLm2EEEEviT0_T1_,@function
_ZN2at6native29vectorized_elementwise_kernelILi2EZZZNS0_22nan_to_num_kernel_cudaERNS_18TensorIteratorBaseESt8optionalIdES5_S5_ENKUlvE0_clEvENKUlvE0_clEvEUlfE_St5arrayIPcLm2EEEEviT0_T1_: ; @_ZN2at6native29vectorized_elementwise_kernelILi2EZZZNS0_22nan_to_num_kernel_cudaERNS_18TensorIteratorBaseESt8optionalIdES5_S5_ENKUlvE0_clEvENKUlvE0_clEvEUlfE_St5arrayIPcLm2EEEEviT0_T1_
; %bb.0:
	s_load_b256 s[0:7], s[0:1], 0x0
	s_lshl_b32 s8, s15, 10
	s_waitcnt lgkmcnt(0)
	s_sub_i32 s12, s0, s8
	s_mov_b32 s0, -1
	s_cmpk_gt_i32 s12, 0x3ff
	s_cbranch_scc0 .LBB517_18
; %bb.1:
	s_ashr_i32 s9, s8, 31
	v_lshlrev_b32_e32 v7, 3, v0
	s_lshl_b64 s[10:11], s[8:9], 2
	v_mov_b32_e32 v1, s1
	s_add_u32 s14, s6, s10
	s_addc_u32 s15, s7, s11
	s_mov_b32 s0, exec_lo
	s_clause 0x1
	global_load_b64 v[5:6], v7, s[14:15]
	global_load_b64 v[3:4], v7, s[14:15] offset:2048
	s_waitcnt vmcnt(1)
	v_cmpx_o_f32_e32 v5, v5
	s_cbranch_execz .LBB517_5
; %bb.2:
	v_mov_b32_e32 v1, s2
	s_mov_b32 s9, exec_lo
	v_cmpx_neq_f32_e32 0x7f800000, v5
; %bb.3:
	v_cmp_eq_f32_e32 vcc_lo, 0xff800000, v5
	v_cndmask_b32_e64 v1, v5, s3, vcc_lo
; %bb.4:
	s_or_b32 exec_lo, exec_lo, s9
.LBB517_5:
	s_delay_alu instid0(SALU_CYCLE_1)
	s_or_b32 exec_lo, exec_lo, s0
	v_mov_b32_e32 v2, s1
	s_mov_b32 s0, exec_lo
	v_cmpx_o_f32_e32 v6, v6
	s_cbranch_execz .LBB517_9
; %bb.6:
	v_mov_b32_e32 v2, s2
	s_mov_b32 s9, exec_lo
	v_cmpx_neq_f32_e32 0x7f800000, v6
; %bb.7:
	v_cmp_eq_f32_e32 vcc_lo, 0xff800000, v6
	v_cndmask_b32_e64 v2, v6, s3, vcc_lo
; %bb.8:
	s_or_b32 exec_lo, exec_lo, s9
.LBB517_9:
	s_delay_alu instid0(SALU_CYCLE_1)
	s_or_b32 exec_lo, exec_lo, s0
	v_mov_b32_e32 v5, s1
	s_mov_b32 s0, exec_lo
	s_waitcnt vmcnt(0)
	v_cmpx_o_f32_e32 v3, v3
	s_cbranch_execz .LBB517_13
; %bb.10:
	v_mov_b32_e32 v5, s2
	s_mov_b32 s9, exec_lo
	v_cmpx_neq_f32_e32 0x7f800000, v3
; %bb.11:
	v_cmp_eq_f32_e32 vcc_lo, 0xff800000, v3
	v_cndmask_b32_e64 v5, v3, s3, vcc_lo
; %bb.12:
	s_or_b32 exec_lo, exec_lo, s9
.LBB517_13:
	s_delay_alu instid0(SALU_CYCLE_1)
	s_or_b32 exec_lo, exec_lo, s0
	v_mov_b32_e32 v6, s1
	s_mov_b32 s0, exec_lo
	v_cmpx_o_f32_e32 v4, v4
	s_cbranch_execz .LBB517_17
; %bb.14:
	v_mov_b32_e32 v6, s2
	s_mov_b32 s9, exec_lo
	v_cmpx_neq_f32_e32 0x7f800000, v4
; %bb.15:
	v_cmp_eq_f32_e32 vcc_lo, 0xff800000, v4
	v_cndmask_b32_e64 v6, v4, s3, vcc_lo
; %bb.16:
	s_or_b32 exec_lo, exec_lo, s9
.LBB517_17:
	s_delay_alu instid0(SALU_CYCLE_1)
	s_or_b32 exec_lo, exec_lo, s0
	s_add_u32 s10, s4, s10
	s_addc_u32 s11, s5, s11
	s_mov_b32 s0, 0
	s_clause 0x1
	global_store_b64 v7, v[1:2], s[10:11]
	global_store_b64 v7, v[5:6], s[10:11] offset:2048
.LBB517_18:
	s_and_b32 vcc_lo, exec_lo, s0
	s_cbranch_vccz .LBB517_51
; %bb.19:
	v_cmp_gt_i32_e32 vcc_lo, s12, v0
	v_dual_mov_b32 v8, 0 :: v_dual_mov_b32 v1, v0
	v_or_b32_e32 v5, s8, v0
	v_or_b32_e32 v7, 0x100, v0
	v_mov_b32_e32 v10, 0
	s_and_saveexec_b32 s9, vcc_lo
	s_cbranch_execz .LBB517_21
; %bb.20:
	v_mov_b32_e32 v6, 0
	s_delay_alu instid0(VALU_DEP_1) | instskip(NEXT) | instid1(VALU_DEP_1)
	v_lshlrev_b64 v[1:2], 2, v[5:6]
	v_add_co_u32 v1, s0, s6, v1
	s_delay_alu instid0(VALU_DEP_1)
	v_add_co_ci_u32_e64 v2, s0, s7, v2, s0
	global_load_b32 v10, v[1:2], off
	v_or_b32_e32 v1, 0x100, v0
.LBB517_21:
	s_or_b32 exec_lo, exec_lo, s9
	s_delay_alu instid0(SALU_CYCLE_1) | instskip(NEXT) | instid1(VALU_DEP_1)
	s_mov_b32 s9, exec_lo
	v_cmpx_gt_i32_e64 s12, v1
	s_cbranch_execz .LBB517_23
; %bb.22:
	v_dual_mov_b32 v3, 0 :: v_dual_add_nc_u32 v2, s8, v1
	v_add_nc_u32_e32 v1, 0x100, v1
	s_delay_alu instid0(VALU_DEP_2) | instskip(NEXT) | instid1(VALU_DEP_1)
	v_lshlrev_b64 v[2:3], 2, v[2:3]
	v_add_co_u32 v2, s0, s6, v2
	s_delay_alu instid0(VALU_DEP_1)
	v_add_co_ci_u32_e64 v3, s0, s7, v3, s0
	global_load_b32 v8, v[2:3], off
.LBB517_23:
	s_or_b32 exec_lo, exec_lo, s9
	v_dual_mov_b32 v6, 0 :: v_dual_mov_b32 v9, 0
	s_mov_b32 s9, exec_lo
	v_cmpx_gt_i32_e64 s12, v1
	s_cbranch_execnz .LBB517_27
; %bb.24:
	s_or_b32 exec_lo, exec_lo, s9
	s_delay_alu instid0(SALU_CYCLE_1)
	s_mov_b32 s9, exec_lo
	v_cmpx_gt_i32_e64 s12, v1
	s_cbranch_execnz .LBB517_28
.LBB517_25:
	s_or_b32 exec_lo, exec_lo, s9
                                        ; implicit-def: $vgpr1_vgpr2_vgpr3_vgpr4
	s_and_saveexec_b32 s6, vcc_lo
	s_cbranch_execnz .LBB517_29
.LBB517_26:
	s_or_b32 exec_lo, exec_lo, s6
	s_delay_alu instid0(SALU_CYCLE_1)
	s_mov_b32 s6, exec_lo
	v_cmpx_gt_i32_e64 s12, v7
	s_cbranch_execnz .LBB517_34
	s_branch .LBB517_39
.LBB517_27:
	v_dual_mov_b32 v3, 0 :: v_dual_add_nc_u32 v2, s8, v1
	v_add_nc_u32_e32 v1, 0x100, v1
	s_delay_alu instid0(VALU_DEP_2) | instskip(NEXT) | instid1(VALU_DEP_1)
	v_lshlrev_b64 v[2:3], 2, v[2:3]
	v_add_co_u32 v2, s0, s6, v2
	s_delay_alu instid0(VALU_DEP_1) | instskip(SKIP_2) | instid1(SALU_CYCLE_1)
	v_add_co_ci_u32_e64 v3, s0, s7, v3, s0
	global_load_b32 v9, v[2:3], off
	s_or_b32 exec_lo, exec_lo, s9
	s_mov_b32 s9, exec_lo
	v_cmpx_gt_i32_e64 s12, v1
	s_cbranch_execz .LBB517_25
.LBB517_28:
	v_dual_mov_b32 v2, 0 :: v_dual_add_nc_u32 v1, s8, v1
	s_delay_alu instid0(VALU_DEP_1) | instskip(NEXT) | instid1(VALU_DEP_1)
	v_lshlrev_b64 v[1:2], 2, v[1:2]
	v_add_co_u32 v1, s0, s6, v1
	s_delay_alu instid0(VALU_DEP_1)
	v_add_co_ci_u32_e64 v2, s0, s7, v2, s0
	global_load_b32 v6, v[1:2], off
	s_or_b32 exec_lo, exec_lo, s9
                                        ; implicit-def: $vgpr1_vgpr2_vgpr3_vgpr4
	s_and_saveexec_b32 s6, vcc_lo
	s_cbranch_execz .LBB517_26
.LBB517_29:
	v_mov_b32_e32 v1, s1
	s_mov_b32 s7, exec_lo
	s_waitcnt vmcnt(0)
	v_cmpx_o_f32_e32 v10, v10
	s_cbranch_execz .LBB517_33
; %bb.30:
	v_mov_b32_e32 v1, s2
	s_mov_b32 s9, exec_lo
	v_cmpx_neq_f32_e32 0x7f800000, v10
; %bb.31:
	v_cmp_eq_f32_e64 s0, 0xff800000, v10
	s_delay_alu instid0(VALU_DEP_1)
	v_cndmask_b32_e64 v1, v10, s3, s0
; %bb.32:
	s_or_b32 exec_lo, exec_lo, s9
.LBB517_33:
	s_delay_alu instid0(SALU_CYCLE_1) | instskip(NEXT) | instid1(SALU_CYCLE_1)
	s_or_b32 exec_lo, exec_lo, s7
	s_or_b32 exec_lo, exec_lo, s6
	s_delay_alu instid0(SALU_CYCLE_1)
	s_mov_b32 s6, exec_lo
	v_cmpx_gt_i32_e64 s12, v7
	s_cbranch_execz .LBB517_39
.LBB517_34:
	v_mov_b32_e32 v2, s1
	s_mov_b32 s7, exec_lo
	s_waitcnt vmcnt(0)
	v_cmpx_o_f32_e32 v8, v8
	s_cbranch_execz .LBB517_38
; %bb.35:
	v_mov_b32_e32 v2, s2
	s_mov_b32 s9, exec_lo
	v_cmpx_neq_f32_e32 0x7f800000, v8
; %bb.36:
	v_cmp_eq_f32_e64 s0, 0xff800000, v8
	s_delay_alu instid0(VALU_DEP_1)
	v_cndmask_b32_e64 v2, v8, s3, s0
; %bb.37:
	s_or_b32 exec_lo, exec_lo, s9
.LBB517_38:
	s_delay_alu instid0(SALU_CYCLE_1)
	s_or_b32 exec_lo, exec_lo, s7
.LBB517_39:
	s_delay_alu instid0(SALU_CYCLE_1) | instskip(SKIP_3) | instid1(VALU_DEP_1)
	s_or_b32 exec_lo, exec_lo, s6
	s_waitcnt vmcnt(0)
	v_or_b32_e32 v8, 0x200, v0
	s_mov_b32 s6, exec_lo
	v_cmpx_gt_i32_e64 s12, v8
	s_cbranch_execz .LBB517_45
; %bb.40:
	v_mov_b32_e32 v3, s1
	s_mov_b32 s7, exec_lo
	v_cmpx_o_f32_e32 v9, v9
	s_cbranch_execz .LBB517_44
; %bb.41:
	v_mov_b32_e32 v3, s2
	s_mov_b32 s9, exec_lo
	v_cmpx_neq_f32_e32 0x7f800000, v9
; %bb.42:
	v_cmp_eq_f32_e64 s0, 0xff800000, v9
	s_delay_alu instid0(VALU_DEP_1)
	v_cndmask_b32_e64 v3, v9, s3, s0
; %bb.43:
	s_or_b32 exec_lo, exec_lo, s9
.LBB517_44:
	s_delay_alu instid0(SALU_CYCLE_1)
	s_or_b32 exec_lo, exec_lo, s7
.LBB517_45:
	s_delay_alu instid0(SALU_CYCLE_1) | instskip(SKIP_2) | instid1(VALU_DEP_1)
	s_or_b32 exec_lo, exec_lo, s6
	v_or_b32_e32 v8, 0x300, v0
	s_mov_b32 s6, exec_lo
	v_cmpx_gt_i32_e64 s12, v8
	s_cbranch_execnz .LBB517_52
; %bb.46:
	s_or_b32 exec_lo, exec_lo, s6
	s_and_saveexec_b32 s0, vcc_lo
	s_delay_alu instid0(SALU_CYCLE_1)
	s_xor_b32 s0, exec_lo, s0
	s_cbranch_execnz .LBB517_57
.LBB517_47:
	s_or_b32 exec_lo, exec_lo, s0
	s_delay_alu instid0(SALU_CYCLE_1)
	s_mov_b32 s0, exec_lo
	v_cmpx_gt_i32_e64 s12, v0
	s_cbranch_execnz .LBB517_58
.LBB517_48:
	s_or_b32 exec_lo, exec_lo, s0
	s_delay_alu instid0(SALU_CYCLE_1)
	s_mov_b32 s0, exec_lo
	v_cmpx_gt_i32_e64 s12, v0
	s_cbranch_execnz .LBB517_59
.LBB517_49:
	s_or_b32 exec_lo, exec_lo, s0
	s_delay_alu instid0(SALU_CYCLE_1)
	s_mov_b32 s0, exec_lo
	v_cmpx_gt_i32_e64 s12, v0
	s_cbranch_execz .LBB517_51
.LBB517_50:
	v_dual_mov_b32 v1, 0 :: v_dual_add_nc_u32 v0, s8, v0
	s_delay_alu instid0(VALU_DEP_1) | instskip(NEXT) | instid1(VALU_DEP_1)
	v_lshlrev_b64 v[0:1], 2, v[0:1]
	v_add_co_u32 v0, vcc_lo, s4, v0
	s_delay_alu instid0(VALU_DEP_2)
	v_add_co_ci_u32_e32 v1, vcc_lo, s5, v1, vcc_lo
	global_store_b32 v[0:1], v4, off
.LBB517_51:
	s_nop 0
	s_sendmsg sendmsg(MSG_DEALLOC_VGPRS)
	s_endpgm
.LBB517_52:
	v_mov_b32_e32 v4, s1
	s_mov_b32 s1, exec_lo
	v_cmpx_o_f32_e32 v6, v6
	s_cbranch_execz .LBB517_56
; %bb.53:
	v_mov_b32_e32 v4, s2
	s_mov_b32 s2, exec_lo
	v_cmpx_neq_f32_e32 0x7f800000, v6
; %bb.54:
	v_cmp_eq_f32_e64 s0, 0xff800000, v6
	s_delay_alu instid0(VALU_DEP_1)
	v_cndmask_b32_e64 v4, v6, s3, s0
; %bb.55:
	s_or_b32 exec_lo, exec_lo, s2
.LBB517_56:
	s_delay_alu instid0(SALU_CYCLE_1) | instskip(NEXT) | instid1(SALU_CYCLE_1)
	s_or_b32 exec_lo, exec_lo, s1
	s_or_b32 exec_lo, exec_lo, s6
	s_and_saveexec_b32 s0, vcc_lo
	s_delay_alu instid0(SALU_CYCLE_1)
	s_xor_b32 s0, exec_lo, s0
	s_cbranch_execz .LBB517_47
.LBB517_57:
	v_mov_b32_e32 v6, 0
	v_mov_b32_e32 v0, v7
	s_delay_alu instid0(VALU_DEP_2) | instskip(NEXT) | instid1(VALU_DEP_1)
	v_lshlrev_b64 v[5:6], 2, v[5:6]
	v_add_co_u32 v5, vcc_lo, s4, v5
	s_delay_alu instid0(VALU_DEP_2) | instskip(SKIP_2) | instid1(SALU_CYCLE_1)
	v_add_co_ci_u32_e32 v6, vcc_lo, s5, v6, vcc_lo
	global_store_b32 v[5:6], v1, off
	s_or_b32 exec_lo, exec_lo, s0
	s_mov_b32 s0, exec_lo
	v_cmpx_gt_i32_e64 s12, v0
	s_cbranch_execz .LBB517_48
.LBB517_58:
	v_dual_mov_b32 v6, 0 :: v_dual_add_nc_u32 v5, s8, v0
	v_add_nc_u32_e32 v0, 0x100, v0
	s_delay_alu instid0(VALU_DEP_2) | instskip(NEXT) | instid1(VALU_DEP_1)
	v_lshlrev_b64 v[5:6], 2, v[5:6]
	v_add_co_u32 v5, vcc_lo, s4, v5
	s_delay_alu instid0(VALU_DEP_2) | instskip(SKIP_2) | instid1(SALU_CYCLE_1)
	v_add_co_ci_u32_e32 v6, vcc_lo, s5, v6, vcc_lo
	global_store_b32 v[5:6], v2, off
	s_or_b32 exec_lo, exec_lo, s0
	s_mov_b32 s0, exec_lo
	v_cmpx_gt_i32_e64 s12, v0
	s_cbranch_execz .LBB517_49
.LBB517_59:
	v_dual_mov_b32 v2, 0 :: v_dual_add_nc_u32 v1, s8, v0
	v_add_nc_u32_e32 v0, 0x100, v0
	s_delay_alu instid0(VALU_DEP_2) | instskip(NEXT) | instid1(VALU_DEP_1)
	v_lshlrev_b64 v[1:2], 2, v[1:2]
	v_add_co_u32 v1, vcc_lo, s4, v1
	s_delay_alu instid0(VALU_DEP_2) | instskip(SKIP_2) | instid1(SALU_CYCLE_1)
	v_add_co_ci_u32_e32 v2, vcc_lo, s5, v2, vcc_lo
	global_store_b32 v[1:2], v3, off
	s_or_b32 exec_lo, exec_lo, s0
	s_mov_b32 s0, exec_lo
	v_cmpx_gt_i32_e64 s12, v0
	s_cbranch_execnz .LBB517_50
	s_branch .LBB517_51
	.section	.rodata,"a",@progbits
	.p2align	6, 0x0
	.amdhsa_kernel _ZN2at6native29vectorized_elementwise_kernelILi2EZZZNS0_22nan_to_num_kernel_cudaERNS_18TensorIteratorBaseESt8optionalIdES5_S5_ENKUlvE0_clEvENKUlvE0_clEvEUlfE_St5arrayIPcLm2EEEEviT0_T1_
		.amdhsa_group_segment_fixed_size 0
		.amdhsa_private_segment_fixed_size 0
		.amdhsa_kernarg_size 32
		.amdhsa_user_sgpr_count 15
		.amdhsa_user_sgpr_dispatch_ptr 0
		.amdhsa_user_sgpr_queue_ptr 0
		.amdhsa_user_sgpr_kernarg_segment_ptr 1
		.amdhsa_user_sgpr_dispatch_id 0
		.amdhsa_user_sgpr_private_segment_size 0
		.amdhsa_wavefront_size32 1
		.amdhsa_uses_dynamic_stack 0
		.amdhsa_enable_private_segment 0
		.amdhsa_system_sgpr_workgroup_id_x 1
		.amdhsa_system_sgpr_workgroup_id_y 0
		.amdhsa_system_sgpr_workgroup_id_z 0
		.amdhsa_system_sgpr_workgroup_info 0
		.amdhsa_system_vgpr_workitem_id 0
		.amdhsa_next_free_vgpr 11
		.amdhsa_next_free_sgpr 16
		.amdhsa_reserve_vcc 1
		.amdhsa_float_round_mode_32 0
		.amdhsa_float_round_mode_16_64 0
		.amdhsa_float_denorm_mode_32 3
		.amdhsa_float_denorm_mode_16_64 3
		.amdhsa_dx10_clamp 1
		.amdhsa_ieee_mode 1
		.amdhsa_fp16_overflow 0
		.amdhsa_workgroup_processor_mode 1
		.amdhsa_memory_ordered 1
		.amdhsa_forward_progress 0
		.amdhsa_shared_vgpr_count 0
		.amdhsa_exception_fp_ieee_invalid_op 0
		.amdhsa_exception_fp_denorm_src 0
		.amdhsa_exception_fp_ieee_div_zero 0
		.amdhsa_exception_fp_ieee_overflow 0
		.amdhsa_exception_fp_ieee_underflow 0
		.amdhsa_exception_fp_ieee_inexact 0
		.amdhsa_exception_int_div_zero 0
	.end_amdhsa_kernel
	.section	.text._ZN2at6native29vectorized_elementwise_kernelILi2EZZZNS0_22nan_to_num_kernel_cudaERNS_18TensorIteratorBaseESt8optionalIdES5_S5_ENKUlvE0_clEvENKUlvE0_clEvEUlfE_St5arrayIPcLm2EEEEviT0_T1_,"axG",@progbits,_ZN2at6native29vectorized_elementwise_kernelILi2EZZZNS0_22nan_to_num_kernel_cudaERNS_18TensorIteratorBaseESt8optionalIdES5_S5_ENKUlvE0_clEvENKUlvE0_clEvEUlfE_St5arrayIPcLm2EEEEviT0_T1_,comdat
.Lfunc_end517:
	.size	_ZN2at6native29vectorized_elementwise_kernelILi2EZZZNS0_22nan_to_num_kernel_cudaERNS_18TensorIteratorBaseESt8optionalIdES5_S5_ENKUlvE0_clEvENKUlvE0_clEvEUlfE_St5arrayIPcLm2EEEEviT0_T1_, .Lfunc_end517-_ZN2at6native29vectorized_elementwise_kernelILi2EZZZNS0_22nan_to_num_kernel_cudaERNS_18TensorIteratorBaseESt8optionalIdES5_S5_ENKUlvE0_clEvENKUlvE0_clEvEUlfE_St5arrayIPcLm2EEEEviT0_T1_
                                        ; -- End function
	.section	.AMDGPU.csdata,"",@progbits
; Kernel info:
; codeLenInByte = 1508
; NumSgprs: 18
; NumVgprs: 11
; ScratchSize: 0
; MemoryBound: 0
; FloatMode: 240
; IeeeMode: 1
; LDSByteSize: 0 bytes/workgroup (compile time only)
; SGPRBlocks: 2
; VGPRBlocks: 1
; NumSGPRsForWavesPerEU: 18
; NumVGPRsForWavesPerEU: 11
; Occupancy: 16
; WaveLimiterHint : 1
; COMPUTE_PGM_RSRC2:SCRATCH_EN: 0
; COMPUTE_PGM_RSRC2:USER_SGPR: 15
; COMPUTE_PGM_RSRC2:TRAP_HANDLER: 0
; COMPUTE_PGM_RSRC2:TGID_X_EN: 1
; COMPUTE_PGM_RSRC2:TGID_Y_EN: 0
; COMPUTE_PGM_RSRC2:TGID_Z_EN: 0
; COMPUTE_PGM_RSRC2:TIDIG_COMP_CNT: 0
	.section	.text._ZN2at6native27unrolled_elementwise_kernelIZZZNS0_22nan_to_num_kernel_cudaERNS_18TensorIteratorBaseESt8optionalIdES5_S5_ENKUlvE0_clEvENKUlvE0_clEvEUlfE_St5arrayIPcLm2EELi4E23TrivialOffsetCalculatorILi1EjESD_NS0_6memory15LoadWithoutCastENSE_16StoreWithoutCastEEEviT_T0_T2_T3_T4_T5_,"axG",@progbits,_ZN2at6native27unrolled_elementwise_kernelIZZZNS0_22nan_to_num_kernel_cudaERNS_18TensorIteratorBaseESt8optionalIdES5_S5_ENKUlvE0_clEvENKUlvE0_clEvEUlfE_St5arrayIPcLm2EELi4E23TrivialOffsetCalculatorILi1EjESD_NS0_6memory15LoadWithoutCastENSE_16StoreWithoutCastEEEviT_T0_T2_T3_T4_T5_,comdat
	.globl	_ZN2at6native27unrolled_elementwise_kernelIZZZNS0_22nan_to_num_kernel_cudaERNS_18TensorIteratorBaseESt8optionalIdES5_S5_ENKUlvE0_clEvENKUlvE0_clEvEUlfE_St5arrayIPcLm2EELi4E23TrivialOffsetCalculatorILi1EjESD_NS0_6memory15LoadWithoutCastENSE_16StoreWithoutCastEEEviT_T0_T2_T3_T4_T5_ ; -- Begin function _ZN2at6native27unrolled_elementwise_kernelIZZZNS0_22nan_to_num_kernel_cudaERNS_18TensorIteratorBaseESt8optionalIdES5_S5_ENKUlvE0_clEvENKUlvE0_clEvEUlfE_St5arrayIPcLm2EELi4E23TrivialOffsetCalculatorILi1EjESD_NS0_6memory15LoadWithoutCastENSE_16StoreWithoutCastEEEviT_T0_T2_T3_T4_T5_
	.p2align	8
	.type	_ZN2at6native27unrolled_elementwise_kernelIZZZNS0_22nan_to_num_kernel_cudaERNS_18TensorIteratorBaseESt8optionalIdES5_S5_ENKUlvE0_clEvENKUlvE0_clEvEUlfE_St5arrayIPcLm2EELi4E23TrivialOffsetCalculatorILi1EjESD_NS0_6memory15LoadWithoutCastENSE_16StoreWithoutCastEEEviT_T0_T2_T3_T4_T5_,@function
_ZN2at6native27unrolled_elementwise_kernelIZZZNS0_22nan_to_num_kernel_cudaERNS_18TensorIteratorBaseESt8optionalIdES5_S5_ENKUlvE0_clEvENKUlvE0_clEvEUlfE_St5arrayIPcLm2EELi4E23TrivialOffsetCalculatorILi1EjESD_NS0_6memory15LoadWithoutCastENSE_16StoreWithoutCastEEEviT_T0_T2_T3_T4_T5_: ; @_ZN2at6native27unrolled_elementwise_kernelIZZZNS0_22nan_to_num_kernel_cudaERNS_18TensorIteratorBaseESt8optionalIdES5_S5_ENKUlvE0_clEvENKUlvE0_clEvEUlfE_St5arrayIPcLm2EELi4E23TrivialOffsetCalculatorILi1EjESD_NS0_6memory15LoadWithoutCastENSE_16StoreWithoutCastEEEviT_T0_T2_T3_T4_T5_
; %bb.0:
	s_load_b256 s[0:7], s[0:1], 0x0
	s_lshl_b32 s8, s15, 10
	v_dual_mov_b32 v8, 0 :: v_dual_mov_b32 v1, v0
	v_mov_b32_e32 v10, 0
	v_or_b32_e32 v5, s8, v0
	v_or_b32_e32 v7, 0x100, v0
	s_waitcnt lgkmcnt(0)
	s_sub_i32 s9, s0, s8
	s_delay_alu instid0(SALU_CYCLE_1)
	v_cmp_gt_i32_e32 vcc_lo, s9, v0
	s_and_saveexec_b32 s10, vcc_lo
	s_cbranch_execz .LBB518_2
; %bb.1:
	v_mov_b32_e32 v6, 0
	s_delay_alu instid0(VALU_DEP_1) | instskip(NEXT) | instid1(VALU_DEP_1)
	v_lshlrev_b64 v[1:2], 2, v[5:6]
	v_add_co_u32 v1, s0, s6, v1
	s_delay_alu instid0(VALU_DEP_1)
	v_add_co_ci_u32_e64 v2, s0, s7, v2, s0
	global_load_b32 v10, v[1:2], off
	v_or_b32_e32 v1, 0x100, v0
.LBB518_2:
	s_or_b32 exec_lo, exec_lo, s10
	s_delay_alu instid0(SALU_CYCLE_1) | instskip(NEXT) | instid1(VALU_DEP_1)
	s_mov_b32 s10, exec_lo
	v_cmpx_gt_i32_e64 s9, v1
	s_cbranch_execz .LBB518_4
; %bb.3:
	v_dual_mov_b32 v3, 0 :: v_dual_add_nc_u32 v2, s8, v1
	v_add_nc_u32_e32 v1, 0x100, v1
	s_delay_alu instid0(VALU_DEP_2) | instskip(NEXT) | instid1(VALU_DEP_1)
	v_lshlrev_b64 v[2:3], 2, v[2:3]
	v_add_co_u32 v2, s0, s6, v2
	s_delay_alu instid0(VALU_DEP_1)
	v_add_co_ci_u32_e64 v3, s0, s7, v3, s0
	global_load_b32 v8, v[2:3], off
.LBB518_4:
	s_or_b32 exec_lo, exec_lo, s10
	v_dual_mov_b32 v6, 0 :: v_dual_mov_b32 v9, 0
	s_mov_b32 s10, exec_lo
	v_cmpx_gt_i32_e64 s9, v1
	s_cbranch_execnz .LBB518_8
; %bb.5:
	s_or_b32 exec_lo, exec_lo, s10
	s_delay_alu instid0(SALU_CYCLE_1)
	s_mov_b32 s10, exec_lo
	v_cmpx_gt_i32_e64 s9, v1
	s_cbranch_execnz .LBB518_9
.LBB518_6:
	s_or_b32 exec_lo, exec_lo, s10
                                        ; implicit-def: $vgpr1_vgpr2_vgpr3_vgpr4
	s_and_saveexec_b32 s6, vcc_lo
	s_cbranch_execnz .LBB518_10
.LBB518_7:
	s_or_b32 exec_lo, exec_lo, s6
	s_delay_alu instid0(SALU_CYCLE_1)
	s_mov_b32 s6, exec_lo
	v_cmpx_gt_i32_e64 s9, v7
	s_cbranch_execnz .LBB518_15
	s_branch .LBB518_20
.LBB518_8:
	v_dual_mov_b32 v3, 0 :: v_dual_add_nc_u32 v2, s8, v1
	v_add_nc_u32_e32 v1, 0x100, v1
	s_delay_alu instid0(VALU_DEP_2) | instskip(NEXT) | instid1(VALU_DEP_1)
	v_lshlrev_b64 v[2:3], 2, v[2:3]
	v_add_co_u32 v2, s0, s6, v2
	s_delay_alu instid0(VALU_DEP_1) | instskip(SKIP_2) | instid1(SALU_CYCLE_1)
	v_add_co_ci_u32_e64 v3, s0, s7, v3, s0
	global_load_b32 v9, v[2:3], off
	s_or_b32 exec_lo, exec_lo, s10
	s_mov_b32 s10, exec_lo
	v_cmpx_gt_i32_e64 s9, v1
	s_cbranch_execz .LBB518_6
.LBB518_9:
	v_dual_mov_b32 v2, 0 :: v_dual_add_nc_u32 v1, s8, v1
	s_delay_alu instid0(VALU_DEP_1) | instskip(NEXT) | instid1(VALU_DEP_1)
	v_lshlrev_b64 v[1:2], 2, v[1:2]
	v_add_co_u32 v1, s0, s6, v1
	s_delay_alu instid0(VALU_DEP_1)
	v_add_co_ci_u32_e64 v2, s0, s7, v2, s0
	global_load_b32 v6, v[1:2], off
	s_or_b32 exec_lo, exec_lo, s10
                                        ; implicit-def: $vgpr1_vgpr2_vgpr3_vgpr4
	s_and_saveexec_b32 s6, vcc_lo
	s_cbranch_execz .LBB518_7
.LBB518_10:
	v_mov_b32_e32 v1, s1
	s_mov_b32 s7, exec_lo
	s_waitcnt vmcnt(0)
	v_cmpx_o_f32_e32 v10, v10
	s_cbranch_execz .LBB518_14
; %bb.11:
	v_mov_b32_e32 v1, s2
	s_mov_b32 s10, exec_lo
	v_cmpx_neq_f32_e32 0x7f800000, v10
; %bb.12:
	v_cmp_eq_f32_e64 s0, 0xff800000, v10
	s_delay_alu instid0(VALU_DEP_1)
	v_cndmask_b32_e64 v1, v10, s3, s0
; %bb.13:
	s_or_b32 exec_lo, exec_lo, s10
.LBB518_14:
	s_delay_alu instid0(SALU_CYCLE_1) | instskip(NEXT) | instid1(SALU_CYCLE_1)
	s_or_b32 exec_lo, exec_lo, s7
	s_or_b32 exec_lo, exec_lo, s6
	s_delay_alu instid0(SALU_CYCLE_1)
	s_mov_b32 s6, exec_lo
	v_cmpx_gt_i32_e64 s9, v7
	s_cbranch_execz .LBB518_20
.LBB518_15:
	v_mov_b32_e32 v2, s1
	s_mov_b32 s7, exec_lo
	s_waitcnt vmcnt(0)
	v_cmpx_o_f32_e32 v8, v8
	s_cbranch_execz .LBB518_19
; %bb.16:
	v_mov_b32_e32 v2, s2
	s_mov_b32 s10, exec_lo
	v_cmpx_neq_f32_e32 0x7f800000, v8
; %bb.17:
	v_cmp_eq_f32_e64 s0, 0xff800000, v8
	s_delay_alu instid0(VALU_DEP_1)
	v_cndmask_b32_e64 v2, v8, s3, s0
; %bb.18:
	s_or_b32 exec_lo, exec_lo, s10
.LBB518_19:
	s_delay_alu instid0(SALU_CYCLE_1)
	s_or_b32 exec_lo, exec_lo, s7
.LBB518_20:
	s_delay_alu instid0(SALU_CYCLE_1) | instskip(SKIP_3) | instid1(VALU_DEP_1)
	s_or_b32 exec_lo, exec_lo, s6
	s_waitcnt vmcnt(0)
	v_or_b32_e32 v8, 0x200, v0
	s_mov_b32 s6, exec_lo
	v_cmpx_gt_i32_e64 s9, v8
	s_cbranch_execz .LBB518_26
; %bb.21:
	v_mov_b32_e32 v3, s1
	s_mov_b32 s7, exec_lo
	v_cmpx_o_f32_e32 v9, v9
	s_cbranch_execz .LBB518_25
; %bb.22:
	v_mov_b32_e32 v3, s2
	s_mov_b32 s10, exec_lo
	v_cmpx_neq_f32_e32 0x7f800000, v9
; %bb.23:
	v_cmp_eq_f32_e64 s0, 0xff800000, v9
	s_delay_alu instid0(VALU_DEP_1)
	v_cndmask_b32_e64 v3, v9, s3, s0
; %bb.24:
	s_or_b32 exec_lo, exec_lo, s10
.LBB518_25:
	s_delay_alu instid0(SALU_CYCLE_1)
	s_or_b32 exec_lo, exec_lo, s7
.LBB518_26:
	s_delay_alu instid0(SALU_CYCLE_1) | instskip(SKIP_2) | instid1(VALU_DEP_1)
	s_or_b32 exec_lo, exec_lo, s6
	v_or_b32_e32 v8, 0x300, v0
	s_mov_b32 s6, exec_lo
	v_cmpx_gt_i32_e64 s9, v8
	s_cbranch_execnz .LBB518_32
; %bb.27:
	s_or_b32 exec_lo, exec_lo, s6
	s_and_saveexec_b32 s0, vcc_lo
	s_delay_alu instid0(SALU_CYCLE_1)
	s_xor_b32 s0, exec_lo, s0
	s_cbranch_execnz .LBB518_37
.LBB518_28:
	s_or_b32 exec_lo, exec_lo, s0
	s_delay_alu instid0(SALU_CYCLE_1)
	s_mov_b32 s0, exec_lo
	v_cmpx_gt_i32_e64 s9, v0
	s_cbranch_execnz .LBB518_38
.LBB518_29:
	s_or_b32 exec_lo, exec_lo, s0
	s_delay_alu instid0(SALU_CYCLE_1)
	s_mov_b32 s0, exec_lo
	v_cmpx_gt_i32_e64 s9, v0
	s_cbranch_execnz .LBB518_39
.LBB518_30:
	s_or_b32 exec_lo, exec_lo, s0
	s_delay_alu instid0(SALU_CYCLE_1)
	s_mov_b32 s0, exec_lo
	v_cmpx_gt_i32_e64 s9, v0
	s_cbranch_execnz .LBB518_40
.LBB518_31:
	s_nop 0
	s_sendmsg sendmsg(MSG_DEALLOC_VGPRS)
	s_endpgm
.LBB518_32:
	v_mov_b32_e32 v4, s1
	s_mov_b32 s1, exec_lo
	v_cmpx_o_f32_e32 v6, v6
	s_cbranch_execz .LBB518_36
; %bb.33:
	v_mov_b32_e32 v4, s2
	s_mov_b32 s2, exec_lo
	v_cmpx_neq_f32_e32 0x7f800000, v6
; %bb.34:
	v_cmp_eq_f32_e64 s0, 0xff800000, v6
	s_delay_alu instid0(VALU_DEP_1)
	v_cndmask_b32_e64 v4, v6, s3, s0
; %bb.35:
	s_or_b32 exec_lo, exec_lo, s2
.LBB518_36:
	s_delay_alu instid0(SALU_CYCLE_1) | instskip(NEXT) | instid1(SALU_CYCLE_1)
	s_or_b32 exec_lo, exec_lo, s1
	s_or_b32 exec_lo, exec_lo, s6
	s_and_saveexec_b32 s0, vcc_lo
	s_delay_alu instid0(SALU_CYCLE_1)
	s_xor_b32 s0, exec_lo, s0
	s_cbranch_execz .LBB518_28
.LBB518_37:
	v_mov_b32_e32 v6, 0
	v_mov_b32_e32 v0, v7
	s_delay_alu instid0(VALU_DEP_2) | instskip(NEXT) | instid1(VALU_DEP_1)
	v_lshlrev_b64 v[5:6], 2, v[5:6]
	v_add_co_u32 v5, vcc_lo, s4, v5
	s_delay_alu instid0(VALU_DEP_2) | instskip(SKIP_2) | instid1(SALU_CYCLE_1)
	v_add_co_ci_u32_e32 v6, vcc_lo, s5, v6, vcc_lo
	global_store_b32 v[5:6], v1, off
	s_or_b32 exec_lo, exec_lo, s0
	s_mov_b32 s0, exec_lo
	v_cmpx_gt_i32_e64 s9, v0
	s_cbranch_execz .LBB518_29
.LBB518_38:
	v_dual_mov_b32 v6, 0 :: v_dual_add_nc_u32 v5, s8, v0
	v_add_nc_u32_e32 v0, 0x100, v0
	s_delay_alu instid0(VALU_DEP_2) | instskip(NEXT) | instid1(VALU_DEP_1)
	v_lshlrev_b64 v[5:6], 2, v[5:6]
	v_add_co_u32 v5, vcc_lo, s4, v5
	s_delay_alu instid0(VALU_DEP_2) | instskip(SKIP_2) | instid1(SALU_CYCLE_1)
	v_add_co_ci_u32_e32 v6, vcc_lo, s5, v6, vcc_lo
	global_store_b32 v[5:6], v2, off
	s_or_b32 exec_lo, exec_lo, s0
	s_mov_b32 s0, exec_lo
	v_cmpx_gt_i32_e64 s9, v0
	s_cbranch_execz .LBB518_30
.LBB518_39:
	v_dual_mov_b32 v2, 0 :: v_dual_add_nc_u32 v1, s8, v0
	v_add_nc_u32_e32 v0, 0x100, v0
	s_delay_alu instid0(VALU_DEP_2) | instskip(NEXT) | instid1(VALU_DEP_1)
	v_lshlrev_b64 v[1:2], 2, v[1:2]
	v_add_co_u32 v1, vcc_lo, s4, v1
	s_delay_alu instid0(VALU_DEP_2) | instskip(SKIP_2) | instid1(SALU_CYCLE_1)
	v_add_co_ci_u32_e32 v2, vcc_lo, s5, v2, vcc_lo
	global_store_b32 v[1:2], v3, off
	s_or_b32 exec_lo, exec_lo, s0
	s_mov_b32 s0, exec_lo
	v_cmpx_gt_i32_e64 s9, v0
	s_cbranch_execz .LBB518_31
.LBB518_40:
	v_dual_mov_b32 v1, 0 :: v_dual_add_nc_u32 v0, s8, v0
	s_delay_alu instid0(VALU_DEP_1) | instskip(NEXT) | instid1(VALU_DEP_1)
	v_lshlrev_b64 v[0:1], 2, v[0:1]
	v_add_co_u32 v0, vcc_lo, s4, v0
	s_delay_alu instid0(VALU_DEP_2)
	v_add_co_ci_u32_e32 v1, vcc_lo, s5, v1, vcc_lo
	global_store_b32 v[0:1], v4, off
	s_nop 0
	s_sendmsg sendmsg(MSG_DEALLOC_VGPRS)
	s_endpgm
	.section	.rodata,"a",@progbits
	.p2align	6, 0x0
	.amdhsa_kernel _ZN2at6native27unrolled_elementwise_kernelIZZZNS0_22nan_to_num_kernel_cudaERNS_18TensorIteratorBaseESt8optionalIdES5_S5_ENKUlvE0_clEvENKUlvE0_clEvEUlfE_St5arrayIPcLm2EELi4E23TrivialOffsetCalculatorILi1EjESD_NS0_6memory15LoadWithoutCastENSE_16StoreWithoutCastEEEviT_T0_T2_T3_T4_T5_
		.amdhsa_group_segment_fixed_size 0
		.amdhsa_private_segment_fixed_size 0
		.amdhsa_kernarg_size 36
		.amdhsa_user_sgpr_count 15
		.amdhsa_user_sgpr_dispatch_ptr 0
		.amdhsa_user_sgpr_queue_ptr 0
		.amdhsa_user_sgpr_kernarg_segment_ptr 1
		.amdhsa_user_sgpr_dispatch_id 0
		.amdhsa_user_sgpr_private_segment_size 0
		.amdhsa_wavefront_size32 1
		.amdhsa_uses_dynamic_stack 0
		.amdhsa_enable_private_segment 0
		.amdhsa_system_sgpr_workgroup_id_x 1
		.amdhsa_system_sgpr_workgroup_id_y 0
		.amdhsa_system_sgpr_workgroup_id_z 0
		.amdhsa_system_sgpr_workgroup_info 0
		.amdhsa_system_vgpr_workitem_id 0
		.amdhsa_next_free_vgpr 11
		.amdhsa_next_free_sgpr 16
		.amdhsa_reserve_vcc 1
		.amdhsa_float_round_mode_32 0
		.amdhsa_float_round_mode_16_64 0
		.amdhsa_float_denorm_mode_32 3
		.amdhsa_float_denorm_mode_16_64 3
		.amdhsa_dx10_clamp 1
		.amdhsa_ieee_mode 1
		.amdhsa_fp16_overflow 0
		.amdhsa_workgroup_processor_mode 1
		.amdhsa_memory_ordered 1
		.amdhsa_forward_progress 0
		.amdhsa_shared_vgpr_count 0
		.amdhsa_exception_fp_ieee_invalid_op 0
		.amdhsa_exception_fp_denorm_src 0
		.amdhsa_exception_fp_ieee_div_zero 0
		.amdhsa_exception_fp_ieee_overflow 0
		.amdhsa_exception_fp_ieee_underflow 0
		.amdhsa_exception_fp_ieee_inexact 0
		.amdhsa_exception_int_div_zero 0
	.end_amdhsa_kernel
	.section	.text._ZN2at6native27unrolled_elementwise_kernelIZZZNS0_22nan_to_num_kernel_cudaERNS_18TensorIteratorBaseESt8optionalIdES5_S5_ENKUlvE0_clEvENKUlvE0_clEvEUlfE_St5arrayIPcLm2EELi4E23TrivialOffsetCalculatorILi1EjESD_NS0_6memory15LoadWithoutCastENSE_16StoreWithoutCastEEEviT_T0_T2_T3_T4_T5_,"axG",@progbits,_ZN2at6native27unrolled_elementwise_kernelIZZZNS0_22nan_to_num_kernel_cudaERNS_18TensorIteratorBaseESt8optionalIdES5_S5_ENKUlvE0_clEvENKUlvE0_clEvEUlfE_St5arrayIPcLm2EELi4E23TrivialOffsetCalculatorILi1EjESD_NS0_6memory15LoadWithoutCastENSE_16StoreWithoutCastEEEviT_T0_T2_T3_T4_T5_,comdat
.Lfunc_end518:
	.size	_ZN2at6native27unrolled_elementwise_kernelIZZZNS0_22nan_to_num_kernel_cudaERNS_18TensorIteratorBaseESt8optionalIdES5_S5_ENKUlvE0_clEvENKUlvE0_clEvEUlfE_St5arrayIPcLm2EELi4E23TrivialOffsetCalculatorILi1EjESD_NS0_6memory15LoadWithoutCastENSE_16StoreWithoutCastEEEviT_T0_T2_T3_T4_T5_, .Lfunc_end518-_ZN2at6native27unrolled_elementwise_kernelIZZZNS0_22nan_to_num_kernel_cudaERNS_18TensorIteratorBaseESt8optionalIdES5_S5_ENKUlvE0_clEvENKUlvE0_clEvEUlfE_St5arrayIPcLm2EELi4E23TrivialOffsetCalculatorILi1EjESD_NS0_6memory15LoadWithoutCastENSE_16StoreWithoutCastEEEviT_T0_T2_T3_T4_T5_
                                        ; -- End function
	.section	.AMDGPU.csdata,"",@progbits
; Kernel info:
; codeLenInByte = 1180
; NumSgprs: 18
; NumVgprs: 11
; ScratchSize: 0
; MemoryBound: 0
; FloatMode: 240
; IeeeMode: 1
; LDSByteSize: 0 bytes/workgroup (compile time only)
; SGPRBlocks: 2
; VGPRBlocks: 1
; NumSGPRsForWavesPerEU: 18
; NumVGPRsForWavesPerEU: 11
; Occupancy: 16
; WaveLimiterHint : 0
; COMPUTE_PGM_RSRC2:SCRATCH_EN: 0
; COMPUTE_PGM_RSRC2:USER_SGPR: 15
; COMPUTE_PGM_RSRC2:TRAP_HANDLER: 0
; COMPUTE_PGM_RSRC2:TGID_X_EN: 1
; COMPUTE_PGM_RSRC2:TGID_Y_EN: 0
; COMPUTE_PGM_RSRC2:TGID_Z_EN: 0
; COMPUTE_PGM_RSRC2:TIDIG_COMP_CNT: 0
	.section	.text._ZN2at6native32elementwise_kernel_manual_unrollILi128ELi4EZNS0_22gpu_kernel_impl_nocastIZZZNS0_22nan_to_num_kernel_cudaERNS_18TensorIteratorBaseESt8optionalIdES6_S6_ENKUlvE0_clEvENKUlvE0_clEvEUlfE_EEvS4_RKT_EUlibE_EEviT1_,"axG",@progbits,_ZN2at6native32elementwise_kernel_manual_unrollILi128ELi4EZNS0_22gpu_kernel_impl_nocastIZZZNS0_22nan_to_num_kernel_cudaERNS_18TensorIteratorBaseESt8optionalIdES6_S6_ENKUlvE0_clEvENKUlvE0_clEvEUlfE_EEvS4_RKT_EUlibE_EEviT1_,comdat
	.globl	_ZN2at6native32elementwise_kernel_manual_unrollILi128ELi4EZNS0_22gpu_kernel_impl_nocastIZZZNS0_22nan_to_num_kernel_cudaERNS_18TensorIteratorBaseESt8optionalIdES6_S6_ENKUlvE0_clEvENKUlvE0_clEvEUlfE_EEvS4_RKT_EUlibE_EEviT1_ ; -- Begin function _ZN2at6native32elementwise_kernel_manual_unrollILi128ELi4EZNS0_22gpu_kernel_impl_nocastIZZZNS0_22nan_to_num_kernel_cudaERNS_18TensorIteratorBaseESt8optionalIdES6_S6_ENKUlvE0_clEvENKUlvE0_clEvEUlfE_EEvS4_RKT_EUlibE_EEviT1_
	.p2align	8
	.type	_ZN2at6native32elementwise_kernel_manual_unrollILi128ELi4EZNS0_22gpu_kernel_impl_nocastIZZZNS0_22nan_to_num_kernel_cudaERNS_18TensorIteratorBaseESt8optionalIdES6_S6_ENKUlvE0_clEvENKUlvE0_clEvEUlfE_EEvS4_RKT_EUlibE_EEviT1_,@function
_ZN2at6native32elementwise_kernel_manual_unrollILi128ELi4EZNS0_22gpu_kernel_impl_nocastIZZZNS0_22nan_to_num_kernel_cudaERNS_18TensorIteratorBaseESt8optionalIdES6_S6_ENKUlvE0_clEvENKUlvE0_clEvEUlfE_EEvS4_RKT_EUlibE_EEviT1_: ; @_ZN2at6native32elementwise_kernel_manual_unrollILi128ELi4EZNS0_22gpu_kernel_impl_nocastIZZZNS0_22nan_to_num_kernel_cudaERNS_18TensorIteratorBaseESt8optionalIdES6_S6_ENKUlvE0_clEvENKUlvE0_clEvEUlfE_EEvS4_RKT_EUlibE_EEviT1_
; %bb.0:
	s_clause 0x1
	s_load_b32 s26, s[0:1], 0x8
	s_load_b32 s30, s[0:1], 0x0
	v_lshl_or_b32 v4, s15, 9, v0
	s_or_b32 s0, s0, 8
	s_mov_b32 s2, exec_lo
	s_delay_alu instid0(VALU_DEP_1) | instskip(SKIP_2) | instid1(SALU_CYCLE_1)
	v_or_b32_e32 v8, 0x180, v4
	s_waitcnt lgkmcnt(0)
	s_add_i32 s27, s26, -1
	s_cmp_gt_u32 s27, 1
	s_cselect_b32 s28, -1, 0
	v_cmpx_le_i32_e64 s30, v8
	s_xor_b32 s29, exec_lo, s2
	s_cbranch_execz .LBB519_7
; %bb.1:
	s_clause 0x3
	s_load_b128 s[16:19], s[0:1], 0x4
	s_load_b64 s[2:3], s[0:1], 0x14
	s_load_b128 s[12:15], s[0:1], 0xc4
	s_load_b256 s[4:11], s[0:1], 0x148
	s_cmp_lg_u32 s26, 0
	s_mov_b32 s34, exec_lo
	s_cselect_b32 s33, -1, 0
	s_add_u32 s20, s0, 0xc4
	s_addc_u32 s21, s1, 0
	s_min_u32 s31, s27, 15
	s_cmp_gt_u32 s26, 1
	s_waitcnt lgkmcnt(0)
	s_cselect_b32 s11, -1, 0
	v_cmpx_gt_i32_e64 s30, v4
	s_cbranch_execz .LBB519_14
; %bb.2:
	s_and_not1_b32 vcc_lo, exec_lo, s28
	s_cbranch_vccnz .LBB519_21
; %bb.3:
	v_dual_mov_b32 v0, 0 :: v_dual_mov_b32 v1, 0
	s_and_not1_b32 vcc_lo, exec_lo, s33
	s_mov_b32 s35, 0
	s_cbranch_vccnz .LBB519_89
; %bb.4:
	v_mov_b32_e32 v0, 0
	s_add_i32 s37, s31, 1
	s_cmp_eq_u32 s27, 2
	s_mov_b32 s36, 0
	s_cbranch_scc1 .LBB519_85
; %bb.5:
	v_dual_mov_b32 v1, 0 :: v_dual_mov_b32 v0, 0
	v_mov_b32_e32 v2, v4
	s_and_b32 s36, s37, 28
	s_mov_b32 s38, 0
	s_mov_b64 s[22:23], s[20:21]
	s_mov_b64 s[24:25], s[0:1]
.LBB519_6:                              ; =>This Inner Loop Header: Depth=1
	s_clause 0x1
	s_load_b256 s[40:47], s[24:25], 0x4
	s_load_b128 s[56:59], s[24:25], 0x24
	s_load_b256 s[48:55], s[22:23], 0x0
	s_add_u32 s24, s24, 48
	s_addc_u32 s25, s25, 0
	s_add_i32 s38, s38, 4
	s_add_u32 s22, s22, 32
	s_addc_u32 s23, s23, 0
	s_cmp_lg_u32 s36, s38
	s_waitcnt lgkmcnt(0)
	v_mul_hi_u32 v3, s41, v2
	s_delay_alu instid0(VALU_DEP_1) | instskip(NEXT) | instid1(VALU_DEP_1)
	v_add_nc_u32_e32 v3, v2, v3
	v_lshrrev_b32_e32 v3, s42, v3
	s_delay_alu instid0(VALU_DEP_1) | instskip(SKIP_1) | instid1(VALU_DEP_2)
	v_mul_hi_u32 v5, s44, v3
	v_mul_lo_u32 v7, v3, s40
	v_add_nc_u32_e32 v5, v3, v5
	s_delay_alu instid0(VALU_DEP_2) | instskip(NEXT) | instid1(VALU_DEP_2)
	v_sub_nc_u32_e32 v2, v2, v7
	v_lshrrev_b32_e32 v5, s45, v5
	s_delay_alu instid0(VALU_DEP_2) | instskip(SKIP_1) | instid1(VALU_DEP_3)
	v_mul_lo_u32 v7, v2, s48
	v_mul_lo_u32 v9, v2, s49
	v_mul_hi_u32 v6, s47, v5
	s_delay_alu instid0(VALU_DEP_1) | instskip(NEXT) | instid1(VALU_DEP_1)
	v_add_nc_u32_e32 v6, v5, v6
	v_lshrrev_b32_e32 v6, s56, v6
	s_delay_alu instid0(VALU_DEP_1) | instskip(SKIP_1) | instid1(VALU_DEP_2)
	v_mul_hi_u32 v8, s58, v6
	v_mul_lo_u32 v10, v6, s46
	v_add_nc_u32_e32 v2, v6, v8
	v_mul_lo_u32 v8, v5, s43
	s_delay_alu instid0(VALU_DEP_3) | instskip(NEXT) | instid1(VALU_DEP_3)
	v_sub_nc_u32_e32 v5, v5, v10
	v_lshrrev_b32_e32 v2, s59, v2
	s_delay_alu instid0(VALU_DEP_2) | instskip(SKIP_2) | instid1(VALU_DEP_4)
	v_mul_lo_u32 v10, v5, s52
	v_mul_lo_u32 v5, v5, s53
	v_sub_nc_u32_e32 v3, v3, v8
	v_mul_lo_u32 v11, v2, s57
	s_delay_alu instid0(VALU_DEP_2) | instskip(SKIP_1) | instid1(VALU_DEP_3)
	v_mul_lo_u32 v8, v3, s50
	v_mul_lo_u32 v3, v3, s51
	v_sub_nc_u32_e32 v6, v6, v11
	s_delay_alu instid0(VALU_DEP_3) | instskip(NEXT) | instid1(VALU_DEP_2)
	v_add3_u32 v0, v7, v0, v8
	v_mul_lo_u32 v11, v6, s54
	v_mul_lo_u32 v6, v6, s55
	v_add3_u32 v1, v9, v1, v3
	s_delay_alu instid0(VALU_DEP_3) | instskip(NEXT) | instid1(VALU_DEP_2)
	v_add3_u32 v0, v10, v0, v11
	v_add3_u32 v1, v5, v1, v6
	s_cbranch_scc1 .LBB519_6
	s_branch .LBB519_86
.LBB519_7:
	s_and_not1_saveexec_b32 s2, s29
	s_cbranch_execz .LBB519_118
.LBB519_8:
	v_cndmask_b32_e64 v6, 0, 1, s28
	s_and_not1_b32 vcc_lo, exec_lo, s28
	s_cbranch_vccnz .LBB519_20
; %bb.9:
	v_dual_mov_b32 v0, 0 :: v_dual_mov_b32 v1, 0
	s_cmp_lg_u32 s26, 0
	s_mov_b32 s6, 0
	s_cbranch_scc0 .LBB519_26
; %bb.10:
	s_min_u32 s7, s27, 15
	v_mov_b32_e32 v0, 0
	s_add_i32 s7, s7, 1
	s_cmp_eq_u32 s27, 2
	s_mov_b32 s8, 0
	s_cbranch_scc1 .LBB519_23
; %bb.11:
	v_dual_mov_b32 v1, 0 :: v_dual_mov_b32 v0, 0
	v_mov_b32_e32 v2, v4
	s_add_u32 s2, s0, 0xc4
	s_addc_u32 s3, s1, 0
	s_and_b32 s8, s7, 28
	s_mov_b32 s9, 0
	s_mov_b64 s[4:5], s[0:1]
.LBB519_12:                             ; =>This Inner Loop Header: Depth=1
	s_clause 0x1
	s_load_b256 s[12:19], s[4:5], 0x4
	s_load_b128 s[20:23], s[4:5], 0x24
	s_load_b256 s[36:43], s[2:3], 0x0
	s_add_u32 s4, s4, 48
	s_addc_u32 s5, s5, 0
	s_add_i32 s9, s9, 4
	s_add_u32 s2, s2, 32
	s_addc_u32 s3, s3, 0
	s_cmp_lg_u32 s8, s9
	s_waitcnt lgkmcnt(0)
	v_mul_hi_u32 v3, s13, v2
	s_delay_alu instid0(VALU_DEP_1) | instskip(NEXT) | instid1(VALU_DEP_1)
	v_add_nc_u32_e32 v3, v2, v3
	v_lshrrev_b32_e32 v3, s14, v3
	s_delay_alu instid0(VALU_DEP_1) | instskip(SKIP_1) | instid1(VALU_DEP_2)
	v_mul_hi_u32 v5, s16, v3
	v_mul_lo_u32 v9, v3, s12
	v_add_nc_u32_e32 v5, v3, v5
	s_delay_alu instid0(VALU_DEP_2) | instskip(NEXT) | instid1(VALU_DEP_2)
	v_sub_nc_u32_e32 v2, v2, v9
	v_lshrrev_b32_e32 v5, s17, v5
	s_delay_alu instid0(VALU_DEP_2) | instskip(SKIP_1) | instid1(VALU_DEP_3)
	v_mul_lo_u32 v9, v2, s36
	v_mul_lo_u32 v11, v2, s37
	v_mul_hi_u32 v7, s19, v5
	s_delay_alu instid0(VALU_DEP_1) | instskip(NEXT) | instid1(VALU_DEP_1)
	v_add_nc_u32_e32 v7, v5, v7
	v_lshrrev_b32_e32 v7, s20, v7
	s_delay_alu instid0(VALU_DEP_1) | instskip(SKIP_1) | instid1(VALU_DEP_2)
	v_mul_hi_u32 v10, s22, v7
	v_mul_lo_u32 v12, v7, s18
	v_add_nc_u32_e32 v2, v7, v10
	v_mul_lo_u32 v10, v5, s15
	s_delay_alu instid0(VALU_DEP_3) | instskip(NEXT) | instid1(VALU_DEP_3)
	v_sub_nc_u32_e32 v5, v5, v12
	v_lshrrev_b32_e32 v2, s23, v2
	s_delay_alu instid0(VALU_DEP_2) | instskip(SKIP_2) | instid1(VALU_DEP_4)
	v_mul_lo_u32 v12, v5, s40
	v_mul_lo_u32 v5, v5, s41
	v_sub_nc_u32_e32 v3, v3, v10
	v_mul_lo_u32 v13, v2, s21
	s_delay_alu instid0(VALU_DEP_2) | instskip(SKIP_1) | instid1(VALU_DEP_3)
	v_mul_lo_u32 v10, v3, s38
	v_mul_lo_u32 v3, v3, s39
	v_sub_nc_u32_e32 v7, v7, v13
	s_delay_alu instid0(VALU_DEP_3) | instskip(NEXT) | instid1(VALU_DEP_2)
	v_add3_u32 v0, v9, v0, v10
	v_mul_lo_u32 v13, v7, s42
	v_mul_lo_u32 v7, v7, s43
	v_add3_u32 v1, v11, v1, v3
	s_delay_alu instid0(VALU_DEP_3) | instskip(NEXT) | instid1(VALU_DEP_2)
	v_add3_u32 v0, v12, v0, v13
	v_add3_u32 v1, v5, v1, v7
	s_cbranch_scc1 .LBB519_12
; %bb.13:
	s_and_b32 s7, s7, 3
	s_delay_alu instid0(SALU_CYCLE_1)
	s_cmp_eq_u32 s7, 0
	s_cbranch_scc0 .LBB519_24
	s_branch .LBB519_26
.LBB519_14:
	s_or_b32 exec_lo, exec_lo, s34
	s_delay_alu instid0(SALU_CYCLE_1)
	s_mov_b32 s34, exec_lo
	v_cmpx_gt_i32_e64 s30, v4
	s_cbranch_execz .LBB519_97
.LBB519_15:
	s_and_not1_b32 vcc_lo, exec_lo, s28
	s_cbranch_vccnz .LBB519_22
; %bb.16:
	v_dual_mov_b32 v0, 0 :: v_dual_mov_b32 v1, 0
	s_and_not1_b32 vcc_lo, exec_lo, s33
	s_mov_b32 s35, 0
	s_cbranch_vccnz .LBB519_108
; %bb.17:
	v_mov_b32_e32 v0, 0
	s_add_i32 s37, s31, 1
	s_cmp_eq_u32 s27, 2
	s_mov_b32 s36, 0
	s_cbranch_scc1 .LBB519_104
; %bb.18:
	v_dual_mov_b32 v1, 0 :: v_dual_mov_b32 v0, 0
	v_mov_b32_e32 v2, v4
	s_and_b32 s36, s37, 28
	s_mov_b32 s38, 0
	s_mov_b64 s[22:23], s[20:21]
	s_mov_b64 s[24:25], s[0:1]
.LBB519_19:                             ; =>This Inner Loop Header: Depth=1
	s_clause 0x1
	s_load_b256 s[40:47], s[24:25], 0x4
	s_load_b128 s[56:59], s[24:25], 0x24
	s_load_b256 s[48:55], s[22:23], 0x0
	s_add_u32 s24, s24, 48
	s_addc_u32 s25, s25, 0
	s_add_i32 s38, s38, 4
	s_add_u32 s22, s22, 32
	s_addc_u32 s23, s23, 0
	s_cmp_eq_u32 s36, s38
	s_waitcnt lgkmcnt(0)
	v_mul_hi_u32 v3, s41, v2
	s_delay_alu instid0(VALU_DEP_1) | instskip(NEXT) | instid1(VALU_DEP_1)
	v_add_nc_u32_e32 v3, v2, v3
	v_lshrrev_b32_e32 v3, s42, v3
	s_delay_alu instid0(VALU_DEP_1) | instskip(SKIP_1) | instid1(VALU_DEP_2)
	v_mul_hi_u32 v5, s44, v3
	v_mul_lo_u32 v7, v3, s40
	v_add_nc_u32_e32 v5, v3, v5
	s_delay_alu instid0(VALU_DEP_2) | instskip(NEXT) | instid1(VALU_DEP_2)
	v_sub_nc_u32_e32 v2, v2, v7
	v_lshrrev_b32_e32 v5, s45, v5
	s_delay_alu instid0(VALU_DEP_2) | instskip(SKIP_1) | instid1(VALU_DEP_3)
	v_mul_lo_u32 v7, v2, s48
	v_mul_lo_u32 v9, v2, s49
	v_mul_hi_u32 v6, s47, v5
	s_delay_alu instid0(VALU_DEP_1) | instskip(NEXT) | instid1(VALU_DEP_1)
	v_add_nc_u32_e32 v6, v5, v6
	v_lshrrev_b32_e32 v6, s56, v6
	s_delay_alu instid0(VALU_DEP_1) | instskip(SKIP_1) | instid1(VALU_DEP_2)
	v_mul_hi_u32 v8, s58, v6
	v_mul_lo_u32 v10, v6, s46
	v_add_nc_u32_e32 v2, v6, v8
	v_mul_lo_u32 v8, v5, s43
	s_delay_alu instid0(VALU_DEP_3) | instskip(NEXT) | instid1(VALU_DEP_3)
	v_sub_nc_u32_e32 v5, v5, v10
	v_lshrrev_b32_e32 v2, s59, v2
	s_delay_alu instid0(VALU_DEP_2) | instskip(SKIP_2) | instid1(VALU_DEP_4)
	v_mul_lo_u32 v10, v5, s52
	v_mul_lo_u32 v5, v5, s53
	v_sub_nc_u32_e32 v3, v3, v8
	v_mul_lo_u32 v11, v2, s57
	s_delay_alu instid0(VALU_DEP_2) | instskip(SKIP_1) | instid1(VALU_DEP_3)
	v_mul_lo_u32 v8, v3, s50
	v_mul_lo_u32 v3, v3, s51
	v_sub_nc_u32_e32 v6, v6, v11
	s_delay_alu instid0(VALU_DEP_3) | instskip(NEXT) | instid1(VALU_DEP_2)
	v_add3_u32 v0, v7, v0, v8
	v_mul_lo_u32 v11, v6, s54
	v_mul_lo_u32 v6, v6, s55
	v_add3_u32 v1, v9, v1, v3
	s_delay_alu instid0(VALU_DEP_3) | instskip(NEXT) | instid1(VALU_DEP_2)
	v_add3_u32 v0, v10, v0, v11
	v_add3_u32 v1, v5, v1, v6
	s_cbranch_scc0 .LBB519_19
	s_branch .LBB519_105
.LBB519_20:
	s_mov_b32 s6, -1
                                        ; implicit-def: $vgpr0
                                        ; implicit-def: $vgpr1
	s_branch .LBB519_26
.LBB519_21:
	s_mov_b32 s35, -1
                                        ; implicit-def: $vgpr0
                                        ; implicit-def: $vgpr1
	s_branch .LBB519_89
.LBB519_22:
	s_mov_b32 s35, -1
                                        ; implicit-def: $vgpr0
                                        ; implicit-def: $vgpr1
	s_branch .LBB519_108
.LBB519_23:
	v_dual_mov_b32 v2, v4 :: v_dual_mov_b32 v1, 0
	s_and_b32 s7, s7, 3
	s_delay_alu instid0(SALU_CYCLE_1)
	s_cmp_eq_u32 s7, 0
	s_cbranch_scc1 .LBB519_26
.LBB519_24:
	s_lshl_b32 s2, s8, 3
	s_mul_i32 s4, s8, 12
	s_add_u32 s2, s2, s0
	s_addc_u32 s3, 0, s1
	s_add_u32 s2, s2, 0xc4
	s_addc_u32 s3, s3, 0
	;; [unrolled: 2-line block ×3, first 2 shown]
	.p2align	6
.LBB519_25:                             ; =>This Inner Loop Header: Depth=1
	s_clause 0x1
	s_load_b64 s[8:9], s[4:5], 0x4
	s_load_b32 s12, s[4:5], 0xc
	s_load_b64 s[10:11], s[2:3], 0x0
	s_add_u32 s4, s4, 12
	s_addc_u32 s5, s5, 0
	s_add_u32 s2, s2, 8
	s_addc_u32 s3, s3, 0
	s_add_i32 s7, s7, -1
	s_delay_alu instid0(SALU_CYCLE_1) | instskip(SKIP_2) | instid1(VALU_DEP_1)
	s_cmp_lg_u32 s7, 0
	s_waitcnt lgkmcnt(0)
	v_mul_hi_u32 v3, s9, v2
	v_add_nc_u32_e32 v3, v2, v3
	s_delay_alu instid0(VALU_DEP_1) | instskip(NEXT) | instid1(VALU_DEP_1)
	v_lshrrev_b32_e32 v3, s12, v3
	v_mul_lo_u32 v5, v3, s8
	s_delay_alu instid0(VALU_DEP_1) | instskip(NEXT) | instid1(VALU_DEP_1)
	v_sub_nc_u32_e32 v2, v2, v5
	v_mad_u64_u32 v[9:10], null, v2, s10, v[0:1]
	v_mad_u64_u32 v[10:11], null, v2, s11, v[1:2]
	v_mov_b32_e32 v2, v3
	s_delay_alu instid0(VALU_DEP_2)
	v_dual_mov_b32 v0, v9 :: v_dual_mov_b32 v1, v10
	s_cbranch_scc1 .LBB519_25
.LBB519_26:
	s_and_not1_b32 vcc_lo, exec_lo, s6
	s_cbranch_vccnz .LBB519_29
; %bb.27:
	s_clause 0x1
	s_load_b128 s[4:7], s[0:1], 0x4
	s_load_b64 s[2:3], s[0:1], 0xc4
	s_cmp_lt_u32 s26, 2
	s_waitcnt lgkmcnt(0)
	v_mul_hi_u32 v0, s5, v4
	s_delay_alu instid0(VALU_DEP_1) | instskip(NEXT) | instid1(VALU_DEP_1)
	v_add_nc_u32_e32 v0, v4, v0
	v_lshrrev_b32_e32 v2, s6, v0
	s_delay_alu instid0(VALU_DEP_1) | instskip(NEXT) | instid1(VALU_DEP_1)
	v_mul_lo_u32 v0, v2, s4
	v_sub_nc_u32_e32 v1, v4, v0
	s_delay_alu instid0(VALU_DEP_1)
	v_mul_lo_u32 v0, v1, s2
	v_mul_lo_u32 v1, v1, s3
	s_cbranch_scc1 .LBB519_29
; %bb.28:
	s_clause 0x1
	s_load_b128 s[4:7], s[0:1], 0x10
	s_load_b64 s[2:3], s[0:1], 0xcc
	s_waitcnt lgkmcnt(0)
	v_mul_hi_u32 v3, s5, v2
	s_delay_alu instid0(VALU_DEP_1) | instskip(NEXT) | instid1(VALU_DEP_1)
	v_add_nc_u32_e32 v3, v2, v3
	v_lshrrev_b32_e32 v3, s6, v3
	s_delay_alu instid0(VALU_DEP_1) | instskip(NEXT) | instid1(VALU_DEP_1)
	v_mul_lo_u32 v3, v3, s4
	v_sub_nc_u32_e32 v5, v2, v3
	s_delay_alu instid0(VALU_DEP_1) | instskip(NEXT) | instid1(VALU_DEP_1)
	v_mad_u64_u32 v[2:3], null, v5, s2, v[0:1]
	v_mad_u64_u32 v[9:10], null, v5, s3, v[1:2]
	s_delay_alu instid0(VALU_DEP_1)
	v_dual_mov_b32 v0, v2 :: v_dual_mov_b32 v1, v9
.LBB519_29:
	v_cmp_ne_u32_e32 vcc_lo, 1, v6
	v_add_nc_u32_e32 v5, 0x80, v4
	s_cbranch_vccnz .LBB519_35
; %bb.30:
	v_dual_mov_b32 v2, 0 :: v_dual_mov_b32 v3, 0
	s_cmp_lg_u32 s26, 0
	s_mov_b32 s6, 0
	s_cbranch_scc0 .LBB519_39
; %bb.31:
	s_min_u32 s7, s27, 15
	v_mov_b32_e32 v2, 0
	s_add_i32 s7, s7, 1
	s_cmp_eq_u32 s27, 2
	s_mov_b32 s8, 0
	s_cbranch_scc1 .LBB519_36
; %bb.32:
	v_dual_mov_b32 v3, 0 :: v_dual_mov_b32 v2, 0
	v_mov_b32_e32 v7, v5
	s_add_u32 s2, s0, 0xc4
	s_addc_u32 s3, s1, 0
	s_and_b32 s8, s7, 28
	s_mov_b32 s9, 0
	s_mov_b64 s[4:5], s[0:1]
.LBB519_33:                             ; =>This Inner Loop Header: Depth=1
	s_clause 0x1
	s_load_b256 s[12:19], s[4:5], 0x4
	s_load_b128 s[20:23], s[4:5], 0x24
	s_load_b256 s[36:43], s[2:3], 0x0
	s_add_u32 s4, s4, 48
	s_addc_u32 s5, s5, 0
	s_add_i32 s9, s9, 4
	s_add_u32 s2, s2, 32
	s_addc_u32 s3, s3, 0
	s_cmp_lg_u32 s8, s9
	s_waitcnt lgkmcnt(0)
	v_mul_hi_u32 v9, s13, v7
	s_delay_alu instid0(VALU_DEP_1) | instskip(NEXT) | instid1(VALU_DEP_1)
	v_add_nc_u32_e32 v9, v7, v9
	v_lshrrev_b32_e32 v9, s14, v9
	s_delay_alu instid0(VALU_DEP_1) | instskip(SKIP_1) | instid1(VALU_DEP_2)
	v_mul_hi_u32 v10, s16, v9
	v_mul_lo_u32 v12, v9, s12
	v_add_nc_u32_e32 v10, v9, v10
	s_delay_alu instid0(VALU_DEP_2) | instskip(NEXT) | instid1(VALU_DEP_2)
	v_sub_nc_u32_e32 v7, v7, v12
	v_lshrrev_b32_e32 v10, s17, v10
	s_delay_alu instid0(VALU_DEP_2) | instskip(SKIP_1) | instid1(VALU_DEP_3)
	v_mul_lo_u32 v12, v7, s36
	v_mul_lo_u32 v14, v7, s37
	v_mul_hi_u32 v11, s19, v10
	s_delay_alu instid0(VALU_DEP_1) | instskip(NEXT) | instid1(VALU_DEP_1)
	v_add_nc_u32_e32 v11, v10, v11
	v_lshrrev_b32_e32 v11, s20, v11
	s_delay_alu instid0(VALU_DEP_1) | instskip(SKIP_1) | instid1(VALU_DEP_2)
	v_mul_hi_u32 v13, s22, v11
	v_mul_lo_u32 v15, v11, s18
	v_add_nc_u32_e32 v7, v11, v13
	v_mul_lo_u32 v13, v10, s15
	s_delay_alu instid0(VALU_DEP_3) | instskip(NEXT) | instid1(VALU_DEP_3)
	v_sub_nc_u32_e32 v10, v10, v15
	v_lshrrev_b32_e32 v7, s23, v7
	s_delay_alu instid0(VALU_DEP_2) | instskip(SKIP_2) | instid1(VALU_DEP_4)
	v_mul_lo_u32 v15, v10, s40
	v_mul_lo_u32 v10, v10, s41
	v_sub_nc_u32_e32 v9, v9, v13
	v_mul_lo_u32 v16, v7, s21
	s_delay_alu instid0(VALU_DEP_2) | instskip(SKIP_1) | instid1(VALU_DEP_3)
	v_mul_lo_u32 v13, v9, s38
	v_mul_lo_u32 v9, v9, s39
	v_sub_nc_u32_e32 v11, v11, v16
	s_delay_alu instid0(VALU_DEP_3) | instskip(NEXT) | instid1(VALU_DEP_2)
	v_add3_u32 v2, v12, v2, v13
	v_mul_lo_u32 v16, v11, s42
	v_mul_lo_u32 v11, v11, s43
	v_add3_u32 v3, v14, v3, v9
	s_delay_alu instid0(VALU_DEP_3) | instskip(NEXT) | instid1(VALU_DEP_2)
	v_add3_u32 v2, v15, v2, v16
	v_add3_u32 v3, v10, v3, v11
	s_cbranch_scc1 .LBB519_33
; %bb.34:
	s_and_b32 s7, s7, 3
	s_delay_alu instid0(SALU_CYCLE_1)
	s_cmp_eq_u32 s7, 0
	s_cbranch_scc0 .LBB519_37
	s_branch .LBB519_39
.LBB519_35:
	s_mov_b32 s6, -1
                                        ; implicit-def: $vgpr2
                                        ; implicit-def: $vgpr3
	s_branch .LBB519_39
.LBB519_36:
	v_mov_b32_e32 v7, v5
	v_mov_b32_e32 v3, 0
	s_and_b32 s7, s7, 3
	s_delay_alu instid0(SALU_CYCLE_1)
	s_cmp_eq_u32 s7, 0
	s_cbranch_scc1 .LBB519_39
.LBB519_37:
	s_lshl_b32 s2, s8, 3
	s_mul_i32 s4, s8, 12
	s_add_u32 s2, s2, s0
	s_addc_u32 s3, 0, s1
	s_add_u32 s2, s2, 0xc4
	s_addc_u32 s3, s3, 0
	;; [unrolled: 2-line block ×3, first 2 shown]
	.p2align	6
.LBB519_38:                             ; =>This Inner Loop Header: Depth=1
	s_clause 0x1
	s_load_b64 s[8:9], s[4:5], 0x4
	s_load_b32 s12, s[4:5], 0xc
	s_load_b64 s[10:11], s[2:3], 0x0
	s_add_u32 s4, s4, 12
	s_addc_u32 s5, s5, 0
	s_add_u32 s2, s2, 8
	s_addc_u32 s3, s3, 0
	s_add_i32 s7, s7, -1
	s_delay_alu instid0(SALU_CYCLE_1) | instskip(SKIP_2) | instid1(VALU_DEP_1)
	s_cmp_lg_u32 s7, 0
	s_waitcnt lgkmcnt(0)
	v_mul_hi_u32 v9, s9, v7
	v_add_nc_u32_e32 v9, v7, v9
	s_delay_alu instid0(VALU_DEP_1) | instskip(NEXT) | instid1(VALU_DEP_1)
	v_lshrrev_b32_e32 v12, s12, v9
	v_mul_lo_u32 v9, v12, s8
	s_delay_alu instid0(VALU_DEP_1) | instskip(NEXT) | instid1(VALU_DEP_1)
	v_sub_nc_u32_e32 v7, v7, v9
	v_mad_u64_u32 v[9:10], null, v7, s10, v[2:3]
	v_mad_u64_u32 v[10:11], null, v7, s11, v[3:4]
	s_delay_alu instid0(VALU_DEP_2) | instskip(NEXT) | instid1(VALU_DEP_2)
	v_dual_mov_b32 v7, v12 :: v_dual_mov_b32 v2, v9
	v_mov_b32_e32 v3, v10
	s_cbranch_scc1 .LBB519_38
.LBB519_39:
	s_and_not1_b32 vcc_lo, exec_lo, s6
	s_cbranch_vccnz .LBB519_42
; %bb.40:
	s_clause 0x1
	s_load_b128 s[4:7], s[0:1], 0x4
	s_load_b64 s[2:3], s[0:1], 0xc4
	s_cmp_lt_u32 s26, 2
	s_waitcnt lgkmcnt(0)
	v_mul_hi_u32 v2, s5, v5
	s_delay_alu instid0(VALU_DEP_1) | instskip(NEXT) | instid1(VALU_DEP_1)
	v_add_nc_u32_e32 v2, v5, v2
	v_lshrrev_b32_e32 v7, s6, v2
	s_delay_alu instid0(VALU_DEP_1) | instskip(NEXT) | instid1(VALU_DEP_1)
	v_mul_lo_u32 v2, v7, s4
	v_sub_nc_u32_e32 v3, v5, v2
	s_delay_alu instid0(VALU_DEP_1)
	v_mul_lo_u32 v2, v3, s2
	v_mul_lo_u32 v3, v3, s3
	s_cbranch_scc1 .LBB519_42
; %bb.41:
	s_clause 0x1
	s_load_b128 s[4:7], s[0:1], 0x10
	s_load_b64 s[2:3], s[0:1], 0xcc
	s_waitcnt lgkmcnt(0)
	v_mul_hi_u32 v5, s5, v7
	s_delay_alu instid0(VALU_DEP_1) | instskip(NEXT) | instid1(VALU_DEP_1)
	v_add_nc_u32_e32 v5, v7, v5
	v_lshrrev_b32_e32 v5, s6, v5
	s_delay_alu instid0(VALU_DEP_1) | instskip(NEXT) | instid1(VALU_DEP_1)
	v_mul_lo_u32 v5, v5, s4
	v_sub_nc_u32_e32 v5, v7, v5
	s_delay_alu instid0(VALU_DEP_1) | instskip(SKIP_1) | instid1(VALU_DEP_1)
	v_mad_u64_u32 v[9:10], null, v5, s2, v[2:3]
	v_mad_u64_u32 v[10:11], null, v5, s3, v[3:4]
	v_dual_mov_b32 v2, v9 :: v_dual_mov_b32 v3, v10
.LBB519_42:
	v_cmp_ne_u32_e32 vcc_lo, 1, v6
	v_add_nc_u32_e32 v7, 0x100, v4
	s_cbranch_vccnz .LBB519_48
; %bb.43:
	v_dual_mov_b32 v4, 0 :: v_dual_mov_b32 v5, 0
	s_cmp_lg_u32 s26, 0
	s_mov_b32 s6, 0
	s_cbranch_scc0 .LBB519_52
; %bb.44:
	s_min_u32 s7, s27, 15
	v_mov_b32_e32 v4, 0
	s_add_i32 s7, s7, 1
	s_cmp_eq_u32 s27, 2
	s_mov_b32 s8, 0
	s_cbranch_scc1 .LBB519_49
; %bb.45:
	v_dual_mov_b32 v5, 0 :: v_dual_mov_b32 v4, 0
	v_mov_b32_e32 v9, v7
	s_add_u32 s2, s0, 0xc4
	s_addc_u32 s3, s1, 0
	s_and_b32 s8, s7, 28
	s_mov_b32 s9, 0
	s_mov_b64 s[4:5], s[0:1]
.LBB519_46:                             ; =>This Inner Loop Header: Depth=1
	s_clause 0x1
	s_load_b256 s[12:19], s[4:5], 0x4
	s_load_b128 s[20:23], s[4:5], 0x24
	s_load_b256 s[36:43], s[2:3], 0x0
	s_add_u32 s4, s4, 48
	s_addc_u32 s5, s5, 0
	s_add_i32 s9, s9, 4
	s_add_u32 s2, s2, 32
	s_addc_u32 s3, s3, 0
	s_cmp_lg_u32 s8, s9
	s_waitcnt lgkmcnt(0)
	v_mul_hi_u32 v10, s13, v9
	s_delay_alu instid0(VALU_DEP_1) | instskip(NEXT) | instid1(VALU_DEP_1)
	v_add_nc_u32_e32 v10, v9, v10
	v_lshrrev_b32_e32 v10, s14, v10
	s_delay_alu instid0(VALU_DEP_1) | instskip(SKIP_1) | instid1(VALU_DEP_2)
	v_mul_hi_u32 v11, s16, v10
	v_mul_lo_u32 v13, v10, s12
	v_add_nc_u32_e32 v11, v10, v11
	s_delay_alu instid0(VALU_DEP_2) | instskip(NEXT) | instid1(VALU_DEP_2)
	v_sub_nc_u32_e32 v9, v9, v13
	v_lshrrev_b32_e32 v11, s17, v11
	s_delay_alu instid0(VALU_DEP_2) | instskip(SKIP_1) | instid1(VALU_DEP_3)
	v_mul_lo_u32 v13, v9, s36
	v_mul_lo_u32 v15, v9, s37
	v_mul_hi_u32 v12, s19, v11
	s_delay_alu instid0(VALU_DEP_1) | instskip(NEXT) | instid1(VALU_DEP_1)
	v_add_nc_u32_e32 v12, v11, v12
	v_lshrrev_b32_e32 v12, s20, v12
	s_delay_alu instid0(VALU_DEP_1) | instskip(SKIP_1) | instid1(VALU_DEP_2)
	v_mul_hi_u32 v14, s22, v12
	v_mul_lo_u32 v16, v12, s18
	v_add_nc_u32_e32 v9, v12, v14
	v_mul_lo_u32 v14, v11, s15
	s_delay_alu instid0(VALU_DEP_3) | instskip(NEXT) | instid1(VALU_DEP_3)
	v_sub_nc_u32_e32 v11, v11, v16
	v_lshrrev_b32_e32 v9, s23, v9
	s_delay_alu instid0(VALU_DEP_2) | instskip(SKIP_2) | instid1(VALU_DEP_4)
	v_mul_lo_u32 v16, v11, s40
	v_mul_lo_u32 v11, v11, s41
	v_sub_nc_u32_e32 v10, v10, v14
	v_mul_lo_u32 v17, v9, s21
	s_delay_alu instid0(VALU_DEP_2) | instskip(SKIP_1) | instid1(VALU_DEP_3)
	v_mul_lo_u32 v14, v10, s38
	v_mul_lo_u32 v10, v10, s39
	v_sub_nc_u32_e32 v12, v12, v17
	s_delay_alu instid0(VALU_DEP_3) | instskip(NEXT) | instid1(VALU_DEP_2)
	v_add3_u32 v4, v13, v4, v14
	v_mul_lo_u32 v17, v12, s42
	v_mul_lo_u32 v12, v12, s43
	v_add3_u32 v5, v15, v5, v10
	s_delay_alu instid0(VALU_DEP_3) | instskip(NEXT) | instid1(VALU_DEP_2)
	v_add3_u32 v4, v16, v4, v17
	v_add3_u32 v5, v11, v5, v12
	s_cbranch_scc1 .LBB519_46
; %bb.47:
	s_and_b32 s7, s7, 3
	s_delay_alu instid0(SALU_CYCLE_1)
	s_cmp_eq_u32 s7, 0
	s_cbranch_scc0 .LBB519_50
	s_branch .LBB519_52
.LBB519_48:
	s_mov_b32 s6, -1
                                        ; implicit-def: $vgpr4
                                        ; implicit-def: $vgpr5
	s_branch .LBB519_52
.LBB519_49:
	v_mov_b32_e32 v9, v7
	v_mov_b32_e32 v5, 0
	s_and_b32 s7, s7, 3
	s_delay_alu instid0(SALU_CYCLE_1)
	s_cmp_eq_u32 s7, 0
	s_cbranch_scc1 .LBB519_52
.LBB519_50:
	s_lshl_b32 s2, s8, 3
	s_mul_i32 s4, s8, 12
	s_add_u32 s2, s2, s0
	s_addc_u32 s3, 0, s1
	s_add_u32 s2, s2, 0xc4
	s_addc_u32 s3, s3, 0
	;; [unrolled: 2-line block ×3, first 2 shown]
	.p2align	6
.LBB519_51:                             ; =>This Inner Loop Header: Depth=1
	s_clause 0x1
	s_load_b64 s[8:9], s[4:5], 0x4
	s_load_b32 s12, s[4:5], 0xc
	s_load_b64 s[10:11], s[2:3], 0x0
	s_add_u32 s4, s4, 12
	s_addc_u32 s5, s5, 0
	s_add_u32 s2, s2, 8
	s_addc_u32 s3, s3, 0
	s_add_i32 s7, s7, -1
	s_delay_alu instid0(SALU_CYCLE_1) | instskip(SKIP_2) | instid1(VALU_DEP_1)
	s_cmp_lg_u32 s7, 0
	s_waitcnt lgkmcnt(0)
	v_mul_hi_u32 v10, s9, v9
	v_add_nc_u32_e32 v10, v9, v10
	s_delay_alu instid0(VALU_DEP_1) | instskip(NEXT) | instid1(VALU_DEP_1)
	v_lshrrev_b32_e32 v13, s12, v10
	v_mul_lo_u32 v10, v13, s8
	s_delay_alu instid0(VALU_DEP_1) | instskip(NEXT) | instid1(VALU_DEP_1)
	v_sub_nc_u32_e32 v9, v9, v10
	v_mad_u64_u32 v[10:11], null, v9, s10, v[4:5]
	v_mad_u64_u32 v[11:12], null, v9, s11, v[5:6]
	s_delay_alu instid0(VALU_DEP_2) | instskip(NEXT) | instid1(VALU_DEP_2)
	v_dual_mov_b32 v9, v13 :: v_dual_mov_b32 v4, v10
	v_mov_b32_e32 v5, v11
	s_cbranch_scc1 .LBB519_51
.LBB519_52:
	s_and_not1_b32 vcc_lo, exec_lo, s6
	s_cbranch_vccnz .LBB519_55
; %bb.53:
	s_clause 0x1
	s_load_b128 s[4:7], s[0:1], 0x4
	s_load_b64 s[2:3], s[0:1], 0xc4
	s_cmp_lt_u32 s26, 2
	s_waitcnt lgkmcnt(0)
	v_mul_hi_u32 v4, s5, v7
	s_delay_alu instid0(VALU_DEP_1) | instskip(NEXT) | instid1(VALU_DEP_1)
	v_add_nc_u32_e32 v4, v7, v4
	v_lshrrev_b32_e32 v9, s6, v4
	s_delay_alu instid0(VALU_DEP_1) | instskip(NEXT) | instid1(VALU_DEP_1)
	v_mul_lo_u32 v4, v9, s4
	v_sub_nc_u32_e32 v5, v7, v4
	s_delay_alu instid0(VALU_DEP_1)
	v_mul_lo_u32 v4, v5, s2
	v_mul_lo_u32 v5, v5, s3
	s_cbranch_scc1 .LBB519_55
; %bb.54:
	s_clause 0x1
	s_load_b128 s[4:7], s[0:1], 0x10
	s_load_b64 s[2:3], s[0:1], 0xcc
	s_waitcnt lgkmcnt(0)
	v_mul_hi_u32 v7, s5, v9
	s_delay_alu instid0(VALU_DEP_1) | instskip(NEXT) | instid1(VALU_DEP_1)
	v_add_nc_u32_e32 v7, v9, v7
	v_lshrrev_b32_e32 v7, s6, v7
	s_delay_alu instid0(VALU_DEP_1) | instskip(NEXT) | instid1(VALU_DEP_1)
	v_mul_lo_u32 v7, v7, s4
	v_sub_nc_u32_e32 v7, v9, v7
	s_delay_alu instid0(VALU_DEP_1) | instskip(SKIP_1) | instid1(VALU_DEP_1)
	v_mad_u64_u32 v[9:10], null, v7, s2, v[4:5]
	v_mad_u64_u32 v[10:11], null, v7, s3, v[5:6]
	v_dual_mov_b32 v4, v9 :: v_dual_mov_b32 v5, v10
.LBB519_55:
	v_cmp_ne_u32_e32 vcc_lo, 1, v6
	s_cbranch_vccnz .LBB519_61
; %bb.56:
	v_dual_mov_b32 v6, 0 :: v_dual_mov_b32 v7, 0
	s_cmp_lg_u32 s26, 0
	s_mov_b32 s6, 0
	s_cbranch_scc0 .LBB519_65
; %bb.57:
	s_min_u32 s7, s27, 15
	v_mov_b32_e32 v6, 0
	s_add_i32 s7, s7, 1
	s_cmp_eq_u32 s27, 2
	s_mov_b32 s8, 0
	s_cbranch_scc1 .LBB519_62
; %bb.58:
	v_dual_mov_b32 v7, 0 :: v_dual_mov_b32 v6, 0
	v_mov_b32_e32 v9, v8
	s_add_u32 s2, s0, 0xc4
	s_addc_u32 s3, s1, 0
	s_and_b32 s8, s7, 28
	s_mov_b32 s9, 0
	s_mov_b64 s[4:5], s[0:1]
.LBB519_59:                             ; =>This Inner Loop Header: Depth=1
	s_clause 0x1
	s_load_b256 s[12:19], s[4:5], 0x4
	s_load_b128 s[20:23], s[4:5], 0x24
	s_load_b256 s[36:43], s[2:3], 0x0
	s_add_u32 s4, s4, 48
	s_addc_u32 s5, s5, 0
	s_add_i32 s9, s9, 4
	s_add_u32 s2, s2, 32
	s_addc_u32 s3, s3, 0
	s_cmp_lg_u32 s8, s9
	s_waitcnt lgkmcnt(0)
	v_mul_hi_u32 v10, s13, v9
	s_delay_alu instid0(VALU_DEP_1) | instskip(NEXT) | instid1(VALU_DEP_1)
	v_add_nc_u32_e32 v10, v9, v10
	v_lshrrev_b32_e32 v10, s14, v10
	s_delay_alu instid0(VALU_DEP_1) | instskip(SKIP_1) | instid1(VALU_DEP_2)
	v_mul_hi_u32 v11, s16, v10
	v_mul_lo_u32 v13, v10, s12
	v_add_nc_u32_e32 v11, v10, v11
	s_delay_alu instid0(VALU_DEP_2) | instskip(NEXT) | instid1(VALU_DEP_2)
	v_sub_nc_u32_e32 v9, v9, v13
	v_lshrrev_b32_e32 v11, s17, v11
	s_delay_alu instid0(VALU_DEP_2) | instskip(SKIP_1) | instid1(VALU_DEP_3)
	v_mul_lo_u32 v13, v9, s36
	v_mul_lo_u32 v15, v9, s37
	v_mul_hi_u32 v12, s19, v11
	s_delay_alu instid0(VALU_DEP_1) | instskip(NEXT) | instid1(VALU_DEP_1)
	v_add_nc_u32_e32 v12, v11, v12
	v_lshrrev_b32_e32 v12, s20, v12
	s_delay_alu instid0(VALU_DEP_1) | instskip(SKIP_1) | instid1(VALU_DEP_2)
	v_mul_hi_u32 v14, s22, v12
	v_mul_lo_u32 v16, v12, s18
	v_add_nc_u32_e32 v9, v12, v14
	v_mul_lo_u32 v14, v11, s15
	s_delay_alu instid0(VALU_DEP_3) | instskip(NEXT) | instid1(VALU_DEP_3)
	v_sub_nc_u32_e32 v11, v11, v16
	v_lshrrev_b32_e32 v9, s23, v9
	s_delay_alu instid0(VALU_DEP_2) | instskip(SKIP_2) | instid1(VALU_DEP_4)
	v_mul_lo_u32 v16, v11, s40
	v_mul_lo_u32 v11, v11, s41
	v_sub_nc_u32_e32 v10, v10, v14
	v_mul_lo_u32 v17, v9, s21
	s_delay_alu instid0(VALU_DEP_2) | instskip(SKIP_1) | instid1(VALU_DEP_3)
	v_mul_lo_u32 v14, v10, s38
	v_mul_lo_u32 v10, v10, s39
	v_sub_nc_u32_e32 v12, v12, v17
	s_delay_alu instid0(VALU_DEP_3) | instskip(NEXT) | instid1(VALU_DEP_2)
	v_add3_u32 v6, v13, v6, v14
	v_mul_lo_u32 v17, v12, s42
	v_mul_lo_u32 v12, v12, s43
	v_add3_u32 v7, v15, v7, v10
	s_delay_alu instid0(VALU_DEP_3) | instskip(NEXT) | instid1(VALU_DEP_2)
	v_add3_u32 v6, v16, v6, v17
	v_add3_u32 v7, v11, v7, v12
	s_cbranch_scc1 .LBB519_59
; %bb.60:
	s_and_b32 s7, s7, 3
	s_delay_alu instid0(SALU_CYCLE_1)
	s_cmp_eq_u32 s7, 0
	s_cbranch_scc0 .LBB519_63
	s_branch .LBB519_65
.LBB519_61:
	s_mov_b32 s6, -1
                                        ; implicit-def: $vgpr6
                                        ; implicit-def: $vgpr7
	s_branch .LBB519_65
.LBB519_62:
	v_mov_b32_e32 v9, v8
	v_mov_b32_e32 v7, 0
	s_and_b32 s7, s7, 3
	s_delay_alu instid0(SALU_CYCLE_1)
	s_cmp_eq_u32 s7, 0
	s_cbranch_scc1 .LBB519_65
.LBB519_63:
	s_lshl_b32 s2, s8, 3
	s_mul_i32 s4, s8, 12
	s_add_u32 s2, s2, s0
	s_addc_u32 s3, 0, s1
	s_add_u32 s2, s2, 0xc4
	s_addc_u32 s3, s3, 0
	;; [unrolled: 2-line block ×3, first 2 shown]
	.p2align	6
.LBB519_64:                             ; =>This Inner Loop Header: Depth=1
	s_clause 0x1
	s_load_b64 s[8:9], s[4:5], 0x4
	s_load_b32 s12, s[4:5], 0xc
	s_load_b64 s[10:11], s[2:3], 0x0
	s_add_u32 s4, s4, 12
	s_addc_u32 s5, s5, 0
	s_add_u32 s2, s2, 8
	s_addc_u32 s3, s3, 0
	s_add_i32 s7, s7, -1
	s_delay_alu instid0(SALU_CYCLE_1) | instskip(SKIP_2) | instid1(VALU_DEP_1)
	s_cmp_lg_u32 s7, 0
	s_waitcnt lgkmcnt(0)
	v_mul_hi_u32 v10, s9, v9
	v_add_nc_u32_e32 v10, v9, v10
	s_delay_alu instid0(VALU_DEP_1) | instskip(NEXT) | instid1(VALU_DEP_1)
	v_lshrrev_b32_e32 v13, s12, v10
	v_mul_lo_u32 v10, v13, s8
	s_delay_alu instid0(VALU_DEP_1) | instskip(NEXT) | instid1(VALU_DEP_1)
	v_sub_nc_u32_e32 v9, v9, v10
	v_mad_u64_u32 v[10:11], null, v9, s10, v[6:7]
	v_mad_u64_u32 v[11:12], null, v9, s11, v[7:8]
	s_delay_alu instid0(VALU_DEP_2) | instskip(NEXT) | instid1(VALU_DEP_2)
	v_dual_mov_b32 v9, v13 :: v_dual_mov_b32 v6, v10
	v_mov_b32_e32 v7, v11
	s_cbranch_scc1 .LBB519_64
.LBB519_65:
	s_and_not1_b32 vcc_lo, exec_lo, s6
	s_cbranch_vccnz .LBB519_68
; %bb.66:
	s_clause 0x1
	s_load_b128 s[4:7], s[0:1], 0x4
	s_load_b64 s[2:3], s[0:1], 0xc4
	s_cmp_lt_u32 s26, 2
	s_waitcnt lgkmcnt(0)
	v_mul_hi_u32 v6, s5, v8
	s_delay_alu instid0(VALU_DEP_1) | instskip(NEXT) | instid1(VALU_DEP_1)
	v_add_nc_u32_e32 v6, v8, v6
	v_lshrrev_b32_e32 v9, s6, v6
	s_delay_alu instid0(VALU_DEP_1) | instskip(NEXT) | instid1(VALU_DEP_1)
	v_mul_lo_u32 v6, v9, s4
	v_sub_nc_u32_e32 v7, v8, v6
	s_delay_alu instid0(VALU_DEP_1)
	v_mul_lo_u32 v6, v7, s2
	v_mul_lo_u32 v7, v7, s3
	s_cbranch_scc1 .LBB519_68
; %bb.67:
	s_clause 0x1
	s_load_b128 s[4:7], s[0:1], 0x10
	s_load_b64 s[2:3], s[0:1], 0xcc
	s_waitcnt lgkmcnt(0)
	v_mul_hi_u32 v8, s5, v9
	s_delay_alu instid0(VALU_DEP_1) | instskip(NEXT) | instid1(VALU_DEP_1)
	v_add_nc_u32_e32 v8, v9, v8
	v_lshrrev_b32_e32 v8, s6, v8
	s_delay_alu instid0(VALU_DEP_1) | instskip(NEXT) | instid1(VALU_DEP_1)
	v_mul_lo_u32 v8, v8, s4
	v_sub_nc_u32_e32 v11, v9, v8
	s_delay_alu instid0(VALU_DEP_1) | instskip(NEXT) | instid1(VALU_DEP_1)
	v_mad_u64_u32 v[8:9], null, v11, s2, v[6:7]
	v_mad_u64_u32 v[9:10], null, v11, s3, v[7:8]
	s_delay_alu instid0(VALU_DEP_1)
	v_dual_mov_b32 v6, v8 :: v_dual_mov_b32 v7, v9
.LBB519_68:
	s_clause 0x1
	s_load_b128 s[4:7], s[0:1], 0x148
	s_load_b32 s2, s[0:1], 0x158
	s_mov_b32 s3, exec_lo
	s_waitcnt lgkmcnt(0)
	global_load_b32 v8, v1, s[6:7]
	v_mov_b32_e32 v1, s2
	s_waitcnt vmcnt(0)
	v_cmpx_o_f32_e32 v8, v8
	s_cbranch_execz .LBB519_72
; %bb.69:
	s_load_b32 s8, s[0:1], 0x15c
	s_waitcnt lgkmcnt(0)
	v_mov_b32_e32 v1, s8
	s_mov_b32 s8, exec_lo
	v_cmpx_neq_f32_e32 0x7f800000, v8
	s_cbranch_execz .LBB519_71
; %bb.70:
	s_load_b32 s9, s[0:1], 0x160
	v_cmp_eq_f32_e32 vcc_lo, 0xff800000, v8
	s_waitcnt lgkmcnt(0)
	v_cndmask_b32_e64 v1, v8, s9, vcc_lo
.LBB519_71:
	s_or_b32 exec_lo, exec_lo, s8
.LBB519_72:
	s_delay_alu instid0(SALU_CYCLE_1)
	s_or_b32 exec_lo, exec_lo, s3
	global_load_b32 v8, v3, s[6:7]
	v_mov_b32_e32 v3, s2
	s_mov_b32 s3, exec_lo
	s_waitcnt vmcnt(0)
	v_cmpx_o_f32_e32 v8, v8
	s_cbranch_execz .LBB519_76
; %bb.73:
	s_load_b32 s8, s[0:1], 0x15c
	s_waitcnt lgkmcnt(0)
	v_mov_b32_e32 v3, s8
	s_mov_b32 s8, exec_lo
	v_cmpx_neq_f32_e32 0x7f800000, v8
	s_cbranch_execz .LBB519_75
; %bb.74:
	s_load_b32 s9, s[0:1], 0x160
	v_cmp_eq_f32_e32 vcc_lo, 0xff800000, v8
	s_waitcnt lgkmcnt(0)
	v_cndmask_b32_e64 v3, v8, s9, vcc_lo
.LBB519_75:
	s_or_b32 exec_lo, exec_lo, s8
.LBB519_76:
	s_delay_alu instid0(SALU_CYCLE_1)
	s_or_b32 exec_lo, exec_lo, s3
	global_load_b32 v8, v5, s[6:7]
	v_mov_b32_e32 v5, s2
	s_mov_b32 s3, exec_lo
	;; [unrolled: 23-line block ×3, first 2 shown]
	s_waitcnt vmcnt(0)
	v_cmpx_o_f32_e32 v8, v8
	s_cbranch_execz .LBB519_84
; %bb.81:
	s_load_b32 s3, s[0:1], 0x15c
	s_waitcnt lgkmcnt(0)
	v_mov_b32_e32 v7, s3
	s_mov_b32 s3, exec_lo
	v_cmpx_neq_f32_e32 0x7f800000, v8
	s_cbranch_execz .LBB519_83
; %bb.82:
	s_load_b32 s0, s[0:1], 0x160
	v_cmp_eq_f32_e32 vcc_lo, 0xff800000, v8
	s_waitcnt lgkmcnt(0)
	v_cndmask_b32_e64 v7, v8, s0, vcc_lo
.LBB519_83:
	s_or_b32 exec_lo, exec_lo, s3
.LBB519_84:
	s_delay_alu instid0(SALU_CYCLE_1)
	s_or_b32 exec_lo, exec_lo, s2
	s_clause 0x3
	global_store_b32 v0, v1, s[4:5]
	global_store_b32 v2, v3, s[4:5]
	;; [unrolled: 1-line block ×4, first 2 shown]
	s_nop 0
	s_sendmsg sendmsg(MSG_DEALLOC_VGPRS)
	s_endpgm
.LBB519_85:
	v_dual_mov_b32 v2, v4 :: v_dual_mov_b32 v1, 0
.LBB519_86:
	s_and_b32 s37, s37, 3
	s_delay_alu instid0(SALU_CYCLE_1)
	s_cmp_eq_u32 s37, 0
	s_cbranch_scc1 .LBB519_89
; %bb.87:
	s_lshl_b32 s22, s36, 3
	s_mul_i32 s24, s36, 12
	s_add_u32 s22, s22, s0
	s_addc_u32 s23, s1, 0
	s_add_u32 s22, s22, 0xc4
	s_addc_u32 s23, s23, 0
	;; [unrolled: 2-line block ×3, first 2 shown]
	.p2align	6
.LBB519_88:                             ; =>This Inner Loop Header: Depth=1
	s_clause 0x1
	s_load_b64 s[38:39], s[24:25], 0x4
	s_load_b32 s36, s[24:25], 0xc
	s_load_b64 s[40:41], s[22:23], 0x0
	s_add_u32 s24, s24, 12
	s_addc_u32 s25, s25, 0
	s_add_u32 s22, s22, 8
	s_addc_u32 s23, s23, 0
	s_add_i32 s37, s37, -1
	s_delay_alu instid0(SALU_CYCLE_1) | instskip(SKIP_2) | instid1(VALU_DEP_1)
	s_cmp_lg_u32 s37, 0
	s_waitcnt lgkmcnt(0)
	v_mul_hi_u32 v3, s39, v2
	v_add_nc_u32_e32 v3, v2, v3
	s_delay_alu instid0(VALU_DEP_1) | instskip(NEXT) | instid1(VALU_DEP_1)
	v_lshrrev_b32_e32 v3, s36, v3
	v_mul_lo_u32 v5, v3, s38
	s_delay_alu instid0(VALU_DEP_1) | instskip(NEXT) | instid1(VALU_DEP_1)
	v_sub_nc_u32_e32 v2, v2, v5
	v_mad_u64_u32 v[5:6], null, v2, s40, v[0:1]
	v_mad_u64_u32 v[6:7], null, v2, s41, v[1:2]
	v_mov_b32_e32 v2, v3
	s_delay_alu instid0(VALU_DEP_2)
	v_dual_mov_b32 v0, v5 :: v_dual_mov_b32 v1, v6
	s_cbranch_scc1 .LBB519_88
.LBB519_89:
	s_and_not1_b32 vcc_lo, exec_lo, s35
	s_cbranch_vccnz .LBB519_92
; %bb.90:
	v_mul_hi_u32 v0, s17, v4
	s_and_not1_b32 vcc_lo, exec_lo, s11
	s_delay_alu instid0(VALU_DEP_1) | instskip(NEXT) | instid1(VALU_DEP_1)
	v_add_nc_u32_e32 v0, v4, v0
	v_lshrrev_b32_e32 v2, s18, v0
	s_delay_alu instid0(VALU_DEP_1) | instskip(NEXT) | instid1(VALU_DEP_1)
	v_mul_lo_u32 v0, v2, s16
	v_sub_nc_u32_e32 v1, v4, v0
	s_delay_alu instid0(VALU_DEP_1)
	v_mul_lo_u32 v0, v1, s12
	v_mul_lo_u32 v1, v1, s13
	s_cbranch_vccnz .LBB519_92
; %bb.91:
	v_mul_hi_u32 v3, s2, v2
	s_delay_alu instid0(VALU_DEP_1) | instskip(NEXT) | instid1(VALU_DEP_1)
	v_add_nc_u32_e32 v3, v2, v3
	v_lshrrev_b32_e32 v3, s3, v3
	s_delay_alu instid0(VALU_DEP_1) | instskip(NEXT) | instid1(VALU_DEP_1)
	v_mul_lo_u32 v3, v3, s19
	v_sub_nc_u32_e32 v7, v2, v3
	s_delay_alu instid0(VALU_DEP_1) | instskip(NEXT) | instid1(VALU_DEP_1)
	v_mad_u64_u32 v[2:3], null, v7, s14, v[0:1]
	v_mad_u64_u32 v[5:6], null, v7, s15, v[1:2]
	s_delay_alu instid0(VALU_DEP_1)
	v_dual_mov_b32 v0, v2 :: v_dual_mov_b32 v1, v5
.LBB519_92:
	global_load_b32 v2, v1, s[6:7]
	v_mov_b32_e32 v1, s8
	s_mov_b32 s22, exec_lo
	s_waitcnt vmcnt(0)
	v_cmpx_o_f32_e32 v2, v2
	s_cbranch_execz .LBB519_96
; %bb.93:
	v_mov_b32_e32 v1, s9
	s_mov_b32 s23, exec_lo
	v_cmpx_neq_f32_e32 0x7f800000, v2
; %bb.94:
	v_cmp_eq_f32_e32 vcc_lo, 0xff800000, v2
	v_cndmask_b32_e64 v1, v2, s10, vcc_lo
; %bb.95:
	s_or_b32 exec_lo, exec_lo, s23
.LBB519_96:
	s_delay_alu instid0(SALU_CYCLE_1) | instskip(SKIP_3) | instid1(SALU_CYCLE_1)
	s_or_b32 exec_lo, exec_lo, s22
	v_add_nc_u32_e32 v4, 0x80, v4
	global_store_b32 v0, v1, s[4:5]
	s_or_b32 exec_lo, exec_lo, s34
	s_mov_b32 s34, exec_lo
	v_cmpx_gt_i32_e64 s30, v4
	s_cbranch_execnz .LBB519_15
.LBB519_97:
	s_or_b32 exec_lo, exec_lo, s34
	s_delay_alu instid0(SALU_CYCLE_1)
	s_mov_b32 s34, exec_lo
	v_cmpx_gt_i32_e64 s30, v4
	s_cbranch_execz .LBB519_116
.LBB519_98:
	s_and_not1_b32 vcc_lo, exec_lo, s28
	s_cbranch_vccnz .LBB519_103
; %bb.99:
	v_dual_mov_b32 v0, 0 :: v_dual_mov_b32 v1, 0
	s_and_not1_b32 vcc_lo, exec_lo, s33
	s_mov_b32 s35, 0
	s_cbranch_vccnz .LBB519_123
; %bb.100:
	v_mov_b32_e32 v0, 0
	s_add_i32 s37, s31, 1
	s_cmp_eq_u32 s27, 2
	s_mov_b32 s36, 0
	s_cbranch_scc1 .LBB519_119
; %bb.101:
	v_dual_mov_b32 v1, 0 :: v_dual_mov_b32 v0, 0
	v_mov_b32_e32 v2, v4
	s_and_b32 s36, s37, 28
	s_mov_b32 s38, 0
	s_mov_b64 s[22:23], s[20:21]
	s_mov_b64 s[24:25], s[0:1]
.LBB519_102:                            ; =>This Inner Loop Header: Depth=1
	s_clause 0x1
	s_load_b256 s[40:47], s[24:25], 0x4
	s_load_b128 s[56:59], s[24:25], 0x24
	s_load_b256 s[48:55], s[22:23], 0x0
	s_add_u32 s24, s24, 48
	s_addc_u32 s25, s25, 0
	s_add_i32 s38, s38, 4
	s_add_u32 s22, s22, 32
	s_addc_u32 s23, s23, 0
	s_cmp_eq_u32 s36, s38
	s_waitcnt lgkmcnt(0)
	v_mul_hi_u32 v3, s41, v2
	s_delay_alu instid0(VALU_DEP_1) | instskip(NEXT) | instid1(VALU_DEP_1)
	v_add_nc_u32_e32 v3, v2, v3
	v_lshrrev_b32_e32 v3, s42, v3
	s_delay_alu instid0(VALU_DEP_1) | instskip(SKIP_1) | instid1(VALU_DEP_2)
	v_mul_hi_u32 v5, s44, v3
	v_mul_lo_u32 v7, v3, s40
	v_add_nc_u32_e32 v5, v3, v5
	s_delay_alu instid0(VALU_DEP_2) | instskip(NEXT) | instid1(VALU_DEP_2)
	v_sub_nc_u32_e32 v2, v2, v7
	v_lshrrev_b32_e32 v5, s45, v5
	s_delay_alu instid0(VALU_DEP_2) | instskip(SKIP_1) | instid1(VALU_DEP_3)
	v_mul_lo_u32 v7, v2, s48
	v_mul_lo_u32 v9, v2, s49
	v_mul_hi_u32 v6, s47, v5
	s_delay_alu instid0(VALU_DEP_1) | instskip(NEXT) | instid1(VALU_DEP_1)
	v_add_nc_u32_e32 v6, v5, v6
	v_lshrrev_b32_e32 v6, s56, v6
	s_delay_alu instid0(VALU_DEP_1) | instskip(SKIP_1) | instid1(VALU_DEP_2)
	v_mul_hi_u32 v8, s58, v6
	v_mul_lo_u32 v10, v6, s46
	v_add_nc_u32_e32 v2, v6, v8
	v_mul_lo_u32 v8, v5, s43
	s_delay_alu instid0(VALU_DEP_3) | instskip(NEXT) | instid1(VALU_DEP_3)
	v_sub_nc_u32_e32 v5, v5, v10
	v_lshrrev_b32_e32 v2, s59, v2
	s_delay_alu instid0(VALU_DEP_2) | instskip(SKIP_2) | instid1(VALU_DEP_4)
	v_mul_lo_u32 v10, v5, s52
	v_mul_lo_u32 v5, v5, s53
	v_sub_nc_u32_e32 v3, v3, v8
	v_mul_lo_u32 v11, v2, s57
	s_delay_alu instid0(VALU_DEP_2) | instskip(SKIP_1) | instid1(VALU_DEP_3)
	v_mul_lo_u32 v8, v3, s50
	v_mul_lo_u32 v3, v3, s51
	v_sub_nc_u32_e32 v6, v6, v11
	s_delay_alu instid0(VALU_DEP_3) | instskip(NEXT) | instid1(VALU_DEP_2)
	v_add3_u32 v0, v7, v0, v8
	v_mul_lo_u32 v11, v6, s54
	v_mul_lo_u32 v6, v6, s55
	v_add3_u32 v1, v9, v1, v3
	s_delay_alu instid0(VALU_DEP_3) | instskip(NEXT) | instid1(VALU_DEP_2)
	v_add3_u32 v0, v10, v0, v11
	v_add3_u32 v1, v5, v1, v6
	s_cbranch_scc0 .LBB519_102
	s_branch .LBB519_120
.LBB519_103:
	s_mov_b32 s35, -1
                                        ; implicit-def: $vgpr0
                                        ; implicit-def: $vgpr1
	s_branch .LBB519_123
.LBB519_104:
	v_dual_mov_b32 v2, v4 :: v_dual_mov_b32 v1, 0
.LBB519_105:
	s_and_b32 s37, s37, 3
	s_delay_alu instid0(SALU_CYCLE_1)
	s_cmp_eq_u32 s37, 0
	s_cbranch_scc1 .LBB519_108
; %bb.106:
	s_lshl_b32 s22, s36, 3
	s_mul_i32 s24, s36, 12
	s_add_u32 s22, s22, s0
	s_addc_u32 s23, s1, 0
	s_add_u32 s22, s22, 0xc4
	s_addc_u32 s23, s23, 0
	;; [unrolled: 2-line block ×3, first 2 shown]
	.p2align	6
.LBB519_107:                            ; =>This Inner Loop Header: Depth=1
	s_clause 0x1
	s_load_b64 s[38:39], s[24:25], 0x4
	s_load_b32 s36, s[24:25], 0xc
	s_load_b64 s[40:41], s[22:23], 0x0
	s_add_u32 s24, s24, 12
	s_addc_u32 s25, s25, 0
	s_add_u32 s22, s22, 8
	s_addc_u32 s23, s23, 0
	s_add_i32 s37, s37, -1
	s_delay_alu instid0(SALU_CYCLE_1) | instskip(SKIP_2) | instid1(VALU_DEP_1)
	s_cmp_lg_u32 s37, 0
	s_waitcnt lgkmcnt(0)
	v_mul_hi_u32 v3, s39, v2
	v_add_nc_u32_e32 v3, v2, v3
	s_delay_alu instid0(VALU_DEP_1) | instskip(NEXT) | instid1(VALU_DEP_1)
	v_lshrrev_b32_e32 v3, s36, v3
	v_mul_lo_u32 v5, v3, s38
	s_delay_alu instid0(VALU_DEP_1) | instskip(NEXT) | instid1(VALU_DEP_1)
	v_sub_nc_u32_e32 v2, v2, v5
	v_mad_u64_u32 v[5:6], null, v2, s40, v[0:1]
	v_mad_u64_u32 v[6:7], null, v2, s41, v[1:2]
	v_mov_b32_e32 v2, v3
	s_delay_alu instid0(VALU_DEP_2)
	v_dual_mov_b32 v0, v5 :: v_dual_mov_b32 v1, v6
	s_cbranch_scc1 .LBB519_107
.LBB519_108:
	s_and_not1_b32 vcc_lo, exec_lo, s35
	s_cbranch_vccnz .LBB519_111
; %bb.109:
	v_mul_hi_u32 v0, s17, v4
	s_and_not1_b32 vcc_lo, exec_lo, s11
	s_delay_alu instid0(VALU_DEP_1) | instskip(NEXT) | instid1(VALU_DEP_1)
	v_add_nc_u32_e32 v0, v4, v0
	v_lshrrev_b32_e32 v2, s18, v0
	s_delay_alu instid0(VALU_DEP_1) | instskip(NEXT) | instid1(VALU_DEP_1)
	v_mul_lo_u32 v0, v2, s16
	v_sub_nc_u32_e32 v1, v4, v0
	s_delay_alu instid0(VALU_DEP_1)
	v_mul_lo_u32 v0, v1, s12
	v_mul_lo_u32 v1, v1, s13
	s_cbranch_vccnz .LBB519_111
; %bb.110:
	v_mul_hi_u32 v3, s2, v2
	s_delay_alu instid0(VALU_DEP_1) | instskip(NEXT) | instid1(VALU_DEP_1)
	v_add_nc_u32_e32 v3, v2, v3
	v_lshrrev_b32_e32 v3, s3, v3
	s_delay_alu instid0(VALU_DEP_1) | instskip(NEXT) | instid1(VALU_DEP_1)
	v_mul_lo_u32 v3, v3, s19
	v_sub_nc_u32_e32 v7, v2, v3
	s_delay_alu instid0(VALU_DEP_1) | instskip(NEXT) | instid1(VALU_DEP_1)
	v_mad_u64_u32 v[2:3], null, v7, s14, v[0:1]
	v_mad_u64_u32 v[5:6], null, v7, s15, v[1:2]
	s_delay_alu instid0(VALU_DEP_1)
	v_dual_mov_b32 v0, v2 :: v_dual_mov_b32 v1, v5
.LBB519_111:
	global_load_b32 v2, v1, s[6:7]
	v_mov_b32_e32 v1, s8
	s_mov_b32 s22, exec_lo
	s_waitcnt vmcnt(0)
	v_cmpx_o_f32_e32 v2, v2
	s_cbranch_execz .LBB519_115
; %bb.112:
	v_mov_b32_e32 v1, s9
	s_mov_b32 s23, exec_lo
	v_cmpx_neq_f32_e32 0x7f800000, v2
; %bb.113:
	v_cmp_eq_f32_e32 vcc_lo, 0xff800000, v2
	v_cndmask_b32_e64 v1, v2, s10, vcc_lo
; %bb.114:
	s_or_b32 exec_lo, exec_lo, s23
.LBB519_115:
	s_delay_alu instid0(SALU_CYCLE_1) | instskip(SKIP_3) | instid1(SALU_CYCLE_1)
	s_or_b32 exec_lo, exec_lo, s22
	v_add_nc_u32_e32 v4, 0x80, v4
	global_store_b32 v0, v1, s[4:5]
	s_or_b32 exec_lo, exec_lo, s34
	s_mov_b32 s34, exec_lo
	v_cmpx_gt_i32_e64 s30, v4
	s_cbranch_execnz .LBB519_98
.LBB519_116:
	s_or_b32 exec_lo, exec_lo, s34
	s_delay_alu instid0(SALU_CYCLE_1)
	s_mov_b32 s24, exec_lo
	v_cmpx_gt_i32_e64 s30, v4
	s_cbranch_execnz .LBB519_131
.LBB519_117:
	s_or_b32 exec_lo, exec_lo, s24
                                        ; implicit-def: $vgpr8
                                        ; implicit-def: $vgpr4
	s_and_not1_saveexec_b32 s2, s29
	s_cbranch_execnz .LBB519_8
.LBB519_118:
	s_nop 0
	s_sendmsg sendmsg(MSG_DEALLOC_VGPRS)
	s_endpgm
.LBB519_119:
	v_dual_mov_b32 v2, v4 :: v_dual_mov_b32 v1, 0
.LBB519_120:
	s_and_b32 s37, s37, 3
	s_delay_alu instid0(SALU_CYCLE_1)
	s_cmp_eq_u32 s37, 0
	s_cbranch_scc1 .LBB519_123
; %bb.121:
	s_lshl_b32 s22, s36, 3
	s_mul_i32 s24, s36, 12
	s_add_u32 s22, s22, s0
	s_addc_u32 s23, s1, 0
	s_add_u32 s22, s22, 0xc4
	s_addc_u32 s23, s23, 0
	;; [unrolled: 2-line block ×3, first 2 shown]
	.p2align	6
.LBB519_122:                            ; =>This Inner Loop Header: Depth=1
	s_clause 0x1
	s_load_b64 s[38:39], s[24:25], 0x4
	s_load_b32 s36, s[24:25], 0xc
	s_load_b64 s[40:41], s[22:23], 0x0
	s_add_u32 s24, s24, 12
	s_addc_u32 s25, s25, 0
	s_add_u32 s22, s22, 8
	s_addc_u32 s23, s23, 0
	s_add_i32 s37, s37, -1
	s_delay_alu instid0(SALU_CYCLE_1) | instskip(SKIP_2) | instid1(VALU_DEP_1)
	s_cmp_lg_u32 s37, 0
	s_waitcnt lgkmcnt(0)
	v_mul_hi_u32 v3, s39, v2
	v_add_nc_u32_e32 v3, v2, v3
	s_delay_alu instid0(VALU_DEP_1) | instskip(NEXT) | instid1(VALU_DEP_1)
	v_lshrrev_b32_e32 v3, s36, v3
	v_mul_lo_u32 v5, v3, s38
	s_delay_alu instid0(VALU_DEP_1) | instskip(NEXT) | instid1(VALU_DEP_1)
	v_sub_nc_u32_e32 v2, v2, v5
	v_mad_u64_u32 v[5:6], null, v2, s40, v[0:1]
	v_mad_u64_u32 v[6:7], null, v2, s41, v[1:2]
	v_mov_b32_e32 v2, v3
	s_delay_alu instid0(VALU_DEP_2)
	v_dual_mov_b32 v0, v5 :: v_dual_mov_b32 v1, v6
	s_cbranch_scc1 .LBB519_122
.LBB519_123:
	s_and_not1_b32 vcc_lo, exec_lo, s35
	s_cbranch_vccnz .LBB519_126
; %bb.124:
	v_mul_hi_u32 v0, s17, v4
	s_and_not1_b32 vcc_lo, exec_lo, s11
	s_delay_alu instid0(VALU_DEP_1) | instskip(NEXT) | instid1(VALU_DEP_1)
	v_add_nc_u32_e32 v0, v4, v0
	v_lshrrev_b32_e32 v2, s18, v0
	s_delay_alu instid0(VALU_DEP_1) | instskip(NEXT) | instid1(VALU_DEP_1)
	v_mul_lo_u32 v0, v2, s16
	v_sub_nc_u32_e32 v1, v4, v0
	s_delay_alu instid0(VALU_DEP_1)
	v_mul_lo_u32 v0, v1, s12
	v_mul_lo_u32 v1, v1, s13
	s_cbranch_vccnz .LBB519_126
; %bb.125:
	v_mul_hi_u32 v3, s2, v2
	s_delay_alu instid0(VALU_DEP_1) | instskip(NEXT) | instid1(VALU_DEP_1)
	v_add_nc_u32_e32 v3, v2, v3
	v_lshrrev_b32_e32 v3, s3, v3
	s_delay_alu instid0(VALU_DEP_1) | instskip(NEXT) | instid1(VALU_DEP_1)
	v_mul_lo_u32 v3, v3, s19
	v_sub_nc_u32_e32 v7, v2, v3
	s_delay_alu instid0(VALU_DEP_1) | instskip(NEXT) | instid1(VALU_DEP_1)
	v_mad_u64_u32 v[2:3], null, v7, s14, v[0:1]
	v_mad_u64_u32 v[5:6], null, v7, s15, v[1:2]
	s_delay_alu instid0(VALU_DEP_1)
	v_dual_mov_b32 v0, v2 :: v_dual_mov_b32 v1, v5
.LBB519_126:
	global_load_b32 v2, v1, s[6:7]
	v_mov_b32_e32 v1, s8
	s_mov_b32 s22, exec_lo
	s_waitcnt vmcnt(0)
	v_cmpx_o_f32_e32 v2, v2
	s_cbranch_execz .LBB519_130
; %bb.127:
	v_mov_b32_e32 v1, s9
	s_mov_b32 s23, exec_lo
	v_cmpx_neq_f32_e32 0x7f800000, v2
; %bb.128:
	v_cmp_eq_f32_e32 vcc_lo, 0xff800000, v2
	v_cndmask_b32_e64 v1, v2, s10, vcc_lo
; %bb.129:
	s_or_b32 exec_lo, exec_lo, s23
.LBB519_130:
	s_delay_alu instid0(SALU_CYCLE_1) | instskip(SKIP_3) | instid1(SALU_CYCLE_1)
	s_or_b32 exec_lo, exec_lo, s22
	v_add_nc_u32_e32 v4, 0x80, v4
	global_store_b32 v0, v1, s[4:5]
	s_or_b32 exec_lo, exec_lo, s34
	s_mov_b32 s24, exec_lo
	v_cmpx_gt_i32_e64 s30, v4
	s_cbranch_execz .LBB519_117
.LBB519_131:
	s_and_not1_b32 vcc_lo, exec_lo, s28
	s_cbranch_vccnz .LBB519_136
; %bb.132:
	v_dual_mov_b32 v0, 0 :: v_dual_mov_b32 v1, 0
	s_and_not1_b32 vcc_lo, exec_lo, s33
	s_mov_b32 s25, 0
	s_cbranch_vccnz .LBB519_141
; %bb.133:
	v_mov_b32_e32 v0, 0
	s_add_i32 s31, s31, 1
	s_cmp_eq_u32 s27, 2
	s_mov_b32 s30, 0
	s_cbranch_scc1 .LBB519_137
; %bb.134:
	v_dual_mov_b32 v1, 0 :: v_dual_mov_b32 v0, 0
	v_mov_b32_e32 v2, v4
	s_and_b32 s30, s31, 28
	s_mov_b32 s33, 0
	s_mov_b64 s[22:23], s[0:1]
.LBB519_135:                            ; =>This Inner Loop Header: Depth=1
	s_clause 0x1
	s_load_b256 s[36:43], s[22:23], 0x4
	s_load_b128 s[52:55], s[22:23], 0x24
	s_load_b256 s[44:51], s[20:21], 0x0
	s_add_u32 s22, s22, 48
	s_addc_u32 s23, s23, 0
	s_add_i32 s33, s33, 4
	s_add_u32 s20, s20, 32
	s_addc_u32 s21, s21, 0
	s_cmp_eq_u32 s30, s33
	s_waitcnt lgkmcnt(0)
	v_mul_hi_u32 v3, s37, v2
	s_delay_alu instid0(VALU_DEP_1) | instskip(NEXT) | instid1(VALU_DEP_1)
	v_add_nc_u32_e32 v3, v2, v3
	v_lshrrev_b32_e32 v3, s38, v3
	s_delay_alu instid0(VALU_DEP_1) | instskip(SKIP_1) | instid1(VALU_DEP_2)
	v_mul_hi_u32 v5, s40, v3
	v_mul_lo_u32 v7, v3, s36
	v_add_nc_u32_e32 v5, v3, v5
	s_delay_alu instid0(VALU_DEP_2) | instskip(NEXT) | instid1(VALU_DEP_2)
	v_sub_nc_u32_e32 v2, v2, v7
	v_lshrrev_b32_e32 v5, s41, v5
	s_delay_alu instid0(VALU_DEP_2) | instskip(SKIP_1) | instid1(VALU_DEP_3)
	v_mul_lo_u32 v7, v2, s44
	v_mul_lo_u32 v9, v2, s45
	v_mul_hi_u32 v6, s43, v5
	s_delay_alu instid0(VALU_DEP_1) | instskip(NEXT) | instid1(VALU_DEP_1)
	v_add_nc_u32_e32 v6, v5, v6
	v_lshrrev_b32_e32 v6, s52, v6
	s_delay_alu instid0(VALU_DEP_1) | instskip(SKIP_1) | instid1(VALU_DEP_2)
	v_mul_hi_u32 v8, s54, v6
	v_mul_lo_u32 v10, v6, s42
	v_add_nc_u32_e32 v2, v6, v8
	v_mul_lo_u32 v8, v5, s39
	s_delay_alu instid0(VALU_DEP_3) | instskip(NEXT) | instid1(VALU_DEP_3)
	v_sub_nc_u32_e32 v5, v5, v10
	v_lshrrev_b32_e32 v2, s55, v2
	s_delay_alu instid0(VALU_DEP_2) | instskip(SKIP_2) | instid1(VALU_DEP_4)
	v_mul_lo_u32 v10, v5, s48
	v_mul_lo_u32 v5, v5, s49
	v_sub_nc_u32_e32 v3, v3, v8
	v_mul_lo_u32 v11, v2, s53
	s_delay_alu instid0(VALU_DEP_2) | instskip(SKIP_1) | instid1(VALU_DEP_3)
	v_mul_lo_u32 v8, v3, s46
	v_mul_lo_u32 v3, v3, s47
	v_sub_nc_u32_e32 v6, v6, v11
	s_delay_alu instid0(VALU_DEP_3) | instskip(NEXT) | instid1(VALU_DEP_2)
	v_add3_u32 v0, v7, v0, v8
	v_mul_lo_u32 v11, v6, s50
	v_mul_lo_u32 v6, v6, s51
	v_add3_u32 v1, v9, v1, v3
	s_delay_alu instid0(VALU_DEP_3) | instskip(NEXT) | instid1(VALU_DEP_2)
	v_add3_u32 v0, v10, v0, v11
	v_add3_u32 v1, v5, v1, v6
	s_cbranch_scc0 .LBB519_135
	s_branch .LBB519_138
.LBB519_136:
	s_mov_b32 s25, -1
                                        ; implicit-def: $vgpr0
                                        ; implicit-def: $vgpr1
	s_branch .LBB519_141
.LBB519_137:
	v_dual_mov_b32 v2, v4 :: v_dual_mov_b32 v1, 0
.LBB519_138:
	s_and_b32 s31, s31, 3
	s_delay_alu instid0(SALU_CYCLE_1)
	s_cmp_eq_u32 s31, 0
	s_cbranch_scc1 .LBB519_141
; %bb.139:
	s_lshl_b32 s20, s30, 3
	s_mul_i32 s22, s30, 12
	s_add_u32 s20, s20, s0
	s_addc_u32 s21, s1, 0
	s_add_u32 s20, s20, 0xc4
	s_addc_u32 s21, s21, 0
	;; [unrolled: 2-line block ×3, first 2 shown]
	.p2align	6
.LBB519_140:                            ; =>This Inner Loop Header: Depth=1
	s_clause 0x1
	s_load_b64 s[34:35], s[22:23], 0x4
	s_load_b32 s30, s[22:23], 0xc
	s_load_b64 s[36:37], s[20:21], 0x0
	s_add_u32 s22, s22, 12
	s_addc_u32 s23, s23, 0
	s_add_u32 s20, s20, 8
	s_addc_u32 s21, s21, 0
	s_add_i32 s31, s31, -1
	s_delay_alu instid0(SALU_CYCLE_1) | instskip(SKIP_2) | instid1(VALU_DEP_1)
	s_cmp_lg_u32 s31, 0
	s_waitcnt lgkmcnt(0)
	v_mul_hi_u32 v3, s35, v2
	v_add_nc_u32_e32 v3, v2, v3
	s_delay_alu instid0(VALU_DEP_1) | instskip(NEXT) | instid1(VALU_DEP_1)
	v_lshrrev_b32_e32 v3, s30, v3
	v_mul_lo_u32 v5, v3, s34
	s_delay_alu instid0(VALU_DEP_1) | instskip(NEXT) | instid1(VALU_DEP_1)
	v_sub_nc_u32_e32 v2, v2, v5
	v_mad_u64_u32 v[5:6], null, v2, s36, v[0:1]
	v_mad_u64_u32 v[6:7], null, v2, s37, v[1:2]
	v_mov_b32_e32 v2, v3
	s_delay_alu instid0(VALU_DEP_2)
	v_dual_mov_b32 v0, v5 :: v_dual_mov_b32 v1, v6
	s_cbranch_scc1 .LBB519_140
.LBB519_141:
	s_and_not1_b32 vcc_lo, exec_lo, s25
	s_cbranch_vccnz .LBB519_144
; %bb.142:
	v_mul_hi_u32 v0, s17, v4
	s_and_not1_b32 vcc_lo, exec_lo, s11
	s_delay_alu instid0(VALU_DEP_1) | instskip(NEXT) | instid1(VALU_DEP_1)
	v_add_nc_u32_e32 v0, v4, v0
	v_lshrrev_b32_e32 v2, s18, v0
	s_delay_alu instid0(VALU_DEP_1) | instskip(NEXT) | instid1(VALU_DEP_1)
	v_mul_lo_u32 v0, v2, s16
	v_sub_nc_u32_e32 v1, v4, v0
	s_delay_alu instid0(VALU_DEP_1)
	v_mul_lo_u32 v0, v1, s12
	v_mul_lo_u32 v1, v1, s13
	s_cbranch_vccnz .LBB519_144
; %bb.143:
	v_mul_hi_u32 v3, s2, v2
	s_delay_alu instid0(VALU_DEP_1) | instskip(NEXT) | instid1(VALU_DEP_1)
	v_add_nc_u32_e32 v3, v2, v3
	v_lshrrev_b32_e32 v3, s3, v3
	s_delay_alu instid0(VALU_DEP_1) | instskip(NEXT) | instid1(VALU_DEP_1)
	v_mul_lo_u32 v3, v3, s19
	v_sub_nc_u32_e32 v5, v2, v3
	s_delay_alu instid0(VALU_DEP_1) | instskip(NEXT) | instid1(VALU_DEP_1)
	v_mad_u64_u32 v[2:3], null, v5, s14, v[0:1]
	v_mad_u64_u32 v[3:4], null, v5, s15, v[1:2]
	s_delay_alu instid0(VALU_DEP_1)
	v_dual_mov_b32 v0, v2 :: v_dual_mov_b32 v1, v3
.LBB519_144:
	global_load_b32 v2, v1, s[6:7]
	v_mov_b32_e32 v1, s8
	s_mov_b32 s2, exec_lo
	s_waitcnt vmcnt(0)
	v_cmpx_o_f32_e32 v2, v2
	s_cbranch_execz .LBB519_148
; %bb.145:
	v_mov_b32_e32 v1, s9
	s_mov_b32 s3, exec_lo
	v_cmpx_neq_f32_e32 0x7f800000, v2
; %bb.146:
	v_cmp_eq_f32_e32 vcc_lo, 0xff800000, v2
	v_cndmask_b32_e64 v1, v2, s10, vcc_lo
; %bb.147:
	s_or_b32 exec_lo, exec_lo, s3
.LBB519_148:
	s_delay_alu instid0(SALU_CYCLE_1)
	s_or_b32 exec_lo, exec_lo, s2
	global_store_b32 v0, v1, s[4:5]
	s_or_b32 exec_lo, exec_lo, s24
                                        ; implicit-def: $vgpr8
                                        ; implicit-def: $vgpr4
	s_and_not1_saveexec_b32 s2, s29
	s_cbranch_execz .LBB519_118
	s_branch .LBB519_8
	.section	.rodata,"a",@progbits
	.p2align	6, 0x0
	.amdhsa_kernel _ZN2at6native32elementwise_kernel_manual_unrollILi128ELi4EZNS0_22gpu_kernel_impl_nocastIZZZNS0_22nan_to_num_kernel_cudaERNS_18TensorIteratorBaseESt8optionalIdES6_S6_ENKUlvE0_clEvENKUlvE0_clEvEUlfE_EEvS4_RKT_EUlibE_EEviT1_
		.amdhsa_group_segment_fixed_size 0
		.amdhsa_private_segment_fixed_size 0
		.amdhsa_kernarg_size 368
		.amdhsa_user_sgpr_count 15
		.amdhsa_user_sgpr_dispatch_ptr 0
		.amdhsa_user_sgpr_queue_ptr 0
		.amdhsa_user_sgpr_kernarg_segment_ptr 1
		.amdhsa_user_sgpr_dispatch_id 0
		.amdhsa_user_sgpr_private_segment_size 0
		.amdhsa_wavefront_size32 1
		.amdhsa_uses_dynamic_stack 0
		.amdhsa_enable_private_segment 0
		.amdhsa_system_sgpr_workgroup_id_x 1
		.amdhsa_system_sgpr_workgroup_id_y 0
		.amdhsa_system_sgpr_workgroup_id_z 0
		.amdhsa_system_sgpr_workgroup_info 0
		.amdhsa_system_vgpr_workitem_id 0
		.amdhsa_next_free_vgpr 18
		.amdhsa_next_free_sgpr 60
		.amdhsa_reserve_vcc 1
		.amdhsa_float_round_mode_32 0
		.amdhsa_float_round_mode_16_64 0
		.amdhsa_float_denorm_mode_32 3
		.amdhsa_float_denorm_mode_16_64 3
		.amdhsa_dx10_clamp 1
		.amdhsa_ieee_mode 1
		.amdhsa_fp16_overflow 0
		.amdhsa_workgroup_processor_mode 1
		.amdhsa_memory_ordered 1
		.amdhsa_forward_progress 0
		.amdhsa_shared_vgpr_count 0
		.amdhsa_exception_fp_ieee_invalid_op 0
		.amdhsa_exception_fp_denorm_src 0
		.amdhsa_exception_fp_ieee_div_zero 0
		.amdhsa_exception_fp_ieee_overflow 0
		.amdhsa_exception_fp_ieee_underflow 0
		.amdhsa_exception_fp_ieee_inexact 0
		.amdhsa_exception_int_div_zero 0
	.end_amdhsa_kernel
	.section	.text._ZN2at6native32elementwise_kernel_manual_unrollILi128ELi4EZNS0_22gpu_kernel_impl_nocastIZZZNS0_22nan_to_num_kernel_cudaERNS_18TensorIteratorBaseESt8optionalIdES6_S6_ENKUlvE0_clEvENKUlvE0_clEvEUlfE_EEvS4_RKT_EUlibE_EEviT1_,"axG",@progbits,_ZN2at6native32elementwise_kernel_manual_unrollILi128ELi4EZNS0_22gpu_kernel_impl_nocastIZZZNS0_22nan_to_num_kernel_cudaERNS_18TensorIteratorBaseESt8optionalIdES6_S6_ENKUlvE0_clEvENKUlvE0_clEvEUlfE_EEvS4_RKT_EUlibE_EEviT1_,comdat
.Lfunc_end519:
	.size	_ZN2at6native32elementwise_kernel_manual_unrollILi128ELi4EZNS0_22gpu_kernel_impl_nocastIZZZNS0_22nan_to_num_kernel_cudaERNS_18TensorIteratorBaseESt8optionalIdES6_S6_ENKUlvE0_clEvENKUlvE0_clEvEUlfE_EEvS4_RKT_EUlibE_EEviT1_, .Lfunc_end519-_ZN2at6native32elementwise_kernel_manual_unrollILi128ELi4EZNS0_22gpu_kernel_impl_nocastIZZZNS0_22nan_to_num_kernel_cudaERNS_18TensorIteratorBaseESt8optionalIdES6_S6_ENKUlvE0_clEvENKUlvE0_clEvEUlfE_EEvS4_RKT_EUlibE_EEviT1_
                                        ; -- End function
	.section	.AMDGPU.csdata,"",@progbits
; Kernel info:
; codeLenInByte = 7336
; NumSgprs: 62
; NumVgprs: 18
; ScratchSize: 0
; MemoryBound: 0
; FloatMode: 240
; IeeeMode: 1
; LDSByteSize: 0 bytes/workgroup (compile time only)
; SGPRBlocks: 7
; VGPRBlocks: 2
; NumSGPRsForWavesPerEU: 62
; NumVGPRsForWavesPerEU: 18
; Occupancy: 16
; WaveLimiterHint : 1
; COMPUTE_PGM_RSRC2:SCRATCH_EN: 0
; COMPUTE_PGM_RSRC2:USER_SGPR: 15
; COMPUTE_PGM_RSRC2:TRAP_HANDLER: 0
; COMPUTE_PGM_RSRC2:TGID_X_EN: 1
; COMPUTE_PGM_RSRC2:TGID_Y_EN: 0
; COMPUTE_PGM_RSRC2:TGID_Z_EN: 0
; COMPUTE_PGM_RSRC2:TIDIG_COMP_CNT: 0
	.section	.text._ZN2at6native32elementwise_kernel_manual_unrollILi128ELi4EZNS0_15gpu_kernel_implIZZZNS0_22nan_to_num_kernel_cudaERNS_18TensorIteratorBaseESt8optionalIdES6_S6_ENKUlvE0_clEvENKUlvE0_clEvEUlfE_EEvS4_RKT_EUlibE_EEviT1_,"axG",@progbits,_ZN2at6native32elementwise_kernel_manual_unrollILi128ELi4EZNS0_15gpu_kernel_implIZZZNS0_22nan_to_num_kernel_cudaERNS_18TensorIteratorBaseESt8optionalIdES6_S6_ENKUlvE0_clEvENKUlvE0_clEvEUlfE_EEvS4_RKT_EUlibE_EEviT1_,comdat
	.globl	_ZN2at6native32elementwise_kernel_manual_unrollILi128ELi4EZNS0_15gpu_kernel_implIZZZNS0_22nan_to_num_kernel_cudaERNS_18TensorIteratorBaseESt8optionalIdES6_S6_ENKUlvE0_clEvENKUlvE0_clEvEUlfE_EEvS4_RKT_EUlibE_EEviT1_ ; -- Begin function _ZN2at6native32elementwise_kernel_manual_unrollILi128ELi4EZNS0_15gpu_kernel_implIZZZNS0_22nan_to_num_kernel_cudaERNS_18TensorIteratorBaseESt8optionalIdES6_S6_ENKUlvE0_clEvENKUlvE0_clEvEUlfE_EEvS4_RKT_EUlibE_EEviT1_
	.p2align	8
	.type	_ZN2at6native32elementwise_kernel_manual_unrollILi128ELi4EZNS0_15gpu_kernel_implIZZZNS0_22nan_to_num_kernel_cudaERNS_18TensorIteratorBaseESt8optionalIdES6_S6_ENKUlvE0_clEvENKUlvE0_clEvEUlfE_EEvS4_RKT_EUlibE_EEviT1_,@function
_ZN2at6native32elementwise_kernel_manual_unrollILi128ELi4EZNS0_15gpu_kernel_implIZZZNS0_22nan_to_num_kernel_cudaERNS_18TensorIteratorBaseESt8optionalIdES6_S6_ENKUlvE0_clEvENKUlvE0_clEvEUlfE_EEvS4_RKT_EUlibE_EEviT1_: ; @_ZN2at6native32elementwise_kernel_manual_unrollILi128ELi4EZNS0_15gpu_kernel_implIZZZNS0_22nan_to_num_kernel_cudaERNS_18TensorIteratorBaseESt8optionalIdES6_S6_ENKUlvE0_clEvENKUlvE0_clEvEUlfE_EEvS4_RKT_EUlibE_EEviT1_
; %bb.0:
	s_clause 0x2
	s_load_b64 s[2:3], s[0:1], 0x28
	s_load_b32 s14, s[0:1], 0x0
	s_load_b256 s[4:11], s[0:1], 0x8
	v_lshl_or_b32 v8, s15, 9, v0
	s_mov_b32 s1, 0
	s_mov_b32 s13, 0
	s_mov_b32 s0, exec_lo
	s_delay_alu instid0(VALU_DEP_1) | instskip(SKIP_2) | instid1(VALU_DEP_2)
	v_or_b32_e32 v0, 0x180, v8
	s_waitcnt lgkmcnt(0)
	v_lshrrev_b16 v9, 8, s3
	v_cmpx_le_i32_e64 s14, v0
	s_xor_b32 s12, exec_lo, s0
	s_cbranch_execz .LBB520_1049
; %bb.1:
	s_mov_b32 s19, -1
	s_mov_b32 s17, 0
	s_mov_b32 s15, 0
	s_mov_b32 s16, exec_lo
	v_cmpx_gt_i32_e64 s14, v8
	s_cbranch_execz .LBB520_256
; %bb.2:
	v_mul_lo_u32 v0, v8, s9
	v_cmp_gt_i16_e32 vcc_lo, 11, v9
	s_delay_alu instid0(VALU_DEP_2) | instskip(SKIP_1) | instid1(VALU_DEP_1)
	v_ashrrev_i32_e32 v1, 31, v0
	v_add_co_u32 v0, s0, s6, v0
	v_add_co_ci_u32_e64 v1, s0, s7, v1, s0
	s_cbranch_vccnz .LBB520_9
; %bb.3:
	v_cmp_lt_i16_e32 vcc_lo, 25, v9
	s_cbranch_vccz .LBB520_22
; %bb.4:
	v_cmp_lt_i16_e32 vcc_lo, 28, v9
	s_cbranch_vccz .LBB520_25
	;; [unrolled: 3-line block ×4, first 2 shown]
; %bb.7:
	v_cmp_eq_u16_e32 vcc_lo, 46, v9
	s_cbranch_vccz .LBB520_31
; %bb.8:
	global_load_b32 v2, v[0:1], off
	s_mov_b32 s0, -1
	s_waitcnt vmcnt(0)
	v_lshlrev_b32_e32 v2, 16, v2
	s_branch .LBB520_33
.LBB520_9:
	s_mov_b32 s0, 0
                                        ; implicit-def: $vgpr2
	s_cbranch_execnz .LBB520_206
.LBB520_10:
	s_and_not1_b32 vcc_lo, exec_lo, s0
	s_cbranch_vccnz .LBB520_253
.LBB520_11:
	v_mov_b32_e32 v0, s10
	s_mov_b32 s0, exec_lo
	s_waitcnt vmcnt(0)
	s_delay_alu instid0(VALU_DEP_2)
	v_cmpx_o_f32_e32 v2, v2
	s_cbranch_execz .LBB520_15
; %bb.12:
	v_mov_b32_e32 v0, s11
	s_mov_b32 s13, exec_lo
	v_cmpx_neq_f32_e32 0x7f800000, v2
; %bb.13:
	v_cmp_eq_f32_e32 vcc_lo, 0xff800000, v2
	v_cndmask_b32_e64 v0, v2, s2, vcc_lo
; %bb.14:
	s_or_b32 exec_lo, exec_lo, s13
.LBB520_15:
	s_delay_alu instid0(SALU_CYCLE_1) | instskip(SKIP_2) | instid1(VALU_DEP_1)
	s_or_b32 exec_lo, exec_lo, s0
	v_mul_lo_u32 v1, v8, s8
	v_and_b32_e64 v4, 0xff, s3
	v_cmp_gt_i16_e32 vcc_lo, 11, v4
	s_delay_alu instid0(VALU_DEP_3) | instskip(SKIP_1) | instid1(VALU_DEP_1)
	v_ashrrev_i32_e32 v3, 31, v1
	v_add_co_u32 v2, s0, s4, v1
	v_add_co_ci_u32_e64 v3, s0, s5, v3, s0
	s_cbranch_vccnz .LBB520_23
; %bb.16:
	v_cmp_lt_i16_e32 vcc_lo, 25, v4
	s_cbranch_vccz .LBB520_26
; %bb.17:
	v_cmp_lt_i16_e32 vcc_lo, 28, v4
	s_cbranch_vccz .LBB520_28
	;; [unrolled: 3-line block ×4, first 2 shown]
; %bb.20:
	v_cmp_eq_u16_e32 vcc_lo, 46, v4
	s_mov_b32 s18, 0
	s_mov_b32 s0, -1
	s_mov_b32 s13, 0
	s_cbranch_vccz .LBB520_37
; %bb.21:
	v_bfe_u32 v1, v0, 16, 1
	v_cmp_o_f32_e32 vcc_lo, v0, v0
	s_mov_b32 s13, -1
	s_mov_b32 s0, 0
	s_delay_alu instid0(VALU_DEP_2) | instskip(NEXT) | instid1(VALU_DEP_1)
	v_add3_u32 v1, v0, v1, 0x7fff
	v_lshrrev_b32_e32 v1, 16, v1
	s_delay_alu instid0(VALU_DEP_1)
	v_cndmask_b32_e32 v1, 0x7fc0, v1, vcc_lo
	global_store_b32 v[2:3], v1, off
	s_branch .LBB520_37
.LBB520_22:
	s_mov_b32 s0, 0
                                        ; implicit-def: $vgpr2
	s_cbranch_execnz .LBB520_171
	s_branch .LBB520_205
.LBB520_23:
	s_mov_b32 s0, 0
	s_mov_b32 s13, 0
	s_cbranch_execnz .LBB520_106
.LBB520_24:
	s_and_not1_b32 vcc_lo, exec_lo, s13
	s_cbranch_vccnz .LBB520_254
	s_branch .LBB520_144
.LBB520_25:
	s_mov_b32 s13, -1
	s_mov_b32 s0, 0
                                        ; implicit-def: $vgpr2
	s_branch .LBB520_152
.LBB520_26:
	s_mov_b32 s18, -1
	s_mov_b32 s0, 0
	s_mov_b32 s13, 0
	s_branch .LBB520_64
.LBB520_27:
	s_mov_b32 s13, -1
	s_mov_b32 s0, 0
                                        ; implicit-def: $vgpr2
	s_branch .LBB520_147
.LBB520_28:
	s_mov_b32 s18, -1
	s_mov_b32 s0, 0
	s_mov_b32 s13, 0
	s_branch .LBB520_47
.LBB520_29:
	s_mov_b32 s13, -1
	s_branch .LBB520_32
.LBB520_30:
	s_mov_b32 s18, -1
	s_mov_b32 s0, 0
	s_mov_b32 s13, 0
	s_branch .LBB520_43
.LBB520_31:
	s_mov_b32 s15, -1
.LBB520_32:
	s_mov_b32 s0, 0
                                        ; implicit-def: $vgpr2
.LBB520_33:
	s_and_b32 vcc_lo, exec_lo, s13
	s_cbranch_vccz .LBB520_146
; %bb.34:
	v_cmp_eq_u16_e32 vcc_lo, 44, v9
	s_cbranch_vccz .LBB520_145
; %bb.35:
	global_load_u8 v2, v[0:1], off
	s_mov_b32 s15, 0
	s_mov_b32 s0, -1
	s_waitcnt vmcnt(0)
	v_lshlrev_b32_e32 v3, 23, v2
	v_cmp_ne_u32_e32 vcc_lo, 0xff, v2
	s_delay_alu instid0(VALU_DEP_2) | instskip(SKIP_1) | instid1(VALU_DEP_2)
	v_cndmask_b32_e32 v3, 0x7f800001, v3, vcc_lo
	v_cmp_ne_u32_e32 vcc_lo, 0, v2
	v_cndmask_b32_e32 v2, 0x400000, v3, vcc_lo
	s_branch .LBB520_146
.LBB520_36:
	s_mov_b32 s18, -1
	s_mov_b32 s0, 0
	s_mov_b32 s13, 0
.LBB520_37:
	s_and_b32 vcc_lo, exec_lo, s18
	s_cbranch_vccz .LBB520_42
; %bb.38:
	v_cmp_eq_u16_e32 vcc_lo, 44, v4
	s_mov_b32 s0, -1
	s_cbranch_vccz .LBB520_42
; %bb.39:
	v_bfe_u32 v5, v0, 23, 8
	v_mov_b32_e32 v1, 0xff
	s_mov_b32 s13, exec_lo
	s_delay_alu instid0(VALU_DEP_2)
	v_cmpx_ne_u32_e32 0xff, v5
; %bb.40:
	v_and_b32_e32 v1, 0x400000, v0
	v_and_or_b32 v5, 0x3fffff, v0, v5
	s_delay_alu instid0(VALU_DEP_2) | instskip(NEXT) | instid1(VALU_DEP_2)
	v_cmp_ne_u32_e32 vcc_lo, 0, v1
	v_cmp_ne_u32_e64 s0, 0, v5
	v_lshrrev_b32_e32 v1, 23, v0
	s_delay_alu instid0(VALU_DEP_2) | instskip(NEXT) | instid1(SALU_CYCLE_1)
	s_and_b32 s0, vcc_lo, s0
	v_cndmask_b32_e64 v5, 0, 1, s0
	s_delay_alu instid0(VALU_DEP_1)
	v_add_nc_u32_e32 v1, v1, v5
; %bb.41:
	s_or_b32 exec_lo, exec_lo, s13
	s_mov_b32 s13, -1
	s_mov_b32 s0, 0
	global_store_b8 v[2:3], v1, off
.LBB520_42:
	s_mov_b32 s18, 0
.LBB520_43:
	s_delay_alu instid0(SALU_CYCLE_1)
	s_and_b32 vcc_lo, exec_lo, s18
	s_cbranch_vccz .LBB520_46
; %bb.44:
	v_cmp_eq_u16_e32 vcc_lo, 29, v4
	s_mov_b32 s0, -1
	s_cbranch_vccz .LBB520_46
; %bb.45:
	v_trunc_f32_e32 v1, v0
	s_mov_b32 s13, -1
	s_mov_b32 s0, 0
	s_mov_b32 s18, 0
	s_delay_alu instid0(VALU_DEP_1) | instskip(NEXT) | instid1(VALU_DEP_1)
	v_mul_f32_e32 v5, 0x2f800000, v1
	v_floor_f32_e32 v5, v5
	s_delay_alu instid0(VALU_DEP_1) | instskip(SKIP_1) | instid1(VALU_DEP_2)
	v_fmamk_f32 v1, v5, 0xcf800000, v1
	v_cvt_u32_f32_e32 v6, v5
	v_cvt_u32_f32_e32 v5, v1
	global_store_b64 v[2:3], v[5:6], off
	s_branch .LBB520_47
.LBB520_46:
	s_mov_b32 s18, 0
.LBB520_47:
	s_delay_alu instid0(SALU_CYCLE_1)
	s_and_b32 vcc_lo, exec_lo, s18
	s_cbranch_vccz .LBB520_63
; %bb.48:
	v_cmp_gt_i16_e32 vcc_lo, 27, v4
	s_mov_b32 s13, -1
	s_cbranch_vccnz .LBB520_54
; %bb.49:
	v_cmp_lt_i16_e32 vcc_lo, 27, v4
	s_cbranch_vccz .LBB520_51
; %bb.50:
	v_cvt_u32_f32_e32 v1, v0
	s_mov_b32 s13, 0
	global_store_b32 v[2:3], v1, off
.LBB520_51:
	s_and_not1_b32 vcc_lo, exec_lo, s13
	s_cbranch_vccnz .LBB520_53
; %bb.52:
	v_cvt_u32_f32_e32 v1, v0
	global_store_b16 v[2:3], v1, off
.LBB520_53:
	s_mov_b32 s13, 0
.LBB520_54:
	s_delay_alu instid0(SALU_CYCLE_1)
	s_and_not1_b32 vcc_lo, exec_lo, s13
	s_cbranch_vccnz .LBB520_62
; %bb.55:
	v_and_b32_e32 v1, 0x7fffffff, v0
	v_mov_b32_e32 v5, 0x80
	s_mov_b32 s13, exec_lo
	s_delay_alu instid0(VALU_DEP_2)
	v_cmpx_gt_u32_e32 0x43800000, v1
	s_cbranch_execz .LBB520_61
; %bb.56:
	v_cmp_lt_u32_e32 vcc_lo, 0x3bffffff, v1
	s_mov_b32 s18, 0
                                        ; implicit-def: $vgpr1
	s_and_saveexec_b32 s19, vcc_lo
	s_delay_alu instid0(SALU_CYCLE_1)
	s_xor_b32 s19, exec_lo, s19
	s_cbranch_execz .LBB520_284
; %bb.57:
	v_bfe_u32 v1, v0, 20, 1
	s_mov_b32 s18, exec_lo
	s_delay_alu instid0(VALU_DEP_1) | instskip(NEXT) | instid1(VALU_DEP_1)
	v_add3_u32 v1, v0, v1, 0x487ffff
	v_lshrrev_b32_e32 v1, 20, v1
	s_or_saveexec_b32 s19, s19
                                        ; implicit-def: $sgpr20
	s_delay_alu instid0(SALU_CYCLE_1)
	s_xor_b32 exec_lo, exec_lo, s19
	s_cbranch_execnz .LBB520_285
.LBB520_58:
	s_or_b32 exec_lo, exec_lo, s19
	v_mov_b32_e32 v5, s20
	s_and_saveexec_b32 s19, s18
.LBB520_59:
	v_lshrrev_b32_e32 v5, 24, v0
	s_delay_alu instid0(VALU_DEP_1)
	v_and_or_b32 v5, 0x80, v5, v1
.LBB520_60:
	s_or_b32 exec_lo, exec_lo, s19
.LBB520_61:
	s_delay_alu instid0(SALU_CYCLE_1)
	s_or_b32 exec_lo, exec_lo, s13
	global_store_b8 v[2:3], v5, off
.LBB520_62:
	s_mov_b32 s13, -1
.LBB520_63:
	s_mov_b32 s18, 0
.LBB520_64:
	s_delay_alu instid0(SALU_CYCLE_1)
	s_and_b32 vcc_lo, exec_lo, s18
	s_cbranch_vccz .LBB520_105
; %bb.65:
	v_cmp_lt_i16_e32 vcc_lo, 22, v4
	s_mov_b32 s18, -1
	s_cbranch_vccz .LBB520_97
; %bb.66:
	v_cmp_gt_i16_e32 vcc_lo, 24, v4
	s_mov_b32 s13, -1
	s_cbranch_vccnz .LBB520_86
; %bb.67:
	v_cmp_lt_i16_e32 vcc_lo, 24, v4
	s_cbranch_vccz .LBB520_75
; %bb.68:
	v_and_b32_e32 v1, 0x7fffffff, v0
	v_mov_b32_e32 v5, 0x80
	s_mov_b32 s13, exec_lo
	s_delay_alu instid0(VALU_DEP_2)
	v_cmpx_gt_u32_e32 0x47800000, v1
	s_cbranch_execz .LBB520_74
; %bb.69:
	v_cmp_lt_u32_e32 vcc_lo, 0x37ffffff, v1
	s_mov_b32 s18, 0
                                        ; implicit-def: $vgpr1
	s_and_saveexec_b32 s19, vcc_lo
	s_delay_alu instid0(SALU_CYCLE_1)
	s_xor_b32 s19, exec_lo, s19
	s_cbranch_execz .LBB520_288
; %bb.70:
	v_bfe_u32 v1, v0, 21, 1
	s_mov_b32 s18, exec_lo
	s_delay_alu instid0(VALU_DEP_1) | instskip(NEXT) | instid1(VALU_DEP_1)
	v_add3_u32 v1, v0, v1, 0x88fffff
	v_lshrrev_b32_e32 v1, 21, v1
	s_or_saveexec_b32 s19, s19
                                        ; implicit-def: $sgpr20
	s_delay_alu instid0(SALU_CYCLE_1)
	s_xor_b32 exec_lo, exec_lo, s19
	s_cbranch_execnz .LBB520_289
.LBB520_71:
	s_or_b32 exec_lo, exec_lo, s19
	v_mov_b32_e32 v5, s20
	s_and_saveexec_b32 s19, s18
.LBB520_72:
	v_lshrrev_b32_e32 v5, 24, v0
	s_delay_alu instid0(VALU_DEP_1)
	v_and_or_b32 v5, 0x80, v5, v1
.LBB520_73:
	s_or_b32 exec_lo, exec_lo, s19
.LBB520_74:
	s_delay_alu instid0(SALU_CYCLE_1)
	s_or_b32 exec_lo, exec_lo, s13
	s_mov_b32 s13, 0
	global_store_b8 v[2:3], v5, off
.LBB520_75:
	s_and_b32 vcc_lo, exec_lo, s13
	s_cbranch_vccz .LBB520_85
; %bb.76:
	v_and_b32_e32 v5, 0x7fffffff, v0
	s_mov_b32 s13, exec_lo
                                        ; implicit-def: $vgpr1
	s_delay_alu instid0(VALU_DEP_1)
	v_cmpx_gt_u32_e32 0x43f00000, v5
	s_xor_b32 s13, exec_lo, s13
	s_cbranch_execz .LBB520_82
; %bb.77:
	s_mov_b32 s18, exec_lo
                                        ; implicit-def: $vgpr1
	v_cmpx_lt_u32_e32 0x3c7fffff, v5
	s_xor_b32 s18, exec_lo, s18
; %bb.78:
	v_bfe_u32 v1, v0, 20, 1
	s_delay_alu instid0(VALU_DEP_1) | instskip(NEXT) | instid1(VALU_DEP_1)
	v_add3_u32 v1, v0, v1, 0x407ffff
	v_and_b32_e32 v5, 0xff00000, v1
	v_lshrrev_b32_e32 v1, 20, v1
	s_delay_alu instid0(VALU_DEP_2) | instskip(NEXT) | instid1(VALU_DEP_2)
	v_cmp_ne_u32_e32 vcc_lo, 0x7f00000, v5
	v_cndmask_b32_e32 v1, 0x7e, v1, vcc_lo
; %bb.79:
	s_and_not1_saveexec_b32 s18, s18
; %bb.80:
	v_add_f32_e64 v1, 0x46800000, |v0|
; %bb.81:
	s_or_b32 exec_lo, exec_lo, s18
                                        ; implicit-def: $vgpr5
.LBB520_82:
	s_and_not1_saveexec_b32 s13, s13
; %bb.83:
	v_mov_b32_e32 v1, 0x7f
	v_cmp_lt_u32_e32 vcc_lo, 0x7f800000, v5
	s_delay_alu instid0(VALU_DEP_2)
	v_cndmask_b32_e32 v1, 0x7e, v1, vcc_lo
; %bb.84:
	s_or_b32 exec_lo, exec_lo, s13
	v_lshrrev_b32_e32 v5, 24, v0
	s_delay_alu instid0(VALU_DEP_1)
	v_and_or_b32 v1, 0x80, v5, v1
	global_store_b8 v[2:3], v1, off
.LBB520_85:
	s_mov_b32 s13, 0
.LBB520_86:
	s_delay_alu instid0(SALU_CYCLE_1)
	s_and_not1_b32 vcc_lo, exec_lo, s13
	s_cbranch_vccnz .LBB520_96
; %bb.87:
	v_and_b32_e32 v5, 0x7fffffff, v0
	s_mov_b32 s13, exec_lo
                                        ; implicit-def: $vgpr1
	s_delay_alu instid0(VALU_DEP_1)
	v_cmpx_gt_u32_e32 0x47800000, v5
	s_xor_b32 s13, exec_lo, s13
	s_cbranch_execz .LBB520_93
; %bb.88:
	s_mov_b32 s18, exec_lo
                                        ; implicit-def: $vgpr1
	v_cmpx_lt_u32_e32 0x387fffff, v5
	s_xor_b32 s18, exec_lo, s18
; %bb.89:
	v_bfe_u32 v1, v0, 21, 1
	s_delay_alu instid0(VALU_DEP_1) | instskip(NEXT) | instid1(VALU_DEP_1)
	v_add3_u32 v1, v0, v1, 0x80fffff
	v_lshrrev_b32_e32 v1, 21, v1
; %bb.90:
	s_and_not1_saveexec_b32 s18, s18
; %bb.91:
	v_add_f32_e64 v1, 0x43000000, |v0|
; %bb.92:
	s_or_b32 exec_lo, exec_lo, s18
                                        ; implicit-def: $vgpr5
.LBB520_93:
	s_and_not1_saveexec_b32 s13, s13
; %bb.94:
	v_mov_b32_e32 v1, 0x7f
	v_cmp_lt_u32_e32 vcc_lo, 0x7f800000, v5
	s_delay_alu instid0(VALU_DEP_2)
	v_cndmask_b32_e32 v1, 0x7c, v1, vcc_lo
; %bb.95:
	s_or_b32 exec_lo, exec_lo, s13
	v_lshrrev_b32_e32 v5, 24, v0
	s_delay_alu instid0(VALU_DEP_1)
	v_and_or_b32 v1, 0x80, v5, v1
	global_store_b8 v[2:3], v1, off
.LBB520_96:
	s_mov_b32 s18, 0
	s_mov_b32 s13, -1
.LBB520_97:
	s_and_not1_b32 vcc_lo, exec_lo, s18
	s_cbranch_vccnz .LBB520_105
; %bb.98:
	v_cmp_lt_i16_e32 vcc_lo, 14, v4
	s_mov_b32 s18, -1
	s_cbranch_vccz .LBB520_102
; %bb.99:
	v_cmp_eq_u16_e32 vcc_lo, 15, v4
	s_mov_b32 s0, -1
	s_cbranch_vccz .LBB520_101
; %bb.100:
	v_bfe_u32 v1, v0, 16, 1
	v_cmp_o_f32_e32 vcc_lo, v0, v0
	s_mov_b32 s13, -1
	s_mov_b32 s0, 0
	s_delay_alu instid0(VALU_DEP_2) | instskip(NEXT) | instid1(VALU_DEP_1)
	v_add3_u32 v1, v0, v1, 0x7fff
	v_lshrrev_b32_e32 v1, 16, v1
	s_delay_alu instid0(VALU_DEP_1)
	v_cndmask_b32_e32 v1, 0x7fc0, v1, vcc_lo
	global_store_b16 v[2:3], v1, off
.LBB520_101:
	s_mov_b32 s18, 0
.LBB520_102:
	s_delay_alu instid0(SALU_CYCLE_1)
	s_and_b32 vcc_lo, exec_lo, s18
	s_cbranch_vccz .LBB520_105
; %bb.103:
	v_cmp_eq_u16_e32 vcc_lo, 11, v4
	s_mov_b32 s0, -1
	s_cbranch_vccz .LBB520_105
; %bb.104:
	v_cmp_neq_f32_e32 vcc_lo, 0, v0
	s_mov_b32 s0, 0
	s_mov_b32 s13, -1
	v_cndmask_b32_e64 v1, 0, 1, vcc_lo
	global_store_b8 v[2:3], v1, off
.LBB520_105:
	s_branch .LBB520_24
.LBB520_106:
	v_cmp_gt_i16_e32 vcc_lo, 5, v4
	s_mov_b32 s13, -1
	s_cbranch_vccnz .LBB520_127
; %bb.107:
	v_cmp_gt_i16_e32 vcc_lo, 8, v4
	s_cbranch_vccnz .LBB520_117
; %bb.108:
	v_cmp_gt_i16_e32 vcc_lo, 9, v4
	s_cbranch_vccnz .LBB520_114
; %bb.109:
	v_cmp_lt_i16_e32 vcc_lo, 9, v4
	s_cbranch_vccz .LBB520_111
; %bb.110:
	v_cvt_f64_f32_e32 v[10:11], v0
	v_mov_b32_e32 v12, 0
	s_mov_b32 s13, 0
	s_delay_alu instid0(VALU_DEP_1)
	v_mov_b32_e32 v13, v12
	global_store_b128 v[2:3], v[10:13], off
.LBB520_111:
	s_and_not1_b32 vcc_lo, exec_lo, s13
	s_cbranch_vccnz .LBB520_113
; %bb.112:
	v_mov_b32_e32 v1, 0
	global_store_b64 v[2:3], v[0:1], off
.LBB520_113:
	s_mov_b32 s13, 0
.LBB520_114:
	s_delay_alu instid0(SALU_CYCLE_1)
	s_and_not1_b32 vcc_lo, exec_lo, s13
	s_cbranch_vccnz .LBB520_116
; %bb.115:
	v_cvt_f16_f32_e32 v1, v0
	s_delay_alu instid0(VALU_DEP_1)
	v_and_b32_e32 v1, 0xffff, v1
	global_store_b32 v[2:3], v1, off
.LBB520_116:
	s_mov_b32 s13, 0
.LBB520_117:
	s_delay_alu instid0(SALU_CYCLE_1)
	s_and_not1_b32 vcc_lo, exec_lo, s13
	s_cbranch_vccnz .LBB520_126
; %bb.118:
	v_cmp_gt_i16_e32 vcc_lo, 6, v4
	s_mov_b32 s13, -1
	s_cbranch_vccnz .LBB520_124
; %bb.119:
	v_cmp_lt_i16_e32 vcc_lo, 6, v4
	s_cbranch_vccz .LBB520_121
; %bb.120:
	v_cvt_f64_f32_e32 v[5:6], v0
	s_mov_b32 s13, 0
	global_store_b64 v[2:3], v[5:6], off
.LBB520_121:
	s_and_not1_b32 vcc_lo, exec_lo, s13
	s_cbranch_vccnz .LBB520_123
; %bb.122:
	global_store_b32 v[2:3], v0, off
.LBB520_123:
	s_mov_b32 s13, 0
.LBB520_124:
	s_delay_alu instid0(SALU_CYCLE_1)
	s_and_not1_b32 vcc_lo, exec_lo, s13
	s_cbranch_vccnz .LBB520_126
; %bb.125:
	v_cvt_f16_f32_e32 v1, v0
	global_store_b16 v[2:3], v1, off
.LBB520_126:
	s_mov_b32 s13, 0
.LBB520_127:
	s_delay_alu instid0(SALU_CYCLE_1)
	s_and_not1_b32 vcc_lo, exec_lo, s13
	s_cbranch_vccnz .LBB520_143
; %bb.128:
	v_cmp_gt_i16_e32 vcc_lo, 2, v4
	s_mov_b32 s13, -1
	s_cbranch_vccnz .LBB520_138
; %bb.129:
	v_cmp_gt_i16_e32 vcc_lo, 3, v4
	s_cbranch_vccnz .LBB520_135
; %bb.130:
	v_cmp_lt_i16_e32 vcc_lo, 3, v4
	s_cbranch_vccz .LBB520_132
; %bb.131:
	v_trunc_f32_e32 v1, v0
	s_mov_b32 s13, 0
	s_delay_alu instid0(VALU_DEP_1) | instskip(NEXT) | instid1(VALU_DEP_1)
	v_mul_f32_e64 v5, 0x2f800000, |v1|
	v_floor_f32_e32 v5, v5
	s_delay_alu instid0(VALU_DEP_1) | instskip(SKIP_2) | instid1(VALU_DEP_3)
	v_fma_f32 v6, 0xcf800000, v5, |v1|
	v_ashrrev_i32_e32 v1, 31, v1
	v_cvt_u32_f32_e32 v5, v5
	v_cvt_u32_f32_e32 v6, v6
	s_delay_alu instid0(VALU_DEP_2) | instskip(NEXT) | instid1(VALU_DEP_2)
	v_xor_b32_e32 v7, v5, v1
	v_xor_b32_e32 v6, v6, v1
	s_delay_alu instid0(VALU_DEP_1) | instskip(NEXT) | instid1(VALU_DEP_3)
	v_sub_co_u32 v5, vcc_lo, v6, v1
	v_sub_co_ci_u32_e32 v6, vcc_lo, v7, v1, vcc_lo
	global_store_b64 v[2:3], v[5:6], off
.LBB520_132:
	s_and_not1_b32 vcc_lo, exec_lo, s13
	s_cbranch_vccnz .LBB520_134
; %bb.133:
	v_cvt_i32_f32_e32 v1, v0
	global_store_b32 v[2:3], v1, off
.LBB520_134:
	s_mov_b32 s13, 0
.LBB520_135:
	s_delay_alu instid0(SALU_CYCLE_1)
	s_and_not1_b32 vcc_lo, exec_lo, s13
	s_cbranch_vccnz .LBB520_137
; %bb.136:
	v_cvt_i32_f32_e32 v1, v0
	global_store_b16 v[2:3], v1, off
.LBB520_137:
	s_mov_b32 s13, 0
.LBB520_138:
	s_delay_alu instid0(SALU_CYCLE_1)
	s_and_not1_b32 vcc_lo, exec_lo, s13
	s_cbranch_vccnz .LBB520_143
; %bb.139:
	v_cmp_lt_i16_e32 vcc_lo, 0, v4
	s_mov_b32 s13, -1
	s_cbranch_vccz .LBB520_141
; %bb.140:
	v_cvt_i32_f32_e32 v1, v0
	s_mov_b32 s13, 0
	global_store_b8 v[2:3], v1, off
.LBB520_141:
	s_and_not1_b32 vcc_lo, exec_lo, s13
	s_cbranch_vccnz .LBB520_143
; %bb.142:
	v_trunc_f32_e32 v0, v0
	s_delay_alu instid0(VALU_DEP_1) | instskip(NEXT) | instid1(VALU_DEP_1)
	v_mul_f32_e64 v1, 0x2f800000, |v0|
	v_floor_f32_e32 v1, v1
	s_delay_alu instid0(VALU_DEP_1) | instskip(SKIP_1) | instid1(VALU_DEP_2)
	v_fma_f32 v1, 0xcf800000, v1, |v0|
	v_ashrrev_i32_e32 v0, 31, v0
	v_cvt_u32_f32_e32 v1, v1
	s_delay_alu instid0(VALU_DEP_1) | instskip(NEXT) | instid1(VALU_DEP_1)
	v_xor_b32_e32 v1, v1, v0
	v_sub_nc_u32_e32 v0, v1, v0
	global_store_b8 v[2:3], v0, off
.LBB520_143:
.LBB520_144:
	v_add_nc_u32_e32 v8, 0x80, v8
	s_mov_b32 s18, -1
	s_branch .LBB520_255
.LBB520_145:
	s_mov_b32 s15, -1
                                        ; implicit-def: $vgpr2
.LBB520_146:
	s_mov_b32 s13, 0
.LBB520_147:
	s_delay_alu instid0(SALU_CYCLE_1)
	s_and_b32 vcc_lo, exec_lo, s13
	s_cbranch_vccz .LBB520_151
; %bb.148:
	v_cmp_eq_u16_e32 vcc_lo, 29, v9
	s_cbranch_vccz .LBB520_150
; %bb.149:
	global_load_b64 v[2:3], v[0:1], off
	s_mov_b32 s0, -1
	s_mov_b32 s15, 0
	s_mov_b32 s13, 0
	s_waitcnt vmcnt(0)
	v_clz_i32_u32_e32 v4, v3
	s_delay_alu instid0(VALU_DEP_1) | instskip(NEXT) | instid1(VALU_DEP_1)
	v_min_u32_e32 v4, 32, v4
	v_lshlrev_b64 v[2:3], v4, v[2:3]
	s_delay_alu instid0(VALU_DEP_1) | instskip(NEXT) | instid1(VALU_DEP_1)
	v_min_u32_e32 v2, 1, v2
	v_or_b32_e32 v2, v3, v2
	v_sub_nc_u32_e32 v3, 32, v4
	s_delay_alu instid0(VALU_DEP_2) | instskip(NEXT) | instid1(VALU_DEP_1)
	v_cvt_f32_u32_e32 v2, v2
	v_ldexp_f32 v2, v2, v3
	s_branch .LBB520_152
.LBB520_150:
	s_mov_b32 s15, -1
                                        ; implicit-def: $vgpr2
.LBB520_151:
	s_mov_b32 s13, 0
.LBB520_152:
	s_delay_alu instid0(SALU_CYCLE_1)
	s_and_b32 vcc_lo, exec_lo, s13
	s_cbranch_vccz .LBB520_170
; %bb.153:
	v_cmp_gt_i16_e32 vcc_lo, 27, v9
	s_cbranch_vccnz .LBB520_156
; %bb.154:
	v_cmp_lt_i16_e32 vcc_lo, 27, v9
	s_cbranch_vccz .LBB520_157
; %bb.155:
	global_load_b32 v2, v[0:1], off
	s_mov_b32 s0, 0
	s_waitcnt vmcnt(0)
	v_cvt_f32_u32_e32 v2, v2
	s_branch .LBB520_158
.LBB520_156:
	s_mov_b32 s0, -1
                                        ; implicit-def: $vgpr2
	s_branch .LBB520_161
.LBB520_157:
	s_mov_b32 s0, -1
                                        ; implicit-def: $vgpr2
.LBB520_158:
	s_delay_alu instid0(SALU_CYCLE_1)
	s_and_not1_b32 vcc_lo, exec_lo, s0
	s_cbranch_vccnz .LBB520_160
; %bb.159:
	global_load_u16 v2, v[0:1], off
	s_waitcnt vmcnt(0)
	v_cvt_f32_u32_e32 v2, v2
.LBB520_160:
	s_mov_b32 s0, 0
.LBB520_161:
	s_delay_alu instid0(SALU_CYCLE_1)
	s_and_not1_b32 vcc_lo, exec_lo, s0
	s_cbranch_vccnz .LBB520_169
; %bb.162:
	global_load_u8 v3, v[0:1], off
	s_mov_b32 s0, 0
	s_mov_b32 s18, exec_lo
                                        ; implicit-def: $sgpr13
	s_waitcnt vmcnt(0)
	v_cmpx_lt_i16_e32 0x7f, v3
	s_xor_b32 s18, exec_lo, s18
	s_cbranch_execz .LBB520_182
; %bb.163:
	s_mov_b32 s0, -1
	s_mov_b32 s19, exec_lo
                                        ; implicit-def: $sgpr13
	v_cmpx_eq_u16_e32 0x80, v3
; %bb.164:
	s_mov_b32 s13, 0x7f800001
	s_xor_b32 s0, exec_lo, -1
; %bb.165:
	s_or_b32 exec_lo, exec_lo, s19
	s_delay_alu instid0(SALU_CYCLE_1)
	s_and_b32 s0, s0, exec_lo
	s_or_saveexec_b32 s18, s18
	v_mov_b32_e32 v2, s13
	s_xor_b32 exec_lo, exec_lo, s18
	s_cbranch_execnz .LBB520_183
.LBB520_166:
	s_or_b32 exec_lo, exec_lo, s18
	s_and_saveexec_b32 s13, s0
	s_cbranch_execz .LBB520_168
.LBB520_167:
	v_and_b32_e32 v2, 0xffff, v3
	s_delay_alu instid0(VALU_DEP_1) | instskip(NEXT) | instid1(VALU_DEP_1)
	v_and_b32_e32 v4, 7, v2
	v_clz_i32_u32_e32 v5, v4
	s_delay_alu instid0(VALU_DEP_1) | instskip(NEXT) | instid1(VALU_DEP_1)
	v_min_u32_e32 v5, 32, v5
	v_subrev_nc_u32_e32 v6, 28, v5
	v_sub_nc_u32_e32 v5, 29, v5
	s_delay_alu instid0(VALU_DEP_2) | instskip(SKIP_1) | instid1(VALU_DEP_2)
	v_lshlrev_b32_e32 v6, v6, v2
	v_bfe_u32 v2, v2, 3, 4
	v_and_b32_e32 v6, 7, v6
	s_delay_alu instid0(VALU_DEP_2) | instskip(SKIP_1) | instid1(VALU_DEP_1)
	v_cmp_eq_u32_e32 vcc_lo, 0, v2
	v_dual_cndmask_b32 v2, v2, v5 :: v_dual_lshlrev_b32 v3, 24, v3
	v_dual_cndmask_b32 v4, v4, v6 :: v_dual_and_b32 v3, 0x80000000, v3
	s_delay_alu instid0(VALU_DEP_2) | instskip(NEXT) | instid1(VALU_DEP_2)
	v_lshl_add_u32 v2, v2, 23, 0x3b800000
	v_lshlrev_b32_e32 v4, 20, v4
	s_delay_alu instid0(VALU_DEP_1)
	v_or3_b32 v2, v3, v2, v4
.LBB520_168:
	s_or_b32 exec_lo, exec_lo, s13
.LBB520_169:
	s_mov_b32 s0, -1
.LBB520_170:
	s_branch .LBB520_205
.LBB520_171:
	v_cmp_lt_i16_e32 vcc_lo, 22, v9
	s_cbranch_vccz .LBB520_181
; %bb.172:
	v_cmp_gt_i16_e32 vcc_lo, 24, v9
	s_cbranch_vccnz .LBB520_184
; %bb.173:
	v_cmp_lt_i16_e32 vcc_lo, 24, v9
	s_cbranch_vccz .LBB520_185
; %bb.174:
	global_load_u8 v3, v[0:1], off
	s_mov_b32 s0, 0
	s_mov_b32 s18, exec_lo
                                        ; implicit-def: $sgpr13
	s_waitcnt vmcnt(0)
	v_cmpx_lt_i16_e32 0x7f, v3
	s_xor_b32 s18, exec_lo, s18
	s_cbranch_execz .LBB520_197
; %bb.175:
	s_mov_b32 s0, -1
	s_mov_b32 s19, exec_lo
                                        ; implicit-def: $sgpr13
	v_cmpx_eq_u16_e32 0x80, v3
; %bb.176:
	s_mov_b32 s13, 0x7f800001
	s_xor_b32 s0, exec_lo, -1
; %bb.177:
	s_or_b32 exec_lo, exec_lo, s19
	s_delay_alu instid0(SALU_CYCLE_1)
	s_and_b32 s0, s0, exec_lo
	s_or_saveexec_b32 s18, s18
	v_mov_b32_e32 v2, s13
	s_xor_b32 exec_lo, exec_lo, s18
	s_cbranch_execnz .LBB520_198
.LBB520_178:
	s_or_b32 exec_lo, exec_lo, s18
	s_and_saveexec_b32 s13, s0
	s_cbranch_execz .LBB520_180
.LBB520_179:
	v_and_b32_e32 v2, 0xffff, v3
	s_delay_alu instid0(VALU_DEP_1) | instskip(NEXT) | instid1(VALU_DEP_1)
	v_and_b32_e32 v4, 3, v2
	v_clz_i32_u32_e32 v5, v4
	s_delay_alu instid0(VALU_DEP_1) | instskip(NEXT) | instid1(VALU_DEP_1)
	v_min_u32_e32 v5, 32, v5
	v_subrev_nc_u32_e32 v6, 29, v5
	v_sub_nc_u32_e32 v5, 30, v5
	s_delay_alu instid0(VALU_DEP_2) | instskip(SKIP_1) | instid1(VALU_DEP_2)
	v_lshlrev_b32_e32 v6, v6, v2
	v_bfe_u32 v2, v2, 2, 5
	v_and_b32_e32 v6, 3, v6
	s_delay_alu instid0(VALU_DEP_2) | instskip(SKIP_1) | instid1(VALU_DEP_1)
	v_cmp_eq_u32_e32 vcc_lo, 0, v2
	v_dual_cndmask_b32 v2, v2, v5 :: v_dual_lshlrev_b32 v3, 24, v3
	v_dual_cndmask_b32 v4, v4, v6 :: v_dual_and_b32 v3, 0x80000000, v3
	s_delay_alu instid0(VALU_DEP_2) | instskip(NEXT) | instid1(VALU_DEP_2)
	v_lshl_add_u32 v2, v2, 23, 0x37800000
	v_lshlrev_b32_e32 v4, 21, v4
	s_delay_alu instid0(VALU_DEP_1)
	v_or3_b32 v2, v3, v2, v4
.LBB520_180:
	s_or_b32 exec_lo, exec_lo, s13
	s_mov_b32 s0, 0
	s_branch .LBB520_186
.LBB520_181:
	s_mov_b32 s13, -1
                                        ; implicit-def: $vgpr2
	s_branch .LBB520_192
.LBB520_182:
	s_or_saveexec_b32 s18, s18
	v_mov_b32_e32 v2, s13
	s_xor_b32 exec_lo, exec_lo, s18
	s_cbranch_execz .LBB520_166
.LBB520_183:
	v_cmp_ne_u16_e32 vcc_lo, 0, v3
	v_mov_b32_e32 v2, 0
	s_and_not1_b32 s0, s0, exec_lo
	s_and_b32 s13, vcc_lo, exec_lo
	s_delay_alu instid0(SALU_CYCLE_1)
	s_or_b32 s0, s0, s13
	s_or_b32 exec_lo, exec_lo, s18
	s_and_saveexec_b32 s13, s0
	s_cbranch_execnz .LBB520_167
	s_branch .LBB520_168
.LBB520_184:
	s_mov_b32 s0, -1
                                        ; implicit-def: $vgpr2
	s_branch .LBB520_189
.LBB520_185:
	s_mov_b32 s0, -1
                                        ; implicit-def: $vgpr2
.LBB520_186:
	s_delay_alu instid0(SALU_CYCLE_1)
	s_and_b32 vcc_lo, exec_lo, s0
	s_cbranch_vccz .LBB520_188
; %bb.187:
	global_load_u8 v2, v[0:1], off
	s_waitcnt vmcnt(0)
	v_lshlrev_b32_e32 v2, 24, v2
	s_delay_alu instid0(VALU_DEP_1) | instskip(NEXT) | instid1(VALU_DEP_1)
	v_and_b32_e32 v3, 0x7f000000, v2
	v_clz_i32_u32_e32 v4, v3
	v_add_nc_u32_e32 v6, 0x1000000, v3
	v_cmp_ne_u32_e32 vcc_lo, 0, v3
	s_delay_alu instid0(VALU_DEP_3) | instskip(NEXT) | instid1(VALU_DEP_1)
	v_min_u32_e32 v4, 32, v4
	v_sub_nc_u32_e64 v4, v4, 4 clamp
	s_delay_alu instid0(VALU_DEP_1) | instskip(SKIP_1) | instid1(VALU_DEP_2)
	v_lshlrev_b32_e32 v5, v4, v3
	v_lshlrev_b32_e32 v4, 23, v4
	v_lshrrev_b32_e32 v5, 4, v5
	s_delay_alu instid0(VALU_DEP_1) | instskip(SKIP_1) | instid1(VALU_DEP_2)
	v_sub_nc_u32_e32 v4, v5, v4
	v_ashrrev_i32_e32 v5, 8, v6
	v_add_nc_u32_e32 v4, 0x3c000000, v4
	s_delay_alu instid0(VALU_DEP_1) | instskip(NEXT) | instid1(VALU_DEP_1)
	v_and_or_b32 v4, 0x7f800000, v5, v4
	v_cndmask_b32_e32 v3, 0, v4, vcc_lo
	s_delay_alu instid0(VALU_DEP_1)
	v_and_or_b32 v2, 0x80000000, v2, v3
.LBB520_188:
	s_mov_b32 s0, 0
.LBB520_189:
	s_delay_alu instid0(SALU_CYCLE_1)
	s_and_not1_b32 vcc_lo, exec_lo, s0
	s_cbranch_vccnz .LBB520_191
; %bb.190:
	global_load_u8 v2, v[0:1], off
	s_waitcnt vmcnt(0)
	v_lshlrev_b32_e32 v3, 25, v2
	v_lshlrev_b16 v2, 8, v2
	s_delay_alu instid0(VALU_DEP_2) | instskip(NEXT) | instid1(VALU_DEP_2)
	v_lshrrev_b32_e32 v4, 4, v3
	v_and_or_b32 v5, 0x7f00, v2, 0.5
	v_bfe_i32 v2, v2, 0, 16
	s_delay_alu instid0(VALU_DEP_3) | instskip(NEXT) | instid1(VALU_DEP_1)
	v_or_b32_e32 v4, 0x70000000, v4
	v_dual_add_f32 v5, -0.5, v5 :: v_dual_mul_f32 v4, 0x7800000, v4
	v_cmp_gt_u32_e32 vcc_lo, 0x8000000, v3
	s_delay_alu instid0(VALU_DEP_2) | instskip(NEXT) | instid1(VALU_DEP_1)
	v_cndmask_b32_e32 v3, v4, v5, vcc_lo
	v_and_or_b32 v2, 0x80000000, v2, v3
.LBB520_191:
	s_mov_b32 s13, 0
	s_mov_b32 s0, -1
.LBB520_192:
	s_and_not1_b32 vcc_lo, exec_lo, s13
	s_cbranch_vccnz .LBB520_205
; %bb.193:
	v_cmp_lt_i16_e32 vcc_lo, 14, v9
	s_cbranch_vccz .LBB520_196
; %bb.194:
	v_cmp_eq_u16_e32 vcc_lo, 15, v9
	s_cbranch_vccz .LBB520_199
; %bb.195:
	global_load_u16 v2, v[0:1], off
	s_mov_b32 s0, -1
	s_mov_b32 s15, 0
	s_waitcnt vmcnt(0)
	v_lshlrev_b32_e32 v2, 16, v2
	s_branch .LBB520_200
.LBB520_196:
	s_mov_b32 s13, -1
                                        ; implicit-def: $vgpr2
	s_branch .LBB520_201
.LBB520_197:
	s_or_saveexec_b32 s18, s18
	v_mov_b32_e32 v2, s13
	s_xor_b32 exec_lo, exec_lo, s18
	s_cbranch_execz .LBB520_178
.LBB520_198:
	v_cmp_ne_u16_e32 vcc_lo, 0, v3
	v_mov_b32_e32 v2, 0
	s_and_not1_b32 s0, s0, exec_lo
	s_and_b32 s13, vcc_lo, exec_lo
	s_delay_alu instid0(SALU_CYCLE_1)
	s_or_b32 s0, s0, s13
	s_or_b32 exec_lo, exec_lo, s18
	s_and_saveexec_b32 s13, s0
	s_cbranch_execnz .LBB520_179
	s_branch .LBB520_180
.LBB520_199:
	s_mov_b32 s15, -1
                                        ; implicit-def: $vgpr2
.LBB520_200:
	s_mov_b32 s13, 0
.LBB520_201:
	s_delay_alu instid0(SALU_CYCLE_1)
	s_and_b32 vcc_lo, exec_lo, s13
	s_cbranch_vccz .LBB520_205
; %bb.202:
	v_cmp_eq_u16_e32 vcc_lo, 11, v9
	s_cbranch_vccz .LBB520_204
; %bb.203:
	global_load_u8 v2, v[0:1], off
	s_mov_b32 s15, 0
	s_mov_b32 s0, -1
	s_waitcnt vmcnt(0)
	v_cmp_ne_u16_e32 vcc_lo, 0, v2
	v_cndmask_b32_e64 v2, 0, 1.0, vcc_lo
	s_branch .LBB520_205
.LBB520_204:
	s_mov_b32 s15, -1
                                        ; implicit-def: $vgpr2
.LBB520_205:
	s_branch .LBB520_10
.LBB520_206:
	v_cmp_gt_i16_e32 vcc_lo, 5, v9
	s_cbranch_vccnz .LBB520_211
; %bb.207:
	v_cmp_gt_i16_e32 vcc_lo, 8, v9
	s_cbranch_vccnz .LBB520_212
; %bb.208:
	;; [unrolled: 3-line block ×3, first 2 shown]
	v_cmp_lt_i16_e32 vcc_lo, 9, v9
	s_cbranch_vccz .LBB520_214
; %bb.210:
	global_load_b64 v[2:3], v[0:1], off
	s_mov_b32 s0, 0
	s_waitcnt vmcnt(0)
	v_cvt_f32_f64_e32 v2, v[2:3]
	s_branch .LBB520_215
.LBB520_211:
                                        ; implicit-def: $vgpr2
	s_branch .LBB520_233
.LBB520_212:
	s_mov_b32 s0, -1
                                        ; implicit-def: $vgpr2
	s_branch .LBB520_221
.LBB520_213:
	s_mov_b32 s0, -1
                                        ; implicit-def: $vgpr2
	s_branch .LBB520_218
.LBB520_214:
	s_mov_b32 s0, -1
                                        ; implicit-def: $vgpr2
.LBB520_215:
	s_delay_alu instid0(SALU_CYCLE_1)
	s_and_not1_b32 vcc_lo, exec_lo, s0
	s_cbranch_vccnz .LBB520_217
; %bb.216:
	global_load_b32 v2, v[0:1], off
.LBB520_217:
	s_mov_b32 s0, 0
.LBB520_218:
	s_delay_alu instid0(SALU_CYCLE_1)
	s_and_not1_b32 vcc_lo, exec_lo, s0
	s_cbranch_vccnz .LBB520_220
; %bb.219:
	global_load_b32 v2, v[0:1], off
	s_waitcnt vmcnt(0)
	v_cvt_f32_f16_e32 v2, v2
.LBB520_220:
	s_mov_b32 s0, 0
.LBB520_221:
	s_delay_alu instid0(SALU_CYCLE_1)
	s_and_not1_b32 vcc_lo, exec_lo, s0
	s_cbranch_vccnz .LBB520_232
; %bb.222:
	v_cmp_gt_i16_e32 vcc_lo, 6, v9
	s_cbranch_vccnz .LBB520_225
; %bb.223:
	v_cmp_lt_i16_e32 vcc_lo, 6, v9
	s_cbranch_vccz .LBB520_226
; %bb.224:
	global_load_b64 v[2:3], v[0:1], off
	s_mov_b32 s0, 0
	s_waitcnt vmcnt(0)
	v_cvt_f32_f64_e32 v2, v[2:3]
	s_branch .LBB520_227
.LBB520_225:
	s_mov_b32 s0, -1
                                        ; implicit-def: $vgpr2
	s_branch .LBB520_230
.LBB520_226:
	s_mov_b32 s0, -1
                                        ; implicit-def: $vgpr2
.LBB520_227:
	s_delay_alu instid0(SALU_CYCLE_1)
	s_and_not1_b32 vcc_lo, exec_lo, s0
	s_cbranch_vccnz .LBB520_229
; %bb.228:
	global_load_b32 v2, v[0:1], off
.LBB520_229:
	s_mov_b32 s0, 0
.LBB520_230:
	s_delay_alu instid0(SALU_CYCLE_1)
	s_and_not1_b32 vcc_lo, exec_lo, s0
	s_cbranch_vccnz .LBB520_232
; %bb.231:
	global_load_u16 v2, v[0:1], off
	s_waitcnt vmcnt(0)
	v_cvt_f32_f16_e32 v2, v2
.LBB520_232:
	s_cbranch_execnz .LBB520_252
.LBB520_233:
	v_cmp_gt_i16_e32 vcc_lo, 2, v9
	s_cbranch_vccnz .LBB520_237
; %bb.234:
	v_cmp_gt_i16_e32 vcc_lo, 3, v9
	s_cbranch_vccnz .LBB520_238
; %bb.235:
	v_cmp_lt_i16_e32 vcc_lo, 3, v9
	s_cbranch_vccz .LBB520_239
; %bb.236:
	global_load_b64 v[2:3], v[0:1], off
	s_mov_b32 s0, 0
	s_waitcnt vmcnt(0)
	v_xor_b32_e32 v4, v2, v3
	v_cls_i32_e32 v5, v3
	s_delay_alu instid0(VALU_DEP_2) | instskip(NEXT) | instid1(VALU_DEP_2)
	v_ashrrev_i32_e32 v4, 31, v4
	v_add_nc_u32_e32 v5, -1, v5
	s_delay_alu instid0(VALU_DEP_2) | instskip(NEXT) | instid1(VALU_DEP_1)
	v_add_nc_u32_e32 v4, 32, v4
	v_min_u32_e32 v4, v5, v4
	s_delay_alu instid0(VALU_DEP_1) | instskip(NEXT) | instid1(VALU_DEP_1)
	v_lshlrev_b64 v[2:3], v4, v[2:3]
	v_min_u32_e32 v2, 1, v2
	s_delay_alu instid0(VALU_DEP_1) | instskip(SKIP_1) | instid1(VALU_DEP_2)
	v_or_b32_e32 v2, v3, v2
	v_sub_nc_u32_e32 v3, 32, v4
	v_cvt_f32_i32_e32 v2, v2
	s_delay_alu instid0(VALU_DEP_1)
	v_ldexp_f32 v2, v2, v3
	s_branch .LBB520_240
.LBB520_237:
	s_mov_b32 s0, -1
                                        ; implicit-def: $vgpr2
	s_branch .LBB520_246
.LBB520_238:
	s_mov_b32 s0, -1
                                        ; implicit-def: $vgpr2
	s_branch .LBB520_243
.LBB520_239:
	s_mov_b32 s0, -1
                                        ; implicit-def: $vgpr2
.LBB520_240:
	s_delay_alu instid0(SALU_CYCLE_1)
	s_and_not1_b32 vcc_lo, exec_lo, s0
	s_cbranch_vccnz .LBB520_242
; %bb.241:
	global_load_b32 v2, v[0:1], off
	s_waitcnt vmcnt(0)
	v_cvt_f32_i32_e32 v2, v2
.LBB520_242:
	s_mov_b32 s0, 0
.LBB520_243:
	s_delay_alu instid0(SALU_CYCLE_1)
	s_and_not1_b32 vcc_lo, exec_lo, s0
	s_cbranch_vccnz .LBB520_245
; %bb.244:
	global_load_i16 v2, v[0:1], off
	s_waitcnt vmcnt(0)
	v_cvt_f32_i32_e32 v2, v2
.LBB520_245:
	s_mov_b32 s0, 0
.LBB520_246:
	s_delay_alu instid0(SALU_CYCLE_1)
	s_and_not1_b32 vcc_lo, exec_lo, s0
	s_cbranch_vccnz .LBB520_252
; %bb.247:
	v_cmp_lt_i16_e32 vcc_lo, 0, v9
	s_mov_b32 s0, 0
	s_cbranch_vccz .LBB520_249
; %bb.248:
	global_load_i8 v2, v[0:1], off
	s_waitcnt vmcnt(0)
	v_cvt_f32_i32_e32 v2, v2
	s_branch .LBB520_250
.LBB520_249:
	s_mov_b32 s0, -1
                                        ; implicit-def: $vgpr2
.LBB520_250:
	s_delay_alu instid0(SALU_CYCLE_1)
	s_and_not1_b32 vcc_lo, exec_lo, s0
	s_cbranch_vccnz .LBB520_252
; %bb.251:
	global_load_u8 v0, v[0:1], off
	s_waitcnt vmcnt(0)
	v_cvt_f32_ubyte0_e32 v2, v0
.LBB520_252:
	s_branch .LBB520_11
.LBB520_253:
	s_mov_b32 s0, 0
.LBB520_254:
	s_mov_b32 s18, 0
                                        ; implicit-def: $vgpr8
.LBB520_255:
	s_and_b32 s13, s0, exec_lo
	s_and_b32 s15, s15, exec_lo
	s_or_not1_b32 s19, s18, exec_lo
.LBB520_256:
	s_or_b32 exec_lo, exec_lo, s16
	s_mov_b32 s18, 0
	s_mov_b32 s0, 0
                                        ; implicit-def: $vgpr0_vgpr1
                                        ; implicit-def: $vgpr5
	s_and_saveexec_b32 s16, s19
	s_cbranch_execz .LBB520_872
; %bb.257:
	s_mov_b32 s21, -1
	s_mov_b32 s17, s15
	s_mov_b32 s18, s13
	s_mov_b32 s19, exec_lo
	v_cmpx_gt_i32_e64 s14, v8
	s_cbranch_execz .LBB520_520
; %bb.258:
	v_mul_lo_u32 v0, v8, s9
	v_cmp_gt_i16_e32 vcc_lo, 11, v9
	s_delay_alu instid0(VALU_DEP_2) | instskip(SKIP_1) | instid1(VALU_DEP_1)
	v_ashrrev_i32_e32 v1, 31, v0
	v_add_co_u32 v0, s0, s6, v0
	v_add_co_ci_u32_e64 v1, s0, s7, v1, s0
	s_cbranch_vccnz .LBB520_265
; %bb.259:
	v_cmp_lt_i16_e32 vcc_lo, 25, v9
	s_cbranch_vccz .LBB520_278
; %bb.260:
	v_cmp_lt_i16_e32 vcc_lo, 28, v9
	s_cbranch_vccz .LBB520_280
	;; [unrolled: 3-line block ×4, first 2 shown]
; %bb.263:
	v_cmp_eq_u16_e32 vcc_lo, 46, v9
	s_mov_b32 s18, 0
	s_cbranch_vccz .LBB520_290
; %bb.264:
	global_load_b32 v2, v[0:1], off
	s_mov_b32 s0, -1
	s_mov_b32 s17, 0
	s_waitcnt vmcnt(0)
	v_lshlrev_b32_e32 v2, 16, v2
	s_branch .LBB520_292
.LBB520_265:
	s_mov_b32 s0, 0
	s_mov_b32 s17, s15
                                        ; implicit-def: $vgpr2
	s_cbranch_execnz .LBB520_469
.LBB520_266:
	s_and_not1_b32 vcc_lo, exec_lo, s0
	s_cbranch_vccnz .LBB520_517
.LBB520_267:
	v_mov_b32_e32 v0, s10
	s_mov_b32 s0, exec_lo
	s_waitcnt vmcnt(0)
	s_delay_alu instid0(VALU_DEP_2)
	v_cmpx_o_f32_e32 v2, v2
	s_cbranch_execz .LBB520_271
; %bb.268:
	v_mov_b32_e32 v0, s11
	s_mov_b32 s18, exec_lo
	v_cmpx_neq_f32_e32 0x7f800000, v2
; %bb.269:
	v_cmp_eq_f32_e32 vcc_lo, 0xff800000, v2
	v_cndmask_b32_e64 v0, v2, s2, vcc_lo
; %bb.270:
	s_or_b32 exec_lo, exec_lo, s18
.LBB520_271:
	s_delay_alu instid0(SALU_CYCLE_1) | instskip(SKIP_2) | instid1(VALU_DEP_1)
	s_or_b32 exec_lo, exec_lo, s0
	v_mul_lo_u32 v1, v8, s8
	v_and_b32_e64 v4, 0xff, s3
	v_cmp_gt_i16_e32 vcc_lo, 11, v4
	s_delay_alu instid0(VALU_DEP_3) | instskip(SKIP_1) | instid1(VALU_DEP_1)
	v_ashrrev_i32_e32 v3, 31, v1
	v_add_co_u32 v2, s0, s4, v1
	v_add_co_ci_u32_e64 v3, s0, s5, v3, s0
	s_cbranch_vccnz .LBB520_279
; %bb.272:
	v_cmp_lt_i16_e32 vcc_lo, 25, v4
	s_cbranch_vccz .LBB520_281
; %bb.273:
	v_cmp_lt_i16_e32 vcc_lo, 28, v4
	s_cbranch_vccz .LBB520_283
; %bb.274:
	v_cmp_lt_i16_e32 vcc_lo, 43, v4
	s_cbranch_vccz .LBB520_287
; %bb.275:
	v_cmp_lt_i16_e32 vcc_lo, 45, v4
	s_cbranch_vccz .LBB520_295
; %bb.276:
	v_cmp_eq_u16_e32 vcc_lo, 46, v4
	s_mov_b32 s20, 0
	s_mov_b32 s0, -1
	s_mov_b32 s18, 0
	s_cbranch_vccz .LBB520_296
; %bb.277:
	v_bfe_u32 v1, v0, 16, 1
	v_cmp_o_f32_e32 vcc_lo, v0, v0
	s_mov_b32 s18, -1
	s_mov_b32 s0, 0
	s_delay_alu instid0(VALU_DEP_2) | instskip(NEXT) | instid1(VALU_DEP_1)
	v_add3_u32 v1, v0, v1, 0x7fff
	v_lshrrev_b32_e32 v1, 16, v1
	s_delay_alu instid0(VALU_DEP_1)
	v_cndmask_b32_e32 v1, 0x7fc0, v1, vcc_lo
	global_store_b32 v[2:3], v1, off
	s_branch .LBB520_296
.LBB520_278:
	s_mov_b32 s18, -1
	s_mov_b32 s0, 0
	s_mov_b32 s17, s15
                                        ; implicit-def: $vgpr2
	s_branch .LBB520_433
.LBB520_279:
	s_mov_b32 s20, -1
	s_mov_b32 s18, 0
	s_mov_b32 s0, s13
	s_branch .LBB520_365
.LBB520_280:
	s_mov_b32 s18, -1
	s_mov_b32 s0, 0
	s_mov_b32 s17, s15
                                        ; implicit-def: $vgpr2
	s_branch .LBB520_414
.LBB520_281:
	s_mov_b32 s20, -1
	s_mov_b32 s18, 0
	s_mov_b32 s0, s13
	s_branch .LBB520_323
.LBB520_282:
	s_mov_b32 s18, -1
	s_mov_b32 s0, 0
	s_mov_b32 s17, s15
                                        ; implicit-def: $vgpr2
	s_branch .LBB520_409
.LBB520_283:
	s_mov_b32 s20, -1
	s_mov_b32 s18, 0
	s_mov_b32 s0, s13
	s_branch .LBB520_306
.LBB520_284:
	s_or_saveexec_b32 s19, s19
                                        ; implicit-def: $sgpr20
	s_delay_alu instid0(SALU_CYCLE_1)
	s_xor_b32 exec_lo, exec_lo, s19
	s_cbranch_execz .LBB520_58
.LBB520_285:
	v_add_f32_e64 v1, 0x46000000, |v0|
	s_and_not1_b32 s18, s18, exec_lo
	s_mov_b32 s20, 0
	s_delay_alu instid0(VALU_DEP_1) | instskip(NEXT) | instid1(VALU_DEP_1)
	v_and_b32_e32 v1, 0xff, v1
	v_cmp_ne_u32_e32 vcc_lo, 0, v1
	s_and_b32 s21, vcc_lo, exec_lo
	s_delay_alu instid0(SALU_CYCLE_1)
	s_or_b32 s18, s18, s21
	s_or_b32 exec_lo, exec_lo, s19
	v_mov_b32_e32 v5, s20
	s_and_saveexec_b32 s19, s18
	s_cbranch_execnz .LBB520_59
	s_branch .LBB520_60
.LBB520_286:
	s_mov_b32 s18, -1
	s_mov_b32 s0, 0
	s_mov_b32 s17, s15
	s_branch .LBB520_291
.LBB520_287:
	s_mov_b32 s20, -1
	s_mov_b32 s18, 0
	s_mov_b32 s0, s13
	s_branch .LBB520_302
.LBB520_288:
	s_or_saveexec_b32 s19, s19
                                        ; implicit-def: $sgpr20
	s_delay_alu instid0(SALU_CYCLE_1)
	s_xor_b32 exec_lo, exec_lo, s19
	s_cbranch_execz .LBB520_71
.LBB520_289:
	v_add_f32_e64 v1, 0x42800000, |v0|
	s_and_not1_b32 s18, s18, exec_lo
	s_mov_b32 s20, 0
	s_delay_alu instid0(VALU_DEP_1) | instskip(NEXT) | instid1(VALU_DEP_1)
	v_and_b32_e32 v1, 0xff, v1
	v_cmp_ne_u32_e32 vcc_lo, 0, v1
	s_and_b32 s21, vcc_lo, exec_lo
	s_delay_alu instid0(SALU_CYCLE_1)
	s_or_b32 s18, s18, s21
	s_or_b32 exec_lo, exec_lo, s19
	v_mov_b32_e32 v5, s20
	s_and_saveexec_b32 s19, s18
	s_cbranch_execnz .LBB520_72
	s_branch .LBB520_73
.LBB520_290:
	s_mov_b32 s17, -1
	s_mov_b32 s0, 0
.LBB520_291:
                                        ; implicit-def: $vgpr2
.LBB520_292:
	s_and_b32 vcc_lo, exec_lo, s18
	s_cbranch_vccz .LBB520_408
; %bb.293:
	v_cmp_eq_u16_e32 vcc_lo, 44, v9
	s_cbranch_vccz .LBB520_407
; %bb.294:
	global_load_u8 v2, v[0:1], off
	s_mov_b32 s17, 0
	s_mov_b32 s0, -1
	s_waitcnt vmcnt(0)
	v_lshlrev_b32_e32 v3, 23, v2
	v_cmp_ne_u32_e32 vcc_lo, 0xff, v2
	s_delay_alu instid0(VALU_DEP_2) | instskip(SKIP_1) | instid1(VALU_DEP_2)
	v_cndmask_b32_e32 v3, 0x7f800001, v3, vcc_lo
	v_cmp_ne_u32_e32 vcc_lo, 0, v2
	v_cndmask_b32_e32 v2, 0x400000, v3, vcc_lo
	s_branch .LBB520_408
.LBB520_295:
	s_mov_b32 s20, -1
	s_mov_b32 s18, 0
	s_mov_b32 s0, s13
.LBB520_296:
	s_and_b32 vcc_lo, exec_lo, s20
	s_cbranch_vccz .LBB520_301
; %bb.297:
	v_cmp_eq_u16_e32 vcc_lo, 44, v4
	s_mov_b32 s0, -1
	s_cbranch_vccz .LBB520_301
; %bb.298:
	v_bfe_u32 v5, v0, 23, 8
	v_mov_b32_e32 v1, 0xff
	s_mov_b32 s18, exec_lo
	s_delay_alu instid0(VALU_DEP_2)
	v_cmpx_ne_u32_e32 0xff, v5
; %bb.299:
	v_and_b32_e32 v1, 0x400000, v0
	v_and_or_b32 v5, 0x3fffff, v0, v5
	s_delay_alu instid0(VALU_DEP_2) | instskip(NEXT) | instid1(VALU_DEP_2)
	v_cmp_ne_u32_e32 vcc_lo, 0, v1
	v_cmp_ne_u32_e64 s0, 0, v5
	v_lshrrev_b32_e32 v1, 23, v0
	s_delay_alu instid0(VALU_DEP_2) | instskip(NEXT) | instid1(SALU_CYCLE_1)
	s_and_b32 s0, vcc_lo, s0
	v_cndmask_b32_e64 v5, 0, 1, s0
	s_delay_alu instid0(VALU_DEP_1)
	v_add_nc_u32_e32 v1, v1, v5
; %bb.300:
	s_or_b32 exec_lo, exec_lo, s18
	s_mov_b32 s18, -1
	s_mov_b32 s0, 0
	global_store_b8 v[2:3], v1, off
.LBB520_301:
	s_mov_b32 s20, 0
.LBB520_302:
	s_delay_alu instid0(SALU_CYCLE_1)
	s_and_b32 vcc_lo, exec_lo, s20
	s_cbranch_vccz .LBB520_305
; %bb.303:
	v_cmp_eq_u16_e32 vcc_lo, 29, v4
	s_mov_b32 s0, -1
	s_cbranch_vccz .LBB520_305
; %bb.304:
	v_trunc_f32_e32 v1, v0
	s_mov_b32 s18, -1
	s_mov_b32 s0, 0
	s_mov_b32 s20, 0
	s_delay_alu instid0(VALU_DEP_1) | instskip(NEXT) | instid1(VALU_DEP_1)
	v_mul_f32_e32 v5, 0x2f800000, v1
	v_floor_f32_e32 v5, v5
	s_delay_alu instid0(VALU_DEP_1) | instskip(SKIP_1) | instid1(VALU_DEP_2)
	v_fmamk_f32 v1, v5, 0xcf800000, v1
	v_cvt_u32_f32_e32 v6, v5
	v_cvt_u32_f32_e32 v5, v1
	global_store_b64 v[2:3], v[5:6], off
	s_branch .LBB520_306
.LBB520_305:
	s_mov_b32 s20, 0
.LBB520_306:
	s_delay_alu instid0(SALU_CYCLE_1)
	s_and_b32 vcc_lo, exec_lo, s20
	s_cbranch_vccz .LBB520_322
; %bb.307:
	v_cmp_gt_i16_e32 vcc_lo, 27, v4
	s_mov_b32 s18, -1
	s_cbranch_vccnz .LBB520_313
; %bb.308:
	v_cmp_lt_i16_e32 vcc_lo, 27, v4
	s_cbranch_vccz .LBB520_310
; %bb.309:
	v_cvt_u32_f32_e32 v1, v0
	s_mov_b32 s18, 0
	global_store_b32 v[2:3], v1, off
.LBB520_310:
	s_and_not1_b32 vcc_lo, exec_lo, s18
	s_cbranch_vccnz .LBB520_312
; %bb.311:
	v_cvt_u32_f32_e32 v1, v0
	global_store_b16 v[2:3], v1, off
.LBB520_312:
	s_mov_b32 s18, 0
.LBB520_313:
	s_delay_alu instid0(SALU_CYCLE_1)
	s_and_not1_b32 vcc_lo, exec_lo, s18
	s_cbranch_vccnz .LBB520_321
; %bb.314:
	v_and_b32_e32 v1, 0x7fffffff, v0
	v_mov_b32_e32 v5, 0x80
	s_mov_b32 s18, exec_lo
	s_delay_alu instid0(VALU_DEP_2)
	v_cmpx_gt_u32_e32 0x43800000, v1
	s_cbranch_execz .LBB520_320
; %bb.315:
	v_cmp_lt_u32_e32 vcc_lo, 0x3bffffff, v1
	s_mov_b32 s20, 0
                                        ; implicit-def: $vgpr1
	s_and_saveexec_b32 s21, vcc_lo
	s_delay_alu instid0(SALU_CYCLE_1)
	s_xor_b32 s21, exec_lo, s21
	s_cbranch_execz .LBB520_533
; %bb.316:
	v_bfe_u32 v1, v0, 20, 1
	s_mov_b32 s20, exec_lo
	s_delay_alu instid0(VALU_DEP_1) | instskip(NEXT) | instid1(VALU_DEP_1)
	v_add3_u32 v1, v0, v1, 0x487ffff
	v_lshrrev_b32_e32 v1, 20, v1
	s_or_saveexec_b32 s21, s21
                                        ; implicit-def: $sgpr22
	s_delay_alu instid0(SALU_CYCLE_1)
	s_xor_b32 exec_lo, exec_lo, s21
	s_cbranch_execnz .LBB520_534
.LBB520_317:
	s_or_b32 exec_lo, exec_lo, s21
	v_mov_b32_e32 v5, s22
	s_and_saveexec_b32 s21, s20
.LBB520_318:
	v_lshrrev_b32_e32 v5, 24, v0
	s_delay_alu instid0(VALU_DEP_1)
	v_and_or_b32 v5, 0x80, v5, v1
.LBB520_319:
	s_or_b32 exec_lo, exec_lo, s21
.LBB520_320:
	s_delay_alu instid0(SALU_CYCLE_1)
	s_or_b32 exec_lo, exec_lo, s18
	global_store_b8 v[2:3], v5, off
.LBB520_321:
	s_mov_b32 s18, -1
.LBB520_322:
	s_mov_b32 s20, 0
.LBB520_323:
	s_delay_alu instid0(SALU_CYCLE_1)
	s_and_b32 vcc_lo, exec_lo, s20
	s_cbranch_vccz .LBB520_364
; %bb.324:
	v_cmp_lt_i16_e32 vcc_lo, 22, v4
	s_mov_b32 s20, -1
	s_cbranch_vccz .LBB520_356
; %bb.325:
	v_cmp_gt_i16_e32 vcc_lo, 24, v4
	s_mov_b32 s18, -1
	s_cbranch_vccnz .LBB520_345
; %bb.326:
	v_cmp_lt_i16_e32 vcc_lo, 24, v4
	s_cbranch_vccz .LBB520_334
; %bb.327:
	v_and_b32_e32 v1, 0x7fffffff, v0
	v_mov_b32_e32 v5, 0x80
	s_mov_b32 s18, exec_lo
	s_delay_alu instid0(VALU_DEP_2)
	v_cmpx_gt_u32_e32 0x47800000, v1
	s_cbranch_execz .LBB520_333
; %bb.328:
	v_cmp_lt_u32_e32 vcc_lo, 0x37ffffff, v1
	s_mov_b32 s20, 0
                                        ; implicit-def: $vgpr1
	s_and_saveexec_b32 s21, vcc_lo
	s_delay_alu instid0(SALU_CYCLE_1)
	s_xor_b32 s21, exec_lo, s21
	s_cbranch_execz .LBB520_536
; %bb.329:
	v_bfe_u32 v1, v0, 21, 1
	s_mov_b32 s20, exec_lo
	s_delay_alu instid0(VALU_DEP_1) | instskip(NEXT) | instid1(VALU_DEP_1)
	v_add3_u32 v1, v0, v1, 0x88fffff
	v_lshrrev_b32_e32 v1, 21, v1
	s_or_saveexec_b32 s21, s21
                                        ; implicit-def: $sgpr22
	s_delay_alu instid0(SALU_CYCLE_1)
	s_xor_b32 exec_lo, exec_lo, s21
	s_cbranch_execnz .LBB520_537
.LBB520_330:
	s_or_b32 exec_lo, exec_lo, s21
	v_mov_b32_e32 v5, s22
	s_and_saveexec_b32 s21, s20
.LBB520_331:
	v_lshrrev_b32_e32 v5, 24, v0
	s_delay_alu instid0(VALU_DEP_1)
	v_and_or_b32 v5, 0x80, v5, v1
.LBB520_332:
	s_or_b32 exec_lo, exec_lo, s21
.LBB520_333:
	s_delay_alu instid0(SALU_CYCLE_1)
	s_or_b32 exec_lo, exec_lo, s18
	s_mov_b32 s18, 0
	global_store_b8 v[2:3], v5, off
.LBB520_334:
	s_and_b32 vcc_lo, exec_lo, s18
	s_cbranch_vccz .LBB520_344
; %bb.335:
	v_and_b32_e32 v5, 0x7fffffff, v0
	s_mov_b32 s18, exec_lo
                                        ; implicit-def: $vgpr1
	s_delay_alu instid0(VALU_DEP_1)
	v_cmpx_gt_u32_e32 0x43f00000, v5
	s_xor_b32 s18, exec_lo, s18
	s_cbranch_execz .LBB520_341
; %bb.336:
	s_mov_b32 s20, exec_lo
                                        ; implicit-def: $vgpr1
	v_cmpx_lt_u32_e32 0x3c7fffff, v5
	s_xor_b32 s20, exec_lo, s20
; %bb.337:
	v_bfe_u32 v1, v0, 20, 1
	s_delay_alu instid0(VALU_DEP_1) | instskip(NEXT) | instid1(VALU_DEP_1)
	v_add3_u32 v1, v0, v1, 0x407ffff
	v_and_b32_e32 v5, 0xff00000, v1
	v_lshrrev_b32_e32 v1, 20, v1
	s_delay_alu instid0(VALU_DEP_2) | instskip(NEXT) | instid1(VALU_DEP_2)
	v_cmp_ne_u32_e32 vcc_lo, 0x7f00000, v5
	v_cndmask_b32_e32 v1, 0x7e, v1, vcc_lo
; %bb.338:
	s_and_not1_saveexec_b32 s20, s20
; %bb.339:
	v_add_f32_e64 v1, 0x46800000, |v0|
; %bb.340:
	s_or_b32 exec_lo, exec_lo, s20
                                        ; implicit-def: $vgpr5
.LBB520_341:
	s_and_not1_saveexec_b32 s18, s18
; %bb.342:
	v_mov_b32_e32 v1, 0x7f
	v_cmp_lt_u32_e32 vcc_lo, 0x7f800000, v5
	s_delay_alu instid0(VALU_DEP_2)
	v_cndmask_b32_e32 v1, 0x7e, v1, vcc_lo
; %bb.343:
	s_or_b32 exec_lo, exec_lo, s18
	v_lshrrev_b32_e32 v5, 24, v0
	s_delay_alu instid0(VALU_DEP_1)
	v_and_or_b32 v1, 0x80, v5, v1
	global_store_b8 v[2:3], v1, off
.LBB520_344:
	s_mov_b32 s18, 0
.LBB520_345:
	s_delay_alu instid0(SALU_CYCLE_1)
	s_and_not1_b32 vcc_lo, exec_lo, s18
	s_cbranch_vccnz .LBB520_355
; %bb.346:
	v_and_b32_e32 v5, 0x7fffffff, v0
	s_mov_b32 s18, exec_lo
                                        ; implicit-def: $vgpr1
	s_delay_alu instid0(VALU_DEP_1)
	v_cmpx_gt_u32_e32 0x47800000, v5
	s_xor_b32 s18, exec_lo, s18
	s_cbranch_execz .LBB520_352
; %bb.347:
	s_mov_b32 s20, exec_lo
                                        ; implicit-def: $vgpr1
	v_cmpx_lt_u32_e32 0x387fffff, v5
	s_xor_b32 s20, exec_lo, s20
; %bb.348:
	v_bfe_u32 v1, v0, 21, 1
	s_delay_alu instid0(VALU_DEP_1) | instskip(NEXT) | instid1(VALU_DEP_1)
	v_add3_u32 v1, v0, v1, 0x80fffff
	v_lshrrev_b32_e32 v1, 21, v1
; %bb.349:
	s_and_not1_saveexec_b32 s20, s20
; %bb.350:
	v_add_f32_e64 v1, 0x43000000, |v0|
; %bb.351:
	s_or_b32 exec_lo, exec_lo, s20
                                        ; implicit-def: $vgpr5
.LBB520_352:
	s_and_not1_saveexec_b32 s18, s18
; %bb.353:
	v_mov_b32_e32 v1, 0x7f
	v_cmp_lt_u32_e32 vcc_lo, 0x7f800000, v5
	s_delay_alu instid0(VALU_DEP_2)
	v_cndmask_b32_e32 v1, 0x7c, v1, vcc_lo
; %bb.354:
	s_or_b32 exec_lo, exec_lo, s18
	v_lshrrev_b32_e32 v5, 24, v0
	s_delay_alu instid0(VALU_DEP_1)
	v_and_or_b32 v1, 0x80, v5, v1
	global_store_b8 v[2:3], v1, off
.LBB520_355:
	s_mov_b32 s20, 0
	s_mov_b32 s18, -1
.LBB520_356:
	s_and_not1_b32 vcc_lo, exec_lo, s20
	s_cbranch_vccnz .LBB520_364
; %bb.357:
	v_cmp_lt_i16_e32 vcc_lo, 14, v4
	s_mov_b32 s20, -1
	s_cbranch_vccz .LBB520_361
; %bb.358:
	v_cmp_eq_u16_e32 vcc_lo, 15, v4
	s_mov_b32 s0, -1
	s_cbranch_vccz .LBB520_360
; %bb.359:
	v_bfe_u32 v1, v0, 16, 1
	v_cmp_o_f32_e32 vcc_lo, v0, v0
	s_mov_b32 s18, -1
	s_mov_b32 s0, 0
	s_delay_alu instid0(VALU_DEP_2) | instskip(NEXT) | instid1(VALU_DEP_1)
	v_add3_u32 v1, v0, v1, 0x7fff
	v_lshrrev_b32_e32 v1, 16, v1
	s_delay_alu instid0(VALU_DEP_1)
	v_cndmask_b32_e32 v1, 0x7fc0, v1, vcc_lo
	global_store_b16 v[2:3], v1, off
.LBB520_360:
	s_mov_b32 s20, 0
.LBB520_361:
	s_delay_alu instid0(SALU_CYCLE_1)
	s_and_b32 vcc_lo, exec_lo, s20
	s_cbranch_vccz .LBB520_364
; %bb.362:
	v_cmp_eq_u16_e32 vcc_lo, 11, v4
	s_mov_b32 s0, -1
	s_cbranch_vccz .LBB520_364
; %bb.363:
	v_cmp_neq_f32_e32 vcc_lo, 0, v0
	s_mov_b32 s0, 0
	s_mov_b32 s18, -1
	v_cndmask_b32_e64 v1, 0, 1, vcc_lo
	global_store_b8 v[2:3], v1, off
.LBB520_364:
	s_mov_b32 s20, 0
.LBB520_365:
	s_delay_alu instid0(SALU_CYCLE_1)
	s_and_b32 vcc_lo, exec_lo, s20
	s_cbranch_vccz .LBB520_404
; %bb.366:
	v_cmp_gt_i16_e32 vcc_lo, 5, v4
	s_mov_b32 s18, -1
	s_cbranch_vccnz .LBB520_387
; %bb.367:
	v_cmp_gt_i16_e32 vcc_lo, 8, v4
	s_cbranch_vccnz .LBB520_377
; %bb.368:
	v_cmp_gt_i16_e32 vcc_lo, 9, v4
	s_cbranch_vccnz .LBB520_374
; %bb.369:
	v_cmp_lt_i16_e32 vcc_lo, 9, v4
	s_cbranch_vccz .LBB520_371
; %bb.370:
	v_cvt_f64_f32_e32 v[10:11], v0
	v_mov_b32_e32 v12, 0
	s_mov_b32 s18, 0
	s_delay_alu instid0(VALU_DEP_1)
	v_mov_b32_e32 v13, v12
	global_store_b128 v[2:3], v[10:13], off
.LBB520_371:
	s_and_not1_b32 vcc_lo, exec_lo, s18
	s_cbranch_vccnz .LBB520_373
; %bb.372:
	v_mov_b32_e32 v1, 0
	global_store_b64 v[2:3], v[0:1], off
.LBB520_373:
	s_mov_b32 s18, 0
.LBB520_374:
	s_delay_alu instid0(SALU_CYCLE_1)
	s_and_not1_b32 vcc_lo, exec_lo, s18
	s_cbranch_vccnz .LBB520_376
; %bb.375:
	v_cvt_f16_f32_e32 v1, v0
	s_delay_alu instid0(VALU_DEP_1)
	v_and_b32_e32 v1, 0xffff, v1
	global_store_b32 v[2:3], v1, off
.LBB520_376:
	s_mov_b32 s18, 0
.LBB520_377:
	s_delay_alu instid0(SALU_CYCLE_1)
	s_and_not1_b32 vcc_lo, exec_lo, s18
	s_cbranch_vccnz .LBB520_386
; %bb.378:
	v_cmp_gt_i16_e32 vcc_lo, 6, v4
	s_mov_b32 s18, -1
	s_cbranch_vccnz .LBB520_384
; %bb.379:
	v_cmp_lt_i16_e32 vcc_lo, 6, v4
	s_cbranch_vccz .LBB520_381
; %bb.380:
	v_cvt_f64_f32_e32 v[5:6], v0
	s_mov_b32 s18, 0
	global_store_b64 v[2:3], v[5:6], off
.LBB520_381:
	s_and_not1_b32 vcc_lo, exec_lo, s18
	s_cbranch_vccnz .LBB520_383
; %bb.382:
	global_store_b32 v[2:3], v0, off
.LBB520_383:
	s_mov_b32 s18, 0
.LBB520_384:
	s_delay_alu instid0(SALU_CYCLE_1)
	s_and_not1_b32 vcc_lo, exec_lo, s18
	s_cbranch_vccnz .LBB520_386
; %bb.385:
	v_cvt_f16_f32_e32 v1, v0
	global_store_b16 v[2:3], v1, off
.LBB520_386:
	s_mov_b32 s18, 0
.LBB520_387:
	s_delay_alu instid0(SALU_CYCLE_1)
	s_and_not1_b32 vcc_lo, exec_lo, s18
	s_cbranch_vccnz .LBB520_403
; %bb.388:
	v_cmp_gt_i16_e32 vcc_lo, 2, v4
	s_mov_b32 s18, -1
	s_cbranch_vccnz .LBB520_398
; %bb.389:
	v_cmp_gt_i16_e32 vcc_lo, 3, v4
	s_cbranch_vccnz .LBB520_395
; %bb.390:
	v_cmp_lt_i16_e32 vcc_lo, 3, v4
	s_cbranch_vccz .LBB520_392
; %bb.391:
	v_trunc_f32_e32 v1, v0
	s_mov_b32 s18, 0
	s_delay_alu instid0(VALU_DEP_1) | instskip(NEXT) | instid1(VALU_DEP_1)
	v_mul_f32_e64 v5, 0x2f800000, |v1|
	v_floor_f32_e32 v5, v5
	s_delay_alu instid0(VALU_DEP_1) | instskip(SKIP_2) | instid1(VALU_DEP_3)
	v_fma_f32 v6, 0xcf800000, v5, |v1|
	v_ashrrev_i32_e32 v1, 31, v1
	v_cvt_u32_f32_e32 v5, v5
	v_cvt_u32_f32_e32 v6, v6
	s_delay_alu instid0(VALU_DEP_2) | instskip(NEXT) | instid1(VALU_DEP_2)
	v_xor_b32_e32 v7, v5, v1
	v_xor_b32_e32 v6, v6, v1
	s_delay_alu instid0(VALU_DEP_1) | instskip(NEXT) | instid1(VALU_DEP_3)
	v_sub_co_u32 v5, vcc_lo, v6, v1
	v_sub_co_ci_u32_e32 v6, vcc_lo, v7, v1, vcc_lo
	global_store_b64 v[2:3], v[5:6], off
.LBB520_392:
	s_and_not1_b32 vcc_lo, exec_lo, s18
	s_cbranch_vccnz .LBB520_394
; %bb.393:
	v_cvt_i32_f32_e32 v1, v0
	global_store_b32 v[2:3], v1, off
.LBB520_394:
	s_mov_b32 s18, 0
.LBB520_395:
	s_delay_alu instid0(SALU_CYCLE_1)
	s_and_not1_b32 vcc_lo, exec_lo, s18
	s_cbranch_vccnz .LBB520_397
; %bb.396:
	v_cvt_i32_f32_e32 v1, v0
	global_store_b16 v[2:3], v1, off
.LBB520_397:
	s_mov_b32 s18, 0
.LBB520_398:
	s_delay_alu instid0(SALU_CYCLE_1)
	s_and_not1_b32 vcc_lo, exec_lo, s18
	s_cbranch_vccnz .LBB520_403
; %bb.399:
	v_cmp_lt_i16_e32 vcc_lo, 0, v4
	s_mov_b32 s18, -1
	s_cbranch_vccz .LBB520_401
; %bb.400:
	v_cvt_i32_f32_e32 v1, v0
	s_mov_b32 s18, 0
	global_store_b8 v[2:3], v1, off
.LBB520_401:
	s_and_not1_b32 vcc_lo, exec_lo, s18
	s_cbranch_vccnz .LBB520_403
; %bb.402:
	v_trunc_f32_e32 v0, v0
	s_delay_alu instid0(VALU_DEP_1) | instskip(NEXT) | instid1(VALU_DEP_1)
	v_mul_f32_e64 v1, 0x2f800000, |v0|
	v_floor_f32_e32 v1, v1
	s_delay_alu instid0(VALU_DEP_1) | instskip(SKIP_1) | instid1(VALU_DEP_2)
	v_fma_f32 v1, 0xcf800000, v1, |v0|
	v_ashrrev_i32_e32 v0, 31, v0
	v_cvt_u32_f32_e32 v1, v1
	s_delay_alu instid0(VALU_DEP_1) | instskip(NEXT) | instid1(VALU_DEP_1)
	v_xor_b32_e32 v1, v1, v0
	v_sub_nc_u32_e32 v0, v1, v0
	global_store_b8 v[2:3], v0, off
.LBB520_403:
	s_mov_b32 s18, -1
.LBB520_404:
	s_delay_alu instid0(SALU_CYCLE_1)
	s_and_not1_b32 vcc_lo, exec_lo, s18
	s_cbranch_vccnz .LBB520_406
; %bb.405:
	v_add_nc_u32_e32 v8, 0x80, v8
	s_mov_b32 s20, -1
	s_branch .LBB520_519
.LBB520_406:
	s_mov_b32 s20, 0
	s_branch .LBB520_518
.LBB520_407:
	s_mov_b32 s17, -1
                                        ; implicit-def: $vgpr2
.LBB520_408:
	s_mov_b32 s18, 0
.LBB520_409:
	s_delay_alu instid0(SALU_CYCLE_1)
	s_and_b32 vcc_lo, exec_lo, s18
	s_cbranch_vccz .LBB520_413
; %bb.410:
	v_cmp_eq_u16_e32 vcc_lo, 29, v9
	s_cbranch_vccz .LBB520_412
; %bb.411:
	global_load_b64 v[2:3], v[0:1], off
	s_mov_b32 s0, -1
	s_mov_b32 s17, 0
	s_mov_b32 s18, 0
	s_waitcnt vmcnt(0)
	v_clz_i32_u32_e32 v4, v3
	s_delay_alu instid0(VALU_DEP_1) | instskip(NEXT) | instid1(VALU_DEP_1)
	v_min_u32_e32 v4, 32, v4
	v_lshlrev_b64 v[2:3], v4, v[2:3]
	s_delay_alu instid0(VALU_DEP_1) | instskip(NEXT) | instid1(VALU_DEP_1)
	v_min_u32_e32 v2, 1, v2
	v_or_b32_e32 v2, v3, v2
	v_sub_nc_u32_e32 v3, 32, v4
	s_delay_alu instid0(VALU_DEP_2) | instskip(NEXT) | instid1(VALU_DEP_1)
	v_cvt_f32_u32_e32 v2, v2
	v_ldexp_f32 v2, v2, v3
	s_branch .LBB520_414
.LBB520_412:
	s_mov_b32 s17, -1
                                        ; implicit-def: $vgpr2
.LBB520_413:
	s_mov_b32 s18, 0
.LBB520_414:
	s_delay_alu instid0(SALU_CYCLE_1)
	s_and_b32 vcc_lo, exec_lo, s18
	s_cbranch_vccz .LBB520_432
; %bb.415:
	v_cmp_gt_i16_e32 vcc_lo, 27, v9
	s_cbranch_vccnz .LBB520_418
; %bb.416:
	v_cmp_lt_i16_e32 vcc_lo, 27, v9
	s_cbranch_vccz .LBB520_419
; %bb.417:
	global_load_b32 v2, v[0:1], off
	s_mov_b32 s0, 0
	s_waitcnt vmcnt(0)
	v_cvt_f32_u32_e32 v2, v2
	s_branch .LBB520_420
.LBB520_418:
	s_mov_b32 s0, -1
                                        ; implicit-def: $vgpr2
	s_branch .LBB520_423
.LBB520_419:
	s_mov_b32 s0, -1
                                        ; implicit-def: $vgpr2
.LBB520_420:
	s_delay_alu instid0(SALU_CYCLE_1)
	s_and_not1_b32 vcc_lo, exec_lo, s0
	s_cbranch_vccnz .LBB520_422
; %bb.421:
	global_load_u16 v2, v[0:1], off
	s_waitcnt vmcnt(0)
	v_cvt_f32_u32_e32 v2, v2
.LBB520_422:
	s_mov_b32 s0, 0
.LBB520_423:
	s_delay_alu instid0(SALU_CYCLE_1)
	s_and_not1_b32 vcc_lo, exec_lo, s0
	s_cbranch_vccnz .LBB520_431
; %bb.424:
	global_load_u8 v3, v[0:1], off
	s_mov_b32 s0, 0
	s_mov_b32 s20, exec_lo
                                        ; implicit-def: $sgpr18
	s_waitcnt vmcnt(0)
	v_cmpx_lt_i16_e32 0x7f, v3
	s_xor_b32 s20, exec_lo, s20
	s_cbranch_execz .LBB520_445
; %bb.425:
	s_mov_b32 s0, -1
	s_mov_b32 s21, exec_lo
                                        ; implicit-def: $sgpr18
	v_cmpx_eq_u16_e32 0x80, v3
; %bb.426:
	s_mov_b32 s18, 0x7f800001
	s_xor_b32 s0, exec_lo, -1
; %bb.427:
	s_or_b32 exec_lo, exec_lo, s21
	s_delay_alu instid0(SALU_CYCLE_1)
	s_and_b32 s0, s0, exec_lo
	s_or_saveexec_b32 s20, s20
	v_mov_b32_e32 v2, s18
	s_xor_b32 exec_lo, exec_lo, s20
	s_cbranch_execnz .LBB520_446
.LBB520_428:
	s_or_b32 exec_lo, exec_lo, s20
	s_and_saveexec_b32 s18, s0
	s_cbranch_execz .LBB520_430
.LBB520_429:
	v_and_b32_e32 v2, 0xffff, v3
	s_delay_alu instid0(VALU_DEP_1) | instskip(NEXT) | instid1(VALU_DEP_1)
	v_and_b32_e32 v4, 7, v2
	v_clz_i32_u32_e32 v5, v4
	s_delay_alu instid0(VALU_DEP_1) | instskip(NEXT) | instid1(VALU_DEP_1)
	v_min_u32_e32 v5, 32, v5
	v_subrev_nc_u32_e32 v6, 28, v5
	v_sub_nc_u32_e32 v5, 29, v5
	s_delay_alu instid0(VALU_DEP_2) | instskip(SKIP_1) | instid1(VALU_DEP_2)
	v_lshlrev_b32_e32 v6, v6, v2
	v_bfe_u32 v2, v2, 3, 4
	v_and_b32_e32 v6, 7, v6
	s_delay_alu instid0(VALU_DEP_2) | instskip(SKIP_1) | instid1(VALU_DEP_1)
	v_cmp_eq_u32_e32 vcc_lo, 0, v2
	v_dual_cndmask_b32 v2, v2, v5 :: v_dual_lshlrev_b32 v3, 24, v3
	v_dual_cndmask_b32 v4, v4, v6 :: v_dual_and_b32 v3, 0x80000000, v3
	s_delay_alu instid0(VALU_DEP_2) | instskip(NEXT) | instid1(VALU_DEP_2)
	v_lshl_add_u32 v2, v2, 23, 0x3b800000
	v_lshlrev_b32_e32 v4, 20, v4
	s_delay_alu instid0(VALU_DEP_1)
	v_or3_b32 v2, v3, v2, v4
.LBB520_430:
	s_or_b32 exec_lo, exec_lo, s18
.LBB520_431:
	s_mov_b32 s0, -1
.LBB520_432:
	s_mov_b32 s18, 0
.LBB520_433:
	s_delay_alu instid0(SALU_CYCLE_1)
	s_and_b32 vcc_lo, exec_lo, s18
	s_cbranch_vccz .LBB520_468
; %bb.434:
	v_cmp_lt_i16_e32 vcc_lo, 22, v9
	s_cbranch_vccz .LBB520_444
; %bb.435:
	v_cmp_gt_i16_e32 vcc_lo, 24, v9
	s_cbranch_vccnz .LBB520_447
; %bb.436:
	v_cmp_lt_i16_e32 vcc_lo, 24, v9
	s_cbranch_vccz .LBB520_448
; %bb.437:
	global_load_u8 v3, v[0:1], off
	s_mov_b32 s0, 0
	s_mov_b32 s20, exec_lo
                                        ; implicit-def: $sgpr18
	s_waitcnt vmcnt(0)
	v_cmpx_lt_i16_e32 0x7f, v3
	s_xor_b32 s20, exec_lo, s20
	s_cbranch_execz .LBB520_460
; %bb.438:
	s_mov_b32 s0, -1
	s_mov_b32 s21, exec_lo
                                        ; implicit-def: $sgpr18
	v_cmpx_eq_u16_e32 0x80, v3
; %bb.439:
	s_mov_b32 s18, 0x7f800001
	s_xor_b32 s0, exec_lo, -1
; %bb.440:
	s_or_b32 exec_lo, exec_lo, s21
	s_delay_alu instid0(SALU_CYCLE_1)
	s_and_b32 s0, s0, exec_lo
	s_or_saveexec_b32 s20, s20
	v_mov_b32_e32 v2, s18
	s_xor_b32 exec_lo, exec_lo, s20
	s_cbranch_execnz .LBB520_461
.LBB520_441:
	s_or_b32 exec_lo, exec_lo, s20
	s_and_saveexec_b32 s18, s0
	s_cbranch_execz .LBB520_443
.LBB520_442:
	v_and_b32_e32 v2, 0xffff, v3
	s_delay_alu instid0(VALU_DEP_1) | instskip(NEXT) | instid1(VALU_DEP_1)
	v_and_b32_e32 v4, 3, v2
	v_clz_i32_u32_e32 v5, v4
	s_delay_alu instid0(VALU_DEP_1) | instskip(NEXT) | instid1(VALU_DEP_1)
	v_min_u32_e32 v5, 32, v5
	v_subrev_nc_u32_e32 v6, 29, v5
	v_sub_nc_u32_e32 v5, 30, v5
	s_delay_alu instid0(VALU_DEP_2) | instskip(SKIP_1) | instid1(VALU_DEP_2)
	v_lshlrev_b32_e32 v6, v6, v2
	v_bfe_u32 v2, v2, 2, 5
	v_and_b32_e32 v6, 3, v6
	s_delay_alu instid0(VALU_DEP_2) | instskip(SKIP_1) | instid1(VALU_DEP_1)
	v_cmp_eq_u32_e32 vcc_lo, 0, v2
	v_dual_cndmask_b32 v2, v2, v5 :: v_dual_lshlrev_b32 v3, 24, v3
	v_dual_cndmask_b32 v4, v4, v6 :: v_dual_and_b32 v3, 0x80000000, v3
	s_delay_alu instid0(VALU_DEP_2) | instskip(NEXT) | instid1(VALU_DEP_2)
	v_lshl_add_u32 v2, v2, 23, 0x37800000
	v_lshlrev_b32_e32 v4, 21, v4
	s_delay_alu instid0(VALU_DEP_1)
	v_or3_b32 v2, v3, v2, v4
.LBB520_443:
	s_or_b32 exec_lo, exec_lo, s18
	s_mov_b32 s0, 0
	s_branch .LBB520_449
.LBB520_444:
	s_mov_b32 s18, -1
                                        ; implicit-def: $vgpr2
	s_branch .LBB520_455
.LBB520_445:
	s_or_saveexec_b32 s20, s20
	v_mov_b32_e32 v2, s18
	s_xor_b32 exec_lo, exec_lo, s20
	s_cbranch_execz .LBB520_428
.LBB520_446:
	v_cmp_ne_u16_e32 vcc_lo, 0, v3
	v_mov_b32_e32 v2, 0
	s_and_not1_b32 s0, s0, exec_lo
	s_and_b32 s18, vcc_lo, exec_lo
	s_delay_alu instid0(SALU_CYCLE_1)
	s_or_b32 s0, s0, s18
	s_or_b32 exec_lo, exec_lo, s20
	s_and_saveexec_b32 s18, s0
	s_cbranch_execnz .LBB520_429
	s_branch .LBB520_430
.LBB520_447:
	s_mov_b32 s0, -1
                                        ; implicit-def: $vgpr2
	s_branch .LBB520_452
.LBB520_448:
	s_mov_b32 s0, -1
                                        ; implicit-def: $vgpr2
.LBB520_449:
	s_delay_alu instid0(SALU_CYCLE_1)
	s_and_b32 vcc_lo, exec_lo, s0
	s_cbranch_vccz .LBB520_451
; %bb.450:
	global_load_u8 v2, v[0:1], off
	s_waitcnt vmcnt(0)
	v_lshlrev_b32_e32 v2, 24, v2
	s_delay_alu instid0(VALU_DEP_1) | instskip(NEXT) | instid1(VALU_DEP_1)
	v_and_b32_e32 v3, 0x7f000000, v2
	v_clz_i32_u32_e32 v4, v3
	v_add_nc_u32_e32 v6, 0x1000000, v3
	v_cmp_ne_u32_e32 vcc_lo, 0, v3
	s_delay_alu instid0(VALU_DEP_3) | instskip(NEXT) | instid1(VALU_DEP_1)
	v_min_u32_e32 v4, 32, v4
	v_sub_nc_u32_e64 v4, v4, 4 clamp
	s_delay_alu instid0(VALU_DEP_1) | instskip(SKIP_1) | instid1(VALU_DEP_2)
	v_lshlrev_b32_e32 v5, v4, v3
	v_lshlrev_b32_e32 v4, 23, v4
	v_lshrrev_b32_e32 v5, 4, v5
	s_delay_alu instid0(VALU_DEP_1) | instskip(SKIP_1) | instid1(VALU_DEP_2)
	v_sub_nc_u32_e32 v4, v5, v4
	v_ashrrev_i32_e32 v5, 8, v6
	v_add_nc_u32_e32 v4, 0x3c000000, v4
	s_delay_alu instid0(VALU_DEP_1) | instskip(NEXT) | instid1(VALU_DEP_1)
	v_and_or_b32 v4, 0x7f800000, v5, v4
	v_cndmask_b32_e32 v3, 0, v4, vcc_lo
	s_delay_alu instid0(VALU_DEP_1)
	v_and_or_b32 v2, 0x80000000, v2, v3
.LBB520_451:
	s_mov_b32 s0, 0
.LBB520_452:
	s_delay_alu instid0(SALU_CYCLE_1)
	s_and_not1_b32 vcc_lo, exec_lo, s0
	s_cbranch_vccnz .LBB520_454
; %bb.453:
	global_load_u8 v2, v[0:1], off
	s_waitcnt vmcnt(0)
	v_lshlrev_b32_e32 v3, 25, v2
	v_lshlrev_b16 v2, 8, v2
	s_delay_alu instid0(VALU_DEP_2) | instskip(NEXT) | instid1(VALU_DEP_2)
	v_lshrrev_b32_e32 v4, 4, v3
	v_and_or_b32 v5, 0x7f00, v2, 0.5
	v_bfe_i32 v2, v2, 0, 16
	s_delay_alu instid0(VALU_DEP_3) | instskip(NEXT) | instid1(VALU_DEP_1)
	v_or_b32_e32 v4, 0x70000000, v4
	v_dual_add_f32 v5, -0.5, v5 :: v_dual_mul_f32 v4, 0x7800000, v4
	v_cmp_gt_u32_e32 vcc_lo, 0x8000000, v3
	s_delay_alu instid0(VALU_DEP_2) | instskip(NEXT) | instid1(VALU_DEP_1)
	v_cndmask_b32_e32 v3, v4, v5, vcc_lo
	v_and_or_b32 v2, 0x80000000, v2, v3
.LBB520_454:
	s_mov_b32 s18, 0
	s_mov_b32 s0, -1
.LBB520_455:
	s_and_not1_b32 vcc_lo, exec_lo, s18
	s_cbranch_vccnz .LBB520_468
; %bb.456:
	v_cmp_lt_i16_e32 vcc_lo, 14, v9
	s_cbranch_vccz .LBB520_459
; %bb.457:
	v_cmp_eq_u16_e32 vcc_lo, 15, v9
	s_cbranch_vccz .LBB520_462
; %bb.458:
	global_load_u16 v2, v[0:1], off
	s_mov_b32 s0, -1
	s_mov_b32 s17, 0
	s_waitcnt vmcnt(0)
	v_lshlrev_b32_e32 v2, 16, v2
	s_branch .LBB520_463
.LBB520_459:
	s_mov_b32 s18, -1
                                        ; implicit-def: $vgpr2
	s_branch .LBB520_464
.LBB520_460:
	s_or_saveexec_b32 s20, s20
	v_mov_b32_e32 v2, s18
	s_xor_b32 exec_lo, exec_lo, s20
	s_cbranch_execz .LBB520_441
.LBB520_461:
	v_cmp_ne_u16_e32 vcc_lo, 0, v3
	v_mov_b32_e32 v2, 0
	s_and_not1_b32 s0, s0, exec_lo
	s_and_b32 s18, vcc_lo, exec_lo
	s_delay_alu instid0(SALU_CYCLE_1)
	s_or_b32 s0, s0, s18
	s_or_b32 exec_lo, exec_lo, s20
	s_and_saveexec_b32 s18, s0
	s_cbranch_execnz .LBB520_442
	s_branch .LBB520_443
.LBB520_462:
	s_mov_b32 s17, -1
                                        ; implicit-def: $vgpr2
.LBB520_463:
	s_mov_b32 s18, 0
.LBB520_464:
	s_delay_alu instid0(SALU_CYCLE_1)
	s_and_b32 vcc_lo, exec_lo, s18
	s_cbranch_vccz .LBB520_468
; %bb.465:
	v_cmp_eq_u16_e32 vcc_lo, 11, v9
	s_cbranch_vccz .LBB520_467
; %bb.466:
	global_load_u8 v2, v[0:1], off
	s_mov_b32 s17, 0
	s_mov_b32 s0, -1
	s_waitcnt vmcnt(0)
	v_cmp_ne_u16_e32 vcc_lo, 0, v2
	v_cndmask_b32_e64 v2, 0, 1.0, vcc_lo
	s_branch .LBB520_468
.LBB520_467:
	s_mov_b32 s17, -1
                                        ; implicit-def: $vgpr2
.LBB520_468:
	s_branch .LBB520_266
.LBB520_469:
	v_cmp_gt_i16_e32 vcc_lo, 5, v9
	s_cbranch_vccnz .LBB520_474
; %bb.470:
	v_cmp_gt_i16_e32 vcc_lo, 8, v9
	s_cbranch_vccnz .LBB520_475
; %bb.471:
	;; [unrolled: 3-line block ×3, first 2 shown]
	v_cmp_lt_i16_e32 vcc_lo, 9, v9
	s_cbranch_vccz .LBB520_477
; %bb.473:
	global_load_b64 v[2:3], v[0:1], off
	s_mov_b32 s0, 0
	s_waitcnt vmcnt(0)
	v_cvt_f32_f64_e32 v2, v[2:3]
	s_branch .LBB520_478
.LBB520_474:
	s_mov_b32 s0, -1
                                        ; implicit-def: $vgpr2
	s_branch .LBB520_496
.LBB520_475:
	s_mov_b32 s0, -1
                                        ; implicit-def: $vgpr2
	s_branch .LBB520_484
.LBB520_476:
	s_mov_b32 s0, -1
                                        ; implicit-def: $vgpr2
	s_branch .LBB520_481
.LBB520_477:
	s_mov_b32 s0, -1
                                        ; implicit-def: $vgpr2
.LBB520_478:
	s_delay_alu instid0(SALU_CYCLE_1)
	s_and_not1_b32 vcc_lo, exec_lo, s0
	s_cbranch_vccnz .LBB520_480
; %bb.479:
	global_load_b32 v2, v[0:1], off
.LBB520_480:
	s_mov_b32 s0, 0
.LBB520_481:
	s_delay_alu instid0(SALU_CYCLE_1)
	s_and_not1_b32 vcc_lo, exec_lo, s0
	s_cbranch_vccnz .LBB520_483
; %bb.482:
	global_load_b32 v2, v[0:1], off
	s_waitcnt vmcnt(0)
	v_cvt_f32_f16_e32 v2, v2
.LBB520_483:
	s_mov_b32 s0, 0
.LBB520_484:
	s_delay_alu instid0(SALU_CYCLE_1)
	s_and_not1_b32 vcc_lo, exec_lo, s0
	s_cbranch_vccnz .LBB520_495
; %bb.485:
	v_cmp_gt_i16_e32 vcc_lo, 6, v9
	s_cbranch_vccnz .LBB520_488
; %bb.486:
	v_cmp_lt_i16_e32 vcc_lo, 6, v9
	s_cbranch_vccz .LBB520_489
; %bb.487:
	global_load_b64 v[2:3], v[0:1], off
	s_mov_b32 s0, 0
	s_waitcnt vmcnt(0)
	v_cvt_f32_f64_e32 v2, v[2:3]
	s_branch .LBB520_490
.LBB520_488:
	s_mov_b32 s0, -1
                                        ; implicit-def: $vgpr2
	s_branch .LBB520_493
.LBB520_489:
	s_mov_b32 s0, -1
                                        ; implicit-def: $vgpr2
.LBB520_490:
	s_delay_alu instid0(SALU_CYCLE_1)
	s_and_not1_b32 vcc_lo, exec_lo, s0
	s_cbranch_vccnz .LBB520_492
; %bb.491:
	global_load_b32 v2, v[0:1], off
.LBB520_492:
	s_mov_b32 s0, 0
.LBB520_493:
	s_delay_alu instid0(SALU_CYCLE_1)
	s_and_not1_b32 vcc_lo, exec_lo, s0
	s_cbranch_vccnz .LBB520_495
; %bb.494:
	global_load_u16 v2, v[0:1], off
	s_waitcnt vmcnt(0)
	v_cvt_f32_f16_e32 v2, v2
.LBB520_495:
	s_mov_b32 s0, 0
.LBB520_496:
	s_delay_alu instid0(SALU_CYCLE_1)
	s_and_not1_b32 vcc_lo, exec_lo, s0
	s_cbranch_vccnz .LBB520_516
; %bb.497:
	v_cmp_gt_i16_e32 vcc_lo, 2, v9
	s_cbranch_vccnz .LBB520_501
; %bb.498:
	v_cmp_gt_i16_e32 vcc_lo, 3, v9
	s_cbranch_vccnz .LBB520_502
; %bb.499:
	v_cmp_lt_i16_e32 vcc_lo, 3, v9
	s_cbranch_vccz .LBB520_503
; %bb.500:
	global_load_b64 v[2:3], v[0:1], off
	s_mov_b32 s0, 0
	s_waitcnt vmcnt(0)
	v_xor_b32_e32 v4, v2, v3
	v_cls_i32_e32 v5, v3
	s_delay_alu instid0(VALU_DEP_2) | instskip(NEXT) | instid1(VALU_DEP_2)
	v_ashrrev_i32_e32 v4, 31, v4
	v_add_nc_u32_e32 v5, -1, v5
	s_delay_alu instid0(VALU_DEP_2) | instskip(NEXT) | instid1(VALU_DEP_1)
	v_add_nc_u32_e32 v4, 32, v4
	v_min_u32_e32 v4, v5, v4
	s_delay_alu instid0(VALU_DEP_1) | instskip(NEXT) | instid1(VALU_DEP_1)
	v_lshlrev_b64 v[2:3], v4, v[2:3]
	v_min_u32_e32 v2, 1, v2
	s_delay_alu instid0(VALU_DEP_1) | instskip(SKIP_1) | instid1(VALU_DEP_2)
	v_or_b32_e32 v2, v3, v2
	v_sub_nc_u32_e32 v3, 32, v4
	v_cvt_f32_i32_e32 v2, v2
	s_delay_alu instid0(VALU_DEP_1)
	v_ldexp_f32 v2, v2, v3
	s_branch .LBB520_504
.LBB520_501:
	s_mov_b32 s0, -1
                                        ; implicit-def: $vgpr2
	s_branch .LBB520_510
.LBB520_502:
	s_mov_b32 s0, -1
                                        ; implicit-def: $vgpr2
	s_branch .LBB520_507
.LBB520_503:
	s_mov_b32 s0, -1
                                        ; implicit-def: $vgpr2
.LBB520_504:
	s_delay_alu instid0(SALU_CYCLE_1)
	s_and_not1_b32 vcc_lo, exec_lo, s0
	s_cbranch_vccnz .LBB520_506
; %bb.505:
	global_load_b32 v2, v[0:1], off
	s_waitcnt vmcnt(0)
	v_cvt_f32_i32_e32 v2, v2
.LBB520_506:
	s_mov_b32 s0, 0
.LBB520_507:
	s_delay_alu instid0(SALU_CYCLE_1)
	s_and_not1_b32 vcc_lo, exec_lo, s0
	s_cbranch_vccnz .LBB520_509
; %bb.508:
	global_load_i16 v2, v[0:1], off
	s_waitcnt vmcnt(0)
	v_cvt_f32_i32_e32 v2, v2
.LBB520_509:
	s_mov_b32 s0, 0
.LBB520_510:
	s_delay_alu instid0(SALU_CYCLE_1)
	s_and_not1_b32 vcc_lo, exec_lo, s0
	s_cbranch_vccnz .LBB520_516
; %bb.511:
	v_cmp_lt_i16_e32 vcc_lo, 0, v9
	s_mov_b32 s0, 0
	s_cbranch_vccz .LBB520_513
; %bb.512:
	global_load_i8 v2, v[0:1], off
	s_waitcnt vmcnt(0)
	v_cvt_f32_i32_e32 v2, v2
	s_branch .LBB520_514
.LBB520_513:
	s_mov_b32 s0, -1
                                        ; implicit-def: $vgpr2
.LBB520_514:
	s_delay_alu instid0(SALU_CYCLE_1)
	s_and_not1_b32 vcc_lo, exec_lo, s0
	s_cbranch_vccnz .LBB520_516
; %bb.515:
	global_load_u8 v0, v[0:1], off
	s_waitcnt vmcnt(0)
	v_cvt_f32_ubyte0_e32 v2, v0
.LBB520_516:
	s_branch .LBB520_267
.LBB520_517:
	s_mov_b32 s20, 0
	s_mov_b32 s0, s13
.LBB520_518:
                                        ; implicit-def: $vgpr8
.LBB520_519:
	s_and_not1_b32 s18, s13, exec_lo
	s_and_b32 s0, s0, exec_lo
	s_and_not1_b32 s21, s15, exec_lo
	s_and_b32 s17, s17, exec_lo
	s_or_b32 s18, s18, s0
	s_or_b32 s17, s21, s17
	s_or_not1_b32 s21, s20, exec_lo
.LBB520_520:
	s_or_b32 exec_lo, exec_lo, s19
	s_mov_b32 s20, 0
	s_mov_b32 s22, 0
	s_mov_b32 s0, 0
                                        ; implicit-def: $vgpr0_vgpr1
                                        ; implicit-def: $vgpr5
	s_and_saveexec_b32 s19, s21
	s_cbranch_execz .LBB520_871
; %bb.521:
	s_mov_b32 s0, -1
	s_mov_b32 s21, s17
	s_mov_b32 s22, s18
	s_mov_b32 s20, exec_lo
	v_cmpx_gt_i32_e64 s14, v8
	s_cbranch_execz .LBB520_785
; %bb.522:
	v_mul_lo_u32 v0, v8, s9
	v_cmp_gt_i16_e32 vcc_lo, 11, v9
	s_delay_alu instid0(VALU_DEP_2) | instskip(SKIP_1) | instid1(VALU_DEP_1)
	v_ashrrev_i32_e32 v1, 31, v0
	v_add_co_u32 v0, s0, s6, v0
	v_add_co_ci_u32_e64 v1, s0, s7, v1, s0
	s_cbranch_vccnz .LBB520_529
; %bb.523:
	v_cmp_lt_i16_e32 vcc_lo, 25, v9
	s_cbranch_vccz .LBB520_530
; %bb.524:
	v_cmp_lt_i16_e32 vcc_lo, 28, v9
	s_cbranch_vccz .LBB520_531
	;; [unrolled: 3-line block ×4, first 2 shown]
; %bb.527:
	v_cmp_eq_u16_e32 vcc_lo, 46, v9
	s_mov_b32 s22, 0
	s_cbranch_vccz .LBB520_538
; %bb.528:
	global_load_b32 v2, v[0:1], off
	s_mov_b32 s0, -1
	s_mov_b32 s21, 0
	s_waitcnt vmcnt(0)
	v_lshlrev_b32_e32 v2, 16, v2
	s_branch .LBB520_540
.LBB520_529:
	s_mov_b32 s22, -1
	s_mov_b32 s0, 0
	s_mov_b32 s21, s17
                                        ; implicit-def: $vgpr2
	s_branch .LBB520_605
.LBB520_530:
	s_mov_b32 s22, -1
	s_mov_b32 s0, 0
	s_mov_b32 s21, s17
                                        ; implicit-def: $vgpr2
	s_branch .LBB520_569
.LBB520_531:
	s_mov_b32 s22, -1
	s_mov_b32 s0, 0
	s_mov_b32 s21, s17
                                        ; implicit-def: $vgpr2
	s_branch .LBB520_550
.LBB520_532:
	s_mov_b32 s22, -1
	s_mov_b32 s0, 0
	s_mov_b32 s21, s17
                                        ; implicit-def: $vgpr2
	s_branch .LBB520_545
.LBB520_533:
	s_or_saveexec_b32 s21, s21
                                        ; implicit-def: $sgpr22
	s_delay_alu instid0(SALU_CYCLE_1)
	s_xor_b32 exec_lo, exec_lo, s21
	s_cbranch_execz .LBB520_317
.LBB520_534:
	v_add_f32_e64 v1, 0x46000000, |v0|
	s_and_not1_b32 s20, s20, exec_lo
	s_mov_b32 s22, 0
	s_delay_alu instid0(VALU_DEP_1) | instskip(NEXT) | instid1(VALU_DEP_1)
	v_and_b32_e32 v1, 0xff, v1
	v_cmp_ne_u32_e32 vcc_lo, 0, v1
	s_and_b32 s23, vcc_lo, exec_lo
	s_delay_alu instid0(SALU_CYCLE_1)
	s_or_b32 s20, s20, s23
	s_or_b32 exec_lo, exec_lo, s21
	v_mov_b32_e32 v5, s22
	s_and_saveexec_b32 s21, s20
	s_cbranch_execnz .LBB520_318
	s_branch .LBB520_319
.LBB520_535:
	s_mov_b32 s22, -1
	s_mov_b32 s0, 0
	s_mov_b32 s21, s17
	s_branch .LBB520_539
.LBB520_536:
	s_or_saveexec_b32 s21, s21
                                        ; implicit-def: $sgpr22
	s_delay_alu instid0(SALU_CYCLE_1)
	s_xor_b32 exec_lo, exec_lo, s21
	s_cbranch_execz .LBB520_330
.LBB520_537:
	v_add_f32_e64 v1, 0x42800000, |v0|
	s_and_not1_b32 s20, s20, exec_lo
	s_mov_b32 s22, 0
	s_delay_alu instid0(VALU_DEP_1) | instskip(NEXT) | instid1(VALU_DEP_1)
	v_and_b32_e32 v1, 0xff, v1
	v_cmp_ne_u32_e32 vcc_lo, 0, v1
	s_and_b32 s23, vcc_lo, exec_lo
	s_delay_alu instid0(SALU_CYCLE_1)
	s_or_b32 s20, s20, s23
	s_or_b32 exec_lo, exec_lo, s21
	v_mov_b32_e32 v5, s22
	s_and_saveexec_b32 s21, s20
	s_cbranch_execnz .LBB520_331
	s_branch .LBB520_332
.LBB520_538:
	s_mov_b32 s21, -1
	s_mov_b32 s0, 0
.LBB520_539:
                                        ; implicit-def: $vgpr2
.LBB520_540:
	s_and_b32 vcc_lo, exec_lo, s22
	s_cbranch_vccz .LBB520_544
; %bb.541:
	v_cmp_eq_u16_e32 vcc_lo, 44, v9
	s_cbranch_vccz .LBB520_543
; %bb.542:
	global_load_u8 v2, v[0:1], off
	s_mov_b32 s21, 0
	s_mov_b32 s0, -1
	s_waitcnt vmcnt(0)
	v_lshlrev_b32_e32 v3, 23, v2
	v_cmp_ne_u32_e32 vcc_lo, 0xff, v2
	s_delay_alu instid0(VALU_DEP_2) | instskip(SKIP_1) | instid1(VALU_DEP_2)
	v_cndmask_b32_e32 v3, 0x7f800001, v3, vcc_lo
	v_cmp_ne_u32_e32 vcc_lo, 0, v2
	v_cndmask_b32_e32 v2, 0x400000, v3, vcc_lo
	s_branch .LBB520_544
.LBB520_543:
	s_mov_b32 s21, -1
                                        ; implicit-def: $vgpr2
.LBB520_544:
	s_mov_b32 s22, 0
.LBB520_545:
	s_delay_alu instid0(SALU_CYCLE_1)
	s_and_b32 vcc_lo, exec_lo, s22
	s_cbranch_vccz .LBB520_549
; %bb.546:
	v_cmp_eq_u16_e32 vcc_lo, 29, v9
	s_cbranch_vccz .LBB520_548
; %bb.547:
	global_load_b64 v[2:3], v[0:1], off
	s_mov_b32 s0, -1
	s_mov_b32 s21, 0
	s_mov_b32 s22, 0
	s_waitcnt vmcnt(0)
	v_clz_i32_u32_e32 v4, v3
	s_delay_alu instid0(VALU_DEP_1) | instskip(NEXT) | instid1(VALU_DEP_1)
	v_min_u32_e32 v4, 32, v4
	v_lshlrev_b64 v[2:3], v4, v[2:3]
	s_delay_alu instid0(VALU_DEP_1) | instskip(NEXT) | instid1(VALU_DEP_1)
	v_min_u32_e32 v2, 1, v2
	v_or_b32_e32 v2, v3, v2
	v_sub_nc_u32_e32 v3, 32, v4
	s_delay_alu instid0(VALU_DEP_2) | instskip(NEXT) | instid1(VALU_DEP_1)
	v_cvt_f32_u32_e32 v2, v2
	v_ldexp_f32 v2, v2, v3
	s_branch .LBB520_550
.LBB520_548:
	s_mov_b32 s21, -1
                                        ; implicit-def: $vgpr2
.LBB520_549:
	s_mov_b32 s22, 0
.LBB520_550:
	s_delay_alu instid0(SALU_CYCLE_1)
	s_and_b32 vcc_lo, exec_lo, s22
	s_cbranch_vccz .LBB520_568
; %bb.551:
	v_cmp_gt_i16_e32 vcc_lo, 27, v9
	s_cbranch_vccnz .LBB520_554
; %bb.552:
	v_cmp_lt_i16_e32 vcc_lo, 27, v9
	s_cbranch_vccz .LBB520_555
; %bb.553:
	global_load_b32 v2, v[0:1], off
	s_mov_b32 s0, 0
	s_waitcnt vmcnt(0)
	v_cvt_f32_u32_e32 v2, v2
	s_branch .LBB520_556
.LBB520_554:
	s_mov_b32 s0, -1
                                        ; implicit-def: $vgpr2
	s_branch .LBB520_559
.LBB520_555:
	s_mov_b32 s0, -1
                                        ; implicit-def: $vgpr2
.LBB520_556:
	s_delay_alu instid0(SALU_CYCLE_1)
	s_and_not1_b32 vcc_lo, exec_lo, s0
	s_cbranch_vccnz .LBB520_558
; %bb.557:
	global_load_u16 v2, v[0:1], off
	s_waitcnt vmcnt(0)
	v_cvt_f32_u32_e32 v2, v2
.LBB520_558:
	s_mov_b32 s0, 0
.LBB520_559:
	s_delay_alu instid0(SALU_CYCLE_1)
	s_and_not1_b32 vcc_lo, exec_lo, s0
	s_cbranch_vccnz .LBB520_567
; %bb.560:
	global_load_u8 v3, v[0:1], off
	s_mov_b32 s0, 0
	s_mov_b32 s23, exec_lo
                                        ; implicit-def: $sgpr22
	s_waitcnt vmcnt(0)
	v_cmpx_lt_i16_e32 0x7f, v3
	s_xor_b32 s23, exec_lo, s23
	s_cbranch_execz .LBB520_581
; %bb.561:
	s_mov_b32 s0, -1
	s_mov_b32 s24, exec_lo
                                        ; implicit-def: $sgpr22
	v_cmpx_eq_u16_e32 0x80, v3
; %bb.562:
	s_mov_b32 s22, 0x7f800001
	s_xor_b32 s0, exec_lo, -1
; %bb.563:
	s_or_b32 exec_lo, exec_lo, s24
	s_delay_alu instid0(SALU_CYCLE_1)
	s_and_b32 s0, s0, exec_lo
	s_or_saveexec_b32 s23, s23
	v_mov_b32_e32 v2, s22
	s_xor_b32 exec_lo, exec_lo, s23
	s_cbranch_execnz .LBB520_582
.LBB520_564:
	s_or_b32 exec_lo, exec_lo, s23
	s_and_saveexec_b32 s22, s0
	s_cbranch_execz .LBB520_566
.LBB520_565:
	v_and_b32_e32 v2, 0xffff, v3
	s_delay_alu instid0(VALU_DEP_1) | instskip(NEXT) | instid1(VALU_DEP_1)
	v_and_b32_e32 v4, 7, v2
	v_clz_i32_u32_e32 v5, v4
	s_delay_alu instid0(VALU_DEP_1) | instskip(NEXT) | instid1(VALU_DEP_1)
	v_min_u32_e32 v5, 32, v5
	v_subrev_nc_u32_e32 v6, 28, v5
	v_sub_nc_u32_e32 v5, 29, v5
	s_delay_alu instid0(VALU_DEP_2) | instskip(SKIP_1) | instid1(VALU_DEP_2)
	v_lshlrev_b32_e32 v6, v6, v2
	v_bfe_u32 v2, v2, 3, 4
	v_and_b32_e32 v6, 7, v6
	s_delay_alu instid0(VALU_DEP_2) | instskip(SKIP_1) | instid1(VALU_DEP_1)
	v_cmp_eq_u32_e32 vcc_lo, 0, v2
	v_dual_cndmask_b32 v2, v2, v5 :: v_dual_lshlrev_b32 v3, 24, v3
	v_dual_cndmask_b32 v4, v4, v6 :: v_dual_and_b32 v3, 0x80000000, v3
	s_delay_alu instid0(VALU_DEP_2) | instskip(NEXT) | instid1(VALU_DEP_2)
	v_lshl_add_u32 v2, v2, 23, 0x3b800000
	v_lshlrev_b32_e32 v4, 20, v4
	s_delay_alu instid0(VALU_DEP_1)
	v_or3_b32 v2, v3, v2, v4
.LBB520_566:
	s_or_b32 exec_lo, exec_lo, s22
.LBB520_567:
	s_mov_b32 s0, -1
.LBB520_568:
	s_mov_b32 s22, 0
.LBB520_569:
	s_delay_alu instid0(SALU_CYCLE_1)
	s_and_b32 vcc_lo, exec_lo, s22
	s_cbranch_vccz .LBB520_604
; %bb.570:
	v_cmp_lt_i16_e32 vcc_lo, 22, v9
	s_cbranch_vccz .LBB520_580
; %bb.571:
	v_cmp_gt_i16_e32 vcc_lo, 24, v9
	s_cbranch_vccnz .LBB520_583
; %bb.572:
	v_cmp_lt_i16_e32 vcc_lo, 24, v9
	s_cbranch_vccz .LBB520_584
; %bb.573:
	global_load_u8 v3, v[0:1], off
	s_mov_b32 s0, 0
	s_mov_b32 s23, exec_lo
                                        ; implicit-def: $sgpr22
	s_waitcnt vmcnt(0)
	v_cmpx_lt_i16_e32 0x7f, v3
	s_xor_b32 s23, exec_lo, s23
	s_cbranch_execz .LBB520_596
; %bb.574:
	s_mov_b32 s0, -1
	s_mov_b32 s24, exec_lo
                                        ; implicit-def: $sgpr22
	v_cmpx_eq_u16_e32 0x80, v3
; %bb.575:
	s_mov_b32 s22, 0x7f800001
	s_xor_b32 s0, exec_lo, -1
; %bb.576:
	s_or_b32 exec_lo, exec_lo, s24
	s_delay_alu instid0(SALU_CYCLE_1)
	s_and_b32 s0, s0, exec_lo
	s_or_saveexec_b32 s23, s23
	v_mov_b32_e32 v2, s22
	s_xor_b32 exec_lo, exec_lo, s23
	s_cbranch_execnz .LBB520_597
.LBB520_577:
	s_or_b32 exec_lo, exec_lo, s23
	s_and_saveexec_b32 s22, s0
	s_cbranch_execz .LBB520_579
.LBB520_578:
	v_and_b32_e32 v2, 0xffff, v3
	s_delay_alu instid0(VALU_DEP_1) | instskip(NEXT) | instid1(VALU_DEP_1)
	v_and_b32_e32 v4, 3, v2
	v_clz_i32_u32_e32 v5, v4
	s_delay_alu instid0(VALU_DEP_1) | instskip(NEXT) | instid1(VALU_DEP_1)
	v_min_u32_e32 v5, 32, v5
	v_subrev_nc_u32_e32 v6, 29, v5
	v_sub_nc_u32_e32 v5, 30, v5
	s_delay_alu instid0(VALU_DEP_2) | instskip(SKIP_1) | instid1(VALU_DEP_2)
	v_lshlrev_b32_e32 v6, v6, v2
	v_bfe_u32 v2, v2, 2, 5
	v_and_b32_e32 v6, 3, v6
	s_delay_alu instid0(VALU_DEP_2) | instskip(SKIP_1) | instid1(VALU_DEP_1)
	v_cmp_eq_u32_e32 vcc_lo, 0, v2
	v_dual_cndmask_b32 v2, v2, v5 :: v_dual_lshlrev_b32 v3, 24, v3
	v_dual_cndmask_b32 v4, v4, v6 :: v_dual_and_b32 v3, 0x80000000, v3
	s_delay_alu instid0(VALU_DEP_2) | instskip(NEXT) | instid1(VALU_DEP_2)
	v_lshl_add_u32 v2, v2, 23, 0x37800000
	v_lshlrev_b32_e32 v4, 21, v4
	s_delay_alu instid0(VALU_DEP_1)
	v_or3_b32 v2, v3, v2, v4
.LBB520_579:
	s_or_b32 exec_lo, exec_lo, s22
	s_mov_b32 s0, 0
	s_branch .LBB520_585
.LBB520_580:
	s_mov_b32 s22, -1
                                        ; implicit-def: $vgpr2
	s_branch .LBB520_591
.LBB520_581:
	s_or_saveexec_b32 s23, s23
	v_mov_b32_e32 v2, s22
	s_xor_b32 exec_lo, exec_lo, s23
	s_cbranch_execz .LBB520_564
.LBB520_582:
	v_cmp_ne_u16_e32 vcc_lo, 0, v3
	v_mov_b32_e32 v2, 0
	s_and_not1_b32 s0, s0, exec_lo
	s_and_b32 s22, vcc_lo, exec_lo
	s_delay_alu instid0(SALU_CYCLE_1)
	s_or_b32 s0, s0, s22
	s_or_b32 exec_lo, exec_lo, s23
	s_and_saveexec_b32 s22, s0
	s_cbranch_execnz .LBB520_565
	s_branch .LBB520_566
.LBB520_583:
	s_mov_b32 s0, -1
                                        ; implicit-def: $vgpr2
	s_branch .LBB520_588
.LBB520_584:
	s_mov_b32 s0, -1
                                        ; implicit-def: $vgpr2
.LBB520_585:
	s_delay_alu instid0(SALU_CYCLE_1)
	s_and_b32 vcc_lo, exec_lo, s0
	s_cbranch_vccz .LBB520_587
; %bb.586:
	global_load_u8 v2, v[0:1], off
	s_waitcnt vmcnt(0)
	v_lshlrev_b32_e32 v2, 24, v2
	s_delay_alu instid0(VALU_DEP_1) | instskip(NEXT) | instid1(VALU_DEP_1)
	v_and_b32_e32 v3, 0x7f000000, v2
	v_clz_i32_u32_e32 v4, v3
	v_add_nc_u32_e32 v6, 0x1000000, v3
	v_cmp_ne_u32_e32 vcc_lo, 0, v3
	s_delay_alu instid0(VALU_DEP_3) | instskip(NEXT) | instid1(VALU_DEP_1)
	v_min_u32_e32 v4, 32, v4
	v_sub_nc_u32_e64 v4, v4, 4 clamp
	s_delay_alu instid0(VALU_DEP_1) | instskip(SKIP_1) | instid1(VALU_DEP_2)
	v_lshlrev_b32_e32 v5, v4, v3
	v_lshlrev_b32_e32 v4, 23, v4
	v_lshrrev_b32_e32 v5, 4, v5
	s_delay_alu instid0(VALU_DEP_1) | instskip(SKIP_1) | instid1(VALU_DEP_2)
	v_sub_nc_u32_e32 v4, v5, v4
	v_ashrrev_i32_e32 v5, 8, v6
	v_add_nc_u32_e32 v4, 0x3c000000, v4
	s_delay_alu instid0(VALU_DEP_1) | instskip(NEXT) | instid1(VALU_DEP_1)
	v_and_or_b32 v4, 0x7f800000, v5, v4
	v_cndmask_b32_e32 v3, 0, v4, vcc_lo
	s_delay_alu instid0(VALU_DEP_1)
	v_and_or_b32 v2, 0x80000000, v2, v3
.LBB520_587:
	s_mov_b32 s0, 0
.LBB520_588:
	s_delay_alu instid0(SALU_CYCLE_1)
	s_and_not1_b32 vcc_lo, exec_lo, s0
	s_cbranch_vccnz .LBB520_590
; %bb.589:
	global_load_u8 v2, v[0:1], off
	s_waitcnt vmcnt(0)
	v_lshlrev_b32_e32 v3, 25, v2
	v_lshlrev_b16 v2, 8, v2
	s_delay_alu instid0(VALU_DEP_2) | instskip(NEXT) | instid1(VALU_DEP_2)
	v_lshrrev_b32_e32 v4, 4, v3
	v_and_or_b32 v5, 0x7f00, v2, 0.5
	v_bfe_i32 v2, v2, 0, 16
	s_delay_alu instid0(VALU_DEP_3) | instskip(NEXT) | instid1(VALU_DEP_1)
	v_or_b32_e32 v4, 0x70000000, v4
	v_dual_add_f32 v5, -0.5, v5 :: v_dual_mul_f32 v4, 0x7800000, v4
	v_cmp_gt_u32_e32 vcc_lo, 0x8000000, v3
	s_delay_alu instid0(VALU_DEP_2) | instskip(NEXT) | instid1(VALU_DEP_1)
	v_cndmask_b32_e32 v3, v4, v5, vcc_lo
	v_and_or_b32 v2, 0x80000000, v2, v3
.LBB520_590:
	s_mov_b32 s22, 0
	s_mov_b32 s0, -1
.LBB520_591:
	s_and_not1_b32 vcc_lo, exec_lo, s22
	s_cbranch_vccnz .LBB520_604
; %bb.592:
	v_cmp_lt_i16_e32 vcc_lo, 14, v9
	s_cbranch_vccz .LBB520_595
; %bb.593:
	v_cmp_eq_u16_e32 vcc_lo, 15, v9
	s_cbranch_vccz .LBB520_598
; %bb.594:
	global_load_u16 v2, v[0:1], off
	s_mov_b32 s0, -1
	s_mov_b32 s21, 0
	s_waitcnt vmcnt(0)
	v_lshlrev_b32_e32 v2, 16, v2
	s_branch .LBB520_599
.LBB520_595:
	s_mov_b32 s22, -1
                                        ; implicit-def: $vgpr2
	s_branch .LBB520_600
.LBB520_596:
	s_or_saveexec_b32 s23, s23
	v_mov_b32_e32 v2, s22
	s_xor_b32 exec_lo, exec_lo, s23
	s_cbranch_execz .LBB520_577
.LBB520_597:
	v_cmp_ne_u16_e32 vcc_lo, 0, v3
	v_mov_b32_e32 v2, 0
	s_and_not1_b32 s0, s0, exec_lo
	s_and_b32 s22, vcc_lo, exec_lo
	s_delay_alu instid0(SALU_CYCLE_1)
	s_or_b32 s0, s0, s22
	s_or_b32 exec_lo, exec_lo, s23
	s_and_saveexec_b32 s22, s0
	s_cbranch_execnz .LBB520_578
	s_branch .LBB520_579
.LBB520_598:
	s_mov_b32 s21, -1
                                        ; implicit-def: $vgpr2
.LBB520_599:
	s_mov_b32 s22, 0
.LBB520_600:
	s_delay_alu instid0(SALU_CYCLE_1)
	s_and_b32 vcc_lo, exec_lo, s22
	s_cbranch_vccz .LBB520_604
; %bb.601:
	v_cmp_eq_u16_e32 vcc_lo, 11, v9
	s_cbranch_vccz .LBB520_603
; %bb.602:
	global_load_u8 v2, v[0:1], off
	s_mov_b32 s21, 0
	s_mov_b32 s0, -1
	s_waitcnt vmcnt(0)
	v_cmp_ne_u16_e32 vcc_lo, 0, v2
	v_cndmask_b32_e64 v2, 0, 1.0, vcc_lo
	s_branch .LBB520_604
.LBB520_603:
	s_mov_b32 s21, -1
                                        ; implicit-def: $vgpr2
.LBB520_604:
	s_mov_b32 s22, 0
.LBB520_605:
	s_delay_alu instid0(SALU_CYCLE_1)
	s_and_b32 vcc_lo, exec_lo, s22
	s_cbranch_vccz .LBB520_654
; %bb.606:
	v_cmp_gt_i16_e32 vcc_lo, 5, v9
	s_cbranch_vccnz .LBB520_611
; %bb.607:
	v_cmp_gt_i16_e32 vcc_lo, 8, v9
	s_cbranch_vccnz .LBB520_612
	;; [unrolled: 3-line block ×3, first 2 shown]
; %bb.609:
	v_cmp_lt_i16_e32 vcc_lo, 9, v9
	s_cbranch_vccz .LBB520_614
; %bb.610:
	global_load_b64 v[2:3], v[0:1], off
	s_mov_b32 s0, 0
	s_waitcnt vmcnt(0)
	v_cvt_f32_f64_e32 v2, v[2:3]
	s_branch .LBB520_615
.LBB520_611:
	s_mov_b32 s0, -1
                                        ; implicit-def: $vgpr2
	s_branch .LBB520_633
.LBB520_612:
	s_mov_b32 s0, -1
                                        ; implicit-def: $vgpr2
	s_branch .LBB520_621
.LBB520_613:
	s_mov_b32 s0, -1
                                        ; implicit-def: $vgpr2
	s_branch .LBB520_618
.LBB520_614:
	s_mov_b32 s0, -1
                                        ; implicit-def: $vgpr2
.LBB520_615:
	s_delay_alu instid0(SALU_CYCLE_1)
	s_and_not1_b32 vcc_lo, exec_lo, s0
	s_cbranch_vccnz .LBB520_617
; %bb.616:
	global_load_b32 v2, v[0:1], off
.LBB520_617:
	s_mov_b32 s0, 0
.LBB520_618:
	s_delay_alu instid0(SALU_CYCLE_1)
	s_and_not1_b32 vcc_lo, exec_lo, s0
	s_cbranch_vccnz .LBB520_620
; %bb.619:
	global_load_b32 v2, v[0:1], off
	s_waitcnt vmcnt(0)
	v_cvt_f32_f16_e32 v2, v2
.LBB520_620:
	s_mov_b32 s0, 0
.LBB520_621:
	s_delay_alu instid0(SALU_CYCLE_1)
	s_and_not1_b32 vcc_lo, exec_lo, s0
	s_cbranch_vccnz .LBB520_632
; %bb.622:
	v_cmp_gt_i16_e32 vcc_lo, 6, v9
	s_cbranch_vccnz .LBB520_625
; %bb.623:
	v_cmp_lt_i16_e32 vcc_lo, 6, v9
	s_cbranch_vccz .LBB520_626
; %bb.624:
	global_load_b64 v[2:3], v[0:1], off
	s_mov_b32 s0, 0
	s_waitcnt vmcnt(0)
	v_cvt_f32_f64_e32 v2, v[2:3]
	s_branch .LBB520_627
.LBB520_625:
	s_mov_b32 s0, -1
                                        ; implicit-def: $vgpr2
	s_branch .LBB520_630
.LBB520_626:
	s_mov_b32 s0, -1
                                        ; implicit-def: $vgpr2
.LBB520_627:
	s_delay_alu instid0(SALU_CYCLE_1)
	s_and_not1_b32 vcc_lo, exec_lo, s0
	s_cbranch_vccnz .LBB520_629
; %bb.628:
	global_load_b32 v2, v[0:1], off
.LBB520_629:
	s_mov_b32 s0, 0
.LBB520_630:
	s_delay_alu instid0(SALU_CYCLE_1)
	s_and_not1_b32 vcc_lo, exec_lo, s0
	s_cbranch_vccnz .LBB520_632
; %bb.631:
	global_load_u16 v2, v[0:1], off
	s_waitcnt vmcnt(0)
	v_cvt_f32_f16_e32 v2, v2
.LBB520_632:
	s_mov_b32 s0, 0
.LBB520_633:
	s_delay_alu instid0(SALU_CYCLE_1)
	s_and_not1_b32 vcc_lo, exec_lo, s0
	s_cbranch_vccnz .LBB520_653
; %bb.634:
	v_cmp_gt_i16_e32 vcc_lo, 2, v9
	s_cbranch_vccnz .LBB520_638
; %bb.635:
	v_cmp_gt_i16_e32 vcc_lo, 3, v9
	s_cbranch_vccnz .LBB520_639
; %bb.636:
	v_cmp_lt_i16_e32 vcc_lo, 3, v9
	s_cbranch_vccz .LBB520_640
; %bb.637:
	global_load_b64 v[2:3], v[0:1], off
	s_mov_b32 s0, 0
	s_waitcnt vmcnt(0)
	v_xor_b32_e32 v4, v2, v3
	v_cls_i32_e32 v5, v3
	s_delay_alu instid0(VALU_DEP_2) | instskip(NEXT) | instid1(VALU_DEP_2)
	v_ashrrev_i32_e32 v4, 31, v4
	v_add_nc_u32_e32 v5, -1, v5
	s_delay_alu instid0(VALU_DEP_2) | instskip(NEXT) | instid1(VALU_DEP_1)
	v_add_nc_u32_e32 v4, 32, v4
	v_min_u32_e32 v4, v5, v4
	s_delay_alu instid0(VALU_DEP_1) | instskip(NEXT) | instid1(VALU_DEP_1)
	v_lshlrev_b64 v[2:3], v4, v[2:3]
	v_min_u32_e32 v2, 1, v2
	s_delay_alu instid0(VALU_DEP_1) | instskip(SKIP_1) | instid1(VALU_DEP_2)
	v_or_b32_e32 v2, v3, v2
	v_sub_nc_u32_e32 v3, 32, v4
	v_cvt_f32_i32_e32 v2, v2
	s_delay_alu instid0(VALU_DEP_1)
	v_ldexp_f32 v2, v2, v3
	s_branch .LBB520_641
.LBB520_638:
	s_mov_b32 s0, -1
                                        ; implicit-def: $vgpr2
	s_branch .LBB520_647
.LBB520_639:
	s_mov_b32 s0, -1
                                        ; implicit-def: $vgpr2
	s_branch .LBB520_644
.LBB520_640:
	s_mov_b32 s0, -1
                                        ; implicit-def: $vgpr2
.LBB520_641:
	s_delay_alu instid0(SALU_CYCLE_1)
	s_and_not1_b32 vcc_lo, exec_lo, s0
	s_cbranch_vccnz .LBB520_643
; %bb.642:
	global_load_b32 v2, v[0:1], off
	s_waitcnt vmcnt(0)
	v_cvt_f32_i32_e32 v2, v2
.LBB520_643:
	s_mov_b32 s0, 0
.LBB520_644:
	s_delay_alu instid0(SALU_CYCLE_1)
	s_and_not1_b32 vcc_lo, exec_lo, s0
	s_cbranch_vccnz .LBB520_646
; %bb.645:
	global_load_i16 v2, v[0:1], off
	s_waitcnt vmcnt(0)
	v_cvt_f32_i32_e32 v2, v2
.LBB520_646:
	s_mov_b32 s0, 0
.LBB520_647:
	s_delay_alu instid0(SALU_CYCLE_1)
	s_and_not1_b32 vcc_lo, exec_lo, s0
	s_cbranch_vccnz .LBB520_653
; %bb.648:
	v_cmp_lt_i16_e32 vcc_lo, 0, v9
	s_mov_b32 s0, 0
	s_cbranch_vccz .LBB520_650
; %bb.649:
	global_load_i8 v2, v[0:1], off
	s_waitcnt vmcnt(0)
	v_cvt_f32_i32_e32 v2, v2
	s_branch .LBB520_651
.LBB520_650:
	s_mov_b32 s0, -1
                                        ; implicit-def: $vgpr2
.LBB520_651:
	s_delay_alu instid0(SALU_CYCLE_1)
	s_and_not1_b32 vcc_lo, exec_lo, s0
	s_cbranch_vccnz .LBB520_653
; %bb.652:
	global_load_u8 v0, v[0:1], off
	s_waitcnt vmcnt(0)
	v_cvt_f32_ubyte0_e32 v2, v0
.LBB520_653:
	s_mov_b32 s0, -1
.LBB520_654:
	s_delay_alu instid0(SALU_CYCLE_1)
	s_and_not1_b32 vcc_lo, exec_lo, s0
	s_cbranch_vccnz .LBB520_666
; %bb.655:
	v_mov_b32_e32 v0, s10
	s_mov_b32 s0, exec_lo
	s_waitcnt vmcnt(0)
	s_delay_alu instid0(VALU_DEP_2)
	v_cmpx_o_f32_e32 v2, v2
	s_cbranch_execz .LBB520_659
; %bb.656:
	v_mov_b32_e32 v0, s11
	s_mov_b32 s22, exec_lo
	v_cmpx_neq_f32_e32 0x7f800000, v2
; %bb.657:
	v_cmp_eq_f32_e32 vcc_lo, 0xff800000, v2
	v_cndmask_b32_e64 v0, v2, s2, vcc_lo
; %bb.658:
	s_or_b32 exec_lo, exec_lo, s22
.LBB520_659:
	s_delay_alu instid0(SALU_CYCLE_1) | instskip(SKIP_2) | instid1(VALU_DEP_1)
	s_or_b32 exec_lo, exec_lo, s0
	v_mul_lo_u32 v1, v8, s8
	v_and_b32_e64 v4, 0xff, s3
	v_cmp_gt_i16_e32 vcc_lo, 11, v4
	s_delay_alu instid0(VALU_DEP_3) | instskip(SKIP_1) | instid1(VALU_DEP_1)
	v_ashrrev_i32_e32 v3, 31, v1
	v_add_co_u32 v2, s0, s4, v1
	v_add_co_ci_u32_e64 v3, s0, s5, v3, s0
	s_cbranch_vccnz .LBB520_667
; %bb.660:
	v_cmp_lt_i16_e32 vcc_lo, 25, v4
	s_cbranch_vccz .LBB520_668
; %bb.661:
	v_cmp_lt_i16_e32 vcc_lo, 28, v4
	s_cbranch_vccz .LBB520_669
	;; [unrolled: 3-line block ×4, first 2 shown]
; %bb.664:
	v_cmp_eq_u16_e32 vcc_lo, 46, v4
	s_mov_b32 s23, 0
	s_mov_b32 s0, -1
	s_mov_b32 s22, 0
	s_cbranch_vccz .LBB520_672
; %bb.665:
	v_bfe_u32 v1, v0, 16, 1
	v_cmp_o_f32_e32 vcc_lo, v0, v0
	s_mov_b32 s22, -1
	s_mov_b32 s0, 0
	s_delay_alu instid0(VALU_DEP_2) | instskip(NEXT) | instid1(VALU_DEP_1)
	v_add3_u32 v1, v0, v1, 0x7fff
	v_lshrrev_b32_e32 v1, 16, v1
	s_delay_alu instid0(VALU_DEP_1)
	v_cndmask_b32_e32 v1, 0x7fc0, v1, vcc_lo
	global_store_b32 v[2:3], v1, off
	s_branch .LBB520_672
.LBB520_666:
	s_mov_b32 s23, 0
	s_mov_b32 s0, s18
	s_branch .LBB520_783
.LBB520_667:
	s_mov_b32 s23, -1
	s_mov_b32 s22, 0
	s_mov_b32 s0, s18
	s_branch .LBB520_741
.LBB520_668:
	s_mov_b32 s23, -1
	s_mov_b32 s22, 0
	s_mov_b32 s0, s18
	s_branch .LBB520_699
.LBB520_669:
	s_mov_b32 s23, -1
	s_mov_b32 s22, 0
	s_mov_b32 s0, s18
	s_branch .LBB520_682
.LBB520_670:
	s_mov_b32 s23, -1
	s_mov_b32 s22, 0
	s_mov_b32 s0, s18
	s_branch .LBB520_678
.LBB520_671:
	s_mov_b32 s23, -1
	s_mov_b32 s22, 0
	s_mov_b32 s0, s18
.LBB520_672:
	s_and_b32 vcc_lo, exec_lo, s23
	s_cbranch_vccz .LBB520_677
; %bb.673:
	v_cmp_eq_u16_e32 vcc_lo, 44, v4
	s_mov_b32 s0, -1
	s_cbranch_vccz .LBB520_677
; %bb.674:
	v_bfe_u32 v5, v0, 23, 8
	v_mov_b32_e32 v1, 0xff
	s_mov_b32 s22, exec_lo
	s_delay_alu instid0(VALU_DEP_2)
	v_cmpx_ne_u32_e32 0xff, v5
; %bb.675:
	v_and_b32_e32 v1, 0x400000, v0
	v_and_or_b32 v5, 0x3fffff, v0, v5
	s_delay_alu instid0(VALU_DEP_2) | instskip(NEXT) | instid1(VALU_DEP_2)
	v_cmp_ne_u32_e32 vcc_lo, 0, v1
	v_cmp_ne_u32_e64 s0, 0, v5
	v_lshrrev_b32_e32 v1, 23, v0
	s_delay_alu instid0(VALU_DEP_2) | instskip(NEXT) | instid1(SALU_CYCLE_1)
	s_and_b32 s0, vcc_lo, s0
	v_cndmask_b32_e64 v5, 0, 1, s0
	s_delay_alu instid0(VALU_DEP_1)
	v_add_nc_u32_e32 v1, v1, v5
; %bb.676:
	s_or_b32 exec_lo, exec_lo, s22
	s_mov_b32 s22, -1
	s_mov_b32 s0, 0
	global_store_b8 v[2:3], v1, off
.LBB520_677:
	s_mov_b32 s23, 0
.LBB520_678:
	s_delay_alu instid0(SALU_CYCLE_1)
	s_and_b32 vcc_lo, exec_lo, s23
	s_cbranch_vccz .LBB520_681
; %bb.679:
	v_cmp_eq_u16_e32 vcc_lo, 29, v4
	s_mov_b32 s0, -1
	s_cbranch_vccz .LBB520_681
; %bb.680:
	v_trunc_f32_e32 v1, v0
	s_mov_b32 s22, -1
	s_mov_b32 s0, 0
	s_mov_b32 s23, 0
	s_delay_alu instid0(VALU_DEP_1) | instskip(NEXT) | instid1(VALU_DEP_1)
	v_mul_f32_e32 v5, 0x2f800000, v1
	v_floor_f32_e32 v5, v5
	s_delay_alu instid0(VALU_DEP_1) | instskip(SKIP_1) | instid1(VALU_DEP_2)
	v_fmamk_f32 v1, v5, 0xcf800000, v1
	v_cvt_u32_f32_e32 v6, v5
	v_cvt_u32_f32_e32 v5, v1
	global_store_b64 v[2:3], v[5:6], off
	s_branch .LBB520_682
.LBB520_681:
	s_mov_b32 s23, 0
.LBB520_682:
	s_delay_alu instid0(SALU_CYCLE_1)
	s_and_b32 vcc_lo, exec_lo, s23
	s_cbranch_vccz .LBB520_698
; %bb.683:
	v_cmp_gt_i16_e32 vcc_lo, 27, v4
	s_mov_b32 s22, -1
	s_cbranch_vccnz .LBB520_689
; %bb.684:
	v_cmp_lt_i16_e32 vcc_lo, 27, v4
	s_cbranch_vccz .LBB520_686
; %bb.685:
	v_cvt_u32_f32_e32 v1, v0
	s_mov_b32 s22, 0
	global_store_b32 v[2:3], v1, off
.LBB520_686:
	s_and_not1_b32 vcc_lo, exec_lo, s22
	s_cbranch_vccnz .LBB520_688
; %bb.687:
	v_cvt_u32_f32_e32 v1, v0
	global_store_b16 v[2:3], v1, off
.LBB520_688:
	s_mov_b32 s22, 0
.LBB520_689:
	s_delay_alu instid0(SALU_CYCLE_1)
	s_and_not1_b32 vcc_lo, exec_lo, s22
	s_cbranch_vccnz .LBB520_697
; %bb.690:
	v_and_b32_e32 v1, 0x7fffffff, v0
	v_mov_b32_e32 v5, 0x80
	s_mov_b32 s22, exec_lo
	s_delay_alu instid0(VALU_DEP_2)
	v_cmpx_gt_u32_e32 0x43800000, v1
	s_cbranch_execz .LBB520_696
; %bb.691:
	v_cmp_lt_u32_e32 vcc_lo, 0x3bffffff, v1
	s_mov_b32 s23, 0
                                        ; implicit-def: $vgpr1
	s_and_saveexec_b32 s24, vcc_lo
	s_delay_alu instid0(SALU_CYCLE_1)
	s_xor_b32 s24, exec_lo, s24
	s_cbranch_execz .LBB520_798
; %bb.692:
	v_bfe_u32 v1, v0, 20, 1
	s_mov_b32 s23, exec_lo
	s_delay_alu instid0(VALU_DEP_1) | instskip(NEXT) | instid1(VALU_DEP_1)
	v_add3_u32 v1, v0, v1, 0x487ffff
	v_lshrrev_b32_e32 v1, 20, v1
	s_or_saveexec_b32 s24, s24
                                        ; implicit-def: $sgpr25
	s_delay_alu instid0(SALU_CYCLE_1)
	s_xor_b32 exec_lo, exec_lo, s24
	s_cbranch_execnz .LBB520_799
.LBB520_693:
	s_or_b32 exec_lo, exec_lo, s24
	v_mov_b32_e32 v5, s25
	s_and_saveexec_b32 s24, s23
.LBB520_694:
	v_lshrrev_b32_e32 v5, 24, v0
	s_delay_alu instid0(VALU_DEP_1)
	v_and_or_b32 v5, 0x80, v5, v1
.LBB520_695:
	s_or_b32 exec_lo, exec_lo, s24
.LBB520_696:
	s_delay_alu instid0(SALU_CYCLE_1)
	s_or_b32 exec_lo, exec_lo, s22
	global_store_b8 v[2:3], v5, off
.LBB520_697:
	s_mov_b32 s22, -1
.LBB520_698:
	s_mov_b32 s23, 0
.LBB520_699:
	s_delay_alu instid0(SALU_CYCLE_1)
	s_and_b32 vcc_lo, exec_lo, s23
	s_cbranch_vccz .LBB520_740
; %bb.700:
	v_cmp_lt_i16_e32 vcc_lo, 22, v4
	s_mov_b32 s23, -1
	s_cbranch_vccz .LBB520_732
; %bb.701:
	v_cmp_gt_i16_e32 vcc_lo, 24, v4
	s_mov_b32 s22, -1
	s_cbranch_vccnz .LBB520_721
; %bb.702:
	v_cmp_lt_i16_e32 vcc_lo, 24, v4
	s_cbranch_vccz .LBB520_710
; %bb.703:
	v_and_b32_e32 v1, 0x7fffffff, v0
	v_mov_b32_e32 v5, 0x80
	s_mov_b32 s22, exec_lo
	s_delay_alu instid0(VALU_DEP_2)
	v_cmpx_gt_u32_e32 0x47800000, v1
	s_cbranch_execz .LBB520_709
; %bb.704:
	v_cmp_lt_u32_e32 vcc_lo, 0x37ffffff, v1
	s_mov_b32 s23, 0
                                        ; implicit-def: $vgpr1
	s_and_saveexec_b32 s24, vcc_lo
	s_delay_alu instid0(SALU_CYCLE_1)
	s_xor_b32 s24, exec_lo, s24
	s_cbranch_execz .LBB520_801
; %bb.705:
	v_bfe_u32 v1, v0, 21, 1
	s_mov_b32 s23, exec_lo
	s_delay_alu instid0(VALU_DEP_1) | instskip(NEXT) | instid1(VALU_DEP_1)
	v_add3_u32 v1, v0, v1, 0x88fffff
	v_lshrrev_b32_e32 v1, 21, v1
	s_or_saveexec_b32 s24, s24
                                        ; implicit-def: $sgpr25
	s_delay_alu instid0(SALU_CYCLE_1)
	s_xor_b32 exec_lo, exec_lo, s24
	s_cbranch_execnz .LBB520_802
.LBB520_706:
	s_or_b32 exec_lo, exec_lo, s24
	v_mov_b32_e32 v5, s25
	s_and_saveexec_b32 s24, s23
.LBB520_707:
	v_lshrrev_b32_e32 v5, 24, v0
	s_delay_alu instid0(VALU_DEP_1)
	v_and_or_b32 v5, 0x80, v5, v1
.LBB520_708:
	s_or_b32 exec_lo, exec_lo, s24
.LBB520_709:
	s_delay_alu instid0(SALU_CYCLE_1)
	s_or_b32 exec_lo, exec_lo, s22
	s_mov_b32 s22, 0
	global_store_b8 v[2:3], v5, off
.LBB520_710:
	s_and_b32 vcc_lo, exec_lo, s22
	s_cbranch_vccz .LBB520_720
; %bb.711:
	v_and_b32_e32 v5, 0x7fffffff, v0
	s_mov_b32 s22, exec_lo
                                        ; implicit-def: $vgpr1
	s_delay_alu instid0(VALU_DEP_1)
	v_cmpx_gt_u32_e32 0x43f00000, v5
	s_xor_b32 s22, exec_lo, s22
	s_cbranch_execz .LBB520_717
; %bb.712:
	s_mov_b32 s23, exec_lo
                                        ; implicit-def: $vgpr1
	v_cmpx_lt_u32_e32 0x3c7fffff, v5
	s_xor_b32 s23, exec_lo, s23
; %bb.713:
	v_bfe_u32 v1, v0, 20, 1
	s_delay_alu instid0(VALU_DEP_1) | instskip(NEXT) | instid1(VALU_DEP_1)
	v_add3_u32 v1, v0, v1, 0x407ffff
	v_and_b32_e32 v5, 0xff00000, v1
	v_lshrrev_b32_e32 v1, 20, v1
	s_delay_alu instid0(VALU_DEP_2) | instskip(NEXT) | instid1(VALU_DEP_2)
	v_cmp_ne_u32_e32 vcc_lo, 0x7f00000, v5
	v_cndmask_b32_e32 v1, 0x7e, v1, vcc_lo
; %bb.714:
	s_and_not1_saveexec_b32 s23, s23
; %bb.715:
	v_add_f32_e64 v1, 0x46800000, |v0|
; %bb.716:
	s_or_b32 exec_lo, exec_lo, s23
                                        ; implicit-def: $vgpr5
.LBB520_717:
	s_and_not1_saveexec_b32 s22, s22
; %bb.718:
	v_mov_b32_e32 v1, 0x7f
	v_cmp_lt_u32_e32 vcc_lo, 0x7f800000, v5
	s_delay_alu instid0(VALU_DEP_2)
	v_cndmask_b32_e32 v1, 0x7e, v1, vcc_lo
; %bb.719:
	s_or_b32 exec_lo, exec_lo, s22
	v_lshrrev_b32_e32 v5, 24, v0
	s_delay_alu instid0(VALU_DEP_1)
	v_and_or_b32 v1, 0x80, v5, v1
	global_store_b8 v[2:3], v1, off
.LBB520_720:
	s_mov_b32 s22, 0
.LBB520_721:
	s_delay_alu instid0(SALU_CYCLE_1)
	s_and_not1_b32 vcc_lo, exec_lo, s22
	s_cbranch_vccnz .LBB520_731
; %bb.722:
	v_and_b32_e32 v5, 0x7fffffff, v0
	s_mov_b32 s22, exec_lo
                                        ; implicit-def: $vgpr1
	s_delay_alu instid0(VALU_DEP_1)
	v_cmpx_gt_u32_e32 0x47800000, v5
	s_xor_b32 s22, exec_lo, s22
	s_cbranch_execz .LBB520_728
; %bb.723:
	s_mov_b32 s23, exec_lo
                                        ; implicit-def: $vgpr1
	v_cmpx_lt_u32_e32 0x387fffff, v5
	s_xor_b32 s23, exec_lo, s23
; %bb.724:
	v_bfe_u32 v1, v0, 21, 1
	s_delay_alu instid0(VALU_DEP_1) | instskip(NEXT) | instid1(VALU_DEP_1)
	v_add3_u32 v1, v0, v1, 0x80fffff
	v_lshrrev_b32_e32 v1, 21, v1
; %bb.725:
	s_and_not1_saveexec_b32 s23, s23
; %bb.726:
	v_add_f32_e64 v1, 0x43000000, |v0|
; %bb.727:
	s_or_b32 exec_lo, exec_lo, s23
                                        ; implicit-def: $vgpr5
.LBB520_728:
	s_and_not1_saveexec_b32 s22, s22
; %bb.729:
	v_mov_b32_e32 v1, 0x7f
	v_cmp_lt_u32_e32 vcc_lo, 0x7f800000, v5
	s_delay_alu instid0(VALU_DEP_2)
	v_cndmask_b32_e32 v1, 0x7c, v1, vcc_lo
; %bb.730:
	s_or_b32 exec_lo, exec_lo, s22
	v_lshrrev_b32_e32 v5, 24, v0
	s_delay_alu instid0(VALU_DEP_1)
	v_and_or_b32 v1, 0x80, v5, v1
	global_store_b8 v[2:3], v1, off
.LBB520_731:
	s_mov_b32 s23, 0
	s_mov_b32 s22, -1
.LBB520_732:
	s_and_not1_b32 vcc_lo, exec_lo, s23
	s_cbranch_vccnz .LBB520_740
; %bb.733:
	v_cmp_lt_i16_e32 vcc_lo, 14, v4
	s_mov_b32 s23, -1
	s_cbranch_vccz .LBB520_737
; %bb.734:
	v_cmp_eq_u16_e32 vcc_lo, 15, v4
	s_mov_b32 s0, -1
	s_cbranch_vccz .LBB520_736
; %bb.735:
	v_bfe_u32 v1, v0, 16, 1
	v_cmp_o_f32_e32 vcc_lo, v0, v0
	s_mov_b32 s22, -1
	s_mov_b32 s0, 0
	s_delay_alu instid0(VALU_DEP_2) | instskip(NEXT) | instid1(VALU_DEP_1)
	v_add3_u32 v1, v0, v1, 0x7fff
	v_lshrrev_b32_e32 v1, 16, v1
	s_delay_alu instid0(VALU_DEP_1)
	v_cndmask_b32_e32 v1, 0x7fc0, v1, vcc_lo
	global_store_b16 v[2:3], v1, off
.LBB520_736:
	s_mov_b32 s23, 0
.LBB520_737:
	s_delay_alu instid0(SALU_CYCLE_1)
	s_and_b32 vcc_lo, exec_lo, s23
	s_cbranch_vccz .LBB520_740
; %bb.738:
	v_cmp_eq_u16_e32 vcc_lo, 11, v4
	s_mov_b32 s0, -1
	s_cbranch_vccz .LBB520_740
; %bb.739:
	v_cmp_neq_f32_e32 vcc_lo, 0, v0
	s_mov_b32 s0, 0
	s_mov_b32 s22, -1
	v_cndmask_b32_e64 v1, 0, 1, vcc_lo
	global_store_b8 v[2:3], v1, off
.LBB520_740:
	s_mov_b32 s23, 0
.LBB520_741:
	s_delay_alu instid0(SALU_CYCLE_1)
	s_and_b32 vcc_lo, exec_lo, s23
	s_cbranch_vccz .LBB520_780
; %bb.742:
	v_cmp_gt_i16_e32 vcc_lo, 5, v4
	s_mov_b32 s22, -1
	s_cbranch_vccnz .LBB520_763
; %bb.743:
	v_cmp_gt_i16_e32 vcc_lo, 8, v4
	s_cbranch_vccnz .LBB520_753
; %bb.744:
	v_cmp_gt_i16_e32 vcc_lo, 9, v4
	s_cbranch_vccnz .LBB520_750
; %bb.745:
	v_cmp_lt_i16_e32 vcc_lo, 9, v4
	s_cbranch_vccz .LBB520_747
; %bb.746:
	v_cvt_f64_f32_e32 v[10:11], v0
	v_mov_b32_e32 v12, 0
	s_mov_b32 s22, 0
	s_delay_alu instid0(VALU_DEP_1)
	v_mov_b32_e32 v13, v12
	global_store_b128 v[2:3], v[10:13], off
.LBB520_747:
	s_and_not1_b32 vcc_lo, exec_lo, s22
	s_cbranch_vccnz .LBB520_749
; %bb.748:
	v_mov_b32_e32 v1, 0
	global_store_b64 v[2:3], v[0:1], off
.LBB520_749:
	s_mov_b32 s22, 0
.LBB520_750:
	s_delay_alu instid0(SALU_CYCLE_1)
	s_and_not1_b32 vcc_lo, exec_lo, s22
	s_cbranch_vccnz .LBB520_752
; %bb.751:
	v_cvt_f16_f32_e32 v1, v0
	s_delay_alu instid0(VALU_DEP_1)
	v_and_b32_e32 v1, 0xffff, v1
	global_store_b32 v[2:3], v1, off
.LBB520_752:
	s_mov_b32 s22, 0
.LBB520_753:
	s_delay_alu instid0(SALU_CYCLE_1)
	s_and_not1_b32 vcc_lo, exec_lo, s22
	s_cbranch_vccnz .LBB520_762
; %bb.754:
	v_cmp_gt_i16_e32 vcc_lo, 6, v4
	s_mov_b32 s22, -1
	s_cbranch_vccnz .LBB520_760
; %bb.755:
	v_cmp_lt_i16_e32 vcc_lo, 6, v4
	s_cbranch_vccz .LBB520_757
; %bb.756:
	v_cvt_f64_f32_e32 v[5:6], v0
	s_mov_b32 s22, 0
	global_store_b64 v[2:3], v[5:6], off
.LBB520_757:
	s_and_not1_b32 vcc_lo, exec_lo, s22
	s_cbranch_vccnz .LBB520_759
; %bb.758:
	global_store_b32 v[2:3], v0, off
.LBB520_759:
	s_mov_b32 s22, 0
.LBB520_760:
	s_delay_alu instid0(SALU_CYCLE_1)
	s_and_not1_b32 vcc_lo, exec_lo, s22
	s_cbranch_vccnz .LBB520_762
; %bb.761:
	v_cvt_f16_f32_e32 v1, v0
	global_store_b16 v[2:3], v1, off
.LBB520_762:
	s_mov_b32 s22, 0
.LBB520_763:
	s_delay_alu instid0(SALU_CYCLE_1)
	s_and_not1_b32 vcc_lo, exec_lo, s22
	s_cbranch_vccnz .LBB520_779
; %bb.764:
	v_cmp_gt_i16_e32 vcc_lo, 2, v4
	s_mov_b32 s22, -1
	s_cbranch_vccnz .LBB520_774
; %bb.765:
	v_cmp_gt_i16_e32 vcc_lo, 3, v4
	s_cbranch_vccnz .LBB520_771
; %bb.766:
	v_cmp_lt_i16_e32 vcc_lo, 3, v4
	s_cbranch_vccz .LBB520_768
; %bb.767:
	v_trunc_f32_e32 v1, v0
	s_mov_b32 s22, 0
	s_delay_alu instid0(VALU_DEP_1) | instskip(NEXT) | instid1(VALU_DEP_1)
	v_mul_f32_e64 v5, 0x2f800000, |v1|
	v_floor_f32_e32 v5, v5
	s_delay_alu instid0(VALU_DEP_1) | instskip(SKIP_2) | instid1(VALU_DEP_3)
	v_fma_f32 v6, 0xcf800000, v5, |v1|
	v_ashrrev_i32_e32 v1, 31, v1
	v_cvt_u32_f32_e32 v5, v5
	v_cvt_u32_f32_e32 v6, v6
	s_delay_alu instid0(VALU_DEP_2) | instskip(NEXT) | instid1(VALU_DEP_2)
	v_xor_b32_e32 v7, v5, v1
	v_xor_b32_e32 v6, v6, v1
	s_delay_alu instid0(VALU_DEP_1) | instskip(NEXT) | instid1(VALU_DEP_3)
	v_sub_co_u32 v5, vcc_lo, v6, v1
	v_sub_co_ci_u32_e32 v6, vcc_lo, v7, v1, vcc_lo
	global_store_b64 v[2:3], v[5:6], off
.LBB520_768:
	s_and_not1_b32 vcc_lo, exec_lo, s22
	s_cbranch_vccnz .LBB520_770
; %bb.769:
	v_cvt_i32_f32_e32 v1, v0
	global_store_b32 v[2:3], v1, off
.LBB520_770:
	s_mov_b32 s22, 0
.LBB520_771:
	s_delay_alu instid0(SALU_CYCLE_1)
	s_and_not1_b32 vcc_lo, exec_lo, s22
	s_cbranch_vccnz .LBB520_773
; %bb.772:
	v_cvt_i32_f32_e32 v1, v0
	global_store_b16 v[2:3], v1, off
.LBB520_773:
	s_mov_b32 s22, 0
.LBB520_774:
	s_delay_alu instid0(SALU_CYCLE_1)
	s_and_not1_b32 vcc_lo, exec_lo, s22
	s_cbranch_vccnz .LBB520_779
; %bb.775:
	v_cmp_lt_i16_e32 vcc_lo, 0, v4
	s_mov_b32 s22, -1
	s_cbranch_vccz .LBB520_777
; %bb.776:
	v_cvt_i32_f32_e32 v1, v0
	s_mov_b32 s22, 0
	global_store_b8 v[2:3], v1, off
.LBB520_777:
	s_and_not1_b32 vcc_lo, exec_lo, s22
	s_cbranch_vccnz .LBB520_779
; %bb.778:
	v_trunc_f32_e32 v0, v0
	s_delay_alu instid0(VALU_DEP_1) | instskip(NEXT) | instid1(VALU_DEP_1)
	v_mul_f32_e64 v1, 0x2f800000, |v0|
	v_floor_f32_e32 v1, v1
	s_delay_alu instid0(VALU_DEP_1) | instskip(SKIP_1) | instid1(VALU_DEP_2)
	v_fma_f32 v1, 0xcf800000, v1, |v0|
	v_ashrrev_i32_e32 v0, 31, v0
	v_cvt_u32_f32_e32 v1, v1
	s_delay_alu instid0(VALU_DEP_1) | instskip(NEXT) | instid1(VALU_DEP_1)
	v_xor_b32_e32 v1, v1, v0
	v_sub_nc_u32_e32 v0, v1, v0
	global_store_b8 v[2:3], v0, off
.LBB520_779:
	s_mov_b32 s22, -1
.LBB520_780:
	s_delay_alu instid0(SALU_CYCLE_1)
	s_and_not1_b32 vcc_lo, exec_lo, s22
	s_cbranch_vccnz .LBB520_782
; %bb.781:
	v_add_nc_u32_e32 v8, 0x80, v8
	s_mov_b32 s23, -1
	s_branch .LBB520_784
.LBB520_782:
	s_mov_b32 s23, 0
.LBB520_783:
                                        ; implicit-def: $vgpr8
.LBB520_784:
	s_and_not1_b32 s22, s18, exec_lo
	s_and_b32 s0, s0, exec_lo
	s_and_not1_b32 s24, s17, exec_lo
	s_and_b32 s21, s21, exec_lo
	s_or_b32 s22, s22, s0
	s_or_b32 s21, s24, s21
	s_or_not1_b32 s0, s23, exec_lo
.LBB520_785:
	s_or_b32 exec_lo, exec_lo, s20
	s_mov_b32 s23, 0
	s_mov_b32 s24, 0
	;; [unrolled: 1-line block ×3, first 2 shown]
                                        ; implicit-def: $vgpr0_vgpr1
                                        ; implicit-def: $vgpr5
	s_and_saveexec_b32 s20, s0
	s_cbranch_execz .LBB520_870
; %bb.786:
	v_cmp_gt_i32_e32 vcc_lo, s14, v8
	s_mov_b32 s0, 0
	s_mov_b32 s23, s21
                                        ; implicit-def: $vgpr0_vgpr1
                                        ; implicit-def: $vgpr5
	s_and_saveexec_b32 s14, vcc_lo
	s_cbranch_execz .LBB520_869
; %bb.787:
	v_mul_lo_u32 v0, v8, s9
	v_cmp_gt_i16_e32 vcc_lo, 11, v9
	s_delay_alu instid0(VALU_DEP_2) | instskip(SKIP_1) | instid1(VALU_DEP_1)
	v_ashrrev_i32_e32 v1, 31, v0
	v_add_co_u32 v0, s0, s6, v0
	v_add_co_ci_u32_e64 v1, s0, s7, v1, s0
	s_cbranch_vccnz .LBB520_794
; %bb.788:
	v_cmp_lt_i16_e32 vcc_lo, 25, v9
	s_mov_b32 s23, 0
	s_cbranch_vccz .LBB520_795
; %bb.789:
	v_cmp_lt_i16_e32 vcc_lo, 28, v9
	s_cbranch_vccz .LBB520_796
; %bb.790:
	v_cmp_lt_i16_e32 vcc_lo, 43, v9
	;; [unrolled: 3-line block ×3, first 2 shown]
	s_cbranch_vccz .LBB520_800
; %bb.792:
	v_cmp_eq_u16_e32 vcc_lo, 46, v9
	s_cbranch_vccz .LBB520_803
; %bb.793:
	global_load_b32 v2, v[0:1], off
	s_mov_b32 s0, 0
	s_mov_b32 s24, -1
	s_waitcnt vmcnt(0)
	v_lshlrev_b32_e32 v5, 16, v2
	s_branch .LBB520_805
.LBB520_794:
	s_mov_b32 s26, -1
	s_mov_b32 s23, 0
	s_mov_b32 s0, s21
                                        ; implicit-def: $vgpr5
	s_branch .LBB520_868
.LBB520_795:
	s_mov_b32 s25, -1
	s_mov_b32 s0, s21
                                        ; implicit-def: $vgpr5
	s_branch .LBB520_834
.LBB520_796:
	s_mov_b32 s25, -1
	s_mov_b32 s0, s21
                                        ; implicit-def: $vgpr5
	s_branch .LBB520_815
.LBB520_797:
	s_mov_b32 s25, -1
	s_mov_b32 s0, s21
                                        ; implicit-def: $vgpr5
	s_branch .LBB520_810
.LBB520_798:
	s_or_saveexec_b32 s24, s24
                                        ; implicit-def: $sgpr25
	s_delay_alu instid0(SALU_CYCLE_1)
	s_xor_b32 exec_lo, exec_lo, s24
	s_cbranch_execz .LBB520_693
.LBB520_799:
	v_add_f32_e64 v1, 0x46000000, |v0|
	s_and_not1_b32 s23, s23, exec_lo
	s_mov_b32 s25, 0
	s_delay_alu instid0(VALU_DEP_1) | instskip(NEXT) | instid1(VALU_DEP_1)
	v_and_b32_e32 v1, 0xff, v1
	v_cmp_ne_u32_e32 vcc_lo, 0, v1
	s_and_b32 s26, vcc_lo, exec_lo
	s_delay_alu instid0(SALU_CYCLE_1)
	s_or_b32 s23, s23, s26
	s_or_b32 exec_lo, exec_lo, s24
	v_mov_b32_e32 v5, s25
	s_and_saveexec_b32 s24, s23
	s_cbranch_execnz .LBB520_694
	s_branch .LBB520_695
.LBB520_800:
	s_mov_b32 s25, -1
	s_mov_b32 s0, s21
	s_branch .LBB520_804
.LBB520_801:
	s_or_saveexec_b32 s24, s24
                                        ; implicit-def: $sgpr25
	s_delay_alu instid0(SALU_CYCLE_1)
	s_xor_b32 exec_lo, exec_lo, s24
	s_cbranch_execz .LBB520_706
.LBB520_802:
	v_add_f32_e64 v1, 0x42800000, |v0|
	s_and_not1_b32 s23, s23, exec_lo
	s_mov_b32 s25, 0
	s_delay_alu instid0(VALU_DEP_1) | instskip(NEXT) | instid1(VALU_DEP_1)
	v_and_b32_e32 v1, 0xff, v1
	v_cmp_ne_u32_e32 vcc_lo, 0, v1
	s_and_b32 s26, vcc_lo, exec_lo
	s_delay_alu instid0(SALU_CYCLE_1)
	s_or_b32 s23, s23, s26
	s_or_b32 exec_lo, exec_lo, s24
	v_mov_b32_e32 v5, s25
	s_and_saveexec_b32 s24, s23
	s_cbranch_execnz .LBB520_707
	s_branch .LBB520_708
.LBB520_803:
	s_mov_b32 s0, -1
.LBB520_804:
                                        ; implicit-def: $vgpr5
.LBB520_805:
	s_and_b32 vcc_lo, exec_lo, s25
	s_cbranch_vccz .LBB520_809
; %bb.806:
	v_cmp_eq_u16_e32 vcc_lo, 44, v9
	s_cbranch_vccz .LBB520_808
; %bb.807:
	global_load_u8 v2, v[0:1], off
	s_mov_b32 s0, 0
	s_mov_b32 s24, -1
	s_waitcnt vmcnt(0)
	v_lshlrev_b32_e32 v3, 23, v2
	v_cmp_ne_u32_e32 vcc_lo, 0xff, v2
	s_delay_alu instid0(VALU_DEP_2) | instskip(SKIP_1) | instid1(VALU_DEP_2)
	v_cndmask_b32_e32 v3, 0x7f800001, v3, vcc_lo
	v_cmp_ne_u32_e32 vcc_lo, 0, v2
	v_cndmask_b32_e32 v5, 0x400000, v3, vcc_lo
	s_branch .LBB520_809
.LBB520_808:
	s_mov_b32 s0, -1
                                        ; implicit-def: $vgpr5
.LBB520_809:
	s_mov_b32 s25, 0
.LBB520_810:
	s_delay_alu instid0(SALU_CYCLE_1)
	s_and_b32 vcc_lo, exec_lo, s25
	s_cbranch_vccz .LBB520_814
; %bb.811:
	v_cmp_eq_u16_e32 vcc_lo, 29, v9
	s_cbranch_vccz .LBB520_813
; %bb.812:
	global_load_b64 v[2:3], v[0:1], off
	s_mov_b32 s0, 0
	s_mov_b32 s24, -1
	s_mov_b32 s25, 0
	s_waitcnt vmcnt(0)
	v_clz_i32_u32_e32 v4, v3
	s_delay_alu instid0(VALU_DEP_1) | instskip(NEXT) | instid1(VALU_DEP_1)
	v_min_u32_e32 v4, 32, v4
	v_lshlrev_b64 v[2:3], v4, v[2:3]
	s_delay_alu instid0(VALU_DEP_1) | instskip(NEXT) | instid1(VALU_DEP_1)
	v_min_u32_e32 v2, 1, v2
	v_or_b32_e32 v2, v3, v2
	v_sub_nc_u32_e32 v3, 32, v4
	s_delay_alu instid0(VALU_DEP_2) | instskip(NEXT) | instid1(VALU_DEP_1)
	v_cvt_f32_u32_e32 v2, v2
	v_ldexp_f32 v5, v2, v3
	s_branch .LBB520_815
.LBB520_813:
	s_mov_b32 s0, -1
                                        ; implicit-def: $vgpr5
.LBB520_814:
	s_mov_b32 s25, 0
.LBB520_815:
	s_delay_alu instid0(SALU_CYCLE_1)
	s_and_b32 vcc_lo, exec_lo, s25
	s_cbranch_vccz .LBB520_833
; %bb.816:
	v_cmp_gt_i16_e32 vcc_lo, 27, v9
	s_cbranch_vccnz .LBB520_819
; %bb.817:
	v_cmp_lt_i16_e32 vcc_lo, 27, v9
	s_cbranch_vccz .LBB520_820
; %bb.818:
	global_load_b32 v2, v[0:1], off
	s_mov_b32 s24, 0
	s_waitcnt vmcnt(0)
	v_cvt_f32_u32_e32 v5, v2
	s_branch .LBB520_821
.LBB520_819:
	s_mov_b32 s24, -1
                                        ; implicit-def: $vgpr5
	s_branch .LBB520_824
.LBB520_820:
	s_mov_b32 s24, -1
                                        ; implicit-def: $vgpr5
.LBB520_821:
	s_delay_alu instid0(SALU_CYCLE_1)
	s_and_not1_b32 vcc_lo, exec_lo, s24
	s_cbranch_vccnz .LBB520_823
; %bb.822:
	global_load_u16 v2, v[0:1], off
	s_waitcnt vmcnt(0)
	v_cvt_f32_u32_e32 v5, v2
.LBB520_823:
	s_mov_b32 s24, 0
.LBB520_824:
	s_delay_alu instid0(SALU_CYCLE_1)
	s_and_not1_b32 vcc_lo, exec_lo, s24
	s_cbranch_vccnz .LBB520_832
; %bb.825:
	global_load_u8 v2, v[0:1], off
	s_mov_b32 s24, 0
	s_mov_b32 s26, exec_lo
                                        ; implicit-def: $sgpr25
	s_waitcnt vmcnt(0)
	v_cmpx_lt_i16_e32 0x7f, v2
	s_xor_b32 s26, exec_lo, s26
	s_cbranch_execz .LBB520_846
; %bb.826:
	s_mov_b32 s24, -1
	s_mov_b32 s27, exec_lo
                                        ; implicit-def: $sgpr25
	v_cmpx_eq_u16_e32 0x80, v2
; %bb.827:
	s_mov_b32 s25, 0x7f800001
	s_xor_b32 s24, exec_lo, -1
; %bb.828:
	s_or_b32 exec_lo, exec_lo, s27
	s_delay_alu instid0(SALU_CYCLE_1)
	s_and_b32 s24, s24, exec_lo
	s_or_saveexec_b32 s26, s26
	v_mov_b32_e32 v5, s25
	s_xor_b32 exec_lo, exec_lo, s26
	s_cbranch_execnz .LBB520_847
.LBB520_829:
	s_or_b32 exec_lo, exec_lo, s26
	s_and_saveexec_b32 s25, s24
	s_cbranch_execz .LBB520_831
.LBB520_830:
	v_and_b32_e32 v3, 0xffff, v2
	v_lshlrev_b32_e32 v2, 24, v2
	s_delay_alu instid0(VALU_DEP_2) | instskip(NEXT) | instid1(VALU_DEP_2)
	v_and_b32_e32 v4, 7, v3
	v_and_b32_e32 v2, 0x80000000, v2
	s_delay_alu instid0(VALU_DEP_2) | instskip(NEXT) | instid1(VALU_DEP_1)
	v_clz_i32_u32_e32 v5, v4
	v_min_u32_e32 v5, 32, v5
	s_delay_alu instid0(VALU_DEP_1) | instskip(SKIP_1) | instid1(VALU_DEP_2)
	v_subrev_nc_u32_e32 v6, 28, v5
	v_sub_nc_u32_e32 v5, 29, v5
	v_lshlrev_b32_e32 v6, v6, v3
	v_bfe_u32 v3, v3, 3, 4
	s_delay_alu instid0(VALU_DEP_2) | instskip(NEXT) | instid1(VALU_DEP_2)
	v_and_b32_e32 v6, 7, v6
	v_cmp_eq_u32_e32 vcc_lo, 0, v3
	s_delay_alu instid0(VALU_DEP_2) | instskip(NEXT) | instid1(VALU_DEP_1)
	v_dual_cndmask_b32 v3, v3, v5 :: v_dual_cndmask_b32 v4, v4, v6
	v_lshl_add_u32 v3, v3, 23, 0x3b800000
	s_delay_alu instid0(VALU_DEP_2) | instskip(NEXT) | instid1(VALU_DEP_1)
	v_lshlrev_b32_e32 v4, 20, v4
	v_or3_b32 v5, v2, v3, v4
.LBB520_831:
	s_or_b32 exec_lo, exec_lo, s25
.LBB520_832:
	s_mov_b32 s24, -1
.LBB520_833:
	s_mov_b32 s25, 0
.LBB520_834:
	s_delay_alu instid0(SALU_CYCLE_1)
	s_and_b32 vcc_lo, exec_lo, s25
	s_cbranch_vccz .LBB520_867
; %bb.835:
	v_cmp_lt_i16_e32 vcc_lo, 22, v9
	s_cbranch_vccz .LBB520_845
; %bb.836:
	v_cmp_gt_i16_e32 vcc_lo, 24, v9
	s_cbranch_vccnz .LBB520_848
; %bb.837:
	v_cmp_lt_i16_e32 vcc_lo, 24, v9
	s_cbranch_vccz .LBB520_849
; %bb.838:
	global_load_u8 v2, v[0:1], off
	s_mov_b32 s25, exec_lo
                                        ; implicit-def: $sgpr24
	s_waitcnt vmcnt(0)
	v_cmpx_lt_i16_e32 0x7f, v2
	s_xor_b32 s25, exec_lo, s25
	s_cbranch_execz .LBB520_861
; %bb.839:
	s_mov_b32 s23, -1
	s_mov_b32 s26, exec_lo
                                        ; implicit-def: $sgpr24
	v_cmpx_eq_u16_e32 0x80, v2
; %bb.840:
	s_mov_b32 s24, 0x7f800001
	s_xor_b32 s23, exec_lo, -1
; %bb.841:
	s_or_b32 exec_lo, exec_lo, s26
	s_delay_alu instid0(SALU_CYCLE_1)
	s_and_b32 s23, s23, exec_lo
	s_or_saveexec_b32 s25, s25
	v_mov_b32_e32 v5, s24
	s_xor_b32 exec_lo, exec_lo, s25
	s_cbranch_execnz .LBB520_862
.LBB520_842:
	s_or_b32 exec_lo, exec_lo, s25
	s_and_saveexec_b32 s24, s23
	s_cbranch_execz .LBB520_844
.LBB520_843:
	v_and_b32_e32 v3, 0xffff, v2
	v_lshlrev_b32_e32 v2, 24, v2
	s_delay_alu instid0(VALU_DEP_2) | instskip(NEXT) | instid1(VALU_DEP_2)
	v_and_b32_e32 v4, 3, v3
	v_and_b32_e32 v2, 0x80000000, v2
	s_delay_alu instid0(VALU_DEP_2) | instskip(NEXT) | instid1(VALU_DEP_1)
	v_clz_i32_u32_e32 v5, v4
	v_min_u32_e32 v5, 32, v5
	s_delay_alu instid0(VALU_DEP_1) | instskip(SKIP_1) | instid1(VALU_DEP_2)
	v_subrev_nc_u32_e32 v6, 29, v5
	v_sub_nc_u32_e32 v5, 30, v5
	v_lshlrev_b32_e32 v6, v6, v3
	v_bfe_u32 v3, v3, 2, 5
	s_delay_alu instid0(VALU_DEP_2) | instskip(NEXT) | instid1(VALU_DEP_2)
	v_and_b32_e32 v6, 3, v6
	v_cmp_eq_u32_e32 vcc_lo, 0, v3
	s_delay_alu instid0(VALU_DEP_2) | instskip(NEXT) | instid1(VALU_DEP_1)
	v_dual_cndmask_b32 v3, v3, v5 :: v_dual_cndmask_b32 v4, v4, v6
	v_lshl_add_u32 v3, v3, 23, 0x37800000
	s_delay_alu instid0(VALU_DEP_2) | instskip(NEXT) | instid1(VALU_DEP_1)
	v_lshlrev_b32_e32 v4, 21, v4
	v_or3_b32 v5, v2, v3, v4
.LBB520_844:
	s_or_b32 exec_lo, exec_lo, s24
	s_mov_b32 s23, 0
	s_branch .LBB520_850
.LBB520_845:
	s_mov_b32 s23, -1
                                        ; implicit-def: $vgpr5
	s_branch .LBB520_856
.LBB520_846:
	s_or_saveexec_b32 s26, s26
	v_mov_b32_e32 v5, s25
	s_xor_b32 exec_lo, exec_lo, s26
	s_cbranch_execz .LBB520_829
.LBB520_847:
	v_cmp_ne_u16_e32 vcc_lo, 0, v2
	v_mov_b32_e32 v5, 0
	s_and_not1_b32 s24, s24, exec_lo
	s_and_b32 s25, vcc_lo, exec_lo
	s_delay_alu instid0(SALU_CYCLE_1)
	s_or_b32 s24, s24, s25
	s_or_b32 exec_lo, exec_lo, s26
	s_and_saveexec_b32 s25, s24
	s_cbranch_execnz .LBB520_830
	s_branch .LBB520_831
.LBB520_848:
	s_mov_b32 s23, -1
                                        ; implicit-def: $vgpr5
	s_branch .LBB520_853
.LBB520_849:
	s_mov_b32 s23, -1
                                        ; implicit-def: $vgpr5
.LBB520_850:
	s_delay_alu instid0(SALU_CYCLE_1)
	s_and_b32 vcc_lo, exec_lo, s23
	s_cbranch_vccz .LBB520_852
; %bb.851:
	global_load_u8 v2, v[0:1], off
	s_waitcnt vmcnt(0)
	v_lshlrev_b32_e32 v2, 24, v2
	s_delay_alu instid0(VALU_DEP_1) | instskip(NEXT) | instid1(VALU_DEP_1)
	v_and_b32_e32 v3, 0x7f000000, v2
	v_clz_i32_u32_e32 v4, v3
	v_add_nc_u32_e32 v6, 0x1000000, v3
	v_cmp_ne_u32_e32 vcc_lo, 0, v3
	s_delay_alu instid0(VALU_DEP_3) | instskip(NEXT) | instid1(VALU_DEP_1)
	v_min_u32_e32 v4, 32, v4
	v_sub_nc_u32_e64 v4, v4, 4 clamp
	s_delay_alu instid0(VALU_DEP_1) | instskip(SKIP_1) | instid1(VALU_DEP_2)
	v_lshlrev_b32_e32 v5, v4, v3
	v_lshlrev_b32_e32 v4, 23, v4
	v_lshrrev_b32_e32 v5, 4, v5
	s_delay_alu instid0(VALU_DEP_1) | instskip(SKIP_1) | instid1(VALU_DEP_2)
	v_sub_nc_u32_e32 v4, v5, v4
	v_ashrrev_i32_e32 v5, 8, v6
	v_add_nc_u32_e32 v4, 0x3c000000, v4
	s_delay_alu instid0(VALU_DEP_1) | instskip(NEXT) | instid1(VALU_DEP_1)
	v_and_or_b32 v4, 0x7f800000, v5, v4
	v_cndmask_b32_e32 v3, 0, v4, vcc_lo
	s_delay_alu instid0(VALU_DEP_1)
	v_and_or_b32 v5, 0x80000000, v2, v3
.LBB520_852:
	s_mov_b32 s23, 0
.LBB520_853:
	s_delay_alu instid0(SALU_CYCLE_1)
	s_and_not1_b32 vcc_lo, exec_lo, s23
	s_cbranch_vccnz .LBB520_855
; %bb.854:
	global_load_u8 v2, v[0:1], off
	s_waitcnt vmcnt(0)
	v_lshlrev_b32_e32 v3, 25, v2
	v_lshlrev_b16 v2, 8, v2
	s_delay_alu instid0(VALU_DEP_2) | instskip(NEXT) | instid1(VALU_DEP_2)
	v_lshrrev_b32_e32 v4, 4, v3
	v_and_or_b32 v5, 0x7f00, v2, 0.5
	v_bfe_i32 v2, v2, 0, 16
	s_delay_alu instid0(VALU_DEP_3) | instskip(NEXT) | instid1(VALU_DEP_1)
	v_or_b32_e32 v4, 0x70000000, v4
	v_dual_add_f32 v5, -0.5, v5 :: v_dual_mul_f32 v4, 0x7800000, v4
	v_cmp_gt_u32_e32 vcc_lo, 0x8000000, v3
	s_delay_alu instid0(VALU_DEP_2) | instskip(NEXT) | instid1(VALU_DEP_1)
	v_cndmask_b32_e32 v3, v4, v5, vcc_lo
	v_and_or_b32 v5, 0x80000000, v2, v3
.LBB520_855:
	s_mov_b32 s23, 0
	s_mov_b32 s24, -1
.LBB520_856:
	s_and_not1_b32 vcc_lo, exec_lo, s23
	s_mov_b32 s23, 0
	s_cbranch_vccnz .LBB520_867
; %bb.857:
	v_cmp_lt_i16_e32 vcc_lo, 14, v9
	s_cbranch_vccz .LBB520_860
; %bb.858:
	v_cmp_eq_u16_e32 vcc_lo, 15, v9
	s_cbranch_vccz .LBB520_863
; %bb.859:
	global_load_u16 v2, v[0:1], off
	s_mov_b32 s0, 0
	s_mov_b32 s24, -1
	s_waitcnt vmcnt(0)
	v_lshlrev_b32_e32 v5, 16, v2
	s_branch .LBB520_865
.LBB520_860:
	s_mov_b32 s23, -1
	s_branch .LBB520_864
.LBB520_861:
	s_or_saveexec_b32 s25, s25
	v_mov_b32_e32 v5, s24
	s_xor_b32 exec_lo, exec_lo, s25
	s_cbranch_execz .LBB520_842
.LBB520_862:
	v_cmp_ne_u16_e32 vcc_lo, 0, v2
	v_mov_b32_e32 v5, 0
	s_and_not1_b32 s23, s23, exec_lo
	s_and_b32 s24, vcc_lo, exec_lo
	s_delay_alu instid0(SALU_CYCLE_1)
	s_or_b32 s23, s23, s24
	s_or_b32 exec_lo, exec_lo, s25
	s_and_saveexec_b32 s24, s23
	s_cbranch_execnz .LBB520_843
	s_branch .LBB520_844
.LBB520_863:
	s_mov_b32 s0, -1
.LBB520_864:
                                        ; implicit-def: $vgpr5
.LBB520_865:
	s_and_b32 vcc_lo, exec_lo, s23
	s_mov_b32 s23, 0
	s_cbranch_vccz .LBB520_867
; %bb.866:
	v_cmp_ne_u16_e32 vcc_lo, 11, v9
	s_and_not1_b32 s0, s0, exec_lo
	s_mov_b32 s23, -1
                                        ; implicit-def: $vgpr5
	s_and_b32 s25, vcc_lo, exec_lo
	s_delay_alu instid0(SALU_CYCLE_1)
	s_or_b32 s0, s0, s25
.LBB520_867:
	s_mov_b32 s26, 0
.LBB520_868:
	s_and_b32 s25, s24, exec_lo
	s_and_b32 s24, s26, exec_lo
	s_and_not1_b32 s26, s21, exec_lo
	s_and_b32 s27, s0, exec_lo
	s_and_b32 s0, s23, exec_lo
	s_or_b32 s23, s26, s27
.LBB520_869:
	s_or_b32 exec_lo, exec_lo, s14
	s_delay_alu instid0(SALU_CYCLE_1)
	s_and_not1_b32 s14, s21, exec_lo
	s_and_b32 s21, s23, exec_lo
	s_and_b32 s25, s25, exec_lo
	;; [unrolled: 1-line block ×4, first 2 shown]
	s_or_b32 s21, s14, s21
.LBB520_870:
	s_or_b32 exec_lo, exec_lo, s20
	s_delay_alu instid0(SALU_CYCLE_1)
	s_and_not1_b32 s0, s18, exec_lo
	s_and_b32 s14, s22, exec_lo
	s_and_b32 s22, s24, exec_lo
	s_or_b32 s18, s0, s14
	s_and_not1_b32 s14, s17, exec_lo
	s_and_b32 s17, s21, exec_lo
	s_and_b32 s0, s25, exec_lo
	;; [unrolled: 1-line block ×3, first 2 shown]
	s_or_b32 s17, s14, s17
.LBB520_871:
	s_or_b32 exec_lo, exec_lo, s19
	s_delay_alu instid0(SALU_CYCLE_1)
	s_and_not1_b32 s13, s13, exec_lo
	s_and_b32 s14, s18, exec_lo
	s_and_b32 s0, s0, exec_lo
	s_or_b32 s13, s13, s14
	s_and_not1_b32 s14, s15, exec_lo
	s_and_b32 s15, s17, exec_lo
	s_and_b32 s18, s22, exec_lo
	;; [unrolled: 1-line block ×3, first 2 shown]
	s_or_b32 s15, s14, s15
.LBB520_872:
	s_or_b32 exec_lo, exec_lo, s16
	s_mov_b32 s14, 0
	s_and_saveexec_b32 s16, s15
	s_cbranch_execnz .LBB520_884
; %bb.873:
	s_or_b32 exec_lo, exec_lo, s16
	s_and_saveexec_b32 s15, s17
	s_delay_alu instid0(SALU_CYCLE_1)
	s_xor_b32 s15, exec_lo, s15
	s_cbranch_execz .LBB520_875
.LBB520_874:
	global_load_u8 v2, v[0:1], off
	s_or_b32 s0, s0, exec_lo
	s_waitcnt vmcnt(0)
	v_cmp_ne_u16_e32 vcc_lo, 0, v2
	v_cndmask_b32_e64 v5, 0, 1.0, vcc_lo
.LBB520_875:
	s_or_b32 exec_lo, exec_lo, s15
	s_and_saveexec_b32 s15, s18
	s_cbranch_execz .LBB520_923
; %bb.876:
	v_cmp_gt_i16_e32 vcc_lo, 5, v9
	s_cbranch_vccnz .LBB520_881
; %bb.877:
	v_cmp_gt_i16_e32 vcc_lo, 8, v9
	s_cbranch_vccnz .LBB520_882
	;; [unrolled: 3-line block ×3, first 2 shown]
; %bb.879:
	v_cmp_lt_i16_e32 vcc_lo, 9, v9
	s_cbranch_vccz .LBB520_886
; %bb.880:
	global_load_b64 v[2:3], v[0:1], off
	s_mov_b32 s16, 0
	s_waitcnt vmcnt(0)
	v_cvt_f32_f64_e32 v5, v[2:3]
	s_branch .LBB520_887
.LBB520_881:
                                        ; implicit-def: $vgpr5
	s_branch .LBB520_904
.LBB520_882:
                                        ; implicit-def: $vgpr5
	s_branch .LBB520_893
.LBB520_883:
	s_mov_b32 s16, -1
                                        ; implicit-def: $vgpr5
	s_branch .LBB520_890
.LBB520_884:
	s_cbranch_execnz .LBB520_936
; %bb.885:
	s_mov_b32 s14, exec_lo
	s_and_not1_b32 s17, s17, exec_lo
                                        ; implicit-def: $vgpr5
	s_or_b32 exec_lo, exec_lo, s16
	s_and_saveexec_b32 s15, s17
	s_delay_alu instid0(SALU_CYCLE_1)
	s_xor_b32 s15, exec_lo, s15
	s_cbranch_execnz .LBB520_874
	s_branch .LBB520_875
.LBB520_886:
	s_mov_b32 s16, -1
                                        ; implicit-def: $vgpr5
.LBB520_887:
	s_delay_alu instid0(SALU_CYCLE_1)
	s_and_not1_b32 vcc_lo, exec_lo, s16
	s_cbranch_vccnz .LBB520_889
; %bb.888:
	global_load_b32 v5, v[0:1], off
.LBB520_889:
	s_mov_b32 s16, 0
.LBB520_890:
	s_delay_alu instid0(SALU_CYCLE_1)
	s_and_not1_b32 vcc_lo, exec_lo, s16
	s_cbranch_vccnz .LBB520_892
; %bb.891:
	global_load_b32 v2, v[0:1], off
	s_waitcnt vmcnt(0)
	v_cvt_f32_f16_e32 v5, v2
.LBB520_892:
	s_cbranch_execnz .LBB520_903
.LBB520_893:
	v_cmp_gt_i16_e32 vcc_lo, 6, v9
	s_cbranch_vccnz .LBB520_896
; %bb.894:
	v_cmp_lt_i16_e32 vcc_lo, 6, v9
	s_cbranch_vccz .LBB520_897
; %bb.895:
	global_load_b64 v[2:3], v[0:1], off
	s_mov_b32 s16, 0
	s_waitcnt vmcnt(0)
	v_cvt_f32_f64_e32 v5, v[2:3]
	s_branch .LBB520_898
.LBB520_896:
	s_mov_b32 s16, -1
                                        ; implicit-def: $vgpr5
	s_branch .LBB520_901
.LBB520_897:
	s_mov_b32 s16, -1
                                        ; implicit-def: $vgpr5
.LBB520_898:
	s_delay_alu instid0(SALU_CYCLE_1)
	s_and_not1_b32 vcc_lo, exec_lo, s16
	s_cbranch_vccnz .LBB520_900
; %bb.899:
	global_load_b32 v5, v[0:1], off
.LBB520_900:
	s_mov_b32 s16, 0
.LBB520_901:
	s_delay_alu instid0(SALU_CYCLE_1)
	s_and_not1_b32 vcc_lo, exec_lo, s16
	s_cbranch_vccnz .LBB520_903
; %bb.902:
	global_load_u16 v2, v[0:1], off
	s_waitcnt vmcnt(0)
	v_cvt_f32_f16_e32 v5, v2
.LBB520_903:
	s_cbranch_execnz .LBB520_922
.LBB520_904:
	v_cmp_gt_i16_e32 vcc_lo, 2, v9
	s_cbranch_vccnz .LBB520_908
; %bb.905:
	v_cmp_gt_i16_e32 vcc_lo, 3, v9
	s_cbranch_vccnz .LBB520_909
; %bb.906:
	v_cmp_lt_i16_e32 vcc_lo, 3, v9
	s_cbranch_vccz .LBB520_910
; %bb.907:
	global_load_b64 v[2:3], v[0:1], off
	s_mov_b32 s16, 0
	s_waitcnt vmcnt(0)
	v_xor_b32_e32 v4, v2, v3
	v_cls_i32_e32 v5, v3
	s_delay_alu instid0(VALU_DEP_2) | instskip(NEXT) | instid1(VALU_DEP_2)
	v_ashrrev_i32_e32 v4, 31, v4
	v_add_nc_u32_e32 v5, -1, v5
	s_delay_alu instid0(VALU_DEP_2) | instskip(NEXT) | instid1(VALU_DEP_1)
	v_add_nc_u32_e32 v4, 32, v4
	v_min_u32_e32 v4, v5, v4
	s_delay_alu instid0(VALU_DEP_1) | instskip(NEXT) | instid1(VALU_DEP_1)
	v_lshlrev_b64 v[2:3], v4, v[2:3]
	v_min_u32_e32 v2, 1, v2
	s_delay_alu instid0(VALU_DEP_1) | instskip(SKIP_1) | instid1(VALU_DEP_2)
	v_or_b32_e32 v2, v3, v2
	v_sub_nc_u32_e32 v3, 32, v4
	v_cvt_f32_i32_e32 v2, v2
	s_delay_alu instid0(VALU_DEP_1)
	v_ldexp_f32 v5, v2, v3
	s_branch .LBB520_911
.LBB520_908:
                                        ; implicit-def: $vgpr5
	s_branch .LBB520_917
.LBB520_909:
	s_mov_b32 s16, -1
                                        ; implicit-def: $vgpr5
	s_branch .LBB520_914
.LBB520_910:
	s_mov_b32 s16, -1
                                        ; implicit-def: $vgpr5
.LBB520_911:
	s_delay_alu instid0(SALU_CYCLE_1)
	s_and_not1_b32 vcc_lo, exec_lo, s16
	s_cbranch_vccnz .LBB520_913
; %bb.912:
	global_load_b32 v2, v[0:1], off
	s_waitcnt vmcnt(0)
	v_cvt_f32_i32_e32 v5, v2
.LBB520_913:
	s_mov_b32 s16, 0
.LBB520_914:
	s_delay_alu instid0(SALU_CYCLE_1)
	s_and_not1_b32 vcc_lo, exec_lo, s16
	s_cbranch_vccnz .LBB520_916
; %bb.915:
	global_load_i16 v2, v[0:1], off
	s_waitcnt vmcnt(0)
	v_cvt_f32_i32_e32 v5, v2
.LBB520_916:
	s_cbranch_execnz .LBB520_922
.LBB520_917:
	v_cmp_lt_i16_e32 vcc_lo, 0, v9
	s_mov_b32 s16, 0
	s_cbranch_vccz .LBB520_919
; %bb.918:
	global_load_i8 v2, v[0:1], off
	s_waitcnt vmcnt(0)
	v_cvt_f32_i32_e32 v5, v2
	s_branch .LBB520_920
.LBB520_919:
	s_mov_b32 s16, -1
                                        ; implicit-def: $vgpr5
.LBB520_920:
	s_delay_alu instid0(SALU_CYCLE_1)
	s_and_not1_b32 vcc_lo, exec_lo, s16
	s_cbranch_vccnz .LBB520_922
; %bb.921:
	global_load_u8 v0, v[0:1], off
	s_waitcnt vmcnt(0)
	v_cvt_f32_ubyte0_e32 v5, v0
.LBB520_922:
	s_or_b32 s0, s0, exec_lo
.LBB520_923:
	s_or_b32 exec_lo, exec_lo, s15
	s_mov_b32 s17, 0
	s_mov_b32 s16, 0
                                        ; implicit-def: $vgpr4
                                        ; implicit-def: $vgpr2_vgpr3
                                        ; implicit-def: $vgpr0
	s_and_saveexec_b32 s15, s0
	s_cbranch_execz .LBB520_1007
; %bb.924:
	v_mov_b32_e32 v0, s10
	s_mov_b32 s0, exec_lo
	s_waitcnt vmcnt(0)
	s_delay_alu instid0(VALU_DEP_2)
	v_cmpx_o_f32_e32 v5, v5
	s_cbranch_execz .LBB520_928
; %bb.925:
	v_mov_b32_e32 v0, s11
	s_mov_b32 s16, exec_lo
	v_cmpx_neq_f32_e32 0x7f800000, v5
; %bb.926:
	v_cmp_eq_f32_e32 vcc_lo, 0xff800000, v5
	v_cndmask_b32_e64 v0, v5, s2, vcc_lo
; %bb.927:
	s_or_b32 exec_lo, exec_lo, s16
.LBB520_928:
	s_delay_alu instid0(SALU_CYCLE_1) | instskip(SKIP_2) | instid1(VALU_DEP_1)
	s_or_b32 exec_lo, exec_lo, s0
	v_mul_lo_u32 v1, v8, s8
	v_and_b32_e64 v4, 0xff, s3
	v_cmp_gt_i16_e32 vcc_lo, 11, v4
	s_delay_alu instid0(VALU_DEP_3) | instskip(SKIP_1) | instid1(VALU_DEP_1)
	v_ashrrev_i32_e32 v3, 31, v1
	v_add_co_u32 v2, s0, s4, v1
	v_add_co_ci_u32_e64 v3, s0, s5, v3, s0
	s_cbranch_vccnz .LBB520_935
; %bb.929:
	v_cmp_lt_i16_e32 vcc_lo, 25, v4
	s_mov_b32 s16, -1
	s_mov_b32 s0, s13
	s_cbranch_vccz .LBB520_965
; %bb.930:
	v_cmp_lt_i16_e32 vcc_lo, 28, v4
	s_mov_b32 s0, s13
	s_cbranch_vccz .LBB520_949
; %bb.931:
	v_cmp_lt_i16_e32 vcc_lo, 43, v4
	;; [unrolled: 4-line block ×3, first 2 shown]
	s_mov_b32 s0, s13
	s_cbranch_vccz .LBB520_939
; %bb.933:
	v_cmp_eq_u16_e32 vcc_lo, 46, v4
	s_mov_b32 s0, -1
	s_cbranch_vccz .LBB520_938
; %bb.934:
	v_bfe_u32 v1, v0, 16, 1
	v_cmp_o_f32_e32 vcc_lo, v0, v0
	s_mov_b32 s0, 0
	s_mov_b32 s16, 0
	s_delay_alu instid0(VALU_DEP_2) | instskip(NEXT) | instid1(VALU_DEP_1)
	v_add3_u32 v1, v0, v1, 0x7fff
	v_lshrrev_b32_e32 v1, 16, v1
	s_delay_alu instid0(VALU_DEP_1)
	v_cndmask_b32_e32 v1, 0x7fc0, v1, vcc_lo
	global_store_b32 v[2:3], v1, off
	s_branch .LBB520_939
.LBB520_935:
	s_mov_b32 s16, -1
	s_mov_b32 s0, s13
	s_branch .LBB520_1006
.LBB520_936:
	s_trap 2
	s_sendmsg_rtn_b32 s0, sendmsg(MSG_RTN_GET_DOORBELL)
	s_mov_b32 ttmp2, m0
	s_waitcnt lgkmcnt(0)
	s_and_b32 s0, s0, 0x3ff
	s_delay_alu instid0(SALU_CYCLE_1) | instskip(NEXT) | instid1(SALU_CYCLE_1)
	s_bitset1_b32 s0, 10
	s_mov_b32 m0, s0
	s_sendmsg sendmsg(MSG_INTERRUPT)
	s_mov_b32 m0, ttmp2
.LBB520_937:                            ; =>This Inner Loop Header: Depth=1
	s_sethalt 5
	s_branch .LBB520_937
.LBB520_938:
	s_mov_b32 s16, 0
.LBB520_939:
	s_delay_alu instid0(SALU_CYCLE_1)
	s_and_b32 vcc_lo, exec_lo, s16
	s_cbranch_vccz .LBB520_944
; %bb.940:
	v_cmp_eq_u16_e32 vcc_lo, 44, v4
	s_mov_b32 s0, -1
	s_cbranch_vccz .LBB520_944
; %bb.941:
	v_bfe_u32 v5, v0, 23, 8
	v_mov_b32_e32 v1, 0xff
	s_mov_b32 s16, exec_lo
	s_delay_alu instid0(VALU_DEP_2)
	v_cmpx_ne_u32_e32 0xff, v5
; %bb.942:
	v_and_b32_e32 v1, 0x400000, v0
	v_and_or_b32 v5, 0x3fffff, v0, v5
	s_delay_alu instid0(VALU_DEP_2) | instskip(NEXT) | instid1(VALU_DEP_2)
	v_cmp_ne_u32_e32 vcc_lo, 0, v1
	v_cmp_ne_u32_e64 s0, 0, v5
	v_lshrrev_b32_e32 v1, 23, v0
	s_delay_alu instid0(VALU_DEP_2) | instskip(NEXT) | instid1(SALU_CYCLE_1)
	s_and_b32 s0, vcc_lo, s0
	v_cndmask_b32_e64 v5, 0, 1, s0
	s_delay_alu instid0(VALU_DEP_1)
	v_add_nc_u32_e32 v1, v1, v5
; %bb.943:
	s_or_b32 exec_lo, exec_lo, s16
	s_mov_b32 s0, 0
	global_store_b8 v[2:3], v1, off
.LBB520_944:
	s_mov_b32 s16, 0
.LBB520_945:
	s_delay_alu instid0(SALU_CYCLE_1)
	s_and_b32 vcc_lo, exec_lo, s16
	s_cbranch_vccz .LBB520_948
; %bb.946:
	v_cmp_eq_u16_e32 vcc_lo, 29, v4
	s_mov_b32 s0, -1
	s_cbranch_vccz .LBB520_948
; %bb.947:
	v_trunc_f32_e32 v1, v0
	s_mov_b32 s0, 0
	s_mov_b32 s16, 0
	s_delay_alu instid0(VALU_DEP_1) | instskip(NEXT) | instid1(VALU_DEP_1)
	v_mul_f32_e32 v5, 0x2f800000, v1
	v_floor_f32_e32 v5, v5
	s_delay_alu instid0(VALU_DEP_1) | instskip(SKIP_1) | instid1(VALU_DEP_2)
	v_fmamk_f32 v1, v5, 0xcf800000, v1
	v_cvt_u32_f32_e32 v6, v5
	v_cvt_u32_f32_e32 v5, v1
	global_store_b64 v[2:3], v[5:6], off
	s_branch .LBB520_949
.LBB520_948:
	s_mov_b32 s16, 0
.LBB520_949:
	s_delay_alu instid0(SALU_CYCLE_1)
	s_and_b32 vcc_lo, exec_lo, s16
	s_cbranch_vccz .LBB520_964
; %bb.950:
	v_cmp_gt_i16_e32 vcc_lo, 27, v4
	s_mov_b32 s16, -1
	s_cbranch_vccnz .LBB520_956
; %bb.951:
	v_cmp_lt_i16_e32 vcc_lo, 27, v4
	v_cvt_u32_f32_e32 v1, v0
	s_cbranch_vccz .LBB520_953
; %bb.952:
	s_mov_b32 s16, 0
	global_store_b32 v[2:3], v1, off
.LBB520_953:
	s_and_not1_b32 vcc_lo, exec_lo, s16
	s_cbranch_vccnz .LBB520_955
; %bb.954:
	global_store_b16 v[2:3], v1, off
.LBB520_955:
	s_mov_b32 s16, 0
.LBB520_956:
	s_delay_alu instid0(SALU_CYCLE_1)
	s_and_not1_b32 vcc_lo, exec_lo, s16
	s_cbranch_vccnz .LBB520_964
; %bb.957:
	v_and_b32_e32 v1, 0x7fffffff, v0
	v_mov_b32_e32 v5, 0x80
	s_mov_b32 s16, exec_lo
	s_delay_alu instid0(VALU_DEP_2)
	v_cmpx_gt_u32_e32 0x43800000, v1
	s_cbranch_execz .LBB520_963
; %bb.958:
	v_cmp_lt_u32_e32 vcc_lo, 0x3bffffff, v1
                                        ; implicit-def: $vgpr1
	s_and_saveexec_b32 s18, vcc_lo
	s_delay_alu instid0(SALU_CYCLE_1)
	s_xor_b32 s18, exec_lo, s18
	s_cbranch_execz .LBB520_1202
; %bb.959:
	v_bfe_u32 v1, v0, 20, 1
	s_mov_b32 s17, exec_lo
	s_delay_alu instid0(VALU_DEP_1) | instskip(NEXT) | instid1(VALU_DEP_1)
	v_add3_u32 v1, v0, v1, 0x487ffff
	v_lshrrev_b32_e32 v1, 20, v1
	s_or_saveexec_b32 s18, s18
                                        ; implicit-def: $sgpr19
	s_delay_alu instid0(SALU_CYCLE_1)
	s_xor_b32 exec_lo, exec_lo, s18
	s_cbranch_execnz .LBB520_1203
.LBB520_960:
	s_or_b32 exec_lo, exec_lo, s18
	v_mov_b32_e32 v5, s19
	s_and_saveexec_b32 s18, s17
.LBB520_961:
	v_lshrrev_b32_e32 v5, 24, v0
	s_delay_alu instid0(VALU_DEP_1)
	v_and_or_b32 v5, 0x80, v5, v1
.LBB520_962:
	s_or_b32 exec_lo, exec_lo, s18
.LBB520_963:
	s_delay_alu instid0(SALU_CYCLE_1)
	s_or_b32 exec_lo, exec_lo, s16
	global_store_b8 v[2:3], v5, off
.LBB520_964:
	s_mov_b32 s16, 0
.LBB520_965:
	s_delay_alu instid0(SALU_CYCLE_1)
	s_and_b32 vcc_lo, exec_lo, s16
	s_mov_b32 s16, 0
	s_cbranch_vccz .LBB520_1005
; %bb.966:
	v_cmp_lt_i16_e32 vcc_lo, 22, v4
	s_mov_b32 s17, -1
	s_cbranch_vccz .LBB520_998
; %bb.967:
	v_cmp_gt_i16_e32 vcc_lo, 24, v4
	s_cbranch_vccnz .LBB520_987
; %bb.968:
	v_cmp_lt_i16_e32 vcc_lo, 24, v4
	s_cbranch_vccz .LBB520_976
; %bb.969:
	v_and_b32_e32 v1, 0x7fffffff, v0
	v_mov_b32_e32 v5, 0x80
	s_mov_b32 s17, exec_lo
	s_delay_alu instid0(VALU_DEP_2)
	v_cmpx_gt_u32_e32 0x47800000, v1
	s_cbranch_execz .LBB520_975
; %bb.970:
	v_cmp_lt_u32_e32 vcc_lo, 0x37ffffff, v1
	s_mov_b32 s18, 0
                                        ; implicit-def: $vgpr1
	s_and_saveexec_b32 s19, vcc_lo
	s_delay_alu instid0(SALU_CYCLE_1)
	s_xor_b32 s19, exec_lo, s19
	s_cbranch_execz .LBB520_1246
; %bb.971:
	v_bfe_u32 v1, v0, 21, 1
	s_mov_b32 s18, exec_lo
	s_delay_alu instid0(VALU_DEP_1) | instskip(NEXT) | instid1(VALU_DEP_1)
	v_add3_u32 v1, v0, v1, 0x88fffff
	v_lshrrev_b32_e32 v1, 21, v1
	s_or_saveexec_b32 s19, s19
                                        ; implicit-def: $sgpr20
	s_delay_alu instid0(SALU_CYCLE_1)
	s_xor_b32 exec_lo, exec_lo, s19
	s_cbranch_execnz .LBB520_1247
.LBB520_972:
	s_or_b32 exec_lo, exec_lo, s19
	v_mov_b32_e32 v5, s20
	s_and_saveexec_b32 s19, s18
.LBB520_973:
	v_lshrrev_b32_e32 v5, 24, v0
	s_delay_alu instid0(VALU_DEP_1)
	v_and_or_b32 v5, 0x80, v5, v1
.LBB520_974:
	s_or_b32 exec_lo, exec_lo, s19
.LBB520_975:
	s_delay_alu instid0(SALU_CYCLE_1)
	s_or_b32 exec_lo, exec_lo, s17
	s_mov_b32 s17, 0
	global_store_b8 v[2:3], v5, off
.LBB520_976:
	s_and_b32 vcc_lo, exec_lo, s17
	s_cbranch_vccz .LBB520_986
; %bb.977:
	v_and_b32_e32 v5, 0x7fffffff, v0
	s_mov_b32 s17, exec_lo
                                        ; implicit-def: $vgpr1
	s_delay_alu instid0(VALU_DEP_1)
	v_cmpx_gt_u32_e32 0x43f00000, v5
	s_xor_b32 s17, exec_lo, s17
	s_cbranch_execz .LBB520_983
; %bb.978:
	s_mov_b32 s18, exec_lo
                                        ; implicit-def: $vgpr1
	v_cmpx_lt_u32_e32 0x3c7fffff, v5
	s_xor_b32 s18, exec_lo, s18
; %bb.979:
	v_bfe_u32 v1, v0, 20, 1
	s_delay_alu instid0(VALU_DEP_1) | instskip(NEXT) | instid1(VALU_DEP_1)
	v_add3_u32 v1, v0, v1, 0x407ffff
	v_and_b32_e32 v5, 0xff00000, v1
	v_lshrrev_b32_e32 v1, 20, v1
	s_delay_alu instid0(VALU_DEP_2) | instskip(NEXT) | instid1(VALU_DEP_2)
	v_cmp_ne_u32_e32 vcc_lo, 0x7f00000, v5
	v_cndmask_b32_e32 v1, 0x7e, v1, vcc_lo
; %bb.980:
	s_and_not1_saveexec_b32 s18, s18
; %bb.981:
	v_add_f32_e64 v1, 0x46800000, |v0|
; %bb.982:
	s_or_b32 exec_lo, exec_lo, s18
                                        ; implicit-def: $vgpr5
.LBB520_983:
	s_and_not1_saveexec_b32 s17, s17
; %bb.984:
	v_mov_b32_e32 v1, 0x7f
	v_cmp_lt_u32_e32 vcc_lo, 0x7f800000, v5
	s_delay_alu instid0(VALU_DEP_2)
	v_cndmask_b32_e32 v1, 0x7e, v1, vcc_lo
; %bb.985:
	s_or_b32 exec_lo, exec_lo, s17
	v_lshrrev_b32_e32 v5, 24, v0
	s_delay_alu instid0(VALU_DEP_1)
	v_and_or_b32 v1, 0x80, v5, v1
	global_store_b8 v[2:3], v1, off
.LBB520_986:
	s_mov_b32 s17, 0
.LBB520_987:
	s_delay_alu instid0(SALU_CYCLE_1)
	s_and_not1_b32 vcc_lo, exec_lo, s17
	s_cbranch_vccnz .LBB520_997
; %bb.988:
	v_and_b32_e32 v5, 0x7fffffff, v0
	s_mov_b32 s17, exec_lo
                                        ; implicit-def: $vgpr1
	s_delay_alu instid0(VALU_DEP_1)
	v_cmpx_gt_u32_e32 0x47800000, v5
	s_xor_b32 s17, exec_lo, s17
	s_cbranch_execz .LBB520_994
; %bb.989:
	s_mov_b32 s18, exec_lo
                                        ; implicit-def: $vgpr1
	v_cmpx_lt_u32_e32 0x387fffff, v5
	s_xor_b32 s18, exec_lo, s18
; %bb.990:
	v_bfe_u32 v1, v0, 21, 1
	s_delay_alu instid0(VALU_DEP_1) | instskip(NEXT) | instid1(VALU_DEP_1)
	v_add3_u32 v1, v0, v1, 0x80fffff
	v_lshrrev_b32_e32 v1, 21, v1
; %bb.991:
	s_and_not1_saveexec_b32 s18, s18
; %bb.992:
	v_add_f32_e64 v1, 0x43000000, |v0|
; %bb.993:
	s_or_b32 exec_lo, exec_lo, s18
                                        ; implicit-def: $vgpr5
.LBB520_994:
	s_and_not1_saveexec_b32 s17, s17
; %bb.995:
	v_mov_b32_e32 v1, 0x7f
	v_cmp_lt_u32_e32 vcc_lo, 0x7f800000, v5
	s_delay_alu instid0(VALU_DEP_2)
	v_cndmask_b32_e32 v1, 0x7c, v1, vcc_lo
; %bb.996:
	s_or_b32 exec_lo, exec_lo, s17
	v_lshrrev_b32_e32 v5, 24, v0
	s_delay_alu instid0(VALU_DEP_1)
	v_and_or_b32 v1, 0x80, v5, v1
	global_store_b8 v[2:3], v1, off
.LBB520_997:
	s_mov_b32 s17, 0
.LBB520_998:
	s_delay_alu instid0(SALU_CYCLE_1)
	s_and_not1_b32 vcc_lo, exec_lo, s17
	s_mov_b32 s17, 0
	s_cbranch_vccnz .LBB520_1006
; %bb.999:
	v_cmp_lt_i16_e32 vcc_lo, 14, v4
	s_mov_b32 s17, -1
	s_cbranch_vccz .LBB520_1003
; %bb.1000:
	v_cmp_eq_u16_e32 vcc_lo, 15, v4
	s_mov_b32 s0, -1
	s_cbranch_vccz .LBB520_1002
; %bb.1001:
	v_bfe_u32 v1, v0, 16, 1
	v_cmp_o_f32_e32 vcc_lo, v0, v0
	s_mov_b32 s0, 0
	s_delay_alu instid0(VALU_DEP_2) | instskip(NEXT) | instid1(VALU_DEP_1)
	v_add3_u32 v1, v0, v1, 0x7fff
	v_lshrrev_b32_e32 v1, 16, v1
	s_delay_alu instid0(VALU_DEP_1)
	v_cndmask_b32_e32 v1, 0x7fc0, v1, vcc_lo
	global_store_b16 v[2:3], v1, off
.LBB520_1002:
	s_mov_b32 s17, 0
.LBB520_1003:
	s_delay_alu instid0(SALU_CYCLE_1)
	s_and_b32 vcc_lo, exec_lo, s17
	s_mov_b32 s17, 0
	s_cbranch_vccz .LBB520_1006
; %bb.1004:
	v_cmp_ne_u16_e32 vcc_lo, 11, v4
	s_and_not1_b32 s0, s0, exec_lo
	s_mov_b32 s17, -1
	s_and_b32 s18, vcc_lo, exec_lo
	s_delay_alu instid0(SALU_CYCLE_1)
	s_or_b32 s0, s0, s18
	s_branch .LBB520_1006
.LBB520_1005:
	s_mov_b32 s17, 0
.LBB520_1006:
	s_and_not1_b32 s13, s13, exec_lo
	s_and_b32 s0, s0, exec_lo
	s_and_b32 s16, s16, exec_lo
	;; [unrolled: 1-line block ×3, first 2 shown]
	s_or_b32 s13, s13, s0
.LBB520_1007:
	s_or_b32 exec_lo, exec_lo, s15
	s_and_saveexec_b32 s0, s13
	s_cbranch_execnz .LBB520_1069
; %bb.1008:
	s_or_b32 exec_lo, exec_lo, s0
	s_and_saveexec_b32 s0, s17
	s_delay_alu instid0(SALU_CYCLE_1)
	s_xor_b32 s0, exec_lo, s0
	s_cbranch_execz .LBB520_1010
.LBB520_1009:
	v_cmp_neq_f32_e32 vcc_lo, 0, v0
	v_cndmask_b32_e64 v1, 0, 1, vcc_lo
	s_waitcnt vmcnt(0)
	global_store_b8 v[2:3], v1, off
.LBB520_1010:
	s_or_b32 exec_lo, exec_lo, s0
	s_and_saveexec_b32 s0, s16
	s_delay_alu instid0(SALU_CYCLE_1)
	s_xor_b32 s0, exec_lo, s0
	s_cbranch_execz .LBB520_1048
; %bb.1011:
	v_cmp_gt_i16_e32 vcc_lo, 5, v4
	s_mov_b32 s13, -1
	s_cbranch_vccnz .LBB520_1032
; %bb.1012:
	v_cmp_gt_i16_e32 vcc_lo, 8, v4
	s_cbranch_vccnz .LBB520_1022
; %bb.1013:
	v_cmp_gt_i16_e32 vcc_lo, 9, v4
	s_cbranch_vccnz .LBB520_1019
; %bb.1014:
	v_cmp_lt_i16_e32 vcc_lo, 9, v4
	s_cbranch_vccz .LBB520_1016
; %bb.1015:
	s_waitcnt vmcnt(0)
	v_cvt_f64_f32_e32 v[5:6], v0
	v_mov_b32_e32 v7, 0
	s_mov_b32 s13, 0
	s_delay_alu instid0(VALU_DEP_1)
	v_mov_b32_e32 v8, v7
	global_store_b128 v[2:3], v[5:8], off
.LBB520_1016:
	s_and_not1_b32 vcc_lo, exec_lo, s13
	s_cbranch_vccnz .LBB520_1018
; %bb.1017:
	v_mov_b32_e32 v1, 0
	s_waitcnt vmcnt(0)
	global_store_b64 v[2:3], v[0:1], off
.LBB520_1018:
	s_mov_b32 s13, 0
.LBB520_1019:
	s_delay_alu instid0(SALU_CYCLE_1)
	s_and_not1_b32 vcc_lo, exec_lo, s13
	s_cbranch_vccnz .LBB520_1021
; %bb.1020:
	v_cvt_f16_f32_e32 v1, v0
	s_delay_alu instid0(VALU_DEP_1)
	v_and_b32_e32 v1, 0xffff, v1
	s_waitcnt vmcnt(0)
	global_store_b32 v[2:3], v1, off
.LBB520_1021:
	s_mov_b32 s13, 0
.LBB520_1022:
	s_delay_alu instid0(SALU_CYCLE_1)
	s_and_not1_b32 vcc_lo, exec_lo, s13
	s_cbranch_vccnz .LBB520_1031
; %bb.1023:
	v_cmp_gt_i16_e32 vcc_lo, 6, v4
	s_mov_b32 s13, -1
	s_cbranch_vccnz .LBB520_1029
; %bb.1024:
	v_cmp_lt_i16_e32 vcc_lo, 6, v4
	s_cbranch_vccz .LBB520_1026
; %bb.1025:
	s_waitcnt vmcnt(0)
	v_cvt_f64_f32_e32 v[5:6], v0
	s_mov_b32 s13, 0
	global_store_b64 v[2:3], v[5:6], off
.LBB520_1026:
	s_and_not1_b32 vcc_lo, exec_lo, s13
	s_cbranch_vccnz .LBB520_1028
; %bb.1027:
	s_waitcnt vmcnt(0)
	global_store_b32 v[2:3], v0, off
.LBB520_1028:
	s_mov_b32 s13, 0
.LBB520_1029:
	s_delay_alu instid0(SALU_CYCLE_1)
	s_and_not1_b32 vcc_lo, exec_lo, s13
	s_cbranch_vccnz .LBB520_1031
; %bb.1030:
	v_cvt_f16_f32_e32 v1, v0
	s_waitcnt vmcnt(0)
	global_store_b16 v[2:3], v1, off
.LBB520_1031:
	s_mov_b32 s13, 0
.LBB520_1032:
	s_delay_alu instid0(SALU_CYCLE_1)
	s_and_not1_b32 vcc_lo, exec_lo, s13
	s_cbranch_vccnz .LBB520_1048
; %bb.1033:
	v_cmp_gt_i16_e32 vcc_lo, 2, v4
	s_mov_b32 s13, -1
	s_cbranch_vccnz .LBB520_1043
; %bb.1034:
	v_cmp_gt_i16_e32 vcc_lo, 3, v4
	s_cbranch_vccnz .LBB520_1040
; %bb.1035:
	v_cmp_lt_i16_e32 vcc_lo, 3, v4
	s_cbranch_vccz .LBB520_1037
; %bb.1036:
	v_trunc_f32_e32 v1, v0
	s_mov_b32 s13, 0
	s_waitcnt vmcnt(0)
	s_delay_alu instid0(VALU_DEP_1) | instskip(NEXT) | instid1(VALU_DEP_1)
	v_mul_f32_e64 v5, 0x2f800000, |v1|
	v_floor_f32_e32 v5, v5
	s_delay_alu instid0(VALU_DEP_1) | instskip(SKIP_2) | instid1(VALU_DEP_3)
	v_fma_f32 v6, 0xcf800000, v5, |v1|
	v_ashrrev_i32_e32 v1, 31, v1
	v_cvt_u32_f32_e32 v5, v5
	v_cvt_u32_f32_e32 v6, v6
	s_delay_alu instid0(VALU_DEP_2) | instskip(NEXT) | instid1(VALU_DEP_2)
	v_xor_b32_e32 v7, v5, v1
	v_xor_b32_e32 v6, v6, v1
	s_delay_alu instid0(VALU_DEP_1) | instskip(NEXT) | instid1(VALU_DEP_3)
	v_sub_co_u32 v5, vcc_lo, v6, v1
	v_sub_co_ci_u32_e32 v6, vcc_lo, v7, v1, vcc_lo
	global_store_b64 v[2:3], v[5:6], off
.LBB520_1037:
	s_and_not1_b32 vcc_lo, exec_lo, s13
	s_cbranch_vccnz .LBB520_1039
; %bb.1038:
	v_cvt_i32_f32_e32 v1, v0
	s_waitcnt vmcnt(0)
	global_store_b32 v[2:3], v1, off
.LBB520_1039:
	s_mov_b32 s13, 0
.LBB520_1040:
	s_delay_alu instid0(SALU_CYCLE_1)
	s_and_not1_b32 vcc_lo, exec_lo, s13
	s_cbranch_vccnz .LBB520_1042
; %bb.1041:
	v_cvt_i32_f32_e32 v1, v0
	s_waitcnt vmcnt(0)
	global_store_b16 v[2:3], v1, off
.LBB520_1042:
	s_mov_b32 s13, 0
.LBB520_1043:
	s_delay_alu instid0(SALU_CYCLE_1)
	s_and_not1_b32 vcc_lo, exec_lo, s13
	s_cbranch_vccnz .LBB520_1048
; %bb.1044:
	v_cmp_lt_i16_e32 vcc_lo, 0, v4
	s_mov_b32 s13, -1
	s_cbranch_vccz .LBB520_1046
; %bb.1045:
	v_cvt_i32_f32_e32 v1, v0
	s_mov_b32 s13, 0
	s_waitcnt vmcnt(0)
	global_store_b8 v[2:3], v1, off
.LBB520_1046:
	s_and_not1_b32 vcc_lo, exec_lo, s13
	s_cbranch_vccnz .LBB520_1048
; %bb.1047:
	v_trunc_f32_e32 v0, v0
	s_delay_alu instid0(VALU_DEP_1) | instskip(NEXT) | instid1(VALU_DEP_1)
	v_mul_f32_e64 v1, 0x2f800000, |v0|
	v_floor_f32_e32 v1, v1
	s_delay_alu instid0(VALU_DEP_1) | instskip(SKIP_1) | instid1(VALU_DEP_2)
	v_fma_f32 v1, 0xcf800000, v1, |v0|
	v_ashrrev_i32_e32 v0, 31, v0
	v_cvt_u32_f32_e32 v1, v1
	s_delay_alu instid0(VALU_DEP_1) | instskip(NEXT) | instid1(VALU_DEP_1)
	v_xor_b32_e32 v1, v1, v0
	v_sub_nc_u32_e32 v0, v1, v0
	s_waitcnt vmcnt(0)
	global_store_b8 v[2:3], v0, off
.LBB520_1048:
	s_or_b32 exec_lo, exec_lo, s0
	s_delay_alu instid0(SALU_CYCLE_1)
	s_and_b32 s13, s14, exec_lo
                                        ; implicit-def: $vgpr8
                                        ; implicit-def: $vgpr9
.LBB520_1049:
	s_or_saveexec_b32 s12, s12
	s_mov_b32 s0, 0
                                        ; implicit-def: $vgpr10
                                        ; implicit-def: $vgpr2_vgpr3
                                        ; implicit-def: $vgpr0
	s_xor_b32 exec_lo, exec_lo, s12
	s_cbranch_execz .LBB520_1675
; %bb.1050:
	s_waitcnt vmcnt(0)
	v_mul_lo_u32 v2, s9, v8
	v_cmp_gt_i16_e32 vcc_lo, 11, v9
	s_delay_alu instid0(VALU_DEP_2) | instskip(SKIP_1) | instid1(VALU_DEP_1)
	v_ashrrev_i32_e32 v1, 31, v2
	v_add_co_u32 v0, s0, s6, v2
	v_add_co_ci_u32_e64 v1, s0, s7, v1, s0
	s_cbranch_vccnz .LBB520_1057
; %bb.1051:
	v_cmp_lt_i16_e32 vcc_lo, 25, v9
	s_mov_b32 s14, 0
	s_cbranch_vccz .LBB520_1063
; %bb.1052:
	v_cmp_lt_i16_e32 vcc_lo, 28, v9
	s_cbranch_vccz .LBB520_1065
; %bb.1053:
	v_cmp_lt_i16_e32 vcc_lo, 43, v9
	;; [unrolled: 3-line block ×3, first 2 shown]
	s_cbranch_vccz .LBB520_1071
; %bb.1055:
	v_cmp_eq_u16_e32 vcc_lo, 46, v9
	s_cbranch_vccz .LBB520_1111
; %bb.1056:
	global_load_b32 v3, v[0:1], off
	s_mov_b32 s0, 0
	s_mov_b32 s15, -1
	s_waitcnt vmcnt(0)
	v_lshlrev_b32_e32 v3, 16, v3
	s_branch .LBB520_1113
.LBB520_1057:
	s_mov_b32 s15, 0
	s_mov_b32 s1, s13
                                        ; implicit-def: $vgpr3
	s_cbranch_execz .LBB520_1176
; %bb.1058:
	v_cmp_gt_i16_e32 vcc_lo, 5, v9
	s_cbranch_vccnz .LBB520_1064
; %bb.1059:
	v_cmp_gt_i16_e32 vcc_lo, 8, v9
	s_cbranch_vccnz .LBB520_1066
	;; [unrolled: 3-line block ×3, first 2 shown]
; %bb.1061:
	v_cmp_lt_i16_e32 vcc_lo, 9, v9
	s_cbranch_vccz .LBB520_1072
; %bb.1062:
	global_load_b64 v[3:4], v[0:1], off
	s_mov_b32 s0, 0
	s_waitcnt vmcnt(0)
	v_cvt_f32_f64_e32 v3, v[3:4]
	s_branch .LBB520_1073
.LBB520_1063:
	s_mov_b32 s15, 0
	s_mov_b32 s0, 0
                                        ; implicit-def: $vgpr3
	s_cbranch_execnz .LBB520_1141
	s_branch .LBB520_1172
.LBB520_1064:
                                        ; implicit-def: $vgpr3
	s_branch .LBB520_1090
.LBB520_1065:
	s_mov_b32 s1, -1
	s_mov_b32 s15, 0
	s_mov_b32 s0, 0
                                        ; implicit-def: $vgpr3
	s_branch .LBB520_1122
.LBB520_1066:
                                        ; implicit-def: $vgpr3
	s_branch .LBB520_1079
.LBB520_1067:
	s_mov_b32 s15, 0
	s_mov_b32 s0, 0
                                        ; implicit-def: $vgpr3
	s_cbranch_execnz .LBB520_1118
	s_branch .LBB520_1121
.LBB520_1068:
	s_mov_b32 s0, -1
                                        ; implicit-def: $vgpr3
	s_branch .LBB520_1076
.LBB520_1069:
	s_cbranch_execnz .LBB520_1109
; %bb.1070:
	s_or_b32 s14, s14, exec_lo
	s_and_not1_b32 s17, s17, exec_lo
	s_or_b32 exec_lo, exec_lo, s0
	s_and_saveexec_b32 s0, s17
	s_delay_alu instid0(SALU_CYCLE_1)
	s_xor_b32 s0, exec_lo, s0
	s_cbranch_execnz .LBB520_1009
	s_branch .LBB520_1010
.LBB520_1071:
	s_mov_b32 s1, -1
	s_mov_b32 s15, 0
	s_mov_b32 s0, 0
	s_branch .LBB520_1112
.LBB520_1072:
	s_mov_b32 s0, -1
                                        ; implicit-def: $vgpr3
.LBB520_1073:
	s_delay_alu instid0(SALU_CYCLE_1)
	s_and_not1_b32 vcc_lo, exec_lo, s0
	s_cbranch_vccnz .LBB520_1075
; %bb.1074:
	global_load_b32 v3, v[0:1], off
.LBB520_1075:
	s_mov_b32 s0, 0
.LBB520_1076:
	s_delay_alu instid0(SALU_CYCLE_1)
	s_and_not1_b32 vcc_lo, exec_lo, s0
	s_cbranch_vccnz .LBB520_1078
; %bb.1077:
	global_load_b32 v3, v[0:1], off
	s_waitcnt vmcnt(0)
	v_cvt_f32_f16_e32 v3, v3
.LBB520_1078:
	s_cbranch_execnz .LBB520_1089
.LBB520_1079:
	v_cmp_gt_i16_e32 vcc_lo, 6, v9
	s_cbranch_vccnz .LBB520_1082
; %bb.1080:
	v_cmp_lt_i16_e32 vcc_lo, 6, v9
	s_cbranch_vccz .LBB520_1083
; %bb.1081:
	global_load_b64 v[3:4], v[0:1], off
	s_mov_b32 s0, 0
	s_waitcnt vmcnt(0)
	v_cvt_f32_f64_e32 v3, v[3:4]
	s_branch .LBB520_1084
.LBB520_1082:
	s_mov_b32 s0, -1
                                        ; implicit-def: $vgpr3
	s_branch .LBB520_1087
.LBB520_1083:
	s_mov_b32 s0, -1
                                        ; implicit-def: $vgpr3
.LBB520_1084:
	s_delay_alu instid0(SALU_CYCLE_1)
	s_and_not1_b32 vcc_lo, exec_lo, s0
	s_cbranch_vccnz .LBB520_1086
; %bb.1085:
	global_load_b32 v3, v[0:1], off
.LBB520_1086:
	s_mov_b32 s0, 0
.LBB520_1087:
	s_delay_alu instid0(SALU_CYCLE_1)
	s_and_not1_b32 vcc_lo, exec_lo, s0
	s_cbranch_vccnz .LBB520_1089
; %bb.1088:
	global_load_u16 v3, v[0:1], off
	s_waitcnt vmcnt(0)
	v_cvt_f32_f16_e32 v3, v3
.LBB520_1089:
	s_cbranch_execnz .LBB520_1108
.LBB520_1090:
	v_cmp_gt_i16_e32 vcc_lo, 2, v9
	s_cbranch_vccnz .LBB520_1094
; %bb.1091:
	v_cmp_gt_i16_e32 vcc_lo, 3, v9
	s_cbranch_vccnz .LBB520_1095
; %bb.1092:
	v_cmp_lt_i16_e32 vcc_lo, 3, v9
	s_cbranch_vccz .LBB520_1096
; %bb.1093:
	global_load_b64 v[3:4], v[0:1], off
	s_mov_b32 s0, 0
	s_waitcnt vmcnt(0)
	v_xor_b32_e32 v5, v3, v4
	v_cls_i32_e32 v6, v4
	s_delay_alu instid0(VALU_DEP_2) | instskip(NEXT) | instid1(VALU_DEP_2)
	v_ashrrev_i32_e32 v5, 31, v5
	v_add_nc_u32_e32 v6, -1, v6
	s_delay_alu instid0(VALU_DEP_2) | instskip(NEXT) | instid1(VALU_DEP_1)
	v_add_nc_u32_e32 v5, 32, v5
	v_min_u32_e32 v5, v6, v5
	s_delay_alu instid0(VALU_DEP_1) | instskip(NEXT) | instid1(VALU_DEP_1)
	v_lshlrev_b64 v[3:4], v5, v[3:4]
	v_min_u32_e32 v3, 1, v3
	s_delay_alu instid0(VALU_DEP_1) | instskip(SKIP_1) | instid1(VALU_DEP_2)
	v_or_b32_e32 v3, v4, v3
	v_sub_nc_u32_e32 v4, 32, v5
	v_cvt_f32_i32_e32 v3, v3
	s_delay_alu instid0(VALU_DEP_1)
	v_ldexp_f32 v3, v3, v4
	s_branch .LBB520_1097
.LBB520_1094:
                                        ; implicit-def: $vgpr3
	s_branch .LBB520_1103
.LBB520_1095:
	s_mov_b32 s0, -1
                                        ; implicit-def: $vgpr3
	s_branch .LBB520_1100
.LBB520_1096:
	s_mov_b32 s0, -1
                                        ; implicit-def: $vgpr3
.LBB520_1097:
	s_delay_alu instid0(SALU_CYCLE_1)
	s_and_not1_b32 vcc_lo, exec_lo, s0
	s_cbranch_vccnz .LBB520_1099
; %bb.1098:
	global_load_b32 v3, v[0:1], off
	s_waitcnt vmcnt(0)
	v_cvt_f32_i32_e32 v3, v3
.LBB520_1099:
	s_mov_b32 s0, 0
.LBB520_1100:
	s_delay_alu instid0(SALU_CYCLE_1)
	s_and_not1_b32 vcc_lo, exec_lo, s0
	s_cbranch_vccnz .LBB520_1102
; %bb.1101:
	global_load_i16 v3, v[0:1], off
	s_waitcnt vmcnt(0)
	v_cvt_f32_i32_e32 v3, v3
.LBB520_1102:
	s_cbranch_execnz .LBB520_1108
.LBB520_1103:
	v_cmp_lt_i16_e32 vcc_lo, 0, v9
	s_mov_b32 s0, 0
	s_cbranch_vccz .LBB520_1105
; %bb.1104:
	global_load_i8 v3, v[0:1], off
	s_waitcnt vmcnt(0)
	v_cvt_f32_i32_e32 v3, v3
	s_branch .LBB520_1106
.LBB520_1105:
	s_mov_b32 s0, -1
                                        ; implicit-def: $vgpr3
.LBB520_1106:
	s_delay_alu instid0(SALU_CYCLE_1)
	s_and_not1_b32 vcc_lo, exec_lo, s0
	s_cbranch_vccnz .LBB520_1108
; %bb.1107:
	global_load_u8 v0, v[0:1], off
	s_waitcnt vmcnt(0)
	v_cvt_f32_ubyte0_e32 v3, v0
.LBB520_1108:
	s_branch .LBB520_1177
.LBB520_1109:
	s_trap 2
	s_sendmsg_rtn_b32 s0, sendmsg(MSG_RTN_GET_DOORBELL)
	s_mov_b32 ttmp2, m0
	s_waitcnt lgkmcnt(0)
	s_and_b32 s0, s0, 0x3ff
	s_delay_alu instid0(SALU_CYCLE_1) | instskip(NEXT) | instid1(SALU_CYCLE_1)
	s_bitset1_b32 s0, 10
	s_mov_b32 m0, s0
	s_sendmsg sendmsg(MSG_INTERRUPT)
	s_mov_b32 m0, ttmp2
.LBB520_1110:                           ; =>This Inner Loop Header: Depth=1
	s_sethalt 5
	s_branch .LBB520_1110
.LBB520_1111:
	s_mov_b32 s0, -1
	s_mov_b32 s15, 0
.LBB520_1112:
                                        ; implicit-def: $vgpr3
.LBB520_1113:
	s_and_b32 vcc_lo, exec_lo, s1
	s_cbranch_vccz .LBB520_1116
; %bb.1114:
	v_cmp_eq_u16_e32 vcc_lo, 44, v9
	s_cbranch_vccz .LBB520_1117
; %bb.1115:
	global_load_u8 v3, v[0:1], off
	s_mov_b32 s0, 0
	s_mov_b32 s15, -1
	s_waitcnt vmcnt(0)
	v_lshlrev_b32_e32 v4, 23, v3
	v_cmp_ne_u32_e32 vcc_lo, 0xff, v3
	s_delay_alu instid0(VALU_DEP_2) | instskip(SKIP_1) | instid1(VALU_DEP_2)
	v_cndmask_b32_e32 v4, 0x7f800001, v4, vcc_lo
	v_cmp_ne_u32_e32 vcc_lo, 0, v3
	v_cndmask_b32_e32 v3, 0x400000, v4, vcc_lo
.LBB520_1116:
	s_branch .LBB520_1121
.LBB520_1117:
	s_mov_b32 s0, -1
                                        ; implicit-def: $vgpr3
	s_branch .LBB520_1121
.LBB520_1118:
	v_cmp_eq_u16_e32 vcc_lo, 29, v9
	s_cbranch_vccz .LBB520_1120
; %bb.1119:
	global_load_b64 v[3:4], v[0:1], off
	s_mov_b32 s0, 0
	s_mov_b32 s15, -1
	s_mov_b32 s1, 0
	s_waitcnt vmcnt(0)
	v_clz_i32_u32_e32 v5, v4
	s_delay_alu instid0(VALU_DEP_1) | instskip(NEXT) | instid1(VALU_DEP_1)
	v_min_u32_e32 v5, 32, v5
	v_lshlrev_b64 v[3:4], v5, v[3:4]
	s_delay_alu instid0(VALU_DEP_1) | instskip(NEXT) | instid1(VALU_DEP_1)
	v_min_u32_e32 v3, 1, v3
	v_or_b32_e32 v3, v4, v3
	v_sub_nc_u32_e32 v4, 32, v5
	s_delay_alu instid0(VALU_DEP_2) | instskip(NEXT) | instid1(VALU_DEP_1)
	v_cvt_f32_u32_e32 v3, v3
	v_ldexp_f32 v3, v3, v4
	s_branch .LBB520_1122
.LBB520_1120:
	s_mov_b32 s0, -1
                                        ; implicit-def: $vgpr3
.LBB520_1121:
	s_mov_b32 s1, 0
.LBB520_1122:
	s_delay_alu instid0(SALU_CYCLE_1)
	s_and_b32 vcc_lo, exec_lo, s1
	s_cbranch_vccz .LBB520_1140
; %bb.1123:
	v_cmp_gt_i16_e32 vcc_lo, 27, v9
	s_cbranch_vccnz .LBB520_1126
; %bb.1124:
	v_cmp_lt_i16_e32 vcc_lo, 27, v9
	s_cbranch_vccz .LBB520_1127
; %bb.1125:
	global_load_b32 v3, v[0:1], off
	s_mov_b32 s1, 0
	s_waitcnt vmcnt(0)
	v_cvt_f32_u32_e32 v3, v3
	s_branch .LBB520_1128
.LBB520_1126:
	s_mov_b32 s1, -1
                                        ; implicit-def: $vgpr3
	s_branch .LBB520_1131
.LBB520_1127:
	s_mov_b32 s1, -1
                                        ; implicit-def: $vgpr3
.LBB520_1128:
	s_delay_alu instid0(SALU_CYCLE_1)
	s_and_not1_b32 vcc_lo, exec_lo, s1
	s_cbranch_vccnz .LBB520_1130
; %bb.1129:
	global_load_u16 v3, v[0:1], off
	s_waitcnt vmcnt(0)
	v_cvt_f32_u32_e32 v3, v3
.LBB520_1130:
	s_mov_b32 s1, 0
.LBB520_1131:
	s_delay_alu instid0(SALU_CYCLE_1)
	s_and_not1_b32 vcc_lo, exec_lo, s1
	s_cbranch_vccnz .LBB520_1139
; %bb.1132:
	global_load_u8 v4, v[0:1], off
	s_mov_b32 s1, 0
	s_mov_b32 s16, exec_lo
                                        ; implicit-def: $sgpr15
	s_waitcnt vmcnt(0)
	v_cmpx_lt_i16_e32 0x7f, v4
	s_xor_b32 s16, exec_lo, s16
	s_cbranch_execz .LBB520_1152
; %bb.1133:
	s_mov_b32 s1, -1
	s_mov_b32 s17, exec_lo
                                        ; implicit-def: $sgpr15
	v_cmpx_eq_u16_e32 0x80, v4
; %bb.1134:
	s_mov_b32 s15, 0x7f800001
	s_xor_b32 s1, exec_lo, -1
; %bb.1135:
	s_or_b32 exec_lo, exec_lo, s17
	s_delay_alu instid0(SALU_CYCLE_1)
	s_and_b32 s1, s1, exec_lo
	s_or_saveexec_b32 s16, s16
	v_mov_b32_e32 v3, s15
	s_xor_b32 exec_lo, exec_lo, s16
	s_cbranch_execnz .LBB520_1153
.LBB520_1136:
	s_or_b32 exec_lo, exec_lo, s16
	s_and_saveexec_b32 s15, s1
	s_cbranch_execz .LBB520_1138
.LBB520_1137:
	v_and_b32_e32 v3, 0xffff, v4
	s_delay_alu instid0(VALU_DEP_1) | instskip(NEXT) | instid1(VALU_DEP_1)
	v_and_b32_e32 v5, 7, v3
	v_clz_i32_u32_e32 v6, v5
	s_delay_alu instid0(VALU_DEP_1) | instskip(NEXT) | instid1(VALU_DEP_1)
	v_min_u32_e32 v6, 32, v6
	v_subrev_nc_u32_e32 v7, 28, v6
	v_sub_nc_u32_e32 v6, 29, v6
	s_delay_alu instid0(VALU_DEP_2) | instskip(SKIP_1) | instid1(VALU_DEP_2)
	v_lshlrev_b32_e32 v7, v7, v3
	v_bfe_u32 v3, v3, 3, 4
	v_and_b32_e32 v7, 7, v7
	s_delay_alu instid0(VALU_DEP_2) | instskip(SKIP_1) | instid1(VALU_DEP_1)
	v_cmp_eq_u32_e32 vcc_lo, 0, v3
	v_dual_cndmask_b32 v3, v3, v6 :: v_dual_lshlrev_b32 v4, 24, v4
	v_dual_cndmask_b32 v5, v5, v7 :: v_dual_and_b32 v4, 0x80000000, v4
	s_delay_alu instid0(VALU_DEP_2) | instskip(NEXT) | instid1(VALU_DEP_2)
	v_lshl_add_u32 v3, v3, 23, 0x3b800000
	v_lshlrev_b32_e32 v5, 20, v5
	s_delay_alu instid0(VALU_DEP_1)
	v_or3_b32 v3, v4, v3, v5
.LBB520_1138:
	s_or_b32 exec_lo, exec_lo, s15
.LBB520_1139:
	s_mov_b32 s15, -1
.LBB520_1140:
	s_branch .LBB520_1172
.LBB520_1141:
	v_cmp_lt_i16_e32 vcc_lo, 22, v9
	s_cbranch_vccz .LBB520_1151
; %bb.1142:
	v_cmp_gt_i16_e32 vcc_lo, 24, v9
	s_cbranch_vccnz .LBB520_1154
; %bb.1143:
	v_cmp_lt_i16_e32 vcc_lo, 24, v9
	s_cbranch_vccz .LBB520_1155
; %bb.1144:
	global_load_u8 v4, v[0:1], off
	s_mov_b32 s1, 0
	s_mov_b32 s15, exec_lo
                                        ; implicit-def: $sgpr14
	s_waitcnt vmcnt(0)
	v_cmpx_lt_i16_e32 0x7f, v4
	s_xor_b32 s15, exec_lo, s15
	s_cbranch_execz .LBB520_1166
; %bb.1145:
	s_mov_b32 s1, -1
	s_mov_b32 s16, exec_lo
                                        ; implicit-def: $sgpr14
	v_cmpx_eq_u16_e32 0x80, v4
; %bb.1146:
	s_mov_b32 s14, 0x7f800001
	s_xor_b32 s1, exec_lo, -1
; %bb.1147:
	s_or_b32 exec_lo, exec_lo, s16
	s_delay_alu instid0(SALU_CYCLE_1)
	s_and_b32 s1, s1, exec_lo
	s_or_saveexec_b32 s15, s15
	v_mov_b32_e32 v3, s14
	s_xor_b32 exec_lo, exec_lo, s15
	s_cbranch_execnz .LBB520_1167
.LBB520_1148:
	s_or_b32 exec_lo, exec_lo, s15
	s_and_saveexec_b32 s14, s1
	s_cbranch_execz .LBB520_1150
.LBB520_1149:
	v_and_b32_e32 v3, 0xffff, v4
	s_delay_alu instid0(VALU_DEP_1) | instskip(NEXT) | instid1(VALU_DEP_1)
	v_and_b32_e32 v5, 3, v3
	v_clz_i32_u32_e32 v6, v5
	s_delay_alu instid0(VALU_DEP_1) | instskip(NEXT) | instid1(VALU_DEP_1)
	v_min_u32_e32 v6, 32, v6
	v_subrev_nc_u32_e32 v7, 29, v6
	v_sub_nc_u32_e32 v6, 30, v6
	s_delay_alu instid0(VALU_DEP_2) | instskip(SKIP_1) | instid1(VALU_DEP_2)
	v_lshlrev_b32_e32 v7, v7, v3
	v_bfe_u32 v3, v3, 2, 5
	v_and_b32_e32 v7, 3, v7
	s_delay_alu instid0(VALU_DEP_2) | instskip(SKIP_1) | instid1(VALU_DEP_1)
	v_cmp_eq_u32_e32 vcc_lo, 0, v3
	v_dual_cndmask_b32 v3, v3, v6 :: v_dual_lshlrev_b32 v4, 24, v4
	v_dual_cndmask_b32 v5, v5, v7 :: v_dual_and_b32 v4, 0x80000000, v4
	s_delay_alu instid0(VALU_DEP_2) | instskip(NEXT) | instid1(VALU_DEP_2)
	v_lshl_add_u32 v3, v3, 23, 0x37800000
	v_lshlrev_b32_e32 v5, 21, v5
	s_delay_alu instid0(VALU_DEP_1)
	v_or3_b32 v3, v4, v3, v5
.LBB520_1150:
	s_or_b32 exec_lo, exec_lo, s14
	s_mov_b32 s1, 0
	s_branch .LBB520_1156
.LBB520_1151:
                                        ; implicit-def: $vgpr3
	s_mov_b32 s14, 0
	s_branch .LBB520_1162
.LBB520_1152:
	s_or_saveexec_b32 s16, s16
	v_mov_b32_e32 v3, s15
	s_xor_b32 exec_lo, exec_lo, s16
	s_cbranch_execz .LBB520_1136
.LBB520_1153:
	v_cmp_ne_u16_e32 vcc_lo, 0, v4
	v_mov_b32_e32 v3, 0
	s_and_not1_b32 s1, s1, exec_lo
	s_and_b32 s15, vcc_lo, exec_lo
	s_delay_alu instid0(SALU_CYCLE_1)
	s_or_b32 s1, s1, s15
	s_or_b32 exec_lo, exec_lo, s16
	s_and_saveexec_b32 s15, s1
	s_cbranch_execnz .LBB520_1137
	s_branch .LBB520_1138
.LBB520_1154:
	s_mov_b32 s1, -1
                                        ; implicit-def: $vgpr3
	s_branch .LBB520_1159
.LBB520_1155:
	s_mov_b32 s1, -1
                                        ; implicit-def: $vgpr3
.LBB520_1156:
	s_delay_alu instid0(SALU_CYCLE_1)
	s_and_b32 vcc_lo, exec_lo, s1
	s_cbranch_vccz .LBB520_1158
; %bb.1157:
	global_load_u8 v3, v[0:1], off
	s_waitcnt vmcnt(0)
	v_lshlrev_b32_e32 v3, 24, v3
	s_delay_alu instid0(VALU_DEP_1) | instskip(NEXT) | instid1(VALU_DEP_1)
	v_and_b32_e32 v4, 0x7f000000, v3
	v_clz_i32_u32_e32 v5, v4
	v_add_nc_u32_e32 v7, 0x1000000, v4
	v_cmp_ne_u32_e32 vcc_lo, 0, v4
	s_delay_alu instid0(VALU_DEP_3) | instskip(NEXT) | instid1(VALU_DEP_1)
	v_min_u32_e32 v5, 32, v5
	v_sub_nc_u32_e64 v5, v5, 4 clamp
	s_delay_alu instid0(VALU_DEP_1) | instskip(SKIP_1) | instid1(VALU_DEP_2)
	v_lshlrev_b32_e32 v6, v5, v4
	v_lshlrev_b32_e32 v5, 23, v5
	v_lshrrev_b32_e32 v6, 4, v6
	s_delay_alu instid0(VALU_DEP_1) | instskip(SKIP_1) | instid1(VALU_DEP_2)
	v_sub_nc_u32_e32 v5, v6, v5
	v_ashrrev_i32_e32 v6, 8, v7
	v_add_nc_u32_e32 v5, 0x3c000000, v5
	s_delay_alu instid0(VALU_DEP_1) | instskip(NEXT) | instid1(VALU_DEP_1)
	v_and_or_b32 v5, 0x7f800000, v6, v5
	v_cndmask_b32_e32 v4, 0, v5, vcc_lo
	s_delay_alu instid0(VALU_DEP_1)
	v_and_or_b32 v3, 0x80000000, v3, v4
.LBB520_1158:
	s_mov_b32 s1, 0
.LBB520_1159:
	s_delay_alu instid0(SALU_CYCLE_1)
	s_and_not1_b32 vcc_lo, exec_lo, s1
	s_cbranch_vccnz .LBB520_1161
; %bb.1160:
	global_load_u8 v3, v[0:1], off
	s_waitcnt vmcnt(0)
	v_lshlrev_b32_e32 v4, 25, v3
	v_lshlrev_b16 v3, 8, v3
	s_delay_alu instid0(VALU_DEP_2) | instskip(NEXT) | instid1(VALU_DEP_2)
	v_lshrrev_b32_e32 v5, 4, v4
	v_and_or_b32 v6, 0x7f00, v3, 0.5
	v_bfe_i32 v3, v3, 0, 16
	s_delay_alu instid0(VALU_DEP_3) | instskip(NEXT) | instid1(VALU_DEP_1)
	v_or_b32_e32 v5, 0x70000000, v5
	v_dual_add_f32 v6, -0.5, v6 :: v_dual_mul_f32 v5, 0x7800000, v5
	v_cmp_gt_u32_e32 vcc_lo, 0x8000000, v4
	s_delay_alu instid0(VALU_DEP_2) | instskip(NEXT) | instid1(VALU_DEP_1)
	v_cndmask_b32_e32 v4, v5, v6, vcc_lo
	v_and_or_b32 v3, 0x80000000, v3, v4
.LBB520_1161:
	s_mov_b32 s15, -1
	s_mov_b32 s14, 0
	s_cbranch_execnz .LBB520_1172
.LBB520_1162:
	v_cmp_lt_i16_e32 vcc_lo, 14, v9
	s_cbranch_vccz .LBB520_1165
; %bb.1163:
	v_cmp_eq_u16_e32 vcc_lo, 15, v9
	s_cbranch_vccz .LBB520_1168
; %bb.1164:
	global_load_u16 v3, v[0:1], off
	s_mov_b32 s0, 0
	s_mov_b32 s15, -1
	s_waitcnt vmcnt(0)
	v_lshlrev_b32_e32 v3, 16, v3
	s_branch .LBB520_1169
.LBB520_1165:
	s_mov_b32 s1, -1
                                        ; implicit-def: $vgpr3
	s_branch .LBB520_1170
.LBB520_1166:
	s_or_saveexec_b32 s15, s15
	v_mov_b32_e32 v3, s14
	s_xor_b32 exec_lo, exec_lo, s15
	s_cbranch_execz .LBB520_1148
.LBB520_1167:
	v_cmp_ne_u16_e32 vcc_lo, 0, v4
	v_mov_b32_e32 v3, 0
	s_and_not1_b32 s1, s1, exec_lo
	s_and_b32 s14, vcc_lo, exec_lo
	s_delay_alu instid0(SALU_CYCLE_1)
	s_or_b32 s1, s1, s14
	s_or_b32 exec_lo, exec_lo, s15
	s_and_saveexec_b32 s14, s1
	s_cbranch_execnz .LBB520_1149
	s_branch .LBB520_1150
.LBB520_1168:
	s_mov_b32 s0, -1
                                        ; implicit-def: $vgpr3
.LBB520_1169:
	s_mov_b32 s1, 0
.LBB520_1170:
	s_delay_alu instid0(SALU_CYCLE_1)
	s_and_b32 vcc_lo, exec_lo, s1
	s_cbranch_vccz .LBB520_1172
; %bb.1171:
	v_cmp_ne_u16_e64 s0, 11, v9
	s_mov_b32 s14, -1
                                        ; implicit-def: $vgpr3
.LBB520_1172:
	s_delay_alu instid0(VALU_DEP_1)
	s_and_b32 vcc_lo, exec_lo, s0
	s_mov_b32 s1, s13
	s_cbranch_vccnz .LBB520_1200
; %bb.1173:
	s_and_not1_b32 vcc_lo, exec_lo, s14
	s_cbranch_vccnz .LBB520_1175
.LBB520_1174:
	global_load_u8 v3, v[0:1], off
	s_mov_b32 s15, -1
	s_waitcnt vmcnt(0)
	v_cmp_ne_u16_e32 vcc_lo, 0, v3
	v_cndmask_b32_e64 v3, 0, 1.0, vcc_lo
.LBB520_1175:
.LBB520_1176:
	s_and_not1_b32 vcc_lo, exec_lo, s15
	s_cbranch_vccnz .LBB520_1673
.LBB520_1177:
	v_mov_b32_e32 v1, s10
	s_mov_b32 s0, exec_lo
	s_waitcnt vmcnt(0)
	s_delay_alu instid0(VALU_DEP_2)
	v_cmpx_o_f32_e32 v3, v3
	s_cbranch_execz .LBB520_1181
; %bb.1178:
	v_mov_b32_e32 v1, s11
	s_mov_b32 s14, exec_lo
	v_cmpx_neq_f32_e32 0x7f800000, v3
; %bb.1179:
	v_cmp_eq_f32_e32 vcc_lo, 0xff800000, v3
	v_cndmask_b32_e64 v1, v3, s2, vcc_lo
; %bb.1180:
	s_or_b32 exec_lo, exec_lo, s14
.LBB520_1181:
	s_delay_alu instid0(SALU_CYCLE_1) | instskip(SKIP_3) | instid1(VALU_DEP_1)
	s_or_b32 exec_lo, exec_lo, s0
	s_lshl_b32 s9, s9, 7
	v_cmp_gt_i16_e32 vcc_lo, 11, v9
	v_add_nc_u32_e32 v0, s9, v2
	v_ashrrev_i32_e32 v3, 31, v0
	v_add_co_u32 v2, s0, s6, v0
	s_delay_alu instid0(VALU_DEP_1)
	v_add_co_ci_u32_e64 v3, s0, s7, v3, s0
	s_cbranch_vccnz .LBB520_1188
; %bb.1182:
	v_cmp_lt_i16_e32 vcc_lo, 25, v9
	s_mov_b32 s14, 0
	s_cbranch_vccz .LBB520_1194
; %bb.1183:
	v_cmp_lt_i16_e32 vcc_lo, 28, v9
	s_cbranch_vccz .LBB520_1196
; %bb.1184:
	v_cmp_lt_i16_e32 vcc_lo, 43, v9
	;; [unrolled: 3-line block ×3, first 2 shown]
	s_cbranch_vccz .LBB520_1204
; %bb.1186:
	v_cmp_eq_u16_e32 vcc_lo, 46, v9
	s_mov_b32 s16, 0
	s_cbranch_vccz .LBB520_1248
; %bb.1187:
	global_load_b32 v4, v[2:3], off
	s_mov_b32 s0, 0
	s_mov_b32 s15, -1
	s_waitcnt vmcnt(0)
	v_lshlrev_b32_e32 v4, 16, v4
	s_branch .LBB520_1250
.LBB520_1188:
	s_mov_b32 s15, 0
                                        ; implicit-def: $vgpr4
	s_cbranch_execz .LBB520_1315
; %bb.1189:
	v_cmp_gt_i16_e32 vcc_lo, 5, v9
	s_cbranch_vccnz .LBB520_1195
; %bb.1190:
	v_cmp_gt_i16_e32 vcc_lo, 8, v9
	s_cbranch_vccnz .LBB520_1197
; %bb.1191:
	v_cmp_gt_i16_e32 vcc_lo, 9, v9
	s_cbranch_vccnz .LBB520_1199
; %bb.1192:
	v_cmp_lt_i16_e32 vcc_lo, 9, v9
	s_cbranch_vccz .LBB520_1205
; %bb.1193:
	global_load_b64 v[4:5], v[2:3], off
	s_mov_b32 s0, 0
	s_waitcnt vmcnt(0)
	v_cvt_f32_f64_e32 v4, v[4:5]
	s_branch .LBB520_1206
.LBB520_1194:
	s_mov_b32 s15, 0
	s_mov_b32 s0, 0
                                        ; implicit-def: $vgpr4
	s_cbranch_execnz .LBB520_1279
	s_branch .LBB520_1311
.LBB520_1195:
                                        ; implicit-def: $vgpr4
	s_branch .LBB520_1224
.LBB520_1196:
	s_mov_b32 s16, -1
	s_mov_b32 s15, 0
	s_mov_b32 s0, 0
                                        ; implicit-def: $vgpr4
	s_branch .LBB520_1260
.LBB520_1197:
	s_mov_b32 s0, -1
                                        ; implicit-def: $vgpr4
	s_branch .LBB520_1212
.LBB520_1198:
	s_mov_b32 s16, -1
	s_mov_b32 s15, 0
	s_mov_b32 s0, 0
                                        ; implicit-def: $vgpr4
	s_branch .LBB520_1255
.LBB520_1199:
	s_mov_b32 s0, -1
                                        ; implicit-def: $vgpr4
	s_branch .LBB520_1209
.LBB520_1200:
	s_cbranch_execnz .LBB520_1244
; %bb.1201:
	s_or_b32 s1, s13, exec_lo
                                        ; implicit-def: $vgpr3
	s_cbranch_execz .LBB520_1174
	s_branch .LBB520_1175
.LBB520_1202:
	s_or_saveexec_b32 s18, s18
                                        ; implicit-def: $sgpr19
	s_delay_alu instid0(SALU_CYCLE_1)
	s_xor_b32 exec_lo, exec_lo, s18
	s_cbranch_execz .LBB520_960
.LBB520_1203:
	v_add_f32_e64 v1, 0x46000000, |v0|
	s_and_not1_b32 s17, s17, exec_lo
	s_mov_b32 s19, 0
	s_delay_alu instid0(VALU_DEP_1) | instskip(NEXT) | instid1(VALU_DEP_1)
	v_and_b32_e32 v1, 0xff, v1
	v_cmp_ne_u32_e32 vcc_lo, 0, v1
	s_and_b32 s20, vcc_lo, exec_lo
	s_delay_alu instid0(SALU_CYCLE_1)
	s_or_b32 s17, s17, s20
	s_or_b32 exec_lo, exec_lo, s18
	v_mov_b32_e32 v5, s19
	s_and_saveexec_b32 s18, s17
	s_cbranch_execnz .LBB520_961
	s_branch .LBB520_962
.LBB520_1204:
	s_mov_b32 s16, -1
	s_mov_b32 s15, 0
	s_mov_b32 s0, 0
	s_branch .LBB520_1249
.LBB520_1205:
	s_mov_b32 s0, -1
                                        ; implicit-def: $vgpr4
.LBB520_1206:
	s_delay_alu instid0(SALU_CYCLE_1)
	s_and_not1_b32 vcc_lo, exec_lo, s0
	s_cbranch_vccnz .LBB520_1208
; %bb.1207:
	global_load_b32 v4, v[2:3], off
.LBB520_1208:
	s_mov_b32 s0, 0
.LBB520_1209:
	s_delay_alu instid0(SALU_CYCLE_1)
	s_and_not1_b32 vcc_lo, exec_lo, s0
	s_cbranch_vccnz .LBB520_1211
; %bb.1210:
	global_load_b32 v4, v[2:3], off
	s_waitcnt vmcnt(0)
	v_cvt_f32_f16_e32 v4, v4
.LBB520_1211:
	s_mov_b32 s0, 0
.LBB520_1212:
	s_delay_alu instid0(SALU_CYCLE_1)
	s_and_not1_b32 vcc_lo, exec_lo, s0
	s_cbranch_vccnz .LBB520_1223
; %bb.1213:
	v_cmp_gt_i16_e32 vcc_lo, 6, v9
	s_cbranch_vccnz .LBB520_1216
; %bb.1214:
	v_cmp_lt_i16_e32 vcc_lo, 6, v9
	s_cbranch_vccz .LBB520_1217
; %bb.1215:
	global_load_b64 v[4:5], v[2:3], off
	s_mov_b32 s0, 0
	s_waitcnt vmcnt(0)
	v_cvt_f32_f64_e32 v4, v[4:5]
	s_branch .LBB520_1218
.LBB520_1216:
	s_mov_b32 s0, -1
                                        ; implicit-def: $vgpr4
	s_branch .LBB520_1221
.LBB520_1217:
	s_mov_b32 s0, -1
                                        ; implicit-def: $vgpr4
.LBB520_1218:
	s_delay_alu instid0(SALU_CYCLE_1)
	s_and_not1_b32 vcc_lo, exec_lo, s0
	s_cbranch_vccnz .LBB520_1220
; %bb.1219:
	global_load_b32 v4, v[2:3], off
.LBB520_1220:
	s_mov_b32 s0, 0
.LBB520_1221:
	s_delay_alu instid0(SALU_CYCLE_1)
	s_and_not1_b32 vcc_lo, exec_lo, s0
	s_cbranch_vccnz .LBB520_1223
; %bb.1222:
	global_load_u16 v4, v[2:3], off
	s_waitcnt vmcnt(0)
	v_cvt_f32_f16_e32 v4, v4
.LBB520_1223:
	s_cbranch_execnz .LBB520_1243
.LBB520_1224:
	v_cmp_gt_i16_e32 vcc_lo, 2, v9
	s_cbranch_vccnz .LBB520_1228
; %bb.1225:
	v_cmp_gt_i16_e32 vcc_lo, 3, v9
	s_cbranch_vccnz .LBB520_1229
; %bb.1226:
	v_cmp_lt_i16_e32 vcc_lo, 3, v9
	s_cbranch_vccz .LBB520_1230
; %bb.1227:
	global_load_b64 v[4:5], v[2:3], off
	s_mov_b32 s0, 0
	s_waitcnt vmcnt(0)
	v_xor_b32_e32 v6, v4, v5
	v_cls_i32_e32 v7, v5
	s_delay_alu instid0(VALU_DEP_2) | instskip(NEXT) | instid1(VALU_DEP_2)
	v_ashrrev_i32_e32 v6, 31, v6
	v_add_nc_u32_e32 v7, -1, v7
	s_delay_alu instid0(VALU_DEP_2) | instskip(NEXT) | instid1(VALU_DEP_1)
	v_add_nc_u32_e32 v6, 32, v6
	v_min_u32_e32 v6, v7, v6
	s_delay_alu instid0(VALU_DEP_1) | instskip(NEXT) | instid1(VALU_DEP_1)
	v_lshlrev_b64 v[4:5], v6, v[4:5]
	v_min_u32_e32 v4, 1, v4
	s_delay_alu instid0(VALU_DEP_1) | instskip(SKIP_1) | instid1(VALU_DEP_2)
	v_or_b32_e32 v4, v5, v4
	v_sub_nc_u32_e32 v5, 32, v6
	v_cvt_f32_i32_e32 v4, v4
	s_delay_alu instid0(VALU_DEP_1)
	v_ldexp_f32 v4, v4, v5
	s_branch .LBB520_1231
.LBB520_1228:
	s_mov_b32 s0, -1
                                        ; implicit-def: $vgpr4
	s_branch .LBB520_1237
.LBB520_1229:
	s_mov_b32 s0, -1
                                        ; implicit-def: $vgpr4
	s_branch .LBB520_1234
.LBB520_1230:
	s_mov_b32 s0, -1
                                        ; implicit-def: $vgpr4
.LBB520_1231:
	s_delay_alu instid0(SALU_CYCLE_1)
	s_and_not1_b32 vcc_lo, exec_lo, s0
	s_cbranch_vccnz .LBB520_1233
; %bb.1232:
	global_load_b32 v4, v[2:3], off
	s_waitcnt vmcnt(0)
	v_cvt_f32_i32_e32 v4, v4
.LBB520_1233:
	s_mov_b32 s0, 0
.LBB520_1234:
	s_delay_alu instid0(SALU_CYCLE_1)
	s_and_not1_b32 vcc_lo, exec_lo, s0
	s_cbranch_vccnz .LBB520_1236
; %bb.1235:
	global_load_i16 v4, v[2:3], off
	s_waitcnt vmcnt(0)
	v_cvt_f32_i32_e32 v4, v4
.LBB520_1236:
	s_mov_b32 s0, 0
.LBB520_1237:
	s_delay_alu instid0(SALU_CYCLE_1)
	s_and_not1_b32 vcc_lo, exec_lo, s0
	s_cbranch_vccnz .LBB520_1243
; %bb.1238:
	v_cmp_lt_i16_e32 vcc_lo, 0, v9
	s_mov_b32 s0, 0
	s_cbranch_vccz .LBB520_1240
; %bb.1239:
	global_load_i8 v4, v[2:3], off
	s_waitcnt vmcnt(0)
	v_cvt_f32_i32_e32 v4, v4
	s_branch .LBB520_1241
.LBB520_1240:
	s_mov_b32 s0, -1
                                        ; implicit-def: $vgpr4
.LBB520_1241:
	s_delay_alu instid0(SALU_CYCLE_1)
	s_and_not1_b32 vcc_lo, exec_lo, s0
	s_cbranch_vccnz .LBB520_1243
; %bb.1242:
	global_load_u8 v2, v[2:3], off
	s_waitcnt vmcnt(0)
	v_cvt_f32_ubyte0_e32 v4, v2
.LBB520_1243:
	s_branch .LBB520_1316
.LBB520_1244:
	s_trap 2
	s_sendmsg_rtn_b32 s0, sendmsg(MSG_RTN_GET_DOORBELL)
	s_mov_b32 ttmp2, m0
	s_waitcnt lgkmcnt(0)
	s_and_b32 s0, s0, 0x3ff
	s_delay_alu instid0(SALU_CYCLE_1) | instskip(NEXT) | instid1(SALU_CYCLE_1)
	s_bitset1_b32 s0, 10
	s_mov_b32 m0, s0
	s_sendmsg sendmsg(MSG_INTERRUPT)
	s_mov_b32 m0, ttmp2
.LBB520_1245:                           ; =>This Inner Loop Header: Depth=1
	s_sethalt 5
	s_branch .LBB520_1245
.LBB520_1246:
	s_or_saveexec_b32 s19, s19
                                        ; implicit-def: $sgpr20
	s_delay_alu instid0(SALU_CYCLE_1)
	s_xor_b32 exec_lo, exec_lo, s19
	s_cbranch_execz .LBB520_972
.LBB520_1247:
	v_add_f32_e64 v1, 0x42800000, |v0|
	s_and_not1_b32 s18, s18, exec_lo
	s_mov_b32 s20, 0
	s_delay_alu instid0(VALU_DEP_1) | instskip(NEXT) | instid1(VALU_DEP_1)
	v_and_b32_e32 v1, 0xff, v1
	v_cmp_ne_u32_e32 vcc_lo, 0, v1
	s_and_b32 s21, vcc_lo, exec_lo
	s_delay_alu instid0(SALU_CYCLE_1)
	s_or_b32 s18, s18, s21
	s_or_b32 exec_lo, exec_lo, s19
	v_mov_b32_e32 v5, s20
	s_and_saveexec_b32 s19, s18
	s_cbranch_execnz .LBB520_973
	s_branch .LBB520_974
.LBB520_1248:
	s_mov_b32 s0, -1
	s_mov_b32 s15, 0
.LBB520_1249:
                                        ; implicit-def: $vgpr4
.LBB520_1250:
	s_and_b32 vcc_lo, exec_lo, s16
	s_cbranch_vccz .LBB520_1254
; %bb.1251:
	v_cmp_eq_u16_e32 vcc_lo, 44, v9
	s_cbranch_vccz .LBB520_1253
; %bb.1252:
	global_load_u8 v4, v[2:3], off
	s_mov_b32 s0, 0
	s_mov_b32 s15, -1
	s_waitcnt vmcnt(0)
	v_lshlrev_b32_e32 v5, 23, v4
	v_cmp_ne_u32_e32 vcc_lo, 0xff, v4
	s_delay_alu instid0(VALU_DEP_2) | instskip(SKIP_1) | instid1(VALU_DEP_2)
	v_cndmask_b32_e32 v5, 0x7f800001, v5, vcc_lo
	v_cmp_ne_u32_e32 vcc_lo, 0, v4
	v_cndmask_b32_e32 v4, 0x400000, v5, vcc_lo
	s_branch .LBB520_1254
.LBB520_1253:
	s_mov_b32 s0, -1
                                        ; implicit-def: $vgpr4
.LBB520_1254:
	s_mov_b32 s16, 0
.LBB520_1255:
	s_delay_alu instid0(SALU_CYCLE_1)
	s_and_b32 vcc_lo, exec_lo, s16
	s_cbranch_vccz .LBB520_1259
; %bb.1256:
	v_cmp_eq_u16_e32 vcc_lo, 29, v9
	s_cbranch_vccz .LBB520_1258
; %bb.1257:
	global_load_b64 v[4:5], v[2:3], off
	s_mov_b32 s0, 0
	s_mov_b32 s15, -1
	s_mov_b32 s16, 0
	s_waitcnt vmcnt(0)
	v_clz_i32_u32_e32 v6, v5
	s_delay_alu instid0(VALU_DEP_1) | instskip(NEXT) | instid1(VALU_DEP_1)
	v_min_u32_e32 v6, 32, v6
	v_lshlrev_b64 v[4:5], v6, v[4:5]
	s_delay_alu instid0(VALU_DEP_1) | instskip(NEXT) | instid1(VALU_DEP_1)
	v_min_u32_e32 v4, 1, v4
	v_or_b32_e32 v4, v5, v4
	v_sub_nc_u32_e32 v5, 32, v6
	s_delay_alu instid0(VALU_DEP_2) | instskip(NEXT) | instid1(VALU_DEP_1)
	v_cvt_f32_u32_e32 v4, v4
	v_ldexp_f32 v4, v4, v5
	s_branch .LBB520_1260
.LBB520_1258:
	s_mov_b32 s0, -1
                                        ; implicit-def: $vgpr4
.LBB520_1259:
	s_mov_b32 s16, 0
.LBB520_1260:
	s_delay_alu instid0(SALU_CYCLE_1)
	s_and_b32 vcc_lo, exec_lo, s16
	s_cbranch_vccz .LBB520_1278
; %bb.1261:
	v_cmp_gt_i16_e32 vcc_lo, 27, v9
	s_cbranch_vccnz .LBB520_1264
; %bb.1262:
	v_cmp_lt_i16_e32 vcc_lo, 27, v9
	s_cbranch_vccz .LBB520_1265
; %bb.1263:
	global_load_b32 v4, v[2:3], off
	s_mov_b32 s15, 0
	s_waitcnt vmcnt(0)
	v_cvt_f32_u32_e32 v4, v4
	s_branch .LBB520_1266
.LBB520_1264:
	s_mov_b32 s15, -1
                                        ; implicit-def: $vgpr4
	s_branch .LBB520_1269
.LBB520_1265:
	s_mov_b32 s15, -1
                                        ; implicit-def: $vgpr4
.LBB520_1266:
	s_delay_alu instid0(SALU_CYCLE_1)
	s_and_not1_b32 vcc_lo, exec_lo, s15
	s_cbranch_vccnz .LBB520_1268
; %bb.1267:
	global_load_u16 v4, v[2:3], off
	s_waitcnt vmcnt(0)
	v_cvt_f32_u32_e32 v4, v4
.LBB520_1268:
	s_mov_b32 s15, 0
.LBB520_1269:
	s_delay_alu instid0(SALU_CYCLE_1)
	s_and_not1_b32 vcc_lo, exec_lo, s15
	s_cbranch_vccnz .LBB520_1277
; %bb.1270:
	global_load_u8 v5, v[2:3], off
	s_mov_b32 s15, 0
	s_mov_b32 s17, exec_lo
                                        ; implicit-def: $sgpr16
	s_waitcnt vmcnt(0)
	v_cmpx_lt_i16_e32 0x7f, v5
	s_xor_b32 s17, exec_lo, s17
	s_cbranch_execz .LBB520_1290
; %bb.1271:
	s_mov_b32 s15, -1
	s_mov_b32 s18, exec_lo
                                        ; implicit-def: $sgpr16
	v_cmpx_eq_u16_e32 0x80, v5
; %bb.1272:
	s_mov_b32 s16, 0x7f800001
	s_xor_b32 s15, exec_lo, -1
; %bb.1273:
	s_or_b32 exec_lo, exec_lo, s18
	s_delay_alu instid0(SALU_CYCLE_1)
	s_and_b32 s15, s15, exec_lo
	s_or_saveexec_b32 s17, s17
	v_mov_b32_e32 v4, s16
	s_xor_b32 exec_lo, exec_lo, s17
	s_cbranch_execnz .LBB520_1291
.LBB520_1274:
	s_or_b32 exec_lo, exec_lo, s17
	s_and_saveexec_b32 s16, s15
	s_cbranch_execz .LBB520_1276
.LBB520_1275:
	v_and_b32_e32 v4, 0xffff, v5
	s_delay_alu instid0(VALU_DEP_1) | instskip(NEXT) | instid1(VALU_DEP_1)
	v_and_b32_e32 v6, 7, v4
	v_clz_i32_u32_e32 v7, v6
	s_delay_alu instid0(VALU_DEP_1) | instskip(NEXT) | instid1(VALU_DEP_1)
	v_min_u32_e32 v7, 32, v7
	v_subrev_nc_u32_e32 v10, 28, v7
	v_sub_nc_u32_e32 v7, 29, v7
	s_delay_alu instid0(VALU_DEP_2) | instskip(SKIP_1) | instid1(VALU_DEP_2)
	v_lshlrev_b32_e32 v10, v10, v4
	v_bfe_u32 v4, v4, 3, 4
	v_and_b32_e32 v10, 7, v10
	s_delay_alu instid0(VALU_DEP_2) | instskip(SKIP_1) | instid1(VALU_DEP_1)
	v_cmp_eq_u32_e32 vcc_lo, 0, v4
	v_dual_cndmask_b32 v4, v4, v7 :: v_dual_lshlrev_b32 v5, 24, v5
	v_dual_cndmask_b32 v6, v6, v10 :: v_dual_and_b32 v5, 0x80000000, v5
	s_delay_alu instid0(VALU_DEP_2) | instskip(NEXT) | instid1(VALU_DEP_2)
	v_lshl_add_u32 v4, v4, 23, 0x3b800000
	v_lshlrev_b32_e32 v6, 20, v6
	s_delay_alu instid0(VALU_DEP_1)
	v_or3_b32 v4, v5, v4, v6
.LBB520_1276:
	s_or_b32 exec_lo, exec_lo, s16
.LBB520_1277:
	s_mov_b32 s15, -1
.LBB520_1278:
	s_branch .LBB520_1311
.LBB520_1279:
	v_cmp_lt_i16_e32 vcc_lo, 22, v9
	s_cbranch_vccz .LBB520_1289
; %bb.1280:
	v_cmp_gt_i16_e32 vcc_lo, 24, v9
	s_cbranch_vccnz .LBB520_1292
; %bb.1281:
	v_cmp_lt_i16_e32 vcc_lo, 24, v9
	s_cbranch_vccz .LBB520_1293
; %bb.1282:
	global_load_u8 v5, v[2:3], off
	s_mov_b32 s16, exec_lo
                                        ; implicit-def: $sgpr15
	s_waitcnt vmcnt(0)
	v_cmpx_lt_i16_e32 0x7f, v5
	s_xor_b32 s16, exec_lo, s16
	s_cbranch_execz .LBB520_1305
; %bb.1283:
	s_mov_b32 s14, -1
	s_mov_b32 s17, exec_lo
                                        ; implicit-def: $sgpr15
	v_cmpx_eq_u16_e32 0x80, v5
; %bb.1284:
	s_mov_b32 s15, 0x7f800001
	s_xor_b32 s14, exec_lo, -1
; %bb.1285:
	s_or_b32 exec_lo, exec_lo, s17
	s_delay_alu instid0(SALU_CYCLE_1)
	s_and_b32 s14, s14, exec_lo
	s_or_saveexec_b32 s16, s16
	v_mov_b32_e32 v4, s15
	s_xor_b32 exec_lo, exec_lo, s16
	s_cbranch_execnz .LBB520_1306
.LBB520_1286:
	s_or_b32 exec_lo, exec_lo, s16
	s_and_saveexec_b32 s15, s14
	s_cbranch_execz .LBB520_1288
.LBB520_1287:
	v_and_b32_e32 v4, 0xffff, v5
	s_delay_alu instid0(VALU_DEP_1) | instskip(NEXT) | instid1(VALU_DEP_1)
	v_and_b32_e32 v6, 3, v4
	v_clz_i32_u32_e32 v7, v6
	s_delay_alu instid0(VALU_DEP_1) | instskip(NEXT) | instid1(VALU_DEP_1)
	v_min_u32_e32 v7, 32, v7
	v_subrev_nc_u32_e32 v10, 29, v7
	v_sub_nc_u32_e32 v7, 30, v7
	s_delay_alu instid0(VALU_DEP_2) | instskip(SKIP_1) | instid1(VALU_DEP_2)
	v_lshlrev_b32_e32 v10, v10, v4
	v_bfe_u32 v4, v4, 2, 5
	v_and_b32_e32 v10, 3, v10
	s_delay_alu instid0(VALU_DEP_2) | instskip(SKIP_1) | instid1(VALU_DEP_1)
	v_cmp_eq_u32_e32 vcc_lo, 0, v4
	v_dual_cndmask_b32 v4, v4, v7 :: v_dual_lshlrev_b32 v5, 24, v5
	v_dual_cndmask_b32 v6, v6, v10 :: v_dual_and_b32 v5, 0x80000000, v5
	s_delay_alu instid0(VALU_DEP_2) | instskip(NEXT) | instid1(VALU_DEP_2)
	v_lshl_add_u32 v4, v4, 23, 0x37800000
	v_lshlrev_b32_e32 v6, 21, v6
	s_delay_alu instid0(VALU_DEP_1)
	v_or3_b32 v4, v5, v4, v6
.LBB520_1288:
	s_or_b32 exec_lo, exec_lo, s15
	s_mov_b32 s14, 0
	s_branch .LBB520_1294
.LBB520_1289:
	s_mov_b32 s14, -1
                                        ; implicit-def: $vgpr4
	s_branch .LBB520_1300
.LBB520_1290:
	s_or_saveexec_b32 s17, s17
	v_mov_b32_e32 v4, s16
	s_xor_b32 exec_lo, exec_lo, s17
	s_cbranch_execz .LBB520_1274
.LBB520_1291:
	v_cmp_ne_u16_e32 vcc_lo, 0, v5
	v_mov_b32_e32 v4, 0
	s_and_not1_b32 s15, s15, exec_lo
	s_and_b32 s16, vcc_lo, exec_lo
	s_delay_alu instid0(SALU_CYCLE_1)
	s_or_b32 s15, s15, s16
	s_or_b32 exec_lo, exec_lo, s17
	s_and_saveexec_b32 s16, s15
	s_cbranch_execnz .LBB520_1275
	s_branch .LBB520_1276
.LBB520_1292:
	s_mov_b32 s14, -1
                                        ; implicit-def: $vgpr4
	s_branch .LBB520_1297
.LBB520_1293:
	s_mov_b32 s14, -1
                                        ; implicit-def: $vgpr4
.LBB520_1294:
	s_delay_alu instid0(SALU_CYCLE_1)
	s_and_b32 vcc_lo, exec_lo, s14
	s_cbranch_vccz .LBB520_1296
; %bb.1295:
	global_load_u8 v4, v[2:3], off
	s_waitcnt vmcnt(0)
	v_lshlrev_b32_e32 v4, 24, v4
	s_delay_alu instid0(VALU_DEP_1) | instskip(NEXT) | instid1(VALU_DEP_1)
	v_and_b32_e32 v5, 0x7f000000, v4
	v_clz_i32_u32_e32 v6, v5
	v_add_nc_u32_e32 v10, 0x1000000, v5
	v_cmp_ne_u32_e32 vcc_lo, 0, v5
	s_delay_alu instid0(VALU_DEP_3) | instskip(NEXT) | instid1(VALU_DEP_1)
	v_min_u32_e32 v6, 32, v6
	v_sub_nc_u32_e64 v6, v6, 4 clamp
	s_delay_alu instid0(VALU_DEP_1) | instskip(SKIP_1) | instid1(VALU_DEP_2)
	v_lshlrev_b32_e32 v7, v6, v5
	v_lshlrev_b32_e32 v6, 23, v6
	v_lshrrev_b32_e32 v7, 4, v7
	s_delay_alu instid0(VALU_DEP_1) | instskip(SKIP_1) | instid1(VALU_DEP_2)
	v_sub_nc_u32_e32 v6, v7, v6
	v_ashrrev_i32_e32 v7, 8, v10
	v_add_nc_u32_e32 v6, 0x3c000000, v6
	s_delay_alu instid0(VALU_DEP_1) | instskip(NEXT) | instid1(VALU_DEP_1)
	v_and_or_b32 v6, 0x7f800000, v7, v6
	v_cndmask_b32_e32 v5, 0, v6, vcc_lo
	s_delay_alu instid0(VALU_DEP_1)
	v_and_or_b32 v4, 0x80000000, v4, v5
.LBB520_1296:
	s_mov_b32 s14, 0
.LBB520_1297:
	s_delay_alu instid0(SALU_CYCLE_1)
	s_and_not1_b32 vcc_lo, exec_lo, s14
	s_cbranch_vccnz .LBB520_1299
; %bb.1298:
	global_load_u8 v4, v[2:3], off
	s_waitcnt vmcnt(0)
	v_lshlrev_b32_e32 v5, 25, v4
	v_lshlrev_b16 v4, 8, v4
	s_delay_alu instid0(VALU_DEP_2) | instskip(NEXT) | instid1(VALU_DEP_2)
	v_lshrrev_b32_e32 v6, 4, v5
	v_and_or_b32 v7, 0x7f00, v4, 0.5
	v_bfe_i32 v4, v4, 0, 16
	s_delay_alu instid0(VALU_DEP_3) | instskip(NEXT) | instid1(VALU_DEP_1)
	v_or_b32_e32 v6, 0x70000000, v6
	v_dual_add_f32 v7, -0.5, v7 :: v_dual_mul_f32 v6, 0x7800000, v6
	v_cmp_gt_u32_e32 vcc_lo, 0x8000000, v5
	s_delay_alu instid0(VALU_DEP_2) | instskip(NEXT) | instid1(VALU_DEP_1)
	v_cndmask_b32_e32 v5, v6, v7, vcc_lo
	v_and_or_b32 v4, 0x80000000, v4, v5
.LBB520_1299:
	s_mov_b32 s14, 0
	s_mov_b32 s15, -1
.LBB520_1300:
	s_and_not1_b32 vcc_lo, exec_lo, s14
	s_mov_b32 s14, 0
	s_cbranch_vccnz .LBB520_1311
; %bb.1301:
	v_cmp_lt_i16_e32 vcc_lo, 14, v9
	s_cbranch_vccz .LBB520_1304
; %bb.1302:
	v_cmp_eq_u16_e32 vcc_lo, 15, v9
	s_cbranch_vccz .LBB520_1307
; %bb.1303:
	global_load_u16 v4, v[2:3], off
	s_mov_b32 s0, 0
	s_mov_b32 s15, -1
	s_waitcnt vmcnt(0)
	v_lshlrev_b32_e32 v4, 16, v4
	s_branch .LBB520_1309
.LBB520_1304:
	s_mov_b32 s14, -1
	s_branch .LBB520_1308
.LBB520_1305:
	s_or_saveexec_b32 s16, s16
	v_mov_b32_e32 v4, s15
	s_xor_b32 exec_lo, exec_lo, s16
	s_cbranch_execz .LBB520_1286
.LBB520_1306:
	v_cmp_ne_u16_e32 vcc_lo, 0, v5
	v_mov_b32_e32 v4, 0
	s_and_not1_b32 s14, s14, exec_lo
	s_and_b32 s15, vcc_lo, exec_lo
	s_delay_alu instid0(SALU_CYCLE_1)
	s_or_b32 s14, s14, s15
	s_or_b32 exec_lo, exec_lo, s16
	s_and_saveexec_b32 s15, s14
	s_cbranch_execnz .LBB520_1287
	s_branch .LBB520_1288
.LBB520_1307:
	s_mov_b32 s0, -1
.LBB520_1308:
                                        ; implicit-def: $vgpr4
.LBB520_1309:
	s_and_b32 vcc_lo, exec_lo, s14
	s_mov_b32 s14, 0
	s_cbranch_vccz .LBB520_1311
; %bb.1310:
	v_cmp_ne_u16_e64 s0, 11, v9
	s_mov_b32 s14, -1
                                        ; implicit-def: $vgpr4
.LBB520_1311:
	s_delay_alu instid0(VALU_DEP_1)
	s_and_b32 vcc_lo, exec_lo, s0
	s_cbranch_vccnz .LBB520_1339
; %bb.1312:
	s_and_not1_b32 vcc_lo, exec_lo, s14
	s_cbranch_vccnz .LBB520_1314
.LBB520_1313:
	global_load_u8 v4, v[2:3], off
	s_mov_b32 s15, -1
	s_waitcnt vmcnt(0)
	v_cmp_ne_u16_e32 vcc_lo, 0, v4
	v_cndmask_b32_e64 v4, 0, 1.0, vcc_lo
.LBB520_1314:
.LBB520_1315:
	s_and_not1_b32 vcc_lo, exec_lo, s15
	s_cbranch_vccnz .LBB520_1673
.LBB520_1316:
	v_mov_b32_e32 v3, s10
	s_mov_b32 s0, exec_lo
	s_waitcnt vmcnt(0)
	s_delay_alu instid0(VALU_DEP_2)
	v_cmpx_o_f32_e32 v4, v4
	s_cbranch_execz .LBB520_1320
; %bb.1317:
	v_mov_b32_e32 v3, s11
	s_mov_b32 s14, exec_lo
	v_cmpx_neq_f32_e32 0x7f800000, v4
; %bb.1318:
	v_cmp_eq_f32_e32 vcc_lo, 0xff800000, v4
	v_cndmask_b32_e64 v3, v4, s2, vcc_lo
; %bb.1319:
	s_or_b32 exec_lo, exec_lo, s14
.LBB520_1320:
	s_delay_alu instid0(SALU_CYCLE_1) | instskip(SKIP_2) | instid1(VALU_DEP_2)
	s_or_b32 exec_lo, exec_lo, s0
	v_add_nc_u32_e32 v0, s9, v0
	v_cmp_gt_i16_e32 vcc_lo, 11, v9
	v_ashrrev_i32_e32 v2, 31, v0
	v_add_co_u32 v4, s0, s6, v0
	s_delay_alu instid0(VALU_DEP_1)
	v_add_co_ci_u32_e64 v5, s0, s7, v2, s0
	s_cbranch_vccnz .LBB520_1327
; %bb.1321:
	v_cmp_lt_i16_e32 vcc_lo, 25, v9
	s_mov_b32 s14, 0
	s_cbranch_vccz .LBB520_1333
; %bb.1322:
	v_cmp_lt_i16_e32 vcc_lo, 28, v9
	s_cbranch_vccz .LBB520_1335
; %bb.1323:
	v_cmp_lt_i16_e32 vcc_lo, 43, v9
	;; [unrolled: 3-line block ×3, first 2 shown]
	s_cbranch_vccz .LBB520_1341
; %bb.1325:
	v_cmp_eq_u16_e32 vcc_lo, 46, v9
	s_mov_b32 s16, 0
	s_cbranch_vccz .LBB520_1384
; %bb.1326:
	global_load_b32 v2, v[4:5], off
	s_mov_b32 s0, 0
	s_mov_b32 s15, -1
	s_waitcnt vmcnt(0)
	v_lshlrev_b32_e32 v2, 16, v2
	s_branch .LBB520_1386
.LBB520_1327:
	s_mov_b32 s15, 0
                                        ; implicit-def: $vgpr2
	s_cbranch_execz .LBB520_1452
; %bb.1328:
	v_cmp_gt_i16_e32 vcc_lo, 5, v9
	s_cbranch_vccnz .LBB520_1334
; %bb.1329:
	v_cmp_gt_i16_e32 vcc_lo, 8, v9
	s_cbranch_vccnz .LBB520_1336
	;; [unrolled: 3-line block ×3, first 2 shown]
; %bb.1331:
	v_cmp_lt_i16_e32 vcc_lo, 9, v9
	s_cbranch_vccz .LBB520_1342
; %bb.1332:
	global_load_b64 v[6:7], v[4:5], off
	s_mov_b32 s0, 0
	s_waitcnt vmcnt(0)
	v_cvt_f32_f64_e32 v2, v[6:7]
	s_branch .LBB520_1343
.LBB520_1333:
	s_mov_b32 s16, -1
	s_mov_b32 s15, 0
	s_mov_b32 s0, 0
                                        ; implicit-def: $vgpr2
	s_branch .LBB520_1415
.LBB520_1334:
	s_mov_b32 s0, -1
                                        ; implicit-def: $vgpr2
	s_branch .LBB520_1361
.LBB520_1335:
	s_mov_b32 s16, -1
	s_mov_b32 s15, 0
	s_mov_b32 s0, 0
                                        ; implicit-def: $vgpr2
	s_branch .LBB520_1396
.LBB520_1336:
	s_mov_b32 s0, -1
                                        ; implicit-def: $vgpr2
	s_branch .LBB520_1349
.LBB520_1337:
	s_mov_b32 s16, -1
	s_mov_b32 s15, 0
	s_mov_b32 s0, 0
                                        ; implicit-def: $vgpr2
	s_branch .LBB520_1391
.LBB520_1338:
	s_mov_b32 s0, -1
                                        ; implicit-def: $vgpr2
	s_branch .LBB520_1346
.LBB520_1339:
	s_cbranch_execnz .LBB520_1382
; %bb.1340:
	s_or_b32 s1, s1, exec_lo
                                        ; implicit-def: $vgpr4
	s_cbranch_execz .LBB520_1313
	s_branch .LBB520_1314
.LBB520_1341:
	s_mov_b32 s16, -1
	s_mov_b32 s15, 0
	s_mov_b32 s0, 0
	s_branch .LBB520_1385
.LBB520_1342:
	s_mov_b32 s0, -1
                                        ; implicit-def: $vgpr2
.LBB520_1343:
	s_delay_alu instid0(SALU_CYCLE_1)
	s_and_not1_b32 vcc_lo, exec_lo, s0
	s_cbranch_vccnz .LBB520_1345
; %bb.1344:
	global_load_b32 v2, v[4:5], off
.LBB520_1345:
	s_mov_b32 s0, 0
.LBB520_1346:
	s_delay_alu instid0(SALU_CYCLE_1)
	s_and_not1_b32 vcc_lo, exec_lo, s0
	s_cbranch_vccnz .LBB520_1348
; %bb.1347:
	global_load_b32 v2, v[4:5], off
	s_waitcnt vmcnt(0)
	v_cvt_f32_f16_e32 v2, v2
.LBB520_1348:
	s_mov_b32 s0, 0
.LBB520_1349:
	s_delay_alu instid0(SALU_CYCLE_1)
	s_and_not1_b32 vcc_lo, exec_lo, s0
	s_cbranch_vccnz .LBB520_1360
; %bb.1350:
	v_cmp_gt_i16_e32 vcc_lo, 6, v9
	s_cbranch_vccnz .LBB520_1353
; %bb.1351:
	v_cmp_lt_i16_e32 vcc_lo, 6, v9
	s_cbranch_vccz .LBB520_1354
; %bb.1352:
	global_load_b64 v[6:7], v[4:5], off
	s_mov_b32 s0, 0
	s_waitcnt vmcnt(0)
	v_cvt_f32_f64_e32 v2, v[6:7]
	s_branch .LBB520_1355
.LBB520_1353:
	s_mov_b32 s0, -1
                                        ; implicit-def: $vgpr2
	s_branch .LBB520_1358
.LBB520_1354:
	s_mov_b32 s0, -1
                                        ; implicit-def: $vgpr2
.LBB520_1355:
	s_delay_alu instid0(SALU_CYCLE_1)
	s_and_not1_b32 vcc_lo, exec_lo, s0
	s_cbranch_vccnz .LBB520_1357
; %bb.1356:
	global_load_b32 v2, v[4:5], off
.LBB520_1357:
	s_mov_b32 s0, 0
.LBB520_1358:
	s_delay_alu instid0(SALU_CYCLE_1)
	s_and_not1_b32 vcc_lo, exec_lo, s0
	s_cbranch_vccnz .LBB520_1360
; %bb.1359:
	global_load_u16 v2, v[4:5], off
	s_waitcnt vmcnt(0)
	v_cvt_f32_f16_e32 v2, v2
.LBB520_1360:
	s_mov_b32 s0, 0
.LBB520_1361:
	s_delay_alu instid0(SALU_CYCLE_1)
	s_and_not1_b32 vcc_lo, exec_lo, s0
	s_cbranch_vccnz .LBB520_1381
; %bb.1362:
	v_cmp_gt_i16_e32 vcc_lo, 2, v9
	s_cbranch_vccnz .LBB520_1366
; %bb.1363:
	v_cmp_gt_i16_e32 vcc_lo, 3, v9
	s_cbranch_vccnz .LBB520_1367
; %bb.1364:
	v_cmp_lt_i16_e32 vcc_lo, 3, v9
	s_cbranch_vccz .LBB520_1368
; %bb.1365:
	global_load_b64 v[6:7], v[4:5], off
	s_mov_b32 s0, 0
	s_waitcnt vmcnt(0)
	v_xor_b32_e32 v2, v6, v7
	v_cls_i32_e32 v10, v7
	s_delay_alu instid0(VALU_DEP_2) | instskip(NEXT) | instid1(VALU_DEP_2)
	v_ashrrev_i32_e32 v2, 31, v2
	v_add_nc_u32_e32 v10, -1, v10
	s_delay_alu instid0(VALU_DEP_2) | instskip(NEXT) | instid1(VALU_DEP_1)
	v_add_nc_u32_e32 v2, 32, v2
	v_min_u32_e32 v2, v10, v2
	s_delay_alu instid0(VALU_DEP_1) | instskip(SKIP_1) | instid1(VALU_DEP_2)
	v_lshlrev_b64 v[6:7], v2, v[6:7]
	v_sub_nc_u32_e32 v2, 32, v2
	v_min_u32_e32 v6, 1, v6
	s_delay_alu instid0(VALU_DEP_1) | instskip(NEXT) | instid1(VALU_DEP_1)
	v_or_b32_e32 v6, v7, v6
	v_cvt_f32_i32_e32 v6, v6
	s_delay_alu instid0(VALU_DEP_1)
	v_ldexp_f32 v2, v6, v2
	s_branch .LBB520_1369
.LBB520_1366:
	s_mov_b32 s0, -1
                                        ; implicit-def: $vgpr2
	s_branch .LBB520_1375
.LBB520_1367:
	s_mov_b32 s0, -1
                                        ; implicit-def: $vgpr2
	s_branch .LBB520_1372
.LBB520_1368:
	s_mov_b32 s0, -1
                                        ; implicit-def: $vgpr2
.LBB520_1369:
	s_delay_alu instid0(SALU_CYCLE_1)
	s_and_not1_b32 vcc_lo, exec_lo, s0
	s_cbranch_vccnz .LBB520_1371
; %bb.1370:
	global_load_b32 v2, v[4:5], off
	s_waitcnt vmcnt(0)
	v_cvt_f32_i32_e32 v2, v2
.LBB520_1371:
	s_mov_b32 s0, 0
.LBB520_1372:
	s_delay_alu instid0(SALU_CYCLE_1)
	s_and_not1_b32 vcc_lo, exec_lo, s0
	s_cbranch_vccnz .LBB520_1374
; %bb.1373:
	global_load_i16 v2, v[4:5], off
	s_waitcnt vmcnt(0)
	v_cvt_f32_i32_e32 v2, v2
.LBB520_1374:
	s_mov_b32 s0, 0
.LBB520_1375:
	s_delay_alu instid0(SALU_CYCLE_1)
	s_and_not1_b32 vcc_lo, exec_lo, s0
	s_cbranch_vccnz .LBB520_1381
; %bb.1376:
	v_cmp_lt_i16_e32 vcc_lo, 0, v9
	s_mov_b32 s0, 0
	s_cbranch_vccz .LBB520_1378
; %bb.1377:
	global_load_i8 v2, v[4:5], off
	s_waitcnt vmcnt(0)
	v_cvt_f32_i32_e32 v2, v2
	s_branch .LBB520_1379
.LBB520_1378:
	s_mov_b32 s0, -1
                                        ; implicit-def: $vgpr2
.LBB520_1379:
	s_delay_alu instid0(SALU_CYCLE_1)
	s_and_not1_b32 vcc_lo, exec_lo, s0
	s_cbranch_vccnz .LBB520_1381
; %bb.1380:
	global_load_u8 v2, v[4:5], off
	s_waitcnt vmcnt(0)
	v_cvt_f32_ubyte0_e32 v2, v2
.LBB520_1381:
	s_branch .LBB520_1453
.LBB520_1382:
	s_trap 2
	s_sendmsg_rtn_b32 s0, sendmsg(MSG_RTN_GET_DOORBELL)
	s_mov_b32 ttmp2, m0
	s_waitcnt lgkmcnt(0)
	s_and_b32 s0, s0, 0x3ff
	s_delay_alu instid0(SALU_CYCLE_1) | instskip(NEXT) | instid1(SALU_CYCLE_1)
	s_bitset1_b32 s0, 10
	s_mov_b32 m0, s0
	s_sendmsg sendmsg(MSG_INTERRUPT)
	s_mov_b32 m0, ttmp2
.LBB520_1383:                           ; =>This Inner Loop Header: Depth=1
	s_sethalt 5
	s_branch .LBB520_1383
.LBB520_1384:
	s_mov_b32 s0, -1
	s_mov_b32 s15, 0
.LBB520_1385:
                                        ; implicit-def: $vgpr2
.LBB520_1386:
	s_and_b32 vcc_lo, exec_lo, s16
	s_cbranch_vccz .LBB520_1390
; %bb.1387:
	v_cmp_eq_u16_e32 vcc_lo, 44, v9
	s_cbranch_vccz .LBB520_1389
; %bb.1388:
	global_load_u8 v2, v[4:5], off
	s_mov_b32 s0, 0
	s_mov_b32 s15, -1
	s_waitcnt vmcnt(0)
	v_lshlrev_b32_e32 v6, 23, v2
	v_cmp_ne_u32_e32 vcc_lo, 0xff, v2
	s_delay_alu instid0(VALU_DEP_2) | instskip(SKIP_1) | instid1(VALU_DEP_2)
	v_cndmask_b32_e32 v6, 0x7f800001, v6, vcc_lo
	v_cmp_ne_u32_e32 vcc_lo, 0, v2
	v_cndmask_b32_e32 v2, 0x400000, v6, vcc_lo
	s_branch .LBB520_1390
.LBB520_1389:
	s_mov_b32 s0, -1
                                        ; implicit-def: $vgpr2
.LBB520_1390:
	s_mov_b32 s16, 0
.LBB520_1391:
	s_delay_alu instid0(SALU_CYCLE_1)
	s_and_b32 vcc_lo, exec_lo, s16
	s_cbranch_vccz .LBB520_1395
; %bb.1392:
	v_cmp_eq_u16_e32 vcc_lo, 29, v9
	s_cbranch_vccz .LBB520_1394
; %bb.1393:
	global_load_b64 v[6:7], v[4:5], off
	s_mov_b32 s0, 0
	s_mov_b32 s15, -1
	s_mov_b32 s16, 0
	s_waitcnt vmcnt(0)
	v_clz_i32_u32_e32 v2, v7
	s_delay_alu instid0(VALU_DEP_1) | instskip(NEXT) | instid1(VALU_DEP_1)
	v_min_u32_e32 v2, 32, v2
	v_lshlrev_b64 v[6:7], v2, v[6:7]
	v_sub_nc_u32_e32 v2, 32, v2
	s_delay_alu instid0(VALU_DEP_2) | instskip(NEXT) | instid1(VALU_DEP_1)
	v_min_u32_e32 v6, 1, v6
	v_or_b32_e32 v6, v7, v6
	s_delay_alu instid0(VALU_DEP_1) | instskip(NEXT) | instid1(VALU_DEP_1)
	v_cvt_f32_u32_e32 v6, v6
	v_ldexp_f32 v2, v6, v2
	s_branch .LBB520_1396
.LBB520_1394:
	s_mov_b32 s0, -1
                                        ; implicit-def: $vgpr2
.LBB520_1395:
	s_mov_b32 s16, 0
.LBB520_1396:
	s_delay_alu instid0(SALU_CYCLE_1)
	s_and_b32 vcc_lo, exec_lo, s16
	s_cbranch_vccz .LBB520_1414
; %bb.1397:
	v_cmp_gt_i16_e32 vcc_lo, 27, v9
	s_cbranch_vccnz .LBB520_1400
; %bb.1398:
	v_cmp_lt_i16_e32 vcc_lo, 27, v9
	s_cbranch_vccz .LBB520_1401
; %bb.1399:
	global_load_b32 v2, v[4:5], off
	s_mov_b32 s15, 0
	s_waitcnt vmcnt(0)
	v_cvt_f32_u32_e32 v2, v2
	s_branch .LBB520_1402
.LBB520_1400:
	s_mov_b32 s15, -1
                                        ; implicit-def: $vgpr2
	s_branch .LBB520_1405
.LBB520_1401:
	s_mov_b32 s15, -1
                                        ; implicit-def: $vgpr2
.LBB520_1402:
	s_delay_alu instid0(SALU_CYCLE_1)
	s_and_not1_b32 vcc_lo, exec_lo, s15
	s_cbranch_vccnz .LBB520_1404
; %bb.1403:
	global_load_u16 v2, v[4:5], off
	s_waitcnt vmcnt(0)
	v_cvt_f32_u32_e32 v2, v2
.LBB520_1404:
	s_mov_b32 s15, 0
.LBB520_1405:
	s_delay_alu instid0(SALU_CYCLE_1)
	s_and_not1_b32 vcc_lo, exec_lo, s15
	s_cbranch_vccnz .LBB520_1413
; %bb.1406:
	global_load_u8 v6, v[4:5], off
	s_mov_b32 s15, 0
	s_mov_b32 s17, exec_lo
                                        ; implicit-def: $sgpr16
	s_waitcnt vmcnt(0)
	v_cmpx_lt_i16_e32 0x7f, v6
	s_xor_b32 s17, exec_lo, s17
	s_cbranch_execz .LBB520_1427
; %bb.1407:
	s_mov_b32 s15, -1
	s_mov_b32 s18, exec_lo
                                        ; implicit-def: $sgpr16
	v_cmpx_eq_u16_e32 0x80, v6
; %bb.1408:
	s_mov_b32 s16, 0x7f800001
	s_xor_b32 s15, exec_lo, -1
; %bb.1409:
	s_or_b32 exec_lo, exec_lo, s18
	s_delay_alu instid0(SALU_CYCLE_1)
	s_and_b32 s15, s15, exec_lo
	s_or_saveexec_b32 s17, s17
	v_mov_b32_e32 v2, s16
	s_xor_b32 exec_lo, exec_lo, s17
	s_cbranch_execnz .LBB520_1428
.LBB520_1410:
	s_or_b32 exec_lo, exec_lo, s17
	s_and_saveexec_b32 s16, s15
	s_cbranch_execz .LBB520_1412
.LBB520_1411:
	v_and_b32_e32 v2, 0xffff, v6
	v_lshlrev_b32_e32 v6, 24, v6
	s_delay_alu instid0(VALU_DEP_2) | instskip(NEXT) | instid1(VALU_DEP_2)
	v_and_b32_e32 v7, 7, v2
	v_and_b32_e32 v6, 0x80000000, v6
	s_delay_alu instid0(VALU_DEP_2) | instskip(NEXT) | instid1(VALU_DEP_1)
	v_clz_i32_u32_e32 v10, v7
	v_min_u32_e32 v10, 32, v10
	s_delay_alu instid0(VALU_DEP_1) | instskip(SKIP_1) | instid1(VALU_DEP_2)
	v_subrev_nc_u32_e32 v11, 28, v10
	v_sub_nc_u32_e32 v10, 29, v10
	v_lshlrev_b32_e32 v11, v11, v2
	v_bfe_u32 v2, v2, 3, 4
	s_delay_alu instid0(VALU_DEP_1) | instskip(NEXT) | instid1(VALU_DEP_3)
	v_cmp_eq_u32_e32 vcc_lo, 0, v2
	v_dual_cndmask_b32 v2, v2, v10 :: v_dual_and_b32 v11, 7, v11
	s_delay_alu instid0(VALU_DEP_1) | instskip(NEXT) | instid1(VALU_DEP_2)
	v_cndmask_b32_e32 v7, v7, v11, vcc_lo
	v_lshl_add_u32 v2, v2, 23, 0x3b800000
	s_delay_alu instid0(VALU_DEP_2) | instskip(NEXT) | instid1(VALU_DEP_1)
	v_lshlrev_b32_e32 v7, 20, v7
	v_or3_b32 v2, v6, v2, v7
.LBB520_1412:
	s_or_b32 exec_lo, exec_lo, s16
.LBB520_1413:
	s_mov_b32 s15, -1
.LBB520_1414:
	s_mov_b32 s16, 0
.LBB520_1415:
	s_delay_alu instid0(SALU_CYCLE_1)
	s_and_b32 vcc_lo, exec_lo, s16
	s_cbranch_vccz .LBB520_1448
; %bb.1416:
	v_cmp_lt_i16_e32 vcc_lo, 22, v9
	s_cbranch_vccz .LBB520_1426
; %bb.1417:
	v_cmp_gt_i16_e32 vcc_lo, 24, v9
	s_cbranch_vccnz .LBB520_1429
; %bb.1418:
	v_cmp_lt_i16_e32 vcc_lo, 24, v9
	s_cbranch_vccz .LBB520_1430
; %bb.1419:
	global_load_u8 v6, v[4:5], off
	s_mov_b32 s16, exec_lo
                                        ; implicit-def: $sgpr15
	s_waitcnt vmcnt(0)
	v_cmpx_lt_i16_e32 0x7f, v6
	s_xor_b32 s16, exec_lo, s16
	s_cbranch_execz .LBB520_1442
; %bb.1420:
	s_mov_b32 s14, -1
	s_mov_b32 s17, exec_lo
                                        ; implicit-def: $sgpr15
	v_cmpx_eq_u16_e32 0x80, v6
; %bb.1421:
	s_mov_b32 s15, 0x7f800001
	s_xor_b32 s14, exec_lo, -1
; %bb.1422:
	s_or_b32 exec_lo, exec_lo, s17
	s_delay_alu instid0(SALU_CYCLE_1)
	s_and_b32 s14, s14, exec_lo
	s_or_saveexec_b32 s16, s16
	v_mov_b32_e32 v2, s15
	s_xor_b32 exec_lo, exec_lo, s16
	s_cbranch_execnz .LBB520_1443
.LBB520_1423:
	s_or_b32 exec_lo, exec_lo, s16
	s_and_saveexec_b32 s15, s14
	s_cbranch_execz .LBB520_1425
.LBB520_1424:
	v_and_b32_e32 v2, 0xffff, v6
	v_lshlrev_b32_e32 v6, 24, v6
	s_delay_alu instid0(VALU_DEP_2) | instskip(NEXT) | instid1(VALU_DEP_2)
	v_and_b32_e32 v7, 3, v2
	v_and_b32_e32 v6, 0x80000000, v6
	s_delay_alu instid0(VALU_DEP_2) | instskip(NEXT) | instid1(VALU_DEP_1)
	v_clz_i32_u32_e32 v10, v7
	v_min_u32_e32 v10, 32, v10
	s_delay_alu instid0(VALU_DEP_1) | instskip(SKIP_1) | instid1(VALU_DEP_2)
	v_subrev_nc_u32_e32 v11, 29, v10
	v_sub_nc_u32_e32 v10, 30, v10
	v_lshlrev_b32_e32 v11, v11, v2
	v_bfe_u32 v2, v2, 2, 5
	s_delay_alu instid0(VALU_DEP_1) | instskip(NEXT) | instid1(VALU_DEP_3)
	v_cmp_eq_u32_e32 vcc_lo, 0, v2
	v_dual_cndmask_b32 v2, v2, v10 :: v_dual_and_b32 v11, 3, v11
	s_delay_alu instid0(VALU_DEP_1) | instskip(NEXT) | instid1(VALU_DEP_2)
	v_cndmask_b32_e32 v7, v7, v11, vcc_lo
	v_lshl_add_u32 v2, v2, 23, 0x37800000
	s_delay_alu instid0(VALU_DEP_2) | instskip(NEXT) | instid1(VALU_DEP_1)
	v_lshlrev_b32_e32 v7, 21, v7
	v_or3_b32 v2, v6, v2, v7
.LBB520_1425:
	s_or_b32 exec_lo, exec_lo, s15
	s_mov_b32 s14, 0
	s_branch .LBB520_1431
.LBB520_1426:
	s_mov_b32 s14, -1
                                        ; implicit-def: $vgpr2
	s_branch .LBB520_1437
.LBB520_1427:
	s_or_saveexec_b32 s17, s17
	v_mov_b32_e32 v2, s16
	s_xor_b32 exec_lo, exec_lo, s17
	s_cbranch_execz .LBB520_1410
.LBB520_1428:
	v_cmp_ne_u16_e32 vcc_lo, 0, v6
	v_mov_b32_e32 v2, 0
	s_and_not1_b32 s15, s15, exec_lo
	s_and_b32 s16, vcc_lo, exec_lo
	s_delay_alu instid0(SALU_CYCLE_1)
	s_or_b32 s15, s15, s16
	s_or_b32 exec_lo, exec_lo, s17
	s_and_saveexec_b32 s16, s15
	s_cbranch_execnz .LBB520_1411
	s_branch .LBB520_1412
.LBB520_1429:
	s_mov_b32 s14, -1
                                        ; implicit-def: $vgpr2
	s_branch .LBB520_1434
.LBB520_1430:
	s_mov_b32 s14, -1
                                        ; implicit-def: $vgpr2
.LBB520_1431:
	s_delay_alu instid0(SALU_CYCLE_1)
	s_and_b32 vcc_lo, exec_lo, s14
	s_cbranch_vccz .LBB520_1433
; %bb.1432:
	global_load_u8 v2, v[4:5], off
	s_waitcnt vmcnt(0)
	v_lshlrev_b32_e32 v2, 24, v2
	s_delay_alu instid0(VALU_DEP_1) | instskip(NEXT) | instid1(VALU_DEP_1)
	v_and_b32_e32 v6, 0x7f000000, v2
	v_clz_i32_u32_e32 v7, v6
	v_cmp_ne_u32_e32 vcc_lo, 0, v6
	v_add_nc_u32_e32 v11, 0x1000000, v6
	s_delay_alu instid0(VALU_DEP_3) | instskip(NEXT) | instid1(VALU_DEP_1)
	v_min_u32_e32 v7, 32, v7
	v_sub_nc_u32_e64 v7, v7, 4 clamp
	s_delay_alu instid0(VALU_DEP_1) | instskip(SKIP_1) | instid1(VALU_DEP_2)
	v_lshlrev_b32_e32 v10, v7, v6
	v_lshlrev_b32_e32 v7, 23, v7
	v_lshrrev_b32_e32 v10, 4, v10
	s_delay_alu instid0(VALU_DEP_1) | instskip(SKIP_1) | instid1(VALU_DEP_2)
	v_sub_nc_u32_e32 v7, v10, v7
	v_ashrrev_i32_e32 v10, 8, v11
	v_add_nc_u32_e32 v7, 0x3c000000, v7
	s_delay_alu instid0(VALU_DEP_1) | instskip(NEXT) | instid1(VALU_DEP_1)
	v_and_or_b32 v7, 0x7f800000, v10, v7
	v_cndmask_b32_e32 v6, 0, v7, vcc_lo
	s_delay_alu instid0(VALU_DEP_1)
	v_and_or_b32 v2, 0x80000000, v2, v6
.LBB520_1433:
	s_mov_b32 s14, 0
.LBB520_1434:
	s_delay_alu instid0(SALU_CYCLE_1)
	s_and_not1_b32 vcc_lo, exec_lo, s14
	s_cbranch_vccnz .LBB520_1436
; %bb.1435:
	global_load_u8 v2, v[4:5], off
	s_waitcnt vmcnt(0)
	v_lshlrev_b32_e32 v6, 25, v2
	v_lshlrev_b16 v2, 8, v2
	s_delay_alu instid0(VALU_DEP_2) | instskip(NEXT) | instid1(VALU_DEP_2)
	v_lshrrev_b32_e32 v7, 4, v6
	v_and_or_b32 v10, 0x7f00, v2, 0.5
	v_bfe_i32 v2, v2, 0, 16
	s_delay_alu instid0(VALU_DEP_3) | instskip(NEXT) | instid1(VALU_DEP_1)
	v_or_b32_e32 v7, 0x70000000, v7
	v_dual_add_f32 v10, -0.5, v10 :: v_dual_mul_f32 v7, 0x7800000, v7
	v_cmp_gt_u32_e32 vcc_lo, 0x8000000, v6
	s_delay_alu instid0(VALU_DEP_2) | instskip(NEXT) | instid1(VALU_DEP_1)
	v_cndmask_b32_e32 v6, v7, v10, vcc_lo
	v_and_or_b32 v2, 0x80000000, v2, v6
.LBB520_1436:
	s_mov_b32 s14, 0
	s_mov_b32 s15, -1
.LBB520_1437:
	s_and_not1_b32 vcc_lo, exec_lo, s14
	s_mov_b32 s14, 0
	s_cbranch_vccnz .LBB520_1448
; %bb.1438:
	v_cmp_lt_i16_e32 vcc_lo, 14, v9
	s_cbranch_vccz .LBB520_1441
; %bb.1439:
	v_cmp_eq_u16_e32 vcc_lo, 15, v9
	s_cbranch_vccz .LBB520_1444
; %bb.1440:
	global_load_u16 v2, v[4:5], off
	s_mov_b32 s0, 0
	s_mov_b32 s15, -1
	s_waitcnt vmcnt(0)
	v_lshlrev_b32_e32 v2, 16, v2
	s_branch .LBB520_1446
.LBB520_1441:
	s_mov_b32 s14, -1
	s_branch .LBB520_1445
.LBB520_1442:
	s_or_saveexec_b32 s16, s16
	v_mov_b32_e32 v2, s15
	s_xor_b32 exec_lo, exec_lo, s16
	s_cbranch_execz .LBB520_1423
.LBB520_1443:
	v_cmp_ne_u16_e32 vcc_lo, 0, v6
	v_mov_b32_e32 v2, 0
	s_and_not1_b32 s14, s14, exec_lo
	s_and_b32 s15, vcc_lo, exec_lo
	s_delay_alu instid0(SALU_CYCLE_1)
	s_or_b32 s14, s14, s15
	s_or_b32 exec_lo, exec_lo, s16
	s_and_saveexec_b32 s15, s14
	s_cbranch_execnz .LBB520_1424
	s_branch .LBB520_1425
.LBB520_1444:
	s_mov_b32 s0, -1
.LBB520_1445:
                                        ; implicit-def: $vgpr2
.LBB520_1446:
	s_and_b32 vcc_lo, exec_lo, s14
	s_mov_b32 s14, 0
	s_cbranch_vccz .LBB520_1448
; %bb.1447:
	v_cmp_ne_u16_e64 s0, 11, v9
	s_mov_b32 s14, -1
                                        ; implicit-def: $vgpr2
.LBB520_1448:
	s_delay_alu instid0(VALU_DEP_1)
	s_and_b32 vcc_lo, exec_lo, s0
	s_cbranch_vccnz .LBB520_1468
; %bb.1449:
	s_and_not1_b32 vcc_lo, exec_lo, s14
	s_cbranch_vccnz .LBB520_1451
.LBB520_1450:
	global_load_u8 v2, v[4:5], off
	s_mov_b32 s15, -1
	s_waitcnt vmcnt(0)
	v_cmp_ne_u16_e32 vcc_lo, 0, v2
	v_cndmask_b32_e64 v2, 0, 1.0, vcc_lo
.LBB520_1451:
.LBB520_1452:
	s_and_not1_b32 vcc_lo, exec_lo, s15
	s_cbranch_vccnz .LBB520_1673
.LBB520_1453:
	v_mov_b32_e32 v5, s10
	s_mov_b32 s0, exec_lo
	s_waitcnt vmcnt(0)
	s_delay_alu instid0(VALU_DEP_2)
	v_cmpx_o_f32_e32 v2, v2
	s_cbranch_execz .LBB520_1457
; %bb.1454:
	v_mov_b32_e32 v5, s11
	s_mov_b32 s14, exec_lo
	v_cmpx_neq_f32_e32 0x7f800000, v2
; %bb.1455:
	v_cmp_eq_f32_e32 vcc_lo, 0xff800000, v2
	v_cndmask_b32_e64 v5, v2, s2, vcc_lo
; %bb.1456:
	s_or_b32 exec_lo, exec_lo, s14
.LBB520_1457:
	s_delay_alu instid0(SALU_CYCLE_1) | instskip(SKIP_2) | instid1(VALU_DEP_2)
	s_or_b32 exec_lo, exec_lo, s0
	v_add_nc_u32_e32 v0, s9, v0
	v_cmp_gt_i16_e32 vcc_lo, 11, v9
	v_ashrrev_i32_e32 v2, 31, v0
	v_add_co_u32 v6, s0, s6, v0
	s_delay_alu instid0(VALU_DEP_1)
	v_add_co_ci_u32_e64 v7, s0, s7, v2, s0
	s_cbranch_vccnz .LBB520_1464
; %bb.1458:
	v_cmp_lt_i16_e32 vcc_lo, 25, v9
	s_mov_b32 s6, 0
	s_cbranch_vccz .LBB520_1465
; %bb.1459:
	v_cmp_lt_i16_e32 vcc_lo, 28, v9
	s_cbranch_vccz .LBB520_1466
; %bb.1460:
	v_cmp_lt_i16_e32 vcc_lo, 43, v9
	;; [unrolled: 3-line block ×3, first 2 shown]
	s_cbranch_vccz .LBB520_1470
; %bb.1462:
	v_cmp_eq_u16_e32 vcc_lo, 46, v9
	s_mov_b32 s9, 0
	s_cbranch_vccz .LBB520_1473
; %bb.1463:
	global_load_b32 v0, v[6:7], off
	s_mov_b32 s0, 0
	s_mov_b32 s7, -1
	s_waitcnt vmcnt(0)
	v_lshlrev_b32_e32 v2, 16, v0
	s_branch .LBB520_1475
.LBB520_1464:
	s_mov_b32 s0, -1
	s_mov_b32 s7, 0
                                        ; implicit-def: $vgpr2
	s_branch .LBB520_1541
.LBB520_1465:
	s_mov_b32 s9, -1
	s_mov_b32 s7, 0
	s_mov_b32 s0, 0
                                        ; implicit-def: $vgpr2
	s_branch .LBB520_1504
.LBB520_1466:
	s_mov_b32 s9, -1
	s_mov_b32 s7, 0
	s_mov_b32 s0, 0
                                        ; implicit-def: $vgpr2
	s_branch .LBB520_1485
.LBB520_1467:
	s_mov_b32 s9, -1
	s_mov_b32 s7, 0
	s_mov_b32 s0, 0
                                        ; implicit-def: $vgpr2
	s_branch .LBB520_1480
.LBB520_1468:
	s_cbranch_execnz .LBB520_1471
; %bb.1469:
	s_or_b32 s1, s1, exec_lo
                                        ; implicit-def: $vgpr2
	s_cbranch_execz .LBB520_1450
	s_branch .LBB520_1451
.LBB520_1470:
	s_mov_b32 s9, -1
	s_mov_b32 s7, 0
	s_mov_b32 s0, 0
	s_branch .LBB520_1474
.LBB520_1471:
	s_trap 2
	s_sendmsg_rtn_b32 s0, sendmsg(MSG_RTN_GET_DOORBELL)
	s_mov_b32 ttmp2, m0
	s_waitcnt lgkmcnt(0)
	s_and_b32 s0, s0, 0x3ff
	s_delay_alu instid0(SALU_CYCLE_1) | instskip(NEXT) | instid1(SALU_CYCLE_1)
	s_bitset1_b32 s0, 10
	s_mov_b32 m0, s0
	s_sendmsg sendmsg(MSG_INTERRUPT)
	s_mov_b32 m0, ttmp2
.LBB520_1472:                           ; =>This Inner Loop Header: Depth=1
	s_sethalt 5
	s_branch .LBB520_1472
.LBB520_1473:
	s_mov_b32 s0, -1
	s_mov_b32 s7, 0
.LBB520_1474:
                                        ; implicit-def: $vgpr2
.LBB520_1475:
	s_and_b32 vcc_lo, exec_lo, s9
	s_cbranch_vccz .LBB520_1479
; %bb.1476:
	v_cmp_eq_u16_e32 vcc_lo, 44, v9
	s_cbranch_vccz .LBB520_1478
; %bb.1477:
	global_load_u8 v0, v[6:7], off
	s_mov_b32 s0, 0
	s_mov_b32 s7, -1
	s_waitcnt vmcnt(0)
	v_lshlrev_b32_e32 v2, 23, v0
	v_cmp_ne_u32_e32 vcc_lo, 0xff, v0
	s_delay_alu instid0(VALU_DEP_2) | instskip(SKIP_1) | instid1(VALU_DEP_2)
	v_cndmask_b32_e32 v2, 0x7f800001, v2, vcc_lo
	v_cmp_ne_u32_e32 vcc_lo, 0, v0
	v_cndmask_b32_e32 v2, 0x400000, v2, vcc_lo
	s_branch .LBB520_1479
.LBB520_1478:
	s_mov_b32 s0, -1
                                        ; implicit-def: $vgpr2
.LBB520_1479:
	s_mov_b32 s9, 0
.LBB520_1480:
	s_delay_alu instid0(SALU_CYCLE_1)
	s_and_b32 vcc_lo, exec_lo, s9
	s_cbranch_vccz .LBB520_1484
; %bb.1481:
	v_cmp_eq_u16_e32 vcc_lo, 29, v9
	s_cbranch_vccz .LBB520_1483
; %bb.1482:
	global_load_b64 v[10:11], v[6:7], off
	s_mov_b32 s0, 0
	s_mov_b32 s7, -1
	s_mov_b32 s9, 0
	s_waitcnt vmcnt(0)
	v_clz_i32_u32_e32 v0, v11
	s_delay_alu instid0(VALU_DEP_1) | instskip(NEXT) | instid1(VALU_DEP_1)
	v_min_u32_e32 v0, 32, v0
	v_lshlrev_b64 v[10:11], v0, v[10:11]
	v_sub_nc_u32_e32 v0, 32, v0
	s_delay_alu instid0(VALU_DEP_2) | instskip(NEXT) | instid1(VALU_DEP_1)
	v_min_u32_e32 v2, 1, v10
	v_or_b32_e32 v2, v11, v2
	s_delay_alu instid0(VALU_DEP_1) | instskip(NEXT) | instid1(VALU_DEP_1)
	v_cvt_f32_u32_e32 v2, v2
	v_ldexp_f32 v2, v2, v0
	s_branch .LBB520_1485
.LBB520_1483:
	s_mov_b32 s0, -1
                                        ; implicit-def: $vgpr2
.LBB520_1484:
	s_mov_b32 s9, 0
.LBB520_1485:
	s_delay_alu instid0(SALU_CYCLE_1)
	s_and_b32 vcc_lo, exec_lo, s9
	s_cbranch_vccz .LBB520_1503
; %bb.1486:
	v_cmp_gt_i16_e32 vcc_lo, 27, v9
	s_cbranch_vccnz .LBB520_1489
; %bb.1487:
	v_cmp_lt_i16_e32 vcc_lo, 27, v9
	s_cbranch_vccz .LBB520_1490
; %bb.1488:
	global_load_b32 v0, v[6:7], off
	s_mov_b32 s7, 0
	s_waitcnt vmcnt(0)
	v_cvt_f32_u32_e32 v2, v0
	s_branch .LBB520_1491
.LBB520_1489:
	s_mov_b32 s7, -1
                                        ; implicit-def: $vgpr2
	s_branch .LBB520_1494
.LBB520_1490:
	s_mov_b32 s7, -1
                                        ; implicit-def: $vgpr2
.LBB520_1491:
	s_delay_alu instid0(SALU_CYCLE_1)
	s_and_not1_b32 vcc_lo, exec_lo, s7
	s_cbranch_vccnz .LBB520_1493
; %bb.1492:
	global_load_u16 v0, v[6:7], off
	s_waitcnt vmcnt(0)
	v_cvt_f32_u32_e32 v2, v0
.LBB520_1493:
	s_mov_b32 s7, 0
.LBB520_1494:
	s_delay_alu instid0(SALU_CYCLE_1)
	s_and_not1_b32 vcc_lo, exec_lo, s7
	s_cbranch_vccnz .LBB520_1502
; %bb.1495:
	global_load_u8 v0, v[6:7], off
	s_mov_b32 s7, 0
	s_mov_b32 s14, exec_lo
                                        ; implicit-def: $sgpr9
	s_waitcnt vmcnt(0)
	v_cmpx_lt_i16_e32 0x7f, v0
	s_xor_b32 s14, exec_lo, s14
	s_cbranch_execz .LBB520_1516
; %bb.1496:
	s_mov_b32 s7, -1
	s_mov_b32 s15, exec_lo
                                        ; implicit-def: $sgpr9
	v_cmpx_eq_u16_e32 0x80, v0
; %bb.1497:
	s_mov_b32 s9, 0x7f800001
	s_xor_b32 s7, exec_lo, -1
; %bb.1498:
	s_or_b32 exec_lo, exec_lo, s15
	s_delay_alu instid0(SALU_CYCLE_1)
	s_and_b32 s7, s7, exec_lo
	s_or_saveexec_b32 s14, s14
	v_mov_b32_e32 v2, s9
	s_xor_b32 exec_lo, exec_lo, s14
	s_cbranch_execnz .LBB520_1517
.LBB520_1499:
	s_or_b32 exec_lo, exec_lo, s14
	s_and_saveexec_b32 s9, s7
	s_cbranch_execz .LBB520_1501
.LBB520_1500:
	v_and_b32_e32 v2, 0xffff, v0
	v_lshlrev_b32_e32 v0, 24, v0
	s_delay_alu instid0(VALU_DEP_2) | instskip(NEXT) | instid1(VALU_DEP_2)
	v_and_b32_e32 v4, 7, v2
	v_and_b32_e32 v0, 0x80000000, v0
	s_delay_alu instid0(VALU_DEP_2) | instskip(NEXT) | instid1(VALU_DEP_1)
	v_clz_i32_u32_e32 v10, v4
	v_min_u32_e32 v10, 32, v10
	s_delay_alu instid0(VALU_DEP_1) | instskip(SKIP_1) | instid1(VALU_DEP_2)
	v_subrev_nc_u32_e32 v11, 28, v10
	v_sub_nc_u32_e32 v10, 29, v10
	v_lshlrev_b32_e32 v11, v11, v2
	v_bfe_u32 v2, v2, 3, 4
	s_delay_alu instid0(VALU_DEP_1) | instskip(NEXT) | instid1(VALU_DEP_3)
	v_cmp_eq_u32_e32 vcc_lo, 0, v2
	v_dual_cndmask_b32 v2, v2, v10 :: v_dual_and_b32 v11, 7, v11
	s_delay_alu instid0(VALU_DEP_1) | instskip(NEXT) | instid1(VALU_DEP_2)
	v_cndmask_b32_e32 v4, v4, v11, vcc_lo
	v_lshl_add_u32 v2, v2, 23, 0x3b800000
	s_delay_alu instid0(VALU_DEP_2) | instskip(NEXT) | instid1(VALU_DEP_1)
	v_lshlrev_b32_e32 v4, 20, v4
	v_or3_b32 v2, v0, v2, v4
.LBB520_1501:
	s_or_b32 exec_lo, exec_lo, s9
.LBB520_1502:
	s_mov_b32 s7, -1
.LBB520_1503:
	s_mov_b32 s9, 0
.LBB520_1504:
	s_delay_alu instid0(SALU_CYCLE_1)
	s_and_b32 vcc_lo, exec_lo, s9
	s_cbranch_vccz .LBB520_1537
; %bb.1505:
	v_cmp_lt_i16_e32 vcc_lo, 22, v9
	s_cbranch_vccz .LBB520_1515
; %bb.1506:
	v_cmp_gt_i16_e32 vcc_lo, 24, v9
	s_cbranch_vccnz .LBB520_1518
; %bb.1507:
	v_cmp_lt_i16_e32 vcc_lo, 24, v9
	s_cbranch_vccz .LBB520_1519
; %bb.1508:
	global_load_u8 v0, v[6:7], off
	s_mov_b32 s9, exec_lo
                                        ; implicit-def: $sgpr7
	s_waitcnt vmcnt(0)
	v_cmpx_lt_i16_e32 0x7f, v0
	s_xor_b32 s9, exec_lo, s9
	s_cbranch_execz .LBB520_1531
; %bb.1509:
	s_mov_b32 s6, -1
	s_mov_b32 s14, exec_lo
                                        ; implicit-def: $sgpr7
	v_cmpx_eq_u16_e32 0x80, v0
; %bb.1510:
	s_mov_b32 s7, 0x7f800001
	s_xor_b32 s6, exec_lo, -1
; %bb.1511:
	s_or_b32 exec_lo, exec_lo, s14
	s_delay_alu instid0(SALU_CYCLE_1)
	s_and_b32 s6, s6, exec_lo
	s_or_saveexec_b32 s9, s9
	v_mov_b32_e32 v2, s7
	s_xor_b32 exec_lo, exec_lo, s9
	s_cbranch_execnz .LBB520_1532
.LBB520_1512:
	s_or_b32 exec_lo, exec_lo, s9
	s_and_saveexec_b32 s7, s6
	s_cbranch_execz .LBB520_1514
.LBB520_1513:
	v_and_b32_e32 v2, 0xffff, v0
	v_lshlrev_b32_e32 v0, 24, v0
	s_delay_alu instid0(VALU_DEP_2) | instskip(NEXT) | instid1(VALU_DEP_2)
	v_and_b32_e32 v4, 3, v2
	v_and_b32_e32 v0, 0x80000000, v0
	s_delay_alu instid0(VALU_DEP_2) | instskip(NEXT) | instid1(VALU_DEP_1)
	v_clz_i32_u32_e32 v10, v4
	v_min_u32_e32 v10, 32, v10
	s_delay_alu instid0(VALU_DEP_1) | instskip(SKIP_1) | instid1(VALU_DEP_2)
	v_subrev_nc_u32_e32 v11, 29, v10
	v_sub_nc_u32_e32 v10, 30, v10
	v_lshlrev_b32_e32 v11, v11, v2
	v_bfe_u32 v2, v2, 2, 5
	s_delay_alu instid0(VALU_DEP_1) | instskip(NEXT) | instid1(VALU_DEP_3)
	v_cmp_eq_u32_e32 vcc_lo, 0, v2
	v_dual_cndmask_b32 v2, v2, v10 :: v_dual_and_b32 v11, 3, v11
	s_delay_alu instid0(VALU_DEP_1) | instskip(NEXT) | instid1(VALU_DEP_2)
	v_cndmask_b32_e32 v4, v4, v11, vcc_lo
	v_lshl_add_u32 v2, v2, 23, 0x37800000
	s_delay_alu instid0(VALU_DEP_2) | instskip(NEXT) | instid1(VALU_DEP_1)
	v_lshlrev_b32_e32 v4, 21, v4
	v_or3_b32 v2, v0, v2, v4
.LBB520_1514:
	s_or_b32 exec_lo, exec_lo, s7
	s_mov_b32 s6, 0
	s_branch .LBB520_1520
.LBB520_1515:
	s_mov_b32 s6, -1
                                        ; implicit-def: $vgpr2
	s_branch .LBB520_1526
.LBB520_1516:
	s_or_saveexec_b32 s14, s14
	v_mov_b32_e32 v2, s9
	s_xor_b32 exec_lo, exec_lo, s14
	s_cbranch_execz .LBB520_1499
.LBB520_1517:
	v_cmp_ne_u16_e32 vcc_lo, 0, v0
	v_mov_b32_e32 v2, 0
	s_and_not1_b32 s7, s7, exec_lo
	s_and_b32 s9, vcc_lo, exec_lo
	s_delay_alu instid0(SALU_CYCLE_1)
	s_or_b32 s7, s7, s9
	s_or_b32 exec_lo, exec_lo, s14
	s_and_saveexec_b32 s9, s7
	s_cbranch_execnz .LBB520_1500
	s_branch .LBB520_1501
.LBB520_1518:
	s_mov_b32 s6, -1
                                        ; implicit-def: $vgpr2
	s_branch .LBB520_1523
.LBB520_1519:
	s_mov_b32 s6, -1
                                        ; implicit-def: $vgpr2
.LBB520_1520:
	s_delay_alu instid0(SALU_CYCLE_1)
	s_and_b32 vcc_lo, exec_lo, s6
	s_cbranch_vccz .LBB520_1522
; %bb.1521:
	global_load_u8 v0, v[6:7], off
	s_waitcnt vmcnt(0)
	v_lshlrev_b32_e32 v0, 24, v0
	s_delay_alu instid0(VALU_DEP_1) | instskip(NEXT) | instid1(VALU_DEP_1)
	v_and_b32_e32 v2, 0x7f000000, v0
	v_clz_i32_u32_e32 v4, v2
	v_cmp_ne_u32_e32 vcc_lo, 0, v2
	v_add_nc_u32_e32 v11, 0x1000000, v2
	s_delay_alu instid0(VALU_DEP_3) | instskip(NEXT) | instid1(VALU_DEP_1)
	v_min_u32_e32 v4, 32, v4
	v_sub_nc_u32_e64 v4, v4, 4 clamp
	s_delay_alu instid0(VALU_DEP_1) | instskip(SKIP_1) | instid1(VALU_DEP_2)
	v_lshlrev_b32_e32 v10, v4, v2
	v_lshlrev_b32_e32 v4, 23, v4
	v_lshrrev_b32_e32 v10, 4, v10
	s_delay_alu instid0(VALU_DEP_1) | instskip(SKIP_1) | instid1(VALU_DEP_2)
	v_sub_nc_u32_e32 v4, v10, v4
	v_ashrrev_i32_e32 v10, 8, v11
	v_add_nc_u32_e32 v4, 0x3c000000, v4
	s_delay_alu instid0(VALU_DEP_1) | instskip(NEXT) | instid1(VALU_DEP_1)
	v_and_or_b32 v4, 0x7f800000, v10, v4
	v_cndmask_b32_e32 v2, 0, v4, vcc_lo
	s_delay_alu instid0(VALU_DEP_1)
	v_and_or_b32 v2, 0x80000000, v0, v2
.LBB520_1522:
	s_mov_b32 s6, 0
.LBB520_1523:
	s_delay_alu instid0(SALU_CYCLE_1)
	s_and_not1_b32 vcc_lo, exec_lo, s6
	s_cbranch_vccnz .LBB520_1525
; %bb.1524:
	global_load_u8 v0, v[6:7], off
	s_waitcnt vmcnt(0)
	v_lshlrev_b32_e32 v2, 25, v0
	v_lshlrev_b16 v0, 8, v0
	s_delay_alu instid0(VALU_DEP_2) | instskip(NEXT) | instid1(VALU_DEP_2)
	v_lshrrev_b32_e32 v4, 4, v2
	v_and_or_b32 v10, 0x7f00, v0, 0.5
	v_cmp_gt_u32_e32 vcc_lo, 0x8000000, v2
	v_bfe_i32 v0, v0, 0, 16
	s_delay_alu instid0(VALU_DEP_4) | instskip(NEXT) | instid1(VALU_DEP_4)
	v_or_b32_e32 v4, 0x70000000, v4
	v_add_f32_e32 v10, -0.5, v10
	s_delay_alu instid0(VALU_DEP_2) | instskip(NEXT) | instid1(VALU_DEP_1)
	v_mul_f32_e32 v4, 0x7800000, v4
	v_cndmask_b32_e32 v2, v4, v10, vcc_lo
	s_delay_alu instid0(VALU_DEP_1)
	v_and_or_b32 v2, 0x80000000, v0, v2
.LBB520_1525:
	s_mov_b32 s6, 0
	s_mov_b32 s7, -1
.LBB520_1526:
	s_and_not1_b32 vcc_lo, exec_lo, s6
	s_mov_b32 s6, 0
	s_cbranch_vccnz .LBB520_1537
; %bb.1527:
	v_cmp_lt_i16_e32 vcc_lo, 14, v9
	s_cbranch_vccz .LBB520_1530
; %bb.1528:
	v_cmp_eq_u16_e32 vcc_lo, 15, v9
	s_cbranch_vccz .LBB520_1533
; %bb.1529:
	global_load_u16 v0, v[6:7], off
	s_mov_b32 s0, 0
	s_mov_b32 s7, -1
	s_waitcnt vmcnt(0)
	v_lshlrev_b32_e32 v2, 16, v0
	s_branch .LBB520_1535
.LBB520_1530:
	s_mov_b32 s6, -1
	s_branch .LBB520_1534
.LBB520_1531:
	s_or_saveexec_b32 s9, s9
	v_mov_b32_e32 v2, s7
	s_xor_b32 exec_lo, exec_lo, s9
	s_cbranch_execz .LBB520_1512
.LBB520_1532:
	v_cmp_ne_u16_e32 vcc_lo, 0, v0
	v_mov_b32_e32 v2, 0
	s_and_not1_b32 s6, s6, exec_lo
	s_and_b32 s7, vcc_lo, exec_lo
	s_delay_alu instid0(SALU_CYCLE_1)
	s_or_b32 s6, s6, s7
	s_or_b32 exec_lo, exec_lo, s9
	s_and_saveexec_b32 s7, s6
	s_cbranch_execnz .LBB520_1513
	s_branch .LBB520_1514
.LBB520_1533:
	s_mov_b32 s0, -1
.LBB520_1534:
                                        ; implicit-def: $vgpr2
.LBB520_1535:
	s_and_b32 vcc_lo, exec_lo, s6
	s_mov_b32 s6, 0
	s_cbranch_vccz .LBB520_1537
; %bb.1536:
	v_cmp_ne_u16_e64 s0, 11, v9
	s_mov_b32 s6, -1
                                        ; implicit-def: $vgpr2
.LBB520_1537:
	s_delay_alu instid0(VALU_DEP_1)
	s_and_b32 vcc_lo, exec_lo, s0
	s_cbranch_vccnz .LBB520_2075
; %bb.1538:
	s_and_not1_b32 vcc_lo, exec_lo, s6
	s_cbranch_vccnz .LBB520_1540
.LBB520_1539:
	global_load_u8 v0, v[6:7], off
	s_mov_b32 s7, -1
	s_waitcnt vmcnt(0)
	v_cmp_ne_u16_e32 vcc_lo, 0, v0
	v_cndmask_b32_e64 v2, 0, 1.0, vcc_lo
.LBB520_1540:
	s_mov_b32 s0, 0
.LBB520_1541:
	s_delay_alu instid0(SALU_CYCLE_1)
	s_and_b32 vcc_lo, exec_lo, s0
	s_cbranch_vccz .LBB520_1590
; %bb.1542:
	v_cmp_gt_i16_e32 vcc_lo, 5, v9
	s_cbranch_vccnz .LBB520_1547
; %bb.1543:
	v_cmp_gt_i16_e32 vcc_lo, 8, v9
	s_cbranch_vccnz .LBB520_1548
	;; [unrolled: 3-line block ×3, first 2 shown]
; %bb.1545:
	v_cmp_lt_i16_e32 vcc_lo, 9, v9
	s_cbranch_vccz .LBB520_1550
; %bb.1546:
	global_load_b64 v[10:11], v[6:7], off
	s_mov_b32 s0, 0
	s_waitcnt vmcnt(0)
	v_cvt_f32_f64_e32 v2, v[10:11]
	s_branch .LBB520_1551
.LBB520_1547:
	s_mov_b32 s0, -1
                                        ; implicit-def: $vgpr2
	s_branch .LBB520_1569
.LBB520_1548:
	s_mov_b32 s0, -1
                                        ; implicit-def: $vgpr2
	s_branch .LBB520_1557
.LBB520_1549:
	s_mov_b32 s0, -1
                                        ; implicit-def: $vgpr2
	s_branch .LBB520_1554
.LBB520_1550:
	s_mov_b32 s0, -1
                                        ; implicit-def: $vgpr2
.LBB520_1551:
	s_delay_alu instid0(SALU_CYCLE_1)
	s_and_not1_b32 vcc_lo, exec_lo, s0
	s_cbranch_vccnz .LBB520_1553
; %bb.1552:
	global_load_b32 v2, v[6:7], off
.LBB520_1553:
	s_mov_b32 s0, 0
.LBB520_1554:
	s_delay_alu instid0(SALU_CYCLE_1)
	s_and_not1_b32 vcc_lo, exec_lo, s0
	s_cbranch_vccnz .LBB520_1556
; %bb.1555:
	global_load_b32 v0, v[6:7], off
	s_waitcnt vmcnt(0)
	v_cvt_f32_f16_e32 v2, v0
.LBB520_1556:
	s_mov_b32 s0, 0
.LBB520_1557:
	s_delay_alu instid0(SALU_CYCLE_1)
	s_and_not1_b32 vcc_lo, exec_lo, s0
	s_cbranch_vccnz .LBB520_1568
; %bb.1558:
	v_cmp_gt_i16_e32 vcc_lo, 6, v9
	s_cbranch_vccnz .LBB520_1561
; %bb.1559:
	v_cmp_lt_i16_e32 vcc_lo, 6, v9
	s_cbranch_vccz .LBB520_1562
; %bb.1560:
	global_load_b64 v[10:11], v[6:7], off
	s_mov_b32 s0, 0
	s_waitcnt vmcnt(0)
	v_cvt_f32_f64_e32 v2, v[10:11]
	s_branch .LBB520_1563
.LBB520_1561:
	s_mov_b32 s0, -1
                                        ; implicit-def: $vgpr2
	s_branch .LBB520_1566
.LBB520_1562:
	s_mov_b32 s0, -1
                                        ; implicit-def: $vgpr2
.LBB520_1563:
	s_delay_alu instid0(SALU_CYCLE_1)
	s_and_not1_b32 vcc_lo, exec_lo, s0
	s_cbranch_vccnz .LBB520_1565
; %bb.1564:
	global_load_b32 v2, v[6:7], off
.LBB520_1565:
	s_mov_b32 s0, 0
.LBB520_1566:
	s_delay_alu instid0(SALU_CYCLE_1)
	s_and_not1_b32 vcc_lo, exec_lo, s0
	s_cbranch_vccnz .LBB520_1568
; %bb.1567:
	global_load_u16 v0, v[6:7], off
	s_waitcnt vmcnt(0)
	v_cvt_f32_f16_e32 v2, v0
.LBB520_1568:
	s_mov_b32 s0, 0
.LBB520_1569:
	s_delay_alu instid0(SALU_CYCLE_1)
	s_and_not1_b32 vcc_lo, exec_lo, s0
	s_cbranch_vccnz .LBB520_1589
; %bb.1570:
	v_cmp_gt_i16_e32 vcc_lo, 2, v9
	s_cbranch_vccnz .LBB520_1574
; %bb.1571:
	v_cmp_gt_i16_e32 vcc_lo, 3, v9
	s_cbranch_vccnz .LBB520_1575
; %bb.1572:
	v_cmp_lt_i16_e32 vcc_lo, 3, v9
	s_cbranch_vccz .LBB520_1576
; %bb.1573:
	global_load_b64 v[10:11], v[6:7], off
	s_mov_b32 s0, 0
	s_waitcnt vmcnt(0)
	v_xor_b32_e32 v0, v10, v11
	v_cls_i32_e32 v2, v11
	s_delay_alu instid0(VALU_DEP_2) | instskip(NEXT) | instid1(VALU_DEP_2)
	v_ashrrev_i32_e32 v0, 31, v0
	v_add_nc_u32_e32 v2, -1, v2
	s_delay_alu instid0(VALU_DEP_2) | instskip(NEXT) | instid1(VALU_DEP_1)
	v_add_nc_u32_e32 v0, 32, v0
	v_min_u32_e32 v0, v2, v0
	s_delay_alu instid0(VALU_DEP_1) | instskip(SKIP_1) | instid1(VALU_DEP_2)
	v_lshlrev_b64 v[10:11], v0, v[10:11]
	v_sub_nc_u32_e32 v0, 32, v0
	v_min_u32_e32 v2, 1, v10
	s_delay_alu instid0(VALU_DEP_1) | instskip(NEXT) | instid1(VALU_DEP_1)
	v_or_b32_e32 v2, v11, v2
	v_cvt_f32_i32_e32 v2, v2
	s_delay_alu instid0(VALU_DEP_1)
	v_ldexp_f32 v2, v2, v0
	s_branch .LBB520_1577
.LBB520_1574:
	s_mov_b32 s0, -1
                                        ; implicit-def: $vgpr2
	s_branch .LBB520_1583
.LBB520_1575:
	s_mov_b32 s0, -1
                                        ; implicit-def: $vgpr2
	s_branch .LBB520_1580
.LBB520_1576:
	s_mov_b32 s0, -1
                                        ; implicit-def: $vgpr2
.LBB520_1577:
	s_delay_alu instid0(SALU_CYCLE_1)
	s_and_not1_b32 vcc_lo, exec_lo, s0
	s_cbranch_vccnz .LBB520_1579
; %bb.1578:
	global_load_b32 v0, v[6:7], off
	s_waitcnt vmcnt(0)
	v_cvt_f32_i32_e32 v2, v0
.LBB520_1579:
	s_mov_b32 s0, 0
.LBB520_1580:
	s_delay_alu instid0(SALU_CYCLE_1)
	s_and_not1_b32 vcc_lo, exec_lo, s0
	s_cbranch_vccnz .LBB520_1582
; %bb.1581:
	global_load_i16 v0, v[6:7], off
	s_waitcnt vmcnt(0)
	v_cvt_f32_i32_e32 v2, v0
.LBB520_1582:
	s_mov_b32 s0, 0
.LBB520_1583:
	s_delay_alu instid0(SALU_CYCLE_1)
	s_and_not1_b32 vcc_lo, exec_lo, s0
	s_cbranch_vccnz .LBB520_1589
; %bb.1584:
	v_cmp_lt_i16_e32 vcc_lo, 0, v9
	s_mov_b32 s0, 0
	s_cbranch_vccz .LBB520_1586
; %bb.1585:
	global_load_i8 v0, v[6:7], off
	s_waitcnt vmcnt(0)
	v_cvt_f32_i32_e32 v2, v0
	s_branch .LBB520_1587
.LBB520_1586:
	s_mov_b32 s0, -1
                                        ; implicit-def: $vgpr2
.LBB520_1587:
	s_delay_alu instid0(SALU_CYCLE_1)
	s_and_not1_b32 vcc_lo, exec_lo, s0
	s_cbranch_vccnz .LBB520_1589
; %bb.1588:
	global_load_u8 v0, v[6:7], off
	s_waitcnt vmcnt(0)
	v_cvt_f32_ubyte0_e32 v2, v0
.LBB520_1589:
	s_mov_b32 s7, -1
.LBB520_1590:
	s_delay_alu instid0(SALU_CYCLE_1)
	s_and_not1_b32 vcc_lo, exec_lo, s7
	s_cbranch_vccnz .LBB520_1673
; %bb.1591:
	v_mov_b32_e32 v0, s10
	s_mov_b32 s0, exec_lo
	s_waitcnt vmcnt(0)
	s_delay_alu instid0(VALU_DEP_2)
	v_cmpx_o_f32_e32 v2, v2
	s_cbranch_execz .LBB520_1595
; %bb.1592:
	v_mov_b32_e32 v0, s11
	s_mov_b32 s6, exec_lo
	v_cmpx_neq_f32_e32 0x7f800000, v2
; %bb.1593:
	v_cmp_eq_f32_e32 vcc_lo, 0xff800000, v2
	v_cndmask_b32_e64 v0, v2, s2, vcc_lo
; %bb.1594:
	s_or_b32 exec_lo, exec_lo, s6
.LBB520_1595:
	s_delay_alu instid0(SALU_CYCLE_1) | instskip(SKIP_2) | instid1(VALU_DEP_1)
	s_or_b32 exec_lo, exec_lo, s0
	v_mul_lo_u32 v4, s8, v8
	v_and_b32_e64 v10, 0xff, s3
	v_cmp_gt_i16_e32 vcc_lo, 11, v10
	s_delay_alu instid0(VALU_DEP_3) | instskip(SKIP_1) | instid1(VALU_DEP_1)
	v_ashrrev_i32_e32 v2, 31, v4
	v_add_co_u32 v6, s0, s4, v4
	v_add_co_ci_u32_e64 v7, s0, s5, v2, s0
	s_cbranch_vccnz .LBB520_1718
; %bb.1596:
	v_cmp_lt_i16_e32 vcc_lo, 25, v10
	s_mov_b32 s6, -1
	s_mov_b32 s2, 0
	s_mov_b32 s3, 0
	;; [unrolled: 1-line block ×3, first 2 shown]
	s_cbranch_vccz .LBB520_1629
; %bb.1597:
	v_cmp_lt_i16_e32 vcc_lo, 28, v10
	s_cbranch_vccz .LBB520_1612
; %bb.1598:
	v_cmp_lt_i16_e32 vcc_lo, 43, v10
	;; [unrolled: 3-line block ×3, first 2 shown]
	s_cbranch_vccz .LBB520_1602
; %bb.1600:
	v_cmp_eq_u16_e32 vcc_lo, 46, v10
	s_mov_b32 s0, -1
	s_mov_b32 s6, 0
	s_cbranch_vccz .LBB520_1602
; %bb.1601:
	v_bfe_u32 v2, v1, 16, 1
	v_cmp_o_f32_e32 vcc_lo, v1, v1
	s_mov_b32 s0, 0
	s_mov_b32 s3, -1
	s_delay_alu instid0(VALU_DEP_2) | instskip(NEXT) | instid1(VALU_DEP_1)
	v_add3_u32 v2, v1, v2, 0x7fff
	v_lshrrev_b32_e32 v2, 16, v2
	s_delay_alu instid0(VALU_DEP_1)
	v_cndmask_b32_e32 v2, 0x7fc0, v2, vcc_lo
	global_store_b32 v[6:7], v2, off
.LBB520_1602:
	s_and_b32 vcc_lo, exec_lo, s6
	s_cbranch_vccz .LBB520_1607
; %bb.1603:
	v_cmp_eq_u16_e32 vcc_lo, 44, v10
	s_mov_b32 s0, -1
	s_cbranch_vccz .LBB520_1607
; %bb.1604:
	v_bfe_u32 v8, v1, 23, 8
	v_mov_b32_e32 v2, 0xff
	s_mov_b32 s3, exec_lo
	s_delay_alu instid0(VALU_DEP_2)
	v_cmpx_ne_u32_e32 0xff, v8
; %bb.1605:
	v_and_b32_e32 v2, 0x400000, v1
	v_and_or_b32 v8, 0x3fffff, v1, v8
	s_delay_alu instid0(VALU_DEP_2) | instskip(NEXT) | instid1(VALU_DEP_2)
	v_cmp_ne_u32_e32 vcc_lo, 0, v2
	v_cmp_ne_u32_e64 s0, 0, v8
	v_lshrrev_b32_e32 v2, 23, v1
	s_delay_alu instid0(VALU_DEP_2) | instskip(NEXT) | instid1(SALU_CYCLE_1)
	s_and_b32 s0, vcc_lo, s0
	v_cndmask_b32_e64 v8, 0, 1, s0
	s_delay_alu instid0(VALU_DEP_1)
	v_add_nc_u32_e32 v2, v2, v8
; %bb.1606:
	s_or_b32 exec_lo, exec_lo, s3
	s_mov_b32 s0, 0
	s_mov_b32 s3, -1
	global_store_b8 v[6:7], v2, off
.LBB520_1607:
	s_mov_b32 s6, 0
.LBB520_1608:
	s_delay_alu instid0(SALU_CYCLE_1)
	s_and_b32 vcc_lo, exec_lo, s6
	s_cbranch_vccz .LBB520_1611
; %bb.1609:
	v_cmp_eq_u16_e32 vcc_lo, 29, v10
	s_mov_b32 s0, -1
	s_cbranch_vccz .LBB520_1611
; %bb.1610:
	v_trunc_f32_e32 v2, v1
	s_mov_b32 s0, 0
	s_mov_b32 s3, -1
	s_delay_alu instid0(VALU_DEP_1) | instskip(NEXT) | instid1(VALU_DEP_1)
	v_mul_f32_e32 v8, 0x2f800000, v2
	v_floor_f32_e32 v8, v8
	s_delay_alu instid0(VALU_DEP_1) | instskip(SKIP_1) | instid1(VALU_DEP_2)
	v_fmamk_f32 v2, v8, 0xcf800000, v2
	v_cvt_u32_f32_e32 v9, v8
	v_cvt_u32_f32_e32 v8, v2
	global_store_b64 v[6:7], v[8:9], off
.LBB520_1611:
	s_mov_b32 s6, 0
.LBB520_1612:
	s_delay_alu instid0(SALU_CYCLE_1)
	s_and_b32 vcc_lo, exec_lo, s6
	s_cbranch_vccz .LBB520_1628
; %bb.1613:
	v_cmp_gt_i16_e32 vcc_lo, 27, v10
	s_mov_b32 s3, -1
	s_cbranch_vccnz .LBB520_1619
; %bb.1614:
	v_cmp_lt_i16_e32 vcc_lo, 27, v10
	v_cvt_u32_f32_e32 v2, v1
	s_cbranch_vccz .LBB520_1616
; %bb.1615:
	s_mov_b32 s3, 0
	global_store_b32 v[6:7], v2, off
.LBB520_1616:
	s_and_not1_b32 vcc_lo, exec_lo, s3
	s_cbranch_vccnz .LBB520_1618
; %bb.1617:
	global_store_b16 v[6:7], v2, off
.LBB520_1618:
	s_mov_b32 s3, 0
.LBB520_1619:
	s_delay_alu instid0(SALU_CYCLE_1)
	s_and_not1_b32 vcc_lo, exec_lo, s3
	s_cbranch_vccnz .LBB520_1627
; %bb.1620:
	v_and_b32_e32 v2, 0x7fffffff, v1
	v_mov_b32_e32 v8, 0x80
	s_mov_b32 s3, exec_lo
	s_delay_alu instid0(VALU_DEP_2)
	v_cmpx_gt_u32_e32 0x43800000, v2
	s_cbranch_execz .LBB520_1626
; %bb.1621:
	v_cmp_lt_u32_e32 vcc_lo, 0x3bffffff, v2
	s_mov_b32 s6, 0
                                        ; implicit-def: $vgpr2
	s_and_saveexec_b32 s7, vcc_lo
	s_delay_alu instid0(SALU_CYCLE_1)
	s_xor_b32 s7, exec_lo, s7
	s_cbranch_execz .LBB520_2077
; %bb.1622:
	v_bfe_u32 v2, v1, 20, 1
	s_mov_b32 s6, exec_lo
	s_delay_alu instid0(VALU_DEP_1) | instskip(NEXT) | instid1(VALU_DEP_1)
	v_add3_u32 v2, v1, v2, 0x487ffff
	v_lshrrev_b32_e32 v2, 20, v2
	s_or_saveexec_b32 s7, s7
                                        ; implicit-def: $sgpr9
	s_delay_alu instid0(SALU_CYCLE_1)
	s_xor_b32 exec_lo, exec_lo, s7
	s_cbranch_execnz .LBB520_2078
.LBB520_1623:
	s_or_b32 exec_lo, exec_lo, s7
	v_mov_b32_e32 v8, s9
	s_and_saveexec_b32 s7, s6
.LBB520_1624:
	v_lshrrev_b32_e32 v8, 24, v1
	s_delay_alu instid0(VALU_DEP_1)
	v_and_or_b32 v8, 0x80, v8, v2
.LBB520_1625:
	s_or_b32 exec_lo, exec_lo, s7
.LBB520_1626:
	s_delay_alu instid0(SALU_CYCLE_1)
	s_or_b32 exec_lo, exec_lo, s3
	global_store_b8 v[6:7], v8, off
.LBB520_1627:
	s_mov_b32 s3, -1
.LBB520_1628:
	s_mov_b32 s6, 0
.LBB520_1629:
	s_delay_alu instid0(SALU_CYCLE_1)
	s_and_b32 vcc_lo, exec_lo, s6
	s_cbranch_vccz .LBB520_1669
; %bb.1630:
	v_cmp_lt_i16_e32 vcc_lo, 22, v10
	s_mov_b32 s2, -1
	s_cbranch_vccz .LBB520_1662
; %bb.1631:
	v_cmp_gt_i16_e32 vcc_lo, 24, v10
	s_cbranch_vccnz .LBB520_1651
; %bb.1632:
	v_cmp_lt_i16_e32 vcc_lo, 24, v10
	s_cbranch_vccz .LBB520_1640
; %bb.1633:
	v_and_b32_e32 v2, 0x7fffffff, v1
	v_mov_b32_e32 v8, 0x80
	s_mov_b32 s2, exec_lo
	s_delay_alu instid0(VALU_DEP_2)
	v_cmpx_gt_u32_e32 0x47800000, v2
	s_cbranch_execz .LBB520_1639
; %bb.1634:
	v_cmp_lt_u32_e32 vcc_lo, 0x37ffffff, v2
	s_mov_b32 s3, 0
                                        ; implicit-def: $vgpr2
	s_and_saveexec_b32 s6, vcc_lo
	s_delay_alu instid0(SALU_CYCLE_1)
	s_xor_b32 s6, exec_lo, s6
	s_cbranch_execz .LBB520_2083
; %bb.1635:
	v_bfe_u32 v2, v1, 21, 1
	s_mov_b32 s3, exec_lo
	s_delay_alu instid0(VALU_DEP_1) | instskip(NEXT) | instid1(VALU_DEP_1)
	v_add3_u32 v2, v1, v2, 0x88fffff
	v_lshrrev_b32_e32 v2, 21, v2
	s_or_saveexec_b32 s6, s6
                                        ; implicit-def: $sgpr7
	s_delay_alu instid0(SALU_CYCLE_1)
	s_xor_b32 exec_lo, exec_lo, s6
	s_cbranch_execnz .LBB520_2084
.LBB520_1636:
	s_or_b32 exec_lo, exec_lo, s6
	v_mov_b32_e32 v8, s7
	s_and_saveexec_b32 s6, s3
.LBB520_1637:
	v_lshrrev_b32_e32 v8, 24, v1
	s_delay_alu instid0(VALU_DEP_1)
	v_and_or_b32 v8, 0x80, v8, v2
.LBB520_1638:
	s_or_b32 exec_lo, exec_lo, s6
.LBB520_1639:
	s_delay_alu instid0(SALU_CYCLE_1)
	s_or_b32 exec_lo, exec_lo, s2
	s_mov_b32 s2, 0
	global_store_b8 v[6:7], v8, off
.LBB520_1640:
	s_and_b32 vcc_lo, exec_lo, s2
	s_cbranch_vccz .LBB520_1650
; %bb.1641:
	v_and_b32_e32 v8, 0x7fffffff, v1
	s_mov_b32 s2, exec_lo
                                        ; implicit-def: $vgpr2
	s_delay_alu instid0(VALU_DEP_1)
	v_cmpx_gt_u32_e32 0x43f00000, v8
	s_xor_b32 s2, exec_lo, s2
	s_cbranch_execz .LBB520_1647
; %bb.1642:
	s_mov_b32 s3, exec_lo
                                        ; implicit-def: $vgpr2
	v_cmpx_lt_u32_e32 0x3c7fffff, v8
	s_xor_b32 s3, exec_lo, s3
; %bb.1643:
	v_bfe_u32 v2, v1, 20, 1
	s_delay_alu instid0(VALU_DEP_1) | instskip(NEXT) | instid1(VALU_DEP_1)
	v_add3_u32 v2, v1, v2, 0x407ffff
	v_and_b32_e32 v8, 0xff00000, v2
	v_lshrrev_b32_e32 v2, 20, v2
	s_delay_alu instid0(VALU_DEP_2) | instskip(NEXT) | instid1(VALU_DEP_2)
	v_cmp_ne_u32_e32 vcc_lo, 0x7f00000, v8
	v_cndmask_b32_e32 v2, 0x7e, v2, vcc_lo
; %bb.1644:
	s_and_not1_saveexec_b32 s3, s3
; %bb.1645:
	v_add_f32_e64 v2, 0x46800000, |v1|
; %bb.1646:
	s_or_b32 exec_lo, exec_lo, s3
                                        ; implicit-def: $vgpr8
.LBB520_1647:
	s_and_not1_saveexec_b32 s2, s2
; %bb.1648:
	v_mov_b32_e32 v2, 0x7f
	v_cmp_lt_u32_e32 vcc_lo, 0x7f800000, v8
	s_delay_alu instid0(VALU_DEP_2)
	v_cndmask_b32_e32 v2, 0x7e, v2, vcc_lo
; %bb.1649:
	s_or_b32 exec_lo, exec_lo, s2
	v_lshrrev_b32_e32 v8, 24, v1
	s_delay_alu instid0(VALU_DEP_1)
	v_and_or_b32 v2, 0x80, v8, v2
	global_store_b8 v[6:7], v2, off
.LBB520_1650:
	s_mov_b32 s2, 0
.LBB520_1651:
	s_delay_alu instid0(SALU_CYCLE_1)
	s_and_not1_b32 vcc_lo, exec_lo, s2
	s_cbranch_vccnz .LBB520_1661
; %bb.1652:
	v_and_b32_e32 v8, 0x7fffffff, v1
	s_mov_b32 s2, exec_lo
                                        ; implicit-def: $vgpr2
	s_delay_alu instid0(VALU_DEP_1)
	v_cmpx_gt_u32_e32 0x47800000, v8
	s_xor_b32 s2, exec_lo, s2
	s_cbranch_execz .LBB520_1658
; %bb.1653:
	s_mov_b32 s3, exec_lo
                                        ; implicit-def: $vgpr2
	v_cmpx_lt_u32_e32 0x387fffff, v8
	s_xor_b32 s3, exec_lo, s3
; %bb.1654:
	v_bfe_u32 v2, v1, 21, 1
	s_delay_alu instid0(VALU_DEP_1) | instskip(NEXT) | instid1(VALU_DEP_1)
	v_add3_u32 v2, v1, v2, 0x80fffff
	v_lshrrev_b32_e32 v2, 21, v2
; %bb.1655:
	s_and_not1_saveexec_b32 s3, s3
; %bb.1656:
	v_add_f32_e64 v2, 0x43000000, |v1|
; %bb.1657:
	s_or_b32 exec_lo, exec_lo, s3
                                        ; implicit-def: $vgpr8
.LBB520_1658:
	s_and_not1_saveexec_b32 s2, s2
; %bb.1659:
	v_mov_b32_e32 v2, 0x7f
	v_cmp_lt_u32_e32 vcc_lo, 0x7f800000, v8
	s_delay_alu instid0(VALU_DEP_2)
	v_cndmask_b32_e32 v2, 0x7c, v2, vcc_lo
; %bb.1660:
	s_or_b32 exec_lo, exec_lo, s2
	v_lshrrev_b32_e32 v8, 24, v1
	s_delay_alu instid0(VALU_DEP_1)
	v_and_or_b32 v2, 0x80, v8, v2
	global_store_b8 v[6:7], v2, off
.LBB520_1661:
	s_mov_b32 s2, 0
	s_mov_b32 s3, -1
.LBB520_1662:
	s_and_not1_b32 vcc_lo, exec_lo, s2
	s_mov_b32 s2, 0
	s_cbranch_vccnz .LBB520_1669
; %bb.1663:
	v_cmp_lt_i16_e32 vcc_lo, 14, v10
	s_mov_b32 s2, -1
	s_cbranch_vccz .LBB520_1667
; %bb.1664:
	v_cmp_eq_u16_e32 vcc_lo, 15, v10
	s_mov_b32 s0, -1
	s_cbranch_vccz .LBB520_1666
; %bb.1665:
	v_bfe_u32 v2, v1, 16, 1
	v_cmp_o_f32_e32 vcc_lo, v1, v1
	s_mov_b32 s0, 0
	s_mov_b32 s3, -1
	s_delay_alu instid0(VALU_DEP_2) | instskip(NEXT) | instid1(VALU_DEP_1)
	v_add3_u32 v2, v1, v2, 0x7fff
	v_lshrrev_b32_e32 v2, 16, v2
	s_delay_alu instid0(VALU_DEP_1)
	v_cndmask_b32_e32 v2, 0x7fc0, v2, vcc_lo
	global_store_b16 v[6:7], v2, off
.LBB520_1666:
	s_mov_b32 s2, 0
.LBB520_1667:
	s_delay_alu instid0(SALU_CYCLE_1)
	s_and_b32 vcc_lo, exec_lo, s2
	s_mov_b32 s2, 0
	s_cbranch_vccz .LBB520_1669
; %bb.1668:
	v_cmp_ne_u16_e64 s0, 11, v10
	s_mov_b32 s2, -1
.LBB520_1669:
	s_delay_alu instid0(VALU_DEP_1)
	s_and_b32 vcc_lo, exec_lo, s0
	s_cbranch_vccnz .LBB520_2081
; %bb.1670:
	s_and_not1_b32 vcc_lo, exec_lo, s2
	s_cbranch_vccnz .LBB520_1672
.LBB520_1671:
	v_cmp_neq_f32_e32 vcc_lo, 0, v1
	s_mov_b32 s3, -1
	v_cndmask_b32_e64 v2, 0, 1, vcc_lo
	global_store_b8 v[6:7], v2, off
.LBB520_1672:
	s_mov_b32 s0, 0
	s_branch .LBB520_1719
.LBB520_1673:
	s_mov_b32 s0, 0
	s_mov_b32 s2, 0
                                        ; implicit-def: $vgpr10
                                        ; implicit-def: $vgpr2_vgpr3
                                        ; implicit-def: $vgpr0
.LBB520_1674:
	s_and_not1_b32 s3, s13, exec_lo
	s_and_b32 s4, s1, exec_lo
	s_and_b32 s0, s0, exec_lo
	;; [unrolled: 1-line block ×3, first 2 shown]
	s_or_b32 s13, s3, s4
.LBB520_1675:
	s_or_b32 exec_lo, exec_lo, s12
	s_and_saveexec_b32 s2, s13
	s_cbranch_execz .LBB520_1678
; %bb.1676:
	; divergent unreachable
	s_or_b32 exec_lo, exec_lo, s2
	s_and_saveexec_b32 s2, s1
	s_delay_alu instid0(SALU_CYCLE_1)
	s_xor_b32 s1, exec_lo, s2
	s_cbranch_execnz .LBB520_1679
.LBB520_1677:
	s_or_b32 exec_lo, exec_lo, s1
	s_and_saveexec_b32 s1, s0
	s_cbranch_execnz .LBB520_1680
	s_branch .LBB520_1717
.LBB520_1678:
	s_or_b32 exec_lo, exec_lo, s2
	s_and_saveexec_b32 s2, s1
	s_delay_alu instid0(SALU_CYCLE_1)
	s_xor_b32 s1, exec_lo, s2
	s_cbranch_execz .LBB520_1677
.LBB520_1679:
	v_cmp_neq_f32_e32 vcc_lo, 0, v0
	v_cndmask_b32_e64 v1, 0, 1, vcc_lo
	s_waitcnt vmcnt(0)
	global_store_b8 v[2:3], v1, off
	s_or_b32 exec_lo, exec_lo, s1
	s_and_saveexec_b32 s1, s0
	s_cbranch_execz .LBB520_1717
.LBB520_1680:
	v_cmp_gt_i16_e32 vcc_lo, 5, v10
	s_mov_b32 s0, -1
	s_cbranch_vccnz .LBB520_1701
; %bb.1681:
	v_cmp_gt_i16_e32 vcc_lo, 8, v10
	s_cbranch_vccnz .LBB520_1691
; %bb.1682:
	v_cmp_gt_i16_e32 vcc_lo, 9, v10
	s_cbranch_vccnz .LBB520_1688
; %bb.1683:
	v_cmp_lt_i16_e32 vcc_lo, 9, v10
	s_cbranch_vccz .LBB520_1685
; %bb.1684:
	s_waitcnt vmcnt(0)
	v_cvt_f64_f32_e32 v[4:5], v0
	v_mov_b32_e32 v6, 0
	s_mov_b32 s0, 0
	s_delay_alu instid0(VALU_DEP_1)
	v_mov_b32_e32 v7, v6
	global_store_b128 v[2:3], v[4:7], off
.LBB520_1685:
	s_and_not1_b32 vcc_lo, exec_lo, s0
	s_cbranch_vccnz .LBB520_1687
; %bb.1686:
	v_mov_b32_e32 v1, 0
	s_waitcnt vmcnt(0)
	global_store_b64 v[2:3], v[0:1], off
.LBB520_1687:
	s_mov_b32 s0, 0
.LBB520_1688:
	s_delay_alu instid0(SALU_CYCLE_1)
	s_and_not1_b32 vcc_lo, exec_lo, s0
	s_cbranch_vccnz .LBB520_1690
; %bb.1689:
	v_cvt_f16_f32_e32 v1, v0
	s_delay_alu instid0(VALU_DEP_1)
	v_and_b32_e32 v1, 0xffff, v1
	s_waitcnt vmcnt(0)
	global_store_b32 v[2:3], v1, off
.LBB520_1690:
	s_mov_b32 s0, 0
.LBB520_1691:
	s_delay_alu instid0(SALU_CYCLE_1)
	s_and_not1_b32 vcc_lo, exec_lo, s0
	s_cbranch_vccnz .LBB520_1700
; %bb.1692:
	v_cmp_gt_i16_e32 vcc_lo, 6, v10
	s_mov_b32 s0, -1
	s_cbranch_vccnz .LBB520_1698
; %bb.1693:
	v_cmp_lt_i16_e32 vcc_lo, 6, v10
	s_cbranch_vccz .LBB520_1695
; %bb.1694:
	s_waitcnt vmcnt(0)
	v_cvt_f64_f32_e32 v[4:5], v0
	s_mov_b32 s0, 0
	global_store_b64 v[2:3], v[4:5], off
.LBB520_1695:
	s_and_not1_b32 vcc_lo, exec_lo, s0
	s_cbranch_vccnz .LBB520_1697
; %bb.1696:
	s_waitcnt vmcnt(0)
	global_store_b32 v[2:3], v0, off
.LBB520_1697:
	s_mov_b32 s0, 0
.LBB520_1698:
	s_delay_alu instid0(SALU_CYCLE_1)
	s_and_not1_b32 vcc_lo, exec_lo, s0
	s_cbranch_vccnz .LBB520_1700
; %bb.1699:
	v_cvt_f16_f32_e32 v1, v0
	s_waitcnt vmcnt(0)
	global_store_b16 v[2:3], v1, off
.LBB520_1700:
	s_mov_b32 s0, 0
.LBB520_1701:
	s_delay_alu instid0(SALU_CYCLE_1)
	s_and_not1_b32 vcc_lo, exec_lo, s0
	s_cbranch_vccnz .LBB520_1717
; %bb.1702:
	v_cmp_gt_i16_e32 vcc_lo, 2, v10
	s_mov_b32 s0, -1
	s_cbranch_vccnz .LBB520_1712
; %bb.1703:
	v_cmp_gt_i16_e32 vcc_lo, 3, v10
	s_cbranch_vccnz .LBB520_1709
; %bb.1704:
	v_cmp_lt_i16_e32 vcc_lo, 3, v10
	s_cbranch_vccz .LBB520_1706
; %bb.1705:
	v_trunc_f32_e32 v1, v0
	s_mov_b32 s0, 0
	s_waitcnt vmcnt(0)
	s_delay_alu instid0(VALU_DEP_1) | instskip(NEXT) | instid1(VALU_DEP_1)
	v_mul_f32_e64 v4, 0x2f800000, |v1|
	v_floor_f32_e32 v4, v4
	s_delay_alu instid0(VALU_DEP_1) | instskip(SKIP_2) | instid1(VALU_DEP_3)
	v_fma_f32 v5, 0xcf800000, v4, |v1|
	v_ashrrev_i32_e32 v1, 31, v1
	v_cvt_u32_f32_e32 v4, v4
	v_cvt_u32_f32_e32 v5, v5
	s_delay_alu instid0(VALU_DEP_2) | instskip(NEXT) | instid1(VALU_DEP_2)
	v_xor_b32_e32 v6, v4, v1
	v_xor_b32_e32 v5, v5, v1
	s_delay_alu instid0(VALU_DEP_1) | instskip(NEXT) | instid1(VALU_DEP_3)
	v_sub_co_u32 v4, vcc_lo, v5, v1
	v_sub_co_ci_u32_e32 v5, vcc_lo, v6, v1, vcc_lo
	global_store_b64 v[2:3], v[4:5], off
.LBB520_1706:
	s_and_not1_b32 vcc_lo, exec_lo, s0
	s_cbranch_vccnz .LBB520_1708
; %bb.1707:
	v_cvt_i32_f32_e32 v1, v0
	s_waitcnt vmcnt(0)
	global_store_b32 v[2:3], v1, off
.LBB520_1708:
	s_mov_b32 s0, 0
.LBB520_1709:
	s_delay_alu instid0(SALU_CYCLE_1)
	s_and_not1_b32 vcc_lo, exec_lo, s0
	s_cbranch_vccnz .LBB520_1711
; %bb.1710:
	v_cvt_i32_f32_e32 v1, v0
	s_waitcnt vmcnt(0)
	global_store_b16 v[2:3], v1, off
.LBB520_1711:
	s_mov_b32 s0, 0
.LBB520_1712:
	s_delay_alu instid0(SALU_CYCLE_1)
	s_and_not1_b32 vcc_lo, exec_lo, s0
	s_cbranch_vccnz .LBB520_1717
; %bb.1713:
	v_cmp_lt_i16_e32 vcc_lo, 0, v10
	s_mov_b32 s0, -1
	s_cbranch_vccz .LBB520_1715
; %bb.1714:
	v_cvt_i32_f32_e32 v1, v0
	s_mov_b32 s0, 0
	s_waitcnt vmcnt(0)
	global_store_b8 v[2:3], v1, off
.LBB520_1715:
	s_and_not1_b32 vcc_lo, exec_lo, s0
	s_cbranch_vccnz .LBB520_1717
; %bb.1716:
	v_trunc_f32_e32 v0, v0
	s_delay_alu instid0(VALU_DEP_1) | instskip(NEXT) | instid1(VALU_DEP_1)
	v_mul_f32_e64 v1, 0x2f800000, |v0|
	v_floor_f32_e32 v1, v1
	s_delay_alu instid0(VALU_DEP_1) | instskip(SKIP_1) | instid1(VALU_DEP_2)
	v_fma_f32 v1, 0xcf800000, v1, |v0|
	v_ashrrev_i32_e32 v0, 31, v0
	v_cvt_u32_f32_e32 v1, v1
	s_delay_alu instid0(VALU_DEP_1) | instskip(NEXT) | instid1(VALU_DEP_1)
	v_xor_b32_e32 v1, v1, v0
	v_sub_nc_u32_e32 v0, v1, v0
	s_waitcnt vmcnt(0)
	global_store_b8 v[2:3], v0, off
	s_nop 0
	s_sendmsg sendmsg(MSG_DEALLOC_VGPRS)
	s_endpgm
.LBB520_1717:
	s_nop 0
	s_sendmsg sendmsg(MSG_DEALLOC_VGPRS)
	s_endpgm
.LBB520_1718:
	s_mov_b32 s0, -1
	s_mov_b32 s3, 0
.LBB520_1719:
	s_and_b32 vcc_lo, exec_lo, s0
	s_cbranch_vccz .LBB520_1758
; %bb.1720:
	v_cmp_gt_i16_e32 vcc_lo, 5, v10
	s_mov_b32 s0, -1
	s_cbranch_vccnz .LBB520_1741
; %bb.1721:
	v_cmp_gt_i16_e32 vcc_lo, 8, v10
	s_cbranch_vccnz .LBB520_1731
; %bb.1722:
	v_cmp_gt_i16_e32 vcc_lo, 9, v10
	s_cbranch_vccnz .LBB520_1728
; %bb.1723:
	v_cmp_lt_i16_e32 vcc_lo, 9, v10
	s_cbranch_vccz .LBB520_1725
; %bb.1724:
	v_cvt_f64_f32_e32 v[11:12], v1
	v_mov_b32_e32 v13, 0
	s_mov_b32 s0, 0
	s_delay_alu instid0(VALU_DEP_1)
	v_mov_b32_e32 v14, v13
	global_store_b128 v[6:7], v[11:14], off
.LBB520_1725:
	s_and_not1_b32 vcc_lo, exec_lo, s0
	s_cbranch_vccnz .LBB520_1727
; %bb.1726:
	v_mov_b32_e32 v2, 0
	global_store_b64 v[6:7], v[1:2], off
.LBB520_1727:
	s_mov_b32 s0, 0
.LBB520_1728:
	s_delay_alu instid0(SALU_CYCLE_1)
	s_and_not1_b32 vcc_lo, exec_lo, s0
	s_cbranch_vccnz .LBB520_1730
; %bb.1729:
	v_cvt_f16_f32_e32 v2, v1
	s_delay_alu instid0(VALU_DEP_1)
	v_and_b32_e32 v2, 0xffff, v2
	global_store_b32 v[6:7], v2, off
.LBB520_1730:
	s_mov_b32 s0, 0
.LBB520_1731:
	s_delay_alu instid0(SALU_CYCLE_1)
	s_and_not1_b32 vcc_lo, exec_lo, s0
	s_cbranch_vccnz .LBB520_1740
; %bb.1732:
	v_cmp_gt_i16_e32 vcc_lo, 6, v10
	s_mov_b32 s0, -1
	s_cbranch_vccnz .LBB520_1738
; %bb.1733:
	v_cmp_lt_i16_e32 vcc_lo, 6, v10
	s_cbranch_vccz .LBB520_1735
; %bb.1734:
	v_cvt_f64_f32_e32 v[8:9], v1
	s_mov_b32 s0, 0
	global_store_b64 v[6:7], v[8:9], off
.LBB520_1735:
	s_and_not1_b32 vcc_lo, exec_lo, s0
	s_cbranch_vccnz .LBB520_1737
; %bb.1736:
	global_store_b32 v[6:7], v1, off
.LBB520_1737:
	s_mov_b32 s0, 0
.LBB520_1738:
	s_delay_alu instid0(SALU_CYCLE_1)
	s_and_not1_b32 vcc_lo, exec_lo, s0
	s_cbranch_vccnz .LBB520_1740
; %bb.1739:
	v_cvt_f16_f32_e32 v2, v1
	global_store_b16 v[6:7], v2, off
.LBB520_1740:
	s_mov_b32 s0, 0
.LBB520_1741:
	s_delay_alu instid0(SALU_CYCLE_1)
	s_and_not1_b32 vcc_lo, exec_lo, s0
	s_cbranch_vccnz .LBB520_1757
; %bb.1742:
	v_cmp_gt_i16_e32 vcc_lo, 2, v10
	s_mov_b32 s0, -1
	s_cbranch_vccnz .LBB520_1752
; %bb.1743:
	v_cmp_gt_i16_e32 vcc_lo, 3, v10
	s_cbranch_vccnz .LBB520_1749
; %bb.1744:
	v_cmp_lt_i16_e32 vcc_lo, 3, v10
	s_cbranch_vccz .LBB520_1746
; %bb.1745:
	v_trunc_f32_e32 v2, v1
	s_mov_b32 s0, 0
	s_delay_alu instid0(VALU_DEP_1) | instskip(NEXT) | instid1(VALU_DEP_1)
	v_mul_f32_e64 v8, 0x2f800000, |v2|
	v_floor_f32_e32 v8, v8
	s_delay_alu instid0(VALU_DEP_1) | instskip(SKIP_2) | instid1(VALU_DEP_3)
	v_fma_f32 v9, 0xcf800000, v8, |v2|
	v_ashrrev_i32_e32 v2, 31, v2
	v_cvt_u32_f32_e32 v8, v8
	v_cvt_u32_f32_e32 v9, v9
	s_delay_alu instid0(VALU_DEP_2) | instskip(NEXT) | instid1(VALU_DEP_2)
	v_xor_b32_e32 v11, v8, v2
	v_xor_b32_e32 v9, v9, v2
	s_delay_alu instid0(VALU_DEP_1) | instskip(NEXT) | instid1(VALU_DEP_3)
	v_sub_co_u32 v8, vcc_lo, v9, v2
	v_sub_co_ci_u32_e32 v9, vcc_lo, v11, v2, vcc_lo
	global_store_b64 v[6:7], v[8:9], off
.LBB520_1746:
	s_and_not1_b32 vcc_lo, exec_lo, s0
	s_cbranch_vccnz .LBB520_1748
; %bb.1747:
	v_cvt_i32_f32_e32 v2, v1
	global_store_b32 v[6:7], v2, off
.LBB520_1748:
	s_mov_b32 s0, 0
.LBB520_1749:
	s_delay_alu instid0(SALU_CYCLE_1)
	s_and_not1_b32 vcc_lo, exec_lo, s0
	s_cbranch_vccnz .LBB520_1751
; %bb.1750:
	v_cvt_i32_f32_e32 v2, v1
	global_store_b16 v[6:7], v2, off
.LBB520_1751:
	s_mov_b32 s0, 0
.LBB520_1752:
	s_delay_alu instid0(SALU_CYCLE_1)
	s_and_not1_b32 vcc_lo, exec_lo, s0
	s_cbranch_vccnz .LBB520_1757
; %bb.1753:
	v_cmp_lt_i16_e32 vcc_lo, 0, v10
	s_mov_b32 s0, -1
	s_cbranch_vccz .LBB520_1755
; %bb.1754:
	v_cvt_i32_f32_e32 v2, v1
	s_mov_b32 s0, 0
	global_store_b8 v[6:7], v2, off
.LBB520_1755:
	s_and_not1_b32 vcc_lo, exec_lo, s0
	s_cbranch_vccnz .LBB520_1757
; %bb.1756:
	v_trunc_f32_e32 v1, v1
	s_delay_alu instid0(VALU_DEP_1) | instskip(NEXT) | instid1(VALU_DEP_1)
	v_mul_f32_e64 v2, 0x2f800000, |v1|
	v_floor_f32_e32 v2, v2
	s_delay_alu instid0(VALU_DEP_1) | instskip(SKIP_1) | instid1(VALU_DEP_2)
	v_fma_f32 v2, 0xcf800000, v2, |v1|
	v_ashrrev_i32_e32 v1, 31, v1
	v_cvt_u32_f32_e32 v2, v2
	s_delay_alu instid0(VALU_DEP_1) | instskip(NEXT) | instid1(VALU_DEP_1)
	v_xor_b32_e32 v2, v2, v1
	v_sub_nc_u32_e32 v1, v2, v1
	global_store_b8 v[6:7], v1, off
.LBB520_1757:
	s_mov_b32 s3, -1
.LBB520_1758:
	s_delay_alu instid0(SALU_CYCLE_1)
	s_and_not1_b32 vcc_lo, exec_lo, s3
	s_cbranch_vccnz .LBB520_2073
; %bb.1759:
	s_lshl_b32 s2, s8, 7
	v_cmp_gt_i16_e32 vcc_lo, 11, v10
	v_add_nc_u32_e32 v6, s2, v4
	s_delay_alu instid0(VALU_DEP_1) | instskip(SKIP_1) | instid1(VALU_DEP_1)
	v_ashrrev_i32_e32 v2, 31, v6
	v_add_co_u32 v1, s0, s4, v6
	v_add_co_ci_u32_e64 v2, s0, s5, v2, s0
	s_cbranch_vccnz .LBB520_1837
; %bb.1760:
	v_cmp_lt_i16_e32 vcc_lo, 25, v10
	s_mov_b32 s7, -1
	s_mov_b32 s3, 0
	s_mov_b32 s6, 0
	;; [unrolled: 1-line block ×3, first 2 shown]
	s_cbranch_vccz .LBB520_1793
; %bb.1761:
	v_cmp_lt_i16_e32 vcc_lo, 28, v10
	s_cbranch_vccz .LBB520_1776
; %bb.1762:
	v_cmp_lt_i16_e32 vcc_lo, 43, v10
	;; [unrolled: 3-line block ×3, first 2 shown]
	s_cbranch_vccz .LBB520_1766
; %bb.1764:
	v_cmp_eq_u16_e32 vcc_lo, 46, v10
	s_mov_b32 s0, -1
	s_mov_b32 s7, 0
	s_cbranch_vccz .LBB520_1766
; %bb.1765:
	v_bfe_u32 v4, v3, 16, 1
	v_cmp_o_f32_e32 vcc_lo, v3, v3
	s_mov_b32 s0, 0
	s_mov_b32 s6, -1
	s_delay_alu instid0(VALU_DEP_2) | instskip(NEXT) | instid1(VALU_DEP_1)
	v_add3_u32 v4, v3, v4, 0x7fff
	v_lshrrev_b32_e32 v4, 16, v4
	s_delay_alu instid0(VALU_DEP_1)
	v_cndmask_b32_e32 v4, 0x7fc0, v4, vcc_lo
	global_store_b32 v[1:2], v4, off
.LBB520_1766:
	s_and_b32 vcc_lo, exec_lo, s7
	s_cbranch_vccz .LBB520_1771
; %bb.1767:
	v_cmp_eq_u16_e32 vcc_lo, 44, v10
	s_mov_b32 s0, -1
	s_cbranch_vccz .LBB520_1771
; %bb.1768:
	v_bfe_u32 v7, v3, 23, 8
	v_mov_b32_e32 v4, 0xff
	s_mov_b32 s6, exec_lo
	s_delay_alu instid0(VALU_DEP_2)
	v_cmpx_ne_u32_e32 0xff, v7
; %bb.1769:
	v_and_b32_e32 v4, 0x400000, v3
	v_and_or_b32 v7, 0x3fffff, v3, v7
	s_delay_alu instid0(VALU_DEP_2) | instskip(NEXT) | instid1(VALU_DEP_2)
	v_cmp_ne_u32_e32 vcc_lo, 0, v4
	v_cmp_ne_u32_e64 s0, 0, v7
	v_lshrrev_b32_e32 v4, 23, v3
	s_delay_alu instid0(VALU_DEP_2) | instskip(NEXT) | instid1(SALU_CYCLE_1)
	s_and_b32 s0, vcc_lo, s0
	v_cndmask_b32_e64 v7, 0, 1, s0
	s_delay_alu instid0(VALU_DEP_1)
	v_add_nc_u32_e32 v4, v4, v7
; %bb.1770:
	s_or_b32 exec_lo, exec_lo, s6
	s_mov_b32 s0, 0
	s_mov_b32 s6, -1
	global_store_b8 v[1:2], v4, off
.LBB520_1771:
	s_mov_b32 s7, 0
.LBB520_1772:
	s_delay_alu instid0(SALU_CYCLE_1)
	s_and_b32 vcc_lo, exec_lo, s7
	s_cbranch_vccz .LBB520_1775
; %bb.1773:
	v_cmp_eq_u16_e32 vcc_lo, 29, v10
	s_mov_b32 s0, -1
	s_cbranch_vccz .LBB520_1775
; %bb.1774:
	v_trunc_f32_e32 v4, v3
	s_mov_b32 s0, 0
	s_mov_b32 s6, -1
	s_delay_alu instid0(VALU_DEP_1) | instskip(NEXT) | instid1(VALU_DEP_1)
	v_mul_f32_e32 v7, 0x2f800000, v4
	v_floor_f32_e32 v7, v7
	s_delay_alu instid0(VALU_DEP_1) | instskip(SKIP_1) | instid1(VALU_DEP_2)
	v_fmamk_f32 v4, v7, 0xcf800000, v4
	v_cvt_u32_f32_e32 v8, v7
	v_cvt_u32_f32_e32 v7, v4
	global_store_b64 v[1:2], v[7:8], off
.LBB520_1775:
	s_mov_b32 s7, 0
.LBB520_1776:
	s_delay_alu instid0(SALU_CYCLE_1)
	s_and_b32 vcc_lo, exec_lo, s7
	s_cbranch_vccz .LBB520_1792
; %bb.1777:
	v_cmp_gt_i16_e32 vcc_lo, 27, v10
	s_mov_b32 s6, -1
	s_cbranch_vccnz .LBB520_1783
; %bb.1778:
	v_cmp_lt_i16_e32 vcc_lo, 27, v10
	v_cvt_u32_f32_e32 v4, v3
	s_cbranch_vccz .LBB520_1780
; %bb.1779:
	s_mov_b32 s6, 0
	global_store_b32 v[1:2], v4, off
.LBB520_1780:
	s_and_not1_b32 vcc_lo, exec_lo, s6
	s_cbranch_vccnz .LBB520_1782
; %bb.1781:
	global_store_b16 v[1:2], v4, off
.LBB520_1782:
	s_mov_b32 s6, 0
.LBB520_1783:
	s_delay_alu instid0(SALU_CYCLE_1)
	s_and_not1_b32 vcc_lo, exec_lo, s6
	s_cbranch_vccnz .LBB520_1791
; %bb.1784:
	v_and_b32_e32 v4, 0x7fffffff, v3
	v_mov_b32_e32 v7, 0x80
	s_mov_b32 s6, exec_lo
	s_delay_alu instid0(VALU_DEP_2)
	v_cmpx_gt_u32_e32 0x43800000, v4
	s_cbranch_execz .LBB520_1790
; %bb.1785:
	v_cmp_lt_u32_e32 vcc_lo, 0x3bffffff, v4
	s_mov_b32 s7, 0
                                        ; implicit-def: $vgpr4
	s_and_saveexec_b32 s8, vcc_lo
	s_delay_alu instid0(SALU_CYCLE_1)
	s_xor_b32 s8, exec_lo, s8
	s_cbranch_execz .LBB520_2085
; %bb.1786:
	v_bfe_u32 v4, v3, 20, 1
	s_mov_b32 s7, exec_lo
	s_delay_alu instid0(VALU_DEP_1) | instskip(NEXT) | instid1(VALU_DEP_1)
	v_add3_u32 v4, v3, v4, 0x487ffff
	v_lshrrev_b32_e32 v4, 20, v4
	s_or_saveexec_b32 s8, s8
                                        ; implicit-def: $sgpr9
	s_delay_alu instid0(SALU_CYCLE_1)
	s_xor_b32 exec_lo, exec_lo, s8
	s_cbranch_execnz .LBB520_2086
.LBB520_1787:
	s_or_b32 exec_lo, exec_lo, s8
	v_mov_b32_e32 v7, s9
	s_and_saveexec_b32 s8, s7
.LBB520_1788:
	v_lshrrev_b32_e32 v7, 24, v3
	s_delay_alu instid0(VALU_DEP_1)
	v_and_or_b32 v7, 0x80, v7, v4
.LBB520_1789:
	s_or_b32 exec_lo, exec_lo, s8
.LBB520_1790:
	s_delay_alu instid0(SALU_CYCLE_1)
	s_or_b32 exec_lo, exec_lo, s6
	global_store_b8 v[1:2], v7, off
.LBB520_1791:
	s_mov_b32 s6, -1
.LBB520_1792:
	s_mov_b32 s7, 0
.LBB520_1793:
	s_delay_alu instid0(SALU_CYCLE_1)
	s_and_b32 vcc_lo, exec_lo, s7
	s_cbranch_vccz .LBB520_1833
; %bb.1794:
	v_cmp_lt_i16_e32 vcc_lo, 22, v10
	s_mov_b32 s3, -1
	s_cbranch_vccz .LBB520_1826
; %bb.1795:
	v_cmp_gt_i16_e32 vcc_lo, 24, v10
	s_cbranch_vccnz .LBB520_1815
; %bb.1796:
	v_cmp_lt_i16_e32 vcc_lo, 24, v10
	s_cbranch_vccz .LBB520_1804
; %bb.1797:
	v_and_b32_e32 v4, 0x7fffffff, v3
	v_mov_b32_e32 v7, 0x80
	s_mov_b32 s3, exec_lo
	s_delay_alu instid0(VALU_DEP_2)
	v_cmpx_gt_u32_e32 0x47800000, v4
	s_cbranch_execz .LBB520_1803
; %bb.1798:
	v_cmp_lt_u32_e32 vcc_lo, 0x37ffffff, v4
	s_mov_b32 s6, 0
                                        ; implicit-def: $vgpr4
	s_and_saveexec_b32 s7, vcc_lo
	s_delay_alu instid0(SALU_CYCLE_1)
	s_xor_b32 s7, exec_lo, s7
	s_cbranch_execz .LBB520_2091
; %bb.1799:
	v_bfe_u32 v4, v3, 21, 1
	s_mov_b32 s6, exec_lo
	s_delay_alu instid0(VALU_DEP_1) | instskip(NEXT) | instid1(VALU_DEP_1)
	v_add3_u32 v4, v3, v4, 0x88fffff
	v_lshrrev_b32_e32 v4, 21, v4
	s_or_saveexec_b32 s7, s7
                                        ; implicit-def: $sgpr8
	s_delay_alu instid0(SALU_CYCLE_1)
	s_xor_b32 exec_lo, exec_lo, s7
	s_cbranch_execnz .LBB520_2092
.LBB520_1800:
	s_or_b32 exec_lo, exec_lo, s7
	v_mov_b32_e32 v7, s8
	s_and_saveexec_b32 s7, s6
.LBB520_1801:
	v_lshrrev_b32_e32 v7, 24, v3
	s_delay_alu instid0(VALU_DEP_1)
	v_and_or_b32 v7, 0x80, v7, v4
.LBB520_1802:
	s_or_b32 exec_lo, exec_lo, s7
.LBB520_1803:
	s_delay_alu instid0(SALU_CYCLE_1)
	s_or_b32 exec_lo, exec_lo, s3
	s_mov_b32 s3, 0
	global_store_b8 v[1:2], v7, off
.LBB520_1804:
	s_and_b32 vcc_lo, exec_lo, s3
	s_cbranch_vccz .LBB520_1814
; %bb.1805:
	v_and_b32_e32 v7, 0x7fffffff, v3
	s_mov_b32 s3, exec_lo
                                        ; implicit-def: $vgpr4
	s_delay_alu instid0(VALU_DEP_1)
	v_cmpx_gt_u32_e32 0x43f00000, v7
	s_xor_b32 s3, exec_lo, s3
	s_cbranch_execz .LBB520_1811
; %bb.1806:
	s_mov_b32 s6, exec_lo
                                        ; implicit-def: $vgpr4
	v_cmpx_lt_u32_e32 0x3c7fffff, v7
	s_xor_b32 s6, exec_lo, s6
; %bb.1807:
	v_bfe_u32 v4, v3, 20, 1
	s_delay_alu instid0(VALU_DEP_1) | instskip(NEXT) | instid1(VALU_DEP_1)
	v_add3_u32 v4, v3, v4, 0x407ffff
	v_and_b32_e32 v7, 0xff00000, v4
	v_lshrrev_b32_e32 v4, 20, v4
	s_delay_alu instid0(VALU_DEP_2) | instskip(NEXT) | instid1(VALU_DEP_2)
	v_cmp_ne_u32_e32 vcc_lo, 0x7f00000, v7
	v_cndmask_b32_e32 v4, 0x7e, v4, vcc_lo
; %bb.1808:
	s_and_not1_saveexec_b32 s6, s6
; %bb.1809:
	v_add_f32_e64 v4, 0x46800000, |v3|
; %bb.1810:
	s_or_b32 exec_lo, exec_lo, s6
                                        ; implicit-def: $vgpr7
.LBB520_1811:
	s_and_not1_saveexec_b32 s3, s3
; %bb.1812:
	v_mov_b32_e32 v4, 0x7f
	v_cmp_lt_u32_e32 vcc_lo, 0x7f800000, v7
	s_delay_alu instid0(VALU_DEP_2)
	v_cndmask_b32_e32 v4, 0x7e, v4, vcc_lo
; %bb.1813:
	s_or_b32 exec_lo, exec_lo, s3
	v_lshrrev_b32_e32 v7, 24, v3
	s_delay_alu instid0(VALU_DEP_1)
	v_and_or_b32 v4, 0x80, v7, v4
	global_store_b8 v[1:2], v4, off
.LBB520_1814:
	s_mov_b32 s3, 0
.LBB520_1815:
	s_delay_alu instid0(SALU_CYCLE_1)
	s_and_not1_b32 vcc_lo, exec_lo, s3
	s_cbranch_vccnz .LBB520_1825
; %bb.1816:
	v_and_b32_e32 v7, 0x7fffffff, v3
	s_mov_b32 s3, exec_lo
                                        ; implicit-def: $vgpr4
	s_delay_alu instid0(VALU_DEP_1)
	v_cmpx_gt_u32_e32 0x47800000, v7
	s_xor_b32 s3, exec_lo, s3
	s_cbranch_execz .LBB520_1822
; %bb.1817:
	s_mov_b32 s6, exec_lo
                                        ; implicit-def: $vgpr4
	v_cmpx_lt_u32_e32 0x387fffff, v7
	s_xor_b32 s6, exec_lo, s6
; %bb.1818:
	v_bfe_u32 v4, v3, 21, 1
	s_delay_alu instid0(VALU_DEP_1) | instskip(NEXT) | instid1(VALU_DEP_1)
	v_add3_u32 v4, v3, v4, 0x80fffff
	v_lshrrev_b32_e32 v4, 21, v4
; %bb.1819:
	s_and_not1_saveexec_b32 s6, s6
; %bb.1820:
	v_add_f32_e64 v4, 0x43000000, |v3|
; %bb.1821:
	s_or_b32 exec_lo, exec_lo, s6
                                        ; implicit-def: $vgpr7
.LBB520_1822:
	s_and_not1_saveexec_b32 s3, s3
; %bb.1823:
	v_mov_b32_e32 v4, 0x7f
	v_cmp_lt_u32_e32 vcc_lo, 0x7f800000, v7
	s_delay_alu instid0(VALU_DEP_2)
	v_cndmask_b32_e32 v4, 0x7c, v4, vcc_lo
; %bb.1824:
	s_or_b32 exec_lo, exec_lo, s3
	v_lshrrev_b32_e32 v7, 24, v3
	s_delay_alu instid0(VALU_DEP_1)
	v_and_or_b32 v4, 0x80, v7, v4
	global_store_b8 v[1:2], v4, off
.LBB520_1825:
	s_mov_b32 s3, 0
	s_mov_b32 s6, -1
.LBB520_1826:
	s_and_not1_b32 vcc_lo, exec_lo, s3
	s_mov_b32 s3, 0
	s_cbranch_vccnz .LBB520_1833
; %bb.1827:
	v_cmp_lt_i16_e32 vcc_lo, 14, v10
	s_mov_b32 s3, -1
	s_cbranch_vccz .LBB520_1831
; %bb.1828:
	v_cmp_eq_u16_e32 vcc_lo, 15, v10
	s_mov_b32 s0, -1
	s_cbranch_vccz .LBB520_1830
; %bb.1829:
	v_bfe_u32 v4, v3, 16, 1
	v_cmp_o_f32_e32 vcc_lo, v3, v3
	s_mov_b32 s0, 0
	s_mov_b32 s6, -1
	s_delay_alu instid0(VALU_DEP_2) | instskip(NEXT) | instid1(VALU_DEP_1)
	v_add3_u32 v4, v3, v4, 0x7fff
	v_lshrrev_b32_e32 v4, 16, v4
	s_delay_alu instid0(VALU_DEP_1)
	v_cndmask_b32_e32 v4, 0x7fc0, v4, vcc_lo
	global_store_b16 v[1:2], v4, off
.LBB520_1830:
	s_mov_b32 s3, 0
.LBB520_1831:
	s_delay_alu instid0(SALU_CYCLE_1)
	s_and_b32 vcc_lo, exec_lo, s3
	s_mov_b32 s3, 0
	s_cbranch_vccz .LBB520_1833
; %bb.1832:
	v_cmp_ne_u16_e64 s0, 11, v10
	s_mov_b32 s3, -1
.LBB520_1833:
	s_delay_alu instid0(VALU_DEP_1)
	s_and_b32 vcc_lo, exec_lo, s0
	s_cbranch_vccnz .LBB520_2089
; %bb.1834:
	s_and_not1_b32 vcc_lo, exec_lo, s3
	s_cbranch_vccnz .LBB520_1836
.LBB520_1835:
	v_cmp_neq_f32_e32 vcc_lo, 0, v3
	s_mov_b32 s6, -1
	v_cndmask_b32_e64 v4, 0, 1, vcc_lo
	global_store_b8 v[1:2], v4, off
.LBB520_1836:
	s_mov_b32 s0, 0
	s_branch .LBB520_1838
.LBB520_1837:
	s_mov_b32 s0, -1
	s_mov_b32 s6, 0
.LBB520_1838:
	s_and_b32 vcc_lo, exec_lo, s0
	s_cbranch_vccz .LBB520_1877
; %bb.1839:
	v_cmp_gt_i16_e32 vcc_lo, 5, v10
	s_mov_b32 s0, -1
	s_cbranch_vccnz .LBB520_1860
; %bb.1840:
	v_cmp_gt_i16_e32 vcc_lo, 8, v10
	s_cbranch_vccnz .LBB520_1850
; %bb.1841:
	v_cmp_gt_i16_e32 vcc_lo, 9, v10
	s_cbranch_vccnz .LBB520_1847
; %bb.1842:
	v_cmp_lt_i16_e32 vcc_lo, 9, v10
	s_cbranch_vccz .LBB520_1844
; %bb.1843:
	v_cvt_f64_f32_e32 v[11:12], v3
	v_mov_b32_e32 v13, 0
	s_mov_b32 s0, 0
	s_delay_alu instid0(VALU_DEP_1)
	v_mov_b32_e32 v14, v13
	global_store_b128 v[1:2], v[11:14], off
.LBB520_1844:
	s_and_not1_b32 vcc_lo, exec_lo, s0
	s_cbranch_vccnz .LBB520_1846
; %bb.1845:
	v_mov_b32_e32 v4, 0
	global_store_b64 v[1:2], v[3:4], off
.LBB520_1846:
	s_mov_b32 s0, 0
.LBB520_1847:
	s_delay_alu instid0(SALU_CYCLE_1)
	s_and_not1_b32 vcc_lo, exec_lo, s0
	s_cbranch_vccnz .LBB520_1849
; %bb.1848:
	v_cvt_f16_f32_e32 v4, v3
	s_delay_alu instid0(VALU_DEP_1)
	v_and_b32_e32 v4, 0xffff, v4
	global_store_b32 v[1:2], v4, off
.LBB520_1849:
	s_mov_b32 s0, 0
.LBB520_1850:
	s_delay_alu instid0(SALU_CYCLE_1)
	s_and_not1_b32 vcc_lo, exec_lo, s0
	s_cbranch_vccnz .LBB520_1859
; %bb.1851:
	v_cmp_gt_i16_e32 vcc_lo, 6, v10
	s_mov_b32 s0, -1
	s_cbranch_vccnz .LBB520_1857
; %bb.1852:
	v_cmp_lt_i16_e32 vcc_lo, 6, v10
	s_cbranch_vccz .LBB520_1854
; %bb.1853:
	v_cvt_f64_f32_e32 v[7:8], v3
	s_mov_b32 s0, 0
	global_store_b64 v[1:2], v[7:8], off
.LBB520_1854:
	s_and_not1_b32 vcc_lo, exec_lo, s0
	s_cbranch_vccnz .LBB520_1856
; %bb.1855:
	global_store_b32 v[1:2], v3, off
.LBB520_1856:
	s_mov_b32 s0, 0
.LBB520_1857:
	s_delay_alu instid0(SALU_CYCLE_1)
	s_and_not1_b32 vcc_lo, exec_lo, s0
	s_cbranch_vccnz .LBB520_1859
; %bb.1858:
	v_cvt_f16_f32_e32 v4, v3
	global_store_b16 v[1:2], v4, off
.LBB520_1859:
	s_mov_b32 s0, 0
.LBB520_1860:
	s_delay_alu instid0(SALU_CYCLE_1)
	s_and_not1_b32 vcc_lo, exec_lo, s0
	s_cbranch_vccnz .LBB520_1876
; %bb.1861:
	v_cmp_gt_i16_e32 vcc_lo, 2, v10
	s_mov_b32 s0, -1
	s_cbranch_vccnz .LBB520_1871
; %bb.1862:
	v_cmp_gt_i16_e32 vcc_lo, 3, v10
	s_cbranch_vccnz .LBB520_1868
; %bb.1863:
	v_cmp_lt_i16_e32 vcc_lo, 3, v10
	s_cbranch_vccz .LBB520_1865
; %bb.1864:
	v_trunc_f32_e32 v4, v3
	s_mov_b32 s0, 0
	s_delay_alu instid0(VALU_DEP_1) | instskip(NEXT) | instid1(VALU_DEP_1)
	v_mul_f32_e64 v7, 0x2f800000, |v4|
	v_floor_f32_e32 v7, v7
	s_delay_alu instid0(VALU_DEP_1) | instskip(SKIP_2) | instid1(VALU_DEP_3)
	v_fma_f32 v8, 0xcf800000, v7, |v4|
	v_ashrrev_i32_e32 v4, 31, v4
	v_cvt_u32_f32_e32 v7, v7
	v_cvt_u32_f32_e32 v8, v8
	s_delay_alu instid0(VALU_DEP_2) | instskip(NEXT) | instid1(VALU_DEP_2)
	v_xor_b32_e32 v9, v7, v4
	v_xor_b32_e32 v8, v8, v4
	s_delay_alu instid0(VALU_DEP_1) | instskip(NEXT) | instid1(VALU_DEP_3)
	v_sub_co_u32 v7, vcc_lo, v8, v4
	v_sub_co_ci_u32_e32 v8, vcc_lo, v9, v4, vcc_lo
	global_store_b64 v[1:2], v[7:8], off
.LBB520_1865:
	s_and_not1_b32 vcc_lo, exec_lo, s0
	s_cbranch_vccnz .LBB520_1867
; %bb.1866:
	v_cvt_i32_f32_e32 v4, v3
	global_store_b32 v[1:2], v4, off
.LBB520_1867:
	s_mov_b32 s0, 0
.LBB520_1868:
	s_delay_alu instid0(SALU_CYCLE_1)
	s_and_not1_b32 vcc_lo, exec_lo, s0
	s_cbranch_vccnz .LBB520_1870
; %bb.1869:
	v_cvt_i32_f32_e32 v4, v3
	global_store_b16 v[1:2], v4, off
.LBB520_1870:
	s_mov_b32 s0, 0
.LBB520_1871:
	s_delay_alu instid0(SALU_CYCLE_1)
	s_and_not1_b32 vcc_lo, exec_lo, s0
	s_cbranch_vccnz .LBB520_1876
; %bb.1872:
	v_cmp_lt_i16_e32 vcc_lo, 0, v10
	s_mov_b32 s0, -1
	s_cbranch_vccz .LBB520_1874
; %bb.1873:
	v_cvt_i32_f32_e32 v4, v3
	s_mov_b32 s0, 0
	global_store_b8 v[1:2], v4, off
.LBB520_1874:
	s_and_not1_b32 vcc_lo, exec_lo, s0
	s_cbranch_vccnz .LBB520_1876
; %bb.1875:
	v_trunc_f32_e32 v3, v3
	s_delay_alu instid0(VALU_DEP_1) | instskip(NEXT) | instid1(VALU_DEP_1)
	v_mul_f32_e64 v4, 0x2f800000, |v3|
	v_floor_f32_e32 v4, v4
	s_delay_alu instid0(VALU_DEP_1) | instskip(SKIP_1) | instid1(VALU_DEP_2)
	v_fma_f32 v4, 0xcf800000, v4, |v3|
	v_ashrrev_i32_e32 v3, 31, v3
	v_cvt_u32_f32_e32 v4, v4
	s_delay_alu instid0(VALU_DEP_1) | instskip(NEXT) | instid1(VALU_DEP_1)
	v_xor_b32_e32 v4, v4, v3
	v_sub_nc_u32_e32 v3, v4, v3
	global_store_b8 v[1:2], v3, off
.LBB520_1876:
	s_mov_b32 s6, -1
.LBB520_1877:
	s_delay_alu instid0(SALU_CYCLE_1)
	s_and_not1_b32 vcc_lo, exec_lo, s6
	s_cbranch_vccnz .LBB520_2073
; %bb.1878:
	v_add_nc_u32_e32 v3, s2, v6
	v_cmp_gt_i16_e32 vcc_lo, 11, v10
	s_delay_alu instid0(VALU_DEP_2) | instskip(SKIP_1) | instid1(VALU_DEP_1)
	v_ashrrev_i32_e32 v2, 31, v3
	v_add_co_u32 v1, s0, s4, v3
	v_add_co_ci_u32_e64 v2, s0, s5, v2, s0
	s_cbranch_vccnz .LBB520_1956
; %bb.1879:
	v_cmp_lt_i16_e32 vcc_lo, 25, v10
	s_mov_b32 s7, -1
	s_mov_b32 s3, 0
	s_mov_b32 s6, 0
	;; [unrolled: 1-line block ×3, first 2 shown]
	s_cbranch_vccz .LBB520_1912
; %bb.1880:
	v_cmp_lt_i16_e32 vcc_lo, 28, v10
	s_cbranch_vccz .LBB520_1895
; %bb.1881:
	v_cmp_lt_i16_e32 vcc_lo, 43, v10
	;; [unrolled: 3-line block ×3, first 2 shown]
	s_cbranch_vccz .LBB520_1885
; %bb.1883:
	v_cmp_eq_u16_e32 vcc_lo, 46, v10
	s_mov_b32 s0, -1
	s_mov_b32 s7, 0
	s_cbranch_vccz .LBB520_1885
; %bb.1884:
	v_bfe_u32 v4, v5, 16, 1
	v_cmp_o_f32_e32 vcc_lo, v5, v5
	s_mov_b32 s0, 0
	s_mov_b32 s6, -1
	s_delay_alu instid0(VALU_DEP_2) | instskip(NEXT) | instid1(VALU_DEP_1)
	v_add3_u32 v4, v5, v4, 0x7fff
	v_lshrrev_b32_e32 v4, 16, v4
	s_delay_alu instid0(VALU_DEP_1)
	v_cndmask_b32_e32 v4, 0x7fc0, v4, vcc_lo
	global_store_b32 v[1:2], v4, off
.LBB520_1885:
	s_and_b32 vcc_lo, exec_lo, s7
	s_cbranch_vccz .LBB520_1890
; %bb.1886:
	v_cmp_eq_u16_e32 vcc_lo, 44, v10
	s_mov_b32 s0, -1
	s_cbranch_vccz .LBB520_1890
; %bb.1887:
	v_bfe_u32 v6, v5, 23, 8
	v_mov_b32_e32 v4, 0xff
	s_mov_b32 s6, exec_lo
	s_delay_alu instid0(VALU_DEP_2)
	v_cmpx_ne_u32_e32 0xff, v6
; %bb.1888:
	v_and_b32_e32 v4, 0x400000, v5
	v_and_or_b32 v6, 0x3fffff, v5, v6
	s_delay_alu instid0(VALU_DEP_2) | instskip(NEXT) | instid1(VALU_DEP_2)
	v_cmp_ne_u32_e32 vcc_lo, 0, v4
	v_cmp_ne_u32_e64 s0, 0, v6
	v_lshrrev_b32_e32 v4, 23, v5
	s_delay_alu instid0(VALU_DEP_2) | instskip(NEXT) | instid1(SALU_CYCLE_1)
	s_and_b32 s0, vcc_lo, s0
	v_cndmask_b32_e64 v6, 0, 1, s0
	s_delay_alu instid0(VALU_DEP_1)
	v_add_nc_u32_e32 v4, v4, v6
; %bb.1889:
	s_or_b32 exec_lo, exec_lo, s6
	s_mov_b32 s0, 0
	s_mov_b32 s6, -1
	global_store_b8 v[1:2], v4, off
.LBB520_1890:
	s_mov_b32 s7, 0
.LBB520_1891:
	s_delay_alu instid0(SALU_CYCLE_1)
	s_and_b32 vcc_lo, exec_lo, s7
	s_cbranch_vccz .LBB520_1894
; %bb.1892:
	v_cmp_eq_u16_e32 vcc_lo, 29, v10
	s_mov_b32 s0, -1
	s_cbranch_vccz .LBB520_1894
; %bb.1893:
	v_trunc_f32_e32 v4, v5
	s_mov_b32 s0, 0
	s_mov_b32 s6, -1
	s_delay_alu instid0(VALU_DEP_1) | instskip(NEXT) | instid1(VALU_DEP_1)
	v_mul_f32_e32 v6, 0x2f800000, v4
	v_floor_f32_e32 v6, v6
	s_delay_alu instid0(VALU_DEP_1) | instskip(SKIP_1) | instid1(VALU_DEP_2)
	v_fmamk_f32 v4, v6, 0xcf800000, v4
	v_cvt_u32_f32_e32 v7, v6
	v_cvt_u32_f32_e32 v6, v4
	global_store_b64 v[1:2], v[6:7], off
.LBB520_1894:
	s_mov_b32 s7, 0
.LBB520_1895:
	s_delay_alu instid0(SALU_CYCLE_1)
	s_and_b32 vcc_lo, exec_lo, s7
	s_cbranch_vccz .LBB520_1911
; %bb.1896:
	v_cmp_gt_i16_e32 vcc_lo, 27, v10
	s_mov_b32 s6, -1
	s_cbranch_vccnz .LBB520_1902
; %bb.1897:
	v_cmp_lt_i16_e32 vcc_lo, 27, v10
	v_cvt_u32_f32_e32 v4, v5
	s_cbranch_vccz .LBB520_1899
; %bb.1898:
	s_mov_b32 s6, 0
	global_store_b32 v[1:2], v4, off
.LBB520_1899:
	s_and_not1_b32 vcc_lo, exec_lo, s6
	s_cbranch_vccnz .LBB520_1901
; %bb.1900:
	global_store_b16 v[1:2], v4, off
.LBB520_1901:
	s_mov_b32 s6, 0
.LBB520_1902:
	s_delay_alu instid0(SALU_CYCLE_1)
	s_and_not1_b32 vcc_lo, exec_lo, s6
	s_cbranch_vccnz .LBB520_1910
; %bb.1903:
	v_and_b32_e32 v4, 0x7fffffff, v5
	v_mov_b32_e32 v6, 0x80
	s_mov_b32 s6, exec_lo
	s_delay_alu instid0(VALU_DEP_2)
	v_cmpx_gt_u32_e32 0x43800000, v4
	s_cbranch_execz .LBB520_1909
; %bb.1904:
	v_cmp_lt_u32_e32 vcc_lo, 0x3bffffff, v4
	s_mov_b32 s7, 0
                                        ; implicit-def: $vgpr4
	s_and_saveexec_b32 s8, vcc_lo
	s_delay_alu instid0(SALU_CYCLE_1)
	s_xor_b32 s8, exec_lo, s8
	s_cbranch_execz .LBB520_2093
; %bb.1905:
	v_bfe_u32 v4, v5, 20, 1
	s_mov_b32 s7, exec_lo
	s_delay_alu instid0(VALU_DEP_1) | instskip(NEXT) | instid1(VALU_DEP_1)
	v_add3_u32 v4, v5, v4, 0x487ffff
	v_lshrrev_b32_e32 v4, 20, v4
	s_or_saveexec_b32 s8, s8
                                        ; implicit-def: $sgpr9
	s_delay_alu instid0(SALU_CYCLE_1)
	s_xor_b32 exec_lo, exec_lo, s8
	s_cbranch_execnz .LBB520_2094
.LBB520_1906:
	s_or_b32 exec_lo, exec_lo, s8
	v_mov_b32_e32 v6, s9
	s_and_saveexec_b32 s8, s7
.LBB520_1907:
	v_lshrrev_b32_e32 v6, 24, v5
	s_delay_alu instid0(VALU_DEP_1)
	v_and_or_b32 v6, 0x80, v6, v4
.LBB520_1908:
	s_or_b32 exec_lo, exec_lo, s8
.LBB520_1909:
	s_delay_alu instid0(SALU_CYCLE_1)
	s_or_b32 exec_lo, exec_lo, s6
	global_store_b8 v[1:2], v6, off
.LBB520_1910:
	s_mov_b32 s6, -1
.LBB520_1911:
	s_mov_b32 s7, 0
.LBB520_1912:
	s_delay_alu instid0(SALU_CYCLE_1)
	s_and_b32 vcc_lo, exec_lo, s7
	s_cbranch_vccz .LBB520_1952
; %bb.1913:
	v_cmp_lt_i16_e32 vcc_lo, 22, v10
	s_mov_b32 s3, -1
	s_cbranch_vccz .LBB520_1945
; %bb.1914:
	v_cmp_gt_i16_e32 vcc_lo, 24, v10
	s_cbranch_vccnz .LBB520_1934
; %bb.1915:
	v_cmp_lt_i16_e32 vcc_lo, 24, v10
	s_cbranch_vccz .LBB520_1923
; %bb.1916:
	v_and_b32_e32 v4, 0x7fffffff, v5
	v_mov_b32_e32 v6, 0x80
	s_mov_b32 s3, exec_lo
	s_delay_alu instid0(VALU_DEP_2)
	v_cmpx_gt_u32_e32 0x47800000, v4
	s_cbranch_execz .LBB520_1922
; %bb.1917:
	v_cmp_lt_u32_e32 vcc_lo, 0x37ffffff, v4
	s_mov_b32 s6, 0
                                        ; implicit-def: $vgpr4
	s_and_saveexec_b32 s7, vcc_lo
	s_delay_alu instid0(SALU_CYCLE_1)
	s_xor_b32 s7, exec_lo, s7
	s_cbranch_execz .LBB520_2099
; %bb.1918:
	v_bfe_u32 v4, v5, 21, 1
	s_mov_b32 s6, exec_lo
	s_delay_alu instid0(VALU_DEP_1) | instskip(NEXT) | instid1(VALU_DEP_1)
	v_add3_u32 v4, v5, v4, 0x88fffff
	v_lshrrev_b32_e32 v4, 21, v4
	s_or_saveexec_b32 s7, s7
                                        ; implicit-def: $sgpr8
	s_delay_alu instid0(SALU_CYCLE_1)
	s_xor_b32 exec_lo, exec_lo, s7
	s_cbranch_execnz .LBB520_2100
.LBB520_1919:
	s_or_b32 exec_lo, exec_lo, s7
	v_mov_b32_e32 v6, s8
	s_and_saveexec_b32 s7, s6
.LBB520_1920:
	v_lshrrev_b32_e32 v6, 24, v5
	s_delay_alu instid0(VALU_DEP_1)
	v_and_or_b32 v6, 0x80, v6, v4
.LBB520_1921:
	s_or_b32 exec_lo, exec_lo, s7
.LBB520_1922:
	s_delay_alu instid0(SALU_CYCLE_1)
	s_or_b32 exec_lo, exec_lo, s3
	s_mov_b32 s3, 0
	global_store_b8 v[1:2], v6, off
.LBB520_1923:
	s_and_b32 vcc_lo, exec_lo, s3
	s_cbranch_vccz .LBB520_1933
; %bb.1924:
	v_and_b32_e32 v6, 0x7fffffff, v5
	s_mov_b32 s3, exec_lo
                                        ; implicit-def: $vgpr4
	s_delay_alu instid0(VALU_DEP_1)
	v_cmpx_gt_u32_e32 0x43f00000, v6
	s_xor_b32 s3, exec_lo, s3
	s_cbranch_execz .LBB520_1930
; %bb.1925:
	s_mov_b32 s6, exec_lo
                                        ; implicit-def: $vgpr4
	v_cmpx_lt_u32_e32 0x3c7fffff, v6
	s_xor_b32 s6, exec_lo, s6
; %bb.1926:
	v_bfe_u32 v4, v5, 20, 1
	s_delay_alu instid0(VALU_DEP_1) | instskip(NEXT) | instid1(VALU_DEP_1)
	v_add3_u32 v4, v5, v4, 0x407ffff
	v_and_b32_e32 v6, 0xff00000, v4
	v_lshrrev_b32_e32 v4, 20, v4
	s_delay_alu instid0(VALU_DEP_2) | instskip(NEXT) | instid1(VALU_DEP_2)
	v_cmp_ne_u32_e32 vcc_lo, 0x7f00000, v6
	v_cndmask_b32_e32 v4, 0x7e, v4, vcc_lo
; %bb.1927:
	s_and_not1_saveexec_b32 s6, s6
; %bb.1928:
	v_add_f32_e64 v4, 0x46800000, |v5|
; %bb.1929:
	s_or_b32 exec_lo, exec_lo, s6
                                        ; implicit-def: $vgpr6
.LBB520_1930:
	s_and_not1_saveexec_b32 s3, s3
; %bb.1931:
	v_mov_b32_e32 v4, 0x7f
	v_cmp_lt_u32_e32 vcc_lo, 0x7f800000, v6
	s_delay_alu instid0(VALU_DEP_2)
	v_cndmask_b32_e32 v4, 0x7e, v4, vcc_lo
; %bb.1932:
	s_or_b32 exec_lo, exec_lo, s3
	v_lshrrev_b32_e32 v6, 24, v5
	s_delay_alu instid0(VALU_DEP_1)
	v_and_or_b32 v4, 0x80, v6, v4
	global_store_b8 v[1:2], v4, off
.LBB520_1933:
	s_mov_b32 s3, 0
.LBB520_1934:
	s_delay_alu instid0(SALU_CYCLE_1)
	s_and_not1_b32 vcc_lo, exec_lo, s3
	s_cbranch_vccnz .LBB520_1944
; %bb.1935:
	v_and_b32_e32 v6, 0x7fffffff, v5
	s_mov_b32 s3, exec_lo
                                        ; implicit-def: $vgpr4
	s_delay_alu instid0(VALU_DEP_1)
	v_cmpx_gt_u32_e32 0x47800000, v6
	s_xor_b32 s3, exec_lo, s3
	s_cbranch_execz .LBB520_1941
; %bb.1936:
	s_mov_b32 s6, exec_lo
                                        ; implicit-def: $vgpr4
	v_cmpx_lt_u32_e32 0x387fffff, v6
	s_xor_b32 s6, exec_lo, s6
; %bb.1937:
	v_bfe_u32 v4, v5, 21, 1
	s_delay_alu instid0(VALU_DEP_1) | instskip(NEXT) | instid1(VALU_DEP_1)
	v_add3_u32 v4, v5, v4, 0x80fffff
	v_lshrrev_b32_e32 v4, 21, v4
; %bb.1938:
	s_and_not1_saveexec_b32 s6, s6
; %bb.1939:
	v_add_f32_e64 v4, 0x43000000, |v5|
; %bb.1940:
	s_or_b32 exec_lo, exec_lo, s6
                                        ; implicit-def: $vgpr6
.LBB520_1941:
	s_and_not1_saveexec_b32 s3, s3
; %bb.1942:
	v_mov_b32_e32 v4, 0x7f
	v_cmp_lt_u32_e32 vcc_lo, 0x7f800000, v6
	s_delay_alu instid0(VALU_DEP_2)
	v_cndmask_b32_e32 v4, 0x7c, v4, vcc_lo
; %bb.1943:
	s_or_b32 exec_lo, exec_lo, s3
	v_lshrrev_b32_e32 v6, 24, v5
	s_delay_alu instid0(VALU_DEP_1)
	v_and_or_b32 v4, 0x80, v6, v4
	global_store_b8 v[1:2], v4, off
.LBB520_1944:
	s_mov_b32 s3, 0
	s_mov_b32 s6, -1
.LBB520_1945:
	s_and_not1_b32 vcc_lo, exec_lo, s3
	s_mov_b32 s3, 0
	s_cbranch_vccnz .LBB520_1952
; %bb.1946:
	v_cmp_lt_i16_e32 vcc_lo, 14, v10
	s_mov_b32 s3, -1
	s_cbranch_vccz .LBB520_1950
; %bb.1947:
	v_cmp_eq_u16_e32 vcc_lo, 15, v10
	s_mov_b32 s0, -1
	s_cbranch_vccz .LBB520_1949
; %bb.1948:
	v_bfe_u32 v4, v5, 16, 1
	v_cmp_o_f32_e32 vcc_lo, v5, v5
	s_mov_b32 s0, 0
	s_mov_b32 s6, -1
	s_delay_alu instid0(VALU_DEP_2) | instskip(NEXT) | instid1(VALU_DEP_1)
	v_add3_u32 v4, v5, v4, 0x7fff
	v_lshrrev_b32_e32 v4, 16, v4
	s_delay_alu instid0(VALU_DEP_1)
	v_cndmask_b32_e32 v4, 0x7fc0, v4, vcc_lo
	global_store_b16 v[1:2], v4, off
.LBB520_1949:
	s_mov_b32 s3, 0
.LBB520_1950:
	s_delay_alu instid0(SALU_CYCLE_1)
	s_and_b32 vcc_lo, exec_lo, s3
	s_mov_b32 s3, 0
	s_cbranch_vccz .LBB520_1952
; %bb.1951:
	v_cmp_ne_u16_e64 s0, 11, v10
	s_mov_b32 s3, -1
.LBB520_1952:
	s_delay_alu instid0(VALU_DEP_1)
	s_and_b32 vcc_lo, exec_lo, s0
	s_cbranch_vccnz .LBB520_2097
; %bb.1953:
	s_and_not1_b32 vcc_lo, exec_lo, s3
	s_cbranch_vccnz .LBB520_1955
.LBB520_1954:
	v_cmp_neq_f32_e32 vcc_lo, 0, v5
	s_mov_b32 s6, -1
	v_cndmask_b32_e64 v4, 0, 1, vcc_lo
	global_store_b8 v[1:2], v4, off
.LBB520_1955:
	s_mov_b32 s0, 0
	s_branch .LBB520_1957
.LBB520_1956:
	s_mov_b32 s0, -1
	s_mov_b32 s6, 0
.LBB520_1957:
	s_and_b32 vcc_lo, exec_lo, s0
	s_cbranch_vccz .LBB520_1996
; %bb.1958:
	v_cmp_gt_i16_e32 vcc_lo, 5, v10
	s_mov_b32 s0, -1
	s_cbranch_vccnz .LBB520_1979
; %bb.1959:
	v_cmp_gt_i16_e32 vcc_lo, 8, v10
	s_cbranch_vccnz .LBB520_1969
; %bb.1960:
	v_cmp_gt_i16_e32 vcc_lo, 9, v10
	s_cbranch_vccnz .LBB520_1966
; %bb.1961:
	v_cmp_lt_i16_e32 vcc_lo, 9, v10
	s_cbranch_vccz .LBB520_1963
; %bb.1962:
	v_cvt_f64_f32_e32 v[6:7], v5
	v_mov_b32_e32 v8, 0
	s_mov_b32 s0, 0
	s_delay_alu instid0(VALU_DEP_1)
	v_mov_b32_e32 v9, v8
	global_store_b128 v[1:2], v[6:9], off
.LBB520_1963:
	s_and_not1_b32 vcc_lo, exec_lo, s0
	s_cbranch_vccnz .LBB520_1965
; %bb.1964:
	v_mov_b32_e32 v6, 0
	global_store_b64 v[1:2], v[5:6], off
.LBB520_1965:
	s_mov_b32 s0, 0
.LBB520_1966:
	s_delay_alu instid0(SALU_CYCLE_1)
	s_and_not1_b32 vcc_lo, exec_lo, s0
	s_cbranch_vccnz .LBB520_1968
; %bb.1967:
	v_cvt_f16_f32_e32 v4, v5
	s_delay_alu instid0(VALU_DEP_1)
	v_and_b32_e32 v4, 0xffff, v4
	global_store_b32 v[1:2], v4, off
.LBB520_1968:
	s_mov_b32 s0, 0
.LBB520_1969:
	s_delay_alu instid0(SALU_CYCLE_1)
	s_and_not1_b32 vcc_lo, exec_lo, s0
	s_cbranch_vccnz .LBB520_1978
; %bb.1970:
	v_cmp_gt_i16_e32 vcc_lo, 6, v10
	s_mov_b32 s0, -1
	s_cbranch_vccnz .LBB520_1976
; %bb.1971:
	v_cmp_lt_i16_e32 vcc_lo, 6, v10
	s_cbranch_vccz .LBB520_1973
; %bb.1972:
	v_cvt_f64_f32_e32 v[6:7], v5
	s_mov_b32 s0, 0
	global_store_b64 v[1:2], v[6:7], off
.LBB520_1973:
	s_and_not1_b32 vcc_lo, exec_lo, s0
	s_cbranch_vccnz .LBB520_1975
; %bb.1974:
	global_store_b32 v[1:2], v5, off
.LBB520_1975:
	s_mov_b32 s0, 0
.LBB520_1976:
	s_delay_alu instid0(SALU_CYCLE_1)
	s_and_not1_b32 vcc_lo, exec_lo, s0
	s_cbranch_vccnz .LBB520_1978
; %bb.1977:
	v_cvt_f16_f32_e32 v4, v5
	global_store_b16 v[1:2], v4, off
.LBB520_1978:
	s_mov_b32 s0, 0
.LBB520_1979:
	s_delay_alu instid0(SALU_CYCLE_1)
	s_and_not1_b32 vcc_lo, exec_lo, s0
	s_cbranch_vccnz .LBB520_1995
; %bb.1980:
	v_cmp_gt_i16_e32 vcc_lo, 2, v10
	s_mov_b32 s0, -1
	s_cbranch_vccnz .LBB520_1990
; %bb.1981:
	v_cmp_gt_i16_e32 vcc_lo, 3, v10
	s_cbranch_vccnz .LBB520_1987
; %bb.1982:
	v_cmp_lt_i16_e32 vcc_lo, 3, v10
	s_cbranch_vccz .LBB520_1984
; %bb.1983:
	v_trunc_f32_e32 v4, v5
	s_mov_b32 s0, 0
	s_delay_alu instid0(VALU_DEP_1) | instskip(NEXT) | instid1(VALU_DEP_1)
	v_mul_f32_e64 v6, 0x2f800000, |v4|
	v_floor_f32_e32 v6, v6
	s_delay_alu instid0(VALU_DEP_1) | instskip(SKIP_2) | instid1(VALU_DEP_3)
	v_fma_f32 v7, 0xcf800000, v6, |v4|
	v_ashrrev_i32_e32 v4, 31, v4
	v_cvt_u32_f32_e32 v6, v6
	v_cvt_u32_f32_e32 v7, v7
	s_delay_alu instid0(VALU_DEP_2) | instskip(NEXT) | instid1(VALU_DEP_2)
	v_xor_b32_e32 v8, v6, v4
	v_xor_b32_e32 v7, v7, v4
	s_delay_alu instid0(VALU_DEP_1) | instskip(NEXT) | instid1(VALU_DEP_3)
	v_sub_co_u32 v6, vcc_lo, v7, v4
	v_sub_co_ci_u32_e32 v7, vcc_lo, v8, v4, vcc_lo
	global_store_b64 v[1:2], v[6:7], off
.LBB520_1984:
	s_and_not1_b32 vcc_lo, exec_lo, s0
	s_cbranch_vccnz .LBB520_1986
; %bb.1985:
	v_cvt_i32_f32_e32 v4, v5
	global_store_b32 v[1:2], v4, off
.LBB520_1986:
	s_mov_b32 s0, 0
.LBB520_1987:
	s_delay_alu instid0(SALU_CYCLE_1)
	s_and_not1_b32 vcc_lo, exec_lo, s0
	s_cbranch_vccnz .LBB520_1989
; %bb.1988:
	v_cvt_i32_f32_e32 v4, v5
	global_store_b16 v[1:2], v4, off
.LBB520_1989:
	s_mov_b32 s0, 0
.LBB520_1990:
	s_delay_alu instid0(SALU_CYCLE_1)
	s_and_not1_b32 vcc_lo, exec_lo, s0
	s_cbranch_vccnz .LBB520_1995
; %bb.1991:
	v_cmp_lt_i16_e32 vcc_lo, 0, v10
	s_mov_b32 s0, -1
	s_cbranch_vccz .LBB520_1993
; %bb.1992:
	v_cvt_i32_f32_e32 v4, v5
	s_mov_b32 s0, 0
	global_store_b8 v[1:2], v4, off
.LBB520_1993:
	s_and_not1_b32 vcc_lo, exec_lo, s0
	s_cbranch_vccnz .LBB520_1995
; %bb.1994:
	v_trunc_f32_e32 v4, v5
	s_delay_alu instid0(VALU_DEP_1) | instskip(NEXT) | instid1(VALU_DEP_1)
	v_mul_f32_e64 v5, 0x2f800000, |v4|
	v_floor_f32_e32 v5, v5
	s_delay_alu instid0(VALU_DEP_1) | instskip(SKIP_1) | instid1(VALU_DEP_2)
	v_fma_f32 v5, 0xcf800000, v5, |v4|
	v_ashrrev_i32_e32 v4, 31, v4
	v_cvt_u32_f32_e32 v5, v5
	s_delay_alu instid0(VALU_DEP_1) | instskip(NEXT) | instid1(VALU_DEP_1)
	v_xor_b32_e32 v5, v5, v4
	v_sub_nc_u32_e32 v4, v5, v4
	global_store_b8 v[1:2], v4, off
.LBB520_1995:
	s_mov_b32 s6, -1
.LBB520_1996:
	s_delay_alu instid0(SALU_CYCLE_1)
	s_and_not1_b32 vcc_lo, exec_lo, s6
	s_cbranch_vccnz .LBB520_2073
; %bb.1997:
	v_add_nc_u32_e32 v1, s2, v3
	v_cmp_gt_i16_e32 vcc_lo, 11, v10
	s_delay_alu instid0(VALU_DEP_2) | instskip(SKIP_1) | instid1(VALU_DEP_1)
	v_ashrrev_i32_e32 v3, 31, v1
	v_add_co_u32 v2, s0, s4, v1
	v_add_co_ci_u32_e64 v3, s0, s5, v3, s0
	s_cbranch_vccnz .LBB520_2074
; %bb.1998:
	v_cmp_lt_i16_e32 vcc_lo, 25, v10
	s_mov_b32 s3, -1
	s_mov_b32 s2, 0
	s_mov_b32 s0, 0
	s_cbranch_vccz .LBB520_2031
; %bb.1999:
	v_cmp_lt_i16_e32 vcc_lo, 28, v10
	s_cbranch_vccz .LBB520_2015
; %bb.2000:
	v_cmp_lt_i16_e32 vcc_lo, 43, v10
	;; [unrolled: 3-line block ×3, first 2 shown]
	s_cbranch_vccz .LBB520_2005
; %bb.2002:
	v_cmp_eq_u16_e32 vcc_lo, 46, v10
	s_mov_b32 s0, -1
	s_cbranch_vccz .LBB520_2004
; %bb.2003:
	v_bfe_u32 v1, v0, 16, 1
	v_cmp_o_f32_e32 vcc_lo, v0, v0
	s_mov_b32 s0, 0
	s_delay_alu instid0(VALU_DEP_2) | instskip(NEXT) | instid1(VALU_DEP_1)
	v_add3_u32 v1, v0, v1, 0x7fff
	v_lshrrev_b32_e32 v1, 16, v1
	s_delay_alu instid0(VALU_DEP_1)
	v_cndmask_b32_e32 v1, 0x7fc0, v1, vcc_lo
	global_store_b32 v[2:3], v1, off
.LBB520_2004:
	s_mov_b32 s3, 0
.LBB520_2005:
	s_delay_alu instid0(SALU_CYCLE_1)
	s_and_b32 vcc_lo, exec_lo, s3
	s_cbranch_vccz .LBB520_2010
; %bb.2006:
	v_cmp_eq_u16_e32 vcc_lo, 44, v10
	s_mov_b32 s0, -1
	s_cbranch_vccz .LBB520_2010
; %bb.2007:
	v_bfe_u32 v4, v0, 23, 8
	v_mov_b32_e32 v1, 0xff
	s_mov_b32 s3, exec_lo
	s_delay_alu instid0(VALU_DEP_2)
	v_cmpx_ne_u32_e32 0xff, v4
; %bb.2008:
	v_and_b32_e32 v1, 0x400000, v0
	v_and_or_b32 v4, 0x3fffff, v0, v4
	s_delay_alu instid0(VALU_DEP_2) | instskip(NEXT) | instid1(VALU_DEP_2)
	v_cmp_ne_u32_e32 vcc_lo, 0, v1
	v_cmp_ne_u32_e64 s0, 0, v4
	v_lshrrev_b32_e32 v1, 23, v0
	s_delay_alu instid0(VALU_DEP_2) | instskip(NEXT) | instid1(SALU_CYCLE_1)
	s_and_b32 s0, vcc_lo, s0
	v_cndmask_b32_e64 v4, 0, 1, s0
	s_delay_alu instid0(VALU_DEP_1)
	v_add_nc_u32_e32 v1, v1, v4
; %bb.2009:
	s_or_b32 exec_lo, exec_lo, s3
	s_mov_b32 s0, 0
	global_store_b8 v[2:3], v1, off
.LBB520_2010:
	s_mov_b32 s3, 0
.LBB520_2011:
	s_delay_alu instid0(SALU_CYCLE_1)
	s_and_b32 vcc_lo, exec_lo, s3
	s_cbranch_vccz .LBB520_2014
; %bb.2012:
	v_cmp_eq_u16_e32 vcc_lo, 29, v10
	s_mov_b32 s0, -1
	s_cbranch_vccz .LBB520_2014
; %bb.2013:
	v_trunc_f32_e32 v1, v0
	s_mov_b32 s0, 0
	s_delay_alu instid0(VALU_DEP_1) | instskip(NEXT) | instid1(VALU_DEP_1)
	v_mul_f32_e32 v4, 0x2f800000, v1
	v_floor_f32_e32 v4, v4
	s_delay_alu instid0(VALU_DEP_1) | instskip(SKIP_1) | instid1(VALU_DEP_2)
	v_fmamk_f32 v1, v4, 0xcf800000, v1
	v_cvt_u32_f32_e32 v5, v4
	v_cvt_u32_f32_e32 v4, v1
	global_store_b64 v[2:3], v[4:5], off
.LBB520_2014:
	s_mov_b32 s3, 0
.LBB520_2015:
	s_delay_alu instid0(SALU_CYCLE_1)
	s_and_b32 vcc_lo, exec_lo, s3
	s_cbranch_vccz .LBB520_2030
; %bb.2016:
	v_cmp_gt_i16_e32 vcc_lo, 27, v10
	s_mov_b32 s3, -1
	s_cbranch_vccnz .LBB520_2022
; %bb.2017:
	v_cmp_lt_i16_e32 vcc_lo, 27, v10
	v_cvt_u32_f32_e32 v1, v0
	s_cbranch_vccz .LBB520_2019
; %bb.2018:
	s_mov_b32 s3, 0
	global_store_b32 v[2:3], v1, off
.LBB520_2019:
	s_and_not1_b32 vcc_lo, exec_lo, s3
	s_cbranch_vccnz .LBB520_2021
; %bb.2020:
	global_store_b16 v[2:3], v1, off
.LBB520_2021:
	s_mov_b32 s3, 0
.LBB520_2022:
	s_delay_alu instid0(SALU_CYCLE_1)
	s_and_not1_b32 vcc_lo, exec_lo, s3
	s_cbranch_vccnz .LBB520_2030
; %bb.2023:
	v_and_b32_e32 v1, 0x7fffffff, v0
	v_mov_b32_e32 v4, 0x80
	s_mov_b32 s3, exec_lo
	s_delay_alu instid0(VALU_DEP_2)
	v_cmpx_gt_u32_e32 0x43800000, v1
	s_cbranch_execz .LBB520_2029
; %bb.2024:
	v_cmp_lt_u32_e32 vcc_lo, 0x3bffffff, v1
	s_mov_b32 s4, 0
                                        ; implicit-def: $vgpr1
	s_and_saveexec_b32 s5, vcc_lo
	s_delay_alu instid0(SALU_CYCLE_1)
	s_xor_b32 s5, exec_lo, s5
	s_cbranch_execz .LBB520_2101
; %bb.2025:
	v_bfe_u32 v1, v0, 20, 1
	s_mov_b32 s4, exec_lo
	s_delay_alu instid0(VALU_DEP_1) | instskip(NEXT) | instid1(VALU_DEP_1)
	v_add3_u32 v1, v0, v1, 0x487ffff
	v_lshrrev_b32_e32 v1, 20, v1
	s_or_saveexec_b32 s5, s5
                                        ; implicit-def: $sgpr6
	s_delay_alu instid0(SALU_CYCLE_1)
	s_xor_b32 exec_lo, exec_lo, s5
	s_cbranch_execnz .LBB520_2102
.LBB520_2026:
	s_or_b32 exec_lo, exec_lo, s5
	v_mov_b32_e32 v4, s6
	s_and_saveexec_b32 s5, s4
.LBB520_2027:
	v_lshrrev_b32_e32 v4, 24, v0
	s_delay_alu instid0(VALU_DEP_1)
	v_and_or_b32 v4, 0x80, v4, v1
.LBB520_2028:
	s_or_b32 exec_lo, exec_lo, s5
.LBB520_2029:
	s_delay_alu instid0(SALU_CYCLE_1)
	s_or_b32 exec_lo, exec_lo, s3
	global_store_b8 v[2:3], v4, off
.LBB520_2030:
	s_mov_b32 s3, 0
.LBB520_2031:
	s_delay_alu instid0(SALU_CYCLE_1)
	s_and_b32 vcc_lo, exec_lo, s3
	s_cbranch_vccz .LBB520_2071
; %bb.2032:
	v_cmp_lt_i16_e32 vcc_lo, 22, v10
	s_mov_b32 s2, -1
	s_cbranch_vccz .LBB520_2064
; %bb.2033:
	v_cmp_gt_i16_e32 vcc_lo, 24, v10
	s_cbranch_vccnz .LBB520_2053
; %bb.2034:
	v_cmp_lt_i16_e32 vcc_lo, 24, v10
	s_cbranch_vccz .LBB520_2042
; %bb.2035:
	v_and_b32_e32 v1, 0x7fffffff, v0
	v_mov_b32_e32 v4, 0x80
	s_mov_b32 s2, exec_lo
	s_delay_alu instid0(VALU_DEP_2)
	v_cmpx_gt_u32_e32 0x47800000, v1
	s_cbranch_execz .LBB520_2041
; %bb.2036:
	v_cmp_lt_u32_e32 vcc_lo, 0x37ffffff, v1
	s_mov_b32 s3, 0
                                        ; implicit-def: $vgpr1
	s_and_saveexec_b32 s4, vcc_lo
	s_delay_alu instid0(SALU_CYCLE_1)
	s_xor_b32 s4, exec_lo, s4
	s_cbranch_execz .LBB520_2107
; %bb.2037:
	v_bfe_u32 v1, v0, 21, 1
	s_mov_b32 s3, exec_lo
	s_delay_alu instid0(VALU_DEP_1) | instskip(NEXT) | instid1(VALU_DEP_1)
	v_add3_u32 v1, v0, v1, 0x88fffff
	v_lshrrev_b32_e32 v1, 21, v1
	s_or_saveexec_b32 s4, s4
                                        ; implicit-def: $sgpr5
	s_delay_alu instid0(SALU_CYCLE_1)
	s_xor_b32 exec_lo, exec_lo, s4
	s_cbranch_execnz .LBB520_2108
.LBB520_2038:
	s_or_b32 exec_lo, exec_lo, s4
	v_mov_b32_e32 v4, s5
	s_and_saveexec_b32 s4, s3
.LBB520_2039:
	v_lshrrev_b32_e32 v4, 24, v0
	s_delay_alu instid0(VALU_DEP_1)
	v_and_or_b32 v4, 0x80, v4, v1
.LBB520_2040:
	s_or_b32 exec_lo, exec_lo, s4
.LBB520_2041:
	s_delay_alu instid0(SALU_CYCLE_1)
	s_or_b32 exec_lo, exec_lo, s2
	s_mov_b32 s2, 0
	global_store_b8 v[2:3], v4, off
.LBB520_2042:
	s_and_b32 vcc_lo, exec_lo, s2
	s_cbranch_vccz .LBB520_2052
; %bb.2043:
	v_and_b32_e32 v4, 0x7fffffff, v0
	s_mov_b32 s2, exec_lo
                                        ; implicit-def: $vgpr1
	s_delay_alu instid0(VALU_DEP_1)
	v_cmpx_gt_u32_e32 0x43f00000, v4
	s_xor_b32 s2, exec_lo, s2
	s_cbranch_execz .LBB520_2049
; %bb.2044:
	s_mov_b32 s3, exec_lo
                                        ; implicit-def: $vgpr1
	v_cmpx_lt_u32_e32 0x3c7fffff, v4
	s_xor_b32 s3, exec_lo, s3
; %bb.2045:
	v_bfe_u32 v1, v0, 20, 1
	s_delay_alu instid0(VALU_DEP_1) | instskip(NEXT) | instid1(VALU_DEP_1)
	v_add3_u32 v1, v0, v1, 0x407ffff
	v_and_b32_e32 v4, 0xff00000, v1
	v_lshrrev_b32_e32 v1, 20, v1
	s_delay_alu instid0(VALU_DEP_2) | instskip(NEXT) | instid1(VALU_DEP_2)
	v_cmp_ne_u32_e32 vcc_lo, 0x7f00000, v4
	v_cndmask_b32_e32 v1, 0x7e, v1, vcc_lo
; %bb.2046:
	s_and_not1_saveexec_b32 s3, s3
; %bb.2047:
	v_add_f32_e64 v1, 0x46800000, |v0|
; %bb.2048:
	s_or_b32 exec_lo, exec_lo, s3
                                        ; implicit-def: $vgpr4
.LBB520_2049:
	s_and_not1_saveexec_b32 s2, s2
; %bb.2050:
	v_mov_b32_e32 v1, 0x7f
	v_cmp_lt_u32_e32 vcc_lo, 0x7f800000, v4
	s_delay_alu instid0(VALU_DEP_2)
	v_cndmask_b32_e32 v1, 0x7e, v1, vcc_lo
; %bb.2051:
	s_or_b32 exec_lo, exec_lo, s2
	v_lshrrev_b32_e32 v4, 24, v0
	s_delay_alu instid0(VALU_DEP_1)
	v_and_or_b32 v1, 0x80, v4, v1
	global_store_b8 v[2:3], v1, off
.LBB520_2052:
	s_mov_b32 s2, 0
.LBB520_2053:
	s_delay_alu instid0(SALU_CYCLE_1)
	s_and_not1_b32 vcc_lo, exec_lo, s2
	s_cbranch_vccnz .LBB520_2063
; %bb.2054:
	v_and_b32_e32 v4, 0x7fffffff, v0
	s_mov_b32 s2, exec_lo
                                        ; implicit-def: $vgpr1
	s_delay_alu instid0(VALU_DEP_1)
	v_cmpx_gt_u32_e32 0x47800000, v4
	s_xor_b32 s2, exec_lo, s2
	s_cbranch_execz .LBB520_2060
; %bb.2055:
	s_mov_b32 s3, exec_lo
                                        ; implicit-def: $vgpr1
	v_cmpx_lt_u32_e32 0x387fffff, v4
	s_xor_b32 s3, exec_lo, s3
; %bb.2056:
	v_bfe_u32 v1, v0, 21, 1
	s_delay_alu instid0(VALU_DEP_1) | instskip(NEXT) | instid1(VALU_DEP_1)
	v_add3_u32 v1, v0, v1, 0x80fffff
	v_lshrrev_b32_e32 v1, 21, v1
; %bb.2057:
	s_and_not1_saveexec_b32 s3, s3
; %bb.2058:
	v_add_f32_e64 v1, 0x43000000, |v0|
; %bb.2059:
	s_or_b32 exec_lo, exec_lo, s3
                                        ; implicit-def: $vgpr4
.LBB520_2060:
	s_and_not1_saveexec_b32 s2, s2
; %bb.2061:
	v_mov_b32_e32 v1, 0x7f
	v_cmp_lt_u32_e32 vcc_lo, 0x7f800000, v4
	s_delay_alu instid0(VALU_DEP_2)
	v_cndmask_b32_e32 v1, 0x7c, v1, vcc_lo
; %bb.2062:
	s_or_b32 exec_lo, exec_lo, s2
	v_lshrrev_b32_e32 v4, 24, v0
	s_delay_alu instid0(VALU_DEP_1)
	v_and_or_b32 v1, 0x80, v4, v1
	global_store_b8 v[2:3], v1, off
.LBB520_2063:
	s_mov_b32 s2, 0
.LBB520_2064:
	s_delay_alu instid0(SALU_CYCLE_1)
	s_and_not1_b32 vcc_lo, exec_lo, s2
	s_mov_b32 s2, 0
	s_cbranch_vccnz .LBB520_2071
; %bb.2065:
	v_cmp_lt_i16_e32 vcc_lo, 14, v10
	s_mov_b32 s2, -1
	s_cbranch_vccz .LBB520_2069
; %bb.2066:
	v_cmp_eq_u16_e32 vcc_lo, 15, v10
	s_mov_b32 s0, -1
	s_cbranch_vccz .LBB520_2068
; %bb.2067:
	v_bfe_u32 v1, v0, 16, 1
	v_cmp_o_f32_e32 vcc_lo, v0, v0
	s_mov_b32 s0, 0
	s_delay_alu instid0(VALU_DEP_2) | instskip(NEXT) | instid1(VALU_DEP_1)
	v_add3_u32 v1, v0, v1, 0x7fff
	v_lshrrev_b32_e32 v1, 16, v1
	s_delay_alu instid0(VALU_DEP_1)
	v_cndmask_b32_e32 v1, 0x7fc0, v1, vcc_lo
	global_store_b16 v[2:3], v1, off
.LBB520_2068:
	s_mov_b32 s2, 0
.LBB520_2069:
	s_delay_alu instid0(SALU_CYCLE_1)
	s_and_b32 vcc_lo, exec_lo, s2
	s_mov_b32 s2, 0
	s_cbranch_vccz .LBB520_2071
; %bb.2070:
	v_cmp_ne_u16_e64 s0, 11, v10
	s_mov_b32 s2, -1
.LBB520_2071:
	s_delay_alu instid0(VALU_DEP_1)
	s_and_b32 vcc_lo, exec_lo, s0
	s_cbranch_vccnz .LBB520_2105
.LBB520_2072:
	s_mov_b32 s0, 0
	s_branch .LBB520_1674
.LBB520_2073:
	s_mov_b32 s0, 0
	s_mov_b32 s2, 0
                                        ; implicit-def: $vgpr10
                                        ; implicit-def: $vgpr2_vgpr3
	s_branch .LBB520_1674
.LBB520_2074:
	s_mov_b32 s2, 0
	s_mov_b32 s0, -1
	s_branch .LBB520_1674
.LBB520_2075:
	s_cbranch_execnz .LBB520_2079
; %bb.2076:
	s_or_b32 s1, s1, exec_lo
                                        ; implicit-def: $vgpr2
	s_cbranch_execz .LBB520_1539
	s_branch .LBB520_1540
.LBB520_2077:
	s_or_saveexec_b32 s7, s7
                                        ; implicit-def: $sgpr9
	s_delay_alu instid0(SALU_CYCLE_1)
	s_xor_b32 exec_lo, exec_lo, s7
	s_cbranch_execz .LBB520_1623
.LBB520_2078:
	v_add_f32_e64 v2, 0x46000000, |v1|
	s_and_not1_b32 s6, s6, exec_lo
	s_mov_b32 s9, 0
	s_delay_alu instid0(VALU_DEP_1) | instskip(NEXT) | instid1(VALU_DEP_1)
	v_and_b32_e32 v2, 0xff, v2
	v_cmp_ne_u32_e32 vcc_lo, 0, v2
	s_and_b32 s10, vcc_lo, exec_lo
	s_delay_alu instid0(SALU_CYCLE_1)
	s_or_b32 s6, s6, s10
	s_or_b32 exec_lo, exec_lo, s7
	v_mov_b32_e32 v8, s9
	s_and_saveexec_b32 s7, s6
	s_cbranch_execnz .LBB520_1624
	s_branch .LBB520_1625
.LBB520_2079:
	s_trap 2
	s_sendmsg_rtn_b32 s0, sendmsg(MSG_RTN_GET_DOORBELL)
	s_mov_b32 ttmp2, m0
	s_waitcnt lgkmcnt(0)
	s_and_b32 s0, s0, 0x3ff
	s_delay_alu instid0(SALU_CYCLE_1) | instskip(NEXT) | instid1(SALU_CYCLE_1)
	s_bitset1_b32 s0, 10
	s_mov_b32 m0, s0
	s_sendmsg sendmsg(MSG_INTERRUPT)
	s_mov_b32 m0, ttmp2
.LBB520_2080:                           ; =>This Inner Loop Header: Depth=1
	s_sethalt 5
	s_branch .LBB520_2080
.LBB520_2081:
	s_cbranch_execnz .LBB520_2087
; %bb.2082:
	s_or_b32 s1, s1, exec_lo
	s_cbranch_execz .LBB520_1671
	s_branch .LBB520_1672
.LBB520_2083:
	s_or_saveexec_b32 s6, s6
                                        ; implicit-def: $sgpr7
	s_delay_alu instid0(SALU_CYCLE_1)
	s_xor_b32 exec_lo, exec_lo, s6
	s_cbranch_execz .LBB520_1636
.LBB520_2084:
	v_add_f32_e64 v2, 0x42800000, |v1|
	s_and_not1_b32 s3, s3, exec_lo
	s_mov_b32 s7, 0
	s_delay_alu instid0(VALU_DEP_1) | instskip(NEXT) | instid1(VALU_DEP_1)
	v_and_b32_e32 v2, 0xff, v2
	v_cmp_ne_u32_e32 vcc_lo, 0, v2
	s_and_b32 s9, vcc_lo, exec_lo
	s_delay_alu instid0(SALU_CYCLE_1)
	s_or_b32 s3, s3, s9
	s_or_b32 exec_lo, exec_lo, s6
	v_mov_b32_e32 v8, s7
	s_and_saveexec_b32 s6, s3
	s_cbranch_execnz .LBB520_1637
	s_branch .LBB520_1638
.LBB520_2085:
	s_or_saveexec_b32 s8, s8
                                        ; implicit-def: $sgpr9
	s_delay_alu instid0(SALU_CYCLE_1)
	s_xor_b32 exec_lo, exec_lo, s8
	s_cbranch_execz .LBB520_1787
.LBB520_2086:
	v_add_f32_e64 v4, 0x46000000, |v3|
	s_and_not1_b32 s7, s7, exec_lo
	s_mov_b32 s9, 0
	s_delay_alu instid0(VALU_DEP_1) | instskip(NEXT) | instid1(VALU_DEP_1)
	v_and_b32_e32 v4, 0xff, v4
	v_cmp_ne_u32_e32 vcc_lo, 0, v4
	s_and_b32 s10, vcc_lo, exec_lo
	s_delay_alu instid0(SALU_CYCLE_1)
	s_or_b32 s7, s7, s10
	s_or_b32 exec_lo, exec_lo, s8
	v_mov_b32_e32 v7, s9
	s_and_saveexec_b32 s8, s7
	s_cbranch_execnz .LBB520_1788
	s_branch .LBB520_1789
.LBB520_2087:
	s_trap 2
	s_sendmsg_rtn_b32 s0, sendmsg(MSG_RTN_GET_DOORBELL)
	s_mov_b32 ttmp2, m0
	s_waitcnt lgkmcnt(0)
	s_and_b32 s0, s0, 0x3ff
	s_delay_alu instid0(SALU_CYCLE_1) | instskip(NEXT) | instid1(SALU_CYCLE_1)
	s_bitset1_b32 s0, 10
	s_mov_b32 m0, s0
	s_sendmsg sendmsg(MSG_INTERRUPT)
	s_mov_b32 m0, ttmp2
.LBB520_2088:                           ; =>This Inner Loop Header: Depth=1
	s_sethalt 5
	s_branch .LBB520_2088
.LBB520_2089:
	s_cbranch_execnz .LBB520_2095
; %bb.2090:
	s_or_b32 s1, s1, exec_lo
	s_cbranch_execz .LBB520_1835
	s_branch .LBB520_1836
.LBB520_2091:
	s_or_saveexec_b32 s7, s7
                                        ; implicit-def: $sgpr8
	s_delay_alu instid0(SALU_CYCLE_1)
	s_xor_b32 exec_lo, exec_lo, s7
	s_cbranch_execz .LBB520_1800
.LBB520_2092:
	v_add_f32_e64 v4, 0x42800000, |v3|
	s_and_not1_b32 s6, s6, exec_lo
	s_mov_b32 s8, 0
	s_delay_alu instid0(VALU_DEP_1) | instskip(NEXT) | instid1(VALU_DEP_1)
	v_and_b32_e32 v4, 0xff, v4
	v_cmp_ne_u32_e32 vcc_lo, 0, v4
	s_and_b32 s9, vcc_lo, exec_lo
	s_delay_alu instid0(SALU_CYCLE_1)
	s_or_b32 s6, s6, s9
	s_or_b32 exec_lo, exec_lo, s7
	v_mov_b32_e32 v7, s8
	s_and_saveexec_b32 s7, s6
	s_cbranch_execnz .LBB520_1801
	s_branch .LBB520_1802
.LBB520_2093:
	s_or_saveexec_b32 s8, s8
                                        ; implicit-def: $sgpr9
	s_delay_alu instid0(SALU_CYCLE_1)
	s_xor_b32 exec_lo, exec_lo, s8
	s_cbranch_execz .LBB520_1906
.LBB520_2094:
	v_add_f32_e64 v4, 0x46000000, |v5|
	s_and_not1_b32 s7, s7, exec_lo
	s_mov_b32 s9, 0
	s_delay_alu instid0(VALU_DEP_1) | instskip(NEXT) | instid1(VALU_DEP_1)
	v_and_b32_e32 v4, 0xff, v4
	v_cmp_ne_u32_e32 vcc_lo, 0, v4
	s_and_b32 s10, vcc_lo, exec_lo
	s_delay_alu instid0(SALU_CYCLE_1)
	s_or_b32 s7, s7, s10
	s_or_b32 exec_lo, exec_lo, s8
	v_mov_b32_e32 v6, s9
	s_and_saveexec_b32 s8, s7
	s_cbranch_execnz .LBB520_1907
	s_branch .LBB520_1908
.LBB520_2095:
	s_trap 2
	s_sendmsg_rtn_b32 s0, sendmsg(MSG_RTN_GET_DOORBELL)
	s_mov_b32 ttmp2, m0
	s_waitcnt lgkmcnt(0)
	s_and_b32 s0, s0, 0x3ff
	s_delay_alu instid0(SALU_CYCLE_1) | instskip(NEXT) | instid1(SALU_CYCLE_1)
	s_bitset1_b32 s0, 10
	s_mov_b32 m0, s0
	s_sendmsg sendmsg(MSG_INTERRUPT)
	s_mov_b32 m0, ttmp2
.LBB520_2096:                           ; =>This Inner Loop Header: Depth=1
	s_sethalt 5
	s_branch .LBB520_2096
.LBB520_2097:
	s_cbranch_execnz .LBB520_2103
; %bb.2098:
	s_or_b32 s1, s1, exec_lo
	s_cbranch_execz .LBB520_1954
	s_branch .LBB520_1955
.LBB520_2099:
	s_or_saveexec_b32 s7, s7
                                        ; implicit-def: $sgpr8
	s_delay_alu instid0(SALU_CYCLE_1)
	s_xor_b32 exec_lo, exec_lo, s7
	s_cbranch_execz .LBB520_1919
.LBB520_2100:
	v_add_f32_e64 v4, 0x42800000, |v5|
	s_and_not1_b32 s6, s6, exec_lo
	s_mov_b32 s8, 0
	s_delay_alu instid0(VALU_DEP_1) | instskip(NEXT) | instid1(VALU_DEP_1)
	v_and_b32_e32 v4, 0xff, v4
	v_cmp_ne_u32_e32 vcc_lo, 0, v4
	s_and_b32 s9, vcc_lo, exec_lo
	s_delay_alu instid0(SALU_CYCLE_1)
	s_or_b32 s6, s6, s9
	s_or_b32 exec_lo, exec_lo, s7
	v_mov_b32_e32 v6, s8
	s_and_saveexec_b32 s7, s6
	s_cbranch_execnz .LBB520_1920
	s_branch .LBB520_1921
.LBB520_2101:
	s_or_saveexec_b32 s5, s5
                                        ; implicit-def: $sgpr6
	s_delay_alu instid0(SALU_CYCLE_1)
	s_xor_b32 exec_lo, exec_lo, s5
	s_cbranch_execz .LBB520_2026
.LBB520_2102:
	v_add_f32_e64 v1, 0x46000000, |v0|
	s_and_not1_b32 s4, s4, exec_lo
	s_mov_b32 s6, 0
	s_delay_alu instid0(VALU_DEP_1) | instskip(NEXT) | instid1(VALU_DEP_1)
	v_and_b32_e32 v1, 0xff, v1
	v_cmp_ne_u32_e32 vcc_lo, 0, v1
	s_and_b32 s7, vcc_lo, exec_lo
	s_delay_alu instid0(SALU_CYCLE_1)
	s_or_b32 s4, s4, s7
	s_or_b32 exec_lo, exec_lo, s5
	v_mov_b32_e32 v4, s6
	s_and_saveexec_b32 s5, s4
	s_cbranch_execnz .LBB520_2027
	s_branch .LBB520_2028
.LBB520_2103:
	s_trap 2
	s_sendmsg_rtn_b32 s0, sendmsg(MSG_RTN_GET_DOORBELL)
	s_mov_b32 ttmp2, m0
	s_waitcnt lgkmcnt(0)
	s_and_b32 s0, s0, 0x3ff
	s_delay_alu instid0(SALU_CYCLE_1) | instskip(NEXT) | instid1(SALU_CYCLE_1)
	s_bitset1_b32 s0, 10
	s_mov_b32 m0, s0
	s_sendmsg sendmsg(MSG_INTERRUPT)
	s_mov_b32 m0, ttmp2
.LBB520_2104:                           ; =>This Inner Loop Header: Depth=1
	s_sethalt 5
	s_branch .LBB520_2104
.LBB520_2105:
	s_cbranch_execnz .LBB520_2109
; %bb.2106:
	s_mov_b32 s2, 0
	s_or_b32 s1, s1, exec_lo
	s_branch .LBB520_2072
.LBB520_2107:
	s_or_saveexec_b32 s4, s4
                                        ; implicit-def: $sgpr5
	s_delay_alu instid0(SALU_CYCLE_1)
	s_xor_b32 exec_lo, exec_lo, s4
	s_cbranch_execz .LBB520_2038
.LBB520_2108:
	v_add_f32_e64 v1, 0x42800000, |v0|
	s_and_not1_b32 s3, s3, exec_lo
	s_mov_b32 s5, 0
	s_delay_alu instid0(VALU_DEP_1) | instskip(NEXT) | instid1(VALU_DEP_1)
	v_and_b32_e32 v1, 0xff, v1
	v_cmp_ne_u32_e32 vcc_lo, 0, v1
	s_and_b32 s6, vcc_lo, exec_lo
	s_delay_alu instid0(SALU_CYCLE_1)
	s_or_b32 s3, s3, s6
	s_or_b32 exec_lo, exec_lo, s4
	v_mov_b32_e32 v4, s5
	s_and_saveexec_b32 s4, s3
	s_cbranch_execnz .LBB520_2039
	s_branch .LBB520_2040
.LBB520_2109:
	s_trap 2
	s_sendmsg_rtn_b32 s0, sendmsg(MSG_RTN_GET_DOORBELL)
	s_mov_b32 ttmp2, m0
	s_waitcnt lgkmcnt(0)
	s_and_b32 s0, s0, 0x3ff
	s_delay_alu instid0(SALU_CYCLE_1) | instskip(NEXT) | instid1(SALU_CYCLE_1)
	s_bitset1_b32 s0, 10
	s_mov_b32 m0, s0
	s_sendmsg sendmsg(MSG_INTERRUPT)
	s_mov_b32 m0, ttmp2
.LBB520_2110:                           ; =>This Inner Loop Header: Depth=1
	s_sethalt 5
	s_branch .LBB520_2110
	.section	.rodata,"a",@progbits
	.p2align	6, 0x0
	.amdhsa_kernel _ZN2at6native32elementwise_kernel_manual_unrollILi128ELi4EZNS0_15gpu_kernel_implIZZZNS0_22nan_to_num_kernel_cudaERNS_18TensorIteratorBaseESt8optionalIdES6_S6_ENKUlvE0_clEvENKUlvE0_clEvEUlfE_EEvS4_RKT_EUlibE_EEviT1_
		.amdhsa_group_segment_fixed_size 0
		.amdhsa_private_segment_fixed_size 0
		.amdhsa_kernarg_size 48
		.amdhsa_user_sgpr_count 15
		.amdhsa_user_sgpr_dispatch_ptr 0
		.amdhsa_user_sgpr_queue_ptr 0
		.amdhsa_user_sgpr_kernarg_segment_ptr 1
		.amdhsa_user_sgpr_dispatch_id 0
		.amdhsa_user_sgpr_private_segment_size 0
		.amdhsa_wavefront_size32 1
		.amdhsa_uses_dynamic_stack 0
		.amdhsa_enable_private_segment 0
		.amdhsa_system_sgpr_workgroup_id_x 1
		.amdhsa_system_sgpr_workgroup_id_y 0
		.amdhsa_system_sgpr_workgroup_id_z 0
		.amdhsa_system_sgpr_workgroup_info 0
		.amdhsa_system_vgpr_workitem_id 0
		.amdhsa_next_free_vgpr 15
		.amdhsa_next_free_sgpr 28
		.amdhsa_reserve_vcc 1
		.amdhsa_float_round_mode_32 0
		.amdhsa_float_round_mode_16_64 0
		.amdhsa_float_denorm_mode_32 3
		.amdhsa_float_denorm_mode_16_64 3
		.amdhsa_dx10_clamp 1
		.amdhsa_ieee_mode 1
		.amdhsa_fp16_overflow 0
		.amdhsa_workgroup_processor_mode 1
		.amdhsa_memory_ordered 1
		.amdhsa_forward_progress 0
		.amdhsa_shared_vgpr_count 0
		.amdhsa_exception_fp_ieee_invalid_op 0
		.amdhsa_exception_fp_denorm_src 0
		.amdhsa_exception_fp_ieee_div_zero 0
		.amdhsa_exception_fp_ieee_overflow 0
		.amdhsa_exception_fp_ieee_underflow 0
		.amdhsa_exception_fp_ieee_inexact 0
		.amdhsa_exception_int_div_zero 0
	.end_amdhsa_kernel
	.section	.text._ZN2at6native32elementwise_kernel_manual_unrollILi128ELi4EZNS0_15gpu_kernel_implIZZZNS0_22nan_to_num_kernel_cudaERNS_18TensorIteratorBaseESt8optionalIdES6_S6_ENKUlvE0_clEvENKUlvE0_clEvEUlfE_EEvS4_RKT_EUlibE_EEviT1_,"axG",@progbits,_ZN2at6native32elementwise_kernel_manual_unrollILi128ELi4EZNS0_15gpu_kernel_implIZZZNS0_22nan_to_num_kernel_cudaERNS_18TensorIteratorBaseESt8optionalIdES6_S6_ENKUlvE0_clEvENKUlvE0_clEvEUlfE_EEvS4_RKT_EUlibE_EEviT1_,comdat
.Lfunc_end520:
	.size	_ZN2at6native32elementwise_kernel_manual_unrollILi128ELi4EZNS0_15gpu_kernel_implIZZZNS0_22nan_to_num_kernel_cudaERNS_18TensorIteratorBaseESt8optionalIdES6_S6_ENKUlvE0_clEvENKUlvE0_clEvEUlfE_EEvS4_RKT_EUlibE_EEviT1_, .Lfunc_end520-_ZN2at6native32elementwise_kernel_manual_unrollILi128ELi4EZNS0_15gpu_kernel_implIZZZNS0_22nan_to_num_kernel_cudaERNS_18TensorIteratorBaseESt8optionalIdES6_S6_ENKUlvE0_clEvENKUlvE0_clEvEUlfE_EEvS4_RKT_EUlibE_EEviT1_
                                        ; -- End function
	.section	.AMDGPU.csdata,"",@progbits
; Kernel info:
; codeLenInByte = 35996
; NumSgprs: 30
; NumVgprs: 15
; ScratchSize: 0
; MemoryBound: 1
; FloatMode: 240
; IeeeMode: 1
; LDSByteSize: 0 bytes/workgroup (compile time only)
; SGPRBlocks: 3
; VGPRBlocks: 1
; NumSGPRsForWavesPerEU: 30
; NumVGPRsForWavesPerEU: 15
; Occupancy: 16
; WaveLimiterHint : 0
; COMPUTE_PGM_RSRC2:SCRATCH_EN: 0
; COMPUTE_PGM_RSRC2:USER_SGPR: 15
; COMPUTE_PGM_RSRC2:TRAP_HANDLER: 0
; COMPUTE_PGM_RSRC2:TGID_X_EN: 1
; COMPUTE_PGM_RSRC2:TGID_Y_EN: 0
; COMPUTE_PGM_RSRC2:TGID_Z_EN: 0
; COMPUTE_PGM_RSRC2:TIDIG_COMP_CNT: 0
	.section	.text._ZN2at6native32elementwise_kernel_manual_unrollILi128ELi4EZNS0_15gpu_kernel_implIZZZNS0_22nan_to_num_kernel_cudaERNS_18TensorIteratorBaseESt8optionalIdES6_S6_ENKUlvE0_clEvENKUlvE0_clEvEUlfE_EEvS4_RKT_EUlibE0_EEviT1_,"axG",@progbits,_ZN2at6native32elementwise_kernel_manual_unrollILi128ELi4EZNS0_15gpu_kernel_implIZZZNS0_22nan_to_num_kernel_cudaERNS_18TensorIteratorBaseESt8optionalIdES6_S6_ENKUlvE0_clEvENKUlvE0_clEvEUlfE_EEvS4_RKT_EUlibE0_EEviT1_,comdat
	.globl	_ZN2at6native32elementwise_kernel_manual_unrollILi128ELi4EZNS0_15gpu_kernel_implIZZZNS0_22nan_to_num_kernel_cudaERNS_18TensorIteratorBaseESt8optionalIdES6_S6_ENKUlvE0_clEvENKUlvE0_clEvEUlfE_EEvS4_RKT_EUlibE0_EEviT1_ ; -- Begin function _ZN2at6native32elementwise_kernel_manual_unrollILi128ELi4EZNS0_15gpu_kernel_implIZZZNS0_22nan_to_num_kernel_cudaERNS_18TensorIteratorBaseESt8optionalIdES6_S6_ENKUlvE0_clEvENKUlvE0_clEvEUlfE_EEvS4_RKT_EUlibE0_EEviT1_
	.p2align	8
	.type	_ZN2at6native32elementwise_kernel_manual_unrollILi128ELi4EZNS0_15gpu_kernel_implIZZZNS0_22nan_to_num_kernel_cudaERNS_18TensorIteratorBaseESt8optionalIdES6_S6_ENKUlvE0_clEvENKUlvE0_clEvEUlfE_EEvS4_RKT_EUlibE0_EEviT1_,@function
_ZN2at6native32elementwise_kernel_manual_unrollILi128ELi4EZNS0_15gpu_kernel_implIZZZNS0_22nan_to_num_kernel_cudaERNS_18TensorIteratorBaseESt8optionalIdES6_S6_ENKUlvE0_clEvENKUlvE0_clEvEUlfE_EEvS4_RKT_EUlibE0_EEviT1_: ; @_ZN2at6native32elementwise_kernel_manual_unrollILi128ELi4EZNS0_15gpu_kernel_implIZZZNS0_22nan_to_num_kernel_cudaERNS_18TensorIteratorBaseESt8optionalIdES6_S6_ENKUlvE0_clEvENKUlvE0_clEvEUlfE_EEvS4_RKT_EUlibE0_EEviT1_
; %bb.0:
	s_clause 0x1
	s_load_b32 s28, s[0:1], 0x8
	s_load_b32 s35, s[0:1], 0x0
	v_lshl_or_b32 v6, s15, 9, v0
	s_or_b32 s20, s0, 8
	s_mov_b32 s3, -1
	s_mov_b32 s30, 0
	s_mov_b32 s21, s1
	v_or_b32_e32 v8, 0x180, v6
	s_mov_b32 s8, 0
	s_mov_b32 s2, exec_lo
	s_waitcnt lgkmcnt(0)
	s_add_i32 s29, s28, -1
	s_delay_alu instid0(SALU_CYCLE_1)
	s_cmp_gt_u32 s29, 1
	s_cselect_b32 s31, -1, 0
	v_cmpx_le_i32_e64 s35, v8
	s_xor_b32 s33, exec_lo, s2
	s_cbranch_execz .LBB521_1092
; %bb.1:
	s_clause 0x4
	s_load_b32 s34, s[20:21], 0x164
	s_load_b128 s[16:19], s[20:21], 0x4
	s_load_b64 s[22:23], s[20:21], 0x14
	s_load_b128 s[12:15], s[20:21], 0xc4
	s_load_b256 s[4:11], s[20:21], 0x148
	s_cmp_lg_u32 s28, 0
	s_mov_b32 s41, 0
	s_cselect_b32 s37, -1, 0
	s_add_u32 s24, s20, 0xc4
	s_addc_u32 s25, s21, 0
	s_min_u32 s36, s29, 15
	s_cmp_gt_u32 s28, 1
	s_mov_b32 s39, 0
	s_waitcnt lgkmcnt(0)
	s_cselect_b32 s11, -1, 0
	s_mov_b32 s38, 0
	s_mov_b32 s40, exec_lo
	v_lshrrev_b16 v5, 8, s34
	v_cmpx_gt_i32_e64 s35, v6
	s_cbranch_execz .LBB521_267
; %bb.2:
	s_and_not1_b32 vcc_lo, exec_lo, s31
	s_cbranch_vccnz .LBB521_7
; %bb.3:
	v_dual_mov_b32 v0, 0 :: v_dual_mov_b32 v1, 0
	s_and_not1_b32 vcc_lo, exec_lo, s37
	s_cbranch_vccnz .LBB521_12
; %bb.4:
	v_mov_b32_e32 v0, 0
	s_add_i32 s42, s36, 1
	s_cmp_eq_u32 s29, 2
	s_cbranch_scc1 .LBB521_8
; %bb.5:
	v_dual_mov_b32 v1, 0 :: v_dual_mov_b32 v0, 0
	v_mov_b32_e32 v2, v6
	s_and_b32 s39, s42, 28
	s_mov_b32 s43, 0
	s_mov_b64 s[2:3], s[24:25]
	s_mov_b64 s[26:27], s[20:21]
.LBB521_6:                              ; =>This Inner Loop Header: Depth=1
	s_clause 0x1
	s_load_b256 s[44:51], s[26:27], 0x4
	s_load_b128 s[60:63], s[26:27], 0x24
	s_load_b256 s[52:59], s[2:3], 0x0
	s_add_u32 s26, s26, 48
	s_addc_u32 s27, s27, 0
	s_add_i32 s43, s43, 4
	s_add_u32 s2, s2, 32
	s_addc_u32 s3, s3, 0
	s_cmp_lg_u32 s39, s43
	s_waitcnt lgkmcnt(0)
	v_mul_hi_u32 v3, s45, v2
	s_delay_alu instid0(VALU_DEP_1) | instskip(NEXT) | instid1(VALU_DEP_1)
	v_add_nc_u32_e32 v3, v2, v3
	v_lshrrev_b32_e32 v3, s46, v3
	s_delay_alu instid0(VALU_DEP_1) | instskip(SKIP_1) | instid1(VALU_DEP_2)
	v_mul_hi_u32 v4, s48, v3
	v_mul_lo_u32 v8, v3, s44
	v_add_nc_u32_e32 v4, v3, v4
	s_delay_alu instid0(VALU_DEP_2) | instskip(NEXT) | instid1(VALU_DEP_2)
	v_sub_nc_u32_e32 v2, v2, v8
	v_lshrrev_b32_e32 v4, s49, v4
	s_delay_alu instid0(VALU_DEP_2) | instskip(SKIP_1) | instid1(VALU_DEP_3)
	v_mul_lo_u32 v8, v2, s52
	v_mul_lo_u32 v10, v2, s53
	v_mul_hi_u32 v7, s51, v4
	s_delay_alu instid0(VALU_DEP_1) | instskip(NEXT) | instid1(VALU_DEP_1)
	v_add_nc_u32_e32 v7, v4, v7
	v_lshrrev_b32_e32 v7, s60, v7
	s_delay_alu instid0(VALU_DEP_1) | instskip(SKIP_1) | instid1(VALU_DEP_2)
	v_mul_hi_u32 v9, s62, v7
	v_mul_lo_u32 v11, v7, s50
	v_add_nc_u32_e32 v2, v7, v9
	v_mul_lo_u32 v9, v4, s47
	s_delay_alu instid0(VALU_DEP_3) | instskip(NEXT) | instid1(VALU_DEP_3)
	v_sub_nc_u32_e32 v4, v4, v11
	v_lshrrev_b32_e32 v2, s63, v2
	s_delay_alu instid0(VALU_DEP_2) | instskip(SKIP_2) | instid1(VALU_DEP_4)
	v_mul_lo_u32 v11, v4, s56
	v_mul_lo_u32 v4, v4, s57
	v_sub_nc_u32_e32 v3, v3, v9
	v_mul_lo_u32 v12, v2, s61
	s_delay_alu instid0(VALU_DEP_2) | instskip(SKIP_1) | instid1(VALU_DEP_3)
	v_mul_lo_u32 v9, v3, s54
	v_mul_lo_u32 v3, v3, s55
	v_sub_nc_u32_e32 v7, v7, v12
	s_delay_alu instid0(VALU_DEP_3) | instskip(NEXT) | instid1(VALU_DEP_2)
	v_add3_u32 v0, v8, v0, v9
	v_mul_lo_u32 v12, v7, s58
	v_mul_lo_u32 v7, v7, s59
	v_add3_u32 v1, v10, v1, v3
	s_delay_alu instid0(VALU_DEP_3) | instskip(NEXT) | instid1(VALU_DEP_2)
	v_add3_u32 v0, v11, v0, v12
	v_add3_u32 v1, v4, v1, v7
	s_cbranch_scc1 .LBB521_6
	s_branch .LBB521_9
.LBB521_7:
	s_mov_b32 s38, -1
                                        ; implicit-def: $vgpr0
                                        ; implicit-def: $vgpr1
	s_branch .LBB521_12
.LBB521_8:
	v_dual_mov_b32 v2, v6 :: v_dual_mov_b32 v1, 0
.LBB521_9:
	s_and_b32 s42, s42, 3
	s_delay_alu instid0(SALU_CYCLE_1)
	s_cmp_eq_u32 s42, 0
	s_cbranch_scc1 .LBB521_12
; %bb.10:
	s_lshl_b32 s2, s39, 3
	s_mul_i32 s26, s39, 12
	s_add_u32 s2, s2, s20
	s_addc_u32 s3, s21, 0
	s_add_u32 s2, s2, 0xc4
	s_addc_u32 s3, s3, 0
	;; [unrolled: 2-line block ×3, first 2 shown]
	.p2align	6
.LBB521_11:                             ; =>This Inner Loop Header: Depth=1
	s_clause 0x1
	s_load_b64 s[44:45], s[26:27], 0x4
	s_load_b32 s39, s[26:27], 0xc
	s_load_b64 s[46:47], s[2:3], 0x0
	s_add_u32 s26, s26, 12
	s_addc_u32 s27, s27, 0
	s_add_u32 s2, s2, 8
	s_addc_u32 s3, s3, 0
	s_add_i32 s42, s42, -1
	s_delay_alu instid0(SALU_CYCLE_1) | instskip(SKIP_2) | instid1(VALU_DEP_1)
	s_cmp_lg_u32 s42, 0
	s_waitcnt lgkmcnt(0)
	v_mul_hi_u32 v3, s45, v2
	v_add_nc_u32_e32 v3, v2, v3
	s_delay_alu instid0(VALU_DEP_1) | instskip(NEXT) | instid1(VALU_DEP_1)
	v_lshrrev_b32_e32 v9, s39, v3
	v_mul_lo_u32 v3, v9, s44
	s_delay_alu instid0(VALU_DEP_1) | instskip(NEXT) | instid1(VALU_DEP_1)
	v_sub_nc_u32_e32 v2, v2, v3
	v_mad_u64_u32 v[3:4], null, v2, s46, v[0:1]
	v_mad_u64_u32 v[7:8], null, v2, s47, v[1:2]
	v_mov_b32_e32 v2, v9
	s_delay_alu instid0(VALU_DEP_3) | instskip(NEXT) | instid1(VALU_DEP_3)
	v_mov_b32_e32 v0, v3
	v_mov_b32_e32 v1, v7
	s_cbranch_scc1 .LBB521_11
.LBB521_12:
	s_and_not1_b32 vcc_lo, exec_lo, s38
	s_cbranch_vccnz .LBB521_15
; %bb.13:
	v_mul_hi_u32 v0, s17, v6
	s_and_not1_b32 vcc_lo, exec_lo, s11
	s_delay_alu instid0(VALU_DEP_1) | instskip(NEXT) | instid1(VALU_DEP_1)
	v_add_nc_u32_e32 v0, v6, v0
	v_lshrrev_b32_e32 v2, s18, v0
	s_delay_alu instid0(VALU_DEP_1) | instskip(NEXT) | instid1(VALU_DEP_1)
	v_mul_lo_u32 v0, v2, s16
	v_sub_nc_u32_e32 v1, v6, v0
	s_delay_alu instid0(VALU_DEP_1)
	v_mul_lo_u32 v0, v1, s12
	v_mul_lo_u32 v1, v1, s13
	s_cbranch_vccnz .LBB521_15
; %bb.14:
	v_mul_hi_u32 v3, s22, v2
	s_delay_alu instid0(VALU_DEP_1) | instskip(NEXT) | instid1(VALU_DEP_1)
	v_add_nc_u32_e32 v3, v2, v3
	v_lshrrev_b32_e32 v3, s23, v3
	s_delay_alu instid0(VALU_DEP_1) | instskip(NEXT) | instid1(VALU_DEP_1)
	v_mul_lo_u32 v3, v3, s19
	v_sub_nc_u32_e32 v7, v2, v3
	s_delay_alu instid0(VALU_DEP_1) | instskip(NEXT) | instid1(VALU_DEP_1)
	v_mad_u64_u32 v[2:3], null, v7, s14, v[0:1]
	v_mad_u64_u32 v[3:4], null, v7, s15, v[1:2]
	s_delay_alu instid0(VALU_DEP_1)
	v_dual_mov_b32 v0, v2 :: v_dual_mov_b32 v1, v3
.LBB521_15:
	v_cmp_gt_i16_e32 vcc_lo, 11, v5
	s_delay_alu instid0(VALU_DEP_2) | instskip(NEXT) | instid1(VALU_DEP_1)
	v_add_co_u32 v1, s2, s6, v1
	v_add_co_ci_u32_e64 v2, null, s7, 0, s2
	s_mov_b32 s3, 0
	s_cbranch_vccnz .LBB521_22
; %bb.16:
	v_cmp_lt_i16_e32 vcc_lo, 25, v5
	s_cbranch_vccz .LBB521_145
; %bb.17:
	v_cmp_lt_i16_e32 vcc_lo, 28, v5
	s_cbranch_vccz .LBB521_146
	;; [unrolled: 3-line block ×4, first 2 shown]
; %bb.20:
	v_cmp_eq_u16_e32 vcc_lo, 46, v5
	s_mov_b32 s26, 0
	s_cbranch_vccz .LBB521_149
; %bb.21:
	global_load_b32 v3, v[1:2], off
	s_mov_b32 s2, -1
	s_waitcnt vmcnt(0)
	v_lshlrev_b32_e32 v3, 16, v3
	s_branch .LBB521_151
.LBB521_22:
	s_mov_b32 s2, 0
                                        ; implicit-def: $vgpr3
	s_cbranch_execnz .LBB521_217
.LBB521_23:
	s_and_not1_b32 vcc_lo, exec_lo, s2
	s_cbranch_vccnz .LBB521_264
.LBB521_24:
	v_mov_b32_e32 v1, s8
	s_mov_b32 s2, exec_lo
	s_waitcnt vmcnt(0)
	s_delay_alu instid0(VALU_DEP_2)
	v_cmpx_o_f32_e32 v3, v3
	s_cbranch_execz .LBB521_28
; %bb.25:
	v_mov_b32_e32 v1, s9
	s_mov_b32 s26, exec_lo
	v_cmpx_neq_f32_e32 0x7f800000, v3
; %bb.26:
	v_cmp_eq_f32_e32 vcc_lo, 0xff800000, v3
	v_cndmask_b32_e64 v1, v3, s10, vcc_lo
; %bb.27:
	s_or_b32 exec_lo, exec_lo, s26
.LBB521_28:
	s_delay_alu instid0(SALU_CYCLE_1) | instskip(SKIP_2) | instid1(VALU_DEP_1)
	s_or_b32 exec_lo, exec_lo, s2
	v_and_b32_e64 v7, 0xff, s34
	v_add_co_u32 v3, s26, s4, v0
	v_add_co_ci_u32_e64 v4, null, s5, 0, s26
	s_delay_alu instid0(VALU_DEP_3)
	v_cmp_gt_i16_e32 vcc_lo, 11, v7
	s_mov_b32 s2, 0
	s_mov_b32 s27, -1
	s_mov_b32 s26, 0
	s_cbranch_vccnz .LBB521_105
; %bb.29:
	v_cmp_lt_i16_e32 vcc_lo, 25, v7
	s_cbranch_vccz .LBB521_62
; %bb.30:
	v_cmp_lt_i16_e32 vcc_lo, 28, v7
	s_cbranch_vccz .LBB521_45
	;; [unrolled: 3-line block ×4, first 2 shown]
; %bb.33:
	v_cmp_eq_u16_e32 vcc_lo, 46, v7
	s_mov_b32 s27, 0
	s_mov_b32 s2, -1
	s_cbranch_vccz .LBB521_35
; %bb.34:
	v_bfe_u32 v0, v1, 16, 1
	v_cmp_o_f32_e32 vcc_lo, v1, v1
	s_mov_b32 s26, -1
	s_mov_b32 s2, 0
	s_delay_alu instid0(VALU_DEP_2) | instskip(NEXT) | instid1(VALU_DEP_1)
	v_add3_u32 v0, v1, v0, 0x7fff
	v_lshrrev_b32_e32 v0, 16, v0
	s_delay_alu instid0(VALU_DEP_1)
	v_cndmask_b32_e32 v0, 0x7fc0, v0, vcc_lo
	global_store_b32 v[3:4], v0, off
.LBB521_35:
	s_and_b32 vcc_lo, exec_lo, s27
	s_cbranch_vccz .LBB521_40
; %bb.36:
	v_cmp_eq_u16_e32 vcc_lo, 44, v7
	s_mov_b32 s2, -1
	s_cbranch_vccz .LBB521_40
; %bb.37:
	v_bfe_u32 v2, v1, 23, 8
	v_mov_b32_e32 v0, 0xff
	s_mov_b32 s26, exec_lo
	s_delay_alu instid0(VALU_DEP_2)
	v_cmpx_ne_u32_e32 0xff, v2
; %bb.38:
	v_and_b32_e32 v0, 0x400000, v1
	v_and_or_b32 v2, 0x3fffff, v1, v2
	s_delay_alu instid0(VALU_DEP_2) | instskip(NEXT) | instid1(VALU_DEP_2)
	v_cmp_ne_u32_e32 vcc_lo, 0, v0
	v_cmp_ne_u32_e64 s2, 0, v2
	v_lshrrev_b32_e32 v0, 23, v1
	s_delay_alu instid0(VALU_DEP_2) | instskip(NEXT) | instid1(SALU_CYCLE_1)
	s_and_b32 s2, vcc_lo, s2
	v_cndmask_b32_e64 v2, 0, 1, s2
	s_delay_alu instid0(VALU_DEP_1)
	v_add_nc_u32_e32 v0, v0, v2
; %bb.39:
	s_or_b32 exec_lo, exec_lo, s26
	s_mov_b32 s26, -1
	s_mov_b32 s2, 0
	global_store_b8 v[3:4], v0, off
.LBB521_40:
	s_mov_b32 s27, 0
.LBB521_41:
	s_delay_alu instid0(SALU_CYCLE_1)
	s_and_b32 vcc_lo, exec_lo, s27
	s_cbranch_vccz .LBB521_44
; %bb.42:
	v_cmp_eq_u16_e32 vcc_lo, 29, v7
	s_mov_b32 s2, -1
	s_cbranch_vccz .LBB521_44
; %bb.43:
	v_trunc_f32_e32 v0, v1
	s_mov_b32 s26, -1
	s_mov_b32 s2, 0
	s_delay_alu instid0(VALU_DEP_1) | instskip(NEXT) | instid1(VALU_DEP_1)
	v_mul_f32_e32 v2, 0x2f800000, v0
	v_floor_f32_e32 v2, v2
	s_delay_alu instid0(VALU_DEP_1) | instskip(SKIP_1) | instid1(VALU_DEP_2)
	v_fmamk_f32 v0, v2, 0xcf800000, v0
	v_cvt_u32_f32_e32 v9, v2
	v_cvt_u32_f32_e32 v8, v0
	global_store_b64 v[3:4], v[8:9], off
.LBB521_44:
	s_mov_b32 s27, 0
.LBB521_45:
	s_delay_alu instid0(SALU_CYCLE_1)
	s_and_b32 vcc_lo, exec_lo, s27
	s_cbranch_vccz .LBB521_61
; %bb.46:
	v_cmp_gt_i16_e32 vcc_lo, 27, v7
	s_mov_b32 s26, -1
	s_cbranch_vccnz .LBB521_52
; %bb.47:
	v_cmp_lt_i16_e32 vcc_lo, 27, v7
	s_cbranch_vccz .LBB521_49
; %bb.48:
	v_cvt_u32_f32_e32 v0, v1
	s_mov_b32 s26, 0
	global_store_b32 v[3:4], v0, off
.LBB521_49:
	s_and_not1_b32 vcc_lo, exec_lo, s26
	s_cbranch_vccnz .LBB521_51
; %bb.50:
	v_cvt_u32_f32_e32 v0, v1
	global_store_b16 v[3:4], v0, off
.LBB521_51:
	s_mov_b32 s26, 0
.LBB521_52:
	s_delay_alu instid0(SALU_CYCLE_1)
	s_and_not1_b32 vcc_lo, exec_lo, s26
	s_cbranch_vccnz .LBB521_60
; %bb.53:
	v_and_b32_e32 v0, 0x7fffffff, v1
	v_mov_b32_e32 v2, 0x80
	s_mov_b32 s26, exec_lo
	s_delay_alu instid0(VALU_DEP_2)
	v_cmpx_gt_u32_e32 0x43800000, v0
	s_cbranch_execz .LBB521_59
; %bb.54:
	v_cmp_lt_u32_e32 vcc_lo, 0x3bffffff, v0
	s_mov_b32 s27, 0
                                        ; implicit-def: $vgpr0
	s_and_saveexec_b32 s38, vcc_lo
	s_delay_alu instid0(SALU_CYCLE_1)
	s_xor_b32 s38, exec_lo, s38
	s_cbranch_execz .LBB521_154
; %bb.55:
	v_bfe_u32 v0, v1, 20, 1
	s_mov_b32 s27, exec_lo
	s_delay_alu instid0(VALU_DEP_1) | instskip(NEXT) | instid1(VALU_DEP_1)
	v_add3_u32 v0, v1, v0, 0x487ffff
	v_lshrrev_b32_e32 v0, 20, v0
	s_or_saveexec_b32 s38, s38
                                        ; implicit-def: $sgpr39
	s_delay_alu instid0(SALU_CYCLE_1)
	s_xor_b32 exec_lo, exec_lo, s38
	s_cbranch_execnz .LBB521_155
.LBB521_56:
	s_or_b32 exec_lo, exec_lo, s38
	v_mov_b32_e32 v2, s39
	s_and_saveexec_b32 s38, s27
.LBB521_57:
	v_lshrrev_b32_e32 v2, 24, v1
	s_delay_alu instid0(VALU_DEP_1)
	v_and_or_b32 v2, 0x80, v2, v0
.LBB521_58:
	s_or_b32 exec_lo, exec_lo, s38
.LBB521_59:
	s_delay_alu instid0(SALU_CYCLE_1)
	s_or_b32 exec_lo, exec_lo, s26
	global_store_b8 v[3:4], v2, off
.LBB521_60:
	s_mov_b32 s26, -1
.LBB521_61:
	s_mov_b32 s27, 0
.LBB521_62:
	s_delay_alu instid0(SALU_CYCLE_1)
	s_and_b32 vcc_lo, exec_lo, s27
	s_cbranch_vccz .LBB521_103
; %bb.63:
	v_cmp_lt_i16_e32 vcc_lo, 22, v7
	s_mov_b32 s27, -1
	s_cbranch_vccz .LBB521_95
; %bb.64:
	v_cmp_gt_i16_e32 vcc_lo, 24, v7
	s_mov_b32 s26, -1
	s_cbranch_vccnz .LBB521_84
; %bb.65:
	v_cmp_lt_i16_e32 vcc_lo, 24, v7
	s_cbranch_vccz .LBB521_73
; %bb.66:
	v_and_b32_e32 v0, 0x7fffffff, v1
	v_mov_b32_e32 v2, 0x80
	s_mov_b32 s26, exec_lo
	s_delay_alu instid0(VALU_DEP_2)
	v_cmpx_gt_u32_e32 0x47800000, v0
	s_cbranch_execz .LBB521_72
; %bb.67:
	v_cmp_lt_u32_e32 vcc_lo, 0x37ffffff, v0
	s_mov_b32 s27, 0
                                        ; implicit-def: $vgpr0
	s_and_saveexec_b32 s38, vcc_lo
	s_delay_alu instid0(SALU_CYCLE_1)
	s_xor_b32 s38, exec_lo, s38
	s_cbranch_execz .LBB521_349
; %bb.68:
	v_bfe_u32 v0, v1, 21, 1
	s_mov_b32 s27, exec_lo
	s_delay_alu instid0(VALU_DEP_1) | instskip(NEXT) | instid1(VALU_DEP_1)
	v_add3_u32 v0, v1, v0, 0x88fffff
	v_lshrrev_b32_e32 v0, 21, v0
	s_or_saveexec_b32 s38, s38
                                        ; implicit-def: $sgpr39
	s_delay_alu instid0(SALU_CYCLE_1)
	s_xor_b32 exec_lo, exec_lo, s38
	s_cbranch_execnz .LBB521_350
.LBB521_69:
	s_or_b32 exec_lo, exec_lo, s38
	v_mov_b32_e32 v2, s39
	s_and_saveexec_b32 s38, s27
.LBB521_70:
	v_lshrrev_b32_e32 v2, 24, v1
	s_delay_alu instid0(VALU_DEP_1)
	v_and_or_b32 v2, 0x80, v2, v0
.LBB521_71:
	s_or_b32 exec_lo, exec_lo, s38
.LBB521_72:
	s_delay_alu instid0(SALU_CYCLE_1)
	s_or_b32 exec_lo, exec_lo, s26
	s_mov_b32 s26, 0
	global_store_b8 v[3:4], v2, off
.LBB521_73:
	s_and_b32 vcc_lo, exec_lo, s26
	s_cbranch_vccz .LBB521_83
; %bb.74:
	v_and_b32_e32 v2, 0x7fffffff, v1
	s_mov_b32 s26, exec_lo
                                        ; implicit-def: $vgpr0
	s_delay_alu instid0(VALU_DEP_1)
	v_cmpx_gt_u32_e32 0x43f00000, v2
	s_xor_b32 s26, exec_lo, s26
	s_cbranch_execz .LBB521_80
; %bb.75:
	s_mov_b32 s27, exec_lo
                                        ; implicit-def: $vgpr0
	v_cmpx_lt_u32_e32 0x3c7fffff, v2
	s_xor_b32 s27, exec_lo, s27
; %bb.76:
	v_bfe_u32 v0, v1, 20, 1
	s_delay_alu instid0(VALU_DEP_1) | instskip(NEXT) | instid1(VALU_DEP_1)
	v_add3_u32 v0, v1, v0, 0x407ffff
	v_and_b32_e32 v2, 0xff00000, v0
	v_lshrrev_b32_e32 v0, 20, v0
	s_delay_alu instid0(VALU_DEP_2) | instskip(NEXT) | instid1(VALU_DEP_2)
	v_cmp_ne_u32_e32 vcc_lo, 0x7f00000, v2
	v_cndmask_b32_e32 v0, 0x7e, v0, vcc_lo
; %bb.77:
	s_and_not1_saveexec_b32 s27, s27
; %bb.78:
	v_add_f32_e64 v0, 0x46800000, |v1|
; %bb.79:
	s_or_b32 exec_lo, exec_lo, s27
                                        ; implicit-def: $vgpr2
.LBB521_80:
	s_and_not1_saveexec_b32 s26, s26
; %bb.81:
	v_mov_b32_e32 v0, 0x7f
	v_cmp_lt_u32_e32 vcc_lo, 0x7f800000, v2
	s_delay_alu instid0(VALU_DEP_2)
	v_cndmask_b32_e32 v0, 0x7e, v0, vcc_lo
; %bb.82:
	s_or_b32 exec_lo, exec_lo, s26
	v_lshrrev_b32_e32 v2, 24, v1
	s_delay_alu instid0(VALU_DEP_1)
	v_and_or_b32 v0, 0x80, v2, v0
	global_store_b8 v[3:4], v0, off
.LBB521_83:
	s_mov_b32 s26, 0
.LBB521_84:
	s_delay_alu instid0(SALU_CYCLE_1)
	s_and_not1_b32 vcc_lo, exec_lo, s26
	s_cbranch_vccnz .LBB521_94
; %bb.85:
	v_and_b32_e32 v2, 0x7fffffff, v1
	s_mov_b32 s26, exec_lo
                                        ; implicit-def: $vgpr0
	s_delay_alu instid0(VALU_DEP_1)
	v_cmpx_gt_u32_e32 0x47800000, v2
	s_xor_b32 s26, exec_lo, s26
	s_cbranch_execz .LBB521_91
; %bb.86:
	s_mov_b32 s27, exec_lo
                                        ; implicit-def: $vgpr0
	v_cmpx_lt_u32_e32 0x387fffff, v2
	s_xor_b32 s27, exec_lo, s27
; %bb.87:
	v_bfe_u32 v0, v1, 21, 1
	s_delay_alu instid0(VALU_DEP_1) | instskip(NEXT) | instid1(VALU_DEP_1)
	v_add3_u32 v0, v1, v0, 0x80fffff
	v_lshrrev_b32_e32 v0, 21, v0
; %bb.88:
	s_and_not1_saveexec_b32 s27, s27
; %bb.89:
	v_add_f32_e64 v0, 0x43000000, |v1|
; %bb.90:
	s_or_b32 exec_lo, exec_lo, s27
                                        ; implicit-def: $vgpr2
.LBB521_91:
	s_and_not1_saveexec_b32 s26, s26
; %bb.92:
	v_mov_b32_e32 v0, 0x7f
	v_cmp_lt_u32_e32 vcc_lo, 0x7f800000, v2
	s_delay_alu instid0(VALU_DEP_2)
	v_cndmask_b32_e32 v0, 0x7c, v0, vcc_lo
; %bb.93:
	s_or_b32 exec_lo, exec_lo, s26
	v_lshrrev_b32_e32 v2, 24, v1
	s_delay_alu instid0(VALU_DEP_1)
	v_and_or_b32 v0, 0x80, v2, v0
	global_store_b8 v[3:4], v0, off
.LBB521_94:
	s_mov_b32 s27, 0
	s_mov_b32 s26, -1
.LBB521_95:
	s_and_not1_b32 vcc_lo, exec_lo, s27
	s_cbranch_vccnz .LBB521_103
; %bb.96:
	v_cmp_lt_i16_e32 vcc_lo, 14, v7
	s_mov_b32 s27, -1
	s_cbranch_vccz .LBB521_100
; %bb.97:
	v_cmp_eq_u16_e32 vcc_lo, 15, v7
	s_mov_b32 s2, -1
	s_cbranch_vccz .LBB521_99
; %bb.98:
	v_bfe_u32 v0, v1, 16, 1
	v_cmp_o_f32_e32 vcc_lo, v1, v1
	s_mov_b32 s26, -1
	s_mov_b32 s2, 0
	s_delay_alu instid0(VALU_DEP_2) | instskip(NEXT) | instid1(VALU_DEP_1)
	v_add3_u32 v0, v1, v0, 0x7fff
	v_lshrrev_b32_e32 v0, 16, v0
	s_delay_alu instid0(VALU_DEP_1)
	v_cndmask_b32_e32 v0, 0x7fc0, v0, vcc_lo
	global_store_b16 v[3:4], v0, off
.LBB521_99:
	s_mov_b32 s27, 0
.LBB521_100:
	s_delay_alu instid0(SALU_CYCLE_1)
	s_and_b32 vcc_lo, exec_lo, s27
	s_cbranch_vccz .LBB521_103
; %bb.101:
	v_cmp_eq_u16_e32 vcc_lo, 11, v7
	s_mov_b32 s2, -1
	s_cbranch_vccz .LBB521_103
; %bb.102:
	v_cmp_neq_f32_e32 vcc_lo, 0, v1
	s_mov_b32 s2, 0
	s_mov_b32 s26, -1
	v_cndmask_b32_e64 v0, 0, 1, vcc_lo
	global_store_b8 v[3:4], v0, off
.LBB521_103:
.LBB521_104:
	s_and_not1_b32 vcc_lo, exec_lo, s26
	s_cbranch_vccz .LBB521_144
	s_branch .LBB521_265
.LBB521_105:
	s_and_b32 vcc_lo, exec_lo, s27
	s_cbranch_vccz .LBB521_104
; %bb.106:
	v_cmp_gt_i16_e32 vcc_lo, 5, v7
	s_mov_b32 s26, -1
	s_cbranch_vccnz .LBB521_127
; %bb.107:
	v_cmp_gt_i16_e32 vcc_lo, 8, v7
	s_cbranch_vccnz .LBB521_117
; %bb.108:
	v_cmp_gt_i16_e32 vcc_lo, 9, v7
	s_cbranch_vccnz .LBB521_114
; %bb.109:
	v_cmp_lt_i16_e32 vcc_lo, 9, v7
	s_cbranch_vccz .LBB521_111
; %bb.110:
	v_cvt_f64_f32_e32 v[8:9], v1
	v_mov_b32_e32 v10, 0
	s_mov_b32 s26, 0
	s_delay_alu instid0(VALU_DEP_1)
	v_mov_b32_e32 v11, v10
	global_store_b128 v[3:4], v[8:11], off
.LBB521_111:
	s_and_not1_b32 vcc_lo, exec_lo, s26
	s_cbranch_vccnz .LBB521_113
; %bb.112:
	v_mov_b32_e32 v2, 0
	global_store_b64 v[3:4], v[1:2], off
.LBB521_113:
	s_mov_b32 s26, 0
.LBB521_114:
	s_delay_alu instid0(SALU_CYCLE_1)
	s_and_not1_b32 vcc_lo, exec_lo, s26
	s_cbranch_vccnz .LBB521_116
; %bb.115:
	v_cvt_f16_f32_e32 v0, v1
	s_delay_alu instid0(VALU_DEP_1)
	v_and_b32_e32 v0, 0xffff, v0
	global_store_b32 v[3:4], v0, off
.LBB521_116:
	s_mov_b32 s26, 0
.LBB521_117:
	s_delay_alu instid0(SALU_CYCLE_1)
	s_and_not1_b32 vcc_lo, exec_lo, s26
	s_cbranch_vccnz .LBB521_126
; %bb.118:
	v_cmp_gt_i16_e32 vcc_lo, 6, v7
	s_mov_b32 s26, -1
	s_cbranch_vccnz .LBB521_124
; %bb.119:
	v_cmp_lt_i16_e32 vcc_lo, 6, v7
	s_cbranch_vccz .LBB521_121
; %bb.120:
	v_cvt_f64_f32_e32 v[8:9], v1
	s_mov_b32 s26, 0
	global_store_b64 v[3:4], v[8:9], off
.LBB521_121:
	s_and_not1_b32 vcc_lo, exec_lo, s26
	s_cbranch_vccnz .LBB521_123
; %bb.122:
	global_store_b32 v[3:4], v1, off
.LBB521_123:
	s_mov_b32 s26, 0
.LBB521_124:
	s_delay_alu instid0(SALU_CYCLE_1)
	s_and_not1_b32 vcc_lo, exec_lo, s26
	s_cbranch_vccnz .LBB521_126
; %bb.125:
	v_cvt_f16_f32_e32 v0, v1
	global_store_b16 v[3:4], v0, off
.LBB521_126:
	s_mov_b32 s26, 0
.LBB521_127:
	s_delay_alu instid0(SALU_CYCLE_1)
	s_and_not1_b32 vcc_lo, exec_lo, s26
	s_cbranch_vccnz .LBB521_143
; %bb.128:
	v_cmp_gt_i16_e32 vcc_lo, 2, v7
	s_mov_b32 s26, -1
	s_cbranch_vccnz .LBB521_138
; %bb.129:
	v_cmp_gt_i16_e32 vcc_lo, 3, v7
	s_cbranch_vccnz .LBB521_135
; %bb.130:
	v_cmp_lt_i16_e32 vcc_lo, 3, v7
	s_cbranch_vccz .LBB521_132
; %bb.131:
	v_trunc_f32_e32 v0, v1
	s_mov_b32 s26, 0
	s_delay_alu instid0(VALU_DEP_1) | instskip(NEXT) | instid1(VALU_DEP_1)
	v_mul_f32_e64 v2, 0x2f800000, |v0|
	v_floor_f32_e32 v2, v2
	s_delay_alu instid0(VALU_DEP_1) | instskip(SKIP_2) | instid1(VALU_DEP_3)
	v_fma_f32 v8, 0xcf800000, v2, |v0|
	v_ashrrev_i32_e32 v0, 31, v0
	v_cvt_u32_f32_e32 v2, v2
	v_cvt_u32_f32_e32 v8, v8
	s_delay_alu instid0(VALU_DEP_2) | instskip(NEXT) | instid1(VALU_DEP_2)
	v_xor_b32_e32 v2, v2, v0
	v_xor_b32_e32 v8, v8, v0
	s_delay_alu instid0(VALU_DEP_1) | instskip(NEXT) | instid1(VALU_DEP_3)
	v_sub_co_u32 v8, vcc_lo, v8, v0
	v_sub_co_ci_u32_e32 v9, vcc_lo, v2, v0, vcc_lo
	global_store_b64 v[3:4], v[8:9], off
.LBB521_132:
	s_and_not1_b32 vcc_lo, exec_lo, s26
	s_cbranch_vccnz .LBB521_134
; %bb.133:
	v_cvt_i32_f32_e32 v0, v1
	global_store_b32 v[3:4], v0, off
.LBB521_134:
	s_mov_b32 s26, 0
.LBB521_135:
	s_delay_alu instid0(SALU_CYCLE_1)
	s_and_not1_b32 vcc_lo, exec_lo, s26
	s_cbranch_vccnz .LBB521_137
; %bb.136:
	v_cvt_i32_f32_e32 v0, v1
	global_store_b16 v[3:4], v0, off
.LBB521_137:
	s_mov_b32 s26, 0
.LBB521_138:
	s_delay_alu instid0(SALU_CYCLE_1)
	s_and_not1_b32 vcc_lo, exec_lo, s26
	s_cbranch_vccnz .LBB521_143
; %bb.139:
	v_cmp_lt_i16_e32 vcc_lo, 0, v7
	s_mov_b32 s26, -1
	s_cbranch_vccz .LBB521_141
; %bb.140:
	v_cvt_i32_f32_e32 v0, v1
	s_mov_b32 s26, 0
	global_store_b8 v[3:4], v0, off
.LBB521_141:
	s_and_not1_b32 vcc_lo, exec_lo, s26
	s_cbranch_vccnz .LBB521_143
; %bb.142:
	v_trunc_f32_e32 v0, v1
	s_delay_alu instid0(VALU_DEP_1) | instskip(NEXT) | instid1(VALU_DEP_1)
	v_mul_f32_e64 v1, 0x2f800000, |v0|
	v_floor_f32_e32 v1, v1
	s_delay_alu instid0(VALU_DEP_1) | instskip(SKIP_1) | instid1(VALU_DEP_2)
	v_fma_f32 v1, 0xcf800000, v1, |v0|
	v_ashrrev_i32_e32 v0, 31, v0
	v_cvt_u32_f32_e32 v1, v1
	s_delay_alu instid0(VALU_DEP_1) | instskip(NEXT) | instid1(VALU_DEP_1)
	v_xor_b32_e32 v1, v1, v0
	v_sub_nc_u32_e32 v0, v1, v0
	global_store_b8 v[3:4], v0, off
.LBB521_143:
.LBB521_144:
	v_add_nc_u32_e32 v6, 0x80, v6
	s_mov_b32 s26, -1
	s_branch .LBB521_266
.LBB521_145:
	s_mov_b32 s2, 0
                                        ; implicit-def: $vgpr3
	s_cbranch_execnz .LBB521_182
	s_branch .LBB521_216
.LBB521_146:
	s_mov_b32 s26, -1
	s_mov_b32 s2, 0
                                        ; implicit-def: $vgpr3
	s_branch .LBB521_163
.LBB521_147:
	s_mov_b32 s26, -1
	s_mov_b32 s2, 0
                                        ; implicit-def: $vgpr3
	s_branch .LBB521_158
.LBB521_148:
	s_mov_b32 s26, -1
	s_branch .LBB521_150
.LBB521_149:
	s_mov_b32 s3, -1
.LBB521_150:
	s_mov_b32 s2, 0
                                        ; implicit-def: $vgpr3
.LBB521_151:
	s_and_b32 vcc_lo, exec_lo, s26
	s_cbranch_vccz .LBB521_157
; %bb.152:
	v_cmp_eq_u16_e32 vcc_lo, 44, v5
	s_cbranch_vccz .LBB521_156
; %bb.153:
	global_load_u8 v3, v[1:2], off
	s_mov_b32 s3, 0
	s_mov_b32 s2, -1
	s_waitcnt vmcnt(0)
	v_lshlrev_b32_e32 v4, 23, v3
	v_cmp_ne_u32_e32 vcc_lo, 0xff, v3
	s_delay_alu instid0(VALU_DEP_2) | instskip(SKIP_1) | instid1(VALU_DEP_2)
	v_cndmask_b32_e32 v4, 0x7f800001, v4, vcc_lo
	v_cmp_ne_u32_e32 vcc_lo, 0, v3
	v_cndmask_b32_e32 v3, 0x400000, v4, vcc_lo
	s_branch .LBB521_157
.LBB521_154:
	s_or_saveexec_b32 s38, s38
                                        ; implicit-def: $sgpr39
	s_delay_alu instid0(SALU_CYCLE_1)
	s_xor_b32 exec_lo, exec_lo, s38
	s_cbranch_execz .LBB521_56
.LBB521_155:
	v_add_f32_e64 v0, 0x46000000, |v1|
	s_and_not1_b32 s27, s27, exec_lo
	s_mov_b32 s39, 0
	s_delay_alu instid0(VALU_DEP_1) | instskip(NEXT) | instid1(VALU_DEP_1)
	v_and_b32_e32 v0, 0xff, v0
	v_cmp_ne_u32_e32 vcc_lo, 0, v0
	s_and_b32 s42, vcc_lo, exec_lo
	s_delay_alu instid0(SALU_CYCLE_1)
	s_or_b32 s27, s27, s42
	s_or_b32 exec_lo, exec_lo, s38
	v_mov_b32_e32 v2, s39
	s_and_saveexec_b32 s38, s27
	s_cbranch_execnz .LBB521_57
	s_branch .LBB521_58
.LBB521_156:
	s_mov_b32 s3, -1
                                        ; implicit-def: $vgpr3
.LBB521_157:
	s_mov_b32 s26, 0
.LBB521_158:
	s_delay_alu instid0(SALU_CYCLE_1)
	s_and_b32 vcc_lo, exec_lo, s26
	s_cbranch_vccz .LBB521_162
; %bb.159:
	v_cmp_eq_u16_e32 vcc_lo, 29, v5
	s_cbranch_vccz .LBB521_161
; %bb.160:
	global_load_b64 v[3:4], v[1:2], off
	s_mov_b32 s2, -1
	s_mov_b32 s3, 0
	s_mov_b32 s26, 0
	s_waitcnt vmcnt(0)
	v_clz_i32_u32_e32 v7, v4
	s_delay_alu instid0(VALU_DEP_1) | instskip(NEXT) | instid1(VALU_DEP_1)
	v_min_u32_e32 v7, 32, v7
	v_lshlrev_b64 v[3:4], v7, v[3:4]
	s_delay_alu instid0(VALU_DEP_1) | instskip(NEXT) | instid1(VALU_DEP_1)
	v_min_u32_e32 v3, 1, v3
	v_or_b32_e32 v3, v4, v3
	v_sub_nc_u32_e32 v4, 32, v7
	s_delay_alu instid0(VALU_DEP_2) | instskip(NEXT) | instid1(VALU_DEP_1)
	v_cvt_f32_u32_e32 v3, v3
	v_ldexp_f32 v3, v3, v4
	s_branch .LBB521_163
.LBB521_161:
	s_mov_b32 s3, -1
                                        ; implicit-def: $vgpr3
.LBB521_162:
	s_mov_b32 s26, 0
.LBB521_163:
	s_delay_alu instid0(SALU_CYCLE_1)
	s_and_b32 vcc_lo, exec_lo, s26
	s_cbranch_vccz .LBB521_181
; %bb.164:
	v_cmp_gt_i16_e32 vcc_lo, 27, v5
	s_cbranch_vccnz .LBB521_167
; %bb.165:
	v_cmp_lt_i16_e32 vcc_lo, 27, v5
	s_cbranch_vccz .LBB521_168
; %bb.166:
	global_load_b32 v3, v[1:2], off
	s_mov_b32 s2, 0
	s_waitcnt vmcnt(0)
	v_cvt_f32_u32_e32 v3, v3
	s_branch .LBB521_169
.LBB521_167:
	s_mov_b32 s2, -1
                                        ; implicit-def: $vgpr3
	s_branch .LBB521_172
.LBB521_168:
	s_mov_b32 s2, -1
                                        ; implicit-def: $vgpr3
.LBB521_169:
	s_delay_alu instid0(SALU_CYCLE_1)
	s_and_not1_b32 vcc_lo, exec_lo, s2
	s_cbranch_vccnz .LBB521_171
; %bb.170:
	global_load_u16 v3, v[1:2], off
	s_waitcnt vmcnt(0)
	v_cvt_f32_u32_e32 v3, v3
.LBB521_171:
	s_mov_b32 s2, 0
.LBB521_172:
	s_delay_alu instid0(SALU_CYCLE_1)
	s_and_not1_b32 vcc_lo, exec_lo, s2
	s_cbranch_vccnz .LBB521_180
; %bb.173:
	global_load_u8 v4, v[1:2], off
	s_mov_b32 s2, 0
	s_mov_b32 s27, exec_lo
                                        ; implicit-def: $sgpr26
	s_waitcnt vmcnt(0)
	v_cmpx_lt_i16_e32 0x7f, v4
	s_xor_b32 s27, exec_lo, s27
	s_cbranch_execz .LBB521_193
; %bb.174:
	s_mov_b32 s2, -1
	s_mov_b32 s38, exec_lo
                                        ; implicit-def: $sgpr26
	v_cmpx_eq_u16_e32 0x80, v4
; %bb.175:
	s_mov_b32 s26, 0x7f800001
	s_xor_b32 s2, exec_lo, -1
; %bb.176:
	s_or_b32 exec_lo, exec_lo, s38
	s_delay_alu instid0(SALU_CYCLE_1)
	s_and_b32 s2, s2, exec_lo
	s_or_saveexec_b32 s27, s27
	v_mov_b32_e32 v3, s26
	s_xor_b32 exec_lo, exec_lo, s27
	s_cbranch_execnz .LBB521_194
.LBB521_177:
	s_or_b32 exec_lo, exec_lo, s27
	s_and_saveexec_b32 s26, s2
	s_cbranch_execz .LBB521_179
.LBB521_178:
	v_and_b32_e32 v3, 0xffff, v4
	s_delay_alu instid0(VALU_DEP_1) | instskip(NEXT) | instid1(VALU_DEP_1)
	v_and_b32_e32 v7, 7, v3
	v_clz_i32_u32_e32 v8, v7
	s_delay_alu instid0(VALU_DEP_1) | instskip(NEXT) | instid1(VALU_DEP_1)
	v_min_u32_e32 v8, 32, v8
	v_subrev_nc_u32_e32 v9, 28, v8
	v_sub_nc_u32_e32 v8, 29, v8
	s_delay_alu instid0(VALU_DEP_2) | instskip(SKIP_1) | instid1(VALU_DEP_2)
	v_lshlrev_b32_e32 v9, v9, v3
	v_bfe_u32 v3, v3, 3, 4
	v_and_b32_e32 v9, 7, v9
	s_delay_alu instid0(VALU_DEP_2) | instskip(NEXT) | instid1(VALU_DEP_2)
	v_cmp_eq_u32_e32 vcc_lo, 0, v3
	v_dual_cndmask_b32 v7, v7, v9 :: v_dual_lshlrev_b32 v4, 24, v4
	v_cndmask_b32_e32 v3, v3, v8, vcc_lo
	s_delay_alu instid0(VALU_DEP_2) | instskip(NEXT) | instid1(VALU_DEP_3)
	v_and_b32_e32 v4, 0x80000000, v4
	v_lshlrev_b32_e32 v7, 20, v7
	s_delay_alu instid0(VALU_DEP_3) | instskip(NEXT) | instid1(VALU_DEP_1)
	v_lshl_add_u32 v3, v3, 23, 0x3b800000
	v_or3_b32 v3, v4, v3, v7
.LBB521_179:
	s_or_b32 exec_lo, exec_lo, s26
.LBB521_180:
	s_mov_b32 s2, -1
.LBB521_181:
	s_branch .LBB521_216
.LBB521_182:
	v_cmp_lt_i16_e32 vcc_lo, 22, v5
	s_cbranch_vccz .LBB521_192
; %bb.183:
	v_cmp_gt_i16_e32 vcc_lo, 24, v5
	s_cbranch_vccnz .LBB521_195
; %bb.184:
	v_cmp_lt_i16_e32 vcc_lo, 24, v5
	s_cbranch_vccz .LBB521_196
; %bb.185:
	global_load_u8 v4, v[1:2], off
	s_mov_b32 s2, 0
	s_mov_b32 s27, exec_lo
                                        ; implicit-def: $sgpr26
	s_waitcnt vmcnt(0)
	v_cmpx_lt_i16_e32 0x7f, v4
	s_xor_b32 s27, exec_lo, s27
	s_cbranch_execz .LBB521_208
; %bb.186:
	s_mov_b32 s2, -1
	s_mov_b32 s38, exec_lo
                                        ; implicit-def: $sgpr26
	v_cmpx_eq_u16_e32 0x80, v4
; %bb.187:
	s_mov_b32 s26, 0x7f800001
	s_xor_b32 s2, exec_lo, -1
; %bb.188:
	s_or_b32 exec_lo, exec_lo, s38
	s_delay_alu instid0(SALU_CYCLE_1)
	s_and_b32 s2, s2, exec_lo
	s_or_saveexec_b32 s27, s27
	v_mov_b32_e32 v3, s26
	s_xor_b32 exec_lo, exec_lo, s27
	s_cbranch_execnz .LBB521_209
.LBB521_189:
	s_or_b32 exec_lo, exec_lo, s27
	s_and_saveexec_b32 s26, s2
	s_cbranch_execz .LBB521_191
.LBB521_190:
	v_and_b32_e32 v3, 0xffff, v4
	s_delay_alu instid0(VALU_DEP_1) | instskip(NEXT) | instid1(VALU_DEP_1)
	v_and_b32_e32 v7, 3, v3
	v_clz_i32_u32_e32 v8, v7
	s_delay_alu instid0(VALU_DEP_1) | instskip(NEXT) | instid1(VALU_DEP_1)
	v_min_u32_e32 v8, 32, v8
	v_subrev_nc_u32_e32 v9, 29, v8
	v_sub_nc_u32_e32 v8, 30, v8
	s_delay_alu instid0(VALU_DEP_2) | instskip(SKIP_1) | instid1(VALU_DEP_2)
	v_lshlrev_b32_e32 v9, v9, v3
	v_bfe_u32 v3, v3, 2, 5
	v_and_b32_e32 v9, 3, v9
	s_delay_alu instid0(VALU_DEP_2) | instskip(NEXT) | instid1(VALU_DEP_2)
	v_cmp_eq_u32_e32 vcc_lo, 0, v3
	v_dual_cndmask_b32 v7, v7, v9 :: v_dual_lshlrev_b32 v4, 24, v4
	v_cndmask_b32_e32 v3, v3, v8, vcc_lo
	s_delay_alu instid0(VALU_DEP_2) | instskip(NEXT) | instid1(VALU_DEP_3)
	v_and_b32_e32 v4, 0x80000000, v4
	v_lshlrev_b32_e32 v7, 21, v7
	s_delay_alu instid0(VALU_DEP_3) | instskip(NEXT) | instid1(VALU_DEP_1)
	v_lshl_add_u32 v3, v3, 23, 0x37800000
	v_or3_b32 v3, v4, v3, v7
.LBB521_191:
	s_or_b32 exec_lo, exec_lo, s26
	s_mov_b32 s2, 0
	s_branch .LBB521_197
.LBB521_192:
	s_mov_b32 s26, -1
                                        ; implicit-def: $vgpr3
	s_branch .LBB521_203
.LBB521_193:
	s_or_saveexec_b32 s27, s27
	v_mov_b32_e32 v3, s26
	s_xor_b32 exec_lo, exec_lo, s27
	s_cbranch_execz .LBB521_177
.LBB521_194:
	v_cmp_ne_u16_e32 vcc_lo, 0, v4
	v_mov_b32_e32 v3, 0
	s_and_not1_b32 s2, s2, exec_lo
	s_and_b32 s26, vcc_lo, exec_lo
	s_delay_alu instid0(SALU_CYCLE_1)
	s_or_b32 s2, s2, s26
	s_or_b32 exec_lo, exec_lo, s27
	s_and_saveexec_b32 s26, s2
	s_cbranch_execnz .LBB521_178
	s_branch .LBB521_179
.LBB521_195:
	s_mov_b32 s2, -1
                                        ; implicit-def: $vgpr3
	s_branch .LBB521_200
.LBB521_196:
	s_mov_b32 s2, -1
                                        ; implicit-def: $vgpr3
.LBB521_197:
	s_delay_alu instid0(SALU_CYCLE_1)
	s_and_b32 vcc_lo, exec_lo, s2
	s_cbranch_vccz .LBB521_199
; %bb.198:
	global_load_u8 v3, v[1:2], off
	s_waitcnt vmcnt(0)
	v_lshlrev_b32_e32 v3, 24, v3
	s_delay_alu instid0(VALU_DEP_1) | instskip(NEXT) | instid1(VALU_DEP_1)
	v_and_b32_e32 v4, 0x7f000000, v3
	v_clz_i32_u32_e32 v7, v4
	v_cmp_ne_u32_e32 vcc_lo, 0, v4
	v_add_nc_u32_e32 v9, 0x1000000, v4
	s_delay_alu instid0(VALU_DEP_3) | instskip(NEXT) | instid1(VALU_DEP_1)
	v_min_u32_e32 v7, 32, v7
	v_sub_nc_u32_e64 v7, v7, 4 clamp
	s_delay_alu instid0(VALU_DEP_1) | instskip(SKIP_1) | instid1(VALU_DEP_2)
	v_lshlrev_b32_e32 v8, v7, v4
	v_lshlrev_b32_e32 v7, 23, v7
	v_lshrrev_b32_e32 v8, 4, v8
	s_delay_alu instid0(VALU_DEP_1) | instskip(SKIP_1) | instid1(VALU_DEP_2)
	v_sub_nc_u32_e32 v7, v8, v7
	v_ashrrev_i32_e32 v8, 8, v9
	v_add_nc_u32_e32 v7, 0x3c000000, v7
	s_delay_alu instid0(VALU_DEP_1) | instskip(NEXT) | instid1(VALU_DEP_1)
	v_and_or_b32 v7, 0x7f800000, v8, v7
	v_cndmask_b32_e32 v4, 0, v7, vcc_lo
	s_delay_alu instid0(VALU_DEP_1)
	v_and_or_b32 v3, 0x80000000, v3, v4
.LBB521_199:
	s_mov_b32 s2, 0
.LBB521_200:
	s_delay_alu instid0(SALU_CYCLE_1)
	s_and_not1_b32 vcc_lo, exec_lo, s2
	s_cbranch_vccnz .LBB521_202
; %bb.201:
	global_load_u8 v3, v[1:2], off
	s_waitcnt vmcnt(0)
	v_lshlrev_b32_e32 v4, 25, v3
	v_lshlrev_b16 v3, 8, v3
	s_delay_alu instid0(VALU_DEP_2) | instskip(NEXT) | instid1(VALU_DEP_2)
	v_lshrrev_b32_e32 v7, 4, v4
	v_and_or_b32 v8, 0x7f00, v3, 0.5
	v_cmp_gt_u32_e32 vcc_lo, 0x8000000, v4
	v_bfe_i32 v3, v3, 0, 16
	s_delay_alu instid0(VALU_DEP_4) | instskip(NEXT) | instid1(VALU_DEP_1)
	v_or_b32_e32 v7, 0x70000000, v7
	v_dual_add_f32 v8, -0.5, v8 :: v_dual_mul_f32 v7, 0x7800000, v7
	s_delay_alu instid0(VALU_DEP_1) | instskip(NEXT) | instid1(VALU_DEP_1)
	v_cndmask_b32_e32 v4, v7, v8, vcc_lo
	v_and_or_b32 v3, 0x80000000, v3, v4
.LBB521_202:
	s_mov_b32 s26, 0
	s_mov_b32 s2, -1
.LBB521_203:
	s_and_not1_b32 vcc_lo, exec_lo, s26
	s_cbranch_vccnz .LBB521_216
; %bb.204:
	v_cmp_lt_i16_e32 vcc_lo, 14, v5
	s_cbranch_vccz .LBB521_207
; %bb.205:
	v_cmp_eq_u16_e32 vcc_lo, 15, v5
	s_cbranch_vccz .LBB521_210
; %bb.206:
	global_load_u16 v3, v[1:2], off
	s_mov_b32 s2, -1
	s_mov_b32 s3, 0
	s_waitcnt vmcnt(0)
	v_lshlrev_b32_e32 v3, 16, v3
	s_branch .LBB521_211
.LBB521_207:
	s_mov_b32 s26, -1
                                        ; implicit-def: $vgpr3
	s_branch .LBB521_212
.LBB521_208:
	s_or_saveexec_b32 s27, s27
	v_mov_b32_e32 v3, s26
	s_xor_b32 exec_lo, exec_lo, s27
	s_cbranch_execz .LBB521_189
.LBB521_209:
	v_cmp_ne_u16_e32 vcc_lo, 0, v4
	v_mov_b32_e32 v3, 0
	s_and_not1_b32 s2, s2, exec_lo
	s_and_b32 s26, vcc_lo, exec_lo
	s_delay_alu instid0(SALU_CYCLE_1)
	s_or_b32 s2, s2, s26
	s_or_b32 exec_lo, exec_lo, s27
	s_and_saveexec_b32 s26, s2
	s_cbranch_execnz .LBB521_190
	s_branch .LBB521_191
.LBB521_210:
	s_mov_b32 s3, -1
                                        ; implicit-def: $vgpr3
.LBB521_211:
	s_mov_b32 s26, 0
.LBB521_212:
	s_delay_alu instid0(SALU_CYCLE_1)
	s_and_b32 vcc_lo, exec_lo, s26
	s_cbranch_vccz .LBB521_216
; %bb.213:
	v_cmp_eq_u16_e32 vcc_lo, 11, v5
	s_cbranch_vccz .LBB521_215
; %bb.214:
	global_load_u8 v3, v[1:2], off
	s_mov_b32 s3, 0
	s_mov_b32 s2, -1
	s_waitcnt vmcnt(0)
	v_cmp_ne_u16_e32 vcc_lo, 0, v3
	v_cndmask_b32_e64 v3, 0, 1.0, vcc_lo
	s_branch .LBB521_216
.LBB521_215:
	s_mov_b32 s3, -1
                                        ; implicit-def: $vgpr3
.LBB521_216:
	s_branch .LBB521_23
.LBB521_217:
	v_cmp_gt_i16_e32 vcc_lo, 5, v5
	s_cbranch_vccnz .LBB521_222
; %bb.218:
	v_cmp_gt_i16_e32 vcc_lo, 8, v5
	s_cbranch_vccnz .LBB521_223
; %bb.219:
	;; [unrolled: 3-line block ×3, first 2 shown]
	v_cmp_lt_i16_e32 vcc_lo, 9, v5
	s_cbranch_vccz .LBB521_225
; %bb.221:
	global_load_b64 v[3:4], v[1:2], off
	s_mov_b32 s2, 0
	s_waitcnt vmcnt(0)
	v_cvt_f32_f64_e32 v3, v[3:4]
	s_branch .LBB521_226
.LBB521_222:
                                        ; implicit-def: $vgpr3
	s_branch .LBB521_244
.LBB521_223:
	s_mov_b32 s2, -1
                                        ; implicit-def: $vgpr3
	s_branch .LBB521_232
.LBB521_224:
	s_mov_b32 s2, -1
                                        ; implicit-def: $vgpr3
	s_branch .LBB521_229
.LBB521_225:
	s_mov_b32 s2, -1
                                        ; implicit-def: $vgpr3
.LBB521_226:
	s_delay_alu instid0(SALU_CYCLE_1)
	s_and_not1_b32 vcc_lo, exec_lo, s2
	s_cbranch_vccnz .LBB521_228
; %bb.227:
	global_load_b32 v3, v[1:2], off
.LBB521_228:
	s_mov_b32 s2, 0
.LBB521_229:
	s_delay_alu instid0(SALU_CYCLE_1)
	s_and_not1_b32 vcc_lo, exec_lo, s2
	s_cbranch_vccnz .LBB521_231
; %bb.230:
	global_load_b32 v3, v[1:2], off
	s_waitcnt vmcnt(0)
	v_cvt_f32_f16_e32 v3, v3
.LBB521_231:
	s_mov_b32 s2, 0
.LBB521_232:
	s_delay_alu instid0(SALU_CYCLE_1)
	s_and_not1_b32 vcc_lo, exec_lo, s2
	s_cbranch_vccnz .LBB521_243
; %bb.233:
	v_cmp_gt_i16_e32 vcc_lo, 6, v5
	s_cbranch_vccnz .LBB521_236
; %bb.234:
	v_cmp_lt_i16_e32 vcc_lo, 6, v5
	s_cbranch_vccz .LBB521_237
; %bb.235:
	global_load_b64 v[3:4], v[1:2], off
	s_mov_b32 s2, 0
	s_waitcnt vmcnt(0)
	v_cvt_f32_f64_e32 v3, v[3:4]
	s_branch .LBB521_238
.LBB521_236:
	s_mov_b32 s2, -1
                                        ; implicit-def: $vgpr3
	s_branch .LBB521_241
.LBB521_237:
	s_mov_b32 s2, -1
                                        ; implicit-def: $vgpr3
.LBB521_238:
	s_delay_alu instid0(SALU_CYCLE_1)
	s_and_not1_b32 vcc_lo, exec_lo, s2
	s_cbranch_vccnz .LBB521_240
; %bb.239:
	global_load_b32 v3, v[1:2], off
.LBB521_240:
	s_mov_b32 s2, 0
.LBB521_241:
	s_delay_alu instid0(SALU_CYCLE_1)
	s_and_not1_b32 vcc_lo, exec_lo, s2
	s_cbranch_vccnz .LBB521_243
; %bb.242:
	global_load_u16 v3, v[1:2], off
	s_waitcnt vmcnt(0)
	v_cvt_f32_f16_e32 v3, v3
.LBB521_243:
	s_cbranch_execnz .LBB521_263
.LBB521_244:
	v_cmp_gt_i16_e32 vcc_lo, 2, v5
	s_cbranch_vccnz .LBB521_248
; %bb.245:
	v_cmp_gt_i16_e32 vcc_lo, 3, v5
	s_cbranch_vccnz .LBB521_249
; %bb.246:
	v_cmp_lt_i16_e32 vcc_lo, 3, v5
	s_cbranch_vccz .LBB521_250
; %bb.247:
	global_load_b64 v[3:4], v[1:2], off
	s_mov_b32 s2, 0
	s_waitcnt vmcnt(0)
	v_xor_b32_e32 v7, v3, v4
	v_cls_i32_e32 v8, v4
	s_delay_alu instid0(VALU_DEP_2) | instskip(NEXT) | instid1(VALU_DEP_2)
	v_ashrrev_i32_e32 v7, 31, v7
	v_add_nc_u32_e32 v8, -1, v8
	s_delay_alu instid0(VALU_DEP_2) | instskip(NEXT) | instid1(VALU_DEP_1)
	v_add_nc_u32_e32 v7, 32, v7
	v_min_u32_e32 v7, v8, v7
	s_delay_alu instid0(VALU_DEP_1) | instskip(NEXT) | instid1(VALU_DEP_1)
	v_lshlrev_b64 v[3:4], v7, v[3:4]
	v_min_u32_e32 v3, 1, v3
	s_delay_alu instid0(VALU_DEP_1) | instskip(SKIP_1) | instid1(VALU_DEP_2)
	v_or_b32_e32 v3, v4, v3
	v_sub_nc_u32_e32 v4, 32, v7
	v_cvt_f32_i32_e32 v3, v3
	s_delay_alu instid0(VALU_DEP_1)
	v_ldexp_f32 v3, v3, v4
	s_branch .LBB521_251
.LBB521_248:
	s_mov_b32 s2, -1
                                        ; implicit-def: $vgpr3
	s_branch .LBB521_257
.LBB521_249:
	s_mov_b32 s2, -1
                                        ; implicit-def: $vgpr3
	s_branch .LBB521_254
.LBB521_250:
	s_mov_b32 s2, -1
                                        ; implicit-def: $vgpr3
.LBB521_251:
	s_delay_alu instid0(SALU_CYCLE_1)
	s_and_not1_b32 vcc_lo, exec_lo, s2
	s_cbranch_vccnz .LBB521_253
; %bb.252:
	global_load_b32 v3, v[1:2], off
	s_waitcnt vmcnt(0)
	v_cvt_f32_i32_e32 v3, v3
.LBB521_253:
	s_mov_b32 s2, 0
.LBB521_254:
	s_delay_alu instid0(SALU_CYCLE_1)
	s_and_not1_b32 vcc_lo, exec_lo, s2
	s_cbranch_vccnz .LBB521_256
; %bb.255:
	global_load_i16 v3, v[1:2], off
	s_waitcnt vmcnt(0)
	v_cvt_f32_i32_e32 v3, v3
.LBB521_256:
	s_mov_b32 s2, 0
.LBB521_257:
	s_delay_alu instid0(SALU_CYCLE_1)
	s_and_not1_b32 vcc_lo, exec_lo, s2
	s_cbranch_vccnz .LBB521_263
; %bb.258:
	v_cmp_lt_i16_e32 vcc_lo, 0, v5
	s_mov_b32 s2, 0
	s_cbranch_vccz .LBB521_260
; %bb.259:
	global_load_i8 v3, v[1:2], off
	s_waitcnt vmcnt(0)
	v_cvt_f32_i32_e32 v3, v3
	s_branch .LBB521_261
.LBB521_260:
	s_mov_b32 s2, -1
                                        ; implicit-def: $vgpr3
.LBB521_261:
	s_delay_alu instid0(SALU_CYCLE_1)
	s_and_not1_b32 vcc_lo, exec_lo, s2
	s_cbranch_vccnz .LBB521_263
; %bb.262:
	global_load_u8 v1, v[1:2], off
	s_waitcnt vmcnt(0)
	v_cvt_f32_ubyte0_e32 v3, v1
.LBB521_263:
	s_branch .LBB521_24
.LBB521_264:
	s_mov_b32 s2, 0
.LBB521_265:
	s_mov_b32 s26, 0
                                        ; implicit-def: $vgpr6
.LBB521_266:
	s_and_b32 s38, s2, exec_lo
	s_and_b32 s39, s3, exec_lo
	s_or_not1_b32 s3, s26, exec_lo
.LBB521_267:
	s_or_b32 exec_lo, exec_lo, s40
	s_mov_b32 s26, 0
	s_mov_b32 s2, 0
                                        ; implicit-def: $vgpr1_vgpr2
                                        ; implicit-def: $vgpr0
                                        ; implicit-def: $vgpr7
	s_and_saveexec_b32 s40, s3
	s_cbranch_execz .LBB521_918
; %bb.268:
	s_mov_b32 s2, -1
	s_mov_b32 s41, s39
	s_mov_b32 s42, s38
	s_mov_b32 s43, exec_lo
	v_cmpx_gt_i32_e64 s35, v6
	s_cbranch_execz .LBB521_541
; %bb.269:
	s_and_not1_b32 vcc_lo, exec_lo, s31
	s_cbranch_vccnz .LBB521_274
; %bb.270:
	v_dual_mov_b32 v0, 0 :: v_dual_mov_b32 v1, 0
	s_and_not1_b32 vcc_lo, exec_lo, s37
	s_mov_b32 s41, 0
	s_cbranch_vccnz .LBB521_279
; %bb.271:
	v_mov_b32_e32 v0, 0
	s_add_i32 s44, s36, 1
	s_cmp_eq_u32 s29, 2
	s_mov_b32 s42, 0
	s_cbranch_scc1 .LBB521_275
; %bb.272:
	v_dual_mov_b32 v1, 0 :: v_dual_mov_b32 v0, 0
	v_mov_b32_e32 v2, v6
	s_and_b32 s42, s44, 28
	s_mov_b32 s45, 0
	s_mov_b64 s[2:3], s[24:25]
	s_mov_b64 s[26:27], s[20:21]
.LBB521_273:                            ; =>This Inner Loop Header: Depth=1
	s_clause 0x1
	s_load_b256 s[48:55], s[26:27], 0x4
	s_load_b128 s[64:67], s[26:27], 0x24
	s_load_b256 s[56:63], s[2:3], 0x0
	s_add_u32 s26, s26, 48
	s_addc_u32 s27, s27, 0
	s_add_i32 s45, s45, 4
	s_add_u32 s2, s2, 32
	s_addc_u32 s3, s3, 0
	s_cmp_eq_u32 s42, s45
	s_waitcnt vmcnt(0) lgkmcnt(0)
	v_mul_hi_u32 v3, s49, v2
	s_delay_alu instid0(VALU_DEP_1) | instskip(NEXT) | instid1(VALU_DEP_1)
	v_add_nc_u32_e32 v3, v2, v3
	v_lshrrev_b32_e32 v3, s50, v3
	s_delay_alu instid0(VALU_DEP_1) | instskip(SKIP_1) | instid1(VALU_DEP_2)
	v_mul_hi_u32 v4, s52, v3
	v_mul_lo_u32 v8, v3, s48
	v_add_nc_u32_e32 v4, v3, v4
	s_delay_alu instid0(VALU_DEP_2) | instskip(NEXT) | instid1(VALU_DEP_2)
	v_sub_nc_u32_e32 v2, v2, v8
	v_lshrrev_b32_e32 v4, s53, v4
	s_delay_alu instid0(VALU_DEP_2) | instskip(SKIP_1) | instid1(VALU_DEP_3)
	v_mul_lo_u32 v8, v2, s56
	v_mul_lo_u32 v10, v2, s57
	v_mul_hi_u32 v7, s55, v4
	s_delay_alu instid0(VALU_DEP_1) | instskip(NEXT) | instid1(VALU_DEP_1)
	v_add_nc_u32_e32 v7, v4, v7
	v_lshrrev_b32_e32 v7, s64, v7
	s_delay_alu instid0(VALU_DEP_1) | instskip(SKIP_1) | instid1(VALU_DEP_2)
	v_mul_hi_u32 v9, s66, v7
	v_mul_lo_u32 v11, v7, s54
	v_add_nc_u32_e32 v2, v7, v9
	v_mul_lo_u32 v9, v4, s51
	s_delay_alu instid0(VALU_DEP_3) | instskip(NEXT) | instid1(VALU_DEP_3)
	v_sub_nc_u32_e32 v4, v4, v11
	v_lshrrev_b32_e32 v2, s67, v2
	s_delay_alu instid0(VALU_DEP_2) | instskip(SKIP_2) | instid1(VALU_DEP_4)
	v_mul_lo_u32 v11, v4, s60
	v_mul_lo_u32 v4, v4, s61
	v_sub_nc_u32_e32 v3, v3, v9
	v_mul_lo_u32 v12, v2, s65
	s_delay_alu instid0(VALU_DEP_2) | instskip(SKIP_1) | instid1(VALU_DEP_3)
	v_mul_lo_u32 v9, v3, s58
	v_mul_lo_u32 v3, v3, s59
	v_sub_nc_u32_e32 v7, v7, v12
	s_delay_alu instid0(VALU_DEP_3) | instskip(NEXT) | instid1(VALU_DEP_2)
	v_add3_u32 v0, v8, v0, v9
	v_mul_lo_u32 v12, v7, s62
	v_mul_lo_u32 v7, v7, s63
	v_add3_u32 v1, v10, v1, v3
	s_delay_alu instid0(VALU_DEP_3) | instskip(NEXT) | instid1(VALU_DEP_2)
	v_add3_u32 v0, v11, v0, v12
	v_add3_u32 v1, v4, v1, v7
	s_cbranch_scc0 .LBB521_273
	s_branch .LBB521_276
.LBB521_274:
	s_mov_b32 s41, -1
                                        ; implicit-def: $vgpr0
                                        ; implicit-def: $vgpr1
	s_branch .LBB521_279
.LBB521_275:
	v_dual_mov_b32 v2, v6 :: v_dual_mov_b32 v1, 0
.LBB521_276:
	s_and_b32 s44, s44, 3
	s_delay_alu instid0(SALU_CYCLE_1)
	s_cmp_eq_u32 s44, 0
	s_cbranch_scc1 .LBB521_279
; %bb.277:
	s_lshl_b32 s2, s42, 3
	s_mul_i32 s26, s42, 12
	s_add_u32 s2, s2, s20
	s_addc_u32 s3, s21, 0
	s_add_u32 s2, s2, 0xc4
	s_addc_u32 s3, s3, 0
	;; [unrolled: 2-line block ×3, first 2 shown]
	.p2align	6
.LBB521_278:                            ; =>This Inner Loop Header: Depth=1
	s_clause 0x1
	s_load_b64 s[46:47], s[26:27], 0x4
	s_load_b32 s42, s[26:27], 0xc
	s_load_b64 s[48:49], s[2:3], 0x0
	s_add_u32 s26, s26, 12
	s_addc_u32 s27, s27, 0
	s_add_u32 s2, s2, 8
	s_addc_u32 s3, s3, 0
	s_add_i32 s44, s44, -1
	s_delay_alu instid0(SALU_CYCLE_1) | instskip(SKIP_2) | instid1(VALU_DEP_1)
	s_cmp_lg_u32 s44, 0
	s_waitcnt vmcnt(0) lgkmcnt(0)
	v_mul_hi_u32 v3, s47, v2
	v_add_nc_u32_e32 v3, v2, v3
	s_delay_alu instid0(VALU_DEP_1) | instskip(NEXT) | instid1(VALU_DEP_1)
	v_lshrrev_b32_e32 v9, s42, v3
	v_mul_lo_u32 v3, v9, s46
	s_delay_alu instid0(VALU_DEP_1) | instskip(NEXT) | instid1(VALU_DEP_1)
	v_sub_nc_u32_e32 v2, v2, v3
	v_mad_u64_u32 v[3:4], null, v2, s48, v[0:1]
	v_mad_u64_u32 v[7:8], null, v2, s49, v[1:2]
	v_mov_b32_e32 v2, v9
	s_delay_alu instid0(VALU_DEP_3) | instskip(NEXT) | instid1(VALU_DEP_3)
	v_mov_b32_e32 v0, v3
	v_mov_b32_e32 v1, v7
	s_cbranch_scc1 .LBB521_278
.LBB521_279:
	s_and_not1_b32 vcc_lo, exec_lo, s41
	s_cbranch_vccnz .LBB521_282
; %bb.280:
	v_mul_hi_u32 v0, s17, v6
	s_and_not1_b32 vcc_lo, exec_lo, s11
	s_delay_alu instid0(VALU_DEP_1) | instskip(NEXT) | instid1(VALU_DEP_1)
	v_add_nc_u32_e32 v0, v6, v0
	v_lshrrev_b32_e32 v2, s18, v0
	s_delay_alu instid0(VALU_DEP_1) | instskip(NEXT) | instid1(VALU_DEP_1)
	v_mul_lo_u32 v0, v2, s16
	v_sub_nc_u32_e32 v1, v6, v0
	s_delay_alu instid0(VALU_DEP_1)
	v_mul_lo_u32 v0, v1, s12
	v_mul_lo_u32 v1, v1, s13
	s_cbranch_vccnz .LBB521_282
; %bb.281:
	s_waitcnt vmcnt(0)
	v_mul_hi_u32 v3, s22, v2
	s_delay_alu instid0(VALU_DEP_1) | instskip(NEXT) | instid1(VALU_DEP_1)
	v_add_nc_u32_e32 v3, v2, v3
	v_lshrrev_b32_e32 v3, s23, v3
	s_delay_alu instid0(VALU_DEP_1) | instskip(NEXT) | instid1(VALU_DEP_1)
	v_mul_lo_u32 v3, v3, s19
	v_sub_nc_u32_e32 v7, v2, v3
	s_delay_alu instid0(VALU_DEP_1) | instskip(NEXT) | instid1(VALU_DEP_1)
	v_mad_u64_u32 v[2:3], null, v7, s14, v[0:1]
	v_mad_u64_u32 v[3:4], null, v7, s15, v[1:2]
	s_delay_alu instid0(VALU_DEP_1)
	v_dual_mov_b32 v0, v2 :: v_dual_mov_b32 v1, v3
.LBB521_282:
	v_cmp_gt_i16_e32 vcc_lo, 11, v5
	s_delay_alu instid0(VALU_DEP_2) | instskip(NEXT) | instid1(VALU_DEP_1)
	v_add_co_u32 v1, s2, s6, v1
	v_add_co_ci_u32_e64 v2, null, s7, 0, s2
	s_mov_b32 s2, 0
	s_cbranch_vccnz .LBB521_289
; %bb.283:
	v_cmp_lt_i16_e32 vcc_lo, 25, v5
	s_cbranch_vccz .LBB521_342
; %bb.284:
	v_cmp_lt_i16_e32 vcc_lo, 28, v5
	s_cbranch_vccz .LBB521_343
	;; [unrolled: 3-line block ×4, first 2 shown]
; %bb.287:
	v_cmp_eq_u16_e32 vcc_lo, 46, v5
	s_mov_b32 s26, 0
	s_cbranch_vccz .LBB521_351
; %bb.288:
	global_load_b32 v3, v[1:2], off
	s_mov_b32 s2, -1
	s_mov_b32 s3, 0
	s_waitcnt vmcnt(0)
	v_lshlrev_b32_e32 v3, 16, v3
	s_branch .LBB521_353
.LBB521_289:
	s_mov_b32 s3, s39
                                        ; implicit-def: $vgpr3
	s_cbranch_execnz .LBB521_490
.LBB521_290:
	s_and_not1_b32 vcc_lo, exec_lo, s2
	s_cbranch_vccnz .LBB521_538
.LBB521_291:
	v_mov_b32_e32 v1, s8
	s_mov_b32 s2, exec_lo
	s_waitcnt vmcnt(0)
	s_delay_alu instid0(VALU_DEP_2)
	v_cmpx_o_f32_e32 v3, v3
	s_cbranch_execz .LBB521_295
; %bb.292:
	v_mov_b32_e32 v1, s9
	s_mov_b32 s26, exec_lo
	v_cmpx_neq_f32_e32 0x7f800000, v3
; %bb.293:
	v_cmp_eq_f32_e32 vcc_lo, 0xff800000, v3
	v_cndmask_b32_e64 v1, v3, s10, vcc_lo
; %bb.294:
	s_or_b32 exec_lo, exec_lo, s26
.LBB521_295:
	s_delay_alu instid0(SALU_CYCLE_1) | instskip(SKIP_2) | instid1(VALU_DEP_1)
	s_or_b32 exec_lo, exec_lo, s2
	v_and_b32_e64 v7, 0xff, s34
	v_add_co_u32 v3, s2, s4, v0
	v_add_co_ci_u32_e64 v4, null, s5, 0, s2
	s_delay_alu instid0(VALU_DEP_3)
	v_cmp_gt_i16_e32 vcc_lo, 11, v7
	s_mov_b32 s26, 0
	s_mov_b32 s27, -1
	s_mov_b32 s2, s38
	s_cbranch_vccnz .LBB521_302
; %bb.296:
	v_cmp_lt_i16_e32 vcc_lo, 25, v7
	s_cbranch_vccz .LBB521_344
; %bb.297:
	v_cmp_lt_i16_e32 vcc_lo, 28, v7
	s_cbranch_vccz .LBB521_346
	;; [unrolled: 3-line block ×4, first 2 shown]
; %bb.300:
	v_cmp_eq_u16_e32 vcc_lo, 46, v7
	s_mov_b32 s27, 0
	s_mov_b32 s2, -1
	s_cbranch_vccz .LBB521_357
; %bb.301:
	v_bfe_u32 v0, v1, 16, 1
	v_cmp_o_f32_e32 vcc_lo, v1, v1
	s_mov_b32 s26, -1
	s_mov_b32 s2, 0
	s_delay_alu instid0(VALU_DEP_2) | instskip(NEXT) | instid1(VALU_DEP_1)
	v_add3_u32 v0, v1, v0, 0x7fff
	v_lshrrev_b32_e32 v0, 16, v0
	s_delay_alu instid0(VALU_DEP_1)
	v_cndmask_b32_e32 v0, 0x7fc0, v0, vcc_lo
	global_store_b32 v[3:4], v0, off
	s_branch .LBB521_357
.LBB521_302:
	s_and_b32 vcc_lo, exec_lo, s27
	s_cbranch_vccz .LBB521_426
; %bb.303:
	v_cmp_gt_i16_e32 vcc_lo, 5, v7
	s_mov_b32 s26, -1
	s_cbranch_vccnz .LBB521_324
; %bb.304:
	v_cmp_gt_i16_e32 vcc_lo, 8, v7
	s_cbranch_vccnz .LBB521_314
; %bb.305:
	v_cmp_gt_i16_e32 vcc_lo, 9, v7
	s_cbranch_vccnz .LBB521_311
; %bb.306:
	v_cmp_lt_i16_e32 vcc_lo, 9, v7
	s_cbranch_vccz .LBB521_308
; %bb.307:
	v_cvt_f64_f32_e32 v[8:9], v1
	v_mov_b32_e32 v10, 0
	s_mov_b32 s26, 0
	s_delay_alu instid0(VALU_DEP_1)
	v_mov_b32_e32 v11, v10
	global_store_b128 v[3:4], v[8:11], off
.LBB521_308:
	s_and_not1_b32 vcc_lo, exec_lo, s26
	s_cbranch_vccnz .LBB521_310
; %bb.309:
	v_mov_b32_e32 v2, 0
	global_store_b64 v[3:4], v[1:2], off
.LBB521_310:
	s_mov_b32 s26, 0
.LBB521_311:
	s_delay_alu instid0(SALU_CYCLE_1)
	s_and_not1_b32 vcc_lo, exec_lo, s26
	s_cbranch_vccnz .LBB521_313
; %bb.312:
	v_cvt_f16_f32_e32 v0, v1
	s_delay_alu instid0(VALU_DEP_1)
	v_and_b32_e32 v0, 0xffff, v0
	global_store_b32 v[3:4], v0, off
.LBB521_313:
	s_mov_b32 s26, 0
.LBB521_314:
	s_delay_alu instid0(SALU_CYCLE_1)
	s_and_not1_b32 vcc_lo, exec_lo, s26
	s_cbranch_vccnz .LBB521_323
; %bb.315:
	v_cmp_gt_i16_e32 vcc_lo, 6, v7
	s_mov_b32 s26, -1
	s_cbranch_vccnz .LBB521_321
; %bb.316:
	v_cmp_lt_i16_e32 vcc_lo, 6, v7
	s_cbranch_vccz .LBB521_318
; %bb.317:
	v_cvt_f64_f32_e32 v[8:9], v1
	s_mov_b32 s26, 0
	global_store_b64 v[3:4], v[8:9], off
.LBB521_318:
	s_and_not1_b32 vcc_lo, exec_lo, s26
	s_cbranch_vccnz .LBB521_320
; %bb.319:
	global_store_b32 v[3:4], v1, off
.LBB521_320:
	s_mov_b32 s26, 0
.LBB521_321:
	s_delay_alu instid0(SALU_CYCLE_1)
	s_and_not1_b32 vcc_lo, exec_lo, s26
	s_cbranch_vccnz .LBB521_323
; %bb.322:
	v_cvt_f16_f32_e32 v0, v1
	global_store_b16 v[3:4], v0, off
.LBB521_323:
	s_mov_b32 s26, 0
.LBB521_324:
	s_delay_alu instid0(SALU_CYCLE_1)
	s_and_not1_b32 vcc_lo, exec_lo, s26
	s_cbranch_vccnz .LBB521_340
; %bb.325:
	v_cmp_gt_i16_e32 vcc_lo, 2, v7
	s_mov_b32 s26, -1
	s_cbranch_vccnz .LBB521_335
; %bb.326:
	v_cmp_gt_i16_e32 vcc_lo, 3, v7
	s_cbranch_vccnz .LBB521_332
; %bb.327:
	v_cmp_lt_i16_e32 vcc_lo, 3, v7
	s_cbranch_vccz .LBB521_329
; %bb.328:
	v_trunc_f32_e32 v0, v1
	s_mov_b32 s26, 0
	s_delay_alu instid0(VALU_DEP_1) | instskip(NEXT) | instid1(VALU_DEP_1)
	v_mul_f32_e64 v2, 0x2f800000, |v0|
	v_floor_f32_e32 v2, v2
	s_delay_alu instid0(VALU_DEP_1) | instskip(SKIP_2) | instid1(VALU_DEP_3)
	v_fma_f32 v8, 0xcf800000, v2, |v0|
	v_ashrrev_i32_e32 v0, 31, v0
	v_cvt_u32_f32_e32 v2, v2
	v_cvt_u32_f32_e32 v8, v8
	s_delay_alu instid0(VALU_DEP_2) | instskip(NEXT) | instid1(VALU_DEP_2)
	v_xor_b32_e32 v2, v2, v0
	v_xor_b32_e32 v8, v8, v0
	s_delay_alu instid0(VALU_DEP_1) | instskip(NEXT) | instid1(VALU_DEP_3)
	v_sub_co_u32 v8, vcc_lo, v8, v0
	v_sub_co_ci_u32_e32 v9, vcc_lo, v2, v0, vcc_lo
	global_store_b64 v[3:4], v[8:9], off
.LBB521_329:
	s_and_not1_b32 vcc_lo, exec_lo, s26
	s_cbranch_vccnz .LBB521_331
; %bb.330:
	v_cvt_i32_f32_e32 v0, v1
	global_store_b32 v[3:4], v0, off
.LBB521_331:
	s_mov_b32 s26, 0
.LBB521_332:
	s_delay_alu instid0(SALU_CYCLE_1)
	s_and_not1_b32 vcc_lo, exec_lo, s26
	s_cbranch_vccnz .LBB521_334
; %bb.333:
	v_cvt_i32_f32_e32 v0, v1
	global_store_b16 v[3:4], v0, off
.LBB521_334:
	s_mov_b32 s26, 0
.LBB521_335:
	s_delay_alu instid0(SALU_CYCLE_1)
	s_and_not1_b32 vcc_lo, exec_lo, s26
	s_cbranch_vccnz .LBB521_340
; %bb.336:
	v_cmp_lt_i16_e32 vcc_lo, 0, v7
	s_mov_b32 s26, -1
	s_cbranch_vccz .LBB521_338
; %bb.337:
	v_cvt_i32_f32_e32 v0, v1
	s_mov_b32 s26, 0
	global_store_b8 v[3:4], v0, off
.LBB521_338:
	s_and_not1_b32 vcc_lo, exec_lo, s26
	s_cbranch_vccnz .LBB521_340
; %bb.339:
	v_trunc_f32_e32 v0, v1
	s_delay_alu instid0(VALU_DEP_1) | instskip(NEXT) | instid1(VALU_DEP_1)
	v_mul_f32_e64 v1, 0x2f800000, |v0|
	v_floor_f32_e32 v1, v1
	s_delay_alu instid0(VALU_DEP_1) | instskip(SKIP_1) | instid1(VALU_DEP_2)
	v_fma_f32 v1, 0xcf800000, v1, |v0|
	v_ashrrev_i32_e32 v0, 31, v0
	v_cvt_u32_f32_e32 v1, v1
	s_delay_alu instid0(VALU_DEP_1) | instskip(NEXT) | instid1(VALU_DEP_1)
	v_xor_b32_e32 v1, v1, v0
	v_sub_nc_u32_e32 v0, v1, v0
	global_store_b8 v[3:4], v0, off
.LBB521_340:
	s_branch .LBB521_427
.LBB521_341:
	s_mov_b32 s26, 0
	s_branch .LBB521_539
.LBB521_342:
	s_mov_b32 s26, -1
	s_mov_b32 s3, s39
                                        ; implicit-def: $vgpr3
	s_branch .LBB521_454
.LBB521_343:
	s_mov_b32 s26, -1
	s_mov_b32 s3, s39
                                        ; implicit-def: $vgpr3
	s_branch .LBB521_435
.LBB521_344:
	s_mov_b32 s2, s38
	s_branch .LBB521_384
.LBB521_345:
	s_mov_b32 s26, -1
	s_mov_b32 s3, s39
                                        ; implicit-def: $vgpr3
	s_branch .LBB521_430
.LBB521_346:
	s_mov_b32 s2, s38
	s_branch .LBB521_367
.LBB521_347:
	s_mov_b32 s26, -1
	s_mov_b32 s3, s39
	s_branch .LBB521_352
.LBB521_348:
	s_mov_b32 s2, s38
	s_branch .LBB521_363
.LBB521_349:
	s_or_saveexec_b32 s38, s38
                                        ; implicit-def: $sgpr39
	s_delay_alu instid0(SALU_CYCLE_1)
	s_xor_b32 exec_lo, exec_lo, s38
	s_cbranch_execz .LBB521_69
.LBB521_350:
	v_add_f32_e64 v0, 0x42800000, |v1|
	s_and_not1_b32 s27, s27, exec_lo
	s_mov_b32 s39, 0
	s_delay_alu instid0(VALU_DEP_1) | instskip(NEXT) | instid1(VALU_DEP_1)
	v_and_b32_e32 v0, 0xff, v0
	v_cmp_ne_u32_e32 vcc_lo, 0, v0
	s_and_b32 s42, vcc_lo, exec_lo
	s_delay_alu instid0(SALU_CYCLE_1)
	s_or_b32 s27, s27, s42
	s_or_b32 exec_lo, exec_lo, s38
	v_mov_b32_e32 v2, s39
	s_and_saveexec_b32 s38, s27
	s_cbranch_execnz .LBB521_70
	s_branch .LBB521_71
.LBB521_351:
	s_mov_b32 s3, -1
.LBB521_352:
                                        ; implicit-def: $vgpr3
.LBB521_353:
	s_and_b32 vcc_lo, exec_lo, s26
	s_cbranch_vccz .LBB521_429
; %bb.354:
	v_cmp_eq_u16_e32 vcc_lo, 44, v5
	s_cbranch_vccz .LBB521_428
; %bb.355:
	global_load_u8 v3, v[1:2], off
	s_mov_b32 s3, 0
	s_mov_b32 s2, -1
	s_waitcnt vmcnt(0)
	v_lshlrev_b32_e32 v4, 23, v3
	v_cmp_ne_u32_e32 vcc_lo, 0xff, v3
	s_delay_alu instid0(VALU_DEP_2) | instskip(SKIP_1) | instid1(VALU_DEP_2)
	v_cndmask_b32_e32 v4, 0x7f800001, v4, vcc_lo
	v_cmp_ne_u32_e32 vcc_lo, 0, v3
	v_cndmask_b32_e32 v3, 0x400000, v4, vcc_lo
	s_branch .LBB521_429
.LBB521_356:
	s_mov_b32 s2, s38
.LBB521_357:
	s_and_b32 vcc_lo, exec_lo, s27
	s_cbranch_vccz .LBB521_362
; %bb.358:
	v_cmp_eq_u16_e32 vcc_lo, 44, v7
	s_mov_b32 s2, -1
	s_cbranch_vccz .LBB521_362
; %bb.359:
	v_bfe_u32 v2, v1, 23, 8
	v_mov_b32_e32 v0, 0xff
	s_mov_b32 s26, exec_lo
	s_delay_alu instid0(VALU_DEP_2)
	v_cmpx_ne_u32_e32 0xff, v2
; %bb.360:
	v_and_b32_e32 v0, 0x400000, v1
	v_and_or_b32 v2, 0x3fffff, v1, v2
	s_delay_alu instid0(VALU_DEP_2) | instskip(NEXT) | instid1(VALU_DEP_2)
	v_cmp_ne_u32_e32 vcc_lo, 0, v0
	v_cmp_ne_u32_e64 s2, 0, v2
	v_lshrrev_b32_e32 v0, 23, v1
	s_delay_alu instid0(VALU_DEP_2) | instskip(NEXT) | instid1(SALU_CYCLE_1)
	s_and_b32 s2, vcc_lo, s2
	v_cndmask_b32_e64 v2, 0, 1, s2
	s_delay_alu instid0(VALU_DEP_1)
	v_add_nc_u32_e32 v0, v0, v2
; %bb.361:
	s_or_b32 exec_lo, exec_lo, s26
	s_mov_b32 s26, -1
	s_mov_b32 s2, 0
	global_store_b8 v[3:4], v0, off
.LBB521_362:
	s_mov_b32 s27, 0
.LBB521_363:
	s_delay_alu instid0(SALU_CYCLE_1)
	s_and_b32 vcc_lo, exec_lo, s27
	s_cbranch_vccz .LBB521_366
; %bb.364:
	v_cmp_eq_u16_e32 vcc_lo, 29, v7
	s_mov_b32 s2, -1
	s_cbranch_vccz .LBB521_366
; %bb.365:
	v_trunc_f32_e32 v0, v1
	s_mov_b32 s26, -1
	s_mov_b32 s2, 0
	s_mov_b32 s27, 0
	s_delay_alu instid0(VALU_DEP_1) | instskip(NEXT) | instid1(VALU_DEP_1)
	v_mul_f32_e32 v2, 0x2f800000, v0
	v_floor_f32_e32 v2, v2
	s_delay_alu instid0(VALU_DEP_1) | instskip(SKIP_1) | instid1(VALU_DEP_2)
	v_fmamk_f32 v0, v2, 0xcf800000, v0
	v_cvt_u32_f32_e32 v9, v2
	v_cvt_u32_f32_e32 v8, v0
	global_store_b64 v[3:4], v[8:9], off
	s_branch .LBB521_367
.LBB521_366:
	s_mov_b32 s27, 0
.LBB521_367:
	s_delay_alu instid0(SALU_CYCLE_1)
	s_and_b32 vcc_lo, exec_lo, s27
	s_cbranch_vccz .LBB521_383
; %bb.368:
	v_cmp_gt_i16_e32 vcc_lo, 27, v7
	s_mov_b32 s26, -1
	s_cbranch_vccnz .LBB521_374
; %bb.369:
	v_cmp_lt_i16_e32 vcc_lo, 27, v7
	s_cbranch_vccz .LBB521_371
; %bb.370:
	v_cvt_u32_f32_e32 v0, v1
	s_mov_b32 s26, 0
	global_store_b32 v[3:4], v0, off
.LBB521_371:
	s_and_not1_b32 vcc_lo, exec_lo, s26
	s_cbranch_vccnz .LBB521_373
; %bb.372:
	v_cvt_u32_f32_e32 v0, v1
	global_store_b16 v[3:4], v0, off
.LBB521_373:
	s_mov_b32 s26, 0
.LBB521_374:
	s_delay_alu instid0(SALU_CYCLE_1)
	s_and_not1_b32 vcc_lo, exec_lo, s26
	s_cbranch_vccnz .LBB521_382
; %bb.375:
	v_and_b32_e32 v0, 0x7fffffff, v1
	v_mov_b32_e32 v2, 0x80
	s_mov_b32 s26, exec_lo
	s_delay_alu instid0(VALU_DEP_2)
	v_cmpx_gt_u32_e32 0x43800000, v0
	s_cbranch_execz .LBB521_381
; %bb.376:
	v_cmp_lt_u32_e32 vcc_lo, 0x3bffffff, v0
	s_mov_b32 s27, 0
                                        ; implicit-def: $vgpr0
	s_and_saveexec_b32 s41, vcc_lo
	s_delay_alu instid0(SALU_CYCLE_1)
	s_xor_b32 s41, exec_lo, s41
	s_cbranch_execz .LBB521_567
; %bb.377:
	v_bfe_u32 v0, v1, 20, 1
	s_mov_b32 s27, exec_lo
	s_delay_alu instid0(VALU_DEP_1) | instskip(NEXT) | instid1(VALU_DEP_1)
	v_add3_u32 v0, v1, v0, 0x487ffff
	v_lshrrev_b32_e32 v0, 20, v0
	s_or_saveexec_b32 s41, s41
                                        ; implicit-def: $sgpr42
	s_delay_alu instid0(SALU_CYCLE_1)
	s_xor_b32 exec_lo, exec_lo, s41
	s_cbranch_execnz .LBB521_568
.LBB521_378:
	s_or_b32 exec_lo, exec_lo, s41
	v_mov_b32_e32 v2, s42
	s_and_saveexec_b32 s41, s27
.LBB521_379:
	v_lshrrev_b32_e32 v2, 24, v1
	s_delay_alu instid0(VALU_DEP_1)
	v_and_or_b32 v2, 0x80, v2, v0
.LBB521_380:
	s_or_b32 exec_lo, exec_lo, s41
.LBB521_381:
	s_delay_alu instid0(SALU_CYCLE_1)
	s_or_b32 exec_lo, exec_lo, s26
	global_store_b8 v[3:4], v2, off
.LBB521_382:
	s_mov_b32 s26, -1
.LBB521_383:
	s_mov_b32 s27, 0
.LBB521_384:
	s_delay_alu instid0(SALU_CYCLE_1)
	s_and_b32 vcc_lo, exec_lo, s27
	s_cbranch_vccz .LBB521_425
; %bb.385:
	v_cmp_lt_i16_e32 vcc_lo, 22, v7
	s_mov_b32 s27, -1
	s_cbranch_vccz .LBB521_417
; %bb.386:
	v_cmp_gt_i16_e32 vcc_lo, 24, v7
	s_mov_b32 s26, -1
	s_cbranch_vccnz .LBB521_406
; %bb.387:
	v_cmp_lt_i16_e32 vcc_lo, 24, v7
	s_cbranch_vccz .LBB521_395
; %bb.388:
	v_and_b32_e32 v0, 0x7fffffff, v1
	v_mov_b32_e32 v2, 0x80
	s_mov_b32 s26, exec_lo
	s_delay_alu instid0(VALU_DEP_2)
	v_cmpx_gt_u32_e32 0x47800000, v0
	s_cbranch_execz .LBB521_394
; %bb.389:
	v_cmp_lt_u32_e32 vcc_lo, 0x37ffffff, v0
	s_mov_b32 s27, 0
                                        ; implicit-def: $vgpr0
	s_and_saveexec_b32 s41, vcc_lo
	s_delay_alu instid0(SALU_CYCLE_1)
	s_xor_b32 s41, exec_lo, s41
	s_cbranch_execz .LBB521_570
; %bb.390:
	v_bfe_u32 v0, v1, 21, 1
	s_mov_b32 s27, exec_lo
	s_delay_alu instid0(VALU_DEP_1) | instskip(NEXT) | instid1(VALU_DEP_1)
	v_add3_u32 v0, v1, v0, 0x88fffff
	v_lshrrev_b32_e32 v0, 21, v0
	s_or_saveexec_b32 s41, s41
                                        ; implicit-def: $sgpr42
	s_delay_alu instid0(SALU_CYCLE_1)
	s_xor_b32 exec_lo, exec_lo, s41
	s_cbranch_execnz .LBB521_571
.LBB521_391:
	s_or_b32 exec_lo, exec_lo, s41
	v_mov_b32_e32 v2, s42
	s_and_saveexec_b32 s41, s27
.LBB521_392:
	v_lshrrev_b32_e32 v2, 24, v1
	s_delay_alu instid0(VALU_DEP_1)
	v_and_or_b32 v2, 0x80, v2, v0
.LBB521_393:
	s_or_b32 exec_lo, exec_lo, s41
.LBB521_394:
	s_delay_alu instid0(SALU_CYCLE_1)
	s_or_b32 exec_lo, exec_lo, s26
	s_mov_b32 s26, 0
	global_store_b8 v[3:4], v2, off
.LBB521_395:
	s_and_b32 vcc_lo, exec_lo, s26
	s_cbranch_vccz .LBB521_405
; %bb.396:
	v_and_b32_e32 v2, 0x7fffffff, v1
	s_mov_b32 s26, exec_lo
                                        ; implicit-def: $vgpr0
	s_delay_alu instid0(VALU_DEP_1)
	v_cmpx_gt_u32_e32 0x43f00000, v2
	s_xor_b32 s26, exec_lo, s26
	s_cbranch_execz .LBB521_402
; %bb.397:
	s_mov_b32 s27, exec_lo
                                        ; implicit-def: $vgpr0
	v_cmpx_lt_u32_e32 0x3c7fffff, v2
	s_xor_b32 s27, exec_lo, s27
; %bb.398:
	v_bfe_u32 v0, v1, 20, 1
	s_delay_alu instid0(VALU_DEP_1) | instskip(NEXT) | instid1(VALU_DEP_1)
	v_add3_u32 v0, v1, v0, 0x407ffff
	v_and_b32_e32 v2, 0xff00000, v0
	v_lshrrev_b32_e32 v0, 20, v0
	s_delay_alu instid0(VALU_DEP_2) | instskip(NEXT) | instid1(VALU_DEP_2)
	v_cmp_ne_u32_e32 vcc_lo, 0x7f00000, v2
	v_cndmask_b32_e32 v0, 0x7e, v0, vcc_lo
; %bb.399:
	s_and_not1_saveexec_b32 s27, s27
; %bb.400:
	v_add_f32_e64 v0, 0x46800000, |v1|
; %bb.401:
	s_or_b32 exec_lo, exec_lo, s27
                                        ; implicit-def: $vgpr2
.LBB521_402:
	s_and_not1_saveexec_b32 s26, s26
; %bb.403:
	v_mov_b32_e32 v0, 0x7f
	v_cmp_lt_u32_e32 vcc_lo, 0x7f800000, v2
	s_delay_alu instid0(VALU_DEP_2)
	v_cndmask_b32_e32 v0, 0x7e, v0, vcc_lo
; %bb.404:
	s_or_b32 exec_lo, exec_lo, s26
	v_lshrrev_b32_e32 v2, 24, v1
	s_delay_alu instid0(VALU_DEP_1)
	v_and_or_b32 v0, 0x80, v2, v0
	global_store_b8 v[3:4], v0, off
.LBB521_405:
	s_mov_b32 s26, 0
.LBB521_406:
	s_delay_alu instid0(SALU_CYCLE_1)
	s_and_not1_b32 vcc_lo, exec_lo, s26
	s_cbranch_vccnz .LBB521_416
; %bb.407:
	v_and_b32_e32 v2, 0x7fffffff, v1
	s_mov_b32 s26, exec_lo
                                        ; implicit-def: $vgpr0
	s_delay_alu instid0(VALU_DEP_1)
	v_cmpx_gt_u32_e32 0x47800000, v2
	s_xor_b32 s26, exec_lo, s26
	s_cbranch_execz .LBB521_413
; %bb.408:
	s_mov_b32 s27, exec_lo
                                        ; implicit-def: $vgpr0
	v_cmpx_lt_u32_e32 0x387fffff, v2
	s_xor_b32 s27, exec_lo, s27
; %bb.409:
	v_bfe_u32 v0, v1, 21, 1
	s_delay_alu instid0(VALU_DEP_1) | instskip(NEXT) | instid1(VALU_DEP_1)
	v_add3_u32 v0, v1, v0, 0x80fffff
	v_lshrrev_b32_e32 v0, 21, v0
; %bb.410:
	s_and_not1_saveexec_b32 s27, s27
; %bb.411:
	v_add_f32_e64 v0, 0x43000000, |v1|
; %bb.412:
	s_or_b32 exec_lo, exec_lo, s27
                                        ; implicit-def: $vgpr2
.LBB521_413:
	s_and_not1_saveexec_b32 s26, s26
; %bb.414:
	v_mov_b32_e32 v0, 0x7f
	v_cmp_lt_u32_e32 vcc_lo, 0x7f800000, v2
	s_delay_alu instid0(VALU_DEP_2)
	v_cndmask_b32_e32 v0, 0x7c, v0, vcc_lo
; %bb.415:
	s_or_b32 exec_lo, exec_lo, s26
	v_lshrrev_b32_e32 v2, 24, v1
	s_delay_alu instid0(VALU_DEP_1)
	v_and_or_b32 v0, 0x80, v2, v0
	global_store_b8 v[3:4], v0, off
.LBB521_416:
	s_mov_b32 s27, 0
	s_mov_b32 s26, -1
.LBB521_417:
	s_and_not1_b32 vcc_lo, exec_lo, s27
	s_cbranch_vccnz .LBB521_425
; %bb.418:
	v_cmp_lt_i16_e32 vcc_lo, 14, v7
	s_mov_b32 s27, -1
	s_cbranch_vccz .LBB521_422
; %bb.419:
	v_cmp_eq_u16_e32 vcc_lo, 15, v7
	s_mov_b32 s2, -1
	s_cbranch_vccz .LBB521_421
; %bb.420:
	v_bfe_u32 v0, v1, 16, 1
	v_cmp_o_f32_e32 vcc_lo, v1, v1
	s_mov_b32 s26, -1
	s_mov_b32 s2, 0
	s_delay_alu instid0(VALU_DEP_2) | instskip(NEXT) | instid1(VALU_DEP_1)
	v_add3_u32 v0, v1, v0, 0x7fff
	v_lshrrev_b32_e32 v0, 16, v0
	s_delay_alu instid0(VALU_DEP_1)
	v_cndmask_b32_e32 v0, 0x7fc0, v0, vcc_lo
	global_store_b16 v[3:4], v0, off
.LBB521_421:
	s_mov_b32 s27, 0
.LBB521_422:
	s_delay_alu instid0(SALU_CYCLE_1)
	s_and_b32 vcc_lo, exec_lo, s27
	s_cbranch_vccz .LBB521_425
; %bb.423:
	v_cmp_eq_u16_e32 vcc_lo, 11, v7
	s_mov_b32 s2, -1
	s_cbranch_vccz .LBB521_425
; %bb.424:
	v_cmp_neq_f32_e32 vcc_lo, 0, v1
	s_mov_b32 s2, 0
	s_mov_b32 s26, -1
	v_cndmask_b32_e64 v0, 0, 1, vcc_lo
	global_store_b8 v[3:4], v0, off
.LBB521_425:
.LBB521_426:
	s_and_not1_b32 vcc_lo, exec_lo, s26
	s_cbranch_vccnz .LBB521_341
.LBB521_427:
	v_add_nc_u32_e32 v6, 0x80, v6
	s_mov_b32 s26, -1
	s_branch .LBB521_540
.LBB521_428:
	s_mov_b32 s3, -1
                                        ; implicit-def: $vgpr3
.LBB521_429:
	s_mov_b32 s26, 0
.LBB521_430:
	s_delay_alu instid0(SALU_CYCLE_1)
	s_and_b32 vcc_lo, exec_lo, s26
	s_cbranch_vccz .LBB521_434
; %bb.431:
	v_cmp_eq_u16_e32 vcc_lo, 29, v5
	s_cbranch_vccz .LBB521_433
; %bb.432:
	global_load_b64 v[3:4], v[1:2], off
	s_mov_b32 s2, -1
	s_mov_b32 s3, 0
	s_mov_b32 s26, 0
	s_waitcnt vmcnt(0)
	v_clz_i32_u32_e32 v7, v4
	s_delay_alu instid0(VALU_DEP_1) | instskip(NEXT) | instid1(VALU_DEP_1)
	v_min_u32_e32 v7, 32, v7
	v_lshlrev_b64 v[3:4], v7, v[3:4]
	s_delay_alu instid0(VALU_DEP_1) | instskip(NEXT) | instid1(VALU_DEP_1)
	v_min_u32_e32 v3, 1, v3
	v_or_b32_e32 v3, v4, v3
	v_sub_nc_u32_e32 v4, 32, v7
	s_delay_alu instid0(VALU_DEP_2) | instskip(NEXT) | instid1(VALU_DEP_1)
	v_cvt_f32_u32_e32 v3, v3
	v_ldexp_f32 v3, v3, v4
	s_branch .LBB521_435
.LBB521_433:
	s_mov_b32 s3, -1
                                        ; implicit-def: $vgpr3
.LBB521_434:
	s_mov_b32 s26, 0
.LBB521_435:
	s_delay_alu instid0(SALU_CYCLE_1)
	s_and_b32 vcc_lo, exec_lo, s26
	s_cbranch_vccz .LBB521_453
; %bb.436:
	v_cmp_gt_i16_e32 vcc_lo, 27, v5
	s_cbranch_vccnz .LBB521_439
; %bb.437:
	v_cmp_lt_i16_e32 vcc_lo, 27, v5
	s_cbranch_vccz .LBB521_440
; %bb.438:
	global_load_b32 v3, v[1:2], off
	s_mov_b32 s2, 0
	s_waitcnt vmcnt(0)
	v_cvt_f32_u32_e32 v3, v3
	s_branch .LBB521_441
.LBB521_439:
	s_mov_b32 s2, -1
                                        ; implicit-def: $vgpr3
	s_branch .LBB521_444
.LBB521_440:
	s_mov_b32 s2, -1
                                        ; implicit-def: $vgpr3
.LBB521_441:
	s_delay_alu instid0(SALU_CYCLE_1)
	s_and_not1_b32 vcc_lo, exec_lo, s2
	s_cbranch_vccnz .LBB521_443
; %bb.442:
	global_load_u16 v3, v[1:2], off
	s_waitcnt vmcnt(0)
	v_cvt_f32_u32_e32 v3, v3
.LBB521_443:
	s_mov_b32 s2, 0
.LBB521_444:
	s_delay_alu instid0(SALU_CYCLE_1)
	s_and_not1_b32 vcc_lo, exec_lo, s2
	s_cbranch_vccnz .LBB521_452
; %bb.445:
	global_load_u8 v4, v[1:2], off
	s_mov_b32 s2, 0
	s_mov_b32 s27, exec_lo
                                        ; implicit-def: $sgpr26
	s_waitcnt vmcnt(0)
	v_cmpx_lt_i16_e32 0x7f, v4
	s_xor_b32 s27, exec_lo, s27
	s_cbranch_execz .LBB521_466
; %bb.446:
	s_mov_b32 s2, -1
	s_mov_b32 s41, exec_lo
                                        ; implicit-def: $sgpr26
	v_cmpx_eq_u16_e32 0x80, v4
; %bb.447:
	s_mov_b32 s26, 0x7f800001
	s_xor_b32 s2, exec_lo, -1
; %bb.448:
	s_or_b32 exec_lo, exec_lo, s41
	s_delay_alu instid0(SALU_CYCLE_1)
	s_and_b32 s2, s2, exec_lo
	s_or_saveexec_b32 s27, s27
	v_mov_b32_e32 v3, s26
	s_xor_b32 exec_lo, exec_lo, s27
	s_cbranch_execnz .LBB521_467
.LBB521_449:
	s_or_b32 exec_lo, exec_lo, s27
	s_and_saveexec_b32 s26, s2
	s_cbranch_execz .LBB521_451
.LBB521_450:
	v_and_b32_e32 v3, 0xffff, v4
	s_delay_alu instid0(VALU_DEP_1) | instskip(NEXT) | instid1(VALU_DEP_1)
	v_and_b32_e32 v7, 7, v3
	v_clz_i32_u32_e32 v8, v7
	s_delay_alu instid0(VALU_DEP_1) | instskip(NEXT) | instid1(VALU_DEP_1)
	v_min_u32_e32 v8, 32, v8
	v_subrev_nc_u32_e32 v9, 28, v8
	v_sub_nc_u32_e32 v8, 29, v8
	s_delay_alu instid0(VALU_DEP_2) | instskip(SKIP_1) | instid1(VALU_DEP_2)
	v_lshlrev_b32_e32 v9, v9, v3
	v_bfe_u32 v3, v3, 3, 4
	v_and_b32_e32 v9, 7, v9
	s_delay_alu instid0(VALU_DEP_2) | instskip(NEXT) | instid1(VALU_DEP_2)
	v_cmp_eq_u32_e32 vcc_lo, 0, v3
	v_dual_cndmask_b32 v7, v7, v9 :: v_dual_lshlrev_b32 v4, 24, v4
	v_cndmask_b32_e32 v3, v3, v8, vcc_lo
	s_delay_alu instid0(VALU_DEP_2) | instskip(NEXT) | instid1(VALU_DEP_3)
	v_and_b32_e32 v4, 0x80000000, v4
	v_lshlrev_b32_e32 v7, 20, v7
	s_delay_alu instid0(VALU_DEP_3) | instskip(NEXT) | instid1(VALU_DEP_1)
	v_lshl_add_u32 v3, v3, 23, 0x3b800000
	v_or3_b32 v3, v4, v3, v7
.LBB521_451:
	s_or_b32 exec_lo, exec_lo, s26
.LBB521_452:
	s_mov_b32 s2, -1
.LBB521_453:
	s_mov_b32 s26, 0
.LBB521_454:
	s_delay_alu instid0(SALU_CYCLE_1)
	s_and_b32 vcc_lo, exec_lo, s26
	s_cbranch_vccz .LBB521_489
; %bb.455:
	v_cmp_lt_i16_e32 vcc_lo, 22, v5
	s_cbranch_vccz .LBB521_465
; %bb.456:
	v_cmp_gt_i16_e32 vcc_lo, 24, v5
	s_cbranch_vccnz .LBB521_468
; %bb.457:
	v_cmp_lt_i16_e32 vcc_lo, 24, v5
	s_cbranch_vccz .LBB521_469
; %bb.458:
	global_load_u8 v4, v[1:2], off
	s_mov_b32 s2, 0
	s_mov_b32 s27, exec_lo
                                        ; implicit-def: $sgpr26
	s_waitcnt vmcnt(0)
	v_cmpx_lt_i16_e32 0x7f, v4
	s_xor_b32 s27, exec_lo, s27
	s_cbranch_execz .LBB521_481
; %bb.459:
	s_mov_b32 s2, -1
	s_mov_b32 s41, exec_lo
                                        ; implicit-def: $sgpr26
	v_cmpx_eq_u16_e32 0x80, v4
; %bb.460:
	s_mov_b32 s26, 0x7f800001
	s_xor_b32 s2, exec_lo, -1
; %bb.461:
	s_or_b32 exec_lo, exec_lo, s41
	s_delay_alu instid0(SALU_CYCLE_1)
	s_and_b32 s2, s2, exec_lo
	s_or_saveexec_b32 s27, s27
	v_mov_b32_e32 v3, s26
	s_xor_b32 exec_lo, exec_lo, s27
	s_cbranch_execnz .LBB521_482
.LBB521_462:
	s_or_b32 exec_lo, exec_lo, s27
	s_and_saveexec_b32 s26, s2
	s_cbranch_execz .LBB521_464
.LBB521_463:
	v_and_b32_e32 v3, 0xffff, v4
	s_delay_alu instid0(VALU_DEP_1) | instskip(NEXT) | instid1(VALU_DEP_1)
	v_and_b32_e32 v7, 3, v3
	v_clz_i32_u32_e32 v8, v7
	s_delay_alu instid0(VALU_DEP_1) | instskip(NEXT) | instid1(VALU_DEP_1)
	v_min_u32_e32 v8, 32, v8
	v_subrev_nc_u32_e32 v9, 29, v8
	v_sub_nc_u32_e32 v8, 30, v8
	s_delay_alu instid0(VALU_DEP_2) | instskip(SKIP_1) | instid1(VALU_DEP_2)
	v_lshlrev_b32_e32 v9, v9, v3
	v_bfe_u32 v3, v3, 2, 5
	v_and_b32_e32 v9, 3, v9
	s_delay_alu instid0(VALU_DEP_2) | instskip(NEXT) | instid1(VALU_DEP_2)
	v_cmp_eq_u32_e32 vcc_lo, 0, v3
	v_dual_cndmask_b32 v7, v7, v9 :: v_dual_lshlrev_b32 v4, 24, v4
	v_cndmask_b32_e32 v3, v3, v8, vcc_lo
	s_delay_alu instid0(VALU_DEP_2) | instskip(NEXT) | instid1(VALU_DEP_3)
	v_and_b32_e32 v4, 0x80000000, v4
	v_lshlrev_b32_e32 v7, 21, v7
	s_delay_alu instid0(VALU_DEP_3) | instskip(NEXT) | instid1(VALU_DEP_1)
	v_lshl_add_u32 v3, v3, 23, 0x37800000
	v_or3_b32 v3, v4, v3, v7
.LBB521_464:
	s_or_b32 exec_lo, exec_lo, s26
	s_mov_b32 s2, 0
	s_branch .LBB521_470
.LBB521_465:
	s_mov_b32 s26, -1
                                        ; implicit-def: $vgpr3
	s_branch .LBB521_476
.LBB521_466:
	s_or_saveexec_b32 s27, s27
	v_mov_b32_e32 v3, s26
	s_xor_b32 exec_lo, exec_lo, s27
	s_cbranch_execz .LBB521_449
.LBB521_467:
	v_cmp_ne_u16_e32 vcc_lo, 0, v4
	v_mov_b32_e32 v3, 0
	s_and_not1_b32 s2, s2, exec_lo
	s_and_b32 s26, vcc_lo, exec_lo
	s_delay_alu instid0(SALU_CYCLE_1)
	s_or_b32 s2, s2, s26
	s_or_b32 exec_lo, exec_lo, s27
	s_and_saveexec_b32 s26, s2
	s_cbranch_execnz .LBB521_450
	s_branch .LBB521_451
.LBB521_468:
	s_mov_b32 s2, -1
                                        ; implicit-def: $vgpr3
	s_branch .LBB521_473
.LBB521_469:
	s_mov_b32 s2, -1
                                        ; implicit-def: $vgpr3
.LBB521_470:
	s_delay_alu instid0(SALU_CYCLE_1)
	s_and_b32 vcc_lo, exec_lo, s2
	s_cbranch_vccz .LBB521_472
; %bb.471:
	global_load_u8 v3, v[1:2], off
	s_waitcnt vmcnt(0)
	v_lshlrev_b32_e32 v3, 24, v3
	s_delay_alu instid0(VALU_DEP_1) | instskip(NEXT) | instid1(VALU_DEP_1)
	v_and_b32_e32 v4, 0x7f000000, v3
	v_clz_i32_u32_e32 v7, v4
	v_cmp_ne_u32_e32 vcc_lo, 0, v4
	v_add_nc_u32_e32 v9, 0x1000000, v4
	s_delay_alu instid0(VALU_DEP_3) | instskip(NEXT) | instid1(VALU_DEP_1)
	v_min_u32_e32 v7, 32, v7
	v_sub_nc_u32_e64 v7, v7, 4 clamp
	s_delay_alu instid0(VALU_DEP_1) | instskip(SKIP_1) | instid1(VALU_DEP_2)
	v_lshlrev_b32_e32 v8, v7, v4
	v_lshlrev_b32_e32 v7, 23, v7
	v_lshrrev_b32_e32 v8, 4, v8
	s_delay_alu instid0(VALU_DEP_1) | instskip(SKIP_1) | instid1(VALU_DEP_2)
	v_sub_nc_u32_e32 v7, v8, v7
	v_ashrrev_i32_e32 v8, 8, v9
	v_add_nc_u32_e32 v7, 0x3c000000, v7
	s_delay_alu instid0(VALU_DEP_1) | instskip(NEXT) | instid1(VALU_DEP_1)
	v_and_or_b32 v7, 0x7f800000, v8, v7
	v_cndmask_b32_e32 v4, 0, v7, vcc_lo
	s_delay_alu instid0(VALU_DEP_1)
	v_and_or_b32 v3, 0x80000000, v3, v4
.LBB521_472:
	s_mov_b32 s2, 0
.LBB521_473:
	s_delay_alu instid0(SALU_CYCLE_1)
	s_and_not1_b32 vcc_lo, exec_lo, s2
	s_cbranch_vccnz .LBB521_475
; %bb.474:
	global_load_u8 v3, v[1:2], off
	s_waitcnt vmcnt(0)
	v_lshlrev_b32_e32 v4, 25, v3
	v_lshlrev_b16 v3, 8, v3
	s_delay_alu instid0(VALU_DEP_2) | instskip(NEXT) | instid1(VALU_DEP_2)
	v_lshrrev_b32_e32 v7, 4, v4
	v_and_or_b32 v8, 0x7f00, v3, 0.5
	v_cmp_gt_u32_e32 vcc_lo, 0x8000000, v4
	v_bfe_i32 v3, v3, 0, 16
	s_delay_alu instid0(VALU_DEP_4) | instskip(NEXT) | instid1(VALU_DEP_1)
	v_or_b32_e32 v7, 0x70000000, v7
	v_dual_add_f32 v8, -0.5, v8 :: v_dual_mul_f32 v7, 0x7800000, v7
	s_delay_alu instid0(VALU_DEP_1) | instskip(NEXT) | instid1(VALU_DEP_1)
	v_cndmask_b32_e32 v4, v7, v8, vcc_lo
	v_and_or_b32 v3, 0x80000000, v3, v4
.LBB521_475:
	s_mov_b32 s26, 0
	s_mov_b32 s2, -1
.LBB521_476:
	s_and_not1_b32 vcc_lo, exec_lo, s26
	s_cbranch_vccnz .LBB521_489
; %bb.477:
	v_cmp_lt_i16_e32 vcc_lo, 14, v5
	s_cbranch_vccz .LBB521_480
; %bb.478:
	v_cmp_eq_u16_e32 vcc_lo, 15, v5
	s_cbranch_vccz .LBB521_483
; %bb.479:
	global_load_u16 v3, v[1:2], off
	s_mov_b32 s2, -1
	s_mov_b32 s3, 0
	s_waitcnt vmcnt(0)
	v_lshlrev_b32_e32 v3, 16, v3
	s_branch .LBB521_484
.LBB521_480:
	s_mov_b32 s26, -1
                                        ; implicit-def: $vgpr3
	s_branch .LBB521_485
.LBB521_481:
	s_or_saveexec_b32 s27, s27
	v_mov_b32_e32 v3, s26
	s_xor_b32 exec_lo, exec_lo, s27
	s_cbranch_execz .LBB521_462
.LBB521_482:
	v_cmp_ne_u16_e32 vcc_lo, 0, v4
	v_mov_b32_e32 v3, 0
	s_and_not1_b32 s2, s2, exec_lo
	s_and_b32 s26, vcc_lo, exec_lo
	s_delay_alu instid0(SALU_CYCLE_1)
	s_or_b32 s2, s2, s26
	s_or_b32 exec_lo, exec_lo, s27
	s_and_saveexec_b32 s26, s2
	s_cbranch_execnz .LBB521_463
	s_branch .LBB521_464
.LBB521_483:
	s_mov_b32 s3, -1
                                        ; implicit-def: $vgpr3
.LBB521_484:
	s_mov_b32 s26, 0
.LBB521_485:
	s_delay_alu instid0(SALU_CYCLE_1)
	s_and_b32 vcc_lo, exec_lo, s26
	s_cbranch_vccz .LBB521_489
; %bb.486:
	v_cmp_eq_u16_e32 vcc_lo, 11, v5
	s_cbranch_vccz .LBB521_488
; %bb.487:
	global_load_u8 v3, v[1:2], off
	s_mov_b32 s3, 0
	s_mov_b32 s2, -1
	s_waitcnt vmcnt(0)
	v_cmp_ne_u16_e32 vcc_lo, 0, v3
	v_cndmask_b32_e64 v3, 0, 1.0, vcc_lo
	s_branch .LBB521_489
.LBB521_488:
	s_mov_b32 s3, -1
                                        ; implicit-def: $vgpr3
.LBB521_489:
	s_branch .LBB521_290
.LBB521_490:
	v_cmp_gt_i16_e32 vcc_lo, 5, v5
	s_cbranch_vccnz .LBB521_495
; %bb.491:
	v_cmp_gt_i16_e32 vcc_lo, 8, v5
	s_cbranch_vccnz .LBB521_496
; %bb.492:
	;; [unrolled: 3-line block ×3, first 2 shown]
	v_cmp_lt_i16_e32 vcc_lo, 9, v5
	s_cbranch_vccz .LBB521_498
; %bb.494:
	global_load_b64 v[3:4], v[1:2], off
	s_mov_b32 s2, 0
	s_waitcnt vmcnt(0)
	v_cvt_f32_f64_e32 v3, v[3:4]
	s_branch .LBB521_499
.LBB521_495:
	s_mov_b32 s2, -1
                                        ; implicit-def: $vgpr3
	s_branch .LBB521_517
.LBB521_496:
	s_mov_b32 s2, -1
                                        ; implicit-def: $vgpr3
	s_branch .LBB521_505
.LBB521_497:
	s_mov_b32 s2, -1
                                        ; implicit-def: $vgpr3
	s_branch .LBB521_502
.LBB521_498:
	s_mov_b32 s2, -1
                                        ; implicit-def: $vgpr3
.LBB521_499:
	s_delay_alu instid0(SALU_CYCLE_1)
	s_and_not1_b32 vcc_lo, exec_lo, s2
	s_cbranch_vccnz .LBB521_501
; %bb.500:
	global_load_b32 v3, v[1:2], off
.LBB521_501:
	s_mov_b32 s2, 0
.LBB521_502:
	s_delay_alu instid0(SALU_CYCLE_1)
	s_and_not1_b32 vcc_lo, exec_lo, s2
	s_cbranch_vccnz .LBB521_504
; %bb.503:
	global_load_b32 v3, v[1:2], off
	s_waitcnt vmcnt(0)
	v_cvt_f32_f16_e32 v3, v3
.LBB521_504:
	s_mov_b32 s2, 0
.LBB521_505:
	s_delay_alu instid0(SALU_CYCLE_1)
	s_and_not1_b32 vcc_lo, exec_lo, s2
	s_cbranch_vccnz .LBB521_516
; %bb.506:
	v_cmp_gt_i16_e32 vcc_lo, 6, v5
	s_cbranch_vccnz .LBB521_509
; %bb.507:
	v_cmp_lt_i16_e32 vcc_lo, 6, v5
	s_cbranch_vccz .LBB521_510
; %bb.508:
	global_load_b64 v[3:4], v[1:2], off
	s_mov_b32 s2, 0
	s_waitcnt vmcnt(0)
	v_cvt_f32_f64_e32 v3, v[3:4]
	s_branch .LBB521_511
.LBB521_509:
	s_mov_b32 s2, -1
                                        ; implicit-def: $vgpr3
	s_branch .LBB521_514
.LBB521_510:
	s_mov_b32 s2, -1
                                        ; implicit-def: $vgpr3
.LBB521_511:
	s_delay_alu instid0(SALU_CYCLE_1)
	s_and_not1_b32 vcc_lo, exec_lo, s2
	s_cbranch_vccnz .LBB521_513
; %bb.512:
	global_load_b32 v3, v[1:2], off
.LBB521_513:
	s_mov_b32 s2, 0
.LBB521_514:
	s_delay_alu instid0(SALU_CYCLE_1)
	s_and_not1_b32 vcc_lo, exec_lo, s2
	s_cbranch_vccnz .LBB521_516
; %bb.515:
	global_load_u16 v3, v[1:2], off
	s_waitcnt vmcnt(0)
	v_cvt_f32_f16_e32 v3, v3
.LBB521_516:
	s_mov_b32 s2, 0
.LBB521_517:
	s_delay_alu instid0(SALU_CYCLE_1)
	s_and_not1_b32 vcc_lo, exec_lo, s2
	s_cbranch_vccnz .LBB521_537
; %bb.518:
	v_cmp_gt_i16_e32 vcc_lo, 2, v5
	s_cbranch_vccnz .LBB521_522
; %bb.519:
	v_cmp_gt_i16_e32 vcc_lo, 3, v5
	s_cbranch_vccnz .LBB521_523
; %bb.520:
	v_cmp_lt_i16_e32 vcc_lo, 3, v5
	s_cbranch_vccz .LBB521_524
; %bb.521:
	global_load_b64 v[3:4], v[1:2], off
	s_mov_b32 s2, 0
	s_waitcnt vmcnt(0)
	v_xor_b32_e32 v7, v3, v4
	v_cls_i32_e32 v8, v4
	s_delay_alu instid0(VALU_DEP_2) | instskip(NEXT) | instid1(VALU_DEP_2)
	v_ashrrev_i32_e32 v7, 31, v7
	v_add_nc_u32_e32 v8, -1, v8
	s_delay_alu instid0(VALU_DEP_2) | instskip(NEXT) | instid1(VALU_DEP_1)
	v_add_nc_u32_e32 v7, 32, v7
	v_min_u32_e32 v7, v8, v7
	s_delay_alu instid0(VALU_DEP_1) | instskip(NEXT) | instid1(VALU_DEP_1)
	v_lshlrev_b64 v[3:4], v7, v[3:4]
	v_min_u32_e32 v3, 1, v3
	s_delay_alu instid0(VALU_DEP_1) | instskip(SKIP_1) | instid1(VALU_DEP_2)
	v_or_b32_e32 v3, v4, v3
	v_sub_nc_u32_e32 v4, 32, v7
	v_cvt_f32_i32_e32 v3, v3
	s_delay_alu instid0(VALU_DEP_1)
	v_ldexp_f32 v3, v3, v4
	s_branch .LBB521_525
.LBB521_522:
	s_mov_b32 s2, -1
                                        ; implicit-def: $vgpr3
	s_branch .LBB521_531
.LBB521_523:
	s_mov_b32 s2, -1
                                        ; implicit-def: $vgpr3
	s_branch .LBB521_528
.LBB521_524:
	s_mov_b32 s2, -1
                                        ; implicit-def: $vgpr3
.LBB521_525:
	s_delay_alu instid0(SALU_CYCLE_1)
	s_and_not1_b32 vcc_lo, exec_lo, s2
	s_cbranch_vccnz .LBB521_527
; %bb.526:
	global_load_b32 v3, v[1:2], off
	s_waitcnt vmcnt(0)
	v_cvt_f32_i32_e32 v3, v3
.LBB521_527:
	s_mov_b32 s2, 0
.LBB521_528:
	s_delay_alu instid0(SALU_CYCLE_1)
	s_and_not1_b32 vcc_lo, exec_lo, s2
	s_cbranch_vccnz .LBB521_530
; %bb.529:
	global_load_i16 v3, v[1:2], off
	s_waitcnt vmcnt(0)
	v_cvt_f32_i32_e32 v3, v3
.LBB521_530:
	s_mov_b32 s2, 0
.LBB521_531:
	s_delay_alu instid0(SALU_CYCLE_1)
	s_and_not1_b32 vcc_lo, exec_lo, s2
	s_cbranch_vccnz .LBB521_537
; %bb.532:
	v_cmp_lt_i16_e32 vcc_lo, 0, v5
	s_mov_b32 s2, 0
	s_cbranch_vccz .LBB521_534
; %bb.533:
	global_load_i8 v3, v[1:2], off
	s_waitcnt vmcnt(0)
	v_cvt_f32_i32_e32 v3, v3
	s_branch .LBB521_535
.LBB521_534:
	s_mov_b32 s2, -1
                                        ; implicit-def: $vgpr3
.LBB521_535:
	s_delay_alu instid0(SALU_CYCLE_1)
	s_and_not1_b32 vcc_lo, exec_lo, s2
	s_cbranch_vccnz .LBB521_537
; %bb.536:
	global_load_u8 v1, v[1:2], off
	s_waitcnt vmcnt(0)
	v_cvt_f32_ubyte0_e32 v3, v1
.LBB521_537:
	s_branch .LBB521_291
.LBB521_538:
	s_mov_b32 s26, 0
	s_mov_b32 s2, s38
.LBB521_539:
                                        ; implicit-def: $vgpr6
.LBB521_540:
	s_and_not1_b32 s27, s38, exec_lo
	s_and_b32 s2, s2, exec_lo
	s_and_not1_b32 s41, s39, exec_lo
	s_and_b32 s3, s3, exec_lo
	s_or_b32 s42, s27, s2
	s_or_b32 s41, s41, s3
	s_or_not1_b32 s2, s26, exec_lo
.LBB521_541:
	s_or_b32 exec_lo, exec_lo, s43
	s_mov_b32 s3, 0
	s_mov_b32 s27, 0
	;; [unrolled: 1-line block ×3, first 2 shown]
                                        ; implicit-def: $vgpr1_vgpr2
                                        ; implicit-def: $vgpr0
                                        ; implicit-def: $vgpr7
	s_and_saveexec_b32 s43, s2
	s_cbranch_execz .LBB521_917
; %bb.542:
	s_mov_b32 s46, -1
	s_mov_b32 s26, s41
	s_mov_b32 s27, s42
	s_mov_b32 s44, exec_lo
	v_cmpx_gt_i32_e64 s35, v6
	s_cbranch_execz .LBB521_818
; %bb.543:
	s_and_not1_b32 vcc_lo, exec_lo, s31
	s_cbranch_vccnz .LBB521_548
; %bb.544:
	v_dual_mov_b32 v0, 0 :: v_dual_mov_b32 v1, 0
	s_and_not1_b32 vcc_lo, exec_lo, s37
	s_mov_b32 s45, 0
	s_cbranch_vccnz .LBB521_553
; %bb.545:
	v_mov_b32_e32 v0, 0
	s_add_i32 s47, s36, 1
	s_cmp_eq_u32 s29, 2
	s_mov_b32 s46, 0
	s_cbranch_scc1 .LBB521_549
; %bb.546:
	v_dual_mov_b32 v1, 0 :: v_dual_mov_b32 v0, 0
	v_mov_b32_e32 v2, v6
	s_and_b32 s46, s47, 28
	s_mov_b32 s48, 0
	s_mov_b64 s[2:3], s[24:25]
	s_mov_b64 s[26:27], s[20:21]
.LBB521_547:                            ; =>This Inner Loop Header: Depth=1
	s_clause 0x1
	s_load_b256 s[52:59], s[26:27], 0x4
	s_load_b128 s[68:71], s[26:27], 0x24
	s_load_b256 s[60:67], s[2:3], 0x0
	s_add_u32 s26, s26, 48
	s_addc_u32 s27, s27, 0
	s_add_i32 s48, s48, 4
	s_add_u32 s2, s2, 32
	s_addc_u32 s3, s3, 0
	s_cmp_eq_u32 s46, s48
	s_waitcnt vmcnt(0) lgkmcnt(0)
	v_mul_hi_u32 v3, s53, v2
	s_delay_alu instid0(VALU_DEP_1) | instskip(NEXT) | instid1(VALU_DEP_1)
	v_add_nc_u32_e32 v3, v2, v3
	v_lshrrev_b32_e32 v3, s54, v3
	s_delay_alu instid0(VALU_DEP_1) | instskip(SKIP_1) | instid1(VALU_DEP_2)
	v_mul_hi_u32 v4, s56, v3
	v_mul_lo_u32 v8, v3, s52
	v_add_nc_u32_e32 v4, v3, v4
	s_delay_alu instid0(VALU_DEP_2) | instskip(NEXT) | instid1(VALU_DEP_2)
	v_sub_nc_u32_e32 v2, v2, v8
	v_lshrrev_b32_e32 v4, s57, v4
	s_delay_alu instid0(VALU_DEP_2) | instskip(SKIP_1) | instid1(VALU_DEP_3)
	v_mul_lo_u32 v8, v2, s60
	v_mul_lo_u32 v10, v2, s61
	v_mul_hi_u32 v7, s59, v4
	s_delay_alu instid0(VALU_DEP_1) | instskip(NEXT) | instid1(VALU_DEP_1)
	v_add_nc_u32_e32 v7, v4, v7
	v_lshrrev_b32_e32 v7, s68, v7
	s_delay_alu instid0(VALU_DEP_1) | instskip(SKIP_1) | instid1(VALU_DEP_2)
	v_mul_hi_u32 v9, s70, v7
	v_mul_lo_u32 v11, v7, s58
	v_add_nc_u32_e32 v2, v7, v9
	v_mul_lo_u32 v9, v4, s55
	s_delay_alu instid0(VALU_DEP_3) | instskip(NEXT) | instid1(VALU_DEP_3)
	v_sub_nc_u32_e32 v4, v4, v11
	v_lshrrev_b32_e32 v2, s71, v2
	s_delay_alu instid0(VALU_DEP_2) | instskip(SKIP_2) | instid1(VALU_DEP_4)
	v_mul_lo_u32 v11, v4, s64
	v_mul_lo_u32 v4, v4, s65
	v_sub_nc_u32_e32 v3, v3, v9
	v_mul_lo_u32 v12, v2, s69
	s_delay_alu instid0(VALU_DEP_2) | instskip(SKIP_1) | instid1(VALU_DEP_3)
	v_mul_lo_u32 v9, v3, s62
	v_mul_lo_u32 v3, v3, s63
	v_sub_nc_u32_e32 v7, v7, v12
	s_delay_alu instid0(VALU_DEP_3) | instskip(NEXT) | instid1(VALU_DEP_2)
	v_add3_u32 v0, v8, v0, v9
	v_mul_lo_u32 v12, v7, s66
	v_mul_lo_u32 v7, v7, s67
	v_add3_u32 v1, v10, v1, v3
	s_delay_alu instid0(VALU_DEP_3) | instskip(NEXT) | instid1(VALU_DEP_2)
	v_add3_u32 v0, v11, v0, v12
	v_add3_u32 v1, v4, v1, v7
	s_cbranch_scc0 .LBB521_547
	s_branch .LBB521_550
.LBB521_548:
	s_mov_b32 s45, -1
                                        ; implicit-def: $vgpr0
                                        ; implicit-def: $vgpr1
	s_branch .LBB521_553
.LBB521_549:
	v_dual_mov_b32 v2, v6 :: v_dual_mov_b32 v1, 0
.LBB521_550:
	s_and_b32 s47, s47, 3
	s_delay_alu instid0(SALU_CYCLE_1)
	s_cmp_eq_u32 s47, 0
	s_cbranch_scc1 .LBB521_553
; %bb.551:
	s_lshl_b32 s2, s46, 3
	s_mul_i32 s26, s46, 12
	s_add_u32 s2, s2, s20
	s_addc_u32 s3, s21, 0
	s_add_u32 s2, s2, 0xc4
	s_addc_u32 s3, s3, 0
	;; [unrolled: 2-line block ×3, first 2 shown]
	.p2align	6
.LBB521_552:                            ; =>This Inner Loop Header: Depth=1
	s_clause 0x1
	s_load_b64 s[48:49], s[26:27], 0x4
	s_load_b32 s46, s[26:27], 0xc
	s_load_b64 s[50:51], s[2:3], 0x0
	s_add_u32 s26, s26, 12
	s_addc_u32 s27, s27, 0
	s_add_u32 s2, s2, 8
	s_addc_u32 s3, s3, 0
	s_add_i32 s47, s47, -1
	s_delay_alu instid0(SALU_CYCLE_1) | instskip(SKIP_2) | instid1(VALU_DEP_1)
	s_cmp_lg_u32 s47, 0
	s_waitcnt vmcnt(0) lgkmcnt(0)
	v_mul_hi_u32 v3, s49, v2
	v_add_nc_u32_e32 v3, v2, v3
	s_delay_alu instid0(VALU_DEP_1) | instskip(NEXT) | instid1(VALU_DEP_1)
	v_lshrrev_b32_e32 v9, s46, v3
	v_mul_lo_u32 v3, v9, s48
	s_delay_alu instid0(VALU_DEP_1) | instskip(NEXT) | instid1(VALU_DEP_1)
	v_sub_nc_u32_e32 v2, v2, v3
	v_mad_u64_u32 v[3:4], null, v2, s50, v[0:1]
	v_mad_u64_u32 v[7:8], null, v2, s51, v[1:2]
	v_mov_b32_e32 v2, v9
	s_delay_alu instid0(VALU_DEP_3) | instskip(NEXT) | instid1(VALU_DEP_3)
	v_mov_b32_e32 v0, v3
	v_mov_b32_e32 v1, v7
	s_cbranch_scc1 .LBB521_552
.LBB521_553:
	s_and_not1_b32 vcc_lo, exec_lo, s45
	s_cbranch_vccnz .LBB521_556
; %bb.554:
	v_mul_hi_u32 v0, s17, v6
	s_and_not1_b32 vcc_lo, exec_lo, s11
	s_delay_alu instid0(VALU_DEP_1) | instskip(NEXT) | instid1(VALU_DEP_1)
	v_add_nc_u32_e32 v0, v6, v0
	v_lshrrev_b32_e32 v2, s18, v0
	s_delay_alu instid0(VALU_DEP_1) | instskip(NEXT) | instid1(VALU_DEP_1)
	v_mul_lo_u32 v0, v2, s16
	v_sub_nc_u32_e32 v1, v6, v0
	s_delay_alu instid0(VALU_DEP_1)
	v_mul_lo_u32 v0, v1, s12
	v_mul_lo_u32 v1, v1, s13
	s_cbranch_vccnz .LBB521_556
; %bb.555:
	s_waitcnt vmcnt(0)
	v_mul_hi_u32 v3, s22, v2
	s_delay_alu instid0(VALU_DEP_1) | instskip(NEXT) | instid1(VALU_DEP_1)
	v_add_nc_u32_e32 v3, v2, v3
	v_lshrrev_b32_e32 v3, s23, v3
	s_delay_alu instid0(VALU_DEP_1) | instskip(NEXT) | instid1(VALU_DEP_1)
	v_mul_lo_u32 v3, v3, s19
	v_sub_nc_u32_e32 v7, v2, v3
	s_delay_alu instid0(VALU_DEP_1) | instskip(NEXT) | instid1(VALU_DEP_1)
	v_mad_u64_u32 v[2:3], null, v7, s14, v[0:1]
	v_mad_u64_u32 v[3:4], null, v7, s15, v[1:2]
	s_delay_alu instid0(VALU_DEP_1)
	v_dual_mov_b32 v0, v2 :: v_dual_mov_b32 v1, v3
.LBB521_556:
	v_cmp_gt_i16_e32 vcc_lo, 11, v5
	s_delay_alu instid0(VALU_DEP_2) | instskip(NEXT) | instid1(VALU_DEP_1)
	v_add_co_u32 v1, s2, s6, v1
	v_add_co_ci_u32_e64 v2, null, s7, 0, s2
	s_mov_b32 s2, 0
	s_cbranch_vccnz .LBB521_563
; %bb.557:
	v_cmp_lt_i16_e32 vcc_lo, 25, v5
	s_cbranch_vccz .LBB521_564
; %bb.558:
	v_cmp_lt_i16_e32 vcc_lo, 28, v5
	s_cbranch_vccz .LBB521_565
	;; [unrolled: 3-line block ×4, first 2 shown]
; %bb.561:
	v_cmp_eq_u16_e32 vcc_lo, 46, v5
	s_mov_b32 s26, 0
	s_cbranch_vccz .LBB521_572
; %bb.562:
	global_load_b32 v3, v[1:2], off
	s_mov_b32 s2, -1
	s_mov_b32 s3, 0
	s_waitcnt vmcnt(0)
	v_lshlrev_b32_e32 v3, 16, v3
	s_branch .LBB521_574
.LBB521_563:
	s_mov_b32 s26, -1
	s_mov_b32 s3, s41
                                        ; implicit-def: $vgpr3
	s_branch .LBB521_639
.LBB521_564:
	s_mov_b32 s26, -1
	s_mov_b32 s3, s41
                                        ; implicit-def: $vgpr3
	s_branch .LBB521_603
.LBB521_565:
	s_mov_b32 s26, -1
	s_mov_b32 s3, s41
                                        ; implicit-def: $vgpr3
	s_branch .LBB521_584
.LBB521_566:
	s_mov_b32 s26, -1
	s_mov_b32 s3, s41
                                        ; implicit-def: $vgpr3
	s_branch .LBB521_579
.LBB521_567:
	s_or_saveexec_b32 s41, s41
                                        ; implicit-def: $sgpr42
	s_delay_alu instid0(SALU_CYCLE_1)
	s_xor_b32 exec_lo, exec_lo, s41
	s_cbranch_execz .LBB521_378
.LBB521_568:
	v_add_f32_e64 v0, 0x46000000, |v1|
	s_and_not1_b32 s27, s27, exec_lo
	s_mov_b32 s42, 0
	s_delay_alu instid0(VALU_DEP_1) | instskip(NEXT) | instid1(VALU_DEP_1)
	v_and_b32_e32 v0, 0xff, v0
	v_cmp_ne_u32_e32 vcc_lo, 0, v0
	s_and_b32 s44, vcc_lo, exec_lo
	s_delay_alu instid0(SALU_CYCLE_1)
	s_or_b32 s27, s27, s44
	s_or_b32 exec_lo, exec_lo, s41
	v_mov_b32_e32 v2, s42
	s_and_saveexec_b32 s41, s27
	s_cbranch_execnz .LBB521_379
	s_branch .LBB521_380
.LBB521_569:
	s_mov_b32 s26, -1
	s_mov_b32 s3, s41
	s_branch .LBB521_573
.LBB521_570:
	s_or_saveexec_b32 s41, s41
                                        ; implicit-def: $sgpr42
	s_delay_alu instid0(SALU_CYCLE_1)
	s_xor_b32 exec_lo, exec_lo, s41
	s_cbranch_execz .LBB521_391
.LBB521_571:
	v_add_f32_e64 v0, 0x42800000, |v1|
	s_and_not1_b32 s27, s27, exec_lo
	s_mov_b32 s42, 0
	s_delay_alu instid0(VALU_DEP_1) | instskip(NEXT) | instid1(VALU_DEP_1)
	v_and_b32_e32 v0, 0xff, v0
	v_cmp_ne_u32_e32 vcc_lo, 0, v0
	s_and_b32 s44, vcc_lo, exec_lo
	s_delay_alu instid0(SALU_CYCLE_1)
	s_or_b32 s27, s27, s44
	s_or_b32 exec_lo, exec_lo, s41
	v_mov_b32_e32 v2, s42
	s_and_saveexec_b32 s41, s27
	s_cbranch_execnz .LBB521_392
	s_branch .LBB521_393
.LBB521_572:
	s_mov_b32 s3, -1
.LBB521_573:
                                        ; implicit-def: $vgpr3
.LBB521_574:
	s_and_b32 vcc_lo, exec_lo, s26
	s_cbranch_vccz .LBB521_578
; %bb.575:
	v_cmp_eq_u16_e32 vcc_lo, 44, v5
	s_cbranch_vccz .LBB521_577
; %bb.576:
	global_load_u8 v3, v[1:2], off
	s_mov_b32 s3, 0
	s_mov_b32 s2, -1
	s_waitcnt vmcnt(0)
	v_lshlrev_b32_e32 v4, 23, v3
	v_cmp_ne_u32_e32 vcc_lo, 0xff, v3
	s_delay_alu instid0(VALU_DEP_2) | instskip(SKIP_1) | instid1(VALU_DEP_2)
	v_cndmask_b32_e32 v4, 0x7f800001, v4, vcc_lo
	v_cmp_ne_u32_e32 vcc_lo, 0, v3
	v_cndmask_b32_e32 v3, 0x400000, v4, vcc_lo
	s_branch .LBB521_578
.LBB521_577:
	s_mov_b32 s3, -1
                                        ; implicit-def: $vgpr3
.LBB521_578:
	s_mov_b32 s26, 0
.LBB521_579:
	s_delay_alu instid0(SALU_CYCLE_1)
	s_and_b32 vcc_lo, exec_lo, s26
	s_cbranch_vccz .LBB521_583
; %bb.580:
	v_cmp_eq_u16_e32 vcc_lo, 29, v5
	s_cbranch_vccz .LBB521_582
; %bb.581:
	global_load_b64 v[3:4], v[1:2], off
	s_mov_b32 s2, -1
	s_mov_b32 s3, 0
	s_mov_b32 s26, 0
	s_waitcnt vmcnt(0)
	v_clz_i32_u32_e32 v7, v4
	s_delay_alu instid0(VALU_DEP_1) | instskip(NEXT) | instid1(VALU_DEP_1)
	v_min_u32_e32 v7, 32, v7
	v_lshlrev_b64 v[3:4], v7, v[3:4]
	s_delay_alu instid0(VALU_DEP_1) | instskip(NEXT) | instid1(VALU_DEP_1)
	v_min_u32_e32 v3, 1, v3
	v_or_b32_e32 v3, v4, v3
	v_sub_nc_u32_e32 v4, 32, v7
	s_delay_alu instid0(VALU_DEP_2) | instskip(NEXT) | instid1(VALU_DEP_1)
	v_cvt_f32_u32_e32 v3, v3
	v_ldexp_f32 v3, v3, v4
	s_branch .LBB521_584
.LBB521_582:
	s_mov_b32 s3, -1
                                        ; implicit-def: $vgpr3
.LBB521_583:
	s_mov_b32 s26, 0
.LBB521_584:
	s_delay_alu instid0(SALU_CYCLE_1)
	s_and_b32 vcc_lo, exec_lo, s26
	s_cbranch_vccz .LBB521_602
; %bb.585:
	v_cmp_gt_i16_e32 vcc_lo, 27, v5
	s_cbranch_vccnz .LBB521_588
; %bb.586:
	v_cmp_lt_i16_e32 vcc_lo, 27, v5
	s_cbranch_vccz .LBB521_589
; %bb.587:
	global_load_b32 v3, v[1:2], off
	s_mov_b32 s2, 0
	s_waitcnt vmcnt(0)
	v_cvt_f32_u32_e32 v3, v3
	s_branch .LBB521_590
.LBB521_588:
	s_mov_b32 s2, -1
                                        ; implicit-def: $vgpr3
	s_branch .LBB521_593
.LBB521_589:
	s_mov_b32 s2, -1
                                        ; implicit-def: $vgpr3
.LBB521_590:
	s_delay_alu instid0(SALU_CYCLE_1)
	s_and_not1_b32 vcc_lo, exec_lo, s2
	s_cbranch_vccnz .LBB521_592
; %bb.591:
	global_load_u16 v3, v[1:2], off
	s_waitcnt vmcnt(0)
	v_cvt_f32_u32_e32 v3, v3
.LBB521_592:
	s_mov_b32 s2, 0
.LBB521_593:
	s_delay_alu instid0(SALU_CYCLE_1)
	s_and_not1_b32 vcc_lo, exec_lo, s2
	s_cbranch_vccnz .LBB521_601
; %bb.594:
	global_load_u8 v4, v[1:2], off
	s_mov_b32 s2, 0
	s_mov_b32 s27, exec_lo
                                        ; implicit-def: $sgpr26
	s_waitcnt vmcnt(0)
	v_cmpx_lt_i16_e32 0x7f, v4
	s_xor_b32 s27, exec_lo, s27
	s_cbranch_execz .LBB521_615
; %bb.595:
	s_mov_b32 s2, -1
	s_mov_b32 s45, exec_lo
                                        ; implicit-def: $sgpr26
	v_cmpx_eq_u16_e32 0x80, v4
; %bb.596:
	s_mov_b32 s26, 0x7f800001
	s_xor_b32 s2, exec_lo, -1
; %bb.597:
	s_or_b32 exec_lo, exec_lo, s45
	s_delay_alu instid0(SALU_CYCLE_1)
	s_and_b32 s2, s2, exec_lo
	s_or_saveexec_b32 s27, s27
	v_mov_b32_e32 v3, s26
	s_xor_b32 exec_lo, exec_lo, s27
	s_cbranch_execnz .LBB521_616
.LBB521_598:
	s_or_b32 exec_lo, exec_lo, s27
	s_and_saveexec_b32 s26, s2
	s_cbranch_execz .LBB521_600
.LBB521_599:
	v_and_b32_e32 v3, 0xffff, v4
	s_delay_alu instid0(VALU_DEP_1) | instskip(NEXT) | instid1(VALU_DEP_1)
	v_and_b32_e32 v7, 7, v3
	v_clz_i32_u32_e32 v8, v7
	s_delay_alu instid0(VALU_DEP_1) | instskip(NEXT) | instid1(VALU_DEP_1)
	v_min_u32_e32 v8, 32, v8
	v_subrev_nc_u32_e32 v9, 28, v8
	v_sub_nc_u32_e32 v8, 29, v8
	s_delay_alu instid0(VALU_DEP_2) | instskip(SKIP_1) | instid1(VALU_DEP_2)
	v_lshlrev_b32_e32 v9, v9, v3
	v_bfe_u32 v3, v3, 3, 4
	v_and_b32_e32 v9, 7, v9
	s_delay_alu instid0(VALU_DEP_2) | instskip(NEXT) | instid1(VALU_DEP_2)
	v_cmp_eq_u32_e32 vcc_lo, 0, v3
	v_dual_cndmask_b32 v7, v7, v9 :: v_dual_lshlrev_b32 v4, 24, v4
	v_cndmask_b32_e32 v3, v3, v8, vcc_lo
	s_delay_alu instid0(VALU_DEP_2) | instskip(NEXT) | instid1(VALU_DEP_3)
	v_and_b32_e32 v4, 0x80000000, v4
	v_lshlrev_b32_e32 v7, 20, v7
	s_delay_alu instid0(VALU_DEP_3) | instskip(NEXT) | instid1(VALU_DEP_1)
	v_lshl_add_u32 v3, v3, 23, 0x3b800000
	v_or3_b32 v3, v4, v3, v7
.LBB521_600:
	s_or_b32 exec_lo, exec_lo, s26
.LBB521_601:
	s_mov_b32 s2, -1
.LBB521_602:
	s_mov_b32 s26, 0
.LBB521_603:
	s_delay_alu instid0(SALU_CYCLE_1)
	s_and_b32 vcc_lo, exec_lo, s26
	s_cbranch_vccz .LBB521_638
; %bb.604:
	v_cmp_lt_i16_e32 vcc_lo, 22, v5
	s_cbranch_vccz .LBB521_614
; %bb.605:
	v_cmp_gt_i16_e32 vcc_lo, 24, v5
	s_cbranch_vccnz .LBB521_617
; %bb.606:
	v_cmp_lt_i16_e32 vcc_lo, 24, v5
	s_cbranch_vccz .LBB521_618
; %bb.607:
	global_load_u8 v4, v[1:2], off
	s_mov_b32 s2, 0
	s_mov_b32 s27, exec_lo
                                        ; implicit-def: $sgpr26
	s_waitcnt vmcnt(0)
	v_cmpx_lt_i16_e32 0x7f, v4
	s_xor_b32 s27, exec_lo, s27
	s_cbranch_execz .LBB521_630
; %bb.608:
	s_mov_b32 s2, -1
	s_mov_b32 s45, exec_lo
                                        ; implicit-def: $sgpr26
	v_cmpx_eq_u16_e32 0x80, v4
; %bb.609:
	s_mov_b32 s26, 0x7f800001
	s_xor_b32 s2, exec_lo, -1
; %bb.610:
	s_or_b32 exec_lo, exec_lo, s45
	s_delay_alu instid0(SALU_CYCLE_1)
	s_and_b32 s2, s2, exec_lo
	s_or_saveexec_b32 s27, s27
	v_mov_b32_e32 v3, s26
	s_xor_b32 exec_lo, exec_lo, s27
	s_cbranch_execnz .LBB521_631
.LBB521_611:
	s_or_b32 exec_lo, exec_lo, s27
	s_and_saveexec_b32 s26, s2
	s_cbranch_execz .LBB521_613
.LBB521_612:
	v_and_b32_e32 v3, 0xffff, v4
	s_delay_alu instid0(VALU_DEP_1) | instskip(NEXT) | instid1(VALU_DEP_1)
	v_and_b32_e32 v7, 3, v3
	v_clz_i32_u32_e32 v8, v7
	s_delay_alu instid0(VALU_DEP_1) | instskip(NEXT) | instid1(VALU_DEP_1)
	v_min_u32_e32 v8, 32, v8
	v_subrev_nc_u32_e32 v9, 29, v8
	v_sub_nc_u32_e32 v8, 30, v8
	s_delay_alu instid0(VALU_DEP_2) | instskip(SKIP_1) | instid1(VALU_DEP_2)
	v_lshlrev_b32_e32 v9, v9, v3
	v_bfe_u32 v3, v3, 2, 5
	v_and_b32_e32 v9, 3, v9
	s_delay_alu instid0(VALU_DEP_2) | instskip(NEXT) | instid1(VALU_DEP_2)
	v_cmp_eq_u32_e32 vcc_lo, 0, v3
	v_dual_cndmask_b32 v7, v7, v9 :: v_dual_lshlrev_b32 v4, 24, v4
	v_cndmask_b32_e32 v3, v3, v8, vcc_lo
	s_delay_alu instid0(VALU_DEP_2) | instskip(NEXT) | instid1(VALU_DEP_3)
	v_and_b32_e32 v4, 0x80000000, v4
	v_lshlrev_b32_e32 v7, 21, v7
	s_delay_alu instid0(VALU_DEP_3) | instskip(NEXT) | instid1(VALU_DEP_1)
	v_lshl_add_u32 v3, v3, 23, 0x37800000
	v_or3_b32 v3, v4, v3, v7
.LBB521_613:
	s_or_b32 exec_lo, exec_lo, s26
	s_mov_b32 s2, 0
	s_branch .LBB521_619
.LBB521_614:
	s_mov_b32 s26, -1
                                        ; implicit-def: $vgpr3
	s_branch .LBB521_625
.LBB521_615:
	s_or_saveexec_b32 s27, s27
	v_mov_b32_e32 v3, s26
	s_xor_b32 exec_lo, exec_lo, s27
	s_cbranch_execz .LBB521_598
.LBB521_616:
	v_cmp_ne_u16_e32 vcc_lo, 0, v4
	v_mov_b32_e32 v3, 0
	s_and_not1_b32 s2, s2, exec_lo
	s_and_b32 s26, vcc_lo, exec_lo
	s_delay_alu instid0(SALU_CYCLE_1)
	s_or_b32 s2, s2, s26
	s_or_b32 exec_lo, exec_lo, s27
	s_and_saveexec_b32 s26, s2
	s_cbranch_execnz .LBB521_599
	s_branch .LBB521_600
.LBB521_617:
	s_mov_b32 s2, -1
                                        ; implicit-def: $vgpr3
	s_branch .LBB521_622
.LBB521_618:
	s_mov_b32 s2, -1
                                        ; implicit-def: $vgpr3
.LBB521_619:
	s_delay_alu instid0(SALU_CYCLE_1)
	s_and_b32 vcc_lo, exec_lo, s2
	s_cbranch_vccz .LBB521_621
; %bb.620:
	global_load_u8 v3, v[1:2], off
	s_waitcnt vmcnt(0)
	v_lshlrev_b32_e32 v3, 24, v3
	s_delay_alu instid0(VALU_DEP_1) | instskip(NEXT) | instid1(VALU_DEP_1)
	v_and_b32_e32 v4, 0x7f000000, v3
	v_clz_i32_u32_e32 v7, v4
	v_cmp_ne_u32_e32 vcc_lo, 0, v4
	v_add_nc_u32_e32 v9, 0x1000000, v4
	s_delay_alu instid0(VALU_DEP_3) | instskip(NEXT) | instid1(VALU_DEP_1)
	v_min_u32_e32 v7, 32, v7
	v_sub_nc_u32_e64 v7, v7, 4 clamp
	s_delay_alu instid0(VALU_DEP_1) | instskip(SKIP_1) | instid1(VALU_DEP_2)
	v_lshlrev_b32_e32 v8, v7, v4
	v_lshlrev_b32_e32 v7, 23, v7
	v_lshrrev_b32_e32 v8, 4, v8
	s_delay_alu instid0(VALU_DEP_1) | instskip(SKIP_1) | instid1(VALU_DEP_2)
	v_sub_nc_u32_e32 v7, v8, v7
	v_ashrrev_i32_e32 v8, 8, v9
	v_add_nc_u32_e32 v7, 0x3c000000, v7
	s_delay_alu instid0(VALU_DEP_1) | instskip(NEXT) | instid1(VALU_DEP_1)
	v_and_or_b32 v7, 0x7f800000, v8, v7
	v_cndmask_b32_e32 v4, 0, v7, vcc_lo
	s_delay_alu instid0(VALU_DEP_1)
	v_and_or_b32 v3, 0x80000000, v3, v4
.LBB521_621:
	s_mov_b32 s2, 0
.LBB521_622:
	s_delay_alu instid0(SALU_CYCLE_1)
	s_and_not1_b32 vcc_lo, exec_lo, s2
	s_cbranch_vccnz .LBB521_624
; %bb.623:
	global_load_u8 v3, v[1:2], off
	s_waitcnt vmcnt(0)
	v_lshlrev_b32_e32 v4, 25, v3
	v_lshlrev_b16 v3, 8, v3
	s_delay_alu instid0(VALU_DEP_2) | instskip(NEXT) | instid1(VALU_DEP_2)
	v_lshrrev_b32_e32 v7, 4, v4
	v_and_or_b32 v8, 0x7f00, v3, 0.5
	v_cmp_gt_u32_e32 vcc_lo, 0x8000000, v4
	v_bfe_i32 v3, v3, 0, 16
	s_delay_alu instid0(VALU_DEP_4) | instskip(NEXT) | instid1(VALU_DEP_1)
	v_or_b32_e32 v7, 0x70000000, v7
	v_dual_add_f32 v8, -0.5, v8 :: v_dual_mul_f32 v7, 0x7800000, v7
	s_delay_alu instid0(VALU_DEP_1) | instskip(NEXT) | instid1(VALU_DEP_1)
	v_cndmask_b32_e32 v4, v7, v8, vcc_lo
	v_and_or_b32 v3, 0x80000000, v3, v4
.LBB521_624:
	s_mov_b32 s26, 0
	s_mov_b32 s2, -1
.LBB521_625:
	s_and_not1_b32 vcc_lo, exec_lo, s26
	s_cbranch_vccnz .LBB521_638
; %bb.626:
	v_cmp_lt_i16_e32 vcc_lo, 14, v5
	s_cbranch_vccz .LBB521_629
; %bb.627:
	v_cmp_eq_u16_e32 vcc_lo, 15, v5
	s_cbranch_vccz .LBB521_632
; %bb.628:
	global_load_u16 v3, v[1:2], off
	s_mov_b32 s2, -1
	s_mov_b32 s3, 0
	s_waitcnt vmcnt(0)
	v_lshlrev_b32_e32 v3, 16, v3
	s_branch .LBB521_633
.LBB521_629:
	s_mov_b32 s26, -1
                                        ; implicit-def: $vgpr3
	s_branch .LBB521_634
.LBB521_630:
	s_or_saveexec_b32 s27, s27
	v_mov_b32_e32 v3, s26
	s_xor_b32 exec_lo, exec_lo, s27
	s_cbranch_execz .LBB521_611
.LBB521_631:
	v_cmp_ne_u16_e32 vcc_lo, 0, v4
	v_mov_b32_e32 v3, 0
	s_and_not1_b32 s2, s2, exec_lo
	s_and_b32 s26, vcc_lo, exec_lo
	s_delay_alu instid0(SALU_CYCLE_1)
	s_or_b32 s2, s2, s26
	s_or_b32 exec_lo, exec_lo, s27
	s_and_saveexec_b32 s26, s2
	s_cbranch_execnz .LBB521_612
	s_branch .LBB521_613
.LBB521_632:
	s_mov_b32 s3, -1
                                        ; implicit-def: $vgpr3
.LBB521_633:
	s_mov_b32 s26, 0
.LBB521_634:
	s_delay_alu instid0(SALU_CYCLE_1)
	s_and_b32 vcc_lo, exec_lo, s26
	s_cbranch_vccz .LBB521_638
; %bb.635:
	v_cmp_eq_u16_e32 vcc_lo, 11, v5
	s_cbranch_vccz .LBB521_637
; %bb.636:
	global_load_u8 v3, v[1:2], off
	s_mov_b32 s3, 0
	s_mov_b32 s2, -1
	s_waitcnt vmcnt(0)
	v_cmp_ne_u16_e32 vcc_lo, 0, v3
	v_cndmask_b32_e64 v3, 0, 1.0, vcc_lo
	s_branch .LBB521_638
.LBB521_637:
	s_mov_b32 s3, -1
                                        ; implicit-def: $vgpr3
.LBB521_638:
	s_mov_b32 s26, 0
.LBB521_639:
	s_delay_alu instid0(SALU_CYCLE_1)
	s_and_b32 vcc_lo, exec_lo, s26
	s_cbranch_vccz .LBB521_688
; %bb.640:
	v_cmp_gt_i16_e32 vcc_lo, 5, v5
	s_cbranch_vccnz .LBB521_645
; %bb.641:
	v_cmp_gt_i16_e32 vcc_lo, 8, v5
	s_cbranch_vccnz .LBB521_646
	;; [unrolled: 3-line block ×3, first 2 shown]
; %bb.643:
	v_cmp_lt_i16_e32 vcc_lo, 9, v5
	s_cbranch_vccz .LBB521_648
; %bb.644:
	global_load_b64 v[3:4], v[1:2], off
	s_mov_b32 s2, 0
	s_waitcnt vmcnt(0)
	v_cvt_f32_f64_e32 v3, v[3:4]
	s_branch .LBB521_649
.LBB521_645:
	s_mov_b32 s2, -1
                                        ; implicit-def: $vgpr3
	s_branch .LBB521_667
.LBB521_646:
	s_mov_b32 s2, -1
                                        ; implicit-def: $vgpr3
	s_branch .LBB521_655
.LBB521_647:
	s_mov_b32 s2, -1
                                        ; implicit-def: $vgpr3
	s_branch .LBB521_652
.LBB521_648:
	s_mov_b32 s2, -1
                                        ; implicit-def: $vgpr3
.LBB521_649:
	s_delay_alu instid0(SALU_CYCLE_1)
	s_and_not1_b32 vcc_lo, exec_lo, s2
	s_cbranch_vccnz .LBB521_651
; %bb.650:
	global_load_b32 v3, v[1:2], off
.LBB521_651:
	s_mov_b32 s2, 0
.LBB521_652:
	s_delay_alu instid0(SALU_CYCLE_1)
	s_and_not1_b32 vcc_lo, exec_lo, s2
	s_cbranch_vccnz .LBB521_654
; %bb.653:
	global_load_b32 v3, v[1:2], off
	s_waitcnt vmcnt(0)
	v_cvt_f32_f16_e32 v3, v3
.LBB521_654:
	s_mov_b32 s2, 0
.LBB521_655:
	s_delay_alu instid0(SALU_CYCLE_1)
	s_and_not1_b32 vcc_lo, exec_lo, s2
	s_cbranch_vccnz .LBB521_666
; %bb.656:
	v_cmp_gt_i16_e32 vcc_lo, 6, v5
	s_cbranch_vccnz .LBB521_659
; %bb.657:
	v_cmp_lt_i16_e32 vcc_lo, 6, v5
	s_cbranch_vccz .LBB521_660
; %bb.658:
	global_load_b64 v[3:4], v[1:2], off
	s_mov_b32 s2, 0
	s_waitcnt vmcnt(0)
	v_cvt_f32_f64_e32 v3, v[3:4]
	s_branch .LBB521_661
.LBB521_659:
	s_mov_b32 s2, -1
                                        ; implicit-def: $vgpr3
	s_branch .LBB521_664
.LBB521_660:
	s_mov_b32 s2, -1
                                        ; implicit-def: $vgpr3
.LBB521_661:
	s_delay_alu instid0(SALU_CYCLE_1)
	s_and_not1_b32 vcc_lo, exec_lo, s2
	s_cbranch_vccnz .LBB521_663
; %bb.662:
	global_load_b32 v3, v[1:2], off
.LBB521_663:
	s_mov_b32 s2, 0
.LBB521_664:
	s_delay_alu instid0(SALU_CYCLE_1)
	s_and_not1_b32 vcc_lo, exec_lo, s2
	s_cbranch_vccnz .LBB521_666
; %bb.665:
	global_load_u16 v3, v[1:2], off
	s_waitcnt vmcnt(0)
	v_cvt_f32_f16_e32 v3, v3
.LBB521_666:
	s_mov_b32 s2, 0
.LBB521_667:
	s_delay_alu instid0(SALU_CYCLE_1)
	s_and_not1_b32 vcc_lo, exec_lo, s2
	s_cbranch_vccnz .LBB521_687
; %bb.668:
	v_cmp_gt_i16_e32 vcc_lo, 2, v5
	s_cbranch_vccnz .LBB521_672
; %bb.669:
	v_cmp_gt_i16_e32 vcc_lo, 3, v5
	s_cbranch_vccnz .LBB521_673
; %bb.670:
	v_cmp_lt_i16_e32 vcc_lo, 3, v5
	s_cbranch_vccz .LBB521_674
; %bb.671:
	global_load_b64 v[3:4], v[1:2], off
	s_mov_b32 s2, 0
	s_waitcnt vmcnt(0)
	v_xor_b32_e32 v7, v3, v4
	v_cls_i32_e32 v8, v4
	s_delay_alu instid0(VALU_DEP_2) | instskip(NEXT) | instid1(VALU_DEP_2)
	v_ashrrev_i32_e32 v7, 31, v7
	v_add_nc_u32_e32 v8, -1, v8
	s_delay_alu instid0(VALU_DEP_2) | instskip(NEXT) | instid1(VALU_DEP_1)
	v_add_nc_u32_e32 v7, 32, v7
	v_min_u32_e32 v7, v8, v7
	s_delay_alu instid0(VALU_DEP_1) | instskip(NEXT) | instid1(VALU_DEP_1)
	v_lshlrev_b64 v[3:4], v7, v[3:4]
	v_min_u32_e32 v3, 1, v3
	s_delay_alu instid0(VALU_DEP_1) | instskip(SKIP_1) | instid1(VALU_DEP_2)
	v_or_b32_e32 v3, v4, v3
	v_sub_nc_u32_e32 v4, 32, v7
	v_cvt_f32_i32_e32 v3, v3
	s_delay_alu instid0(VALU_DEP_1)
	v_ldexp_f32 v3, v3, v4
	s_branch .LBB521_675
.LBB521_672:
	s_mov_b32 s2, -1
                                        ; implicit-def: $vgpr3
	s_branch .LBB521_681
.LBB521_673:
	s_mov_b32 s2, -1
                                        ; implicit-def: $vgpr3
	s_branch .LBB521_678
.LBB521_674:
	s_mov_b32 s2, -1
                                        ; implicit-def: $vgpr3
.LBB521_675:
	s_delay_alu instid0(SALU_CYCLE_1)
	s_and_not1_b32 vcc_lo, exec_lo, s2
	s_cbranch_vccnz .LBB521_677
; %bb.676:
	global_load_b32 v3, v[1:2], off
	s_waitcnt vmcnt(0)
	v_cvt_f32_i32_e32 v3, v3
.LBB521_677:
	s_mov_b32 s2, 0
.LBB521_678:
	s_delay_alu instid0(SALU_CYCLE_1)
	s_and_not1_b32 vcc_lo, exec_lo, s2
	s_cbranch_vccnz .LBB521_680
; %bb.679:
	global_load_i16 v3, v[1:2], off
	s_waitcnt vmcnt(0)
	v_cvt_f32_i32_e32 v3, v3
.LBB521_680:
	s_mov_b32 s2, 0
.LBB521_681:
	s_delay_alu instid0(SALU_CYCLE_1)
	s_and_not1_b32 vcc_lo, exec_lo, s2
	s_cbranch_vccnz .LBB521_687
; %bb.682:
	v_cmp_lt_i16_e32 vcc_lo, 0, v5
	s_mov_b32 s2, 0
	s_cbranch_vccz .LBB521_684
; %bb.683:
	global_load_i8 v3, v[1:2], off
	s_waitcnt vmcnt(0)
	v_cvt_f32_i32_e32 v3, v3
	s_branch .LBB521_685
.LBB521_684:
	s_mov_b32 s2, -1
                                        ; implicit-def: $vgpr3
.LBB521_685:
	s_delay_alu instid0(SALU_CYCLE_1)
	s_and_not1_b32 vcc_lo, exec_lo, s2
	s_cbranch_vccnz .LBB521_687
; %bb.686:
	global_load_u8 v1, v[1:2], off
	s_waitcnt vmcnt(0)
	v_cvt_f32_ubyte0_e32 v3, v1
.LBB521_687:
	s_mov_b32 s2, -1
.LBB521_688:
	s_delay_alu instid0(SALU_CYCLE_1)
	s_and_not1_b32 vcc_lo, exec_lo, s2
	s_cbranch_vccnz .LBB521_700
; %bb.689:
	v_mov_b32_e32 v1, s8
	s_mov_b32 s2, exec_lo
	s_waitcnt vmcnt(0)
	s_delay_alu instid0(VALU_DEP_2)
	v_cmpx_o_f32_e32 v3, v3
	s_cbranch_execz .LBB521_693
; %bb.690:
	v_mov_b32_e32 v1, s9
	s_mov_b32 s26, exec_lo
	v_cmpx_neq_f32_e32 0x7f800000, v3
; %bb.691:
	v_cmp_eq_f32_e32 vcc_lo, 0xff800000, v3
	v_cndmask_b32_e64 v1, v3, s10, vcc_lo
; %bb.692:
	s_or_b32 exec_lo, exec_lo, s26
.LBB521_693:
	s_delay_alu instid0(SALU_CYCLE_1) | instskip(SKIP_2) | instid1(VALU_DEP_1)
	s_or_b32 exec_lo, exec_lo, s2
	v_and_b32_e64 v7, 0xff, s34
	v_add_co_u32 v3, s2, s4, v0
	v_add_co_ci_u32_e64 v4, null, s5, 0, s2
	s_delay_alu instid0(VALU_DEP_3)
	v_cmp_gt_i16_e32 vcc_lo, 11, v7
	s_mov_b32 s26, 0
	s_mov_b32 s27, -1
	s_mov_b32 s2, s42
	s_cbranch_vccnz .LBB521_701
; %bb.694:
	v_cmp_lt_i16_e32 vcc_lo, 25, v7
	s_cbranch_vccz .LBB521_742
; %bb.695:
	v_cmp_lt_i16_e32 vcc_lo, 28, v7
	s_cbranch_vccz .LBB521_743
	;; [unrolled: 3-line block ×4, first 2 shown]
; %bb.698:
	v_cmp_eq_u16_e32 vcc_lo, 46, v7
	s_mov_b32 s27, 0
	s_mov_b32 s2, -1
	s_cbranch_vccz .LBB521_746
; %bb.699:
	v_bfe_u32 v0, v1, 16, 1
	v_cmp_o_f32_e32 vcc_lo, v1, v1
	s_mov_b32 s26, -1
	s_mov_b32 s2, 0
	s_delay_alu instid0(VALU_DEP_2) | instskip(NEXT) | instid1(VALU_DEP_1)
	v_add3_u32 v0, v1, v0, 0x7fff
	v_lshrrev_b32_e32 v0, 16, v0
	s_delay_alu instid0(VALU_DEP_1)
	v_cndmask_b32_e32 v0, 0x7fc0, v0, vcc_lo
	global_store_b32 v[3:4], v0, off
	s_branch .LBB521_746
.LBB521_700:
	s_mov_b32 s45, 0
	s_mov_b32 s2, s42
	s_branch .LBB521_741
.LBB521_701:
	s_and_b32 vcc_lo, exec_lo, s27
	s_cbranch_vccz .LBB521_815
; %bb.702:
	v_cmp_gt_i16_e32 vcc_lo, 5, v7
	s_mov_b32 s26, -1
	s_cbranch_vccnz .LBB521_723
; %bb.703:
	v_cmp_gt_i16_e32 vcc_lo, 8, v7
	s_cbranch_vccnz .LBB521_713
; %bb.704:
	v_cmp_gt_i16_e32 vcc_lo, 9, v7
	s_cbranch_vccnz .LBB521_710
; %bb.705:
	v_cmp_lt_i16_e32 vcc_lo, 9, v7
	s_cbranch_vccz .LBB521_707
; %bb.706:
	v_cvt_f64_f32_e32 v[8:9], v1
	v_mov_b32_e32 v10, 0
	s_mov_b32 s26, 0
	s_delay_alu instid0(VALU_DEP_1)
	v_mov_b32_e32 v11, v10
	global_store_b128 v[3:4], v[8:11], off
.LBB521_707:
	s_and_not1_b32 vcc_lo, exec_lo, s26
	s_cbranch_vccnz .LBB521_709
; %bb.708:
	v_mov_b32_e32 v2, 0
	global_store_b64 v[3:4], v[1:2], off
.LBB521_709:
	s_mov_b32 s26, 0
.LBB521_710:
	s_delay_alu instid0(SALU_CYCLE_1)
	s_and_not1_b32 vcc_lo, exec_lo, s26
	s_cbranch_vccnz .LBB521_712
; %bb.711:
	v_cvt_f16_f32_e32 v0, v1
	s_delay_alu instid0(VALU_DEP_1)
	v_and_b32_e32 v0, 0xffff, v0
	global_store_b32 v[3:4], v0, off
.LBB521_712:
	s_mov_b32 s26, 0
.LBB521_713:
	s_delay_alu instid0(SALU_CYCLE_1)
	s_and_not1_b32 vcc_lo, exec_lo, s26
	s_cbranch_vccnz .LBB521_722
; %bb.714:
	v_cmp_gt_i16_e32 vcc_lo, 6, v7
	s_mov_b32 s26, -1
	s_cbranch_vccnz .LBB521_720
; %bb.715:
	v_cmp_lt_i16_e32 vcc_lo, 6, v7
	s_cbranch_vccz .LBB521_717
; %bb.716:
	v_cvt_f64_f32_e32 v[8:9], v1
	s_mov_b32 s26, 0
	global_store_b64 v[3:4], v[8:9], off
.LBB521_717:
	s_and_not1_b32 vcc_lo, exec_lo, s26
	s_cbranch_vccnz .LBB521_719
; %bb.718:
	global_store_b32 v[3:4], v1, off
.LBB521_719:
	s_mov_b32 s26, 0
.LBB521_720:
	s_delay_alu instid0(SALU_CYCLE_1)
	s_and_not1_b32 vcc_lo, exec_lo, s26
	s_cbranch_vccnz .LBB521_722
; %bb.721:
	v_cvt_f16_f32_e32 v0, v1
	global_store_b16 v[3:4], v0, off
.LBB521_722:
	s_mov_b32 s26, 0
.LBB521_723:
	s_delay_alu instid0(SALU_CYCLE_1)
	s_and_not1_b32 vcc_lo, exec_lo, s26
	s_cbranch_vccnz .LBB521_739
; %bb.724:
	v_cmp_gt_i16_e32 vcc_lo, 2, v7
	s_mov_b32 s26, -1
	s_cbranch_vccnz .LBB521_734
; %bb.725:
	v_cmp_gt_i16_e32 vcc_lo, 3, v7
	s_cbranch_vccnz .LBB521_731
; %bb.726:
	v_cmp_lt_i16_e32 vcc_lo, 3, v7
	s_cbranch_vccz .LBB521_728
; %bb.727:
	v_trunc_f32_e32 v0, v1
	s_mov_b32 s26, 0
	s_delay_alu instid0(VALU_DEP_1) | instskip(NEXT) | instid1(VALU_DEP_1)
	v_mul_f32_e64 v2, 0x2f800000, |v0|
	v_floor_f32_e32 v2, v2
	s_delay_alu instid0(VALU_DEP_1) | instskip(SKIP_2) | instid1(VALU_DEP_3)
	v_fma_f32 v8, 0xcf800000, v2, |v0|
	v_ashrrev_i32_e32 v0, 31, v0
	v_cvt_u32_f32_e32 v2, v2
	v_cvt_u32_f32_e32 v8, v8
	s_delay_alu instid0(VALU_DEP_2) | instskip(NEXT) | instid1(VALU_DEP_2)
	v_xor_b32_e32 v2, v2, v0
	v_xor_b32_e32 v8, v8, v0
	s_delay_alu instid0(VALU_DEP_1) | instskip(NEXT) | instid1(VALU_DEP_3)
	v_sub_co_u32 v8, vcc_lo, v8, v0
	v_sub_co_ci_u32_e32 v9, vcc_lo, v2, v0, vcc_lo
	global_store_b64 v[3:4], v[8:9], off
.LBB521_728:
	s_and_not1_b32 vcc_lo, exec_lo, s26
	s_cbranch_vccnz .LBB521_730
; %bb.729:
	v_cvt_i32_f32_e32 v0, v1
	global_store_b32 v[3:4], v0, off
.LBB521_730:
	s_mov_b32 s26, 0
.LBB521_731:
	s_delay_alu instid0(SALU_CYCLE_1)
	s_and_not1_b32 vcc_lo, exec_lo, s26
	s_cbranch_vccnz .LBB521_733
; %bb.732:
	v_cvt_i32_f32_e32 v0, v1
	global_store_b16 v[3:4], v0, off
.LBB521_733:
	s_mov_b32 s26, 0
.LBB521_734:
	s_delay_alu instid0(SALU_CYCLE_1)
	s_and_not1_b32 vcc_lo, exec_lo, s26
	s_cbranch_vccnz .LBB521_739
; %bb.735:
	v_cmp_lt_i16_e32 vcc_lo, 0, v7
	s_mov_b32 s26, -1
	s_cbranch_vccz .LBB521_737
; %bb.736:
	v_cvt_i32_f32_e32 v0, v1
	s_mov_b32 s26, 0
	global_store_b8 v[3:4], v0, off
.LBB521_737:
	s_and_not1_b32 vcc_lo, exec_lo, s26
	s_cbranch_vccnz .LBB521_739
; %bb.738:
	v_trunc_f32_e32 v0, v1
	s_delay_alu instid0(VALU_DEP_1) | instskip(NEXT) | instid1(VALU_DEP_1)
	v_mul_f32_e64 v1, 0x2f800000, |v0|
	v_floor_f32_e32 v1, v1
	s_delay_alu instid0(VALU_DEP_1) | instskip(SKIP_1) | instid1(VALU_DEP_2)
	v_fma_f32 v1, 0xcf800000, v1, |v0|
	v_ashrrev_i32_e32 v0, 31, v0
	v_cvt_u32_f32_e32 v1, v1
	s_delay_alu instid0(VALU_DEP_1) | instskip(NEXT) | instid1(VALU_DEP_1)
	v_xor_b32_e32 v1, v1, v0
	v_sub_nc_u32_e32 v0, v1, v0
	global_store_b8 v[3:4], v0, off
.LBB521_739:
	s_branch .LBB521_816
.LBB521_740:
	s_mov_b32 s45, 0
.LBB521_741:
                                        ; implicit-def: $vgpr6
	s_branch .LBB521_817
.LBB521_742:
	s_mov_b32 s2, s42
	s_branch .LBB521_773
.LBB521_743:
	s_mov_b32 s2, s42
	s_branch .LBB521_756
.LBB521_744:
	s_mov_b32 s2, s42
	s_branch .LBB521_752
.LBB521_745:
	s_mov_b32 s2, s42
.LBB521_746:
	s_and_b32 vcc_lo, exec_lo, s27
	s_cbranch_vccz .LBB521_751
; %bb.747:
	v_cmp_eq_u16_e32 vcc_lo, 44, v7
	s_mov_b32 s2, -1
	s_cbranch_vccz .LBB521_751
; %bb.748:
	v_bfe_u32 v2, v1, 23, 8
	v_mov_b32_e32 v0, 0xff
	s_mov_b32 s26, exec_lo
	s_delay_alu instid0(VALU_DEP_2)
	v_cmpx_ne_u32_e32 0xff, v2
; %bb.749:
	v_and_b32_e32 v0, 0x400000, v1
	v_and_or_b32 v2, 0x3fffff, v1, v2
	s_delay_alu instid0(VALU_DEP_2) | instskip(NEXT) | instid1(VALU_DEP_2)
	v_cmp_ne_u32_e32 vcc_lo, 0, v0
	v_cmp_ne_u32_e64 s2, 0, v2
	v_lshrrev_b32_e32 v0, 23, v1
	s_delay_alu instid0(VALU_DEP_2) | instskip(NEXT) | instid1(SALU_CYCLE_1)
	s_and_b32 s2, vcc_lo, s2
	v_cndmask_b32_e64 v2, 0, 1, s2
	s_delay_alu instid0(VALU_DEP_1)
	v_add_nc_u32_e32 v0, v0, v2
; %bb.750:
	s_or_b32 exec_lo, exec_lo, s26
	s_mov_b32 s26, -1
	s_mov_b32 s2, 0
	global_store_b8 v[3:4], v0, off
.LBB521_751:
	s_mov_b32 s27, 0
.LBB521_752:
	s_delay_alu instid0(SALU_CYCLE_1)
	s_and_b32 vcc_lo, exec_lo, s27
	s_cbranch_vccz .LBB521_755
; %bb.753:
	v_cmp_eq_u16_e32 vcc_lo, 29, v7
	s_mov_b32 s2, -1
	s_cbranch_vccz .LBB521_755
; %bb.754:
	v_trunc_f32_e32 v0, v1
	s_mov_b32 s26, -1
	s_mov_b32 s2, 0
	s_mov_b32 s27, 0
	s_delay_alu instid0(VALU_DEP_1) | instskip(NEXT) | instid1(VALU_DEP_1)
	v_mul_f32_e32 v2, 0x2f800000, v0
	v_floor_f32_e32 v2, v2
	s_delay_alu instid0(VALU_DEP_1) | instskip(SKIP_1) | instid1(VALU_DEP_2)
	v_fmamk_f32 v0, v2, 0xcf800000, v0
	v_cvt_u32_f32_e32 v9, v2
	v_cvt_u32_f32_e32 v8, v0
	global_store_b64 v[3:4], v[8:9], off
	s_branch .LBB521_756
.LBB521_755:
	s_mov_b32 s27, 0
.LBB521_756:
	s_delay_alu instid0(SALU_CYCLE_1)
	s_and_b32 vcc_lo, exec_lo, s27
	s_cbranch_vccz .LBB521_772
; %bb.757:
	v_cmp_gt_i16_e32 vcc_lo, 27, v7
	s_mov_b32 s26, -1
	s_cbranch_vccnz .LBB521_763
; %bb.758:
	v_cmp_lt_i16_e32 vcc_lo, 27, v7
	s_cbranch_vccz .LBB521_760
; %bb.759:
	v_cvt_u32_f32_e32 v0, v1
	s_mov_b32 s26, 0
	global_store_b32 v[3:4], v0, off
.LBB521_760:
	s_and_not1_b32 vcc_lo, exec_lo, s26
	s_cbranch_vccnz .LBB521_762
; %bb.761:
	v_cvt_u32_f32_e32 v0, v1
	global_store_b16 v[3:4], v0, off
.LBB521_762:
	s_mov_b32 s26, 0
.LBB521_763:
	s_delay_alu instid0(SALU_CYCLE_1)
	s_and_not1_b32 vcc_lo, exec_lo, s26
	s_cbranch_vccnz .LBB521_771
; %bb.764:
	v_and_b32_e32 v0, 0x7fffffff, v1
	v_mov_b32_e32 v2, 0x80
	s_mov_b32 s26, exec_lo
	s_delay_alu instid0(VALU_DEP_2)
	v_cmpx_gt_u32_e32 0x43800000, v0
	s_cbranch_execz .LBB521_770
; %bb.765:
	v_cmp_lt_u32_e32 vcc_lo, 0x3bffffff, v0
	s_mov_b32 s27, 0
                                        ; implicit-def: $vgpr0
	s_and_saveexec_b32 s45, vcc_lo
	s_delay_alu instid0(SALU_CYCLE_1)
	s_xor_b32 s45, exec_lo, s45
	s_cbranch_execz .LBB521_844
; %bb.766:
	v_bfe_u32 v0, v1, 20, 1
	s_mov_b32 s27, exec_lo
	s_delay_alu instid0(VALU_DEP_1) | instskip(NEXT) | instid1(VALU_DEP_1)
	v_add3_u32 v0, v1, v0, 0x487ffff
	v_lshrrev_b32_e32 v0, 20, v0
	s_or_saveexec_b32 s45, s45
                                        ; implicit-def: $sgpr46
	s_delay_alu instid0(SALU_CYCLE_1)
	s_xor_b32 exec_lo, exec_lo, s45
	s_cbranch_execnz .LBB521_845
.LBB521_767:
	s_or_b32 exec_lo, exec_lo, s45
	v_mov_b32_e32 v2, s46
	s_and_saveexec_b32 s45, s27
.LBB521_768:
	v_lshrrev_b32_e32 v2, 24, v1
	s_delay_alu instid0(VALU_DEP_1)
	v_and_or_b32 v2, 0x80, v2, v0
.LBB521_769:
	s_or_b32 exec_lo, exec_lo, s45
.LBB521_770:
	s_delay_alu instid0(SALU_CYCLE_1)
	s_or_b32 exec_lo, exec_lo, s26
	global_store_b8 v[3:4], v2, off
.LBB521_771:
	s_mov_b32 s26, -1
.LBB521_772:
	s_mov_b32 s27, 0
.LBB521_773:
	s_delay_alu instid0(SALU_CYCLE_1)
	s_and_b32 vcc_lo, exec_lo, s27
	s_cbranch_vccz .LBB521_814
; %bb.774:
	v_cmp_lt_i16_e32 vcc_lo, 22, v7
	s_mov_b32 s27, -1
	s_cbranch_vccz .LBB521_806
; %bb.775:
	v_cmp_gt_i16_e32 vcc_lo, 24, v7
	s_mov_b32 s26, -1
	s_cbranch_vccnz .LBB521_795
; %bb.776:
	v_cmp_lt_i16_e32 vcc_lo, 24, v7
	s_cbranch_vccz .LBB521_784
; %bb.777:
	v_and_b32_e32 v0, 0x7fffffff, v1
	v_mov_b32_e32 v2, 0x80
	s_mov_b32 s26, exec_lo
	s_delay_alu instid0(VALU_DEP_2)
	v_cmpx_gt_u32_e32 0x47800000, v0
	s_cbranch_execz .LBB521_783
; %bb.778:
	v_cmp_lt_u32_e32 vcc_lo, 0x37ffffff, v0
	s_mov_b32 s27, 0
                                        ; implicit-def: $vgpr0
	s_and_saveexec_b32 s45, vcc_lo
	s_delay_alu instid0(SALU_CYCLE_1)
	s_xor_b32 s45, exec_lo, s45
	s_cbranch_execz .LBB521_847
; %bb.779:
	v_bfe_u32 v0, v1, 21, 1
	s_mov_b32 s27, exec_lo
	s_delay_alu instid0(VALU_DEP_1) | instskip(NEXT) | instid1(VALU_DEP_1)
	v_add3_u32 v0, v1, v0, 0x88fffff
	v_lshrrev_b32_e32 v0, 21, v0
	s_or_saveexec_b32 s45, s45
                                        ; implicit-def: $sgpr46
	s_delay_alu instid0(SALU_CYCLE_1)
	s_xor_b32 exec_lo, exec_lo, s45
	s_cbranch_execnz .LBB521_848
.LBB521_780:
	s_or_b32 exec_lo, exec_lo, s45
	v_mov_b32_e32 v2, s46
	s_and_saveexec_b32 s45, s27
.LBB521_781:
	v_lshrrev_b32_e32 v2, 24, v1
	s_delay_alu instid0(VALU_DEP_1)
	v_and_or_b32 v2, 0x80, v2, v0
.LBB521_782:
	s_or_b32 exec_lo, exec_lo, s45
.LBB521_783:
	s_delay_alu instid0(SALU_CYCLE_1)
	s_or_b32 exec_lo, exec_lo, s26
	s_mov_b32 s26, 0
	global_store_b8 v[3:4], v2, off
.LBB521_784:
	s_and_b32 vcc_lo, exec_lo, s26
	s_cbranch_vccz .LBB521_794
; %bb.785:
	v_and_b32_e32 v2, 0x7fffffff, v1
	s_mov_b32 s26, exec_lo
                                        ; implicit-def: $vgpr0
	s_delay_alu instid0(VALU_DEP_1)
	v_cmpx_gt_u32_e32 0x43f00000, v2
	s_xor_b32 s26, exec_lo, s26
	s_cbranch_execz .LBB521_791
; %bb.786:
	s_mov_b32 s27, exec_lo
                                        ; implicit-def: $vgpr0
	v_cmpx_lt_u32_e32 0x3c7fffff, v2
	s_xor_b32 s27, exec_lo, s27
; %bb.787:
	v_bfe_u32 v0, v1, 20, 1
	s_delay_alu instid0(VALU_DEP_1) | instskip(NEXT) | instid1(VALU_DEP_1)
	v_add3_u32 v0, v1, v0, 0x407ffff
	v_and_b32_e32 v2, 0xff00000, v0
	v_lshrrev_b32_e32 v0, 20, v0
	s_delay_alu instid0(VALU_DEP_2) | instskip(NEXT) | instid1(VALU_DEP_2)
	v_cmp_ne_u32_e32 vcc_lo, 0x7f00000, v2
	v_cndmask_b32_e32 v0, 0x7e, v0, vcc_lo
; %bb.788:
	s_and_not1_saveexec_b32 s27, s27
; %bb.789:
	v_add_f32_e64 v0, 0x46800000, |v1|
; %bb.790:
	s_or_b32 exec_lo, exec_lo, s27
                                        ; implicit-def: $vgpr2
.LBB521_791:
	s_and_not1_saveexec_b32 s26, s26
; %bb.792:
	v_mov_b32_e32 v0, 0x7f
	v_cmp_lt_u32_e32 vcc_lo, 0x7f800000, v2
	s_delay_alu instid0(VALU_DEP_2)
	v_cndmask_b32_e32 v0, 0x7e, v0, vcc_lo
; %bb.793:
	s_or_b32 exec_lo, exec_lo, s26
	v_lshrrev_b32_e32 v2, 24, v1
	s_delay_alu instid0(VALU_DEP_1)
	v_and_or_b32 v0, 0x80, v2, v0
	global_store_b8 v[3:4], v0, off
.LBB521_794:
	s_mov_b32 s26, 0
.LBB521_795:
	s_delay_alu instid0(SALU_CYCLE_1)
	s_and_not1_b32 vcc_lo, exec_lo, s26
	s_cbranch_vccnz .LBB521_805
; %bb.796:
	v_and_b32_e32 v2, 0x7fffffff, v1
	s_mov_b32 s26, exec_lo
                                        ; implicit-def: $vgpr0
	s_delay_alu instid0(VALU_DEP_1)
	v_cmpx_gt_u32_e32 0x47800000, v2
	s_xor_b32 s26, exec_lo, s26
	s_cbranch_execz .LBB521_802
; %bb.797:
	s_mov_b32 s27, exec_lo
                                        ; implicit-def: $vgpr0
	v_cmpx_lt_u32_e32 0x387fffff, v2
	s_xor_b32 s27, exec_lo, s27
; %bb.798:
	v_bfe_u32 v0, v1, 21, 1
	s_delay_alu instid0(VALU_DEP_1) | instskip(NEXT) | instid1(VALU_DEP_1)
	v_add3_u32 v0, v1, v0, 0x80fffff
	v_lshrrev_b32_e32 v0, 21, v0
; %bb.799:
	s_and_not1_saveexec_b32 s27, s27
; %bb.800:
	v_add_f32_e64 v0, 0x43000000, |v1|
; %bb.801:
	s_or_b32 exec_lo, exec_lo, s27
                                        ; implicit-def: $vgpr2
.LBB521_802:
	s_and_not1_saveexec_b32 s26, s26
; %bb.803:
	v_mov_b32_e32 v0, 0x7f
	v_cmp_lt_u32_e32 vcc_lo, 0x7f800000, v2
	s_delay_alu instid0(VALU_DEP_2)
	v_cndmask_b32_e32 v0, 0x7c, v0, vcc_lo
; %bb.804:
	s_or_b32 exec_lo, exec_lo, s26
	v_lshrrev_b32_e32 v2, 24, v1
	s_delay_alu instid0(VALU_DEP_1)
	v_and_or_b32 v0, 0x80, v2, v0
	global_store_b8 v[3:4], v0, off
.LBB521_805:
	s_mov_b32 s27, 0
	s_mov_b32 s26, -1
.LBB521_806:
	s_and_not1_b32 vcc_lo, exec_lo, s27
	s_cbranch_vccnz .LBB521_814
; %bb.807:
	v_cmp_lt_i16_e32 vcc_lo, 14, v7
	s_mov_b32 s27, -1
	s_cbranch_vccz .LBB521_811
; %bb.808:
	v_cmp_eq_u16_e32 vcc_lo, 15, v7
	s_mov_b32 s2, -1
	s_cbranch_vccz .LBB521_810
; %bb.809:
	v_bfe_u32 v0, v1, 16, 1
	v_cmp_o_f32_e32 vcc_lo, v1, v1
	s_mov_b32 s26, -1
	s_mov_b32 s2, 0
	s_delay_alu instid0(VALU_DEP_2) | instskip(NEXT) | instid1(VALU_DEP_1)
	v_add3_u32 v0, v1, v0, 0x7fff
	v_lshrrev_b32_e32 v0, 16, v0
	s_delay_alu instid0(VALU_DEP_1)
	v_cndmask_b32_e32 v0, 0x7fc0, v0, vcc_lo
	global_store_b16 v[3:4], v0, off
.LBB521_810:
	s_mov_b32 s27, 0
.LBB521_811:
	s_delay_alu instid0(SALU_CYCLE_1)
	s_and_b32 vcc_lo, exec_lo, s27
	s_cbranch_vccz .LBB521_814
; %bb.812:
	v_cmp_eq_u16_e32 vcc_lo, 11, v7
	s_mov_b32 s2, -1
	s_cbranch_vccz .LBB521_814
; %bb.813:
	v_cmp_neq_f32_e32 vcc_lo, 0, v1
	s_mov_b32 s2, 0
	s_mov_b32 s26, -1
	v_cndmask_b32_e64 v0, 0, 1, vcc_lo
	global_store_b8 v[3:4], v0, off
.LBB521_814:
.LBB521_815:
	s_and_not1_b32 vcc_lo, exec_lo, s26
	s_cbranch_vccnz .LBB521_740
.LBB521_816:
	v_add_nc_u32_e32 v6, 0x80, v6
	s_mov_b32 s45, -1
.LBB521_817:
	s_and_not1_b32 s26, s42, exec_lo
	s_and_b32 s2, s2, exec_lo
	s_and_not1_b32 s46, s41, exec_lo
	s_and_b32 s3, s3, exec_lo
	s_or_b32 s27, s26, s2
	s_or_b32 s26, s46, s3
	s_or_not1_b32 s46, s45, exec_lo
.LBB521_818:
	s_or_b32 exec_lo, exec_lo, s44
	s_mov_b32 s2, 0
	s_mov_b32 s3, 0
	;; [unrolled: 1-line block ×3, first 2 shown]
                                        ; implicit-def: $vgpr1_vgpr2
                                        ; implicit-def: $vgpr0
                                        ; implicit-def: $vgpr7
	s_and_saveexec_b32 s44, s46
	s_cbranch_execz .LBB521_916
; %bb.819:
	v_cmp_gt_i32_e32 vcc_lo, s35, v6
	s_mov_b32 s47, s26
	s_mov_b32 s46, 0
                                        ; implicit-def: $vgpr1_vgpr2
                                        ; implicit-def: $vgpr0
                                        ; implicit-def: $vgpr7
	s_and_saveexec_b32 s35, vcc_lo
	s_cbranch_execz .LBB521_915
; %bb.820:
	s_and_not1_b32 vcc_lo, exec_lo, s31
	s_cbranch_vccnz .LBB521_825
; %bb.821:
	v_dual_mov_b32 v0, 0 :: v_dual_mov_b32 v1, 0
	s_and_not1_b32 vcc_lo, exec_lo, s37
	s_mov_b32 s37, 0
	s_cbranch_vccnz .LBB521_830
; %bb.822:
	v_mov_b32_e32 v0, 0
	s_add_i32 s45, s36, 1
	s_cmp_eq_u32 s29, 2
	s_mov_b32 s36, 0
	s_cbranch_scc1 .LBB521_826
; %bb.823:
	v_dual_mov_b32 v1, 0 :: v_dual_mov_b32 v0, 0
	v_mov_b32_e32 v2, v6
	s_and_b32 s36, s45, 28
	s_mov_b64 s[2:3], s[20:21]
.LBB521_824:                            ; =>This Inner Loop Header: Depth=1
	s_clause 0x1
	s_load_b256 s[48:55], s[2:3], 0x4
	s_load_b128 s[64:67], s[2:3], 0x24
	s_load_b256 s[56:63], s[24:25], 0x0
	s_add_u32 s2, s2, 48
	s_addc_u32 s3, s3, 0
	s_add_i32 s46, s46, 4
	s_add_u32 s24, s24, 32
	s_addc_u32 s25, s25, 0
	s_cmp_eq_u32 s36, s46
	s_waitcnt vmcnt(0) lgkmcnt(0)
	v_mul_hi_u32 v3, s49, v2
	s_delay_alu instid0(VALU_DEP_1) | instskip(NEXT) | instid1(VALU_DEP_1)
	v_add_nc_u32_e32 v3, v2, v3
	v_lshrrev_b32_e32 v3, s50, v3
	s_delay_alu instid0(VALU_DEP_1) | instskip(SKIP_1) | instid1(VALU_DEP_2)
	v_mul_hi_u32 v4, s52, v3
	v_mul_lo_u32 v8, v3, s48
	v_add_nc_u32_e32 v4, v3, v4
	s_delay_alu instid0(VALU_DEP_2) | instskip(NEXT) | instid1(VALU_DEP_2)
	v_sub_nc_u32_e32 v2, v2, v8
	v_lshrrev_b32_e32 v4, s53, v4
	s_delay_alu instid0(VALU_DEP_2) | instskip(SKIP_1) | instid1(VALU_DEP_3)
	v_mul_lo_u32 v8, v2, s56
	v_mul_lo_u32 v10, v2, s57
	v_mul_hi_u32 v7, s55, v4
	s_delay_alu instid0(VALU_DEP_1) | instskip(NEXT) | instid1(VALU_DEP_1)
	v_add_nc_u32_e32 v7, v4, v7
	v_lshrrev_b32_e32 v7, s64, v7
	s_delay_alu instid0(VALU_DEP_1) | instskip(SKIP_1) | instid1(VALU_DEP_2)
	v_mul_hi_u32 v9, s66, v7
	v_mul_lo_u32 v11, v7, s54
	v_add_nc_u32_e32 v2, v7, v9
	v_mul_lo_u32 v9, v4, s51
	s_delay_alu instid0(VALU_DEP_3) | instskip(NEXT) | instid1(VALU_DEP_3)
	v_sub_nc_u32_e32 v4, v4, v11
	v_lshrrev_b32_e32 v2, s67, v2
	s_delay_alu instid0(VALU_DEP_2) | instskip(SKIP_2) | instid1(VALU_DEP_4)
	v_mul_lo_u32 v11, v4, s60
	v_mul_lo_u32 v4, v4, s61
	v_sub_nc_u32_e32 v3, v3, v9
	v_mul_lo_u32 v12, v2, s65
	s_delay_alu instid0(VALU_DEP_2) | instskip(SKIP_1) | instid1(VALU_DEP_3)
	v_mul_lo_u32 v9, v3, s58
	v_mul_lo_u32 v3, v3, s59
	v_sub_nc_u32_e32 v7, v7, v12
	s_delay_alu instid0(VALU_DEP_3) | instskip(NEXT) | instid1(VALU_DEP_2)
	v_add3_u32 v0, v8, v0, v9
	v_mul_lo_u32 v12, v7, s62
	v_mul_lo_u32 v7, v7, s63
	v_add3_u32 v1, v10, v1, v3
	s_delay_alu instid0(VALU_DEP_3) | instskip(NEXT) | instid1(VALU_DEP_2)
	v_add3_u32 v0, v11, v0, v12
	v_add3_u32 v1, v4, v1, v7
	s_cbranch_scc0 .LBB521_824
	s_branch .LBB521_827
.LBB521_825:
	s_mov_b32 s37, -1
                                        ; implicit-def: $vgpr0
                                        ; implicit-def: $vgpr1
	s_branch .LBB521_830
.LBB521_826:
	v_dual_mov_b32 v2, v6 :: v_dual_mov_b32 v1, 0
.LBB521_827:
	s_and_b32 s45, s45, 3
	s_delay_alu instid0(SALU_CYCLE_1)
	s_cmp_eq_u32 s45, 0
	s_cbranch_scc1 .LBB521_830
; %bb.828:
	s_lshl_b32 s2, s36, 3
	s_mul_i32 s24, s36, 12
	s_add_u32 s2, s2, s20
	s_addc_u32 s3, s21, 0
	s_add_u32 s2, s2, 0xc4
	s_addc_u32 s3, s3, 0
	;; [unrolled: 2-line block ×3, first 2 shown]
.LBB521_829:                            ; =>This Inner Loop Header: Depth=1
	s_clause 0x1
	s_load_b64 s[46:47], s[24:25], 0x4
	s_load_b32 s36, s[24:25], 0xc
	s_load_b64 s[48:49], s[2:3], 0x0
	s_add_u32 s24, s24, 12
	s_addc_u32 s25, s25, 0
	s_add_u32 s2, s2, 8
	s_addc_u32 s3, s3, 0
	s_add_i32 s45, s45, -1
	s_delay_alu instid0(SALU_CYCLE_1) | instskip(SKIP_2) | instid1(VALU_DEP_1)
	s_cmp_lg_u32 s45, 0
	s_waitcnt vmcnt(0) lgkmcnt(0)
	v_mul_hi_u32 v3, s47, v2
	v_add_nc_u32_e32 v3, v2, v3
	s_delay_alu instid0(VALU_DEP_1) | instskip(NEXT) | instid1(VALU_DEP_1)
	v_lshrrev_b32_e32 v9, s36, v3
	v_mul_lo_u32 v3, v9, s46
	s_delay_alu instid0(VALU_DEP_1) | instskip(NEXT) | instid1(VALU_DEP_1)
	v_sub_nc_u32_e32 v2, v2, v3
	v_mad_u64_u32 v[3:4], null, v2, s48, v[0:1]
	v_mad_u64_u32 v[7:8], null, v2, s49, v[1:2]
	v_mov_b32_e32 v2, v9
	s_delay_alu instid0(VALU_DEP_3) | instskip(NEXT) | instid1(VALU_DEP_3)
	v_mov_b32_e32 v0, v3
	v_mov_b32_e32 v1, v7
	s_cbranch_scc1 .LBB521_829
.LBB521_830:
	s_and_not1_b32 vcc_lo, exec_lo, s37
	s_cbranch_vccnz .LBB521_833
; %bb.831:
	v_mul_hi_u32 v0, s17, v6
	s_and_not1_b32 vcc_lo, exec_lo, s11
	s_delay_alu instid0(VALU_DEP_1) | instskip(NEXT) | instid1(VALU_DEP_1)
	v_add_nc_u32_e32 v0, v6, v0
	v_lshrrev_b32_e32 v2, s18, v0
	s_delay_alu instid0(VALU_DEP_1) | instskip(NEXT) | instid1(VALU_DEP_1)
	v_mul_lo_u32 v0, v2, s16
	v_sub_nc_u32_e32 v1, v6, v0
	s_delay_alu instid0(VALU_DEP_1)
	v_mul_lo_u32 v0, v1, s12
	v_mul_lo_u32 v1, v1, s13
	s_cbranch_vccnz .LBB521_833
; %bb.832:
	s_waitcnt vmcnt(0)
	v_mul_hi_u32 v3, s22, v2
	s_delay_alu instid0(VALU_DEP_1) | instskip(NEXT) | instid1(VALU_DEP_1)
	v_add_nc_u32_e32 v3, v2, v3
	v_lshrrev_b32_e32 v3, s23, v3
	s_delay_alu instid0(VALU_DEP_1) | instskip(NEXT) | instid1(VALU_DEP_1)
	v_mul_lo_u32 v3, v3, s19
	v_sub_nc_u32_e32 v6, v2, v3
	s_delay_alu instid0(VALU_DEP_1) | instskip(NEXT) | instid1(VALU_DEP_1)
	v_mad_u64_u32 v[2:3], null, v6, s14, v[0:1]
	v_mad_u64_u32 v[3:4], null, v6, s15, v[1:2]
	s_delay_alu instid0(VALU_DEP_1)
	v_dual_mov_b32 v0, v2 :: v_dual_mov_b32 v1, v3
.LBB521_833:
	v_cmp_gt_i16_e32 vcc_lo, 11, v5
	s_delay_alu instid0(VALU_DEP_2) | instskip(NEXT) | instid1(VALU_DEP_1)
	v_add_co_u32 v1, s2, s6, v1
	v_add_co_ci_u32_e64 v2, null, s7, 0, s2
	s_mov_b32 s6, 0
	s_cbranch_vccnz .LBB521_840
; %bb.834:
	v_cmp_lt_i16_e32 vcc_lo, 25, v5
	s_mov_b32 s3, 0
	s_cbranch_vccz .LBB521_841
; %bb.835:
	v_cmp_lt_i16_e32 vcc_lo, 28, v5
	s_cbranch_vccz .LBB521_842
; %bb.836:
	v_cmp_lt_i16_e32 vcc_lo, 43, v5
	;; [unrolled: 3-line block ×3, first 2 shown]
	s_cbranch_vccz .LBB521_846
; %bb.838:
	v_cmp_eq_u16_e32 vcc_lo, 46, v5
	s_mov_b32 s7, 0
	s_cbranch_vccz .LBB521_849
; %bb.839:
	global_load_b32 v3, v[1:2], off
	s_mov_b32 s2, 0
	s_mov_b32 s6, -1
	s_waitcnt vmcnt(0)
	v_lshlrev_b32_e32 v7, 16, v3
	s_branch .LBB521_851
.LBB521_840:
	s_mov_b32 s7, -1
	s_mov_b32 s3, 0
	s_mov_b32 s2, s26
                                        ; implicit-def: $vgpr7
	s_branch .LBB521_914
.LBB521_841:
	s_mov_b32 s7, -1
	s_mov_b32 s2, s26
                                        ; implicit-def: $vgpr7
	s_branch .LBB521_880
.LBB521_842:
	s_mov_b32 s7, -1
	s_mov_b32 s2, s26
                                        ; implicit-def: $vgpr7
	s_branch .LBB521_861
.LBB521_843:
	s_mov_b32 s7, -1
	s_mov_b32 s2, s26
                                        ; implicit-def: $vgpr7
	s_branch .LBB521_856
.LBB521_844:
	s_or_saveexec_b32 s45, s45
                                        ; implicit-def: $sgpr46
	s_delay_alu instid0(SALU_CYCLE_1)
	s_xor_b32 exec_lo, exec_lo, s45
	s_cbranch_execz .LBB521_767
.LBB521_845:
	v_add_f32_e64 v0, 0x46000000, |v1|
	s_and_not1_b32 s27, s27, exec_lo
	s_mov_b32 s46, 0
	s_delay_alu instid0(VALU_DEP_1) | instskip(NEXT) | instid1(VALU_DEP_1)
	v_and_b32_e32 v0, 0xff, v0
	v_cmp_ne_u32_e32 vcc_lo, 0, v0
	s_and_b32 s47, vcc_lo, exec_lo
	s_delay_alu instid0(SALU_CYCLE_1)
	s_or_b32 s27, s27, s47
	s_or_b32 exec_lo, exec_lo, s45
	v_mov_b32_e32 v2, s46
	s_and_saveexec_b32 s45, s27
	s_cbranch_execnz .LBB521_768
	s_branch .LBB521_769
.LBB521_846:
	s_mov_b32 s7, -1
	s_mov_b32 s2, s26
	s_branch .LBB521_850
.LBB521_847:
	s_or_saveexec_b32 s45, s45
                                        ; implicit-def: $sgpr46
	s_delay_alu instid0(SALU_CYCLE_1)
	s_xor_b32 exec_lo, exec_lo, s45
	s_cbranch_execz .LBB521_780
.LBB521_848:
	v_add_f32_e64 v0, 0x42800000, |v1|
	s_and_not1_b32 s27, s27, exec_lo
	s_mov_b32 s46, 0
	s_delay_alu instid0(VALU_DEP_1) | instskip(NEXT) | instid1(VALU_DEP_1)
	v_and_b32_e32 v0, 0xff, v0
	v_cmp_ne_u32_e32 vcc_lo, 0, v0
	s_and_b32 s47, vcc_lo, exec_lo
	s_delay_alu instid0(SALU_CYCLE_1)
	s_or_b32 s27, s27, s47
	s_or_b32 exec_lo, exec_lo, s45
	v_mov_b32_e32 v2, s46
	s_and_saveexec_b32 s45, s27
	s_cbranch_execnz .LBB521_781
	s_branch .LBB521_782
.LBB521_849:
	s_mov_b32 s2, -1
.LBB521_850:
                                        ; implicit-def: $vgpr7
.LBB521_851:
	s_and_b32 vcc_lo, exec_lo, s7
	s_cbranch_vccz .LBB521_855
; %bb.852:
	v_cmp_eq_u16_e32 vcc_lo, 44, v5
	s_cbranch_vccz .LBB521_854
; %bb.853:
	global_load_u8 v3, v[1:2], off
	s_mov_b32 s2, 0
	s_mov_b32 s6, -1
	s_waitcnt vmcnt(0)
	v_lshlrev_b32_e32 v4, 23, v3
	v_cmp_ne_u32_e32 vcc_lo, 0xff, v3
	s_delay_alu instid0(VALU_DEP_2) | instskip(SKIP_1) | instid1(VALU_DEP_2)
	v_cndmask_b32_e32 v4, 0x7f800001, v4, vcc_lo
	v_cmp_ne_u32_e32 vcc_lo, 0, v3
	v_cndmask_b32_e32 v7, 0x400000, v4, vcc_lo
	s_branch .LBB521_855
.LBB521_854:
	s_mov_b32 s2, -1
                                        ; implicit-def: $vgpr7
.LBB521_855:
	s_mov_b32 s7, 0
.LBB521_856:
	s_delay_alu instid0(SALU_CYCLE_1)
	s_and_b32 vcc_lo, exec_lo, s7
	s_cbranch_vccz .LBB521_860
; %bb.857:
	v_cmp_eq_u16_e32 vcc_lo, 29, v5
	s_cbranch_vccz .LBB521_859
; %bb.858:
	global_load_b64 v[3:4], v[1:2], off
	s_mov_b32 s2, 0
	s_mov_b32 s6, -1
	s_mov_b32 s7, 0
	s_waitcnt vmcnt(0)
	v_clz_i32_u32_e32 v6, v4
	s_delay_alu instid0(VALU_DEP_1) | instskip(NEXT) | instid1(VALU_DEP_1)
	v_min_u32_e32 v6, 32, v6
	v_lshlrev_b64 v[3:4], v6, v[3:4]
	s_delay_alu instid0(VALU_DEP_1) | instskip(NEXT) | instid1(VALU_DEP_1)
	v_min_u32_e32 v3, 1, v3
	v_or_b32_e32 v3, v4, v3
	v_sub_nc_u32_e32 v4, 32, v6
	s_delay_alu instid0(VALU_DEP_2) | instskip(NEXT) | instid1(VALU_DEP_1)
	v_cvt_f32_u32_e32 v3, v3
	v_ldexp_f32 v7, v3, v4
	s_branch .LBB521_861
.LBB521_859:
	s_mov_b32 s2, -1
                                        ; implicit-def: $vgpr7
.LBB521_860:
	s_mov_b32 s7, 0
.LBB521_861:
	s_delay_alu instid0(SALU_CYCLE_1)
	s_and_b32 vcc_lo, exec_lo, s7
	s_cbranch_vccz .LBB521_879
; %bb.862:
	v_cmp_gt_i16_e32 vcc_lo, 27, v5
	s_cbranch_vccnz .LBB521_865
; %bb.863:
	v_cmp_lt_i16_e32 vcc_lo, 27, v5
	s_cbranch_vccz .LBB521_866
; %bb.864:
	global_load_b32 v3, v[1:2], off
	s_mov_b32 s6, 0
	s_waitcnt vmcnt(0)
	v_cvt_f32_u32_e32 v7, v3
	s_branch .LBB521_867
.LBB521_865:
	s_mov_b32 s6, -1
                                        ; implicit-def: $vgpr7
	s_branch .LBB521_870
.LBB521_866:
	s_mov_b32 s6, -1
                                        ; implicit-def: $vgpr7
.LBB521_867:
	s_delay_alu instid0(SALU_CYCLE_1)
	s_and_not1_b32 vcc_lo, exec_lo, s6
	s_cbranch_vccnz .LBB521_869
; %bb.868:
	global_load_u16 v3, v[1:2], off
	s_waitcnt vmcnt(0)
	v_cvt_f32_u32_e32 v7, v3
.LBB521_869:
	s_mov_b32 s6, 0
.LBB521_870:
	s_delay_alu instid0(SALU_CYCLE_1)
	s_and_not1_b32 vcc_lo, exec_lo, s6
	s_cbranch_vccnz .LBB521_878
; %bb.871:
	global_load_u8 v3, v[1:2], off
	s_mov_b32 s6, 0
	s_mov_b32 s11, exec_lo
                                        ; implicit-def: $sgpr7
	s_waitcnt vmcnt(0)
	v_cmpx_lt_i16_e32 0x7f, v3
	s_xor_b32 s11, exec_lo, s11
	s_cbranch_execz .LBB521_892
; %bb.872:
	s_mov_b32 s6, -1
	s_mov_b32 s12, exec_lo
                                        ; implicit-def: $sgpr7
	v_cmpx_eq_u16_e32 0x80, v3
; %bb.873:
	s_mov_b32 s7, 0x7f800001
	s_xor_b32 s6, exec_lo, -1
; %bb.874:
	s_or_b32 exec_lo, exec_lo, s12
	s_delay_alu instid0(SALU_CYCLE_1)
	s_and_b32 s6, s6, exec_lo
	s_or_saveexec_b32 s11, s11
	v_mov_b32_e32 v7, s7
	s_xor_b32 exec_lo, exec_lo, s11
	s_cbranch_execnz .LBB521_893
.LBB521_875:
	s_or_b32 exec_lo, exec_lo, s11
	s_and_saveexec_b32 s7, s6
	s_cbranch_execz .LBB521_877
.LBB521_876:
	v_and_b32_e32 v4, 0xffff, v3
	s_delay_alu instid0(VALU_DEP_1) | instskip(NEXT) | instid1(VALU_DEP_1)
	v_and_b32_e32 v6, 7, v4
	v_clz_i32_u32_e32 v7, v6
	s_delay_alu instid0(VALU_DEP_1) | instskip(NEXT) | instid1(VALU_DEP_1)
	v_min_u32_e32 v7, 32, v7
	v_subrev_nc_u32_e32 v8, 28, v7
	v_sub_nc_u32_e32 v7, 29, v7
	s_delay_alu instid0(VALU_DEP_2) | instskip(SKIP_1) | instid1(VALU_DEP_2)
	v_lshlrev_b32_e32 v8, v8, v4
	v_bfe_u32 v4, v4, 3, 4
	v_and_b32_e32 v8, 7, v8
	s_delay_alu instid0(VALU_DEP_2) | instskip(NEXT) | instid1(VALU_DEP_2)
	v_cmp_eq_u32_e32 vcc_lo, 0, v4
	v_dual_cndmask_b32 v6, v6, v8 :: v_dual_lshlrev_b32 v3, 24, v3
	v_cndmask_b32_e32 v4, v4, v7, vcc_lo
	s_delay_alu instid0(VALU_DEP_2) | instskip(NEXT) | instid1(VALU_DEP_3)
	v_and_b32_e32 v3, 0x80000000, v3
	v_lshlrev_b32_e32 v6, 20, v6
	s_delay_alu instid0(VALU_DEP_3) | instskip(NEXT) | instid1(VALU_DEP_1)
	v_lshl_add_u32 v4, v4, 23, 0x3b800000
	v_or3_b32 v7, v3, v4, v6
.LBB521_877:
	s_or_b32 exec_lo, exec_lo, s7
.LBB521_878:
	s_mov_b32 s6, -1
.LBB521_879:
	s_mov_b32 s7, 0
.LBB521_880:
	s_delay_alu instid0(SALU_CYCLE_1)
	s_and_b32 vcc_lo, exec_lo, s7
	s_cbranch_vccz .LBB521_913
; %bb.881:
	v_cmp_lt_i16_e32 vcc_lo, 22, v5
	s_cbranch_vccz .LBB521_891
; %bb.882:
	v_cmp_gt_i16_e32 vcc_lo, 24, v5
	s_cbranch_vccnz .LBB521_894
; %bb.883:
	v_cmp_lt_i16_e32 vcc_lo, 24, v5
	s_cbranch_vccz .LBB521_895
; %bb.884:
	global_load_u8 v3, v[1:2], off
	s_mov_b32 s7, exec_lo
                                        ; implicit-def: $sgpr6
	s_waitcnt vmcnt(0)
	v_cmpx_lt_i16_e32 0x7f, v3
	s_xor_b32 s7, exec_lo, s7
	s_cbranch_execz .LBB521_907
; %bb.885:
	s_mov_b32 s3, -1
	s_mov_b32 s11, exec_lo
                                        ; implicit-def: $sgpr6
	v_cmpx_eq_u16_e32 0x80, v3
; %bb.886:
	s_mov_b32 s6, 0x7f800001
	s_xor_b32 s3, exec_lo, -1
; %bb.887:
	s_or_b32 exec_lo, exec_lo, s11
	s_delay_alu instid0(SALU_CYCLE_1)
	s_and_b32 s3, s3, exec_lo
	s_or_saveexec_b32 s7, s7
	v_mov_b32_e32 v7, s6
	s_xor_b32 exec_lo, exec_lo, s7
	s_cbranch_execnz .LBB521_908
.LBB521_888:
	s_or_b32 exec_lo, exec_lo, s7
	s_and_saveexec_b32 s6, s3
	s_cbranch_execz .LBB521_890
.LBB521_889:
	v_and_b32_e32 v4, 0xffff, v3
	s_delay_alu instid0(VALU_DEP_1) | instskip(NEXT) | instid1(VALU_DEP_1)
	v_and_b32_e32 v6, 3, v4
	v_clz_i32_u32_e32 v7, v6
	s_delay_alu instid0(VALU_DEP_1) | instskip(NEXT) | instid1(VALU_DEP_1)
	v_min_u32_e32 v7, 32, v7
	v_subrev_nc_u32_e32 v8, 29, v7
	v_sub_nc_u32_e32 v7, 30, v7
	s_delay_alu instid0(VALU_DEP_2) | instskip(SKIP_1) | instid1(VALU_DEP_2)
	v_lshlrev_b32_e32 v8, v8, v4
	v_bfe_u32 v4, v4, 2, 5
	v_and_b32_e32 v8, 3, v8
	s_delay_alu instid0(VALU_DEP_2) | instskip(NEXT) | instid1(VALU_DEP_2)
	v_cmp_eq_u32_e32 vcc_lo, 0, v4
	v_dual_cndmask_b32 v6, v6, v8 :: v_dual_lshlrev_b32 v3, 24, v3
	v_cndmask_b32_e32 v4, v4, v7, vcc_lo
	s_delay_alu instid0(VALU_DEP_2) | instskip(NEXT) | instid1(VALU_DEP_3)
	v_and_b32_e32 v3, 0x80000000, v3
	v_lshlrev_b32_e32 v6, 21, v6
	s_delay_alu instid0(VALU_DEP_3) | instskip(NEXT) | instid1(VALU_DEP_1)
	v_lshl_add_u32 v4, v4, 23, 0x37800000
	v_or3_b32 v7, v3, v4, v6
.LBB521_890:
	s_or_b32 exec_lo, exec_lo, s6
	s_mov_b32 s3, 0
	s_branch .LBB521_896
.LBB521_891:
	s_mov_b32 s3, -1
                                        ; implicit-def: $vgpr7
	s_branch .LBB521_902
.LBB521_892:
	s_or_saveexec_b32 s11, s11
	v_mov_b32_e32 v7, s7
	s_xor_b32 exec_lo, exec_lo, s11
	s_cbranch_execz .LBB521_875
.LBB521_893:
	v_cmp_ne_u16_e32 vcc_lo, 0, v3
	v_mov_b32_e32 v7, 0
	s_and_not1_b32 s6, s6, exec_lo
	s_and_b32 s7, vcc_lo, exec_lo
	s_delay_alu instid0(SALU_CYCLE_1)
	s_or_b32 s6, s6, s7
	s_or_b32 exec_lo, exec_lo, s11
	s_and_saveexec_b32 s7, s6
	s_cbranch_execnz .LBB521_876
	s_branch .LBB521_877
.LBB521_894:
	s_mov_b32 s3, -1
                                        ; implicit-def: $vgpr7
	s_branch .LBB521_899
.LBB521_895:
	s_mov_b32 s3, -1
                                        ; implicit-def: $vgpr7
.LBB521_896:
	s_delay_alu instid0(SALU_CYCLE_1)
	s_and_b32 vcc_lo, exec_lo, s3
	s_cbranch_vccz .LBB521_898
; %bb.897:
	global_load_u8 v3, v[1:2], off
	s_waitcnt vmcnt(0)
	v_lshlrev_b32_e32 v3, 24, v3
	s_delay_alu instid0(VALU_DEP_1) | instskip(NEXT) | instid1(VALU_DEP_1)
	v_and_b32_e32 v4, 0x7f000000, v3
	v_clz_i32_u32_e32 v6, v4
	v_add_nc_u32_e32 v8, 0x1000000, v4
	v_cmp_ne_u32_e32 vcc_lo, 0, v4
	s_delay_alu instid0(VALU_DEP_3) | instskip(NEXT) | instid1(VALU_DEP_1)
	v_min_u32_e32 v6, 32, v6
	v_sub_nc_u32_e64 v6, v6, 4 clamp
	s_delay_alu instid0(VALU_DEP_1) | instskip(SKIP_1) | instid1(VALU_DEP_2)
	v_lshlrev_b32_e32 v7, v6, v4
	v_lshlrev_b32_e32 v6, 23, v6
	v_lshrrev_b32_e32 v7, 4, v7
	s_delay_alu instid0(VALU_DEP_1) | instskip(SKIP_1) | instid1(VALU_DEP_2)
	v_sub_nc_u32_e32 v6, v7, v6
	v_ashrrev_i32_e32 v7, 8, v8
	v_add_nc_u32_e32 v6, 0x3c000000, v6
	s_delay_alu instid0(VALU_DEP_1) | instskip(NEXT) | instid1(VALU_DEP_1)
	v_and_or_b32 v6, 0x7f800000, v7, v6
	v_cndmask_b32_e32 v4, 0, v6, vcc_lo
	s_delay_alu instid0(VALU_DEP_1)
	v_and_or_b32 v7, 0x80000000, v3, v4
.LBB521_898:
	s_mov_b32 s3, 0
.LBB521_899:
	s_delay_alu instid0(SALU_CYCLE_1)
	s_and_not1_b32 vcc_lo, exec_lo, s3
	s_cbranch_vccnz .LBB521_901
; %bb.900:
	global_load_u8 v3, v[1:2], off
	s_waitcnt vmcnt(0)
	v_lshlrev_b32_e32 v4, 25, v3
	v_lshlrev_b16 v3, 8, v3
	s_delay_alu instid0(VALU_DEP_2) | instskip(NEXT) | instid1(VALU_DEP_2)
	v_lshrrev_b32_e32 v6, 4, v4
	v_and_or_b32 v7, 0x7f00, v3, 0.5
	v_cmp_gt_u32_e32 vcc_lo, 0x8000000, v4
	v_bfe_i32 v3, v3, 0, 16
	s_delay_alu instid0(VALU_DEP_4) | instskip(NEXT) | instid1(VALU_DEP_1)
	v_or_b32_e32 v6, 0x70000000, v6
	v_dual_add_f32 v7, -0.5, v7 :: v_dual_mul_f32 v6, 0x7800000, v6
	s_delay_alu instid0(VALU_DEP_1) | instskip(NEXT) | instid1(VALU_DEP_1)
	v_cndmask_b32_e32 v4, v6, v7, vcc_lo
	v_and_or_b32 v7, 0x80000000, v3, v4
.LBB521_901:
	s_mov_b32 s3, 0
	s_mov_b32 s6, -1
.LBB521_902:
	s_and_not1_b32 vcc_lo, exec_lo, s3
	s_mov_b32 s3, 0
	s_cbranch_vccnz .LBB521_913
; %bb.903:
	v_cmp_lt_i16_e32 vcc_lo, 14, v5
	s_cbranch_vccz .LBB521_906
; %bb.904:
	v_cmp_eq_u16_e32 vcc_lo, 15, v5
	s_cbranch_vccz .LBB521_909
; %bb.905:
	global_load_u16 v3, v[1:2], off
	s_mov_b32 s2, 0
	s_mov_b32 s6, -1
	s_waitcnt vmcnt(0)
	v_lshlrev_b32_e32 v7, 16, v3
	s_branch .LBB521_911
.LBB521_906:
	s_mov_b32 s3, -1
	s_branch .LBB521_910
.LBB521_907:
	s_or_saveexec_b32 s7, s7
	v_mov_b32_e32 v7, s6
	s_xor_b32 exec_lo, exec_lo, s7
	s_cbranch_execz .LBB521_888
.LBB521_908:
	v_cmp_ne_u16_e32 vcc_lo, 0, v3
	v_mov_b32_e32 v7, 0
	s_and_not1_b32 s3, s3, exec_lo
	s_and_b32 s6, vcc_lo, exec_lo
	s_delay_alu instid0(SALU_CYCLE_1)
	s_or_b32 s3, s3, s6
	s_or_b32 exec_lo, exec_lo, s7
	s_and_saveexec_b32 s6, s3
	s_cbranch_execnz .LBB521_889
	s_branch .LBB521_890
.LBB521_909:
	s_mov_b32 s2, -1
.LBB521_910:
                                        ; implicit-def: $vgpr7
.LBB521_911:
	s_and_b32 vcc_lo, exec_lo, s3
	s_mov_b32 s3, 0
	s_cbranch_vccz .LBB521_913
; %bb.912:
	v_cmp_ne_u16_e32 vcc_lo, 11, v5
	s_and_not1_b32 s2, s2, exec_lo
	s_mov_b32 s3, -1
                                        ; implicit-def: $vgpr7
	s_and_b32 s7, vcc_lo, exec_lo
	s_delay_alu instid0(SALU_CYCLE_1)
	s_or_b32 s2, s2, s7
.LBB521_913:
	s_mov_b32 s7, 0
.LBB521_914:
	s_and_b32 s45, s6, exec_lo
	s_and_b32 s46, s7, exec_lo
	s_and_not1_b32 s6, s26, exec_lo
	s_and_b32 s7, s2, exec_lo
	s_and_b32 s2, s3, exec_lo
	s_or_b32 s47, s6, s7
.LBB521_915:
	s_or_b32 exec_lo, exec_lo, s35
	s_delay_alu instid0(SALU_CYCLE_1)
	s_and_not1_b32 s6, s26, exec_lo
	s_and_b32 s7, s47, exec_lo
	s_and_b32 s45, s45, exec_lo
	;; [unrolled: 1-line block ×4, first 2 shown]
	s_or_b32 s26, s6, s7
.LBB521_916:
	s_or_b32 exec_lo, exec_lo, s44
	s_delay_alu instid0(SALU_CYCLE_1)
	s_and_not1_b32 s6, s42, exec_lo
	s_and_b32 s7, s27, exec_lo
	s_and_b32 s44, s45, exec_lo
	s_or_b32 s42, s6, s7
	s_and_not1_b32 s6, s41, exec_lo
	s_and_b32 s7, s26, exec_lo
	s_and_b32 s27, s3, exec_lo
	;; [unrolled: 1-line block ×3, first 2 shown]
	s_or_b32 s41, s6, s7
.LBB521_917:
	s_or_b32 exec_lo, exec_lo, s43
	s_delay_alu instid0(SALU_CYCLE_1)
	s_and_not1_b32 s2, s38, exec_lo
	s_and_b32 s6, s42, exec_lo
	s_and_b32 s7, s41, exec_lo
	s_or_b32 s38, s2, s6
	s_and_not1_b32 s6, s39, exec_lo
	s_and_b32 s2, s44, exec_lo
	s_and_b32 s26, s27, exec_lo
	;; [unrolled: 1-line block ×3, first 2 shown]
	s_or_b32 s39, s6, s7
.LBB521_918:
	s_or_b32 exec_lo, exec_lo, s40
	s_mov_b32 s3, 0
	s_and_saveexec_b32 s6, s39
	s_cbranch_execnz .LBB521_930
; %bb.919:
	s_or_b32 exec_lo, exec_lo, s6
	s_and_saveexec_b32 s6, s41
	s_delay_alu instid0(SALU_CYCLE_1)
	s_xor_b32 s6, exec_lo, s6
	s_cbranch_execz .LBB521_921
.LBB521_920:
	global_load_u8 v3, v[1:2], off
	s_or_b32 s2, s2, exec_lo
	s_waitcnt vmcnt(0)
	v_cmp_ne_u16_e32 vcc_lo, 0, v3
	v_cndmask_b32_e64 v7, 0, 1.0, vcc_lo
.LBB521_921:
	s_or_b32 exec_lo, exec_lo, s6
	s_and_saveexec_b32 s6, s26
	s_cbranch_execz .LBB521_969
; %bb.922:
	v_cmp_gt_i16_e32 vcc_lo, 5, v5
	s_cbranch_vccnz .LBB521_927
; %bb.923:
	v_cmp_gt_i16_e32 vcc_lo, 8, v5
	s_cbranch_vccnz .LBB521_928
	;; [unrolled: 3-line block ×3, first 2 shown]
; %bb.925:
	v_cmp_lt_i16_e32 vcc_lo, 9, v5
	s_cbranch_vccz .LBB521_932
; %bb.926:
	global_load_b64 v[3:4], v[1:2], off
	s_mov_b32 s7, 0
	s_waitcnt vmcnt(0)
	v_cvt_f32_f64_e32 v7, v[3:4]
	s_branch .LBB521_933
.LBB521_927:
                                        ; implicit-def: $vgpr7
	s_branch .LBB521_950
.LBB521_928:
                                        ; implicit-def: $vgpr7
	s_branch .LBB521_939
.LBB521_929:
	s_mov_b32 s7, -1
                                        ; implicit-def: $vgpr7
	s_branch .LBB521_936
.LBB521_930:
	s_cbranch_execnz .LBB521_1204
; %bb.931:
	s_mov_b32 s3, exec_lo
	s_and_not1_b32 s41, s41, exec_lo
                                        ; implicit-def: $vgpr7
	s_or_b32 exec_lo, exec_lo, s6
	s_and_saveexec_b32 s6, s41
	s_delay_alu instid0(SALU_CYCLE_1)
	s_xor_b32 s6, exec_lo, s6
	s_cbranch_execnz .LBB521_920
	s_branch .LBB521_921
.LBB521_932:
	s_mov_b32 s7, -1
                                        ; implicit-def: $vgpr7
.LBB521_933:
	s_delay_alu instid0(SALU_CYCLE_1)
	s_and_not1_b32 vcc_lo, exec_lo, s7
	s_cbranch_vccnz .LBB521_935
; %bb.934:
	global_load_b32 v7, v[1:2], off
.LBB521_935:
	s_mov_b32 s7, 0
.LBB521_936:
	s_delay_alu instid0(SALU_CYCLE_1)
	s_and_not1_b32 vcc_lo, exec_lo, s7
	s_cbranch_vccnz .LBB521_938
; %bb.937:
	global_load_b32 v3, v[1:2], off
	s_waitcnt vmcnt(0)
	v_cvt_f32_f16_e32 v7, v3
.LBB521_938:
	s_cbranch_execnz .LBB521_949
.LBB521_939:
	v_cmp_gt_i16_e32 vcc_lo, 6, v5
	s_cbranch_vccnz .LBB521_942
; %bb.940:
	v_cmp_lt_i16_e32 vcc_lo, 6, v5
	s_cbranch_vccz .LBB521_943
; %bb.941:
	global_load_b64 v[3:4], v[1:2], off
	s_mov_b32 s7, 0
	s_waitcnt vmcnt(0)
	v_cvt_f32_f64_e32 v7, v[3:4]
	s_branch .LBB521_944
.LBB521_942:
	s_mov_b32 s7, -1
                                        ; implicit-def: $vgpr7
	s_branch .LBB521_947
.LBB521_943:
	s_mov_b32 s7, -1
                                        ; implicit-def: $vgpr7
.LBB521_944:
	s_delay_alu instid0(SALU_CYCLE_1)
	s_and_not1_b32 vcc_lo, exec_lo, s7
	s_cbranch_vccnz .LBB521_946
; %bb.945:
	global_load_b32 v7, v[1:2], off
.LBB521_946:
	s_mov_b32 s7, 0
.LBB521_947:
	s_delay_alu instid0(SALU_CYCLE_1)
	s_and_not1_b32 vcc_lo, exec_lo, s7
	s_cbranch_vccnz .LBB521_949
; %bb.948:
	global_load_u16 v3, v[1:2], off
	s_waitcnt vmcnt(0)
	v_cvt_f32_f16_e32 v7, v3
.LBB521_949:
	s_cbranch_execnz .LBB521_968
.LBB521_950:
	v_cmp_gt_i16_e32 vcc_lo, 2, v5
	s_cbranch_vccnz .LBB521_954
; %bb.951:
	v_cmp_gt_i16_e32 vcc_lo, 3, v5
	s_cbranch_vccnz .LBB521_955
; %bb.952:
	v_cmp_lt_i16_e32 vcc_lo, 3, v5
	s_cbranch_vccz .LBB521_956
; %bb.953:
	global_load_b64 v[3:4], v[1:2], off
	s_mov_b32 s7, 0
	s_waitcnt vmcnt(0)
	v_xor_b32_e32 v6, v3, v4
	v_cls_i32_e32 v7, v4
	s_delay_alu instid0(VALU_DEP_2) | instskip(NEXT) | instid1(VALU_DEP_2)
	v_ashrrev_i32_e32 v6, 31, v6
	v_add_nc_u32_e32 v7, -1, v7
	s_delay_alu instid0(VALU_DEP_2) | instskip(NEXT) | instid1(VALU_DEP_1)
	v_add_nc_u32_e32 v6, 32, v6
	v_min_u32_e32 v6, v7, v6
	s_delay_alu instid0(VALU_DEP_1) | instskip(NEXT) | instid1(VALU_DEP_1)
	v_lshlrev_b64 v[3:4], v6, v[3:4]
	v_min_u32_e32 v3, 1, v3
	s_delay_alu instid0(VALU_DEP_1) | instskip(SKIP_1) | instid1(VALU_DEP_2)
	v_or_b32_e32 v3, v4, v3
	v_sub_nc_u32_e32 v4, 32, v6
	v_cvt_f32_i32_e32 v3, v3
	s_delay_alu instid0(VALU_DEP_1)
	v_ldexp_f32 v7, v3, v4
	s_branch .LBB521_957
.LBB521_954:
                                        ; implicit-def: $vgpr7
	s_branch .LBB521_963
.LBB521_955:
	s_mov_b32 s7, -1
                                        ; implicit-def: $vgpr7
	s_branch .LBB521_960
.LBB521_956:
	s_mov_b32 s7, -1
                                        ; implicit-def: $vgpr7
.LBB521_957:
	s_delay_alu instid0(SALU_CYCLE_1)
	s_and_not1_b32 vcc_lo, exec_lo, s7
	s_cbranch_vccnz .LBB521_959
; %bb.958:
	global_load_b32 v3, v[1:2], off
	s_waitcnt vmcnt(0)
	v_cvt_f32_i32_e32 v7, v3
.LBB521_959:
	s_mov_b32 s7, 0
.LBB521_960:
	s_delay_alu instid0(SALU_CYCLE_1)
	s_and_not1_b32 vcc_lo, exec_lo, s7
	s_cbranch_vccnz .LBB521_962
; %bb.961:
	global_load_i16 v3, v[1:2], off
	s_waitcnt vmcnt(0)
	v_cvt_f32_i32_e32 v7, v3
.LBB521_962:
	s_cbranch_execnz .LBB521_968
.LBB521_963:
	v_cmp_lt_i16_e32 vcc_lo, 0, v5
	s_mov_b32 s7, 0
	s_cbranch_vccz .LBB521_965
; %bb.964:
	global_load_i8 v3, v[1:2], off
	s_waitcnt vmcnt(0)
	v_cvt_f32_i32_e32 v7, v3
	s_branch .LBB521_966
.LBB521_965:
	s_mov_b32 s7, -1
                                        ; implicit-def: $vgpr7
.LBB521_966:
	s_delay_alu instid0(SALU_CYCLE_1)
	s_and_not1_b32 vcc_lo, exec_lo, s7
	s_cbranch_vccnz .LBB521_968
; %bb.967:
	global_load_u8 v1, v[1:2], off
	s_waitcnt vmcnt(0)
	v_cvt_f32_ubyte0_e32 v7, v1
.LBB521_968:
	s_or_b32 s2, s2, exec_lo
.LBB521_969:
	s_or_b32 exec_lo, exec_lo, s6
	s_mov_b32 s11, 0
	s_mov_b32 s7, 0
                                        ; implicit-def: $vgpr5
                                        ; implicit-def: $vgpr3_vgpr4
                                        ; implicit-def: $vgpr1
	s_and_saveexec_b32 s6, s2
	s_cbranch_execz .LBB521_1050
; %bb.970:
	v_mov_b32_e32 v1, s8
	s_mov_b32 s2, exec_lo
	s_waitcnt vmcnt(0)
	s_delay_alu instid0(VALU_DEP_2)
	v_cmpx_o_f32_e32 v7, v7
	s_cbranch_execz .LBB521_974
; %bb.971:
	v_mov_b32_e32 v1, s9
	s_mov_b32 s7, exec_lo
	v_cmpx_neq_f32_e32 0x7f800000, v7
; %bb.972:
	v_cmp_eq_f32_e32 vcc_lo, 0xff800000, v7
	v_cndmask_b32_e64 v1, v7, s10, vcc_lo
; %bb.973:
	s_or_b32 exec_lo, exec_lo, s7
.LBB521_974:
	s_delay_alu instid0(SALU_CYCLE_1) | instskip(SKIP_2) | instid1(VALU_DEP_1)
	s_or_b32 exec_lo, exec_lo, s2
	v_and_b32_e64 v5, 0xff, s34
	v_add_co_u32 v3, s2, s4, v0
	v_add_co_ci_u32_e64 v4, null, s5, 0, s2
	s_delay_alu instid0(VALU_DEP_3)
	v_cmp_gt_i16_e32 vcc_lo, 11, v5
	s_mov_b32 s8, 0
	s_mov_b32 s4, -1
	s_mov_b32 s2, s38
	s_cbranch_vccnz .LBB521_1049
; %bb.975:
	v_cmp_lt_i16_e32 vcc_lo, 25, v5
	s_mov_b32 s2, s38
	s_cbranch_vccz .LBB521_1008
; %bb.976:
	v_cmp_lt_i16_e32 vcc_lo, 28, v5
	s_mov_b32 s2, s38
	s_cbranch_vccz .LBB521_992
	;; [unrolled: 4-line block ×4, first 2 shown]
; %bb.979:
	v_cmp_eq_u16_e32 vcc_lo, 46, v5
	s_mov_b32 s2, -1
	s_cbranch_vccz .LBB521_981
; %bb.980:
	v_bfe_u32 v0, v1, 16, 1
	v_cmp_o_f32_e32 vcc_lo, v1, v1
	s_mov_b32 s2, 0
	s_delay_alu instid0(VALU_DEP_2) | instskip(NEXT) | instid1(VALU_DEP_1)
	v_add3_u32 v0, v1, v0, 0x7fff
	v_lshrrev_b32_e32 v0, 16, v0
	s_delay_alu instid0(VALU_DEP_1)
	v_cndmask_b32_e32 v0, 0x7fc0, v0, vcc_lo
	global_store_b32 v[3:4], v0, off
.LBB521_981:
	s_mov_b32 s4, 0
.LBB521_982:
	s_delay_alu instid0(SALU_CYCLE_1)
	s_and_b32 vcc_lo, exec_lo, s4
	s_cbranch_vccz .LBB521_987
; %bb.983:
	v_cmp_eq_u16_e32 vcc_lo, 44, v5
	s_mov_b32 s2, -1
	s_cbranch_vccz .LBB521_987
; %bb.984:
	v_bfe_u32 v2, v1, 23, 8
	v_mov_b32_e32 v0, 0xff
	s_mov_b32 s4, exec_lo
	s_delay_alu instid0(VALU_DEP_2)
	v_cmpx_ne_u32_e32 0xff, v2
; %bb.985:
	v_and_b32_e32 v0, 0x400000, v1
	v_and_or_b32 v2, 0x3fffff, v1, v2
	s_delay_alu instid0(VALU_DEP_2) | instskip(NEXT) | instid1(VALU_DEP_2)
	v_cmp_ne_u32_e32 vcc_lo, 0, v0
	v_cmp_ne_u32_e64 s2, 0, v2
	v_lshrrev_b32_e32 v0, 23, v1
	s_delay_alu instid0(VALU_DEP_2) | instskip(NEXT) | instid1(SALU_CYCLE_1)
	s_and_b32 s2, vcc_lo, s2
	v_cndmask_b32_e64 v2, 0, 1, s2
	s_delay_alu instid0(VALU_DEP_1)
	v_add_nc_u32_e32 v0, v0, v2
; %bb.986:
	s_or_b32 exec_lo, exec_lo, s4
	s_mov_b32 s2, 0
	global_store_b8 v[3:4], v0, off
.LBB521_987:
	s_mov_b32 s4, 0
.LBB521_988:
	s_delay_alu instid0(SALU_CYCLE_1)
	s_and_b32 vcc_lo, exec_lo, s4
	s_cbranch_vccz .LBB521_991
; %bb.989:
	v_cmp_eq_u16_e32 vcc_lo, 29, v5
	s_mov_b32 s2, -1
	s_cbranch_vccz .LBB521_991
; %bb.990:
	v_trunc_f32_e32 v0, v1
	s_mov_b32 s2, 0
	s_delay_alu instid0(VALU_DEP_1) | instskip(NEXT) | instid1(VALU_DEP_1)
	v_mul_f32_e32 v2, 0x2f800000, v0
	v_floor_f32_e32 v2, v2
	s_delay_alu instid0(VALU_DEP_1) | instskip(SKIP_1) | instid1(VALU_DEP_2)
	v_fmamk_f32 v0, v2, 0xcf800000, v0
	v_cvt_u32_f32_e32 v7, v2
	v_cvt_u32_f32_e32 v6, v0
	global_store_b64 v[3:4], v[6:7], off
.LBB521_991:
	s_mov_b32 s4, 0
.LBB521_992:
	s_delay_alu instid0(SALU_CYCLE_1)
	s_and_b32 vcc_lo, exec_lo, s4
	s_cbranch_vccz .LBB521_1007
; %bb.993:
	v_cmp_gt_i16_e32 vcc_lo, 27, v5
	s_mov_b32 s4, -1
	s_cbranch_vccnz .LBB521_999
; %bb.994:
	v_cmp_lt_i16_e32 vcc_lo, 27, v5
	v_cvt_u32_f32_e32 v0, v1
	s_cbranch_vccz .LBB521_996
; %bb.995:
	s_mov_b32 s4, 0
	global_store_b32 v[3:4], v0, off
.LBB521_996:
	s_and_not1_b32 vcc_lo, exec_lo, s4
	s_cbranch_vccnz .LBB521_998
; %bb.997:
	global_store_b16 v[3:4], v0, off
.LBB521_998:
	s_mov_b32 s4, 0
.LBB521_999:
	s_delay_alu instid0(SALU_CYCLE_1)
	s_and_not1_b32 vcc_lo, exec_lo, s4
	s_cbranch_vccnz .LBB521_1007
; %bb.1000:
	v_and_b32_e32 v0, 0x7fffffff, v1
	v_mov_b32_e32 v2, 0x80
	s_mov_b32 s4, exec_lo
	s_delay_alu instid0(VALU_DEP_2)
	v_cmpx_gt_u32_e32 0x43800000, v0
	s_cbranch_execz .LBB521_1006
; %bb.1001:
	v_cmp_lt_u32_e32 vcc_lo, 0x3bffffff, v0
	s_mov_b32 s5, 0
                                        ; implicit-def: $vgpr0
	s_and_saveexec_b32 s7, vcc_lo
	s_delay_alu instid0(SALU_CYCLE_1)
	s_xor_b32 s7, exec_lo, s7
	s_cbranch_execz .LBB521_1299
; %bb.1002:
	v_bfe_u32 v0, v1, 20, 1
	s_mov_b32 s5, exec_lo
	s_delay_alu instid0(VALU_DEP_1) | instskip(NEXT) | instid1(VALU_DEP_1)
	v_add3_u32 v0, v1, v0, 0x487ffff
	v_lshrrev_b32_e32 v0, 20, v0
	s_or_saveexec_b32 s7, s7
                                        ; implicit-def: $sgpr8
	s_delay_alu instid0(SALU_CYCLE_1)
	s_xor_b32 exec_lo, exec_lo, s7
	s_cbranch_execnz .LBB521_1300
.LBB521_1003:
	s_or_b32 exec_lo, exec_lo, s7
	v_mov_b32_e32 v2, s8
	s_and_saveexec_b32 s7, s5
.LBB521_1004:
	v_lshrrev_b32_e32 v2, 24, v1
	s_delay_alu instid0(VALU_DEP_1)
	v_and_or_b32 v2, 0x80, v2, v0
.LBB521_1005:
	s_or_b32 exec_lo, exec_lo, s7
.LBB521_1006:
	s_delay_alu instid0(SALU_CYCLE_1)
	s_or_b32 exec_lo, exec_lo, s4
	global_store_b8 v[3:4], v2, off
.LBB521_1007:
	s_mov_b32 s4, 0
.LBB521_1008:
	s_delay_alu instid0(SALU_CYCLE_1)
	s_and_b32 vcc_lo, exec_lo, s4
	s_mov_b32 s4, 0
	s_cbranch_vccz .LBB521_1048
; %bb.1009:
	v_cmp_lt_i16_e32 vcc_lo, 22, v5
	s_mov_b32 s5, -1
	s_cbranch_vccz .LBB521_1041
; %bb.1010:
	v_cmp_gt_i16_e32 vcc_lo, 24, v5
	s_cbranch_vccnz .LBB521_1030
; %bb.1011:
	v_cmp_lt_i16_e32 vcc_lo, 24, v5
	s_cbranch_vccz .LBB521_1019
; %bb.1012:
	v_and_b32_e32 v0, 0x7fffffff, v1
	v_mov_b32_e32 v2, 0x80
	s_mov_b32 s5, exec_lo
	s_delay_alu instid0(VALU_DEP_2)
	v_cmpx_gt_u32_e32 0x47800000, v0
	s_cbranch_execz .LBB521_1018
; %bb.1013:
	v_cmp_lt_u32_e32 vcc_lo, 0x37ffffff, v0
	s_mov_b32 s7, 0
                                        ; implicit-def: $vgpr0
	s_and_saveexec_b32 s8, vcc_lo
	s_delay_alu instid0(SALU_CYCLE_1)
	s_xor_b32 s8, exec_lo, s8
	s_cbranch_execz .LBB521_1343
; %bb.1014:
	v_bfe_u32 v0, v1, 21, 1
	s_mov_b32 s7, exec_lo
	s_delay_alu instid0(VALU_DEP_1) | instskip(NEXT) | instid1(VALU_DEP_1)
	v_add3_u32 v0, v1, v0, 0x88fffff
	v_lshrrev_b32_e32 v0, 21, v0
	s_or_saveexec_b32 s8, s8
                                        ; implicit-def: $sgpr9
	s_delay_alu instid0(SALU_CYCLE_1)
	s_xor_b32 exec_lo, exec_lo, s8
	s_cbranch_execnz .LBB521_1344
.LBB521_1015:
	s_or_b32 exec_lo, exec_lo, s8
	v_mov_b32_e32 v2, s9
	s_and_saveexec_b32 s8, s7
.LBB521_1016:
	v_lshrrev_b32_e32 v2, 24, v1
	s_delay_alu instid0(VALU_DEP_1)
	v_and_or_b32 v2, 0x80, v2, v0
.LBB521_1017:
	s_or_b32 exec_lo, exec_lo, s8
.LBB521_1018:
	s_delay_alu instid0(SALU_CYCLE_1)
	s_or_b32 exec_lo, exec_lo, s5
	s_mov_b32 s5, 0
	global_store_b8 v[3:4], v2, off
.LBB521_1019:
	s_and_b32 vcc_lo, exec_lo, s5
	s_cbranch_vccz .LBB521_1029
; %bb.1020:
	v_and_b32_e32 v2, 0x7fffffff, v1
	s_mov_b32 s5, exec_lo
                                        ; implicit-def: $vgpr0
	s_delay_alu instid0(VALU_DEP_1)
	v_cmpx_gt_u32_e32 0x43f00000, v2
	s_xor_b32 s5, exec_lo, s5
	s_cbranch_execz .LBB521_1026
; %bb.1021:
	s_mov_b32 s7, exec_lo
                                        ; implicit-def: $vgpr0
	v_cmpx_lt_u32_e32 0x3c7fffff, v2
	s_xor_b32 s7, exec_lo, s7
; %bb.1022:
	v_bfe_u32 v0, v1, 20, 1
	s_delay_alu instid0(VALU_DEP_1) | instskip(NEXT) | instid1(VALU_DEP_1)
	v_add3_u32 v0, v1, v0, 0x407ffff
	v_and_b32_e32 v2, 0xff00000, v0
	v_lshrrev_b32_e32 v0, 20, v0
	s_delay_alu instid0(VALU_DEP_2) | instskip(NEXT) | instid1(VALU_DEP_2)
	v_cmp_ne_u32_e32 vcc_lo, 0x7f00000, v2
	v_cndmask_b32_e32 v0, 0x7e, v0, vcc_lo
; %bb.1023:
	s_and_not1_saveexec_b32 s7, s7
; %bb.1024:
	v_add_f32_e64 v0, 0x46800000, |v1|
; %bb.1025:
	s_or_b32 exec_lo, exec_lo, s7
                                        ; implicit-def: $vgpr2
.LBB521_1026:
	s_and_not1_saveexec_b32 s5, s5
; %bb.1027:
	v_mov_b32_e32 v0, 0x7f
	v_cmp_lt_u32_e32 vcc_lo, 0x7f800000, v2
	s_delay_alu instid0(VALU_DEP_2)
	v_cndmask_b32_e32 v0, 0x7e, v0, vcc_lo
; %bb.1028:
	s_or_b32 exec_lo, exec_lo, s5
	v_lshrrev_b32_e32 v2, 24, v1
	s_delay_alu instid0(VALU_DEP_1)
	v_and_or_b32 v0, 0x80, v2, v0
	global_store_b8 v[3:4], v0, off
.LBB521_1029:
	s_mov_b32 s5, 0
.LBB521_1030:
	s_delay_alu instid0(SALU_CYCLE_1)
	s_and_not1_b32 vcc_lo, exec_lo, s5
	s_cbranch_vccnz .LBB521_1040
; %bb.1031:
	v_and_b32_e32 v2, 0x7fffffff, v1
	s_mov_b32 s5, exec_lo
                                        ; implicit-def: $vgpr0
	s_delay_alu instid0(VALU_DEP_1)
	v_cmpx_gt_u32_e32 0x47800000, v2
	s_xor_b32 s5, exec_lo, s5
	s_cbranch_execz .LBB521_1037
; %bb.1032:
	s_mov_b32 s7, exec_lo
                                        ; implicit-def: $vgpr0
	v_cmpx_lt_u32_e32 0x387fffff, v2
	s_xor_b32 s7, exec_lo, s7
; %bb.1033:
	v_bfe_u32 v0, v1, 21, 1
	s_delay_alu instid0(VALU_DEP_1) | instskip(NEXT) | instid1(VALU_DEP_1)
	v_add3_u32 v0, v1, v0, 0x80fffff
	v_lshrrev_b32_e32 v0, 21, v0
; %bb.1034:
	s_and_not1_saveexec_b32 s7, s7
; %bb.1035:
	v_add_f32_e64 v0, 0x43000000, |v1|
; %bb.1036:
	s_or_b32 exec_lo, exec_lo, s7
                                        ; implicit-def: $vgpr2
.LBB521_1037:
	s_and_not1_saveexec_b32 s5, s5
; %bb.1038:
	v_mov_b32_e32 v0, 0x7f
	v_cmp_lt_u32_e32 vcc_lo, 0x7f800000, v2
	s_delay_alu instid0(VALU_DEP_2)
	v_cndmask_b32_e32 v0, 0x7c, v0, vcc_lo
; %bb.1039:
	s_or_b32 exec_lo, exec_lo, s5
	v_lshrrev_b32_e32 v2, 24, v1
	s_delay_alu instid0(VALU_DEP_1)
	v_and_or_b32 v0, 0x80, v2, v0
	global_store_b8 v[3:4], v0, off
.LBB521_1040:
	s_mov_b32 s5, 0
.LBB521_1041:
	s_delay_alu instid0(SALU_CYCLE_1)
	s_and_not1_b32 vcc_lo, exec_lo, s5
	s_mov_b32 s8, 0
	s_cbranch_vccnz .LBB521_1049
; %bb.1042:
	v_cmp_lt_i16_e32 vcc_lo, 14, v5
	s_mov_b32 s5, -1
	s_cbranch_vccz .LBB521_1046
; %bb.1043:
	v_cmp_eq_u16_e32 vcc_lo, 15, v5
	s_mov_b32 s2, -1
	s_cbranch_vccz .LBB521_1045
; %bb.1044:
	v_bfe_u32 v0, v1, 16, 1
	v_cmp_o_f32_e32 vcc_lo, v1, v1
	s_mov_b32 s2, 0
	s_delay_alu instid0(VALU_DEP_2) | instskip(NEXT) | instid1(VALU_DEP_1)
	v_add3_u32 v0, v1, v0, 0x7fff
	v_lshrrev_b32_e32 v0, 16, v0
	s_delay_alu instid0(VALU_DEP_1)
	v_cndmask_b32_e32 v0, 0x7fc0, v0, vcc_lo
	global_store_b16 v[3:4], v0, off
.LBB521_1045:
	s_mov_b32 s5, 0
.LBB521_1046:
	s_delay_alu instid0(SALU_CYCLE_1)
	s_and_b32 vcc_lo, exec_lo, s5
	s_cbranch_vccz .LBB521_1049
; %bb.1047:
	v_cmp_ne_u16_e32 vcc_lo, 11, v5
	s_and_not1_b32 s2, s2, exec_lo
	s_mov_b32 s8, -1
	s_and_b32 s5, vcc_lo, exec_lo
	s_delay_alu instid0(SALU_CYCLE_1)
	s_or_b32 s2, s2, s5
	s_branch .LBB521_1049
.LBB521_1048:
	s_mov_b32 s8, 0
.LBB521_1049:
	s_and_b32 s7, s4, exec_lo
	s_and_not1_b32 s4, s38, exec_lo
	s_and_b32 s2, s2, exec_lo
	s_and_b32 s11, s8, exec_lo
	s_or_b32 s38, s4, s2
.LBB521_1050:
	s_or_b32 exec_lo, exec_lo, s6
	s_and_saveexec_b32 s2, s38
	s_cbranch_execnz .LBB521_1164
; %bb.1051:
	s_or_b32 exec_lo, exec_lo, s2
	s_and_saveexec_b32 s2, s11
	s_delay_alu instid0(SALU_CYCLE_1)
	s_xor_b32 s2, exec_lo, s2
	s_cbranch_execz .LBB521_1053
.LBB521_1052:
	v_cmp_neq_f32_e32 vcc_lo, 0, v1
	v_cndmask_b32_e64 v0, 0, 1, vcc_lo
	s_waitcnt vmcnt(0)
	global_store_b8 v[3:4], v0, off
.LBB521_1053:
	s_or_b32 exec_lo, exec_lo, s2
	s_and_saveexec_b32 s2, s7
	s_delay_alu instid0(SALU_CYCLE_1)
	s_xor_b32 s2, exec_lo, s2
	s_cbranch_execz .LBB521_1091
; %bb.1054:
	v_cmp_gt_i16_e32 vcc_lo, 5, v5
	s_mov_b32 s4, -1
	s_cbranch_vccnz .LBB521_1075
; %bb.1055:
	v_cmp_gt_i16_e32 vcc_lo, 8, v5
	s_cbranch_vccnz .LBB521_1065
; %bb.1056:
	v_cmp_gt_i16_e32 vcc_lo, 9, v5
	s_cbranch_vccnz .LBB521_1062
; %bb.1057:
	v_cmp_lt_i16_e32 vcc_lo, 9, v5
	s_cbranch_vccz .LBB521_1059
; %bb.1058:
	s_waitcnt vmcnt(0)
	v_cvt_f64_f32_e32 v[6:7], v1
	v_mov_b32_e32 v8, 0
	s_mov_b32 s4, 0
	s_delay_alu instid0(VALU_DEP_1)
	v_mov_b32_e32 v9, v8
	global_store_b128 v[3:4], v[6:9], off
.LBB521_1059:
	s_and_not1_b32 vcc_lo, exec_lo, s4
	s_cbranch_vccnz .LBB521_1061
; %bb.1060:
	v_mov_b32_e32 v2, 0
	s_waitcnt vmcnt(0)
	global_store_b64 v[3:4], v[1:2], off
.LBB521_1061:
	s_mov_b32 s4, 0
.LBB521_1062:
	s_delay_alu instid0(SALU_CYCLE_1)
	s_and_not1_b32 vcc_lo, exec_lo, s4
	s_cbranch_vccnz .LBB521_1064
; %bb.1063:
	v_cvt_f16_f32_e32 v0, v1
	s_delay_alu instid0(VALU_DEP_1)
	v_and_b32_e32 v0, 0xffff, v0
	s_waitcnt vmcnt(0)
	global_store_b32 v[3:4], v0, off
.LBB521_1064:
	s_mov_b32 s4, 0
.LBB521_1065:
	s_delay_alu instid0(SALU_CYCLE_1)
	s_and_not1_b32 vcc_lo, exec_lo, s4
	s_cbranch_vccnz .LBB521_1074
; %bb.1066:
	v_cmp_gt_i16_e32 vcc_lo, 6, v5
	s_mov_b32 s4, -1
	s_cbranch_vccnz .LBB521_1072
; %bb.1067:
	v_cmp_lt_i16_e32 vcc_lo, 6, v5
	s_cbranch_vccz .LBB521_1069
; %bb.1068:
	s_waitcnt vmcnt(0)
	v_cvt_f64_f32_e32 v[6:7], v1
	s_mov_b32 s4, 0
	global_store_b64 v[3:4], v[6:7], off
.LBB521_1069:
	s_and_not1_b32 vcc_lo, exec_lo, s4
	s_cbranch_vccnz .LBB521_1071
; %bb.1070:
	s_waitcnt vmcnt(0)
	global_store_b32 v[3:4], v1, off
.LBB521_1071:
	s_mov_b32 s4, 0
.LBB521_1072:
	s_delay_alu instid0(SALU_CYCLE_1)
	s_and_not1_b32 vcc_lo, exec_lo, s4
	s_cbranch_vccnz .LBB521_1074
; %bb.1073:
	v_cvt_f16_f32_e32 v0, v1
	s_waitcnt vmcnt(0)
	global_store_b16 v[3:4], v0, off
.LBB521_1074:
	s_mov_b32 s4, 0
.LBB521_1075:
	s_delay_alu instid0(SALU_CYCLE_1)
	s_and_not1_b32 vcc_lo, exec_lo, s4
	s_cbranch_vccnz .LBB521_1091
; %bb.1076:
	v_cmp_gt_i16_e32 vcc_lo, 2, v5
	s_mov_b32 s4, -1
	s_cbranch_vccnz .LBB521_1086
; %bb.1077:
	v_cmp_gt_i16_e32 vcc_lo, 3, v5
	s_cbranch_vccnz .LBB521_1083
; %bb.1078:
	v_cmp_lt_i16_e32 vcc_lo, 3, v5
	s_cbranch_vccz .LBB521_1080
; %bb.1079:
	v_trunc_f32_e32 v0, v1
	s_mov_b32 s4, 0
	s_delay_alu instid0(VALU_DEP_1) | instskip(NEXT) | instid1(VALU_DEP_1)
	v_mul_f32_e64 v2, 0x2f800000, |v0|
	v_floor_f32_e32 v2, v2
	s_delay_alu instid0(VALU_DEP_1) | instskip(SKIP_2) | instid1(VALU_DEP_3)
	v_fma_f32 v6, 0xcf800000, v2, |v0|
	v_ashrrev_i32_e32 v0, 31, v0
	v_cvt_u32_f32_e32 v2, v2
	v_cvt_u32_f32_e32 v6, v6
	s_delay_alu instid0(VALU_DEP_2) | instskip(NEXT) | instid1(VALU_DEP_2)
	v_xor_b32_e32 v2, v2, v0
	v_xor_b32_e32 v6, v6, v0
	s_delay_alu instid0(VALU_DEP_1) | instskip(SKIP_1) | instid1(VALU_DEP_3)
	v_sub_co_u32 v6, vcc_lo, v6, v0
	s_waitcnt vmcnt(0)
	v_sub_co_ci_u32_e32 v7, vcc_lo, v2, v0, vcc_lo
	global_store_b64 v[3:4], v[6:7], off
.LBB521_1080:
	s_and_not1_b32 vcc_lo, exec_lo, s4
	s_cbranch_vccnz .LBB521_1082
; %bb.1081:
	v_cvt_i32_f32_e32 v0, v1
	s_waitcnt vmcnt(0)
	global_store_b32 v[3:4], v0, off
.LBB521_1082:
	s_mov_b32 s4, 0
.LBB521_1083:
	s_delay_alu instid0(SALU_CYCLE_1)
	s_and_not1_b32 vcc_lo, exec_lo, s4
	s_cbranch_vccnz .LBB521_1085
; %bb.1084:
	v_cvt_i32_f32_e32 v0, v1
	s_waitcnt vmcnt(0)
	global_store_b16 v[3:4], v0, off
.LBB521_1085:
	s_mov_b32 s4, 0
.LBB521_1086:
	s_delay_alu instid0(SALU_CYCLE_1)
	s_and_not1_b32 vcc_lo, exec_lo, s4
	s_cbranch_vccnz .LBB521_1091
; %bb.1087:
	v_cmp_lt_i16_e32 vcc_lo, 0, v5
	s_mov_b32 s4, -1
	s_cbranch_vccz .LBB521_1089
; %bb.1088:
	v_cvt_i32_f32_e32 v0, v1
	s_mov_b32 s4, 0
	s_waitcnt vmcnt(0)
	global_store_b8 v[3:4], v0, off
.LBB521_1089:
	s_and_not1_b32 vcc_lo, exec_lo, s4
	s_cbranch_vccnz .LBB521_1091
; %bb.1090:
	v_trunc_f32_e32 v0, v1
	s_delay_alu instid0(VALU_DEP_1) | instskip(NEXT) | instid1(VALU_DEP_1)
	v_mul_f32_e64 v1, 0x2f800000, |v0|
	v_floor_f32_e32 v1, v1
	s_delay_alu instid0(VALU_DEP_1) | instskip(SKIP_1) | instid1(VALU_DEP_2)
	v_fma_f32 v1, 0xcf800000, v1, |v0|
	v_ashrrev_i32_e32 v0, 31, v0
	v_cvt_u32_f32_e32 v1, v1
	s_delay_alu instid0(VALU_DEP_1) | instskip(NEXT) | instid1(VALU_DEP_1)
	v_xor_b32_e32 v1, v1, v0
	v_sub_nc_u32_e32 v0, v1, v0
	s_waitcnt vmcnt(0)
	global_store_b8 v[3:4], v0, off
.LBB521_1091:
	s_or_b32 exec_lo, exec_lo, s2
	s_delay_alu instid0(SALU_CYCLE_1)
	s_and_b32 s8, s3, exec_lo
                                        ; implicit-def: $vgpr8
                                        ; implicit-def: $vgpr6
.LBB521_1092:
	s_or_saveexec_b32 s9, s33
	s_mov_b32 s4, 0
                                        ; implicit-def: $vgpr0_vgpr1
                                        ; implicit-def: $sgpr2
                                        ; implicit-def: $vgpr4
	s_xor_b32 exec_lo, exec_lo, s9
	s_cbranch_execz .LBB521_1701
; %bb.1093:
	v_cndmask_b32_e64 v0, 0, 1, s31
	s_and_not1_b32 vcc_lo, exec_lo, s31
	s_cbranch_vccnz .LBB521_1099
; %bb.1094:
	s_waitcnt vmcnt(0)
	v_mov_b32_e32 v3, 0
	v_mov_b32_e32 v5, 0
	s_cmp_lg_u32 s28, 0
	s_mov_b32 s6, 0
	s_cbranch_scc0 .LBB521_1103
; %bb.1095:
	s_min_u32 s7, s29, 15
	v_mov_b32_e32 v3, 0
	s_add_i32 s7, s7, 1
	s_cmp_eq_u32 s29, 2
	s_mov_b32 s10, 0
	s_cbranch_scc1 .LBB521_1100
; %bb.1096:
	v_mov_b32_e32 v5, 0
	v_mov_b32_e32 v3, 0
	v_mov_b32_e32 v1, v6
	s_add_u32 s2, s20, 0xc4
	s_addc_u32 s3, s21, 0
	s_and_b32 s10, s7, 28
	s_mov_b32 s11, 0
	s_mov_b64 s[4:5], s[20:21]
.LBB521_1097:                           ; =>This Inner Loop Header: Depth=1
	s_clause 0x1
	s_load_b256 s[12:19], s[4:5], 0x4
	s_load_b128 s[24:27], s[4:5], 0x24
	s_load_b256 s[36:43], s[2:3], 0x0
	s_add_u32 s4, s4, 48
	s_addc_u32 s5, s5, 0
	s_add_i32 s11, s11, 4
	s_add_u32 s2, s2, 32
	s_addc_u32 s3, s3, 0
	s_cmp_lg_u32 s10, s11
	s_waitcnt lgkmcnt(0)
	v_mul_hi_u32 v2, s13, v1
	s_delay_alu instid0(VALU_DEP_1) | instskip(NEXT) | instid1(VALU_DEP_1)
	v_add_nc_u32_e32 v2, v1, v2
	v_lshrrev_b32_e32 v2, s14, v2
	s_delay_alu instid0(VALU_DEP_1) | instskip(SKIP_1) | instid1(VALU_DEP_2)
	v_mul_hi_u32 v4, s16, v2
	v_mul_lo_u32 v9, v2, s12
	v_add_nc_u32_e32 v4, v2, v4
	s_delay_alu instid0(VALU_DEP_2) | instskip(NEXT) | instid1(VALU_DEP_2)
	v_sub_nc_u32_e32 v1, v1, v9
	v_lshrrev_b32_e32 v4, s17, v4
	s_delay_alu instid0(VALU_DEP_2) | instskip(SKIP_1) | instid1(VALU_DEP_3)
	v_mul_lo_u32 v9, v1, s36
	v_mul_lo_u32 v11, v1, s37
	v_mul_hi_u32 v7, s19, v4
	s_delay_alu instid0(VALU_DEP_1) | instskip(NEXT) | instid1(VALU_DEP_1)
	v_add_nc_u32_e32 v7, v4, v7
	v_lshrrev_b32_e32 v7, s24, v7
	s_delay_alu instid0(VALU_DEP_1) | instskip(SKIP_1) | instid1(VALU_DEP_2)
	v_mul_hi_u32 v10, s26, v7
	v_mul_lo_u32 v12, v7, s18
	v_add_nc_u32_e32 v1, v7, v10
	v_mul_lo_u32 v10, v4, s15
	s_delay_alu instid0(VALU_DEP_3) | instskip(NEXT) | instid1(VALU_DEP_3)
	v_sub_nc_u32_e32 v4, v4, v12
	v_lshrrev_b32_e32 v1, s27, v1
	s_delay_alu instid0(VALU_DEP_2) | instskip(SKIP_2) | instid1(VALU_DEP_4)
	v_mul_lo_u32 v12, v4, s40
	v_mul_lo_u32 v4, v4, s41
	v_sub_nc_u32_e32 v2, v2, v10
	v_mul_lo_u32 v13, v1, s25
	s_delay_alu instid0(VALU_DEP_2) | instskip(SKIP_1) | instid1(VALU_DEP_3)
	v_mul_lo_u32 v10, v2, s38
	v_mul_lo_u32 v2, v2, s39
	v_sub_nc_u32_e32 v7, v7, v13
	s_delay_alu instid0(VALU_DEP_3) | instskip(NEXT) | instid1(VALU_DEP_2)
	v_add3_u32 v3, v9, v3, v10
	v_mul_lo_u32 v13, v7, s42
	v_mul_lo_u32 v7, v7, s43
	v_add3_u32 v2, v11, v5, v2
	s_delay_alu instid0(VALU_DEP_3) | instskip(NEXT) | instid1(VALU_DEP_2)
	v_add3_u32 v3, v12, v3, v13
	v_add3_u32 v5, v4, v2, v7
	s_cbranch_scc1 .LBB521_1097
; %bb.1098:
	s_and_b32 s7, s7, 3
	s_delay_alu instid0(SALU_CYCLE_1)
	s_cmp_eq_u32 s7, 0
	s_cbranch_scc0 .LBB521_1101
	s_branch .LBB521_1103
.LBB521_1099:
	s_mov_b32 s6, -1
                                        ; implicit-def: $vgpr3
                                        ; implicit-def: $vgpr5
	s_branch .LBB521_1103
.LBB521_1100:
	v_mov_b32_e32 v1, v6
	v_mov_b32_e32 v5, 0
	s_and_b32 s7, s7, 3
	s_delay_alu instid0(SALU_CYCLE_1)
	s_cmp_eq_u32 s7, 0
	s_cbranch_scc1 .LBB521_1103
.LBB521_1101:
	s_lshl_b32 s2, s10, 3
	s_mul_i32 s4, s10, 12
	s_add_u32 s2, s2, s20
	s_addc_u32 s3, 0, s21
	s_add_u32 s2, s2, 0xc4
	s_addc_u32 s3, s3, 0
	;; [unrolled: 2-line block ×3, first 2 shown]
	.p2align	6
.LBB521_1102:                           ; =>This Inner Loop Header: Depth=1
	s_clause 0x1
	s_load_b64 s[10:11], s[4:5], 0x4
	s_load_b32 s14, s[4:5], 0xc
	s_load_b64 s[12:13], s[2:3], 0x0
	s_add_u32 s4, s4, 12
	s_addc_u32 s5, s5, 0
	s_add_u32 s2, s2, 8
	s_addc_u32 s3, s3, 0
	s_add_i32 s7, s7, -1
	s_delay_alu instid0(SALU_CYCLE_1) | instskip(SKIP_2) | instid1(VALU_DEP_1)
	s_cmp_lg_u32 s7, 0
	s_waitcnt lgkmcnt(0)
	v_mul_hi_u32 v2, s11, v1
	v_add_nc_u32_e32 v2, v1, v2
	s_delay_alu instid0(VALU_DEP_1) | instskip(NEXT) | instid1(VALU_DEP_1)
	v_lshrrev_b32_e32 v4, s14, v2
	v_mul_lo_u32 v2, v4, s10
	s_delay_alu instid0(VALU_DEP_1) | instskip(NEXT) | instid1(VALU_DEP_1)
	v_sub_nc_u32_e32 v1, v1, v2
	v_mad_u64_u32 v[9:10], null, v1, s12, v[3:4]
	v_mad_u64_u32 v[2:3], null, v1, s13, v[5:6]
	v_mov_b32_e32 v1, v4
	s_delay_alu instid0(VALU_DEP_3) | instskip(NEXT) | instid1(VALU_DEP_3)
	v_mov_b32_e32 v3, v9
	v_mov_b32_e32 v5, v2
	s_cbranch_scc1 .LBB521_1102
.LBB521_1103:
	s_and_not1_b32 vcc_lo, exec_lo, s6
	s_cbranch_vccnz .LBB521_1106
; %bb.1104:
	s_clause 0x1
	s_load_b128 s[4:7], s[20:21], 0x4
	s_load_b64 s[2:3], s[20:21], 0xc4
	s_cmp_lt_u32 s28, 2
	s_waitcnt lgkmcnt(0)
	v_mul_hi_u32 v1, s5, v6
	s_delay_alu instid0(VALU_DEP_1) | instskip(NEXT) | instid1(VALU_DEP_1)
	v_add_nc_u32_e32 v1, v6, v1
	v_lshrrev_b32_e32 v1, s6, v1
	s_delay_alu instid0(VALU_DEP_1) | instskip(NEXT) | instid1(VALU_DEP_1)
	v_mul_lo_u32 v2, v1, s4
	v_sub_nc_u32_e32 v2, v6, v2
	s_waitcnt vmcnt(0)
	s_delay_alu instid0(VALU_DEP_1)
	v_mul_lo_u32 v3, v2, s2
	v_mul_lo_u32 v5, v2, s3
	s_cbranch_scc1 .LBB521_1106
; %bb.1105:
	s_clause 0x1
	s_load_b128 s[4:7], s[20:21], 0x10
	s_load_b64 s[2:3], s[20:21], 0xcc
	s_waitcnt lgkmcnt(0)
	v_mul_hi_u32 v2, s5, v1
	s_delay_alu instid0(VALU_DEP_1) | instskip(NEXT) | instid1(VALU_DEP_1)
	v_add_nc_u32_e32 v2, v1, v2
	v_lshrrev_b32_e32 v2, s6, v2
	s_delay_alu instid0(VALU_DEP_1) | instskip(NEXT) | instid1(VALU_DEP_1)
	v_mul_lo_u32 v2, v2, s4
	v_sub_nc_u32_e32 v4, v1, v2
	s_delay_alu instid0(VALU_DEP_1) | instskip(SKIP_1) | instid1(VALU_DEP_2)
	v_mad_u64_u32 v[1:2], null, v4, s2, v[3:4]
	v_mad_u64_u32 v[2:3], null, v4, s3, v[5:6]
	v_mov_b32_e32 v3, v1
	s_delay_alu instid0(VALU_DEP_2)
	v_mov_b32_e32 v5, v2
.LBB521_1106:
	v_cmp_ne_u32_e32 vcc_lo, 1, v0
	v_add_nc_u32_e32 v1, 0x80, v6
	s_cbranch_vccnz .LBB521_1112
; %bb.1107:
	s_waitcnt vmcnt(0)
	v_dual_mov_b32 v2, 0 :: v_dual_mov_b32 v7, 0
	s_cmp_lg_u32 s28, 0
	s_mov_b32 s6, 0
	s_cbranch_scc0 .LBB521_1116
; %bb.1108:
	s_min_u32 s7, s29, 15
	v_mov_b32_e32 v2, 0
	s_add_i32 s7, s7, 1
	s_cmp_eq_u32 s29, 2
	s_mov_b32 s10, 0
	s_cbranch_scc1 .LBB521_1113
; %bb.1109:
	v_dual_mov_b32 v7, 0 :: v_dual_mov_b32 v2, 0
	v_mov_b32_e32 v4, v1
	s_add_u32 s2, s20, 0xc4
	s_addc_u32 s3, s21, 0
	s_and_b32 s10, s7, 28
	s_mov_b32 s11, 0
	s_mov_b64 s[4:5], s[20:21]
.LBB521_1110:                           ; =>This Inner Loop Header: Depth=1
	s_clause 0x1
	s_load_b256 s[12:19], s[4:5], 0x4
	s_load_b128 s[24:27], s[4:5], 0x24
	s_load_b256 s[36:43], s[2:3], 0x0
	s_add_u32 s4, s4, 48
	s_addc_u32 s5, s5, 0
	s_add_i32 s11, s11, 4
	s_add_u32 s2, s2, 32
	s_addc_u32 s3, s3, 0
	s_cmp_lg_u32 s10, s11
	s_waitcnt lgkmcnt(0)
	v_mul_hi_u32 v9, s13, v4
	s_delay_alu instid0(VALU_DEP_1) | instskip(NEXT) | instid1(VALU_DEP_1)
	v_add_nc_u32_e32 v9, v4, v9
	v_lshrrev_b32_e32 v9, s14, v9
	s_delay_alu instid0(VALU_DEP_1) | instskip(SKIP_1) | instid1(VALU_DEP_2)
	v_mul_hi_u32 v10, s16, v9
	v_mul_lo_u32 v12, v9, s12
	v_add_nc_u32_e32 v10, v9, v10
	s_delay_alu instid0(VALU_DEP_2) | instskip(NEXT) | instid1(VALU_DEP_2)
	v_sub_nc_u32_e32 v4, v4, v12
	v_lshrrev_b32_e32 v10, s17, v10
	s_delay_alu instid0(VALU_DEP_2) | instskip(SKIP_1) | instid1(VALU_DEP_3)
	v_mul_lo_u32 v12, v4, s36
	v_mul_lo_u32 v14, v4, s37
	v_mul_hi_u32 v11, s19, v10
	s_delay_alu instid0(VALU_DEP_1) | instskip(NEXT) | instid1(VALU_DEP_1)
	v_add_nc_u32_e32 v11, v10, v11
	v_lshrrev_b32_e32 v11, s24, v11
	s_delay_alu instid0(VALU_DEP_1) | instskip(SKIP_1) | instid1(VALU_DEP_2)
	v_mul_hi_u32 v13, s26, v11
	v_mul_lo_u32 v15, v11, s18
	v_add_nc_u32_e32 v4, v11, v13
	v_mul_lo_u32 v13, v10, s15
	s_delay_alu instid0(VALU_DEP_3) | instskip(NEXT) | instid1(VALU_DEP_3)
	v_sub_nc_u32_e32 v10, v10, v15
	v_lshrrev_b32_e32 v4, s27, v4
	s_delay_alu instid0(VALU_DEP_2) | instskip(SKIP_2) | instid1(VALU_DEP_4)
	v_mul_lo_u32 v15, v10, s40
	v_mul_lo_u32 v10, v10, s41
	v_sub_nc_u32_e32 v9, v9, v13
	v_mul_lo_u32 v16, v4, s25
	s_delay_alu instid0(VALU_DEP_2) | instskip(SKIP_1) | instid1(VALU_DEP_3)
	v_mul_lo_u32 v13, v9, s38
	v_mul_lo_u32 v9, v9, s39
	v_sub_nc_u32_e32 v11, v11, v16
	s_delay_alu instid0(VALU_DEP_3) | instskip(NEXT) | instid1(VALU_DEP_2)
	v_add3_u32 v2, v12, v2, v13
	v_mul_lo_u32 v16, v11, s42
	v_mul_lo_u32 v11, v11, s43
	v_add3_u32 v7, v14, v7, v9
	s_delay_alu instid0(VALU_DEP_3) | instskip(NEXT) | instid1(VALU_DEP_2)
	v_add3_u32 v2, v15, v2, v16
	v_add3_u32 v7, v10, v7, v11
	s_cbranch_scc1 .LBB521_1110
; %bb.1111:
	s_and_b32 s7, s7, 3
	s_delay_alu instid0(SALU_CYCLE_1)
	s_cmp_eq_u32 s7, 0
	s_cbranch_scc0 .LBB521_1114
	s_branch .LBB521_1116
.LBB521_1112:
	s_mov_b32 s6, -1
                                        ; implicit-def: $vgpr2
                                        ; implicit-def: $vgpr7
	s_branch .LBB521_1116
.LBB521_1113:
	v_dual_mov_b32 v4, v1 :: v_dual_mov_b32 v7, 0
	s_and_b32 s7, s7, 3
	s_delay_alu instid0(SALU_CYCLE_1)
	s_cmp_eq_u32 s7, 0
	s_cbranch_scc1 .LBB521_1116
.LBB521_1114:
	s_lshl_b32 s2, s10, 3
	s_mul_i32 s4, s10, 12
	s_add_u32 s2, s2, s20
	s_addc_u32 s3, 0, s21
	s_add_u32 s2, s2, 0xc4
	s_addc_u32 s3, s3, 0
	;; [unrolled: 2-line block ×3, first 2 shown]
	.p2align	6
.LBB521_1115:                           ; =>This Inner Loop Header: Depth=1
	s_clause 0x1
	s_load_b64 s[10:11], s[4:5], 0x4
	s_load_b32 s14, s[4:5], 0xc
	s_load_b64 s[12:13], s[2:3], 0x0
	s_add_u32 s4, s4, 12
	s_addc_u32 s5, s5, 0
	s_add_u32 s2, s2, 8
	s_addc_u32 s3, s3, 0
	s_add_i32 s7, s7, -1
	s_delay_alu instid0(SALU_CYCLE_1) | instskip(SKIP_2) | instid1(VALU_DEP_1)
	s_cmp_lg_u32 s7, 0
	s_waitcnt lgkmcnt(0)
	v_mul_hi_u32 v9, s11, v4
	v_add_nc_u32_e32 v9, v4, v9
	s_delay_alu instid0(VALU_DEP_1) | instskip(NEXT) | instid1(VALU_DEP_1)
	v_lshrrev_b32_e32 v12, s14, v9
	v_mul_lo_u32 v9, v12, s10
	s_delay_alu instid0(VALU_DEP_1) | instskip(NEXT) | instid1(VALU_DEP_1)
	v_sub_nc_u32_e32 v4, v4, v9
	v_mad_u64_u32 v[9:10], null, v4, s12, v[2:3]
	v_mad_u64_u32 v[10:11], null, v4, s13, v[7:8]
	v_mov_b32_e32 v4, v12
	s_delay_alu instid0(VALU_DEP_2)
	v_dual_mov_b32 v2, v9 :: v_dual_mov_b32 v7, v10
	s_cbranch_scc1 .LBB521_1115
.LBB521_1116:
	s_and_not1_b32 vcc_lo, exec_lo, s6
	s_cbranch_vccnz .LBB521_1119
; %bb.1117:
	s_clause 0x1
	s_load_b128 s[4:7], s[20:21], 0x4
	s_load_b64 s[2:3], s[20:21], 0xc4
	s_cmp_lt_u32 s28, 2
	s_waitcnt lgkmcnt(0)
	v_mul_hi_u32 v2, s5, v1
	s_delay_alu instid0(VALU_DEP_1) | instskip(NEXT) | instid1(VALU_DEP_1)
	v_add_nc_u32_e32 v2, v1, v2
	v_lshrrev_b32_e32 v4, s6, v2
	s_delay_alu instid0(VALU_DEP_1) | instskip(NEXT) | instid1(VALU_DEP_1)
	v_mul_lo_u32 v2, v4, s4
	v_sub_nc_u32_e32 v1, v1, v2
	s_delay_alu instid0(VALU_DEP_1)
	v_mul_lo_u32 v2, v1, s2
	s_waitcnt vmcnt(0)
	v_mul_lo_u32 v7, v1, s3
	s_cbranch_scc1 .LBB521_1119
; %bb.1118:
	s_clause 0x1
	s_load_b128 s[4:7], s[20:21], 0x10
	s_load_b64 s[2:3], s[20:21], 0xcc
	s_waitcnt lgkmcnt(0)
	v_mul_hi_u32 v1, s5, v4
	s_delay_alu instid0(VALU_DEP_1) | instskip(NEXT) | instid1(VALU_DEP_1)
	v_add_nc_u32_e32 v1, v4, v1
	v_lshrrev_b32_e32 v1, s6, v1
	s_delay_alu instid0(VALU_DEP_1) | instskip(NEXT) | instid1(VALU_DEP_1)
	v_mul_lo_u32 v1, v1, s4
	v_sub_nc_u32_e32 v4, v4, v1
	s_delay_alu instid0(VALU_DEP_1) | instskip(SKIP_1) | instid1(VALU_DEP_2)
	v_mad_u64_u32 v[9:10], null, v4, s2, v[2:3]
	v_mad_u64_u32 v[1:2], null, v4, s3, v[7:8]
	v_mov_b32_e32 v2, v9
	s_delay_alu instid0(VALU_DEP_2)
	v_mov_b32_e32 v7, v1
.LBB521_1119:
	v_cmp_ne_u32_e32 vcc_lo, 1, v0
	v_add_nc_u32_e32 v4, 0x100, v6
	s_cbranch_vccnz .LBB521_1125
; %bb.1120:
	v_dual_mov_b32 v1, 0 :: v_dual_mov_b32 v6, 0
	s_cmp_lg_u32 s28, 0
	s_mov_b32 s6, 0
	s_cbranch_scc0 .LBB521_1129
; %bb.1121:
	s_min_u32 s7, s29, 15
	v_mov_b32_e32 v1, 0
	s_add_i32 s7, s7, 1
	s_cmp_eq_u32 s29, 2
	s_mov_b32 s10, 0
	s_cbranch_scc1 .LBB521_1126
; %bb.1122:
	v_dual_mov_b32 v6, 0 :: v_dual_mov_b32 v1, 0
	v_mov_b32_e32 v9, v4
	s_add_u32 s2, s20, 0xc4
	s_addc_u32 s3, s21, 0
	s_and_b32 s10, s7, 28
	s_mov_b32 s11, 0
	s_mov_b64 s[4:5], s[20:21]
.LBB521_1123:                           ; =>This Inner Loop Header: Depth=1
	s_clause 0x1
	s_load_b256 s[12:19], s[4:5], 0x4
	s_load_b128 s[24:27], s[4:5], 0x24
	s_load_b256 s[36:43], s[2:3], 0x0
	s_add_u32 s4, s4, 48
	s_addc_u32 s5, s5, 0
	s_add_i32 s11, s11, 4
	s_add_u32 s2, s2, 32
	s_addc_u32 s3, s3, 0
	s_cmp_lg_u32 s10, s11
	s_waitcnt lgkmcnt(0)
	v_mul_hi_u32 v10, s13, v9
	s_delay_alu instid0(VALU_DEP_1) | instskip(NEXT) | instid1(VALU_DEP_1)
	v_add_nc_u32_e32 v10, v9, v10
	v_lshrrev_b32_e32 v10, s14, v10
	s_delay_alu instid0(VALU_DEP_1) | instskip(SKIP_1) | instid1(VALU_DEP_2)
	v_mul_hi_u32 v11, s16, v10
	v_mul_lo_u32 v13, v10, s12
	v_add_nc_u32_e32 v11, v10, v11
	s_delay_alu instid0(VALU_DEP_2) | instskip(NEXT) | instid1(VALU_DEP_2)
	v_sub_nc_u32_e32 v9, v9, v13
	v_lshrrev_b32_e32 v11, s17, v11
	s_delay_alu instid0(VALU_DEP_2) | instskip(SKIP_1) | instid1(VALU_DEP_3)
	v_mul_lo_u32 v13, v9, s36
	v_mul_lo_u32 v15, v9, s37
	v_mul_hi_u32 v12, s19, v11
	s_delay_alu instid0(VALU_DEP_1) | instskip(NEXT) | instid1(VALU_DEP_1)
	v_add_nc_u32_e32 v12, v11, v12
	v_lshrrev_b32_e32 v12, s24, v12
	s_delay_alu instid0(VALU_DEP_1) | instskip(SKIP_1) | instid1(VALU_DEP_2)
	v_mul_hi_u32 v14, s26, v12
	v_mul_lo_u32 v16, v12, s18
	v_add_nc_u32_e32 v9, v12, v14
	v_mul_lo_u32 v14, v11, s15
	s_delay_alu instid0(VALU_DEP_3) | instskip(NEXT) | instid1(VALU_DEP_3)
	v_sub_nc_u32_e32 v11, v11, v16
	v_lshrrev_b32_e32 v9, s27, v9
	s_delay_alu instid0(VALU_DEP_2) | instskip(SKIP_2) | instid1(VALU_DEP_4)
	v_mul_lo_u32 v16, v11, s40
	v_mul_lo_u32 v11, v11, s41
	v_sub_nc_u32_e32 v10, v10, v14
	v_mul_lo_u32 v17, v9, s25
	s_delay_alu instid0(VALU_DEP_2) | instskip(SKIP_1) | instid1(VALU_DEP_3)
	v_mul_lo_u32 v14, v10, s38
	v_mul_lo_u32 v10, v10, s39
	v_sub_nc_u32_e32 v12, v12, v17
	s_delay_alu instid0(VALU_DEP_3) | instskip(NEXT) | instid1(VALU_DEP_2)
	v_add3_u32 v1, v13, v1, v14
	v_mul_lo_u32 v17, v12, s42
	v_mul_lo_u32 v12, v12, s43
	v_add3_u32 v6, v15, v6, v10
	s_delay_alu instid0(VALU_DEP_3) | instskip(NEXT) | instid1(VALU_DEP_2)
	v_add3_u32 v1, v16, v1, v17
	v_add3_u32 v6, v11, v6, v12
	s_cbranch_scc1 .LBB521_1123
; %bb.1124:
	s_and_b32 s7, s7, 3
	s_delay_alu instid0(SALU_CYCLE_1)
	s_cmp_eq_u32 s7, 0
	s_cbranch_scc0 .LBB521_1127
	s_branch .LBB521_1129
.LBB521_1125:
	s_mov_b32 s6, -1
                                        ; implicit-def: $vgpr1
                                        ; implicit-def: $vgpr6
	s_branch .LBB521_1129
.LBB521_1126:
	v_dual_mov_b32 v9, v4 :: v_dual_mov_b32 v6, 0
	s_and_b32 s7, s7, 3
	s_delay_alu instid0(SALU_CYCLE_1)
	s_cmp_eq_u32 s7, 0
	s_cbranch_scc1 .LBB521_1129
.LBB521_1127:
	s_lshl_b32 s2, s10, 3
	s_mul_i32 s4, s10, 12
	s_add_u32 s2, s2, s20
	s_addc_u32 s3, 0, s21
	s_add_u32 s2, s2, 0xc4
	s_addc_u32 s3, s3, 0
	;; [unrolled: 2-line block ×3, first 2 shown]
	.p2align	6
.LBB521_1128:                           ; =>This Inner Loop Header: Depth=1
	s_clause 0x1
	s_load_b64 s[10:11], s[4:5], 0x4
	s_load_b32 s14, s[4:5], 0xc
	s_load_b64 s[12:13], s[2:3], 0x0
	s_add_u32 s4, s4, 12
	s_addc_u32 s5, s5, 0
	s_add_u32 s2, s2, 8
	s_addc_u32 s3, s3, 0
	s_add_i32 s7, s7, -1
	s_delay_alu instid0(SALU_CYCLE_1) | instskip(SKIP_2) | instid1(VALU_DEP_1)
	s_cmp_lg_u32 s7, 0
	s_waitcnt lgkmcnt(0)
	v_mul_hi_u32 v10, s11, v9
	v_add_nc_u32_e32 v10, v9, v10
	s_delay_alu instid0(VALU_DEP_1) | instskip(NEXT) | instid1(VALU_DEP_1)
	v_lshrrev_b32_e32 v13, s14, v10
	v_mul_lo_u32 v10, v13, s10
	s_delay_alu instid0(VALU_DEP_1) | instskip(NEXT) | instid1(VALU_DEP_1)
	v_sub_nc_u32_e32 v9, v9, v10
	v_mad_u64_u32 v[10:11], null, v9, s12, v[1:2]
	s_waitcnt vmcnt(0)
	v_mad_u64_u32 v[11:12], null, v9, s13, v[6:7]
	v_mov_b32_e32 v9, v13
	s_delay_alu instid0(VALU_DEP_2)
	v_dual_mov_b32 v1, v10 :: v_dual_mov_b32 v6, v11
	s_cbranch_scc1 .LBB521_1128
.LBB521_1129:
	s_and_not1_b32 vcc_lo, exec_lo, s6
	s_cbranch_vccnz .LBB521_1132
; %bb.1130:
	s_clause 0x1
	s_load_b128 s[4:7], s[20:21], 0x4
	s_load_b64 s[2:3], s[20:21], 0xc4
	s_cmp_lt_u32 s28, 2
	s_waitcnt lgkmcnt(0)
	v_mul_hi_u32 v1, s5, v4
	s_delay_alu instid0(VALU_DEP_1) | instskip(NEXT) | instid1(VALU_DEP_1)
	v_add_nc_u32_e32 v1, v4, v1
	v_lshrrev_b32_e32 v9, s6, v1
	s_delay_alu instid0(VALU_DEP_1) | instskip(NEXT) | instid1(VALU_DEP_1)
	v_mul_lo_u32 v1, v9, s4
	v_sub_nc_u32_e32 v4, v4, v1
	s_delay_alu instid0(VALU_DEP_1)
	v_mul_lo_u32 v1, v4, s2
	v_mul_lo_u32 v6, v4, s3
	s_cbranch_scc1 .LBB521_1132
; %bb.1131:
	s_clause 0x1
	s_load_b128 s[4:7], s[20:21], 0x10
	s_load_b64 s[2:3], s[20:21], 0xcc
	s_waitcnt lgkmcnt(0)
	v_mul_hi_u32 v4, s5, v9
	s_delay_alu instid0(VALU_DEP_1) | instskip(NEXT) | instid1(VALU_DEP_1)
	v_add_nc_u32_e32 v4, v9, v4
	v_lshrrev_b32_e32 v4, s6, v4
	s_delay_alu instid0(VALU_DEP_1) | instskip(NEXT) | instid1(VALU_DEP_1)
	v_mul_lo_u32 v4, v4, s4
	v_sub_nc_u32_e32 v4, v9, v4
	s_delay_alu instid0(VALU_DEP_1) | instskip(SKIP_2) | instid1(VALU_DEP_1)
	v_mad_u64_u32 v[9:10], null, v4, s2, v[1:2]
	s_waitcnt vmcnt(0)
	v_mad_u64_u32 v[10:11], null, v4, s3, v[6:7]
	v_dual_mov_b32 v1, v9 :: v_dual_mov_b32 v6, v10
.LBB521_1132:
	v_cmp_ne_u32_e32 vcc_lo, 1, v0
	s_cbranch_vccnz .LBB521_1138
; %bb.1133:
	v_mov_b32_e32 v0, 0
	v_mov_b32_e32 v4, 0
	s_cmp_lg_u32 s28, 0
	s_mov_b32 s6, 0
	s_cbranch_scc0 .LBB521_1142
; %bb.1134:
	s_min_u32 s7, s29, 15
	v_mov_b32_e32 v0, 0
	s_add_i32 s7, s7, 1
	s_cmp_eq_u32 s29, 2
	s_mov_b32 s10, 0
	s_cbranch_scc1 .LBB521_1139
; %bb.1135:
	v_dual_mov_b32 v4, 0 :: v_dual_mov_b32 v9, v8
	v_mov_b32_e32 v0, 0
	s_add_u32 s2, s20, 0xc4
	s_addc_u32 s3, s21, 0
	s_and_b32 s10, s7, 28
	s_mov_b32 s11, 0
	s_mov_b64 s[4:5], s[20:21]
.LBB521_1136:                           ; =>This Inner Loop Header: Depth=1
	s_clause 0x1
	s_load_b256 s[12:19], s[4:5], 0x4
	s_load_b128 s[24:27], s[4:5], 0x24
	s_load_b256 s[36:43], s[2:3], 0x0
	s_add_u32 s4, s4, 48
	s_addc_u32 s5, s5, 0
	s_add_i32 s11, s11, 4
	s_add_u32 s2, s2, 32
	s_addc_u32 s3, s3, 0
	s_cmp_lg_u32 s10, s11
	s_waitcnt lgkmcnt(0)
	v_mul_hi_u32 v10, s13, v9
	s_delay_alu instid0(VALU_DEP_1) | instskip(NEXT) | instid1(VALU_DEP_1)
	v_add_nc_u32_e32 v10, v9, v10
	v_lshrrev_b32_e32 v10, s14, v10
	s_delay_alu instid0(VALU_DEP_1) | instskip(SKIP_1) | instid1(VALU_DEP_2)
	v_mul_hi_u32 v11, s16, v10
	v_mul_lo_u32 v13, v10, s12
	v_add_nc_u32_e32 v11, v10, v11
	s_delay_alu instid0(VALU_DEP_2) | instskip(NEXT) | instid1(VALU_DEP_2)
	v_sub_nc_u32_e32 v9, v9, v13
	v_lshrrev_b32_e32 v11, s17, v11
	s_delay_alu instid0(VALU_DEP_2) | instskip(SKIP_1) | instid1(VALU_DEP_3)
	v_mul_lo_u32 v13, v9, s36
	v_mul_lo_u32 v15, v9, s37
	v_mul_hi_u32 v12, s19, v11
	s_delay_alu instid0(VALU_DEP_1) | instskip(NEXT) | instid1(VALU_DEP_1)
	v_add_nc_u32_e32 v12, v11, v12
	v_lshrrev_b32_e32 v12, s24, v12
	s_delay_alu instid0(VALU_DEP_1) | instskip(SKIP_1) | instid1(VALU_DEP_2)
	v_mul_hi_u32 v14, s26, v12
	v_mul_lo_u32 v16, v12, s18
	v_add_nc_u32_e32 v9, v12, v14
	v_mul_lo_u32 v14, v11, s15
	s_delay_alu instid0(VALU_DEP_3) | instskip(NEXT) | instid1(VALU_DEP_3)
	v_sub_nc_u32_e32 v11, v11, v16
	v_lshrrev_b32_e32 v9, s27, v9
	s_delay_alu instid0(VALU_DEP_2) | instskip(SKIP_2) | instid1(VALU_DEP_4)
	v_mul_lo_u32 v16, v11, s40
	v_mul_lo_u32 v11, v11, s41
	v_sub_nc_u32_e32 v10, v10, v14
	v_mul_lo_u32 v17, v9, s25
	s_delay_alu instid0(VALU_DEP_2) | instskip(SKIP_1) | instid1(VALU_DEP_3)
	v_mul_lo_u32 v14, v10, s38
	v_mul_lo_u32 v10, v10, s39
	v_sub_nc_u32_e32 v12, v12, v17
	s_delay_alu instid0(VALU_DEP_3) | instskip(NEXT) | instid1(VALU_DEP_2)
	v_add3_u32 v0, v13, v0, v14
	v_mul_lo_u32 v17, v12, s42
	v_mul_lo_u32 v12, v12, s43
	v_add3_u32 v4, v15, v4, v10
	s_delay_alu instid0(VALU_DEP_3) | instskip(NEXT) | instid1(VALU_DEP_2)
	v_add3_u32 v0, v16, v0, v17
	v_add3_u32 v4, v11, v4, v12
	s_cbranch_scc1 .LBB521_1136
; %bb.1137:
	s_and_b32 s7, s7, 3
	s_delay_alu instid0(SALU_CYCLE_1)
	s_cmp_eq_u32 s7, 0
	s_cbranch_scc0 .LBB521_1140
	s_branch .LBB521_1142
.LBB521_1138:
	s_mov_b32 s6, -1
                                        ; implicit-def: $vgpr0
                                        ; implicit-def: $vgpr4
	s_branch .LBB521_1142
.LBB521_1139:
	v_dual_mov_b32 v9, v8 :: v_dual_mov_b32 v4, 0
	s_and_b32 s7, s7, 3
	s_delay_alu instid0(SALU_CYCLE_1)
	s_cmp_eq_u32 s7, 0
	s_cbranch_scc1 .LBB521_1142
.LBB521_1140:
	s_lshl_b32 s2, s10, 3
	s_mul_i32 s4, s10, 12
	s_add_u32 s2, s2, s20
	s_addc_u32 s3, 0, s21
	s_add_u32 s2, s2, 0xc4
	s_addc_u32 s3, s3, 0
	;; [unrolled: 2-line block ×3, first 2 shown]
	.p2align	6
.LBB521_1141:                           ; =>This Inner Loop Header: Depth=1
	s_clause 0x1
	s_load_b64 s[10:11], s[4:5], 0x4
	s_load_b32 s14, s[4:5], 0xc
	s_load_b64 s[12:13], s[2:3], 0x0
	s_add_u32 s4, s4, 12
	s_addc_u32 s5, s5, 0
	s_add_u32 s2, s2, 8
	s_addc_u32 s3, s3, 0
	s_add_i32 s7, s7, -1
	s_delay_alu instid0(SALU_CYCLE_1) | instskip(SKIP_2) | instid1(VALU_DEP_1)
	s_cmp_lg_u32 s7, 0
	s_waitcnt lgkmcnt(0)
	v_mul_hi_u32 v10, s11, v9
	v_add_nc_u32_e32 v10, v9, v10
	s_delay_alu instid0(VALU_DEP_1) | instskip(NEXT) | instid1(VALU_DEP_1)
	v_lshrrev_b32_e32 v13, s14, v10
	v_mul_lo_u32 v10, v13, s10
	s_delay_alu instid0(VALU_DEP_1) | instskip(NEXT) | instid1(VALU_DEP_1)
	v_sub_nc_u32_e32 v9, v9, v10
	v_mad_u64_u32 v[10:11], null, v9, s12, v[0:1]
	v_mad_u64_u32 v[11:12], null, v9, s13, v[4:5]
	s_delay_alu instid0(VALU_DEP_2) | instskip(NEXT) | instid1(VALU_DEP_2)
	v_dual_mov_b32 v9, v13 :: v_dual_mov_b32 v0, v10
	v_mov_b32_e32 v4, v11
	s_cbranch_scc1 .LBB521_1141
.LBB521_1142:
	s_and_not1_b32 vcc_lo, exec_lo, s6
	s_cbranch_vccnz .LBB521_1145
; %bb.1143:
	s_clause 0x1
	s_load_b128 s[4:7], s[20:21], 0x4
	s_load_b64 s[2:3], s[20:21], 0xc4
	s_cmp_lt_u32 s28, 2
	s_waitcnt lgkmcnt(0)
	v_mul_hi_u32 v0, s5, v8
	s_delay_alu instid0(VALU_DEP_1) | instskip(NEXT) | instid1(VALU_DEP_1)
	v_add_nc_u32_e32 v0, v8, v0
	v_lshrrev_b32_e32 v9, s6, v0
	s_delay_alu instid0(VALU_DEP_1) | instskip(NEXT) | instid1(VALU_DEP_1)
	v_mul_lo_u32 v0, v9, s4
	v_sub_nc_u32_e32 v4, v8, v0
	s_delay_alu instid0(VALU_DEP_1)
	v_mul_lo_u32 v0, v4, s2
	v_mul_lo_u32 v4, v4, s3
	s_cbranch_scc1 .LBB521_1145
; %bb.1144:
	s_clause 0x1
	s_load_b128 s[4:7], s[20:21], 0x10
	s_load_b64 s[2:3], s[20:21], 0xcc
	s_waitcnt lgkmcnt(0)
	v_mul_hi_u32 v8, s5, v9
	s_delay_alu instid0(VALU_DEP_1) | instskip(NEXT) | instid1(VALU_DEP_1)
	v_add_nc_u32_e32 v8, v9, v8
	v_lshrrev_b32_e32 v8, s6, v8
	s_delay_alu instid0(VALU_DEP_1) | instskip(NEXT) | instid1(VALU_DEP_1)
	v_mul_lo_u32 v8, v8, s4
	v_sub_nc_u32_e32 v11, v9, v8
	s_delay_alu instid0(VALU_DEP_1) | instskip(SKIP_1) | instid1(VALU_DEP_2)
	v_mad_u64_u32 v[8:9], null, v11, s2, v[0:1]
	v_mad_u64_u32 v[9:10], null, v11, s3, v[4:5]
	v_mov_b32_e32 v0, v8
	s_delay_alu instid0(VALU_DEP_2)
	v_mov_b32_e32 v4, v9
.LBB521_1145:
	s_clause 0x1
	s_load_b32 s0, s[0:1], 0x16c
	s_load_b128 s[4:7], s[20:21], 0x148
	s_mov_b32 s3, 0
	s_waitcnt lgkmcnt(0)
	s_lshr_b32 s0, s0, 8
	s_delay_alu instid0(SALU_CYCLE_1) | instskip(SKIP_1) | instid1(VALU_DEP_1)
	v_and_b32_e64 v12, 0xff, s0
	v_add_co_u32 v8, s0, s6, v5
	v_add_co_ci_u32_e64 v9, null, s7, 0, s0
	s_delay_alu instid0(VALU_DEP_3)
	v_cmp_gt_i16_e32 vcc_lo, 11, v12
	s_cbranch_vccnz .LBB521_1152
; %bb.1146:
	v_cmp_lt_i16_e32 vcc_lo, 25, v12
	s_mov_b32 s2, 0
	s_cbranch_vccz .LBB521_1158
; %bb.1147:
	v_cmp_lt_i16_e32 vcc_lo, 28, v12
	s_cbranch_vccz .LBB521_1160
; %bb.1148:
	v_cmp_lt_i16_e32 vcc_lo, 43, v12
	;; [unrolled: 3-line block ×3, first 2 shown]
	s_cbranch_vccz .LBB521_1166
; %bb.1150:
	v_cmp_eq_u16_e32 vcc_lo, 46, v12
	s_mov_b32 s1, 0
	s_cbranch_vccz .LBB521_1208
; %bb.1151:
	global_load_b32 v5, v[8:9], off
	s_mov_b32 s0, 0
	s_mov_b32 s3, -1
	s_waitcnt vmcnt(0)
	v_lshlrev_b32_e32 v10, 16, v5
	s_branch .LBB521_1210
.LBB521_1152:
	s_mov_b32 s1, s8
                                        ; implicit-def: $vgpr10
	s_cbranch_execz .LBB521_1273
; %bb.1153:
	v_cmp_gt_i16_e32 vcc_lo, 5, v12
	s_cbranch_vccnz .LBB521_1159
; %bb.1154:
	v_cmp_gt_i16_e32 vcc_lo, 8, v12
	s_cbranch_vccnz .LBB521_1161
	;; [unrolled: 3-line block ×3, first 2 shown]
; %bb.1156:
	v_cmp_lt_i16_e32 vcc_lo, 9, v12
	s_cbranch_vccz .LBB521_1167
; %bb.1157:
	global_load_b64 v[10:11], v[8:9], off
	s_mov_b32 s0, 0
	s_waitcnt vmcnt(0)
	v_cvt_f32_f64_e32 v10, v[10:11]
	s_branch .LBB521_1168
.LBB521_1158:
	s_mov_b32 s0, 0
                                        ; implicit-def: $vgpr10
	s_cbranch_execnz .LBB521_1238
	s_branch .LBB521_1269
.LBB521_1159:
                                        ; implicit-def: $vgpr10
	s_branch .LBB521_1185
.LBB521_1160:
	s_mov_b32 s1, -1
	s_mov_b32 s0, 0
                                        ; implicit-def: $vgpr10
	s_branch .LBB521_1219
.LBB521_1161:
                                        ; implicit-def: $vgpr10
	s_branch .LBB521_1174
.LBB521_1162:
	s_mov_b32 s0, 0
                                        ; implicit-def: $vgpr10
	s_cbranch_execnz .LBB521_1215
	s_branch .LBB521_1218
.LBB521_1163:
	s_mov_b32 s0, -1
                                        ; implicit-def: $vgpr10
	s_branch .LBB521_1171
.LBB521_1164:
	s_cbranch_execnz .LBB521_1206
; %bb.1165:
	s_or_b32 s3, s3, exec_lo
	s_and_not1_b32 s11, s11, exec_lo
	s_or_b32 exec_lo, exec_lo, s2
	s_and_saveexec_b32 s2, s11
	s_delay_alu instid0(SALU_CYCLE_1)
	s_xor_b32 s2, exec_lo, s2
	s_cbranch_execnz .LBB521_1052
	s_branch .LBB521_1053
.LBB521_1166:
	s_mov_b32 s1, -1
	s_mov_b32 s0, 0
	s_branch .LBB521_1209
.LBB521_1167:
	s_mov_b32 s0, -1
                                        ; implicit-def: $vgpr10
.LBB521_1168:
	s_delay_alu instid0(SALU_CYCLE_1)
	s_and_not1_b32 vcc_lo, exec_lo, s0
	s_cbranch_vccnz .LBB521_1170
; %bb.1169:
	global_load_b32 v10, v[8:9], off
.LBB521_1170:
	s_mov_b32 s0, 0
.LBB521_1171:
	s_delay_alu instid0(SALU_CYCLE_1)
	s_and_not1_b32 vcc_lo, exec_lo, s0
	s_cbranch_vccnz .LBB521_1173
; %bb.1172:
	global_load_b32 v5, v[8:9], off
	s_waitcnt vmcnt(0)
	v_cvt_f32_f16_e32 v10, v5
.LBB521_1173:
	s_cbranch_execnz .LBB521_1184
.LBB521_1174:
	v_cmp_gt_i16_e32 vcc_lo, 6, v12
	s_cbranch_vccnz .LBB521_1177
; %bb.1175:
	v_cmp_lt_i16_e32 vcc_lo, 6, v12
	s_cbranch_vccz .LBB521_1178
; %bb.1176:
	global_load_b64 v[10:11], v[8:9], off
	s_mov_b32 s0, 0
	s_waitcnt vmcnt(0)
	v_cvt_f32_f64_e32 v10, v[10:11]
	s_branch .LBB521_1179
.LBB521_1177:
	s_mov_b32 s0, -1
                                        ; implicit-def: $vgpr10
	s_branch .LBB521_1182
.LBB521_1178:
	s_mov_b32 s0, -1
                                        ; implicit-def: $vgpr10
.LBB521_1179:
	s_delay_alu instid0(SALU_CYCLE_1)
	s_and_not1_b32 vcc_lo, exec_lo, s0
	s_cbranch_vccnz .LBB521_1181
; %bb.1180:
	global_load_b32 v10, v[8:9], off
.LBB521_1181:
	s_mov_b32 s0, 0
.LBB521_1182:
	s_delay_alu instid0(SALU_CYCLE_1)
	s_and_not1_b32 vcc_lo, exec_lo, s0
	s_cbranch_vccnz .LBB521_1184
; %bb.1183:
	global_load_u16 v5, v[8:9], off
	s_waitcnt vmcnt(0)
	v_cvt_f32_f16_e32 v10, v5
.LBB521_1184:
	s_cbranch_execnz .LBB521_1203
.LBB521_1185:
	v_cmp_gt_i16_e32 vcc_lo, 2, v12
	s_cbranch_vccnz .LBB521_1189
; %bb.1186:
	v_cmp_gt_i16_e32 vcc_lo, 3, v12
	s_cbranch_vccnz .LBB521_1190
; %bb.1187:
	v_cmp_lt_i16_e32 vcc_lo, 3, v12
	s_cbranch_vccz .LBB521_1191
; %bb.1188:
	global_load_b64 v[10:11], v[8:9], off
	s_mov_b32 s0, 0
	s_waitcnt vmcnt(0)
	v_xor_b32_e32 v5, v10, v11
	v_cls_i32_e32 v13, v11
	s_delay_alu instid0(VALU_DEP_2) | instskip(NEXT) | instid1(VALU_DEP_2)
	v_ashrrev_i32_e32 v5, 31, v5
	v_add_nc_u32_e32 v13, -1, v13
	s_delay_alu instid0(VALU_DEP_2) | instskip(NEXT) | instid1(VALU_DEP_1)
	v_add_nc_u32_e32 v5, 32, v5
	v_min_u32_e32 v5, v13, v5
	s_delay_alu instid0(VALU_DEP_1) | instskip(SKIP_1) | instid1(VALU_DEP_2)
	v_lshlrev_b64 v[10:11], v5, v[10:11]
	v_sub_nc_u32_e32 v5, 32, v5
	v_min_u32_e32 v10, 1, v10
	s_delay_alu instid0(VALU_DEP_1) | instskip(NEXT) | instid1(VALU_DEP_1)
	v_or_b32_e32 v10, v11, v10
	v_cvt_f32_i32_e32 v10, v10
	s_delay_alu instid0(VALU_DEP_1)
	v_ldexp_f32 v10, v10, v5
	s_branch .LBB521_1192
.LBB521_1189:
                                        ; implicit-def: $vgpr10
	s_branch .LBB521_1198
.LBB521_1190:
	s_mov_b32 s0, -1
                                        ; implicit-def: $vgpr10
	s_branch .LBB521_1195
.LBB521_1191:
	s_mov_b32 s0, -1
                                        ; implicit-def: $vgpr10
.LBB521_1192:
	s_delay_alu instid0(SALU_CYCLE_1)
	s_and_not1_b32 vcc_lo, exec_lo, s0
	s_cbranch_vccnz .LBB521_1194
; %bb.1193:
	global_load_b32 v5, v[8:9], off
	s_waitcnt vmcnt(0)
	v_cvt_f32_i32_e32 v10, v5
.LBB521_1194:
	s_mov_b32 s0, 0
.LBB521_1195:
	s_delay_alu instid0(SALU_CYCLE_1)
	s_and_not1_b32 vcc_lo, exec_lo, s0
	s_cbranch_vccnz .LBB521_1197
; %bb.1196:
	global_load_i16 v5, v[8:9], off
	s_waitcnt vmcnt(0)
	v_cvt_f32_i32_e32 v10, v5
.LBB521_1197:
	s_cbranch_execnz .LBB521_1203
.LBB521_1198:
	v_cmp_lt_i16_e32 vcc_lo, 0, v12
	s_mov_b32 s0, 0
	s_cbranch_vccz .LBB521_1200
; %bb.1199:
	global_load_i8 v5, v[8:9], off
	s_waitcnt vmcnt(0)
	v_cvt_f32_i32_e32 v10, v5
	s_branch .LBB521_1201
.LBB521_1200:
	s_mov_b32 s0, -1
                                        ; implicit-def: $vgpr10
.LBB521_1201:
	s_delay_alu instid0(SALU_CYCLE_1)
	s_and_not1_b32 vcc_lo, exec_lo, s0
	s_cbranch_vccnz .LBB521_1203
; %bb.1202:
	global_load_u8 v5, v[8:9], off
	s_waitcnt vmcnt(0)
	v_cvt_f32_ubyte0_e32 v10, v5
.LBB521_1203:
	s_branch .LBB521_1274
.LBB521_1204:
	s_trap 2
	s_sendmsg_rtn_b32 s0, sendmsg(MSG_RTN_GET_DOORBELL)
	s_mov_b32 ttmp2, m0
	s_waitcnt lgkmcnt(0)
	s_and_b32 s0, s0, 0x3ff
	s_delay_alu instid0(SALU_CYCLE_1) | instskip(NEXT) | instid1(SALU_CYCLE_1)
	s_bitset1_b32 s0, 10
	s_mov_b32 m0, s0
	s_sendmsg sendmsg(MSG_INTERRUPT)
	s_mov_b32 m0, ttmp2
.LBB521_1205:                           ; =>This Inner Loop Header: Depth=1
	s_sethalt 5
	s_branch .LBB521_1205
.LBB521_1206:
	s_trap 2
	s_sendmsg_rtn_b32 s0, sendmsg(MSG_RTN_GET_DOORBELL)
	s_mov_b32 ttmp2, m0
	s_waitcnt lgkmcnt(0)
	s_and_b32 s0, s0, 0x3ff
	s_delay_alu instid0(SALU_CYCLE_1) | instskip(NEXT) | instid1(SALU_CYCLE_1)
	s_bitset1_b32 s0, 10
	s_mov_b32 m0, s0
	s_sendmsg sendmsg(MSG_INTERRUPT)
	s_mov_b32 m0, ttmp2
.LBB521_1207:                           ; =>This Inner Loop Header: Depth=1
	s_sethalt 5
	s_branch .LBB521_1207
.LBB521_1208:
	s_mov_b32 s0, -1
.LBB521_1209:
                                        ; implicit-def: $vgpr10
.LBB521_1210:
	s_and_b32 vcc_lo, exec_lo, s1
	s_cbranch_vccz .LBB521_1213
; %bb.1211:
	v_cmp_eq_u16_e32 vcc_lo, 44, v12
	s_cbranch_vccz .LBB521_1214
; %bb.1212:
	global_load_u8 v5, v[8:9], off
	s_mov_b32 s0, 0
	s_mov_b32 s3, -1
	s_waitcnt vmcnt(0)
	v_lshlrev_b32_e32 v10, 23, v5
	v_cmp_ne_u32_e32 vcc_lo, 0xff, v5
	s_delay_alu instid0(VALU_DEP_2) | instskip(SKIP_1) | instid1(VALU_DEP_2)
	v_cndmask_b32_e32 v10, 0x7f800001, v10, vcc_lo
	v_cmp_ne_u32_e32 vcc_lo, 0, v5
	v_cndmask_b32_e32 v10, 0x400000, v10, vcc_lo
.LBB521_1213:
	s_branch .LBB521_1218
.LBB521_1214:
	s_mov_b32 s0, -1
                                        ; implicit-def: $vgpr10
	s_branch .LBB521_1218
.LBB521_1215:
	v_cmp_eq_u16_e32 vcc_lo, 29, v12
	s_cbranch_vccz .LBB521_1217
; %bb.1216:
	global_load_b64 v[10:11], v[8:9], off
	s_mov_b32 s0, 0
	s_mov_b32 s3, -1
	s_mov_b32 s1, 0
	s_waitcnt vmcnt(0)
	v_clz_i32_u32_e32 v5, v11
	s_delay_alu instid0(VALU_DEP_1) | instskip(NEXT) | instid1(VALU_DEP_1)
	v_min_u32_e32 v5, 32, v5
	v_lshlrev_b64 v[10:11], v5, v[10:11]
	v_sub_nc_u32_e32 v5, 32, v5
	s_delay_alu instid0(VALU_DEP_2) | instskip(NEXT) | instid1(VALU_DEP_1)
	v_min_u32_e32 v10, 1, v10
	v_or_b32_e32 v10, v11, v10
	s_delay_alu instid0(VALU_DEP_1) | instskip(NEXT) | instid1(VALU_DEP_1)
	v_cvt_f32_u32_e32 v10, v10
	v_ldexp_f32 v10, v10, v5
	s_branch .LBB521_1219
.LBB521_1217:
	s_mov_b32 s0, -1
                                        ; implicit-def: $vgpr10
.LBB521_1218:
	s_mov_b32 s1, 0
.LBB521_1219:
	s_delay_alu instid0(SALU_CYCLE_1)
	s_and_b32 vcc_lo, exec_lo, s1
	s_cbranch_vccz .LBB521_1237
; %bb.1220:
	v_cmp_gt_i16_e32 vcc_lo, 27, v12
	s_cbranch_vccnz .LBB521_1223
; %bb.1221:
	v_cmp_lt_i16_e32 vcc_lo, 27, v12
	s_cbranch_vccz .LBB521_1224
; %bb.1222:
	global_load_b32 v5, v[8:9], off
	s_mov_b32 s1, 0
	s_waitcnt vmcnt(0)
	v_cvt_f32_u32_e32 v10, v5
	s_branch .LBB521_1225
.LBB521_1223:
	s_mov_b32 s1, -1
                                        ; implicit-def: $vgpr10
	s_branch .LBB521_1228
.LBB521_1224:
	s_mov_b32 s1, -1
                                        ; implicit-def: $vgpr10
.LBB521_1225:
	s_delay_alu instid0(SALU_CYCLE_1)
	s_and_not1_b32 vcc_lo, exec_lo, s1
	s_cbranch_vccnz .LBB521_1227
; %bb.1226:
	global_load_u16 v5, v[8:9], off
	s_waitcnt vmcnt(0)
	v_cvt_f32_u32_e32 v10, v5
.LBB521_1227:
	s_mov_b32 s1, 0
.LBB521_1228:
	s_delay_alu instid0(SALU_CYCLE_1)
	s_and_not1_b32 vcc_lo, exec_lo, s1
	s_cbranch_vccnz .LBB521_1236
; %bb.1229:
	global_load_u8 v5, v[8:9], off
	s_mov_b32 s1, 0
	s_mov_b32 s10, exec_lo
                                        ; implicit-def: $sgpr3
	s_waitcnt vmcnt(0)
	v_cmpx_lt_i16_e32 0x7f, v5
	s_xor_b32 s10, exec_lo, s10
	s_cbranch_execz .LBB521_1249
; %bb.1230:
	s_mov_b32 s1, -1
	s_mov_b32 s11, exec_lo
                                        ; implicit-def: $sgpr3
	v_cmpx_eq_u16_e32 0x80, v5
; %bb.1231:
	s_mov_b32 s3, 0x7f800001
	s_xor_b32 s1, exec_lo, -1
; %bb.1232:
	s_or_b32 exec_lo, exec_lo, s11
	s_delay_alu instid0(SALU_CYCLE_1)
	s_and_b32 s1, s1, exec_lo
	s_or_saveexec_b32 s10, s10
	v_mov_b32_e32 v10, s3
	s_xor_b32 exec_lo, exec_lo, s10
	s_cbranch_execnz .LBB521_1250
.LBB521_1233:
	s_or_b32 exec_lo, exec_lo, s10
	s_and_saveexec_b32 s3, s1
	s_cbranch_execz .LBB521_1235
.LBB521_1234:
	v_and_b32_e32 v10, 0xffff, v5
	v_lshlrev_b32_e32 v5, 24, v5
	s_delay_alu instid0(VALU_DEP_2) | instskip(NEXT) | instid1(VALU_DEP_2)
	v_and_b32_e32 v11, 7, v10
	v_and_b32_e32 v5, 0x80000000, v5
	s_delay_alu instid0(VALU_DEP_2) | instskip(NEXT) | instid1(VALU_DEP_1)
	v_clz_i32_u32_e32 v13, v11
	v_min_u32_e32 v13, 32, v13
	s_delay_alu instid0(VALU_DEP_1) | instskip(SKIP_1) | instid1(VALU_DEP_2)
	v_subrev_nc_u32_e32 v14, 28, v13
	v_sub_nc_u32_e32 v13, 29, v13
	v_lshlrev_b32_e32 v14, v14, v10
	v_bfe_u32 v10, v10, 3, 4
	s_delay_alu instid0(VALU_DEP_2) | instskip(NEXT) | instid1(VALU_DEP_2)
	v_and_b32_e32 v14, 7, v14
	v_cmp_eq_u32_e32 vcc_lo, 0, v10
	s_delay_alu instid0(VALU_DEP_2) | instskip(NEXT) | instid1(VALU_DEP_1)
	v_dual_cndmask_b32 v10, v10, v13 :: v_dual_cndmask_b32 v11, v11, v14
	v_lshl_add_u32 v10, v10, 23, 0x3b800000
	s_delay_alu instid0(VALU_DEP_2) | instskip(NEXT) | instid1(VALU_DEP_1)
	v_lshlrev_b32_e32 v11, 20, v11
	v_or3_b32 v10, v5, v10, v11
.LBB521_1235:
	s_or_b32 exec_lo, exec_lo, s3
.LBB521_1236:
	s_mov_b32 s3, -1
.LBB521_1237:
	s_branch .LBB521_1269
.LBB521_1238:
	v_cmp_lt_i16_e32 vcc_lo, 22, v12
	s_cbranch_vccz .LBB521_1248
; %bb.1239:
	v_cmp_gt_i16_e32 vcc_lo, 24, v12
	s_cbranch_vccnz .LBB521_1251
; %bb.1240:
	v_cmp_lt_i16_e32 vcc_lo, 24, v12
	s_cbranch_vccz .LBB521_1252
; %bb.1241:
	global_load_u8 v5, v[8:9], off
	s_mov_b32 s1, 0
	s_mov_b32 s3, exec_lo
                                        ; implicit-def: $sgpr2
	s_waitcnt vmcnt(0)
	v_cmpx_lt_i16_e32 0x7f, v5
	s_xor_b32 s3, exec_lo, s3
	s_cbranch_execz .LBB521_1263
; %bb.1242:
	s_mov_b32 s1, -1
	s_mov_b32 s10, exec_lo
                                        ; implicit-def: $sgpr2
	v_cmpx_eq_u16_e32 0x80, v5
; %bb.1243:
	s_mov_b32 s2, 0x7f800001
	s_xor_b32 s1, exec_lo, -1
; %bb.1244:
	s_or_b32 exec_lo, exec_lo, s10
	s_delay_alu instid0(SALU_CYCLE_1)
	s_and_b32 s1, s1, exec_lo
	s_or_saveexec_b32 s3, s3
	v_mov_b32_e32 v10, s2
	s_xor_b32 exec_lo, exec_lo, s3
	s_cbranch_execnz .LBB521_1264
.LBB521_1245:
	s_or_b32 exec_lo, exec_lo, s3
	s_and_saveexec_b32 s2, s1
	s_cbranch_execz .LBB521_1247
.LBB521_1246:
	v_and_b32_e32 v10, 0xffff, v5
	v_lshlrev_b32_e32 v5, 24, v5
	s_delay_alu instid0(VALU_DEP_2) | instskip(NEXT) | instid1(VALU_DEP_2)
	v_and_b32_e32 v11, 3, v10
	v_and_b32_e32 v5, 0x80000000, v5
	s_delay_alu instid0(VALU_DEP_2) | instskip(NEXT) | instid1(VALU_DEP_1)
	v_clz_i32_u32_e32 v13, v11
	v_min_u32_e32 v13, 32, v13
	s_delay_alu instid0(VALU_DEP_1) | instskip(SKIP_1) | instid1(VALU_DEP_2)
	v_subrev_nc_u32_e32 v14, 29, v13
	v_sub_nc_u32_e32 v13, 30, v13
	v_lshlrev_b32_e32 v14, v14, v10
	v_bfe_u32 v10, v10, 2, 5
	s_delay_alu instid0(VALU_DEP_2) | instskip(NEXT) | instid1(VALU_DEP_2)
	v_and_b32_e32 v14, 3, v14
	v_cmp_eq_u32_e32 vcc_lo, 0, v10
	s_delay_alu instid0(VALU_DEP_2) | instskip(NEXT) | instid1(VALU_DEP_1)
	v_dual_cndmask_b32 v10, v10, v13 :: v_dual_cndmask_b32 v11, v11, v14
	v_lshl_add_u32 v10, v10, 23, 0x37800000
	s_delay_alu instid0(VALU_DEP_2) | instskip(NEXT) | instid1(VALU_DEP_1)
	v_lshlrev_b32_e32 v11, 21, v11
	v_or3_b32 v10, v5, v10, v11
.LBB521_1247:
	s_or_b32 exec_lo, exec_lo, s2
	s_mov_b32 s1, 0
	s_branch .LBB521_1253
.LBB521_1248:
                                        ; implicit-def: $vgpr10
	s_mov_b32 s2, 0
	s_branch .LBB521_1259
.LBB521_1249:
	s_or_saveexec_b32 s10, s10
	v_mov_b32_e32 v10, s3
	s_xor_b32 exec_lo, exec_lo, s10
	s_cbranch_execz .LBB521_1233
.LBB521_1250:
	v_cmp_ne_u16_e32 vcc_lo, 0, v5
	v_mov_b32_e32 v10, 0
	s_and_not1_b32 s1, s1, exec_lo
	s_and_b32 s3, vcc_lo, exec_lo
	s_delay_alu instid0(SALU_CYCLE_1)
	s_or_b32 s1, s1, s3
	s_or_b32 exec_lo, exec_lo, s10
	s_and_saveexec_b32 s3, s1
	s_cbranch_execnz .LBB521_1234
	s_branch .LBB521_1235
.LBB521_1251:
	s_mov_b32 s1, -1
                                        ; implicit-def: $vgpr10
	s_branch .LBB521_1256
.LBB521_1252:
	s_mov_b32 s1, -1
                                        ; implicit-def: $vgpr10
.LBB521_1253:
	s_delay_alu instid0(SALU_CYCLE_1)
	s_and_b32 vcc_lo, exec_lo, s1
	s_cbranch_vccz .LBB521_1255
; %bb.1254:
	global_load_u8 v5, v[8:9], off
	s_waitcnt vmcnt(0)
	v_lshlrev_b32_e32 v5, 24, v5
	s_delay_alu instid0(VALU_DEP_1) | instskip(NEXT) | instid1(VALU_DEP_1)
	v_and_b32_e32 v10, 0x7f000000, v5
	v_clz_i32_u32_e32 v11, v10
	v_add_nc_u32_e32 v14, 0x1000000, v10
	v_cmp_ne_u32_e32 vcc_lo, 0, v10
	s_delay_alu instid0(VALU_DEP_3) | instskip(NEXT) | instid1(VALU_DEP_1)
	v_min_u32_e32 v11, 32, v11
	v_sub_nc_u32_e64 v11, v11, 4 clamp
	s_delay_alu instid0(VALU_DEP_1) | instskip(SKIP_1) | instid1(VALU_DEP_2)
	v_lshlrev_b32_e32 v13, v11, v10
	v_lshlrev_b32_e32 v11, 23, v11
	v_lshrrev_b32_e32 v13, 4, v13
	s_delay_alu instid0(VALU_DEP_1) | instskip(SKIP_1) | instid1(VALU_DEP_2)
	v_sub_nc_u32_e32 v11, v13, v11
	v_ashrrev_i32_e32 v13, 8, v14
	v_add_nc_u32_e32 v11, 0x3c000000, v11
	s_delay_alu instid0(VALU_DEP_1) | instskip(NEXT) | instid1(VALU_DEP_1)
	v_and_or_b32 v11, 0x7f800000, v13, v11
	v_cndmask_b32_e32 v10, 0, v11, vcc_lo
	s_delay_alu instid0(VALU_DEP_1)
	v_and_or_b32 v10, 0x80000000, v5, v10
.LBB521_1255:
	s_mov_b32 s1, 0
.LBB521_1256:
	s_delay_alu instid0(SALU_CYCLE_1)
	s_and_not1_b32 vcc_lo, exec_lo, s1
	s_cbranch_vccnz .LBB521_1258
; %bb.1257:
	global_load_u8 v5, v[8:9], off
	s_waitcnt vmcnt(0)
	v_lshlrev_b32_e32 v10, 25, v5
	v_lshlrev_b16 v5, 8, v5
	s_delay_alu instid0(VALU_DEP_2) | instskip(NEXT) | instid1(VALU_DEP_2)
	v_lshrrev_b32_e32 v11, 4, v10
	v_and_or_b32 v13, 0x7f00, v5, 0.5
	v_bfe_i32 v5, v5, 0, 16
	s_delay_alu instid0(VALU_DEP_3) | instskip(NEXT) | instid1(VALU_DEP_3)
	v_or_b32_e32 v11, 0x70000000, v11
	v_add_f32_e32 v13, -0.5, v13
	s_delay_alu instid0(VALU_DEP_2) | instskip(SKIP_1) | instid1(VALU_DEP_2)
	v_mul_f32_e32 v11, 0x7800000, v11
	v_cmp_gt_u32_e32 vcc_lo, 0x8000000, v10
	v_cndmask_b32_e32 v10, v11, v13, vcc_lo
	s_delay_alu instid0(VALU_DEP_1)
	v_and_or_b32 v10, 0x80000000, v5, v10
.LBB521_1258:
	s_mov_b32 s3, -1
	s_mov_b32 s2, 0
	s_cbranch_execnz .LBB521_1269
.LBB521_1259:
	v_cmp_lt_i16_e32 vcc_lo, 14, v12
	s_cbranch_vccz .LBB521_1262
; %bb.1260:
	v_cmp_eq_u16_e32 vcc_lo, 15, v12
	s_cbranch_vccz .LBB521_1265
; %bb.1261:
	global_load_u16 v5, v[8:9], off
	s_mov_b32 s0, 0
	s_mov_b32 s3, -1
	s_waitcnt vmcnt(0)
	v_lshlrev_b32_e32 v10, 16, v5
	s_branch .LBB521_1266
.LBB521_1262:
	s_mov_b32 s1, -1
                                        ; implicit-def: $vgpr10
	s_branch .LBB521_1267
.LBB521_1263:
	s_or_saveexec_b32 s3, s3
	v_mov_b32_e32 v10, s2
	s_xor_b32 exec_lo, exec_lo, s3
	s_cbranch_execz .LBB521_1245
.LBB521_1264:
	v_cmp_ne_u16_e32 vcc_lo, 0, v5
	v_mov_b32_e32 v10, 0
	s_and_not1_b32 s1, s1, exec_lo
	s_and_b32 s2, vcc_lo, exec_lo
	s_delay_alu instid0(SALU_CYCLE_1)
	s_or_b32 s1, s1, s2
	s_or_b32 exec_lo, exec_lo, s3
	s_and_saveexec_b32 s2, s1
	s_cbranch_execnz .LBB521_1246
	s_branch .LBB521_1247
.LBB521_1265:
	s_mov_b32 s0, -1
                                        ; implicit-def: $vgpr10
.LBB521_1266:
	s_mov_b32 s1, 0
.LBB521_1267:
	s_delay_alu instid0(SALU_CYCLE_1)
	s_and_b32 vcc_lo, exec_lo, s1
	s_cbranch_vccz .LBB521_1269
; %bb.1268:
	v_cmp_ne_u16_e64 s0, 11, v12
	s_mov_b32 s2, -1
                                        ; implicit-def: $vgpr10
.LBB521_1269:
	s_delay_alu instid0(VALU_DEP_1)
	s_and_b32 vcc_lo, exec_lo, s0
	s_mov_b32 s1, s8
	s_cbranch_vccnz .LBB521_1297
; %bb.1270:
	s_and_not1_b32 vcc_lo, exec_lo, s2
	s_cbranch_vccnz .LBB521_1272
.LBB521_1271:
	global_load_u8 v5, v[8:9], off
	s_mov_b32 s3, -1
	s_waitcnt vmcnt(0)
	v_cmp_ne_u16_e32 vcc_lo, 0, v5
	v_cndmask_b32_e64 v10, 0, 1.0, vcc_lo
.LBB521_1272:
.LBB521_1273:
	s_and_not1_b32 vcc_lo, exec_lo, s3
	s_cbranch_vccnz .LBB521_1699
.LBB521_1274:
	s_load_b32 s0, s[20:21], 0x158
	s_mov_b32 s2, exec_lo
	s_waitcnt lgkmcnt(0)
	v_mov_b32_e32 v5, s0
	s_waitcnt vmcnt(0)
	s_delay_alu instid0(VALU_DEP_2)
	v_cmpx_o_f32_e32 v10, v10
	s_cbranch_execz .LBB521_1278
; %bb.1275:
	s_load_b32 s3, s[20:21], 0x15c
	s_waitcnt lgkmcnt(0)
	v_mov_b32_e32 v5, s3
	s_mov_b32 s3, exec_lo
	v_cmpx_neq_f32_e32 0x7f800000, v10
	s_cbranch_execz .LBB521_1277
; %bb.1276:
	s_load_b32 s10, s[20:21], 0x160
	v_cmp_eq_f32_e32 vcc_lo, 0xff800000, v10
	s_waitcnt lgkmcnt(0)
	v_cndmask_b32_e64 v5, v10, s10, vcc_lo
.LBB521_1277:
	s_or_b32 exec_lo, exec_lo, s3
.LBB521_1278:
	s_delay_alu instid0(SALU_CYCLE_1) | instskip(SKIP_2) | instid1(VALU_DEP_1)
	s_or_b32 exec_lo, exec_lo, s2
	v_cmp_gt_i16_e32 vcc_lo, 11, v12
	v_add_co_u32 v7, s2, s6, v7
	v_add_co_ci_u32_e64 v8, null, s7, 0, s2
	s_mov_b32 s10, 0
	s_cbranch_vccnz .LBB521_1285
; %bb.1279:
	v_cmp_lt_i16_e32 vcc_lo, 25, v12
	s_mov_b32 s3, 0
	s_cbranch_vccz .LBB521_1291
; %bb.1280:
	v_cmp_lt_i16_e32 vcc_lo, 28, v12
	s_cbranch_vccz .LBB521_1293
; %bb.1281:
	v_cmp_lt_i16_e32 vcc_lo, 43, v12
	;; [unrolled: 3-line block ×3, first 2 shown]
	s_cbranch_vccz .LBB521_1301
; %bb.1283:
	v_cmp_eq_u16_e32 vcc_lo, 46, v12
	s_mov_b32 s11, 0
	s_cbranch_vccz .LBB521_1345
; %bb.1284:
	global_load_b32 v9, v[7:8], off
	s_mov_b32 s2, 0
	s_mov_b32 s10, -1
	s_waitcnt vmcnt(0)
	v_lshlrev_b32_e32 v9, 16, v9
	s_branch .LBB521_1347
.LBB521_1285:
                                        ; implicit-def: $vgpr9
	s_cbranch_execz .LBB521_1412
; %bb.1286:
	v_cmp_gt_i16_e32 vcc_lo, 5, v12
	s_cbranch_vccnz .LBB521_1292
; %bb.1287:
	v_cmp_gt_i16_e32 vcc_lo, 8, v12
	s_cbranch_vccnz .LBB521_1294
	;; [unrolled: 3-line block ×3, first 2 shown]
; %bb.1289:
	v_cmp_lt_i16_e32 vcc_lo, 9, v12
	s_cbranch_vccz .LBB521_1302
; %bb.1290:
	global_load_b64 v[9:10], v[7:8], off
	s_mov_b32 s2, 0
	s_waitcnt vmcnt(0)
	v_cvt_f32_f64_e32 v9, v[9:10]
	s_branch .LBB521_1303
.LBB521_1291:
	s_mov_b32 s2, 0
                                        ; implicit-def: $vgpr9
	s_cbranch_execnz .LBB521_1376
	s_branch .LBB521_1408
.LBB521_1292:
                                        ; implicit-def: $vgpr9
	s_branch .LBB521_1321
.LBB521_1293:
	s_mov_b32 s11, -1
	s_mov_b32 s2, 0
                                        ; implicit-def: $vgpr9
	s_branch .LBB521_1357
.LBB521_1294:
	s_mov_b32 s2, -1
                                        ; implicit-def: $vgpr9
	s_branch .LBB521_1309
.LBB521_1295:
	s_mov_b32 s11, -1
	s_mov_b32 s2, 0
                                        ; implicit-def: $vgpr9
	s_branch .LBB521_1352
.LBB521_1296:
	s_mov_b32 s2, -1
                                        ; implicit-def: $vgpr9
	s_branch .LBB521_1306
.LBB521_1297:
	s_cbranch_execnz .LBB521_1341
; %bb.1298:
	s_or_b32 s1, s8, exec_lo
                                        ; implicit-def: $vgpr10
	s_cbranch_execz .LBB521_1271
	s_branch .LBB521_1272
.LBB521_1299:
	s_or_saveexec_b32 s7, s7
                                        ; implicit-def: $sgpr8
	s_delay_alu instid0(SALU_CYCLE_1)
	s_xor_b32 exec_lo, exec_lo, s7
	s_cbranch_execz .LBB521_1003
.LBB521_1300:
	v_add_f32_e64 v0, 0x46000000, |v1|
	s_and_not1_b32 s5, s5, exec_lo
	s_mov_b32 s8, 0
	s_delay_alu instid0(VALU_DEP_1) | instskip(NEXT) | instid1(VALU_DEP_1)
	v_and_b32_e32 v0, 0xff, v0
	v_cmp_ne_u32_e32 vcc_lo, 0, v0
	s_and_b32 s9, vcc_lo, exec_lo
	s_delay_alu instid0(SALU_CYCLE_1)
	s_or_b32 s5, s5, s9
	s_or_b32 exec_lo, exec_lo, s7
	v_mov_b32_e32 v2, s8
	s_and_saveexec_b32 s7, s5
	s_cbranch_execnz .LBB521_1004
	s_branch .LBB521_1005
.LBB521_1301:
	s_mov_b32 s11, -1
	s_mov_b32 s2, 0
	s_branch .LBB521_1346
.LBB521_1302:
	s_mov_b32 s2, -1
                                        ; implicit-def: $vgpr9
.LBB521_1303:
	s_delay_alu instid0(SALU_CYCLE_1)
	s_and_not1_b32 vcc_lo, exec_lo, s2
	s_cbranch_vccnz .LBB521_1305
; %bb.1304:
	global_load_b32 v9, v[7:8], off
.LBB521_1305:
	s_mov_b32 s2, 0
.LBB521_1306:
	s_delay_alu instid0(SALU_CYCLE_1)
	s_and_not1_b32 vcc_lo, exec_lo, s2
	s_cbranch_vccnz .LBB521_1308
; %bb.1307:
	global_load_b32 v9, v[7:8], off
	s_waitcnt vmcnt(0)
	v_cvt_f32_f16_e32 v9, v9
.LBB521_1308:
	s_mov_b32 s2, 0
.LBB521_1309:
	s_delay_alu instid0(SALU_CYCLE_1)
	s_and_not1_b32 vcc_lo, exec_lo, s2
	s_cbranch_vccnz .LBB521_1320
; %bb.1310:
	v_cmp_gt_i16_e32 vcc_lo, 6, v12
	s_cbranch_vccnz .LBB521_1313
; %bb.1311:
	v_cmp_lt_i16_e32 vcc_lo, 6, v12
	s_cbranch_vccz .LBB521_1314
; %bb.1312:
	global_load_b64 v[9:10], v[7:8], off
	s_mov_b32 s2, 0
	s_waitcnt vmcnt(0)
	v_cvt_f32_f64_e32 v9, v[9:10]
	s_branch .LBB521_1315
.LBB521_1313:
	s_mov_b32 s2, -1
                                        ; implicit-def: $vgpr9
	s_branch .LBB521_1318
.LBB521_1314:
	s_mov_b32 s2, -1
                                        ; implicit-def: $vgpr9
.LBB521_1315:
	s_delay_alu instid0(SALU_CYCLE_1)
	s_and_not1_b32 vcc_lo, exec_lo, s2
	s_cbranch_vccnz .LBB521_1317
; %bb.1316:
	global_load_b32 v9, v[7:8], off
.LBB521_1317:
	s_mov_b32 s2, 0
.LBB521_1318:
	s_delay_alu instid0(SALU_CYCLE_1)
	s_and_not1_b32 vcc_lo, exec_lo, s2
	s_cbranch_vccnz .LBB521_1320
; %bb.1319:
	global_load_u16 v9, v[7:8], off
	s_waitcnt vmcnt(0)
	v_cvt_f32_f16_e32 v9, v9
.LBB521_1320:
	s_cbranch_execnz .LBB521_1340
.LBB521_1321:
	v_cmp_gt_i16_e32 vcc_lo, 2, v12
	s_cbranch_vccnz .LBB521_1325
; %bb.1322:
	v_cmp_gt_i16_e32 vcc_lo, 3, v12
	s_cbranch_vccnz .LBB521_1326
; %bb.1323:
	v_cmp_lt_i16_e32 vcc_lo, 3, v12
	s_cbranch_vccz .LBB521_1327
; %bb.1324:
	global_load_b64 v[9:10], v[7:8], off
	s_mov_b32 s2, 0
	s_waitcnt vmcnt(0)
	v_xor_b32_e32 v11, v9, v10
	v_cls_i32_e32 v13, v10
	s_delay_alu instid0(VALU_DEP_2) | instskip(NEXT) | instid1(VALU_DEP_2)
	v_ashrrev_i32_e32 v11, 31, v11
	v_add_nc_u32_e32 v13, -1, v13
	s_delay_alu instid0(VALU_DEP_2) | instskip(NEXT) | instid1(VALU_DEP_1)
	v_add_nc_u32_e32 v11, 32, v11
	v_min_u32_e32 v11, v13, v11
	s_delay_alu instid0(VALU_DEP_1) | instskip(NEXT) | instid1(VALU_DEP_1)
	v_lshlrev_b64 v[9:10], v11, v[9:10]
	v_min_u32_e32 v9, 1, v9
	s_delay_alu instid0(VALU_DEP_1) | instskip(SKIP_1) | instid1(VALU_DEP_2)
	v_or_b32_e32 v9, v10, v9
	v_sub_nc_u32_e32 v10, 32, v11
	v_cvt_f32_i32_e32 v9, v9
	s_delay_alu instid0(VALU_DEP_1)
	v_ldexp_f32 v9, v9, v10
	s_branch .LBB521_1328
.LBB521_1325:
	s_mov_b32 s2, -1
                                        ; implicit-def: $vgpr9
	s_branch .LBB521_1334
.LBB521_1326:
	s_mov_b32 s2, -1
                                        ; implicit-def: $vgpr9
	s_branch .LBB521_1331
.LBB521_1327:
	s_mov_b32 s2, -1
                                        ; implicit-def: $vgpr9
.LBB521_1328:
	s_delay_alu instid0(SALU_CYCLE_1)
	s_and_not1_b32 vcc_lo, exec_lo, s2
	s_cbranch_vccnz .LBB521_1330
; %bb.1329:
	global_load_b32 v9, v[7:8], off
	s_waitcnt vmcnt(0)
	v_cvt_f32_i32_e32 v9, v9
.LBB521_1330:
	s_mov_b32 s2, 0
.LBB521_1331:
	s_delay_alu instid0(SALU_CYCLE_1)
	s_and_not1_b32 vcc_lo, exec_lo, s2
	s_cbranch_vccnz .LBB521_1333
; %bb.1332:
	global_load_i16 v9, v[7:8], off
	s_waitcnt vmcnt(0)
	v_cvt_f32_i32_e32 v9, v9
.LBB521_1333:
	s_mov_b32 s2, 0
.LBB521_1334:
	s_delay_alu instid0(SALU_CYCLE_1)
	s_and_not1_b32 vcc_lo, exec_lo, s2
	s_cbranch_vccnz .LBB521_1340
; %bb.1335:
	v_cmp_lt_i16_e32 vcc_lo, 0, v12
	s_mov_b32 s2, 0
	s_cbranch_vccz .LBB521_1337
; %bb.1336:
	global_load_i8 v9, v[7:8], off
	s_waitcnt vmcnt(0)
	v_cvt_f32_i32_e32 v9, v9
	s_branch .LBB521_1338
.LBB521_1337:
	s_mov_b32 s2, -1
                                        ; implicit-def: $vgpr9
.LBB521_1338:
	s_delay_alu instid0(SALU_CYCLE_1)
	s_and_not1_b32 vcc_lo, exec_lo, s2
	s_cbranch_vccnz .LBB521_1340
; %bb.1339:
	global_load_u8 v7, v[7:8], off
	s_waitcnt vmcnt(0)
	v_cvt_f32_ubyte0_e32 v9, v7
.LBB521_1340:
	s_branch .LBB521_1413
.LBB521_1341:
	s_trap 2
	s_sendmsg_rtn_b32 s0, sendmsg(MSG_RTN_GET_DOORBELL)
	s_mov_b32 ttmp2, m0
	s_waitcnt lgkmcnt(0)
	s_and_b32 s0, s0, 0x3ff
	s_delay_alu instid0(SALU_CYCLE_1) | instskip(NEXT) | instid1(SALU_CYCLE_1)
	s_bitset1_b32 s0, 10
	s_mov_b32 m0, s0
	s_sendmsg sendmsg(MSG_INTERRUPT)
	s_mov_b32 m0, ttmp2
.LBB521_1342:                           ; =>This Inner Loop Header: Depth=1
	s_sethalt 5
	s_branch .LBB521_1342
.LBB521_1343:
	s_or_saveexec_b32 s8, s8
                                        ; implicit-def: $sgpr9
	s_delay_alu instid0(SALU_CYCLE_1)
	s_xor_b32 exec_lo, exec_lo, s8
	s_cbranch_execz .LBB521_1015
.LBB521_1344:
	v_add_f32_e64 v0, 0x42800000, |v1|
	s_and_not1_b32 s7, s7, exec_lo
	s_mov_b32 s9, 0
	s_delay_alu instid0(VALU_DEP_1) | instskip(NEXT) | instid1(VALU_DEP_1)
	v_and_b32_e32 v0, 0xff, v0
	v_cmp_ne_u32_e32 vcc_lo, 0, v0
	s_and_b32 s10, vcc_lo, exec_lo
	s_delay_alu instid0(SALU_CYCLE_1)
	s_or_b32 s7, s7, s10
	s_or_b32 exec_lo, exec_lo, s8
	v_mov_b32_e32 v2, s9
	s_and_saveexec_b32 s8, s7
	s_cbranch_execnz .LBB521_1016
	s_branch .LBB521_1017
.LBB521_1345:
	s_mov_b32 s2, -1
.LBB521_1346:
                                        ; implicit-def: $vgpr9
.LBB521_1347:
	s_and_b32 vcc_lo, exec_lo, s11
	s_cbranch_vccz .LBB521_1351
; %bb.1348:
	v_cmp_eq_u16_e32 vcc_lo, 44, v12
	s_cbranch_vccz .LBB521_1350
; %bb.1349:
	global_load_u8 v9, v[7:8], off
	s_mov_b32 s2, 0
	s_mov_b32 s10, -1
	s_waitcnt vmcnt(0)
	v_lshlrev_b32_e32 v10, 23, v9
	v_cmp_ne_u32_e32 vcc_lo, 0xff, v9
	s_delay_alu instid0(VALU_DEP_2) | instskip(SKIP_1) | instid1(VALU_DEP_2)
	v_cndmask_b32_e32 v10, 0x7f800001, v10, vcc_lo
	v_cmp_ne_u32_e32 vcc_lo, 0, v9
	v_cndmask_b32_e32 v9, 0x400000, v10, vcc_lo
	s_branch .LBB521_1351
.LBB521_1350:
	s_mov_b32 s2, -1
                                        ; implicit-def: $vgpr9
.LBB521_1351:
	s_mov_b32 s11, 0
.LBB521_1352:
	s_delay_alu instid0(SALU_CYCLE_1)
	s_and_b32 vcc_lo, exec_lo, s11
	s_cbranch_vccz .LBB521_1356
; %bb.1353:
	v_cmp_eq_u16_e32 vcc_lo, 29, v12
	s_cbranch_vccz .LBB521_1355
; %bb.1354:
	global_load_b64 v[9:10], v[7:8], off
	s_mov_b32 s2, 0
	s_mov_b32 s10, -1
	s_mov_b32 s11, 0
	s_waitcnt vmcnt(0)
	v_clz_i32_u32_e32 v11, v10
	s_delay_alu instid0(VALU_DEP_1) | instskip(NEXT) | instid1(VALU_DEP_1)
	v_min_u32_e32 v11, 32, v11
	v_lshlrev_b64 v[9:10], v11, v[9:10]
	s_delay_alu instid0(VALU_DEP_1) | instskip(NEXT) | instid1(VALU_DEP_1)
	v_min_u32_e32 v9, 1, v9
	v_or_b32_e32 v9, v10, v9
	v_sub_nc_u32_e32 v10, 32, v11
	s_delay_alu instid0(VALU_DEP_2) | instskip(NEXT) | instid1(VALU_DEP_1)
	v_cvt_f32_u32_e32 v9, v9
	v_ldexp_f32 v9, v9, v10
	s_branch .LBB521_1357
.LBB521_1355:
	s_mov_b32 s2, -1
                                        ; implicit-def: $vgpr9
.LBB521_1356:
	s_mov_b32 s11, 0
.LBB521_1357:
	s_delay_alu instid0(SALU_CYCLE_1)
	s_and_b32 vcc_lo, exec_lo, s11
	s_cbranch_vccz .LBB521_1375
; %bb.1358:
	v_cmp_gt_i16_e32 vcc_lo, 27, v12
	s_cbranch_vccnz .LBB521_1361
; %bb.1359:
	v_cmp_lt_i16_e32 vcc_lo, 27, v12
	s_cbranch_vccz .LBB521_1362
; %bb.1360:
	global_load_b32 v9, v[7:8], off
	s_mov_b32 s10, 0
	s_waitcnt vmcnt(0)
	v_cvt_f32_u32_e32 v9, v9
	s_branch .LBB521_1363
.LBB521_1361:
	s_mov_b32 s10, -1
                                        ; implicit-def: $vgpr9
	s_branch .LBB521_1366
.LBB521_1362:
	s_mov_b32 s10, -1
                                        ; implicit-def: $vgpr9
.LBB521_1363:
	s_delay_alu instid0(SALU_CYCLE_1)
	s_and_not1_b32 vcc_lo, exec_lo, s10
	s_cbranch_vccnz .LBB521_1365
; %bb.1364:
	global_load_u16 v9, v[7:8], off
	s_waitcnt vmcnt(0)
	v_cvt_f32_u32_e32 v9, v9
.LBB521_1365:
	s_mov_b32 s10, 0
.LBB521_1366:
	s_delay_alu instid0(SALU_CYCLE_1)
	s_and_not1_b32 vcc_lo, exec_lo, s10
	s_cbranch_vccnz .LBB521_1374
; %bb.1367:
	global_load_u8 v10, v[7:8], off
	s_mov_b32 s10, 0
	s_mov_b32 s12, exec_lo
                                        ; implicit-def: $sgpr11
	s_waitcnt vmcnt(0)
	v_cmpx_lt_i16_e32 0x7f, v10
	s_xor_b32 s12, exec_lo, s12
	s_cbranch_execz .LBB521_1387
; %bb.1368:
	s_mov_b32 s10, -1
	s_mov_b32 s13, exec_lo
                                        ; implicit-def: $sgpr11
	v_cmpx_eq_u16_e32 0x80, v10
; %bb.1369:
	s_mov_b32 s11, 0x7f800001
	s_xor_b32 s10, exec_lo, -1
; %bb.1370:
	s_or_b32 exec_lo, exec_lo, s13
	s_delay_alu instid0(SALU_CYCLE_1)
	s_and_b32 s10, s10, exec_lo
	s_or_saveexec_b32 s12, s12
	v_mov_b32_e32 v9, s11
	s_xor_b32 exec_lo, exec_lo, s12
	s_cbranch_execnz .LBB521_1388
.LBB521_1371:
	s_or_b32 exec_lo, exec_lo, s12
	s_and_saveexec_b32 s11, s10
	s_cbranch_execz .LBB521_1373
.LBB521_1372:
	v_and_b32_e32 v9, 0xffff, v10
	v_lshlrev_b32_e32 v10, 24, v10
	s_delay_alu instid0(VALU_DEP_2) | instskip(NEXT) | instid1(VALU_DEP_2)
	v_and_b32_e32 v11, 7, v9
	v_and_b32_e32 v10, 0x80000000, v10
	s_delay_alu instid0(VALU_DEP_2) | instskip(NEXT) | instid1(VALU_DEP_1)
	v_clz_i32_u32_e32 v13, v11
	v_min_u32_e32 v13, 32, v13
	s_delay_alu instid0(VALU_DEP_1) | instskip(SKIP_1) | instid1(VALU_DEP_2)
	v_subrev_nc_u32_e32 v14, 28, v13
	v_sub_nc_u32_e32 v13, 29, v13
	v_lshlrev_b32_e32 v14, v14, v9
	v_bfe_u32 v9, v9, 3, 4
	s_delay_alu instid0(VALU_DEP_1) | instskip(NEXT) | instid1(VALU_DEP_3)
	v_cmp_eq_u32_e32 vcc_lo, 0, v9
	v_dual_cndmask_b32 v9, v9, v13 :: v_dual_and_b32 v14, 7, v14
	s_delay_alu instid0(VALU_DEP_1) | instskip(NEXT) | instid1(VALU_DEP_2)
	v_cndmask_b32_e32 v11, v11, v14, vcc_lo
	v_lshl_add_u32 v9, v9, 23, 0x3b800000
	s_delay_alu instid0(VALU_DEP_2) | instskip(NEXT) | instid1(VALU_DEP_1)
	v_lshlrev_b32_e32 v11, 20, v11
	v_or3_b32 v9, v10, v9, v11
.LBB521_1373:
	s_or_b32 exec_lo, exec_lo, s11
.LBB521_1374:
	s_mov_b32 s10, -1
.LBB521_1375:
	s_branch .LBB521_1408
.LBB521_1376:
	v_cmp_lt_i16_e32 vcc_lo, 22, v12
	s_cbranch_vccz .LBB521_1386
; %bb.1377:
	v_cmp_gt_i16_e32 vcc_lo, 24, v12
	s_cbranch_vccnz .LBB521_1389
; %bb.1378:
	v_cmp_lt_i16_e32 vcc_lo, 24, v12
	s_cbranch_vccz .LBB521_1390
; %bb.1379:
	global_load_u8 v10, v[7:8], off
	s_mov_b32 s11, exec_lo
                                        ; implicit-def: $sgpr10
	s_waitcnt vmcnt(0)
	v_cmpx_lt_i16_e32 0x7f, v10
	s_xor_b32 s11, exec_lo, s11
	s_cbranch_execz .LBB521_1402
; %bb.1380:
	s_mov_b32 s3, -1
	s_mov_b32 s12, exec_lo
                                        ; implicit-def: $sgpr10
	v_cmpx_eq_u16_e32 0x80, v10
; %bb.1381:
	s_mov_b32 s10, 0x7f800001
	s_xor_b32 s3, exec_lo, -1
; %bb.1382:
	s_or_b32 exec_lo, exec_lo, s12
	s_delay_alu instid0(SALU_CYCLE_1)
	s_and_b32 s3, s3, exec_lo
	s_or_saveexec_b32 s11, s11
	v_mov_b32_e32 v9, s10
	s_xor_b32 exec_lo, exec_lo, s11
	s_cbranch_execnz .LBB521_1403
.LBB521_1383:
	s_or_b32 exec_lo, exec_lo, s11
	s_and_saveexec_b32 s10, s3
	s_cbranch_execz .LBB521_1385
.LBB521_1384:
	v_and_b32_e32 v9, 0xffff, v10
	v_lshlrev_b32_e32 v10, 24, v10
	s_delay_alu instid0(VALU_DEP_2) | instskip(NEXT) | instid1(VALU_DEP_2)
	v_and_b32_e32 v11, 3, v9
	v_and_b32_e32 v10, 0x80000000, v10
	s_delay_alu instid0(VALU_DEP_2) | instskip(NEXT) | instid1(VALU_DEP_1)
	v_clz_i32_u32_e32 v13, v11
	v_min_u32_e32 v13, 32, v13
	s_delay_alu instid0(VALU_DEP_1) | instskip(SKIP_1) | instid1(VALU_DEP_2)
	v_subrev_nc_u32_e32 v14, 29, v13
	v_sub_nc_u32_e32 v13, 30, v13
	v_lshlrev_b32_e32 v14, v14, v9
	v_bfe_u32 v9, v9, 2, 5
	s_delay_alu instid0(VALU_DEP_1) | instskip(NEXT) | instid1(VALU_DEP_3)
	v_cmp_eq_u32_e32 vcc_lo, 0, v9
	v_dual_cndmask_b32 v9, v9, v13 :: v_dual_and_b32 v14, 3, v14
	s_delay_alu instid0(VALU_DEP_1) | instskip(NEXT) | instid1(VALU_DEP_2)
	v_cndmask_b32_e32 v11, v11, v14, vcc_lo
	v_lshl_add_u32 v9, v9, 23, 0x37800000
	s_delay_alu instid0(VALU_DEP_2) | instskip(NEXT) | instid1(VALU_DEP_1)
	v_lshlrev_b32_e32 v11, 21, v11
	v_or3_b32 v9, v10, v9, v11
.LBB521_1385:
	s_or_b32 exec_lo, exec_lo, s10
	s_mov_b32 s3, 0
	s_branch .LBB521_1391
.LBB521_1386:
	s_mov_b32 s3, -1
                                        ; implicit-def: $vgpr9
	s_branch .LBB521_1397
.LBB521_1387:
	s_or_saveexec_b32 s12, s12
	v_mov_b32_e32 v9, s11
	s_xor_b32 exec_lo, exec_lo, s12
	s_cbranch_execz .LBB521_1371
.LBB521_1388:
	v_cmp_ne_u16_e32 vcc_lo, 0, v10
	v_mov_b32_e32 v9, 0
	s_and_not1_b32 s10, s10, exec_lo
	s_and_b32 s11, vcc_lo, exec_lo
	s_delay_alu instid0(SALU_CYCLE_1)
	s_or_b32 s10, s10, s11
	s_or_b32 exec_lo, exec_lo, s12
	s_and_saveexec_b32 s11, s10
	s_cbranch_execnz .LBB521_1372
	s_branch .LBB521_1373
.LBB521_1389:
	s_mov_b32 s3, -1
                                        ; implicit-def: $vgpr9
	s_branch .LBB521_1394
.LBB521_1390:
	s_mov_b32 s3, -1
                                        ; implicit-def: $vgpr9
.LBB521_1391:
	s_delay_alu instid0(SALU_CYCLE_1)
	s_and_b32 vcc_lo, exec_lo, s3
	s_cbranch_vccz .LBB521_1393
; %bb.1392:
	global_load_u8 v9, v[7:8], off
	s_waitcnt vmcnt(0)
	v_lshlrev_b32_e32 v9, 24, v9
	s_delay_alu instid0(VALU_DEP_1) | instskip(NEXT) | instid1(VALU_DEP_1)
	v_and_b32_e32 v10, 0x7f000000, v9
	v_clz_i32_u32_e32 v11, v10
	v_add_nc_u32_e32 v14, 0x1000000, v10
	v_cmp_ne_u32_e32 vcc_lo, 0, v10
	s_delay_alu instid0(VALU_DEP_3) | instskip(NEXT) | instid1(VALU_DEP_1)
	v_min_u32_e32 v11, 32, v11
	v_sub_nc_u32_e64 v11, v11, 4 clamp
	s_delay_alu instid0(VALU_DEP_1) | instskip(SKIP_1) | instid1(VALU_DEP_2)
	v_lshlrev_b32_e32 v13, v11, v10
	v_lshlrev_b32_e32 v11, 23, v11
	v_lshrrev_b32_e32 v13, 4, v13
	s_delay_alu instid0(VALU_DEP_1) | instskip(SKIP_1) | instid1(VALU_DEP_2)
	v_sub_nc_u32_e32 v11, v13, v11
	v_ashrrev_i32_e32 v13, 8, v14
	v_add_nc_u32_e32 v11, 0x3c000000, v11
	s_delay_alu instid0(VALU_DEP_1) | instskip(NEXT) | instid1(VALU_DEP_1)
	v_and_or_b32 v11, 0x7f800000, v13, v11
	v_cndmask_b32_e32 v10, 0, v11, vcc_lo
	s_delay_alu instid0(VALU_DEP_1)
	v_and_or_b32 v9, 0x80000000, v9, v10
.LBB521_1393:
	s_mov_b32 s3, 0
.LBB521_1394:
	s_delay_alu instid0(SALU_CYCLE_1)
	s_and_not1_b32 vcc_lo, exec_lo, s3
	s_cbranch_vccnz .LBB521_1396
; %bb.1395:
	global_load_u8 v9, v[7:8], off
	s_waitcnt vmcnt(0)
	v_lshlrev_b32_e32 v10, 25, v9
	v_lshlrev_b16 v9, 8, v9
	s_delay_alu instid0(VALU_DEP_2) | instskip(NEXT) | instid1(VALU_DEP_2)
	v_lshrrev_b32_e32 v11, 4, v10
	v_and_or_b32 v13, 0x7f00, v9, 0.5
	v_bfe_i32 v9, v9, 0, 16
	s_delay_alu instid0(VALU_DEP_3) | instskip(NEXT) | instid1(VALU_DEP_3)
	v_or_b32_e32 v11, 0x70000000, v11
	v_add_f32_e32 v13, -0.5, v13
	s_delay_alu instid0(VALU_DEP_2) | instskip(SKIP_1) | instid1(VALU_DEP_2)
	v_mul_f32_e32 v11, 0x7800000, v11
	v_cmp_gt_u32_e32 vcc_lo, 0x8000000, v10
	v_cndmask_b32_e32 v10, v11, v13, vcc_lo
	s_delay_alu instid0(VALU_DEP_1)
	v_and_or_b32 v9, 0x80000000, v9, v10
.LBB521_1396:
	s_mov_b32 s3, 0
	s_mov_b32 s10, -1
.LBB521_1397:
	s_and_not1_b32 vcc_lo, exec_lo, s3
	s_mov_b32 s3, 0
	s_cbranch_vccnz .LBB521_1408
; %bb.1398:
	v_cmp_lt_i16_e32 vcc_lo, 14, v12
	s_cbranch_vccz .LBB521_1401
; %bb.1399:
	v_cmp_eq_u16_e32 vcc_lo, 15, v12
	s_cbranch_vccz .LBB521_1404
; %bb.1400:
	global_load_u16 v9, v[7:8], off
	s_mov_b32 s2, 0
	s_mov_b32 s10, -1
	s_waitcnt vmcnt(0)
	v_lshlrev_b32_e32 v9, 16, v9
	s_branch .LBB521_1406
.LBB521_1401:
	s_mov_b32 s3, -1
	s_branch .LBB521_1405
.LBB521_1402:
	s_or_saveexec_b32 s11, s11
	v_mov_b32_e32 v9, s10
	s_xor_b32 exec_lo, exec_lo, s11
	s_cbranch_execz .LBB521_1383
.LBB521_1403:
	v_cmp_ne_u16_e32 vcc_lo, 0, v10
	v_mov_b32_e32 v9, 0
	s_and_not1_b32 s3, s3, exec_lo
	s_and_b32 s10, vcc_lo, exec_lo
	s_delay_alu instid0(SALU_CYCLE_1)
	s_or_b32 s3, s3, s10
	s_or_b32 exec_lo, exec_lo, s11
	s_and_saveexec_b32 s10, s3
	s_cbranch_execnz .LBB521_1384
	s_branch .LBB521_1385
.LBB521_1404:
	s_mov_b32 s2, -1
.LBB521_1405:
                                        ; implicit-def: $vgpr9
.LBB521_1406:
	s_and_b32 vcc_lo, exec_lo, s3
	s_mov_b32 s3, 0
	s_cbranch_vccz .LBB521_1408
; %bb.1407:
	v_cmp_ne_u16_e64 s2, 11, v12
	s_mov_b32 s3, -1
                                        ; implicit-def: $vgpr9
.LBB521_1408:
	s_delay_alu instid0(VALU_DEP_1)
	s_and_b32 vcc_lo, exec_lo, s2
	s_cbranch_vccnz .LBB521_1436
; %bb.1409:
	s_and_not1_b32 vcc_lo, exec_lo, s3
	s_cbranch_vccnz .LBB521_1411
.LBB521_1410:
	global_load_u8 v9, v[7:8], off
	s_mov_b32 s10, -1
	s_waitcnt vmcnt(0)
	v_cmp_ne_u16_e32 vcc_lo, 0, v9
	v_cndmask_b32_e64 v9, 0, 1.0, vcc_lo
.LBB521_1411:
.LBB521_1412:
	s_and_not1_b32 vcc_lo, exec_lo, s10
	s_cbranch_vccnz .LBB521_1699
.LBB521_1413:
	v_mov_b32_e32 v7, s0
	s_mov_b32 s2, exec_lo
	s_waitcnt vmcnt(0)
	s_delay_alu instid0(VALU_DEP_2)
	v_cmpx_o_f32_e32 v9, v9
	s_cbranch_execz .LBB521_1417
; %bb.1414:
	s_load_b32 s3, s[20:21], 0x15c
	s_waitcnt lgkmcnt(0)
	v_mov_b32_e32 v7, s3
	s_mov_b32 s3, exec_lo
	v_cmpx_neq_f32_e32 0x7f800000, v9
	s_cbranch_execz .LBB521_1416
; %bb.1415:
	s_load_b32 s10, s[20:21], 0x160
	v_cmp_eq_f32_e32 vcc_lo, 0xff800000, v9
	s_waitcnt lgkmcnt(0)
	v_cndmask_b32_e64 v7, v9, s10, vcc_lo
.LBB521_1416:
	s_or_b32 exec_lo, exec_lo, s3
.LBB521_1417:
	s_delay_alu instid0(SALU_CYCLE_1) | instskip(SKIP_2) | instid1(VALU_DEP_1)
	s_or_b32 exec_lo, exec_lo, s2
	v_cmp_gt_i16_e32 vcc_lo, 11, v12
	v_add_co_u32 v8, s2, s6, v6
	v_add_co_ci_u32_e64 v9, null, s7, 0, s2
	s_mov_b32 s10, 0
	s_cbranch_vccnz .LBB521_1424
; %bb.1418:
	v_cmp_lt_i16_e32 vcc_lo, 25, v12
	s_mov_b32 s3, 0
	s_cbranch_vccz .LBB521_1430
; %bb.1419:
	v_cmp_lt_i16_e32 vcc_lo, 28, v12
	s_cbranch_vccz .LBB521_1432
; %bb.1420:
	v_cmp_lt_i16_e32 vcc_lo, 43, v12
	;; [unrolled: 3-line block ×3, first 2 shown]
	s_cbranch_vccz .LBB521_1438
; %bb.1422:
	v_cmp_eq_u16_e32 vcc_lo, 46, v12
	s_mov_b32 s11, 0
	s_cbranch_vccz .LBB521_1481
; %bb.1423:
	global_load_b32 v6, v[8:9], off
	s_mov_b32 s2, 0
	s_mov_b32 s10, -1
	s_waitcnt vmcnt(0)
	v_lshlrev_b32_e32 v6, 16, v6
	s_branch .LBB521_1483
.LBB521_1424:
                                        ; implicit-def: $vgpr6
	s_cbranch_execz .LBB521_1549
; %bb.1425:
	v_cmp_gt_i16_e32 vcc_lo, 5, v12
	s_cbranch_vccnz .LBB521_1431
; %bb.1426:
	v_cmp_gt_i16_e32 vcc_lo, 8, v12
	s_cbranch_vccnz .LBB521_1433
	;; [unrolled: 3-line block ×3, first 2 shown]
; %bb.1428:
	v_cmp_lt_i16_e32 vcc_lo, 9, v12
	s_cbranch_vccz .LBB521_1439
; %bb.1429:
	global_load_b64 v[10:11], v[8:9], off
	s_mov_b32 s2, 0
	s_waitcnt vmcnt(0)
	v_cvt_f32_f64_e32 v6, v[10:11]
	s_branch .LBB521_1440
.LBB521_1430:
	s_mov_b32 s11, -1
	s_mov_b32 s2, 0
                                        ; implicit-def: $vgpr6
	s_branch .LBB521_1512
.LBB521_1431:
	s_mov_b32 s2, -1
                                        ; implicit-def: $vgpr6
	s_branch .LBB521_1458
.LBB521_1432:
	s_mov_b32 s11, -1
	s_mov_b32 s2, 0
                                        ; implicit-def: $vgpr6
	s_branch .LBB521_1493
.LBB521_1433:
	s_mov_b32 s2, -1
                                        ; implicit-def: $vgpr6
	s_branch .LBB521_1446
.LBB521_1434:
	s_mov_b32 s11, -1
	s_mov_b32 s2, 0
                                        ; implicit-def: $vgpr6
	s_branch .LBB521_1488
.LBB521_1435:
	s_mov_b32 s2, -1
                                        ; implicit-def: $vgpr6
	s_branch .LBB521_1443
.LBB521_1436:
	s_cbranch_execnz .LBB521_1479
; %bb.1437:
	s_or_b32 s1, s1, exec_lo
                                        ; implicit-def: $vgpr9
	s_cbranch_execz .LBB521_1410
	s_branch .LBB521_1411
.LBB521_1438:
	s_mov_b32 s11, -1
	s_mov_b32 s2, 0
	s_branch .LBB521_1482
.LBB521_1439:
	s_mov_b32 s2, -1
                                        ; implicit-def: $vgpr6
.LBB521_1440:
	s_delay_alu instid0(SALU_CYCLE_1)
	s_and_not1_b32 vcc_lo, exec_lo, s2
	s_cbranch_vccnz .LBB521_1442
; %bb.1441:
	global_load_b32 v6, v[8:9], off
.LBB521_1442:
	s_mov_b32 s2, 0
.LBB521_1443:
	s_delay_alu instid0(SALU_CYCLE_1)
	s_and_not1_b32 vcc_lo, exec_lo, s2
	s_cbranch_vccnz .LBB521_1445
; %bb.1444:
	global_load_b32 v6, v[8:9], off
	s_waitcnt vmcnt(0)
	v_cvt_f32_f16_e32 v6, v6
.LBB521_1445:
	s_mov_b32 s2, 0
.LBB521_1446:
	s_delay_alu instid0(SALU_CYCLE_1)
	s_and_not1_b32 vcc_lo, exec_lo, s2
	s_cbranch_vccnz .LBB521_1457
; %bb.1447:
	v_cmp_gt_i16_e32 vcc_lo, 6, v12
	s_cbranch_vccnz .LBB521_1450
; %bb.1448:
	v_cmp_lt_i16_e32 vcc_lo, 6, v12
	s_cbranch_vccz .LBB521_1451
; %bb.1449:
	global_load_b64 v[10:11], v[8:9], off
	s_mov_b32 s2, 0
	s_waitcnt vmcnt(0)
	v_cvt_f32_f64_e32 v6, v[10:11]
	s_branch .LBB521_1452
.LBB521_1450:
	s_mov_b32 s2, -1
                                        ; implicit-def: $vgpr6
	s_branch .LBB521_1455
.LBB521_1451:
	s_mov_b32 s2, -1
                                        ; implicit-def: $vgpr6
.LBB521_1452:
	s_delay_alu instid0(SALU_CYCLE_1)
	s_and_not1_b32 vcc_lo, exec_lo, s2
	s_cbranch_vccnz .LBB521_1454
; %bb.1453:
	global_load_b32 v6, v[8:9], off
.LBB521_1454:
	s_mov_b32 s2, 0
.LBB521_1455:
	s_delay_alu instid0(SALU_CYCLE_1)
	s_and_not1_b32 vcc_lo, exec_lo, s2
	s_cbranch_vccnz .LBB521_1457
; %bb.1456:
	global_load_u16 v6, v[8:9], off
	s_waitcnt vmcnt(0)
	v_cvt_f32_f16_e32 v6, v6
.LBB521_1457:
	s_mov_b32 s2, 0
.LBB521_1458:
	s_delay_alu instid0(SALU_CYCLE_1)
	s_and_not1_b32 vcc_lo, exec_lo, s2
	s_cbranch_vccnz .LBB521_1478
; %bb.1459:
	v_cmp_gt_i16_e32 vcc_lo, 2, v12
	s_cbranch_vccnz .LBB521_1463
; %bb.1460:
	v_cmp_gt_i16_e32 vcc_lo, 3, v12
	s_cbranch_vccnz .LBB521_1464
; %bb.1461:
	v_cmp_lt_i16_e32 vcc_lo, 3, v12
	s_cbranch_vccz .LBB521_1465
; %bb.1462:
	global_load_b64 v[10:11], v[8:9], off
	s_mov_b32 s2, 0
	s_waitcnt vmcnt(0)
	v_xor_b32_e32 v6, v10, v11
	v_cls_i32_e32 v13, v11
	s_delay_alu instid0(VALU_DEP_2) | instskip(NEXT) | instid1(VALU_DEP_2)
	v_ashrrev_i32_e32 v6, 31, v6
	v_add_nc_u32_e32 v13, -1, v13
	s_delay_alu instid0(VALU_DEP_2) | instskip(NEXT) | instid1(VALU_DEP_1)
	v_add_nc_u32_e32 v6, 32, v6
	v_min_u32_e32 v6, v13, v6
	s_delay_alu instid0(VALU_DEP_1) | instskip(SKIP_1) | instid1(VALU_DEP_2)
	v_lshlrev_b64 v[10:11], v6, v[10:11]
	v_sub_nc_u32_e32 v6, 32, v6
	v_min_u32_e32 v10, 1, v10
	s_delay_alu instid0(VALU_DEP_1) | instskip(NEXT) | instid1(VALU_DEP_1)
	v_or_b32_e32 v10, v11, v10
	v_cvt_f32_i32_e32 v10, v10
	s_delay_alu instid0(VALU_DEP_1)
	v_ldexp_f32 v6, v10, v6
	s_branch .LBB521_1466
.LBB521_1463:
	s_mov_b32 s2, -1
                                        ; implicit-def: $vgpr6
	s_branch .LBB521_1472
.LBB521_1464:
	s_mov_b32 s2, -1
                                        ; implicit-def: $vgpr6
	s_branch .LBB521_1469
.LBB521_1465:
	s_mov_b32 s2, -1
                                        ; implicit-def: $vgpr6
.LBB521_1466:
	s_delay_alu instid0(SALU_CYCLE_1)
	s_and_not1_b32 vcc_lo, exec_lo, s2
	s_cbranch_vccnz .LBB521_1468
; %bb.1467:
	global_load_b32 v6, v[8:9], off
	s_waitcnt vmcnt(0)
	v_cvt_f32_i32_e32 v6, v6
.LBB521_1468:
	s_mov_b32 s2, 0
.LBB521_1469:
	s_delay_alu instid0(SALU_CYCLE_1)
	s_and_not1_b32 vcc_lo, exec_lo, s2
	s_cbranch_vccnz .LBB521_1471
; %bb.1470:
	global_load_i16 v6, v[8:9], off
	s_waitcnt vmcnt(0)
	v_cvt_f32_i32_e32 v6, v6
.LBB521_1471:
	s_mov_b32 s2, 0
.LBB521_1472:
	s_delay_alu instid0(SALU_CYCLE_1)
	s_and_not1_b32 vcc_lo, exec_lo, s2
	s_cbranch_vccnz .LBB521_1478
; %bb.1473:
	v_cmp_lt_i16_e32 vcc_lo, 0, v12
	s_mov_b32 s2, 0
	s_cbranch_vccz .LBB521_1475
; %bb.1474:
	global_load_i8 v6, v[8:9], off
	s_waitcnt vmcnt(0)
	v_cvt_f32_i32_e32 v6, v6
	s_branch .LBB521_1476
.LBB521_1475:
	s_mov_b32 s2, -1
                                        ; implicit-def: $vgpr6
.LBB521_1476:
	s_delay_alu instid0(SALU_CYCLE_1)
	s_and_not1_b32 vcc_lo, exec_lo, s2
	s_cbranch_vccnz .LBB521_1478
; %bb.1477:
	global_load_u8 v6, v[8:9], off
	s_waitcnt vmcnt(0)
	v_cvt_f32_ubyte0_e32 v6, v6
.LBB521_1478:
	s_branch .LBB521_1550
.LBB521_1479:
	s_trap 2
	s_sendmsg_rtn_b32 s0, sendmsg(MSG_RTN_GET_DOORBELL)
	s_mov_b32 ttmp2, m0
	s_waitcnt lgkmcnt(0)
	s_and_b32 s0, s0, 0x3ff
	s_delay_alu instid0(SALU_CYCLE_1) | instskip(NEXT) | instid1(SALU_CYCLE_1)
	s_bitset1_b32 s0, 10
	s_mov_b32 m0, s0
	s_sendmsg sendmsg(MSG_INTERRUPT)
	s_mov_b32 m0, ttmp2
.LBB521_1480:                           ; =>This Inner Loop Header: Depth=1
	s_sethalt 5
	s_branch .LBB521_1480
.LBB521_1481:
	s_mov_b32 s2, -1
.LBB521_1482:
                                        ; implicit-def: $vgpr6
.LBB521_1483:
	s_and_b32 vcc_lo, exec_lo, s11
	s_cbranch_vccz .LBB521_1487
; %bb.1484:
	v_cmp_eq_u16_e32 vcc_lo, 44, v12
	s_cbranch_vccz .LBB521_1486
; %bb.1485:
	global_load_u8 v6, v[8:9], off
	s_mov_b32 s2, 0
	s_mov_b32 s10, -1
	s_waitcnt vmcnt(0)
	v_lshlrev_b32_e32 v10, 23, v6
	v_cmp_ne_u32_e32 vcc_lo, 0xff, v6
	s_delay_alu instid0(VALU_DEP_2) | instskip(SKIP_1) | instid1(VALU_DEP_2)
	v_cndmask_b32_e32 v10, 0x7f800001, v10, vcc_lo
	v_cmp_ne_u32_e32 vcc_lo, 0, v6
	v_cndmask_b32_e32 v6, 0x400000, v10, vcc_lo
	s_branch .LBB521_1487
.LBB521_1486:
	s_mov_b32 s2, -1
                                        ; implicit-def: $vgpr6
.LBB521_1487:
	s_mov_b32 s11, 0
.LBB521_1488:
	s_delay_alu instid0(SALU_CYCLE_1)
	s_and_b32 vcc_lo, exec_lo, s11
	s_cbranch_vccz .LBB521_1492
; %bb.1489:
	v_cmp_eq_u16_e32 vcc_lo, 29, v12
	s_cbranch_vccz .LBB521_1491
; %bb.1490:
	global_load_b64 v[10:11], v[8:9], off
	s_mov_b32 s2, 0
	s_mov_b32 s10, -1
	s_mov_b32 s11, 0
	s_waitcnt vmcnt(0)
	v_clz_i32_u32_e32 v6, v11
	s_delay_alu instid0(VALU_DEP_1) | instskip(NEXT) | instid1(VALU_DEP_1)
	v_min_u32_e32 v6, 32, v6
	v_lshlrev_b64 v[10:11], v6, v[10:11]
	v_sub_nc_u32_e32 v6, 32, v6
	s_delay_alu instid0(VALU_DEP_2) | instskip(NEXT) | instid1(VALU_DEP_1)
	v_min_u32_e32 v10, 1, v10
	v_or_b32_e32 v10, v11, v10
	s_delay_alu instid0(VALU_DEP_1) | instskip(NEXT) | instid1(VALU_DEP_1)
	v_cvt_f32_u32_e32 v10, v10
	v_ldexp_f32 v6, v10, v6
	s_branch .LBB521_1493
.LBB521_1491:
	s_mov_b32 s2, -1
                                        ; implicit-def: $vgpr6
.LBB521_1492:
	s_mov_b32 s11, 0
.LBB521_1493:
	s_delay_alu instid0(SALU_CYCLE_1)
	s_and_b32 vcc_lo, exec_lo, s11
	s_cbranch_vccz .LBB521_1511
; %bb.1494:
	v_cmp_gt_i16_e32 vcc_lo, 27, v12
	s_cbranch_vccnz .LBB521_1497
; %bb.1495:
	v_cmp_lt_i16_e32 vcc_lo, 27, v12
	s_cbranch_vccz .LBB521_1498
; %bb.1496:
	global_load_b32 v6, v[8:9], off
	s_mov_b32 s10, 0
	s_waitcnt vmcnt(0)
	v_cvt_f32_u32_e32 v6, v6
	s_branch .LBB521_1499
.LBB521_1497:
	s_mov_b32 s10, -1
                                        ; implicit-def: $vgpr6
	s_branch .LBB521_1502
.LBB521_1498:
	s_mov_b32 s10, -1
                                        ; implicit-def: $vgpr6
.LBB521_1499:
	s_delay_alu instid0(SALU_CYCLE_1)
	s_and_not1_b32 vcc_lo, exec_lo, s10
	s_cbranch_vccnz .LBB521_1501
; %bb.1500:
	global_load_u16 v6, v[8:9], off
	s_waitcnt vmcnt(0)
	v_cvt_f32_u32_e32 v6, v6
.LBB521_1501:
	s_mov_b32 s10, 0
.LBB521_1502:
	s_delay_alu instid0(SALU_CYCLE_1)
	s_and_not1_b32 vcc_lo, exec_lo, s10
	s_cbranch_vccnz .LBB521_1510
; %bb.1503:
	global_load_u8 v10, v[8:9], off
	s_mov_b32 s10, 0
	s_mov_b32 s12, exec_lo
                                        ; implicit-def: $sgpr11
	s_waitcnt vmcnt(0)
	v_cmpx_lt_i16_e32 0x7f, v10
	s_xor_b32 s12, exec_lo, s12
	s_cbranch_execz .LBB521_1524
; %bb.1504:
	s_mov_b32 s10, -1
	s_mov_b32 s13, exec_lo
                                        ; implicit-def: $sgpr11
	v_cmpx_eq_u16_e32 0x80, v10
; %bb.1505:
	s_mov_b32 s11, 0x7f800001
	s_xor_b32 s10, exec_lo, -1
; %bb.1506:
	s_or_b32 exec_lo, exec_lo, s13
	s_delay_alu instid0(SALU_CYCLE_1)
	s_and_b32 s10, s10, exec_lo
	s_or_saveexec_b32 s12, s12
	v_mov_b32_e32 v6, s11
	s_xor_b32 exec_lo, exec_lo, s12
	s_cbranch_execnz .LBB521_1525
.LBB521_1507:
	s_or_b32 exec_lo, exec_lo, s12
	s_and_saveexec_b32 s11, s10
	s_cbranch_execz .LBB521_1509
.LBB521_1508:
	v_and_b32_e32 v6, 0xffff, v10
	v_lshlrev_b32_e32 v10, 24, v10
	s_delay_alu instid0(VALU_DEP_2) | instskip(NEXT) | instid1(VALU_DEP_2)
	v_and_b32_e32 v11, 7, v6
	v_and_b32_e32 v10, 0x80000000, v10
	s_delay_alu instid0(VALU_DEP_2) | instskip(NEXT) | instid1(VALU_DEP_1)
	v_clz_i32_u32_e32 v13, v11
	v_min_u32_e32 v13, 32, v13
	s_delay_alu instid0(VALU_DEP_1) | instskip(SKIP_1) | instid1(VALU_DEP_2)
	v_subrev_nc_u32_e32 v14, 28, v13
	v_sub_nc_u32_e32 v13, 29, v13
	v_lshlrev_b32_e32 v14, v14, v6
	v_bfe_u32 v6, v6, 3, 4
	s_delay_alu instid0(VALU_DEP_2) | instskip(NEXT) | instid1(VALU_DEP_2)
	v_and_b32_e32 v14, 7, v14
	v_cmp_eq_u32_e32 vcc_lo, 0, v6
	s_delay_alu instid0(VALU_DEP_2) | instskip(NEXT) | instid1(VALU_DEP_1)
	v_dual_cndmask_b32 v6, v6, v13 :: v_dual_cndmask_b32 v11, v11, v14
	v_lshl_add_u32 v6, v6, 23, 0x3b800000
	s_delay_alu instid0(VALU_DEP_2) | instskip(NEXT) | instid1(VALU_DEP_1)
	v_lshlrev_b32_e32 v11, 20, v11
	v_or3_b32 v6, v10, v6, v11
.LBB521_1509:
	s_or_b32 exec_lo, exec_lo, s11
.LBB521_1510:
	s_mov_b32 s10, -1
.LBB521_1511:
	s_mov_b32 s11, 0
.LBB521_1512:
	s_delay_alu instid0(SALU_CYCLE_1)
	s_and_b32 vcc_lo, exec_lo, s11
	s_cbranch_vccz .LBB521_1545
; %bb.1513:
	v_cmp_lt_i16_e32 vcc_lo, 22, v12
	s_cbranch_vccz .LBB521_1523
; %bb.1514:
	v_cmp_gt_i16_e32 vcc_lo, 24, v12
	s_cbranch_vccnz .LBB521_1526
; %bb.1515:
	v_cmp_lt_i16_e32 vcc_lo, 24, v12
	s_cbranch_vccz .LBB521_1527
; %bb.1516:
	global_load_u8 v10, v[8:9], off
	s_mov_b32 s11, exec_lo
                                        ; implicit-def: $sgpr10
	s_waitcnt vmcnt(0)
	v_cmpx_lt_i16_e32 0x7f, v10
	s_xor_b32 s11, exec_lo, s11
	s_cbranch_execz .LBB521_1539
; %bb.1517:
	s_mov_b32 s3, -1
	s_mov_b32 s12, exec_lo
                                        ; implicit-def: $sgpr10
	v_cmpx_eq_u16_e32 0x80, v10
; %bb.1518:
	s_mov_b32 s10, 0x7f800001
	s_xor_b32 s3, exec_lo, -1
; %bb.1519:
	s_or_b32 exec_lo, exec_lo, s12
	s_delay_alu instid0(SALU_CYCLE_1)
	s_and_b32 s3, s3, exec_lo
	s_or_saveexec_b32 s11, s11
	v_mov_b32_e32 v6, s10
	s_xor_b32 exec_lo, exec_lo, s11
	s_cbranch_execnz .LBB521_1540
.LBB521_1520:
	s_or_b32 exec_lo, exec_lo, s11
	s_and_saveexec_b32 s10, s3
	s_cbranch_execz .LBB521_1522
.LBB521_1521:
	v_and_b32_e32 v6, 0xffff, v10
	v_lshlrev_b32_e32 v10, 24, v10
	s_delay_alu instid0(VALU_DEP_2) | instskip(NEXT) | instid1(VALU_DEP_2)
	v_and_b32_e32 v11, 3, v6
	v_and_b32_e32 v10, 0x80000000, v10
	s_delay_alu instid0(VALU_DEP_2) | instskip(NEXT) | instid1(VALU_DEP_1)
	v_clz_i32_u32_e32 v13, v11
	v_min_u32_e32 v13, 32, v13
	s_delay_alu instid0(VALU_DEP_1) | instskip(SKIP_1) | instid1(VALU_DEP_2)
	v_subrev_nc_u32_e32 v14, 29, v13
	v_sub_nc_u32_e32 v13, 30, v13
	v_lshlrev_b32_e32 v14, v14, v6
	v_bfe_u32 v6, v6, 2, 5
	s_delay_alu instid0(VALU_DEP_2) | instskip(NEXT) | instid1(VALU_DEP_2)
	v_and_b32_e32 v14, 3, v14
	v_cmp_eq_u32_e32 vcc_lo, 0, v6
	s_delay_alu instid0(VALU_DEP_2) | instskip(NEXT) | instid1(VALU_DEP_1)
	v_dual_cndmask_b32 v6, v6, v13 :: v_dual_cndmask_b32 v11, v11, v14
	v_lshl_add_u32 v6, v6, 23, 0x37800000
	s_delay_alu instid0(VALU_DEP_2) | instskip(NEXT) | instid1(VALU_DEP_1)
	v_lshlrev_b32_e32 v11, 21, v11
	v_or3_b32 v6, v10, v6, v11
.LBB521_1522:
	s_or_b32 exec_lo, exec_lo, s10
	s_mov_b32 s3, 0
	s_branch .LBB521_1528
.LBB521_1523:
	s_mov_b32 s3, -1
                                        ; implicit-def: $vgpr6
	s_branch .LBB521_1534
.LBB521_1524:
	s_or_saveexec_b32 s12, s12
	v_mov_b32_e32 v6, s11
	s_xor_b32 exec_lo, exec_lo, s12
	s_cbranch_execz .LBB521_1507
.LBB521_1525:
	v_cmp_ne_u16_e32 vcc_lo, 0, v10
	v_mov_b32_e32 v6, 0
	s_and_not1_b32 s10, s10, exec_lo
	s_and_b32 s11, vcc_lo, exec_lo
	s_delay_alu instid0(SALU_CYCLE_1)
	s_or_b32 s10, s10, s11
	s_or_b32 exec_lo, exec_lo, s12
	s_and_saveexec_b32 s11, s10
	s_cbranch_execnz .LBB521_1508
	s_branch .LBB521_1509
.LBB521_1526:
	s_mov_b32 s3, -1
                                        ; implicit-def: $vgpr6
	s_branch .LBB521_1531
.LBB521_1527:
	s_mov_b32 s3, -1
                                        ; implicit-def: $vgpr6
.LBB521_1528:
	s_delay_alu instid0(SALU_CYCLE_1)
	s_and_b32 vcc_lo, exec_lo, s3
	s_cbranch_vccz .LBB521_1530
; %bb.1529:
	global_load_u8 v6, v[8:9], off
	s_waitcnt vmcnt(0)
	v_lshlrev_b32_e32 v6, 24, v6
	s_delay_alu instid0(VALU_DEP_1) | instskip(NEXT) | instid1(VALU_DEP_1)
	v_and_b32_e32 v10, 0x7f000000, v6
	v_clz_i32_u32_e32 v11, v10
	v_cmp_ne_u32_e32 vcc_lo, 0, v10
	v_add_nc_u32_e32 v14, 0x1000000, v10
	s_delay_alu instid0(VALU_DEP_3) | instskip(NEXT) | instid1(VALU_DEP_1)
	v_min_u32_e32 v11, 32, v11
	v_sub_nc_u32_e64 v11, v11, 4 clamp
	s_delay_alu instid0(VALU_DEP_1) | instskip(SKIP_1) | instid1(VALU_DEP_2)
	v_lshlrev_b32_e32 v13, v11, v10
	v_lshlrev_b32_e32 v11, 23, v11
	v_lshrrev_b32_e32 v13, 4, v13
	s_delay_alu instid0(VALU_DEP_1) | instskip(SKIP_1) | instid1(VALU_DEP_2)
	v_sub_nc_u32_e32 v11, v13, v11
	v_ashrrev_i32_e32 v13, 8, v14
	v_add_nc_u32_e32 v11, 0x3c000000, v11
	s_delay_alu instid0(VALU_DEP_1) | instskip(NEXT) | instid1(VALU_DEP_1)
	v_and_or_b32 v11, 0x7f800000, v13, v11
	v_cndmask_b32_e32 v10, 0, v11, vcc_lo
	s_delay_alu instid0(VALU_DEP_1)
	v_and_or_b32 v6, 0x80000000, v6, v10
.LBB521_1530:
	s_mov_b32 s3, 0
.LBB521_1531:
	s_delay_alu instid0(SALU_CYCLE_1)
	s_and_not1_b32 vcc_lo, exec_lo, s3
	s_cbranch_vccnz .LBB521_1533
; %bb.1532:
	global_load_u8 v6, v[8:9], off
	s_waitcnt vmcnt(0)
	v_lshlrev_b32_e32 v10, 25, v6
	v_lshlrev_b16 v6, 8, v6
	s_delay_alu instid0(VALU_DEP_1) | instskip(SKIP_1) | instid1(VALU_DEP_2)
	v_and_or_b32 v13, 0x7f00, v6, 0.5
	v_bfe_i32 v6, v6, 0, 16
	v_add_f32_e32 v13, -0.5, v13
	v_lshrrev_b32_e32 v11, 4, v10
	v_cmp_gt_u32_e32 vcc_lo, 0x8000000, v10
	s_delay_alu instid0(VALU_DEP_2) | instskip(NEXT) | instid1(VALU_DEP_1)
	v_or_b32_e32 v11, 0x70000000, v11
	v_mul_f32_e32 v11, 0x7800000, v11
	s_delay_alu instid0(VALU_DEP_1) | instskip(NEXT) | instid1(VALU_DEP_1)
	v_cndmask_b32_e32 v10, v11, v13, vcc_lo
	v_and_or_b32 v6, 0x80000000, v6, v10
.LBB521_1533:
	s_mov_b32 s3, 0
	s_mov_b32 s10, -1
.LBB521_1534:
	s_and_not1_b32 vcc_lo, exec_lo, s3
	s_mov_b32 s3, 0
	s_cbranch_vccnz .LBB521_1545
; %bb.1535:
	v_cmp_lt_i16_e32 vcc_lo, 14, v12
	s_cbranch_vccz .LBB521_1538
; %bb.1536:
	v_cmp_eq_u16_e32 vcc_lo, 15, v12
	s_cbranch_vccz .LBB521_1541
; %bb.1537:
	global_load_u16 v6, v[8:9], off
	s_mov_b32 s2, 0
	s_mov_b32 s10, -1
	s_waitcnt vmcnt(0)
	v_lshlrev_b32_e32 v6, 16, v6
	s_branch .LBB521_1543
.LBB521_1538:
	s_mov_b32 s3, -1
	s_branch .LBB521_1542
.LBB521_1539:
	s_or_saveexec_b32 s11, s11
	v_mov_b32_e32 v6, s10
	s_xor_b32 exec_lo, exec_lo, s11
	s_cbranch_execz .LBB521_1520
.LBB521_1540:
	v_cmp_ne_u16_e32 vcc_lo, 0, v10
	v_mov_b32_e32 v6, 0
	s_and_not1_b32 s3, s3, exec_lo
	s_and_b32 s10, vcc_lo, exec_lo
	s_delay_alu instid0(SALU_CYCLE_1)
	s_or_b32 s3, s3, s10
	s_or_b32 exec_lo, exec_lo, s11
	s_and_saveexec_b32 s10, s3
	s_cbranch_execnz .LBB521_1521
	s_branch .LBB521_1522
.LBB521_1541:
	s_mov_b32 s2, -1
.LBB521_1542:
                                        ; implicit-def: $vgpr6
.LBB521_1543:
	s_and_b32 vcc_lo, exec_lo, s3
	s_mov_b32 s3, 0
	s_cbranch_vccz .LBB521_1545
; %bb.1544:
	v_cmp_ne_u16_e64 s2, 11, v12
	s_mov_b32 s3, -1
                                        ; implicit-def: $vgpr6
.LBB521_1545:
	s_delay_alu instid0(VALU_DEP_1)
	s_and_b32 vcc_lo, exec_lo, s2
	s_cbranch_vccnz .LBB521_1565
; %bb.1546:
	s_and_not1_b32 vcc_lo, exec_lo, s3
	s_cbranch_vccnz .LBB521_1548
.LBB521_1547:
	global_load_u8 v6, v[8:9], off
	s_mov_b32 s10, -1
	s_waitcnt vmcnt(0)
	v_cmp_ne_u16_e32 vcc_lo, 0, v6
	v_cndmask_b32_e64 v6, 0, 1.0, vcc_lo
.LBB521_1548:
.LBB521_1549:
	s_and_not1_b32 vcc_lo, exec_lo, s10
	s_cbranch_vccnz .LBB521_1699
.LBB521_1550:
	v_mov_b32_e32 v9, s0
	s_mov_b32 s2, exec_lo
	s_waitcnt vmcnt(0)
	s_delay_alu instid0(VALU_DEP_2)
	v_cmpx_o_f32_e32 v6, v6
	s_cbranch_execz .LBB521_1554
; %bb.1551:
	s_load_b32 s3, s[20:21], 0x15c
	s_waitcnt lgkmcnt(0)
	v_mov_b32_e32 v9, s3
	s_mov_b32 s3, exec_lo
	v_cmpx_neq_f32_e32 0x7f800000, v6
	s_cbranch_execz .LBB521_1553
; %bb.1552:
	s_load_b32 s10, s[20:21], 0x160
	v_cmp_eq_f32_e32 vcc_lo, 0xff800000, v6
	s_waitcnt lgkmcnt(0)
	v_cndmask_b32_e64 v9, v6, s10, vcc_lo
.LBB521_1553:
	s_or_b32 exec_lo, exec_lo, s3
.LBB521_1554:
	s_delay_alu instid0(SALU_CYCLE_1) | instskip(SKIP_2) | instid1(VALU_DEP_1)
	s_or_b32 exec_lo, exec_lo, s2
	v_cmp_gt_i16_e32 vcc_lo, 11, v12
	v_add_co_u32 v10, s2, s6, v4
	v_add_co_ci_u32_e64 v11, null, s7, 0, s2
	s_mov_b32 s6, 0
	s_cbranch_vccnz .LBB521_1561
; %bb.1555:
	v_cmp_lt_i16_e32 vcc_lo, 25, v12
	s_mov_b32 s3, 0
	s_cbranch_vccz .LBB521_1562
; %bb.1556:
	v_cmp_lt_i16_e32 vcc_lo, 28, v12
	s_cbranch_vccz .LBB521_1563
; %bb.1557:
	v_cmp_lt_i16_e32 vcc_lo, 43, v12
	;; [unrolled: 3-line block ×3, first 2 shown]
	s_cbranch_vccz .LBB521_1567
; %bb.1559:
	v_cmp_eq_u16_e32 vcc_lo, 46, v12
	s_mov_b32 s7, 0
	s_cbranch_vccz .LBB521_1570
; %bb.1560:
	global_load_b32 v4, v[10:11], off
	s_mov_b32 s2, 0
	s_mov_b32 s6, -1
	s_waitcnt vmcnt(0)
	v_lshlrev_b32_e32 v6, 16, v4
	s_branch .LBB521_1572
.LBB521_1561:
	s_mov_b32 s2, -1
                                        ; implicit-def: $vgpr6
	s_branch .LBB521_1638
.LBB521_1562:
	s_mov_b32 s7, -1
	s_mov_b32 s2, 0
                                        ; implicit-def: $vgpr6
	s_branch .LBB521_1601
.LBB521_1563:
	s_mov_b32 s7, -1
	s_mov_b32 s2, 0
                                        ; implicit-def: $vgpr6
	s_branch .LBB521_1582
.LBB521_1564:
	s_mov_b32 s7, -1
	s_mov_b32 s2, 0
                                        ; implicit-def: $vgpr6
	s_branch .LBB521_1577
.LBB521_1565:
	s_cbranch_execnz .LBB521_1568
; %bb.1566:
	s_or_b32 s1, s1, exec_lo
                                        ; implicit-def: $vgpr6
	s_cbranch_execz .LBB521_1547
	s_branch .LBB521_1548
.LBB521_1567:
	s_mov_b32 s7, -1
	s_mov_b32 s2, 0
	s_branch .LBB521_1571
.LBB521_1568:
	s_trap 2
	s_sendmsg_rtn_b32 s0, sendmsg(MSG_RTN_GET_DOORBELL)
	s_mov_b32 ttmp2, m0
	s_waitcnt lgkmcnt(0)
	s_and_b32 s0, s0, 0x3ff
	s_delay_alu instid0(SALU_CYCLE_1) | instskip(NEXT) | instid1(SALU_CYCLE_1)
	s_bitset1_b32 s0, 10
	s_mov_b32 m0, s0
	s_sendmsg sendmsg(MSG_INTERRUPT)
	s_mov_b32 m0, ttmp2
.LBB521_1569:                           ; =>This Inner Loop Header: Depth=1
	s_sethalt 5
	s_branch .LBB521_1569
.LBB521_1570:
	s_mov_b32 s2, -1
.LBB521_1571:
                                        ; implicit-def: $vgpr6
.LBB521_1572:
	s_and_b32 vcc_lo, exec_lo, s7
	s_cbranch_vccz .LBB521_1576
; %bb.1573:
	v_cmp_eq_u16_e32 vcc_lo, 44, v12
	s_cbranch_vccz .LBB521_1575
; %bb.1574:
	global_load_u8 v4, v[10:11], off
	s_mov_b32 s2, 0
	s_mov_b32 s6, -1
	s_waitcnt vmcnt(0)
	v_lshlrev_b32_e32 v6, 23, v4
	v_cmp_ne_u32_e32 vcc_lo, 0xff, v4
	s_delay_alu instid0(VALU_DEP_2) | instskip(SKIP_1) | instid1(VALU_DEP_2)
	v_cndmask_b32_e32 v6, 0x7f800001, v6, vcc_lo
	v_cmp_ne_u32_e32 vcc_lo, 0, v4
	v_cndmask_b32_e32 v6, 0x400000, v6, vcc_lo
	s_branch .LBB521_1576
.LBB521_1575:
	s_mov_b32 s2, -1
                                        ; implicit-def: $vgpr6
.LBB521_1576:
	s_mov_b32 s7, 0
.LBB521_1577:
	s_delay_alu instid0(SALU_CYCLE_1)
	s_and_b32 vcc_lo, exec_lo, s7
	s_cbranch_vccz .LBB521_1581
; %bb.1578:
	v_cmp_eq_u16_e32 vcc_lo, 29, v12
	s_cbranch_vccz .LBB521_1580
; %bb.1579:
	global_load_b64 v[13:14], v[10:11], off
	s_mov_b32 s2, 0
	s_mov_b32 s6, -1
	s_mov_b32 s7, 0
	s_waitcnt vmcnt(0)
	v_clz_i32_u32_e32 v4, v14
	s_delay_alu instid0(VALU_DEP_1) | instskip(NEXT) | instid1(VALU_DEP_1)
	v_min_u32_e32 v4, 32, v4
	v_lshlrev_b64 v[13:14], v4, v[13:14]
	v_sub_nc_u32_e32 v4, 32, v4
	s_delay_alu instid0(VALU_DEP_2) | instskip(NEXT) | instid1(VALU_DEP_1)
	v_min_u32_e32 v6, 1, v13
	v_or_b32_e32 v6, v14, v6
	s_delay_alu instid0(VALU_DEP_1) | instskip(NEXT) | instid1(VALU_DEP_1)
	v_cvt_f32_u32_e32 v6, v6
	v_ldexp_f32 v6, v6, v4
	s_branch .LBB521_1582
.LBB521_1580:
	s_mov_b32 s2, -1
                                        ; implicit-def: $vgpr6
.LBB521_1581:
	s_mov_b32 s7, 0
.LBB521_1582:
	s_delay_alu instid0(SALU_CYCLE_1)
	s_and_b32 vcc_lo, exec_lo, s7
	s_cbranch_vccz .LBB521_1600
; %bb.1583:
	v_cmp_gt_i16_e32 vcc_lo, 27, v12
	s_cbranch_vccnz .LBB521_1586
; %bb.1584:
	v_cmp_lt_i16_e32 vcc_lo, 27, v12
	s_cbranch_vccz .LBB521_1587
; %bb.1585:
	global_load_b32 v4, v[10:11], off
	s_mov_b32 s6, 0
	s_waitcnt vmcnt(0)
	v_cvt_f32_u32_e32 v6, v4
	s_branch .LBB521_1588
.LBB521_1586:
	s_mov_b32 s6, -1
                                        ; implicit-def: $vgpr6
	s_branch .LBB521_1591
.LBB521_1587:
	s_mov_b32 s6, -1
                                        ; implicit-def: $vgpr6
.LBB521_1588:
	s_delay_alu instid0(SALU_CYCLE_1)
	s_and_not1_b32 vcc_lo, exec_lo, s6
	s_cbranch_vccnz .LBB521_1590
; %bb.1589:
	global_load_u16 v4, v[10:11], off
	s_waitcnt vmcnt(0)
	v_cvt_f32_u32_e32 v6, v4
.LBB521_1590:
	s_mov_b32 s6, 0
.LBB521_1591:
	s_delay_alu instid0(SALU_CYCLE_1)
	s_and_not1_b32 vcc_lo, exec_lo, s6
	s_cbranch_vccnz .LBB521_1599
; %bb.1592:
	global_load_u8 v4, v[10:11], off
	s_mov_b32 s6, 0
	s_mov_b32 s10, exec_lo
                                        ; implicit-def: $sgpr7
	s_waitcnt vmcnt(0)
	v_cmpx_lt_i16_e32 0x7f, v4
	s_xor_b32 s10, exec_lo, s10
	s_cbranch_execz .LBB521_1613
; %bb.1593:
	s_mov_b32 s6, -1
	s_mov_b32 s11, exec_lo
                                        ; implicit-def: $sgpr7
	v_cmpx_eq_u16_e32 0x80, v4
; %bb.1594:
	s_mov_b32 s7, 0x7f800001
	s_xor_b32 s6, exec_lo, -1
; %bb.1595:
	s_or_b32 exec_lo, exec_lo, s11
	s_delay_alu instid0(SALU_CYCLE_1)
	s_and_b32 s6, s6, exec_lo
	s_or_saveexec_b32 s10, s10
	v_mov_b32_e32 v6, s7
	s_xor_b32 exec_lo, exec_lo, s10
	s_cbranch_execnz .LBB521_1614
.LBB521_1596:
	s_or_b32 exec_lo, exec_lo, s10
	s_and_saveexec_b32 s7, s6
	s_cbranch_execz .LBB521_1598
.LBB521_1597:
	v_and_b32_e32 v6, 0xffff, v4
	v_lshlrev_b32_e32 v4, 24, v4
	s_delay_alu instid0(VALU_DEP_2) | instskip(NEXT) | instid1(VALU_DEP_2)
	v_and_b32_e32 v8, 7, v6
	v_and_b32_e32 v4, 0x80000000, v4
	s_delay_alu instid0(VALU_DEP_2) | instskip(NEXT) | instid1(VALU_DEP_1)
	v_clz_i32_u32_e32 v13, v8
	v_min_u32_e32 v13, 32, v13
	s_delay_alu instid0(VALU_DEP_1) | instskip(SKIP_1) | instid1(VALU_DEP_2)
	v_subrev_nc_u32_e32 v14, 28, v13
	v_sub_nc_u32_e32 v13, 29, v13
	v_lshlrev_b32_e32 v14, v14, v6
	v_bfe_u32 v6, v6, 3, 4
	s_delay_alu instid0(VALU_DEP_2) | instskip(NEXT) | instid1(VALU_DEP_2)
	v_and_b32_e32 v14, 7, v14
	v_cmp_eq_u32_e32 vcc_lo, 0, v6
	v_cndmask_b32_e32 v6, v6, v13, vcc_lo
	s_delay_alu instid0(VALU_DEP_3) | instskip(NEXT) | instid1(VALU_DEP_2)
	v_cndmask_b32_e32 v8, v8, v14, vcc_lo
	v_lshl_add_u32 v6, v6, 23, 0x3b800000
	s_delay_alu instid0(VALU_DEP_2) | instskip(NEXT) | instid1(VALU_DEP_1)
	v_lshlrev_b32_e32 v8, 20, v8
	v_or3_b32 v6, v4, v6, v8
.LBB521_1598:
	s_or_b32 exec_lo, exec_lo, s7
.LBB521_1599:
	s_mov_b32 s6, -1
.LBB521_1600:
	s_mov_b32 s7, 0
.LBB521_1601:
	s_delay_alu instid0(SALU_CYCLE_1)
	s_and_b32 vcc_lo, exec_lo, s7
	s_cbranch_vccz .LBB521_1634
; %bb.1602:
	v_cmp_lt_i16_e32 vcc_lo, 22, v12
	s_cbranch_vccz .LBB521_1612
; %bb.1603:
	v_cmp_gt_i16_e32 vcc_lo, 24, v12
	s_cbranch_vccnz .LBB521_1615
; %bb.1604:
	v_cmp_lt_i16_e32 vcc_lo, 24, v12
	s_cbranch_vccz .LBB521_1616
; %bb.1605:
	global_load_u8 v4, v[10:11], off
	s_mov_b32 s7, exec_lo
                                        ; implicit-def: $sgpr6
	s_waitcnt vmcnt(0)
	v_cmpx_lt_i16_e32 0x7f, v4
	s_xor_b32 s7, exec_lo, s7
	s_cbranch_execz .LBB521_1628
; %bb.1606:
	s_mov_b32 s3, -1
	s_mov_b32 s10, exec_lo
                                        ; implicit-def: $sgpr6
	v_cmpx_eq_u16_e32 0x80, v4
; %bb.1607:
	s_mov_b32 s6, 0x7f800001
	s_xor_b32 s3, exec_lo, -1
; %bb.1608:
	s_or_b32 exec_lo, exec_lo, s10
	s_delay_alu instid0(SALU_CYCLE_1)
	s_and_b32 s3, s3, exec_lo
	s_or_saveexec_b32 s7, s7
	v_mov_b32_e32 v6, s6
	s_xor_b32 exec_lo, exec_lo, s7
	s_cbranch_execnz .LBB521_1629
.LBB521_1609:
	s_or_b32 exec_lo, exec_lo, s7
	s_and_saveexec_b32 s6, s3
	s_cbranch_execz .LBB521_1611
.LBB521_1610:
	v_and_b32_e32 v6, 0xffff, v4
	v_lshlrev_b32_e32 v4, 24, v4
	s_delay_alu instid0(VALU_DEP_2) | instskip(NEXT) | instid1(VALU_DEP_2)
	v_and_b32_e32 v8, 3, v6
	v_and_b32_e32 v4, 0x80000000, v4
	s_delay_alu instid0(VALU_DEP_2) | instskip(NEXT) | instid1(VALU_DEP_1)
	v_clz_i32_u32_e32 v13, v8
	v_min_u32_e32 v13, 32, v13
	s_delay_alu instid0(VALU_DEP_1) | instskip(SKIP_1) | instid1(VALU_DEP_2)
	v_subrev_nc_u32_e32 v14, 29, v13
	v_sub_nc_u32_e32 v13, 30, v13
	v_lshlrev_b32_e32 v14, v14, v6
	v_bfe_u32 v6, v6, 2, 5
	s_delay_alu instid0(VALU_DEP_2) | instskip(NEXT) | instid1(VALU_DEP_2)
	v_and_b32_e32 v14, 3, v14
	v_cmp_eq_u32_e32 vcc_lo, 0, v6
	v_cndmask_b32_e32 v6, v6, v13, vcc_lo
	s_delay_alu instid0(VALU_DEP_3) | instskip(NEXT) | instid1(VALU_DEP_2)
	v_cndmask_b32_e32 v8, v8, v14, vcc_lo
	v_lshl_add_u32 v6, v6, 23, 0x37800000
	s_delay_alu instid0(VALU_DEP_2) | instskip(NEXT) | instid1(VALU_DEP_1)
	v_lshlrev_b32_e32 v8, 21, v8
	v_or3_b32 v6, v4, v6, v8
.LBB521_1611:
	s_or_b32 exec_lo, exec_lo, s6
	s_mov_b32 s3, 0
	s_branch .LBB521_1617
.LBB521_1612:
	s_mov_b32 s3, -1
                                        ; implicit-def: $vgpr6
	s_branch .LBB521_1623
.LBB521_1613:
	s_or_saveexec_b32 s10, s10
	v_mov_b32_e32 v6, s7
	s_xor_b32 exec_lo, exec_lo, s10
	s_cbranch_execz .LBB521_1596
.LBB521_1614:
	v_cmp_ne_u16_e32 vcc_lo, 0, v4
	v_mov_b32_e32 v6, 0
	s_and_not1_b32 s6, s6, exec_lo
	s_and_b32 s7, vcc_lo, exec_lo
	s_delay_alu instid0(SALU_CYCLE_1)
	s_or_b32 s6, s6, s7
	s_or_b32 exec_lo, exec_lo, s10
	s_and_saveexec_b32 s7, s6
	s_cbranch_execnz .LBB521_1597
	s_branch .LBB521_1598
.LBB521_1615:
	s_mov_b32 s3, -1
                                        ; implicit-def: $vgpr6
	s_branch .LBB521_1620
.LBB521_1616:
	s_mov_b32 s3, -1
                                        ; implicit-def: $vgpr6
.LBB521_1617:
	s_delay_alu instid0(SALU_CYCLE_1)
	s_and_b32 vcc_lo, exec_lo, s3
	s_cbranch_vccz .LBB521_1619
; %bb.1618:
	global_load_u8 v4, v[10:11], off
	s_waitcnt vmcnt(0)
	v_lshlrev_b32_e32 v4, 24, v4
	s_delay_alu instid0(VALU_DEP_1) | instskip(NEXT) | instid1(VALU_DEP_1)
	v_and_b32_e32 v6, 0x7f000000, v4
	v_clz_i32_u32_e32 v8, v6
	v_cmp_ne_u32_e32 vcc_lo, 0, v6
	v_add_nc_u32_e32 v14, 0x1000000, v6
	s_delay_alu instid0(VALU_DEP_3) | instskip(NEXT) | instid1(VALU_DEP_1)
	v_min_u32_e32 v8, 32, v8
	v_sub_nc_u32_e64 v8, v8, 4 clamp
	s_delay_alu instid0(VALU_DEP_1) | instskip(SKIP_1) | instid1(VALU_DEP_2)
	v_lshlrev_b32_e32 v13, v8, v6
	v_lshlrev_b32_e32 v8, 23, v8
	v_lshrrev_b32_e32 v13, 4, v13
	s_delay_alu instid0(VALU_DEP_1) | instskip(SKIP_1) | instid1(VALU_DEP_2)
	v_sub_nc_u32_e32 v8, v13, v8
	v_ashrrev_i32_e32 v13, 8, v14
	v_add_nc_u32_e32 v8, 0x3c000000, v8
	s_delay_alu instid0(VALU_DEP_1) | instskip(NEXT) | instid1(VALU_DEP_1)
	v_and_or_b32 v8, 0x7f800000, v13, v8
	v_cndmask_b32_e32 v6, 0, v8, vcc_lo
	s_delay_alu instid0(VALU_DEP_1)
	v_and_or_b32 v6, 0x80000000, v4, v6
.LBB521_1619:
	s_mov_b32 s3, 0
.LBB521_1620:
	s_delay_alu instid0(SALU_CYCLE_1)
	s_and_not1_b32 vcc_lo, exec_lo, s3
	s_cbranch_vccnz .LBB521_1622
; %bb.1621:
	global_load_u8 v4, v[10:11], off
	s_waitcnt vmcnt(0)
	v_lshlrev_b32_e32 v6, 25, v4
	v_lshlrev_b16 v4, 8, v4
	s_delay_alu instid0(VALU_DEP_1) | instskip(SKIP_1) | instid1(VALU_DEP_2)
	v_and_or_b32 v13, 0x7f00, v4, 0.5
	v_bfe_i32 v4, v4, 0, 16
	v_add_f32_e32 v13, -0.5, v13
	v_lshrrev_b32_e32 v8, 4, v6
	v_cmp_gt_u32_e32 vcc_lo, 0x8000000, v6
	s_delay_alu instid0(VALU_DEP_2) | instskip(NEXT) | instid1(VALU_DEP_1)
	v_or_b32_e32 v8, 0x70000000, v8
	v_mul_f32_e32 v8, 0x7800000, v8
	s_delay_alu instid0(VALU_DEP_1) | instskip(NEXT) | instid1(VALU_DEP_1)
	v_cndmask_b32_e32 v6, v8, v13, vcc_lo
	v_and_or_b32 v6, 0x80000000, v4, v6
.LBB521_1622:
	s_mov_b32 s3, 0
	s_mov_b32 s6, -1
.LBB521_1623:
	s_and_not1_b32 vcc_lo, exec_lo, s3
	s_mov_b32 s3, 0
	s_cbranch_vccnz .LBB521_1634
; %bb.1624:
	v_cmp_lt_i16_e32 vcc_lo, 14, v12
	s_cbranch_vccz .LBB521_1627
; %bb.1625:
	v_cmp_eq_u16_e32 vcc_lo, 15, v12
	s_cbranch_vccz .LBB521_1630
; %bb.1626:
	global_load_u16 v4, v[10:11], off
	s_mov_b32 s2, 0
	s_mov_b32 s6, -1
	s_waitcnt vmcnt(0)
	v_lshlrev_b32_e32 v6, 16, v4
	s_branch .LBB521_1632
.LBB521_1627:
	s_mov_b32 s3, -1
	s_branch .LBB521_1631
.LBB521_1628:
	s_or_saveexec_b32 s7, s7
	v_mov_b32_e32 v6, s6
	s_xor_b32 exec_lo, exec_lo, s7
	s_cbranch_execz .LBB521_1609
.LBB521_1629:
	v_cmp_ne_u16_e32 vcc_lo, 0, v4
	v_mov_b32_e32 v6, 0
	s_and_not1_b32 s3, s3, exec_lo
	s_and_b32 s6, vcc_lo, exec_lo
	s_delay_alu instid0(SALU_CYCLE_1)
	s_or_b32 s3, s3, s6
	s_or_b32 exec_lo, exec_lo, s7
	s_and_saveexec_b32 s6, s3
	s_cbranch_execnz .LBB521_1610
	s_branch .LBB521_1611
.LBB521_1630:
	s_mov_b32 s2, -1
.LBB521_1631:
                                        ; implicit-def: $vgpr6
.LBB521_1632:
	s_and_b32 vcc_lo, exec_lo, s3
	s_mov_b32 s3, 0
	s_cbranch_vccz .LBB521_1634
; %bb.1633:
	v_cmp_ne_u16_e64 s2, 11, v12
	s_mov_b32 s3, -1
                                        ; implicit-def: $vgpr6
.LBB521_1634:
	s_delay_alu instid0(VALU_DEP_1)
	s_and_b32 vcc_lo, exec_lo, s2
	s_cbranch_vccnz .LBB521_1746
; %bb.1635:
	s_and_not1_b32 vcc_lo, exec_lo, s3
	s_cbranch_vccnz .LBB521_1637
.LBB521_1636:
	global_load_u8 v4, v[10:11], off
	s_mov_b32 s6, -1
	s_waitcnt vmcnt(0)
	v_cmp_ne_u16_e32 vcc_lo, 0, v4
	v_cndmask_b32_e64 v6, 0, 1.0, vcc_lo
.LBB521_1637:
	s_mov_b32 s2, 0
.LBB521_1638:
	s_delay_alu instid0(SALU_CYCLE_1)
	s_and_b32 vcc_lo, exec_lo, s2
	s_cbranch_vccz .LBB521_1687
; %bb.1639:
	v_cmp_gt_i16_e32 vcc_lo, 5, v12
	s_cbranch_vccnz .LBB521_1644
; %bb.1640:
	v_cmp_gt_i16_e32 vcc_lo, 8, v12
	s_cbranch_vccnz .LBB521_1645
	;; [unrolled: 3-line block ×3, first 2 shown]
; %bb.1642:
	v_cmp_lt_i16_e32 vcc_lo, 9, v12
	s_cbranch_vccz .LBB521_1647
; %bb.1643:
	global_load_b64 v[13:14], v[10:11], off
	s_mov_b32 s2, 0
	s_waitcnt vmcnt(0)
	v_cvt_f32_f64_e32 v6, v[13:14]
	s_branch .LBB521_1648
.LBB521_1644:
	s_mov_b32 s2, -1
                                        ; implicit-def: $vgpr6
	s_branch .LBB521_1666
.LBB521_1645:
	s_mov_b32 s2, -1
                                        ; implicit-def: $vgpr6
	s_branch .LBB521_1654
.LBB521_1646:
	s_mov_b32 s2, -1
                                        ; implicit-def: $vgpr6
	s_branch .LBB521_1651
.LBB521_1647:
	s_mov_b32 s2, -1
                                        ; implicit-def: $vgpr6
.LBB521_1648:
	s_delay_alu instid0(SALU_CYCLE_1)
	s_and_not1_b32 vcc_lo, exec_lo, s2
	s_cbranch_vccnz .LBB521_1650
; %bb.1649:
	global_load_b32 v6, v[10:11], off
.LBB521_1650:
	s_mov_b32 s2, 0
.LBB521_1651:
	s_delay_alu instid0(SALU_CYCLE_1)
	s_and_not1_b32 vcc_lo, exec_lo, s2
	s_cbranch_vccnz .LBB521_1653
; %bb.1652:
	global_load_b32 v4, v[10:11], off
	s_waitcnt vmcnt(0)
	v_cvt_f32_f16_e32 v6, v4
.LBB521_1653:
	s_mov_b32 s2, 0
.LBB521_1654:
	s_delay_alu instid0(SALU_CYCLE_1)
	s_and_not1_b32 vcc_lo, exec_lo, s2
	s_cbranch_vccnz .LBB521_1665
; %bb.1655:
	v_cmp_gt_i16_e32 vcc_lo, 6, v12
	s_cbranch_vccnz .LBB521_1658
; %bb.1656:
	v_cmp_lt_i16_e32 vcc_lo, 6, v12
	s_cbranch_vccz .LBB521_1659
; %bb.1657:
	global_load_b64 v[13:14], v[10:11], off
	s_mov_b32 s2, 0
	s_waitcnt vmcnt(0)
	v_cvt_f32_f64_e32 v6, v[13:14]
	s_branch .LBB521_1660
.LBB521_1658:
	s_mov_b32 s2, -1
                                        ; implicit-def: $vgpr6
	s_branch .LBB521_1663
.LBB521_1659:
	s_mov_b32 s2, -1
                                        ; implicit-def: $vgpr6
.LBB521_1660:
	s_delay_alu instid0(SALU_CYCLE_1)
	s_and_not1_b32 vcc_lo, exec_lo, s2
	s_cbranch_vccnz .LBB521_1662
; %bb.1661:
	global_load_b32 v6, v[10:11], off
.LBB521_1662:
	s_mov_b32 s2, 0
.LBB521_1663:
	s_delay_alu instid0(SALU_CYCLE_1)
	s_and_not1_b32 vcc_lo, exec_lo, s2
	s_cbranch_vccnz .LBB521_1665
; %bb.1664:
	global_load_u16 v4, v[10:11], off
	s_waitcnt vmcnt(0)
	v_cvt_f32_f16_e32 v6, v4
.LBB521_1665:
	s_mov_b32 s2, 0
.LBB521_1666:
	s_delay_alu instid0(SALU_CYCLE_1)
	s_and_not1_b32 vcc_lo, exec_lo, s2
	s_cbranch_vccnz .LBB521_1686
; %bb.1667:
	v_cmp_gt_i16_e32 vcc_lo, 2, v12
	s_cbranch_vccnz .LBB521_1671
; %bb.1668:
	v_cmp_gt_i16_e32 vcc_lo, 3, v12
	s_cbranch_vccnz .LBB521_1672
; %bb.1669:
	v_cmp_lt_i16_e32 vcc_lo, 3, v12
	s_cbranch_vccz .LBB521_1673
; %bb.1670:
	global_load_b64 v[13:14], v[10:11], off
	s_mov_b32 s2, 0
	s_waitcnt vmcnt(0)
	v_xor_b32_e32 v4, v13, v14
	v_cls_i32_e32 v6, v14
	s_delay_alu instid0(VALU_DEP_2) | instskip(NEXT) | instid1(VALU_DEP_2)
	v_ashrrev_i32_e32 v4, 31, v4
	v_add_nc_u32_e32 v6, -1, v6
	s_delay_alu instid0(VALU_DEP_2) | instskip(NEXT) | instid1(VALU_DEP_1)
	v_add_nc_u32_e32 v4, 32, v4
	v_min_u32_e32 v4, v6, v4
	s_delay_alu instid0(VALU_DEP_1) | instskip(SKIP_1) | instid1(VALU_DEP_2)
	v_lshlrev_b64 v[13:14], v4, v[13:14]
	v_sub_nc_u32_e32 v4, 32, v4
	v_min_u32_e32 v6, 1, v13
	s_delay_alu instid0(VALU_DEP_1) | instskip(NEXT) | instid1(VALU_DEP_1)
	v_or_b32_e32 v6, v14, v6
	v_cvt_f32_i32_e32 v6, v6
	s_delay_alu instid0(VALU_DEP_1)
	v_ldexp_f32 v6, v6, v4
	s_branch .LBB521_1674
.LBB521_1671:
	s_mov_b32 s2, -1
                                        ; implicit-def: $vgpr6
	s_branch .LBB521_1680
.LBB521_1672:
	s_mov_b32 s2, -1
                                        ; implicit-def: $vgpr6
	s_branch .LBB521_1677
.LBB521_1673:
	s_mov_b32 s2, -1
                                        ; implicit-def: $vgpr6
.LBB521_1674:
	s_delay_alu instid0(SALU_CYCLE_1)
	s_and_not1_b32 vcc_lo, exec_lo, s2
	s_cbranch_vccnz .LBB521_1676
; %bb.1675:
	global_load_b32 v4, v[10:11], off
	s_waitcnt vmcnt(0)
	v_cvt_f32_i32_e32 v6, v4
.LBB521_1676:
	s_mov_b32 s2, 0
.LBB521_1677:
	s_delay_alu instid0(SALU_CYCLE_1)
	s_and_not1_b32 vcc_lo, exec_lo, s2
	s_cbranch_vccnz .LBB521_1679
; %bb.1678:
	global_load_i16 v4, v[10:11], off
	s_waitcnt vmcnt(0)
	v_cvt_f32_i32_e32 v6, v4
.LBB521_1679:
	s_mov_b32 s2, 0
.LBB521_1680:
	s_delay_alu instid0(SALU_CYCLE_1)
	s_and_not1_b32 vcc_lo, exec_lo, s2
	s_cbranch_vccnz .LBB521_1686
; %bb.1681:
	v_cmp_lt_i16_e32 vcc_lo, 0, v12
	s_mov_b32 s2, 0
	s_cbranch_vccz .LBB521_1683
; %bb.1682:
	global_load_i8 v4, v[10:11], off
	s_waitcnt vmcnt(0)
	v_cvt_f32_i32_e32 v6, v4
	s_branch .LBB521_1684
.LBB521_1683:
	s_mov_b32 s2, -1
                                        ; implicit-def: $vgpr6
.LBB521_1684:
	s_delay_alu instid0(SALU_CYCLE_1)
	s_and_not1_b32 vcc_lo, exec_lo, s2
	s_cbranch_vccnz .LBB521_1686
; %bb.1685:
	global_load_u8 v4, v[10:11], off
	s_waitcnt vmcnt(0)
	v_cvt_f32_ubyte0_e32 v6, v4
.LBB521_1686:
	s_mov_b32 s6, -1
.LBB521_1687:
	s_delay_alu instid0(SALU_CYCLE_1)
	s_and_not1_b32 vcc_lo, exec_lo, s6
	s_cbranch_vccnz .LBB521_1699
; %bb.1688:
	v_mov_b32_e32 v4, s0
	s_mov_b32 s0, exec_lo
	s_waitcnt vmcnt(0)
	s_delay_alu instid0(VALU_DEP_2)
	v_cmpx_o_f32_e32 v6, v6
	s_cbranch_execz .LBB521_1692
; %bb.1689:
	s_load_b32 s2, s[20:21], 0x15c
	s_waitcnt lgkmcnt(0)
	v_mov_b32_e32 v4, s2
	s_mov_b32 s2, exec_lo
	v_cmpx_neq_f32_e32 0x7f800000, v6
	s_cbranch_execz .LBB521_1691
; %bb.1690:
	s_load_b32 s3, s[20:21], 0x160
	v_cmp_eq_f32_e32 vcc_lo, 0xff800000, v6
	s_waitcnt lgkmcnt(0)
	v_cndmask_b32_e64 v4, v6, s3, vcc_lo
.LBB521_1691:
	s_or_b32 exec_lo, exec_lo, s2
.LBB521_1692:
	s_delay_alu instid0(SALU_CYCLE_1) | instskip(SKIP_2) | instid1(VALU_DEP_1)
	s_or_b32 exec_lo, exec_lo, s0
	s_load_b32 s0, s[20:21], 0x164
	v_add_co_u32 v10, s3, s4, v3
	v_add_co_ci_u32_e64 v11, null, s5, 0, s3
	s_mov_b32 s6, 0
	s_waitcnt lgkmcnt(0)
	s_and_b32 s2, s0, 0xff
	s_delay_alu instid0(SALU_CYCLE_1) | instskip(NEXT) | instid1(VALU_DEP_1)
	v_cmp_lt_i16_e64 s0, s2, 11
	s_and_b32 vcc_lo, exec_lo, s0
	s_mov_b32 s0, -1
	s_cbranch_vccnz .LBB521_1820
; %bb.1693:
	v_cmp_gt_i16_e64 s0, s2, 25
	s_mov_b32 s7, -1
	s_mov_b32 s3, 0
	s_delay_alu instid0(VALU_DEP_1)
	s_and_b32 vcc_lo, exec_lo, s0
	s_mov_b32 s0, 0
	s_cbranch_vccz .LBB521_1776
; %bb.1694:
	v_cmp_gt_i16_e64 s0, s2, 28
	s_delay_alu instid0(VALU_DEP_1)
	s_and_b32 vcc_lo, exec_lo, s0
	s_cbranch_vccz .LBB521_1744
; %bb.1695:
	v_cmp_gt_i16_e64 s0, s2, 43
	s_delay_alu instid0(VALU_DEP_1)
	s_and_b32 vcc_lo, exec_lo, s0
	;; [unrolled: 5-line block ×3, first 2 shown]
	s_cbranch_vccz .LBB521_1748
; %bb.1697:
	v_cmp_eq_u16_e64 s6, s2, 46
	s_mov_b32 s0, -1
	s_mov_b32 s7, 0
	s_delay_alu instid0(VALU_DEP_1)
	s_and_b32 vcc_lo, exec_lo, s6
	s_mov_b32 s6, 0
	s_cbranch_vccz .LBB521_1749
; %bb.1698:
	v_bfe_u32 v3, v5, 16, 1
	v_cmp_o_f32_e32 vcc_lo, v5, v5
	s_mov_b32 s0, 0
	s_mov_b32 s6, -1
	s_delay_alu instid0(VALU_DEP_2) | instskip(NEXT) | instid1(VALU_DEP_1)
	v_add3_u32 v3, v5, v3, 0x7fff
	v_lshrrev_b32_e32 v3, 16, v3
	s_delay_alu instid0(VALU_DEP_1)
	v_cndmask_b32_e32 v3, 0x7fc0, v3, vcc_lo
	global_store_b32 v[10:11], v3, off
	s_branch .LBB521_1749
.LBB521_1699:
	s_mov_b32 s0, 0
	s_mov_b32 s3, 0
                                        ; implicit-def: $vgpr0_vgpr1
                                        ; implicit-def: $sgpr2
                                        ; implicit-def: $vgpr4
.LBB521_1700:
	s_and_b32 s4, s0, exec_lo
	s_and_not1_b32 s0, s8, exec_lo
	s_and_b32 s1, s1, exec_lo
	s_and_b32 s30, s3, exec_lo
	s_or_b32 s8, s0, s1
.LBB521_1701:
	s_or_b32 exec_lo, exec_lo, s9
	s_and_saveexec_b32 s0, s8
	s_cbranch_execz .LBB521_1704
; %bb.1702:
	; divergent unreachable
	s_or_b32 exec_lo, exec_lo, s0
	s_and_saveexec_b32 s0, s30
	s_delay_alu instid0(SALU_CYCLE_1)
	s_xor_b32 s0, exec_lo, s0
	s_cbranch_execnz .LBB521_1705
.LBB521_1703:
	s_or_b32 exec_lo, exec_lo, s0
	s_and_saveexec_b32 s0, s4
	s_cbranch_execnz .LBB521_1706
	s_branch .LBB521_1743
.LBB521_1704:
	s_or_b32 exec_lo, exec_lo, s0
	s_and_saveexec_b32 s0, s30
	s_delay_alu instid0(SALU_CYCLE_1)
	s_xor_b32 s0, exec_lo, s0
	s_cbranch_execz .LBB521_1703
.LBB521_1705:
	v_cmp_neq_f32_e32 vcc_lo, 0, v4
	v_cndmask_b32_e64 v2, 0, 1, vcc_lo
	global_store_b8 v[0:1], v2, off
	s_or_b32 exec_lo, exec_lo, s0
	s_and_saveexec_b32 s0, s4
	s_cbranch_execz .LBB521_1743
.LBB521_1706:
	v_cmp_lt_i16_e64 s0, s2, 5
	s_delay_alu instid0(VALU_DEP_1)
	s_and_b32 vcc_lo, exec_lo, s0
	s_mov_b32 s0, -1
	s_cbranch_vccnz .LBB521_1727
; %bb.1707:
	v_cmp_lt_i16_e64 s0, s2, 8
	s_delay_alu instid0(VALU_DEP_1)
	s_and_b32 vcc_lo, exec_lo, s0
	s_mov_b32 s0, -1
	s_cbranch_vccnz .LBB521_1717
; %bb.1708:
	;; [unrolled: 6-line block ×3, first 2 shown]
	v_cmp_gt_i16_e64 s0, s2, 9
	s_delay_alu instid0(VALU_DEP_1)
	s_and_b32 vcc_lo, exec_lo, s0
	s_mov_b32 s0, -1
	s_cbranch_vccz .LBB521_1711
; %bb.1710:
	s_waitcnt vmcnt(0)
	v_cvt_f64_f32_e32 v[5:6], v4
	v_mov_b32_e32 v7, 0
	s_mov_b32 s0, 0
	s_delay_alu instid0(VALU_DEP_1)
	v_mov_b32_e32 v8, v7
	global_store_b128 v[0:1], v[5:8], off
.LBB521_1711:
	s_and_not1_b32 vcc_lo, exec_lo, s0
	s_cbranch_vccnz .LBB521_1713
; %bb.1712:
	v_mov_b32_e32 v5, 0
	global_store_b64 v[0:1], v[4:5], off
.LBB521_1713:
	s_mov_b32 s0, 0
.LBB521_1714:
	s_delay_alu instid0(SALU_CYCLE_1)
	s_and_not1_b32 vcc_lo, exec_lo, s0
	s_cbranch_vccnz .LBB521_1716
; %bb.1715:
	v_cvt_f16_f32_e32 v2, v4
	s_delay_alu instid0(VALU_DEP_1)
	v_and_b32_e32 v2, 0xffff, v2
	global_store_b32 v[0:1], v2, off
.LBB521_1716:
	s_mov_b32 s0, 0
.LBB521_1717:
	s_delay_alu instid0(SALU_CYCLE_1)
	s_and_not1_b32 vcc_lo, exec_lo, s0
	s_cbranch_vccnz .LBB521_1726
; %bb.1718:
	v_cmp_lt_i16_e64 s0, s2, 6
	s_delay_alu instid0(VALU_DEP_1)
	s_and_b32 vcc_lo, exec_lo, s0
	s_mov_b32 s0, -1
	s_cbranch_vccnz .LBB521_1724
; %bb.1719:
	v_cmp_gt_i16_e64 s0, s2, 6
	s_delay_alu instid0(VALU_DEP_1)
	s_and_b32 vcc_lo, exec_lo, s0
	s_mov_b32 s0, -1
	s_cbranch_vccz .LBB521_1721
; %bb.1720:
	s_waitcnt vmcnt(0)
	v_cvt_f64_f32_e32 v[2:3], v4
	s_mov_b32 s0, 0
	global_store_b64 v[0:1], v[2:3], off
.LBB521_1721:
	s_and_not1_b32 vcc_lo, exec_lo, s0
	s_cbranch_vccnz .LBB521_1723
; %bb.1722:
	global_store_b32 v[0:1], v4, off
.LBB521_1723:
	s_mov_b32 s0, 0
.LBB521_1724:
	s_delay_alu instid0(SALU_CYCLE_1)
	s_and_not1_b32 vcc_lo, exec_lo, s0
	s_cbranch_vccnz .LBB521_1726
; %bb.1725:
	v_cvt_f16_f32_e32 v2, v4
	global_store_b16 v[0:1], v2, off
.LBB521_1726:
	s_mov_b32 s0, 0
.LBB521_1727:
	s_delay_alu instid0(SALU_CYCLE_1)
	s_and_not1_b32 vcc_lo, exec_lo, s0
	s_cbranch_vccnz .LBB521_1743
; %bb.1728:
	v_cmp_lt_i16_e64 s0, s2, 2
	s_delay_alu instid0(VALU_DEP_1)
	s_and_b32 vcc_lo, exec_lo, s0
	s_mov_b32 s0, -1
	s_cbranch_vccnz .LBB521_1738
; %bb.1729:
	v_cmp_lt_i16_e64 s0, s2, 3
	s_delay_alu instid0(VALU_DEP_1)
	s_and_b32 vcc_lo, exec_lo, s0
	s_mov_b32 s0, -1
	s_cbranch_vccnz .LBB521_1735
; %bb.1730:
	v_cmp_gt_i16_e64 s0, s2, 3
	s_delay_alu instid0(VALU_DEP_1)
	s_and_b32 vcc_lo, exec_lo, s0
	s_mov_b32 s0, -1
	s_cbranch_vccz .LBB521_1732
; %bb.1731:
	v_trunc_f32_e32 v2, v4
	s_mov_b32 s0, 0
	s_waitcnt vmcnt(0)
	s_delay_alu instid0(VALU_DEP_1) | instskip(SKIP_1) | instid1(VALU_DEP_2)
	v_mul_f32_e64 v3, 0x2f800000, |v2|
	v_ashrrev_i32_e32 v6, 31, v2
	v_floor_f32_e32 v3, v3
	s_delay_alu instid0(VALU_DEP_1) | instskip(SKIP_1) | instid1(VALU_DEP_2)
	v_fma_f32 v5, 0xcf800000, v3, |v2|
	v_cvt_u32_f32_e32 v3, v3
	v_cvt_u32_f32_e32 v2, v5
	s_delay_alu instid0(VALU_DEP_2) | instskip(NEXT) | instid1(VALU_DEP_2)
	v_xor_b32_e32 v3, v3, v6
	v_xor_b32_e32 v2, v2, v6
	s_delay_alu instid0(VALU_DEP_1) | instskip(NEXT) | instid1(VALU_DEP_3)
	v_sub_co_u32 v2, vcc_lo, v2, v6
	v_sub_co_ci_u32_e32 v3, vcc_lo, v3, v6, vcc_lo
	global_store_b64 v[0:1], v[2:3], off
.LBB521_1732:
	s_and_not1_b32 vcc_lo, exec_lo, s0
	s_cbranch_vccnz .LBB521_1734
; %bb.1733:
	v_cvt_i32_f32_e32 v2, v4
	global_store_b32 v[0:1], v2, off
.LBB521_1734:
	s_mov_b32 s0, 0
.LBB521_1735:
	s_delay_alu instid0(SALU_CYCLE_1)
	s_and_not1_b32 vcc_lo, exec_lo, s0
	s_cbranch_vccnz .LBB521_1737
; %bb.1736:
	v_cvt_i32_f32_e32 v2, v4
	global_store_b16 v[0:1], v2, off
.LBB521_1737:
	s_mov_b32 s0, 0
.LBB521_1738:
	s_delay_alu instid0(SALU_CYCLE_1)
	s_and_not1_b32 vcc_lo, exec_lo, s0
	s_cbranch_vccnz .LBB521_1743
; %bb.1739:
	v_cmp_gt_i16_e64 s0, s2, 0
	s_delay_alu instid0(VALU_DEP_1)
	s_and_b32 vcc_lo, exec_lo, s0
	s_mov_b32 s0, -1
	s_cbranch_vccz .LBB521_1741
; %bb.1740:
	v_cvt_i32_f32_e32 v2, v4
	s_mov_b32 s0, 0
	global_store_b8 v[0:1], v2, off
.LBB521_1741:
	s_and_not1_b32 vcc_lo, exec_lo, s0
	s_cbranch_vccnz .LBB521_1743
; %bb.1742:
	v_trunc_f32_e32 v2, v4
	s_waitcnt vmcnt(0)
	s_delay_alu instid0(VALU_DEP_1) | instskip(NEXT) | instid1(VALU_DEP_1)
	v_mul_f32_e64 v3, 0x2f800000, |v2|
	v_floor_f32_e32 v3, v3
	s_delay_alu instid0(VALU_DEP_1) | instskip(SKIP_1) | instid1(VALU_DEP_2)
	v_fma_f32 v3, 0xcf800000, v3, |v2|
	v_ashrrev_i32_e32 v2, 31, v2
	v_cvt_u32_f32_e32 v3, v3
	s_delay_alu instid0(VALU_DEP_1) | instskip(NEXT) | instid1(VALU_DEP_1)
	v_xor_b32_e32 v3, v3, v2
	v_sub_nc_u32_e32 v2, v3, v2
	global_store_b8 v[0:1], v2, off
	s_nop 0
	s_sendmsg sendmsg(MSG_DEALLOC_VGPRS)
	s_endpgm
.LBB521_1743:
	s_nop 0
	s_sendmsg sendmsg(MSG_DEALLOC_VGPRS)
	s_endpgm
.LBB521_1744:
	s_mov_b32 s0, 0
	s_branch .LBB521_1759
.LBB521_1745:
	s_mov_b32 s0, 0
	s_branch .LBB521_1755
.LBB521_1746:
	s_cbranch_execnz .LBB521_1871
; %bb.1747:
	s_or_b32 s1, s1, exec_lo
                                        ; implicit-def: $vgpr6
	s_cbranch_execz .LBB521_1636
	s_branch .LBB521_1637
.LBB521_1748:
	s_mov_b32 s0, 0
.LBB521_1749:
	s_and_b32 vcc_lo, exec_lo, s7
	s_cbranch_vccz .LBB521_1754
; %bb.1750:
	v_cmp_eq_u16_e64 s0, s2, 44
	s_delay_alu instid0(VALU_DEP_1)
	s_and_b32 vcc_lo, exec_lo, s0
	s_mov_b32 s0, -1
	s_cbranch_vccz .LBB521_1754
; %bb.1751:
	v_bfe_u32 v6, v5, 23, 8
	v_mov_b32_e32 v3, 0xff
	s_mov_b32 s6, exec_lo
	s_delay_alu instid0(VALU_DEP_2)
	v_cmpx_ne_u32_e32 0xff, v6
; %bb.1752:
	v_and_b32_e32 v3, 0x400000, v5
	v_and_or_b32 v6, 0x3fffff, v5, v6
	s_delay_alu instid0(VALU_DEP_2) | instskip(NEXT) | instid1(VALU_DEP_2)
	v_cmp_ne_u32_e32 vcc_lo, 0, v3
	v_cmp_ne_u32_e64 s0, 0, v6
	v_lshrrev_b32_e32 v3, 23, v5
	s_delay_alu instid0(VALU_DEP_2) | instskip(NEXT) | instid1(SALU_CYCLE_1)
	s_and_b32 s0, vcc_lo, s0
	v_cndmask_b32_e64 v6, 0, 1, s0
	s_delay_alu instid0(VALU_DEP_1)
	v_add_nc_u32_e32 v3, v3, v6
; %bb.1753:
	s_or_b32 exec_lo, exec_lo, s6
	s_mov_b32 s0, 0
	s_mov_b32 s6, -1
	global_store_b8 v[10:11], v3, off
.LBB521_1754:
	s_mov_b32 s7, 0
.LBB521_1755:
	s_delay_alu instid0(SALU_CYCLE_1)
	s_and_b32 vcc_lo, exec_lo, s7
	s_cbranch_vccz .LBB521_1758
; %bb.1756:
	v_cmp_eq_u16_e64 s0, s2, 29
	s_delay_alu instid0(VALU_DEP_1)
	s_and_b32 vcc_lo, exec_lo, s0
	s_mov_b32 s0, -1
	s_cbranch_vccz .LBB521_1758
; %bb.1757:
	v_trunc_f32_e32 v3, v5
	s_mov_b32 s0, 0
	s_mov_b32 s6, -1
	s_mov_b32 s7, 0
	s_delay_alu instid0(VALU_DEP_1) | instskip(NEXT) | instid1(VALU_DEP_1)
	v_mul_f32_e32 v6, 0x2f800000, v3
	v_floor_f32_e32 v6, v6
	s_delay_alu instid0(VALU_DEP_1) | instskip(SKIP_1) | instid1(VALU_DEP_2)
	v_fmamk_f32 v3, v6, 0xcf800000, v3
	v_cvt_u32_f32_e32 v13, v6
	v_cvt_u32_f32_e32 v12, v3
	global_store_b64 v[10:11], v[12:13], off
	s_branch .LBB521_1759
.LBB521_1758:
	s_mov_b32 s7, 0
.LBB521_1759:
	s_delay_alu instid0(SALU_CYCLE_1)
	s_and_b32 vcc_lo, exec_lo, s7
	s_cbranch_vccz .LBB521_1775
; %bb.1760:
	v_cmp_lt_i16_e64 s6, s2, 27
	s_delay_alu instid0(VALU_DEP_1)
	s_and_b32 vcc_lo, exec_lo, s6
	s_mov_b32 s6, -1
	s_cbranch_vccnz .LBB521_1766
; %bb.1761:
	v_cmp_gt_i16_e64 s6, s2, 27
	v_cvt_u32_f32_e32 v3, v5
	s_delay_alu instid0(VALU_DEP_2)
	s_and_b32 vcc_lo, exec_lo, s6
	s_mov_b32 s6, -1
	s_cbranch_vccz .LBB521_1763
; %bb.1762:
	s_mov_b32 s6, 0
	global_store_b32 v[10:11], v3, off
.LBB521_1763:
	s_and_not1_b32 vcc_lo, exec_lo, s6
	s_cbranch_vccnz .LBB521_1765
; %bb.1764:
	global_store_b16 v[10:11], v3, off
.LBB521_1765:
	s_mov_b32 s6, 0
.LBB521_1766:
	s_delay_alu instid0(SALU_CYCLE_1)
	s_and_not1_b32 vcc_lo, exec_lo, s6
	s_cbranch_vccnz .LBB521_1774
; %bb.1767:
	v_and_b32_e32 v3, 0x7fffffff, v5
	v_mov_b32_e32 v6, 0x80
	s_mov_b32 s6, exec_lo
	s_delay_alu instid0(VALU_DEP_2)
	v_cmpx_gt_u32_e32 0x43800000, v3
	s_cbranch_execz .LBB521_1773
; %bb.1768:
	v_cmp_lt_u32_e32 vcc_lo, 0x3bffffff, v3
	s_mov_b32 s7, 0
                                        ; implicit-def: $vgpr3
	s_and_saveexec_b32 s10, vcc_lo
	s_delay_alu instid0(SALU_CYCLE_1)
	s_xor_b32 s10, exec_lo, s10
	s_cbranch_execz .LBB521_1868
; %bb.1769:
	v_bfe_u32 v3, v5, 20, 1
	s_mov_b32 s7, exec_lo
	s_delay_alu instid0(VALU_DEP_1) | instskip(NEXT) | instid1(VALU_DEP_1)
	v_add3_u32 v3, v5, v3, 0x487ffff
	v_lshrrev_b32_e32 v3, 20, v3
	s_or_saveexec_b32 s10, s10
                                        ; implicit-def: $sgpr11
	s_delay_alu instid0(SALU_CYCLE_1)
	s_xor_b32 exec_lo, exec_lo, s10
	s_cbranch_execnz .LBB521_1869
.LBB521_1770:
	s_or_b32 exec_lo, exec_lo, s10
	v_mov_b32_e32 v6, s11
	s_and_saveexec_b32 s10, s7
.LBB521_1771:
	v_lshrrev_b32_e32 v6, 24, v5
	s_delay_alu instid0(VALU_DEP_1)
	v_and_or_b32 v6, 0x80, v6, v3
.LBB521_1772:
	s_or_b32 exec_lo, exec_lo, s10
.LBB521_1773:
	s_delay_alu instid0(SALU_CYCLE_1)
	s_or_b32 exec_lo, exec_lo, s6
	global_store_b8 v[10:11], v6, off
.LBB521_1774:
	s_mov_b32 s6, -1
.LBB521_1775:
	s_mov_b32 s7, 0
.LBB521_1776:
	s_delay_alu instid0(SALU_CYCLE_1)
	s_and_b32 vcc_lo, exec_lo, s7
	s_cbranch_vccz .LBB521_1816
; %bb.1777:
	v_cmp_gt_i16_e64 s3, s2, 22
	s_delay_alu instid0(VALU_DEP_1)
	s_and_b32 vcc_lo, exec_lo, s3
	s_mov_b32 s3, -1
	s_cbranch_vccz .LBB521_1809
; %bb.1778:
	v_cmp_lt_i16_e64 s3, s2, 24
	s_delay_alu instid0(VALU_DEP_1)
	s_and_b32 vcc_lo, exec_lo, s3
	s_mov_b32 s3, -1
	s_cbranch_vccnz .LBB521_1798
; %bb.1779:
	v_cmp_gt_i16_e64 s3, s2, 24
	s_delay_alu instid0(VALU_DEP_1)
	s_and_b32 vcc_lo, exec_lo, s3
	s_mov_b32 s3, -1
	s_cbranch_vccz .LBB521_1787
; %bb.1780:
	v_and_b32_e32 v3, 0x7fffffff, v5
	v_mov_b32_e32 v6, 0x80
	s_mov_b32 s3, exec_lo
	s_delay_alu instid0(VALU_DEP_2)
	v_cmpx_gt_u32_e32 0x47800000, v3
	s_cbranch_execz .LBB521_1786
; %bb.1781:
	v_cmp_lt_u32_e32 vcc_lo, 0x37ffffff, v3
	s_mov_b32 s6, 0
                                        ; implicit-def: $vgpr3
	s_and_saveexec_b32 s7, vcc_lo
	s_delay_alu instid0(SALU_CYCLE_1)
	s_xor_b32 s7, exec_lo, s7
	s_cbranch_execz .LBB521_1875
; %bb.1782:
	v_bfe_u32 v3, v5, 21, 1
	s_mov_b32 s6, exec_lo
	s_delay_alu instid0(VALU_DEP_1) | instskip(NEXT) | instid1(VALU_DEP_1)
	v_add3_u32 v3, v5, v3, 0x88fffff
	v_lshrrev_b32_e32 v3, 21, v3
	s_or_saveexec_b32 s7, s7
                                        ; implicit-def: $sgpr10
	s_delay_alu instid0(SALU_CYCLE_1)
	s_xor_b32 exec_lo, exec_lo, s7
	s_cbranch_execnz .LBB521_1876
.LBB521_1783:
	s_or_b32 exec_lo, exec_lo, s7
	v_mov_b32_e32 v6, s10
	s_and_saveexec_b32 s7, s6
.LBB521_1784:
	v_lshrrev_b32_e32 v6, 24, v5
	s_delay_alu instid0(VALU_DEP_1)
	v_and_or_b32 v6, 0x80, v6, v3
.LBB521_1785:
	s_or_b32 exec_lo, exec_lo, s7
.LBB521_1786:
	s_delay_alu instid0(SALU_CYCLE_1)
	s_or_b32 exec_lo, exec_lo, s3
	s_mov_b32 s3, 0
	global_store_b8 v[10:11], v6, off
.LBB521_1787:
	s_and_b32 vcc_lo, exec_lo, s3
	s_cbranch_vccz .LBB521_1797
; %bb.1788:
	v_and_b32_e32 v6, 0x7fffffff, v5
	s_mov_b32 s3, exec_lo
                                        ; implicit-def: $vgpr3
	s_delay_alu instid0(VALU_DEP_1)
	v_cmpx_gt_u32_e32 0x43f00000, v6
	s_xor_b32 s3, exec_lo, s3
	s_cbranch_execz .LBB521_1794
; %bb.1789:
	s_mov_b32 s6, exec_lo
                                        ; implicit-def: $vgpr3
	v_cmpx_lt_u32_e32 0x3c7fffff, v6
	s_xor_b32 s6, exec_lo, s6
; %bb.1790:
	v_bfe_u32 v3, v5, 20, 1
	s_delay_alu instid0(VALU_DEP_1) | instskip(NEXT) | instid1(VALU_DEP_1)
	v_add3_u32 v3, v5, v3, 0x407ffff
	v_and_b32_e32 v6, 0xff00000, v3
	v_lshrrev_b32_e32 v3, 20, v3
	s_delay_alu instid0(VALU_DEP_2) | instskip(NEXT) | instid1(VALU_DEP_2)
	v_cmp_ne_u32_e32 vcc_lo, 0x7f00000, v6
	v_cndmask_b32_e32 v3, 0x7e, v3, vcc_lo
; %bb.1791:
	s_and_not1_saveexec_b32 s6, s6
; %bb.1792:
	v_add_f32_e64 v3, 0x46800000, |v5|
; %bb.1793:
	s_or_b32 exec_lo, exec_lo, s6
                                        ; implicit-def: $vgpr6
.LBB521_1794:
	s_and_not1_saveexec_b32 s3, s3
; %bb.1795:
	v_mov_b32_e32 v3, 0x7f
	v_cmp_lt_u32_e32 vcc_lo, 0x7f800000, v6
	s_delay_alu instid0(VALU_DEP_2)
	v_cndmask_b32_e32 v3, 0x7e, v3, vcc_lo
; %bb.1796:
	s_or_b32 exec_lo, exec_lo, s3
	v_lshrrev_b32_e32 v6, 24, v5
	s_delay_alu instid0(VALU_DEP_1)
	v_and_or_b32 v3, 0x80, v6, v3
	global_store_b8 v[10:11], v3, off
.LBB521_1797:
	s_mov_b32 s3, 0
.LBB521_1798:
	s_delay_alu instid0(SALU_CYCLE_1)
	s_and_not1_b32 vcc_lo, exec_lo, s3
	s_cbranch_vccnz .LBB521_1808
; %bb.1799:
	v_and_b32_e32 v6, 0x7fffffff, v5
	s_mov_b32 s3, exec_lo
                                        ; implicit-def: $vgpr3
	s_delay_alu instid0(VALU_DEP_1)
	v_cmpx_gt_u32_e32 0x47800000, v6
	s_xor_b32 s3, exec_lo, s3
	s_cbranch_execz .LBB521_1805
; %bb.1800:
	s_mov_b32 s6, exec_lo
                                        ; implicit-def: $vgpr3
	v_cmpx_lt_u32_e32 0x387fffff, v6
	s_xor_b32 s6, exec_lo, s6
; %bb.1801:
	v_bfe_u32 v3, v5, 21, 1
	s_delay_alu instid0(VALU_DEP_1) | instskip(NEXT) | instid1(VALU_DEP_1)
	v_add3_u32 v3, v5, v3, 0x80fffff
	v_lshrrev_b32_e32 v3, 21, v3
; %bb.1802:
	s_and_not1_saveexec_b32 s6, s6
; %bb.1803:
	v_add_f32_e64 v3, 0x43000000, |v5|
; %bb.1804:
	s_or_b32 exec_lo, exec_lo, s6
                                        ; implicit-def: $vgpr6
.LBB521_1805:
	s_and_not1_saveexec_b32 s3, s3
; %bb.1806:
	v_mov_b32_e32 v3, 0x7f
	v_cmp_lt_u32_e32 vcc_lo, 0x7f800000, v6
	s_delay_alu instid0(VALU_DEP_2)
	v_cndmask_b32_e32 v3, 0x7c, v3, vcc_lo
; %bb.1807:
	s_or_b32 exec_lo, exec_lo, s3
	v_lshrrev_b32_e32 v6, 24, v5
	s_delay_alu instid0(VALU_DEP_1)
	v_and_or_b32 v3, 0x80, v6, v3
	global_store_b8 v[10:11], v3, off
.LBB521_1808:
	s_mov_b32 s3, 0
	s_mov_b32 s6, -1
.LBB521_1809:
	s_and_not1_b32 vcc_lo, exec_lo, s3
	s_mov_b32 s3, 0
	s_cbranch_vccnz .LBB521_1816
; %bb.1810:
	v_cmp_gt_i16_e64 s3, s2, 14
	s_delay_alu instid0(VALU_DEP_1)
	s_and_b32 vcc_lo, exec_lo, s3
	s_mov_b32 s3, -1
	s_cbranch_vccz .LBB521_1814
; %bb.1811:
	v_cmp_eq_u16_e64 s0, s2, 15
	s_delay_alu instid0(VALU_DEP_1)
	s_and_b32 vcc_lo, exec_lo, s0
	s_mov_b32 s0, -1
	s_cbranch_vccz .LBB521_1813
; %bb.1812:
	v_bfe_u32 v3, v5, 16, 1
	v_cmp_o_f32_e32 vcc_lo, v5, v5
	s_mov_b32 s0, 0
	s_mov_b32 s6, -1
	s_delay_alu instid0(VALU_DEP_2) | instskip(NEXT) | instid1(VALU_DEP_1)
	v_add3_u32 v3, v5, v3, 0x7fff
	v_lshrrev_b32_e32 v3, 16, v3
	s_delay_alu instid0(VALU_DEP_1)
	v_cndmask_b32_e32 v3, 0x7fc0, v3, vcc_lo
	global_store_b16 v[10:11], v3, off
.LBB521_1813:
	s_mov_b32 s3, 0
.LBB521_1814:
	s_delay_alu instid0(SALU_CYCLE_1)
	s_and_b32 vcc_lo, exec_lo, s3
	s_mov_b32 s3, 0
	s_cbranch_vccz .LBB521_1816
; %bb.1815:
	v_cmp_ne_u16_e64 s0, s2, 11
	s_mov_b32 s3, -1
.LBB521_1816:
	s_delay_alu instid0(VALU_DEP_1)
	s_and_b32 vcc_lo, exec_lo, s0
	s_cbranch_vccnz .LBB521_1873
; %bb.1817:
	s_and_not1_b32 vcc_lo, exec_lo, s3
	s_cbranch_vccnz .LBB521_1819
.LBB521_1818:
	v_cmp_neq_f32_e32 vcc_lo, 0, v5
	s_mov_b32 s6, -1
	v_cndmask_b32_e64 v3, 0, 1, vcc_lo
	global_store_b8 v[10:11], v3, off
.LBB521_1819:
	s_mov_b32 s0, 0
.LBB521_1820:
	s_delay_alu instid0(SALU_CYCLE_1)
	s_and_b32 vcc_lo, exec_lo, s0
	s_cbranch_vccz .LBB521_1859
; %bb.1821:
	v_cmp_lt_i16_e64 s0, s2, 5
	s_delay_alu instid0(VALU_DEP_1)
	s_and_b32 vcc_lo, exec_lo, s0
	s_mov_b32 s0, -1
	s_cbranch_vccnz .LBB521_1842
; %bb.1822:
	v_cmp_lt_i16_e64 s0, s2, 8
	s_delay_alu instid0(VALU_DEP_1)
	s_and_b32 vcc_lo, exec_lo, s0
	s_mov_b32 s0, -1
	s_cbranch_vccnz .LBB521_1832
	;; [unrolled: 6-line block ×3, first 2 shown]
; %bb.1824:
	v_cmp_gt_i16_e64 s0, s2, 9
	s_delay_alu instid0(VALU_DEP_1)
	s_and_b32 vcc_lo, exec_lo, s0
	s_mov_b32 s0, -1
	s_cbranch_vccz .LBB521_1826
; %bb.1825:
	v_cvt_f64_f32_e32 v[12:13], v5
	v_mov_b32_e32 v14, 0
	s_mov_b32 s0, 0
	s_delay_alu instid0(VALU_DEP_1)
	v_mov_b32_e32 v15, v14
	global_store_b128 v[10:11], v[12:15], off
.LBB521_1826:
	s_and_not1_b32 vcc_lo, exec_lo, s0
	s_cbranch_vccnz .LBB521_1828
; %bb.1827:
	v_mov_b32_e32 v6, 0
	global_store_b64 v[10:11], v[5:6], off
.LBB521_1828:
	s_mov_b32 s0, 0
.LBB521_1829:
	s_delay_alu instid0(SALU_CYCLE_1)
	s_and_not1_b32 vcc_lo, exec_lo, s0
	s_cbranch_vccnz .LBB521_1831
; %bb.1830:
	v_cvt_f16_f32_e32 v3, v5
	s_delay_alu instid0(VALU_DEP_1)
	v_and_b32_e32 v3, 0xffff, v3
	global_store_b32 v[10:11], v3, off
.LBB521_1831:
	s_mov_b32 s0, 0
.LBB521_1832:
	s_delay_alu instid0(SALU_CYCLE_1)
	s_and_not1_b32 vcc_lo, exec_lo, s0
	s_cbranch_vccnz .LBB521_1841
; %bb.1833:
	v_cmp_lt_i16_e64 s0, s2, 6
	s_delay_alu instid0(VALU_DEP_1)
	s_and_b32 vcc_lo, exec_lo, s0
	s_mov_b32 s0, -1
	s_cbranch_vccnz .LBB521_1839
; %bb.1834:
	v_cmp_gt_i16_e64 s0, s2, 6
	s_delay_alu instid0(VALU_DEP_1)
	s_and_b32 vcc_lo, exec_lo, s0
	s_mov_b32 s0, -1
	s_cbranch_vccz .LBB521_1836
; %bb.1835:
	v_cvt_f64_f32_e32 v[12:13], v5
	s_mov_b32 s0, 0
	global_store_b64 v[10:11], v[12:13], off
.LBB521_1836:
	s_and_not1_b32 vcc_lo, exec_lo, s0
	s_cbranch_vccnz .LBB521_1838
; %bb.1837:
	global_store_b32 v[10:11], v5, off
.LBB521_1838:
	s_mov_b32 s0, 0
.LBB521_1839:
	s_delay_alu instid0(SALU_CYCLE_1)
	s_and_not1_b32 vcc_lo, exec_lo, s0
	s_cbranch_vccnz .LBB521_1841
; %bb.1840:
	v_cvt_f16_f32_e32 v3, v5
	global_store_b16 v[10:11], v3, off
.LBB521_1841:
	s_mov_b32 s0, 0
.LBB521_1842:
	s_delay_alu instid0(SALU_CYCLE_1)
	s_and_not1_b32 vcc_lo, exec_lo, s0
	s_cbranch_vccnz .LBB521_1858
; %bb.1843:
	v_cmp_lt_i16_e64 s0, s2, 2
	s_delay_alu instid0(VALU_DEP_1)
	s_and_b32 vcc_lo, exec_lo, s0
	s_mov_b32 s0, -1
	s_cbranch_vccnz .LBB521_1853
; %bb.1844:
	v_cmp_lt_i16_e64 s0, s2, 3
	s_delay_alu instid0(VALU_DEP_1)
	s_and_b32 vcc_lo, exec_lo, s0
	s_mov_b32 s0, -1
	s_cbranch_vccnz .LBB521_1850
; %bb.1845:
	v_cmp_gt_i16_e64 s0, s2, 3
	s_delay_alu instid0(VALU_DEP_1)
	s_and_b32 vcc_lo, exec_lo, s0
	s_mov_b32 s0, -1
	s_cbranch_vccz .LBB521_1847
; %bb.1846:
	v_trunc_f32_e32 v3, v5
	s_mov_b32 s0, 0
	s_delay_alu instid0(VALU_DEP_1) | instskip(NEXT) | instid1(VALU_DEP_1)
	v_mul_f32_e64 v6, 0x2f800000, |v3|
	v_floor_f32_e32 v6, v6
	s_delay_alu instid0(VALU_DEP_1) | instskip(SKIP_2) | instid1(VALU_DEP_3)
	v_fma_f32 v8, 0xcf800000, v6, |v3|
	v_ashrrev_i32_e32 v3, 31, v3
	v_cvt_u32_f32_e32 v6, v6
	v_cvt_u32_f32_e32 v8, v8
	s_delay_alu instid0(VALU_DEP_2) | instskip(NEXT) | instid1(VALU_DEP_2)
	v_xor_b32_e32 v6, v6, v3
	v_xor_b32_e32 v8, v8, v3
	s_delay_alu instid0(VALU_DEP_1) | instskip(NEXT) | instid1(VALU_DEP_3)
	v_sub_co_u32 v12, vcc_lo, v8, v3
	v_sub_co_ci_u32_e32 v13, vcc_lo, v6, v3, vcc_lo
	global_store_b64 v[10:11], v[12:13], off
.LBB521_1847:
	s_and_not1_b32 vcc_lo, exec_lo, s0
	s_cbranch_vccnz .LBB521_1849
; %bb.1848:
	v_cvt_i32_f32_e32 v3, v5
	global_store_b32 v[10:11], v3, off
.LBB521_1849:
	s_mov_b32 s0, 0
.LBB521_1850:
	s_delay_alu instid0(SALU_CYCLE_1)
	s_and_not1_b32 vcc_lo, exec_lo, s0
	s_cbranch_vccnz .LBB521_1852
; %bb.1851:
	v_cvt_i32_f32_e32 v3, v5
	global_store_b16 v[10:11], v3, off
.LBB521_1852:
	s_mov_b32 s0, 0
.LBB521_1853:
	s_delay_alu instid0(SALU_CYCLE_1)
	s_and_not1_b32 vcc_lo, exec_lo, s0
	s_cbranch_vccnz .LBB521_1858
; %bb.1854:
	v_cmp_gt_i16_e64 s0, s2, 0
	s_delay_alu instid0(VALU_DEP_1)
	s_and_b32 vcc_lo, exec_lo, s0
	s_mov_b32 s0, -1
	s_cbranch_vccz .LBB521_1856
; %bb.1855:
	v_cvt_i32_f32_e32 v3, v5
	s_mov_b32 s0, 0
	global_store_b8 v[10:11], v3, off
.LBB521_1856:
	s_and_not1_b32 vcc_lo, exec_lo, s0
	s_cbranch_vccnz .LBB521_1858
; %bb.1857:
	v_trunc_f32_e32 v3, v5
	s_delay_alu instid0(VALU_DEP_1) | instskip(NEXT) | instid1(VALU_DEP_1)
	v_mul_f32_e64 v5, 0x2f800000, |v3|
	v_floor_f32_e32 v5, v5
	s_delay_alu instid0(VALU_DEP_1) | instskip(SKIP_1) | instid1(VALU_DEP_2)
	v_fma_f32 v5, 0xcf800000, v5, |v3|
	v_ashrrev_i32_e32 v3, 31, v3
	v_cvt_u32_f32_e32 v5, v5
	s_delay_alu instid0(VALU_DEP_1) | instskip(NEXT) | instid1(VALU_DEP_1)
	v_xor_b32_e32 v5, v5, v3
	v_sub_nc_u32_e32 v3, v5, v3
	global_store_b8 v[10:11], v3, off
.LBB521_1858:
	s_mov_b32 s6, -1
.LBB521_1859:
	s_delay_alu instid0(SALU_CYCLE_1)
	s_and_not1_b32 vcc_lo, exec_lo, s6
	s_cbranch_vccnz .LBB521_2126
; %bb.1860:
	v_cmp_lt_i16_e64 s0, s2, 11
	v_add_co_u32 v2, s3, s4, v2
	s_delay_alu instid0(VALU_DEP_1) | instskip(SKIP_1) | instid1(VALU_DEP_3)
	v_add_co_ci_u32_e64 v3, null, s5, 0, s3
	s_mov_b32 s6, 0
	s_and_b32 vcc_lo, exec_lo, s0
	s_mov_b32 s0, -1
	s_cbranch_vccnz .LBB521_1949
; %bb.1861:
	v_cmp_gt_i16_e64 s0, s2, 25
	s_mov_b32 s7, -1
	s_mov_b32 s3, 0
	s_delay_alu instid0(VALU_DEP_1)
	s_and_b32 vcc_lo, exec_lo, s0
	s_mov_b32 s0, 0
	s_cbranch_vccz .LBB521_1905
; %bb.1862:
	v_cmp_gt_i16_e64 s0, s2, 28
	s_delay_alu instid0(VALU_DEP_1)
	s_and_b32 vcc_lo, exec_lo, s0
	s_cbranch_vccz .LBB521_1867
; %bb.1863:
	v_cmp_gt_i16_e64 s0, s2, 43
	s_delay_alu instid0(VALU_DEP_1)
	s_and_b32 vcc_lo, exec_lo, s0
	;; [unrolled: 5-line block ×3, first 2 shown]
	s_cbranch_vccz .LBB521_1877
; %bb.1865:
	v_cmp_eq_u16_e64 s6, s2, 46
	s_mov_b32 s0, -1
	s_mov_b32 s7, 0
	s_delay_alu instid0(VALU_DEP_1)
	s_and_b32 vcc_lo, exec_lo, s6
	s_mov_b32 s6, 0
	s_cbranch_vccz .LBB521_1878
; %bb.1866:
	v_bfe_u32 v5, v7, 16, 1
	v_cmp_o_f32_e32 vcc_lo, v7, v7
	s_mov_b32 s0, 0
	s_mov_b32 s6, -1
	s_delay_alu instid0(VALU_DEP_2) | instskip(NEXT) | instid1(VALU_DEP_1)
	v_add3_u32 v5, v7, v5, 0x7fff
	v_lshrrev_b32_e32 v5, 16, v5
	s_delay_alu instid0(VALU_DEP_1)
	v_cndmask_b32_e32 v5, 0x7fc0, v5, vcc_lo
	global_store_b32 v[2:3], v5, off
	s_branch .LBB521_1878
.LBB521_1867:
	s_mov_b32 s0, 0
	s_branch .LBB521_1888
.LBB521_1868:
	s_or_saveexec_b32 s10, s10
                                        ; implicit-def: $sgpr11
	s_delay_alu instid0(SALU_CYCLE_1)
	s_xor_b32 exec_lo, exec_lo, s10
	s_cbranch_execz .LBB521_1770
.LBB521_1869:
	v_add_f32_e64 v3, 0x46000000, |v5|
	s_and_not1_b32 s7, s7, exec_lo
	s_mov_b32 s11, 0
	s_delay_alu instid0(VALU_DEP_1) | instskip(NEXT) | instid1(VALU_DEP_1)
	v_and_b32_e32 v3, 0xff, v3
	v_cmp_ne_u32_e32 vcc_lo, 0, v3
	s_and_b32 s12, vcc_lo, exec_lo
	s_delay_alu instid0(SALU_CYCLE_1)
	s_or_b32 s7, s7, s12
	s_or_b32 exec_lo, exec_lo, s10
	v_mov_b32_e32 v6, s11
	s_and_saveexec_b32 s10, s7
	s_cbranch_execnz .LBB521_1771
	s_branch .LBB521_1772
.LBB521_1870:
	s_mov_b32 s0, 0
	s_branch .LBB521_1884
.LBB521_1871:
	s_trap 2
	s_sendmsg_rtn_b32 s0, sendmsg(MSG_RTN_GET_DOORBELL)
	s_mov_b32 ttmp2, m0
	s_waitcnt lgkmcnt(0)
	s_and_b32 s0, s0, 0x3ff
	s_delay_alu instid0(SALU_CYCLE_1) | instskip(NEXT) | instid1(SALU_CYCLE_1)
	s_bitset1_b32 s0, 10
	s_mov_b32 m0, s0
	s_sendmsg sendmsg(MSG_INTERRUPT)
	s_mov_b32 m0, ttmp2
.LBB521_1872:                           ; =>This Inner Loop Header: Depth=1
	s_sethalt 5
	s_branch .LBB521_1872
.LBB521_1873:
	s_cbranch_execnz .LBB521_2000
; %bb.1874:
	s_or_b32 s1, s1, exec_lo
	s_cbranch_execz .LBB521_1818
	s_branch .LBB521_1819
.LBB521_1875:
	s_or_saveexec_b32 s7, s7
                                        ; implicit-def: $sgpr10
	s_delay_alu instid0(SALU_CYCLE_1)
	s_xor_b32 exec_lo, exec_lo, s7
	s_cbranch_execz .LBB521_1783
.LBB521_1876:
	v_add_f32_e64 v3, 0x42800000, |v5|
	s_and_not1_b32 s6, s6, exec_lo
	s_mov_b32 s10, 0
	s_delay_alu instid0(VALU_DEP_1) | instskip(NEXT) | instid1(VALU_DEP_1)
	v_and_b32_e32 v3, 0xff, v3
	v_cmp_ne_u32_e32 vcc_lo, 0, v3
	s_and_b32 s11, vcc_lo, exec_lo
	s_delay_alu instid0(SALU_CYCLE_1)
	s_or_b32 s6, s6, s11
	s_or_b32 exec_lo, exec_lo, s7
	v_mov_b32_e32 v6, s10
	s_and_saveexec_b32 s7, s6
	s_cbranch_execnz .LBB521_1784
	s_branch .LBB521_1785
.LBB521_1877:
	s_mov_b32 s0, 0
.LBB521_1878:
	s_and_b32 vcc_lo, exec_lo, s7
	s_cbranch_vccz .LBB521_1883
; %bb.1879:
	v_cmp_eq_u16_e64 s0, s2, 44
	s_delay_alu instid0(VALU_DEP_1)
	s_and_b32 vcc_lo, exec_lo, s0
	s_mov_b32 s0, -1
	s_cbranch_vccz .LBB521_1883
; %bb.1880:
	v_bfe_u32 v6, v7, 23, 8
	v_mov_b32_e32 v5, 0xff
	s_mov_b32 s6, exec_lo
	s_delay_alu instid0(VALU_DEP_2)
	v_cmpx_ne_u32_e32 0xff, v6
; %bb.1881:
	v_and_b32_e32 v5, 0x400000, v7
	v_and_or_b32 v6, 0x3fffff, v7, v6
	s_delay_alu instid0(VALU_DEP_2) | instskip(NEXT) | instid1(VALU_DEP_2)
	v_cmp_ne_u32_e32 vcc_lo, 0, v5
	v_cmp_ne_u32_e64 s0, 0, v6
	v_lshrrev_b32_e32 v5, 23, v7
	s_delay_alu instid0(VALU_DEP_2) | instskip(NEXT) | instid1(SALU_CYCLE_1)
	s_and_b32 s0, vcc_lo, s0
	v_cndmask_b32_e64 v6, 0, 1, s0
	s_delay_alu instid0(VALU_DEP_1)
	v_add_nc_u32_e32 v5, v5, v6
; %bb.1882:
	s_or_b32 exec_lo, exec_lo, s6
	s_mov_b32 s0, 0
	s_mov_b32 s6, -1
	global_store_b8 v[2:3], v5, off
.LBB521_1883:
	s_mov_b32 s7, 0
.LBB521_1884:
	s_delay_alu instid0(SALU_CYCLE_1)
	s_and_b32 vcc_lo, exec_lo, s7
	s_cbranch_vccz .LBB521_1887
; %bb.1885:
	v_cmp_eq_u16_e64 s0, s2, 29
	s_delay_alu instid0(VALU_DEP_1)
	s_and_b32 vcc_lo, exec_lo, s0
	s_mov_b32 s0, -1
	s_cbranch_vccz .LBB521_1887
; %bb.1886:
	v_trunc_f32_e32 v5, v7
	s_mov_b32 s0, 0
	s_mov_b32 s6, -1
	s_mov_b32 s7, 0
	s_delay_alu instid0(VALU_DEP_1) | instskip(NEXT) | instid1(VALU_DEP_1)
	v_mul_f32_e32 v6, 0x2f800000, v5
	v_floor_f32_e32 v6, v6
	s_delay_alu instid0(VALU_DEP_1) | instskip(SKIP_1) | instid1(VALU_DEP_2)
	v_fmamk_f32 v5, v6, 0xcf800000, v5
	v_cvt_u32_f32_e32 v6, v6
	v_cvt_u32_f32_e32 v5, v5
	global_store_b64 v[2:3], v[5:6], off
	s_branch .LBB521_1888
.LBB521_1887:
	s_mov_b32 s7, 0
.LBB521_1888:
	s_delay_alu instid0(SALU_CYCLE_1)
	s_and_b32 vcc_lo, exec_lo, s7
	s_cbranch_vccz .LBB521_1904
; %bb.1889:
	v_cmp_lt_i16_e64 s6, s2, 27
	s_delay_alu instid0(VALU_DEP_1)
	s_and_b32 vcc_lo, exec_lo, s6
	s_mov_b32 s6, -1
	s_cbranch_vccnz .LBB521_1895
; %bb.1890:
	v_cmp_gt_i16_e64 s6, s2, 27
	v_cvt_u32_f32_e32 v5, v7
	s_delay_alu instid0(VALU_DEP_2)
	s_and_b32 vcc_lo, exec_lo, s6
	s_mov_b32 s6, -1
	s_cbranch_vccz .LBB521_1892
; %bb.1891:
	s_mov_b32 s6, 0
	global_store_b32 v[2:3], v5, off
.LBB521_1892:
	s_and_not1_b32 vcc_lo, exec_lo, s6
	s_cbranch_vccnz .LBB521_1894
; %bb.1893:
	global_store_b16 v[2:3], v5, off
.LBB521_1894:
	s_mov_b32 s6, 0
.LBB521_1895:
	s_delay_alu instid0(SALU_CYCLE_1)
	s_and_not1_b32 vcc_lo, exec_lo, s6
	s_cbranch_vccnz .LBB521_1903
; %bb.1896:
	v_and_b32_e32 v5, 0x7fffffff, v7
	v_mov_b32_e32 v6, 0x80
	s_mov_b32 s6, exec_lo
	s_delay_alu instid0(VALU_DEP_2)
	v_cmpx_gt_u32_e32 0x43800000, v5
	s_cbranch_execz .LBB521_1902
; %bb.1897:
	v_cmp_lt_u32_e32 vcc_lo, 0x3bffffff, v5
	s_mov_b32 s7, 0
                                        ; implicit-def: $vgpr5
	s_and_saveexec_b32 s10, vcc_lo
	s_delay_alu instid0(SALU_CYCLE_1)
	s_xor_b32 s10, exec_lo, s10
	s_cbranch_execz .LBB521_1997
; %bb.1898:
	v_bfe_u32 v5, v7, 20, 1
	s_mov_b32 s7, exec_lo
	s_delay_alu instid0(VALU_DEP_1) | instskip(NEXT) | instid1(VALU_DEP_1)
	v_add3_u32 v5, v7, v5, 0x487ffff
	v_lshrrev_b32_e32 v5, 20, v5
	s_or_saveexec_b32 s10, s10
                                        ; implicit-def: $sgpr11
	s_delay_alu instid0(SALU_CYCLE_1)
	s_xor_b32 exec_lo, exec_lo, s10
	s_cbranch_execnz .LBB521_1998
.LBB521_1899:
	s_or_b32 exec_lo, exec_lo, s10
	v_mov_b32_e32 v6, s11
	s_and_saveexec_b32 s10, s7
.LBB521_1900:
	v_lshrrev_b32_e32 v6, 24, v7
	s_delay_alu instid0(VALU_DEP_1)
	v_and_or_b32 v6, 0x80, v6, v5
.LBB521_1901:
	s_or_b32 exec_lo, exec_lo, s10
.LBB521_1902:
	s_delay_alu instid0(SALU_CYCLE_1)
	s_or_b32 exec_lo, exec_lo, s6
	global_store_b8 v[2:3], v6, off
.LBB521_1903:
	s_mov_b32 s6, -1
.LBB521_1904:
	s_mov_b32 s7, 0
.LBB521_1905:
	s_delay_alu instid0(SALU_CYCLE_1)
	s_and_b32 vcc_lo, exec_lo, s7
	s_cbranch_vccz .LBB521_1945
; %bb.1906:
	v_cmp_gt_i16_e64 s3, s2, 22
	s_delay_alu instid0(VALU_DEP_1)
	s_and_b32 vcc_lo, exec_lo, s3
	s_mov_b32 s3, -1
	s_cbranch_vccz .LBB521_1938
; %bb.1907:
	v_cmp_lt_i16_e64 s3, s2, 24
	s_delay_alu instid0(VALU_DEP_1)
	s_and_b32 vcc_lo, exec_lo, s3
	s_mov_b32 s3, -1
	s_cbranch_vccnz .LBB521_1927
; %bb.1908:
	v_cmp_gt_i16_e64 s3, s2, 24
	s_delay_alu instid0(VALU_DEP_1)
	s_and_b32 vcc_lo, exec_lo, s3
	s_mov_b32 s3, -1
	s_cbranch_vccz .LBB521_1916
; %bb.1909:
	v_and_b32_e32 v5, 0x7fffffff, v7
	v_mov_b32_e32 v6, 0x80
	s_mov_b32 s3, exec_lo
	s_delay_alu instid0(VALU_DEP_2)
	v_cmpx_gt_u32_e32 0x47800000, v5
	s_cbranch_execz .LBB521_1915
; %bb.1910:
	v_cmp_lt_u32_e32 vcc_lo, 0x37ffffff, v5
	s_mov_b32 s6, 0
                                        ; implicit-def: $vgpr5
	s_and_saveexec_b32 s7, vcc_lo
	s_delay_alu instid0(SALU_CYCLE_1)
	s_xor_b32 s7, exec_lo, s7
	s_cbranch_execz .LBB521_2004
; %bb.1911:
	v_bfe_u32 v5, v7, 21, 1
	s_mov_b32 s6, exec_lo
	s_delay_alu instid0(VALU_DEP_1) | instskip(NEXT) | instid1(VALU_DEP_1)
	v_add3_u32 v5, v7, v5, 0x88fffff
	v_lshrrev_b32_e32 v5, 21, v5
	s_or_saveexec_b32 s7, s7
                                        ; implicit-def: $sgpr10
	s_delay_alu instid0(SALU_CYCLE_1)
	s_xor_b32 exec_lo, exec_lo, s7
	s_cbranch_execnz .LBB521_2005
.LBB521_1912:
	s_or_b32 exec_lo, exec_lo, s7
	v_mov_b32_e32 v6, s10
	s_and_saveexec_b32 s7, s6
.LBB521_1913:
	v_lshrrev_b32_e32 v6, 24, v7
	s_delay_alu instid0(VALU_DEP_1)
	v_and_or_b32 v6, 0x80, v6, v5
.LBB521_1914:
	s_or_b32 exec_lo, exec_lo, s7
.LBB521_1915:
	s_delay_alu instid0(SALU_CYCLE_1)
	s_or_b32 exec_lo, exec_lo, s3
	s_mov_b32 s3, 0
	global_store_b8 v[2:3], v6, off
.LBB521_1916:
	s_and_b32 vcc_lo, exec_lo, s3
	s_cbranch_vccz .LBB521_1926
; %bb.1917:
	v_and_b32_e32 v6, 0x7fffffff, v7
	s_mov_b32 s3, exec_lo
                                        ; implicit-def: $vgpr5
	s_delay_alu instid0(VALU_DEP_1)
	v_cmpx_gt_u32_e32 0x43f00000, v6
	s_xor_b32 s3, exec_lo, s3
	s_cbranch_execz .LBB521_1923
; %bb.1918:
	s_mov_b32 s6, exec_lo
                                        ; implicit-def: $vgpr5
	v_cmpx_lt_u32_e32 0x3c7fffff, v6
	s_xor_b32 s6, exec_lo, s6
; %bb.1919:
	v_bfe_u32 v5, v7, 20, 1
	s_delay_alu instid0(VALU_DEP_1) | instskip(NEXT) | instid1(VALU_DEP_1)
	v_add3_u32 v5, v7, v5, 0x407ffff
	v_and_b32_e32 v6, 0xff00000, v5
	v_lshrrev_b32_e32 v5, 20, v5
	s_delay_alu instid0(VALU_DEP_2) | instskip(NEXT) | instid1(VALU_DEP_2)
	v_cmp_ne_u32_e32 vcc_lo, 0x7f00000, v6
	v_cndmask_b32_e32 v5, 0x7e, v5, vcc_lo
; %bb.1920:
	s_and_not1_saveexec_b32 s6, s6
; %bb.1921:
	v_add_f32_e64 v5, 0x46800000, |v7|
; %bb.1922:
	s_or_b32 exec_lo, exec_lo, s6
                                        ; implicit-def: $vgpr6
.LBB521_1923:
	s_and_not1_saveexec_b32 s3, s3
; %bb.1924:
	v_mov_b32_e32 v5, 0x7f
	v_cmp_lt_u32_e32 vcc_lo, 0x7f800000, v6
	s_delay_alu instid0(VALU_DEP_2)
	v_cndmask_b32_e32 v5, 0x7e, v5, vcc_lo
; %bb.1925:
	s_or_b32 exec_lo, exec_lo, s3
	v_lshrrev_b32_e32 v6, 24, v7
	s_delay_alu instid0(VALU_DEP_1)
	v_and_or_b32 v5, 0x80, v6, v5
	global_store_b8 v[2:3], v5, off
.LBB521_1926:
	s_mov_b32 s3, 0
.LBB521_1927:
	s_delay_alu instid0(SALU_CYCLE_1)
	s_and_not1_b32 vcc_lo, exec_lo, s3
	s_cbranch_vccnz .LBB521_1937
; %bb.1928:
	v_and_b32_e32 v6, 0x7fffffff, v7
	s_mov_b32 s3, exec_lo
                                        ; implicit-def: $vgpr5
	s_delay_alu instid0(VALU_DEP_1)
	v_cmpx_gt_u32_e32 0x47800000, v6
	s_xor_b32 s3, exec_lo, s3
	s_cbranch_execz .LBB521_1934
; %bb.1929:
	s_mov_b32 s6, exec_lo
                                        ; implicit-def: $vgpr5
	v_cmpx_lt_u32_e32 0x387fffff, v6
	s_xor_b32 s6, exec_lo, s6
; %bb.1930:
	v_bfe_u32 v5, v7, 21, 1
	s_delay_alu instid0(VALU_DEP_1) | instskip(NEXT) | instid1(VALU_DEP_1)
	v_add3_u32 v5, v7, v5, 0x80fffff
	v_lshrrev_b32_e32 v5, 21, v5
; %bb.1931:
	s_and_not1_saveexec_b32 s6, s6
; %bb.1932:
	v_add_f32_e64 v5, 0x43000000, |v7|
; %bb.1933:
	s_or_b32 exec_lo, exec_lo, s6
                                        ; implicit-def: $vgpr6
.LBB521_1934:
	s_and_not1_saveexec_b32 s3, s3
; %bb.1935:
	v_mov_b32_e32 v5, 0x7f
	v_cmp_lt_u32_e32 vcc_lo, 0x7f800000, v6
	s_delay_alu instid0(VALU_DEP_2)
	v_cndmask_b32_e32 v5, 0x7c, v5, vcc_lo
; %bb.1936:
	s_or_b32 exec_lo, exec_lo, s3
	v_lshrrev_b32_e32 v6, 24, v7
	s_delay_alu instid0(VALU_DEP_1)
	v_and_or_b32 v5, 0x80, v6, v5
	global_store_b8 v[2:3], v5, off
.LBB521_1937:
	s_mov_b32 s3, 0
	s_mov_b32 s6, -1
.LBB521_1938:
	s_and_not1_b32 vcc_lo, exec_lo, s3
	s_mov_b32 s3, 0
	s_cbranch_vccnz .LBB521_1945
; %bb.1939:
	v_cmp_gt_i16_e64 s3, s2, 14
	s_delay_alu instid0(VALU_DEP_1)
	s_and_b32 vcc_lo, exec_lo, s3
	s_mov_b32 s3, -1
	s_cbranch_vccz .LBB521_1943
; %bb.1940:
	v_cmp_eq_u16_e64 s0, s2, 15
	s_delay_alu instid0(VALU_DEP_1)
	s_and_b32 vcc_lo, exec_lo, s0
	s_mov_b32 s0, -1
	s_cbranch_vccz .LBB521_1942
; %bb.1941:
	v_bfe_u32 v5, v7, 16, 1
	v_cmp_o_f32_e32 vcc_lo, v7, v7
	s_mov_b32 s0, 0
	s_mov_b32 s6, -1
	s_delay_alu instid0(VALU_DEP_2) | instskip(NEXT) | instid1(VALU_DEP_1)
	v_add3_u32 v5, v7, v5, 0x7fff
	v_lshrrev_b32_e32 v5, 16, v5
	s_delay_alu instid0(VALU_DEP_1)
	v_cndmask_b32_e32 v5, 0x7fc0, v5, vcc_lo
	global_store_b16 v[2:3], v5, off
.LBB521_1942:
	s_mov_b32 s3, 0
.LBB521_1943:
	s_delay_alu instid0(SALU_CYCLE_1)
	s_and_b32 vcc_lo, exec_lo, s3
	s_mov_b32 s3, 0
	s_cbranch_vccz .LBB521_1945
; %bb.1944:
	v_cmp_ne_u16_e64 s0, s2, 11
	s_mov_b32 s3, -1
.LBB521_1945:
	s_delay_alu instid0(VALU_DEP_1)
	s_and_b32 vcc_lo, exec_lo, s0
	s_cbranch_vccnz .LBB521_2002
; %bb.1946:
	s_and_not1_b32 vcc_lo, exec_lo, s3
	s_cbranch_vccnz .LBB521_1948
.LBB521_1947:
	v_cmp_neq_f32_e32 vcc_lo, 0, v7
	s_mov_b32 s6, -1
	v_cndmask_b32_e64 v5, 0, 1, vcc_lo
	global_store_b8 v[2:3], v5, off
.LBB521_1948:
	s_mov_b32 s0, 0
.LBB521_1949:
	s_delay_alu instid0(SALU_CYCLE_1)
	s_and_b32 vcc_lo, exec_lo, s0
	s_cbranch_vccz .LBB521_1988
; %bb.1950:
	v_cmp_lt_i16_e64 s0, s2, 5
	s_delay_alu instid0(VALU_DEP_1)
	s_and_b32 vcc_lo, exec_lo, s0
	s_mov_b32 s0, -1
	s_cbranch_vccnz .LBB521_1971
; %bb.1951:
	v_cmp_lt_i16_e64 s0, s2, 8
	s_delay_alu instid0(VALU_DEP_1)
	s_and_b32 vcc_lo, exec_lo, s0
	s_mov_b32 s0, -1
	s_cbranch_vccnz .LBB521_1961
	;; [unrolled: 6-line block ×3, first 2 shown]
; %bb.1953:
	v_cmp_gt_i16_e64 s0, s2, 9
	s_delay_alu instid0(VALU_DEP_1)
	s_and_b32 vcc_lo, exec_lo, s0
	s_mov_b32 s0, -1
	s_cbranch_vccz .LBB521_1955
; %bb.1954:
	v_cvt_f64_f32_e32 v[10:11], v7
	v_mov_b32_e32 v12, 0
	s_mov_b32 s0, 0
	s_delay_alu instid0(VALU_DEP_1)
	v_mov_b32_e32 v13, v12
	global_store_b128 v[2:3], v[10:13], off
.LBB521_1955:
	s_and_not1_b32 vcc_lo, exec_lo, s0
	s_cbranch_vccnz .LBB521_1957
; %bb.1956:
	v_mov_b32_e32 v8, 0
	global_store_b64 v[2:3], v[7:8], off
.LBB521_1957:
	s_mov_b32 s0, 0
.LBB521_1958:
	s_delay_alu instid0(SALU_CYCLE_1)
	s_and_not1_b32 vcc_lo, exec_lo, s0
	s_cbranch_vccnz .LBB521_1960
; %bb.1959:
	v_cvt_f16_f32_e32 v5, v7
	s_delay_alu instid0(VALU_DEP_1)
	v_and_b32_e32 v5, 0xffff, v5
	global_store_b32 v[2:3], v5, off
.LBB521_1960:
	s_mov_b32 s0, 0
.LBB521_1961:
	s_delay_alu instid0(SALU_CYCLE_1)
	s_and_not1_b32 vcc_lo, exec_lo, s0
	s_cbranch_vccnz .LBB521_1970
; %bb.1962:
	v_cmp_lt_i16_e64 s0, s2, 6
	s_delay_alu instid0(VALU_DEP_1)
	s_and_b32 vcc_lo, exec_lo, s0
	s_mov_b32 s0, -1
	s_cbranch_vccnz .LBB521_1968
; %bb.1963:
	v_cmp_gt_i16_e64 s0, s2, 6
	s_delay_alu instid0(VALU_DEP_1)
	s_and_b32 vcc_lo, exec_lo, s0
	s_mov_b32 s0, -1
	s_cbranch_vccz .LBB521_1965
; %bb.1964:
	v_cvt_f64_f32_e32 v[5:6], v7
	s_mov_b32 s0, 0
	global_store_b64 v[2:3], v[5:6], off
.LBB521_1965:
	s_and_not1_b32 vcc_lo, exec_lo, s0
	s_cbranch_vccnz .LBB521_1967
; %bb.1966:
	global_store_b32 v[2:3], v7, off
.LBB521_1967:
	s_mov_b32 s0, 0
.LBB521_1968:
	s_delay_alu instid0(SALU_CYCLE_1)
	s_and_not1_b32 vcc_lo, exec_lo, s0
	s_cbranch_vccnz .LBB521_1970
; %bb.1969:
	v_cvt_f16_f32_e32 v5, v7
	global_store_b16 v[2:3], v5, off
.LBB521_1970:
	s_mov_b32 s0, 0
.LBB521_1971:
	s_delay_alu instid0(SALU_CYCLE_1)
	s_and_not1_b32 vcc_lo, exec_lo, s0
	s_cbranch_vccnz .LBB521_1987
; %bb.1972:
	v_cmp_lt_i16_e64 s0, s2, 2
	s_delay_alu instid0(VALU_DEP_1)
	s_and_b32 vcc_lo, exec_lo, s0
	s_mov_b32 s0, -1
	s_cbranch_vccnz .LBB521_1982
; %bb.1973:
	v_cmp_lt_i16_e64 s0, s2, 3
	s_delay_alu instid0(VALU_DEP_1)
	s_and_b32 vcc_lo, exec_lo, s0
	s_mov_b32 s0, -1
	s_cbranch_vccnz .LBB521_1979
; %bb.1974:
	v_cmp_gt_i16_e64 s0, s2, 3
	s_delay_alu instid0(VALU_DEP_1)
	s_and_b32 vcc_lo, exec_lo, s0
	s_mov_b32 s0, -1
	s_cbranch_vccz .LBB521_1976
; %bb.1975:
	v_trunc_f32_e32 v5, v7
	s_mov_b32 s0, 0
	s_delay_alu instid0(VALU_DEP_1) | instskip(SKIP_1) | instid1(VALU_DEP_2)
	v_mul_f32_e64 v6, 0x2f800000, |v5|
	v_ashrrev_i32_e32 v10, 31, v5
	v_floor_f32_e32 v6, v6
	s_delay_alu instid0(VALU_DEP_1) | instskip(SKIP_1) | instid1(VALU_DEP_2)
	v_fma_f32 v8, 0xcf800000, v6, |v5|
	v_cvt_u32_f32_e32 v6, v6
	v_cvt_u32_f32_e32 v5, v8
	s_delay_alu instid0(VALU_DEP_2) | instskip(NEXT) | instid1(VALU_DEP_2)
	v_xor_b32_e32 v6, v6, v10
	v_xor_b32_e32 v5, v5, v10
	s_delay_alu instid0(VALU_DEP_1) | instskip(NEXT) | instid1(VALU_DEP_3)
	v_sub_co_u32 v5, vcc_lo, v5, v10
	v_sub_co_ci_u32_e32 v6, vcc_lo, v6, v10, vcc_lo
	global_store_b64 v[2:3], v[5:6], off
.LBB521_1976:
	s_and_not1_b32 vcc_lo, exec_lo, s0
	s_cbranch_vccnz .LBB521_1978
; %bb.1977:
	v_cvt_i32_f32_e32 v5, v7
	global_store_b32 v[2:3], v5, off
.LBB521_1978:
	s_mov_b32 s0, 0
.LBB521_1979:
	s_delay_alu instid0(SALU_CYCLE_1)
	s_and_not1_b32 vcc_lo, exec_lo, s0
	s_cbranch_vccnz .LBB521_1981
; %bb.1980:
	v_cvt_i32_f32_e32 v5, v7
	global_store_b16 v[2:3], v5, off
.LBB521_1981:
	s_mov_b32 s0, 0
.LBB521_1982:
	s_delay_alu instid0(SALU_CYCLE_1)
	s_and_not1_b32 vcc_lo, exec_lo, s0
	s_cbranch_vccnz .LBB521_1987
; %bb.1983:
	v_cmp_gt_i16_e64 s0, s2, 0
	s_delay_alu instid0(VALU_DEP_1)
	s_and_b32 vcc_lo, exec_lo, s0
	s_mov_b32 s0, -1
	s_cbranch_vccz .LBB521_1985
; %bb.1984:
	v_cvt_i32_f32_e32 v5, v7
	s_mov_b32 s0, 0
	global_store_b8 v[2:3], v5, off
.LBB521_1985:
	s_and_not1_b32 vcc_lo, exec_lo, s0
	s_cbranch_vccnz .LBB521_1987
; %bb.1986:
	v_trunc_f32_e32 v5, v7
	s_delay_alu instid0(VALU_DEP_1) | instskip(NEXT) | instid1(VALU_DEP_1)
	v_mul_f32_e64 v6, 0x2f800000, |v5|
	v_floor_f32_e32 v6, v6
	s_delay_alu instid0(VALU_DEP_1) | instskip(SKIP_1) | instid1(VALU_DEP_2)
	v_fma_f32 v6, 0xcf800000, v6, |v5|
	v_ashrrev_i32_e32 v5, 31, v5
	v_cvt_u32_f32_e32 v6, v6
	s_delay_alu instid0(VALU_DEP_1) | instskip(NEXT) | instid1(VALU_DEP_1)
	v_xor_b32_e32 v6, v6, v5
	v_sub_nc_u32_e32 v5, v6, v5
	global_store_b8 v[2:3], v5, off
.LBB521_1987:
	s_mov_b32 s6, -1
.LBB521_1988:
	s_delay_alu instid0(SALU_CYCLE_1)
	s_and_not1_b32 vcc_lo, exec_lo, s6
	s_cbranch_vccnz .LBB521_2126
; %bb.1989:
	v_cmp_lt_i16_e64 s0, s2, 11
	v_add_co_u32 v1, s3, s4, v1
	s_delay_alu instid0(VALU_DEP_1) | instskip(SKIP_1) | instid1(VALU_DEP_3)
	v_add_co_ci_u32_e64 v2, null, s5, 0, s3
	s_mov_b32 s6, 0
	s_and_b32 vcc_lo, exec_lo, s0
	s_mov_b32 s0, -1
	s_cbranch_vccnz .LBB521_2078
; %bb.1990:
	v_cmp_gt_i16_e64 s0, s2, 25
	s_mov_b32 s7, -1
	s_mov_b32 s3, 0
	s_delay_alu instid0(VALU_DEP_1)
	s_and_b32 vcc_lo, exec_lo, s0
	s_mov_b32 s0, 0
	s_cbranch_vccz .LBB521_2034
; %bb.1991:
	v_cmp_gt_i16_e64 s0, s2, 28
	s_delay_alu instid0(VALU_DEP_1)
	s_and_b32 vcc_lo, exec_lo, s0
	s_cbranch_vccz .LBB521_1996
; %bb.1992:
	v_cmp_gt_i16_e64 s0, s2, 43
	s_delay_alu instid0(VALU_DEP_1)
	s_and_b32 vcc_lo, exec_lo, s0
	;; [unrolled: 5-line block ×3, first 2 shown]
	s_cbranch_vccz .LBB521_2006
; %bb.1994:
	v_cmp_eq_u16_e64 s6, s2, 46
	s_mov_b32 s0, -1
	s_mov_b32 s7, 0
	s_delay_alu instid0(VALU_DEP_1)
	s_and_b32 vcc_lo, exec_lo, s6
	s_mov_b32 s6, 0
	s_cbranch_vccz .LBB521_2007
; %bb.1995:
	v_bfe_u32 v3, v9, 16, 1
	v_cmp_o_f32_e32 vcc_lo, v9, v9
	s_mov_b32 s0, 0
	s_mov_b32 s6, -1
	s_delay_alu instid0(VALU_DEP_2) | instskip(NEXT) | instid1(VALU_DEP_1)
	v_add3_u32 v3, v9, v3, 0x7fff
	v_lshrrev_b32_e32 v3, 16, v3
	s_delay_alu instid0(VALU_DEP_1)
	v_cndmask_b32_e32 v3, 0x7fc0, v3, vcc_lo
	global_store_b32 v[1:2], v3, off
	s_branch .LBB521_2007
.LBB521_1996:
	s_mov_b32 s0, 0
	s_branch .LBB521_2017
.LBB521_1997:
	s_or_saveexec_b32 s10, s10
                                        ; implicit-def: $sgpr11
	s_delay_alu instid0(SALU_CYCLE_1)
	s_xor_b32 exec_lo, exec_lo, s10
	s_cbranch_execz .LBB521_1899
.LBB521_1998:
	v_add_f32_e64 v5, 0x46000000, |v7|
	s_and_not1_b32 s7, s7, exec_lo
	s_mov_b32 s11, 0
	s_delay_alu instid0(VALU_DEP_1) | instskip(NEXT) | instid1(VALU_DEP_1)
	v_and_b32_e32 v5, 0xff, v5
	v_cmp_ne_u32_e32 vcc_lo, 0, v5
	s_and_b32 s12, vcc_lo, exec_lo
	s_delay_alu instid0(SALU_CYCLE_1)
	s_or_b32 s7, s7, s12
	s_or_b32 exec_lo, exec_lo, s10
	v_mov_b32_e32 v6, s11
	s_and_saveexec_b32 s10, s7
	s_cbranch_execnz .LBB521_1900
	s_branch .LBB521_1901
.LBB521_1999:
	s_mov_b32 s0, 0
	s_branch .LBB521_2013
.LBB521_2000:
	s_trap 2
	s_sendmsg_rtn_b32 s0, sendmsg(MSG_RTN_GET_DOORBELL)
	s_mov_b32 ttmp2, m0
	s_waitcnt lgkmcnt(0)
	s_and_b32 s0, s0, 0x3ff
	s_delay_alu instid0(SALU_CYCLE_1) | instskip(NEXT) | instid1(SALU_CYCLE_1)
	s_bitset1_b32 s0, 10
	s_mov_b32 m0, s0
	s_sendmsg sendmsg(MSG_INTERRUPT)
	s_mov_b32 m0, ttmp2
.LBB521_2001:                           ; =>This Inner Loop Header: Depth=1
	s_sethalt 5
	s_branch .LBB521_2001
.LBB521_2002:
	s_cbranch_execnz .LBB521_2131
; %bb.2003:
	s_or_b32 s1, s1, exec_lo
	s_cbranch_execz .LBB521_1947
	s_branch .LBB521_1948
.LBB521_2004:
	s_or_saveexec_b32 s7, s7
                                        ; implicit-def: $sgpr10
	s_delay_alu instid0(SALU_CYCLE_1)
	s_xor_b32 exec_lo, exec_lo, s7
	s_cbranch_execz .LBB521_1912
.LBB521_2005:
	v_add_f32_e64 v5, 0x42800000, |v7|
	s_and_not1_b32 s6, s6, exec_lo
	s_mov_b32 s10, 0
	s_delay_alu instid0(VALU_DEP_1) | instskip(NEXT) | instid1(VALU_DEP_1)
	v_and_b32_e32 v5, 0xff, v5
	v_cmp_ne_u32_e32 vcc_lo, 0, v5
	s_and_b32 s11, vcc_lo, exec_lo
	s_delay_alu instid0(SALU_CYCLE_1)
	s_or_b32 s6, s6, s11
	s_or_b32 exec_lo, exec_lo, s7
	v_mov_b32_e32 v6, s10
	s_and_saveexec_b32 s7, s6
	s_cbranch_execnz .LBB521_1913
	s_branch .LBB521_1914
.LBB521_2006:
	s_mov_b32 s0, 0
.LBB521_2007:
	s_and_b32 vcc_lo, exec_lo, s7
	s_cbranch_vccz .LBB521_2012
; %bb.2008:
	v_cmp_eq_u16_e64 s0, s2, 44
	s_delay_alu instid0(VALU_DEP_1)
	s_and_b32 vcc_lo, exec_lo, s0
	s_mov_b32 s0, -1
	s_cbranch_vccz .LBB521_2012
; %bb.2009:
	v_bfe_u32 v5, v9, 23, 8
	v_mov_b32_e32 v3, 0xff
	s_mov_b32 s6, exec_lo
	s_delay_alu instid0(VALU_DEP_2)
	v_cmpx_ne_u32_e32 0xff, v5
; %bb.2010:
	v_and_b32_e32 v3, 0x400000, v9
	v_and_or_b32 v5, 0x3fffff, v9, v5
	s_delay_alu instid0(VALU_DEP_2) | instskip(NEXT) | instid1(VALU_DEP_2)
	v_cmp_ne_u32_e32 vcc_lo, 0, v3
	v_cmp_ne_u32_e64 s0, 0, v5
	v_lshrrev_b32_e32 v3, 23, v9
	s_delay_alu instid0(VALU_DEP_2) | instskip(NEXT) | instid1(SALU_CYCLE_1)
	s_and_b32 s0, vcc_lo, s0
	v_cndmask_b32_e64 v5, 0, 1, s0
	s_delay_alu instid0(VALU_DEP_1)
	v_add_nc_u32_e32 v3, v3, v5
; %bb.2011:
	s_or_b32 exec_lo, exec_lo, s6
	s_mov_b32 s0, 0
	s_mov_b32 s6, -1
	global_store_b8 v[1:2], v3, off
.LBB521_2012:
	s_mov_b32 s7, 0
.LBB521_2013:
	s_delay_alu instid0(SALU_CYCLE_1)
	s_and_b32 vcc_lo, exec_lo, s7
	s_cbranch_vccz .LBB521_2016
; %bb.2014:
	v_cmp_eq_u16_e64 s0, s2, 29
	s_delay_alu instid0(VALU_DEP_1)
	s_and_b32 vcc_lo, exec_lo, s0
	s_mov_b32 s0, -1
	s_cbranch_vccz .LBB521_2016
; %bb.2015:
	v_trunc_f32_e32 v3, v9
	s_mov_b32 s0, 0
	s_mov_b32 s6, -1
	s_mov_b32 s7, 0
	s_delay_alu instid0(VALU_DEP_1) | instskip(NEXT) | instid1(VALU_DEP_1)
	v_mul_f32_e32 v5, 0x2f800000, v3
	v_floor_f32_e32 v5, v5
	s_delay_alu instid0(VALU_DEP_1) | instskip(SKIP_1) | instid1(VALU_DEP_2)
	v_fmamk_f32 v3, v5, 0xcf800000, v3
	v_cvt_u32_f32_e32 v6, v5
	v_cvt_u32_f32_e32 v5, v3
	global_store_b64 v[1:2], v[5:6], off
	s_branch .LBB521_2017
.LBB521_2016:
	s_mov_b32 s7, 0
.LBB521_2017:
	s_delay_alu instid0(SALU_CYCLE_1)
	s_and_b32 vcc_lo, exec_lo, s7
	s_cbranch_vccz .LBB521_2033
; %bb.2018:
	v_cmp_lt_i16_e64 s6, s2, 27
	s_delay_alu instid0(VALU_DEP_1)
	s_and_b32 vcc_lo, exec_lo, s6
	s_mov_b32 s6, -1
	s_cbranch_vccnz .LBB521_2024
; %bb.2019:
	v_cmp_gt_i16_e64 s6, s2, 27
	v_cvt_u32_f32_e32 v3, v9
	s_delay_alu instid0(VALU_DEP_2)
	s_and_b32 vcc_lo, exec_lo, s6
	s_mov_b32 s6, -1
	s_cbranch_vccz .LBB521_2021
; %bb.2020:
	s_mov_b32 s6, 0
	global_store_b32 v[1:2], v3, off
.LBB521_2021:
	s_and_not1_b32 vcc_lo, exec_lo, s6
	s_cbranch_vccnz .LBB521_2023
; %bb.2022:
	global_store_b16 v[1:2], v3, off
.LBB521_2023:
	s_mov_b32 s6, 0
.LBB521_2024:
	s_delay_alu instid0(SALU_CYCLE_1)
	s_and_not1_b32 vcc_lo, exec_lo, s6
	s_cbranch_vccnz .LBB521_2032
; %bb.2025:
	v_and_b32_e32 v3, 0x7fffffff, v9
	v_mov_b32_e32 v5, 0x80
	s_mov_b32 s6, exec_lo
	s_delay_alu instid0(VALU_DEP_2)
	v_cmpx_gt_u32_e32 0x43800000, v3
	s_cbranch_execz .LBB521_2031
; %bb.2026:
	v_cmp_lt_u32_e32 vcc_lo, 0x3bffffff, v3
	s_mov_b32 s7, 0
                                        ; implicit-def: $vgpr3
	s_and_saveexec_b32 s10, vcc_lo
	s_delay_alu instid0(SALU_CYCLE_1)
	s_xor_b32 s10, exec_lo, s10
	s_cbranch_execz .LBB521_2128
; %bb.2027:
	v_bfe_u32 v3, v9, 20, 1
	s_mov_b32 s7, exec_lo
	s_delay_alu instid0(VALU_DEP_1) | instskip(NEXT) | instid1(VALU_DEP_1)
	v_add3_u32 v3, v9, v3, 0x487ffff
	v_lshrrev_b32_e32 v3, 20, v3
	s_or_saveexec_b32 s10, s10
                                        ; implicit-def: $sgpr11
	s_delay_alu instid0(SALU_CYCLE_1)
	s_xor_b32 exec_lo, exec_lo, s10
	s_cbranch_execnz .LBB521_2129
.LBB521_2028:
	s_or_b32 exec_lo, exec_lo, s10
	v_mov_b32_e32 v5, s11
	s_and_saveexec_b32 s10, s7
.LBB521_2029:
	v_lshrrev_b32_e32 v5, 24, v9
	s_delay_alu instid0(VALU_DEP_1)
	v_and_or_b32 v5, 0x80, v5, v3
.LBB521_2030:
	s_or_b32 exec_lo, exec_lo, s10
.LBB521_2031:
	s_delay_alu instid0(SALU_CYCLE_1)
	s_or_b32 exec_lo, exec_lo, s6
	global_store_b8 v[1:2], v5, off
.LBB521_2032:
	s_mov_b32 s6, -1
.LBB521_2033:
	s_mov_b32 s7, 0
.LBB521_2034:
	s_delay_alu instid0(SALU_CYCLE_1)
	s_and_b32 vcc_lo, exec_lo, s7
	s_cbranch_vccz .LBB521_2074
; %bb.2035:
	v_cmp_gt_i16_e64 s3, s2, 22
	s_delay_alu instid0(VALU_DEP_1)
	s_and_b32 vcc_lo, exec_lo, s3
	s_mov_b32 s3, -1
	s_cbranch_vccz .LBB521_2067
; %bb.2036:
	v_cmp_lt_i16_e64 s3, s2, 24
	s_delay_alu instid0(VALU_DEP_1)
	s_and_b32 vcc_lo, exec_lo, s3
	s_mov_b32 s3, -1
	s_cbranch_vccnz .LBB521_2056
; %bb.2037:
	v_cmp_gt_i16_e64 s3, s2, 24
	s_delay_alu instid0(VALU_DEP_1)
	s_and_b32 vcc_lo, exec_lo, s3
	s_mov_b32 s3, -1
	s_cbranch_vccz .LBB521_2045
; %bb.2038:
	v_and_b32_e32 v3, 0x7fffffff, v9
	v_mov_b32_e32 v5, 0x80
	s_mov_b32 s3, exec_lo
	s_delay_alu instid0(VALU_DEP_2)
	v_cmpx_gt_u32_e32 0x47800000, v3
	s_cbranch_execz .LBB521_2044
; %bb.2039:
	v_cmp_lt_u32_e32 vcc_lo, 0x37ffffff, v3
	s_mov_b32 s6, 0
                                        ; implicit-def: $vgpr3
	s_and_saveexec_b32 s7, vcc_lo
	s_delay_alu instid0(SALU_CYCLE_1)
	s_xor_b32 s7, exec_lo, s7
	s_cbranch_execz .LBB521_2135
; %bb.2040:
	v_bfe_u32 v3, v9, 21, 1
	s_mov_b32 s6, exec_lo
	s_delay_alu instid0(VALU_DEP_1) | instskip(NEXT) | instid1(VALU_DEP_1)
	v_add3_u32 v3, v9, v3, 0x88fffff
	v_lshrrev_b32_e32 v3, 21, v3
	s_or_saveexec_b32 s7, s7
                                        ; implicit-def: $sgpr10
	s_delay_alu instid0(SALU_CYCLE_1)
	s_xor_b32 exec_lo, exec_lo, s7
	s_cbranch_execnz .LBB521_2136
.LBB521_2041:
	s_or_b32 exec_lo, exec_lo, s7
	v_mov_b32_e32 v5, s10
	s_and_saveexec_b32 s7, s6
.LBB521_2042:
	v_lshrrev_b32_e32 v5, 24, v9
	s_delay_alu instid0(VALU_DEP_1)
	v_and_or_b32 v5, 0x80, v5, v3
.LBB521_2043:
	s_or_b32 exec_lo, exec_lo, s7
.LBB521_2044:
	s_delay_alu instid0(SALU_CYCLE_1)
	s_or_b32 exec_lo, exec_lo, s3
	s_mov_b32 s3, 0
	global_store_b8 v[1:2], v5, off
.LBB521_2045:
	s_and_b32 vcc_lo, exec_lo, s3
	s_cbranch_vccz .LBB521_2055
; %bb.2046:
	v_and_b32_e32 v5, 0x7fffffff, v9
	s_mov_b32 s3, exec_lo
                                        ; implicit-def: $vgpr3
	s_delay_alu instid0(VALU_DEP_1)
	v_cmpx_gt_u32_e32 0x43f00000, v5
	s_xor_b32 s3, exec_lo, s3
	s_cbranch_execz .LBB521_2052
; %bb.2047:
	s_mov_b32 s6, exec_lo
                                        ; implicit-def: $vgpr3
	v_cmpx_lt_u32_e32 0x3c7fffff, v5
	s_xor_b32 s6, exec_lo, s6
; %bb.2048:
	v_bfe_u32 v3, v9, 20, 1
	s_delay_alu instid0(VALU_DEP_1) | instskip(NEXT) | instid1(VALU_DEP_1)
	v_add3_u32 v3, v9, v3, 0x407ffff
	v_and_b32_e32 v5, 0xff00000, v3
	v_lshrrev_b32_e32 v3, 20, v3
	s_delay_alu instid0(VALU_DEP_2) | instskip(NEXT) | instid1(VALU_DEP_2)
	v_cmp_ne_u32_e32 vcc_lo, 0x7f00000, v5
	v_cndmask_b32_e32 v3, 0x7e, v3, vcc_lo
; %bb.2049:
	s_and_not1_saveexec_b32 s6, s6
; %bb.2050:
	v_add_f32_e64 v3, 0x46800000, |v9|
; %bb.2051:
	s_or_b32 exec_lo, exec_lo, s6
                                        ; implicit-def: $vgpr5
.LBB521_2052:
	s_and_not1_saveexec_b32 s3, s3
; %bb.2053:
	v_mov_b32_e32 v3, 0x7f
	v_cmp_lt_u32_e32 vcc_lo, 0x7f800000, v5
	s_delay_alu instid0(VALU_DEP_2)
	v_cndmask_b32_e32 v3, 0x7e, v3, vcc_lo
; %bb.2054:
	s_or_b32 exec_lo, exec_lo, s3
	v_lshrrev_b32_e32 v5, 24, v9
	s_delay_alu instid0(VALU_DEP_1)
	v_and_or_b32 v3, 0x80, v5, v3
	global_store_b8 v[1:2], v3, off
.LBB521_2055:
	s_mov_b32 s3, 0
.LBB521_2056:
	s_delay_alu instid0(SALU_CYCLE_1)
	s_and_not1_b32 vcc_lo, exec_lo, s3
	s_cbranch_vccnz .LBB521_2066
; %bb.2057:
	v_and_b32_e32 v5, 0x7fffffff, v9
	s_mov_b32 s3, exec_lo
                                        ; implicit-def: $vgpr3
	s_delay_alu instid0(VALU_DEP_1)
	v_cmpx_gt_u32_e32 0x47800000, v5
	s_xor_b32 s3, exec_lo, s3
	s_cbranch_execz .LBB521_2063
; %bb.2058:
	s_mov_b32 s6, exec_lo
                                        ; implicit-def: $vgpr3
	v_cmpx_lt_u32_e32 0x387fffff, v5
	s_xor_b32 s6, exec_lo, s6
; %bb.2059:
	v_bfe_u32 v3, v9, 21, 1
	s_delay_alu instid0(VALU_DEP_1) | instskip(NEXT) | instid1(VALU_DEP_1)
	v_add3_u32 v3, v9, v3, 0x80fffff
	v_lshrrev_b32_e32 v3, 21, v3
; %bb.2060:
	s_and_not1_saveexec_b32 s6, s6
; %bb.2061:
	v_add_f32_e64 v3, 0x43000000, |v9|
; %bb.2062:
	s_or_b32 exec_lo, exec_lo, s6
                                        ; implicit-def: $vgpr5
.LBB521_2063:
	s_and_not1_saveexec_b32 s3, s3
; %bb.2064:
	v_mov_b32_e32 v3, 0x7f
	v_cmp_lt_u32_e32 vcc_lo, 0x7f800000, v5
	s_delay_alu instid0(VALU_DEP_2)
	v_cndmask_b32_e32 v3, 0x7c, v3, vcc_lo
; %bb.2065:
	s_or_b32 exec_lo, exec_lo, s3
	v_lshrrev_b32_e32 v5, 24, v9
	s_delay_alu instid0(VALU_DEP_1)
	v_and_or_b32 v3, 0x80, v5, v3
	global_store_b8 v[1:2], v3, off
.LBB521_2066:
	s_mov_b32 s3, 0
	s_mov_b32 s6, -1
.LBB521_2067:
	s_and_not1_b32 vcc_lo, exec_lo, s3
	s_mov_b32 s3, 0
	s_cbranch_vccnz .LBB521_2074
; %bb.2068:
	v_cmp_gt_i16_e64 s3, s2, 14
	s_delay_alu instid0(VALU_DEP_1)
	s_and_b32 vcc_lo, exec_lo, s3
	s_mov_b32 s3, -1
	s_cbranch_vccz .LBB521_2072
; %bb.2069:
	v_cmp_eq_u16_e64 s0, s2, 15
	s_delay_alu instid0(VALU_DEP_1)
	s_and_b32 vcc_lo, exec_lo, s0
	s_mov_b32 s0, -1
	s_cbranch_vccz .LBB521_2071
; %bb.2070:
	v_bfe_u32 v3, v9, 16, 1
	v_cmp_o_f32_e32 vcc_lo, v9, v9
	s_mov_b32 s0, 0
	s_mov_b32 s6, -1
	s_delay_alu instid0(VALU_DEP_2) | instskip(NEXT) | instid1(VALU_DEP_1)
	v_add3_u32 v3, v9, v3, 0x7fff
	v_lshrrev_b32_e32 v3, 16, v3
	s_delay_alu instid0(VALU_DEP_1)
	v_cndmask_b32_e32 v3, 0x7fc0, v3, vcc_lo
	global_store_b16 v[1:2], v3, off
.LBB521_2071:
	s_mov_b32 s3, 0
.LBB521_2072:
	s_delay_alu instid0(SALU_CYCLE_1)
	s_and_b32 vcc_lo, exec_lo, s3
	s_mov_b32 s3, 0
	s_cbranch_vccz .LBB521_2074
; %bb.2073:
	v_cmp_ne_u16_e64 s0, s2, 11
	s_mov_b32 s3, -1
.LBB521_2074:
	s_delay_alu instid0(VALU_DEP_1)
	s_and_b32 vcc_lo, exec_lo, s0
	s_cbranch_vccnz .LBB521_2133
; %bb.2075:
	s_and_not1_b32 vcc_lo, exec_lo, s3
	s_cbranch_vccnz .LBB521_2077
.LBB521_2076:
	v_cmp_neq_f32_e32 vcc_lo, 0, v9
	s_mov_b32 s6, -1
	v_cndmask_b32_e64 v3, 0, 1, vcc_lo
	global_store_b8 v[1:2], v3, off
.LBB521_2077:
	s_mov_b32 s0, 0
.LBB521_2078:
	s_delay_alu instid0(SALU_CYCLE_1)
	s_and_b32 vcc_lo, exec_lo, s0
	s_cbranch_vccz .LBB521_2117
; %bb.2079:
	v_cmp_lt_i16_e64 s0, s2, 5
	s_delay_alu instid0(VALU_DEP_1)
	s_and_b32 vcc_lo, exec_lo, s0
	s_mov_b32 s0, -1
	s_cbranch_vccnz .LBB521_2100
; %bb.2080:
	v_cmp_lt_i16_e64 s0, s2, 8
	s_delay_alu instid0(VALU_DEP_1)
	s_and_b32 vcc_lo, exec_lo, s0
	s_mov_b32 s0, -1
	s_cbranch_vccnz .LBB521_2090
	;; [unrolled: 6-line block ×3, first 2 shown]
; %bb.2082:
	v_cmp_gt_i16_e64 s0, s2, 9
	s_delay_alu instid0(VALU_DEP_1)
	s_and_b32 vcc_lo, exec_lo, s0
	s_mov_b32 s0, -1
	s_cbranch_vccz .LBB521_2084
; %bb.2083:
	v_cvt_f64_f32_e32 v[5:6], v9
	v_mov_b32_e32 v7, 0
	s_mov_b32 s0, 0
	s_delay_alu instid0(VALU_DEP_1)
	v_mov_b32_e32 v8, v7
	global_store_b128 v[1:2], v[5:8], off
.LBB521_2084:
	s_and_not1_b32 vcc_lo, exec_lo, s0
	s_cbranch_vccnz .LBB521_2086
; %bb.2085:
	v_mov_b32_e32 v10, 0
	global_store_b64 v[1:2], v[9:10], off
.LBB521_2086:
	s_mov_b32 s0, 0
.LBB521_2087:
	s_delay_alu instid0(SALU_CYCLE_1)
	s_and_not1_b32 vcc_lo, exec_lo, s0
	s_cbranch_vccnz .LBB521_2089
; %bb.2088:
	v_cvt_f16_f32_e32 v3, v9
	s_delay_alu instid0(VALU_DEP_1)
	v_and_b32_e32 v3, 0xffff, v3
	global_store_b32 v[1:2], v3, off
.LBB521_2089:
	s_mov_b32 s0, 0
.LBB521_2090:
	s_delay_alu instid0(SALU_CYCLE_1)
	s_and_not1_b32 vcc_lo, exec_lo, s0
	s_cbranch_vccnz .LBB521_2099
; %bb.2091:
	v_cmp_lt_i16_e64 s0, s2, 6
	s_delay_alu instid0(VALU_DEP_1)
	s_and_b32 vcc_lo, exec_lo, s0
	s_mov_b32 s0, -1
	s_cbranch_vccnz .LBB521_2097
; %bb.2092:
	v_cmp_gt_i16_e64 s0, s2, 6
	s_delay_alu instid0(VALU_DEP_1)
	s_and_b32 vcc_lo, exec_lo, s0
	s_mov_b32 s0, -1
	s_cbranch_vccz .LBB521_2094
; %bb.2093:
	v_cvt_f64_f32_e32 v[5:6], v9
	s_mov_b32 s0, 0
	global_store_b64 v[1:2], v[5:6], off
.LBB521_2094:
	s_and_not1_b32 vcc_lo, exec_lo, s0
	s_cbranch_vccnz .LBB521_2096
; %bb.2095:
	global_store_b32 v[1:2], v9, off
.LBB521_2096:
	s_mov_b32 s0, 0
.LBB521_2097:
	s_delay_alu instid0(SALU_CYCLE_1)
	s_and_not1_b32 vcc_lo, exec_lo, s0
	s_cbranch_vccnz .LBB521_2099
; %bb.2098:
	v_cvt_f16_f32_e32 v3, v9
	global_store_b16 v[1:2], v3, off
.LBB521_2099:
	s_mov_b32 s0, 0
.LBB521_2100:
	s_delay_alu instid0(SALU_CYCLE_1)
	s_and_not1_b32 vcc_lo, exec_lo, s0
	s_cbranch_vccnz .LBB521_2116
; %bb.2101:
	v_cmp_lt_i16_e64 s0, s2, 2
	s_delay_alu instid0(VALU_DEP_1)
	s_and_b32 vcc_lo, exec_lo, s0
	s_mov_b32 s0, -1
	s_cbranch_vccnz .LBB521_2111
; %bb.2102:
	v_cmp_lt_i16_e64 s0, s2, 3
	s_delay_alu instid0(VALU_DEP_1)
	s_and_b32 vcc_lo, exec_lo, s0
	s_mov_b32 s0, -1
	s_cbranch_vccnz .LBB521_2108
; %bb.2103:
	v_cmp_gt_i16_e64 s0, s2, 3
	s_delay_alu instid0(VALU_DEP_1)
	s_and_b32 vcc_lo, exec_lo, s0
	s_mov_b32 s0, -1
	s_cbranch_vccz .LBB521_2105
; %bb.2104:
	v_trunc_f32_e32 v3, v9
	s_mov_b32 s0, 0
	s_delay_alu instid0(VALU_DEP_1) | instskip(NEXT) | instid1(VALU_DEP_1)
	v_mul_f32_e64 v5, 0x2f800000, |v3|
	v_floor_f32_e32 v5, v5
	s_delay_alu instid0(VALU_DEP_1) | instskip(SKIP_2) | instid1(VALU_DEP_3)
	v_fma_f32 v6, 0xcf800000, v5, |v3|
	v_ashrrev_i32_e32 v3, 31, v3
	v_cvt_u32_f32_e32 v5, v5
	v_cvt_u32_f32_e32 v6, v6
	s_delay_alu instid0(VALU_DEP_2) | instskip(NEXT) | instid1(VALU_DEP_2)
	v_xor_b32_e32 v7, v5, v3
	v_xor_b32_e32 v6, v6, v3
	s_delay_alu instid0(VALU_DEP_1) | instskip(NEXT) | instid1(VALU_DEP_3)
	v_sub_co_u32 v5, vcc_lo, v6, v3
	v_sub_co_ci_u32_e32 v6, vcc_lo, v7, v3, vcc_lo
	global_store_b64 v[1:2], v[5:6], off
.LBB521_2105:
	s_and_not1_b32 vcc_lo, exec_lo, s0
	s_cbranch_vccnz .LBB521_2107
; %bb.2106:
	v_cvt_i32_f32_e32 v3, v9
	global_store_b32 v[1:2], v3, off
.LBB521_2107:
	s_mov_b32 s0, 0
.LBB521_2108:
	s_delay_alu instid0(SALU_CYCLE_1)
	s_and_not1_b32 vcc_lo, exec_lo, s0
	s_cbranch_vccnz .LBB521_2110
; %bb.2109:
	v_cvt_i32_f32_e32 v3, v9
	global_store_b16 v[1:2], v3, off
.LBB521_2110:
	s_mov_b32 s0, 0
.LBB521_2111:
	s_delay_alu instid0(SALU_CYCLE_1)
	s_and_not1_b32 vcc_lo, exec_lo, s0
	s_cbranch_vccnz .LBB521_2116
; %bb.2112:
	v_cmp_gt_i16_e64 s0, s2, 0
	s_delay_alu instid0(VALU_DEP_1)
	s_and_b32 vcc_lo, exec_lo, s0
	s_mov_b32 s0, -1
	s_cbranch_vccz .LBB521_2114
; %bb.2113:
	v_cvt_i32_f32_e32 v3, v9
	s_mov_b32 s0, 0
	global_store_b8 v[1:2], v3, off
.LBB521_2114:
	s_and_not1_b32 vcc_lo, exec_lo, s0
	s_cbranch_vccnz .LBB521_2116
; %bb.2115:
	v_trunc_f32_e32 v3, v9
	s_delay_alu instid0(VALU_DEP_1) | instskip(NEXT) | instid1(VALU_DEP_1)
	v_mul_f32_e64 v5, 0x2f800000, |v3|
	v_floor_f32_e32 v5, v5
	s_delay_alu instid0(VALU_DEP_1) | instskip(SKIP_1) | instid1(VALU_DEP_2)
	v_fma_f32 v5, 0xcf800000, v5, |v3|
	v_ashrrev_i32_e32 v3, 31, v3
	v_cvt_u32_f32_e32 v5, v5
	s_delay_alu instid0(VALU_DEP_1) | instskip(NEXT) | instid1(VALU_DEP_1)
	v_xor_b32_e32 v5, v5, v3
	v_sub_nc_u32_e32 v3, v5, v3
	global_store_b8 v[1:2], v3, off
.LBB521_2116:
	s_mov_b32 s6, -1
.LBB521_2117:
	s_delay_alu instid0(SALU_CYCLE_1)
	s_and_not1_b32 vcc_lo, exec_lo, s6
	s_cbranch_vccnz .LBB521_2126
; %bb.2118:
	v_cmp_lt_i16_e64 s0, s2, 11
	v_add_co_u32 v0, s4, s4, v0
	s_delay_alu instid0(VALU_DEP_1) | instskip(SKIP_1) | instid1(VALU_DEP_3)
	v_add_co_ci_u32_e64 v1, null, s5, 0, s4
	s_mov_b32 s3, 0
	s_and_b32 vcc_lo, exec_lo, s0
	s_mov_b32 s0, -1
	s_cbranch_vccnz .LBB521_1700
; %bb.2119:
	v_cmp_gt_i16_e64 s0, s2, 25
	s_mov_b32 s4, -1
	s_delay_alu instid0(VALU_DEP_1)
	s_and_b32 vcc_lo, exec_lo, s0
	s_mov_b32 s0, 0
	s_cbranch_vccz .LBB521_2164
; %bb.2120:
	v_cmp_gt_i16_e64 s0, s2, 28
	s_delay_alu instid0(VALU_DEP_1)
	s_and_b32 vcc_lo, exec_lo, s0
	s_cbranch_vccz .LBB521_2127
; %bb.2121:
	v_cmp_gt_i16_e64 s0, s2, 43
	s_delay_alu instid0(VALU_DEP_1)
	s_and_b32 vcc_lo, exec_lo, s0
	;; [unrolled: 5-line block ×3, first 2 shown]
	s_cbranch_vccz .LBB521_2137
; %bb.2123:
	v_cmp_eq_u16_e64 s0, s2, 46
	s_delay_alu instid0(VALU_DEP_1)
	s_and_b32 vcc_lo, exec_lo, s0
	s_mov_b32 s0, -1
	s_cbranch_vccz .LBB521_2125
; %bb.2124:
	v_bfe_u32 v2, v4, 16, 1
	v_cmp_o_f32_e32 vcc_lo, v4, v4
	s_mov_b32 s0, 0
	s_delay_alu instid0(VALU_DEP_2) | instskip(NEXT) | instid1(VALU_DEP_1)
	v_add3_u32 v2, v4, v2, 0x7fff
	v_lshrrev_b32_e32 v2, 16, v2
	s_delay_alu instid0(VALU_DEP_1)
	v_cndmask_b32_e32 v2, 0x7fc0, v2, vcc_lo
	global_store_b32 v[0:1], v2, off
.LBB521_2125:
	s_mov_b32 s4, 0
	s_branch .LBB521_2138
.LBB521_2126:
	s_mov_b32 s0, 0
	s_mov_b32 s3, 0
                                        ; implicit-def: $vgpr0_vgpr1
                                        ; implicit-def: $sgpr2
	s_branch .LBB521_1700
.LBB521_2127:
	s_mov_b32 s0, 0
	s_branch .LBB521_2148
.LBB521_2128:
	s_or_saveexec_b32 s10, s10
                                        ; implicit-def: $sgpr11
	s_delay_alu instid0(SALU_CYCLE_1)
	s_xor_b32 exec_lo, exec_lo, s10
	s_cbranch_execz .LBB521_2028
.LBB521_2129:
	v_add_f32_e64 v3, 0x46000000, |v9|
	s_and_not1_b32 s7, s7, exec_lo
	s_mov_b32 s11, 0
	s_delay_alu instid0(VALU_DEP_1) | instskip(NEXT) | instid1(VALU_DEP_1)
	v_and_b32_e32 v3, 0xff, v3
	v_cmp_ne_u32_e32 vcc_lo, 0, v3
	s_and_b32 s12, vcc_lo, exec_lo
	s_delay_alu instid0(SALU_CYCLE_1)
	s_or_b32 s7, s7, s12
	s_or_b32 exec_lo, exec_lo, s10
	v_mov_b32_e32 v5, s11
	s_and_saveexec_b32 s10, s7
	s_cbranch_execnz .LBB521_2029
	s_branch .LBB521_2030
.LBB521_2130:
	s_mov_b32 s0, 0
	s_branch .LBB521_2144
.LBB521_2131:
	s_trap 2
	s_sendmsg_rtn_b32 s0, sendmsg(MSG_RTN_GET_DOORBELL)
	s_mov_b32 ttmp2, m0
	s_waitcnt lgkmcnt(0)
	s_and_b32 s0, s0, 0x3ff
	s_delay_alu instid0(SALU_CYCLE_1) | instskip(NEXT) | instid1(SALU_CYCLE_1)
	s_bitset1_b32 s0, 10
	s_mov_b32 m0, s0
	s_sendmsg sendmsg(MSG_INTERRUPT)
	s_mov_b32 m0, ttmp2
.LBB521_2132:                           ; =>This Inner Loop Header: Depth=1
	s_sethalt 5
	s_branch .LBB521_2132
.LBB521_2133:
	s_cbranch_execnz .LBB521_2208
; %bb.2134:
	s_or_b32 s1, s1, exec_lo
	s_cbranch_execz .LBB521_2076
	s_branch .LBB521_2077
.LBB521_2135:
	s_or_saveexec_b32 s7, s7
                                        ; implicit-def: $sgpr10
	s_delay_alu instid0(SALU_CYCLE_1)
	s_xor_b32 exec_lo, exec_lo, s7
	s_cbranch_execz .LBB521_2041
.LBB521_2136:
	v_add_f32_e64 v3, 0x42800000, |v9|
	s_and_not1_b32 s6, s6, exec_lo
	s_mov_b32 s10, 0
	s_delay_alu instid0(VALU_DEP_1) | instskip(NEXT) | instid1(VALU_DEP_1)
	v_and_b32_e32 v3, 0xff, v3
	v_cmp_ne_u32_e32 vcc_lo, 0, v3
	s_and_b32 s11, vcc_lo, exec_lo
	s_delay_alu instid0(SALU_CYCLE_1)
	s_or_b32 s6, s6, s11
	s_or_b32 exec_lo, exec_lo, s7
	v_mov_b32_e32 v5, s10
	s_and_saveexec_b32 s7, s6
	s_cbranch_execnz .LBB521_2042
	s_branch .LBB521_2043
.LBB521_2137:
	s_mov_b32 s0, 0
.LBB521_2138:
	s_and_b32 vcc_lo, exec_lo, s4
	s_cbranch_vccz .LBB521_2143
; %bb.2139:
	v_cmp_eq_u16_e64 s0, s2, 44
	s_delay_alu instid0(VALU_DEP_1)
	s_and_b32 vcc_lo, exec_lo, s0
	s_mov_b32 s0, -1
	s_cbranch_vccz .LBB521_2143
; %bb.2140:
	v_bfe_u32 v3, v4, 23, 8
	v_mov_b32_e32 v2, 0xff
	s_mov_b32 s4, exec_lo
	s_delay_alu instid0(VALU_DEP_2)
	v_cmpx_ne_u32_e32 0xff, v3
; %bb.2141:
	v_and_b32_e32 v2, 0x400000, v4
	v_and_or_b32 v3, 0x3fffff, v4, v3
	s_delay_alu instid0(VALU_DEP_2) | instskip(NEXT) | instid1(VALU_DEP_2)
	v_cmp_ne_u32_e32 vcc_lo, 0, v2
	v_cmp_ne_u32_e64 s0, 0, v3
	v_lshrrev_b32_e32 v2, 23, v4
	s_delay_alu instid0(VALU_DEP_2) | instskip(NEXT) | instid1(SALU_CYCLE_1)
	s_and_b32 s0, vcc_lo, s0
	v_cndmask_b32_e64 v3, 0, 1, s0
	s_delay_alu instid0(VALU_DEP_1)
	v_add_nc_u32_e32 v2, v2, v3
; %bb.2142:
	s_or_b32 exec_lo, exec_lo, s4
	s_mov_b32 s0, 0
	global_store_b8 v[0:1], v2, off
.LBB521_2143:
	s_mov_b32 s4, 0
.LBB521_2144:
	s_delay_alu instid0(SALU_CYCLE_1)
	s_and_b32 vcc_lo, exec_lo, s4
	s_cbranch_vccz .LBB521_2147
; %bb.2145:
	v_cmp_eq_u16_e64 s0, s2, 29
	s_delay_alu instid0(VALU_DEP_1)
	s_and_b32 vcc_lo, exec_lo, s0
	s_mov_b32 s0, -1
	s_cbranch_vccz .LBB521_2147
; %bb.2146:
	v_trunc_f32_e32 v2, v4
	s_mov_b32 s0, 0
	s_delay_alu instid0(VALU_DEP_1) | instskip(NEXT) | instid1(VALU_DEP_1)
	v_mul_f32_e32 v3, 0x2f800000, v2
	v_floor_f32_e32 v3, v3
	s_delay_alu instid0(VALU_DEP_1) | instskip(SKIP_1) | instid1(VALU_DEP_2)
	v_fmamk_f32 v2, v3, 0xcf800000, v2
	v_cvt_u32_f32_e32 v3, v3
	v_cvt_u32_f32_e32 v2, v2
	global_store_b64 v[0:1], v[2:3], off
.LBB521_2147:
	s_mov_b32 s4, 0
.LBB521_2148:
	s_delay_alu instid0(SALU_CYCLE_1)
	s_and_b32 vcc_lo, exec_lo, s4
	s_cbranch_vccz .LBB521_2163
; %bb.2149:
	v_cmp_lt_i16_e64 s4, s2, 27
	s_delay_alu instid0(VALU_DEP_1)
	s_and_b32 vcc_lo, exec_lo, s4
	s_mov_b32 s4, -1
	s_cbranch_vccnz .LBB521_2155
; %bb.2150:
	v_cmp_gt_i16_e64 s4, s2, 27
	v_cvt_u32_f32_e32 v2, v4
	s_delay_alu instid0(VALU_DEP_2)
	s_and_b32 vcc_lo, exec_lo, s4
	s_mov_b32 s4, -1
	s_cbranch_vccz .LBB521_2152
; %bb.2151:
	s_mov_b32 s4, 0
	global_store_b32 v[0:1], v2, off
.LBB521_2152:
	s_and_not1_b32 vcc_lo, exec_lo, s4
	s_cbranch_vccnz .LBB521_2154
; %bb.2153:
	global_store_b16 v[0:1], v2, off
.LBB521_2154:
	s_mov_b32 s4, 0
.LBB521_2155:
	s_delay_alu instid0(SALU_CYCLE_1)
	s_and_not1_b32 vcc_lo, exec_lo, s4
	s_cbranch_vccnz .LBB521_2163
; %bb.2156:
	v_and_b32_e32 v2, 0x7fffffff, v4
	v_mov_b32_e32 v3, 0x80
	s_mov_b32 s4, exec_lo
	s_delay_alu instid0(VALU_DEP_2)
	v_cmpx_gt_u32_e32 0x43800000, v2
	s_cbranch_execz .LBB521_2162
; %bb.2157:
	v_cmp_lt_u32_e32 vcc_lo, 0x3bffffff, v2
	s_mov_b32 s5, 0
                                        ; implicit-def: $vgpr2
	s_and_saveexec_b32 s6, vcc_lo
	s_delay_alu instid0(SALU_CYCLE_1)
	s_xor_b32 s6, exec_lo, s6
	s_cbranch_execz .LBB521_2206
; %bb.2158:
	v_bfe_u32 v2, v4, 20, 1
	s_mov_b32 s5, exec_lo
	s_delay_alu instid0(VALU_DEP_1) | instskip(NEXT) | instid1(VALU_DEP_1)
	v_add3_u32 v2, v4, v2, 0x487ffff
	v_lshrrev_b32_e32 v2, 20, v2
	s_or_saveexec_b32 s6, s6
                                        ; implicit-def: $sgpr7
	s_delay_alu instid0(SALU_CYCLE_1)
	s_xor_b32 exec_lo, exec_lo, s6
	s_cbranch_execnz .LBB521_2207
.LBB521_2159:
	s_or_b32 exec_lo, exec_lo, s6
	v_mov_b32_e32 v3, s7
	s_and_saveexec_b32 s6, s5
.LBB521_2160:
	v_lshrrev_b32_e32 v3, 24, v4
	s_delay_alu instid0(VALU_DEP_1)
	v_and_or_b32 v3, 0x80, v3, v2
.LBB521_2161:
	s_or_b32 exec_lo, exec_lo, s6
.LBB521_2162:
	s_delay_alu instid0(SALU_CYCLE_1)
	s_or_b32 exec_lo, exec_lo, s4
	global_store_b8 v[0:1], v3, off
.LBB521_2163:
	s_mov_b32 s4, 0
.LBB521_2164:
	s_delay_alu instid0(SALU_CYCLE_1)
	s_and_b32 vcc_lo, exec_lo, s4
	s_cbranch_vccz .LBB521_2204
; %bb.2165:
	v_cmp_gt_i16_e64 s3, s2, 22
	s_delay_alu instid0(VALU_DEP_1)
	s_and_b32 vcc_lo, exec_lo, s3
	s_mov_b32 s3, -1
	s_cbranch_vccz .LBB521_2197
; %bb.2166:
	v_cmp_lt_i16_e64 s3, s2, 24
	s_delay_alu instid0(VALU_DEP_1)
	s_and_b32 vcc_lo, exec_lo, s3
	s_mov_b32 s3, -1
	s_cbranch_vccnz .LBB521_2186
; %bb.2167:
	v_cmp_gt_i16_e64 s3, s2, 24
	s_delay_alu instid0(VALU_DEP_1)
	s_and_b32 vcc_lo, exec_lo, s3
	s_mov_b32 s3, -1
	s_cbranch_vccz .LBB521_2175
; %bb.2168:
	v_and_b32_e32 v2, 0x7fffffff, v4
	v_mov_b32_e32 v3, 0x80
	s_mov_b32 s3, exec_lo
	s_delay_alu instid0(VALU_DEP_2)
	v_cmpx_gt_u32_e32 0x47800000, v2
	s_cbranch_execz .LBB521_2174
; %bb.2169:
	v_cmp_lt_u32_e32 vcc_lo, 0x37ffffff, v2
	s_mov_b32 s4, 0
                                        ; implicit-def: $vgpr2
	s_and_saveexec_b32 s5, vcc_lo
	s_delay_alu instid0(SALU_CYCLE_1)
	s_xor_b32 s5, exec_lo, s5
	s_cbranch_execz .LBB521_2212
; %bb.2170:
	v_bfe_u32 v2, v4, 21, 1
	s_mov_b32 s4, exec_lo
	s_delay_alu instid0(VALU_DEP_1) | instskip(NEXT) | instid1(VALU_DEP_1)
	v_add3_u32 v2, v4, v2, 0x88fffff
	v_lshrrev_b32_e32 v2, 21, v2
	s_or_saveexec_b32 s5, s5
                                        ; implicit-def: $sgpr6
	s_delay_alu instid0(SALU_CYCLE_1)
	s_xor_b32 exec_lo, exec_lo, s5
	s_cbranch_execnz .LBB521_2213
.LBB521_2171:
	s_or_b32 exec_lo, exec_lo, s5
	v_mov_b32_e32 v3, s6
	s_and_saveexec_b32 s5, s4
.LBB521_2172:
	v_lshrrev_b32_e32 v3, 24, v4
	s_delay_alu instid0(VALU_DEP_1)
	v_and_or_b32 v3, 0x80, v3, v2
.LBB521_2173:
	s_or_b32 exec_lo, exec_lo, s5
.LBB521_2174:
	s_delay_alu instid0(SALU_CYCLE_1)
	s_or_b32 exec_lo, exec_lo, s3
	s_mov_b32 s3, 0
	global_store_b8 v[0:1], v3, off
.LBB521_2175:
	s_and_b32 vcc_lo, exec_lo, s3
	s_cbranch_vccz .LBB521_2185
; %bb.2176:
	v_and_b32_e32 v3, 0x7fffffff, v4
	s_mov_b32 s3, exec_lo
                                        ; implicit-def: $vgpr2
	s_delay_alu instid0(VALU_DEP_1)
	v_cmpx_gt_u32_e32 0x43f00000, v3
	s_xor_b32 s3, exec_lo, s3
	s_cbranch_execz .LBB521_2182
; %bb.2177:
	s_mov_b32 s4, exec_lo
                                        ; implicit-def: $vgpr2
	v_cmpx_lt_u32_e32 0x3c7fffff, v3
	s_xor_b32 s4, exec_lo, s4
; %bb.2178:
	v_bfe_u32 v2, v4, 20, 1
	s_delay_alu instid0(VALU_DEP_1) | instskip(NEXT) | instid1(VALU_DEP_1)
	v_add3_u32 v2, v4, v2, 0x407ffff
	v_and_b32_e32 v3, 0xff00000, v2
	v_lshrrev_b32_e32 v2, 20, v2
	s_delay_alu instid0(VALU_DEP_2) | instskip(NEXT) | instid1(VALU_DEP_2)
	v_cmp_ne_u32_e32 vcc_lo, 0x7f00000, v3
	v_cndmask_b32_e32 v2, 0x7e, v2, vcc_lo
; %bb.2179:
	s_and_not1_saveexec_b32 s4, s4
; %bb.2180:
	v_add_f32_e64 v2, 0x46800000, |v4|
; %bb.2181:
	s_or_b32 exec_lo, exec_lo, s4
                                        ; implicit-def: $vgpr3
.LBB521_2182:
	s_and_not1_saveexec_b32 s3, s3
; %bb.2183:
	v_mov_b32_e32 v2, 0x7f
	v_cmp_lt_u32_e32 vcc_lo, 0x7f800000, v3
	s_delay_alu instid0(VALU_DEP_2)
	v_cndmask_b32_e32 v2, 0x7e, v2, vcc_lo
; %bb.2184:
	s_or_b32 exec_lo, exec_lo, s3
	v_lshrrev_b32_e32 v3, 24, v4
	s_delay_alu instid0(VALU_DEP_1)
	v_and_or_b32 v2, 0x80, v3, v2
	global_store_b8 v[0:1], v2, off
.LBB521_2185:
	s_mov_b32 s3, 0
.LBB521_2186:
	s_delay_alu instid0(SALU_CYCLE_1)
	s_and_not1_b32 vcc_lo, exec_lo, s3
	s_cbranch_vccnz .LBB521_2196
; %bb.2187:
	v_and_b32_e32 v3, 0x7fffffff, v4
	s_mov_b32 s3, exec_lo
                                        ; implicit-def: $vgpr2
	s_delay_alu instid0(VALU_DEP_1)
	v_cmpx_gt_u32_e32 0x47800000, v3
	s_xor_b32 s3, exec_lo, s3
	s_cbranch_execz .LBB521_2193
; %bb.2188:
	s_mov_b32 s4, exec_lo
                                        ; implicit-def: $vgpr2
	v_cmpx_lt_u32_e32 0x387fffff, v3
	s_xor_b32 s4, exec_lo, s4
; %bb.2189:
	v_bfe_u32 v2, v4, 21, 1
	s_delay_alu instid0(VALU_DEP_1) | instskip(NEXT) | instid1(VALU_DEP_1)
	v_add3_u32 v2, v4, v2, 0x80fffff
	v_lshrrev_b32_e32 v2, 21, v2
; %bb.2190:
	s_and_not1_saveexec_b32 s4, s4
; %bb.2191:
	v_add_f32_e64 v2, 0x43000000, |v4|
; %bb.2192:
	s_or_b32 exec_lo, exec_lo, s4
                                        ; implicit-def: $vgpr3
.LBB521_2193:
	s_and_not1_saveexec_b32 s3, s3
; %bb.2194:
	v_mov_b32_e32 v2, 0x7f
	v_cmp_lt_u32_e32 vcc_lo, 0x7f800000, v3
	s_delay_alu instid0(VALU_DEP_2)
	v_cndmask_b32_e32 v2, 0x7c, v2, vcc_lo
; %bb.2195:
	s_or_b32 exec_lo, exec_lo, s3
	v_lshrrev_b32_e32 v3, 24, v4
	s_delay_alu instid0(VALU_DEP_1)
	v_and_or_b32 v2, 0x80, v3, v2
	global_store_b8 v[0:1], v2, off
.LBB521_2196:
	s_mov_b32 s3, 0
.LBB521_2197:
	s_delay_alu instid0(SALU_CYCLE_1)
	s_and_not1_b32 vcc_lo, exec_lo, s3
	s_mov_b32 s3, 0
	s_cbranch_vccnz .LBB521_2204
; %bb.2198:
	v_cmp_gt_i16_e64 s3, s2, 14
	s_delay_alu instid0(VALU_DEP_1)
	s_and_b32 vcc_lo, exec_lo, s3
	s_mov_b32 s3, -1
	s_cbranch_vccz .LBB521_2202
; %bb.2199:
	v_cmp_eq_u16_e64 s0, s2, 15
	s_delay_alu instid0(VALU_DEP_1)
	s_and_b32 vcc_lo, exec_lo, s0
	s_mov_b32 s0, -1
	s_cbranch_vccz .LBB521_2201
; %bb.2200:
	v_bfe_u32 v2, v4, 16, 1
	v_cmp_o_f32_e32 vcc_lo, v4, v4
	s_mov_b32 s0, 0
	s_delay_alu instid0(VALU_DEP_2) | instskip(NEXT) | instid1(VALU_DEP_1)
	v_add3_u32 v2, v4, v2, 0x7fff
	v_lshrrev_b32_e32 v2, 16, v2
	s_delay_alu instid0(VALU_DEP_1)
	v_cndmask_b32_e32 v2, 0x7fc0, v2, vcc_lo
	global_store_b16 v[0:1], v2, off
.LBB521_2201:
	s_mov_b32 s3, 0
.LBB521_2202:
	s_delay_alu instid0(SALU_CYCLE_1)
	s_and_b32 vcc_lo, exec_lo, s3
	s_mov_b32 s3, 0
	s_cbranch_vccz .LBB521_2204
; %bb.2203:
	v_cmp_ne_u16_e64 s0, s2, 11
	s_mov_b32 s3, -1
.LBB521_2204:
	s_delay_alu instid0(VALU_DEP_1)
	s_and_b32 vcc_lo, exec_lo, s0
	s_cbranch_vccnz .LBB521_2210
.LBB521_2205:
	s_mov_b32 s0, 0
	s_branch .LBB521_1700
.LBB521_2206:
	s_or_saveexec_b32 s6, s6
                                        ; implicit-def: $sgpr7
	s_delay_alu instid0(SALU_CYCLE_1)
	s_xor_b32 exec_lo, exec_lo, s6
	s_cbranch_execz .LBB521_2159
.LBB521_2207:
	v_add_f32_e64 v2, 0x46000000, |v4|
	s_and_not1_b32 s5, s5, exec_lo
	s_mov_b32 s7, 0
	s_delay_alu instid0(VALU_DEP_1) | instskip(NEXT) | instid1(VALU_DEP_1)
	v_and_b32_e32 v2, 0xff, v2
	v_cmp_ne_u32_e32 vcc_lo, 0, v2
	s_and_b32 s10, vcc_lo, exec_lo
	s_delay_alu instid0(SALU_CYCLE_1)
	s_or_b32 s5, s5, s10
	s_or_b32 exec_lo, exec_lo, s6
	v_mov_b32_e32 v3, s7
	s_and_saveexec_b32 s6, s5
	s_cbranch_execnz .LBB521_2160
	s_branch .LBB521_2161
.LBB521_2208:
	s_trap 2
	s_sendmsg_rtn_b32 s0, sendmsg(MSG_RTN_GET_DOORBELL)
	s_mov_b32 ttmp2, m0
	s_waitcnt lgkmcnt(0)
	s_and_b32 s0, s0, 0x3ff
	s_delay_alu instid0(SALU_CYCLE_1) | instskip(NEXT) | instid1(SALU_CYCLE_1)
	s_bitset1_b32 s0, 10
	s_mov_b32 m0, s0
	s_sendmsg sendmsg(MSG_INTERRUPT)
	s_mov_b32 m0, ttmp2
.LBB521_2209:                           ; =>This Inner Loop Header: Depth=1
	s_sethalt 5
	s_branch .LBB521_2209
.LBB521_2210:
	s_cbranch_execnz .LBB521_2214
; %bb.2211:
	s_mov_b32 s3, 0
	s_or_b32 s1, s1, exec_lo
	s_branch .LBB521_2205
.LBB521_2212:
	s_or_saveexec_b32 s5, s5
                                        ; implicit-def: $sgpr6
	s_delay_alu instid0(SALU_CYCLE_1)
	s_xor_b32 exec_lo, exec_lo, s5
	s_cbranch_execz .LBB521_2171
.LBB521_2213:
	v_add_f32_e64 v2, 0x42800000, |v4|
	s_and_not1_b32 s4, s4, exec_lo
	s_mov_b32 s6, 0
	s_delay_alu instid0(VALU_DEP_1) | instskip(NEXT) | instid1(VALU_DEP_1)
	v_and_b32_e32 v2, 0xff, v2
	v_cmp_ne_u32_e32 vcc_lo, 0, v2
	s_and_b32 s7, vcc_lo, exec_lo
	s_delay_alu instid0(SALU_CYCLE_1)
	s_or_b32 s4, s4, s7
	s_or_b32 exec_lo, exec_lo, s5
	v_mov_b32_e32 v3, s6
	s_and_saveexec_b32 s5, s4
	s_cbranch_execnz .LBB521_2172
	s_branch .LBB521_2173
.LBB521_2214:
	s_trap 2
	s_sendmsg_rtn_b32 s0, sendmsg(MSG_RTN_GET_DOORBELL)
	s_mov_b32 ttmp2, m0
	s_waitcnt lgkmcnt(0)
	s_and_b32 s0, s0, 0x3ff
	s_delay_alu instid0(SALU_CYCLE_1) | instskip(NEXT) | instid1(SALU_CYCLE_1)
	s_bitset1_b32 s0, 10
	s_mov_b32 m0, s0
	s_sendmsg sendmsg(MSG_INTERRUPT)
	s_mov_b32 m0, ttmp2
.LBB521_2215:                           ; =>This Inner Loop Header: Depth=1
	s_sethalt 5
	s_branch .LBB521_2215
	.section	.rodata,"a",@progbits
	.p2align	6, 0x0
	.amdhsa_kernel _ZN2at6native32elementwise_kernel_manual_unrollILi128ELi4EZNS0_15gpu_kernel_implIZZZNS0_22nan_to_num_kernel_cudaERNS_18TensorIteratorBaseESt8optionalIdES6_S6_ENKUlvE0_clEvENKUlvE0_clEvEUlfE_EEvS4_RKT_EUlibE0_EEviT1_
		.amdhsa_group_segment_fixed_size 0
		.amdhsa_private_segment_fixed_size 0
		.amdhsa_kernarg_size 368
		.amdhsa_user_sgpr_count 15
		.amdhsa_user_sgpr_dispatch_ptr 0
		.amdhsa_user_sgpr_queue_ptr 0
		.amdhsa_user_sgpr_kernarg_segment_ptr 1
		.amdhsa_user_sgpr_dispatch_id 0
		.amdhsa_user_sgpr_private_segment_size 0
		.amdhsa_wavefront_size32 1
		.amdhsa_uses_dynamic_stack 0
		.amdhsa_enable_private_segment 0
		.amdhsa_system_sgpr_workgroup_id_x 1
		.amdhsa_system_sgpr_workgroup_id_y 0
		.amdhsa_system_sgpr_workgroup_id_z 0
		.amdhsa_system_sgpr_workgroup_info 0
		.amdhsa_system_vgpr_workitem_id 0
		.amdhsa_next_free_vgpr 18
		.amdhsa_next_free_sgpr 72
		.amdhsa_reserve_vcc 1
		.amdhsa_float_round_mode_32 0
		.amdhsa_float_round_mode_16_64 0
		.amdhsa_float_denorm_mode_32 3
		.amdhsa_float_denorm_mode_16_64 3
		.amdhsa_dx10_clamp 1
		.amdhsa_ieee_mode 1
		.amdhsa_fp16_overflow 0
		.amdhsa_workgroup_processor_mode 1
		.amdhsa_memory_ordered 1
		.amdhsa_forward_progress 0
		.amdhsa_shared_vgpr_count 0
		.amdhsa_exception_fp_ieee_invalid_op 0
		.amdhsa_exception_fp_denorm_src 0
		.amdhsa_exception_fp_ieee_div_zero 0
		.amdhsa_exception_fp_ieee_overflow 0
		.amdhsa_exception_fp_ieee_underflow 0
		.amdhsa_exception_fp_ieee_inexact 0
		.amdhsa_exception_int_div_zero 0
	.end_amdhsa_kernel
	.section	.text._ZN2at6native32elementwise_kernel_manual_unrollILi128ELi4EZNS0_15gpu_kernel_implIZZZNS0_22nan_to_num_kernel_cudaERNS_18TensorIteratorBaseESt8optionalIdES6_S6_ENKUlvE0_clEvENKUlvE0_clEvEUlfE_EEvS4_RKT_EUlibE0_EEviT1_,"axG",@progbits,_ZN2at6native32elementwise_kernel_manual_unrollILi128ELi4EZNS0_15gpu_kernel_implIZZZNS0_22nan_to_num_kernel_cudaERNS_18TensorIteratorBaseESt8optionalIdES6_S6_ENKUlvE0_clEvENKUlvE0_clEvEUlfE_EEvS4_RKT_EUlibE0_EEviT1_,comdat
.Lfunc_end521:
	.size	_ZN2at6native32elementwise_kernel_manual_unrollILi128ELi4EZNS0_15gpu_kernel_implIZZZNS0_22nan_to_num_kernel_cudaERNS_18TensorIteratorBaseESt8optionalIdES6_S6_ENKUlvE0_clEvENKUlvE0_clEvEUlfE_EEvS4_RKT_EUlibE0_EEviT1_, .Lfunc_end521-_ZN2at6native32elementwise_kernel_manual_unrollILi128ELi4EZNS0_15gpu_kernel_implIZZZNS0_22nan_to_num_kernel_cudaERNS_18TensorIteratorBaseESt8optionalIdES6_S6_ENKUlvE0_clEvENKUlvE0_clEvEUlfE_EEvS4_RKT_EUlibE0_EEviT1_
                                        ; -- End function
	.section	.AMDGPU.csdata,"",@progbits
; Kernel info:
; codeLenInByte = 43388
; NumSgprs: 74
; NumVgprs: 18
; ScratchSize: 0
; MemoryBound: 1
; FloatMode: 240
; IeeeMode: 1
; LDSByteSize: 0 bytes/workgroup (compile time only)
; SGPRBlocks: 9
; VGPRBlocks: 2
; NumSGPRsForWavesPerEU: 74
; NumVGPRsForWavesPerEU: 18
; Occupancy: 16
; WaveLimiterHint : 1
; COMPUTE_PGM_RSRC2:SCRATCH_EN: 0
; COMPUTE_PGM_RSRC2:USER_SGPR: 15
; COMPUTE_PGM_RSRC2:TRAP_HANDLER: 0
; COMPUTE_PGM_RSRC2:TGID_X_EN: 1
; COMPUTE_PGM_RSRC2:TGID_Y_EN: 0
; COMPUTE_PGM_RSRC2:TGID_Z_EN: 0
; COMPUTE_PGM_RSRC2:TIDIG_COMP_CNT: 0
	.section	.text._ZN2at6native29vectorized_elementwise_kernelILi16EZZZNS0_22nan_to_num_kernel_cudaERNS_18TensorIteratorBaseESt8optionalIdES5_S5_ENKUlvE0_clEvENKUlvE1_clEvEUlN3c104HalfEE_St5arrayIPcLm2EEEEviT0_T1_,"axG",@progbits,_ZN2at6native29vectorized_elementwise_kernelILi16EZZZNS0_22nan_to_num_kernel_cudaERNS_18TensorIteratorBaseESt8optionalIdES5_S5_ENKUlvE0_clEvENKUlvE1_clEvEUlN3c104HalfEE_St5arrayIPcLm2EEEEviT0_T1_,comdat
	.globl	_ZN2at6native29vectorized_elementwise_kernelILi16EZZZNS0_22nan_to_num_kernel_cudaERNS_18TensorIteratorBaseESt8optionalIdES5_S5_ENKUlvE0_clEvENKUlvE1_clEvEUlN3c104HalfEE_St5arrayIPcLm2EEEEviT0_T1_ ; -- Begin function _ZN2at6native29vectorized_elementwise_kernelILi16EZZZNS0_22nan_to_num_kernel_cudaERNS_18TensorIteratorBaseESt8optionalIdES5_S5_ENKUlvE0_clEvENKUlvE1_clEvEUlN3c104HalfEE_St5arrayIPcLm2EEEEviT0_T1_
	.p2align	8
	.type	_ZN2at6native29vectorized_elementwise_kernelILi16EZZZNS0_22nan_to_num_kernel_cudaERNS_18TensorIteratorBaseESt8optionalIdES5_S5_ENKUlvE0_clEvENKUlvE1_clEvEUlN3c104HalfEE_St5arrayIPcLm2EEEEviT0_T1_,@function
_ZN2at6native29vectorized_elementwise_kernelILi16EZZZNS0_22nan_to_num_kernel_cudaERNS_18TensorIteratorBaseESt8optionalIdES5_S5_ENKUlvE0_clEvENKUlvE1_clEvEUlN3c104HalfEE_St5arrayIPcLm2EEEEviT0_T1_: ; @_ZN2at6native29vectorized_elementwise_kernelILi16EZZZNS0_22nan_to_num_kernel_cudaERNS_18TensorIteratorBaseESt8optionalIdES5_S5_ENKUlvE0_clEvENKUlvE1_clEvEUlN3c104HalfEE_St5arrayIPcLm2EEEEviT0_T1_
; %bb.0:
	s_clause 0x2
	s_load_b64 s[8:9], s[0:1], 0x0
	s_load_b32 s10, s[0:1], 0x8
	s_load_b128 s[4:7], s[0:1], 0x10
	s_lshl_b32 s2, s15, 11
	s_mov_b32 s0, -1
	s_waitcnt lgkmcnt(0)
	s_sub_i32 s8, s8, s2
	s_delay_alu instid0(SALU_CYCLE_1)
	s_cmpk_gt_i32 s8, 0x7ff
	s_cbranch_scc0 .LBB522_34
; %bb.1:
	s_ashr_i32 s3, s2, 31
	v_dual_mov_b32 v6, s9 :: v_dual_lshlrev_b32 v5, 4, v0
	s_lshl_b64 s[0:1], s[2:3], 1
	s_lshr_b32 s3, s9, 16
	s_add_u32 s12, s6, s0
	s_addc_u32 s13, s7, s1
	s_mov_b32 s11, exec_lo
	global_load_b128 v[1:4], v5, s[12:13]
	s_waitcnt vmcnt(0)
	v_cmpx_o_f16_e32 v1, v1
	s_cbranch_execz .LBB522_5
; %bb.2:
	v_mov_b32_e32 v6, s3
	s_mov_b32 s12, exec_lo
	v_cmpx_neq_f16_e32 0x7c00, v1
; %bb.3:
	v_cmp_eq_f16_e32 vcc_lo, 0xfc00, v1
	v_cndmask_b32_e64 v6, v1, s10, vcc_lo
; %bb.4:
	s_or_b32 exec_lo, exec_lo, s12
.LBB522_5:
	s_delay_alu instid0(SALU_CYCLE_1) | instskip(SKIP_3) | instid1(VALU_DEP_2)
	s_or_b32 exec_lo, exec_lo, s11
	v_lshrrev_b32_e32 v7, 16, v1
	v_mov_b32_e32 v1, s9
	s_mov_b32 s11, exec_lo
	v_cmpx_o_f16_e32 v7, v7
	s_cbranch_execz .LBB522_9
; %bb.6:
	v_mov_b32_e32 v1, s3
	s_mov_b32 s12, exec_lo
	v_cmpx_neq_f16_e32 0x7c00, v7
; %bb.7:
	v_cmp_eq_f16_e32 vcc_lo, 0xfc00, v7
	v_cndmask_b32_e64 v1, v7, s10, vcc_lo
; %bb.8:
	s_or_b32 exec_lo, exec_lo, s12
.LBB522_9:
	s_delay_alu instid0(SALU_CYCLE_1)
	s_or_b32 exec_lo, exec_lo, s11
	v_mov_b32_e32 v7, s9
	s_mov_b32 s11, exec_lo
	v_cmpx_o_f16_e32 v2, v2
	s_cbranch_execz .LBB522_13
; %bb.10:
	v_mov_b32_e32 v7, s3
	s_mov_b32 s12, exec_lo
	v_cmpx_neq_f16_e32 0x7c00, v2
; %bb.11:
	v_cmp_eq_f16_e32 vcc_lo, 0xfc00, v2
	v_cndmask_b32_e64 v7, v2, s10, vcc_lo
; %bb.12:
	s_or_b32 exec_lo, exec_lo, s12
.LBB522_13:
	s_delay_alu instid0(SALU_CYCLE_1) | instskip(SKIP_3) | instid1(VALU_DEP_2)
	s_or_b32 exec_lo, exec_lo, s11
	v_lshrrev_b32_e32 v8, 16, v2
	v_mov_b32_e32 v2, s9
	s_mov_b32 s11, exec_lo
	v_cmpx_o_f16_e32 v8, v8
	s_cbranch_execz .LBB522_17
; %bb.14:
	v_mov_b32_e32 v2, s3
	s_mov_b32 s12, exec_lo
	v_cmpx_neq_f16_e32 0x7c00, v8
; %bb.15:
	v_cmp_eq_f16_e32 vcc_lo, 0xfc00, v8
	v_cndmask_b32_e64 v2, v8, s10, vcc_lo
; %bb.16:
	s_or_b32 exec_lo, exec_lo, s12
.LBB522_17:
	s_delay_alu instid0(SALU_CYCLE_1)
	s_or_b32 exec_lo, exec_lo, s11
	v_mov_b32_e32 v8, s9
	s_mov_b32 s11, exec_lo
	;; [unrolled: 33-line block ×3, first 2 shown]
	v_cmpx_o_f16_e32 v4, v4
	s_cbranch_execz .LBB522_29
; %bb.26:
	v_mov_b32_e32 v9, s3
	s_mov_b32 s12, exec_lo
	v_cmpx_neq_f16_e32 0x7c00, v4
; %bb.27:
	v_cmp_eq_f16_e32 vcc_lo, 0xfc00, v4
	v_cndmask_b32_e64 v9, v4, s10, vcc_lo
; %bb.28:
	s_or_b32 exec_lo, exec_lo, s12
.LBB522_29:
	s_delay_alu instid0(SALU_CYCLE_1) | instskip(SKIP_3) | instid1(VALU_DEP_2)
	s_or_b32 exec_lo, exec_lo, s11
	v_lshrrev_b32_e32 v10, 16, v4
	v_mov_b32_e32 v4, s9
	s_mov_b32 s11, exec_lo
	v_cmpx_o_f16_e32 v10, v10
	s_cbranch_execz .LBB522_33
; %bb.30:
	v_mov_b32_e32 v4, s3
	s_mov_b32 s3, exec_lo
	v_cmpx_neq_f16_e32 0x7c00, v10
; %bb.31:
	v_cmp_eq_f16_e32 vcc_lo, 0xfc00, v10
	v_cndmask_b32_e64 v4, v10, s10, vcc_lo
; %bb.32:
	s_or_b32 exec_lo, exec_lo, s3
.LBB522_33:
	s_delay_alu instid0(SALU_CYCLE_1) | instskip(NEXT) | instid1(VALU_DEP_1)
	s_or_b32 exec_lo, exec_lo, s11
	v_perm_b32 v4, v4, v9, 0x5040100
	v_perm_b32 v3, v3, v8, 0x5040100
	;; [unrolled: 1-line block ×4, first 2 shown]
	s_add_u32 s12, s4, s0
	s_addc_u32 s13, s5, s1
	s_mov_b32 s0, 0
	global_store_b128 v5, v[1:4], s[12:13]
.LBB522_34:
	s_and_b32 vcc_lo, exec_lo, s0
	s_cbranch_vccz .LBB522_107
; %bb.35:
	v_cmp_gt_i32_e32 vcc_lo, s8, v0
	v_mov_b32_e32 v8, 0
	v_or_b32_e32 v1, s2, v0
	v_or_b32_e32 v3, 0x100, v0
	v_mov_b32_e32 v6, 0
	v_mov_b32_e32 v4, v0
	s_and_saveexec_b32 s1, vcc_lo
	s_cbranch_execz .LBB522_37
; %bb.36:
	v_mov_b32_e32 v2, 0
	s_delay_alu instid0(VALU_DEP_1) | instskip(NEXT) | instid1(VALU_DEP_1)
	v_lshlrev_b64 v[4:5], 1, v[1:2]
	v_add_co_u32 v4, s0, s6, v4
	s_delay_alu instid0(VALU_DEP_1)
	v_add_co_ci_u32_e64 v5, s0, s7, v5, s0
	global_load_u16 v6, v[4:5], off
	v_or_b32_e32 v4, 0x100, v0
.LBB522_37:
	s_or_b32 exec_lo, exec_lo, s1
	s_delay_alu instid0(SALU_CYCLE_1) | instskip(NEXT) | instid1(VALU_DEP_1)
	s_mov_b32 s1, exec_lo
	v_cmpx_gt_i32_e64 s8, v4
	s_cbranch_execz .LBB522_39
; %bb.38:
	v_dual_mov_b32 v8, 0 :: v_dual_add_nc_u32 v7, s2, v4
	v_add_nc_u32_e32 v4, 0x100, v4
	s_delay_alu instid0(VALU_DEP_2) | instskip(NEXT) | instid1(VALU_DEP_1)
	v_lshlrev_b64 v[7:8], 1, v[7:8]
	v_add_co_u32 v7, s0, s6, v7
	s_delay_alu instid0(VALU_DEP_1)
	v_add_co_ci_u32_e64 v8, s0, s7, v8, s0
	global_load_u16 v8, v[7:8], off
.LBB522_39:
	s_or_b32 exec_lo, exec_lo, s1
	v_dual_mov_b32 v9, 0 :: v_dual_mov_b32 v10, 0
	s_mov_b32 s1, exec_lo
	v_cmpx_gt_i32_e64 s8, v4
	s_cbranch_execz .LBB522_41
; %bb.40:
	v_dual_mov_b32 v11, 0 :: v_dual_add_nc_u32 v10, s2, v4
	v_add_nc_u32_e32 v4, 0x100, v4
	s_delay_alu instid0(VALU_DEP_2) | instskip(NEXT) | instid1(VALU_DEP_1)
	v_lshlrev_b64 v[10:11], 1, v[10:11]
	v_add_co_u32 v10, s0, s6, v10
	s_delay_alu instid0(VALU_DEP_1)
	v_add_co_ci_u32_e64 v11, s0, s7, v11, s0
	global_load_u16 v10, v[10:11], off
.LBB522_41:
	s_or_b32 exec_lo, exec_lo, s1
	s_delay_alu instid0(SALU_CYCLE_1)
	s_mov_b32 s1, exec_lo
	v_cmpx_gt_i32_e64 s8, v4
	s_cbranch_execz .LBB522_43
; %bb.42:
	v_dual_mov_b32 v12, 0 :: v_dual_add_nc_u32 v11, s2, v4
	v_add_nc_u32_e32 v4, 0x100, v4
	s_delay_alu instid0(VALU_DEP_2) | instskip(NEXT) | instid1(VALU_DEP_1)
	v_lshlrev_b64 v[11:12], 1, v[11:12]
	v_add_co_u32 v11, s0, s6, v11
	s_delay_alu instid0(VALU_DEP_1)
	v_add_co_ci_u32_e64 v12, s0, s7, v12, s0
	global_load_u16 v9, v[11:12], off
.LBB522_43:
	s_or_b32 exec_lo, exec_lo, s1
	v_mov_b32_e32 v5, 0
	v_mov_b32_e32 v11, 0
	s_mov_b32 s1, exec_lo
	v_cmpx_gt_i32_e64 s8, v4
	s_cbranch_execz .LBB522_45
; %bb.44:
	v_dual_mov_b32 v12, 0 :: v_dual_add_nc_u32 v11, s2, v4
	v_add_nc_u32_e32 v4, 0x100, v4
	s_delay_alu instid0(VALU_DEP_2) | instskip(NEXT) | instid1(VALU_DEP_1)
	v_lshlrev_b64 v[11:12], 1, v[11:12]
	v_add_co_u32 v11, s0, s6, v11
	s_delay_alu instid0(VALU_DEP_1)
	v_add_co_ci_u32_e64 v12, s0, s7, v12, s0
	global_load_u16 v11, v[11:12], off
.LBB522_45:
	s_or_b32 exec_lo, exec_lo, s1
	s_delay_alu instid0(SALU_CYCLE_1)
	s_mov_b32 s1, exec_lo
	v_cmpx_gt_i32_e64 s8, v4
	s_cbranch_execz .LBB522_47
; %bb.46:
	v_dual_mov_b32 v13, 0 :: v_dual_add_nc_u32 v12, s2, v4
	v_add_nc_u32_e32 v4, 0x100, v4
	s_delay_alu instid0(VALU_DEP_2) | instskip(NEXT) | instid1(VALU_DEP_1)
	v_lshlrev_b64 v[12:13], 1, v[12:13]
	v_add_co_u32 v12, s0, s6, v12
	s_delay_alu instid0(VALU_DEP_1)
	v_add_co_ci_u32_e64 v13, s0, s7, v13, s0
	global_load_u16 v5, v[12:13], off
.LBB522_47:
	s_or_b32 exec_lo, exec_lo, s1
	v_dual_mov_b32 v2, 0 :: v_dual_mov_b32 v7, 0
	s_mov_b32 s1, exec_lo
	v_cmpx_gt_i32_e64 s8, v4
	s_cbranch_execz .LBB522_49
; %bb.48:
	v_dual_mov_b32 v13, 0 :: v_dual_add_nc_u32 v12, s2, v4
	v_add_nc_u32_e32 v4, 0x100, v4
	s_delay_alu instid0(VALU_DEP_2) | instskip(NEXT) | instid1(VALU_DEP_1)
	v_lshlrev_b64 v[12:13], 1, v[12:13]
	v_add_co_u32 v12, s0, s6, v12
	s_delay_alu instid0(VALU_DEP_1) | instskip(SKIP_2) | instid1(SALU_CYCLE_1)
	v_add_co_ci_u32_e64 v13, s0, s7, v13, s0
	global_load_u16 v7, v[12:13], off
	s_or_b32 exec_lo, exec_lo, s1
	s_mov_b32 s1, exec_lo
	v_cmpx_gt_i32_e64 s8, v4
	s_cbranch_execz .LBB522_51
	s_branch .LBB522_50
.LBB522_49:
	s_or_b32 exec_lo, exec_lo, s1
	s_delay_alu instid0(SALU_CYCLE_1)
	s_mov_b32 s1, exec_lo
	v_cmpx_gt_i32_e64 s8, v4
	s_cbranch_execz .LBB522_51
.LBB522_50:
	v_dual_mov_b32 v13, 0 :: v_dual_add_nc_u32 v12, s2, v4
	s_delay_alu instid0(VALU_DEP_1) | instskip(NEXT) | instid1(VALU_DEP_1)
	v_lshlrev_b64 v[12:13], 1, v[12:13]
	v_add_co_u32 v12, s0, s6, v12
	s_delay_alu instid0(VALU_DEP_1)
	v_add_co_ci_u32_e64 v13, s0, s7, v13, s0
	global_load_u16 v2, v[12:13], off
.LBB522_51:
	s_or_b32 exec_lo, exec_lo, s1
	s_lshr_b32 s1, s9, 16
                                        ; implicit-def: $vgpr4
	s_and_saveexec_b32 s3, vcc_lo
	s_cbranch_execz .LBB522_57
; %bb.52:
	v_mov_b32_e32 v4, s9
	s_mov_b32 s6, exec_lo
	s_waitcnt vmcnt(0)
	v_cmpx_o_f16_e32 v6, v6
	s_cbranch_execz .LBB522_56
; %bb.53:
	v_mov_b32_e32 v4, s1
	s_mov_b32 s7, exec_lo
	v_cmpx_neq_f16_e32 0x7c00, v6
; %bb.54:
	v_cmp_eq_f16_e64 s0, 0xfc00, v6
	s_delay_alu instid0(VALU_DEP_1)
	v_cndmask_b32_e64 v4, v6, s10, s0
; %bb.55:
	s_or_b32 exec_lo, exec_lo, s7
.LBB522_56:
	s_delay_alu instid0(SALU_CYCLE_1)
	s_or_b32 exec_lo, exec_lo, s6
.LBB522_57:
	s_delay_alu instid0(SALU_CYCLE_1) | instskip(NEXT) | instid1(SALU_CYCLE_1)
	s_or_b32 exec_lo, exec_lo, s3
	s_mov_b32 s3, exec_lo
                                        ; implicit-def: $vgpr6
	v_cmpx_gt_i32_e64 s8, v3
	s_cbranch_execz .LBB522_63
; %bb.58:
	s_waitcnt vmcnt(0)
	v_mov_b32_e32 v6, s9
	s_mov_b32 s6, exec_lo
	v_cmpx_o_f16_e32 v8, v8
	s_cbranch_execz .LBB522_62
; %bb.59:
	v_mov_b32_e32 v6, s1
	s_mov_b32 s7, exec_lo
	v_cmpx_neq_f16_e32 0x7c00, v8
; %bb.60:
	v_cmp_eq_f16_e64 s0, 0xfc00, v8
	s_delay_alu instid0(VALU_DEP_1)
	v_cndmask_b32_e64 v6, v8, s10, s0
; %bb.61:
	s_or_b32 exec_lo, exec_lo, s7
.LBB522_62:
	s_delay_alu instid0(SALU_CYCLE_1)
	s_or_b32 exec_lo, exec_lo, s6
.LBB522_63:
	s_delay_alu instid0(SALU_CYCLE_1) | instskip(SKIP_2) | instid1(VALU_DEP_1)
	s_or_b32 exec_lo, exec_lo, s3
	s_waitcnt vmcnt(0)
	v_or_b32_e32 v8, 0x200, v0
	v_cmp_gt_i32_e64 s0, s8, v8
                                        ; implicit-def: $vgpr8
	s_delay_alu instid0(VALU_DEP_1)
	s_and_saveexec_b32 s3, s0
	s_cbranch_execz .LBB522_69
; %bb.64:
	v_mov_b32_e32 v8, s9
	s_mov_b32 s6, exec_lo
	v_cmpx_o_f16_e32 v10, v10
	s_cbranch_execz .LBB522_68
; %bb.65:
	v_mov_b32_e32 v8, s1
	s_mov_b32 s7, exec_lo
	v_cmpx_neq_f16_e32 0x7c00, v10
; %bb.66:
	v_cmp_eq_f16_e64 s0, 0xfc00, v10
	s_delay_alu instid0(VALU_DEP_1)
	v_cndmask_b32_e64 v8, v10, s10, s0
; %bb.67:
	s_or_b32 exec_lo, exec_lo, s7
.LBB522_68:
	s_delay_alu instid0(SALU_CYCLE_1)
	s_or_b32 exec_lo, exec_lo, s6
.LBB522_69:
	s_delay_alu instid0(SALU_CYCLE_1) | instskip(SKIP_1) | instid1(VALU_DEP_1)
	s_or_b32 exec_lo, exec_lo, s3
	v_or_b32_e32 v10, 0x300, v0
	v_cmp_gt_i32_e64 s0, s8, v10
                                        ; implicit-def: $vgpr10
	s_delay_alu instid0(VALU_DEP_1)
	s_and_saveexec_b32 s3, s0
	s_cbranch_execz .LBB522_75
; %bb.70:
	v_mov_b32_e32 v10, s9
	s_mov_b32 s6, exec_lo
	v_cmpx_o_f16_e32 v9, v9
	s_cbranch_execz .LBB522_74
; %bb.71:
	v_mov_b32_e32 v10, s1
	s_mov_b32 s7, exec_lo
	v_cmpx_neq_f16_e32 0x7c00, v9
; %bb.72:
	v_cmp_eq_f16_e64 s0, 0xfc00, v9
	s_delay_alu instid0(VALU_DEP_1)
	v_cndmask_b32_e64 v10, v9, s10, s0
; %bb.73:
	s_or_b32 exec_lo, exec_lo, s7
.LBB522_74:
	s_delay_alu instid0(SALU_CYCLE_1)
	s_or_b32 exec_lo, exec_lo, s6
.LBB522_75:
	s_delay_alu instid0(SALU_CYCLE_1) | instskip(SKIP_1) | instid1(VALU_DEP_1)
	s_or_b32 exec_lo, exec_lo, s3
	v_or_b32_e32 v9, 0x400, v0
	v_cmp_gt_i32_e64 s0, s8, v9
                                        ; implicit-def: $vgpr9
	s_delay_alu instid0(VALU_DEP_1)
	s_and_saveexec_b32 s3, s0
	s_cbranch_execz .LBB522_81
; %bb.76:
	v_mov_b32_e32 v9, s9
	s_mov_b32 s6, exec_lo
	v_cmpx_o_f16_e32 v11, v11
	s_cbranch_execz .LBB522_80
; %bb.77:
	v_mov_b32_e32 v9, s1
	s_mov_b32 s7, exec_lo
	v_cmpx_neq_f16_e32 0x7c00, v11
; %bb.78:
	v_cmp_eq_f16_e64 s0, 0xfc00, v11
	s_delay_alu instid0(VALU_DEP_1)
	v_cndmask_b32_e64 v9, v11, s10, s0
; %bb.79:
	s_or_b32 exec_lo, exec_lo, s7
.LBB522_80:
	s_delay_alu instid0(SALU_CYCLE_1)
	s_or_b32 exec_lo, exec_lo, s6
.LBB522_81:
	s_delay_alu instid0(SALU_CYCLE_1) | instskip(SKIP_1) | instid1(VALU_DEP_1)
	s_or_b32 exec_lo, exec_lo, s3
	v_or_b32_e32 v11, 0x500, v0
	v_cmp_gt_i32_e64 s0, s8, v11
                                        ; implicit-def: $vgpr11
	s_delay_alu instid0(VALU_DEP_1)
	s_and_saveexec_b32 s3, s0
	s_cbranch_execz .LBB522_87
; %bb.82:
	v_mov_b32_e32 v11, s9
	s_mov_b32 s6, exec_lo
	v_cmpx_o_f16_e32 v5, v5
	s_cbranch_execz .LBB522_86
; %bb.83:
	v_mov_b32_e32 v11, s1
	s_mov_b32 s7, exec_lo
	v_cmpx_neq_f16_e32 0x7c00, v5
; %bb.84:
	v_cmp_eq_f16_e64 s0, 0xfc00, v5
	s_delay_alu instid0(VALU_DEP_1)
	v_cndmask_b32_e64 v11, v5, s10, s0
; %bb.85:
	s_or_b32 exec_lo, exec_lo, s7
.LBB522_86:
	s_delay_alu instid0(SALU_CYCLE_1)
	s_or_b32 exec_lo, exec_lo, s6
.LBB522_87:
	s_delay_alu instid0(SALU_CYCLE_1) | instskip(SKIP_1) | instid1(VALU_DEP_1)
	s_or_b32 exec_lo, exec_lo, s3
	v_or_b32_e32 v5, 0x600, v0
	v_cmp_gt_i32_e64 s0, s8, v5
                                        ; implicit-def: $vgpr5
	s_delay_alu instid0(VALU_DEP_1)
	s_and_saveexec_b32 s3, s0
	s_cbranch_execz .LBB522_93
; %bb.88:
	v_mov_b32_e32 v5, s9
	s_mov_b32 s6, exec_lo
	v_cmpx_o_f16_e32 v7, v7
	s_cbranch_execz .LBB522_92
; %bb.89:
	v_mov_b32_e32 v5, s1
	s_mov_b32 s7, exec_lo
	v_cmpx_neq_f16_e32 0x7c00, v7
; %bb.90:
	v_cmp_eq_f16_e64 s0, 0xfc00, v7
	s_delay_alu instid0(VALU_DEP_1)
	v_cndmask_b32_e64 v5, v7, s10, s0
; %bb.91:
	s_or_b32 exec_lo, exec_lo, s7
.LBB522_92:
	s_delay_alu instid0(SALU_CYCLE_1)
	s_or_b32 exec_lo, exec_lo, s6
.LBB522_93:
	s_delay_alu instid0(SALU_CYCLE_1) | instskip(SKIP_1) | instid1(VALU_DEP_1)
	s_or_b32 exec_lo, exec_lo, s3
	v_or_b32_e32 v7, 0x700, v0
	v_cmp_gt_i32_e64 s0, s8, v7
                                        ; implicit-def: $vgpr7
	s_delay_alu instid0(VALU_DEP_1)
	s_and_saveexec_b32 s3, s0
	s_cbranch_execz .LBB522_108
; %bb.94:
	v_mov_b32_e32 v7, s9
	s_mov_b32 s6, exec_lo
	v_cmpx_o_f16_e32 v2, v2
	s_cbranch_execz .LBB522_98
; %bb.95:
	v_mov_b32_e32 v7, s1
	s_mov_b32 s1, exec_lo
	v_cmpx_neq_f16_e32 0x7c00, v2
; %bb.96:
	v_cmp_eq_f16_e64 s0, 0xfc00, v2
	s_delay_alu instid0(VALU_DEP_1)
	v_cndmask_b32_e64 v7, v2, s10, s0
; %bb.97:
	s_or_b32 exec_lo, exec_lo, s1
.LBB522_98:
	s_delay_alu instid0(SALU_CYCLE_1) | instskip(NEXT) | instid1(SALU_CYCLE_1)
	s_or_b32 exec_lo, exec_lo, s6
	s_or_b32 exec_lo, exec_lo, s3
	s_and_saveexec_b32 s0, vcc_lo
	s_delay_alu instid0(SALU_CYCLE_1)
	s_xor_b32 s0, exec_lo, s0
	s_cbranch_execnz .LBB522_109
.LBB522_99:
	s_or_b32 exec_lo, exec_lo, s0
	s_delay_alu instid0(SALU_CYCLE_1)
	s_mov_b32 s0, exec_lo
	v_cmpx_gt_i32_e64 s8, v0
	s_cbranch_execz .LBB522_110
.LBB522_100:
	v_dual_mov_b32 v2, 0 :: v_dual_add_nc_u32 v1, s2, v0
	v_add_nc_u32_e32 v0, 0x100, v0
	s_delay_alu instid0(VALU_DEP_2) | instskip(NEXT) | instid1(VALU_DEP_1)
	v_lshlrev_b64 v[1:2], 1, v[1:2]
	v_add_co_u32 v1, vcc_lo, s4, v1
	s_delay_alu instid0(VALU_DEP_2) | instskip(SKIP_2) | instid1(SALU_CYCLE_1)
	v_add_co_ci_u32_e32 v2, vcc_lo, s5, v2, vcc_lo
	global_store_b16 v[1:2], v6, off
	s_or_b32 exec_lo, exec_lo, s0
	s_mov_b32 s0, exec_lo
	v_cmpx_gt_i32_e64 s8, v0
	s_cbranch_execnz .LBB522_111
.LBB522_101:
	s_or_b32 exec_lo, exec_lo, s0
	s_delay_alu instid0(SALU_CYCLE_1)
	s_mov_b32 s0, exec_lo
	v_cmpx_gt_i32_e64 s8, v0
	s_cbranch_execz .LBB522_112
.LBB522_102:
	v_dual_mov_b32 v2, 0 :: v_dual_add_nc_u32 v1, s2, v0
	v_add_nc_u32_e32 v0, 0x100, v0
	s_delay_alu instid0(VALU_DEP_2) | instskip(NEXT) | instid1(VALU_DEP_1)
	v_lshlrev_b64 v[1:2], 1, v[1:2]
	v_add_co_u32 v1, vcc_lo, s4, v1
	s_delay_alu instid0(VALU_DEP_2) | instskip(SKIP_2) | instid1(SALU_CYCLE_1)
	v_add_co_ci_u32_e32 v2, vcc_lo, s5, v2, vcc_lo
	global_store_b16 v[1:2], v10, off
	s_or_b32 exec_lo, exec_lo, s0
	s_mov_b32 s0, exec_lo
	v_cmpx_gt_i32_e64 s8, v0
	s_cbranch_execnz .LBB522_113
.LBB522_103:
	s_or_b32 exec_lo, exec_lo, s0
	s_delay_alu instid0(SALU_CYCLE_1)
	s_mov_b32 s0, exec_lo
	v_cmpx_gt_i32_e64 s8, v0
	s_cbranch_execz .LBB522_114
.LBB522_104:
	v_dual_mov_b32 v2, 0 :: v_dual_add_nc_u32 v1, s2, v0
	v_add_nc_u32_e32 v0, 0x100, v0
	s_delay_alu instid0(VALU_DEP_2) | instskip(NEXT) | instid1(VALU_DEP_1)
	v_lshlrev_b64 v[1:2], 1, v[1:2]
	v_add_co_u32 v1, vcc_lo, s4, v1
	s_delay_alu instid0(VALU_DEP_2) | instskip(SKIP_2) | instid1(SALU_CYCLE_1)
	v_add_co_ci_u32_e32 v2, vcc_lo, s5, v2, vcc_lo
	global_store_b16 v[1:2], v11, off
	s_or_b32 exec_lo, exec_lo, s0
	s_mov_b32 s0, exec_lo
	v_cmpx_gt_i32_e64 s8, v0
	s_cbranch_execnz .LBB522_115
.LBB522_105:
	s_or_b32 exec_lo, exec_lo, s0
	s_delay_alu instid0(SALU_CYCLE_1)
	s_mov_b32 s0, exec_lo
	v_cmpx_gt_i32_e64 s8, v0
	s_cbranch_execz .LBB522_107
.LBB522_106:
	v_dual_mov_b32 v1, 0 :: v_dual_add_nc_u32 v0, s2, v0
	s_delay_alu instid0(VALU_DEP_1) | instskip(NEXT) | instid1(VALU_DEP_1)
	v_lshlrev_b64 v[0:1], 1, v[0:1]
	v_add_co_u32 v0, vcc_lo, s4, v0
	s_delay_alu instid0(VALU_DEP_2)
	v_add_co_ci_u32_e32 v1, vcc_lo, s5, v1, vcc_lo
	global_store_b16 v[0:1], v7, off
.LBB522_107:
	s_nop 0
	s_sendmsg sendmsg(MSG_DEALLOC_VGPRS)
	s_endpgm
.LBB522_108:
	s_or_b32 exec_lo, exec_lo, s3
	s_and_saveexec_b32 s0, vcc_lo
	s_delay_alu instid0(SALU_CYCLE_1)
	s_xor_b32 s0, exec_lo, s0
	s_cbranch_execz .LBB522_99
.LBB522_109:
	v_mov_b32_e32 v2, 0
	s_delay_alu instid0(VALU_DEP_1) | instskip(NEXT) | instid1(VALU_DEP_1)
	v_lshlrev_b64 v[0:1], 1, v[1:2]
	v_add_co_u32 v12, vcc_lo, s4, v0
	s_delay_alu instid0(VALU_DEP_2) | instskip(SKIP_3) | instid1(SALU_CYCLE_1)
	v_add_co_ci_u32_e32 v13, vcc_lo, s5, v1, vcc_lo
	v_mov_b32_e32 v0, v3
	global_store_b16 v[12:13], v4, off
	s_or_b32 exec_lo, exec_lo, s0
	s_mov_b32 s0, exec_lo
	v_cmpx_gt_i32_e64 s8, v0
	s_cbranch_execnz .LBB522_100
.LBB522_110:
	s_or_b32 exec_lo, exec_lo, s0
	s_delay_alu instid0(SALU_CYCLE_1)
	s_mov_b32 s0, exec_lo
	v_cmpx_gt_i32_e64 s8, v0
	s_cbranch_execz .LBB522_101
.LBB522_111:
	v_dual_mov_b32 v2, 0 :: v_dual_add_nc_u32 v1, s2, v0
	v_add_nc_u32_e32 v0, 0x100, v0
	s_delay_alu instid0(VALU_DEP_2) | instskip(NEXT) | instid1(VALU_DEP_1)
	v_lshlrev_b64 v[1:2], 1, v[1:2]
	v_add_co_u32 v1, vcc_lo, s4, v1
	s_delay_alu instid0(VALU_DEP_2) | instskip(SKIP_2) | instid1(SALU_CYCLE_1)
	v_add_co_ci_u32_e32 v2, vcc_lo, s5, v2, vcc_lo
	global_store_b16 v[1:2], v8, off
	s_or_b32 exec_lo, exec_lo, s0
	s_mov_b32 s0, exec_lo
	v_cmpx_gt_i32_e64 s8, v0
	s_cbranch_execnz .LBB522_102
.LBB522_112:
	s_or_b32 exec_lo, exec_lo, s0
	s_delay_alu instid0(SALU_CYCLE_1)
	s_mov_b32 s0, exec_lo
	v_cmpx_gt_i32_e64 s8, v0
	s_cbranch_execz .LBB522_103
.LBB522_113:
	v_dual_mov_b32 v2, 0 :: v_dual_add_nc_u32 v1, s2, v0
	v_add_nc_u32_e32 v0, 0x100, v0
	s_delay_alu instid0(VALU_DEP_2) | instskip(NEXT) | instid1(VALU_DEP_1)
	v_lshlrev_b64 v[1:2], 1, v[1:2]
	v_add_co_u32 v1, vcc_lo, s4, v1
	s_delay_alu instid0(VALU_DEP_2) | instskip(SKIP_2) | instid1(SALU_CYCLE_1)
	v_add_co_ci_u32_e32 v2, vcc_lo, s5, v2, vcc_lo
	global_store_b16 v[1:2], v9, off
	s_or_b32 exec_lo, exec_lo, s0
	s_mov_b32 s0, exec_lo
	v_cmpx_gt_i32_e64 s8, v0
	s_cbranch_execnz .LBB522_104
.LBB522_114:
	s_or_b32 exec_lo, exec_lo, s0
	s_delay_alu instid0(SALU_CYCLE_1)
	s_mov_b32 s0, exec_lo
	v_cmpx_gt_i32_e64 s8, v0
	s_cbranch_execz .LBB522_105
.LBB522_115:
	v_dual_mov_b32 v2, 0 :: v_dual_add_nc_u32 v1, s2, v0
	v_add_nc_u32_e32 v0, 0x100, v0
	s_delay_alu instid0(VALU_DEP_2) | instskip(NEXT) | instid1(VALU_DEP_1)
	v_lshlrev_b64 v[1:2], 1, v[1:2]
	v_add_co_u32 v1, vcc_lo, s4, v1
	s_delay_alu instid0(VALU_DEP_2) | instskip(SKIP_2) | instid1(SALU_CYCLE_1)
	v_add_co_ci_u32_e32 v2, vcc_lo, s5, v2, vcc_lo
	global_store_b16 v[1:2], v5, off
	s_or_b32 exec_lo, exec_lo, s0
	s_mov_b32 s0, exec_lo
	v_cmpx_gt_i32_e64 s8, v0
	s_cbranch_execnz .LBB522_106
	s_branch .LBB522_107
	.section	.rodata,"a",@progbits
	.p2align	6, 0x0
	.amdhsa_kernel _ZN2at6native29vectorized_elementwise_kernelILi16EZZZNS0_22nan_to_num_kernel_cudaERNS_18TensorIteratorBaseESt8optionalIdES5_S5_ENKUlvE0_clEvENKUlvE1_clEvEUlN3c104HalfEE_St5arrayIPcLm2EEEEviT0_T1_
		.amdhsa_group_segment_fixed_size 0
		.amdhsa_private_segment_fixed_size 0
		.amdhsa_kernarg_size 32
		.amdhsa_user_sgpr_count 15
		.amdhsa_user_sgpr_dispatch_ptr 0
		.amdhsa_user_sgpr_queue_ptr 0
		.amdhsa_user_sgpr_kernarg_segment_ptr 1
		.amdhsa_user_sgpr_dispatch_id 0
		.amdhsa_user_sgpr_private_segment_size 0
		.amdhsa_wavefront_size32 1
		.amdhsa_uses_dynamic_stack 0
		.amdhsa_enable_private_segment 0
		.amdhsa_system_sgpr_workgroup_id_x 1
		.amdhsa_system_sgpr_workgroup_id_y 0
		.amdhsa_system_sgpr_workgroup_id_z 0
		.amdhsa_system_sgpr_workgroup_info 0
		.amdhsa_system_vgpr_workitem_id 0
		.amdhsa_next_free_vgpr 14
		.amdhsa_next_free_sgpr 16
		.amdhsa_reserve_vcc 1
		.amdhsa_float_round_mode_32 0
		.amdhsa_float_round_mode_16_64 0
		.amdhsa_float_denorm_mode_32 3
		.amdhsa_float_denorm_mode_16_64 3
		.amdhsa_dx10_clamp 1
		.amdhsa_ieee_mode 1
		.amdhsa_fp16_overflow 0
		.amdhsa_workgroup_processor_mode 1
		.amdhsa_memory_ordered 1
		.amdhsa_forward_progress 0
		.amdhsa_shared_vgpr_count 0
		.amdhsa_exception_fp_ieee_invalid_op 0
		.amdhsa_exception_fp_denorm_src 0
		.amdhsa_exception_fp_ieee_div_zero 0
		.amdhsa_exception_fp_ieee_overflow 0
		.amdhsa_exception_fp_ieee_underflow 0
		.amdhsa_exception_fp_ieee_inexact 0
		.amdhsa_exception_int_div_zero 0
	.end_amdhsa_kernel
	.section	.text._ZN2at6native29vectorized_elementwise_kernelILi16EZZZNS0_22nan_to_num_kernel_cudaERNS_18TensorIteratorBaseESt8optionalIdES5_S5_ENKUlvE0_clEvENKUlvE1_clEvEUlN3c104HalfEE_St5arrayIPcLm2EEEEviT0_T1_,"axG",@progbits,_ZN2at6native29vectorized_elementwise_kernelILi16EZZZNS0_22nan_to_num_kernel_cudaERNS_18TensorIteratorBaseESt8optionalIdES5_S5_ENKUlvE0_clEvENKUlvE1_clEvEUlN3c104HalfEE_St5arrayIPcLm2EEEEviT0_T1_,comdat
.Lfunc_end522:
	.size	_ZN2at6native29vectorized_elementwise_kernelILi16EZZZNS0_22nan_to_num_kernel_cudaERNS_18TensorIteratorBaseESt8optionalIdES5_S5_ENKUlvE0_clEvENKUlvE1_clEvEUlN3c104HalfEE_St5arrayIPcLm2EEEEviT0_T1_, .Lfunc_end522-_ZN2at6native29vectorized_elementwise_kernelILi16EZZZNS0_22nan_to_num_kernel_cudaERNS_18TensorIteratorBaseESt8optionalIdES5_S5_ENKUlvE0_clEvENKUlvE1_clEvEUlN3c104HalfEE_St5arrayIPcLm2EEEEviT0_T1_
                                        ; -- End function
	.section	.AMDGPU.csdata,"",@progbits
; Kernel info:
; codeLenInByte = 2916
; NumSgprs: 18
; NumVgprs: 14
; ScratchSize: 0
; MemoryBound: 0
; FloatMode: 240
; IeeeMode: 1
; LDSByteSize: 0 bytes/workgroup (compile time only)
; SGPRBlocks: 2
; VGPRBlocks: 1
; NumSGPRsForWavesPerEU: 18
; NumVGPRsForWavesPerEU: 14
; Occupancy: 16
; WaveLimiterHint : 0
; COMPUTE_PGM_RSRC2:SCRATCH_EN: 0
; COMPUTE_PGM_RSRC2:USER_SGPR: 15
; COMPUTE_PGM_RSRC2:TRAP_HANDLER: 0
; COMPUTE_PGM_RSRC2:TGID_X_EN: 1
; COMPUTE_PGM_RSRC2:TGID_Y_EN: 0
; COMPUTE_PGM_RSRC2:TGID_Z_EN: 0
; COMPUTE_PGM_RSRC2:TIDIG_COMP_CNT: 0
	.section	.text._ZN2at6native29vectorized_elementwise_kernelILi8EZZZNS0_22nan_to_num_kernel_cudaERNS_18TensorIteratorBaseESt8optionalIdES5_S5_ENKUlvE0_clEvENKUlvE1_clEvEUlN3c104HalfEE_St5arrayIPcLm2EEEEviT0_T1_,"axG",@progbits,_ZN2at6native29vectorized_elementwise_kernelILi8EZZZNS0_22nan_to_num_kernel_cudaERNS_18TensorIteratorBaseESt8optionalIdES5_S5_ENKUlvE0_clEvENKUlvE1_clEvEUlN3c104HalfEE_St5arrayIPcLm2EEEEviT0_T1_,comdat
	.globl	_ZN2at6native29vectorized_elementwise_kernelILi8EZZZNS0_22nan_to_num_kernel_cudaERNS_18TensorIteratorBaseESt8optionalIdES5_S5_ENKUlvE0_clEvENKUlvE1_clEvEUlN3c104HalfEE_St5arrayIPcLm2EEEEviT0_T1_ ; -- Begin function _ZN2at6native29vectorized_elementwise_kernelILi8EZZZNS0_22nan_to_num_kernel_cudaERNS_18TensorIteratorBaseESt8optionalIdES5_S5_ENKUlvE0_clEvENKUlvE1_clEvEUlN3c104HalfEE_St5arrayIPcLm2EEEEviT0_T1_
	.p2align	8
	.type	_ZN2at6native29vectorized_elementwise_kernelILi8EZZZNS0_22nan_to_num_kernel_cudaERNS_18TensorIteratorBaseESt8optionalIdES5_S5_ENKUlvE0_clEvENKUlvE1_clEvEUlN3c104HalfEE_St5arrayIPcLm2EEEEviT0_T1_,@function
_ZN2at6native29vectorized_elementwise_kernelILi8EZZZNS0_22nan_to_num_kernel_cudaERNS_18TensorIteratorBaseESt8optionalIdES5_S5_ENKUlvE0_clEvENKUlvE1_clEvEUlN3c104HalfEE_St5arrayIPcLm2EEEEviT0_T1_: ; @_ZN2at6native29vectorized_elementwise_kernelILi8EZZZNS0_22nan_to_num_kernel_cudaERNS_18TensorIteratorBaseESt8optionalIdES5_S5_ENKUlvE0_clEvENKUlvE1_clEvEUlN3c104HalfEE_St5arrayIPcLm2EEEEviT0_T1_
; %bb.0:
	s_clause 0x2
	s_load_b64 s[8:9], s[0:1], 0x0
	s_load_b32 s10, s[0:1], 0x8
	s_load_b128 s[4:7], s[0:1], 0x10
	s_lshl_b32 s2, s15, 11
	s_mov_b32 s0, -1
	s_waitcnt lgkmcnt(0)
	s_sub_i32 s8, s8, s2
	s_delay_alu instid0(SALU_CYCLE_1)
	s_cmpk_gt_i32 s8, 0x7ff
	s_cbranch_scc0 .LBB523_34
; %bb.1:
	s_ashr_i32 s3, s2, 31
	v_dual_mov_b32 v6, s9 :: v_dual_lshlrev_b32 v5, 4, v0
	s_lshl_b64 s[0:1], s[2:3], 1
	s_lshr_b32 s3, s9, 16
	s_add_u32 s12, s6, s0
	s_addc_u32 s13, s7, s1
	s_mov_b32 s11, exec_lo
	global_load_b128 v[1:4], v5, s[12:13]
	s_waitcnt vmcnt(0)
	v_cmpx_o_f16_e32 v1, v1
	s_cbranch_execz .LBB523_5
; %bb.2:
	v_mov_b32_e32 v6, s3
	s_mov_b32 s12, exec_lo
	v_cmpx_neq_f16_e32 0x7c00, v1
; %bb.3:
	v_cmp_eq_f16_e32 vcc_lo, 0xfc00, v1
	v_cndmask_b32_e64 v6, v1, s10, vcc_lo
; %bb.4:
	s_or_b32 exec_lo, exec_lo, s12
.LBB523_5:
	s_delay_alu instid0(SALU_CYCLE_1) | instskip(SKIP_3) | instid1(VALU_DEP_2)
	s_or_b32 exec_lo, exec_lo, s11
	v_lshrrev_b32_e32 v7, 16, v1
	v_mov_b32_e32 v1, s9
	s_mov_b32 s11, exec_lo
	v_cmpx_o_f16_e32 v7, v7
	s_cbranch_execz .LBB523_9
; %bb.6:
	v_mov_b32_e32 v1, s3
	s_mov_b32 s12, exec_lo
	v_cmpx_neq_f16_e32 0x7c00, v7
; %bb.7:
	v_cmp_eq_f16_e32 vcc_lo, 0xfc00, v7
	v_cndmask_b32_e64 v1, v7, s10, vcc_lo
; %bb.8:
	s_or_b32 exec_lo, exec_lo, s12
.LBB523_9:
	s_delay_alu instid0(SALU_CYCLE_1)
	s_or_b32 exec_lo, exec_lo, s11
	v_mov_b32_e32 v7, s9
	s_mov_b32 s11, exec_lo
	v_cmpx_o_f16_e32 v2, v2
	s_cbranch_execz .LBB523_13
; %bb.10:
	v_mov_b32_e32 v7, s3
	s_mov_b32 s12, exec_lo
	v_cmpx_neq_f16_e32 0x7c00, v2
; %bb.11:
	v_cmp_eq_f16_e32 vcc_lo, 0xfc00, v2
	v_cndmask_b32_e64 v7, v2, s10, vcc_lo
; %bb.12:
	s_or_b32 exec_lo, exec_lo, s12
.LBB523_13:
	s_delay_alu instid0(SALU_CYCLE_1) | instskip(SKIP_3) | instid1(VALU_DEP_2)
	s_or_b32 exec_lo, exec_lo, s11
	v_lshrrev_b32_e32 v8, 16, v2
	v_mov_b32_e32 v2, s9
	s_mov_b32 s11, exec_lo
	v_cmpx_o_f16_e32 v8, v8
	s_cbranch_execz .LBB523_17
; %bb.14:
	v_mov_b32_e32 v2, s3
	s_mov_b32 s12, exec_lo
	v_cmpx_neq_f16_e32 0x7c00, v8
; %bb.15:
	v_cmp_eq_f16_e32 vcc_lo, 0xfc00, v8
	v_cndmask_b32_e64 v2, v8, s10, vcc_lo
; %bb.16:
	s_or_b32 exec_lo, exec_lo, s12
.LBB523_17:
	s_delay_alu instid0(SALU_CYCLE_1)
	s_or_b32 exec_lo, exec_lo, s11
	v_mov_b32_e32 v8, s9
	s_mov_b32 s11, exec_lo
	;; [unrolled: 33-line block ×3, first 2 shown]
	v_cmpx_o_f16_e32 v4, v4
	s_cbranch_execz .LBB523_29
; %bb.26:
	v_mov_b32_e32 v9, s3
	s_mov_b32 s12, exec_lo
	v_cmpx_neq_f16_e32 0x7c00, v4
; %bb.27:
	v_cmp_eq_f16_e32 vcc_lo, 0xfc00, v4
	v_cndmask_b32_e64 v9, v4, s10, vcc_lo
; %bb.28:
	s_or_b32 exec_lo, exec_lo, s12
.LBB523_29:
	s_delay_alu instid0(SALU_CYCLE_1) | instskip(SKIP_3) | instid1(VALU_DEP_2)
	s_or_b32 exec_lo, exec_lo, s11
	v_lshrrev_b32_e32 v10, 16, v4
	v_mov_b32_e32 v4, s9
	s_mov_b32 s11, exec_lo
	v_cmpx_o_f16_e32 v10, v10
	s_cbranch_execz .LBB523_33
; %bb.30:
	v_mov_b32_e32 v4, s3
	s_mov_b32 s3, exec_lo
	v_cmpx_neq_f16_e32 0x7c00, v10
; %bb.31:
	v_cmp_eq_f16_e32 vcc_lo, 0xfc00, v10
	v_cndmask_b32_e64 v4, v10, s10, vcc_lo
; %bb.32:
	s_or_b32 exec_lo, exec_lo, s3
.LBB523_33:
	s_delay_alu instid0(SALU_CYCLE_1) | instskip(NEXT) | instid1(VALU_DEP_1)
	s_or_b32 exec_lo, exec_lo, s11
	v_perm_b32 v4, v4, v9, 0x5040100
	v_perm_b32 v3, v3, v8, 0x5040100
	;; [unrolled: 1-line block ×4, first 2 shown]
	s_add_u32 s12, s4, s0
	s_addc_u32 s13, s5, s1
	s_mov_b32 s0, 0
	global_store_b128 v5, v[1:4], s[12:13]
.LBB523_34:
	s_and_b32 vcc_lo, exec_lo, s0
	s_cbranch_vccz .LBB523_107
; %bb.35:
	v_cmp_gt_i32_e32 vcc_lo, s8, v0
	v_mov_b32_e32 v8, 0
	v_or_b32_e32 v1, s2, v0
	v_or_b32_e32 v3, 0x100, v0
	v_mov_b32_e32 v6, 0
	v_mov_b32_e32 v4, v0
	s_and_saveexec_b32 s1, vcc_lo
	s_cbranch_execz .LBB523_37
; %bb.36:
	v_mov_b32_e32 v2, 0
	s_delay_alu instid0(VALU_DEP_1) | instskip(NEXT) | instid1(VALU_DEP_1)
	v_lshlrev_b64 v[4:5], 1, v[1:2]
	v_add_co_u32 v4, s0, s6, v4
	s_delay_alu instid0(VALU_DEP_1)
	v_add_co_ci_u32_e64 v5, s0, s7, v5, s0
	global_load_u16 v6, v[4:5], off
	v_or_b32_e32 v4, 0x100, v0
.LBB523_37:
	s_or_b32 exec_lo, exec_lo, s1
	s_delay_alu instid0(SALU_CYCLE_1) | instskip(NEXT) | instid1(VALU_DEP_1)
	s_mov_b32 s1, exec_lo
	v_cmpx_gt_i32_e64 s8, v4
	s_cbranch_execz .LBB523_39
; %bb.38:
	v_dual_mov_b32 v8, 0 :: v_dual_add_nc_u32 v7, s2, v4
	v_add_nc_u32_e32 v4, 0x100, v4
	s_delay_alu instid0(VALU_DEP_2) | instskip(NEXT) | instid1(VALU_DEP_1)
	v_lshlrev_b64 v[7:8], 1, v[7:8]
	v_add_co_u32 v7, s0, s6, v7
	s_delay_alu instid0(VALU_DEP_1)
	v_add_co_ci_u32_e64 v8, s0, s7, v8, s0
	global_load_u16 v8, v[7:8], off
.LBB523_39:
	s_or_b32 exec_lo, exec_lo, s1
	v_dual_mov_b32 v9, 0 :: v_dual_mov_b32 v10, 0
	s_mov_b32 s1, exec_lo
	v_cmpx_gt_i32_e64 s8, v4
	s_cbranch_execz .LBB523_41
; %bb.40:
	v_dual_mov_b32 v11, 0 :: v_dual_add_nc_u32 v10, s2, v4
	v_add_nc_u32_e32 v4, 0x100, v4
	s_delay_alu instid0(VALU_DEP_2) | instskip(NEXT) | instid1(VALU_DEP_1)
	v_lshlrev_b64 v[10:11], 1, v[10:11]
	v_add_co_u32 v10, s0, s6, v10
	s_delay_alu instid0(VALU_DEP_1)
	v_add_co_ci_u32_e64 v11, s0, s7, v11, s0
	global_load_u16 v10, v[10:11], off
.LBB523_41:
	s_or_b32 exec_lo, exec_lo, s1
	s_delay_alu instid0(SALU_CYCLE_1)
	s_mov_b32 s1, exec_lo
	v_cmpx_gt_i32_e64 s8, v4
	s_cbranch_execz .LBB523_43
; %bb.42:
	v_dual_mov_b32 v12, 0 :: v_dual_add_nc_u32 v11, s2, v4
	v_add_nc_u32_e32 v4, 0x100, v4
	s_delay_alu instid0(VALU_DEP_2) | instskip(NEXT) | instid1(VALU_DEP_1)
	v_lshlrev_b64 v[11:12], 1, v[11:12]
	v_add_co_u32 v11, s0, s6, v11
	s_delay_alu instid0(VALU_DEP_1)
	v_add_co_ci_u32_e64 v12, s0, s7, v12, s0
	global_load_u16 v9, v[11:12], off
.LBB523_43:
	s_or_b32 exec_lo, exec_lo, s1
	v_mov_b32_e32 v5, 0
	v_mov_b32_e32 v11, 0
	s_mov_b32 s1, exec_lo
	v_cmpx_gt_i32_e64 s8, v4
	s_cbranch_execz .LBB523_45
; %bb.44:
	v_dual_mov_b32 v12, 0 :: v_dual_add_nc_u32 v11, s2, v4
	v_add_nc_u32_e32 v4, 0x100, v4
	s_delay_alu instid0(VALU_DEP_2) | instskip(NEXT) | instid1(VALU_DEP_1)
	v_lshlrev_b64 v[11:12], 1, v[11:12]
	v_add_co_u32 v11, s0, s6, v11
	s_delay_alu instid0(VALU_DEP_1)
	v_add_co_ci_u32_e64 v12, s0, s7, v12, s0
	global_load_u16 v11, v[11:12], off
.LBB523_45:
	s_or_b32 exec_lo, exec_lo, s1
	s_delay_alu instid0(SALU_CYCLE_1)
	s_mov_b32 s1, exec_lo
	v_cmpx_gt_i32_e64 s8, v4
	s_cbranch_execz .LBB523_47
; %bb.46:
	v_dual_mov_b32 v13, 0 :: v_dual_add_nc_u32 v12, s2, v4
	v_add_nc_u32_e32 v4, 0x100, v4
	s_delay_alu instid0(VALU_DEP_2) | instskip(NEXT) | instid1(VALU_DEP_1)
	v_lshlrev_b64 v[12:13], 1, v[12:13]
	v_add_co_u32 v12, s0, s6, v12
	s_delay_alu instid0(VALU_DEP_1)
	v_add_co_ci_u32_e64 v13, s0, s7, v13, s0
	global_load_u16 v5, v[12:13], off
.LBB523_47:
	s_or_b32 exec_lo, exec_lo, s1
	v_dual_mov_b32 v2, 0 :: v_dual_mov_b32 v7, 0
	s_mov_b32 s1, exec_lo
	v_cmpx_gt_i32_e64 s8, v4
	s_cbranch_execz .LBB523_49
; %bb.48:
	v_dual_mov_b32 v13, 0 :: v_dual_add_nc_u32 v12, s2, v4
	v_add_nc_u32_e32 v4, 0x100, v4
	s_delay_alu instid0(VALU_DEP_2) | instskip(NEXT) | instid1(VALU_DEP_1)
	v_lshlrev_b64 v[12:13], 1, v[12:13]
	v_add_co_u32 v12, s0, s6, v12
	s_delay_alu instid0(VALU_DEP_1) | instskip(SKIP_2) | instid1(SALU_CYCLE_1)
	v_add_co_ci_u32_e64 v13, s0, s7, v13, s0
	global_load_u16 v7, v[12:13], off
	s_or_b32 exec_lo, exec_lo, s1
	s_mov_b32 s1, exec_lo
	v_cmpx_gt_i32_e64 s8, v4
	s_cbranch_execz .LBB523_51
	s_branch .LBB523_50
.LBB523_49:
	s_or_b32 exec_lo, exec_lo, s1
	s_delay_alu instid0(SALU_CYCLE_1)
	s_mov_b32 s1, exec_lo
	v_cmpx_gt_i32_e64 s8, v4
	s_cbranch_execz .LBB523_51
.LBB523_50:
	v_dual_mov_b32 v13, 0 :: v_dual_add_nc_u32 v12, s2, v4
	s_delay_alu instid0(VALU_DEP_1) | instskip(NEXT) | instid1(VALU_DEP_1)
	v_lshlrev_b64 v[12:13], 1, v[12:13]
	v_add_co_u32 v12, s0, s6, v12
	s_delay_alu instid0(VALU_DEP_1)
	v_add_co_ci_u32_e64 v13, s0, s7, v13, s0
	global_load_u16 v2, v[12:13], off
.LBB523_51:
	s_or_b32 exec_lo, exec_lo, s1
	s_lshr_b32 s1, s9, 16
                                        ; implicit-def: $vgpr4
	s_and_saveexec_b32 s3, vcc_lo
	s_cbranch_execz .LBB523_57
; %bb.52:
	v_mov_b32_e32 v4, s9
	s_mov_b32 s6, exec_lo
	s_waitcnt vmcnt(0)
	v_cmpx_o_f16_e32 v6, v6
	s_cbranch_execz .LBB523_56
; %bb.53:
	v_mov_b32_e32 v4, s1
	s_mov_b32 s7, exec_lo
	v_cmpx_neq_f16_e32 0x7c00, v6
; %bb.54:
	v_cmp_eq_f16_e64 s0, 0xfc00, v6
	s_delay_alu instid0(VALU_DEP_1)
	v_cndmask_b32_e64 v4, v6, s10, s0
; %bb.55:
	s_or_b32 exec_lo, exec_lo, s7
.LBB523_56:
	s_delay_alu instid0(SALU_CYCLE_1)
	s_or_b32 exec_lo, exec_lo, s6
.LBB523_57:
	s_delay_alu instid0(SALU_CYCLE_1) | instskip(NEXT) | instid1(SALU_CYCLE_1)
	s_or_b32 exec_lo, exec_lo, s3
	s_mov_b32 s3, exec_lo
                                        ; implicit-def: $vgpr6
	v_cmpx_gt_i32_e64 s8, v3
	s_cbranch_execz .LBB523_63
; %bb.58:
	s_waitcnt vmcnt(0)
	v_mov_b32_e32 v6, s9
	s_mov_b32 s6, exec_lo
	v_cmpx_o_f16_e32 v8, v8
	s_cbranch_execz .LBB523_62
; %bb.59:
	v_mov_b32_e32 v6, s1
	s_mov_b32 s7, exec_lo
	v_cmpx_neq_f16_e32 0x7c00, v8
; %bb.60:
	v_cmp_eq_f16_e64 s0, 0xfc00, v8
	s_delay_alu instid0(VALU_DEP_1)
	v_cndmask_b32_e64 v6, v8, s10, s0
; %bb.61:
	s_or_b32 exec_lo, exec_lo, s7
.LBB523_62:
	s_delay_alu instid0(SALU_CYCLE_1)
	s_or_b32 exec_lo, exec_lo, s6
.LBB523_63:
	s_delay_alu instid0(SALU_CYCLE_1) | instskip(SKIP_2) | instid1(VALU_DEP_1)
	s_or_b32 exec_lo, exec_lo, s3
	s_waitcnt vmcnt(0)
	v_or_b32_e32 v8, 0x200, v0
	v_cmp_gt_i32_e64 s0, s8, v8
                                        ; implicit-def: $vgpr8
	s_delay_alu instid0(VALU_DEP_1)
	s_and_saveexec_b32 s3, s0
	s_cbranch_execz .LBB523_69
; %bb.64:
	v_mov_b32_e32 v8, s9
	s_mov_b32 s6, exec_lo
	v_cmpx_o_f16_e32 v10, v10
	s_cbranch_execz .LBB523_68
; %bb.65:
	v_mov_b32_e32 v8, s1
	s_mov_b32 s7, exec_lo
	v_cmpx_neq_f16_e32 0x7c00, v10
; %bb.66:
	v_cmp_eq_f16_e64 s0, 0xfc00, v10
	s_delay_alu instid0(VALU_DEP_1)
	v_cndmask_b32_e64 v8, v10, s10, s0
; %bb.67:
	s_or_b32 exec_lo, exec_lo, s7
.LBB523_68:
	s_delay_alu instid0(SALU_CYCLE_1)
	s_or_b32 exec_lo, exec_lo, s6
.LBB523_69:
	s_delay_alu instid0(SALU_CYCLE_1) | instskip(SKIP_1) | instid1(VALU_DEP_1)
	s_or_b32 exec_lo, exec_lo, s3
	v_or_b32_e32 v10, 0x300, v0
	v_cmp_gt_i32_e64 s0, s8, v10
                                        ; implicit-def: $vgpr10
	s_delay_alu instid0(VALU_DEP_1)
	s_and_saveexec_b32 s3, s0
	s_cbranch_execz .LBB523_75
; %bb.70:
	v_mov_b32_e32 v10, s9
	s_mov_b32 s6, exec_lo
	v_cmpx_o_f16_e32 v9, v9
	s_cbranch_execz .LBB523_74
; %bb.71:
	v_mov_b32_e32 v10, s1
	s_mov_b32 s7, exec_lo
	v_cmpx_neq_f16_e32 0x7c00, v9
; %bb.72:
	v_cmp_eq_f16_e64 s0, 0xfc00, v9
	s_delay_alu instid0(VALU_DEP_1)
	v_cndmask_b32_e64 v10, v9, s10, s0
; %bb.73:
	s_or_b32 exec_lo, exec_lo, s7
.LBB523_74:
	s_delay_alu instid0(SALU_CYCLE_1)
	s_or_b32 exec_lo, exec_lo, s6
.LBB523_75:
	s_delay_alu instid0(SALU_CYCLE_1) | instskip(SKIP_1) | instid1(VALU_DEP_1)
	s_or_b32 exec_lo, exec_lo, s3
	v_or_b32_e32 v9, 0x400, v0
	v_cmp_gt_i32_e64 s0, s8, v9
                                        ; implicit-def: $vgpr9
	s_delay_alu instid0(VALU_DEP_1)
	s_and_saveexec_b32 s3, s0
	s_cbranch_execz .LBB523_81
; %bb.76:
	v_mov_b32_e32 v9, s9
	s_mov_b32 s6, exec_lo
	v_cmpx_o_f16_e32 v11, v11
	s_cbranch_execz .LBB523_80
; %bb.77:
	v_mov_b32_e32 v9, s1
	s_mov_b32 s7, exec_lo
	v_cmpx_neq_f16_e32 0x7c00, v11
; %bb.78:
	v_cmp_eq_f16_e64 s0, 0xfc00, v11
	s_delay_alu instid0(VALU_DEP_1)
	v_cndmask_b32_e64 v9, v11, s10, s0
; %bb.79:
	s_or_b32 exec_lo, exec_lo, s7
.LBB523_80:
	s_delay_alu instid0(SALU_CYCLE_1)
	s_or_b32 exec_lo, exec_lo, s6
.LBB523_81:
	s_delay_alu instid0(SALU_CYCLE_1) | instskip(SKIP_1) | instid1(VALU_DEP_1)
	s_or_b32 exec_lo, exec_lo, s3
	v_or_b32_e32 v11, 0x500, v0
	v_cmp_gt_i32_e64 s0, s8, v11
                                        ; implicit-def: $vgpr11
	s_delay_alu instid0(VALU_DEP_1)
	s_and_saveexec_b32 s3, s0
	s_cbranch_execz .LBB523_87
; %bb.82:
	v_mov_b32_e32 v11, s9
	s_mov_b32 s6, exec_lo
	v_cmpx_o_f16_e32 v5, v5
	s_cbranch_execz .LBB523_86
; %bb.83:
	v_mov_b32_e32 v11, s1
	s_mov_b32 s7, exec_lo
	v_cmpx_neq_f16_e32 0x7c00, v5
; %bb.84:
	v_cmp_eq_f16_e64 s0, 0xfc00, v5
	s_delay_alu instid0(VALU_DEP_1)
	v_cndmask_b32_e64 v11, v5, s10, s0
; %bb.85:
	s_or_b32 exec_lo, exec_lo, s7
.LBB523_86:
	s_delay_alu instid0(SALU_CYCLE_1)
	s_or_b32 exec_lo, exec_lo, s6
.LBB523_87:
	s_delay_alu instid0(SALU_CYCLE_1) | instskip(SKIP_1) | instid1(VALU_DEP_1)
	s_or_b32 exec_lo, exec_lo, s3
	v_or_b32_e32 v5, 0x600, v0
	v_cmp_gt_i32_e64 s0, s8, v5
                                        ; implicit-def: $vgpr5
	s_delay_alu instid0(VALU_DEP_1)
	s_and_saveexec_b32 s3, s0
	s_cbranch_execz .LBB523_93
; %bb.88:
	v_mov_b32_e32 v5, s9
	s_mov_b32 s6, exec_lo
	v_cmpx_o_f16_e32 v7, v7
	s_cbranch_execz .LBB523_92
; %bb.89:
	v_mov_b32_e32 v5, s1
	s_mov_b32 s7, exec_lo
	v_cmpx_neq_f16_e32 0x7c00, v7
; %bb.90:
	v_cmp_eq_f16_e64 s0, 0xfc00, v7
	s_delay_alu instid0(VALU_DEP_1)
	v_cndmask_b32_e64 v5, v7, s10, s0
; %bb.91:
	s_or_b32 exec_lo, exec_lo, s7
.LBB523_92:
	s_delay_alu instid0(SALU_CYCLE_1)
	s_or_b32 exec_lo, exec_lo, s6
.LBB523_93:
	s_delay_alu instid0(SALU_CYCLE_1) | instskip(SKIP_1) | instid1(VALU_DEP_1)
	s_or_b32 exec_lo, exec_lo, s3
	v_or_b32_e32 v7, 0x700, v0
	v_cmp_gt_i32_e64 s0, s8, v7
                                        ; implicit-def: $vgpr7
	s_delay_alu instid0(VALU_DEP_1)
	s_and_saveexec_b32 s3, s0
	s_cbranch_execz .LBB523_108
; %bb.94:
	v_mov_b32_e32 v7, s9
	s_mov_b32 s6, exec_lo
	v_cmpx_o_f16_e32 v2, v2
	s_cbranch_execz .LBB523_98
; %bb.95:
	v_mov_b32_e32 v7, s1
	s_mov_b32 s1, exec_lo
	v_cmpx_neq_f16_e32 0x7c00, v2
; %bb.96:
	v_cmp_eq_f16_e64 s0, 0xfc00, v2
	s_delay_alu instid0(VALU_DEP_1)
	v_cndmask_b32_e64 v7, v2, s10, s0
; %bb.97:
	s_or_b32 exec_lo, exec_lo, s1
.LBB523_98:
	s_delay_alu instid0(SALU_CYCLE_1) | instskip(NEXT) | instid1(SALU_CYCLE_1)
	s_or_b32 exec_lo, exec_lo, s6
	s_or_b32 exec_lo, exec_lo, s3
	s_and_saveexec_b32 s0, vcc_lo
	s_delay_alu instid0(SALU_CYCLE_1)
	s_xor_b32 s0, exec_lo, s0
	s_cbranch_execnz .LBB523_109
.LBB523_99:
	s_or_b32 exec_lo, exec_lo, s0
	s_delay_alu instid0(SALU_CYCLE_1)
	s_mov_b32 s0, exec_lo
	v_cmpx_gt_i32_e64 s8, v0
	s_cbranch_execz .LBB523_110
.LBB523_100:
	v_dual_mov_b32 v2, 0 :: v_dual_add_nc_u32 v1, s2, v0
	v_add_nc_u32_e32 v0, 0x100, v0
	s_delay_alu instid0(VALU_DEP_2) | instskip(NEXT) | instid1(VALU_DEP_1)
	v_lshlrev_b64 v[1:2], 1, v[1:2]
	v_add_co_u32 v1, vcc_lo, s4, v1
	s_delay_alu instid0(VALU_DEP_2) | instskip(SKIP_2) | instid1(SALU_CYCLE_1)
	v_add_co_ci_u32_e32 v2, vcc_lo, s5, v2, vcc_lo
	global_store_b16 v[1:2], v6, off
	s_or_b32 exec_lo, exec_lo, s0
	s_mov_b32 s0, exec_lo
	v_cmpx_gt_i32_e64 s8, v0
	s_cbranch_execnz .LBB523_111
.LBB523_101:
	s_or_b32 exec_lo, exec_lo, s0
	s_delay_alu instid0(SALU_CYCLE_1)
	s_mov_b32 s0, exec_lo
	v_cmpx_gt_i32_e64 s8, v0
	s_cbranch_execz .LBB523_112
.LBB523_102:
	v_dual_mov_b32 v2, 0 :: v_dual_add_nc_u32 v1, s2, v0
	v_add_nc_u32_e32 v0, 0x100, v0
	s_delay_alu instid0(VALU_DEP_2) | instskip(NEXT) | instid1(VALU_DEP_1)
	v_lshlrev_b64 v[1:2], 1, v[1:2]
	v_add_co_u32 v1, vcc_lo, s4, v1
	s_delay_alu instid0(VALU_DEP_2) | instskip(SKIP_2) | instid1(SALU_CYCLE_1)
	v_add_co_ci_u32_e32 v2, vcc_lo, s5, v2, vcc_lo
	global_store_b16 v[1:2], v10, off
	s_or_b32 exec_lo, exec_lo, s0
	s_mov_b32 s0, exec_lo
	v_cmpx_gt_i32_e64 s8, v0
	s_cbranch_execnz .LBB523_113
.LBB523_103:
	s_or_b32 exec_lo, exec_lo, s0
	s_delay_alu instid0(SALU_CYCLE_1)
	s_mov_b32 s0, exec_lo
	v_cmpx_gt_i32_e64 s8, v0
	s_cbranch_execz .LBB523_114
.LBB523_104:
	v_dual_mov_b32 v2, 0 :: v_dual_add_nc_u32 v1, s2, v0
	v_add_nc_u32_e32 v0, 0x100, v0
	s_delay_alu instid0(VALU_DEP_2) | instskip(NEXT) | instid1(VALU_DEP_1)
	v_lshlrev_b64 v[1:2], 1, v[1:2]
	v_add_co_u32 v1, vcc_lo, s4, v1
	s_delay_alu instid0(VALU_DEP_2) | instskip(SKIP_2) | instid1(SALU_CYCLE_1)
	v_add_co_ci_u32_e32 v2, vcc_lo, s5, v2, vcc_lo
	global_store_b16 v[1:2], v11, off
	s_or_b32 exec_lo, exec_lo, s0
	s_mov_b32 s0, exec_lo
	v_cmpx_gt_i32_e64 s8, v0
	s_cbranch_execnz .LBB523_115
.LBB523_105:
	s_or_b32 exec_lo, exec_lo, s0
	s_delay_alu instid0(SALU_CYCLE_1)
	s_mov_b32 s0, exec_lo
	v_cmpx_gt_i32_e64 s8, v0
	s_cbranch_execz .LBB523_107
.LBB523_106:
	v_dual_mov_b32 v1, 0 :: v_dual_add_nc_u32 v0, s2, v0
	s_delay_alu instid0(VALU_DEP_1) | instskip(NEXT) | instid1(VALU_DEP_1)
	v_lshlrev_b64 v[0:1], 1, v[0:1]
	v_add_co_u32 v0, vcc_lo, s4, v0
	s_delay_alu instid0(VALU_DEP_2)
	v_add_co_ci_u32_e32 v1, vcc_lo, s5, v1, vcc_lo
	global_store_b16 v[0:1], v7, off
.LBB523_107:
	s_nop 0
	s_sendmsg sendmsg(MSG_DEALLOC_VGPRS)
	s_endpgm
.LBB523_108:
	s_or_b32 exec_lo, exec_lo, s3
	s_and_saveexec_b32 s0, vcc_lo
	s_delay_alu instid0(SALU_CYCLE_1)
	s_xor_b32 s0, exec_lo, s0
	s_cbranch_execz .LBB523_99
.LBB523_109:
	v_mov_b32_e32 v2, 0
	s_delay_alu instid0(VALU_DEP_1) | instskip(NEXT) | instid1(VALU_DEP_1)
	v_lshlrev_b64 v[0:1], 1, v[1:2]
	v_add_co_u32 v12, vcc_lo, s4, v0
	s_delay_alu instid0(VALU_DEP_2) | instskip(SKIP_3) | instid1(SALU_CYCLE_1)
	v_add_co_ci_u32_e32 v13, vcc_lo, s5, v1, vcc_lo
	v_mov_b32_e32 v0, v3
	global_store_b16 v[12:13], v4, off
	s_or_b32 exec_lo, exec_lo, s0
	s_mov_b32 s0, exec_lo
	v_cmpx_gt_i32_e64 s8, v0
	s_cbranch_execnz .LBB523_100
.LBB523_110:
	s_or_b32 exec_lo, exec_lo, s0
	s_delay_alu instid0(SALU_CYCLE_1)
	s_mov_b32 s0, exec_lo
	v_cmpx_gt_i32_e64 s8, v0
	s_cbranch_execz .LBB523_101
.LBB523_111:
	v_dual_mov_b32 v2, 0 :: v_dual_add_nc_u32 v1, s2, v0
	v_add_nc_u32_e32 v0, 0x100, v0
	s_delay_alu instid0(VALU_DEP_2) | instskip(NEXT) | instid1(VALU_DEP_1)
	v_lshlrev_b64 v[1:2], 1, v[1:2]
	v_add_co_u32 v1, vcc_lo, s4, v1
	s_delay_alu instid0(VALU_DEP_2) | instskip(SKIP_2) | instid1(SALU_CYCLE_1)
	v_add_co_ci_u32_e32 v2, vcc_lo, s5, v2, vcc_lo
	global_store_b16 v[1:2], v8, off
	s_or_b32 exec_lo, exec_lo, s0
	s_mov_b32 s0, exec_lo
	v_cmpx_gt_i32_e64 s8, v0
	s_cbranch_execnz .LBB523_102
.LBB523_112:
	s_or_b32 exec_lo, exec_lo, s0
	s_delay_alu instid0(SALU_CYCLE_1)
	s_mov_b32 s0, exec_lo
	v_cmpx_gt_i32_e64 s8, v0
	s_cbranch_execz .LBB523_103
.LBB523_113:
	v_dual_mov_b32 v2, 0 :: v_dual_add_nc_u32 v1, s2, v0
	v_add_nc_u32_e32 v0, 0x100, v0
	s_delay_alu instid0(VALU_DEP_2) | instskip(NEXT) | instid1(VALU_DEP_1)
	v_lshlrev_b64 v[1:2], 1, v[1:2]
	v_add_co_u32 v1, vcc_lo, s4, v1
	s_delay_alu instid0(VALU_DEP_2) | instskip(SKIP_2) | instid1(SALU_CYCLE_1)
	v_add_co_ci_u32_e32 v2, vcc_lo, s5, v2, vcc_lo
	global_store_b16 v[1:2], v9, off
	s_or_b32 exec_lo, exec_lo, s0
	s_mov_b32 s0, exec_lo
	v_cmpx_gt_i32_e64 s8, v0
	s_cbranch_execnz .LBB523_104
.LBB523_114:
	s_or_b32 exec_lo, exec_lo, s0
	s_delay_alu instid0(SALU_CYCLE_1)
	s_mov_b32 s0, exec_lo
	v_cmpx_gt_i32_e64 s8, v0
	s_cbranch_execz .LBB523_105
.LBB523_115:
	v_dual_mov_b32 v2, 0 :: v_dual_add_nc_u32 v1, s2, v0
	v_add_nc_u32_e32 v0, 0x100, v0
	s_delay_alu instid0(VALU_DEP_2) | instskip(NEXT) | instid1(VALU_DEP_1)
	v_lshlrev_b64 v[1:2], 1, v[1:2]
	v_add_co_u32 v1, vcc_lo, s4, v1
	s_delay_alu instid0(VALU_DEP_2) | instskip(SKIP_2) | instid1(SALU_CYCLE_1)
	v_add_co_ci_u32_e32 v2, vcc_lo, s5, v2, vcc_lo
	global_store_b16 v[1:2], v5, off
	s_or_b32 exec_lo, exec_lo, s0
	s_mov_b32 s0, exec_lo
	v_cmpx_gt_i32_e64 s8, v0
	s_cbranch_execnz .LBB523_106
	s_branch .LBB523_107
	.section	.rodata,"a",@progbits
	.p2align	6, 0x0
	.amdhsa_kernel _ZN2at6native29vectorized_elementwise_kernelILi8EZZZNS0_22nan_to_num_kernel_cudaERNS_18TensorIteratorBaseESt8optionalIdES5_S5_ENKUlvE0_clEvENKUlvE1_clEvEUlN3c104HalfEE_St5arrayIPcLm2EEEEviT0_T1_
		.amdhsa_group_segment_fixed_size 0
		.amdhsa_private_segment_fixed_size 0
		.amdhsa_kernarg_size 32
		.amdhsa_user_sgpr_count 15
		.amdhsa_user_sgpr_dispatch_ptr 0
		.amdhsa_user_sgpr_queue_ptr 0
		.amdhsa_user_sgpr_kernarg_segment_ptr 1
		.amdhsa_user_sgpr_dispatch_id 0
		.amdhsa_user_sgpr_private_segment_size 0
		.amdhsa_wavefront_size32 1
		.amdhsa_uses_dynamic_stack 0
		.amdhsa_enable_private_segment 0
		.amdhsa_system_sgpr_workgroup_id_x 1
		.amdhsa_system_sgpr_workgroup_id_y 0
		.amdhsa_system_sgpr_workgroup_id_z 0
		.amdhsa_system_sgpr_workgroup_info 0
		.amdhsa_system_vgpr_workitem_id 0
		.amdhsa_next_free_vgpr 14
		.amdhsa_next_free_sgpr 16
		.amdhsa_reserve_vcc 1
		.amdhsa_float_round_mode_32 0
		.amdhsa_float_round_mode_16_64 0
		.amdhsa_float_denorm_mode_32 3
		.amdhsa_float_denorm_mode_16_64 3
		.amdhsa_dx10_clamp 1
		.amdhsa_ieee_mode 1
		.amdhsa_fp16_overflow 0
		.amdhsa_workgroup_processor_mode 1
		.amdhsa_memory_ordered 1
		.amdhsa_forward_progress 0
		.amdhsa_shared_vgpr_count 0
		.amdhsa_exception_fp_ieee_invalid_op 0
		.amdhsa_exception_fp_denorm_src 0
		.amdhsa_exception_fp_ieee_div_zero 0
		.amdhsa_exception_fp_ieee_overflow 0
		.amdhsa_exception_fp_ieee_underflow 0
		.amdhsa_exception_fp_ieee_inexact 0
		.amdhsa_exception_int_div_zero 0
	.end_amdhsa_kernel
	.section	.text._ZN2at6native29vectorized_elementwise_kernelILi8EZZZNS0_22nan_to_num_kernel_cudaERNS_18TensorIteratorBaseESt8optionalIdES5_S5_ENKUlvE0_clEvENKUlvE1_clEvEUlN3c104HalfEE_St5arrayIPcLm2EEEEviT0_T1_,"axG",@progbits,_ZN2at6native29vectorized_elementwise_kernelILi8EZZZNS0_22nan_to_num_kernel_cudaERNS_18TensorIteratorBaseESt8optionalIdES5_S5_ENKUlvE0_clEvENKUlvE1_clEvEUlN3c104HalfEE_St5arrayIPcLm2EEEEviT0_T1_,comdat
.Lfunc_end523:
	.size	_ZN2at6native29vectorized_elementwise_kernelILi8EZZZNS0_22nan_to_num_kernel_cudaERNS_18TensorIteratorBaseESt8optionalIdES5_S5_ENKUlvE0_clEvENKUlvE1_clEvEUlN3c104HalfEE_St5arrayIPcLm2EEEEviT0_T1_, .Lfunc_end523-_ZN2at6native29vectorized_elementwise_kernelILi8EZZZNS0_22nan_to_num_kernel_cudaERNS_18TensorIteratorBaseESt8optionalIdES5_S5_ENKUlvE0_clEvENKUlvE1_clEvEUlN3c104HalfEE_St5arrayIPcLm2EEEEviT0_T1_
                                        ; -- End function
	.section	.AMDGPU.csdata,"",@progbits
; Kernel info:
; codeLenInByte = 2916
; NumSgprs: 18
; NumVgprs: 14
; ScratchSize: 0
; MemoryBound: 0
; FloatMode: 240
; IeeeMode: 1
; LDSByteSize: 0 bytes/workgroup (compile time only)
; SGPRBlocks: 2
; VGPRBlocks: 1
; NumSGPRsForWavesPerEU: 18
; NumVGPRsForWavesPerEU: 14
; Occupancy: 16
; WaveLimiterHint : 0
; COMPUTE_PGM_RSRC2:SCRATCH_EN: 0
; COMPUTE_PGM_RSRC2:USER_SGPR: 15
; COMPUTE_PGM_RSRC2:TRAP_HANDLER: 0
; COMPUTE_PGM_RSRC2:TGID_X_EN: 1
; COMPUTE_PGM_RSRC2:TGID_Y_EN: 0
; COMPUTE_PGM_RSRC2:TGID_Z_EN: 0
; COMPUTE_PGM_RSRC2:TIDIG_COMP_CNT: 0
	.section	.text._ZN2at6native29vectorized_elementwise_kernelILi4EZZZNS0_22nan_to_num_kernel_cudaERNS_18TensorIteratorBaseESt8optionalIdES5_S5_ENKUlvE0_clEvENKUlvE1_clEvEUlN3c104HalfEE_St5arrayIPcLm2EEEEviT0_T1_,"axG",@progbits,_ZN2at6native29vectorized_elementwise_kernelILi4EZZZNS0_22nan_to_num_kernel_cudaERNS_18TensorIteratorBaseESt8optionalIdES5_S5_ENKUlvE0_clEvENKUlvE1_clEvEUlN3c104HalfEE_St5arrayIPcLm2EEEEviT0_T1_,comdat
	.globl	_ZN2at6native29vectorized_elementwise_kernelILi4EZZZNS0_22nan_to_num_kernel_cudaERNS_18TensorIteratorBaseESt8optionalIdES5_S5_ENKUlvE0_clEvENKUlvE1_clEvEUlN3c104HalfEE_St5arrayIPcLm2EEEEviT0_T1_ ; -- Begin function _ZN2at6native29vectorized_elementwise_kernelILi4EZZZNS0_22nan_to_num_kernel_cudaERNS_18TensorIteratorBaseESt8optionalIdES5_S5_ENKUlvE0_clEvENKUlvE1_clEvEUlN3c104HalfEE_St5arrayIPcLm2EEEEviT0_T1_
	.p2align	8
	.type	_ZN2at6native29vectorized_elementwise_kernelILi4EZZZNS0_22nan_to_num_kernel_cudaERNS_18TensorIteratorBaseESt8optionalIdES5_S5_ENKUlvE0_clEvENKUlvE1_clEvEUlN3c104HalfEE_St5arrayIPcLm2EEEEviT0_T1_,@function
_ZN2at6native29vectorized_elementwise_kernelILi4EZZZNS0_22nan_to_num_kernel_cudaERNS_18TensorIteratorBaseESt8optionalIdES5_S5_ENKUlvE0_clEvENKUlvE1_clEvEUlN3c104HalfEE_St5arrayIPcLm2EEEEviT0_T1_: ; @_ZN2at6native29vectorized_elementwise_kernelILi4EZZZNS0_22nan_to_num_kernel_cudaERNS_18TensorIteratorBaseESt8optionalIdES5_S5_ENKUlvE0_clEvENKUlvE1_clEvEUlN3c104HalfEE_St5arrayIPcLm2EEEEviT0_T1_
; %bb.0:
	s_clause 0x2
	s_load_b64 s[8:9], s[0:1], 0x0
	s_load_b32 s10, s[0:1], 0x8
	s_load_b128 s[4:7], s[0:1], 0x10
	s_lshl_b32 s2, s15, 11
	s_mov_b32 s0, -1
	s_waitcnt lgkmcnt(0)
	s_sub_i32 s8, s8, s2
	s_delay_alu instid0(SALU_CYCLE_1)
	s_cmpk_gt_i32 s8, 0x7ff
	s_cbranch_scc0 .LBB524_34
; %bb.1:
	s_ashr_i32 s3, s2, 31
	v_dual_mov_b32 v6, s9 :: v_dual_lshlrev_b32 v5, 3, v0
	s_lshl_b64 s[0:1], s[2:3], 1
	s_lshr_b32 s3, s9, 16
	s_add_u32 s12, s6, s0
	s_addc_u32 s13, s7, s1
	s_clause 0x1
	global_load_b64 v[3:4], v5, s[12:13]
	global_load_b64 v[1:2], v5, s[12:13] offset:2048
	s_mov_b32 s11, exec_lo
	s_waitcnt vmcnt(1)
	v_cmpx_o_f16_e32 v3, v3
	s_cbranch_execz .LBB524_5
; %bb.2:
	v_mov_b32_e32 v6, s3
	s_mov_b32 s12, exec_lo
	v_cmpx_neq_f16_e32 0x7c00, v3
; %bb.3:
	v_cmp_eq_f16_e32 vcc_lo, 0xfc00, v3
	v_cndmask_b32_e64 v6, v3, s10, vcc_lo
; %bb.4:
	s_or_b32 exec_lo, exec_lo, s12
.LBB524_5:
	s_delay_alu instid0(SALU_CYCLE_1) | instskip(SKIP_3) | instid1(VALU_DEP_2)
	s_or_b32 exec_lo, exec_lo, s11
	v_lshrrev_b32_e32 v7, 16, v3
	v_mov_b32_e32 v3, s9
	s_mov_b32 s11, exec_lo
	v_cmpx_o_f16_e32 v7, v7
	s_cbranch_execz .LBB524_9
; %bb.6:
	v_mov_b32_e32 v3, s3
	s_mov_b32 s12, exec_lo
	v_cmpx_neq_f16_e32 0x7c00, v7
; %bb.7:
	v_cmp_eq_f16_e32 vcc_lo, 0xfc00, v7
	v_cndmask_b32_e64 v3, v7, s10, vcc_lo
; %bb.8:
	s_or_b32 exec_lo, exec_lo, s12
.LBB524_9:
	s_delay_alu instid0(SALU_CYCLE_1)
	s_or_b32 exec_lo, exec_lo, s11
	v_mov_b32_e32 v7, s9
	s_mov_b32 s11, exec_lo
	v_cmpx_o_f16_e32 v4, v4
	s_cbranch_execz .LBB524_13
; %bb.10:
	v_mov_b32_e32 v7, s3
	s_mov_b32 s12, exec_lo
	v_cmpx_neq_f16_e32 0x7c00, v4
; %bb.11:
	v_cmp_eq_f16_e32 vcc_lo, 0xfc00, v4
	v_cndmask_b32_e64 v7, v4, s10, vcc_lo
; %bb.12:
	s_or_b32 exec_lo, exec_lo, s12
.LBB524_13:
	s_delay_alu instid0(SALU_CYCLE_1) | instskip(SKIP_3) | instid1(VALU_DEP_2)
	s_or_b32 exec_lo, exec_lo, s11
	v_lshrrev_b32_e32 v8, 16, v4
	v_mov_b32_e32 v4, s9
	s_mov_b32 s11, exec_lo
	v_cmpx_o_f16_e32 v8, v8
	s_cbranch_execz .LBB524_17
; %bb.14:
	v_mov_b32_e32 v4, s3
	s_mov_b32 s12, exec_lo
	v_cmpx_neq_f16_e32 0x7c00, v8
; %bb.15:
	v_cmp_eq_f16_e32 vcc_lo, 0xfc00, v8
	v_cndmask_b32_e64 v4, v8, s10, vcc_lo
; %bb.16:
	s_or_b32 exec_lo, exec_lo, s12
.LBB524_17:
	s_delay_alu instid0(SALU_CYCLE_1)
	s_or_b32 exec_lo, exec_lo, s11
	v_mov_b32_e32 v8, s9
	s_mov_b32 s11, exec_lo
	s_waitcnt vmcnt(0)
	v_cmpx_o_f16_e32 v1, v1
	s_cbranch_execz .LBB524_21
; %bb.18:
	v_mov_b32_e32 v8, s3
	s_mov_b32 s12, exec_lo
	v_cmpx_neq_f16_e32 0x7c00, v1
; %bb.19:
	v_cmp_eq_f16_e32 vcc_lo, 0xfc00, v1
	v_cndmask_b32_e64 v8, v1, s10, vcc_lo
; %bb.20:
	s_or_b32 exec_lo, exec_lo, s12
.LBB524_21:
	s_delay_alu instid0(SALU_CYCLE_1) | instskip(SKIP_3) | instid1(VALU_DEP_2)
	s_or_b32 exec_lo, exec_lo, s11
	v_lshrrev_b32_e32 v9, 16, v1
	v_mov_b32_e32 v1, s9
	s_mov_b32 s11, exec_lo
	v_cmpx_o_f16_e32 v9, v9
	s_cbranch_execz .LBB524_25
; %bb.22:
	v_mov_b32_e32 v1, s3
	s_mov_b32 s12, exec_lo
	v_cmpx_neq_f16_e32 0x7c00, v9
; %bb.23:
	v_cmp_eq_f16_e32 vcc_lo, 0xfc00, v9
	v_cndmask_b32_e64 v1, v9, s10, vcc_lo
; %bb.24:
	s_or_b32 exec_lo, exec_lo, s12
.LBB524_25:
	s_delay_alu instid0(SALU_CYCLE_1)
	s_or_b32 exec_lo, exec_lo, s11
	v_mov_b32_e32 v9, s9
	s_mov_b32 s11, exec_lo
	v_cmpx_o_f16_e32 v2, v2
	s_cbranch_execz .LBB524_29
; %bb.26:
	v_mov_b32_e32 v9, s3
	s_mov_b32 s12, exec_lo
	v_cmpx_neq_f16_e32 0x7c00, v2
; %bb.27:
	v_cmp_eq_f16_e32 vcc_lo, 0xfc00, v2
	v_cndmask_b32_e64 v9, v2, s10, vcc_lo
; %bb.28:
	s_or_b32 exec_lo, exec_lo, s12
.LBB524_29:
	s_delay_alu instid0(SALU_CYCLE_1) | instskip(SKIP_3) | instid1(VALU_DEP_2)
	s_or_b32 exec_lo, exec_lo, s11
	v_lshrrev_b32_e32 v10, 16, v2
	v_mov_b32_e32 v2, s9
	s_mov_b32 s11, exec_lo
	v_cmpx_o_f16_e32 v10, v10
	s_cbranch_execz .LBB524_33
; %bb.30:
	v_mov_b32_e32 v2, s3
	s_mov_b32 s3, exec_lo
	v_cmpx_neq_f16_e32 0x7c00, v10
; %bb.31:
	v_cmp_eq_f16_e32 vcc_lo, 0xfc00, v10
	v_cndmask_b32_e64 v2, v10, s10, vcc_lo
; %bb.32:
	s_or_b32 exec_lo, exec_lo, s3
.LBB524_33:
	s_delay_alu instid0(SALU_CYCLE_1)
	s_or_b32 exec_lo, exec_lo, s11
	v_lshlrev_b32_e32 v3, 16, v3
	v_and_b32_e32 v6, 0xffff, v6
	v_lshlrev_b32_e32 v1, 16, v1
	v_and_b32_e32 v8, 0xffff, v8
	;; [unrolled: 2-line block ×3, first 2 shown]
	v_or_b32_e32 v3, v3, v6
	v_lshlrev_b32_e32 v6, 16, v2
	v_and_b32_e32 v9, 0xffff, v9
	v_or_b32_e32 v8, v1, v8
	v_or3_b32 v2, v7, 0, v4
	v_or3_b32 v1, 0, v3, 0
	s_add_u32 s12, s4, s0
	v_or3_b32 v4, v9, 0, v6
	v_or3_b32 v3, 0, v8, 0
	s_addc_u32 s13, s5, s1
	s_mov_b32 s0, 0
	s_clause 0x1
	global_store_b64 v5, v[1:2], s[12:13]
	global_store_b64 v5, v[3:4], s[12:13] offset:2048
.LBB524_34:
	s_and_b32 vcc_lo, exec_lo, s0
	s_cbranch_vccz .LBB524_107
; %bb.35:
	v_cmp_gt_i32_e32 vcc_lo, s8, v0
	v_mov_b32_e32 v8, 0
	v_or_b32_e32 v1, s2, v0
	v_or_b32_e32 v3, 0x100, v0
	v_mov_b32_e32 v6, 0
	v_mov_b32_e32 v4, v0
	s_and_saveexec_b32 s1, vcc_lo
	s_cbranch_execz .LBB524_37
; %bb.36:
	v_mov_b32_e32 v2, 0
	s_delay_alu instid0(VALU_DEP_1) | instskip(NEXT) | instid1(VALU_DEP_1)
	v_lshlrev_b64 v[4:5], 1, v[1:2]
	v_add_co_u32 v4, s0, s6, v4
	s_delay_alu instid0(VALU_DEP_1)
	v_add_co_ci_u32_e64 v5, s0, s7, v5, s0
	global_load_u16 v6, v[4:5], off
	v_or_b32_e32 v4, 0x100, v0
.LBB524_37:
	s_or_b32 exec_lo, exec_lo, s1
	s_delay_alu instid0(SALU_CYCLE_1) | instskip(NEXT) | instid1(VALU_DEP_1)
	s_mov_b32 s1, exec_lo
	v_cmpx_gt_i32_e64 s8, v4
	s_cbranch_execz .LBB524_39
; %bb.38:
	v_dual_mov_b32 v8, 0 :: v_dual_add_nc_u32 v7, s2, v4
	v_add_nc_u32_e32 v4, 0x100, v4
	s_delay_alu instid0(VALU_DEP_2) | instskip(NEXT) | instid1(VALU_DEP_1)
	v_lshlrev_b64 v[7:8], 1, v[7:8]
	v_add_co_u32 v7, s0, s6, v7
	s_delay_alu instid0(VALU_DEP_1)
	v_add_co_ci_u32_e64 v8, s0, s7, v8, s0
	global_load_u16 v8, v[7:8], off
.LBB524_39:
	s_or_b32 exec_lo, exec_lo, s1
	v_dual_mov_b32 v9, 0 :: v_dual_mov_b32 v10, 0
	s_mov_b32 s1, exec_lo
	v_cmpx_gt_i32_e64 s8, v4
	s_cbranch_execz .LBB524_41
; %bb.40:
	v_dual_mov_b32 v11, 0 :: v_dual_add_nc_u32 v10, s2, v4
	v_add_nc_u32_e32 v4, 0x100, v4
	s_delay_alu instid0(VALU_DEP_2) | instskip(NEXT) | instid1(VALU_DEP_1)
	v_lshlrev_b64 v[10:11], 1, v[10:11]
	v_add_co_u32 v10, s0, s6, v10
	s_delay_alu instid0(VALU_DEP_1)
	v_add_co_ci_u32_e64 v11, s0, s7, v11, s0
	global_load_u16 v10, v[10:11], off
.LBB524_41:
	s_or_b32 exec_lo, exec_lo, s1
	s_delay_alu instid0(SALU_CYCLE_1)
	s_mov_b32 s1, exec_lo
	v_cmpx_gt_i32_e64 s8, v4
	s_cbranch_execz .LBB524_43
; %bb.42:
	v_dual_mov_b32 v12, 0 :: v_dual_add_nc_u32 v11, s2, v4
	v_add_nc_u32_e32 v4, 0x100, v4
	s_delay_alu instid0(VALU_DEP_2) | instskip(NEXT) | instid1(VALU_DEP_1)
	v_lshlrev_b64 v[11:12], 1, v[11:12]
	v_add_co_u32 v11, s0, s6, v11
	s_delay_alu instid0(VALU_DEP_1)
	v_add_co_ci_u32_e64 v12, s0, s7, v12, s0
	global_load_u16 v9, v[11:12], off
.LBB524_43:
	s_or_b32 exec_lo, exec_lo, s1
	v_mov_b32_e32 v5, 0
	v_mov_b32_e32 v11, 0
	s_mov_b32 s1, exec_lo
	v_cmpx_gt_i32_e64 s8, v4
	s_cbranch_execz .LBB524_45
; %bb.44:
	v_dual_mov_b32 v12, 0 :: v_dual_add_nc_u32 v11, s2, v4
	v_add_nc_u32_e32 v4, 0x100, v4
	s_delay_alu instid0(VALU_DEP_2) | instskip(NEXT) | instid1(VALU_DEP_1)
	v_lshlrev_b64 v[11:12], 1, v[11:12]
	v_add_co_u32 v11, s0, s6, v11
	s_delay_alu instid0(VALU_DEP_1)
	v_add_co_ci_u32_e64 v12, s0, s7, v12, s0
	global_load_u16 v11, v[11:12], off
.LBB524_45:
	s_or_b32 exec_lo, exec_lo, s1
	s_delay_alu instid0(SALU_CYCLE_1)
	s_mov_b32 s1, exec_lo
	v_cmpx_gt_i32_e64 s8, v4
	s_cbranch_execz .LBB524_47
; %bb.46:
	v_dual_mov_b32 v13, 0 :: v_dual_add_nc_u32 v12, s2, v4
	v_add_nc_u32_e32 v4, 0x100, v4
	s_delay_alu instid0(VALU_DEP_2) | instskip(NEXT) | instid1(VALU_DEP_1)
	v_lshlrev_b64 v[12:13], 1, v[12:13]
	v_add_co_u32 v12, s0, s6, v12
	s_delay_alu instid0(VALU_DEP_1)
	v_add_co_ci_u32_e64 v13, s0, s7, v13, s0
	global_load_u16 v5, v[12:13], off
.LBB524_47:
	s_or_b32 exec_lo, exec_lo, s1
	v_dual_mov_b32 v2, 0 :: v_dual_mov_b32 v7, 0
	s_mov_b32 s1, exec_lo
	v_cmpx_gt_i32_e64 s8, v4
	s_cbranch_execz .LBB524_49
; %bb.48:
	v_dual_mov_b32 v13, 0 :: v_dual_add_nc_u32 v12, s2, v4
	v_add_nc_u32_e32 v4, 0x100, v4
	s_delay_alu instid0(VALU_DEP_2) | instskip(NEXT) | instid1(VALU_DEP_1)
	v_lshlrev_b64 v[12:13], 1, v[12:13]
	v_add_co_u32 v12, s0, s6, v12
	s_delay_alu instid0(VALU_DEP_1) | instskip(SKIP_2) | instid1(SALU_CYCLE_1)
	v_add_co_ci_u32_e64 v13, s0, s7, v13, s0
	global_load_u16 v7, v[12:13], off
	s_or_b32 exec_lo, exec_lo, s1
	s_mov_b32 s1, exec_lo
	v_cmpx_gt_i32_e64 s8, v4
	s_cbranch_execz .LBB524_51
	s_branch .LBB524_50
.LBB524_49:
	s_or_b32 exec_lo, exec_lo, s1
	s_delay_alu instid0(SALU_CYCLE_1)
	s_mov_b32 s1, exec_lo
	v_cmpx_gt_i32_e64 s8, v4
	s_cbranch_execz .LBB524_51
.LBB524_50:
	v_dual_mov_b32 v13, 0 :: v_dual_add_nc_u32 v12, s2, v4
	s_delay_alu instid0(VALU_DEP_1) | instskip(NEXT) | instid1(VALU_DEP_1)
	v_lshlrev_b64 v[12:13], 1, v[12:13]
	v_add_co_u32 v12, s0, s6, v12
	s_delay_alu instid0(VALU_DEP_1)
	v_add_co_ci_u32_e64 v13, s0, s7, v13, s0
	global_load_u16 v2, v[12:13], off
.LBB524_51:
	s_or_b32 exec_lo, exec_lo, s1
	s_lshr_b32 s1, s9, 16
                                        ; implicit-def: $vgpr4
	s_and_saveexec_b32 s3, vcc_lo
	s_cbranch_execz .LBB524_57
; %bb.52:
	v_mov_b32_e32 v4, s9
	s_mov_b32 s6, exec_lo
	s_waitcnt vmcnt(0)
	v_cmpx_o_f16_e32 v6, v6
	s_cbranch_execz .LBB524_56
; %bb.53:
	v_mov_b32_e32 v4, s1
	s_mov_b32 s7, exec_lo
	v_cmpx_neq_f16_e32 0x7c00, v6
; %bb.54:
	v_cmp_eq_f16_e64 s0, 0xfc00, v6
	s_delay_alu instid0(VALU_DEP_1)
	v_cndmask_b32_e64 v4, v6, s10, s0
; %bb.55:
	s_or_b32 exec_lo, exec_lo, s7
.LBB524_56:
	s_delay_alu instid0(SALU_CYCLE_1)
	s_or_b32 exec_lo, exec_lo, s6
.LBB524_57:
	s_delay_alu instid0(SALU_CYCLE_1) | instskip(NEXT) | instid1(SALU_CYCLE_1)
	s_or_b32 exec_lo, exec_lo, s3
	s_mov_b32 s3, exec_lo
                                        ; implicit-def: $vgpr6
	v_cmpx_gt_i32_e64 s8, v3
	s_cbranch_execz .LBB524_63
; %bb.58:
	s_waitcnt vmcnt(0)
	v_mov_b32_e32 v6, s9
	s_mov_b32 s6, exec_lo
	v_cmpx_o_f16_e32 v8, v8
	s_cbranch_execz .LBB524_62
; %bb.59:
	v_mov_b32_e32 v6, s1
	s_mov_b32 s7, exec_lo
	v_cmpx_neq_f16_e32 0x7c00, v8
; %bb.60:
	v_cmp_eq_f16_e64 s0, 0xfc00, v8
	s_delay_alu instid0(VALU_DEP_1)
	v_cndmask_b32_e64 v6, v8, s10, s0
; %bb.61:
	s_or_b32 exec_lo, exec_lo, s7
.LBB524_62:
	s_delay_alu instid0(SALU_CYCLE_1)
	s_or_b32 exec_lo, exec_lo, s6
.LBB524_63:
	s_delay_alu instid0(SALU_CYCLE_1) | instskip(SKIP_2) | instid1(VALU_DEP_1)
	s_or_b32 exec_lo, exec_lo, s3
	s_waitcnt vmcnt(0)
	v_or_b32_e32 v8, 0x200, v0
	v_cmp_gt_i32_e64 s0, s8, v8
                                        ; implicit-def: $vgpr8
	s_delay_alu instid0(VALU_DEP_1)
	s_and_saveexec_b32 s3, s0
	s_cbranch_execz .LBB524_69
; %bb.64:
	v_mov_b32_e32 v8, s9
	s_mov_b32 s6, exec_lo
	v_cmpx_o_f16_e32 v10, v10
	s_cbranch_execz .LBB524_68
; %bb.65:
	v_mov_b32_e32 v8, s1
	s_mov_b32 s7, exec_lo
	v_cmpx_neq_f16_e32 0x7c00, v10
; %bb.66:
	v_cmp_eq_f16_e64 s0, 0xfc00, v10
	s_delay_alu instid0(VALU_DEP_1)
	v_cndmask_b32_e64 v8, v10, s10, s0
; %bb.67:
	s_or_b32 exec_lo, exec_lo, s7
.LBB524_68:
	s_delay_alu instid0(SALU_CYCLE_1)
	s_or_b32 exec_lo, exec_lo, s6
.LBB524_69:
	s_delay_alu instid0(SALU_CYCLE_1) | instskip(SKIP_1) | instid1(VALU_DEP_1)
	s_or_b32 exec_lo, exec_lo, s3
	v_or_b32_e32 v10, 0x300, v0
	v_cmp_gt_i32_e64 s0, s8, v10
                                        ; implicit-def: $vgpr10
	s_delay_alu instid0(VALU_DEP_1)
	s_and_saveexec_b32 s3, s0
	s_cbranch_execz .LBB524_75
; %bb.70:
	v_mov_b32_e32 v10, s9
	s_mov_b32 s6, exec_lo
	v_cmpx_o_f16_e32 v9, v9
	s_cbranch_execz .LBB524_74
; %bb.71:
	v_mov_b32_e32 v10, s1
	s_mov_b32 s7, exec_lo
	v_cmpx_neq_f16_e32 0x7c00, v9
; %bb.72:
	v_cmp_eq_f16_e64 s0, 0xfc00, v9
	s_delay_alu instid0(VALU_DEP_1)
	v_cndmask_b32_e64 v10, v9, s10, s0
; %bb.73:
	s_or_b32 exec_lo, exec_lo, s7
.LBB524_74:
	s_delay_alu instid0(SALU_CYCLE_1)
	s_or_b32 exec_lo, exec_lo, s6
.LBB524_75:
	s_delay_alu instid0(SALU_CYCLE_1) | instskip(SKIP_1) | instid1(VALU_DEP_1)
	s_or_b32 exec_lo, exec_lo, s3
	v_or_b32_e32 v9, 0x400, v0
	v_cmp_gt_i32_e64 s0, s8, v9
                                        ; implicit-def: $vgpr9
	s_delay_alu instid0(VALU_DEP_1)
	s_and_saveexec_b32 s3, s0
	s_cbranch_execz .LBB524_81
; %bb.76:
	v_mov_b32_e32 v9, s9
	s_mov_b32 s6, exec_lo
	v_cmpx_o_f16_e32 v11, v11
	s_cbranch_execz .LBB524_80
; %bb.77:
	v_mov_b32_e32 v9, s1
	s_mov_b32 s7, exec_lo
	v_cmpx_neq_f16_e32 0x7c00, v11
; %bb.78:
	v_cmp_eq_f16_e64 s0, 0xfc00, v11
	s_delay_alu instid0(VALU_DEP_1)
	v_cndmask_b32_e64 v9, v11, s10, s0
; %bb.79:
	s_or_b32 exec_lo, exec_lo, s7
.LBB524_80:
	s_delay_alu instid0(SALU_CYCLE_1)
	s_or_b32 exec_lo, exec_lo, s6
.LBB524_81:
	s_delay_alu instid0(SALU_CYCLE_1) | instskip(SKIP_1) | instid1(VALU_DEP_1)
	s_or_b32 exec_lo, exec_lo, s3
	v_or_b32_e32 v11, 0x500, v0
	v_cmp_gt_i32_e64 s0, s8, v11
                                        ; implicit-def: $vgpr11
	s_delay_alu instid0(VALU_DEP_1)
	s_and_saveexec_b32 s3, s0
	s_cbranch_execz .LBB524_87
; %bb.82:
	v_mov_b32_e32 v11, s9
	s_mov_b32 s6, exec_lo
	v_cmpx_o_f16_e32 v5, v5
	s_cbranch_execz .LBB524_86
; %bb.83:
	v_mov_b32_e32 v11, s1
	s_mov_b32 s7, exec_lo
	v_cmpx_neq_f16_e32 0x7c00, v5
; %bb.84:
	v_cmp_eq_f16_e64 s0, 0xfc00, v5
	s_delay_alu instid0(VALU_DEP_1)
	v_cndmask_b32_e64 v11, v5, s10, s0
; %bb.85:
	s_or_b32 exec_lo, exec_lo, s7
.LBB524_86:
	s_delay_alu instid0(SALU_CYCLE_1)
	s_or_b32 exec_lo, exec_lo, s6
.LBB524_87:
	s_delay_alu instid0(SALU_CYCLE_1) | instskip(SKIP_1) | instid1(VALU_DEP_1)
	s_or_b32 exec_lo, exec_lo, s3
	v_or_b32_e32 v5, 0x600, v0
	v_cmp_gt_i32_e64 s0, s8, v5
                                        ; implicit-def: $vgpr5
	s_delay_alu instid0(VALU_DEP_1)
	s_and_saveexec_b32 s3, s0
	s_cbranch_execz .LBB524_93
; %bb.88:
	v_mov_b32_e32 v5, s9
	s_mov_b32 s6, exec_lo
	v_cmpx_o_f16_e32 v7, v7
	s_cbranch_execz .LBB524_92
; %bb.89:
	v_mov_b32_e32 v5, s1
	s_mov_b32 s7, exec_lo
	v_cmpx_neq_f16_e32 0x7c00, v7
; %bb.90:
	v_cmp_eq_f16_e64 s0, 0xfc00, v7
	s_delay_alu instid0(VALU_DEP_1)
	v_cndmask_b32_e64 v5, v7, s10, s0
; %bb.91:
	s_or_b32 exec_lo, exec_lo, s7
.LBB524_92:
	s_delay_alu instid0(SALU_CYCLE_1)
	s_or_b32 exec_lo, exec_lo, s6
.LBB524_93:
	s_delay_alu instid0(SALU_CYCLE_1) | instskip(SKIP_1) | instid1(VALU_DEP_1)
	s_or_b32 exec_lo, exec_lo, s3
	v_or_b32_e32 v7, 0x700, v0
	v_cmp_gt_i32_e64 s0, s8, v7
                                        ; implicit-def: $vgpr7
	s_delay_alu instid0(VALU_DEP_1)
	s_and_saveexec_b32 s3, s0
	s_cbranch_execz .LBB524_108
; %bb.94:
	v_mov_b32_e32 v7, s9
	s_mov_b32 s6, exec_lo
	v_cmpx_o_f16_e32 v2, v2
	s_cbranch_execz .LBB524_98
; %bb.95:
	v_mov_b32_e32 v7, s1
	s_mov_b32 s1, exec_lo
	v_cmpx_neq_f16_e32 0x7c00, v2
; %bb.96:
	v_cmp_eq_f16_e64 s0, 0xfc00, v2
	s_delay_alu instid0(VALU_DEP_1)
	v_cndmask_b32_e64 v7, v2, s10, s0
; %bb.97:
	s_or_b32 exec_lo, exec_lo, s1
.LBB524_98:
	s_delay_alu instid0(SALU_CYCLE_1) | instskip(NEXT) | instid1(SALU_CYCLE_1)
	s_or_b32 exec_lo, exec_lo, s6
	s_or_b32 exec_lo, exec_lo, s3
	s_and_saveexec_b32 s0, vcc_lo
	s_delay_alu instid0(SALU_CYCLE_1)
	s_xor_b32 s0, exec_lo, s0
	s_cbranch_execnz .LBB524_109
.LBB524_99:
	s_or_b32 exec_lo, exec_lo, s0
	s_delay_alu instid0(SALU_CYCLE_1)
	s_mov_b32 s0, exec_lo
	v_cmpx_gt_i32_e64 s8, v0
	s_cbranch_execz .LBB524_110
.LBB524_100:
	v_dual_mov_b32 v2, 0 :: v_dual_add_nc_u32 v1, s2, v0
	v_add_nc_u32_e32 v0, 0x100, v0
	s_delay_alu instid0(VALU_DEP_2) | instskip(NEXT) | instid1(VALU_DEP_1)
	v_lshlrev_b64 v[1:2], 1, v[1:2]
	v_add_co_u32 v1, vcc_lo, s4, v1
	s_delay_alu instid0(VALU_DEP_2) | instskip(SKIP_2) | instid1(SALU_CYCLE_1)
	v_add_co_ci_u32_e32 v2, vcc_lo, s5, v2, vcc_lo
	global_store_b16 v[1:2], v6, off
	s_or_b32 exec_lo, exec_lo, s0
	s_mov_b32 s0, exec_lo
	v_cmpx_gt_i32_e64 s8, v0
	s_cbranch_execnz .LBB524_111
.LBB524_101:
	s_or_b32 exec_lo, exec_lo, s0
	s_delay_alu instid0(SALU_CYCLE_1)
	s_mov_b32 s0, exec_lo
	v_cmpx_gt_i32_e64 s8, v0
	s_cbranch_execz .LBB524_112
.LBB524_102:
	v_dual_mov_b32 v2, 0 :: v_dual_add_nc_u32 v1, s2, v0
	v_add_nc_u32_e32 v0, 0x100, v0
	s_delay_alu instid0(VALU_DEP_2) | instskip(NEXT) | instid1(VALU_DEP_1)
	v_lshlrev_b64 v[1:2], 1, v[1:2]
	v_add_co_u32 v1, vcc_lo, s4, v1
	s_delay_alu instid0(VALU_DEP_2) | instskip(SKIP_2) | instid1(SALU_CYCLE_1)
	v_add_co_ci_u32_e32 v2, vcc_lo, s5, v2, vcc_lo
	global_store_b16 v[1:2], v10, off
	s_or_b32 exec_lo, exec_lo, s0
	s_mov_b32 s0, exec_lo
	v_cmpx_gt_i32_e64 s8, v0
	s_cbranch_execnz .LBB524_113
.LBB524_103:
	s_or_b32 exec_lo, exec_lo, s0
	s_delay_alu instid0(SALU_CYCLE_1)
	s_mov_b32 s0, exec_lo
	v_cmpx_gt_i32_e64 s8, v0
	s_cbranch_execz .LBB524_114
.LBB524_104:
	v_dual_mov_b32 v2, 0 :: v_dual_add_nc_u32 v1, s2, v0
	v_add_nc_u32_e32 v0, 0x100, v0
	s_delay_alu instid0(VALU_DEP_2) | instskip(NEXT) | instid1(VALU_DEP_1)
	v_lshlrev_b64 v[1:2], 1, v[1:2]
	v_add_co_u32 v1, vcc_lo, s4, v1
	s_delay_alu instid0(VALU_DEP_2) | instskip(SKIP_2) | instid1(SALU_CYCLE_1)
	v_add_co_ci_u32_e32 v2, vcc_lo, s5, v2, vcc_lo
	global_store_b16 v[1:2], v11, off
	s_or_b32 exec_lo, exec_lo, s0
	s_mov_b32 s0, exec_lo
	v_cmpx_gt_i32_e64 s8, v0
	s_cbranch_execnz .LBB524_115
.LBB524_105:
	s_or_b32 exec_lo, exec_lo, s0
	s_delay_alu instid0(SALU_CYCLE_1)
	s_mov_b32 s0, exec_lo
	v_cmpx_gt_i32_e64 s8, v0
	s_cbranch_execz .LBB524_107
.LBB524_106:
	v_dual_mov_b32 v1, 0 :: v_dual_add_nc_u32 v0, s2, v0
	s_delay_alu instid0(VALU_DEP_1) | instskip(NEXT) | instid1(VALU_DEP_1)
	v_lshlrev_b64 v[0:1], 1, v[0:1]
	v_add_co_u32 v0, vcc_lo, s4, v0
	s_delay_alu instid0(VALU_DEP_2)
	v_add_co_ci_u32_e32 v1, vcc_lo, s5, v1, vcc_lo
	global_store_b16 v[0:1], v7, off
.LBB524_107:
	s_nop 0
	s_sendmsg sendmsg(MSG_DEALLOC_VGPRS)
	s_endpgm
.LBB524_108:
	s_or_b32 exec_lo, exec_lo, s3
	s_and_saveexec_b32 s0, vcc_lo
	s_delay_alu instid0(SALU_CYCLE_1)
	s_xor_b32 s0, exec_lo, s0
	s_cbranch_execz .LBB524_99
.LBB524_109:
	v_mov_b32_e32 v2, 0
	s_delay_alu instid0(VALU_DEP_1) | instskip(NEXT) | instid1(VALU_DEP_1)
	v_lshlrev_b64 v[0:1], 1, v[1:2]
	v_add_co_u32 v12, vcc_lo, s4, v0
	s_delay_alu instid0(VALU_DEP_2) | instskip(SKIP_3) | instid1(SALU_CYCLE_1)
	v_add_co_ci_u32_e32 v13, vcc_lo, s5, v1, vcc_lo
	v_mov_b32_e32 v0, v3
	global_store_b16 v[12:13], v4, off
	s_or_b32 exec_lo, exec_lo, s0
	s_mov_b32 s0, exec_lo
	v_cmpx_gt_i32_e64 s8, v0
	s_cbranch_execnz .LBB524_100
.LBB524_110:
	s_or_b32 exec_lo, exec_lo, s0
	s_delay_alu instid0(SALU_CYCLE_1)
	s_mov_b32 s0, exec_lo
	v_cmpx_gt_i32_e64 s8, v0
	s_cbranch_execz .LBB524_101
.LBB524_111:
	v_dual_mov_b32 v2, 0 :: v_dual_add_nc_u32 v1, s2, v0
	v_add_nc_u32_e32 v0, 0x100, v0
	s_delay_alu instid0(VALU_DEP_2) | instskip(NEXT) | instid1(VALU_DEP_1)
	v_lshlrev_b64 v[1:2], 1, v[1:2]
	v_add_co_u32 v1, vcc_lo, s4, v1
	s_delay_alu instid0(VALU_DEP_2) | instskip(SKIP_2) | instid1(SALU_CYCLE_1)
	v_add_co_ci_u32_e32 v2, vcc_lo, s5, v2, vcc_lo
	global_store_b16 v[1:2], v8, off
	s_or_b32 exec_lo, exec_lo, s0
	s_mov_b32 s0, exec_lo
	v_cmpx_gt_i32_e64 s8, v0
	s_cbranch_execnz .LBB524_102
.LBB524_112:
	s_or_b32 exec_lo, exec_lo, s0
	s_delay_alu instid0(SALU_CYCLE_1)
	s_mov_b32 s0, exec_lo
	v_cmpx_gt_i32_e64 s8, v0
	s_cbranch_execz .LBB524_103
.LBB524_113:
	v_dual_mov_b32 v2, 0 :: v_dual_add_nc_u32 v1, s2, v0
	v_add_nc_u32_e32 v0, 0x100, v0
	s_delay_alu instid0(VALU_DEP_2) | instskip(NEXT) | instid1(VALU_DEP_1)
	v_lshlrev_b64 v[1:2], 1, v[1:2]
	v_add_co_u32 v1, vcc_lo, s4, v1
	s_delay_alu instid0(VALU_DEP_2) | instskip(SKIP_2) | instid1(SALU_CYCLE_1)
	v_add_co_ci_u32_e32 v2, vcc_lo, s5, v2, vcc_lo
	global_store_b16 v[1:2], v9, off
	s_or_b32 exec_lo, exec_lo, s0
	s_mov_b32 s0, exec_lo
	v_cmpx_gt_i32_e64 s8, v0
	s_cbranch_execnz .LBB524_104
.LBB524_114:
	s_or_b32 exec_lo, exec_lo, s0
	s_delay_alu instid0(SALU_CYCLE_1)
	s_mov_b32 s0, exec_lo
	v_cmpx_gt_i32_e64 s8, v0
	s_cbranch_execz .LBB524_105
.LBB524_115:
	v_dual_mov_b32 v2, 0 :: v_dual_add_nc_u32 v1, s2, v0
	v_add_nc_u32_e32 v0, 0x100, v0
	s_delay_alu instid0(VALU_DEP_2) | instskip(NEXT) | instid1(VALU_DEP_1)
	v_lshlrev_b64 v[1:2], 1, v[1:2]
	v_add_co_u32 v1, vcc_lo, s4, v1
	s_delay_alu instid0(VALU_DEP_2) | instskip(SKIP_2) | instid1(SALU_CYCLE_1)
	v_add_co_ci_u32_e32 v2, vcc_lo, s5, v2, vcc_lo
	global_store_b16 v[1:2], v5, off
	s_or_b32 exec_lo, exec_lo, s0
	s_mov_b32 s0, exec_lo
	v_cmpx_gt_i32_e64 s8, v0
	s_cbranch_execnz .LBB524_106
	s_branch .LBB524_107
	.section	.rodata,"a",@progbits
	.p2align	6, 0x0
	.amdhsa_kernel _ZN2at6native29vectorized_elementwise_kernelILi4EZZZNS0_22nan_to_num_kernel_cudaERNS_18TensorIteratorBaseESt8optionalIdES5_S5_ENKUlvE0_clEvENKUlvE1_clEvEUlN3c104HalfEE_St5arrayIPcLm2EEEEviT0_T1_
		.amdhsa_group_segment_fixed_size 0
		.amdhsa_private_segment_fixed_size 0
		.amdhsa_kernarg_size 32
		.amdhsa_user_sgpr_count 15
		.amdhsa_user_sgpr_dispatch_ptr 0
		.amdhsa_user_sgpr_queue_ptr 0
		.amdhsa_user_sgpr_kernarg_segment_ptr 1
		.amdhsa_user_sgpr_dispatch_id 0
		.amdhsa_user_sgpr_private_segment_size 0
		.amdhsa_wavefront_size32 1
		.amdhsa_uses_dynamic_stack 0
		.amdhsa_enable_private_segment 0
		.amdhsa_system_sgpr_workgroup_id_x 1
		.amdhsa_system_sgpr_workgroup_id_y 0
		.amdhsa_system_sgpr_workgroup_id_z 0
		.amdhsa_system_sgpr_workgroup_info 0
		.amdhsa_system_vgpr_workitem_id 0
		.amdhsa_next_free_vgpr 14
		.amdhsa_next_free_sgpr 16
		.amdhsa_reserve_vcc 1
		.amdhsa_float_round_mode_32 0
		.amdhsa_float_round_mode_16_64 0
		.amdhsa_float_denorm_mode_32 3
		.amdhsa_float_denorm_mode_16_64 3
		.amdhsa_dx10_clamp 1
		.amdhsa_ieee_mode 1
		.amdhsa_fp16_overflow 0
		.amdhsa_workgroup_processor_mode 1
		.amdhsa_memory_ordered 1
		.amdhsa_forward_progress 0
		.amdhsa_shared_vgpr_count 0
		.amdhsa_exception_fp_ieee_invalid_op 0
		.amdhsa_exception_fp_denorm_src 0
		.amdhsa_exception_fp_ieee_div_zero 0
		.amdhsa_exception_fp_ieee_overflow 0
		.amdhsa_exception_fp_ieee_underflow 0
		.amdhsa_exception_fp_ieee_inexact 0
		.amdhsa_exception_int_div_zero 0
	.end_amdhsa_kernel
	.section	.text._ZN2at6native29vectorized_elementwise_kernelILi4EZZZNS0_22nan_to_num_kernel_cudaERNS_18TensorIteratorBaseESt8optionalIdES5_S5_ENKUlvE0_clEvENKUlvE1_clEvEUlN3c104HalfEE_St5arrayIPcLm2EEEEviT0_T1_,"axG",@progbits,_ZN2at6native29vectorized_elementwise_kernelILi4EZZZNS0_22nan_to_num_kernel_cudaERNS_18TensorIteratorBaseESt8optionalIdES5_S5_ENKUlvE0_clEvENKUlvE1_clEvEUlN3c104HalfEE_St5arrayIPcLm2EEEEviT0_T1_,comdat
.Lfunc_end524:
	.size	_ZN2at6native29vectorized_elementwise_kernelILi4EZZZNS0_22nan_to_num_kernel_cudaERNS_18TensorIteratorBaseESt8optionalIdES5_S5_ENKUlvE0_clEvENKUlvE1_clEvEUlN3c104HalfEE_St5arrayIPcLm2EEEEviT0_T1_, .Lfunc_end524-_ZN2at6native29vectorized_elementwise_kernelILi4EZZZNS0_22nan_to_num_kernel_cudaERNS_18TensorIteratorBaseESt8optionalIdES5_S5_ENKUlvE0_clEvENKUlvE1_clEvEUlN3c104HalfEE_St5arrayIPcLm2EEEEviT0_T1_
                                        ; -- End function
	.section	.AMDGPU.csdata,"",@progbits
; Kernel info:
; codeLenInByte = 2984
; NumSgprs: 18
; NumVgprs: 14
; ScratchSize: 0
; MemoryBound: 0
; FloatMode: 240
; IeeeMode: 1
; LDSByteSize: 0 bytes/workgroup (compile time only)
; SGPRBlocks: 2
; VGPRBlocks: 1
; NumSGPRsForWavesPerEU: 18
; NumVGPRsForWavesPerEU: 14
; Occupancy: 16
; WaveLimiterHint : 1
; COMPUTE_PGM_RSRC2:SCRATCH_EN: 0
; COMPUTE_PGM_RSRC2:USER_SGPR: 15
; COMPUTE_PGM_RSRC2:TRAP_HANDLER: 0
; COMPUTE_PGM_RSRC2:TGID_X_EN: 1
; COMPUTE_PGM_RSRC2:TGID_Y_EN: 0
; COMPUTE_PGM_RSRC2:TGID_Z_EN: 0
; COMPUTE_PGM_RSRC2:TIDIG_COMP_CNT: 0
	.section	.text._ZN2at6native29vectorized_elementwise_kernelILi2EZZZNS0_22nan_to_num_kernel_cudaERNS_18TensorIteratorBaseESt8optionalIdES5_S5_ENKUlvE0_clEvENKUlvE1_clEvEUlN3c104HalfEE_St5arrayIPcLm2EEEEviT0_T1_,"axG",@progbits,_ZN2at6native29vectorized_elementwise_kernelILi2EZZZNS0_22nan_to_num_kernel_cudaERNS_18TensorIteratorBaseESt8optionalIdES5_S5_ENKUlvE0_clEvENKUlvE1_clEvEUlN3c104HalfEE_St5arrayIPcLm2EEEEviT0_T1_,comdat
	.globl	_ZN2at6native29vectorized_elementwise_kernelILi2EZZZNS0_22nan_to_num_kernel_cudaERNS_18TensorIteratorBaseESt8optionalIdES5_S5_ENKUlvE0_clEvENKUlvE1_clEvEUlN3c104HalfEE_St5arrayIPcLm2EEEEviT0_T1_ ; -- Begin function _ZN2at6native29vectorized_elementwise_kernelILi2EZZZNS0_22nan_to_num_kernel_cudaERNS_18TensorIteratorBaseESt8optionalIdES5_S5_ENKUlvE0_clEvENKUlvE1_clEvEUlN3c104HalfEE_St5arrayIPcLm2EEEEviT0_T1_
	.p2align	8
	.type	_ZN2at6native29vectorized_elementwise_kernelILi2EZZZNS0_22nan_to_num_kernel_cudaERNS_18TensorIteratorBaseESt8optionalIdES5_S5_ENKUlvE0_clEvENKUlvE1_clEvEUlN3c104HalfEE_St5arrayIPcLm2EEEEviT0_T1_,@function
_ZN2at6native29vectorized_elementwise_kernelILi2EZZZNS0_22nan_to_num_kernel_cudaERNS_18TensorIteratorBaseESt8optionalIdES5_S5_ENKUlvE0_clEvENKUlvE1_clEvEUlN3c104HalfEE_St5arrayIPcLm2EEEEviT0_T1_: ; @_ZN2at6native29vectorized_elementwise_kernelILi2EZZZNS0_22nan_to_num_kernel_cudaERNS_18TensorIteratorBaseESt8optionalIdES5_S5_ENKUlvE0_clEvENKUlvE1_clEvEUlN3c104HalfEE_St5arrayIPcLm2EEEEviT0_T1_
; %bb.0:
	s_clause 0x2
	s_load_b64 s[8:9], s[0:1], 0x0
	s_load_b32 s3, s[0:1], 0x8
	s_load_b128 s[4:7], s[0:1], 0x10
	s_lshl_b32 s2, s15, 11
	s_mov_b32 s0, -1
	s_waitcnt lgkmcnt(0)
	s_sub_i32 s8, s8, s2
	s_and_b32 s10, s3, 0xffff
	s_cmpk_gt_i32 s8, 0x7ff
	s_cbranch_scc0 .LBB525_34
; %bb.1:
	s_ashr_i32 s3, s2, 31
	v_dual_mov_b32 v2, s9 :: v_dual_lshlrev_b32 v1, 2, v0
	s_lshl_b64 s[0:1], s[2:3], 1
	s_lshr_b32 s3, s9, 16
	s_add_u32 s12, s6, s0
	s_addc_u32 s13, s7, s1
	s_clause 0x3
	global_load_b32 v3, v1, s[12:13]
	global_load_b32 v6, v1, s[12:13] offset:1024
	global_load_b32 v7, v1, s[12:13] offset:2048
	;; [unrolled: 1-line block ×3, first 2 shown]
	s_mov_b32 s11, exec_lo
	s_waitcnt vmcnt(3)
	v_cmpx_o_f16_e32 v3, v3
	s_cbranch_execz .LBB525_5
; %bb.2:
	v_mov_b32_e32 v2, s3
	s_mov_b32 s12, exec_lo
	v_cmpx_neq_f16_e32 0x7c00, v3
; %bb.3:
	v_cmp_eq_f16_e32 vcc_lo, 0xfc00, v3
	v_cndmask_b32_e64 v2, v3, s10, vcc_lo
; %bb.4:
	s_or_b32 exec_lo, exec_lo, s12
.LBB525_5:
	s_delay_alu instid0(SALU_CYCLE_1) | instskip(SKIP_3) | instid1(VALU_DEP_2)
	s_or_b32 exec_lo, exec_lo, s11
	v_lshrrev_b32_e32 v5, 16, v3
	v_mov_b32_e32 v3, s9
	s_mov_b32 s11, exec_lo
	v_cmpx_o_f16_e32 v5, v5
	s_cbranch_execz .LBB525_9
; %bb.6:
	v_mov_b32_e32 v3, s3
	s_mov_b32 s12, exec_lo
	v_cmpx_neq_f16_e32 0x7c00, v5
; %bb.7:
	v_cmp_eq_f16_e32 vcc_lo, 0xfc00, v5
	v_cndmask_b32_e64 v3, v5, s10, vcc_lo
; %bb.8:
	s_or_b32 exec_lo, exec_lo, s12
.LBB525_9:
	s_delay_alu instid0(SALU_CYCLE_1)
	s_or_b32 exec_lo, exec_lo, s11
	v_mov_b32_e32 v5, s9
	s_mov_b32 s11, exec_lo
	s_waitcnt vmcnt(2)
	v_cmpx_o_f16_e32 v6, v6
	s_cbranch_execz .LBB525_13
; %bb.10:
	v_mov_b32_e32 v5, s3
	s_mov_b32 s12, exec_lo
	v_cmpx_neq_f16_e32 0x7c00, v6
; %bb.11:
	v_cmp_eq_f16_e32 vcc_lo, 0xfc00, v6
	v_cndmask_b32_e64 v5, v6, s10, vcc_lo
; %bb.12:
	s_or_b32 exec_lo, exec_lo, s12
.LBB525_13:
	s_delay_alu instid0(SALU_CYCLE_1) | instskip(SKIP_3) | instid1(VALU_DEP_2)
	s_or_b32 exec_lo, exec_lo, s11
	v_lshrrev_b32_e32 v8, 16, v6
	v_mov_b32_e32 v6, s9
	s_mov_b32 s11, exec_lo
	v_cmpx_o_f16_e32 v8, v8
	s_cbranch_execz .LBB525_17
; %bb.14:
	v_mov_b32_e32 v6, s3
	s_mov_b32 s12, exec_lo
	v_cmpx_neq_f16_e32 0x7c00, v8
; %bb.15:
	v_cmp_eq_f16_e32 vcc_lo, 0xfc00, v8
	v_cndmask_b32_e64 v6, v8, s10, vcc_lo
; %bb.16:
	s_or_b32 exec_lo, exec_lo, s12
.LBB525_17:
	s_delay_alu instid0(SALU_CYCLE_1)
	s_or_b32 exec_lo, exec_lo, s11
	v_mov_b32_e32 v8, s9
	;; [unrolled: 34-line block ×3, first 2 shown]
	s_mov_b32 s11, exec_lo
	s_waitcnt vmcnt(0)
	v_cmpx_o_f16_e32 v4, v4
	s_cbranch_execz .LBB525_29
; %bb.26:
	v_mov_b32_e32 v9, s3
	s_mov_b32 s12, exec_lo
	v_cmpx_neq_f16_e32 0x7c00, v4
; %bb.27:
	v_cmp_eq_f16_e32 vcc_lo, 0xfc00, v4
	v_cndmask_b32_e64 v9, v4, s10, vcc_lo
; %bb.28:
	s_or_b32 exec_lo, exec_lo, s12
.LBB525_29:
	s_delay_alu instid0(SALU_CYCLE_1) | instskip(SKIP_3) | instid1(VALU_DEP_2)
	s_or_b32 exec_lo, exec_lo, s11
	v_lshrrev_b32_e32 v10, 16, v4
	v_mov_b32_e32 v4, s9
	s_mov_b32 s11, exec_lo
	v_cmpx_o_f16_e32 v10, v10
	s_cbranch_execz .LBB525_33
; %bb.30:
	v_mov_b32_e32 v4, s3
	s_mov_b32 s3, exec_lo
	v_cmpx_neq_f16_e32 0x7c00, v10
; %bb.31:
	v_cmp_eq_f16_e32 vcc_lo, 0xfc00, v10
	v_cndmask_b32_e64 v4, v10, s10, vcc_lo
; %bb.32:
	s_or_b32 exec_lo, exec_lo, s3
.LBB525_33:
	s_delay_alu instid0(SALU_CYCLE_1)
	s_or_b32 exec_lo, exec_lo, s11
	v_and_b32_e32 v2, 0xffff, v2
	v_and_b32_e32 v5, 0xffff, v5
	;; [unrolled: 1-line block ×4, first 2 shown]
	s_add_u32 s12, s4, s0
	v_lshl_or_b32 v2, v3, 16, v2
	v_lshl_or_b32 v3, v6, 16, v5
	;; [unrolled: 1-line block ×3, first 2 shown]
	s_addc_u32 s13, s5, s1
	v_lshl_or_b32 v4, v4, 16, v9
	s_mov_b32 s0, 0
	s_clause 0x3
	global_store_b32 v1, v2, s[12:13]
	global_store_b32 v1, v3, s[12:13] offset:1024
	global_store_b32 v1, v5, s[12:13] offset:2048
	;; [unrolled: 1-line block ×3, first 2 shown]
.LBB525_34:
	s_and_b32 vcc_lo, exec_lo, s0
	s_cbranch_vccz .LBB525_107
; %bb.35:
	v_cmp_gt_i32_e32 vcc_lo, s8, v0
	v_mov_b32_e32 v8, 0
	v_or_b32_e32 v1, s2, v0
	v_or_b32_e32 v3, 0x100, v0
	v_mov_b32_e32 v6, 0
	v_mov_b32_e32 v4, v0
	s_and_saveexec_b32 s1, vcc_lo
	s_cbranch_execz .LBB525_37
; %bb.36:
	v_mov_b32_e32 v2, 0
	s_delay_alu instid0(VALU_DEP_1) | instskip(NEXT) | instid1(VALU_DEP_1)
	v_lshlrev_b64 v[4:5], 1, v[1:2]
	v_add_co_u32 v4, s0, s6, v4
	s_delay_alu instid0(VALU_DEP_1)
	v_add_co_ci_u32_e64 v5, s0, s7, v5, s0
	global_load_u16 v6, v[4:5], off
	v_or_b32_e32 v4, 0x100, v0
.LBB525_37:
	s_or_b32 exec_lo, exec_lo, s1
	s_delay_alu instid0(SALU_CYCLE_1) | instskip(NEXT) | instid1(VALU_DEP_1)
	s_mov_b32 s1, exec_lo
	v_cmpx_gt_i32_e64 s8, v4
	s_cbranch_execz .LBB525_39
; %bb.38:
	v_dual_mov_b32 v8, 0 :: v_dual_add_nc_u32 v7, s2, v4
	v_add_nc_u32_e32 v4, 0x100, v4
	s_delay_alu instid0(VALU_DEP_2) | instskip(NEXT) | instid1(VALU_DEP_1)
	v_lshlrev_b64 v[7:8], 1, v[7:8]
	v_add_co_u32 v7, s0, s6, v7
	s_delay_alu instid0(VALU_DEP_1)
	v_add_co_ci_u32_e64 v8, s0, s7, v8, s0
	global_load_u16 v8, v[7:8], off
.LBB525_39:
	s_or_b32 exec_lo, exec_lo, s1
	v_dual_mov_b32 v9, 0 :: v_dual_mov_b32 v10, 0
	s_mov_b32 s1, exec_lo
	v_cmpx_gt_i32_e64 s8, v4
	s_cbranch_execz .LBB525_41
; %bb.40:
	v_dual_mov_b32 v11, 0 :: v_dual_add_nc_u32 v10, s2, v4
	v_add_nc_u32_e32 v4, 0x100, v4
	s_delay_alu instid0(VALU_DEP_2) | instskip(NEXT) | instid1(VALU_DEP_1)
	v_lshlrev_b64 v[10:11], 1, v[10:11]
	v_add_co_u32 v10, s0, s6, v10
	s_delay_alu instid0(VALU_DEP_1)
	v_add_co_ci_u32_e64 v11, s0, s7, v11, s0
	global_load_u16 v10, v[10:11], off
.LBB525_41:
	s_or_b32 exec_lo, exec_lo, s1
	s_delay_alu instid0(SALU_CYCLE_1)
	s_mov_b32 s1, exec_lo
	v_cmpx_gt_i32_e64 s8, v4
	s_cbranch_execz .LBB525_43
; %bb.42:
	v_dual_mov_b32 v12, 0 :: v_dual_add_nc_u32 v11, s2, v4
	v_add_nc_u32_e32 v4, 0x100, v4
	s_delay_alu instid0(VALU_DEP_2) | instskip(NEXT) | instid1(VALU_DEP_1)
	v_lshlrev_b64 v[11:12], 1, v[11:12]
	v_add_co_u32 v11, s0, s6, v11
	s_delay_alu instid0(VALU_DEP_1)
	v_add_co_ci_u32_e64 v12, s0, s7, v12, s0
	global_load_u16 v9, v[11:12], off
.LBB525_43:
	s_or_b32 exec_lo, exec_lo, s1
	v_mov_b32_e32 v5, 0
	v_mov_b32_e32 v11, 0
	s_mov_b32 s1, exec_lo
	v_cmpx_gt_i32_e64 s8, v4
	s_cbranch_execz .LBB525_45
; %bb.44:
	v_dual_mov_b32 v12, 0 :: v_dual_add_nc_u32 v11, s2, v4
	v_add_nc_u32_e32 v4, 0x100, v4
	s_delay_alu instid0(VALU_DEP_2) | instskip(NEXT) | instid1(VALU_DEP_1)
	v_lshlrev_b64 v[11:12], 1, v[11:12]
	v_add_co_u32 v11, s0, s6, v11
	s_delay_alu instid0(VALU_DEP_1)
	v_add_co_ci_u32_e64 v12, s0, s7, v12, s0
	global_load_u16 v11, v[11:12], off
.LBB525_45:
	s_or_b32 exec_lo, exec_lo, s1
	s_delay_alu instid0(SALU_CYCLE_1)
	s_mov_b32 s1, exec_lo
	v_cmpx_gt_i32_e64 s8, v4
	s_cbranch_execz .LBB525_47
; %bb.46:
	v_dual_mov_b32 v13, 0 :: v_dual_add_nc_u32 v12, s2, v4
	v_add_nc_u32_e32 v4, 0x100, v4
	s_delay_alu instid0(VALU_DEP_2) | instskip(NEXT) | instid1(VALU_DEP_1)
	v_lshlrev_b64 v[12:13], 1, v[12:13]
	v_add_co_u32 v12, s0, s6, v12
	s_delay_alu instid0(VALU_DEP_1)
	v_add_co_ci_u32_e64 v13, s0, s7, v13, s0
	global_load_u16 v5, v[12:13], off
.LBB525_47:
	s_or_b32 exec_lo, exec_lo, s1
	v_dual_mov_b32 v2, 0 :: v_dual_mov_b32 v7, 0
	s_mov_b32 s1, exec_lo
	v_cmpx_gt_i32_e64 s8, v4
	s_cbranch_execz .LBB525_49
; %bb.48:
	v_dual_mov_b32 v13, 0 :: v_dual_add_nc_u32 v12, s2, v4
	v_add_nc_u32_e32 v4, 0x100, v4
	s_delay_alu instid0(VALU_DEP_2) | instskip(NEXT) | instid1(VALU_DEP_1)
	v_lshlrev_b64 v[12:13], 1, v[12:13]
	v_add_co_u32 v12, s0, s6, v12
	s_delay_alu instid0(VALU_DEP_1) | instskip(SKIP_2) | instid1(SALU_CYCLE_1)
	v_add_co_ci_u32_e64 v13, s0, s7, v13, s0
	global_load_u16 v7, v[12:13], off
	s_or_b32 exec_lo, exec_lo, s1
	s_mov_b32 s1, exec_lo
	v_cmpx_gt_i32_e64 s8, v4
	s_cbranch_execz .LBB525_51
	s_branch .LBB525_50
.LBB525_49:
	s_or_b32 exec_lo, exec_lo, s1
	s_delay_alu instid0(SALU_CYCLE_1)
	s_mov_b32 s1, exec_lo
	v_cmpx_gt_i32_e64 s8, v4
	s_cbranch_execz .LBB525_51
.LBB525_50:
	v_dual_mov_b32 v13, 0 :: v_dual_add_nc_u32 v12, s2, v4
	s_delay_alu instid0(VALU_DEP_1) | instskip(NEXT) | instid1(VALU_DEP_1)
	v_lshlrev_b64 v[12:13], 1, v[12:13]
	v_add_co_u32 v12, s0, s6, v12
	s_delay_alu instid0(VALU_DEP_1)
	v_add_co_ci_u32_e64 v13, s0, s7, v13, s0
	global_load_u16 v2, v[12:13], off
.LBB525_51:
	s_or_b32 exec_lo, exec_lo, s1
	s_lshr_b32 s1, s9, 16
                                        ; implicit-def: $vgpr4
	s_and_saveexec_b32 s3, vcc_lo
	s_cbranch_execz .LBB525_57
; %bb.52:
	v_mov_b32_e32 v4, s9
	s_mov_b32 s6, exec_lo
	s_waitcnt vmcnt(0)
	v_cmpx_o_f16_e32 v6, v6
	s_cbranch_execz .LBB525_56
; %bb.53:
	v_mov_b32_e32 v4, s1
	s_mov_b32 s7, exec_lo
	v_cmpx_neq_f16_e32 0x7c00, v6
; %bb.54:
	v_cmp_eq_f16_e64 s0, 0xfc00, v6
	s_delay_alu instid0(VALU_DEP_1)
	v_cndmask_b32_e64 v4, v6, s10, s0
; %bb.55:
	s_or_b32 exec_lo, exec_lo, s7
.LBB525_56:
	s_delay_alu instid0(SALU_CYCLE_1)
	s_or_b32 exec_lo, exec_lo, s6
.LBB525_57:
	s_delay_alu instid0(SALU_CYCLE_1) | instskip(NEXT) | instid1(SALU_CYCLE_1)
	s_or_b32 exec_lo, exec_lo, s3
	s_mov_b32 s3, exec_lo
                                        ; implicit-def: $vgpr6
	v_cmpx_gt_i32_e64 s8, v3
	s_cbranch_execz .LBB525_63
; %bb.58:
	s_waitcnt vmcnt(0)
	v_mov_b32_e32 v6, s9
	s_mov_b32 s6, exec_lo
	v_cmpx_o_f16_e32 v8, v8
	s_cbranch_execz .LBB525_62
; %bb.59:
	v_mov_b32_e32 v6, s1
	s_mov_b32 s7, exec_lo
	v_cmpx_neq_f16_e32 0x7c00, v8
; %bb.60:
	v_cmp_eq_f16_e64 s0, 0xfc00, v8
	s_delay_alu instid0(VALU_DEP_1)
	v_cndmask_b32_e64 v6, v8, s10, s0
; %bb.61:
	s_or_b32 exec_lo, exec_lo, s7
.LBB525_62:
	s_delay_alu instid0(SALU_CYCLE_1)
	s_or_b32 exec_lo, exec_lo, s6
.LBB525_63:
	s_delay_alu instid0(SALU_CYCLE_1) | instskip(SKIP_2) | instid1(VALU_DEP_1)
	s_or_b32 exec_lo, exec_lo, s3
	s_waitcnt vmcnt(0)
	v_or_b32_e32 v8, 0x200, v0
	v_cmp_gt_i32_e64 s0, s8, v8
                                        ; implicit-def: $vgpr8
	s_delay_alu instid0(VALU_DEP_1)
	s_and_saveexec_b32 s3, s0
	s_cbranch_execz .LBB525_69
; %bb.64:
	v_mov_b32_e32 v8, s9
	s_mov_b32 s6, exec_lo
	v_cmpx_o_f16_e32 v10, v10
	s_cbranch_execz .LBB525_68
; %bb.65:
	v_mov_b32_e32 v8, s1
	s_mov_b32 s7, exec_lo
	v_cmpx_neq_f16_e32 0x7c00, v10
; %bb.66:
	v_cmp_eq_f16_e64 s0, 0xfc00, v10
	s_delay_alu instid0(VALU_DEP_1)
	v_cndmask_b32_e64 v8, v10, s10, s0
; %bb.67:
	s_or_b32 exec_lo, exec_lo, s7
.LBB525_68:
	s_delay_alu instid0(SALU_CYCLE_1)
	s_or_b32 exec_lo, exec_lo, s6
.LBB525_69:
	s_delay_alu instid0(SALU_CYCLE_1) | instskip(SKIP_1) | instid1(VALU_DEP_1)
	s_or_b32 exec_lo, exec_lo, s3
	v_or_b32_e32 v10, 0x300, v0
	v_cmp_gt_i32_e64 s0, s8, v10
                                        ; implicit-def: $vgpr10
	s_delay_alu instid0(VALU_DEP_1)
	s_and_saveexec_b32 s3, s0
	s_cbranch_execz .LBB525_75
; %bb.70:
	v_mov_b32_e32 v10, s9
	s_mov_b32 s6, exec_lo
	v_cmpx_o_f16_e32 v9, v9
	s_cbranch_execz .LBB525_74
; %bb.71:
	v_mov_b32_e32 v10, s1
	s_mov_b32 s7, exec_lo
	v_cmpx_neq_f16_e32 0x7c00, v9
; %bb.72:
	v_cmp_eq_f16_e64 s0, 0xfc00, v9
	s_delay_alu instid0(VALU_DEP_1)
	v_cndmask_b32_e64 v10, v9, s10, s0
; %bb.73:
	s_or_b32 exec_lo, exec_lo, s7
.LBB525_74:
	s_delay_alu instid0(SALU_CYCLE_1)
	s_or_b32 exec_lo, exec_lo, s6
.LBB525_75:
	s_delay_alu instid0(SALU_CYCLE_1) | instskip(SKIP_1) | instid1(VALU_DEP_1)
	s_or_b32 exec_lo, exec_lo, s3
	v_or_b32_e32 v9, 0x400, v0
	v_cmp_gt_i32_e64 s0, s8, v9
                                        ; implicit-def: $vgpr9
	s_delay_alu instid0(VALU_DEP_1)
	s_and_saveexec_b32 s3, s0
	s_cbranch_execz .LBB525_81
; %bb.76:
	v_mov_b32_e32 v9, s9
	s_mov_b32 s6, exec_lo
	v_cmpx_o_f16_e32 v11, v11
	s_cbranch_execz .LBB525_80
; %bb.77:
	v_mov_b32_e32 v9, s1
	s_mov_b32 s7, exec_lo
	v_cmpx_neq_f16_e32 0x7c00, v11
; %bb.78:
	v_cmp_eq_f16_e64 s0, 0xfc00, v11
	s_delay_alu instid0(VALU_DEP_1)
	v_cndmask_b32_e64 v9, v11, s10, s0
; %bb.79:
	s_or_b32 exec_lo, exec_lo, s7
.LBB525_80:
	s_delay_alu instid0(SALU_CYCLE_1)
	s_or_b32 exec_lo, exec_lo, s6
.LBB525_81:
	s_delay_alu instid0(SALU_CYCLE_1) | instskip(SKIP_1) | instid1(VALU_DEP_1)
	s_or_b32 exec_lo, exec_lo, s3
	v_or_b32_e32 v11, 0x500, v0
	v_cmp_gt_i32_e64 s0, s8, v11
                                        ; implicit-def: $vgpr11
	s_delay_alu instid0(VALU_DEP_1)
	s_and_saveexec_b32 s3, s0
	s_cbranch_execz .LBB525_87
; %bb.82:
	v_mov_b32_e32 v11, s9
	s_mov_b32 s6, exec_lo
	v_cmpx_o_f16_e32 v5, v5
	s_cbranch_execz .LBB525_86
; %bb.83:
	v_mov_b32_e32 v11, s1
	s_mov_b32 s7, exec_lo
	v_cmpx_neq_f16_e32 0x7c00, v5
; %bb.84:
	v_cmp_eq_f16_e64 s0, 0xfc00, v5
	s_delay_alu instid0(VALU_DEP_1)
	v_cndmask_b32_e64 v11, v5, s10, s0
; %bb.85:
	s_or_b32 exec_lo, exec_lo, s7
.LBB525_86:
	s_delay_alu instid0(SALU_CYCLE_1)
	s_or_b32 exec_lo, exec_lo, s6
.LBB525_87:
	s_delay_alu instid0(SALU_CYCLE_1) | instskip(SKIP_1) | instid1(VALU_DEP_1)
	s_or_b32 exec_lo, exec_lo, s3
	v_or_b32_e32 v5, 0x600, v0
	v_cmp_gt_i32_e64 s0, s8, v5
                                        ; implicit-def: $vgpr5
	s_delay_alu instid0(VALU_DEP_1)
	s_and_saveexec_b32 s3, s0
	s_cbranch_execz .LBB525_93
; %bb.88:
	v_mov_b32_e32 v5, s9
	s_mov_b32 s6, exec_lo
	v_cmpx_o_f16_e32 v7, v7
	s_cbranch_execz .LBB525_92
; %bb.89:
	v_mov_b32_e32 v5, s1
	s_mov_b32 s7, exec_lo
	v_cmpx_neq_f16_e32 0x7c00, v7
; %bb.90:
	v_cmp_eq_f16_e64 s0, 0xfc00, v7
	s_delay_alu instid0(VALU_DEP_1)
	v_cndmask_b32_e64 v5, v7, s10, s0
; %bb.91:
	s_or_b32 exec_lo, exec_lo, s7
.LBB525_92:
	s_delay_alu instid0(SALU_CYCLE_1)
	s_or_b32 exec_lo, exec_lo, s6
.LBB525_93:
	s_delay_alu instid0(SALU_CYCLE_1) | instskip(SKIP_1) | instid1(VALU_DEP_1)
	s_or_b32 exec_lo, exec_lo, s3
	v_or_b32_e32 v7, 0x700, v0
	v_cmp_gt_i32_e64 s0, s8, v7
                                        ; implicit-def: $vgpr7
	s_delay_alu instid0(VALU_DEP_1)
	s_and_saveexec_b32 s3, s0
	s_cbranch_execz .LBB525_108
; %bb.94:
	v_mov_b32_e32 v7, s9
	s_mov_b32 s6, exec_lo
	v_cmpx_o_f16_e32 v2, v2
	s_cbranch_execz .LBB525_98
; %bb.95:
	v_mov_b32_e32 v7, s1
	s_mov_b32 s1, exec_lo
	v_cmpx_neq_f16_e32 0x7c00, v2
; %bb.96:
	v_cmp_eq_f16_e64 s0, 0xfc00, v2
	s_delay_alu instid0(VALU_DEP_1)
	v_cndmask_b32_e64 v7, v2, s10, s0
; %bb.97:
	s_or_b32 exec_lo, exec_lo, s1
.LBB525_98:
	s_delay_alu instid0(SALU_CYCLE_1) | instskip(NEXT) | instid1(SALU_CYCLE_1)
	s_or_b32 exec_lo, exec_lo, s6
	s_or_b32 exec_lo, exec_lo, s3
	s_and_saveexec_b32 s0, vcc_lo
	s_delay_alu instid0(SALU_CYCLE_1)
	s_xor_b32 s0, exec_lo, s0
	s_cbranch_execnz .LBB525_109
.LBB525_99:
	s_or_b32 exec_lo, exec_lo, s0
	s_delay_alu instid0(SALU_CYCLE_1)
	s_mov_b32 s0, exec_lo
	v_cmpx_gt_i32_e64 s8, v0
	s_cbranch_execz .LBB525_110
.LBB525_100:
	v_dual_mov_b32 v2, 0 :: v_dual_add_nc_u32 v1, s2, v0
	v_add_nc_u32_e32 v0, 0x100, v0
	s_delay_alu instid0(VALU_DEP_2) | instskip(NEXT) | instid1(VALU_DEP_1)
	v_lshlrev_b64 v[1:2], 1, v[1:2]
	v_add_co_u32 v1, vcc_lo, s4, v1
	s_delay_alu instid0(VALU_DEP_2) | instskip(SKIP_2) | instid1(SALU_CYCLE_1)
	v_add_co_ci_u32_e32 v2, vcc_lo, s5, v2, vcc_lo
	global_store_b16 v[1:2], v6, off
	s_or_b32 exec_lo, exec_lo, s0
	s_mov_b32 s0, exec_lo
	v_cmpx_gt_i32_e64 s8, v0
	s_cbranch_execnz .LBB525_111
.LBB525_101:
	s_or_b32 exec_lo, exec_lo, s0
	s_delay_alu instid0(SALU_CYCLE_1)
	s_mov_b32 s0, exec_lo
	v_cmpx_gt_i32_e64 s8, v0
	s_cbranch_execz .LBB525_112
.LBB525_102:
	v_dual_mov_b32 v2, 0 :: v_dual_add_nc_u32 v1, s2, v0
	v_add_nc_u32_e32 v0, 0x100, v0
	s_delay_alu instid0(VALU_DEP_2) | instskip(NEXT) | instid1(VALU_DEP_1)
	v_lshlrev_b64 v[1:2], 1, v[1:2]
	v_add_co_u32 v1, vcc_lo, s4, v1
	s_delay_alu instid0(VALU_DEP_2) | instskip(SKIP_2) | instid1(SALU_CYCLE_1)
	v_add_co_ci_u32_e32 v2, vcc_lo, s5, v2, vcc_lo
	global_store_b16 v[1:2], v10, off
	s_or_b32 exec_lo, exec_lo, s0
	s_mov_b32 s0, exec_lo
	v_cmpx_gt_i32_e64 s8, v0
	s_cbranch_execnz .LBB525_113
.LBB525_103:
	s_or_b32 exec_lo, exec_lo, s0
	s_delay_alu instid0(SALU_CYCLE_1)
	s_mov_b32 s0, exec_lo
	v_cmpx_gt_i32_e64 s8, v0
	s_cbranch_execz .LBB525_114
.LBB525_104:
	v_dual_mov_b32 v2, 0 :: v_dual_add_nc_u32 v1, s2, v0
	v_add_nc_u32_e32 v0, 0x100, v0
	s_delay_alu instid0(VALU_DEP_2) | instskip(NEXT) | instid1(VALU_DEP_1)
	v_lshlrev_b64 v[1:2], 1, v[1:2]
	v_add_co_u32 v1, vcc_lo, s4, v1
	s_delay_alu instid0(VALU_DEP_2) | instskip(SKIP_2) | instid1(SALU_CYCLE_1)
	v_add_co_ci_u32_e32 v2, vcc_lo, s5, v2, vcc_lo
	global_store_b16 v[1:2], v11, off
	s_or_b32 exec_lo, exec_lo, s0
	s_mov_b32 s0, exec_lo
	v_cmpx_gt_i32_e64 s8, v0
	s_cbranch_execnz .LBB525_115
.LBB525_105:
	s_or_b32 exec_lo, exec_lo, s0
	s_delay_alu instid0(SALU_CYCLE_1)
	s_mov_b32 s0, exec_lo
	v_cmpx_gt_i32_e64 s8, v0
	s_cbranch_execz .LBB525_107
.LBB525_106:
	v_dual_mov_b32 v1, 0 :: v_dual_add_nc_u32 v0, s2, v0
	s_delay_alu instid0(VALU_DEP_1) | instskip(NEXT) | instid1(VALU_DEP_1)
	v_lshlrev_b64 v[0:1], 1, v[0:1]
	v_add_co_u32 v0, vcc_lo, s4, v0
	s_delay_alu instid0(VALU_DEP_2)
	v_add_co_ci_u32_e32 v1, vcc_lo, s5, v1, vcc_lo
	global_store_b16 v[0:1], v7, off
.LBB525_107:
	s_nop 0
	s_sendmsg sendmsg(MSG_DEALLOC_VGPRS)
	s_endpgm
.LBB525_108:
	s_or_b32 exec_lo, exec_lo, s3
	s_and_saveexec_b32 s0, vcc_lo
	s_delay_alu instid0(SALU_CYCLE_1)
	s_xor_b32 s0, exec_lo, s0
	s_cbranch_execz .LBB525_99
.LBB525_109:
	v_mov_b32_e32 v2, 0
	s_delay_alu instid0(VALU_DEP_1) | instskip(NEXT) | instid1(VALU_DEP_1)
	v_lshlrev_b64 v[0:1], 1, v[1:2]
	v_add_co_u32 v12, vcc_lo, s4, v0
	s_delay_alu instid0(VALU_DEP_2) | instskip(SKIP_3) | instid1(SALU_CYCLE_1)
	v_add_co_ci_u32_e32 v13, vcc_lo, s5, v1, vcc_lo
	v_mov_b32_e32 v0, v3
	global_store_b16 v[12:13], v4, off
	s_or_b32 exec_lo, exec_lo, s0
	s_mov_b32 s0, exec_lo
	v_cmpx_gt_i32_e64 s8, v0
	s_cbranch_execnz .LBB525_100
.LBB525_110:
	s_or_b32 exec_lo, exec_lo, s0
	s_delay_alu instid0(SALU_CYCLE_1)
	s_mov_b32 s0, exec_lo
	v_cmpx_gt_i32_e64 s8, v0
	s_cbranch_execz .LBB525_101
.LBB525_111:
	v_dual_mov_b32 v2, 0 :: v_dual_add_nc_u32 v1, s2, v0
	v_add_nc_u32_e32 v0, 0x100, v0
	s_delay_alu instid0(VALU_DEP_2) | instskip(NEXT) | instid1(VALU_DEP_1)
	v_lshlrev_b64 v[1:2], 1, v[1:2]
	v_add_co_u32 v1, vcc_lo, s4, v1
	s_delay_alu instid0(VALU_DEP_2) | instskip(SKIP_2) | instid1(SALU_CYCLE_1)
	v_add_co_ci_u32_e32 v2, vcc_lo, s5, v2, vcc_lo
	global_store_b16 v[1:2], v8, off
	s_or_b32 exec_lo, exec_lo, s0
	s_mov_b32 s0, exec_lo
	v_cmpx_gt_i32_e64 s8, v0
	s_cbranch_execnz .LBB525_102
.LBB525_112:
	s_or_b32 exec_lo, exec_lo, s0
	s_delay_alu instid0(SALU_CYCLE_1)
	s_mov_b32 s0, exec_lo
	v_cmpx_gt_i32_e64 s8, v0
	s_cbranch_execz .LBB525_103
.LBB525_113:
	v_dual_mov_b32 v2, 0 :: v_dual_add_nc_u32 v1, s2, v0
	v_add_nc_u32_e32 v0, 0x100, v0
	s_delay_alu instid0(VALU_DEP_2) | instskip(NEXT) | instid1(VALU_DEP_1)
	v_lshlrev_b64 v[1:2], 1, v[1:2]
	v_add_co_u32 v1, vcc_lo, s4, v1
	s_delay_alu instid0(VALU_DEP_2) | instskip(SKIP_2) | instid1(SALU_CYCLE_1)
	v_add_co_ci_u32_e32 v2, vcc_lo, s5, v2, vcc_lo
	global_store_b16 v[1:2], v9, off
	s_or_b32 exec_lo, exec_lo, s0
	s_mov_b32 s0, exec_lo
	v_cmpx_gt_i32_e64 s8, v0
	s_cbranch_execnz .LBB525_104
.LBB525_114:
	s_or_b32 exec_lo, exec_lo, s0
	s_delay_alu instid0(SALU_CYCLE_1)
	s_mov_b32 s0, exec_lo
	v_cmpx_gt_i32_e64 s8, v0
	s_cbranch_execz .LBB525_105
.LBB525_115:
	v_dual_mov_b32 v2, 0 :: v_dual_add_nc_u32 v1, s2, v0
	v_add_nc_u32_e32 v0, 0x100, v0
	s_delay_alu instid0(VALU_DEP_2) | instskip(NEXT) | instid1(VALU_DEP_1)
	v_lshlrev_b64 v[1:2], 1, v[1:2]
	v_add_co_u32 v1, vcc_lo, s4, v1
	s_delay_alu instid0(VALU_DEP_2) | instskip(SKIP_2) | instid1(SALU_CYCLE_1)
	v_add_co_ci_u32_e32 v2, vcc_lo, s5, v2, vcc_lo
	global_store_b16 v[1:2], v5, off
	s_or_b32 exec_lo, exec_lo, s0
	s_mov_b32 s0, exec_lo
	v_cmpx_gt_i32_e64 s8, v0
	s_cbranch_execnz .LBB525_106
	s_branch .LBB525_107
	.section	.rodata,"a",@progbits
	.p2align	6, 0x0
	.amdhsa_kernel _ZN2at6native29vectorized_elementwise_kernelILi2EZZZNS0_22nan_to_num_kernel_cudaERNS_18TensorIteratorBaseESt8optionalIdES5_S5_ENKUlvE0_clEvENKUlvE1_clEvEUlN3c104HalfEE_St5arrayIPcLm2EEEEviT0_T1_
		.amdhsa_group_segment_fixed_size 0
		.amdhsa_private_segment_fixed_size 0
		.amdhsa_kernarg_size 32
		.amdhsa_user_sgpr_count 15
		.amdhsa_user_sgpr_dispatch_ptr 0
		.amdhsa_user_sgpr_queue_ptr 0
		.amdhsa_user_sgpr_kernarg_segment_ptr 1
		.amdhsa_user_sgpr_dispatch_id 0
		.amdhsa_user_sgpr_private_segment_size 0
		.amdhsa_wavefront_size32 1
		.amdhsa_uses_dynamic_stack 0
		.amdhsa_enable_private_segment 0
		.amdhsa_system_sgpr_workgroup_id_x 1
		.amdhsa_system_sgpr_workgroup_id_y 0
		.amdhsa_system_sgpr_workgroup_id_z 0
		.amdhsa_system_sgpr_workgroup_info 0
		.amdhsa_system_vgpr_workitem_id 0
		.amdhsa_next_free_vgpr 14
		.amdhsa_next_free_sgpr 16
		.amdhsa_reserve_vcc 1
		.amdhsa_float_round_mode_32 0
		.amdhsa_float_round_mode_16_64 0
		.amdhsa_float_denorm_mode_32 3
		.amdhsa_float_denorm_mode_16_64 3
		.amdhsa_dx10_clamp 1
		.amdhsa_ieee_mode 1
		.amdhsa_fp16_overflow 0
		.amdhsa_workgroup_processor_mode 1
		.amdhsa_memory_ordered 1
		.amdhsa_forward_progress 0
		.amdhsa_shared_vgpr_count 0
		.amdhsa_exception_fp_ieee_invalid_op 0
		.amdhsa_exception_fp_denorm_src 0
		.amdhsa_exception_fp_ieee_div_zero 0
		.amdhsa_exception_fp_ieee_overflow 0
		.amdhsa_exception_fp_ieee_underflow 0
		.amdhsa_exception_fp_ieee_inexact 0
		.amdhsa_exception_int_div_zero 0
	.end_amdhsa_kernel
	.section	.text._ZN2at6native29vectorized_elementwise_kernelILi2EZZZNS0_22nan_to_num_kernel_cudaERNS_18TensorIteratorBaseESt8optionalIdES5_S5_ENKUlvE0_clEvENKUlvE1_clEvEUlN3c104HalfEE_St5arrayIPcLm2EEEEviT0_T1_,"axG",@progbits,_ZN2at6native29vectorized_elementwise_kernelILi2EZZZNS0_22nan_to_num_kernel_cudaERNS_18TensorIteratorBaseESt8optionalIdES5_S5_ENKUlvE0_clEvENKUlvE1_clEvEUlN3c104HalfEE_St5arrayIPcLm2EEEEviT0_T1_,comdat
.Lfunc_end525:
	.size	_ZN2at6native29vectorized_elementwise_kernelILi2EZZZNS0_22nan_to_num_kernel_cudaERNS_18TensorIteratorBaseESt8optionalIdES5_S5_ENKUlvE0_clEvENKUlvE1_clEvEUlN3c104HalfEE_St5arrayIPcLm2EEEEviT0_T1_, .Lfunc_end525-_ZN2at6native29vectorized_elementwise_kernelILi2EZZZNS0_22nan_to_num_kernel_cudaERNS_18TensorIteratorBaseESt8optionalIdES5_S5_ENKUlvE0_clEvENKUlvE1_clEvEUlN3c104HalfEE_St5arrayIPcLm2EEEEviT0_T1_
                                        ; -- End function
	.section	.AMDGPU.csdata,"",@progbits
; Kernel info:
; codeLenInByte = 3004
; NumSgprs: 18
; NumVgprs: 14
; ScratchSize: 0
; MemoryBound: 0
; FloatMode: 240
; IeeeMode: 1
; LDSByteSize: 0 bytes/workgroup (compile time only)
; SGPRBlocks: 2
; VGPRBlocks: 1
; NumSGPRsForWavesPerEU: 18
; NumVGPRsForWavesPerEU: 14
; Occupancy: 16
; WaveLimiterHint : 1
; COMPUTE_PGM_RSRC2:SCRATCH_EN: 0
; COMPUTE_PGM_RSRC2:USER_SGPR: 15
; COMPUTE_PGM_RSRC2:TRAP_HANDLER: 0
; COMPUTE_PGM_RSRC2:TGID_X_EN: 1
; COMPUTE_PGM_RSRC2:TGID_Y_EN: 0
; COMPUTE_PGM_RSRC2:TGID_Z_EN: 0
; COMPUTE_PGM_RSRC2:TIDIG_COMP_CNT: 0
	.section	.text._ZN2at6native27unrolled_elementwise_kernelIZZZNS0_22nan_to_num_kernel_cudaERNS_18TensorIteratorBaseESt8optionalIdES5_S5_ENKUlvE0_clEvENKUlvE1_clEvEUlN3c104HalfEE_St5arrayIPcLm2EELi4E23TrivialOffsetCalculatorILi1EjESF_NS0_6memory15LoadWithoutCastENSG_16StoreWithoutCastEEEviT_T0_T2_T3_T4_T5_,"axG",@progbits,_ZN2at6native27unrolled_elementwise_kernelIZZZNS0_22nan_to_num_kernel_cudaERNS_18TensorIteratorBaseESt8optionalIdES5_S5_ENKUlvE0_clEvENKUlvE1_clEvEUlN3c104HalfEE_St5arrayIPcLm2EELi4E23TrivialOffsetCalculatorILi1EjESF_NS0_6memory15LoadWithoutCastENSG_16StoreWithoutCastEEEviT_T0_T2_T3_T4_T5_,comdat
	.globl	_ZN2at6native27unrolled_elementwise_kernelIZZZNS0_22nan_to_num_kernel_cudaERNS_18TensorIteratorBaseESt8optionalIdES5_S5_ENKUlvE0_clEvENKUlvE1_clEvEUlN3c104HalfEE_St5arrayIPcLm2EELi4E23TrivialOffsetCalculatorILi1EjESF_NS0_6memory15LoadWithoutCastENSG_16StoreWithoutCastEEEviT_T0_T2_T3_T4_T5_ ; -- Begin function _ZN2at6native27unrolled_elementwise_kernelIZZZNS0_22nan_to_num_kernel_cudaERNS_18TensorIteratorBaseESt8optionalIdES5_S5_ENKUlvE0_clEvENKUlvE1_clEvEUlN3c104HalfEE_St5arrayIPcLm2EELi4E23TrivialOffsetCalculatorILi1EjESF_NS0_6memory15LoadWithoutCastENSG_16StoreWithoutCastEEEviT_T0_T2_T3_T4_T5_
	.p2align	8
	.type	_ZN2at6native27unrolled_elementwise_kernelIZZZNS0_22nan_to_num_kernel_cudaERNS_18TensorIteratorBaseESt8optionalIdES5_S5_ENKUlvE0_clEvENKUlvE1_clEvEUlN3c104HalfEE_St5arrayIPcLm2EELi4E23TrivialOffsetCalculatorILi1EjESF_NS0_6memory15LoadWithoutCastENSG_16StoreWithoutCastEEEviT_T0_T2_T3_T4_T5_,@function
_ZN2at6native27unrolled_elementwise_kernelIZZZNS0_22nan_to_num_kernel_cudaERNS_18TensorIteratorBaseESt8optionalIdES5_S5_ENKUlvE0_clEvENKUlvE1_clEvEUlN3c104HalfEE_St5arrayIPcLm2EELi4E23TrivialOffsetCalculatorILi1EjESF_NS0_6memory15LoadWithoutCastENSG_16StoreWithoutCastEEEviT_T0_T2_T3_T4_T5_: ; @_ZN2at6native27unrolled_elementwise_kernelIZZZNS0_22nan_to_num_kernel_cudaERNS_18TensorIteratorBaseESt8optionalIdES5_S5_ENKUlvE0_clEvENKUlvE1_clEvEUlN3c104HalfEE_St5arrayIPcLm2EELi4E23TrivialOffsetCalculatorILi1EjESF_NS0_6memory15LoadWithoutCastENSG_16StoreWithoutCastEEEviT_T0_T2_T3_T4_T5_
; %bb.0:
	s_clause 0x1
	s_load_b64 s[2:3], s[0:1], 0x0
	s_load_b128 s[4:7], s[0:1], 0x10
	s_lshl_b32 s8, s15, 10
	v_dual_mov_b32 v5, 0 :: v_dual_mov_b32 v6, 0
	v_or_b32_e32 v1, s8, v0
	v_or_b32_e32 v3, 0x100, v0
	v_mov_b32_e32 v4, v0
	s_waitcnt lgkmcnt(0)
	s_sub_i32 s9, s2, s8
	s_delay_alu instid0(SALU_CYCLE_1)
	v_cmp_gt_i32_e32 vcc_lo, s9, v0
	s_and_saveexec_b32 s10, vcc_lo
	s_cbranch_execz .LBB526_2
; %bb.1:
	v_mov_b32_e32 v2, 0
	v_or_b32_e32 v4, 0x100, v0
	s_delay_alu instid0(VALU_DEP_2) | instskip(NEXT) | instid1(VALU_DEP_1)
	v_lshlrev_b64 v[6:7], 1, v[1:2]
	v_add_co_u32 v6, s2, s6, v6
	s_delay_alu instid0(VALU_DEP_1)
	v_add_co_ci_u32_e64 v7, s2, s7, v7, s2
	global_load_u16 v6, v[6:7], off
.LBB526_2:
	s_or_b32 exec_lo, exec_lo, s10
	s_delay_alu instid0(SALU_CYCLE_1)
	s_mov_b32 s10, exec_lo
	v_cmpx_gt_i32_e64 s9, v4
	s_cbranch_execz .LBB526_4
; %bb.3:
	v_dual_mov_b32 v8, 0 :: v_dual_add_nc_u32 v7, s8, v4
	v_add_nc_u32_e32 v4, 0x100, v4
	s_delay_alu instid0(VALU_DEP_2) | instskip(NEXT) | instid1(VALU_DEP_1)
	v_lshlrev_b64 v[7:8], 1, v[7:8]
	v_add_co_u32 v7, s2, s6, v7
	s_delay_alu instid0(VALU_DEP_1)
	v_add_co_ci_u32_e64 v8, s2, s7, v8, s2
	global_load_u16 v5, v[7:8], off
.LBB526_4:
	s_or_b32 exec_lo, exec_lo, s10
	v_dual_mov_b32 v2, 0 :: v_dual_mov_b32 v7, 0
	s_mov_b32 s10, exec_lo
	v_cmpx_gt_i32_e64 s9, v4
	s_cbranch_execz .LBB526_6
; %bb.5:
	v_dual_mov_b32 v8, 0 :: v_dual_add_nc_u32 v7, s8, v4
	v_add_nc_u32_e32 v4, 0x100, v4
	s_delay_alu instid0(VALU_DEP_2) | instskip(NEXT) | instid1(VALU_DEP_1)
	v_lshlrev_b64 v[7:8], 1, v[7:8]
	v_add_co_u32 v7, s2, s6, v7
	s_delay_alu instid0(VALU_DEP_1)
	v_add_co_ci_u32_e64 v8, s2, s7, v8, s2
	global_load_u16 v7, v[7:8], off
.LBB526_6:
	s_or_b32 exec_lo, exec_lo, s10
	s_delay_alu instid0(SALU_CYCLE_1)
	s_mov_b32 s10, exec_lo
	v_cmpx_gt_i32_e64 s9, v4
	s_cbranch_execz .LBB526_8
; %bb.7:
	v_dual_mov_b32 v9, 0 :: v_dual_add_nc_u32 v8, s8, v4
	s_delay_alu instid0(VALU_DEP_1) | instskip(NEXT) | instid1(VALU_DEP_1)
	v_lshlrev_b64 v[8:9], 1, v[8:9]
	v_add_co_u32 v8, s2, s6, v8
	s_delay_alu instid0(VALU_DEP_1)
	v_add_co_ci_u32_e64 v9, s2, s7, v9, s2
	global_load_u16 v2, v[8:9], off
.LBB526_8:
	s_or_b32 exec_lo, exec_lo, s10
	s_load_b32 s1, s[0:1], 0x8
	s_lshr_b32 s2, s3, 16
                                        ; implicit-def: $vgpr4
	s_and_saveexec_b32 s6, vcc_lo
	s_cbranch_execz .LBB526_14
; %bb.9:
	v_mov_b32_e32 v4, s3
	s_mov_b32 s7, exec_lo
	s_waitcnt vmcnt(0)
	v_cmpx_o_f16_e32 v6, v6
	s_cbranch_execz .LBB526_13
; %bb.10:
	v_mov_b32_e32 v4, s2
	s_mov_b32 s10, exec_lo
	v_cmpx_neq_f16_e32 0x7c00, v6
	s_cbranch_execz .LBB526_12
; %bb.11:
	v_cmp_eq_f16_e64 s0, 0xfc00, v6
	s_waitcnt lgkmcnt(0)
	s_delay_alu instid0(VALU_DEP_1)
	v_cndmask_b32_e64 v4, v6, s1, s0
.LBB526_12:
	s_or_b32 exec_lo, exec_lo, s10
.LBB526_13:
	s_delay_alu instid0(SALU_CYCLE_1)
	s_or_b32 exec_lo, exec_lo, s7
.LBB526_14:
	s_delay_alu instid0(SALU_CYCLE_1) | instskip(NEXT) | instid1(SALU_CYCLE_1)
	s_or_b32 exec_lo, exec_lo, s6
	s_mov_b32 s6, exec_lo
                                        ; implicit-def: $vgpr6
	v_cmpx_gt_i32_e64 s9, v3
	s_cbranch_execz .LBB526_20
; %bb.15:
	s_waitcnt vmcnt(0)
	v_mov_b32_e32 v6, s3
	s_mov_b32 s7, exec_lo
	v_cmpx_o_f16_e32 v5, v5
	s_cbranch_execz .LBB526_19
; %bb.16:
	v_mov_b32_e32 v6, s2
	s_mov_b32 s10, exec_lo
	v_cmpx_neq_f16_e32 0x7c00, v5
	s_cbranch_execz .LBB526_18
; %bb.17:
	v_cmp_eq_f16_e64 s0, 0xfc00, v5
	s_waitcnt lgkmcnt(0)
	s_delay_alu instid0(VALU_DEP_1)
	v_cndmask_b32_e64 v6, v5, s1, s0
.LBB526_18:
	s_or_b32 exec_lo, exec_lo, s10
.LBB526_19:
	s_delay_alu instid0(SALU_CYCLE_1)
	s_or_b32 exec_lo, exec_lo, s7
.LBB526_20:
	s_delay_alu instid0(SALU_CYCLE_1) | instskip(SKIP_2) | instid1(VALU_DEP_1)
	s_or_b32 exec_lo, exec_lo, s6
	s_waitcnt vmcnt(0)
	v_or_b32_e32 v5, 0x200, v0
	v_cmp_gt_i32_e64 s0, s9, v5
                                        ; implicit-def: $vgpr5
	s_delay_alu instid0(VALU_DEP_1)
	s_and_saveexec_b32 s6, s0
	s_cbranch_execz .LBB526_26
; %bb.21:
	v_mov_b32_e32 v5, s3
	s_mov_b32 s7, exec_lo
	v_cmpx_o_f16_e32 v7, v7
	s_cbranch_execz .LBB526_25
; %bb.22:
	v_mov_b32_e32 v5, s2
	s_mov_b32 s10, exec_lo
	v_cmpx_neq_f16_e32 0x7c00, v7
	s_cbranch_execz .LBB526_24
; %bb.23:
	v_cmp_eq_f16_e64 s0, 0xfc00, v7
	s_waitcnt lgkmcnt(0)
	s_delay_alu instid0(VALU_DEP_1)
	v_cndmask_b32_e64 v5, v7, s1, s0
.LBB526_24:
	s_or_b32 exec_lo, exec_lo, s10
.LBB526_25:
	s_delay_alu instid0(SALU_CYCLE_1)
	s_or_b32 exec_lo, exec_lo, s7
.LBB526_26:
	s_delay_alu instid0(SALU_CYCLE_1) | instskip(SKIP_1) | instid1(VALU_DEP_1)
	s_or_b32 exec_lo, exec_lo, s6
	v_or_b32_e32 v7, 0x300, v0
	v_cmp_gt_i32_e64 s0, s9, v7
                                        ; implicit-def: $vgpr7
	s_delay_alu instid0(VALU_DEP_1)
	s_and_saveexec_b32 s6, s0
	s_cbranch_execnz .LBB526_32
; %bb.27:
	s_or_b32 exec_lo, exec_lo, s6
	s_and_saveexec_b32 s0, vcc_lo
	s_delay_alu instid0(SALU_CYCLE_1)
	s_xor_b32 s0, exec_lo, s0
	s_cbranch_execnz .LBB526_37
.LBB526_28:
	s_or_b32 exec_lo, exec_lo, s0
	s_delay_alu instid0(SALU_CYCLE_1)
	s_mov_b32 s0, exec_lo
	v_cmpx_gt_i32_e64 s9, v0
	s_cbranch_execnz .LBB526_38
.LBB526_29:
	s_or_b32 exec_lo, exec_lo, s0
	s_delay_alu instid0(SALU_CYCLE_1)
	s_mov_b32 s0, exec_lo
	v_cmpx_gt_i32_e64 s9, v0
	s_cbranch_execnz .LBB526_39
.LBB526_30:
	s_or_b32 exec_lo, exec_lo, s0
	s_delay_alu instid0(SALU_CYCLE_1)
	s_mov_b32 s0, exec_lo
	v_cmpx_gt_i32_e64 s9, v0
	s_cbranch_execnz .LBB526_40
.LBB526_31:
	s_nop 0
	s_sendmsg sendmsg(MSG_DEALLOC_VGPRS)
	s_endpgm
.LBB526_32:
	v_mov_b32_e32 v7, s3
	s_mov_b32 s3, exec_lo
	v_cmpx_o_f16_e32 v2, v2
	s_cbranch_execz .LBB526_36
; %bb.33:
	v_mov_b32_e32 v7, s2
	s_mov_b32 s2, exec_lo
	v_cmpx_neq_f16_e32 0x7c00, v2
	s_cbranch_execz .LBB526_35
; %bb.34:
	v_cmp_eq_f16_e64 s0, 0xfc00, v2
	s_waitcnt lgkmcnt(0)
	s_delay_alu instid0(VALU_DEP_1)
	v_cndmask_b32_e64 v7, v2, s1, s0
.LBB526_35:
	s_or_b32 exec_lo, exec_lo, s2
.LBB526_36:
	s_delay_alu instid0(SALU_CYCLE_1) | instskip(NEXT) | instid1(SALU_CYCLE_1)
	s_or_b32 exec_lo, exec_lo, s3
	s_or_b32 exec_lo, exec_lo, s6
	s_and_saveexec_b32 s0, vcc_lo
	s_delay_alu instid0(SALU_CYCLE_1)
	s_xor_b32 s0, exec_lo, s0
	s_cbranch_execz .LBB526_28
.LBB526_37:
	v_mov_b32_e32 v2, 0
	s_delay_alu instid0(VALU_DEP_1) | instskip(NEXT) | instid1(VALU_DEP_1)
	v_lshlrev_b64 v[0:1], 1, v[1:2]
	v_add_co_u32 v8, vcc_lo, s4, v0
	s_delay_alu instid0(VALU_DEP_2) | instskip(SKIP_3) | instid1(SALU_CYCLE_1)
	v_add_co_ci_u32_e32 v9, vcc_lo, s5, v1, vcc_lo
	v_mov_b32_e32 v0, v3
	global_store_b16 v[8:9], v4, off
	s_or_b32 exec_lo, exec_lo, s0
	s_mov_b32 s0, exec_lo
	v_cmpx_gt_i32_e64 s9, v0
	s_cbranch_execz .LBB526_29
.LBB526_38:
	v_dual_mov_b32 v2, 0 :: v_dual_add_nc_u32 v1, s8, v0
	v_add_nc_u32_e32 v0, 0x100, v0
	s_delay_alu instid0(VALU_DEP_2) | instskip(NEXT) | instid1(VALU_DEP_1)
	v_lshlrev_b64 v[1:2], 1, v[1:2]
	v_add_co_u32 v1, vcc_lo, s4, v1
	s_delay_alu instid0(VALU_DEP_2) | instskip(SKIP_2) | instid1(SALU_CYCLE_1)
	v_add_co_ci_u32_e32 v2, vcc_lo, s5, v2, vcc_lo
	global_store_b16 v[1:2], v6, off
	s_or_b32 exec_lo, exec_lo, s0
	s_mov_b32 s0, exec_lo
	v_cmpx_gt_i32_e64 s9, v0
	s_cbranch_execz .LBB526_30
.LBB526_39:
	v_dual_mov_b32 v2, 0 :: v_dual_add_nc_u32 v1, s8, v0
	v_add_nc_u32_e32 v0, 0x100, v0
	s_delay_alu instid0(VALU_DEP_2) | instskip(NEXT) | instid1(VALU_DEP_1)
	v_lshlrev_b64 v[1:2], 1, v[1:2]
	v_add_co_u32 v1, vcc_lo, s4, v1
	s_delay_alu instid0(VALU_DEP_2) | instskip(SKIP_2) | instid1(SALU_CYCLE_1)
	v_add_co_ci_u32_e32 v2, vcc_lo, s5, v2, vcc_lo
	global_store_b16 v[1:2], v5, off
	s_or_b32 exec_lo, exec_lo, s0
	s_mov_b32 s0, exec_lo
	v_cmpx_gt_i32_e64 s9, v0
	s_cbranch_execz .LBB526_31
.LBB526_40:
	v_dual_mov_b32 v1, 0 :: v_dual_add_nc_u32 v0, s8, v0
	s_delay_alu instid0(VALU_DEP_1) | instskip(NEXT) | instid1(VALU_DEP_1)
	v_lshlrev_b64 v[0:1], 1, v[0:1]
	v_add_co_u32 v0, vcc_lo, s4, v0
	s_delay_alu instid0(VALU_DEP_2)
	v_add_co_ci_u32_e32 v1, vcc_lo, s5, v1, vcc_lo
	global_store_b16 v[0:1], v7, off
	s_nop 0
	s_sendmsg sendmsg(MSG_DEALLOC_VGPRS)
	s_endpgm
	.section	.rodata,"a",@progbits
	.p2align	6, 0x0
	.amdhsa_kernel _ZN2at6native27unrolled_elementwise_kernelIZZZNS0_22nan_to_num_kernel_cudaERNS_18TensorIteratorBaseESt8optionalIdES5_S5_ENKUlvE0_clEvENKUlvE1_clEvEUlN3c104HalfEE_St5arrayIPcLm2EELi4E23TrivialOffsetCalculatorILi1EjESF_NS0_6memory15LoadWithoutCastENSG_16StoreWithoutCastEEEviT_T0_T2_T3_T4_T5_
		.amdhsa_group_segment_fixed_size 0
		.amdhsa_private_segment_fixed_size 0
		.amdhsa_kernarg_size 36
		.amdhsa_user_sgpr_count 15
		.amdhsa_user_sgpr_dispatch_ptr 0
		.amdhsa_user_sgpr_queue_ptr 0
		.amdhsa_user_sgpr_kernarg_segment_ptr 1
		.amdhsa_user_sgpr_dispatch_id 0
		.amdhsa_user_sgpr_private_segment_size 0
		.amdhsa_wavefront_size32 1
		.amdhsa_uses_dynamic_stack 0
		.amdhsa_enable_private_segment 0
		.amdhsa_system_sgpr_workgroup_id_x 1
		.amdhsa_system_sgpr_workgroup_id_y 0
		.amdhsa_system_sgpr_workgroup_id_z 0
		.amdhsa_system_sgpr_workgroup_info 0
		.amdhsa_system_vgpr_workitem_id 0
		.amdhsa_next_free_vgpr 10
		.amdhsa_next_free_sgpr 16
		.amdhsa_reserve_vcc 1
		.amdhsa_float_round_mode_32 0
		.amdhsa_float_round_mode_16_64 0
		.amdhsa_float_denorm_mode_32 3
		.amdhsa_float_denorm_mode_16_64 3
		.amdhsa_dx10_clamp 1
		.amdhsa_ieee_mode 1
		.amdhsa_fp16_overflow 0
		.amdhsa_workgroup_processor_mode 1
		.amdhsa_memory_ordered 1
		.amdhsa_forward_progress 0
		.amdhsa_shared_vgpr_count 0
		.amdhsa_exception_fp_ieee_invalid_op 0
		.amdhsa_exception_fp_denorm_src 0
		.amdhsa_exception_fp_ieee_div_zero 0
		.amdhsa_exception_fp_ieee_overflow 0
		.amdhsa_exception_fp_ieee_underflow 0
		.amdhsa_exception_fp_ieee_inexact 0
		.amdhsa_exception_int_div_zero 0
	.end_amdhsa_kernel
	.section	.text._ZN2at6native27unrolled_elementwise_kernelIZZZNS0_22nan_to_num_kernel_cudaERNS_18TensorIteratorBaseESt8optionalIdES5_S5_ENKUlvE0_clEvENKUlvE1_clEvEUlN3c104HalfEE_St5arrayIPcLm2EELi4E23TrivialOffsetCalculatorILi1EjESF_NS0_6memory15LoadWithoutCastENSG_16StoreWithoutCastEEEviT_T0_T2_T3_T4_T5_,"axG",@progbits,_ZN2at6native27unrolled_elementwise_kernelIZZZNS0_22nan_to_num_kernel_cudaERNS_18TensorIteratorBaseESt8optionalIdES5_S5_ENKUlvE0_clEvENKUlvE1_clEvEUlN3c104HalfEE_St5arrayIPcLm2EELi4E23TrivialOffsetCalculatorILi1EjESF_NS0_6memory15LoadWithoutCastENSG_16StoreWithoutCastEEEviT_T0_T2_T3_T4_T5_,comdat
.Lfunc_end526:
	.size	_ZN2at6native27unrolled_elementwise_kernelIZZZNS0_22nan_to_num_kernel_cudaERNS_18TensorIteratorBaseESt8optionalIdES5_S5_ENKUlvE0_clEvENKUlvE1_clEvEUlN3c104HalfEE_St5arrayIPcLm2EELi4E23TrivialOffsetCalculatorILi1EjESF_NS0_6memory15LoadWithoutCastENSG_16StoreWithoutCastEEEviT_T0_T2_T3_T4_T5_, .Lfunc_end526-_ZN2at6native27unrolled_elementwise_kernelIZZZNS0_22nan_to_num_kernel_cudaERNS_18TensorIteratorBaseESt8optionalIdES5_S5_ENKUlvE0_clEvENKUlvE1_clEvEUlN3c104HalfEE_St5arrayIPcLm2EELi4E23TrivialOffsetCalculatorILi1EjESF_NS0_6memory15LoadWithoutCastENSG_16StoreWithoutCastEEEviT_T0_T2_T3_T4_T5_
                                        ; -- End function
	.section	.AMDGPU.csdata,"",@progbits
; Kernel info:
; codeLenInByte = 1184
; NumSgprs: 18
; NumVgprs: 10
; ScratchSize: 0
; MemoryBound: 0
; FloatMode: 240
; IeeeMode: 1
; LDSByteSize: 0 bytes/workgroup (compile time only)
; SGPRBlocks: 2
; VGPRBlocks: 1
; NumSGPRsForWavesPerEU: 18
; NumVGPRsForWavesPerEU: 10
; Occupancy: 16
; WaveLimiterHint : 0
; COMPUTE_PGM_RSRC2:SCRATCH_EN: 0
; COMPUTE_PGM_RSRC2:USER_SGPR: 15
; COMPUTE_PGM_RSRC2:TRAP_HANDLER: 0
; COMPUTE_PGM_RSRC2:TGID_X_EN: 1
; COMPUTE_PGM_RSRC2:TGID_Y_EN: 0
; COMPUTE_PGM_RSRC2:TGID_Z_EN: 0
; COMPUTE_PGM_RSRC2:TIDIG_COMP_CNT: 0
	.section	.text._ZN2at6native32elementwise_kernel_manual_unrollILi128ELi8EZNS0_22gpu_kernel_impl_nocastIZZZNS0_22nan_to_num_kernel_cudaERNS_18TensorIteratorBaseESt8optionalIdES6_S6_ENKUlvE0_clEvENKUlvE1_clEvEUlN3c104HalfEE_EEvS4_RKT_EUlibE_EEviT1_,"axG",@progbits,_ZN2at6native32elementwise_kernel_manual_unrollILi128ELi8EZNS0_22gpu_kernel_impl_nocastIZZZNS0_22nan_to_num_kernel_cudaERNS_18TensorIteratorBaseESt8optionalIdES6_S6_ENKUlvE0_clEvENKUlvE1_clEvEUlN3c104HalfEE_EEvS4_RKT_EUlibE_EEviT1_,comdat
	.globl	_ZN2at6native32elementwise_kernel_manual_unrollILi128ELi8EZNS0_22gpu_kernel_impl_nocastIZZZNS0_22nan_to_num_kernel_cudaERNS_18TensorIteratorBaseESt8optionalIdES6_S6_ENKUlvE0_clEvENKUlvE1_clEvEUlN3c104HalfEE_EEvS4_RKT_EUlibE_EEviT1_ ; -- Begin function _ZN2at6native32elementwise_kernel_manual_unrollILi128ELi8EZNS0_22gpu_kernel_impl_nocastIZZZNS0_22nan_to_num_kernel_cudaERNS_18TensorIteratorBaseESt8optionalIdES6_S6_ENKUlvE0_clEvENKUlvE1_clEvEUlN3c104HalfEE_EEvS4_RKT_EUlibE_EEviT1_
	.p2align	8
	.type	_ZN2at6native32elementwise_kernel_manual_unrollILi128ELi8EZNS0_22gpu_kernel_impl_nocastIZZZNS0_22nan_to_num_kernel_cudaERNS_18TensorIteratorBaseESt8optionalIdES6_S6_ENKUlvE0_clEvENKUlvE1_clEvEUlN3c104HalfEE_EEvS4_RKT_EUlibE_EEviT1_,@function
_ZN2at6native32elementwise_kernel_manual_unrollILi128ELi8EZNS0_22gpu_kernel_impl_nocastIZZZNS0_22nan_to_num_kernel_cudaERNS_18TensorIteratorBaseESt8optionalIdES6_S6_ENKUlvE0_clEvENKUlvE1_clEvEUlN3c104HalfEE_EEvS4_RKT_EUlibE_EEviT1_: ; @_ZN2at6native32elementwise_kernel_manual_unrollILi128ELi8EZNS0_22gpu_kernel_impl_nocastIZZZNS0_22nan_to_num_kernel_cudaERNS_18TensorIteratorBaseESt8optionalIdES6_S6_ENKUlvE0_clEvENKUlvE1_clEvEUlN3c104HalfEE_EEvS4_RKT_EUlibE_EEviT1_
; %bb.0:
	s_clause 0x1
	s_load_b32 s26, s[0:1], 0x8
	s_load_b32 s33, s[0:1], 0x0
	v_lshl_or_b32 v12, s15, 10, v0
	s_or_b32 s2, s0, 8
	s_mov_b32 s3, s1
	s_mov_b32 s4, exec_lo
	s_delay_alu instid0(VALU_DEP_1) | instskip(SKIP_2) | instid1(SALU_CYCLE_1)
	v_or_b32_e32 v16, 0x380, v12
	s_waitcnt lgkmcnt(0)
	s_add_i32 s27, s26, -1
	s_cmp_gt_u32 s27, 1
	s_cselect_b32 s28, -1, 0
	v_cmpx_le_i32_e64 s33, v16
	s_xor_b32 s29, exec_lo, s4
	s_cbranch_execz .LBB527_7
; %bb.1:
	s_clause 0x4
	s_load_b128 s[8:11], s[2:3], 0x4
	s_load_b64 s[18:19], s[2:3], 0x14
	s_load_b64 s[16:17], s[2:3], 0x158
	s_load_b128 s[12:15], s[2:3], 0xc4
	s_load_b128 s[4:7], s[2:3], 0x148
	s_cmp_lg_u32 s26, 0
	s_mov_b32 s36, exec_lo
	s_cselect_b32 s35, -1, 0
	s_add_u32 s20, s2, 0xc4
	s_addc_u32 s21, s3, 0
	s_min_u32 s34, s27, 15
	s_cmp_gt_u32 s26, 1
	s_cselect_b32 s31, -1, 0
	s_waitcnt lgkmcnt(0)
	s_lshr_b32 s30, s16, 16
	v_cmpx_gt_i32_e64 s33, v12
	s_cbranch_execz .LBB527_14
; %bb.2:
	s_and_not1_b32 vcc_lo, exec_lo, s28
	s_cbranch_vccnz .LBB527_21
; %bb.3:
	v_dual_mov_b32 v0, 0 :: v_dual_mov_b32 v1, 0
	s_and_not1_b32 vcc_lo, exec_lo, s35
	s_mov_b32 s37, 0
	s_cbranch_vccnz .LBB527_157
; %bb.4:
	v_mov_b32_e32 v0, 0
	s_add_i32 s39, s34, 1
	s_cmp_eq_u32 s27, 2
	s_mov_b32 s38, 0
	s_cbranch_scc1 .LBB527_153
; %bb.5:
	v_dual_mov_b32 v1, 0 :: v_dual_mov_b32 v0, 0
	v_mov_b32_e32 v2, v12
	s_and_b32 s38, s39, 28
	s_mov_b32 s40, 0
	s_mov_b64 s[22:23], s[20:21]
	s_mov_b64 s[24:25], s[2:3]
.LBB527_6:                              ; =>This Inner Loop Header: Depth=1
	s_clause 0x1
	s_load_b256 s[44:51], s[24:25], 0x4
	s_load_b128 s[60:63], s[24:25], 0x24
	s_load_b256 s[52:59], s[22:23], 0x0
	s_add_u32 s24, s24, 48
	s_addc_u32 s25, s25, 0
	s_add_i32 s40, s40, 4
	s_add_u32 s22, s22, 32
	s_addc_u32 s23, s23, 0
	s_cmp_lg_u32 s38, s40
	s_waitcnt lgkmcnt(0)
	v_mul_hi_u32 v3, s45, v2
	s_delay_alu instid0(VALU_DEP_1) | instskip(NEXT) | instid1(VALU_DEP_1)
	v_add_nc_u32_e32 v3, v2, v3
	v_lshrrev_b32_e32 v3, s46, v3
	s_delay_alu instid0(VALU_DEP_1) | instskip(SKIP_1) | instid1(VALU_DEP_2)
	v_mul_hi_u32 v4, s48, v3
	v_mul_lo_u32 v6, v3, s44
	v_add_nc_u32_e32 v4, v3, v4
	s_delay_alu instid0(VALU_DEP_2) | instskip(NEXT) | instid1(VALU_DEP_2)
	v_sub_nc_u32_e32 v2, v2, v6
	v_lshrrev_b32_e32 v4, s49, v4
	s_delay_alu instid0(VALU_DEP_2) | instskip(SKIP_1) | instid1(VALU_DEP_3)
	v_mul_lo_u32 v6, v2, s52
	v_mul_lo_u32 v8, v2, s53
	v_mul_hi_u32 v5, s51, v4
	s_delay_alu instid0(VALU_DEP_1) | instskip(NEXT) | instid1(VALU_DEP_1)
	v_add_nc_u32_e32 v5, v4, v5
	v_lshrrev_b32_e32 v5, s60, v5
	s_delay_alu instid0(VALU_DEP_1) | instskip(SKIP_1) | instid1(VALU_DEP_2)
	v_mul_hi_u32 v7, s62, v5
	v_mul_lo_u32 v9, v5, s50
	v_add_nc_u32_e32 v2, v5, v7
	v_mul_lo_u32 v7, v4, s47
	s_delay_alu instid0(VALU_DEP_3) | instskip(NEXT) | instid1(VALU_DEP_3)
	v_sub_nc_u32_e32 v4, v4, v9
	v_lshrrev_b32_e32 v2, s63, v2
	s_delay_alu instid0(VALU_DEP_2) | instskip(SKIP_2) | instid1(VALU_DEP_4)
	v_mul_lo_u32 v9, v4, s56
	v_mul_lo_u32 v4, v4, s57
	v_sub_nc_u32_e32 v3, v3, v7
	v_mul_lo_u32 v10, v2, s61
	s_delay_alu instid0(VALU_DEP_2) | instskip(SKIP_1) | instid1(VALU_DEP_3)
	v_mul_lo_u32 v7, v3, s54
	v_mul_lo_u32 v3, v3, s55
	v_sub_nc_u32_e32 v5, v5, v10
	s_delay_alu instid0(VALU_DEP_3) | instskip(NEXT) | instid1(VALU_DEP_2)
	v_add3_u32 v0, v6, v0, v7
	v_mul_lo_u32 v10, v5, s58
	v_mul_lo_u32 v5, v5, s59
	v_add3_u32 v1, v8, v1, v3
	s_delay_alu instid0(VALU_DEP_3) | instskip(NEXT) | instid1(VALU_DEP_2)
	v_add3_u32 v0, v9, v0, v10
	v_add3_u32 v1, v4, v1, v5
	s_cbranch_scc1 .LBB527_6
	s_branch .LBB527_154
.LBB527_7:
	s_and_not1_saveexec_b32 s4, s29
	s_cbranch_execz .LBB527_262
.LBB527_8:
	v_cndmask_b32_e64 v14, 0, 1, s28
	s_and_not1_b32 vcc_lo, exec_lo, s28
	s_cbranch_vccnz .LBB527_20
; %bb.9:
	v_dual_mov_b32 v0, 0 :: v_dual_mov_b32 v1, 0
	s_cmp_lg_u32 s26, 0
	s_mov_b32 s8, 0
	s_cbranch_scc0 .LBB527_26
; %bb.10:
	s_min_u32 s9, s27, 15
	v_mov_b32_e32 v0, 0
	s_add_i32 s9, s9, 1
	s_cmp_eq_u32 s27, 2
	s_mov_b32 s10, 0
	s_cbranch_scc1 .LBB527_23
; %bb.11:
	v_dual_mov_b32 v1, 0 :: v_dual_mov_b32 v0, 0
	v_mov_b32_e32 v2, v12
	s_add_u32 s4, s2, 0xc4
	s_addc_u32 s5, s3, 0
	s_and_b32 s10, s9, 28
	s_mov_b32 s11, 0
	s_mov_b64 s[6:7], s[2:3]
.LBB527_12:                             ; =>This Inner Loop Header: Depth=1
	s_clause 0x1
	s_load_b256 s[12:19], s[6:7], 0x4
	s_load_b128 s[20:23], s[6:7], 0x24
	s_load_b256 s[36:43], s[4:5], 0x0
	s_add_u32 s6, s6, 48
	s_addc_u32 s7, s7, 0
	s_add_i32 s11, s11, 4
	s_add_u32 s4, s4, 32
	s_addc_u32 s5, s5, 0
	s_cmp_lg_u32 s10, s11
	s_waitcnt lgkmcnt(0)
	v_mul_hi_u32 v3, s13, v2
	s_delay_alu instid0(VALU_DEP_1) | instskip(NEXT) | instid1(VALU_DEP_1)
	v_add_nc_u32_e32 v3, v2, v3
	v_lshrrev_b32_e32 v3, s14, v3
	s_delay_alu instid0(VALU_DEP_1) | instskip(SKIP_1) | instid1(VALU_DEP_2)
	v_mul_hi_u32 v4, s16, v3
	v_mul_lo_u32 v6, v3, s12
	v_add_nc_u32_e32 v4, v3, v4
	s_delay_alu instid0(VALU_DEP_2) | instskip(NEXT) | instid1(VALU_DEP_2)
	v_sub_nc_u32_e32 v2, v2, v6
	v_lshrrev_b32_e32 v4, s17, v4
	s_delay_alu instid0(VALU_DEP_2) | instskip(SKIP_1) | instid1(VALU_DEP_3)
	v_mul_lo_u32 v6, v2, s36
	v_mul_lo_u32 v8, v2, s37
	v_mul_hi_u32 v5, s19, v4
	s_delay_alu instid0(VALU_DEP_1) | instskip(NEXT) | instid1(VALU_DEP_1)
	v_add_nc_u32_e32 v5, v4, v5
	v_lshrrev_b32_e32 v5, s20, v5
	s_delay_alu instid0(VALU_DEP_1) | instskip(SKIP_1) | instid1(VALU_DEP_2)
	v_mul_hi_u32 v7, s22, v5
	v_mul_lo_u32 v9, v5, s18
	v_add_nc_u32_e32 v2, v5, v7
	v_mul_lo_u32 v7, v4, s15
	s_delay_alu instid0(VALU_DEP_3) | instskip(NEXT) | instid1(VALU_DEP_3)
	v_sub_nc_u32_e32 v4, v4, v9
	v_lshrrev_b32_e32 v2, s23, v2
	s_delay_alu instid0(VALU_DEP_2) | instskip(SKIP_2) | instid1(VALU_DEP_4)
	v_mul_lo_u32 v9, v4, s40
	v_mul_lo_u32 v4, v4, s41
	v_sub_nc_u32_e32 v3, v3, v7
	v_mul_lo_u32 v10, v2, s21
	s_delay_alu instid0(VALU_DEP_2) | instskip(SKIP_1) | instid1(VALU_DEP_3)
	v_mul_lo_u32 v7, v3, s38
	v_mul_lo_u32 v3, v3, s39
	v_sub_nc_u32_e32 v5, v5, v10
	s_delay_alu instid0(VALU_DEP_3) | instskip(NEXT) | instid1(VALU_DEP_2)
	v_add3_u32 v0, v6, v0, v7
	v_mul_lo_u32 v10, v5, s42
	v_mul_lo_u32 v5, v5, s43
	v_add3_u32 v1, v8, v1, v3
	s_delay_alu instid0(VALU_DEP_3) | instskip(NEXT) | instid1(VALU_DEP_2)
	v_add3_u32 v0, v9, v0, v10
	v_add3_u32 v1, v4, v1, v5
	s_cbranch_scc1 .LBB527_12
; %bb.13:
	s_and_b32 s9, s9, 3
	s_delay_alu instid0(SALU_CYCLE_1)
	s_cmp_eq_u32 s9, 0
	s_cbranch_scc0 .LBB527_24
	s_branch .LBB527_26
.LBB527_14:
	s_or_b32 exec_lo, exec_lo, s36
	s_delay_alu instid0(SALU_CYCLE_1)
	s_mov_b32 s36, exec_lo
	v_cmpx_gt_i32_e64 s33, v12
	s_cbranch_execz .LBB527_165
.LBB527_15:
	s_and_not1_b32 vcc_lo, exec_lo, s28
	s_cbranch_vccnz .LBB527_22
; %bb.16:
	v_dual_mov_b32 v0, 0 :: v_dual_mov_b32 v1, 0
	s_and_not1_b32 vcc_lo, exec_lo, s35
	s_mov_b32 s37, 0
	s_cbranch_vccnz .LBB527_176
; %bb.17:
	v_mov_b32_e32 v0, 0
	s_add_i32 s39, s34, 1
	s_cmp_eq_u32 s27, 2
	s_mov_b32 s38, 0
	s_cbranch_scc1 .LBB527_172
; %bb.18:
	v_dual_mov_b32 v1, 0 :: v_dual_mov_b32 v0, 0
	v_mov_b32_e32 v2, v12
	s_and_b32 s38, s39, 28
	s_mov_b32 s40, 0
	s_mov_b64 s[22:23], s[20:21]
	s_mov_b64 s[24:25], s[2:3]
.LBB527_19:                             ; =>This Inner Loop Header: Depth=1
	s_clause 0x1
	s_load_b256 s[44:51], s[24:25], 0x4
	s_load_b128 s[60:63], s[24:25], 0x24
	s_load_b256 s[52:59], s[22:23], 0x0
	s_add_u32 s24, s24, 48
	s_addc_u32 s25, s25, 0
	s_add_i32 s40, s40, 4
	s_add_u32 s22, s22, 32
	s_addc_u32 s23, s23, 0
	s_cmp_eq_u32 s38, s40
	s_waitcnt lgkmcnt(0)
	v_mul_hi_u32 v3, s45, v2
	s_delay_alu instid0(VALU_DEP_1) | instskip(NEXT) | instid1(VALU_DEP_1)
	v_add_nc_u32_e32 v3, v2, v3
	v_lshrrev_b32_e32 v3, s46, v3
	s_delay_alu instid0(VALU_DEP_1) | instskip(SKIP_1) | instid1(VALU_DEP_2)
	v_mul_hi_u32 v4, s48, v3
	v_mul_lo_u32 v6, v3, s44
	v_add_nc_u32_e32 v4, v3, v4
	s_delay_alu instid0(VALU_DEP_2) | instskip(NEXT) | instid1(VALU_DEP_2)
	v_sub_nc_u32_e32 v2, v2, v6
	v_lshrrev_b32_e32 v4, s49, v4
	s_delay_alu instid0(VALU_DEP_2) | instskip(SKIP_1) | instid1(VALU_DEP_3)
	v_mul_lo_u32 v6, v2, s52
	v_mul_lo_u32 v8, v2, s53
	v_mul_hi_u32 v5, s51, v4
	s_delay_alu instid0(VALU_DEP_1) | instskip(NEXT) | instid1(VALU_DEP_1)
	v_add_nc_u32_e32 v5, v4, v5
	v_lshrrev_b32_e32 v5, s60, v5
	s_delay_alu instid0(VALU_DEP_1) | instskip(SKIP_1) | instid1(VALU_DEP_2)
	v_mul_hi_u32 v7, s62, v5
	v_mul_lo_u32 v9, v5, s50
	v_add_nc_u32_e32 v2, v5, v7
	v_mul_lo_u32 v7, v4, s47
	s_delay_alu instid0(VALU_DEP_3) | instskip(NEXT) | instid1(VALU_DEP_3)
	v_sub_nc_u32_e32 v4, v4, v9
	v_lshrrev_b32_e32 v2, s63, v2
	s_delay_alu instid0(VALU_DEP_2) | instskip(SKIP_2) | instid1(VALU_DEP_4)
	v_mul_lo_u32 v9, v4, s56
	v_mul_lo_u32 v4, v4, s57
	v_sub_nc_u32_e32 v3, v3, v7
	v_mul_lo_u32 v10, v2, s61
	s_delay_alu instid0(VALU_DEP_2) | instskip(SKIP_1) | instid1(VALU_DEP_3)
	v_mul_lo_u32 v7, v3, s54
	v_mul_lo_u32 v3, v3, s55
	v_sub_nc_u32_e32 v5, v5, v10
	s_delay_alu instid0(VALU_DEP_3) | instskip(NEXT) | instid1(VALU_DEP_2)
	v_add3_u32 v0, v6, v0, v7
	v_mul_lo_u32 v10, v5, s58
	v_mul_lo_u32 v5, v5, s59
	v_add3_u32 v1, v8, v1, v3
	s_delay_alu instid0(VALU_DEP_3) | instskip(NEXT) | instid1(VALU_DEP_2)
	v_add3_u32 v0, v9, v0, v10
	v_add3_u32 v1, v4, v1, v5
	s_cbranch_scc0 .LBB527_19
	s_branch .LBB527_173
.LBB527_20:
	s_mov_b32 s8, -1
                                        ; implicit-def: $vgpr0
                                        ; implicit-def: $vgpr1
	s_branch .LBB527_26
.LBB527_21:
	s_mov_b32 s37, -1
                                        ; implicit-def: $vgpr0
                                        ; implicit-def: $vgpr1
	s_branch .LBB527_157
.LBB527_22:
	s_mov_b32 s37, -1
                                        ; implicit-def: $vgpr0
                                        ; implicit-def: $vgpr1
	s_branch .LBB527_176
.LBB527_23:
	v_dual_mov_b32 v2, v12 :: v_dual_mov_b32 v1, 0
	s_and_b32 s9, s9, 3
	s_delay_alu instid0(SALU_CYCLE_1)
	s_cmp_eq_u32 s9, 0
	s_cbranch_scc1 .LBB527_26
.LBB527_24:
	s_lshl_b32 s4, s10, 3
	s_mul_i32 s6, s10, 12
	s_add_u32 s4, s4, s2
	s_addc_u32 s5, 0, s3
	s_add_u32 s4, s4, 0xc4
	s_addc_u32 s5, s5, 0
	;; [unrolled: 2-line block ×3, first 2 shown]
	.p2align	6
.LBB527_25:                             ; =>This Inner Loop Header: Depth=1
	s_clause 0x1
	s_load_b64 s[10:11], s[6:7], 0x4
	s_load_b32 s14, s[6:7], 0xc
	s_load_b64 s[12:13], s[4:5], 0x0
	s_add_u32 s6, s6, 12
	s_addc_u32 s7, s7, 0
	s_add_u32 s4, s4, 8
	s_addc_u32 s5, s5, 0
	s_add_i32 s9, s9, -1
	s_delay_alu instid0(SALU_CYCLE_1) | instskip(SKIP_2) | instid1(VALU_DEP_1)
	s_cmp_lg_u32 s9, 0
	s_waitcnt lgkmcnt(0)
	v_mul_hi_u32 v3, s11, v2
	v_add_nc_u32_e32 v3, v2, v3
	s_delay_alu instid0(VALU_DEP_1) | instskip(NEXT) | instid1(VALU_DEP_1)
	v_lshrrev_b32_e32 v6, s14, v3
	v_mul_lo_u32 v3, v6, s10
	s_delay_alu instid0(VALU_DEP_1) | instskip(NEXT) | instid1(VALU_DEP_1)
	v_sub_nc_u32_e32 v2, v2, v3
	v_mad_u64_u32 v[3:4], null, v2, s12, v[0:1]
	v_mad_u64_u32 v[4:5], null, v2, s13, v[1:2]
	v_mov_b32_e32 v2, v6
	s_delay_alu instid0(VALU_DEP_2)
	v_dual_mov_b32 v0, v3 :: v_dual_mov_b32 v1, v4
	s_cbranch_scc1 .LBB527_25
.LBB527_26:
	s_and_not1_b32 vcc_lo, exec_lo, s8
	s_cbranch_vccnz .LBB527_29
; %bb.27:
	s_clause 0x1
	s_load_b128 s[4:7], s[2:3], 0x4
	s_load_b64 s[8:9], s[2:3], 0xc4
	s_cmp_lt_u32 s26, 2
	s_waitcnt lgkmcnt(0)
	v_mul_hi_u32 v0, s5, v12
	s_delay_alu instid0(VALU_DEP_1) | instskip(NEXT) | instid1(VALU_DEP_1)
	v_add_nc_u32_e32 v0, v12, v0
	v_lshrrev_b32_e32 v2, s6, v0
	s_delay_alu instid0(VALU_DEP_1) | instskip(NEXT) | instid1(VALU_DEP_1)
	v_mul_lo_u32 v0, v2, s4
	v_sub_nc_u32_e32 v1, v12, v0
	s_delay_alu instid0(VALU_DEP_1)
	v_mul_lo_u32 v0, v1, s8
	v_mul_lo_u32 v1, v1, s9
	s_cbranch_scc1 .LBB527_29
; %bb.28:
	s_clause 0x1
	s_load_b128 s[4:7], s[2:3], 0x10
	s_load_b64 s[8:9], s[2:3], 0xcc
	s_waitcnt lgkmcnt(0)
	v_mul_hi_u32 v3, s5, v2
	s_delay_alu instid0(VALU_DEP_1) | instskip(NEXT) | instid1(VALU_DEP_1)
	v_add_nc_u32_e32 v3, v2, v3
	v_lshrrev_b32_e32 v3, s6, v3
	s_delay_alu instid0(VALU_DEP_1) | instskip(NEXT) | instid1(VALU_DEP_1)
	v_mul_lo_u32 v3, v3, s4
	v_sub_nc_u32_e32 v5, v2, v3
	s_delay_alu instid0(VALU_DEP_1) | instskip(NEXT) | instid1(VALU_DEP_1)
	v_mad_u64_u32 v[2:3], null, v5, s8, v[0:1]
	v_mad_u64_u32 v[3:4], null, v5, s9, v[1:2]
	s_delay_alu instid0(VALU_DEP_1)
	v_dual_mov_b32 v0, v2 :: v_dual_mov_b32 v1, v3
.LBB527_29:
	v_cmp_ne_u32_e32 vcc_lo, 1, v14
	v_add_nc_u32_e32 v4, 0x80, v12
	s_cbranch_vccnz .LBB527_35
; %bb.30:
	v_dual_mov_b32 v2, 0 :: v_dual_mov_b32 v3, 0
	s_cmp_lg_u32 s26, 0
	s_mov_b32 s8, 0
	s_cbranch_scc0 .LBB527_39
; %bb.31:
	s_min_u32 s9, s27, 15
	v_mov_b32_e32 v2, 0
	s_add_i32 s9, s9, 1
	s_cmp_eq_u32 s27, 2
	s_mov_b32 s10, 0
	s_cbranch_scc1 .LBB527_36
; %bb.32:
	v_dual_mov_b32 v3, 0 :: v_dual_mov_b32 v2, 0
	v_mov_b32_e32 v5, v4
	s_add_u32 s4, s2, 0xc4
	s_addc_u32 s5, s3, 0
	s_and_b32 s10, s9, 28
	s_mov_b32 s11, 0
	s_mov_b64 s[6:7], s[2:3]
.LBB527_33:                             ; =>This Inner Loop Header: Depth=1
	s_clause 0x1
	s_load_b256 s[12:19], s[6:7], 0x4
	s_load_b128 s[20:23], s[6:7], 0x24
	s_load_b256 s[36:43], s[4:5], 0x0
	s_add_u32 s6, s6, 48
	s_addc_u32 s7, s7, 0
	s_add_i32 s11, s11, 4
	s_add_u32 s4, s4, 32
	s_addc_u32 s5, s5, 0
	s_cmp_lg_u32 s10, s11
	s_waitcnt lgkmcnt(0)
	v_mul_hi_u32 v6, s13, v5
	s_delay_alu instid0(VALU_DEP_1) | instskip(NEXT) | instid1(VALU_DEP_1)
	v_add_nc_u32_e32 v6, v5, v6
	v_lshrrev_b32_e32 v6, s14, v6
	s_delay_alu instid0(VALU_DEP_1) | instskip(SKIP_1) | instid1(VALU_DEP_2)
	v_mul_hi_u32 v7, s16, v6
	v_mul_lo_u32 v9, v6, s12
	v_add_nc_u32_e32 v7, v6, v7
	s_delay_alu instid0(VALU_DEP_2) | instskip(NEXT) | instid1(VALU_DEP_2)
	v_sub_nc_u32_e32 v5, v5, v9
	v_lshrrev_b32_e32 v7, s17, v7
	s_delay_alu instid0(VALU_DEP_2) | instskip(SKIP_1) | instid1(VALU_DEP_3)
	v_mul_lo_u32 v9, v5, s36
	v_mul_lo_u32 v11, v5, s37
	v_mul_hi_u32 v8, s19, v7
	s_delay_alu instid0(VALU_DEP_1) | instskip(NEXT) | instid1(VALU_DEP_1)
	v_add_nc_u32_e32 v8, v7, v8
	v_lshrrev_b32_e32 v8, s20, v8
	s_delay_alu instid0(VALU_DEP_1) | instskip(SKIP_1) | instid1(VALU_DEP_2)
	v_mul_hi_u32 v10, s22, v8
	v_mul_lo_u32 v13, v8, s18
	v_add_nc_u32_e32 v5, v8, v10
	v_mul_lo_u32 v10, v7, s15
	s_delay_alu instid0(VALU_DEP_3) | instskip(NEXT) | instid1(VALU_DEP_3)
	v_sub_nc_u32_e32 v7, v7, v13
	v_lshrrev_b32_e32 v5, s23, v5
	s_delay_alu instid0(VALU_DEP_2) | instskip(SKIP_2) | instid1(VALU_DEP_4)
	v_mul_lo_u32 v13, v7, s40
	v_mul_lo_u32 v7, v7, s41
	v_sub_nc_u32_e32 v6, v6, v10
	v_mul_lo_u32 v15, v5, s21
	s_delay_alu instid0(VALU_DEP_2) | instskip(SKIP_1) | instid1(VALU_DEP_3)
	v_mul_lo_u32 v10, v6, s38
	v_mul_lo_u32 v6, v6, s39
	v_sub_nc_u32_e32 v8, v8, v15
	s_delay_alu instid0(VALU_DEP_3) | instskip(NEXT) | instid1(VALU_DEP_2)
	v_add3_u32 v2, v9, v2, v10
	v_mul_lo_u32 v15, v8, s42
	v_mul_lo_u32 v8, v8, s43
	v_add3_u32 v3, v11, v3, v6
	s_delay_alu instid0(VALU_DEP_3) | instskip(NEXT) | instid1(VALU_DEP_2)
	v_add3_u32 v2, v13, v2, v15
	v_add3_u32 v3, v7, v3, v8
	s_cbranch_scc1 .LBB527_33
; %bb.34:
	s_and_b32 s9, s9, 3
	s_delay_alu instid0(SALU_CYCLE_1)
	s_cmp_eq_u32 s9, 0
	s_cbranch_scc0 .LBB527_37
	s_branch .LBB527_39
.LBB527_35:
	s_mov_b32 s8, -1
                                        ; implicit-def: $vgpr2
                                        ; implicit-def: $vgpr3
	s_branch .LBB527_39
.LBB527_36:
	v_mov_b32_e32 v5, v4
	v_mov_b32_e32 v3, 0
	s_and_b32 s9, s9, 3
	s_delay_alu instid0(SALU_CYCLE_1)
	s_cmp_eq_u32 s9, 0
	s_cbranch_scc1 .LBB527_39
.LBB527_37:
	s_lshl_b32 s4, s10, 3
	s_mul_i32 s6, s10, 12
	s_add_u32 s4, s4, s2
	s_addc_u32 s5, 0, s3
	s_add_u32 s4, s4, 0xc4
	s_addc_u32 s5, s5, 0
	;; [unrolled: 2-line block ×3, first 2 shown]
	.p2align	6
.LBB527_38:                             ; =>This Inner Loop Header: Depth=1
	s_clause 0x1
	s_load_b64 s[10:11], s[6:7], 0x4
	s_load_b32 s14, s[6:7], 0xc
	s_load_b64 s[12:13], s[4:5], 0x0
	s_add_u32 s6, s6, 12
	s_addc_u32 s7, s7, 0
	s_add_u32 s4, s4, 8
	s_addc_u32 s5, s5, 0
	s_add_i32 s9, s9, -1
	s_delay_alu instid0(SALU_CYCLE_1) | instskip(SKIP_2) | instid1(VALU_DEP_1)
	s_cmp_lg_u32 s9, 0
	s_waitcnt lgkmcnt(0)
	v_mul_hi_u32 v6, s11, v5
	v_add_nc_u32_e32 v6, v5, v6
	s_delay_alu instid0(VALU_DEP_1) | instskip(NEXT) | instid1(VALU_DEP_1)
	v_lshrrev_b32_e32 v9, s14, v6
	v_mul_lo_u32 v6, v9, s10
	s_delay_alu instid0(VALU_DEP_1) | instskip(NEXT) | instid1(VALU_DEP_1)
	v_sub_nc_u32_e32 v5, v5, v6
	v_mad_u64_u32 v[6:7], null, v5, s12, v[2:3]
	v_mad_u64_u32 v[7:8], null, v5, s13, v[3:4]
	s_delay_alu instid0(VALU_DEP_2) | instskip(NEXT) | instid1(VALU_DEP_2)
	v_dual_mov_b32 v5, v9 :: v_dual_mov_b32 v2, v6
	v_mov_b32_e32 v3, v7
	s_cbranch_scc1 .LBB527_38
.LBB527_39:
	s_and_not1_b32 vcc_lo, exec_lo, s8
	s_cbranch_vccnz .LBB527_42
; %bb.40:
	s_clause 0x1
	s_load_b128 s[4:7], s[2:3], 0x4
	s_load_b64 s[8:9], s[2:3], 0xc4
	s_cmp_lt_u32 s26, 2
	s_waitcnt lgkmcnt(0)
	v_mul_hi_u32 v2, s5, v4
	s_delay_alu instid0(VALU_DEP_1) | instskip(NEXT) | instid1(VALU_DEP_1)
	v_add_nc_u32_e32 v2, v4, v2
	v_lshrrev_b32_e32 v5, s6, v2
	s_delay_alu instid0(VALU_DEP_1) | instskip(NEXT) | instid1(VALU_DEP_1)
	v_mul_lo_u32 v2, v5, s4
	v_sub_nc_u32_e32 v3, v4, v2
	s_delay_alu instid0(VALU_DEP_1)
	v_mul_lo_u32 v2, v3, s8
	v_mul_lo_u32 v3, v3, s9
	s_cbranch_scc1 .LBB527_42
; %bb.41:
	s_clause 0x1
	s_load_b128 s[4:7], s[2:3], 0x10
	s_load_b64 s[8:9], s[2:3], 0xcc
	s_waitcnt lgkmcnt(0)
	v_mul_hi_u32 v4, s5, v5
	s_delay_alu instid0(VALU_DEP_1) | instskip(NEXT) | instid1(VALU_DEP_1)
	v_add_nc_u32_e32 v4, v5, v4
	v_lshrrev_b32_e32 v4, s6, v4
	s_delay_alu instid0(VALU_DEP_1) | instskip(NEXT) | instid1(VALU_DEP_1)
	v_mul_lo_u32 v4, v4, s4
	v_sub_nc_u32_e32 v7, v5, v4
	s_delay_alu instid0(VALU_DEP_1) | instskip(NEXT) | instid1(VALU_DEP_1)
	v_mad_u64_u32 v[4:5], null, v7, s8, v[2:3]
	v_mad_u64_u32 v[5:6], null, v7, s9, v[3:4]
	s_delay_alu instid0(VALU_DEP_1)
	v_dual_mov_b32 v2, v4 :: v_dual_mov_b32 v3, v5
.LBB527_42:
	v_cmp_ne_u32_e32 vcc_lo, 1, v14
	v_add_nc_u32_e32 v6, 0x100, v12
	s_cbranch_vccnz .LBB527_48
; %bb.43:
	v_dual_mov_b32 v4, 0 :: v_dual_mov_b32 v5, 0
	s_cmp_lg_u32 s26, 0
	s_mov_b32 s8, 0
	s_cbranch_scc0 .LBB527_52
; %bb.44:
	s_min_u32 s9, s27, 15
	v_mov_b32_e32 v4, 0
	s_add_i32 s9, s9, 1
	s_cmp_eq_u32 s27, 2
	s_mov_b32 s10, 0
	s_cbranch_scc1 .LBB527_49
; %bb.45:
	v_dual_mov_b32 v5, 0 :: v_dual_mov_b32 v4, 0
	v_mov_b32_e32 v7, v6
	s_add_u32 s4, s2, 0xc4
	s_addc_u32 s5, s3, 0
	s_and_b32 s10, s9, 28
	s_mov_b32 s11, 0
	s_mov_b64 s[6:7], s[2:3]
.LBB527_46:                             ; =>This Inner Loop Header: Depth=1
	s_clause 0x1
	s_load_b256 s[12:19], s[6:7], 0x4
	s_load_b128 s[20:23], s[6:7], 0x24
	s_load_b256 s[36:43], s[4:5], 0x0
	s_add_u32 s6, s6, 48
	s_addc_u32 s7, s7, 0
	s_add_i32 s11, s11, 4
	s_add_u32 s4, s4, 32
	s_addc_u32 s5, s5, 0
	s_cmp_lg_u32 s10, s11
	s_waitcnt lgkmcnt(0)
	v_mul_hi_u32 v8, s13, v7
	s_delay_alu instid0(VALU_DEP_1) | instskip(NEXT) | instid1(VALU_DEP_1)
	v_add_nc_u32_e32 v8, v7, v8
	v_lshrrev_b32_e32 v8, s14, v8
	s_delay_alu instid0(VALU_DEP_1) | instskip(SKIP_1) | instid1(VALU_DEP_2)
	v_mul_hi_u32 v9, s16, v8
	v_mul_lo_u32 v11, v8, s12
	v_add_nc_u32_e32 v9, v8, v9
	s_delay_alu instid0(VALU_DEP_2) | instskip(NEXT) | instid1(VALU_DEP_2)
	v_sub_nc_u32_e32 v7, v7, v11
	v_lshrrev_b32_e32 v9, s17, v9
	s_delay_alu instid0(VALU_DEP_2) | instskip(SKIP_1) | instid1(VALU_DEP_3)
	v_mul_lo_u32 v11, v7, s36
	v_mul_lo_u32 v15, v7, s37
	v_mul_hi_u32 v10, s19, v9
	s_delay_alu instid0(VALU_DEP_1) | instskip(NEXT) | instid1(VALU_DEP_1)
	v_add_nc_u32_e32 v10, v9, v10
	v_lshrrev_b32_e32 v10, s20, v10
	s_delay_alu instid0(VALU_DEP_1) | instskip(SKIP_1) | instid1(VALU_DEP_2)
	v_mul_hi_u32 v13, s22, v10
	v_mul_lo_u32 v17, v10, s18
	v_add_nc_u32_e32 v7, v10, v13
	v_mul_lo_u32 v13, v9, s15
	s_delay_alu instid0(VALU_DEP_3) | instskip(NEXT) | instid1(VALU_DEP_3)
	v_sub_nc_u32_e32 v9, v9, v17
	v_lshrrev_b32_e32 v7, s23, v7
	s_delay_alu instid0(VALU_DEP_2) | instskip(SKIP_2) | instid1(VALU_DEP_4)
	v_mul_lo_u32 v17, v9, s40
	v_mul_lo_u32 v9, v9, s41
	v_sub_nc_u32_e32 v8, v8, v13
	v_mul_lo_u32 v18, v7, s21
	s_delay_alu instid0(VALU_DEP_2) | instskip(SKIP_1) | instid1(VALU_DEP_3)
	v_mul_lo_u32 v13, v8, s38
	v_mul_lo_u32 v8, v8, s39
	v_sub_nc_u32_e32 v10, v10, v18
	s_delay_alu instid0(VALU_DEP_3) | instskip(NEXT) | instid1(VALU_DEP_2)
	v_add3_u32 v4, v11, v4, v13
	v_mul_lo_u32 v18, v10, s42
	v_mul_lo_u32 v10, v10, s43
	v_add3_u32 v5, v15, v5, v8
	s_delay_alu instid0(VALU_DEP_3) | instskip(NEXT) | instid1(VALU_DEP_2)
	v_add3_u32 v4, v17, v4, v18
	v_add3_u32 v5, v9, v5, v10
	s_cbranch_scc1 .LBB527_46
; %bb.47:
	s_and_b32 s9, s9, 3
	s_delay_alu instid0(SALU_CYCLE_1)
	s_cmp_eq_u32 s9, 0
	s_cbranch_scc0 .LBB527_50
	s_branch .LBB527_52
.LBB527_48:
	s_mov_b32 s8, -1
                                        ; implicit-def: $vgpr4
                                        ; implicit-def: $vgpr5
	s_branch .LBB527_52
.LBB527_49:
	v_mov_b32_e32 v7, v6
	v_mov_b32_e32 v5, 0
	s_and_b32 s9, s9, 3
	s_delay_alu instid0(SALU_CYCLE_1)
	s_cmp_eq_u32 s9, 0
	s_cbranch_scc1 .LBB527_52
.LBB527_50:
	s_lshl_b32 s4, s10, 3
	s_mul_i32 s6, s10, 12
	s_add_u32 s4, s4, s2
	s_addc_u32 s5, 0, s3
	s_add_u32 s4, s4, 0xc4
	s_addc_u32 s5, s5, 0
	;; [unrolled: 2-line block ×3, first 2 shown]
	.p2align	6
.LBB527_51:                             ; =>This Inner Loop Header: Depth=1
	s_clause 0x1
	s_load_b64 s[10:11], s[6:7], 0x4
	s_load_b32 s14, s[6:7], 0xc
	s_load_b64 s[12:13], s[4:5], 0x0
	s_add_u32 s6, s6, 12
	s_addc_u32 s7, s7, 0
	s_add_u32 s4, s4, 8
	s_addc_u32 s5, s5, 0
	s_add_i32 s9, s9, -1
	s_delay_alu instid0(SALU_CYCLE_1) | instskip(SKIP_2) | instid1(VALU_DEP_1)
	s_cmp_lg_u32 s9, 0
	s_waitcnt lgkmcnt(0)
	v_mul_hi_u32 v8, s11, v7
	v_add_nc_u32_e32 v8, v7, v8
	s_delay_alu instid0(VALU_DEP_1) | instskip(NEXT) | instid1(VALU_DEP_1)
	v_lshrrev_b32_e32 v11, s14, v8
	v_mul_lo_u32 v8, v11, s10
	s_delay_alu instid0(VALU_DEP_1) | instskip(NEXT) | instid1(VALU_DEP_1)
	v_sub_nc_u32_e32 v7, v7, v8
	v_mad_u64_u32 v[8:9], null, v7, s12, v[4:5]
	v_mad_u64_u32 v[9:10], null, v7, s13, v[5:6]
	s_delay_alu instid0(VALU_DEP_2) | instskip(NEXT) | instid1(VALU_DEP_2)
	v_dual_mov_b32 v7, v11 :: v_dual_mov_b32 v4, v8
	v_mov_b32_e32 v5, v9
	s_cbranch_scc1 .LBB527_51
.LBB527_52:
	s_and_not1_b32 vcc_lo, exec_lo, s8
	s_cbranch_vccnz .LBB527_55
; %bb.53:
	s_clause 0x1
	s_load_b128 s[4:7], s[2:3], 0x4
	s_load_b64 s[8:9], s[2:3], 0xc4
	s_cmp_lt_u32 s26, 2
	s_waitcnt lgkmcnt(0)
	v_mul_hi_u32 v4, s5, v6
	s_delay_alu instid0(VALU_DEP_1) | instskip(NEXT) | instid1(VALU_DEP_1)
	v_add_nc_u32_e32 v4, v6, v4
	v_lshrrev_b32_e32 v7, s6, v4
	s_delay_alu instid0(VALU_DEP_1) | instskip(NEXT) | instid1(VALU_DEP_1)
	v_mul_lo_u32 v4, v7, s4
	v_sub_nc_u32_e32 v5, v6, v4
	s_delay_alu instid0(VALU_DEP_1)
	v_mul_lo_u32 v4, v5, s8
	v_mul_lo_u32 v5, v5, s9
	s_cbranch_scc1 .LBB527_55
; %bb.54:
	s_clause 0x1
	s_load_b128 s[4:7], s[2:3], 0x10
	s_load_b64 s[8:9], s[2:3], 0xcc
	s_waitcnt lgkmcnt(0)
	v_mul_hi_u32 v6, s5, v7
	s_delay_alu instid0(VALU_DEP_1) | instskip(NEXT) | instid1(VALU_DEP_1)
	v_add_nc_u32_e32 v6, v7, v6
	v_lshrrev_b32_e32 v6, s6, v6
	s_delay_alu instid0(VALU_DEP_1) | instskip(NEXT) | instid1(VALU_DEP_1)
	v_mul_lo_u32 v6, v6, s4
	v_sub_nc_u32_e32 v9, v7, v6
	s_delay_alu instid0(VALU_DEP_1) | instskip(NEXT) | instid1(VALU_DEP_1)
	v_mad_u64_u32 v[6:7], null, v9, s8, v[4:5]
	v_mad_u64_u32 v[7:8], null, v9, s9, v[5:6]
	s_delay_alu instid0(VALU_DEP_1)
	v_dual_mov_b32 v4, v6 :: v_dual_mov_b32 v5, v7
.LBB527_55:
	v_cmp_ne_u32_e32 vcc_lo, 1, v14
	v_add_nc_u32_e32 v8, 0x180, v12
	s_cbranch_vccnz .LBB527_61
; %bb.56:
	v_dual_mov_b32 v6, 0 :: v_dual_mov_b32 v7, 0
	s_cmp_lg_u32 s26, 0
	s_mov_b32 s8, 0
	s_cbranch_scc0 .LBB527_65
; %bb.57:
	s_min_u32 s9, s27, 15
	v_mov_b32_e32 v6, 0
	s_add_i32 s9, s9, 1
	s_cmp_eq_u32 s27, 2
	s_mov_b32 s10, 0
	s_cbranch_scc1 .LBB527_62
; %bb.58:
	v_dual_mov_b32 v7, 0 :: v_dual_mov_b32 v6, 0
	v_mov_b32_e32 v9, v8
	s_add_u32 s4, s2, 0xc4
	s_addc_u32 s5, s3, 0
	s_and_b32 s10, s9, 28
	s_mov_b32 s11, 0
	s_mov_b64 s[6:7], s[2:3]
.LBB527_59:                             ; =>This Inner Loop Header: Depth=1
	s_clause 0x1
	s_load_b256 s[12:19], s[6:7], 0x4
	s_load_b128 s[20:23], s[6:7], 0x24
	s_load_b256 s[36:43], s[4:5], 0x0
	s_add_u32 s6, s6, 48
	s_addc_u32 s7, s7, 0
	s_add_i32 s11, s11, 4
	s_add_u32 s4, s4, 32
	s_addc_u32 s5, s5, 0
	s_cmp_lg_u32 s10, s11
	s_waitcnt lgkmcnt(0)
	v_mul_hi_u32 v10, s13, v9
	s_delay_alu instid0(VALU_DEP_1) | instskip(NEXT) | instid1(VALU_DEP_1)
	v_add_nc_u32_e32 v10, v9, v10
	v_lshrrev_b32_e32 v10, s14, v10
	s_delay_alu instid0(VALU_DEP_1) | instskip(SKIP_1) | instid1(VALU_DEP_2)
	v_mul_hi_u32 v11, s16, v10
	v_mul_lo_u32 v15, v10, s12
	v_add_nc_u32_e32 v11, v10, v11
	s_delay_alu instid0(VALU_DEP_2) | instskip(NEXT) | instid1(VALU_DEP_2)
	v_sub_nc_u32_e32 v9, v9, v15
	v_lshrrev_b32_e32 v11, s17, v11
	s_delay_alu instid0(VALU_DEP_2) | instskip(SKIP_1) | instid1(VALU_DEP_3)
	v_mul_lo_u32 v15, v9, s36
	v_mul_lo_u32 v18, v9, s37
	v_mul_hi_u32 v13, s19, v11
	s_delay_alu instid0(VALU_DEP_1) | instskip(NEXT) | instid1(VALU_DEP_1)
	v_add_nc_u32_e32 v13, v11, v13
	v_lshrrev_b32_e32 v13, s20, v13
	s_delay_alu instid0(VALU_DEP_1) | instskip(SKIP_1) | instid1(VALU_DEP_2)
	v_mul_hi_u32 v17, s22, v13
	v_mul_lo_u32 v19, v13, s18
	v_add_nc_u32_e32 v9, v13, v17
	v_mul_lo_u32 v17, v11, s15
	s_delay_alu instid0(VALU_DEP_3) | instskip(NEXT) | instid1(VALU_DEP_3)
	v_sub_nc_u32_e32 v11, v11, v19
	v_lshrrev_b32_e32 v9, s23, v9
	s_delay_alu instid0(VALU_DEP_2) | instskip(SKIP_2) | instid1(VALU_DEP_4)
	v_mul_lo_u32 v19, v11, s40
	v_mul_lo_u32 v11, v11, s41
	v_sub_nc_u32_e32 v10, v10, v17
	v_mul_lo_u32 v20, v9, s21
	s_delay_alu instid0(VALU_DEP_2) | instskip(SKIP_1) | instid1(VALU_DEP_3)
	v_mul_lo_u32 v17, v10, s38
	v_mul_lo_u32 v10, v10, s39
	v_sub_nc_u32_e32 v13, v13, v20
	s_delay_alu instid0(VALU_DEP_3) | instskip(NEXT) | instid1(VALU_DEP_2)
	v_add3_u32 v6, v15, v6, v17
	v_mul_lo_u32 v20, v13, s42
	v_mul_lo_u32 v13, v13, s43
	v_add3_u32 v7, v18, v7, v10
	s_delay_alu instid0(VALU_DEP_3) | instskip(NEXT) | instid1(VALU_DEP_2)
	v_add3_u32 v6, v19, v6, v20
	v_add3_u32 v7, v11, v7, v13
	s_cbranch_scc1 .LBB527_59
; %bb.60:
	s_and_b32 s9, s9, 3
	s_delay_alu instid0(SALU_CYCLE_1)
	s_cmp_eq_u32 s9, 0
	s_cbranch_scc0 .LBB527_63
	s_branch .LBB527_65
.LBB527_61:
	s_mov_b32 s8, -1
                                        ; implicit-def: $vgpr6
                                        ; implicit-def: $vgpr7
	s_branch .LBB527_65
.LBB527_62:
	v_mov_b32_e32 v9, v8
	v_mov_b32_e32 v7, 0
	s_and_b32 s9, s9, 3
	s_delay_alu instid0(SALU_CYCLE_1)
	s_cmp_eq_u32 s9, 0
	s_cbranch_scc1 .LBB527_65
.LBB527_63:
	s_lshl_b32 s4, s10, 3
	s_mul_i32 s6, s10, 12
	s_add_u32 s4, s4, s2
	s_addc_u32 s5, 0, s3
	s_add_u32 s4, s4, 0xc4
	s_addc_u32 s5, s5, 0
	s_add_u32 s6, s2, s6
	s_addc_u32 s7, 0, s3
	.p2align	6
.LBB527_64:                             ; =>This Inner Loop Header: Depth=1
	s_clause 0x1
	s_load_b64 s[10:11], s[6:7], 0x4
	s_load_b32 s14, s[6:7], 0xc
	s_load_b64 s[12:13], s[4:5], 0x0
	s_add_u32 s6, s6, 12
	s_addc_u32 s7, s7, 0
	s_add_u32 s4, s4, 8
	s_addc_u32 s5, s5, 0
	s_add_i32 s9, s9, -1
	s_delay_alu instid0(SALU_CYCLE_1) | instskip(SKIP_2) | instid1(VALU_DEP_1)
	s_cmp_lg_u32 s9, 0
	s_waitcnt lgkmcnt(0)
	v_mul_hi_u32 v10, s11, v9
	v_add_nc_u32_e32 v10, v9, v10
	s_delay_alu instid0(VALU_DEP_1) | instskip(NEXT) | instid1(VALU_DEP_1)
	v_lshrrev_b32_e32 v13, s14, v10
	v_mul_lo_u32 v10, v13, s10
	s_delay_alu instid0(VALU_DEP_1) | instskip(NEXT) | instid1(VALU_DEP_1)
	v_sub_nc_u32_e32 v9, v9, v10
	v_mad_u64_u32 v[10:11], null, v9, s12, v[6:7]
	v_mad_u64_u32 v[17:18], null, v9, s13, v[7:8]
	s_delay_alu instid0(VALU_DEP_2) | instskip(NEXT) | instid1(VALU_DEP_2)
	v_dual_mov_b32 v9, v13 :: v_dual_mov_b32 v6, v10
	v_mov_b32_e32 v7, v17
	s_cbranch_scc1 .LBB527_64
.LBB527_65:
	s_and_not1_b32 vcc_lo, exec_lo, s8
	s_cbranch_vccnz .LBB527_68
; %bb.66:
	s_clause 0x1
	s_load_b128 s[4:7], s[2:3], 0x4
	s_load_b64 s[8:9], s[2:3], 0xc4
	s_cmp_lt_u32 s26, 2
	s_waitcnt lgkmcnt(0)
	v_mul_hi_u32 v6, s5, v8
	s_delay_alu instid0(VALU_DEP_1) | instskip(NEXT) | instid1(VALU_DEP_1)
	v_add_nc_u32_e32 v6, v8, v6
	v_lshrrev_b32_e32 v9, s6, v6
	s_delay_alu instid0(VALU_DEP_1) | instskip(NEXT) | instid1(VALU_DEP_1)
	v_mul_lo_u32 v6, v9, s4
	v_sub_nc_u32_e32 v7, v8, v6
	s_delay_alu instid0(VALU_DEP_1)
	v_mul_lo_u32 v6, v7, s8
	v_mul_lo_u32 v7, v7, s9
	s_cbranch_scc1 .LBB527_68
; %bb.67:
	s_clause 0x1
	s_load_b128 s[4:7], s[2:3], 0x10
	s_load_b64 s[8:9], s[2:3], 0xcc
	s_waitcnt lgkmcnt(0)
	v_mul_hi_u32 v8, s5, v9
	s_delay_alu instid0(VALU_DEP_1) | instskip(NEXT) | instid1(VALU_DEP_1)
	v_add_nc_u32_e32 v8, v9, v8
	v_lshrrev_b32_e32 v8, s6, v8
	s_delay_alu instid0(VALU_DEP_1) | instskip(NEXT) | instid1(VALU_DEP_1)
	v_mul_lo_u32 v8, v8, s4
	v_sub_nc_u32_e32 v11, v9, v8
	s_delay_alu instid0(VALU_DEP_1) | instskip(NEXT) | instid1(VALU_DEP_1)
	v_mad_u64_u32 v[8:9], null, v11, s8, v[6:7]
	v_mad_u64_u32 v[9:10], null, v11, s9, v[7:8]
	s_delay_alu instid0(VALU_DEP_1)
	v_dual_mov_b32 v6, v8 :: v_dual_mov_b32 v7, v9
.LBB527_68:
	v_cmp_ne_u32_e32 vcc_lo, 1, v14
	v_add_nc_u32_e32 v10, 0x200, v12
	s_cbranch_vccnz .LBB527_74
; %bb.69:
	v_dual_mov_b32 v8, 0 :: v_dual_mov_b32 v9, 0
	s_cmp_lg_u32 s26, 0
	s_mov_b32 s8, 0
	s_cbranch_scc0 .LBB527_78
; %bb.70:
	s_min_u32 s9, s27, 15
	v_mov_b32_e32 v8, 0
	s_add_i32 s9, s9, 1
	s_cmp_eq_u32 s27, 2
	s_mov_b32 s10, 0
	s_cbranch_scc1 .LBB527_75
; %bb.71:
	v_dual_mov_b32 v9, 0 :: v_dual_mov_b32 v8, 0
	v_mov_b32_e32 v11, v10
	s_add_u32 s4, s2, 0xc4
	s_addc_u32 s5, s3, 0
	s_and_b32 s10, s9, 28
	s_mov_b32 s11, 0
	s_mov_b64 s[6:7], s[2:3]
.LBB527_72:                             ; =>This Inner Loop Header: Depth=1
	s_clause 0x1
	s_load_b256 s[12:19], s[6:7], 0x4
	s_load_b128 s[20:23], s[6:7], 0x24
	s_load_b256 s[36:43], s[4:5], 0x0
	s_add_u32 s6, s6, 48
	s_addc_u32 s7, s7, 0
	s_add_i32 s11, s11, 4
	s_add_u32 s4, s4, 32
	s_addc_u32 s5, s5, 0
	s_cmp_lg_u32 s10, s11
	s_waitcnt lgkmcnt(0)
	v_mul_hi_u32 v13, s13, v11
	s_delay_alu instid0(VALU_DEP_1) | instskip(NEXT) | instid1(VALU_DEP_1)
	v_add_nc_u32_e32 v13, v11, v13
	v_lshrrev_b32_e32 v13, s14, v13
	s_delay_alu instid0(VALU_DEP_1) | instskip(SKIP_1) | instid1(VALU_DEP_2)
	v_mul_hi_u32 v15, s16, v13
	v_mul_lo_u32 v18, v13, s12
	v_add_nc_u32_e32 v15, v13, v15
	s_delay_alu instid0(VALU_DEP_2) | instskip(NEXT) | instid1(VALU_DEP_2)
	v_sub_nc_u32_e32 v11, v11, v18
	v_lshrrev_b32_e32 v15, s17, v15
	s_delay_alu instid0(VALU_DEP_2) | instskip(SKIP_1) | instid1(VALU_DEP_3)
	v_mul_lo_u32 v18, v11, s36
	v_mul_lo_u32 v20, v11, s37
	v_mul_hi_u32 v17, s19, v15
	s_delay_alu instid0(VALU_DEP_1) | instskip(NEXT) | instid1(VALU_DEP_1)
	v_add_nc_u32_e32 v17, v15, v17
	v_lshrrev_b32_e32 v17, s20, v17
	s_delay_alu instid0(VALU_DEP_1) | instskip(SKIP_1) | instid1(VALU_DEP_2)
	v_mul_hi_u32 v19, s22, v17
	v_mul_lo_u32 v21, v17, s18
	v_add_nc_u32_e32 v11, v17, v19
	v_mul_lo_u32 v19, v15, s15
	s_delay_alu instid0(VALU_DEP_3) | instskip(NEXT) | instid1(VALU_DEP_3)
	v_sub_nc_u32_e32 v15, v15, v21
	v_lshrrev_b32_e32 v11, s23, v11
	s_delay_alu instid0(VALU_DEP_2) | instskip(SKIP_2) | instid1(VALU_DEP_4)
	v_mul_lo_u32 v21, v15, s40
	v_mul_lo_u32 v15, v15, s41
	v_sub_nc_u32_e32 v13, v13, v19
	v_mul_lo_u32 v22, v11, s21
	s_delay_alu instid0(VALU_DEP_2) | instskip(SKIP_1) | instid1(VALU_DEP_3)
	v_mul_lo_u32 v19, v13, s38
	v_mul_lo_u32 v13, v13, s39
	v_sub_nc_u32_e32 v17, v17, v22
	s_delay_alu instid0(VALU_DEP_3) | instskip(NEXT) | instid1(VALU_DEP_2)
	v_add3_u32 v8, v18, v8, v19
	v_mul_lo_u32 v22, v17, s42
	v_mul_lo_u32 v17, v17, s43
	v_add3_u32 v9, v20, v9, v13
	s_delay_alu instid0(VALU_DEP_3) | instskip(NEXT) | instid1(VALU_DEP_2)
	v_add3_u32 v8, v21, v8, v22
	v_add3_u32 v9, v15, v9, v17
	s_cbranch_scc1 .LBB527_72
; %bb.73:
	s_and_b32 s9, s9, 3
	s_delay_alu instid0(SALU_CYCLE_1)
	s_cmp_eq_u32 s9, 0
	s_cbranch_scc0 .LBB527_76
	s_branch .LBB527_78
.LBB527_74:
	s_mov_b32 s8, -1
                                        ; implicit-def: $vgpr8
                                        ; implicit-def: $vgpr9
	s_branch .LBB527_78
.LBB527_75:
	v_mov_b32_e32 v11, v10
	v_mov_b32_e32 v9, 0
	s_and_b32 s9, s9, 3
	s_delay_alu instid0(SALU_CYCLE_1)
	s_cmp_eq_u32 s9, 0
	s_cbranch_scc1 .LBB527_78
.LBB527_76:
	s_lshl_b32 s4, s10, 3
	s_mul_i32 s6, s10, 12
	s_add_u32 s4, s4, s2
	s_addc_u32 s5, 0, s3
	s_add_u32 s4, s4, 0xc4
	s_addc_u32 s5, s5, 0
	;; [unrolled: 2-line block ×3, first 2 shown]
	.p2align	6
.LBB527_77:                             ; =>This Inner Loop Header: Depth=1
	s_clause 0x1
	s_load_b64 s[10:11], s[6:7], 0x4
	s_load_b32 s14, s[6:7], 0xc
	s_load_b64 s[12:13], s[4:5], 0x0
	s_add_u32 s6, s6, 12
	s_addc_u32 s7, s7, 0
	s_add_u32 s4, s4, 8
	s_addc_u32 s5, s5, 0
	s_add_i32 s9, s9, -1
	s_delay_alu instid0(SALU_CYCLE_1) | instskip(SKIP_2) | instid1(VALU_DEP_1)
	s_cmp_lg_u32 s9, 0
	s_waitcnt lgkmcnt(0)
	v_mul_hi_u32 v13, s11, v11
	v_add_nc_u32_e32 v13, v11, v13
	s_delay_alu instid0(VALU_DEP_1) | instskip(NEXT) | instid1(VALU_DEP_1)
	v_lshrrev_b32_e32 v13, s14, v13
	v_mul_lo_u32 v15, v13, s10
	s_delay_alu instid0(VALU_DEP_1) | instskip(NEXT) | instid1(VALU_DEP_1)
	v_sub_nc_u32_e32 v11, v11, v15
	v_mad_u64_u32 v[17:18], null, v11, s12, v[8:9]
	v_mad_u64_u32 v[18:19], null, v11, s13, v[9:10]
	v_mov_b32_e32 v11, v13
	s_delay_alu instid0(VALU_DEP_2)
	v_dual_mov_b32 v8, v17 :: v_dual_mov_b32 v9, v18
	s_cbranch_scc1 .LBB527_77
.LBB527_78:
	s_and_not1_b32 vcc_lo, exec_lo, s8
	s_cbranch_vccnz .LBB527_81
; %bb.79:
	s_clause 0x1
	s_load_b128 s[4:7], s[2:3], 0x4
	s_load_b64 s[8:9], s[2:3], 0xc4
	s_cmp_lt_u32 s26, 2
	s_waitcnt lgkmcnt(0)
	v_mul_hi_u32 v8, s5, v10
	s_delay_alu instid0(VALU_DEP_1) | instskip(NEXT) | instid1(VALU_DEP_1)
	v_add_nc_u32_e32 v8, v10, v8
	v_lshrrev_b32_e32 v11, s6, v8
	s_delay_alu instid0(VALU_DEP_1) | instskip(NEXT) | instid1(VALU_DEP_1)
	v_mul_lo_u32 v8, v11, s4
	v_sub_nc_u32_e32 v9, v10, v8
	s_delay_alu instid0(VALU_DEP_1)
	v_mul_lo_u32 v8, v9, s8
	v_mul_lo_u32 v9, v9, s9
	s_cbranch_scc1 .LBB527_81
; %bb.80:
	s_clause 0x1
	s_load_b128 s[4:7], s[2:3], 0x10
	s_load_b64 s[8:9], s[2:3], 0xcc
	s_waitcnt lgkmcnt(0)
	v_mul_hi_u32 v10, s5, v11
	s_delay_alu instid0(VALU_DEP_1) | instskip(NEXT) | instid1(VALU_DEP_1)
	v_add_nc_u32_e32 v10, v11, v10
	v_lshrrev_b32_e32 v10, s6, v10
	s_delay_alu instid0(VALU_DEP_1) | instskip(NEXT) | instid1(VALU_DEP_1)
	v_mul_lo_u32 v10, v10, s4
	v_sub_nc_u32_e32 v13, v11, v10
	s_delay_alu instid0(VALU_DEP_1) | instskip(NEXT) | instid1(VALU_DEP_1)
	v_mad_u64_u32 v[10:11], null, v13, s8, v[8:9]
	v_mad_u64_u32 v[17:18], null, v13, s9, v[9:10]
	s_delay_alu instid0(VALU_DEP_1)
	v_dual_mov_b32 v8, v10 :: v_dual_mov_b32 v9, v17
.LBB527_81:
	v_cmp_ne_u32_e32 vcc_lo, 1, v14
	v_add_nc_u32_e32 v13, 0x280, v12
	s_cbranch_vccnz .LBB527_87
; %bb.82:
	v_dual_mov_b32 v10, 0 :: v_dual_mov_b32 v11, 0
	s_cmp_lg_u32 s26, 0
	s_mov_b32 s8, 0
	s_cbranch_scc0 .LBB527_91
; %bb.83:
	s_min_u32 s9, s27, 15
	v_mov_b32_e32 v10, 0
	s_add_i32 s9, s9, 1
	s_cmp_eq_u32 s27, 2
	s_mov_b32 s10, 0
	s_cbranch_scc1 .LBB527_88
; %bb.84:
	v_dual_mov_b32 v11, 0 :: v_dual_mov_b32 v10, 0
	v_mov_b32_e32 v15, v13
	s_add_u32 s4, s2, 0xc4
	s_addc_u32 s5, s3, 0
	s_and_b32 s10, s9, 28
	s_mov_b32 s11, 0
	s_mov_b64 s[6:7], s[2:3]
.LBB527_85:                             ; =>This Inner Loop Header: Depth=1
	s_clause 0x1
	s_load_b256 s[12:19], s[6:7], 0x4
	s_load_b128 s[20:23], s[6:7], 0x24
	s_load_b256 s[36:43], s[4:5], 0x0
	s_add_u32 s6, s6, 48
	s_addc_u32 s7, s7, 0
	s_add_i32 s11, s11, 4
	s_add_u32 s4, s4, 32
	s_addc_u32 s5, s5, 0
	s_cmp_lg_u32 s10, s11
	s_waitcnt lgkmcnt(0)
	v_mul_hi_u32 v17, s13, v15
	s_delay_alu instid0(VALU_DEP_1) | instskip(NEXT) | instid1(VALU_DEP_1)
	v_add_nc_u32_e32 v17, v15, v17
	v_lshrrev_b32_e32 v17, s14, v17
	s_delay_alu instid0(VALU_DEP_1) | instskip(SKIP_1) | instid1(VALU_DEP_2)
	v_mul_hi_u32 v18, s16, v17
	v_mul_lo_u32 v20, v17, s12
	v_add_nc_u32_e32 v18, v17, v18
	s_delay_alu instid0(VALU_DEP_2) | instskip(NEXT) | instid1(VALU_DEP_2)
	v_sub_nc_u32_e32 v15, v15, v20
	v_lshrrev_b32_e32 v18, s17, v18
	s_delay_alu instid0(VALU_DEP_2) | instskip(SKIP_1) | instid1(VALU_DEP_3)
	v_mul_lo_u32 v20, v15, s36
	v_mul_lo_u32 v22, v15, s37
	v_mul_hi_u32 v19, s19, v18
	s_delay_alu instid0(VALU_DEP_1) | instskip(NEXT) | instid1(VALU_DEP_1)
	v_add_nc_u32_e32 v19, v18, v19
	v_lshrrev_b32_e32 v19, s20, v19
	s_delay_alu instid0(VALU_DEP_1) | instskip(SKIP_1) | instid1(VALU_DEP_2)
	v_mul_hi_u32 v21, s22, v19
	v_mul_lo_u32 v23, v19, s18
	v_add_nc_u32_e32 v15, v19, v21
	v_mul_lo_u32 v21, v18, s15
	s_delay_alu instid0(VALU_DEP_3) | instskip(NEXT) | instid1(VALU_DEP_3)
	v_sub_nc_u32_e32 v18, v18, v23
	v_lshrrev_b32_e32 v15, s23, v15
	s_delay_alu instid0(VALU_DEP_2) | instskip(SKIP_2) | instid1(VALU_DEP_4)
	v_mul_lo_u32 v23, v18, s40
	v_mul_lo_u32 v18, v18, s41
	v_sub_nc_u32_e32 v17, v17, v21
	v_mul_lo_u32 v24, v15, s21
	s_delay_alu instid0(VALU_DEP_2) | instskip(SKIP_1) | instid1(VALU_DEP_3)
	v_mul_lo_u32 v21, v17, s38
	v_mul_lo_u32 v17, v17, s39
	v_sub_nc_u32_e32 v19, v19, v24
	s_delay_alu instid0(VALU_DEP_3) | instskip(NEXT) | instid1(VALU_DEP_2)
	v_add3_u32 v10, v20, v10, v21
	v_mul_lo_u32 v24, v19, s42
	v_mul_lo_u32 v19, v19, s43
	v_add3_u32 v11, v22, v11, v17
	s_delay_alu instid0(VALU_DEP_3) | instskip(NEXT) | instid1(VALU_DEP_2)
	v_add3_u32 v10, v23, v10, v24
	v_add3_u32 v11, v18, v11, v19
	s_cbranch_scc1 .LBB527_85
; %bb.86:
	s_and_b32 s9, s9, 3
	s_delay_alu instid0(SALU_CYCLE_1)
	s_cmp_eq_u32 s9, 0
	s_cbranch_scc0 .LBB527_89
	s_branch .LBB527_91
.LBB527_87:
	s_mov_b32 s8, -1
                                        ; implicit-def: $vgpr10
                                        ; implicit-def: $vgpr11
	s_branch .LBB527_91
.LBB527_88:
	v_mov_b32_e32 v15, v13
	v_mov_b32_e32 v11, 0
	s_and_b32 s9, s9, 3
	s_delay_alu instid0(SALU_CYCLE_1)
	s_cmp_eq_u32 s9, 0
	s_cbranch_scc1 .LBB527_91
.LBB527_89:
	s_lshl_b32 s4, s10, 3
	s_mul_i32 s6, s10, 12
	s_add_u32 s4, s4, s2
	s_addc_u32 s5, 0, s3
	s_add_u32 s4, s4, 0xc4
	s_addc_u32 s5, s5, 0
	;; [unrolled: 2-line block ×3, first 2 shown]
	.p2align	6
.LBB527_90:                             ; =>This Inner Loop Header: Depth=1
	s_clause 0x1
	s_load_b64 s[10:11], s[6:7], 0x4
	s_load_b32 s14, s[6:7], 0xc
	s_load_b64 s[12:13], s[4:5], 0x0
	s_add_u32 s6, s6, 12
	s_addc_u32 s7, s7, 0
	s_add_u32 s4, s4, 8
	s_addc_u32 s5, s5, 0
	s_add_i32 s9, s9, -1
	s_delay_alu instid0(SALU_CYCLE_1) | instskip(SKIP_2) | instid1(VALU_DEP_1)
	s_cmp_lg_u32 s9, 0
	s_waitcnt lgkmcnt(0)
	v_mul_hi_u32 v17, s11, v15
	v_add_nc_u32_e32 v17, v15, v17
	s_delay_alu instid0(VALU_DEP_1) | instskip(NEXT) | instid1(VALU_DEP_1)
	v_lshrrev_b32_e32 v20, s14, v17
	v_mul_lo_u32 v17, v20, s10
	s_delay_alu instid0(VALU_DEP_1) | instskip(NEXT) | instid1(VALU_DEP_1)
	v_sub_nc_u32_e32 v15, v15, v17
	v_mad_u64_u32 v[17:18], null, v15, s12, v[10:11]
	v_mad_u64_u32 v[18:19], null, v15, s13, v[11:12]
	s_delay_alu instid0(VALU_DEP_2) | instskip(NEXT) | instid1(VALU_DEP_2)
	v_dual_mov_b32 v15, v20 :: v_dual_mov_b32 v10, v17
	v_mov_b32_e32 v11, v18
	s_cbranch_scc1 .LBB527_90
.LBB527_91:
	s_and_not1_b32 vcc_lo, exec_lo, s8
	s_cbranch_vccnz .LBB527_94
; %bb.92:
	s_clause 0x1
	s_load_b128 s[4:7], s[2:3], 0x4
	s_load_b64 s[8:9], s[2:3], 0xc4
	s_cmp_lt_u32 s26, 2
	s_waitcnt lgkmcnt(0)
	v_mul_hi_u32 v10, s5, v13
	s_delay_alu instid0(VALU_DEP_1) | instskip(NEXT) | instid1(VALU_DEP_1)
	v_add_nc_u32_e32 v10, v13, v10
	v_lshrrev_b32_e32 v15, s6, v10
	s_delay_alu instid0(VALU_DEP_1) | instskip(NEXT) | instid1(VALU_DEP_1)
	v_mul_lo_u32 v10, v15, s4
	v_sub_nc_u32_e32 v11, v13, v10
	s_delay_alu instid0(VALU_DEP_1)
	v_mul_lo_u32 v10, v11, s8
	v_mul_lo_u32 v11, v11, s9
	s_cbranch_scc1 .LBB527_94
; %bb.93:
	s_clause 0x1
	s_load_b128 s[4:7], s[2:3], 0x10
	s_load_b64 s[8:9], s[2:3], 0xcc
	s_waitcnt lgkmcnt(0)
	v_mul_hi_u32 v13, s5, v15
	s_delay_alu instid0(VALU_DEP_1) | instskip(NEXT) | instid1(VALU_DEP_1)
	v_add_nc_u32_e32 v13, v15, v13
	v_lshrrev_b32_e32 v13, s6, v13
	s_delay_alu instid0(VALU_DEP_1) | instskip(NEXT) | instid1(VALU_DEP_1)
	v_mul_lo_u32 v13, v13, s4
	v_sub_nc_u32_e32 v13, v15, v13
	s_delay_alu instid0(VALU_DEP_1) | instskip(SKIP_1) | instid1(VALU_DEP_1)
	v_mad_u64_u32 v[17:18], null, v13, s8, v[10:11]
	v_mad_u64_u32 v[18:19], null, v13, s9, v[11:12]
	v_dual_mov_b32 v10, v17 :: v_dual_mov_b32 v11, v18
.LBB527_94:
	v_cmp_ne_u32_e32 vcc_lo, 1, v14
	v_add_nc_u32_e32 v15, 0x300, v12
	s_cbranch_vccnz .LBB527_100
; %bb.95:
	v_dual_mov_b32 v12, 0 :: v_dual_mov_b32 v13, 0
	s_cmp_lg_u32 s26, 0
	s_mov_b32 s8, 0
	s_cbranch_scc0 .LBB527_104
; %bb.96:
	s_min_u32 s9, s27, 15
	v_mov_b32_e32 v12, 0
	s_add_i32 s9, s9, 1
	s_cmp_eq_u32 s27, 2
	s_mov_b32 s10, 0
	s_cbranch_scc1 .LBB527_101
; %bb.97:
	v_dual_mov_b32 v13, 0 :: v_dual_mov_b32 v12, 0
	v_mov_b32_e32 v17, v15
	s_add_u32 s4, s2, 0xc4
	s_addc_u32 s5, s3, 0
	s_and_b32 s10, s9, 28
	s_mov_b32 s11, 0
	s_mov_b64 s[6:7], s[2:3]
.LBB527_98:                             ; =>This Inner Loop Header: Depth=1
	s_clause 0x1
	s_load_b256 s[12:19], s[6:7], 0x4
	s_load_b128 s[20:23], s[6:7], 0x24
	s_load_b256 s[36:43], s[4:5], 0x0
	s_add_u32 s6, s6, 48
	s_addc_u32 s7, s7, 0
	s_add_i32 s11, s11, 4
	s_add_u32 s4, s4, 32
	s_addc_u32 s5, s5, 0
	s_cmp_lg_u32 s10, s11
	s_waitcnt lgkmcnt(0)
	v_mul_hi_u32 v18, s13, v17
	s_delay_alu instid0(VALU_DEP_1) | instskip(NEXT) | instid1(VALU_DEP_1)
	v_add_nc_u32_e32 v18, v17, v18
	v_lshrrev_b32_e32 v18, s14, v18
	s_delay_alu instid0(VALU_DEP_1) | instskip(SKIP_1) | instid1(VALU_DEP_2)
	v_mul_hi_u32 v19, s16, v18
	v_mul_lo_u32 v21, v18, s12
	v_add_nc_u32_e32 v19, v18, v19
	s_delay_alu instid0(VALU_DEP_2) | instskip(NEXT) | instid1(VALU_DEP_2)
	v_sub_nc_u32_e32 v17, v17, v21
	v_lshrrev_b32_e32 v19, s17, v19
	s_delay_alu instid0(VALU_DEP_2) | instskip(SKIP_1) | instid1(VALU_DEP_3)
	v_mul_lo_u32 v21, v17, s36
	v_mul_lo_u32 v23, v17, s37
	v_mul_hi_u32 v20, s19, v19
	s_delay_alu instid0(VALU_DEP_1) | instskip(NEXT) | instid1(VALU_DEP_1)
	v_add_nc_u32_e32 v20, v19, v20
	v_lshrrev_b32_e32 v20, s20, v20
	s_delay_alu instid0(VALU_DEP_1) | instskip(SKIP_1) | instid1(VALU_DEP_2)
	v_mul_hi_u32 v22, s22, v20
	v_mul_lo_u32 v24, v20, s18
	v_add_nc_u32_e32 v17, v20, v22
	v_mul_lo_u32 v22, v19, s15
	s_delay_alu instid0(VALU_DEP_3) | instskip(NEXT) | instid1(VALU_DEP_3)
	v_sub_nc_u32_e32 v19, v19, v24
	v_lshrrev_b32_e32 v17, s23, v17
	s_delay_alu instid0(VALU_DEP_2) | instskip(SKIP_2) | instid1(VALU_DEP_4)
	v_mul_lo_u32 v24, v19, s40
	v_mul_lo_u32 v19, v19, s41
	v_sub_nc_u32_e32 v18, v18, v22
	v_mul_lo_u32 v25, v17, s21
	s_delay_alu instid0(VALU_DEP_2) | instskip(SKIP_1) | instid1(VALU_DEP_3)
	v_mul_lo_u32 v22, v18, s38
	v_mul_lo_u32 v18, v18, s39
	v_sub_nc_u32_e32 v20, v20, v25
	s_delay_alu instid0(VALU_DEP_3) | instskip(NEXT) | instid1(VALU_DEP_2)
	v_add3_u32 v12, v21, v12, v22
	v_mul_lo_u32 v25, v20, s42
	v_mul_lo_u32 v20, v20, s43
	v_add3_u32 v13, v23, v13, v18
	s_delay_alu instid0(VALU_DEP_3) | instskip(NEXT) | instid1(VALU_DEP_2)
	v_add3_u32 v12, v24, v12, v25
	v_add3_u32 v13, v19, v13, v20
	s_cbranch_scc1 .LBB527_98
; %bb.99:
	s_and_b32 s9, s9, 3
	s_delay_alu instid0(SALU_CYCLE_1)
	s_cmp_eq_u32 s9, 0
	s_cbranch_scc0 .LBB527_102
	s_branch .LBB527_104
.LBB527_100:
	s_mov_b32 s8, -1
                                        ; implicit-def: $vgpr12
                                        ; implicit-def: $vgpr13
	s_branch .LBB527_104
.LBB527_101:
	v_mov_b32_e32 v17, v15
	v_mov_b32_e32 v13, 0
	s_and_b32 s9, s9, 3
	s_delay_alu instid0(SALU_CYCLE_1)
	s_cmp_eq_u32 s9, 0
	s_cbranch_scc1 .LBB527_104
.LBB527_102:
	s_lshl_b32 s4, s10, 3
	s_mul_i32 s6, s10, 12
	s_add_u32 s4, s4, s2
	s_addc_u32 s5, 0, s3
	s_add_u32 s4, s4, 0xc4
	s_addc_u32 s5, s5, 0
	;; [unrolled: 2-line block ×3, first 2 shown]
	.p2align	6
.LBB527_103:                            ; =>This Inner Loop Header: Depth=1
	s_clause 0x1
	s_load_b64 s[10:11], s[6:7], 0x4
	s_load_b32 s14, s[6:7], 0xc
	s_load_b64 s[12:13], s[4:5], 0x0
	s_add_u32 s6, s6, 12
	s_addc_u32 s7, s7, 0
	s_add_u32 s4, s4, 8
	s_addc_u32 s5, s5, 0
	s_add_i32 s9, s9, -1
	s_delay_alu instid0(SALU_CYCLE_1) | instskip(SKIP_2) | instid1(VALU_DEP_1)
	s_cmp_lg_u32 s9, 0
	s_waitcnt lgkmcnt(0)
	v_mul_hi_u32 v18, s11, v17
	v_add_nc_u32_e32 v18, v17, v18
	s_delay_alu instid0(VALU_DEP_1) | instskip(NEXT) | instid1(VALU_DEP_1)
	v_lshrrev_b32_e32 v21, s14, v18
	v_mul_lo_u32 v18, v21, s10
	s_delay_alu instid0(VALU_DEP_1) | instskip(NEXT) | instid1(VALU_DEP_1)
	v_sub_nc_u32_e32 v17, v17, v18
	v_mad_u64_u32 v[18:19], null, v17, s12, v[12:13]
	v_mad_u64_u32 v[19:20], null, v17, s13, v[13:14]
	s_delay_alu instid0(VALU_DEP_2) | instskip(NEXT) | instid1(VALU_DEP_2)
	v_dual_mov_b32 v17, v21 :: v_dual_mov_b32 v12, v18
	v_mov_b32_e32 v13, v19
	s_cbranch_scc1 .LBB527_103
.LBB527_104:
	s_and_not1_b32 vcc_lo, exec_lo, s8
	s_cbranch_vccnz .LBB527_107
; %bb.105:
	s_clause 0x1
	s_load_b128 s[4:7], s[2:3], 0x4
	s_load_b64 s[8:9], s[2:3], 0xc4
	s_cmp_lt_u32 s26, 2
	s_waitcnt lgkmcnt(0)
	v_mul_hi_u32 v12, s5, v15
	s_delay_alu instid0(VALU_DEP_1) | instskip(NEXT) | instid1(VALU_DEP_1)
	v_add_nc_u32_e32 v12, v15, v12
	v_lshrrev_b32_e32 v17, s6, v12
	s_delay_alu instid0(VALU_DEP_1) | instskip(NEXT) | instid1(VALU_DEP_1)
	v_mul_lo_u32 v12, v17, s4
	v_sub_nc_u32_e32 v13, v15, v12
	s_delay_alu instid0(VALU_DEP_1)
	v_mul_lo_u32 v12, v13, s8
	v_mul_lo_u32 v13, v13, s9
	s_cbranch_scc1 .LBB527_107
; %bb.106:
	s_clause 0x1
	s_load_b128 s[4:7], s[2:3], 0x10
	s_load_b64 s[8:9], s[2:3], 0xcc
	s_waitcnt lgkmcnt(0)
	v_mul_hi_u32 v15, s5, v17
	s_delay_alu instid0(VALU_DEP_1) | instskip(NEXT) | instid1(VALU_DEP_1)
	v_add_nc_u32_e32 v15, v17, v15
	v_lshrrev_b32_e32 v15, s6, v15
	s_delay_alu instid0(VALU_DEP_1) | instskip(NEXT) | instid1(VALU_DEP_1)
	v_mul_lo_u32 v15, v15, s4
	v_sub_nc_u32_e32 v15, v17, v15
	s_delay_alu instid0(VALU_DEP_1) | instskip(SKIP_1) | instid1(VALU_DEP_1)
	v_mad_u64_u32 v[17:18], null, v15, s8, v[12:13]
	v_mad_u64_u32 v[18:19], null, v15, s9, v[13:14]
	v_dual_mov_b32 v12, v17 :: v_dual_mov_b32 v13, v18
.LBB527_107:
	v_cmp_ne_u32_e32 vcc_lo, 1, v14
	s_cbranch_vccnz .LBB527_113
; %bb.108:
	v_dual_mov_b32 v14, 0 :: v_dual_mov_b32 v15, 0
	s_cmp_lg_u32 s26, 0
	s_mov_b32 s8, 0
	s_cbranch_scc0 .LBB527_117
; %bb.109:
	s_min_u32 s9, s27, 15
	v_mov_b32_e32 v14, 0
	s_add_i32 s9, s9, 1
	s_cmp_eq_u32 s27, 2
	s_mov_b32 s10, 0
	s_cbranch_scc1 .LBB527_114
; %bb.110:
	v_dual_mov_b32 v15, 0 :: v_dual_mov_b32 v14, 0
	v_mov_b32_e32 v17, v16
	s_add_u32 s4, s2, 0xc4
	s_addc_u32 s5, s3, 0
	s_and_b32 s10, s9, 28
	s_mov_b32 s11, 0
	s_mov_b64 s[6:7], s[2:3]
.LBB527_111:                            ; =>This Inner Loop Header: Depth=1
	s_clause 0x1
	s_load_b256 s[12:19], s[6:7], 0x4
	s_load_b128 s[20:23], s[6:7], 0x24
	s_load_b256 s[36:43], s[4:5], 0x0
	s_add_u32 s6, s6, 48
	s_addc_u32 s7, s7, 0
	s_add_i32 s11, s11, 4
	s_add_u32 s4, s4, 32
	s_addc_u32 s5, s5, 0
	s_cmp_lg_u32 s10, s11
	s_waitcnt lgkmcnt(0)
	v_mul_hi_u32 v18, s13, v17
	s_delay_alu instid0(VALU_DEP_1) | instskip(NEXT) | instid1(VALU_DEP_1)
	v_add_nc_u32_e32 v18, v17, v18
	v_lshrrev_b32_e32 v18, s14, v18
	s_delay_alu instid0(VALU_DEP_1) | instskip(SKIP_1) | instid1(VALU_DEP_2)
	v_mul_hi_u32 v19, s16, v18
	v_mul_lo_u32 v21, v18, s12
	v_add_nc_u32_e32 v19, v18, v19
	s_delay_alu instid0(VALU_DEP_2) | instskip(NEXT) | instid1(VALU_DEP_2)
	v_sub_nc_u32_e32 v17, v17, v21
	v_lshrrev_b32_e32 v19, s17, v19
	s_delay_alu instid0(VALU_DEP_2) | instskip(SKIP_1) | instid1(VALU_DEP_3)
	v_mul_lo_u32 v21, v17, s36
	v_mul_lo_u32 v23, v17, s37
	v_mul_hi_u32 v20, s19, v19
	s_delay_alu instid0(VALU_DEP_1) | instskip(NEXT) | instid1(VALU_DEP_1)
	v_add_nc_u32_e32 v20, v19, v20
	v_lshrrev_b32_e32 v20, s20, v20
	s_delay_alu instid0(VALU_DEP_1) | instskip(SKIP_1) | instid1(VALU_DEP_2)
	v_mul_hi_u32 v22, s22, v20
	v_mul_lo_u32 v24, v20, s18
	v_add_nc_u32_e32 v17, v20, v22
	v_mul_lo_u32 v22, v19, s15
	s_delay_alu instid0(VALU_DEP_3) | instskip(NEXT) | instid1(VALU_DEP_3)
	v_sub_nc_u32_e32 v19, v19, v24
	v_lshrrev_b32_e32 v17, s23, v17
	s_delay_alu instid0(VALU_DEP_2) | instskip(SKIP_2) | instid1(VALU_DEP_4)
	v_mul_lo_u32 v24, v19, s40
	v_mul_lo_u32 v19, v19, s41
	v_sub_nc_u32_e32 v18, v18, v22
	v_mul_lo_u32 v25, v17, s21
	s_delay_alu instid0(VALU_DEP_2) | instskip(SKIP_1) | instid1(VALU_DEP_3)
	v_mul_lo_u32 v22, v18, s38
	v_mul_lo_u32 v18, v18, s39
	v_sub_nc_u32_e32 v20, v20, v25
	s_delay_alu instid0(VALU_DEP_3) | instskip(NEXT) | instid1(VALU_DEP_2)
	v_add3_u32 v14, v21, v14, v22
	v_mul_lo_u32 v25, v20, s42
	v_mul_lo_u32 v20, v20, s43
	v_add3_u32 v15, v23, v15, v18
	s_delay_alu instid0(VALU_DEP_3) | instskip(NEXT) | instid1(VALU_DEP_2)
	v_add3_u32 v14, v24, v14, v25
	v_add3_u32 v15, v19, v15, v20
	s_cbranch_scc1 .LBB527_111
; %bb.112:
	s_and_b32 s9, s9, 3
	s_delay_alu instid0(SALU_CYCLE_1)
	s_cmp_eq_u32 s9, 0
	s_cbranch_scc0 .LBB527_115
	s_branch .LBB527_117
.LBB527_113:
	s_mov_b32 s8, -1
                                        ; implicit-def: $vgpr14
                                        ; implicit-def: $vgpr15
	s_branch .LBB527_117
.LBB527_114:
	v_mov_b32_e32 v17, v16
	v_mov_b32_e32 v15, 0
	s_and_b32 s9, s9, 3
	s_delay_alu instid0(SALU_CYCLE_1)
	s_cmp_eq_u32 s9, 0
	s_cbranch_scc1 .LBB527_117
.LBB527_115:
	s_lshl_b32 s4, s10, 3
	s_mul_i32 s6, s10, 12
	s_add_u32 s4, s4, s2
	s_addc_u32 s5, 0, s3
	s_add_u32 s4, s4, 0xc4
	s_addc_u32 s5, s5, 0
	;; [unrolled: 2-line block ×3, first 2 shown]
	.p2align	6
.LBB527_116:                            ; =>This Inner Loop Header: Depth=1
	s_clause 0x1
	s_load_b64 s[10:11], s[6:7], 0x4
	s_load_b32 s14, s[6:7], 0xc
	s_load_b64 s[12:13], s[4:5], 0x0
	s_add_u32 s6, s6, 12
	s_addc_u32 s7, s7, 0
	s_add_u32 s4, s4, 8
	s_addc_u32 s5, s5, 0
	s_add_i32 s9, s9, -1
	s_delay_alu instid0(SALU_CYCLE_1) | instskip(SKIP_2) | instid1(VALU_DEP_1)
	s_cmp_lg_u32 s9, 0
	s_waitcnt lgkmcnt(0)
	v_mul_hi_u32 v18, s11, v17
	v_add_nc_u32_e32 v18, v17, v18
	s_delay_alu instid0(VALU_DEP_1) | instskip(NEXT) | instid1(VALU_DEP_1)
	v_lshrrev_b32_e32 v21, s14, v18
	v_mul_lo_u32 v18, v21, s10
	s_delay_alu instid0(VALU_DEP_1) | instskip(NEXT) | instid1(VALU_DEP_1)
	v_sub_nc_u32_e32 v17, v17, v18
	v_mad_u64_u32 v[18:19], null, v17, s12, v[14:15]
	v_mad_u64_u32 v[19:20], null, v17, s13, v[15:16]
	s_delay_alu instid0(VALU_DEP_2) | instskip(NEXT) | instid1(VALU_DEP_2)
	v_dual_mov_b32 v17, v21 :: v_dual_mov_b32 v14, v18
	v_mov_b32_e32 v15, v19
	s_cbranch_scc1 .LBB527_116
.LBB527_117:
	s_and_not1_b32 vcc_lo, exec_lo, s8
	s_cbranch_vccnz .LBB527_120
; %bb.118:
	s_clause 0x1
	s_load_b128 s[4:7], s[2:3], 0x4
	s_load_b64 s[8:9], s[2:3], 0xc4
	s_cmp_lt_u32 s26, 2
	s_waitcnt lgkmcnt(0)
	v_mul_hi_u32 v14, s5, v16
	s_delay_alu instid0(VALU_DEP_1) | instskip(NEXT) | instid1(VALU_DEP_1)
	v_add_nc_u32_e32 v14, v16, v14
	v_lshrrev_b32_e32 v17, s6, v14
	s_delay_alu instid0(VALU_DEP_1) | instskip(NEXT) | instid1(VALU_DEP_1)
	v_mul_lo_u32 v14, v17, s4
	v_sub_nc_u32_e32 v15, v16, v14
	s_delay_alu instid0(VALU_DEP_1)
	v_mul_lo_u32 v14, v15, s8
	v_mul_lo_u32 v15, v15, s9
	s_cbranch_scc1 .LBB527_120
; %bb.119:
	s_clause 0x1
	s_load_b128 s[4:7], s[2:3], 0x10
	s_load_b64 s[8:9], s[2:3], 0xcc
	s_waitcnt lgkmcnt(0)
	v_mul_hi_u32 v16, s5, v17
	s_delay_alu instid0(VALU_DEP_1) | instskip(NEXT) | instid1(VALU_DEP_1)
	v_add_nc_u32_e32 v16, v17, v16
	v_lshrrev_b32_e32 v16, s6, v16
	s_delay_alu instid0(VALU_DEP_1) | instskip(NEXT) | instid1(VALU_DEP_1)
	v_mul_lo_u32 v16, v16, s4
	v_sub_nc_u32_e32 v19, v17, v16
	s_delay_alu instid0(VALU_DEP_1) | instskip(NEXT) | instid1(VALU_DEP_1)
	v_mad_u64_u32 v[16:17], null, v19, s8, v[14:15]
	v_mad_u64_u32 v[17:18], null, v19, s9, v[15:16]
	s_delay_alu instid0(VALU_DEP_1)
	v_dual_mov_b32 v14, v16 :: v_dual_mov_b32 v15, v17
.LBB527_120:
	s_clause 0x1
	s_load_b128 s[4:7], s[2:3], 0x148
	s_load_b32 s8, s[2:3], 0x158
	s_mov_b32 s9, exec_lo
	s_waitcnt lgkmcnt(0)
	global_load_u16 v16, v1, s[6:7]
	v_mov_b32_e32 v1, s8
	s_waitcnt vmcnt(0)
	v_cmpx_o_f16_e32 v16, v16
	s_cbranch_execz .LBB527_124
; %bb.121:
	s_load_b32 s10, s[0:1], 0x160
	s_waitcnt lgkmcnt(0)
	s_lshr_b32 s10, s10, 16
	s_delay_alu instid0(SALU_CYCLE_1)
	v_mov_b32_e32 v1, s10
	s_mov_b32 s10, exec_lo
	v_cmpx_neq_f16_e32 0x7c00, v16
	s_cbranch_execz .LBB527_123
; %bb.122:
	s_load_b32 s11, s[2:3], 0x15c
	v_cmp_eq_f16_e32 vcc_lo, 0xfc00, v16
	s_waitcnt lgkmcnt(0)
	v_cndmask_b32_e64 v1, v16, s11, vcc_lo
.LBB527_123:
	s_or_b32 exec_lo, exec_lo, s10
.LBB527_124:
	s_delay_alu instid0(SALU_CYCLE_1)
	s_or_b32 exec_lo, exec_lo, s9
	global_load_u16 v16, v3, s[6:7]
	v_mov_b32_e32 v3, s8
	s_mov_b32 s9, exec_lo
	s_waitcnt vmcnt(0)
	v_cmpx_o_f16_e32 v16, v16
	s_cbranch_execz .LBB527_128
; %bb.125:
	s_load_b32 s10, s[0:1], 0x160
	s_waitcnt lgkmcnt(0)
	s_lshr_b32 s10, s10, 16
	s_delay_alu instid0(SALU_CYCLE_1)
	v_mov_b32_e32 v3, s10
	s_mov_b32 s10, exec_lo
	v_cmpx_neq_f16_e32 0x7c00, v16
	s_cbranch_execz .LBB527_127
; %bb.126:
	s_load_b32 s11, s[2:3], 0x15c
	v_cmp_eq_f16_e32 vcc_lo, 0xfc00, v16
	s_waitcnt lgkmcnt(0)
	v_cndmask_b32_e64 v3, v16, s11, vcc_lo
.LBB527_127:
	s_or_b32 exec_lo, exec_lo, s10
.LBB527_128:
	s_delay_alu instid0(SALU_CYCLE_1)
	s_or_b32 exec_lo, exec_lo, s9
	global_load_u16 v16, v5, s[6:7]
	v_mov_b32_e32 v5, s8
	s_mov_b32 s9, exec_lo
	;; [unrolled: 25-line block ×7, first 2 shown]
	s_waitcnt vmcnt(0)
	v_cmpx_o_f16_e32 v16, v16
	s_cbranch_execz .LBB527_152
; %bb.149:
	s_load_b32 s0, s[0:1], 0x160
	s_waitcnt lgkmcnt(0)
	s_lshr_b32 s0, s0, 16
	s_delay_alu instid0(SALU_CYCLE_1)
	v_mov_b32_e32 v15, s0
	s_mov_b32 s0, exec_lo
	v_cmpx_neq_f16_e32 0x7c00, v16
	s_cbranch_execz .LBB527_151
; %bb.150:
	s_load_b32 s1, s[2:3], 0x15c
	v_cmp_eq_f16_e32 vcc_lo, 0xfc00, v16
	s_waitcnt lgkmcnt(0)
	v_cndmask_b32_e64 v15, v16, s1, vcc_lo
.LBB527_151:
	s_or_b32 exec_lo, exec_lo, s0
.LBB527_152:
	s_delay_alu instid0(SALU_CYCLE_1)
	s_or_b32 exec_lo, exec_lo, s6
	s_clause 0x7
	global_store_b16 v0, v1, s[4:5]
	global_store_b16 v2, v3, s[4:5]
	;; [unrolled: 1-line block ×8, first 2 shown]
	s_nop 0
	s_sendmsg sendmsg(MSG_DEALLOC_VGPRS)
	s_endpgm
.LBB527_153:
	v_dual_mov_b32 v2, v12 :: v_dual_mov_b32 v1, 0
.LBB527_154:
	s_and_b32 s39, s39, 3
	s_delay_alu instid0(SALU_CYCLE_1)
	s_cmp_eq_u32 s39, 0
	s_cbranch_scc1 .LBB527_157
; %bb.155:
	s_lshl_b32 s22, s38, 3
	s_mul_i32 s24, s38, 12
	s_add_u32 s22, s22, s2
	s_addc_u32 s23, s3, 0
	s_add_u32 s22, s22, 0xc4
	s_addc_u32 s23, s23, 0
	;; [unrolled: 2-line block ×3, first 2 shown]
	.p2align	6
.LBB527_156:                            ; =>This Inner Loop Header: Depth=1
	s_clause 0x1
	s_load_b64 s[40:41], s[24:25], 0x4
	s_load_b32 s38, s[24:25], 0xc
	s_load_b64 s[42:43], s[22:23], 0x0
	s_add_u32 s24, s24, 12
	s_addc_u32 s25, s25, 0
	s_add_u32 s22, s22, 8
	s_addc_u32 s23, s23, 0
	s_add_i32 s39, s39, -1
	s_delay_alu instid0(SALU_CYCLE_1) | instskip(SKIP_2) | instid1(VALU_DEP_1)
	s_cmp_lg_u32 s39, 0
	s_waitcnt lgkmcnt(0)
	v_mul_hi_u32 v3, s41, v2
	v_add_nc_u32_e32 v3, v2, v3
	s_delay_alu instid0(VALU_DEP_1) | instskip(NEXT) | instid1(VALU_DEP_1)
	v_lshrrev_b32_e32 v6, s38, v3
	v_mul_lo_u32 v3, v6, s40
	s_delay_alu instid0(VALU_DEP_1) | instskip(NEXT) | instid1(VALU_DEP_1)
	v_sub_nc_u32_e32 v2, v2, v3
	v_mad_u64_u32 v[3:4], null, v2, s42, v[0:1]
	v_mad_u64_u32 v[4:5], null, v2, s43, v[1:2]
	v_mov_b32_e32 v2, v6
	s_delay_alu instid0(VALU_DEP_2)
	v_dual_mov_b32 v0, v3 :: v_dual_mov_b32 v1, v4
	s_cbranch_scc1 .LBB527_156
.LBB527_157:
	s_and_not1_b32 vcc_lo, exec_lo, s37
	s_cbranch_vccnz .LBB527_160
; %bb.158:
	v_mul_hi_u32 v0, s9, v12
	s_and_not1_b32 vcc_lo, exec_lo, s31
	s_delay_alu instid0(VALU_DEP_1) | instskip(NEXT) | instid1(VALU_DEP_1)
	v_add_nc_u32_e32 v0, v12, v0
	v_lshrrev_b32_e32 v2, s10, v0
	s_delay_alu instid0(VALU_DEP_1) | instskip(NEXT) | instid1(VALU_DEP_1)
	v_mul_lo_u32 v0, v2, s8
	v_sub_nc_u32_e32 v1, v12, v0
	s_delay_alu instid0(VALU_DEP_1)
	v_mul_lo_u32 v0, v1, s12
	v_mul_lo_u32 v1, v1, s13
	s_cbranch_vccnz .LBB527_160
; %bb.159:
	v_mul_hi_u32 v3, s18, v2
	s_delay_alu instid0(VALU_DEP_1) | instskip(NEXT) | instid1(VALU_DEP_1)
	v_add_nc_u32_e32 v3, v2, v3
	v_lshrrev_b32_e32 v3, s19, v3
	s_delay_alu instid0(VALU_DEP_1) | instskip(NEXT) | instid1(VALU_DEP_1)
	v_mul_lo_u32 v3, v3, s11
	v_sub_nc_u32_e32 v5, v2, v3
	s_delay_alu instid0(VALU_DEP_1) | instskip(NEXT) | instid1(VALU_DEP_1)
	v_mad_u64_u32 v[2:3], null, v5, s14, v[0:1]
	v_mad_u64_u32 v[3:4], null, v5, s15, v[1:2]
	s_delay_alu instid0(VALU_DEP_1)
	v_dual_mov_b32 v0, v2 :: v_dual_mov_b32 v1, v3
.LBB527_160:
	global_load_u16 v2, v1, s[6:7]
	v_mov_b32_e32 v1, s16
	s_mov_b32 s22, exec_lo
	s_waitcnt vmcnt(0)
	v_cmpx_o_f16_e32 v2, v2
	s_cbranch_execz .LBB527_164
; %bb.161:
	v_mov_b32_e32 v1, s30
	s_mov_b32 s23, exec_lo
	v_cmpx_neq_f16_e32 0x7c00, v2
; %bb.162:
	v_cmp_eq_f16_e32 vcc_lo, 0xfc00, v2
	v_cndmask_b32_e64 v1, v2, s17, vcc_lo
; %bb.163:
	s_or_b32 exec_lo, exec_lo, s23
.LBB527_164:
	s_delay_alu instid0(SALU_CYCLE_1) | instskip(SKIP_3) | instid1(SALU_CYCLE_1)
	s_or_b32 exec_lo, exec_lo, s22
	v_add_nc_u32_e32 v12, 0x80, v12
	global_store_b16 v0, v1, s[4:5]
	s_or_b32 exec_lo, exec_lo, s36
	s_mov_b32 s36, exec_lo
	v_cmpx_gt_i32_e64 s33, v12
	s_cbranch_execnz .LBB527_15
.LBB527_165:
	s_or_b32 exec_lo, exec_lo, s36
	s_delay_alu instid0(SALU_CYCLE_1)
	s_mov_b32 s36, exec_lo
	v_cmpx_gt_i32_e64 s33, v12
	s_cbranch_execz .LBB527_184
.LBB527_166:
	s_and_not1_b32 vcc_lo, exec_lo, s28
	s_cbranch_vccnz .LBB527_171
; %bb.167:
	v_dual_mov_b32 v0, 0 :: v_dual_mov_b32 v1, 0
	s_and_not1_b32 vcc_lo, exec_lo, s35
	s_mov_b32 s37, 0
	s_cbranch_vccnz .LBB527_195
; %bb.168:
	v_mov_b32_e32 v0, 0
	s_add_i32 s39, s34, 1
	s_cmp_eq_u32 s27, 2
	s_mov_b32 s38, 0
	s_cbranch_scc1 .LBB527_191
; %bb.169:
	v_dual_mov_b32 v1, 0 :: v_dual_mov_b32 v0, 0
	v_mov_b32_e32 v2, v12
	s_and_b32 s38, s39, 28
	s_mov_b32 s40, 0
	s_mov_b64 s[22:23], s[20:21]
	s_mov_b64 s[24:25], s[2:3]
.LBB527_170:                            ; =>This Inner Loop Header: Depth=1
	s_clause 0x1
	s_load_b256 s[44:51], s[24:25], 0x4
	s_load_b128 s[60:63], s[24:25], 0x24
	s_load_b256 s[52:59], s[22:23], 0x0
	s_add_u32 s24, s24, 48
	s_addc_u32 s25, s25, 0
	s_add_i32 s40, s40, 4
	s_add_u32 s22, s22, 32
	s_addc_u32 s23, s23, 0
	s_cmp_eq_u32 s38, s40
	s_waitcnt lgkmcnt(0)
	v_mul_hi_u32 v3, s45, v2
	s_delay_alu instid0(VALU_DEP_1) | instskip(NEXT) | instid1(VALU_DEP_1)
	v_add_nc_u32_e32 v3, v2, v3
	v_lshrrev_b32_e32 v3, s46, v3
	s_delay_alu instid0(VALU_DEP_1) | instskip(SKIP_1) | instid1(VALU_DEP_2)
	v_mul_hi_u32 v4, s48, v3
	v_mul_lo_u32 v6, v3, s44
	v_add_nc_u32_e32 v4, v3, v4
	s_delay_alu instid0(VALU_DEP_2) | instskip(NEXT) | instid1(VALU_DEP_2)
	v_sub_nc_u32_e32 v2, v2, v6
	v_lshrrev_b32_e32 v4, s49, v4
	s_delay_alu instid0(VALU_DEP_2) | instskip(SKIP_1) | instid1(VALU_DEP_3)
	v_mul_lo_u32 v6, v2, s52
	v_mul_lo_u32 v8, v2, s53
	v_mul_hi_u32 v5, s51, v4
	s_delay_alu instid0(VALU_DEP_1) | instskip(NEXT) | instid1(VALU_DEP_1)
	v_add_nc_u32_e32 v5, v4, v5
	v_lshrrev_b32_e32 v5, s60, v5
	s_delay_alu instid0(VALU_DEP_1) | instskip(SKIP_1) | instid1(VALU_DEP_2)
	v_mul_hi_u32 v7, s62, v5
	v_mul_lo_u32 v9, v5, s50
	v_add_nc_u32_e32 v2, v5, v7
	v_mul_lo_u32 v7, v4, s47
	s_delay_alu instid0(VALU_DEP_3) | instskip(NEXT) | instid1(VALU_DEP_3)
	v_sub_nc_u32_e32 v4, v4, v9
	v_lshrrev_b32_e32 v2, s63, v2
	s_delay_alu instid0(VALU_DEP_2) | instskip(SKIP_2) | instid1(VALU_DEP_4)
	v_mul_lo_u32 v9, v4, s56
	v_mul_lo_u32 v4, v4, s57
	v_sub_nc_u32_e32 v3, v3, v7
	v_mul_lo_u32 v10, v2, s61
	s_delay_alu instid0(VALU_DEP_2) | instskip(SKIP_1) | instid1(VALU_DEP_3)
	v_mul_lo_u32 v7, v3, s54
	v_mul_lo_u32 v3, v3, s55
	v_sub_nc_u32_e32 v5, v5, v10
	s_delay_alu instid0(VALU_DEP_3) | instskip(NEXT) | instid1(VALU_DEP_2)
	v_add3_u32 v0, v6, v0, v7
	v_mul_lo_u32 v10, v5, s58
	v_mul_lo_u32 v5, v5, s59
	v_add3_u32 v1, v8, v1, v3
	s_delay_alu instid0(VALU_DEP_3) | instskip(NEXT) | instid1(VALU_DEP_2)
	v_add3_u32 v0, v9, v0, v10
	v_add3_u32 v1, v4, v1, v5
	s_cbranch_scc0 .LBB527_170
	s_branch .LBB527_192
.LBB527_171:
	s_mov_b32 s37, -1
                                        ; implicit-def: $vgpr0
                                        ; implicit-def: $vgpr1
	s_branch .LBB527_195
.LBB527_172:
	v_dual_mov_b32 v2, v12 :: v_dual_mov_b32 v1, 0
.LBB527_173:
	s_and_b32 s39, s39, 3
	s_delay_alu instid0(SALU_CYCLE_1)
	s_cmp_eq_u32 s39, 0
	s_cbranch_scc1 .LBB527_176
; %bb.174:
	s_lshl_b32 s22, s38, 3
	s_mul_i32 s24, s38, 12
	s_add_u32 s22, s22, s2
	s_addc_u32 s23, s3, 0
	s_add_u32 s22, s22, 0xc4
	s_addc_u32 s23, s23, 0
	;; [unrolled: 2-line block ×3, first 2 shown]
	.p2align	6
.LBB527_175:                            ; =>This Inner Loop Header: Depth=1
	s_clause 0x1
	s_load_b64 s[40:41], s[24:25], 0x4
	s_load_b32 s38, s[24:25], 0xc
	s_load_b64 s[42:43], s[22:23], 0x0
	s_add_u32 s24, s24, 12
	s_addc_u32 s25, s25, 0
	s_add_u32 s22, s22, 8
	s_addc_u32 s23, s23, 0
	s_add_i32 s39, s39, -1
	s_delay_alu instid0(SALU_CYCLE_1) | instskip(SKIP_2) | instid1(VALU_DEP_1)
	s_cmp_lg_u32 s39, 0
	s_waitcnt lgkmcnt(0)
	v_mul_hi_u32 v3, s41, v2
	v_add_nc_u32_e32 v3, v2, v3
	s_delay_alu instid0(VALU_DEP_1) | instskip(NEXT) | instid1(VALU_DEP_1)
	v_lshrrev_b32_e32 v6, s38, v3
	v_mul_lo_u32 v3, v6, s40
	s_delay_alu instid0(VALU_DEP_1) | instskip(NEXT) | instid1(VALU_DEP_1)
	v_sub_nc_u32_e32 v2, v2, v3
	v_mad_u64_u32 v[3:4], null, v2, s42, v[0:1]
	v_mad_u64_u32 v[4:5], null, v2, s43, v[1:2]
	v_mov_b32_e32 v2, v6
	s_delay_alu instid0(VALU_DEP_2)
	v_dual_mov_b32 v0, v3 :: v_dual_mov_b32 v1, v4
	s_cbranch_scc1 .LBB527_175
.LBB527_176:
	s_and_not1_b32 vcc_lo, exec_lo, s37
	s_cbranch_vccnz .LBB527_179
; %bb.177:
	v_mul_hi_u32 v0, s9, v12
	s_and_not1_b32 vcc_lo, exec_lo, s31
	s_delay_alu instid0(VALU_DEP_1) | instskip(NEXT) | instid1(VALU_DEP_1)
	v_add_nc_u32_e32 v0, v12, v0
	v_lshrrev_b32_e32 v2, s10, v0
	s_delay_alu instid0(VALU_DEP_1) | instskip(NEXT) | instid1(VALU_DEP_1)
	v_mul_lo_u32 v0, v2, s8
	v_sub_nc_u32_e32 v1, v12, v0
	s_delay_alu instid0(VALU_DEP_1)
	v_mul_lo_u32 v0, v1, s12
	v_mul_lo_u32 v1, v1, s13
	s_cbranch_vccnz .LBB527_179
; %bb.178:
	v_mul_hi_u32 v3, s18, v2
	s_delay_alu instid0(VALU_DEP_1) | instskip(NEXT) | instid1(VALU_DEP_1)
	v_add_nc_u32_e32 v3, v2, v3
	v_lshrrev_b32_e32 v3, s19, v3
	s_delay_alu instid0(VALU_DEP_1) | instskip(NEXT) | instid1(VALU_DEP_1)
	v_mul_lo_u32 v3, v3, s11
	v_sub_nc_u32_e32 v5, v2, v3
	s_delay_alu instid0(VALU_DEP_1) | instskip(NEXT) | instid1(VALU_DEP_1)
	v_mad_u64_u32 v[2:3], null, v5, s14, v[0:1]
	v_mad_u64_u32 v[3:4], null, v5, s15, v[1:2]
	s_delay_alu instid0(VALU_DEP_1)
	v_dual_mov_b32 v0, v2 :: v_dual_mov_b32 v1, v3
.LBB527_179:
	global_load_u16 v2, v1, s[6:7]
	v_mov_b32_e32 v1, s16
	s_mov_b32 s22, exec_lo
	s_waitcnt vmcnt(0)
	v_cmpx_o_f16_e32 v2, v2
	s_cbranch_execz .LBB527_183
; %bb.180:
	v_mov_b32_e32 v1, s30
	s_mov_b32 s23, exec_lo
	v_cmpx_neq_f16_e32 0x7c00, v2
; %bb.181:
	v_cmp_eq_f16_e32 vcc_lo, 0xfc00, v2
	v_cndmask_b32_e64 v1, v2, s17, vcc_lo
; %bb.182:
	s_or_b32 exec_lo, exec_lo, s23
.LBB527_183:
	s_delay_alu instid0(SALU_CYCLE_1) | instskip(SKIP_3) | instid1(SALU_CYCLE_1)
	s_or_b32 exec_lo, exec_lo, s22
	v_add_nc_u32_e32 v12, 0x80, v12
	global_store_b16 v0, v1, s[4:5]
	s_or_b32 exec_lo, exec_lo, s36
	s_mov_b32 s36, exec_lo
	v_cmpx_gt_i32_e64 s33, v12
	s_cbranch_execnz .LBB527_166
.LBB527_184:
	s_or_b32 exec_lo, exec_lo, s36
	s_delay_alu instid0(SALU_CYCLE_1)
	s_mov_b32 s36, exec_lo
	v_cmpx_gt_i32_e64 s33, v12
	s_cbranch_execz .LBB527_203
.LBB527_185:
	s_and_not1_b32 vcc_lo, exec_lo, s28
	s_cbranch_vccnz .LBB527_190
; %bb.186:
	v_dual_mov_b32 v0, 0 :: v_dual_mov_b32 v1, 0
	s_and_not1_b32 vcc_lo, exec_lo, s35
	s_mov_b32 s37, 0
	s_cbranch_vccnz .LBB527_214
; %bb.187:
	v_mov_b32_e32 v0, 0
	s_add_i32 s39, s34, 1
	s_cmp_eq_u32 s27, 2
	s_mov_b32 s38, 0
	s_cbranch_scc1 .LBB527_210
; %bb.188:
	v_dual_mov_b32 v1, 0 :: v_dual_mov_b32 v0, 0
	v_mov_b32_e32 v2, v12
	s_and_b32 s38, s39, 28
	s_mov_b32 s40, 0
	s_mov_b64 s[22:23], s[20:21]
	s_mov_b64 s[24:25], s[2:3]
.LBB527_189:                            ; =>This Inner Loop Header: Depth=1
	s_clause 0x1
	s_load_b256 s[44:51], s[24:25], 0x4
	s_load_b128 s[60:63], s[24:25], 0x24
	s_load_b256 s[52:59], s[22:23], 0x0
	s_add_u32 s24, s24, 48
	s_addc_u32 s25, s25, 0
	s_add_i32 s40, s40, 4
	s_add_u32 s22, s22, 32
	s_addc_u32 s23, s23, 0
	s_cmp_eq_u32 s38, s40
	s_waitcnt lgkmcnt(0)
	v_mul_hi_u32 v3, s45, v2
	s_delay_alu instid0(VALU_DEP_1) | instskip(NEXT) | instid1(VALU_DEP_1)
	v_add_nc_u32_e32 v3, v2, v3
	v_lshrrev_b32_e32 v3, s46, v3
	s_delay_alu instid0(VALU_DEP_1) | instskip(SKIP_1) | instid1(VALU_DEP_2)
	v_mul_hi_u32 v4, s48, v3
	v_mul_lo_u32 v6, v3, s44
	v_add_nc_u32_e32 v4, v3, v4
	s_delay_alu instid0(VALU_DEP_2) | instskip(NEXT) | instid1(VALU_DEP_2)
	v_sub_nc_u32_e32 v2, v2, v6
	v_lshrrev_b32_e32 v4, s49, v4
	s_delay_alu instid0(VALU_DEP_2) | instskip(SKIP_1) | instid1(VALU_DEP_3)
	v_mul_lo_u32 v6, v2, s52
	v_mul_lo_u32 v8, v2, s53
	v_mul_hi_u32 v5, s51, v4
	s_delay_alu instid0(VALU_DEP_1) | instskip(NEXT) | instid1(VALU_DEP_1)
	v_add_nc_u32_e32 v5, v4, v5
	v_lshrrev_b32_e32 v5, s60, v5
	s_delay_alu instid0(VALU_DEP_1) | instskip(SKIP_1) | instid1(VALU_DEP_2)
	v_mul_hi_u32 v7, s62, v5
	v_mul_lo_u32 v9, v5, s50
	v_add_nc_u32_e32 v2, v5, v7
	v_mul_lo_u32 v7, v4, s47
	s_delay_alu instid0(VALU_DEP_3) | instskip(NEXT) | instid1(VALU_DEP_3)
	v_sub_nc_u32_e32 v4, v4, v9
	v_lshrrev_b32_e32 v2, s63, v2
	s_delay_alu instid0(VALU_DEP_2) | instskip(SKIP_2) | instid1(VALU_DEP_4)
	v_mul_lo_u32 v9, v4, s56
	v_mul_lo_u32 v4, v4, s57
	v_sub_nc_u32_e32 v3, v3, v7
	v_mul_lo_u32 v10, v2, s61
	s_delay_alu instid0(VALU_DEP_2) | instskip(SKIP_1) | instid1(VALU_DEP_3)
	v_mul_lo_u32 v7, v3, s54
	v_mul_lo_u32 v3, v3, s55
	v_sub_nc_u32_e32 v5, v5, v10
	s_delay_alu instid0(VALU_DEP_3) | instskip(NEXT) | instid1(VALU_DEP_2)
	v_add3_u32 v0, v6, v0, v7
	v_mul_lo_u32 v10, v5, s58
	v_mul_lo_u32 v5, v5, s59
	v_add3_u32 v1, v8, v1, v3
	s_delay_alu instid0(VALU_DEP_3) | instskip(NEXT) | instid1(VALU_DEP_2)
	v_add3_u32 v0, v9, v0, v10
	v_add3_u32 v1, v4, v1, v5
	s_cbranch_scc0 .LBB527_189
	s_branch .LBB527_211
.LBB527_190:
	s_mov_b32 s37, -1
                                        ; implicit-def: $vgpr0
                                        ; implicit-def: $vgpr1
	s_branch .LBB527_214
.LBB527_191:
	v_dual_mov_b32 v2, v12 :: v_dual_mov_b32 v1, 0
.LBB527_192:
	s_and_b32 s39, s39, 3
	s_delay_alu instid0(SALU_CYCLE_1)
	s_cmp_eq_u32 s39, 0
	s_cbranch_scc1 .LBB527_195
; %bb.193:
	s_lshl_b32 s22, s38, 3
	s_mul_i32 s24, s38, 12
	s_add_u32 s22, s22, s2
	s_addc_u32 s23, s3, 0
	s_add_u32 s22, s22, 0xc4
	s_addc_u32 s23, s23, 0
	;; [unrolled: 2-line block ×3, first 2 shown]
	.p2align	6
.LBB527_194:                            ; =>This Inner Loop Header: Depth=1
	s_clause 0x1
	s_load_b64 s[40:41], s[24:25], 0x4
	s_load_b32 s38, s[24:25], 0xc
	s_load_b64 s[42:43], s[22:23], 0x0
	s_add_u32 s24, s24, 12
	s_addc_u32 s25, s25, 0
	s_add_u32 s22, s22, 8
	s_addc_u32 s23, s23, 0
	s_add_i32 s39, s39, -1
	s_delay_alu instid0(SALU_CYCLE_1) | instskip(SKIP_2) | instid1(VALU_DEP_1)
	s_cmp_lg_u32 s39, 0
	s_waitcnt lgkmcnt(0)
	v_mul_hi_u32 v3, s41, v2
	v_add_nc_u32_e32 v3, v2, v3
	s_delay_alu instid0(VALU_DEP_1) | instskip(NEXT) | instid1(VALU_DEP_1)
	v_lshrrev_b32_e32 v6, s38, v3
	v_mul_lo_u32 v3, v6, s40
	s_delay_alu instid0(VALU_DEP_1) | instskip(NEXT) | instid1(VALU_DEP_1)
	v_sub_nc_u32_e32 v2, v2, v3
	v_mad_u64_u32 v[3:4], null, v2, s42, v[0:1]
	v_mad_u64_u32 v[4:5], null, v2, s43, v[1:2]
	v_mov_b32_e32 v2, v6
	s_delay_alu instid0(VALU_DEP_2)
	v_dual_mov_b32 v0, v3 :: v_dual_mov_b32 v1, v4
	s_cbranch_scc1 .LBB527_194
.LBB527_195:
	s_and_not1_b32 vcc_lo, exec_lo, s37
	s_cbranch_vccnz .LBB527_198
; %bb.196:
	v_mul_hi_u32 v0, s9, v12
	s_and_not1_b32 vcc_lo, exec_lo, s31
	s_delay_alu instid0(VALU_DEP_1) | instskip(NEXT) | instid1(VALU_DEP_1)
	v_add_nc_u32_e32 v0, v12, v0
	v_lshrrev_b32_e32 v2, s10, v0
	s_delay_alu instid0(VALU_DEP_1) | instskip(NEXT) | instid1(VALU_DEP_1)
	v_mul_lo_u32 v0, v2, s8
	v_sub_nc_u32_e32 v1, v12, v0
	s_delay_alu instid0(VALU_DEP_1)
	v_mul_lo_u32 v0, v1, s12
	v_mul_lo_u32 v1, v1, s13
	s_cbranch_vccnz .LBB527_198
; %bb.197:
	v_mul_hi_u32 v3, s18, v2
	s_delay_alu instid0(VALU_DEP_1) | instskip(NEXT) | instid1(VALU_DEP_1)
	v_add_nc_u32_e32 v3, v2, v3
	v_lshrrev_b32_e32 v3, s19, v3
	s_delay_alu instid0(VALU_DEP_1) | instskip(NEXT) | instid1(VALU_DEP_1)
	v_mul_lo_u32 v3, v3, s11
	v_sub_nc_u32_e32 v5, v2, v3
	s_delay_alu instid0(VALU_DEP_1) | instskip(NEXT) | instid1(VALU_DEP_1)
	v_mad_u64_u32 v[2:3], null, v5, s14, v[0:1]
	v_mad_u64_u32 v[3:4], null, v5, s15, v[1:2]
	s_delay_alu instid0(VALU_DEP_1)
	v_dual_mov_b32 v0, v2 :: v_dual_mov_b32 v1, v3
.LBB527_198:
	global_load_u16 v2, v1, s[6:7]
	v_mov_b32_e32 v1, s16
	s_mov_b32 s22, exec_lo
	s_waitcnt vmcnt(0)
	v_cmpx_o_f16_e32 v2, v2
	s_cbranch_execz .LBB527_202
; %bb.199:
	v_mov_b32_e32 v1, s30
	s_mov_b32 s23, exec_lo
	v_cmpx_neq_f16_e32 0x7c00, v2
; %bb.200:
	v_cmp_eq_f16_e32 vcc_lo, 0xfc00, v2
	v_cndmask_b32_e64 v1, v2, s17, vcc_lo
; %bb.201:
	s_or_b32 exec_lo, exec_lo, s23
.LBB527_202:
	s_delay_alu instid0(SALU_CYCLE_1) | instskip(SKIP_3) | instid1(SALU_CYCLE_1)
	s_or_b32 exec_lo, exec_lo, s22
	v_add_nc_u32_e32 v12, 0x80, v12
	global_store_b16 v0, v1, s[4:5]
	s_or_b32 exec_lo, exec_lo, s36
	s_mov_b32 s36, exec_lo
	v_cmpx_gt_i32_e64 s33, v12
	s_cbranch_execnz .LBB527_185
.LBB527_203:
	s_or_b32 exec_lo, exec_lo, s36
	s_delay_alu instid0(SALU_CYCLE_1)
	s_mov_b32 s36, exec_lo
	v_cmpx_gt_i32_e64 s33, v12
	s_cbranch_execz .LBB527_222
.LBB527_204:
	s_and_not1_b32 vcc_lo, exec_lo, s28
	s_cbranch_vccnz .LBB527_209
; %bb.205:
	v_dual_mov_b32 v0, 0 :: v_dual_mov_b32 v1, 0
	s_and_not1_b32 vcc_lo, exec_lo, s35
	s_mov_b32 s37, 0
	s_cbranch_vccnz .LBB527_233
; %bb.206:
	v_mov_b32_e32 v0, 0
	s_add_i32 s39, s34, 1
	s_cmp_eq_u32 s27, 2
	s_mov_b32 s38, 0
	s_cbranch_scc1 .LBB527_229
; %bb.207:
	v_dual_mov_b32 v1, 0 :: v_dual_mov_b32 v0, 0
	v_mov_b32_e32 v2, v12
	s_and_b32 s38, s39, 28
	s_mov_b32 s40, 0
	s_mov_b64 s[22:23], s[20:21]
	s_mov_b64 s[24:25], s[2:3]
.LBB527_208:                            ; =>This Inner Loop Header: Depth=1
	s_clause 0x1
	s_load_b256 s[44:51], s[24:25], 0x4
	s_load_b128 s[60:63], s[24:25], 0x24
	s_load_b256 s[52:59], s[22:23], 0x0
	s_add_u32 s24, s24, 48
	s_addc_u32 s25, s25, 0
	s_add_i32 s40, s40, 4
	s_add_u32 s22, s22, 32
	s_addc_u32 s23, s23, 0
	s_cmp_eq_u32 s38, s40
	s_waitcnt lgkmcnt(0)
	v_mul_hi_u32 v3, s45, v2
	s_delay_alu instid0(VALU_DEP_1) | instskip(NEXT) | instid1(VALU_DEP_1)
	v_add_nc_u32_e32 v3, v2, v3
	v_lshrrev_b32_e32 v3, s46, v3
	s_delay_alu instid0(VALU_DEP_1) | instskip(SKIP_1) | instid1(VALU_DEP_2)
	v_mul_hi_u32 v4, s48, v3
	v_mul_lo_u32 v6, v3, s44
	v_add_nc_u32_e32 v4, v3, v4
	s_delay_alu instid0(VALU_DEP_2) | instskip(NEXT) | instid1(VALU_DEP_2)
	v_sub_nc_u32_e32 v2, v2, v6
	v_lshrrev_b32_e32 v4, s49, v4
	s_delay_alu instid0(VALU_DEP_2) | instskip(SKIP_1) | instid1(VALU_DEP_3)
	v_mul_lo_u32 v6, v2, s52
	v_mul_lo_u32 v8, v2, s53
	v_mul_hi_u32 v5, s51, v4
	s_delay_alu instid0(VALU_DEP_1) | instskip(NEXT) | instid1(VALU_DEP_1)
	v_add_nc_u32_e32 v5, v4, v5
	v_lshrrev_b32_e32 v5, s60, v5
	s_delay_alu instid0(VALU_DEP_1) | instskip(SKIP_1) | instid1(VALU_DEP_2)
	v_mul_hi_u32 v7, s62, v5
	v_mul_lo_u32 v9, v5, s50
	v_add_nc_u32_e32 v2, v5, v7
	v_mul_lo_u32 v7, v4, s47
	s_delay_alu instid0(VALU_DEP_3) | instskip(NEXT) | instid1(VALU_DEP_3)
	v_sub_nc_u32_e32 v4, v4, v9
	v_lshrrev_b32_e32 v2, s63, v2
	s_delay_alu instid0(VALU_DEP_2) | instskip(SKIP_2) | instid1(VALU_DEP_4)
	v_mul_lo_u32 v9, v4, s56
	v_mul_lo_u32 v4, v4, s57
	v_sub_nc_u32_e32 v3, v3, v7
	v_mul_lo_u32 v10, v2, s61
	s_delay_alu instid0(VALU_DEP_2) | instskip(SKIP_1) | instid1(VALU_DEP_3)
	v_mul_lo_u32 v7, v3, s54
	v_mul_lo_u32 v3, v3, s55
	v_sub_nc_u32_e32 v5, v5, v10
	s_delay_alu instid0(VALU_DEP_3) | instskip(NEXT) | instid1(VALU_DEP_2)
	v_add3_u32 v0, v6, v0, v7
	v_mul_lo_u32 v10, v5, s58
	v_mul_lo_u32 v5, v5, s59
	v_add3_u32 v1, v8, v1, v3
	s_delay_alu instid0(VALU_DEP_3) | instskip(NEXT) | instid1(VALU_DEP_2)
	v_add3_u32 v0, v9, v0, v10
	v_add3_u32 v1, v4, v1, v5
	s_cbranch_scc0 .LBB527_208
	s_branch .LBB527_230
.LBB527_209:
	s_mov_b32 s37, -1
                                        ; implicit-def: $vgpr0
                                        ; implicit-def: $vgpr1
	s_branch .LBB527_233
.LBB527_210:
	v_dual_mov_b32 v2, v12 :: v_dual_mov_b32 v1, 0
.LBB527_211:
	s_and_b32 s39, s39, 3
	s_delay_alu instid0(SALU_CYCLE_1)
	s_cmp_eq_u32 s39, 0
	s_cbranch_scc1 .LBB527_214
; %bb.212:
	s_lshl_b32 s22, s38, 3
	s_mul_i32 s24, s38, 12
	s_add_u32 s22, s22, s2
	s_addc_u32 s23, s3, 0
	s_add_u32 s22, s22, 0xc4
	s_addc_u32 s23, s23, 0
	;; [unrolled: 2-line block ×3, first 2 shown]
	.p2align	6
.LBB527_213:                            ; =>This Inner Loop Header: Depth=1
	s_clause 0x1
	s_load_b64 s[40:41], s[24:25], 0x4
	s_load_b32 s38, s[24:25], 0xc
	s_load_b64 s[42:43], s[22:23], 0x0
	s_add_u32 s24, s24, 12
	s_addc_u32 s25, s25, 0
	s_add_u32 s22, s22, 8
	s_addc_u32 s23, s23, 0
	s_add_i32 s39, s39, -1
	s_delay_alu instid0(SALU_CYCLE_1) | instskip(SKIP_2) | instid1(VALU_DEP_1)
	s_cmp_lg_u32 s39, 0
	s_waitcnt lgkmcnt(0)
	v_mul_hi_u32 v3, s41, v2
	v_add_nc_u32_e32 v3, v2, v3
	s_delay_alu instid0(VALU_DEP_1) | instskip(NEXT) | instid1(VALU_DEP_1)
	v_lshrrev_b32_e32 v6, s38, v3
	v_mul_lo_u32 v3, v6, s40
	s_delay_alu instid0(VALU_DEP_1) | instskip(NEXT) | instid1(VALU_DEP_1)
	v_sub_nc_u32_e32 v2, v2, v3
	v_mad_u64_u32 v[3:4], null, v2, s42, v[0:1]
	v_mad_u64_u32 v[4:5], null, v2, s43, v[1:2]
	v_mov_b32_e32 v2, v6
	s_delay_alu instid0(VALU_DEP_2)
	v_dual_mov_b32 v0, v3 :: v_dual_mov_b32 v1, v4
	s_cbranch_scc1 .LBB527_213
.LBB527_214:
	s_and_not1_b32 vcc_lo, exec_lo, s37
	s_cbranch_vccnz .LBB527_217
; %bb.215:
	v_mul_hi_u32 v0, s9, v12
	s_and_not1_b32 vcc_lo, exec_lo, s31
	s_delay_alu instid0(VALU_DEP_1) | instskip(NEXT) | instid1(VALU_DEP_1)
	v_add_nc_u32_e32 v0, v12, v0
	v_lshrrev_b32_e32 v2, s10, v0
	s_delay_alu instid0(VALU_DEP_1) | instskip(NEXT) | instid1(VALU_DEP_1)
	v_mul_lo_u32 v0, v2, s8
	v_sub_nc_u32_e32 v1, v12, v0
	s_delay_alu instid0(VALU_DEP_1)
	v_mul_lo_u32 v0, v1, s12
	v_mul_lo_u32 v1, v1, s13
	s_cbranch_vccnz .LBB527_217
; %bb.216:
	v_mul_hi_u32 v3, s18, v2
	s_delay_alu instid0(VALU_DEP_1) | instskip(NEXT) | instid1(VALU_DEP_1)
	v_add_nc_u32_e32 v3, v2, v3
	v_lshrrev_b32_e32 v3, s19, v3
	s_delay_alu instid0(VALU_DEP_1) | instskip(NEXT) | instid1(VALU_DEP_1)
	v_mul_lo_u32 v3, v3, s11
	v_sub_nc_u32_e32 v5, v2, v3
	s_delay_alu instid0(VALU_DEP_1) | instskip(NEXT) | instid1(VALU_DEP_1)
	v_mad_u64_u32 v[2:3], null, v5, s14, v[0:1]
	v_mad_u64_u32 v[3:4], null, v5, s15, v[1:2]
	s_delay_alu instid0(VALU_DEP_1)
	v_dual_mov_b32 v0, v2 :: v_dual_mov_b32 v1, v3
.LBB527_217:
	global_load_u16 v2, v1, s[6:7]
	v_mov_b32_e32 v1, s16
	s_mov_b32 s22, exec_lo
	s_waitcnt vmcnt(0)
	v_cmpx_o_f16_e32 v2, v2
	s_cbranch_execz .LBB527_221
; %bb.218:
	v_mov_b32_e32 v1, s30
	s_mov_b32 s23, exec_lo
	v_cmpx_neq_f16_e32 0x7c00, v2
; %bb.219:
	v_cmp_eq_f16_e32 vcc_lo, 0xfc00, v2
	v_cndmask_b32_e64 v1, v2, s17, vcc_lo
; %bb.220:
	s_or_b32 exec_lo, exec_lo, s23
.LBB527_221:
	s_delay_alu instid0(SALU_CYCLE_1) | instskip(SKIP_3) | instid1(SALU_CYCLE_1)
	s_or_b32 exec_lo, exec_lo, s22
	v_add_nc_u32_e32 v12, 0x80, v12
	global_store_b16 v0, v1, s[4:5]
	s_or_b32 exec_lo, exec_lo, s36
	s_mov_b32 s36, exec_lo
	v_cmpx_gt_i32_e64 s33, v12
	s_cbranch_execnz .LBB527_204
.LBB527_222:
	s_or_b32 exec_lo, exec_lo, s36
	s_delay_alu instid0(SALU_CYCLE_1)
	s_mov_b32 s36, exec_lo
	v_cmpx_gt_i32_e64 s33, v12
	s_cbranch_execz .LBB527_241
.LBB527_223:
	s_and_not1_b32 vcc_lo, exec_lo, s28
	s_cbranch_vccnz .LBB527_228
; %bb.224:
	v_dual_mov_b32 v0, 0 :: v_dual_mov_b32 v1, 0
	s_and_not1_b32 vcc_lo, exec_lo, s35
	s_mov_b32 s37, 0
	s_cbranch_vccnz .LBB527_252
; %bb.225:
	v_mov_b32_e32 v0, 0
	s_add_i32 s39, s34, 1
	s_cmp_eq_u32 s27, 2
	s_mov_b32 s38, 0
	s_cbranch_scc1 .LBB527_248
; %bb.226:
	v_dual_mov_b32 v1, 0 :: v_dual_mov_b32 v0, 0
	v_mov_b32_e32 v2, v12
	s_and_b32 s38, s39, 28
	s_mov_b32 s40, 0
	s_mov_b64 s[22:23], s[20:21]
	s_mov_b64 s[24:25], s[2:3]
.LBB527_227:                            ; =>This Inner Loop Header: Depth=1
	s_clause 0x1
	s_load_b256 s[44:51], s[24:25], 0x4
	s_load_b128 s[60:63], s[24:25], 0x24
	s_load_b256 s[52:59], s[22:23], 0x0
	s_add_u32 s24, s24, 48
	s_addc_u32 s25, s25, 0
	s_add_i32 s40, s40, 4
	s_add_u32 s22, s22, 32
	s_addc_u32 s23, s23, 0
	s_cmp_eq_u32 s38, s40
	s_waitcnt lgkmcnt(0)
	v_mul_hi_u32 v3, s45, v2
	s_delay_alu instid0(VALU_DEP_1) | instskip(NEXT) | instid1(VALU_DEP_1)
	v_add_nc_u32_e32 v3, v2, v3
	v_lshrrev_b32_e32 v3, s46, v3
	s_delay_alu instid0(VALU_DEP_1) | instskip(SKIP_1) | instid1(VALU_DEP_2)
	v_mul_hi_u32 v4, s48, v3
	v_mul_lo_u32 v6, v3, s44
	v_add_nc_u32_e32 v4, v3, v4
	s_delay_alu instid0(VALU_DEP_2) | instskip(NEXT) | instid1(VALU_DEP_2)
	v_sub_nc_u32_e32 v2, v2, v6
	v_lshrrev_b32_e32 v4, s49, v4
	s_delay_alu instid0(VALU_DEP_2) | instskip(SKIP_1) | instid1(VALU_DEP_3)
	v_mul_lo_u32 v6, v2, s52
	v_mul_lo_u32 v8, v2, s53
	v_mul_hi_u32 v5, s51, v4
	s_delay_alu instid0(VALU_DEP_1) | instskip(NEXT) | instid1(VALU_DEP_1)
	v_add_nc_u32_e32 v5, v4, v5
	v_lshrrev_b32_e32 v5, s60, v5
	s_delay_alu instid0(VALU_DEP_1) | instskip(SKIP_1) | instid1(VALU_DEP_2)
	v_mul_hi_u32 v7, s62, v5
	v_mul_lo_u32 v9, v5, s50
	v_add_nc_u32_e32 v2, v5, v7
	v_mul_lo_u32 v7, v4, s47
	s_delay_alu instid0(VALU_DEP_3) | instskip(NEXT) | instid1(VALU_DEP_3)
	v_sub_nc_u32_e32 v4, v4, v9
	v_lshrrev_b32_e32 v2, s63, v2
	s_delay_alu instid0(VALU_DEP_2) | instskip(SKIP_2) | instid1(VALU_DEP_4)
	v_mul_lo_u32 v9, v4, s56
	v_mul_lo_u32 v4, v4, s57
	v_sub_nc_u32_e32 v3, v3, v7
	v_mul_lo_u32 v10, v2, s61
	s_delay_alu instid0(VALU_DEP_2) | instskip(SKIP_1) | instid1(VALU_DEP_3)
	v_mul_lo_u32 v7, v3, s54
	v_mul_lo_u32 v3, v3, s55
	v_sub_nc_u32_e32 v5, v5, v10
	s_delay_alu instid0(VALU_DEP_3) | instskip(NEXT) | instid1(VALU_DEP_2)
	v_add3_u32 v0, v6, v0, v7
	v_mul_lo_u32 v10, v5, s58
	v_mul_lo_u32 v5, v5, s59
	v_add3_u32 v1, v8, v1, v3
	s_delay_alu instid0(VALU_DEP_3) | instskip(NEXT) | instid1(VALU_DEP_2)
	v_add3_u32 v0, v9, v0, v10
	v_add3_u32 v1, v4, v1, v5
	s_cbranch_scc0 .LBB527_227
	s_branch .LBB527_249
.LBB527_228:
	s_mov_b32 s37, -1
                                        ; implicit-def: $vgpr0
                                        ; implicit-def: $vgpr1
	s_branch .LBB527_252
.LBB527_229:
	v_dual_mov_b32 v2, v12 :: v_dual_mov_b32 v1, 0
.LBB527_230:
	s_and_b32 s39, s39, 3
	s_delay_alu instid0(SALU_CYCLE_1)
	s_cmp_eq_u32 s39, 0
	s_cbranch_scc1 .LBB527_233
; %bb.231:
	s_lshl_b32 s22, s38, 3
	s_mul_i32 s24, s38, 12
	s_add_u32 s22, s22, s2
	s_addc_u32 s23, s3, 0
	s_add_u32 s22, s22, 0xc4
	s_addc_u32 s23, s23, 0
	;; [unrolled: 2-line block ×3, first 2 shown]
	.p2align	6
.LBB527_232:                            ; =>This Inner Loop Header: Depth=1
	s_clause 0x1
	s_load_b64 s[40:41], s[24:25], 0x4
	s_load_b32 s38, s[24:25], 0xc
	s_load_b64 s[42:43], s[22:23], 0x0
	s_add_u32 s24, s24, 12
	s_addc_u32 s25, s25, 0
	s_add_u32 s22, s22, 8
	s_addc_u32 s23, s23, 0
	s_add_i32 s39, s39, -1
	s_delay_alu instid0(SALU_CYCLE_1) | instskip(SKIP_2) | instid1(VALU_DEP_1)
	s_cmp_lg_u32 s39, 0
	s_waitcnt lgkmcnt(0)
	v_mul_hi_u32 v3, s41, v2
	v_add_nc_u32_e32 v3, v2, v3
	s_delay_alu instid0(VALU_DEP_1) | instskip(NEXT) | instid1(VALU_DEP_1)
	v_lshrrev_b32_e32 v6, s38, v3
	v_mul_lo_u32 v3, v6, s40
	s_delay_alu instid0(VALU_DEP_1) | instskip(NEXT) | instid1(VALU_DEP_1)
	v_sub_nc_u32_e32 v2, v2, v3
	v_mad_u64_u32 v[3:4], null, v2, s42, v[0:1]
	v_mad_u64_u32 v[4:5], null, v2, s43, v[1:2]
	v_mov_b32_e32 v2, v6
	s_delay_alu instid0(VALU_DEP_2)
	v_dual_mov_b32 v0, v3 :: v_dual_mov_b32 v1, v4
	s_cbranch_scc1 .LBB527_232
.LBB527_233:
	s_and_not1_b32 vcc_lo, exec_lo, s37
	s_cbranch_vccnz .LBB527_236
; %bb.234:
	v_mul_hi_u32 v0, s9, v12
	s_and_not1_b32 vcc_lo, exec_lo, s31
	s_delay_alu instid0(VALU_DEP_1) | instskip(NEXT) | instid1(VALU_DEP_1)
	v_add_nc_u32_e32 v0, v12, v0
	v_lshrrev_b32_e32 v2, s10, v0
	s_delay_alu instid0(VALU_DEP_1) | instskip(NEXT) | instid1(VALU_DEP_1)
	v_mul_lo_u32 v0, v2, s8
	v_sub_nc_u32_e32 v1, v12, v0
	s_delay_alu instid0(VALU_DEP_1)
	v_mul_lo_u32 v0, v1, s12
	v_mul_lo_u32 v1, v1, s13
	s_cbranch_vccnz .LBB527_236
; %bb.235:
	v_mul_hi_u32 v3, s18, v2
	s_delay_alu instid0(VALU_DEP_1) | instskip(NEXT) | instid1(VALU_DEP_1)
	v_add_nc_u32_e32 v3, v2, v3
	v_lshrrev_b32_e32 v3, s19, v3
	s_delay_alu instid0(VALU_DEP_1) | instskip(NEXT) | instid1(VALU_DEP_1)
	v_mul_lo_u32 v3, v3, s11
	v_sub_nc_u32_e32 v5, v2, v3
	s_delay_alu instid0(VALU_DEP_1) | instskip(NEXT) | instid1(VALU_DEP_1)
	v_mad_u64_u32 v[2:3], null, v5, s14, v[0:1]
	v_mad_u64_u32 v[3:4], null, v5, s15, v[1:2]
	s_delay_alu instid0(VALU_DEP_1)
	v_dual_mov_b32 v0, v2 :: v_dual_mov_b32 v1, v3
.LBB527_236:
	global_load_u16 v2, v1, s[6:7]
	v_mov_b32_e32 v1, s16
	s_mov_b32 s22, exec_lo
	s_waitcnt vmcnt(0)
	v_cmpx_o_f16_e32 v2, v2
	s_cbranch_execz .LBB527_240
; %bb.237:
	v_mov_b32_e32 v1, s30
	s_mov_b32 s23, exec_lo
	v_cmpx_neq_f16_e32 0x7c00, v2
; %bb.238:
	v_cmp_eq_f16_e32 vcc_lo, 0xfc00, v2
	v_cndmask_b32_e64 v1, v2, s17, vcc_lo
; %bb.239:
	s_or_b32 exec_lo, exec_lo, s23
.LBB527_240:
	s_delay_alu instid0(SALU_CYCLE_1) | instskip(SKIP_3) | instid1(SALU_CYCLE_1)
	s_or_b32 exec_lo, exec_lo, s22
	v_add_nc_u32_e32 v12, 0x80, v12
	global_store_b16 v0, v1, s[4:5]
	s_or_b32 exec_lo, exec_lo, s36
	s_mov_b32 s36, exec_lo
	v_cmpx_gt_i32_e64 s33, v12
	s_cbranch_execnz .LBB527_223
.LBB527_241:
	s_or_b32 exec_lo, exec_lo, s36
	s_delay_alu instid0(SALU_CYCLE_1)
	s_mov_b32 s36, exec_lo
	v_cmpx_gt_i32_e64 s33, v12
	s_cbranch_execz .LBB527_260
.LBB527_242:
	s_and_not1_b32 vcc_lo, exec_lo, s28
	s_cbranch_vccnz .LBB527_247
; %bb.243:
	v_dual_mov_b32 v0, 0 :: v_dual_mov_b32 v1, 0
	s_and_not1_b32 vcc_lo, exec_lo, s35
	s_mov_b32 s37, 0
	s_cbranch_vccnz .LBB527_267
; %bb.244:
	v_mov_b32_e32 v0, 0
	s_add_i32 s39, s34, 1
	s_cmp_eq_u32 s27, 2
	s_mov_b32 s38, 0
	s_cbranch_scc1 .LBB527_263
; %bb.245:
	v_dual_mov_b32 v1, 0 :: v_dual_mov_b32 v0, 0
	v_mov_b32_e32 v2, v12
	s_and_b32 s38, s39, 28
	s_mov_b32 s40, 0
	s_mov_b64 s[22:23], s[20:21]
	s_mov_b64 s[24:25], s[2:3]
.LBB527_246:                            ; =>This Inner Loop Header: Depth=1
	s_clause 0x1
	s_load_b256 s[44:51], s[24:25], 0x4
	s_load_b128 s[60:63], s[24:25], 0x24
	s_load_b256 s[52:59], s[22:23], 0x0
	s_add_u32 s24, s24, 48
	s_addc_u32 s25, s25, 0
	s_add_i32 s40, s40, 4
	s_add_u32 s22, s22, 32
	s_addc_u32 s23, s23, 0
	s_cmp_eq_u32 s38, s40
	s_waitcnt lgkmcnt(0)
	v_mul_hi_u32 v3, s45, v2
	s_delay_alu instid0(VALU_DEP_1) | instskip(NEXT) | instid1(VALU_DEP_1)
	v_add_nc_u32_e32 v3, v2, v3
	v_lshrrev_b32_e32 v3, s46, v3
	s_delay_alu instid0(VALU_DEP_1) | instskip(SKIP_1) | instid1(VALU_DEP_2)
	v_mul_hi_u32 v4, s48, v3
	v_mul_lo_u32 v6, v3, s44
	v_add_nc_u32_e32 v4, v3, v4
	s_delay_alu instid0(VALU_DEP_2) | instskip(NEXT) | instid1(VALU_DEP_2)
	v_sub_nc_u32_e32 v2, v2, v6
	v_lshrrev_b32_e32 v4, s49, v4
	s_delay_alu instid0(VALU_DEP_2) | instskip(SKIP_1) | instid1(VALU_DEP_3)
	v_mul_lo_u32 v6, v2, s52
	v_mul_lo_u32 v8, v2, s53
	v_mul_hi_u32 v5, s51, v4
	s_delay_alu instid0(VALU_DEP_1) | instskip(NEXT) | instid1(VALU_DEP_1)
	v_add_nc_u32_e32 v5, v4, v5
	v_lshrrev_b32_e32 v5, s60, v5
	s_delay_alu instid0(VALU_DEP_1) | instskip(SKIP_1) | instid1(VALU_DEP_2)
	v_mul_hi_u32 v7, s62, v5
	v_mul_lo_u32 v9, v5, s50
	v_add_nc_u32_e32 v2, v5, v7
	v_mul_lo_u32 v7, v4, s47
	s_delay_alu instid0(VALU_DEP_3) | instskip(NEXT) | instid1(VALU_DEP_3)
	v_sub_nc_u32_e32 v4, v4, v9
	v_lshrrev_b32_e32 v2, s63, v2
	s_delay_alu instid0(VALU_DEP_2) | instskip(SKIP_2) | instid1(VALU_DEP_4)
	v_mul_lo_u32 v9, v4, s56
	v_mul_lo_u32 v4, v4, s57
	v_sub_nc_u32_e32 v3, v3, v7
	v_mul_lo_u32 v10, v2, s61
	s_delay_alu instid0(VALU_DEP_2) | instskip(SKIP_1) | instid1(VALU_DEP_3)
	v_mul_lo_u32 v7, v3, s54
	v_mul_lo_u32 v3, v3, s55
	v_sub_nc_u32_e32 v5, v5, v10
	s_delay_alu instid0(VALU_DEP_3) | instskip(NEXT) | instid1(VALU_DEP_2)
	v_add3_u32 v0, v6, v0, v7
	v_mul_lo_u32 v10, v5, s58
	v_mul_lo_u32 v5, v5, s59
	v_add3_u32 v1, v8, v1, v3
	s_delay_alu instid0(VALU_DEP_3) | instskip(NEXT) | instid1(VALU_DEP_2)
	v_add3_u32 v0, v9, v0, v10
	v_add3_u32 v1, v4, v1, v5
	s_cbranch_scc0 .LBB527_246
	s_branch .LBB527_264
.LBB527_247:
	s_mov_b32 s37, -1
                                        ; implicit-def: $vgpr0
                                        ; implicit-def: $vgpr1
	s_branch .LBB527_267
.LBB527_248:
	v_dual_mov_b32 v2, v12 :: v_dual_mov_b32 v1, 0
.LBB527_249:
	s_and_b32 s39, s39, 3
	s_delay_alu instid0(SALU_CYCLE_1)
	s_cmp_eq_u32 s39, 0
	s_cbranch_scc1 .LBB527_252
; %bb.250:
	s_lshl_b32 s22, s38, 3
	s_mul_i32 s24, s38, 12
	s_add_u32 s22, s22, s2
	s_addc_u32 s23, s3, 0
	s_add_u32 s22, s22, 0xc4
	s_addc_u32 s23, s23, 0
	;; [unrolled: 2-line block ×3, first 2 shown]
	.p2align	6
.LBB527_251:                            ; =>This Inner Loop Header: Depth=1
	s_clause 0x1
	s_load_b64 s[40:41], s[24:25], 0x4
	s_load_b32 s38, s[24:25], 0xc
	s_load_b64 s[42:43], s[22:23], 0x0
	s_add_u32 s24, s24, 12
	s_addc_u32 s25, s25, 0
	s_add_u32 s22, s22, 8
	s_addc_u32 s23, s23, 0
	s_add_i32 s39, s39, -1
	s_delay_alu instid0(SALU_CYCLE_1) | instskip(SKIP_2) | instid1(VALU_DEP_1)
	s_cmp_lg_u32 s39, 0
	s_waitcnt lgkmcnt(0)
	v_mul_hi_u32 v3, s41, v2
	v_add_nc_u32_e32 v3, v2, v3
	s_delay_alu instid0(VALU_DEP_1) | instskip(NEXT) | instid1(VALU_DEP_1)
	v_lshrrev_b32_e32 v6, s38, v3
	v_mul_lo_u32 v3, v6, s40
	s_delay_alu instid0(VALU_DEP_1) | instskip(NEXT) | instid1(VALU_DEP_1)
	v_sub_nc_u32_e32 v2, v2, v3
	v_mad_u64_u32 v[3:4], null, v2, s42, v[0:1]
	v_mad_u64_u32 v[4:5], null, v2, s43, v[1:2]
	v_mov_b32_e32 v2, v6
	s_delay_alu instid0(VALU_DEP_2)
	v_dual_mov_b32 v0, v3 :: v_dual_mov_b32 v1, v4
	s_cbranch_scc1 .LBB527_251
.LBB527_252:
	s_and_not1_b32 vcc_lo, exec_lo, s37
	s_cbranch_vccnz .LBB527_255
; %bb.253:
	v_mul_hi_u32 v0, s9, v12
	s_and_not1_b32 vcc_lo, exec_lo, s31
	s_delay_alu instid0(VALU_DEP_1) | instskip(NEXT) | instid1(VALU_DEP_1)
	v_add_nc_u32_e32 v0, v12, v0
	v_lshrrev_b32_e32 v2, s10, v0
	s_delay_alu instid0(VALU_DEP_1) | instskip(NEXT) | instid1(VALU_DEP_1)
	v_mul_lo_u32 v0, v2, s8
	v_sub_nc_u32_e32 v1, v12, v0
	s_delay_alu instid0(VALU_DEP_1)
	v_mul_lo_u32 v0, v1, s12
	v_mul_lo_u32 v1, v1, s13
	s_cbranch_vccnz .LBB527_255
; %bb.254:
	v_mul_hi_u32 v3, s18, v2
	s_delay_alu instid0(VALU_DEP_1) | instskip(NEXT) | instid1(VALU_DEP_1)
	v_add_nc_u32_e32 v3, v2, v3
	v_lshrrev_b32_e32 v3, s19, v3
	s_delay_alu instid0(VALU_DEP_1) | instskip(NEXT) | instid1(VALU_DEP_1)
	v_mul_lo_u32 v3, v3, s11
	v_sub_nc_u32_e32 v5, v2, v3
	s_delay_alu instid0(VALU_DEP_1) | instskip(NEXT) | instid1(VALU_DEP_1)
	v_mad_u64_u32 v[2:3], null, v5, s14, v[0:1]
	v_mad_u64_u32 v[3:4], null, v5, s15, v[1:2]
	s_delay_alu instid0(VALU_DEP_1)
	v_dual_mov_b32 v0, v2 :: v_dual_mov_b32 v1, v3
.LBB527_255:
	global_load_u16 v2, v1, s[6:7]
	v_mov_b32_e32 v1, s16
	s_mov_b32 s22, exec_lo
	s_waitcnt vmcnt(0)
	v_cmpx_o_f16_e32 v2, v2
	s_cbranch_execz .LBB527_259
; %bb.256:
	v_mov_b32_e32 v1, s30
	s_mov_b32 s23, exec_lo
	v_cmpx_neq_f16_e32 0x7c00, v2
; %bb.257:
	v_cmp_eq_f16_e32 vcc_lo, 0xfc00, v2
	v_cndmask_b32_e64 v1, v2, s17, vcc_lo
; %bb.258:
	s_or_b32 exec_lo, exec_lo, s23
.LBB527_259:
	s_delay_alu instid0(SALU_CYCLE_1) | instskip(SKIP_3) | instid1(SALU_CYCLE_1)
	s_or_b32 exec_lo, exec_lo, s22
	v_add_nc_u32_e32 v12, 0x80, v12
	global_store_b16 v0, v1, s[4:5]
	s_or_b32 exec_lo, exec_lo, s36
	s_mov_b32 s36, exec_lo
	v_cmpx_gt_i32_e64 s33, v12
	s_cbranch_execnz .LBB527_242
.LBB527_260:
	s_or_b32 exec_lo, exec_lo, s36
	s_delay_alu instid0(SALU_CYCLE_1)
	s_mov_b32 s24, exec_lo
	v_cmpx_gt_i32_e64 s33, v12
	s_cbranch_execnz .LBB527_275
.LBB527_261:
	s_or_b32 exec_lo, exec_lo, s24
                                        ; implicit-def: $vgpr16
                                        ; implicit-def: $vgpr12
	s_and_not1_saveexec_b32 s4, s29
	s_cbranch_execnz .LBB527_8
.LBB527_262:
	s_nop 0
	s_sendmsg sendmsg(MSG_DEALLOC_VGPRS)
	s_endpgm
.LBB527_263:
	v_dual_mov_b32 v2, v12 :: v_dual_mov_b32 v1, 0
.LBB527_264:
	s_and_b32 s39, s39, 3
	s_delay_alu instid0(SALU_CYCLE_1)
	s_cmp_eq_u32 s39, 0
	s_cbranch_scc1 .LBB527_267
; %bb.265:
	s_lshl_b32 s22, s38, 3
	s_mul_i32 s24, s38, 12
	s_add_u32 s22, s22, s2
	s_addc_u32 s23, s3, 0
	s_add_u32 s22, s22, 0xc4
	s_addc_u32 s23, s23, 0
	;; [unrolled: 2-line block ×3, first 2 shown]
	.p2align	6
.LBB527_266:                            ; =>This Inner Loop Header: Depth=1
	s_clause 0x1
	s_load_b64 s[40:41], s[24:25], 0x4
	s_load_b32 s38, s[24:25], 0xc
	s_load_b64 s[42:43], s[22:23], 0x0
	s_add_u32 s24, s24, 12
	s_addc_u32 s25, s25, 0
	s_add_u32 s22, s22, 8
	s_addc_u32 s23, s23, 0
	s_add_i32 s39, s39, -1
	s_delay_alu instid0(SALU_CYCLE_1) | instskip(SKIP_2) | instid1(VALU_DEP_1)
	s_cmp_lg_u32 s39, 0
	s_waitcnt lgkmcnt(0)
	v_mul_hi_u32 v3, s41, v2
	v_add_nc_u32_e32 v3, v2, v3
	s_delay_alu instid0(VALU_DEP_1) | instskip(NEXT) | instid1(VALU_DEP_1)
	v_lshrrev_b32_e32 v6, s38, v3
	v_mul_lo_u32 v3, v6, s40
	s_delay_alu instid0(VALU_DEP_1) | instskip(NEXT) | instid1(VALU_DEP_1)
	v_sub_nc_u32_e32 v2, v2, v3
	v_mad_u64_u32 v[3:4], null, v2, s42, v[0:1]
	v_mad_u64_u32 v[4:5], null, v2, s43, v[1:2]
	v_mov_b32_e32 v2, v6
	s_delay_alu instid0(VALU_DEP_2)
	v_dual_mov_b32 v0, v3 :: v_dual_mov_b32 v1, v4
	s_cbranch_scc1 .LBB527_266
.LBB527_267:
	s_and_not1_b32 vcc_lo, exec_lo, s37
	s_cbranch_vccnz .LBB527_270
; %bb.268:
	v_mul_hi_u32 v0, s9, v12
	s_and_not1_b32 vcc_lo, exec_lo, s31
	s_delay_alu instid0(VALU_DEP_1) | instskip(NEXT) | instid1(VALU_DEP_1)
	v_add_nc_u32_e32 v0, v12, v0
	v_lshrrev_b32_e32 v2, s10, v0
	s_delay_alu instid0(VALU_DEP_1) | instskip(NEXT) | instid1(VALU_DEP_1)
	v_mul_lo_u32 v0, v2, s8
	v_sub_nc_u32_e32 v1, v12, v0
	s_delay_alu instid0(VALU_DEP_1)
	v_mul_lo_u32 v0, v1, s12
	v_mul_lo_u32 v1, v1, s13
	s_cbranch_vccnz .LBB527_270
; %bb.269:
	v_mul_hi_u32 v3, s18, v2
	s_delay_alu instid0(VALU_DEP_1) | instskip(NEXT) | instid1(VALU_DEP_1)
	v_add_nc_u32_e32 v3, v2, v3
	v_lshrrev_b32_e32 v3, s19, v3
	s_delay_alu instid0(VALU_DEP_1) | instskip(NEXT) | instid1(VALU_DEP_1)
	v_mul_lo_u32 v3, v3, s11
	v_sub_nc_u32_e32 v5, v2, v3
	s_delay_alu instid0(VALU_DEP_1) | instskip(NEXT) | instid1(VALU_DEP_1)
	v_mad_u64_u32 v[2:3], null, v5, s14, v[0:1]
	v_mad_u64_u32 v[3:4], null, v5, s15, v[1:2]
	s_delay_alu instid0(VALU_DEP_1)
	v_dual_mov_b32 v0, v2 :: v_dual_mov_b32 v1, v3
.LBB527_270:
	global_load_u16 v2, v1, s[6:7]
	v_mov_b32_e32 v1, s16
	s_mov_b32 s22, exec_lo
	s_waitcnt vmcnt(0)
	v_cmpx_o_f16_e32 v2, v2
	s_cbranch_execz .LBB527_274
; %bb.271:
	v_mov_b32_e32 v1, s30
	s_mov_b32 s23, exec_lo
	v_cmpx_neq_f16_e32 0x7c00, v2
; %bb.272:
	v_cmp_eq_f16_e32 vcc_lo, 0xfc00, v2
	v_cndmask_b32_e64 v1, v2, s17, vcc_lo
; %bb.273:
	s_or_b32 exec_lo, exec_lo, s23
.LBB527_274:
	s_delay_alu instid0(SALU_CYCLE_1) | instskip(SKIP_3) | instid1(SALU_CYCLE_1)
	s_or_b32 exec_lo, exec_lo, s22
	v_add_nc_u32_e32 v12, 0x80, v12
	global_store_b16 v0, v1, s[4:5]
	s_or_b32 exec_lo, exec_lo, s36
	s_mov_b32 s24, exec_lo
	v_cmpx_gt_i32_e64 s33, v12
	s_cbranch_execz .LBB527_261
.LBB527_275:
	s_and_not1_b32 vcc_lo, exec_lo, s28
	s_cbranch_vccnz .LBB527_280
; %bb.276:
	v_dual_mov_b32 v0, 0 :: v_dual_mov_b32 v1, 0
	s_and_not1_b32 vcc_lo, exec_lo, s35
	s_mov_b32 s25, 0
	s_cbranch_vccnz .LBB527_285
; %bb.277:
	v_mov_b32_e32 v0, 0
	s_add_i32 s34, s34, 1
	s_cmp_eq_u32 s27, 2
	s_mov_b32 s33, 0
	s_cbranch_scc1 .LBB527_281
; %bb.278:
	v_dual_mov_b32 v1, 0 :: v_dual_mov_b32 v0, 0
	v_mov_b32_e32 v2, v12
	s_and_b32 s33, s34, 28
	s_mov_b32 s35, 0
	s_mov_b64 s[22:23], s[2:3]
.LBB527_279:                            ; =>This Inner Loop Header: Depth=1
	s_clause 0x1
	s_load_b256 s[36:43], s[22:23], 0x4
	s_load_b128 s[52:55], s[22:23], 0x24
	s_load_b256 s[44:51], s[20:21], 0x0
	s_add_u32 s22, s22, 48
	s_addc_u32 s23, s23, 0
	s_add_i32 s35, s35, 4
	s_add_u32 s20, s20, 32
	s_addc_u32 s21, s21, 0
	s_cmp_eq_u32 s33, s35
	s_waitcnt lgkmcnt(0)
	v_mul_hi_u32 v3, s37, v2
	s_delay_alu instid0(VALU_DEP_1) | instskip(NEXT) | instid1(VALU_DEP_1)
	v_add_nc_u32_e32 v3, v2, v3
	v_lshrrev_b32_e32 v3, s38, v3
	s_delay_alu instid0(VALU_DEP_1) | instskip(SKIP_1) | instid1(VALU_DEP_2)
	v_mul_hi_u32 v4, s40, v3
	v_mul_lo_u32 v6, v3, s36
	v_add_nc_u32_e32 v4, v3, v4
	s_delay_alu instid0(VALU_DEP_2) | instskip(NEXT) | instid1(VALU_DEP_2)
	v_sub_nc_u32_e32 v2, v2, v6
	v_lshrrev_b32_e32 v4, s41, v4
	s_delay_alu instid0(VALU_DEP_2) | instskip(SKIP_1) | instid1(VALU_DEP_3)
	v_mul_lo_u32 v6, v2, s44
	v_mul_lo_u32 v8, v2, s45
	v_mul_hi_u32 v5, s43, v4
	s_delay_alu instid0(VALU_DEP_1) | instskip(NEXT) | instid1(VALU_DEP_1)
	v_add_nc_u32_e32 v5, v4, v5
	v_lshrrev_b32_e32 v5, s52, v5
	s_delay_alu instid0(VALU_DEP_1) | instskip(SKIP_1) | instid1(VALU_DEP_2)
	v_mul_hi_u32 v7, s54, v5
	v_mul_lo_u32 v9, v5, s42
	v_add_nc_u32_e32 v2, v5, v7
	v_mul_lo_u32 v7, v4, s39
	s_delay_alu instid0(VALU_DEP_3) | instskip(NEXT) | instid1(VALU_DEP_3)
	v_sub_nc_u32_e32 v4, v4, v9
	v_lshrrev_b32_e32 v2, s55, v2
	s_delay_alu instid0(VALU_DEP_2) | instskip(SKIP_2) | instid1(VALU_DEP_4)
	v_mul_lo_u32 v9, v4, s48
	v_mul_lo_u32 v4, v4, s49
	v_sub_nc_u32_e32 v3, v3, v7
	v_mul_lo_u32 v10, v2, s53
	s_delay_alu instid0(VALU_DEP_2) | instskip(SKIP_1) | instid1(VALU_DEP_3)
	v_mul_lo_u32 v7, v3, s46
	v_mul_lo_u32 v3, v3, s47
	v_sub_nc_u32_e32 v5, v5, v10
	s_delay_alu instid0(VALU_DEP_3) | instskip(NEXT) | instid1(VALU_DEP_2)
	v_add3_u32 v0, v6, v0, v7
	v_mul_lo_u32 v10, v5, s50
	v_mul_lo_u32 v5, v5, s51
	v_add3_u32 v1, v8, v1, v3
	s_delay_alu instid0(VALU_DEP_3) | instskip(NEXT) | instid1(VALU_DEP_2)
	v_add3_u32 v0, v9, v0, v10
	v_add3_u32 v1, v4, v1, v5
	s_cbranch_scc0 .LBB527_279
	s_branch .LBB527_282
.LBB527_280:
	s_mov_b32 s25, -1
                                        ; implicit-def: $vgpr0
                                        ; implicit-def: $vgpr1
	s_branch .LBB527_285
.LBB527_281:
	v_dual_mov_b32 v2, v12 :: v_dual_mov_b32 v1, 0
.LBB527_282:
	s_and_b32 s34, s34, 3
	s_delay_alu instid0(SALU_CYCLE_1)
	s_cmp_eq_u32 s34, 0
	s_cbranch_scc1 .LBB527_285
; %bb.283:
	s_lshl_b32 s20, s33, 3
	s_mul_i32 s22, s33, 12
	s_add_u32 s20, s20, s2
	s_addc_u32 s21, s3, 0
	s_add_u32 s20, s20, 0xc4
	s_addc_u32 s21, s21, 0
	;; [unrolled: 2-line block ×3, first 2 shown]
	.p2align	6
.LBB527_284:                            ; =>This Inner Loop Header: Depth=1
	s_clause 0x1
	s_load_b64 s[36:37], s[22:23], 0x4
	s_load_b32 s33, s[22:23], 0xc
	s_load_b64 s[38:39], s[20:21], 0x0
	s_add_u32 s22, s22, 12
	s_addc_u32 s23, s23, 0
	s_add_u32 s20, s20, 8
	s_addc_u32 s21, s21, 0
	s_add_i32 s34, s34, -1
	s_delay_alu instid0(SALU_CYCLE_1) | instskip(SKIP_2) | instid1(VALU_DEP_1)
	s_cmp_lg_u32 s34, 0
	s_waitcnt lgkmcnt(0)
	v_mul_hi_u32 v3, s37, v2
	v_add_nc_u32_e32 v3, v2, v3
	s_delay_alu instid0(VALU_DEP_1) | instskip(NEXT) | instid1(VALU_DEP_1)
	v_lshrrev_b32_e32 v6, s33, v3
	v_mul_lo_u32 v3, v6, s36
	s_delay_alu instid0(VALU_DEP_1) | instskip(NEXT) | instid1(VALU_DEP_1)
	v_sub_nc_u32_e32 v2, v2, v3
	v_mad_u64_u32 v[3:4], null, v2, s38, v[0:1]
	v_mad_u64_u32 v[4:5], null, v2, s39, v[1:2]
	v_mov_b32_e32 v2, v6
	s_delay_alu instid0(VALU_DEP_2)
	v_dual_mov_b32 v0, v3 :: v_dual_mov_b32 v1, v4
	s_cbranch_scc1 .LBB527_284
.LBB527_285:
	s_and_not1_b32 vcc_lo, exec_lo, s25
	s_cbranch_vccnz .LBB527_288
; %bb.286:
	v_mul_hi_u32 v0, s9, v12
	s_and_not1_b32 vcc_lo, exec_lo, s31
	s_delay_alu instid0(VALU_DEP_1) | instskip(NEXT) | instid1(VALU_DEP_1)
	v_add_nc_u32_e32 v0, v12, v0
	v_lshrrev_b32_e32 v2, s10, v0
	s_delay_alu instid0(VALU_DEP_1) | instskip(NEXT) | instid1(VALU_DEP_1)
	v_mul_lo_u32 v0, v2, s8
	v_sub_nc_u32_e32 v1, v12, v0
	s_delay_alu instid0(VALU_DEP_1)
	v_mul_lo_u32 v0, v1, s12
	v_mul_lo_u32 v1, v1, s13
	s_cbranch_vccnz .LBB527_288
; %bb.287:
	v_mul_hi_u32 v3, s18, v2
	s_delay_alu instid0(VALU_DEP_1) | instskip(NEXT) | instid1(VALU_DEP_1)
	v_add_nc_u32_e32 v3, v2, v3
	v_lshrrev_b32_e32 v3, s19, v3
	s_delay_alu instid0(VALU_DEP_1) | instskip(NEXT) | instid1(VALU_DEP_1)
	v_mul_lo_u32 v3, v3, s11
	v_sub_nc_u32_e32 v5, v2, v3
	s_delay_alu instid0(VALU_DEP_1) | instskip(NEXT) | instid1(VALU_DEP_1)
	v_mad_u64_u32 v[2:3], null, v5, s14, v[0:1]
	v_mad_u64_u32 v[3:4], null, v5, s15, v[1:2]
	s_delay_alu instid0(VALU_DEP_1)
	v_dual_mov_b32 v0, v2 :: v_dual_mov_b32 v1, v3
.LBB527_288:
	global_load_u16 v2, v1, s[6:7]
	v_mov_b32_e32 v1, s16
	s_mov_b32 s6, exec_lo
	s_waitcnt vmcnt(0)
	v_cmpx_o_f16_e32 v2, v2
	s_cbranch_execz .LBB527_292
; %bb.289:
	v_mov_b32_e32 v1, s30
	s_mov_b32 s7, exec_lo
	v_cmpx_neq_f16_e32 0x7c00, v2
; %bb.290:
	v_cmp_eq_f16_e32 vcc_lo, 0xfc00, v2
	v_cndmask_b32_e64 v1, v2, s17, vcc_lo
; %bb.291:
	s_or_b32 exec_lo, exec_lo, s7
.LBB527_292:
	s_delay_alu instid0(SALU_CYCLE_1)
	s_or_b32 exec_lo, exec_lo, s6
	global_store_b16 v0, v1, s[4:5]
	s_or_b32 exec_lo, exec_lo, s24
                                        ; implicit-def: $vgpr16
                                        ; implicit-def: $vgpr12
	s_and_not1_saveexec_b32 s4, s29
	s_cbranch_execz .LBB527_262
	s_branch .LBB527_8
	.section	.rodata,"a",@progbits
	.p2align	6, 0x0
	.amdhsa_kernel _ZN2at6native32elementwise_kernel_manual_unrollILi128ELi8EZNS0_22gpu_kernel_impl_nocastIZZZNS0_22nan_to_num_kernel_cudaERNS_18TensorIteratorBaseESt8optionalIdES6_S6_ENKUlvE0_clEvENKUlvE1_clEvEUlN3c104HalfEE_EEvS4_RKT_EUlibE_EEviT1_
		.amdhsa_group_segment_fixed_size 0
		.amdhsa_private_segment_fixed_size 0
		.amdhsa_kernarg_size 360
		.amdhsa_user_sgpr_count 15
		.amdhsa_user_sgpr_dispatch_ptr 0
		.amdhsa_user_sgpr_queue_ptr 0
		.amdhsa_user_sgpr_kernarg_segment_ptr 1
		.amdhsa_user_sgpr_dispatch_id 0
		.amdhsa_user_sgpr_private_segment_size 0
		.amdhsa_wavefront_size32 1
		.amdhsa_uses_dynamic_stack 0
		.amdhsa_enable_private_segment 0
		.amdhsa_system_sgpr_workgroup_id_x 1
		.amdhsa_system_sgpr_workgroup_id_y 0
		.amdhsa_system_sgpr_workgroup_id_z 0
		.amdhsa_system_sgpr_workgroup_info 0
		.amdhsa_system_vgpr_workitem_id 0
		.amdhsa_next_free_vgpr 26
		.amdhsa_next_free_sgpr 64
		.amdhsa_reserve_vcc 1
		.amdhsa_float_round_mode_32 0
		.amdhsa_float_round_mode_16_64 0
		.amdhsa_float_denorm_mode_32 3
		.amdhsa_float_denorm_mode_16_64 3
		.amdhsa_dx10_clamp 1
		.amdhsa_ieee_mode 1
		.amdhsa_fp16_overflow 0
		.amdhsa_workgroup_processor_mode 1
		.amdhsa_memory_ordered 1
		.amdhsa_forward_progress 0
		.amdhsa_shared_vgpr_count 0
		.amdhsa_exception_fp_ieee_invalid_op 0
		.amdhsa_exception_fp_denorm_src 0
		.amdhsa_exception_fp_ieee_div_zero 0
		.amdhsa_exception_fp_ieee_overflow 0
		.amdhsa_exception_fp_ieee_underflow 0
		.amdhsa_exception_fp_ieee_inexact 0
		.amdhsa_exception_int_div_zero 0
	.end_amdhsa_kernel
	.section	.text._ZN2at6native32elementwise_kernel_manual_unrollILi128ELi8EZNS0_22gpu_kernel_impl_nocastIZZZNS0_22nan_to_num_kernel_cudaERNS_18TensorIteratorBaseESt8optionalIdES6_S6_ENKUlvE0_clEvENKUlvE1_clEvEUlN3c104HalfEE_EEvS4_RKT_EUlibE_EEviT1_,"axG",@progbits,_ZN2at6native32elementwise_kernel_manual_unrollILi128ELi8EZNS0_22gpu_kernel_impl_nocastIZZZNS0_22nan_to_num_kernel_cudaERNS_18TensorIteratorBaseESt8optionalIdES6_S6_ENKUlvE0_clEvENKUlvE1_clEvEUlN3c104HalfEE_EEvS4_RKT_EUlibE_EEviT1_,comdat
.Lfunc_end527:
	.size	_ZN2at6native32elementwise_kernel_manual_unrollILi128ELi8EZNS0_22gpu_kernel_impl_nocastIZZZNS0_22nan_to_num_kernel_cudaERNS_18TensorIteratorBaseESt8optionalIdES6_S6_ENKUlvE0_clEvENKUlvE1_clEvEUlN3c104HalfEE_EEvS4_RKT_EUlibE_EEviT1_, .Lfunc_end527-_ZN2at6native32elementwise_kernel_manual_unrollILi128ELi8EZNS0_22gpu_kernel_impl_nocastIZZZNS0_22nan_to_num_kernel_cudaERNS_18TensorIteratorBaseESt8optionalIdES6_S6_ENKUlvE0_clEvENKUlvE1_clEvEUlN3c104HalfEE_EEvS4_RKT_EUlibE_EEviT1_
                                        ; -- End function
	.section	.AMDGPU.csdata,"",@progbits
; Kernel info:
; codeLenInByte = 14568
; NumSgprs: 66
; NumVgprs: 26
; ScratchSize: 0
; MemoryBound: 0
; FloatMode: 240
; IeeeMode: 1
; LDSByteSize: 0 bytes/workgroup (compile time only)
; SGPRBlocks: 8
; VGPRBlocks: 3
; NumSGPRsForWavesPerEU: 66
; NumVGPRsForWavesPerEU: 26
; Occupancy: 16
; WaveLimiterHint : 1
; COMPUTE_PGM_RSRC2:SCRATCH_EN: 0
; COMPUTE_PGM_RSRC2:USER_SGPR: 15
; COMPUTE_PGM_RSRC2:TRAP_HANDLER: 0
; COMPUTE_PGM_RSRC2:TGID_X_EN: 1
; COMPUTE_PGM_RSRC2:TGID_Y_EN: 0
; COMPUTE_PGM_RSRC2:TGID_Z_EN: 0
; COMPUTE_PGM_RSRC2:TIDIG_COMP_CNT: 0
	.section	.text._ZN2at6native32elementwise_kernel_manual_unrollILi128ELi4EZNS0_15gpu_kernel_implIZZZNS0_22nan_to_num_kernel_cudaERNS_18TensorIteratorBaseESt8optionalIdES6_S6_ENKUlvE0_clEvENKUlvE1_clEvEUlN3c104HalfEE_EEvS4_RKT_EUlibE_EEviT1_,"axG",@progbits,_ZN2at6native32elementwise_kernel_manual_unrollILi128ELi4EZNS0_15gpu_kernel_implIZZZNS0_22nan_to_num_kernel_cudaERNS_18TensorIteratorBaseESt8optionalIdES6_S6_ENKUlvE0_clEvENKUlvE1_clEvEUlN3c104HalfEE_EEvS4_RKT_EUlibE_EEviT1_,comdat
	.globl	_ZN2at6native32elementwise_kernel_manual_unrollILi128ELi4EZNS0_15gpu_kernel_implIZZZNS0_22nan_to_num_kernel_cudaERNS_18TensorIteratorBaseESt8optionalIdES6_S6_ENKUlvE0_clEvENKUlvE1_clEvEUlN3c104HalfEE_EEvS4_RKT_EUlibE_EEviT1_ ; -- Begin function _ZN2at6native32elementwise_kernel_manual_unrollILi128ELi4EZNS0_15gpu_kernel_implIZZZNS0_22nan_to_num_kernel_cudaERNS_18TensorIteratorBaseESt8optionalIdES6_S6_ENKUlvE0_clEvENKUlvE1_clEvEUlN3c104HalfEE_EEvS4_RKT_EUlibE_EEviT1_
	.p2align	8
	.type	_ZN2at6native32elementwise_kernel_manual_unrollILi128ELi4EZNS0_15gpu_kernel_implIZZZNS0_22nan_to_num_kernel_cudaERNS_18TensorIteratorBaseESt8optionalIdES6_S6_ENKUlvE0_clEvENKUlvE1_clEvEUlN3c104HalfEE_EEvS4_RKT_EUlibE_EEviT1_,@function
_ZN2at6native32elementwise_kernel_manual_unrollILi128ELi4EZNS0_15gpu_kernel_implIZZZNS0_22nan_to_num_kernel_cudaERNS_18TensorIteratorBaseESt8optionalIdES6_S6_ENKUlvE0_clEvENKUlvE1_clEvEUlN3c104HalfEE_EEvS4_RKT_EUlibE_EEviT1_: ; @_ZN2at6native32elementwise_kernel_manual_unrollILi128ELi4EZNS0_15gpu_kernel_implIZZZNS0_22nan_to_num_kernel_cudaERNS_18TensorIteratorBaseESt8optionalIdES6_S6_ENKUlvE0_clEvENKUlvE1_clEvEUlN3c104HalfEE_EEvS4_RKT_EUlibE_EEviT1_
; %bb.0:
	s_clause 0x2
	s_load_b256 s[4:11], s[0:1], 0x8
	s_load_b32 s3, s[0:1], 0x24
	s_load_b32 s16, s[0:1], 0x0
	v_lshl_or_b32 v2, s15, 9, v0
	s_mov_b32 s12, 0
	s_mov_b32 s14, 0
	s_mov_b32 s0, exec_lo
	s_delay_alu instid0(VALU_DEP_1)
	v_or_b32_e32 v0, 0x180, v2
	s_waitcnt lgkmcnt(0)
	s_lshr_b32 s2, s10, 16
	s_lshr_b32 s1, s3, 16
	s_lshr_b32 s3, s3, 24
	v_cmpx_le_i32_e64 s16, v0
	s_xor_b32 s13, exec_lo, s0
	s_cbranch_execz .LBB528_1049
; %bb.1:
	s_mov_b32 s20, -1
	s_mov_b32 s18, 0
	s_mov_b32 s15, 0
	s_mov_b32 s17, exec_lo
	v_cmpx_gt_i32_e64 s16, v2
	s_cbranch_execz .LBB528_256
; %bb.2:
	v_mul_lo_u32 v0, v2, s9
	v_cmp_lt_i16_e64 s0, s3, 11
	s_delay_alu instid0(VALU_DEP_2) | instskip(SKIP_1) | instid1(VALU_DEP_2)
	v_ashrrev_i32_e32 v1, 31, v0
	v_add_co_u32 v0, vcc_lo, s6, v0
	v_add_co_ci_u32_e32 v1, vcc_lo, s7, v1, vcc_lo
	s_delay_alu instid0(VALU_DEP_4)
	s_and_b32 vcc_lo, exec_lo, s0
	s_cbranch_vccnz .LBB528_9
; %bb.3:
	v_cmp_gt_i16_e64 s0, s3, 25
	s_delay_alu instid0(VALU_DEP_1)
	s_and_b32 vcc_lo, exec_lo, s0
	s_cbranch_vccz .LBB528_22
; %bb.4:
	v_cmp_gt_i16_e64 s0, s3, 28
	s_delay_alu instid0(VALU_DEP_1)
	s_and_b32 vcc_lo, exec_lo, s0
	s_cbranch_vccz .LBB528_25
	;; [unrolled: 5-line block ×4, first 2 shown]
; %bb.7:
	v_cmp_eq_u16_e64 s0, s3, 46
	s_delay_alu instid0(VALU_DEP_1)
	s_and_b32 vcc_lo, exec_lo, s0
	s_cbranch_vccz .LBB528_31
; %bb.8:
	global_load_b32 v3, v[0:1], off
	s_mov_b32 s0, -1
	s_waitcnt vmcnt(0)
	v_lshlrev_b32_e32 v3, 16, v3
	s_delay_alu instid0(VALU_DEP_1)
	v_cvt_f16_f32_e32 v4, v3
	s_branch .LBB528_33
.LBB528_9:
	s_mov_b32 s0, 0
                                        ; implicit-def: $vgpr4
	s_cbranch_execnz .LBB528_206
.LBB528_10:
	s_and_not1_b32 vcc_lo, exec_lo, s0
	s_cbranch_vccnz .LBB528_253
.LBB528_11:
	v_mov_b32_e32 v3, s10
	s_mov_b32 s0, exec_lo
	s_waitcnt vmcnt(0)
	v_cmpx_o_f16_e32 v4, v4
	s_cbranch_execz .LBB528_15
; %bb.12:
	v_mov_b32_e32 v3, s2
	s_mov_b32 s14, exec_lo
	v_cmpx_neq_f16_e32 0x7c00, v4
; %bb.13:
	v_cmp_eq_f16_e32 vcc_lo, 0xfc00, v4
	v_cndmask_b32_e64 v3, v4, s11, vcc_lo
; %bb.14:
	s_or_b32 exec_lo, exec_lo, s14
.LBB528_15:
	s_delay_alu instid0(SALU_CYCLE_1) | instskip(SKIP_2) | instid1(VALU_DEP_1)
	s_or_b32 exec_lo, exec_lo, s0
	v_mul_lo_u32 v0, v2, s8
	v_and_b32_e64 v4, 0xff, s1
	v_cmp_gt_i16_e32 vcc_lo, 11, v4
	s_delay_alu instid0(VALU_DEP_3) | instskip(SKIP_1) | instid1(VALU_DEP_1)
	v_ashrrev_i32_e32 v1, 31, v0
	v_add_co_u32 v0, s0, s4, v0
	v_add_co_ci_u32_e64 v1, s0, s5, v1, s0
	s_cbranch_vccnz .LBB528_23
; %bb.16:
	v_cmp_lt_i16_e32 vcc_lo, 25, v4
	s_cbranch_vccz .LBB528_26
; %bb.17:
	v_cmp_lt_i16_e32 vcc_lo, 28, v4
	s_cbranch_vccz .LBB528_28
	;; [unrolled: 3-line block ×4, first 2 shown]
; %bb.20:
	v_cmp_eq_u16_e32 vcc_lo, 46, v4
	s_mov_b32 s19, 0
	s_mov_b32 s0, -1
	s_mov_b32 s14, 0
	s_cbranch_vccz .LBB528_37
; %bb.21:
	v_cvt_f32_f16_e32 v5, v3
	v_cmp_o_f16_e32 vcc_lo, v3, v3
	s_mov_b32 s14, -1
	s_mov_b32 s0, 0
	s_delay_alu instid0(VALU_DEP_2) | instskip(NEXT) | instid1(VALU_DEP_1)
	v_bfe_u32 v6, v5, 16, 1
	v_add3_u32 v5, v5, v6, 0x7fff
	s_delay_alu instid0(VALU_DEP_1) | instskip(NEXT) | instid1(VALU_DEP_1)
	v_lshrrev_b32_e32 v5, 16, v5
	v_cndmask_b32_e32 v5, 0x7fc0, v5, vcc_lo
	global_store_b32 v[0:1], v5, off
	s_branch .LBB528_37
.LBB528_22:
	s_mov_b32 s0, 0
                                        ; implicit-def: $vgpr4
	s_cbranch_execnz .LBB528_171
	s_branch .LBB528_205
.LBB528_23:
	s_mov_b32 s0, 0
	s_mov_b32 s14, 0
	s_cbranch_execnz .LBB528_106
.LBB528_24:
	s_and_not1_b32 vcc_lo, exec_lo, s14
	s_cbranch_vccnz .LBB528_254
	s_branch .LBB528_144
.LBB528_25:
	s_mov_b32 s14, -1
	s_mov_b32 s0, 0
                                        ; implicit-def: $vgpr4
	s_branch .LBB528_152
.LBB528_26:
	s_mov_b32 s19, -1
	s_mov_b32 s0, 0
	s_mov_b32 s14, 0
	s_branch .LBB528_64
.LBB528_27:
	s_mov_b32 s14, -1
	s_mov_b32 s0, 0
                                        ; implicit-def: $vgpr4
	s_branch .LBB528_147
.LBB528_28:
	s_mov_b32 s19, -1
	s_mov_b32 s0, 0
	s_mov_b32 s14, 0
	s_branch .LBB528_47
.LBB528_29:
	s_mov_b32 s14, -1
	s_branch .LBB528_32
.LBB528_30:
	s_mov_b32 s19, -1
	s_mov_b32 s0, 0
	s_mov_b32 s14, 0
	s_branch .LBB528_43
.LBB528_31:
	s_mov_b32 s15, -1
.LBB528_32:
	s_mov_b32 s0, 0
                                        ; implicit-def: $vgpr4
.LBB528_33:
	s_and_b32 vcc_lo, exec_lo, s14
	s_cbranch_vccz .LBB528_146
; %bb.34:
	v_cmp_eq_u16_e64 s14, s3, 44
	s_delay_alu instid0(VALU_DEP_1)
	s_and_b32 vcc_lo, exec_lo, s14
	s_cbranch_vccz .LBB528_145
; %bb.35:
	global_load_u8 v3, v[0:1], off
	s_mov_b32 s15, 0
	s_mov_b32 s0, -1
	s_waitcnt vmcnt(0)
	v_lshlrev_b32_e32 v4, 23, v3
	v_cmp_ne_u32_e32 vcc_lo, 0xff, v3
	s_delay_alu instid0(VALU_DEP_2) | instskip(NEXT) | instid1(VALU_DEP_1)
	v_cvt_f16_f32_e32 v4, v4
	v_cndmask_b32_e32 v4, 0x7e00, v4, vcc_lo
	v_cmp_ne_u32_e32 vcc_lo, 0, v3
	s_delay_alu instid0(VALU_DEP_2)
	v_cndmask_b32_e32 v4, 0, v4, vcc_lo
	s_branch .LBB528_146
.LBB528_36:
	s_mov_b32 s19, -1
	s_mov_b32 s0, 0
	s_mov_b32 s14, 0
.LBB528_37:
	s_and_b32 vcc_lo, exec_lo, s19
	s_cbranch_vccz .LBB528_42
; %bb.38:
	v_cmp_eq_u16_e32 vcc_lo, 44, v4
	s_mov_b32 s0, -1
	s_cbranch_vccz .LBB528_42
; %bb.39:
	v_cvt_f32_f16_e32 v5, v3
	v_mov_b32_e32 v6, 0xff
	s_mov_b32 s14, exec_lo
	s_delay_alu instid0(VALU_DEP_2) | instskip(NEXT) | instid1(VALU_DEP_1)
	v_bfe_u32 v7, v5, 23, 8
	v_cmpx_ne_u32_e32 0xff, v7
; %bb.40:
	v_and_b32_e32 v6, 0x400000, v5
	v_and_or_b32 v7, 0x3fffff, v5, v7
	v_lshrrev_b32_e32 v5, 23, v5
	s_delay_alu instid0(VALU_DEP_3) | instskip(NEXT) | instid1(VALU_DEP_3)
	v_cmp_ne_u32_e32 vcc_lo, 0, v6
	v_cmp_ne_u32_e64 s0, 0, v7
	s_delay_alu instid0(VALU_DEP_1) | instskip(NEXT) | instid1(SALU_CYCLE_1)
	s_and_b32 s0, vcc_lo, s0
	v_cndmask_b32_e64 v6, 0, 1, s0
	s_delay_alu instid0(VALU_DEP_1)
	v_add_nc_u32_e32 v6, v5, v6
; %bb.41:
	s_or_b32 exec_lo, exec_lo, s14
	s_mov_b32 s14, -1
	s_mov_b32 s0, 0
	global_store_b8 v[0:1], v6, off
.LBB528_42:
	s_mov_b32 s19, 0
.LBB528_43:
	s_delay_alu instid0(SALU_CYCLE_1)
	s_and_b32 vcc_lo, exec_lo, s19
	s_cbranch_vccz .LBB528_46
; %bb.44:
	v_cmp_eq_u16_e32 vcc_lo, 29, v4
	s_mov_b32 s0, -1
	s_cbranch_vccz .LBB528_46
; %bb.45:
	v_cvt_f32_f16_e32 v5, v3
	v_mov_b32_e32 v6, 0
	s_mov_b32 s0, 0
	s_mov_b32 s14, -1
	s_mov_b32 s19, 0
	v_cvt_u32_f32_e32 v5, v5
	global_store_b64 v[0:1], v[5:6], off
	s_branch .LBB528_47
.LBB528_46:
	s_mov_b32 s19, 0
.LBB528_47:
	s_delay_alu instid0(SALU_CYCLE_1)
	s_and_b32 vcc_lo, exec_lo, s19
	s_cbranch_vccz .LBB528_63
; %bb.48:
	v_cmp_gt_i16_e32 vcc_lo, 27, v4
	s_mov_b32 s14, -1
	s_cbranch_vccnz .LBB528_54
; %bb.49:
	v_cmp_lt_i16_e32 vcc_lo, 27, v4
	s_cbranch_vccz .LBB528_51
; %bb.50:
	v_cvt_f32_f16_e32 v5, v3
	s_mov_b32 s14, 0
	s_delay_alu instid0(VALU_DEP_1)
	v_cvt_u32_f32_e32 v5, v5
	global_store_b32 v[0:1], v5, off
.LBB528_51:
	s_and_not1_b32 vcc_lo, exec_lo, s14
	s_cbranch_vccnz .LBB528_53
; %bb.52:
	v_cvt_u16_f16_e32 v5, v3
	global_store_b16 v[0:1], v5, off
.LBB528_53:
	s_mov_b32 s14, 0
.LBB528_54:
	s_delay_alu instid0(SALU_CYCLE_1)
	s_and_not1_b32 vcc_lo, exec_lo, s14
	s_cbranch_vccnz .LBB528_62
; %bb.55:
	v_cvt_f32_f16_e32 v5, v3
	v_mov_b32_e32 v7, 0x80
	s_mov_b32 s14, exec_lo
	s_delay_alu instid0(VALU_DEP_2) | instskip(NEXT) | instid1(VALU_DEP_1)
	v_and_b32_e32 v6, 0x7fffffff, v5
	v_cmpx_gt_u32_e32 0x43800000, v6
	s_cbranch_execz .LBB528_61
; %bb.56:
	v_cmp_lt_u32_e32 vcc_lo, 0x3bffffff, v6
	s_mov_b32 s19, 0
                                        ; implicit-def: $vgpr6
	s_and_saveexec_b32 s20, vcc_lo
	s_delay_alu instid0(SALU_CYCLE_1)
	s_xor_b32 s20, exec_lo, s20
	s_cbranch_execz .LBB528_284
; %bb.57:
	v_bfe_u32 v6, v5, 20, 1
	s_mov_b32 s19, exec_lo
	s_delay_alu instid0(VALU_DEP_1) | instskip(NEXT) | instid1(VALU_DEP_1)
	v_add3_u32 v6, v5, v6, 0x487ffff
	v_lshrrev_b32_e32 v6, 20, v6
	s_or_saveexec_b32 s20, s20
                                        ; implicit-def: $sgpr21
	s_delay_alu instid0(SALU_CYCLE_1)
	s_xor_b32 exec_lo, exec_lo, s20
	s_cbranch_execnz .LBB528_285
.LBB528_58:
	s_or_b32 exec_lo, exec_lo, s20
	v_mov_b32_e32 v7, s21
	s_and_saveexec_b32 s20, s19
.LBB528_59:
	v_lshrrev_b32_e32 v5, 24, v5
	s_delay_alu instid0(VALU_DEP_1)
	v_and_or_b32 v7, 0x80, v5, v6
.LBB528_60:
	s_or_b32 exec_lo, exec_lo, s20
.LBB528_61:
	s_delay_alu instid0(SALU_CYCLE_1)
	s_or_b32 exec_lo, exec_lo, s14
	global_store_b8 v[0:1], v7, off
.LBB528_62:
	s_mov_b32 s14, -1
.LBB528_63:
	s_mov_b32 s19, 0
.LBB528_64:
	s_delay_alu instid0(SALU_CYCLE_1)
	s_and_b32 vcc_lo, exec_lo, s19
	s_cbranch_vccz .LBB528_105
; %bb.65:
	v_cmp_lt_i16_e32 vcc_lo, 22, v4
	s_mov_b32 s19, -1
	s_cbranch_vccz .LBB528_97
; %bb.66:
	v_cmp_gt_i16_e32 vcc_lo, 24, v4
	s_mov_b32 s14, -1
	s_cbranch_vccnz .LBB528_86
; %bb.67:
	v_cmp_lt_i16_e32 vcc_lo, 24, v4
	s_cbranch_vccz .LBB528_75
; %bb.68:
	v_cvt_f32_f16_e32 v5, v3
	v_mov_b32_e32 v7, 0x80
	s_mov_b32 s14, exec_lo
	s_delay_alu instid0(VALU_DEP_2) | instskip(NEXT) | instid1(VALU_DEP_1)
	v_and_b32_e32 v6, 0x7fffffff, v5
	v_cmpx_gt_u32_e32 0x47800000, v6
	s_cbranch_execz .LBB528_74
; %bb.69:
	v_cmp_lt_u32_e32 vcc_lo, 0x37ffffff, v6
	s_mov_b32 s19, 0
                                        ; implicit-def: $vgpr6
	s_and_saveexec_b32 s20, vcc_lo
	s_delay_alu instid0(SALU_CYCLE_1)
	s_xor_b32 s20, exec_lo, s20
	s_cbranch_execz .LBB528_288
; %bb.70:
	v_bfe_u32 v6, v5, 21, 1
	s_mov_b32 s19, exec_lo
	s_delay_alu instid0(VALU_DEP_1) | instskip(NEXT) | instid1(VALU_DEP_1)
	v_add3_u32 v6, v5, v6, 0x88fffff
	v_lshrrev_b32_e32 v6, 21, v6
	s_or_saveexec_b32 s20, s20
                                        ; implicit-def: $sgpr21
	s_delay_alu instid0(SALU_CYCLE_1)
	s_xor_b32 exec_lo, exec_lo, s20
	s_cbranch_execnz .LBB528_289
.LBB528_71:
	s_or_b32 exec_lo, exec_lo, s20
	v_mov_b32_e32 v7, s21
	s_and_saveexec_b32 s20, s19
.LBB528_72:
	v_lshrrev_b32_e32 v5, 24, v5
	s_delay_alu instid0(VALU_DEP_1)
	v_and_or_b32 v7, 0x80, v5, v6
.LBB528_73:
	s_or_b32 exec_lo, exec_lo, s20
.LBB528_74:
	s_delay_alu instid0(SALU_CYCLE_1)
	s_or_b32 exec_lo, exec_lo, s14
	s_mov_b32 s14, 0
	global_store_b8 v[0:1], v7, off
.LBB528_75:
	s_and_b32 vcc_lo, exec_lo, s14
	s_cbranch_vccz .LBB528_85
; %bb.76:
	v_cvt_f32_f16_e32 v5, v3
	s_mov_b32 s14, exec_lo
                                        ; implicit-def: $vgpr6
	s_delay_alu instid0(VALU_DEP_1) | instskip(NEXT) | instid1(VALU_DEP_1)
	v_and_b32_e32 v7, 0x7fffffff, v5
	v_cmpx_gt_u32_e32 0x43f00000, v7
	s_xor_b32 s14, exec_lo, s14
	s_cbranch_execz .LBB528_82
; %bb.77:
	s_mov_b32 s19, exec_lo
                                        ; implicit-def: $vgpr6
	v_cmpx_lt_u32_e32 0x3c7fffff, v7
	s_xor_b32 s19, exec_lo, s19
; %bb.78:
	v_bfe_u32 v6, v5, 20, 1
	s_delay_alu instid0(VALU_DEP_1) | instskip(NEXT) | instid1(VALU_DEP_1)
	v_add3_u32 v6, v5, v6, 0x407ffff
	v_and_b32_e32 v7, 0xff00000, v6
	v_lshrrev_b32_e32 v6, 20, v6
	s_delay_alu instid0(VALU_DEP_2) | instskip(NEXT) | instid1(VALU_DEP_2)
	v_cmp_ne_u32_e32 vcc_lo, 0x7f00000, v7
	v_cndmask_b32_e32 v6, 0x7e, v6, vcc_lo
; %bb.79:
	s_and_not1_saveexec_b32 s19, s19
; %bb.80:
	v_add_f32_e64 v6, 0x46800000, |v5|
; %bb.81:
	s_or_b32 exec_lo, exec_lo, s19
                                        ; implicit-def: $vgpr7
.LBB528_82:
	s_and_not1_saveexec_b32 s14, s14
; %bb.83:
	v_mov_b32_e32 v6, 0x7f
	v_cmp_lt_u32_e32 vcc_lo, 0x7f800000, v7
	s_delay_alu instid0(VALU_DEP_2)
	v_cndmask_b32_e32 v6, 0x7e, v6, vcc_lo
; %bb.84:
	s_or_b32 exec_lo, exec_lo, s14
	v_lshrrev_b32_e32 v5, 24, v5
	s_delay_alu instid0(VALU_DEP_1)
	v_and_or_b32 v5, 0x80, v5, v6
	global_store_b8 v[0:1], v5, off
.LBB528_85:
	s_mov_b32 s14, 0
.LBB528_86:
	s_delay_alu instid0(SALU_CYCLE_1)
	s_and_not1_b32 vcc_lo, exec_lo, s14
	s_cbranch_vccnz .LBB528_96
; %bb.87:
	v_cvt_f32_f16_e32 v5, v3
	s_mov_b32 s14, exec_lo
                                        ; implicit-def: $vgpr6
	s_delay_alu instid0(VALU_DEP_1) | instskip(NEXT) | instid1(VALU_DEP_1)
	v_and_b32_e32 v7, 0x7fffffff, v5
	v_cmpx_gt_u32_e32 0x47800000, v7
	s_xor_b32 s14, exec_lo, s14
	s_cbranch_execz .LBB528_93
; %bb.88:
	s_mov_b32 s19, exec_lo
                                        ; implicit-def: $vgpr6
	v_cmpx_lt_u32_e32 0x387fffff, v7
	s_xor_b32 s19, exec_lo, s19
; %bb.89:
	v_bfe_u32 v6, v5, 21, 1
	s_delay_alu instid0(VALU_DEP_1) | instskip(NEXT) | instid1(VALU_DEP_1)
	v_add3_u32 v6, v5, v6, 0x80fffff
	v_lshrrev_b32_e32 v6, 21, v6
; %bb.90:
	s_and_not1_saveexec_b32 s19, s19
; %bb.91:
	v_add_f32_e64 v6, 0x43000000, |v5|
; %bb.92:
	s_or_b32 exec_lo, exec_lo, s19
                                        ; implicit-def: $vgpr7
.LBB528_93:
	s_and_not1_saveexec_b32 s14, s14
; %bb.94:
	v_mov_b32_e32 v6, 0x7f
	v_cmp_lt_u32_e32 vcc_lo, 0x7f800000, v7
	s_delay_alu instid0(VALU_DEP_2)
	v_cndmask_b32_e32 v6, 0x7c, v6, vcc_lo
; %bb.95:
	s_or_b32 exec_lo, exec_lo, s14
	v_lshrrev_b32_e32 v5, 24, v5
	s_delay_alu instid0(VALU_DEP_1)
	v_and_or_b32 v5, 0x80, v5, v6
	global_store_b8 v[0:1], v5, off
.LBB528_96:
	s_mov_b32 s19, 0
	s_mov_b32 s14, -1
.LBB528_97:
	s_and_not1_b32 vcc_lo, exec_lo, s19
	s_cbranch_vccnz .LBB528_105
; %bb.98:
	v_cmp_lt_i16_e32 vcc_lo, 14, v4
	s_mov_b32 s19, -1
	s_cbranch_vccz .LBB528_102
; %bb.99:
	v_cmp_eq_u16_e32 vcc_lo, 15, v4
	s_mov_b32 s0, -1
	s_cbranch_vccz .LBB528_101
; %bb.100:
	v_cvt_f32_f16_e32 v5, v3
	v_cmp_o_f16_e32 vcc_lo, v3, v3
	s_mov_b32 s14, -1
	s_mov_b32 s0, 0
	s_delay_alu instid0(VALU_DEP_2) | instskip(NEXT) | instid1(VALU_DEP_1)
	v_bfe_u32 v6, v5, 16, 1
	v_add3_u32 v5, v5, v6, 0x7fff
	s_delay_alu instid0(VALU_DEP_1) | instskip(NEXT) | instid1(VALU_DEP_1)
	v_lshrrev_b32_e32 v5, 16, v5
	v_cndmask_b32_e32 v5, 0x7fc0, v5, vcc_lo
	global_store_b16 v[0:1], v5, off
.LBB528_101:
	s_mov_b32 s19, 0
.LBB528_102:
	s_delay_alu instid0(SALU_CYCLE_1)
	s_and_b32 vcc_lo, exec_lo, s19
	s_cbranch_vccz .LBB528_105
; %bb.103:
	v_cmp_eq_u16_e32 vcc_lo, 11, v4
	s_mov_b32 s0, -1
	s_cbranch_vccz .LBB528_105
; %bb.104:
	v_and_b32_e32 v5, 0x7fff, v3
	s_mov_b32 s0, 0
	s_mov_b32 s14, -1
	s_delay_alu instid0(VALU_DEP_1)
	v_cmp_ne_u16_e32 vcc_lo, 0, v5
	v_cndmask_b32_e64 v5, 0, 1, vcc_lo
	global_store_b8 v[0:1], v5, off
.LBB528_105:
	s_branch .LBB528_24
.LBB528_106:
	v_cmp_gt_i16_e32 vcc_lo, 5, v4
	s_mov_b32 s14, -1
	s_cbranch_vccnz .LBB528_127
; %bb.107:
	v_cmp_gt_i16_e32 vcc_lo, 8, v4
	s_cbranch_vccnz .LBB528_117
; %bb.108:
	v_cmp_gt_i16_e32 vcc_lo, 9, v4
	s_cbranch_vccnz .LBB528_114
; %bb.109:
	v_cmp_lt_i16_e32 vcc_lo, 9, v4
	s_cbranch_vccz .LBB528_111
; %bb.110:
	v_cvt_f32_f16_e32 v5, v3
	v_mov_b32_e32 v7, 0
	s_mov_b32 s14, 0
	s_delay_alu instid0(VALU_DEP_2) | instskip(NEXT) | instid1(VALU_DEP_2)
	v_cvt_f64_f32_e32 v[5:6], v5
	v_mov_b32_e32 v8, v7
	global_store_b128 v[0:1], v[5:8], off
.LBB528_111:
	s_and_not1_b32 vcc_lo, exec_lo, s14
	s_cbranch_vccnz .LBB528_113
; %bb.112:
	v_cvt_f32_f16_e32 v5, v3
	v_mov_b32_e32 v6, 0
	global_store_b64 v[0:1], v[5:6], off
.LBB528_113:
	s_mov_b32 s14, 0
.LBB528_114:
	s_delay_alu instid0(SALU_CYCLE_1)
	s_and_not1_b32 vcc_lo, exec_lo, s14
	s_cbranch_vccnz .LBB528_116
; %bb.115:
	v_and_b32_e32 v5, 0xffff, v3
	global_store_b32 v[0:1], v5, off
.LBB528_116:
	s_mov_b32 s14, 0
.LBB528_117:
	s_delay_alu instid0(SALU_CYCLE_1)
	s_and_not1_b32 vcc_lo, exec_lo, s14
	s_cbranch_vccnz .LBB528_126
; %bb.118:
	v_cmp_gt_i16_e32 vcc_lo, 6, v4
	s_mov_b32 s14, -1
	s_cbranch_vccnz .LBB528_124
; %bb.119:
	v_cmp_lt_i16_e32 vcc_lo, 6, v4
	s_cbranch_vccz .LBB528_121
; %bb.120:
	v_cvt_f32_f16_e32 v5, v3
	s_mov_b32 s14, 0
	s_delay_alu instid0(VALU_DEP_1)
	v_cvt_f64_f32_e32 v[5:6], v5
	global_store_b64 v[0:1], v[5:6], off
.LBB528_121:
	s_and_not1_b32 vcc_lo, exec_lo, s14
	s_cbranch_vccnz .LBB528_123
; %bb.122:
	v_cvt_f32_f16_e32 v5, v3
	global_store_b32 v[0:1], v5, off
.LBB528_123:
	s_mov_b32 s14, 0
.LBB528_124:
	s_delay_alu instid0(SALU_CYCLE_1)
	s_and_not1_b32 vcc_lo, exec_lo, s14
	s_cbranch_vccnz .LBB528_126
; %bb.125:
	global_store_b16 v[0:1], v3, off
.LBB528_126:
	s_mov_b32 s14, 0
.LBB528_127:
	s_delay_alu instid0(SALU_CYCLE_1)
	s_and_not1_b32 vcc_lo, exec_lo, s14
	s_cbranch_vccnz .LBB528_143
; %bb.128:
	v_cmp_gt_i16_e32 vcc_lo, 2, v4
	s_mov_b32 s14, -1
	s_cbranch_vccnz .LBB528_138
; %bb.129:
	v_cmp_gt_i16_e32 vcc_lo, 3, v4
	s_cbranch_vccnz .LBB528_135
; %bb.130:
	v_cmp_lt_i16_e32 vcc_lo, 3, v4
	s_cbranch_vccz .LBB528_132
; %bb.131:
	v_cvt_f32_f16_e32 v5, v3
	s_mov_b32 s14, 0
	s_delay_alu instid0(VALU_DEP_1) | instskip(NEXT) | instid1(VALU_DEP_1)
	v_cvt_i32_f32_e32 v5, v5
	v_ashrrev_i32_e32 v6, 31, v5
	global_store_b64 v[0:1], v[5:6], off
.LBB528_132:
	s_and_not1_b32 vcc_lo, exec_lo, s14
	s_cbranch_vccnz .LBB528_134
; %bb.133:
	v_cvt_f32_f16_e32 v5, v3
	s_delay_alu instid0(VALU_DEP_1)
	v_cvt_i32_f32_e32 v5, v5
	global_store_b32 v[0:1], v5, off
.LBB528_134:
	s_mov_b32 s14, 0
.LBB528_135:
	s_delay_alu instid0(SALU_CYCLE_1)
	s_and_not1_b32 vcc_lo, exec_lo, s14
	s_cbranch_vccnz .LBB528_137
; %bb.136:
	v_cvt_i16_f16_e32 v5, v3
	global_store_b16 v[0:1], v5, off
.LBB528_137:
	s_mov_b32 s14, 0
.LBB528_138:
	s_delay_alu instid0(SALU_CYCLE_1)
	s_and_not1_b32 vcc_lo, exec_lo, s14
	s_cbranch_vccnz .LBB528_143
; %bb.139:
	v_cmp_lt_i16_e32 vcc_lo, 0, v4
	s_mov_b32 s14, -1
	s_cbranch_vccz .LBB528_141
; %bb.140:
	v_cvt_i16_f16_e32 v4, v3
	s_mov_b32 s14, 0
	global_store_b8 v[0:1], v4, off
.LBB528_141:
	s_and_not1_b32 vcc_lo, exec_lo, s14
	s_cbranch_vccnz .LBB528_143
; %bb.142:
	v_cvt_f32_f16_e32 v3, v3
	s_delay_alu instid0(VALU_DEP_1)
	v_cvt_i32_f32_e32 v3, v3
	global_store_b8 v[0:1], v3, off
.LBB528_143:
.LBB528_144:
	v_add_nc_u32_e32 v2, 0x80, v2
	s_mov_b32 s19, -1
	s_branch .LBB528_255
.LBB528_145:
	s_mov_b32 s15, -1
                                        ; implicit-def: $vgpr4
.LBB528_146:
	s_mov_b32 s14, 0
.LBB528_147:
	s_delay_alu instid0(SALU_CYCLE_1)
	s_and_b32 vcc_lo, exec_lo, s14
	s_cbranch_vccz .LBB528_151
; %bb.148:
	v_cmp_eq_u16_e64 s14, s3, 29
	s_delay_alu instid0(VALU_DEP_1)
	s_and_b32 vcc_lo, exec_lo, s14
	s_cbranch_vccz .LBB528_150
; %bb.149:
	global_load_b64 v[3:4], v[0:1], off
	s_mov_b32 s0, -1
	s_mov_b32 s15, 0
	s_mov_b32 s14, 0
	s_waitcnt vmcnt(0)
	v_clz_i32_u32_e32 v5, v4
	s_delay_alu instid0(VALU_DEP_1) | instskip(NEXT) | instid1(VALU_DEP_1)
	v_min_u32_e32 v5, 32, v5
	v_lshlrev_b64 v[3:4], v5, v[3:4]
	s_delay_alu instid0(VALU_DEP_1) | instskip(NEXT) | instid1(VALU_DEP_1)
	v_min_u32_e32 v3, 1, v3
	v_or_b32_e32 v3, v4, v3
	v_sub_nc_u32_e32 v4, 32, v5
	s_delay_alu instid0(VALU_DEP_2) | instskip(NEXT) | instid1(VALU_DEP_1)
	v_cvt_f32_u32_e32 v3, v3
	v_ldexp_f32 v3, v3, v4
	s_delay_alu instid0(VALU_DEP_1)
	v_cvt_f16_f32_e32 v4, v3
	s_branch .LBB528_152
.LBB528_150:
	s_mov_b32 s15, -1
                                        ; implicit-def: $vgpr4
.LBB528_151:
	s_mov_b32 s14, 0
.LBB528_152:
	s_delay_alu instid0(SALU_CYCLE_1)
	s_and_b32 vcc_lo, exec_lo, s14
	s_cbranch_vccz .LBB528_170
; %bb.153:
	v_cmp_lt_i16_e64 s0, s3, 27
	s_delay_alu instid0(VALU_DEP_1)
	s_and_b32 vcc_lo, exec_lo, s0
	s_cbranch_vccnz .LBB528_156
; %bb.154:
	v_cmp_gt_i16_e64 s0, s3, 27
	s_delay_alu instid0(VALU_DEP_1)
	s_and_b32 vcc_lo, exec_lo, s0
	s_cbranch_vccz .LBB528_157
; %bb.155:
	global_load_b32 v3, v[0:1], off
	s_mov_b32 s0, 0
	s_waitcnt vmcnt(0)
	v_cvt_f32_u32_e32 v3, v3
	s_delay_alu instid0(VALU_DEP_1)
	v_cvt_f16_f32_e32 v4, v3
	s_branch .LBB528_158
.LBB528_156:
	s_mov_b32 s0, -1
                                        ; implicit-def: $vgpr4
	s_branch .LBB528_161
.LBB528_157:
	s_mov_b32 s0, -1
                                        ; implicit-def: $vgpr4
.LBB528_158:
	s_delay_alu instid0(SALU_CYCLE_1)
	s_and_not1_b32 vcc_lo, exec_lo, s0
	s_cbranch_vccnz .LBB528_160
; %bb.159:
	global_load_u16 v3, v[0:1], off
	s_waitcnt vmcnt(0)
	v_cvt_f16_u16_e32 v4, v3
.LBB528_160:
	s_mov_b32 s0, 0
.LBB528_161:
	s_delay_alu instid0(SALU_CYCLE_1)
	s_and_not1_b32 vcc_lo, exec_lo, s0
	s_cbranch_vccnz .LBB528_169
; %bb.162:
	global_load_u8 v3, v[0:1], off
	s_mov_b32 s0, 0
	s_mov_b32 s19, exec_lo
                                        ; implicit-def: $sgpr14
	s_waitcnt vmcnt(0)
	v_cmpx_lt_i16_e32 0x7f, v3
	s_xor_b32 s19, exec_lo, s19
	s_cbranch_execz .LBB528_182
; %bb.163:
	s_mov_b32 s0, -1
	s_mov_b32 s20, exec_lo
                                        ; implicit-def: $sgpr14
	v_cmpx_eq_u16_e32 0x80, v3
; %bb.164:
	s_movk_i32 s14, 0x7e00
	s_xor_b32 s0, exec_lo, -1
; %bb.165:
	s_or_b32 exec_lo, exec_lo, s20
	s_delay_alu instid0(SALU_CYCLE_1)
	s_and_b32 s0, s0, exec_lo
	s_or_saveexec_b32 s19, s19
	v_mov_b32_e32 v4, s14
	s_xor_b32 exec_lo, exec_lo, s19
	s_cbranch_execnz .LBB528_183
.LBB528_166:
	s_or_b32 exec_lo, exec_lo, s19
	s_and_saveexec_b32 s14, s0
	s_cbranch_execz .LBB528_168
.LBB528_167:
	v_and_b32_e32 v4, 0xffff, v3
	v_lshlrev_b32_e32 v3, 24, v3
	s_delay_alu instid0(VALU_DEP_2) | instskip(NEXT) | instid1(VALU_DEP_2)
	v_and_b32_e32 v5, 7, v4
	v_and_b32_e32 v3, 0x80000000, v3
	s_delay_alu instid0(VALU_DEP_2) | instskip(NEXT) | instid1(VALU_DEP_1)
	v_clz_i32_u32_e32 v6, v5
	v_min_u32_e32 v6, 32, v6
	s_delay_alu instid0(VALU_DEP_1) | instskip(SKIP_1) | instid1(VALU_DEP_2)
	v_subrev_nc_u32_e32 v7, 28, v6
	v_sub_nc_u32_e32 v6, 29, v6
	v_lshlrev_b32_e32 v7, v7, v4
	v_bfe_u32 v4, v4, 3, 4
	s_delay_alu instid0(VALU_DEP_2) | instskip(NEXT) | instid1(VALU_DEP_2)
	v_and_b32_e32 v7, 7, v7
	v_cmp_eq_u32_e32 vcc_lo, 0, v4
	s_delay_alu instid0(VALU_DEP_2) | instskip(NEXT) | instid1(VALU_DEP_1)
	v_dual_cndmask_b32 v4, v4, v6 :: v_dual_cndmask_b32 v5, v5, v7
	v_lshl_add_u32 v4, v4, 23, 0x3b800000
	s_delay_alu instid0(VALU_DEP_2) | instskip(NEXT) | instid1(VALU_DEP_1)
	v_lshlrev_b32_e32 v5, 20, v5
	v_or3_b32 v3, v3, v4, v5
	s_delay_alu instid0(VALU_DEP_1)
	v_cvt_f16_f32_e32 v4, v3
.LBB528_168:
	s_or_b32 exec_lo, exec_lo, s14
.LBB528_169:
	s_mov_b32 s0, -1
.LBB528_170:
	s_branch .LBB528_205
.LBB528_171:
	v_cmp_gt_i16_e64 s14, s3, 22
	s_delay_alu instid0(VALU_DEP_1)
	s_and_b32 vcc_lo, exec_lo, s14
	s_cbranch_vccz .LBB528_181
; %bb.172:
	v_cmp_lt_i16_e64 s0, s3, 24
	s_delay_alu instid0(VALU_DEP_1)
	s_and_b32 vcc_lo, exec_lo, s0
	s_cbranch_vccnz .LBB528_184
; %bb.173:
	v_cmp_gt_i16_e64 s0, s3, 24
	s_delay_alu instid0(VALU_DEP_1)
	s_and_b32 vcc_lo, exec_lo, s0
	s_cbranch_vccz .LBB528_185
; %bb.174:
	global_load_u8 v3, v[0:1], off
	s_mov_b32 s0, 0
	s_mov_b32 s19, exec_lo
                                        ; implicit-def: $sgpr14
	s_waitcnt vmcnt(0)
	v_cmpx_lt_i16_e32 0x7f, v3
	s_xor_b32 s19, exec_lo, s19
	s_cbranch_execz .LBB528_197
; %bb.175:
	s_mov_b32 s0, -1
	s_mov_b32 s20, exec_lo
                                        ; implicit-def: $sgpr14
	v_cmpx_eq_u16_e32 0x80, v3
; %bb.176:
	s_movk_i32 s14, 0x7e00
	s_xor_b32 s0, exec_lo, -1
; %bb.177:
	s_or_b32 exec_lo, exec_lo, s20
	s_delay_alu instid0(SALU_CYCLE_1)
	s_and_b32 s0, s0, exec_lo
	s_or_saveexec_b32 s19, s19
	v_mov_b32_e32 v4, s14
	s_xor_b32 exec_lo, exec_lo, s19
	s_cbranch_execnz .LBB528_198
.LBB528_178:
	s_or_b32 exec_lo, exec_lo, s19
	s_and_saveexec_b32 s14, s0
	s_cbranch_execz .LBB528_180
.LBB528_179:
	v_and_b32_e32 v4, 0xffff, v3
	v_lshlrev_b32_e32 v3, 24, v3
	s_delay_alu instid0(VALU_DEP_2) | instskip(NEXT) | instid1(VALU_DEP_2)
	v_and_b32_e32 v5, 3, v4
	v_and_b32_e32 v3, 0x80000000, v3
	s_delay_alu instid0(VALU_DEP_2) | instskip(NEXT) | instid1(VALU_DEP_1)
	v_clz_i32_u32_e32 v6, v5
	v_min_u32_e32 v6, 32, v6
	s_delay_alu instid0(VALU_DEP_1) | instskip(SKIP_1) | instid1(VALU_DEP_2)
	v_subrev_nc_u32_e32 v7, 29, v6
	v_sub_nc_u32_e32 v6, 30, v6
	v_lshlrev_b32_e32 v7, v7, v4
	v_bfe_u32 v4, v4, 2, 5
	s_delay_alu instid0(VALU_DEP_2) | instskip(NEXT) | instid1(VALU_DEP_2)
	v_and_b32_e32 v7, 3, v7
	v_cmp_eq_u32_e32 vcc_lo, 0, v4
	s_delay_alu instid0(VALU_DEP_2) | instskip(NEXT) | instid1(VALU_DEP_1)
	v_dual_cndmask_b32 v4, v4, v6 :: v_dual_cndmask_b32 v5, v5, v7
	v_lshl_add_u32 v4, v4, 23, 0x37800000
	s_delay_alu instid0(VALU_DEP_2) | instskip(NEXT) | instid1(VALU_DEP_1)
	v_lshlrev_b32_e32 v5, 21, v5
	v_or3_b32 v3, v3, v4, v5
	s_delay_alu instid0(VALU_DEP_1)
	v_cvt_f16_f32_e32 v4, v3
.LBB528_180:
	s_or_b32 exec_lo, exec_lo, s14
	s_mov_b32 s0, 0
	s_branch .LBB528_186
.LBB528_181:
	s_mov_b32 s14, -1
                                        ; implicit-def: $vgpr4
	s_branch .LBB528_192
.LBB528_182:
	s_or_saveexec_b32 s19, s19
	v_mov_b32_e32 v4, s14
	s_xor_b32 exec_lo, exec_lo, s19
	s_cbranch_execz .LBB528_166
.LBB528_183:
	v_cmp_ne_u16_e32 vcc_lo, 0, v3
	v_mov_b32_e32 v4, v3
	s_and_not1_b32 s0, s0, exec_lo
	s_and_b32 s14, vcc_lo, exec_lo
	s_delay_alu instid0(SALU_CYCLE_1)
	s_or_b32 s0, s0, s14
	s_or_b32 exec_lo, exec_lo, s19
	s_and_saveexec_b32 s14, s0
	s_cbranch_execnz .LBB528_167
	s_branch .LBB528_168
.LBB528_184:
	s_mov_b32 s0, -1
                                        ; implicit-def: $vgpr4
	s_branch .LBB528_189
.LBB528_185:
	s_mov_b32 s0, -1
                                        ; implicit-def: $vgpr4
.LBB528_186:
	s_delay_alu instid0(SALU_CYCLE_1)
	s_and_b32 vcc_lo, exec_lo, s0
	s_cbranch_vccz .LBB528_188
; %bb.187:
	global_load_u8 v3, v[0:1], off
	s_waitcnt vmcnt(0)
	v_lshlrev_b32_e32 v3, 24, v3
	s_delay_alu instid0(VALU_DEP_1) | instskip(NEXT) | instid1(VALU_DEP_1)
	v_and_b32_e32 v4, 0x7f000000, v3
	v_clz_i32_u32_e32 v5, v4
	v_add_nc_u32_e32 v7, 0x1000000, v4
	v_cmp_ne_u32_e32 vcc_lo, 0, v4
	s_delay_alu instid0(VALU_DEP_3) | instskip(NEXT) | instid1(VALU_DEP_1)
	v_min_u32_e32 v5, 32, v5
	v_sub_nc_u32_e64 v5, v5, 4 clamp
	s_delay_alu instid0(VALU_DEP_1) | instskip(SKIP_1) | instid1(VALU_DEP_2)
	v_lshlrev_b32_e32 v6, v5, v4
	v_lshlrev_b32_e32 v5, 23, v5
	v_lshrrev_b32_e32 v6, 4, v6
	s_delay_alu instid0(VALU_DEP_1) | instskip(SKIP_1) | instid1(VALU_DEP_2)
	v_sub_nc_u32_e32 v5, v6, v5
	v_ashrrev_i32_e32 v6, 8, v7
	v_add_nc_u32_e32 v5, 0x3c000000, v5
	s_delay_alu instid0(VALU_DEP_1) | instskip(NEXT) | instid1(VALU_DEP_1)
	v_and_or_b32 v5, 0x7f800000, v6, v5
	v_cndmask_b32_e32 v4, 0, v5, vcc_lo
	s_delay_alu instid0(VALU_DEP_1) | instskip(NEXT) | instid1(VALU_DEP_1)
	v_and_or_b32 v3, 0x80000000, v3, v4
	v_cvt_f16_f32_e32 v4, v3
.LBB528_188:
	s_mov_b32 s0, 0
.LBB528_189:
	s_delay_alu instid0(SALU_CYCLE_1)
	s_and_not1_b32 vcc_lo, exec_lo, s0
	s_cbranch_vccnz .LBB528_191
; %bb.190:
	global_load_u8 v3, v[0:1], off
	s_waitcnt vmcnt(0)
	v_lshlrev_b32_e32 v4, 25, v3
	v_lshlrev_b16 v3, 8, v3
	s_delay_alu instid0(VALU_DEP_2) | instskip(NEXT) | instid1(VALU_DEP_2)
	v_lshrrev_b32_e32 v5, 4, v4
	v_and_or_b32 v6, 0x7f00, v3, 0.5
	v_bfe_i32 v3, v3, 0, 16
	s_delay_alu instid0(VALU_DEP_3) | instskip(NEXT) | instid1(VALU_DEP_1)
	v_or_b32_e32 v5, 0x70000000, v5
	v_dual_add_f32 v6, -0.5, v6 :: v_dual_mul_f32 v5, 0x7800000, v5
	v_cmp_gt_u32_e32 vcc_lo, 0x8000000, v4
	s_delay_alu instid0(VALU_DEP_2) | instskip(NEXT) | instid1(VALU_DEP_1)
	v_cndmask_b32_e32 v4, v5, v6, vcc_lo
	v_and_or_b32 v3, 0x80000000, v3, v4
	s_delay_alu instid0(VALU_DEP_1)
	v_cvt_f16_f32_e32 v4, v3
.LBB528_191:
	s_mov_b32 s14, 0
	s_mov_b32 s0, -1
.LBB528_192:
	s_and_not1_b32 vcc_lo, exec_lo, s14
	s_cbranch_vccnz .LBB528_205
; %bb.193:
	v_cmp_gt_i16_e64 s14, s3, 14
	s_delay_alu instid0(VALU_DEP_1)
	s_and_b32 vcc_lo, exec_lo, s14
	s_cbranch_vccz .LBB528_196
; %bb.194:
	v_cmp_eq_u16_e64 s14, s3, 15
	s_delay_alu instid0(VALU_DEP_1)
	s_and_b32 vcc_lo, exec_lo, s14
	s_cbranch_vccz .LBB528_199
; %bb.195:
	global_load_u16 v3, v[0:1], off
	s_mov_b32 s0, -1
	s_mov_b32 s15, 0
	s_waitcnt vmcnt(0)
	v_lshlrev_b32_e32 v3, 16, v3
	s_delay_alu instid0(VALU_DEP_1)
	v_cvt_f16_f32_e32 v4, v3
	s_branch .LBB528_200
.LBB528_196:
	s_mov_b32 s14, -1
                                        ; implicit-def: $vgpr4
	s_branch .LBB528_201
.LBB528_197:
	s_or_saveexec_b32 s19, s19
	v_mov_b32_e32 v4, s14
	s_xor_b32 exec_lo, exec_lo, s19
	s_cbranch_execz .LBB528_178
.LBB528_198:
	v_cmp_ne_u16_e32 vcc_lo, 0, v3
	v_mov_b32_e32 v4, v3
	s_and_not1_b32 s0, s0, exec_lo
	s_and_b32 s14, vcc_lo, exec_lo
	s_delay_alu instid0(SALU_CYCLE_1)
	s_or_b32 s0, s0, s14
	s_or_b32 exec_lo, exec_lo, s19
	s_and_saveexec_b32 s14, s0
	s_cbranch_execnz .LBB528_179
	s_branch .LBB528_180
.LBB528_199:
	s_mov_b32 s15, -1
                                        ; implicit-def: $vgpr4
.LBB528_200:
	s_mov_b32 s14, 0
.LBB528_201:
	s_delay_alu instid0(SALU_CYCLE_1)
	s_and_b32 vcc_lo, exec_lo, s14
	s_cbranch_vccz .LBB528_205
; %bb.202:
	v_cmp_eq_u16_e64 s14, s3, 11
	s_delay_alu instid0(VALU_DEP_1)
	s_and_b32 vcc_lo, exec_lo, s14
	s_cbranch_vccz .LBB528_204
; %bb.203:
	global_load_u8 v3, v[0:1], off
	s_mov_b32 s15, 0
	s_mov_b32 s0, -1
	s_waitcnt vmcnt(0)
	v_cmp_ne_u16_e32 vcc_lo, 0, v3
	v_cndmask_b32_e64 v4, 0, 0x3c00, vcc_lo
	s_branch .LBB528_205
.LBB528_204:
	s_mov_b32 s15, -1
                                        ; implicit-def: $vgpr4
.LBB528_205:
	s_branch .LBB528_10
.LBB528_206:
	v_cmp_lt_i16_e64 s0, s3, 5
	s_delay_alu instid0(VALU_DEP_1)
	s_and_b32 vcc_lo, exec_lo, s0
	s_cbranch_vccnz .LBB528_211
; %bb.207:
	v_cmp_lt_i16_e64 s0, s3, 8
	s_delay_alu instid0(VALU_DEP_1)
	s_and_b32 vcc_lo, exec_lo, s0
	s_cbranch_vccnz .LBB528_212
; %bb.208:
	;; [unrolled: 5-line block ×3, first 2 shown]
	v_cmp_gt_i16_e64 s0, s3, 9
	s_delay_alu instid0(VALU_DEP_1)
	s_and_b32 vcc_lo, exec_lo, s0
	s_cbranch_vccz .LBB528_214
; %bb.210:
	global_load_b64 v[3:4], v[0:1], off
	s_mov_b32 s0, 0
	s_waitcnt vmcnt(0)
	v_cvt_f32_f64_e32 v3, v[3:4]
	s_delay_alu instid0(VALU_DEP_1)
	v_cvt_f16_f32_e32 v4, v3
	s_branch .LBB528_215
.LBB528_211:
                                        ; implicit-def: $vgpr4
	s_branch .LBB528_233
.LBB528_212:
	s_mov_b32 s0, -1
                                        ; implicit-def: $vgpr4
	s_branch .LBB528_221
.LBB528_213:
	s_mov_b32 s0, -1
                                        ; implicit-def: $vgpr4
	s_branch .LBB528_218
.LBB528_214:
	s_mov_b32 s0, -1
                                        ; implicit-def: $vgpr4
.LBB528_215:
	s_delay_alu instid0(SALU_CYCLE_1)
	s_and_not1_b32 vcc_lo, exec_lo, s0
	s_cbranch_vccnz .LBB528_217
; %bb.216:
	global_load_b32 v3, v[0:1], off
	s_waitcnt vmcnt(0)
	v_cvt_f16_f32_e32 v4, v3
.LBB528_217:
	s_mov_b32 s0, 0
.LBB528_218:
	s_delay_alu instid0(SALU_CYCLE_1)
	s_and_not1_b32 vcc_lo, exec_lo, s0
	s_cbranch_vccnz .LBB528_220
; %bb.219:
	global_load_b32 v4, v[0:1], off
.LBB528_220:
	s_mov_b32 s0, 0
.LBB528_221:
	s_delay_alu instid0(SALU_CYCLE_1)
	s_and_not1_b32 vcc_lo, exec_lo, s0
	s_cbranch_vccnz .LBB528_232
; %bb.222:
	v_cmp_lt_i16_e64 s0, s3, 6
	s_delay_alu instid0(VALU_DEP_1)
	s_and_b32 vcc_lo, exec_lo, s0
	s_cbranch_vccnz .LBB528_225
; %bb.223:
	v_cmp_gt_i16_e64 s0, s3, 6
	s_delay_alu instid0(VALU_DEP_1)
	s_and_b32 vcc_lo, exec_lo, s0
	s_cbranch_vccz .LBB528_226
; %bb.224:
	global_load_b64 v[3:4], v[0:1], off
	s_mov_b32 s0, 0
	s_waitcnt vmcnt(0)
	v_cvt_f32_f64_e32 v3, v[3:4]
	s_delay_alu instid0(VALU_DEP_1)
	v_cvt_f16_f32_e32 v4, v3
	s_branch .LBB528_227
.LBB528_225:
	s_mov_b32 s0, -1
                                        ; implicit-def: $vgpr4
	s_branch .LBB528_230
.LBB528_226:
	s_mov_b32 s0, -1
                                        ; implicit-def: $vgpr4
.LBB528_227:
	s_delay_alu instid0(SALU_CYCLE_1)
	s_and_not1_b32 vcc_lo, exec_lo, s0
	s_cbranch_vccnz .LBB528_229
; %bb.228:
	global_load_b32 v3, v[0:1], off
	s_waitcnt vmcnt(0)
	v_cvt_f16_f32_e32 v4, v3
.LBB528_229:
	s_mov_b32 s0, 0
.LBB528_230:
	s_delay_alu instid0(SALU_CYCLE_1)
	s_and_not1_b32 vcc_lo, exec_lo, s0
	s_cbranch_vccnz .LBB528_232
; %bb.231:
	global_load_u16 v4, v[0:1], off
.LBB528_232:
	s_cbranch_execnz .LBB528_252
.LBB528_233:
	v_cmp_lt_i16_e64 s0, s3, 2
	s_delay_alu instid0(VALU_DEP_1)
	s_and_b32 vcc_lo, exec_lo, s0
	s_cbranch_vccnz .LBB528_237
; %bb.234:
	v_cmp_lt_i16_e64 s0, s3, 3
	s_delay_alu instid0(VALU_DEP_1)
	s_and_b32 vcc_lo, exec_lo, s0
	s_cbranch_vccnz .LBB528_238
; %bb.235:
	v_cmp_gt_i16_e64 s0, s3, 3
	s_delay_alu instid0(VALU_DEP_1)
	s_and_b32 vcc_lo, exec_lo, s0
	s_cbranch_vccz .LBB528_239
; %bb.236:
	global_load_b64 v[3:4], v[0:1], off
	s_mov_b32 s0, 0
	s_waitcnt vmcnt(0)
	v_xor_b32_e32 v5, v3, v4
	v_cls_i32_e32 v6, v4
	s_delay_alu instid0(VALU_DEP_2) | instskip(NEXT) | instid1(VALU_DEP_2)
	v_ashrrev_i32_e32 v5, 31, v5
	v_add_nc_u32_e32 v6, -1, v6
	s_delay_alu instid0(VALU_DEP_2) | instskip(NEXT) | instid1(VALU_DEP_1)
	v_add_nc_u32_e32 v5, 32, v5
	v_min_u32_e32 v5, v6, v5
	s_delay_alu instid0(VALU_DEP_1) | instskip(NEXT) | instid1(VALU_DEP_1)
	v_lshlrev_b64 v[3:4], v5, v[3:4]
	v_min_u32_e32 v3, 1, v3
	s_delay_alu instid0(VALU_DEP_1) | instskip(SKIP_1) | instid1(VALU_DEP_2)
	v_or_b32_e32 v3, v4, v3
	v_sub_nc_u32_e32 v4, 32, v5
	v_cvt_f32_i32_e32 v3, v3
	s_delay_alu instid0(VALU_DEP_1) | instskip(NEXT) | instid1(VALU_DEP_1)
	v_ldexp_f32 v3, v3, v4
	v_cvt_f16_f32_e32 v4, v3
	s_branch .LBB528_240
.LBB528_237:
	s_mov_b32 s0, -1
                                        ; implicit-def: $vgpr4
	s_branch .LBB528_246
.LBB528_238:
	s_mov_b32 s0, -1
                                        ; implicit-def: $vgpr4
	s_branch .LBB528_243
.LBB528_239:
	s_mov_b32 s0, -1
                                        ; implicit-def: $vgpr4
.LBB528_240:
	s_delay_alu instid0(SALU_CYCLE_1)
	s_and_not1_b32 vcc_lo, exec_lo, s0
	s_cbranch_vccnz .LBB528_242
; %bb.241:
	global_load_b32 v3, v[0:1], off
	s_waitcnt vmcnt(0)
	v_cvt_f32_i32_e32 v3, v3
	s_delay_alu instid0(VALU_DEP_1)
	v_cvt_f16_f32_e32 v4, v3
.LBB528_242:
	s_mov_b32 s0, 0
.LBB528_243:
	s_delay_alu instid0(SALU_CYCLE_1)
	s_and_not1_b32 vcc_lo, exec_lo, s0
	s_cbranch_vccnz .LBB528_245
; %bb.244:
	global_load_u16 v3, v[0:1], off
	s_waitcnt vmcnt(0)
	v_cvt_f16_i16_e32 v4, v3
.LBB528_245:
	s_mov_b32 s0, 0
.LBB528_246:
	s_delay_alu instid0(SALU_CYCLE_1)
	s_and_not1_b32 vcc_lo, exec_lo, s0
	s_cbranch_vccnz .LBB528_252
; %bb.247:
	v_cmp_gt_i16_e64 s0, s3, 0
	s_delay_alu instid0(VALU_DEP_1)
	s_and_b32 vcc_lo, exec_lo, s0
	s_mov_b32 s0, 0
	s_cbranch_vccz .LBB528_249
; %bb.248:
	global_load_i8 v3, v[0:1], off
	s_waitcnt vmcnt(0)
	v_cvt_f16_i16_e32 v4, v3
	s_branch .LBB528_250
.LBB528_249:
	s_mov_b32 s0, -1
                                        ; implicit-def: $vgpr4
.LBB528_250:
	s_delay_alu instid0(SALU_CYCLE_1)
	s_and_not1_b32 vcc_lo, exec_lo, s0
	s_cbranch_vccnz .LBB528_252
; %bb.251:
	global_load_u8 v0, v[0:1], off
	s_waitcnt vmcnt(0)
	v_cvt_f16_u16_e32 v4, v0
.LBB528_252:
	s_branch .LBB528_11
.LBB528_253:
	s_mov_b32 s0, 0
.LBB528_254:
	s_mov_b32 s19, 0
                                        ; implicit-def: $vgpr2
.LBB528_255:
	s_and_b32 s14, s0, exec_lo
	s_and_b32 s15, s15, exec_lo
	s_or_not1_b32 s20, s19, exec_lo
.LBB528_256:
	s_or_b32 exec_lo, exec_lo, s17
	s_mov_b32 s19, 0
	s_mov_b32 s0, 0
                                        ; implicit-def: $vgpr0_vgpr1
                                        ; implicit-def: $vgpr5
	s_and_saveexec_b32 s17, s20
	s_cbranch_execz .LBB528_872
; %bb.257:
	s_mov_b32 s0, -1
	s_mov_b32 s18, s15
	s_mov_b32 s19, s14
	s_mov_b32 s20, exec_lo
	v_cmpx_gt_i32_e64 s16, v2
	s_cbranch_execz .LBB528_520
; %bb.258:
	v_mul_lo_u32 v0, v2, s9
	v_cmp_lt_i16_e64 s0, s3, 11
	s_delay_alu instid0(VALU_DEP_2) | instskip(SKIP_1) | instid1(VALU_DEP_2)
	v_ashrrev_i32_e32 v1, 31, v0
	v_add_co_u32 v0, vcc_lo, s6, v0
	v_add_co_ci_u32_e32 v1, vcc_lo, s7, v1, vcc_lo
	s_delay_alu instid0(VALU_DEP_4)
	s_and_b32 vcc_lo, exec_lo, s0
	s_cbranch_vccnz .LBB528_265
; %bb.259:
	v_cmp_gt_i16_e64 s0, s3, 25
	s_delay_alu instid0(VALU_DEP_1)
	s_and_b32 vcc_lo, exec_lo, s0
	s_cbranch_vccz .LBB528_278
; %bb.260:
	v_cmp_gt_i16_e64 s0, s3, 28
	s_delay_alu instid0(VALU_DEP_1)
	s_and_b32 vcc_lo, exec_lo, s0
	s_cbranch_vccz .LBB528_280
	;; [unrolled: 5-line block ×4, first 2 shown]
; %bb.263:
	v_cmp_eq_u16_e64 s0, s3, 46
	s_mov_b32 s19, 0
	s_delay_alu instid0(VALU_DEP_1)
	s_and_b32 vcc_lo, exec_lo, s0
	s_cbranch_vccz .LBB528_290
; %bb.264:
	global_load_b32 v3, v[0:1], off
	s_mov_b32 s0, -1
	s_mov_b32 s18, 0
	s_waitcnt vmcnt(0)
	v_lshlrev_b32_e32 v3, 16, v3
	s_delay_alu instid0(VALU_DEP_1)
	v_cvt_f16_f32_e32 v4, v3
	s_branch .LBB528_292
.LBB528_265:
	s_mov_b32 s0, 0
	s_mov_b32 s18, s15
                                        ; implicit-def: $vgpr4
	s_cbranch_execnz .LBB528_469
.LBB528_266:
	s_and_not1_b32 vcc_lo, exec_lo, s0
	s_cbranch_vccnz .LBB528_517
.LBB528_267:
	v_mov_b32_e32 v3, s10
	s_mov_b32 s0, exec_lo
	s_waitcnt vmcnt(0)
	v_cmpx_o_f16_e32 v4, v4
	s_cbranch_execz .LBB528_271
; %bb.268:
	v_mov_b32_e32 v3, s2
	s_mov_b32 s19, exec_lo
	v_cmpx_neq_f16_e32 0x7c00, v4
; %bb.269:
	v_cmp_eq_f16_e32 vcc_lo, 0xfc00, v4
	v_cndmask_b32_e64 v3, v4, s11, vcc_lo
; %bb.270:
	s_or_b32 exec_lo, exec_lo, s19
.LBB528_271:
	s_delay_alu instid0(SALU_CYCLE_1) | instskip(SKIP_2) | instid1(VALU_DEP_1)
	s_or_b32 exec_lo, exec_lo, s0
	v_mul_lo_u32 v0, v2, s8
	v_and_b32_e64 v4, 0xff, s1
	v_cmp_gt_i16_e32 vcc_lo, 11, v4
	s_delay_alu instid0(VALU_DEP_3) | instskip(SKIP_1) | instid1(VALU_DEP_1)
	v_ashrrev_i32_e32 v1, 31, v0
	v_add_co_u32 v0, s0, s4, v0
	v_add_co_ci_u32_e64 v1, s0, s5, v1, s0
	s_cbranch_vccnz .LBB528_279
; %bb.272:
	v_cmp_lt_i16_e32 vcc_lo, 25, v4
	s_cbranch_vccz .LBB528_281
; %bb.273:
	v_cmp_lt_i16_e32 vcc_lo, 28, v4
	s_cbranch_vccz .LBB528_283
	;; [unrolled: 3-line block ×4, first 2 shown]
; %bb.276:
	v_cmp_eq_u16_e32 vcc_lo, 46, v4
	s_mov_b32 s21, 0
	s_mov_b32 s0, -1
	s_mov_b32 s19, 0
	s_cbranch_vccz .LBB528_296
; %bb.277:
	v_cvt_f32_f16_e32 v5, v3
	v_cmp_o_f16_e32 vcc_lo, v3, v3
	s_mov_b32 s19, -1
	s_mov_b32 s0, 0
	s_delay_alu instid0(VALU_DEP_2) | instskip(NEXT) | instid1(VALU_DEP_1)
	v_bfe_u32 v6, v5, 16, 1
	v_add3_u32 v5, v5, v6, 0x7fff
	s_delay_alu instid0(VALU_DEP_1) | instskip(NEXT) | instid1(VALU_DEP_1)
	v_lshrrev_b32_e32 v5, 16, v5
	v_cndmask_b32_e32 v5, 0x7fc0, v5, vcc_lo
	global_store_b32 v[0:1], v5, off
	s_branch .LBB528_296
.LBB528_278:
	s_mov_b32 s19, -1
	s_mov_b32 s0, 0
	s_mov_b32 s18, s15
                                        ; implicit-def: $vgpr4
	s_branch .LBB528_433
.LBB528_279:
	s_mov_b32 s21, -1
	s_mov_b32 s19, 0
	s_mov_b32 s0, s14
	s_branch .LBB528_365
.LBB528_280:
	s_mov_b32 s19, -1
	s_mov_b32 s0, 0
	s_mov_b32 s18, s15
                                        ; implicit-def: $vgpr4
	s_branch .LBB528_414
.LBB528_281:
	s_mov_b32 s21, -1
	s_mov_b32 s19, 0
	s_mov_b32 s0, s14
	s_branch .LBB528_323
.LBB528_282:
	s_mov_b32 s19, -1
	s_mov_b32 s0, 0
	s_mov_b32 s18, s15
                                        ; implicit-def: $vgpr4
	s_branch .LBB528_409
.LBB528_283:
	s_mov_b32 s21, -1
	s_mov_b32 s19, 0
	s_mov_b32 s0, s14
	s_branch .LBB528_306
.LBB528_284:
	s_or_saveexec_b32 s20, s20
                                        ; implicit-def: $sgpr21
	s_delay_alu instid0(SALU_CYCLE_1)
	s_xor_b32 exec_lo, exec_lo, s20
	s_cbranch_execz .LBB528_58
.LBB528_285:
	v_add_f32_e64 v6, 0x46000000, |v5|
	s_and_not1_b32 s19, s19, exec_lo
	s_mov_b32 s21, 0
	s_delay_alu instid0(VALU_DEP_1) | instskip(NEXT) | instid1(VALU_DEP_1)
	v_and_b32_e32 v6, 0xff, v6
	v_cmp_ne_u32_e32 vcc_lo, 0, v6
	s_and_b32 s22, vcc_lo, exec_lo
	s_delay_alu instid0(SALU_CYCLE_1)
	s_or_b32 s19, s19, s22
	s_or_b32 exec_lo, exec_lo, s20
	v_mov_b32_e32 v7, s21
	s_and_saveexec_b32 s20, s19
	s_cbranch_execnz .LBB528_59
	s_branch .LBB528_60
.LBB528_286:
	s_mov_b32 s19, -1
	s_mov_b32 s0, 0
	s_mov_b32 s18, s15
	s_branch .LBB528_291
.LBB528_287:
	s_mov_b32 s21, -1
	s_mov_b32 s19, 0
	s_mov_b32 s0, s14
	s_branch .LBB528_302
.LBB528_288:
	s_or_saveexec_b32 s20, s20
                                        ; implicit-def: $sgpr21
	s_delay_alu instid0(SALU_CYCLE_1)
	s_xor_b32 exec_lo, exec_lo, s20
	s_cbranch_execz .LBB528_71
.LBB528_289:
	v_add_f32_e64 v6, 0x42800000, |v5|
	s_and_not1_b32 s19, s19, exec_lo
	s_mov_b32 s21, 0
	s_delay_alu instid0(VALU_DEP_1) | instskip(NEXT) | instid1(VALU_DEP_1)
	v_and_b32_e32 v6, 0xff, v6
	v_cmp_ne_u32_e32 vcc_lo, 0, v6
	s_and_b32 s22, vcc_lo, exec_lo
	s_delay_alu instid0(SALU_CYCLE_1)
	s_or_b32 s19, s19, s22
	s_or_b32 exec_lo, exec_lo, s20
	v_mov_b32_e32 v7, s21
	s_and_saveexec_b32 s20, s19
	s_cbranch_execnz .LBB528_72
	s_branch .LBB528_73
.LBB528_290:
	s_mov_b32 s18, -1
	s_mov_b32 s0, 0
.LBB528_291:
                                        ; implicit-def: $vgpr4
.LBB528_292:
	s_and_b32 vcc_lo, exec_lo, s19
	s_cbranch_vccz .LBB528_408
; %bb.293:
	v_cmp_eq_u16_e64 s18, s3, 44
	s_delay_alu instid0(VALU_DEP_1)
	s_and_b32 vcc_lo, exec_lo, s18
	s_cbranch_vccz .LBB528_407
; %bb.294:
	global_load_u8 v3, v[0:1], off
	s_mov_b32 s18, 0
	s_mov_b32 s0, -1
	s_waitcnt vmcnt(0)
	v_lshlrev_b32_e32 v4, 23, v3
	v_cmp_ne_u32_e32 vcc_lo, 0xff, v3
	s_delay_alu instid0(VALU_DEP_2) | instskip(NEXT) | instid1(VALU_DEP_1)
	v_cvt_f16_f32_e32 v4, v4
	v_cndmask_b32_e32 v4, 0x7e00, v4, vcc_lo
	v_cmp_ne_u32_e32 vcc_lo, 0, v3
	s_delay_alu instid0(VALU_DEP_2)
	v_cndmask_b32_e32 v4, 0, v4, vcc_lo
	s_branch .LBB528_408
.LBB528_295:
	s_mov_b32 s21, -1
	s_mov_b32 s19, 0
	s_mov_b32 s0, s14
.LBB528_296:
	s_and_b32 vcc_lo, exec_lo, s21
	s_cbranch_vccz .LBB528_301
; %bb.297:
	v_cmp_eq_u16_e32 vcc_lo, 44, v4
	s_mov_b32 s0, -1
	s_cbranch_vccz .LBB528_301
; %bb.298:
	v_cvt_f32_f16_e32 v5, v3
	v_mov_b32_e32 v6, 0xff
	s_mov_b32 s19, exec_lo
	s_delay_alu instid0(VALU_DEP_2) | instskip(NEXT) | instid1(VALU_DEP_1)
	v_bfe_u32 v7, v5, 23, 8
	v_cmpx_ne_u32_e32 0xff, v7
; %bb.299:
	v_and_b32_e32 v6, 0x400000, v5
	v_and_or_b32 v7, 0x3fffff, v5, v7
	v_lshrrev_b32_e32 v5, 23, v5
	s_delay_alu instid0(VALU_DEP_3) | instskip(NEXT) | instid1(VALU_DEP_3)
	v_cmp_ne_u32_e32 vcc_lo, 0, v6
	v_cmp_ne_u32_e64 s0, 0, v7
	s_delay_alu instid0(VALU_DEP_1) | instskip(NEXT) | instid1(SALU_CYCLE_1)
	s_and_b32 s0, vcc_lo, s0
	v_cndmask_b32_e64 v6, 0, 1, s0
	s_delay_alu instid0(VALU_DEP_1)
	v_add_nc_u32_e32 v6, v5, v6
; %bb.300:
	s_or_b32 exec_lo, exec_lo, s19
	s_mov_b32 s19, -1
	s_mov_b32 s0, 0
	global_store_b8 v[0:1], v6, off
.LBB528_301:
	s_mov_b32 s21, 0
.LBB528_302:
	s_delay_alu instid0(SALU_CYCLE_1)
	s_and_b32 vcc_lo, exec_lo, s21
	s_cbranch_vccz .LBB528_305
; %bb.303:
	v_cmp_eq_u16_e32 vcc_lo, 29, v4
	s_mov_b32 s0, -1
	s_cbranch_vccz .LBB528_305
; %bb.304:
	v_cvt_f32_f16_e32 v5, v3
	v_mov_b32_e32 v6, 0
	s_mov_b32 s0, 0
	s_mov_b32 s19, -1
	s_mov_b32 s21, 0
	v_cvt_u32_f32_e32 v5, v5
	global_store_b64 v[0:1], v[5:6], off
	s_branch .LBB528_306
.LBB528_305:
	s_mov_b32 s21, 0
.LBB528_306:
	s_delay_alu instid0(SALU_CYCLE_1)
	s_and_b32 vcc_lo, exec_lo, s21
	s_cbranch_vccz .LBB528_322
; %bb.307:
	v_cmp_gt_i16_e32 vcc_lo, 27, v4
	s_mov_b32 s19, -1
	s_cbranch_vccnz .LBB528_313
; %bb.308:
	v_cmp_lt_i16_e32 vcc_lo, 27, v4
	s_cbranch_vccz .LBB528_310
; %bb.309:
	v_cvt_f32_f16_e32 v5, v3
	s_mov_b32 s19, 0
	s_delay_alu instid0(VALU_DEP_1)
	v_cvt_u32_f32_e32 v5, v5
	global_store_b32 v[0:1], v5, off
.LBB528_310:
	s_and_not1_b32 vcc_lo, exec_lo, s19
	s_cbranch_vccnz .LBB528_312
; %bb.311:
	v_cvt_u16_f16_e32 v5, v3
	global_store_b16 v[0:1], v5, off
.LBB528_312:
	s_mov_b32 s19, 0
.LBB528_313:
	s_delay_alu instid0(SALU_CYCLE_1)
	s_and_not1_b32 vcc_lo, exec_lo, s19
	s_cbranch_vccnz .LBB528_321
; %bb.314:
	v_cvt_f32_f16_e32 v5, v3
	v_mov_b32_e32 v7, 0x80
	s_mov_b32 s19, exec_lo
	s_delay_alu instid0(VALU_DEP_2) | instskip(NEXT) | instid1(VALU_DEP_1)
	v_and_b32_e32 v6, 0x7fffffff, v5
	v_cmpx_gt_u32_e32 0x43800000, v6
	s_cbranch_execz .LBB528_320
; %bb.315:
	v_cmp_lt_u32_e32 vcc_lo, 0x3bffffff, v6
	s_mov_b32 s21, 0
                                        ; implicit-def: $vgpr6
	s_and_saveexec_b32 s22, vcc_lo
	s_delay_alu instid0(SALU_CYCLE_1)
	s_xor_b32 s22, exec_lo, s22
	s_cbranch_execz .LBB528_533
; %bb.316:
	v_bfe_u32 v6, v5, 20, 1
	s_mov_b32 s21, exec_lo
	s_delay_alu instid0(VALU_DEP_1) | instskip(NEXT) | instid1(VALU_DEP_1)
	v_add3_u32 v6, v5, v6, 0x487ffff
	v_lshrrev_b32_e32 v6, 20, v6
	s_or_saveexec_b32 s22, s22
                                        ; implicit-def: $sgpr23
	s_delay_alu instid0(SALU_CYCLE_1)
	s_xor_b32 exec_lo, exec_lo, s22
	s_cbranch_execnz .LBB528_534
.LBB528_317:
	s_or_b32 exec_lo, exec_lo, s22
	v_mov_b32_e32 v7, s23
	s_and_saveexec_b32 s22, s21
.LBB528_318:
	v_lshrrev_b32_e32 v5, 24, v5
	s_delay_alu instid0(VALU_DEP_1)
	v_and_or_b32 v7, 0x80, v5, v6
.LBB528_319:
	s_or_b32 exec_lo, exec_lo, s22
.LBB528_320:
	s_delay_alu instid0(SALU_CYCLE_1)
	s_or_b32 exec_lo, exec_lo, s19
	global_store_b8 v[0:1], v7, off
.LBB528_321:
	s_mov_b32 s19, -1
.LBB528_322:
	s_mov_b32 s21, 0
.LBB528_323:
	s_delay_alu instid0(SALU_CYCLE_1)
	s_and_b32 vcc_lo, exec_lo, s21
	s_cbranch_vccz .LBB528_364
; %bb.324:
	v_cmp_lt_i16_e32 vcc_lo, 22, v4
	s_mov_b32 s21, -1
	s_cbranch_vccz .LBB528_356
; %bb.325:
	v_cmp_gt_i16_e32 vcc_lo, 24, v4
	s_mov_b32 s19, -1
	s_cbranch_vccnz .LBB528_345
; %bb.326:
	v_cmp_lt_i16_e32 vcc_lo, 24, v4
	s_cbranch_vccz .LBB528_334
; %bb.327:
	v_cvt_f32_f16_e32 v5, v3
	v_mov_b32_e32 v7, 0x80
	s_mov_b32 s19, exec_lo
	s_delay_alu instid0(VALU_DEP_2) | instskip(NEXT) | instid1(VALU_DEP_1)
	v_and_b32_e32 v6, 0x7fffffff, v5
	v_cmpx_gt_u32_e32 0x47800000, v6
	s_cbranch_execz .LBB528_333
; %bb.328:
	v_cmp_lt_u32_e32 vcc_lo, 0x37ffffff, v6
	s_mov_b32 s21, 0
                                        ; implicit-def: $vgpr6
	s_and_saveexec_b32 s22, vcc_lo
	s_delay_alu instid0(SALU_CYCLE_1)
	s_xor_b32 s22, exec_lo, s22
	s_cbranch_execz .LBB528_536
; %bb.329:
	v_bfe_u32 v6, v5, 21, 1
	s_mov_b32 s21, exec_lo
	s_delay_alu instid0(VALU_DEP_1) | instskip(NEXT) | instid1(VALU_DEP_1)
	v_add3_u32 v6, v5, v6, 0x88fffff
	v_lshrrev_b32_e32 v6, 21, v6
	s_or_saveexec_b32 s22, s22
                                        ; implicit-def: $sgpr23
	s_delay_alu instid0(SALU_CYCLE_1)
	s_xor_b32 exec_lo, exec_lo, s22
	s_cbranch_execnz .LBB528_537
.LBB528_330:
	s_or_b32 exec_lo, exec_lo, s22
	v_mov_b32_e32 v7, s23
	s_and_saveexec_b32 s22, s21
.LBB528_331:
	v_lshrrev_b32_e32 v5, 24, v5
	s_delay_alu instid0(VALU_DEP_1)
	v_and_or_b32 v7, 0x80, v5, v6
.LBB528_332:
	s_or_b32 exec_lo, exec_lo, s22
.LBB528_333:
	s_delay_alu instid0(SALU_CYCLE_1)
	s_or_b32 exec_lo, exec_lo, s19
	s_mov_b32 s19, 0
	global_store_b8 v[0:1], v7, off
.LBB528_334:
	s_and_b32 vcc_lo, exec_lo, s19
	s_cbranch_vccz .LBB528_344
; %bb.335:
	v_cvt_f32_f16_e32 v5, v3
	s_mov_b32 s19, exec_lo
                                        ; implicit-def: $vgpr6
	s_delay_alu instid0(VALU_DEP_1) | instskip(NEXT) | instid1(VALU_DEP_1)
	v_and_b32_e32 v7, 0x7fffffff, v5
	v_cmpx_gt_u32_e32 0x43f00000, v7
	s_xor_b32 s19, exec_lo, s19
	s_cbranch_execz .LBB528_341
; %bb.336:
	s_mov_b32 s21, exec_lo
                                        ; implicit-def: $vgpr6
	v_cmpx_lt_u32_e32 0x3c7fffff, v7
	s_xor_b32 s21, exec_lo, s21
; %bb.337:
	v_bfe_u32 v6, v5, 20, 1
	s_delay_alu instid0(VALU_DEP_1) | instskip(NEXT) | instid1(VALU_DEP_1)
	v_add3_u32 v6, v5, v6, 0x407ffff
	v_and_b32_e32 v7, 0xff00000, v6
	v_lshrrev_b32_e32 v6, 20, v6
	s_delay_alu instid0(VALU_DEP_2) | instskip(NEXT) | instid1(VALU_DEP_2)
	v_cmp_ne_u32_e32 vcc_lo, 0x7f00000, v7
	v_cndmask_b32_e32 v6, 0x7e, v6, vcc_lo
; %bb.338:
	s_and_not1_saveexec_b32 s21, s21
; %bb.339:
	v_add_f32_e64 v6, 0x46800000, |v5|
; %bb.340:
	s_or_b32 exec_lo, exec_lo, s21
                                        ; implicit-def: $vgpr7
.LBB528_341:
	s_and_not1_saveexec_b32 s19, s19
; %bb.342:
	v_mov_b32_e32 v6, 0x7f
	v_cmp_lt_u32_e32 vcc_lo, 0x7f800000, v7
	s_delay_alu instid0(VALU_DEP_2)
	v_cndmask_b32_e32 v6, 0x7e, v6, vcc_lo
; %bb.343:
	s_or_b32 exec_lo, exec_lo, s19
	v_lshrrev_b32_e32 v5, 24, v5
	s_delay_alu instid0(VALU_DEP_1)
	v_and_or_b32 v5, 0x80, v5, v6
	global_store_b8 v[0:1], v5, off
.LBB528_344:
	s_mov_b32 s19, 0
.LBB528_345:
	s_delay_alu instid0(SALU_CYCLE_1)
	s_and_not1_b32 vcc_lo, exec_lo, s19
	s_cbranch_vccnz .LBB528_355
; %bb.346:
	v_cvt_f32_f16_e32 v5, v3
	s_mov_b32 s19, exec_lo
                                        ; implicit-def: $vgpr6
	s_delay_alu instid0(VALU_DEP_1) | instskip(NEXT) | instid1(VALU_DEP_1)
	v_and_b32_e32 v7, 0x7fffffff, v5
	v_cmpx_gt_u32_e32 0x47800000, v7
	s_xor_b32 s19, exec_lo, s19
	s_cbranch_execz .LBB528_352
; %bb.347:
	s_mov_b32 s21, exec_lo
                                        ; implicit-def: $vgpr6
	v_cmpx_lt_u32_e32 0x387fffff, v7
	s_xor_b32 s21, exec_lo, s21
; %bb.348:
	v_bfe_u32 v6, v5, 21, 1
	s_delay_alu instid0(VALU_DEP_1) | instskip(NEXT) | instid1(VALU_DEP_1)
	v_add3_u32 v6, v5, v6, 0x80fffff
	v_lshrrev_b32_e32 v6, 21, v6
; %bb.349:
	s_and_not1_saveexec_b32 s21, s21
; %bb.350:
	v_add_f32_e64 v6, 0x43000000, |v5|
; %bb.351:
	s_or_b32 exec_lo, exec_lo, s21
                                        ; implicit-def: $vgpr7
.LBB528_352:
	s_and_not1_saveexec_b32 s19, s19
; %bb.353:
	v_mov_b32_e32 v6, 0x7f
	v_cmp_lt_u32_e32 vcc_lo, 0x7f800000, v7
	s_delay_alu instid0(VALU_DEP_2)
	v_cndmask_b32_e32 v6, 0x7c, v6, vcc_lo
; %bb.354:
	s_or_b32 exec_lo, exec_lo, s19
	v_lshrrev_b32_e32 v5, 24, v5
	s_delay_alu instid0(VALU_DEP_1)
	v_and_or_b32 v5, 0x80, v5, v6
	global_store_b8 v[0:1], v5, off
.LBB528_355:
	s_mov_b32 s21, 0
	s_mov_b32 s19, -1
.LBB528_356:
	s_and_not1_b32 vcc_lo, exec_lo, s21
	s_cbranch_vccnz .LBB528_364
; %bb.357:
	v_cmp_lt_i16_e32 vcc_lo, 14, v4
	s_mov_b32 s21, -1
	s_cbranch_vccz .LBB528_361
; %bb.358:
	v_cmp_eq_u16_e32 vcc_lo, 15, v4
	s_mov_b32 s0, -1
	s_cbranch_vccz .LBB528_360
; %bb.359:
	v_cvt_f32_f16_e32 v5, v3
	v_cmp_o_f16_e32 vcc_lo, v3, v3
	s_mov_b32 s19, -1
	s_mov_b32 s0, 0
	s_delay_alu instid0(VALU_DEP_2) | instskip(NEXT) | instid1(VALU_DEP_1)
	v_bfe_u32 v6, v5, 16, 1
	v_add3_u32 v5, v5, v6, 0x7fff
	s_delay_alu instid0(VALU_DEP_1) | instskip(NEXT) | instid1(VALU_DEP_1)
	v_lshrrev_b32_e32 v5, 16, v5
	v_cndmask_b32_e32 v5, 0x7fc0, v5, vcc_lo
	global_store_b16 v[0:1], v5, off
.LBB528_360:
	s_mov_b32 s21, 0
.LBB528_361:
	s_delay_alu instid0(SALU_CYCLE_1)
	s_and_b32 vcc_lo, exec_lo, s21
	s_cbranch_vccz .LBB528_364
; %bb.362:
	v_cmp_eq_u16_e32 vcc_lo, 11, v4
	s_mov_b32 s0, -1
	s_cbranch_vccz .LBB528_364
; %bb.363:
	v_and_b32_e32 v5, 0x7fff, v3
	s_mov_b32 s0, 0
	s_mov_b32 s19, -1
	s_delay_alu instid0(VALU_DEP_1)
	v_cmp_ne_u16_e32 vcc_lo, 0, v5
	v_cndmask_b32_e64 v5, 0, 1, vcc_lo
	global_store_b8 v[0:1], v5, off
.LBB528_364:
	s_mov_b32 s21, 0
.LBB528_365:
	s_delay_alu instid0(SALU_CYCLE_1)
	s_and_b32 vcc_lo, exec_lo, s21
	s_cbranch_vccz .LBB528_404
; %bb.366:
	v_cmp_gt_i16_e32 vcc_lo, 5, v4
	s_mov_b32 s19, -1
	s_cbranch_vccnz .LBB528_387
; %bb.367:
	v_cmp_gt_i16_e32 vcc_lo, 8, v4
	s_cbranch_vccnz .LBB528_377
; %bb.368:
	v_cmp_gt_i16_e32 vcc_lo, 9, v4
	s_cbranch_vccnz .LBB528_374
; %bb.369:
	v_cmp_lt_i16_e32 vcc_lo, 9, v4
	s_cbranch_vccz .LBB528_371
; %bb.370:
	v_cvt_f32_f16_e32 v5, v3
	v_mov_b32_e32 v7, 0
	s_mov_b32 s19, 0
	s_delay_alu instid0(VALU_DEP_2) | instskip(NEXT) | instid1(VALU_DEP_2)
	v_cvt_f64_f32_e32 v[5:6], v5
	v_mov_b32_e32 v8, v7
	global_store_b128 v[0:1], v[5:8], off
.LBB528_371:
	s_and_not1_b32 vcc_lo, exec_lo, s19
	s_cbranch_vccnz .LBB528_373
; %bb.372:
	v_cvt_f32_f16_e32 v5, v3
	v_mov_b32_e32 v6, 0
	global_store_b64 v[0:1], v[5:6], off
.LBB528_373:
	s_mov_b32 s19, 0
.LBB528_374:
	s_delay_alu instid0(SALU_CYCLE_1)
	s_and_not1_b32 vcc_lo, exec_lo, s19
	s_cbranch_vccnz .LBB528_376
; %bb.375:
	v_and_b32_e32 v5, 0xffff, v3
	global_store_b32 v[0:1], v5, off
.LBB528_376:
	s_mov_b32 s19, 0
.LBB528_377:
	s_delay_alu instid0(SALU_CYCLE_1)
	s_and_not1_b32 vcc_lo, exec_lo, s19
	s_cbranch_vccnz .LBB528_386
; %bb.378:
	v_cmp_gt_i16_e32 vcc_lo, 6, v4
	s_mov_b32 s19, -1
	s_cbranch_vccnz .LBB528_384
; %bb.379:
	v_cmp_lt_i16_e32 vcc_lo, 6, v4
	s_cbranch_vccz .LBB528_381
; %bb.380:
	v_cvt_f32_f16_e32 v5, v3
	s_mov_b32 s19, 0
	s_delay_alu instid0(VALU_DEP_1)
	v_cvt_f64_f32_e32 v[5:6], v5
	global_store_b64 v[0:1], v[5:6], off
.LBB528_381:
	s_and_not1_b32 vcc_lo, exec_lo, s19
	s_cbranch_vccnz .LBB528_383
; %bb.382:
	v_cvt_f32_f16_e32 v5, v3
	global_store_b32 v[0:1], v5, off
.LBB528_383:
	s_mov_b32 s19, 0
.LBB528_384:
	s_delay_alu instid0(SALU_CYCLE_1)
	s_and_not1_b32 vcc_lo, exec_lo, s19
	s_cbranch_vccnz .LBB528_386
; %bb.385:
	global_store_b16 v[0:1], v3, off
.LBB528_386:
	s_mov_b32 s19, 0
.LBB528_387:
	s_delay_alu instid0(SALU_CYCLE_1)
	s_and_not1_b32 vcc_lo, exec_lo, s19
	s_cbranch_vccnz .LBB528_403
; %bb.388:
	v_cmp_gt_i16_e32 vcc_lo, 2, v4
	s_mov_b32 s19, -1
	s_cbranch_vccnz .LBB528_398
; %bb.389:
	v_cmp_gt_i16_e32 vcc_lo, 3, v4
	s_cbranch_vccnz .LBB528_395
; %bb.390:
	v_cmp_lt_i16_e32 vcc_lo, 3, v4
	s_cbranch_vccz .LBB528_392
; %bb.391:
	v_cvt_f32_f16_e32 v5, v3
	s_mov_b32 s19, 0
	s_delay_alu instid0(VALU_DEP_1) | instskip(NEXT) | instid1(VALU_DEP_1)
	v_cvt_i32_f32_e32 v5, v5
	v_ashrrev_i32_e32 v6, 31, v5
	global_store_b64 v[0:1], v[5:6], off
.LBB528_392:
	s_and_not1_b32 vcc_lo, exec_lo, s19
	s_cbranch_vccnz .LBB528_394
; %bb.393:
	v_cvt_f32_f16_e32 v5, v3
	s_delay_alu instid0(VALU_DEP_1)
	v_cvt_i32_f32_e32 v5, v5
	global_store_b32 v[0:1], v5, off
.LBB528_394:
	s_mov_b32 s19, 0
.LBB528_395:
	s_delay_alu instid0(SALU_CYCLE_1)
	s_and_not1_b32 vcc_lo, exec_lo, s19
	s_cbranch_vccnz .LBB528_397
; %bb.396:
	v_cvt_i16_f16_e32 v5, v3
	global_store_b16 v[0:1], v5, off
.LBB528_397:
	s_mov_b32 s19, 0
.LBB528_398:
	s_delay_alu instid0(SALU_CYCLE_1)
	s_and_not1_b32 vcc_lo, exec_lo, s19
	s_cbranch_vccnz .LBB528_403
; %bb.399:
	v_cmp_lt_i16_e32 vcc_lo, 0, v4
	s_mov_b32 s19, -1
	s_cbranch_vccz .LBB528_401
; %bb.400:
	v_cvt_i16_f16_e32 v4, v3
	s_mov_b32 s19, 0
	global_store_b8 v[0:1], v4, off
.LBB528_401:
	s_and_not1_b32 vcc_lo, exec_lo, s19
	s_cbranch_vccnz .LBB528_403
; %bb.402:
	v_cvt_f32_f16_e32 v3, v3
	s_delay_alu instid0(VALU_DEP_1)
	v_cvt_i32_f32_e32 v3, v3
	global_store_b8 v[0:1], v3, off
.LBB528_403:
	s_mov_b32 s19, -1
.LBB528_404:
	s_delay_alu instid0(SALU_CYCLE_1)
	s_and_not1_b32 vcc_lo, exec_lo, s19
	s_cbranch_vccnz .LBB528_406
; %bb.405:
	v_add_nc_u32_e32 v2, 0x80, v2
	s_mov_b32 s21, -1
	s_branch .LBB528_519
.LBB528_406:
	s_mov_b32 s21, 0
	s_branch .LBB528_518
.LBB528_407:
	s_mov_b32 s18, -1
                                        ; implicit-def: $vgpr4
.LBB528_408:
	s_mov_b32 s19, 0
.LBB528_409:
	s_delay_alu instid0(SALU_CYCLE_1)
	s_and_b32 vcc_lo, exec_lo, s19
	s_cbranch_vccz .LBB528_413
; %bb.410:
	v_cmp_eq_u16_e64 s18, s3, 29
	s_delay_alu instid0(VALU_DEP_1)
	s_and_b32 vcc_lo, exec_lo, s18
	s_cbranch_vccz .LBB528_412
; %bb.411:
	global_load_b64 v[3:4], v[0:1], off
	s_mov_b32 s0, -1
	s_mov_b32 s18, 0
	s_mov_b32 s19, 0
	s_waitcnt vmcnt(0)
	v_clz_i32_u32_e32 v5, v4
	s_delay_alu instid0(VALU_DEP_1) | instskip(NEXT) | instid1(VALU_DEP_1)
	v_min_u32_e32 v5, 32, v5
	v_lshlrev_b64 v[3:4], v5, v[3:4]
	s_delay_alu instid0(VALU_DEP_1) | instskip(NEXT) | instid1(VALU_DEP_1)
	v_min_u32_e32 v3, 1, v3
	v_or_b32_e32 v3, v4, v3
	v_sub_nc_u32_e32 v4, 32, v5
	s_delay_alu instid0(VALU_DEP_2) | instskip(NEXT) | instid1(VALU_DEP_1)
	v_cvt_f32_u32_e32 v3, v3
	v_ldexp_f32 v3, v3, v4
	s_delay_alu instid0(VALU_DEP_1)
	v_cvt_f16_f32_e32 v4, v3
	s_branch .LBB528_414
.LBB528_412:
	s_mov_b32 s18, -1
                                        ; implicit-def: $vgpr4
.LBB528_413:
	s_mov_b32 s19, 0
.LBB528_414:
	s_delay_alu instid0(SALU_CYCLE_1)
	s_and_b32 vcc_lo, exec_lo, s19
	s_cbranch_vccz .LBB528_432
; %bb.415:
	v_cmp_lt_i16_e64 s0, s3, 27
	s_delay_alu instid0(VALU_DEP_1)
	s_and_b32 vcc_lo, exec_lo, s0
	s_cbranch_vccnz .LBB528_418
; %bb.416:
	v_cmp_gt_i16_e64 s0, s3, 27
	s_delay_alu instid0(VALU_DEP_1)
	s_and_b32 vcc_lo, exec_lo, s0
	s_cbranch_vccz .LBB528_419
; %bb.417:
	global_load_b32 v3, v[0:1], off
	s_mov_b32 s0, 0
	s_waitcnt vmcnt(0)
	v_cvt_f32_u32_e32 v3, v3
	s_delay_alu instid0(VALU_DEP_1)
	v_cvt_f16_f32_e32 v4, v3
	s_branch .LBB528_420
.LBB528_418:
	s_mov_b32 s0, -1
                                        ; implicit-def: $vgpr4
	s_branch .LBB528_423
.LBB528_419:
	s_mov_b32 s0, -1
                                        ; implicit-def: $vgpr4
.LBB528_420:
	s_delay_alu instid0(SALU_CYCLE_1)
	s_and_not1_b32 vcc_lo, exec_lo, s0
	s_cbranch_vccnz .LBB528_422
; %bb.421:
	global_load_u16 v3, v[0:1], off
	s_waitcnt vmcnt(0)
	v_cvt_f16_u16_e32 v4, v3
.LBB528_422:
	s_mov_b32 s0, 0
.LBB528_423:
	s_delay_alu instid0(SALU_CYCLE_1)
	s_and_not1_b32 vcc_lo, exec_lo, s0
	s_cbranch_vccnz .LBB528_431
; %bb.424:
	global_load_u8 v3, v[0:1], off
	s_mov_b32 s0, 0
	s_mov_b32 s21, exec_lo
                                        ; implicit-def: $sgpr19
	s_waitcnt vmcnt(0)
	v_cmpx_lt_i16_e32 0x7f, v3
	s_xor_b32 s21, exec_lo, s21
	s_cbranch_execz .LBB528_445
; %bb.425:
	s_mov_b32 s0, -1
	s_mov_b32 s22, exec_lo
                                        ; implicit-def: $sgpr19
	v_cmpx_eq_u16_e32 0x80, v3
; %bb.426:
	s_movk_i32 s19, 0x7e00
	s_xor_b32 s0, exec_lo, -1
; %bb.427:
	s_or_b32 exec_lo, exec_lo, s22
	s_delay_alu instid0(SALU_CYCLE_1)
	s_and_b32 s0, s0, exec_lo
	s_or_saveexec_b32 s21, s21
	v_mov_b32_e32 v4, s19
	s_xor_b32 exec_lo, exec_lo, s21
	s_cbranch_execnz .LBB528_446
.LBB528_428:
	s_or_b32 exec_lo, exec_lo, s21
	s_and_saveexec_b32 s19, s0
	s_cbranch_execz .LBB528_430
.LBB528_429:
	v_and_b32_e32 v4, 0xffff, v3
	v_lshlrev_b32_e32 v3, 24, v3
	s_delay_alu instid0(VALU_DEP_2) | instskip(NEXT) | instid1(VALU_DEP_2)
	v_and_b32_e32 v5, 7, v4
	v_and_b32_e32 v3, 0x80000000, v3
	s_delay_alu instid0(VALU_DEP_2) | instskip(NEXT) | instid1(VALU_DEP_1)
	v_clz_i32_u32_e32 v6, v5
	v_min_u32_e32 v6, 32, v6
	s_delay_alu instid0(VALU_DEP_1) | instskip(SKIP_1) | instid1(VALU_DEP_2)
	v_subrev_nc_u32_e32 v7, 28, v6
	v_sub_nc_u32_e32 v6, 29, v6
	v_lshlrev_b32_e32 v7, v7, v4
	v_bfe_u32 v4, v4, 3, 4
	s_delay_alu instid0(VALU_DEP_2) | instskip(NEXT) | instid1(VALU_DEP_2)
	v_and_b32_e32 v7, 7, v7
	v_cmp_eq_u32_e32 vcc_lo, 0, v4
	s_delay_alu instid0(VALU_DEP_2) | instskip(NEXT) | instid1(VALU_DEP_1)
	v_dual_cndmask_b32 v4, v4, v6 :: v_dual_cndmask_b32 v5, v5, v7
	v_lshl_add_u32 v4, v4, 23, 0x3b800000
	s_delay_alu instid0(VALU_DEP_2) | instskip(NEXT) | instid1(VALU_DEP_1)
	v_lshlrev_b32_e32 v5, 20, v5
	v_or3_b32 v3, v3, v4, v5
	s_delay_alu instid0(VALU_DEP_1)
	v_cvt_f16_f32_e32 v4, v3
.LBB528_430:
	s_or_b32 exec_lo, exec_lo, s19
.LBB528_431:
	s_mov_b32 s0, -1
.LBB528_432:
	s_mov_b32 s19, 0
.LBB528_433:
	s_delay_alu instid0(SALU_CYCLE_1)
	s_and_b32 vcc_lo, exec_lo, s19
	s_cbranch_vccz .LBB528_468
; %bb.434:
	v_cmp_gt_i16_e64 s19, s3, 22
	s_delay_alu instid0(VALU_DEP_1)
	s_and_b32 vcc_lo, exec_lo, s19
	s_cbranch_vccz .LBB528_444
; %bb.435:
	v_cmp_lt_i16_e64 s0, s3, 24
	s_delay_alu instid0(VALU_DEP_1)
	s_and_b32 vcc_lo, exec_lo, s0
	s_cbranch_vccnz .LBB528_447
; %bb.436:
	v_cmp_gt_i16_e64 s0, s3, 24
	s_delay_alu instid0(VALU_DEP_1)
	s_and_b32 vcc_lo, exec_lo, s0
	s_cbranch_vccz .LBB528_448
; %bb.437:
	global_load_u8 v3, v[0:1], off
	s_mov_b32 s0, 0
	s_mov_b32 s21, exec_lo
                                        ; implicit-def: $sgpr19
	s_waitcnt vmcnt(0)
	v_cmpx_lt_i16_e32 0x7f, v3
	s_xor_b32 s21, exec_lo, s21
	s_cbranch_execz .LBB528_460
; %bb.438:
	s_mov_b32 s0, -1
	s_mov_b32 s22, exec_lo
                                        ; implicit-def: $sgpr19
	v_cmpx_eq_u16_e32 0x80, v3
; %bb.439:
	s_movk_i32 s19, 0x7e00
	s_xor_b32 s0, exec_lo, -1
; %bb.440:
	s_or_b32 exec_lo, exec_lo, s22
	s_delay_alu instid0(SALU_CYCLE_1)
	s_and_b32 s0, s0, exec_lo
	s_or_saveexec_b32 s21, s21
	v_mov_b32_e32 v4, s19
	s_xor_b32 exec_lo, exec_lo, s21
	s_cbranch_execnz .LBB528_461
.LBB528_441:
	s_or_b32 exec_lo, exec_lo, s21
	s_and_saveexec_b32 s19, s0
	s_cbranch_execz .LBB528_443
.LBB528_442:
	v_and_b32_e32 v4, 0xffff, v3
	v_lshlrev_b32_e32 v3, 24, v3
	s_delay_alu instid0(VALU_DEP_2) | instskip(NEXT) | instid1(VALU_DEP_2)
	v_and_b32_e32 v5, 3, v4
	v_and_b32_e32 v3, 0x80000000, v3
	s_delay_alu instid0(VALU_DEP_2) | instskip(NEXT) | instid1(VALU_DEP_1)
	v_clz_i32_u32_e32 v6, v5
	v_min_u32_e32 v6, 32, v6
	s_delay_alu instid0(VALU_DEP_1) | instskip(SKIP_1) | instid1(VALU_DEP_2)
	v_subrev_nc_u32_e32 v7, 29, v6
	v_sub_nc_u32_e32 v6, 30, v6
	v_lshlrev_b32_e32 v7, v7, v4
	v_bfe_u32 v4, v4, 2, 5
	s_delay_alu instid0(VALU_DEP_2) | instskip(NEXT) | instid1(VALU_DEP_2)
	v_and_b32_e32 v7, 3, v7
	v_cmp_eq_u32_e32 vcc_lo, 0, v4
	s_delay_alu instid0(VALU_DEP_2) | instskip(NEXT) | instid1(VALU_DEP_1)
	v_dual_cndmask_b32 v4, v4, v6 :: v_dual_cndmask_b32 v5, v5, v7
	v_lshl_add_u32 v4, v4, 23, 0x37800000
	s_delay_alu instid0(VALU_DEP_2) | instskip(NEXT) | instid1(VALU_DEP_1)
	v_lshlrev_b32_e32 v5, 21, v5
	v_or3_b32 v3, v3, v4, v5
	s_delay_alu instid0(VALU_DEP_1)
	v_cvt_f16_f32_e32 v4, v3
.LBB528_443:
	s_or_b32 exec_lo, exec_lo, s19
	s_mov_b32 s0, 0
	s_branch .LBB528_449
.LBB528_444:
	s_mov_b32 s19, -1
                                        ; implicit-def: $vgpr4
	s_branch .LBB528_455
.LBB528_445:
	s_or_saveexec_b32 s21, s21
	v_mov_b32_e32 v4, s19
	s_xor_b32 exec_lo, exec_lo, s21
	s_cbranch_execz .LBB528_428
.LBB528_446:
	v_cmp_ne_u16_e32 vcc_lo, 0, v3
	v_mov_b32_e32 v4, v3
	s_and_not1_b32 s0, s0, exec_lo
	s_and_b32 s19, vcc_lo, exec_lo
	s_delay_alu instid0(SALU_CYCLE_1)
	s_or_b32 s0, s0, s19
	s_or_b32 exec_lo, exec_lo, s21
	s_and_saveexec_b32 s19, s0
	s_cbranch_execnz .LBB528_429
	s_branch .LBB528_430
.LBB528_447:
	s_mov_b32 s0, -1
                                        ; implicit-def: $vgpr4
	s_branch .LBB528_452
.LBB528_448:
	s_mov_b32 s0, -1
                                        ; implicit-def: $vgpr4
.LBB528_449:
	s_delay_alu instid0(SALU_CYCLE_1)
	s_and_b32 vcc_lo, exec_lo, s0
	s_cbranch_vccz .LBB528_451
; %bb.450:
	global_load_u8 v3, v[0:1], off
	s_waitcnt vmcnt(0)
	v_lshlrev_b32_e32 v3, 24, v3
	s_delay_alu instid0(VALU_DEP_1) | instskip(NEXT) | instid1(VALU_DEP_1)
	v_and_b32_e32 v4, 0x7f000000, v3
	v_clz_i32_u32_e32 v5, v4
	v_add_nc_u32_e32 v7, 0x1000000, v4
	v_cmp_ne_u32_e32 vcc_lo, 0, v4
	s_delay_alu instid0(VALU_DEP_3) | instskip(NEXT) | instid1(VALU_DEP_1)
	v_min_u32_e32 v5, 32, v5
	v_sub_nc_u32_e64 v5, v5, 4 clamp
	s_delay_alu instid0(VALU_DEP_1) | instskip(SKIP_1) | instid1(VALU_DEP_2)
	v_lshlrev_b32_e32 v6, v5, v4
	v_lshlrev_b32_e32 v5, 23, v5
	v_lshrrev_b32_e32 v6, 4, v6
	s_delay_alu instid0(VALU_DEP_1) | instskip(SKIP_1) | instid1(VALU_DEP_2)
	v_sub_nc_u32_e32 v5, v6, v5
	v_ashrrev_i32_e32 v6, 8, v7
	v_add_nc_u32_e32 v5, 0x3c000000, v5
	s_delay_alu instid0(VALU_DEP_1) | instskip(NEXT) | instid1(VALU_DEP_1)
	v_and_or_b32 v5, 0x7f800000, v6, v5
	v_cndmask_b32_e32 v4, 0, v5, vcc_lo
	s_delay_alu instid0(VALU_DEP_1) | instskip(NEXT) | instid1(VALU_DEP_1)
	v_and_or_b32 v3, 0x80000000, v3, v4
	v_cvt_f16_f32_e32 v4, v3
.LBB528_451:
	s_mov_b32 s0, 0
.LBB528_452:
	s_delay_alu instid0(SALU_CYCLE_1)
	s_and_not1_b32 vcc_lo, exec_lo, s0
	s_cbranch_vccnz .LBB528_454
; %bb.453:
	global_load_u8 v3, v[0:1], off
	s_waitcnt vmcnt(0)
	v_lshlrev_b32_e32 v4, 25, v3
	v_lshlrev_b16 v3, 8, v3
	s_delay_alu instid0(VALU_DEP_2) | instskip(NEXT) | instid1(VALU_DEP_2)
	v_lshrrev_b32_e32 v5, 4, v4
	v_and_or_b32 v6, 0x7f00, v3, 0.5
	v_bfe_i32 v3, v3, 0, 16
	s_delay_alu instid0(VALU_DEP_3) | instskip(NEXT) | instid1(VALU_DEP_1)
	v_or_b32_e32 v5, 0x70000000, v5
	v_dual_add_f32 v6, -0.5, v6 :: v_dual_mul_f32 v5, 0x7800000, v5
	v_cmp_gt_u32_e32 vcc_lo, 0x8000000, v4
	s_delay_alu instid0(VALU_DEP_2) | instskip(NEXT) | instid1(VALU_DEP_1)
	v_cndmask_b32_e32 v4, v5, v6, vcc_lo
	v_and_or_b32 v3, 0x80000000, v3, v4
	s_delay_alu instid0(VALU_DEP_1)
	v_cvt_f16_f32_e32 v4, v3
.LBB528_454:
	s_mov_b32 s19, 0
	s_mov_b32 s0, -1
.LBB528_455:
	s_and_not1_b32 vcc_lo, exec_lo, s19
	s_cbranch_vccnz .LBB528_468
; %bb.456:
	v_cmp_gt_i16_e64 s19, s3, 14
	s_delay_alu instid0(VALU_DEP_1)
	s_and_b32 vcc_lo, exec_lo, s19
	s_cbranch_vccz .LBB528_459
; %bb.457:
	v_cmp_eq_u16_e64 s18, s3, 15
	s_delay_alu instid0(VALU_DEP_1)
	s_and_b32 vcc_lo, exec_lo, s18
	s_cbranch_vccz .LBB528_462
; %bb.458:
	global_load_u16 v3, v[0:1], off
	s_mov_b32 s0, -1
	s_mov_b32 s18, 0
	s_waitcnt vmcnt(0)
	v_lshlrev_b32_e32 v3, 16, v3
	s_delay_alu instid0(VALU_DEP_1)
	v_cvt_f16_f32_e32 v4, v3
	s_branch .LBB528_463
.LBB528_459:
	s_mov_b32 s19, -1
                                        ; implicit-def: $vgpr4
	s_branch .LBB528_464
.LBB528_460:
	s_or_saveexec_b32 s21, s21
	v_mov_b32_e32 v4, s19
	s_xor_b32 exec_lo, exec_lo, s21
	s_cbranch_execz .LBB528_441
.LBB528_461:
	v_cmp_ne_u16_e32 vcc_lo, 0, v3
	v_mov_b32_e32 v4, v3
	s_and_not1_b32 s0, s0, exec_lo
	s_and_b32 s19, vcc_lo, exec_lo
	s_delay_alu instid0(SALU_CYCLE_1)
	s_or_b32 s0, s0, s19
	s_or_b32 exec_lo, exec_lo, s21
	s_and_saveexec_b32 s19, s0
	s_cbranch_execnz .LBB528_442
	s_branch .LBB528_443
.LBB528_462:
	s_mov_b32 s18, -1
                                        ; implicit-def: $vgpr4
.LBB528_463:
	s_mov_b32 s19, 0
.LBB528_464:
	s_delay_alu instid0(SALU_CYCLE_1)
	s_and_b32 vcc_lo, exec_lo, s19
	s_cbranch_vccz .LBB528_468
; %bb.465:
	v_cmp_eq_u16_e64 s18, s3, 11
	s_delay_alu instid0(VALU_DEP_1)
	s_and_b32 vcc_lo, exec_lo, s18
	s_cbranch_vccz .LBB528_467
; %bb.466:
	global_load_u8 v3, v[0:1], off
	s_mov_b32 s18, 0
	s_mov_b32 s0, -1
	s_waitcnt vmcnt(0)
	v_cmp_ne_u16_e32 vcc_lo, 0, v3
	v_cndmask_b32_e64 v4, 0, 0x3c00, vcc_lo
	s_branch .LBB528_468
.LBB528_467:
	s_mov_b32 s18, -1
                                        ; implicit-def: $vgpr4
.LBB528_468:
	s_branch .LBB528_266
.LBB528_469:
	v_cmp_lt_i16_e64 s0, s3, 5
	s_delay_alu instid0(VALU_DEP_1)
	s_and_b32 vcc_lo, exec_lo, s0
	s_cbranch_vccnz .LBB528_474
; %bb.470:
	v_cmp_lt_i16_e64 s0, s3, 8
	s_delay_alu instid0(VALU_DEP_1)
	s_and_b32 vcc_lo, exec_lo, s0
	s_cbranch_vccnz .LBB528_475
; %bb.471:
	;; [unrolled: 5-line block ×3, first 2 shown]
	v_cmp_gt_i16_e64 s0, s3, 9
	s_delay_alu instid0(VALU_DEP_1)
	s_and_b32 vcc_lo, exec_lo, s0
	s_cbranch_vccz .LBB528_477
; %bb.473:
	global_load_b64 v[3:4], v[0:1], off
	s_mov_b32 s0, 0
	s_waitcnt vmcnt(0)
	v_cvt_f32_f64_e32 v3, v[3:4]
	s_delay_alu instid0(VALU_DEP_1)
	v_cvt_f16_f32_e32 v4, v3
	s_branch .LBB528_478
.LBB528_474:
	s_mov_b32 s0, -1
                                        ; implicit-def: $vgpr4
	s_branch .LBB528_496
.LBB528_475:
	s_mov_b32 s0, -1
                                        ; implicit-def: $vgpr4
	s_branch .LBB528_484
.LBB528_476:
	s_mov_b32 s0, -1
                                        ; implicit-def: $vgpr4
	s_branch .LBB528_481
.LBB528_477:
	s_mov_b32 s0, -1
                                        ; implicit-def: $vgpr4
.LBB528_478:
	s_delay_alu instid0(SALU_CYCLE_1)
	s_and_not1_b32 vcc_lo, exec_lo, s0
	s_cbranch_vccnz .LBB528_480
; %bb.479:
	global_load_b32 v3, v[0:1], off
	s_waitcnt vmcnt(0)
	v_cvt_f16_f32_e32 v4, v3
.LBB528_480:
	s_mov_b32 s0, 0
.LBB528_481:
	s_delay_alu instid0(SALU_CYCLE_1)
	s_and_not1_b32 vcc_lo, exec_lo, s0
	s_cbranch_vccnz .LBB528_483
; %bb.482:
	global_load_b32 v4, v[0:1], off
.LBB528_483:
	s_mov_b32 s0, 0
.LBB528_484:
	s_delay_alu instid0(SALU_CYCLE_1)
	s_and_not1_b32 vcc_lo, exec_lo, s0
	s_cbranch_vccnz .LBB528_495
; %bb.485:
	v_cmp_lt_i16_e64 s0, s3, 6
	s_delay_alu instid0(VALU_DEP_1)
	s_and_b32 vcc_lo, exec_lo, s0
	s_cbranch_vccnz .LBB528_488
; %bb.486:
	v_cmp_gt_i16_e64 s0, s3, 6
	s_delay_alu instid0(VALU_DEP_1)
	s_and_b32 vcc_lo, exec_lo, s0
	s_cbranch_vccz .LBB528_489
; %bb.487:
	global_load_b64 v[3:4], v[0:1], off
	s_mov_b32 s0, 0
	s_waitcnt vmcnt(0)
	v_cvt_f32_f64_e32 v3, v[3:4]
	s_delay_alu instid0(VALU_DEP_1)
	v_cvt_f16_f32_e32 v4, v3
	s_branch .LBB528_490
.LBB528_488:
	s_mov_b32 s0, -1
                                        ; implicit-def: $vgpr4
	s_branch .LBB528_493
.LBB528_489:
	s_mov_b32 s0, -1
                                        ; implicit-def: $vgpr4
.LBB528_490:
	s_delay_alu instid0(SALU_CYCLE_1)
	s_and_not1_b32 vcc_lo, exec_lo, s0
	s_cbranch_vccnz .LBB528_492
; %bb.491:
	global_load_b32 v3, v[0:1], off
	s_waitcnt vmcnt(0)
	v_cvt_f16_f32_e32 v4, v3
.LBB528_492:
	s_mov_b32 s0, 0
.LBB528_493:
	s_delay_alu instid0(SALU_CYCLE_1)
	s_and_not1_b32 vcc_lo, exec_lo, s0
	s_cbranch_vccnz .LBB528_495
; %bb.494:
	global_load_u16 v4, v[0:1], off
.LBB528_495:
	s_mov_b32 s0, 0
.LBB528_496:
	s_delay_alu instid0(SALU_CYCLE_1)
	s_and_not1_b32 vcc_lo, exec_lo, s0
	s_cbranch_vccnz .LBB528_516
; %bb.497:
	v_cmp_lt_i16_e64 s0, s3, 2
	s_delay_alu instid0(VALU_DEP_1)
	s_and_b32 vcc_lo, exec_lo, s0
	s_cbranch_vccnz .LBB528_501
; %bb.498:
	v_cmp_lt_i16_e64 s0, s3, 3
	s_delay_alu instid0(VALU_DEP_1)
	s_and_b32 vcc_lo, exec_lo, s0
	s_cbranch_vccnz .LBB528_502
; %bb.499:
	v_cmp_gt_i16_e64 s0, s3, 3
	s_delay_alu instid0(VALU_DEP_1)
	s_and_b32 vcc_lo, exec_lo, s0
	s_cbranch_vccz .LBB528_503
; %bb.500:
	global_load_b64 v[3:4], v[0:1], off
	s_mov_b32 s0, 0
	s_waitcnt vmcnt(0)
	v_xor_b32_e32 v5, v3, v4
	v_cls_i32_e32 v6, v4
	s_delay_alu instid0(VALU_DEP_2) | instskip(NEXT) | instid1(VALU_DEP_2)
	v_ashrrev_i32_e32 v5, 31, v5
	v_add_nc_u32_e32 v6, -1, v6
	s_delay_alu instid0(VALU_DEP_2) | instskip(NEXT) | instid1(VALU_DEP_1)
	v_add_nc_u32_e32 v5, 32, v5
	v_min_u32_e32 v5, v6, v5
	s_delay_alu instid0(VALU_DEP_1) | instskip(NEXT) | instid1(VALU_DEP_1)
	v_lshlrev_b64 v[3:4], v5, v[3:4]
	v_min_u32_e32 v3, 1, v3
	s_delay_alu instid0(VALU_DEP_1) | instskip(SKIP_1) | instid1(VALU_DEP_2)
	v_or_b32_e32 v3, v4, v3
	v_sub_nc_u32_e32 v4, 32, v5
	v_cvt_f32_i32_e32 v3, v3
	s_delay_alu instid0(VALU_DEP_1) | instskip(NEXT) | instid1(VALU_DEP_1)
	v_ldexp_f32 v3, v3, v4
	v_cvt_f16_f32_e32 v4, v3
	s_branch .LBB528_504
.LBB528_501:
	s_mov_b32 s0, -1
                                        ; implicit-def: $vgpr4
	s_branch .LBB528_510
.LBB528_502:
	s_mov_b32 s0, -1
                                        ; implicit-def: $vgpr4
	s_branch .LBB528_507
.LBB528_503:
	s_mov_b32 s0, -1
                                        ; implicit-def: $vgpr4
.LBB528_504:
	s_delay_alu instid0(SALU_CYCLE_1)
	s_and_not1_b32 vcc_lo, exec_lo, s0
	s_cbranch_vccnz .LBB528_506
; %bb.505:
	global_load_b32 v3, v[0:1], off
	s_waitcnt vmcnt(0)
	v_cvt_f32_i32_e32 v3, v3
	s_delay_alu instid0(VALU_DEP_1)
	v_cvt_f16_f32_e32 v4, v3
.LBB528_506:
	s_mov_b32 s0, 0
.LBB528_507:
	s_delay_alu instid0(SALU_CYCLE_1)
	s_and_not1_b32 vcc_lo, exec_lo, s0
	s_cbranch_vccnz .LBB528_509
; %bb.508:
	global_load_u16 v3, v[0:1], off
	s_waitcnt vmcnt(0)
	v_cvt_f16_i16_e32 v4, v3
.LBB528_509:
	s_mov_b32 s0, 0
.LBB528_510:
	s_delay_alu instid0(SALU_CYCLE_1)
	s_and_not1_b32 vcc_lo, exec_lo, s0
	s_cbranch_vccnz .LBB528_516
; %bb.511:
	v_cmp_gt_i16_e64 s0, s3, 0
	s_delay_alu instid0(VALU_DEP_1)
	s_and_b32 vcc_lo, exec_lo, s0
	s_mov_b32 s0, 0
	s_cbranch_vccz .LBB528_513
; %bb.512:
	global_load_i8 v3, v[0:1], off
	s_waitcnt vmcnt(0)
	v_cvt_f16_i16_e32 v4, v3
	s_branch .LBB528_514
.LBB528_513:
	s_mov_b32 s0, -1
                                        ; implicit-def: $vgpr4
.LBB528_514:
	s_delay_alu instid0(SALU_CYCLE_1)
	s_and_not1_b32 vcc_lo, exec_lo, s0
	s_cbranch_vccnz .LBB528_516
; %bb.515:
	global_load_u8 v0, v[0:1], off
	s_waitcnt vmcnt(0)
	v_cvt_f16_u16_e32 v4, v0
.LBB528_516:
	s_branch .LBB528_267
.LBB528_517:
	s_mov_b32 s21, 0
	s_mov_b32 s0, s14
.LBB528_518:
                                        ; implicit-def: $vgpr2
.LBB528_519:
	s_and_not1_b32 s19, s14, exec_lo
	s_and_b32 s0, s0, exec_lo
	s_and_not1_b32 s22, s15, exec_lo
	s_and_b32 s18, s18, exec_lo
	s_or_b32 s19, s19, s0
	s_or_b32 s18, s22, s18
	s_or_not1_b32 s0, s21, exec_lo
.LBB528_520:
	s_or_b32 exec_lo, exec_lo, s20
	s_mov_b32 s21, 0
	s_mov_b32 s22, 0
	;; [unrolled: 1-line block ×3, first 2 shown]
                                        ; implicit-def: $vgpr0_vgpr1
                                        ; implicit-def: $vgpr5
	s_and_saveexec_b32 s20, s0
	s_cbranch_execz .LBB528_871
; %bb.521:
	s_mov_b32 s23, -1
	s_mov_b32 s0, s18
	s_mov_b32 s22, s19
	s_mov_b32 s21, exec_lo
	v_cmpx_gt_i32_e64 s16, v2
	s_cbranch_execz .LBB528_785
; %bb.522:
	v_mul_lo_u32 v0, v2, s9
	v_cmp_lt_i16_e64 s0, s3, 11
	s_delay_alu instid0(VALU_DEP_2) | instskip(SKIP_1) | instid1(VALU_DEP_2)
	v_ashrrev_i32_e32 v1, 31, v0
	v_add_co_u32 v0, vcc_lo, s6, v0
	v_add_co_ci_u32_e32 v1, vcc_lo, s7, v1, vcc_lo
	s_delay_alu instid0(VALU_DEP_4)
	s_and_b32 vcc_lo, exec_lo, s0
	s_cbranch_vccnz .LBB528_529
; %bb.523:
	v_cmp_gt_i16_e64 s0, s3, 25
	s_delay_alu instid0(VALU_DEP_1)
	s_and_b32 vcc_lo, exec_lo, s0
	s_cbranch_vccz .LBB528_530
; %bb.524:
	v_cmp_gt_i16_e64 s0, s3, 28
	s_delay_alu instid0(VALU_DEP_1)
	s_and_b32 vcc_lo, exec_lo, s0
	s_cbranch_vccz .LBB528_531
	;; [unrolled: 5-line block ×4, first 2 shown]
; %bb.527:
	v_cmp_eq_u16_e64 s0, s3, 46
	s_mov_b32 s23, 0
	s_delay_alu instid0(VALU_DEP_1)
	s_and_b32 vcc_lo, exec_lo, s0
	s_cbranch_vccz .LBB528_538
; %bb.528:
	global_load_b32 v3, v[0:1], off
	s_mov_b32 s0, -1
	s_mov_b32 s22, 0
	s_waitcnt vmcnt(0)
	v_lshlrev_b32_e32 v3, 16, v3
	s_delay_alu instid0(VALU_DEP_1)
	v_cvt_f16_f32_e32 v4, v3
	s_branch .LBB528_540
.LBB528_529:
	s_mov_b32 s0, 0
	s_mov_b32 s22, s18
                                        ; implicit-def: $vgpr4
	s_branch .LBB528_605
.LBB528_530:
	s_mov_b32 s0, 0
	s_mov_b32 s22, s18
                                        ; implicit-def: $vgpr4
	s_branch .LBB528_569
.LBB528_531:
	s_mov_b32 s0, 0
	s_mov_b32 s22, s18
                                        ; implicit-def: $vgpr4
	s_branch .LBB528_550
.LBB528_532:
	s_mov_b32 s0, 0
	s_mov_b32 s22, s18
                                        ; implicit-def: $vgpr4
	s_branch .LBB528_545
.LBB528_533:
	s_or_saveexec_b32 s22, s22
                                        ; implicit-def: $sgpr23
	s_delay_alu instid0(SALU_CYCLE_1)
	s_xor_b32 exec_lo, exec_lo, s22
	s_cbranch_execz .LBB528_317
.LBB528_534:
	v_add_f32_e64 v6, 0x46000000, |v5|
	s_and_not1_b32 s21, s21, exec_lo
	s_mov_b32 s23, 0
	s_delay_alu instid0(VALU_DEP_1) | instskip(NEXT) | instid1(VALU_DEP_1)
	v_and_b32_e32 v6, 0xff, v6
	v_cmp_ne_u32_e32 vcc_lo, 0, v6
	s_and_b32 s24, vcc_lo, exec_lo
	s_delay_alu instid0(SALU_CYCLE_1)
	s_or_b32 s21, s21, s24
	s_or_b32 exec_lo, exec_lo, s22
	v_mov_b32_e32 v7, s23
	s_and_saveexec_b32 s22, s21
	s_cbranch_execnz .LBB528_318
	s_branch .LBB528_319
.LBB528_535:
	s_mov_b32 s0, 0
	s_mov_b32 s22, s18
	s_branch .LBB528_539
.LBB528_536:
	s_or_saveexec_b32 s22, s22
                                        ; implicit-def: $sgpr23
	s_delay_alu instid0(SALU_CYCLE_1)
	s_xor_b32 exec_lo, exec_lo, s22
	s_cbranch_execz .LBB528_330
.LBB528_537:
	v_add_f32_e64 v6, 0x42800000, |v5|
	s_and_not1_b32 s21, s21, exec_lo
	s_mov_b32 s23, 0
	s_delay_alu instid0(VALU_DEP_1) | instskip(NEXT) | instid1(VALU_DEP_1)
	v_and_b32_e32 v6, 0xff, v6
	v_cmp_ne_u32_e32 vcc_lo, 0, v6
	s_and_b32 s24, vcc_lo, exec_lo
	s_delay_alu instid0(SALU_CYCLE_1)
	s_or_b32 s21, s21, s24
	s_or_b32 exec_lo, exec_lo, s22
	v_mov_b32_e32 v7, s23
	s_and_saveexec_b32 s22, s21
	s_cbranch_execnz .LBB528_331
	s_branch .LBB528_332
.LBB528_538:
	s_mov_b32 s22, -1
	s_mov_b32 s0, 0
.LBB528_539:
                                        ; implicit-def: $vgpr4
.LBB528_540:
	s_and_b32 vcc_lo, exec_lo, s23
	s_cbranch_vccz .LBB528_544
; %bb.541:
	v_cmp_eq_u16_e64 s22, s3, 44
	s_delay_alu instid0(VALU_DEP_1)
	s_and_b32 vcc_lo, exec_lo, s22
	s_cbranch_vccz .LBB528_543
; %bb.542:
	global_load_u8 v3, v[0:1], off
	s_mov_b32 s22, 0
	s_mov_b32 s0, -1
	s_waitcnt vmcnt(0)
	v_lshlrev_b32_e32 v4, 23, v3
	v_cmp_ne_u32_e32 vcc_lo, 0xff, v3
	s_delay_alu instid0(VALU_DEP_2) | instskip(NEXT) | instid1(VALU_DEP_1)
	v_cvt_f16_f32_e32 v4, v4
	v_cndmask_b32_e32 v4, 0x7e00, v4, vcc_lo
	v_cmp_ne_u32_e32 vcc_lo, 0, v3
	s_delay_alu instid0(VALU_DEP_2)
	v_cndmask_b32_e32 v4, 0, v4, vcc_lo
	s_branch .LBB528_544
.LBB528_543:
	s_mov_b32 s22, -1
                                        ; implicit-def: $vgpr4
.LBB528_544:
	s_mov_b32 s23, 0
.LBB528_545:
	s_delay_alu instid0(SALU_CYCLE_1)
	s_and_b32 vcc_lo, exec_lo, s23
	s_cbranch_vccz .LBB528_549
; %bb.546:
	v_cmp_eq_u16_e64 s22, s3, 29
	s_delay_alu instid0(VALU_DEP_1)
	s_and_b32 vcc_lo, exec_lo, s22
	s_cbranch_vccz .LBB528_548
; %bb.547:
	global_load_b64 v[3:4], v[0:1], off
	s_mov_b32 s0, -1
	s_mov_b32 s22, 0
	s_mov_b32 s23, 0
	s_waitcnt vmcnt(0)
	v_clz_i32_u32_e32 v5, v4
	s_delay_alu instid0(VALU_DEP_1) | instskip(NEXT) | instid1(VALU_DEP_1)
	v_min_u32_e32 v5, 32, v5
	v_lshlrev_b64 v[3:4], v5, v[3:4]
	s_delay_alu instid0(VALU_DEP_1) | instskip(NEXT) | instid1(VALU_DEP_1)
	v_min_u32_e32 v3, 1, v3
	v_or_b32_e32 v3, v4, v3
	v_sub_nc_u32_e32 v4, 32, v5
	s_delay_alu instid0(VALU_DEP_2) | instskip(NEXT) | instid1(VALU_DEP_1)
	v_cvt_f32_u32_e32 v3, v3
	v_ldexp_f32 v3, v3, v4
	s_delay_alu instid0(VALU_DEP_1)
	v_cvt_f16_f32_e32 v4, v3
	s_branch .LBB528_550
.LBB528_548:
	s_mov_b32 s22, -1
                                        ; implicit-def: $vgpr4
.LBB528_549:
	s_mov_b32 s23, 0
.LBB528_550:
	s_delay_alu instid0(SALU_CYCLE_1)
	s_and_b32 vcc_lo, exec_lo, s23
	s_cbranch_vccz .LBB528_568
; %bb.551:
	v_cmp_lt_i16_e64 s0, s3, 27
	s_delay_alu instid0(VALU_DEP_1)
	s_and_b32 vcc_lo, exec_lo, s0
	s_cbranch_vccnz .LBB528_554
; %bb.552:
	v_cmp_gt_i16_e64 s0, s3, 27
	s_delay_alu instid0(VALU_DEP_1)
	s_and_b32 vcc_lo, exec_lo, s0
	s_cbranch_vccz .LBB528_555
; %bb.553:
	global_load_b32 v3, v[0:1], off
	s_mov_b32 s0, 0
	s_waitcnt vmcnt(0)
	v_cvt_f32_u32_e32 v3, v3
	s_delay_alu instid0(VALU_DEP_1)
	v_cvt_f16_f32_e32 v4, v3
	s_branch .LBB528_556
.LBB528_554:
	s_mov_b32 s0, -1
                                        ; implicit-def: $vgpr4
	s_branch .LBB528_559
.LBB528_555:
	s_mov_b32 s0, -1
                                        ; implicit-def: $vgpr4
.LBB528_556:
	s_delay_alu instid0(SALU_CYCLE_1)
	s_and_not1_b32 vcc_lo, exec_lo, s0
	s_cbranch_vccnz .LBB528_558
; %bb.557:
	global_load_u16 v3, v[0:1], off
	s_waitcnt vmcnt(0)
	v_cvt_f16_u16_e32 v4, v3
.LBB528_558:
	s_mov_b32 s0, 0
.LBB528_559:
	s_delay_alu instid0(SALU_CYCLE_1)
	s_and_not1_b32 vcc_lo, exec_lo, s0
	s_cbranch_vccnz .LBB528_567
; %bb.560:
	global_load_u8 v3, v[0:1], off
	s_mov_b32 s0, 0
	s_mov_b32 s24, exec_lo
                                        ; implicit-def: $sgpr23
	s_waitcnt vmcnt(0)
	v_cmpx_lt_i16_e32 0x7f, v3
	s_xor_b32 s24, exec_lo, s24
	s_cbranch_execz .LBB528_581
; %bb.561:
	s_mov_b32 s0, -1
	s_mov_b32 s25, exec_lo
                                        ; implicit-def: $sgpr23
	v_cmpx_eq_u16_e32 0x80, v3
; %bb.562:
	s_movk_i32 s23, 0x7e00
	s_xor_b32 s0, exec_lo, -1
; %bb.563:
	s_or_b32 exec_lo, exec_lo, s25
	s_delay_alu instid0(SALU_CYCLE_1)
	s_and_b32 s0, s0, exec_lo
	s_or_saveexec_b32 s24, s24
	v_mov_b32_e32 v4, s23
	s_xor_b32 exec_lo, exec_lo, s24
	s_cbranch_execnz .LBB528_582
.LBB528_564:
	s_or_b32 exec_lo, exec_lo, s24
	s_and_saveexec_b32 s23, s0
	s_cbranch_execz .LBB528_566
.LBB528_565:
	v_and_b32_e32 v4, 0xffff, v3
	v_lshlrev_b32_e32 v3, 24, v3
	s_delay_alu instid0(VALU_DEP_2) | instskip(NEXT) | instid1(VALU_DEP_2)
	v_and_b32_e32 v5, 7, v4
	v_and_b32_e32 v3, 0x80000000, v3
	s_delay_alu instid0(VALU_DEP_2) | instskip(NEXT) | instid1(VALU_DEP_1)
	v_clz_i32_u32_e32 v6, v5
	v_min_u32_e32 v6, 32, v6
	s_delay_alu instid0(VALU_DEP_1) | instskip(SKIP_1) | instid1(VALU_DEP_2)
	v_subrev_nc_u32_e32 v7, 28, v6
	v_sub_nc_u32_e32 v6, 29, v6
	v_lshlrev_b32_e32 v7, v7, v4
	v_bfe_u32 v4, v4, 3, 4
	s_delay_alu instid0(VALU_DEP_2) | instskip(NEXT) | instid1(VALU_DEP_2)
	v_and_b32_e32 v7, 7, v7
	v_cmp_eq_u32_e32 vcc_lo, 0, v4
	s_delay_alu instid0(VALU_DEP_2) | instskip(NEXT) | instid1(VALU_DEP_1)
	v_dual_cndmask_b32 v4, v4, v6 :: v_dual_cndmask_b32 v5, v5, v7
	v_lshl_add_u32 v4, v4, 23, 0x3b800000
	s_delay_alu instid0(VALU_DEP_2) | instskip(NEXT) | instid1(VALU_DEP_1)
	v_lshlrev_b32_e32 v5, 20, v5
	v_or3_b32 v3, v3, v4, v5
	s_delay_alu instid0(VALU_DEP_1)
	v_cvt_f16_f32_e32 v4, v3
.LBB528_566:
	s_or_b32 exec_lo, exec_lo, s23
.LBB528_567:
	s_mov_b32 s0, -1
.LBB528_568:
	s_mov_b32 s23, 0
.LBB528_569:
	s_delay_alu instid0(SALU_CYCLE_1)
	s_and_b32 vcc_lo, exec_lo, s23
	s_cbranch_vccz .LBB528_604
; %bb.570:
	v_cmp_gt_i16_e64 s23, s3, 22
	s_delay_alu instid0(VALU_DEP_1)
	s_and_b32 vcc_lo, exec_lo, s23
	s_cbranch_vccz .LBB528_580
; %bb.571:
	v_cmp_lt_i16_e64 s0, s3, 24
	s_delay_alu instid0(VALU_DEP_1)
	s_and_b32 vcc_lo, exec_lo, s0
	s_cbranch_vccnz .LBB528_583
; %bb.572:
	v_cmp_gt_i16_e64 s0, s3, 24
	s_delay_alu instid0(VALU_DEP_1)
	s_and_b32 vcc_lo, exec_lo, s0
	s_cbranch_vccz .LBB528_584
; %bb.573:
	global_load_u8 v3, v[0:1], off
	s_mov_b32 s0, 0
	s_mov_b32 s24, exec_lo
                                        ; implicit-def: $sgpr23
	s_waitcnt vmcnt(0)
	v_cmpx_lt_i16_e32 0x7f, v3
	s_xor_b32 s24, exec_lo, s24
	s_cbranch_execz .LBB528_596
; %bb.574:
	s_mov_b32 s0, -1
	s_mov_b32 s25, exec_lo
                                        ; implicit-def: $sgpr23
	v_cmpx_eq_u16_e32 0x80, v3
; %bb.575:
	s_movk_i32 s23, 0x7e00
	s_xor_b32 s0, exec_lo, -1
; %bb.576:
	s_or_b32 exec_lo, exec_lo, s25
	s_delay_alu instid0(SALU_CYCLE_1)
	s_and_b32 s0, s0, exec_lo
	s_or_saveexec_b32 s24, s24
	v_mov_b32_e32 v4, s23
	s_xor_b32 exec_lo, exec_lo, s24
	s_cbranch_execnz .LBB528_597
.LBB528_577:
	s_or_b32 exec_lo, exec_lo, s24
	s_and_saveexec_b32 s23, s0
	s_cbranch_execz .LBB528_579
.LBB528_578:
	v_and_b32_e32 v4, 0xffff, v3
	v_lshlrev_b32_e32 v3, 24, v3
	s_delay_alu instid0(VALU_DEP_2) | instskip(NEXT) | instid1(VALU_DEP_2)
	v_and_b32_e32 v5, 3, v4
	v_and_b32_e32 v3, 0x80000000, v3
	s_delay_alu instid0(VALU_DEP_2) | instskip(NEXT) | instid1(VALU_DEP_1)
	v_clz_i32_u32_e32 v6, v5
	v_min_u32_e32 v6, 32, v6
	s_delay_alu instid0(VALU_DEP_1) | instskip(SKIP_1) | instid1(VALU_DEP_2)
	v_subrev_nc_u32_e32 v7, 29, v6
	v_sub_nc_u32_e32 v6, 30, v6
	v_lshlrev_b32_e32 v7, v7, v4
	v_bfe_u32 v4, v4, 2, 5
	s_delay_alu instid0(VALU_DEP_2) | instskip(NEXT) | instid1(VALU_DEP_2)
	v_and_b32_e32 v7, 3, v7
	v_cmp_eq_u32_e32 vcc_lo, 0, v4
	s_delay_alu instid0(VALU_DEP_2) | instskip(NEXT) | instid1(VALU_DEP_1)
	v_dual_cndmask_b32 v4, v4, v6 :: v_dual_cndmask_b32 v5, v5, v7
	v_lshl_add_u32 v4, v4, 23, 0x37800000
	s_delay_alu instid0(VALU_DEP_2) | instskip(NEXT) | instid1(VALU_DEP_1)
	v_lshlrev_b32_e32 v5, 21, v5
	v_or3_b32 v3, v3, v4, v5
	s_delay_alu instid0(VALU_DEP_1)
	v_cvt_f16_f32_e32 v4, v3
.LBB528_579:
	s_or_b32 exec_lo, exec_lo, s23
	s_mov_b32 s0, 0
	s_branch .LBB528_585
.LBB528_580:
	s_mov_b32 s23, -1
                                        ; implicit-def: $vgpr4
	s_branch .LBB528_591
.LBB528_581:
	s_or_saveexec_b32 s24, s24
	v_mov_b32_e32 v4, s23
	s_xor_b32 exec_lo, exec_lo, s24
	s_cbranch_execz .LBB528_564
.LBB528_582:
	v_cmp_ne_u16_e32 vcc_lo, 0, v3
	v_mov_b32_e32 v4, v3
	s_and_not1_b32 s0, s0, exec_lo
	s_and_b32 s23, vcc_lo, exec_lo
	s_delay_alu instid0(SALU_CYCLE_1)
	s_or_b32 s0, s0, s23
	s_or_b32 exec_lo, exec_lo, s24
	s_and_saveexec_b32 s23, s0
	s_cbranch_execnz .LBB528_565
	s_branch .LBB528_566
.LBB528_583:
	s_mov_b32 s0, -1
                                        ; implicit-def: $vgpr4
	s_branch .LBB528_588
.LBB528_584:
	s_mov_b32 s0, -1
                                        ; implicit-def: $vgpr4
.LBB528_585:
	s_delay_alu instid0(SALU_CYCLE_1)
	s_and_b32 vcc_lo, exec_lo, s0
	s_cbranch_vccz .LBB528_587
; %bb.586:
	global_load_u8 v3, v[0:1], off
	s_waitcnt vmcnt(0)
	v_lshlrev_b32_e32 v3, 24, v3
	s_delay_alu instid0(VALU_DEP_1) | instskip(NEXT) | instid1(VALU_DEP_1)
	v_and_b32_e32 v4, 0x7f000000, v3
	v_clz_i32_u32_e32 v5, v4
	v_add_nc_u32_e32 v7, 0x1000000, v4
	v_cmp_ne_u32_e32 vcc_lo, 0, v4
	s_delay_alu instid0(VALU_DEP_3) | instskip(NEXT) | instid1(VALU_DEP_1)
	v_min_u32_e32 v5, 32, v5
	v_sub_nc_u32_e64 v5, v5, 4 clamp
	s_delay_alu instid0(VALU_DEP_1) | instskip(SKIP_1) | instid1(VALU_DEP_2)
	v_lshlrev_b32_e32 v6, v5, v4
	v_lshlrev_b32_e32 v5, 23, v5
	v_lshrrev_b32_e32 v6, 4, v6
	s_delay_alu instid0(VALU_DEP_1) | instskip(SKIP_1) | instid1(VALU_DEP_2)
	v_sub_nc_u32_e32 v5, v6, v5
	v_ashrrev_i32_e32 v6, 8, v7
	v_add_nc_u32_e32 v5, 0x3c000000, v5
	s_delay_alu instid0(VALU_DEP_1) | instskip(NEXT) | instid1(VALU_DEP_1)
	v_and_or_b32 v5, 0x7f800000, v6, v5
	v_cndmask_b32_e32 v4, 0, v5, vcc_lo
	s_delay_alu instid0(VALU_DEP_1) | instskip(NEXT) | instid1(VALU_DEP_1)
	v_and_or_b32 v3, 0x80000000, v3, v4
	v_cvt_f16_f32_e32 v4, v3
.LBB528_587:
	s_mov_b32 s0, 0
.LBB528_588:
	s_delay_alu instid0(SALU_CYCLE_1)
	s_and_not1_b32 vcc_lo, exec_lo, s0
	s_cbranch_vccnz .LBB528_590
; %bb.589:
	global_load_u8 v3, v[0:1], off
	s_waitcnt vmcnt(0)
	v_lshlrev_b32_e32 v4, 25, v3
	v_lshlrev_b16 v3, 8, v3
	s_delay_alu instid0(VALU_DEP_2) | instskip(NEXT) | instid1(VALU_DEP_2)
	v_lshrrev_b32_e32 v5, 4, v4
	v_and_or_b32 v6, 0x7f00, v3, 0.5
	v_bfe_i32 v3, v3, 0, 16
	s_delay_alu instid0(VALU_DEP_3) | instskip(NEXT) | instid1(VALU_DEP_1)
	v_or_b32_e32 v5, 0x70000000, v5
	v_dual_add_f32 v6, -0.5, v6 :: v_dual_mul_f32 v5, 0x7800000, v5
	v_cmp_gt_u32_e32 vcc_lo, 0x8000000, v4
	s_delay_alu instid0(VALU_DEP_2) | instskip(NEXT) | instid1(VALU_DEP_1)
	v_cndmask_b32_e32 v4, v5, v6, vcc_lo
	v_and_or_b32 v3, 0x80000000, v3, v4
	s_delay_alu instid0(VALU_DEP_1)
	v_cvt_f16_f32_e32 v4, v3
.LBB528_590:
	s_mov_b32 s23, 0
	s_mov_b32 s0, -1
.LBB528_591:
	s_and_not1_b32 vcc_lo, exec_lo, s23
	s_cbranch_vccnz .LBB528_604
; %bb.592:
	v_cmp_gt_i16_e64 s23, s3, 14
	s_delay_alu instid0(VALU_DEP_1)
	s_and_b32 vcc_lo, exec_lo, s23
	s_cbranch_vccz .LBB528_595
; %bb.593:
	v_cmp_eq_u16_e64 s22, s3, 15
	s_delay_alu instid0(VALU_DEP_1)
	s_and_b32 vcc_lo, exec_lo, s22
	s_cbranch_vccz .LBB528_598
; %bb.594:
	global_load_u16 v3, v[0:1], off
	s_mov_b32 s0, -1
	s_mov_b32 s22, 0
	s_waitcnt vmcnt(0)
	v_lshlrev_b32_e32 v3, 16, v3
	s_delay_alu instid0(VALU_DEP_1)
	v_cvt_f16_f32_e32 v4, v3
	s_branch .LBB528_599
.LBB528_595:
	s_mov_b32 s23, -1
                                        ; implicit-def: $vgpr4
	s_branch .LBB528_600
.LBB528_596:
	s_or_saveexec_b32 s24, s24
	v_mov_b32_e32 v4, s23
	s_xor_b32 exec_lo, exec_lo, s24
	s_cbranch_execz .LBB528_577
.LBB528_597:
	v_cmp_ne_u16_e32 vcc_lo, 0, v3
	v_mov_b32_e32 v4, v3
	s_and_not1_b32 s0, s0, exec_lo
	s_and_b32 s23, vcc_lo, exec_lo
	s_delay_alu instid0(SALU_CYCLE_1)
	s_or_b32 s0, s0, s23
	s_or_b32 exec_lo, exec_lo, s24
	s_and_saveexec_b32 s23, s0
	s_cbranch_execnz .LBB528_578
	s_branch .LBB528_579
.LBB528_598:
	s_mov_b32 s22, -1
                                        ; implicit-def: $vgpr4
.LBB528_599:
	s_mov_b32 s23, 0
.LBB528_600:
	s_delay_alu instid0(SALU_CYCLE_1)
	s_and_b32 vcc_lo, exec_lo, s23
	s_cbranch_vccz .LBB528_604
; %bb.601:
	v_cmp_eq_u16_e64 s22, s3, 11
	s_delay_alu instid0(VALU_DEP_1)
	s_and_b32 vcc_lo, exec_lo, s22
	s_cbranch_vccz .LBB528_603
; %bb.602:
	global_load_u8 v3, v[0:1], off
	s_mov_b32 s22, 0
	s_mov_b32 s0, -1
	s_waitcnt vmcnt(0)
	v_cmp_ne_u16_e32 vcc_lo, 0, v3
	v_cndmask_b32_e64 v4, 0, 0x3c00, vcc_lo
	s_branch .LBB528_604
.LBB528_603:
	s_mov_b32 s22, -1
                                        ; implicit-def: $vgpr4
.LBB528_604:
	s_mov_b32 s23, 0
.LBB528_605:
	s_delay_alu instid0(SALU_CYCLE_1)
	s_and_b32 vcc_lo, exec_lo, s23
	s_cbranch_vccz .LBB528_654
; %bb.606:
	v_cmp_lt_i16_e64 s0, s3, 5
	s_delay_alu instid0(VALU_DEP_1)
	s_and_b32 vcc_lo, exec_lo, s0
	s_cbranch_vccnz .LBB528_611
; %bb.607:
	v_cmp_lt_i16_e64 s0, s3, 8
	s_delay_alu instid0(VALU_DEP_1)
	s_and_b32 vcc_lo, exec_lo, s0
	s_cbranch_vccnz .LBB528_612
	;; [unrolled: 5-line block ×3, first 2 shown]
; %bb.609:
	v_cmp_gt_i16_e64 s0, s3, 9
	s_delay_alu instid0(VALU_DEP_1)
	s_and_b32 vcc_lo, exec_lo, s0
	s_cbranch_vccz .LBB528_614
; %bb.610:
	global_load_b64 v[3:4], v[0:1], off
	s_mov_b32 s0, 0
	s_waitcnt vmcnt(0)
	v_cvt_f32_f64_e32 v3, v[3:4]
	s_delay_alu instid0(VALU_DEP_1)
	v_cvt_f16_f32_e32 v4, v3
	s_branch .LBB528_615
.LBB528_611:
	s_mov_b32 s0, -1
                                        ; implicit-def: $vgpr4
	s_branch .LBB528_633
.LBB528_612:
	s_mov_b32 s0, -1
                                        ; implicit-def: $vgpr4
	s_branch .LBB528_621
.LBB528_613:
	s_mov_b32 s0, -1
                                        ; implicit-def: $vgpr4
	s_branch .LBB528_618
.LBB528_614:
	s_mov_b32 s0, -1
                                        ; implicit-def: $vgpr4
.LBB528_615:
	s_delay_alu instid0(SALU_CYCLE_1)
	s_and_not1_b32 vcc_lo, exec_lo, s0
	s_cbranch_vccnz .LBB528_617
; %bb.616:
	global_load_b32 v3, v[0:1], off
	s_waitcnt vmcnt(0)
	v_cvt_f16_f32_e32 v4, v3
.LBB528_617:
	s_mov_b32 s0, 0
.LBB528_618:
	s_delay_alu instid0(SALU_CYCLE_1)
	s_and_not1_b32 vcc_lo, exec_lo, s0
	s_cbranch_vccnz .LBB528_620
; %bb.619:
	global_load_b32 v4, v[0:1], off
.LBB528_620:
	s_mov_b32 s0, 0
.LBB528_621:
	s_delay_alu instid0(SALU_CYCLE_1)
	s_and_not1_b32 vcc_lo, exec_lo, s0
	s_cbranch_vccnz .LBB528_632
; %bb.622:
	v_cmp_lt_i16_e64 s0, s3, 6
	s_delay_alu instid0(VALU_DEP_1)
	s_and_b32 vcc_lo, exec_lo, s0
	s_cbranch_vccnz .LBB528_625
; %bb.623:
	v_cmp_gt_i16_e64 s0, s3, 6
	s_delay_alu instid0(VALU_DEP_1)
	s_and_b32 vcc_lo, exec_lo, s0
	s_cbranch_vccz .LBB528_626
; %bb.624:
	global_load_b64 v[3:4], v[0:1], off
	s_mov_b32 s0, 0
	s_waitcnt vmcnt(0)
	v_cvt_f32_f64_e32 v3, v[3:4]
	s_delay_alu instid0(VALU_DEP_1)
	v_cvt_f16_f32_e32 v4, v3
	s_branch .LBB528_627
.LBB528_625:
	s_mov_b32 s0, -1
                                        ; implicit-def: $vgpr4
	s_branch .LBB528_630
.LBB528_626:
	s_mov_b32 s0, -1
                                        ; implicit-def: $vgpr4
.LBB528_627:
	s_delay_alu instid0(SALU_CYCLE_1)
	s_and_not1_b32 vcc_lo, exec_lo, s0
	s_cbranch_vccnz .LBB528_629
; %bb.628:
	global_load_b32 v3, v[0:1], off
	s_waitcnt vmcnt(0)
	v_cvt_f16_f32_e32 v4, v3
.LBB528_629:
	s_mov_b32 s0, 0
.LBB528_630:
	s_delay_alu instid0(SALU_CYCLE_1)
	s_and_not1_b32 vcc_lo, exec_lo, s0
	s_cbranch_vccnz .LBB528_632
; %bb.631:
	global_load_u16 v4, v[0:1], off
.LBB528_632:
	s_mov_b32 s0, 0
.LBB528_633:
	s_delay_alu instid0(SALU_CYCLE_1)
	s_and_not1_b32 vcc_lo, exec_lo, s0
	s_cbranch_vccnz .LBB528_653
; %bb.634:
	v_cmp_lt_i16_e64 s0, s3, 2
	s_delay_alu instid0(VALU_DEP_1)
	s_and_b32 vcc_lo, exec_lo, s0
	s_cbranch_vccnz .LBB528_638
; %bb.635:
	v_cmp_lt_i16_e64 s0, s3, 3
	s_delay_alu instid0(VALU_DEP_1)
	s_and_b32 vcc_lo, exec_lo, s0
	s_cbranch_vccnz .LBB528_639
; %bb.636:
	v_cmp_gt_i16_e64 s0, s3, 3
	s_delay_alu instid0(VALU_DEP_1)
	s_and_b32 vcc_lo, exec_lo, s0
	s_cbranch_vccz .LBB528_640
; %bb.637:
	global_load_b64 v[3:4], v[0:1], off
	s_mov_b32 s0, 0
	s_waitcnt vmcnt(0)
	v_xor_b32_e32 v5, v3, v4
	v_cls_i32_e32 v6, v4
	s_delay_alu instid0(VALU_DEP_2) | instskip(NEXT) | instid1(VALU_DEP_2)
	v_ashrrev_i32_e32 v5, 31, v5
	v_add_nc_u32_e32 v6, -1, v6
	s_delay_alu instid0(VALU_DEP_2) | instskip(NEXT) | instid1(VALU_DEP_1)
	v_add_nc_u32_e32 v5, 32, v5
	v_min_u32_e32 v5, v6, v5
	s_delay_alu instid0(VALU_DEP_1) | instskip(NEXT) | instid1(VALU_DEP_1)
	v_lshlrev_b64 v[3:4], v5, v[3:4]
	v_min_u32_e32 v3, 1, v3
	s_delay_alu instid0(VALU_DEP_1) | instskip(SKIP_1) | instid1(VALU_DEP_2)
	v_or_b32_e32 v3, v4, v3
	v_sub_nc_u32_e32 v4, 32, v5
	v_cvt_f32_i32_e32 v3, v3
	s_delay_alu instid0(VALU_DEP_1) | instskip(NEXT) | instid1(VALU_DEP_1)
	v_ldexp_f32 v3, v3, v4
	v_cvt_f16_f32_e32 v4, v3
	s_branch .LBB528_641
.LBB528_638:
	s_mov_b32 s0, -1
                                        ; implicit-def: $vgpr4
	s_branch .LBB528_647
.LBB528_639:
	s_mov_b32 s0, -1
                                        ; implicit-def: $vgpr4
	s_branch .LBB528_644
.LBB528_640:
	s_mov_b32 s0, -1
                                        ; implicit-def: $vgpr4
.LBB528_641:
	s_delay_alu instid0(SALU_CYCLE_1)
	s_and_not1_b32 vcc_lo, exec_lo, s0
	s_cbranch_vccnz .LBB528_643
; %bb.642:
	global_load_b32 v3, v[0:1], off
	s_waitcnt vmcnt(0)
	v_cvt_f32_i32_e32 v3, v3
	s_delay_alu instid0(VALU_DEP_1)
	v_cvt_f16_f32_e32 v4, v3
.LBB528_643:
	s_mov_b32 s0, 0
.LBB528_644:
	s_delay_alu instid0(SALU_CYCLE_1)
	s_and_not1_b32 vcc_lo, exec_lo, s0
	s_cbranch_vccnz .LBB528_646
; %bb.645:
	global_load_u16 v3, v[0:1], off
	s_waitcnt vmcnt(0)
	v_cvt_f16_i16_e32 v4, v3
.LBB528_646:
	s_mov_b32 s0, 0
.LBB528_647:
	s_delay_alu instid0(SALU_CYCLE_1)
	s_and_not1_b32 vcc_lo, exec_lo, s0
	s_cbranch_vccnz .LBB528_653
; %bb.648:
	v_cmp_gt_i16_e64 s0, s3, 0
	s_delay_alu instid0(VALU_DEP_1)
	s_and_b32 vcc_lo, exec_lo, s0
	s_mov_b32 s0, 0
	s_cbranch_vccz .LBB528_650
; %bb.649:
	global_load_i8 v3, v[0:1], off
	s_waitcnt vmcnt(0)
	v_cvt_f16_i16_e32 v4, v3
	s_branch .LBB528_651
.LBB528_650:
	s_mov_b32 s0, -1
                                        ; implicit-def: $vgpr4
.LBB528_651:
	s_delay_alu instid0(SALU_CYCLE_1)
	s_and_not1_b32 vcc_lo, exec_lo, s0
	s_cbranch_vccnz .LBB528_653
; %bb.652:
	global_load_u8 v0, v[0:1], off
	s_waitcnt vmcnt(0)
	v_cvt_f16_u16_e32 v4, v0
.LBB528_653:
	s_mov_b32 s0, -1
.LBB528_654:
	s_delay_alu instid0(SALU_CYCLE_1)
	s_and_not1_b32 vcc_lo, exec_lo, s0
	s_cbranch_vccnz .LBB528_666
; %bb.655:
	v_mov_b32_e32 v3, s10
	s_mov_b32 s0, exec_lo
	s_waitcnt vmcnt(0)
	v_cmpx_o_f16_e32 v4, v4
	s_cbranch_execz .LBB528_659
; %bb.656:
	v_mov_b32_e32 v3, s2
	s_mov_b32 s23, exec_lo
	v_cmpx_neq_f16_e32 0x7c00, v4
; %bb.657:
	v_cmp_eq_f16_e32 vcc_lo, 0xfc00, v4
	v_cndmask_b32_e64 v3, v4, s11, vcc_lo
; %bb.658:
	s_or_b32 exec_lo, exec_lo, s23
.LBB528_659:
	s_delay_alu instid0(SALU_CYCLE_1) | instskip(SKIP_2) | instid1(VALU_DEP_1)
	s_or_b32 exec_lo, exec_lo, s0
	v_mul_lo_u32 v0, v2, s8
	v_and_b32_e64 v4, 0xff, s1
	v_cmp_gt_i16_e32 vcc_lo, 11, v4
	s_delay_alu instid0(VALU_DEP_3) | instskip(SKIP_1) | instid1(VALU_DEP_1)
	v_ashrrev_i32_e32 v1, 31, v0
	v_add_co_u32 v0, s0, s4, v0
	v_add_co_ci_u32_e64 v1, s0, s5, v1, s0
	s_cbranch_vccnz .LBB528_667
; %bb.660:
	v_cmp_lt_i16_e32 vcc_lo, 25, v4
	s_cbranch_vccz .LBB528_668
; %bb.661:
	v_cmp_lt_i16_e32 vcc_lo, 28, v4
	s_cbranch_vccz .LBB528_669
	;; [unrolled: 3-line block ×4, first 2 shown]
; %bb.664:
	v_cmp_eq_u16_e32 vcc_lo, 46, v4
	s_mov_b32 s24, 0
	s_mov_b32 s0, -1
	s_mov_b32 s23, 0
	s_cbranch_vccz .LBB528_672
; %bb.665:
	v_cvt_f32_f16_e32 v5, v3
	v_cmp_o_f16_e32 vcc_lo, v3, v3
	s_mov_b32 s23, -1
	s_mov_b32 s0, 0
	s_delay_alu instid0(VALU_DEP_2) | instskip(NEXT) | instid1(VALU_DEP_1)
	v_bfe_u32 v6, v5, 16, 1
	v_add3_u32 v5, v5, v6, 0x7fff
	s_delay_alu instid0(VALU_DEP_1) | instskip(NEXT) | instid1(VALU_DEP_1)
	v_lshrrev_b32_e32 v5, 16, v5
	v_cndmask_b32_e32 v5, 0x7fc0, v5, vcc_lo
	global_store_b32 v[0:1], v5, off
	s_branch .LBB528_672
.LBB528_666:
	s_mov_b32 s23, 0
	s_mov_b32 s0, s19
	s_branch .LBB528_783
.LBB528_667:
	s_mov_b32 s24, -1
	s_mov_b32 s23, 0
	s_mov_b32 s0, s19
	s_branch .LBB528_741
.LBB528_668:
	s_mov_b32 s24, -1
	s_mov_b32 s23, 0
	s_mov_b32 s0, s19
	s_branch .LBB528_699
.LBB528_669:
	s_mov_b32 s24, -1
	s_mov_b32 s23, 0
	s_mov_b32 s0, s19
	s_branch .LBB528_682
.LBB528_670:
	s_mov_b32 s24, -1
	s_mov_b32 s23, 0
	s_mov_b32 s0, s19
	s_branch .LBB528_678
.LBB528_671:
	s_mov_b32 s24, -1
	s_mov_b32 s23, 0
	s_mov_b32 s0, s19
.LBB528_672:
	s_and_b32 vcc_lo, exec_lo, s24
	s_cbranch_vccz .LBB528_677
; %bb.673:
	v_cmp_eq_u16_e32 vcc_lo, 44, v4
	s_mov_b32 s0, -1
	s_cbranch_vccz .LBB528_677
; %bb.674:
	v_cvt_f32_f16_e32 v5, v3
	v_mov_b32_e32 v6, 0xff
	s_mov_b32 s23, exec_lo
	s_delay_alu instid0(VALU_DEP_2) | instskip(NEXT) | instid1(VALU_DEP_1)
	v_bfe_u32 v7, v5, 23, 8
	v_cmpx_ne_u32_e32 0xff, v7
; %bb.675:
	v_and_b32_e32 v6, 0x400000, v5
	v_and_or_b32 v7, 0x3fffff, v5, v7
	v_lshrrev_b32_e32 v5, 23, v5
	s_delay_alu instid0(VALU_DEP_3) | instskip(NEXT) | instid1(VALU_DEP_3)
	v_cmp_ne_u32_e32 vcc_lo, 0, v6
	v_cmp_ne_u32_e64 s0, 0, v7
	s_delay_alu instid0(VALU_DEP_1) | instskip(NEXT) | instid1(SALU_CYCLE_1)
	s_and_b32 s0, vcc_lo, s0
	v_cndmask_b32_e64 v6, 0, 1, s0
	s_delay_alu instid0(VALU_DEP_1)
	v_add_nc_u32_e32 v6, v5, v6
; %bb.676:
	s_or_b32 exec_lo, exec_lo, s23
	s_mov_b32 s23, -1
	s_mov_b32 s0, 0
	global_store_b8 v[0:1], v6, off
.LBB528_677:
	s_mov_b32 s24, 0
.LBB528_678:
	s_delay_alu instid0(SALU_CYCLE_1)
	s_and_b32 vcc_lo, exec_lo, s24
	s_cbranch_vccz .LBB528_681
; %bb.679:
	v_cmp_eq_u16_e32 vcc_lo, 29, v4
	s_mov_b32 s0, -1
	s_cbranch_vccz .LBB528_681
; %bb.680:
	v_cvt_f32_f16_e32 v5, v3
	v_mov_b32_e32 v6, 0
	s_mov_b32 s0, 0
	s_mov_b32 s23, -1
	s_mov_b32 s24, 0
	v_cvt_u32_f32_e32 v5, v5
	global_store_b64 v[0:1], v[5:6], off
	s_branch .LBB528_682
.LBB528_681:
	s_mov_b32 s24, 0
.LBB528_682:
	s_delay_alu instid0(SALU_CYCLE_1)
	s_and_b32 vcc_lo, exec_lo, s24
	s_cbranch_vccz .LBB528_698
; %bb.683:
	v_cmp_gt_i16_e32 vcc_lo, 27, v4
	s_mov_b32 s23, -1
	s_cbranch_vccnz .LBB528_689
; %bb.684:
	v_cmp_lt_i16_e32 vcc_lo, 27, v4
	s_cbranch_vccz .LBB528_686
; %bb.685:
	v_cvt_f32_f16_e32 v5, v3
	s_mov_b32 s23, 0
	s_delay_alu instid0(VALU_DEP_1)
	v_cvt_u32_f32_e32 v5, v5
	global_store_b32 v[0:1], v5, off
.LBB528_686:
	s_and_not1_b32 vcc_lo, exec_lo, s23
	s_cbranch_vccnz .LBB528_688
; %bb.687:
	v_cvt_u16_f16_e32 v5, v3
	global_store_b16 v[0:1], v5, off
.LBB528_688:
	s_mov_b32 s23, 0
.LBB528_689:
	s_delay_alu instid0(SALU_CYCLE_1)
	s_and_not1_b32 vcc_lo, exec_lo, s23
	s_cbranch_vccnz .LBB528_697
; %bb.690:
	v_cvt_f32_f16_e32 v5, v3
	v_mov_b32_e32 v7, 0x80
	s_mov_b32 s23, exec_lo
	s_delay_alu instid0(VALU_DEP_2) | instskip(NEXT) | instid1(VALU_DEP_1)
	v_and_b32_e32 v6, 0x7fffffff, v5
	v_cmpx_gt_u32_e32 0x43800000, v6
	s_cbranch_execz .LBB528_696
; %bb.691:
	v_cmp_lt_u32_e32 vcc_lo, 0x3bffffff, v6
	s_mov_b32 s24, 0
                                        ; implicit-def: $vgpr6
	s_and_saveexec_b32 s25, vcc_lo
	s_delay_alu instid0(SALU_CYCLE_1)
	s_xor_b32 s25, exec_lo, s25
	s_cbranch_execz .LBB528_798
; %bb.692:
	v_bfe_u32 v6, v5, 20, 1
	s_mov_b32 s24, exec_lo
	s_delay_alu instid0(VALU_DEP_1) | instskip(NEXT) | instid1(VALU_DEP_1)
	v_add3_u32 v6, v5, v6, 0x487ffff
	v_lshrrev_b32_e32 v6, 20, v6
	s_or_saveexec_b32 s25, s25
                                        ; implicit-def: $sgpr26
	s_delay_alu instid0(SALU_CYCLE_1)
	s_xor_b32 exec_lo, exec_lo, s25
	s_cbranch_execnz .LBB528_799
.LBB528_693:
	s_or_b32 exec_lo, exec_lo, s25
	v_mov_b32_e32 v7, s26
	s_and_saveexec_b32 s25, s24
.LBB528_694:
	v_lshrrev_b32_e32 v5, 24, v5
	s_delay_alu instid0(VALU_DEP_1)
	v_and_or_b32 v7, 0x80, v5, v6
.LBB528_695:
	s_or_b32 exec_lo, exec_lo, s25
.LBB528_696:
	s_delay_alu instid0(SALU_CYCLE_1)
	s_or_b32 exec_lo, exec_lo, s23
	global_store_b8 v[0:1], v7, off
.LBB528_697:
	s_mov_b32 s23, -1
.LBB528_698:
	s_mov_b32 s24, 0
.LBB528_699:
	s_delay_alu instid0(SALU_CYCLE_1)
	s_and_b32 vcc_lo, exec_lo, s24
	s_cbranch_vccz .LBB528_740
; %bb.700:
	v_cmp_lt_i16_e32 vcc_lo, 22, v4
	s_mov_b32 s24, -1
	s_cbranch_vccz .LBB528_732
; %bb.701:
	v_cmp_gt_i16_e32 vcc_lo, 24, v4
	s_mov_b32 s23, -1
	s_cbranch_vccnz .LBB528_721
; %bb.702:
	v_cmp_lt_i16_e32 vcc_lo, 24, v4
	s_cbranch_vccz .LBB528_710
; %bb.703:
	v_cvt_f32_f16_e32 v5, v3
	v_mov_b32_e32 v7, 0x80
	s_mov_b32 s23, exec_lo
	s_delay_alu instid0(VALU_DEP_2) | instskip(NEXT) | instid1(VALU_DEP_1)
	v_and_b32_e32 v6, 0x7fffffff, v5
	v_cmpx_gt_u32_e32 0x47800000, v6
	s_cbranch_execz .LBB528_709
; %bb.704:
	v_cmp_lt_u32_e32 vcc_lo, 0x37ffffff, v6
	s_mov_b32 s24, 0
                                        ; implicit-def: $vgpr6
	s_and_saveexec_b32 s25, vcc_lo
	s_delay_alu instid0(SALU_CYCLE_1)
	s_xor_b32 s25, exec_lo, s25
	s_cbranch_execz .LBB528_801
; %bb.705:
	v_bfe_u32 v6, v5, 21, 1
	s_mov_b32 s24, exec_lo
	s_delay_alu instid0(VALU_DEP_1) | instskip(NEXT) | instid1(VALU_DEP_1)
	v_add3_u32 v6, v5, v6, 0x88fffff
	v_lshrrev_b32_e32 v6, 21, v6
	s_or_saveexec_b32 s25, s25
                                        ; implicit-def: $sgpr26
	s_delay_alu instid0(SALU_CYCLE_1)
	s_xor_b32 exec_lo, exec_lo, s25
	s_cbranch_execnz .LBB528_802
.LBB528_706:
	s_or_b32 exec_lo, exec_lo, s25
	v_mov_b32_e32 v7, s26
	s_and_saveexec_b32 s25, s24
.LBB528_707:
	v_lshrrev_b32_e32 v5, 24, v5
	s_delay_alu instid0(VALU_DEP_1)
	v_and_or_b32 v7, 0x80, v5, v6
.LBB528_708:
	s_or_b32 exec_lo, exec_lo, s25
.LBB528_709:
	s_delay_alu instid0(SALU_CYCLE_1)
	s_or_b32 exec_lo, exec_lo, s23
	s_mov_b32 s23, 0
	global_store_b8 v[0:1], v7, off
.LBB528_710:
	s_and_b32 vcc_lo, exec_lo, s23
	s_cbranch_vccz .LBB528_720
; %bb.711:
	v_cvt_f32_f16_e32 v5, v3
	s_mov_b32 s23, exec_lo
                                        ; implicit-def: $vgpr6
	s_delay_alu instid0(VALU_DEP_1) | instskip(NEXT) | instid1(VALU_DEP_1)
	v_and_b32_e32 v7, 0x7fffffff, v5
	v_cmpx_gt_u32_e32 0x43f00000, v7
	s_xor_b32 s23, exec_lo, s23
	s_cbranch_execz .LBB528_717
; %bb.712:
	s_mov_b32 s24, exec_lo
                                        ; implicit-def: $vgpr6
	v_cmpx_lt_u32_e32 0x3c7fffff, v7
	s_xor_b32 s24, exec_lo, s24
; %bb.713:
	v_bfe_u32 v6, v5, 20, 1
	s_delay_alu instid0(VALU_DEP_1) | instskip(NEXT) | instid1(VALU_DEP_1)
	v_add3_u32 v6, v5, v6, 0x407ffff
	v_and_b32_e32 v7, 0xff00000, v6
	v_lshrrev_b32_e32 v6, 20, v6
	s_delay_alu instid0(VALU_DEP_2) | instskip(NEXT) | instid1(VALU_DEP_2)
	v_cmp_ne_u32_e32 vcc_lo, 0x7f00000, v7
	v_cndmask_b32_e32 v6, 0x7e, v6, vcc_lo
; %bb.714:
	s_and_not1_saveexec_b32 s24, s24
; %bb.715:
	v_add_f32_e64 v6, 0x46800000, |v5|
; %bb.716:
	s_or_b32 exec_lo, exec_lo, s24
                                        ; implicit-def: $vgpr7
.LBB528_717:
	s_and_not1_saveexec_b32 s23, s23
; %bb.718:
	v_mov_b32_e32 v6, 0x7f
	v_cmp_lt_u32_e32 vcc_lo, 0x7f800000, v7
	s_delay_alu instid0(VALU_DEP_2)
	v_cndmask_b32_e32 v6, 0x7e, v6, vcc_lo
; %bb.719:
	s_or_b32 exec_lo, exec_lo, s23
	v_lshrrev_b32_e32 v5, 24, v5
	s_delay_alu instid0(VALU_DEP_1)
	v_and_or_b32 v5, 0x80, v5, v6
	global_store_b8 v[0:1], v5, off
.LBB528_720:
	s_mov_b32 s23, 0
.LBB528_721:
	s_delay_alu instid0(SALU_CYCLE_1)
	s_and_not1_b32 vcc_lo, exec_lo, s23
	s_cbranch_vccnz .LBB528_731
; %bb.722:
	v_cvt_f32_f16_e32 v5, v3
	s_mov_b32 s23, exec_lo
                                        ; implicit-def: $vgpr6
	s_delay_alu instid0(VALU_DEP_1) | instskip(NEXT) | instid1(VALU_DEP_1)
	v_and_b32_e32 v7, 0x7fffffff, v5
	v_cmpx_gt_u32_e32 0x47800000, v7
	s_xor_b32 s23, exec_lo, s23
	s_cbranch_execz .LBB528_728
; %bb.723:
	s_mov_b32 s24, exec_lo
                                        ; implicit-def: $vgpr6
	v_cmpx_lt_u32_e32 0x387fffff, v7
	s_xor_b32 s24, exec_lo, s24
; %bb.724:
	v_bfe_u32 v6, v5, 21, 1
	s_delay_alu instid0(VALU_DEP_1) | instskip(NEXT) | instid1(VALU_DEP_1)
	v_add3_u32 v6, v5, v6, 0x80fffff
	v_lshrrev_b32_e32 v6, 21, v6
; %bb.725:
	s_and_not1_saveexec_b32 s24, s24
; %bb.726:
	v_add_f32_e64 v6, 0x43000000, |v5|
; %bb.727:
	s_or_b32 exec_lo, exec_lo, s24
                                        ; implicit-def: $vgpr7
.LBB528_728:
	s_and_not1_saveexec_b32 s23, s23
; %bb.729:
	v_mov_b32_e32 v6, 0x7f
	v_cmp_lt_u32_e32 vcc_lo, 0x7f800000, v7
	s_delay_alu instid0(VALU_DEP_2)
	v_cndmask_b32_e32 v6, 0x7c, v6, vcc_lo
; %bb.730:
	s_or_b32 exec_lo, exec_lo, s23
	v_lshrrev_b32_e32 v5, 24, v5
	s_delay_alu instid0(VALU_DEP_1)
	v_and_or_b32 v5, 0x80, v5, v6
	global_store_b8 v[0:1], v5, off
.LBB528_731:
	s_mov_b32 s24, 0
	s_mov_b32 s23, -1
.LBB528_732:
	s_and_not1_b32 vcc_lo, exec_lo, s24
	s_cbranch_vccnz .LBB528_740
; %bb.733:
	v_cmp_lt_i16_e32 vcc_lo, 14, v4
	s_mov_b32 s24, -1
	s_cbranch_vccz .LBB528_737
; %bb.734:
	v_cmp_eq_u16_e32 vcc_lo, 15, v4
	s_mov_b32 s0, -1
	s_cbranch_vccz .LBB528_736
; %bb.735:
	v_cvt_f32_f16_e32 v5, v3
	v_cmp_o_f16_e32 vcc_lo, v3, v3
	s_mov_b32 s23, -1
	s_mov_b32 s0, 0
	s_delay_alu instid0(VALU_DEP_2) | instskip(NEXT) | instid1(VALU_DEP_1)
	v_bfe_u32 v6, v5, 16, 1
	v_add3_u32 v5, v5, v6, 0x7fff
	s_delay_alu instid0(VALU_DEP_1) | instskip(NEXT) | instid1(VALU_DEP_1)
	v_lshrrev_b32_e32 v5, 16, v5
	v_cndmask_b32_e32 v5, 0x7fc0, v5, vcc_lo
	global_store_b16 v[0:1], v5, off
.LBB528_736:
	s_mov_b32 s24, 0
.LBB528_737:
	s_delay_alu instid0(SALU_CYCLE_1)
	s_and_b32 vcc_lo, exec_lo, s24
	s_cbranch_vccz .LBB528_740
; %bb.738:
	v_cmp_eq_u16_e32 vcc_lo, 11, v4
	s_mov_b32 s0, -1
	s_cbranch_vccz .LBB528_740
; %bb.739:
	v_and_b32_e32 v5, 0x7fff, v3
	s_mov_b32 s0, 0
	s_mov_b32 s23, -1
	s_delay_alu instid0(VALU_DEP_1)
	v_cmp_ne_u16_e32 vcc_lo, 0, v5
	v_cndmask_b32_e64 v5, 0, 1, vcc_lo
	global_store_b8 v[0:1], v5, off
.LBB528_740:
	s_mov_b32 s24, 0
.LBB528_741:
	s_delay_alu instid0(SALU_CYCLE_1)
	s_and_b32 vcc_lo, exec_lo, s24
	s_cbranch_vccz .LBB528_780
; %bb.742:
	v_cmp_gt_i16_e32 vcc_lo, 5, v4
	s_mov_b32 s23, -1
	s_cbranch_vccnz .LBB528_763
; %bb.743:
	v_cmp_gt_i16_e32 vcc_lo, 8, v4
	s_cbranch_vccnz .LBB528_753
; %bb.744:
	v_cmp_gt_i16_e32 vcc_lo, 9, v4
	s_cbranch_vccnz .LBB528_750
; %bb.745:
	v_cmp_lt_i16_e32 vcc_lo, 9, v4
	s_cbranch_vccz .LBB528_747
; %bb.746:
	v_cvt_f32_f16_e32 v5, v3
	v_mov_b32_e32 v7, 0
	s_mov_b32 s23, 0
	s_delay_alu instid0(VALU_DEP_2) | instskip(NEXT) | instid1(VALU_DEP_2)
	v_cvt_f64_f32_e32 v[5:6], v5
	v_mov_b32_e32 v8, v7
	global_store_b128 v[0:1], v[5:8], off
.LBB528_747:
	s_and_not1_b32 vcc_lo, exec_lo, s23
	s_cbranch_vccnz .LBB528_749
; %bb.748:
	v_cvt_f32_f16_e32 v5, v3
	v_mov_b32_e32 v6, 0
	global_store_b64 v[0:1], v[5:6], off
.LBB528_749:
	s_mov_b32 s23, 0
.LBB528_750:
	s_delay_alu instid0(SALU_CYCLE_1)
	s_and_not1_b32 vcc_lo, exec_lo, s23
	s_cbranch_vccnz .LBB528_752
; %bb.751:
	v_and_b32_e32 v5, 0xffff, v3
	global_store_b32 v[0:1], v5, off
.LBB528_752:
	s_mov_b32 s23, 0
.LBB528_753:
	s_delay_alu instid0(SALU_CYCLE_1)
	s_and_not1_b32 vcc_lo, exec_lo, s23
	s_cbranch_vccnz .LBB528_762
; %bb.754:
	v_cmp_gt_i16_e32 vcc_lo, 6, v4
	s_mov_b32 s23, -1
	s_cbranch_vccnz .LBB528_760
; %bb.755:
	v_cmp_lt_i16_e32 vcc_lo, 6, v4
	s_cbranch_vccz .LBB528_757
; %bb.756:
	v_cvt_f32_f16_e32 v5, v3
	s_mov_b32 s23, 0
	s_delay_alu instid0(VALU_DEP_1)
	v_cvt_f64_f32_e32 v[5:6], v5
	global_store_b64 v[0:1], v[5:6], off
.LBB528_757:
	s_and_not1_b32 vcc_lo, exec_lo, s23
	s_cbranch_vccnz .LBB528_759
; %bb.758:
	v_cvt_f32_f16_e32 v5, v3
	global_store_b32 v[0:1], v5, off
.LBB528_759:
	s_mov_b32 s23, 0
.LBB528_760:
	s_delay_alu instid0(SALU_CYCLE_1)
	s_and_not1_b32 vcc_lo, exec_lo, s23
	s_cbranch_vccnz .LBB528_762
; %bb.761:
	global_store_b16 v[0:1], v3, off
.LBB528_762:
	s_mov_b32 s23, 0
.LBB528_763:
	s_delay_alu instid0(SALU_CYCLE_1)
	s_and_not1_b32 vcc_lo, exec_lo, s23
	s_cbranch_vccnz .LBB528_779
; %bb.764:
	v_cmp_gt_i16_e32 vcc_lo, 2, v4
	s_mov_b32 s23, -1
	s_cbranch_vccnz .LBB528_774
; %bb.765:
	v_cmp_gt_i16_e32 vcc_lo, 3, v4
	s_cbranch_vccnz .LBB528_771
; %bb.766:
	v_cmp_lt_i16_e32 vcc_lo, 3, v4
	s_cbranch_vccz .LBB528_768
; %bb.767:
	v_cvt_f32_f16_e32 v5, v3
	s_mov_b32 s23, 0
	s_delay_alu instid0(VALU_DEP_1) | instskip(NEXT) | instid1(VALU_DEP_1)
	v_cvt_i32_f32_e32 v5, v5
	v_ashrrev_i32_e32 v6, 31, v5
	global_store_b64 v[0:1], v[5:6], off
.LBB528_768:
	s_and_not1_b32 vcc_lo, exec_lo, s23
	s_cbranch_vccnz .LBB528_770
; %bb.769:
	v_cvt_f32_f16_e32 v5, v3
	s_delay_alu instid0(VALU_DEP_1)
	v_cvt_i32_f32_e32 v5, v5
	global_store_b32 v[0:1], v5, off
.LBB528_770:
	s_mov_b32 s23, 0
.LBB528_771:
	s_delay_alu instid0(SALU_CYCLE_1)
	s_and_not1_b32 vcc_lo, exec_lo, s23
	s_cbranch_vccnz .LBB528_773
; %bb.772:
	v_cvt_i16_f16_e32 v5, v3
	global_store_b16 v[0:1], v5, off
.LBB528_773:
	s_mov_b32 s23, 0
.LBB528_774:
	s_delay_alu instid0(SALU_CYCLE_1)
	s_and_not1_b32 vcc_lo, exec_lo, s23
	s_cbranch_vccnz .LBB528_779
; %bb.775:
	v_cmp_lt_i16_e32 vcc_lo, 0, v4
	s_mov_b32 s23, -1
	s_cbranch_vccz .LBB528_777
; %bb.776:
	v_cvt_i16_f16_e32 v4, v3
	s_mov_b32 s23, 0
	global_store_b8 v[0:1], v4, off
.LBB528_777:
	s_and_not1_b32 vcc_lo, exec_lo, s23
	s_cbranch_vccnz .LBB528_779
; %bb.778:
	v_cvt_f32_f16_e32 v3, v3
	s_delay_alu instid0(VALU_DEP_1)
	v_cvt_i32_f32_e32 v3, v3
	global_store_b8 v[0:1], v3, off
.LBB528_779:
	s_mov_b32 s23, -1
.LBB528_780:
	s_delay_alu instid0(SALU_CYCLE_1)
	s_and_not1_b32 vcc_lo, exec_lo, s23
	s_cbranch_vccnz .LBB528_782
; %bb.781:
	v_add_nc_u32_e32 v2, 0x80, v2
	s_mov_b32 s23, -1
	s_branch .LBB528_784
.LBB528_782:
	s_mov_b32 s23, 0
.LBB528_783:
                                        ; implicit-def: $vgpr2
.LBB528_784:
	s_and_not1_b32 s24, s19, exec_lo
	s_and_b32 s0, s0, exec_lo
	s_and_not1_b32 s25, s18, exec_lo
	s_and_b32 s26, s22, exec_lo
	s_or_b32 s22, s24, s0
	s_or_b32 s0, s25, s26
	s_or_not1_b32 s23, s23, exec_lo
.LBB528_785:
	s_or_b32 exec_lo, exec_lo, s21
	s_mov_b32 s24, 0
	s_mov_b32 s25, 0
	;; [unrolled: 1-line block ×3, first 2 shown]
                                        ; implicit-def: $vgpr0_vgpr1
                                        ; implicit-def: $vgpr5
	s_and_saveexec_b32 s21, s23
	s_cbranch_execz .LBB528_870
; %bb.786:
	v_cmp_gt_i32_e32 vcc_lo, s16, v2
	s_mov_b32 s23, 0
	s_mov_b32 s24, s0
                                        ; implicit-def: $vgpr0_vgpr1
                                        ; implicit-def: $vgpr5
	s_and_saveexec_b32 s16, vcc_lo
	s_cbranch_execz .LBB528_869
; %bb.787:
	v_mul_lo_u32 v0, v2, s9
	v_cmp_lt_i16_e64 s23, s3, 11
	s_delay_alu instid0(VALU_DEP_2) | instskip(SKIP_1) | instid1(VALU_DEP_2)
	v_ashrrev_i32_e32 v1, 31, v0
	v_add_co_u32 v0, vcc_lo, s6, v0
	v_add_co_ci_u32_e32 v1, vcc_lo, s7, v1, vcc_lo
	s_delay_alu instid0(VALU_DEP_4)
	s_and_b32 vcc_lo, exec_lo, s23
	s_cbranch_vccnz .LBB528_794
; %bb.788:
	v_cmp_gt_i16_e64 s23, s3, 25
	s_mov_b32 s24, 0
	s_delay_alu instid0(VALU_DEP_1)
	s_and_b32 vcc_lo, exec_lo, s23
	s_cbranch_vccz .LBB528_795
; %bb.789:
	v_cmp_gt_i16_e64 s23, s3, 28
	s_delay_alu instid0(VALU_DEP_1)
	s_and_b32 vcc_lo, exec_lo, s23
	s_cbranch_vccz .LBB528_796
; %bb.790:
	v_cmp_gt_i16_e64 s23, s3, 43
	;; [unrolled: 5-line block ×3, first 2 shown]
	s_delay_alu instid0(VALU_DEP_1)
	s_and_b32 vcc_lo, exec_lo, s23
	s_cbranch_vccz .LBB528_800
; %bb.792:
	v_cmp_eq_u16_e64 s23, s3, 46
	s_delay_alu instid0(VALU_DEP_1)
	s_and_b32 vcc_lo, exec_lo, s23
	s_cbranch_vccz .LBB528_803
; %bb.793:
	global_load_b32 v3, v[0:1], off
	s_mov_b32 s23, 0
	s_mov_b32 s25, -1
	s_waitcnt vmcnt(0)
	v_lshlrev_b32_e32 v3, 16, v3
	s_delay_alu instid0(VALU_DEP_1)
	v_cvt_f16_f32_e32 v5, v3
	s_branch .LBB528_805
.LBB528_794:
	s_mov_b32 s27, -1
	s_mov_b32 s24, 0
	s_mov_b32 s23, s0
                                        ; implicit-def: $vgpr5
	s_branch .LBB528_868
.LBB528_795:
	s_mov_b32 s26, -1
	s_mov_b32 s23, s0
                                        ; implicit-def: $vgpr5
	s_branch .LBB528_834
.LBB528_796:
	s_mov_b32 s26, -1
	s_mov_b32 s23, s0
                                        ; implicit-def: $vgpr5
	s_branch .LBB528_815
.LBB528_797:
	s_mov_b32 s26, -1
	s_mov_b32 s23, s0
                                        ; implicit-def: $vgpr5
	s_branch .LBB528_810
.LBB528_798:
	s_or_saveexec_b32 s25, s25
                                        ; implicit-def: $sgpr26
	s_delay_alu instid0(SALU_CYCLE_1)
	s_xor_b32 exec_lo, exec_lo, s25
	s_cbranch_execz .LBB528_693
.LBB528_799:
	v_add_f32_e64 v6, 0x46000000, |v5|
	s_and_not1_b32 s24, s24, exec_lo
	s_mov_b32 s26, 0
	s_delay_alu instid0(VALU_DEP_1) | instskip(NEXT) | instid1(VALU_DEP_1)
	v_and_b32_e32 v6, 0xff, v6
	v_cmp_ne_u32_e32 vcc_lo, 0, v6
	s_and_b32 s27, vcc_lo, exec_lo
	s_delay_alu instid0(SALU_CYCLE_1)
	s_or_b32 s24, s24, s27
	s_or_b32 exec_lo, exec_lo, s25
	v_mov_b32_e32 v7, s26
	s_and_saveexec_b32 s25, s24
	s_cbranch_execnz .LBB528_694
	s_branch .LBB528_695
.LBB528_800:
	s_mov_b32 s26, -1
	s_mov_b32 s23, s0
	s_branch .LBB528_804
.LBB528_801:
	s_or_saveexec_b32 s25, s25
                                        ; implicit-def: $sgpr26
	s_delay_alu instid0(SALU_CYCLE_1)
	s_xor_b32 exec_lo, exec_lo, s25
	s_cbranch_execz .LBB528_706
.LBB528_802:
	v_add_f32_e64 v6, 0x42800000, |v5|
	s_and_not1_b32 s24, s24, exec_lo
	s_mov_b32 s26, 0
	s_delay_alu instid0(VALU_DEP_1) | instskip(NEXT) | instid1(VALU_DEP_1)
	v_and_b32_e32 v6, 0xff, v6
	v_cmp_ne_u32_e32 vcc_lo, 0, v6
	s_and_b32 s27, vcc_lo, exec_lo
	s_delay_alu instid0(SALU_CYCLE_1)
	s_or_b32 s24, s24, s27
	s_or_b32 exec_lo, exec_lo, s25
	v_mov_b32_e32 v7, s26
	s_and_saveexec_b32 s25, s24
	s_cbranch_execnz .LBB528_707
	s_branch .LBB528_708
.LBB528_803:
	s_mov_b32 s23, -1
.LBB528_804:
                                        ; implicit-def: $vgpr5
.LBB528_805:
	s_and_b32 vcc_lo, exec_lo, s26
	s_cbranch_vccz .LBB528_809
; %bb.806:
	v_cmp_eq_u16_e64 s23, s3, 44
	s_delay_alu instid0(VALU_DEP_1)
	s_and_b32 vcc_lo, exec_lo, s23
	s_cbranch_vccz .LBB528_808
; %bb.807:
	global_load_u8 v3, v[0:1], off
	s_mov_b32 s23, 0
	s_mov_b32 s25, -1
	s_waitcnt vmcnt(0)
	v_lshlrev_b32_e32 v4, 23, v3
	v_cmp_ne_u32_e32 vcc_lo, 0xff, v3
	s_delay_alu instid0(VALU_DEP_2) | instskip(NEXT) | instid1(VALU_DEP_1)
	v_cvt_f16_f32_e32 v4, v4
	v_cndmask_b32_e32 v4, 0x7e00, v4, vcc_lo
	v_cmp_ne_u32_e32 vcc_lo, 0, v3
	s_delay_alu instid0(VALU_DEP_2)
	v_cndmask_b32_e32 v5, 0, v4, vcc_lo
	s_branch .LBB528_809
.LBB528_808:
	s_mov_b32 s23, -1
                                        ; implicit-def: $vgpr5
.LBB528_809:
	s_mov_b32 s26, 0
.LBB528_810:
	s_delay_alu instid0(SALU_CYCLE_1)
	s_and_b32 vcc_lo, exec_lo, s26
	s_cbranch_vccz .LBB528_814
; %bb.811:
	v_cmp_eq_u16_e64 s23, s3, 29
	s_delay_alu instid0(VALU_DEP_1)
	s_and_b32 vcc_lo, exec_lo, s23
	s_cbranch_vccz .LBB528_813
; %bb.812:
	global_load_b64 v[3:4], v[0:1], off
	s_mov_b32 s23, 0
	s_mov_b32 s25, -1
	s_mov_b32 s26, 0
	s_waitcnt vmcnt(0)
	v_clz_i32_u32_e32 v5, v4
	s_delay_alu instid0(VALU_DEP_1) | instskip(NEXT) | instid1(VALU_DEP_1)
	v_min_u32_e32 v5, 32, v5
	v_lshlrev_b64 v[3:4], v5, v[3:4]
	s_delay_alu instid0(VALU_DEP_1) | instskip(NEXT) | instid1(VALU_DEP_1)
	v_min_u32_e32 v3, 1, v3
	v_or_b32_e32 v3, v4, v3
	v_sub_nc_u32_e32 v4, 32, v5
	s_delay_alu instid0(VALU_DEP_2) | instskip(NEXT) | instid1(VALU_DEP_1)
	v_cvt_f32_u32_e32 v3, v3
	v_ldexp_f32 v3, v3, v4
	s_delay_alu instid0(VALU_DEP_1)
	v_cvt_f16_f32_e32 v5, v3
	s_branch .LBB528_815
.LBB528_813:
	s_mov_b32 s23, -1
                                        ; implicit-def: $vgpr5
.LBB528_814:
	s_mov_b32 s26, 0
.LBB528_815:
	s_delay_alu instid0(SALU_CYCLE_1)
	s_and_b32 vcc_lo, exec_lo, s26
	s_cbranch_vccz .LBB528_833
; %bb.816:
	v_cmp_lt_i16_e64 s25, s3, 27
	s_delay_alu instid0(VALU_DEP_1)
	s_and_b32 vcc_lo, exec_lo, s25
	s_cbranch_vccnz .LBB528_819
; %bb.817:
	v_cmp_gt_i16_e64 s25, s3, 27
	s_delay_alu instid0(VALU_DEP_1)
	s_and_b32 vcc_lo, exec_lo, s25
	s_cbranch_vccz .LBB528_820
; %bb.818:
	global_load_b32 v3, v[0:1], off
	s_mov_b32 s25, 0
	s_waitcnt vmcnt(0)
	v_cvt_f32_u32_e32 v3, v3
	s_delay_alu instid0(VALU_DEP_1)
	v_cvt_f16_f32_e32 v5, v3
	s_branch .LBB528_821
.LBB528_819:
	s_mov_b32 s25, -1
                                        ; implicit-def: $vgpr5
	s_branch .LBB528_824
.LBB528_820:
	s_mov_b32 s25, -1
                                        ; implicit-def: $vgpr5
.LBB528_821:
	s_delay_alu instid0(SALU_CYCLE_1)
	s_and_not1_b32 vcc_lo, exec_lo, s25
	s_cbranch_vccnz .LBB528_823
; %bb.822:
	global_load_u16 v3, v[0:1], off
	s_waitcnt vmcnt(0)
	v_cvt_f16_u16_e32 v5, v3
.LBB528_823:
	s_mov_b32 s25, 0
.LBB528_824:
	s_delay_alu instid0(SALU_CYCLE_1)
	s_and_not1_b32 vcc_lo, exec_lo, s25
	s_cbranch_vccnz .LBB528_832
; %bb.825:
	global_load_u8 v3, v[0:1], off
	s_mov_b32 s25, 0
	s_mov_b32 s27, exec_lo
                                        ; implicit-def: $sgpr26
	s_waitcnt vmcnt(0)
	v_cmpx_lt_i16_e32 0x7f, v3
	s_xor_b32 s27, exec_lo, s27
	s_cbranch_execz .LBB528_846
; %bb.826:
	s_mov_b32 s25, -1
	s_mov_b32 s28, exec_lo
                                        ; implicit-def: $sgpr26
	v_cmpx_eq_u16_e32 0x80, v3
; %bb.827:
	s_movk_i32 s26, 0x7e00
	s_xor_b32 s25, exec_lo, -1
; %bb.828:
	s_or_b32 exec_lo, exec_lo, s28
	s_delay_alu instid0(SALU_CYCLE_1)
	s_and_b32 s25, s25, exec_lo
	s_or_saveexec_b32 s27, s27
	v_mov_b32_e32 v5, s26
	s_xor_b32 exec_lo, exec_lo, s27
	s_cbranch_execnz .LBB528_847
.LBB528_829:
	s_or_b32 exec_lo, exec_lo, s27
	s_and_saveexec_b32 s26, s25
	s_cbranch_execz .LBB528_831
.LBB528_830:
	v_and_b32_e32 v4, 0xffff, v3
	v_lshlrev_b32_e32 v3, 24, v3
	s_delay_alu instid0(VALU_DEP_2) | instskip(NEXT) | instid1(VALU_DEP_2)
	v_and_b32_e32 v5, 7, v4
	v_and_b32_e32 v3, 0x80000000, v3
	s_delay_alu instid0(VALU_DEP_2) | instskip(NEXT) | instid1(VALU_DEP_1)
	v_clz_i32_u32_e32 v6, v5
	v_min_u32_e32 v6, 32, v6
	s_delay_alu instid0(VALU_DEP_1) | instskip(SKIP_1) | instid1(VALU_DEP_2)
	v_subrev_nc_u32_e32 v7, 28, v6
	v_sub_nc_u32_e32 v6, 29, v6
	v_lshlrev_b32_e32 v7, v7, v4
	v_bfe_u32 v4, v4, 3, 4
	s_delay_alu instid0(VALU_DEP_2) | instskip(NEXT) | instid1(VALU_DEP_2)
	v_and_b32_e32 v7, 7, v7
	v_cmp_eq_u32_e32 vcc_lo, 0, v4
	s_delay_alu instid0(VALU_DEP_2) | instskip(NEXT) | instid1(VALU_DEP_1)
	v_dual_cndmask_b32 v4, v4, v6 :: v_dual_cndmask_b32 v5, v5, v7
	v_lshl_add_u32 v4, v4, 23, 0x3b800000
	s_delay_alu instid0(VALU_DEP_2) | instskip(NEXT) | instid1(VALU_DEP_1)
	v_lshlrev_b32_e32 v5, 20, v5
	v_or3_b32 v3, v3, v4, v5
	s_delay_alu instid0(VALU_DEP_1)
	v_cvt_f16_f32_e32 v5, v3
.LBB528_831:
	s_or_b32 exec_lo, exec_lo, s26
.LBB528_832:
	s_mov_b32 s25, -1
.LBB528_833:
	s_mov_b32 s26, 0
.LBB528_834:
	s_delay_alu instid0(SALU_CYCLE_1)
	s_and_b32 vcc_lo, exec_lo, s26
	s_cbranch_vccz .LBB528_867
; %bb.835:
	v_cmp_gt_i16_e64 s24, s3, 22
	s_delay_alu instid0(VALU_DEP_1)
	s_and_b32 vcc_lo, exec_lo, s24
	s_cbranch_vccz .LBB528_845
; %bb.836:
	v_cmp_lt_i16_e64 s24, s3, 24
	s_delay_alu instid0(VALU_DEP_1)
	s_and_b32 vcc_lo, exec_lo, s24
	s_cbranch_vccnz .LBB528_848
; %bb.837:
	v_cmp_gt_i16_e64 s24, s3, 24
	s_delay_alu instid0(VALU_DEP_1)
	s_and_b32 vcc_lo, exec_lo, s24
	s_cbranch_vccz .LBB528_849
; %bb.838:
	global_load_u8 v3, v[0:1], off
	s_mov_b32 s24, 0
	s_mov_b32 s26, exec_lo
                                        ; implicit-def: $sgpr25
	s_waitcnt vmcnt(0)
	v_cmpx_lt_i16_e32 0x7f, v3
	s_xor_b32 s26, exec_lo, s26
	s_cbranch_execz .LBB528_861
; %bb.839:
	s_mov_b32 s24, -1
	s_mov_b32 s27, exec_lo
                                        ; implicit-def: $sgpr25
	v_cmpx_eq_u16_e32 0x80, v3
; %bb.840:
	s_movk_i32 s25, 0x7e00
	s_xor_b32 s24, exec_lo, -1
; %bb.841:
	s_or_b32 exec_lo, exec_lo, s27
	s_delay_alu instid0(SALU_CYCLE_1)
	s_and_b32 s24, s24, exec_lo
	s_or_saveexec_b32 s26, s26
	v_mov_b32_e32 v5, s25
	s_xor_b32 exec_lo, exec_lo, s26
	s_cbranch_execnz .LBB528_862
.LBB528_842:
	s_or_b32 exec_lo, exec_lo, s26
	s_and_saveexec_b32 s25, s24
	s_cbranch_execz .LBB528_844
.LBB528_843:
	v_and_b32_e32 v4, 0xffff, v3
	v_lshlrev_b32_e32 v3, 24, v3
	s_delay_alu instid0(VALU_DEP_2) | instskip(NEXT) | instid1(VALU_DEP_2)
	v_and_b32_e32 v5, 3, v4
	v_and_b32_e32 v3, 0x80000000, v3
	s_delay_alu instid0(VALU_DEP_2) | instskip(NEXT) | instid1(VALU_DEP_1)
	v_clz_i32_u32_e32 v6, v5
	v_min_u32_e32 v6, 32, v6
	s_delay_alu instid0(VALU_DEP_1) | instskip(SKIP_1) | instid1(VALU_DEP_2)
	v_subrev_nc_u32_e32 v7, 29, v6
	v_sub_nc_u32_e32 v6, 30, v6
	v_lshlrev_b32_e32 v7, v7, v4
	v_bfe_u32 v4, v4, 2, 5
	s_delay_alu instid0(VALU_DEP_2) | instskip(NEXT) | instid1(VALU_DEP_2)
	v_and_b32_e32 v7, 3, v7
	v_cmp_eq_u32_e32 vcc_lo, 0, v4
	s_delay_alu instid0(VALU_DEP_2) | instskip(NEXT) | instid1(VALU_DEP_1)
	v_dual_cndmask_b32 v4, v4, v6 :: v_dual_cndmask_b32 v5, v5, v7
	v_lshl_add_u32 v4, v4, 23, 0x37800000
	s_delay_alu instid0(VALU_DEP_2) | instskip(NEXT) | instid1(VALU_DEP_1)
	v_lshlrev_b32_e32 v5, 21, v5
	v_or3_b32 v3, v3, v4, v5
	s_delay_alu instid0(VALU_DEP_1)
	v_cvt_f16_f32_e32 v5, v3
.LBB528_844:
	s_or_b32 exec_lo, exec_lo, s25
	s_mov_b32 s24, 0
	s_branch .LBB528_850
.LBB528_845:
	s_mov_b32 s24, -1
                                        ; implicit-def: $vgpr5
	s_branch .LBB528_856
.LBB528_846:
	s_or_saveexec_b32 s27, s27
	v_mov_b32_e32 v5, s26
	s_xor_b32 exec_lo, exec_lo, s27
	s_cbranch_execz .LBB528_829
.LBB528_847:
	v_cmp_ne_u16_e32 vcc_lo, 0, v3
	v_mov_b32_e32 v5, v3
	s_and_not1_b32 s25, s25, exec_lo
	s_and_b32 s26, vcc_lo, exec_lo
	s_delay_alu instid0(SALU_CYCLE_1)
	s_or_b32 s25, s25, s26
	s_or_b32 exec_lo, exec_lo, s27
	s_and_saveexec_b32 s26, s25
	s_cbranch_execnz .LBB528_830
	s_branch .LBB528_831
.LBB528_848:
	s_mov_b32 s24, -1
                                        ; implicit-def: $vgpr5
	s_branch .LBB528_853
.LBB528_849:
	s_mov_b32 s24, -1
                                        ; implicit-def: $vgpr5
.LBB528_850:
	s_delay_alu instid0(SALU_CYCLE_1)
	s_and_b32 vcc_lo, exec_lo, s24
	s_cbranch_vccz .LBB528_852
; %bb.851:
	global_load_u8 v3, v[0:1], off
	s_waitcnt vmcnt(0)
	v_lshlrev_b32_e32 v3, 24, v3
	s_delay_alu instid0(VALU_DEP_1) | instskip(NEXT) | instid1(VALU_DEP_1)
	v_and_b32_e32 v4, 0x7f000000, v3
	v_clz_i32_u32_e32 v5, v4
	v_add_nc_u32_e32 v7, 0x1000000, v4
	v_cmp_ne_u32_e32 vcc_lo, 0, v4
	s_delay_alu instid0(VALU_DEP_3) | instskip(NEXT) | instid1(VALU_DEP_1)
	v_min_u32_e32 v5, 32, v5
	v_sub_nc_u32_e64 v5, v5, 4 clamp
	s_delay_alu instid0(VALU_DEP_1) | instskip(SKIP_1) | instid1(VALU_DEP_2)
	v_lshlrev_b32_e32 v6, v5, v4
	v_lshlrev_b32_e32 v5, 23, v5
	v_lshrrev_b32_e32 v6, 4, v6
	s_delay_alu instid0(VALU_DEP_1) | instskip(SKIP_1) | instid1(VALU_DEP_2)
	v_sub_nc_u32_e32 v5, v6, v5
	v_ashrrev_i32_e32 v6, 8, v7
	v_add_nc_u32_e32 v5, 0x3c000000, v5
	s_delay_alu instid0(VALU_DEP_1) | instskip(NEXT) | instid1(VALU_DEP_1)
	v_and_or_b32 v5, 0x7f800000, v6, v5
	v_cndmask_b32_e32 v4, 0, v5, vcc_lo
	s_delay_alu instid0(VALU_DEP_1) | instskip(NEXT) | instid1(VALU_DEP_1)
	v_and_or_b32 v3, 0x80000000, v3, v4
	v_cvt_f16_f32_e32 v5, v3
.LBB528_852:
	s_mov_b32 s24, 0
.LBB528_853:
	s_delay_alu instid0(SALU_CYCLE_1)
	s_and_not1_b32 vcc_lo, exec_lo, s24
	s_cbranch_vccnz .LBB528_855
; %bb.854:
	global_load_u8 v3, v[0:1], off
	s_waitcnt vmcnt(0)
	v_lshlrev_b32_e32 v4, 25, v3
	v_lshlrev_b16 v3, 8, v3
	s_delay_alu instid0(VALU_DEP_2) | instskip(NEXT) | instid1(VALU_DEP_2)
	v_lshrrev_b32_e32 v5, 4, v4
	v_and_or_b32 v6, 0x7f00, v3, 0.5
	v_bfe_i32 v3, v3, 0, 16
	s_delay_alu instid0(VALU_DEP_3) | instskip(NEXT) | instid1(VALU_DEP_1)
	v_or_b32_e32 v5, 0x70000000, v5
	v_dual_add_f32 v6, -0.5, v6 :: v_dual_mul_f32 v5, 0x7800000, v5
	v_cmp_gt_u32_e32 vcc_lo, 0x8000000, v4
	s_delay_alu instid0(VALU_DEP_2) | instskip(NEXT) | instid1(VALU_DEP_1)
	v_cndmask_b32_e32 v4, v5, v6, vcc_lo
	v_and_or_b32 v3, 0x80000000, v3, v4
	s_delay_alu instid0(VALU_DEP_1)
	v_cvt_f16_f32_e32 v5, v3
.LBB528_855:
	s_mov_b32 s24, 0
	s_mov_b32 s25, -1
.LBB528_856:
	s_and_not1_b32 vcc_lo, exec_lo, s24
	s_mov_b32 s24, 0
	s_cbranch_vccnz .LBB528_867
; %bb.857:
	v_cmp_gt_i16_e64 s24, s3, 14
	s_delay_alu instid0(VALU_DEP_1)
	s_and_b32 vcc_lo, exec_lo, s24
	s_cbranch_vccz .LBB528_860
; %bb.858:
	v_cmp_eq_u16_e64 s23, s3, 15
	s_delay_alu instid0(VALU_DEP_1)
	s_and_b32 vcc_lo, exec_lo, s23
	s_cbranch_vccz .LBB528_863
; %bb.859:
	global_load_u16 v3, v[0:1], off
	s_mov_b32 s23, 0
	s_mov_b32 s25, -1
	s_waitcnt vmcnt(0)
	v_lshlrev_b32_e32 v3, 16, v3
	s_delay_alu instid0(VALU_DEP_1)
	v_cvt_f16_f32_e32 v5, v3
	s_branch .LBB528_864
.LBB528_860:
	s_mov_b32 s24, -1
                                        ; implicit-def: $vgpr5
	s_branch .LBB528_865
.LBB528_861:
	s_or_saveexec_b32 s26, s26
	v_mov_b32_e32 v5, s25
	s_xor_b32 exec_lo, exec_lo, s26
	s_cbranch_execz .LBB528_842
.LBB528_862:
	v_cmp_ne_u16_e32 vcc_lo, 0, v3
	v_mov_b32_e32 v5, v3
	s_and_not1_b32 s24, s24, exec_lo
	s_and_b32 s25, vcc_lo, exec_lo
	s_delay_alu instid0(SALU_CYCLE_1)
	s_or_b32 s24, s24, s25
	s_or_b32 exec_lo, exec_lo, s26
	s_and_saveexec_b32 s25, s24
	s_cbranch_execnz .LBB528_843
	s_branch .LBB528_844
.LBB528_863:
	s_mov_b32 s23, -1
                                        ; implicit-def: $vgpr5
.LBB528_864:
	s_mov_b32 s24, 0
.LBB528_865:
	s_delay_alu instid0(SALU_CYCLE_1)
	s_and_b32 vcc_lo, exec_lo, s24
	s_mov_b32 s24, 0
	s_cbranch_vccz .LBB528_867
; %bb.866:
	v_cmp_ne_u16_e64 s24, s3, 11
	s_and_not1_b32 s23, s23, exec_lo
                                        ; implicit-def: $vgpr5
	s_delay_alu instid0(VALU_DEP_1)
	s_and_b32 s26, s24, exec_lo
	s_mov_b32 s24, -1
	s_or_b32 s23, s23, s26
.LBB528_867:
	s_mov_b32 s27, 0
.LBB528_868:
	s_and_b32 s26, s25, exec_lo
	s_and_b32 s25, s27, exec_lo
	s_and_not1_b32 s27, s0, exec_lo
	s_and_b32 s28, s23, exec_lo
	s_and_b32 s23, s24, exec_lo
	s_or_b32 s24, s27, s28
.LBB528_869:
	s_or_b32 exec_lo, exec_lo, s16
	s_delay_alu instid0(SALU_CYCLE_1)
	s_and_not1_b32 s0, s0, exec_lo
	s_and_b32 s16, s24, exec_lo
	s_and_b32 s26, s26, exec_lo
	;; [unrolled: 1-line block ×4, first 2 shown]
	s_or_b32 s0, s0, s16
.LBB528_870:
	s_or_b32 exec_lo, exec_lo, s21
	s_delay_alu instid0(SALU_CYCLE_1)
	s_and_not1_b32 s16, s19, exec_lo
	s_and_b32 s19, s22, exec_lo
	s_and_b32 s0, s0, exec_lo
	s_or_b32 s19, s16, s19
	s_and_not1_b32 s16, s18, exec_lo
	s_and_b32 s23, s26, exec_lo
	s_and_b32 s22, s25, exec_lo
	;; [unrolled: 1-line block ×3, first 2 shown]
	s_or_b32 s18, s16, s0
.LBB528_871:
	s_or_b32 exec_lo, exec_lo, s20
	s_delay_alu instid0(SALU_CYCLE_1)
	s_and_not1_b32 s0, s14, exec_lo
	s_and_b32 s14, s19, exec_lo
	s_and_not1_b32 s15, s15, exec_lo
	s_and_b32 s16, s18, exec_lo
	s_or_b32 s14, s0, s14
	s_and_b32 s0, s23, exec_lo
	s_and_b32 s19, s22, exec_lo
	;; [unrolled: 1-line block ×3, first 2 shown]
	s_or_b32 s15, s15, s16
.LBB528_872:
	s_or_b32 exec_lo, exec_lo, s17
	s_mov_b32 s16, 0
	s_and_saveexec_b32 s17, s15
	s_cbranch_execnz .LBB528_884
; %bb.873:
	s_or_b32 exec_lo, exec_lo, s17
	s_and_saveexec_b32 s15, s18
	s_delay_alu instid0(SALU_CYCLE_1)
	s_xor_b32 s15, exec_lo, s15
	s_cbranch_execz .LBB528_875
.LBB528_874:
	global_load_u8 v3, v[0:1], off
	s_or_b32 s0, s0, exec_lo
	s_waitcnt vmcnt(0)
	v_cmp_ne_u16_e32 vcc_lo, 0, v3
	v_cndmask_b32_e64 v5, 0, 0x3c00, vcc_lo
.LBB528_875:
	s_or_b32 exec_lo, exec_lo, s15
	s_and_saveexec_b32 s15, s19
	s_cbranch_execz .LBB528_923
; %bb.876:
	v_cmp_lt_i16_e64 s17, s3, 5
	s_delay_alu instid0(VALU_DEP_1)
	s_and_b32 vcc_lo, exec_lo, s17
	s_cbranch_vccnz .LBB528_881
; %bb.877:
	v_cmp_lt_i16_e64 s17, s3, 8
	s_delay_alu instid0(VALU_DEP_1)
	s_and_b32 vcc_lo, exec_lo, s17
	s_cbranch_vccnz .LBB528_882
	;; [unrolled: 5-line block ×3, first 2 shown]
; %bb.879:
	v_cmp_gt_i16_e64 s17, s3, 9
	s_delay_alu instid0(VALU_DEP_1)
	s_and_b32 vcc_lo, exec_lo, s17
	s_cbranch_vccz .LBB528_886
; %bb.880:
	global_load_b64 v[3:4], v[0:1], off
	s_mov_b32 s17, 0
	s_waitcnt vmcnt(0)
	v_cvt_f32_f64_e32 v3, v[3:4]
	s_delay_alu instid0(VALU_DEP_1)
	v_cvt_f16_f32_e32 v5, v3
	s_branch .LBB528_887
.LBB528_881:
                                        ; implicit-def: $vgpr5
	s_branch .LBB528_904
.LBB528_882:
                                        ; implicit-def: $vgpr5
	s_branch .LBB528_893
.LBB528_883:
	s_mov_b32 s17, -1
                                        ; implicit-def: $vgpr5
	s_branch .LBB528_890
.LBB528_884:
	s_cbranch_execnz .LBB528_936
; %bb.885:
	s_mov_b32 s16, exec_lo
	s_and_not1_b32 s18, s18, exec_lo
                                        ; implicit-def: $vgpr5
	s_or_b32 exec_lo, exec_lo, s17
	s_and_saveexec_b32 s15, s18
	s_delay_alu instid0(SALU_CYCLE_1)
	s_xor_b32 s15, exec_lo, s15
	s_cbranch_execnz .LBB528_874
	s_branch .LBB528_875
.LBB528_886:
	s_mov_b32 s17, -1
                                        ; implicit-def: $vgpr5
.LBB528_887:
	s_delay_alu instid0(SALU_CYCLE_1)
	s_and_not1_b32 vcc_lo, exec_lo, s17
	s_cbranch_vccnz .LBB528_889
; %bb.888:
	global_load_b32 v3, v[0:1], off
	s_waitcnt vmcnt(0)
	v_cvt_f16_f32_e32 v5, v3
.LBB528_889:
	s_mov_b32 s17, 0
.LBB528_890:
	s_delay_alu instid0(SALU_CYCLE_1)
	s_and_not1_b32 vcc_lo, exec_lo, s17
	s_cbranch_vccnz .LBB528_892
; %bb.891:
	global_load_b32 v5, v[0:1], off
.LBB528_892:
	s_cbranch_execnz .LBB528_903
.LBB528_893:
	v_cmp_lt_i16_e64 s17, s3, 6
	s_delay_alu instid0(VALU_DEP_1)
	s_and_b32 vcc_lo, exec_lo, s17
	s_cbranch_vccnz .LBB528_896
; %bb.894:
	v_cmp_gt_i16_e64 s17, s3, 6
	s_delay_alu instid0(VALU_DEP_1)
	s_and_b32 vcc_lo, exec_lo, s17
	s_cbranch_vccz .LBB528_897
; %bb.895:
	global_load_b64 v[3:4], v[0:1], off
	s_mov_b32 s17, 0
	s_waitcnt vmcnt(0)
	v_cvt_f32_f64_e32 v3, v[3:4]
	s_delay_alu instid0(VALU_DEP_1)
	v_cvt_f16_f32_e32 v5, v3
	s_branch .LBB528_898
.LBB528_896:
	s_mov_b32 s17, -1
                                        ; implicit-def: $vgpr5
	s_branch .LBB528_901
.LBB528_897:
	s_mov_b32 s17, -1
                                        ; implicit-def: $vgpr5
.LBB528_898:
	s_delay_alu instid0(SALU_CYCLE_1)
	s_and_not1_b32 vcc_lo, exec_lo, s17
	s_cbranch_vccnz .LBB528_900
; %bb.899:
	global_load_b32 v3, v[0:1], off
	s_waitcnt vmcnt(0)
	v_cvt_f16_f32_e32 v5, v3
.LBB528_900:
	s_mov_b32 s17, 0
.LBB528_901:
	s_delay_alu instid0(SALU_CYCLE_1)
	s_and_not1_b32 vcc_lo, exec_lo, s17
	s_cbranch_vccnz .LBB528_903
; %bb.902:
	global_load_u16 v5, v[0:1], off
.LBB528_903:
	s_cbranch_execnz .LBB528_922
.LBB528_904:
	v_cmp_lt_i16_e64 s17, s3, 2
	s_delay_alu instid0(VALU_DEP_1)
	s_and_b32 vcc_lo, exec_lo, s17
	s_cbranch_vccnz .LBB528_908
; %bb.905:
	v_cmp_lt_i16_e64 s17, s3, 3
	s_delay_alu instid0(VALU_DEP_1)
	s_and_b32 vcc_lo, exec_lo, s17
	s_cbranch_vccnz .LBB528_909
; %bb.906:
	v_cmp_gt_i16_e64 s17, s3, 3
	s_delay_alu instid0(VALU_DEP_1)
	s_and_b32 vcc_lo, exec_lo, s17
	s_cbranch_vccz .LBB528_910
; %bb.907:
	global_load_b64 v[3:4], v[0:1], off
	s_mov_b32 s17, 0
	s_waitcnt vmcnt(0)
	v_xor_b32_e32 v5, v3, v4
	v_cls_i32_e32 v6, v4
	s_delay_alu instid0(VALU_DEP_2) | instskip(NEXT) | instid1(VALU_DEP_2)
	v_ashrrev_i32_e32 v5, 31, v5
	v_add_nc_u32_e32 v6, -1, v6
	s_delay_alu instid0(VALU_DEP_2) | instskip(NEXT) | instid1(VALU_DEP_1)
	v_add_nc_u32_e32 v5, 32, v5
	v_min_u32_e32 v5, v6, v5
	s_delay_alu instid0(VALU_DEP_1) | instskip(NEXT) | instid1(VALU_DEP_1)
	v_lshlrev_b64 v[3:4], v5, v[3:4]
	v_min_u32_e32 v3, 1, v3
	s_delay_alu instid0(VALU_DEP_1) | instskip(SKIP_1) | instid1(VALU_DEP_2)
	v_or_b32_e32 v3, v4, v3
	v_sub_nc_u32_e32 v4, 32, v5
	v_cvt_f32_i32_e32 v3, v3
	s_delay_alu instid0(VALU_DEP_1) | instskip(NEXT) | instid1(VALU_DEP_1)
	v_ldexp_f32 v3, v3, v4
	v_cvt_f16_f32_e32 v5, v3
	s_branch .LBB528_911
.LBB528_908:
                                        ; implicit-def: $vgpr5
	s_branch .LBB528_917
.LBB528_909:
	s_mov_b32 s17, -1
                                        ; implicit-def: $vgpr5
	s_branch .LBB528_914
.LBB528_910:
	s_mov_b32 s17, -1
                                        ; implicit-def: $vgpr5
.LBB528_911:
	s_delay_alu instid0(SALU_CYCLE_1)
	s_and_not1_b32 vcc_lo, exec_lo, s17
	s_cbranch_vccnz .LBB528_913
; %bb.912:
	global_load_b32 v3, v[0:1], off
	s_waitcnt vmcnt(0)
	v_cvt_f32_i32_e32 v3, v3
	s_delay_alu instid0(VALU_DEP_1)
	v_cvt_f16_f32_e32 v5, v3
.LBB528_913:
	s_mov_b32 s17, 0
.LBB528_914:
	s_delay_alu instid0(SALU_CYCLE_1)
	s_and_not1_b32 vcc_lo, exec_lo, s17
	s_cbranch_vccnz .LBB528_916
; %bb.915:
	global_load_u16 v3, v[0:1], off
	s_waitcnt vmcnt(0)
	v_cvt_f16_i16_e32 v5, v3
.LBB528_916:
	s_cbranch_execnz .LBB528_922
.LBB528_917:
	v_cmp_gt_i16_e64 s17, s3, 0
	s_delay_alu instid0(VALU_DEP_1)
	s_and_b32 vcc_lo, exec_lo, s17
	s_mov_b32 s17, 0
	s_cbranch_vccz .LBB528_919
; %bb.918:
	global_load_i8 v3, v[0:1], off
	s_waitcnt vmcnt(0)
	v_cvt_f16_i16_e32 v5, v3
	s_branch .LBB528_920
.LBB528_919:
	s_mov_b32 s17, -1
                                        ; implicit-def: $vgpr5
.LBB528_920:
	s_delay_alu instid0(SALU_CYCLE_1)
	s_and_not1_b32 vcc_lo, exec_lo, s17
	s_cbranch_vccnz .LBB528_922
; %bb.921:
	global_load_u8 v0, v[0:1], off
	s_waitcnt vmcnt(0)
	v_cvt_f16_u16_e32 v5, v0
.LBB528_922:
	s_or_b32 s0, s0, exec_lo
.LBB528_923:
	s_or_b32 exec_lo, exec_lo, s15
	s_mov_b32 s18, 0
	s_mov_b32 s17, 0
                                        ; implicit-def: $vgpr4
                                        ; implicit-def: $vgpr0_vgpr1
                                        ; implicit-def: $vgpr3
	s_and_saveexec_b32 s15, s0
	s_cbranch_execz .LBB528_1007
; %bb.924:
	v_mov_b32_e32 v3, s10
	s_mov_b32 s0, exec_lo
	s_waitcnt vmcnt(0)
	v_cmpx_o_f16_e32 v5, v5
	s_cbranch_execz .LBB528_928
; %bb.925:
	v_mov_b32_e32 v3, s2
	s_mov_b32 s17, exec_lo
	v_cmpx_neq_f16_e32 0x7c00, v5
; %bb.926:
	v_cmp_eq_f16_e32 vcc_lo, 0xfc00, v5
	v_cndmask_b32_e64 v3, v5, s11, vcc_lo
; %bb.927:
	s_or_b32 exec_lo, exec_lo, s17
.LBB528_928:
	s_delay_alu instid0(SALU_CYCLE_1) | instskip(SKIP_2) | instid1(VALU_DEP_1)
	s_or_b32 exec_lo, exec_lo, s0
	v_mul_lo_u32 v0, v2, s8
	v_and_b32_e64 v4, 0xff, s1
	v_cmp_gt_i16_e32 vcc_lo, 11, v4
	s_delay_alu instid0(VALU_DEP_3) | instskip(SKIP_1) | instid1(VALU_DEP_1)
	v_ashrrev_i32_e32 v1, 31, v0
	v_add_co_u32 v0, s0, s4, v0
	v_add_co_ci_u32_e64 v1, s0, s5, v1, s0
	s_cbranch_vccnz .LBB528_935
; %bb.929:
	v_cmp_lt_i16_e32 vcc_lo, 25, v4
	s_mov_b32 s17, -1
	s_mov_b32 s0, s14
	s_cbranch_vccz .LBB528_965
; %bb.930:
	v_cmp_lt_i16_e32 vcc_lo, 28, v4
	s_mov_b32 s0, s14
	s_cbranch_vccz .LBB528_949
; %bb.931:
	v_cmp_lt_i16_e32 vcc_lo, 43, v4
	;; [unrolled: 4-line block ×3, first 2 shown]
	s_mov_b32 s0, s14
	s_cbranch_vccz .LBB528_939
; %bb.933:
	v_cmp_eq_u16_e32 vcc_lo, 46, v4
	s_mov_b32 s0, -1
	s_cbranch_vccz .LBB528_938
; %bb.934:
	v_cvt_f32_f16_e32 v2, v3
	v_cmp_o_f16_e32 vcc_lo, v3, v3
	s_mov_b32 s0, 0
	s_mov_b32 s17, 0
	s_delay_alu instid0(VALU_DEP_2) | instskip(NEXT) | instid1(VALU_DEP_1)
	v_bfe_u32 v5, v2, 16, 1
	v_add3_u32 v2, v2, v5, 0x7fff
	s_delay_alu instid0(VALU_DEP_1) | instskip(NEXT) | instid1(VALU_DEP_1)
	v_lshrrev_b32_e32 v2, 16, v2
	v_cndmask_b32_e32 v2, 0x7fc0, v2, vcc_lo
	global_store_b32 v[0:1], v2, off
	s_branch .LBB528_939
.LBB528_935:
	s_mov_b32 s17, -1
	s_mov_b32 s0, s14
	s_branch .LBB528_1006
.LBB528_936:
	s_trap 2
	s_sendmsg_rtn_b32 s0, sendmsg(MSG_RTN_GET_DOORBELL)
	s_mov_b32 ttmp2, m0
	s_waitcnt lgkmcnt(0)
	s_and_b32 s0, s0, 0x3ff
	s_delay_alu instid0(SALU_CYCLE_1) | instskip(NEXT) | instid1(SALU_CYCLE_1)
	s_bitset1_b32 s0, 10
	s_mov_b32 m0, s0
	s_sendmsg sendmsg(MSG_INTERRUPT)
	s_mov_b32 m0, ttmp2
.LBB528_937:                            ; =>This Inner Loop Header: Depth=1
	s_sethalt 5
	s_branch .LBB528_937
.LBB528_938:
	s_mov_b32 s17, 0
.LBB528_939:
	s_delay_alu instid0(SALU_CYCLE_1)
	s_and_b32 vcc_lo, exec_lo, s17
	s_cbranch_vccz .LBB528_944
; %bb.940:
	v_cmp_eq_u16_e32 vcc_lo, 44, v4
	s_mov_b32 s0, -1
	s_cbranch_vccz .LBB528_944
; %bb.941:
	v_cvt_f32_f16_e32 v2, v3
	v_mov_b32_e32 v5, 0xff
	s_mov_b32 s17, exec_lo
	s_delay_alu instid0(VALU_DEP_2) | instskip(NEXT) | instid1(VALU_DEP_1)
	v_bfe_u32 v6, v2, 23, 8
	v_cmpx_ne_u32_e32 0xff, v6
; %bb.942:
	v_and_b32_e32 v5, 0x400000, v2
	v_and_or_b32 v6, 0x3fffff, v2, v6
	v_lshrrev_b32_e32 v2, 23, v2
	s_delay_alu instid0(VALU_DEP_3) | instskip(NEXT) | instid1(VALU_DEP_3)
	v_cmp_ne_u32_e32 vcc_lo, 0, v5
	v_cmp_ne_u32_e64 s0, 0, v6
	s_delay_alu instid0(VALU_DEP_1) | instskip(NEXT) | instid1(SALU_CYCLE_1)
	s_and_b32 s0, vcc_lo, s0
	v_cndmask_b32_e64 v5, 0, 1, s0
	s_delay_alu instid0(VALU_DEP_1)
	v_add_nc_u32_e32 v5, v2, v5
; %bb.943:
	s_or_b32 exec_lo, exec_lo, s17
	s_mov_b32 s0, 0
	global_store_b8 v[0:1], v5, off
.LBB528_944:
	s_mov_b32 s17, 0
.LBB528_945:
	s_delay_alu instid0(SALU_CYCLE_1)
	s_and_b32 vcc_lo, exec_lo, s17
	s_cbranch_vccz .LBB528_948
; %bb.946:
	v_cmp_eq_u16_e32 vcc_lo, 29, v4
	s_mov_b32 s0, -1
	s_cbranch_vccz .LBB528_948
; %bb.947:
	v_cvt_f32_f16_e32 v2, v3
	v_mov_b32_e32 v6, 0
	s_mov_b32 s0, 0
	s_mov_b32 s17, 0
	s_delay_alu instid0(VALU_DEP_2)
	v_cvt_u32_f32_e32 v5, v2
	global_store_b64 v[0:1], v[5:6], off
	s_branch .LBB528_949
.LBB528_948:
	s_mov_b32 s17, 0
.LBB528_949:
	s_delay_alu instid0(SALU_CYCLE_1)
	s_and_b32 vcc_lo, exec_lo, s17
	s_cbranch_vccz .LBB528_964
; %bb.950:
	v_cmp_gt_i16_e32 vcc_lo, 27, v4
	s_mov_b32 s17, -1
	s_cbranch_vccnz .LBB528_956
; %bb.951:
	v_cmp_lt_i16_e32 vcc_lo, 27, v4
	s_cbranch_vccz .LBB528_953
; %bb.952:
	v_cvt_f32_f16_e32 v2, v3
	s_mov_b32 s17, 0
	s_delay_alu instid0(VALU_DEP_1)
	v_cvt_u32_f32_e32 v2, v2
	global_store_b32 v[0:1], v2, off
.LBB528_953:
	s_and_not1_b32 vcc_lo, exec_lo, s17
	s_cbranch_vccnz .LBB528_955
; %bb.954:
	v_cvt_u16_f16_e32 v2, v3
	global_store_b16 v[0:1], v2, off
.LBB528_955:
	s_mov_b32 s17, 0
.LBB528_956:
	s_delay_alu instid0(SALU_CYCLE_1)
	s_and_not1_b32 vcc_lo, exec_lo, s17
	s_cbranch_vccnz .LBB528_964
; %bb.957:
	v_cvt_f32_f16_e32 v2, v3
	v_mov_b32_e32 v6, 0x80
	s_mov_b32 s17, exec_lo
	s_delay_alu instid0(VALU_DEP_2) | instskip(NEXT) | instid1(VALU_DEP_1)
	v_and_b32_e32 v5, 0x7fffffff, v2
	v_cmpx_gt_u32_e32 0x43800000, v5
	s_cbranch_execz .LBB528_963
; %bb.958:
	v_cmp_lt_u32_e32 vcc_lo, 0x3bffffff, v5
                                        ; implicit-def: $vgpr5
	s_and_saveexec_b32 s19, vcc_lo
	s_delay_alu instid0(SALU_CYCLE_1)
	s_xor_b32 s19, exec_lo, s19
	s_cbranch_execz .LBB528_1202
; %bb.959:
	v_bfe_u32 v5, v2, 20, 1
	s_mov_b32 s18, exec_lo
	s_delay_alu instid0(VALU_DEP_1) | instskip(NEXT) | instid1(VALU_DEP_1)
	v_add3_u32 v5, v2, v5, 0x487ffff
	v_lshrrev_b32_e32 v5, 20, v5
	s_or_saveexec_b32 s19, s19
                                        ; implicit-def: $sgpr20
	s_delay_alu instid0(SALU_CYCLE_1)
	s_xor_b32 exec_lo, exec_lo, s19
	s_cbranch_execnz .LBB528_1203
.LBB528_960:
	s_or_b32 exec_lo, exec_lo, s19
	v_mov_b32_e32 v6, s20
	s_and_saveexec_b32 s19, s18
.LBB528_961:
	v_lshrrev_b32_e32 v2, 24, v2
	s_delay_alu instid0(VALU_DEP_1)
	v_and_or_b32 v6, 0x80, v2, v5
.LBB528_962:
	s_or_b32 exec_lo, exec_lo, s19
.LBB528_963:
	s_delay_alu instid0(SALU_CYCLE_1)
	s_or_b32 exec_lo, exec_lo, s17
	global_store_b8 v[0:1], v6, off
.LBB528_964:
	s_mov_b32 s17, 0
.LBB528_965:
	s_delay_alu instid0(SALU_CYCLE_1)
	s_and_b32 vcc_lo, exec_lo, s17
	s_mov_b32 s17, 0
	s_cbranch_vccz .LBB528_1005
; %bb.966:
	v_cmp_lt_i16_e32 vcc_lo, 22, v4
	s_mov_b32 s18, -1
	s_cbranch_vccz .LBB528_998
; %bb.967:
	v_cmp_gt_i16_e32 vcc_lo, 24, v4
	s_cbranch_vccnz .LBB528_987
; %bb.968:
	v_cmp_lt_i16_e32 vcc_lo, 24, v4
	s_cbranch_vccz .LBB528_976
; %bb.969:
	v_cvt_f32_f16_e32 v2, v3
	v_mov_b32_e32 v6, 0x80
	s_mov_b32 s18, exec_lo
	s_delay_alu instid0(VALU_DEP_2) | instskip(NEXT) | instid1(VALU_DEP_1)
	v_and_b32_e32 v5, 0x7fffffff, v2
	v_cmpx_gt_u32_e32 0x47800000, v5
	s_cbranch_execz .LBB528_975
; %bb.970:
	v_cmp_lt_u32_e32 vcc_lo, 0x37ffffff, v5
	s_mov_b32 s19, 0
                                        ; implicit-def: $vgpr5
	s_and_saveexec_b32 s20, vcc_lo
	s_delay_alu instid0(SALU_CYCLE_1)
	s_xor_b32 s20, exec_lo, s20
	s_cbranch_execz .LBB528_1246
; %bb.971:
	v_bfe_u32 v5, v2, 21, 1
	s_mov_b32 s19, exec_lo
	s_delay_alu instid0(VALU_DEP_1) | instskip(NEXT) | instid1(VALU_DEP_1)
	v_add3_u32 v5, v2, v5, 0x88fffff
	v_lshrrev_b32_e32 v5, 21, v5
	s_or_saveexec_b32 s20, s20
                                        ; implicit-def: $sgpr21
	s_delay_alu instid0(SALU_CYCLE_1)
	s_xor_b32 exec_lo, exec_lo, s20
	s_cbranch_execnz .LBB528_1247
.LBB528_972:
	s_or_b32 exec_lo, exec_lo, s20
	v_mov_b32_e32 v6, s21
	s_and_saveexec_b32 s20, s19
.LBB528_973:
	v_lshrrev_b32_e32 v2, 24, v2
	s_delay_alu instid0(VALU_DEP_1)
	v_and_or_b32 v6, 0x80, v2, v5
.LBB528_974:
	s_or_b32 exec_lo, exec_lo, s20
.LBB528_975:
	s_delay_alu instid0(SALU_CYCLE_1)
	s_or_b32 exec_lo, exec_lo, s18
	s_mov_b32 s18, 0
	global_store_b8 v[0:1], v6, off
.LBB528_976:
	s_and_b32 vcc_lo, exec_lo, s18
	s_cbranch_vccz .LBB528_986
; %bb.977:
	v_cvt_f32_f16_e32 v2, v3
	s_mov_b32 s18, exec_lo
                                        ; implicit-def: $vgpr5
	s_delay_alu instid0(VALU_DEP_1) | instskip(NEXT) | instid1(VALU_DEP_1)
	v_and_b32_e32 v6, 0x7fffffff, v2
	v_cmpx_gt_u32_e32 0x43f00000, v6
	s_xor_b32 s18, exec_lo, s18
	s_cbranch_execz .LBB528_983
; %bb.978:
	s_mov_b32 s19, exec_lo
                                        ; implicit-def: $vgpr5
	v_cmpx_lt_u32_e32 0x3c7fffff, v6
	s_xor_b32 s19, exec_lo, s19
; %bb.979:
	v_bfe_u32 v5, v2, 20, 1
	s_delay_alu instid0(VALU_DEP_1) | instskip(NEXT) | instid1(VALU_DEP_1)
	v_add3_u32 v5, v2, v5, 0x407ffff
	v_and_b32_e32 v6, 0xff00000, v5
	v_lshrrev_b32_e32 v5, 20, v5
	s_delay_alu instid0(VALU_DEP_2) | instskip(NEXT) | instid1(VALU_DEP_2)
	v_cmp_ne_u32_e32 vcc_lo, 0x7f00000, v6
	v_cndmask_b32_e32 v5, 0x7e, v5, vcc_lo
; %bb.980:
	s_and_not1_saveexec_b32 s19, s19
; %bb.981:
	v_add_f32_e64 v5, 0x46800000, |v2|
; %bb.982:
	s_or_b32 exec_lo, exec_lo, s19
                                        ; implicit-def: $vgpr6
.LBB528_983:
	s_and_not1_saveexec_b32 s18, s18
; %bb.984:
	v_mov_b32_e32 v5, 0x7f
	v_cmp_lt_u32_e32 vcc_lo, 0x7f800000, v6
	s_delay_alu instid0(VALU_DEP_2)
	v_cndmask_b32_e32 v5, 0x7e, v5, vcc_lo
; %bb.985:
	s_or_b32 exec_lo, exec_lo, s18
	v_lshrrev_b32_e32 v2, 24, v2
	s_delay_alu instid0(VALU_DEP_1)
	v_and_or_b32 v2, 0x80, v2, v5
	global_store_b8 v[0:1], v2, off
.LBB528_986:
	s_mov_b32 s18, 0
.LBB528_987:
	s_delay_alu instid0(SALU_CYCLE_1)
	s_and_not1_b32 vcc_lo, exec_lo, s18
	s_cbranch_vccnz .LBB528_997
; %bb.988:
	v_cvt_f32_f16_e32 v2, v3
	s_mov_b32 s18, exec_lo
                                        ; implicit-def: $vgpr5
	s_delay_alu instid0(VALU_DEP_1) | instskip(NEXT) | instid1(VALU_DEP_1)
	v_and_b32_e32 v6, 0x7fffffff, v2
	v_cmpx_gt_u32_e32 0x47800000, v6
	s_xor_b32 s18, exec_lo, s18
	s_cbranch_execz .LBB528_994
; %bb.989:
	s_mov_b32 s19, exec_lo
                                        ; implicit-def: $vgpr5
	v_cmpx_lt_u32_e32 0x387fffff, v6
	s_xor_b32 s19, exec_lo, s19
; %bb.990:
	v_bfe_u32 v5, v2, 21, 1
	s_delay_alu instid0(VALU_DEP_1) | instskip(NEXT) | instid1(VALU_DEP_1)
	v_add3_u32 v5, v2, v5, 0x80fffff
	v_lshrrev_b32_e32 v5, 21, v5
; %bb.991:
	s_and_not1_saveexec_b32 s19, s19
; %bb.992:
	v_add_f32_e64 v5, 0x43000000, |v2|
; %bb.993:
	s_or_b32 exec_lo, exec_lo, s19
                                        ; implicit-def: $vgpr6
.LBB528_994:
	s_and_not1_saveexec_b32 s18, s18
; %bb.995:
	v_mov_b32_e32 v5, 0x7f
	v_cmp_lt_u32_e32 vcc_lo, 0x7f800000, v6
	s_delay_alu instid0(VALU_DEP_2)
	v_cndmask_b32_e32 v5, 0x7c, v5, vcc_lo
; %bb.996:
	s_or_b32 exec_lo, exec_lo, s18
	v_lshrrev_b32_e32 v2, 24, v2
	s_delay_alu instid0(VALU_DEP_1)
	v_and_or_b32 v2, 0x80, v2, v5
	global_store_b8 v[0:1], v2, off
.LBB528_997:
	s_mov_b32 s18, 0
.LBB528_998:
	s_delay_alu instid0(SALU_CYCLE_1)
	s_and_not1_b32 vcc_lo, exec_lo, s18
	s_mov_b32 s18, 0
	s_cbranch_vccnz .LBB528_1006
; %bb.999:
	v_cmp_lt_i16_e32 vcc_lo, 14, v4
	s_mov_b32 s18, -1
	s_cbranch_vccz .LBB528_1003
; %bb.1000:
	v_cmp_eq_u16_e32 vcc_lo, 15, v4
	s_mov_b32 s0, -1
	s_cbranch_vccz .LBB528_1002
; %bb.1001:
	v_cvt_f32_f16_e32 v2, v3
	v_cmp_o_f16_e32 vcc_lo, v3, v3
	s_mov_b32 s0, 0
	s_delay_alu instid0(VALU_DEP_2) | instskip(NEXT) | instid1(VALU_DEP_1)
	v_bfe_u32 v5, v2, 16, 1
	v_add3_u32 v2, v2, v5, 0x7fff
	s_delay_alu instid0(VALU_DEP_1) | instskip(NEXT) | instid1(VALU_DEP_1)
	v_lshrrev_b32_e32 v2, 16, v2
	v_cndmask_b32_e32 v2, 0x7fc0, v2, vcc_lo
	global_store_b16 v[0:1], v2, off
.LBB528_1002:
	s_mov_b32 s18, 0
.LBB528_1003:
	s_delay_alu instid0(SALU_CYCLE_1)
	s_and_b32 vcc_lo, exec_lo, s18
	s_mov_b32 s18, 0
	s_cbranch_vccz .LBB528_1006
; %bb.1004:
	v_cmp_ne_u16_e32 vcc_lo, 11, v4
	s_and_not1_b32 s0, s0, exec_lo
	s_mov_b32 s18, -1
	s_and_b32 s19, vcc_lo, exec_lo
	s_delay_alu instid0(SALU_CYCLE_1)
	s_or_b32 s0, s0, s19
	s_branch .LBB528_1006
.LBB528_1005:
	s_mov_b32 s18, 0
.LBB528_1006:
	s_and_not1_b32 s14, s14, exec_lo
	s_and_b32 s0, s0, exec_lo
	s_and_b32 s17, s17, exec_lo
	;; [unrolled: 1-line block ×3, first 2 shown]
	s_or_b32 s14, s14, s0
.LBB528_1007:
	s_or_b32 exec_lo, exec_lo, s15
	s_and_saveexec_b32 s0, s14
	s_cbranch_execnz .LBB528_1069
; %bb.1008:
	s_or_b32 exec_lo, exec_lo, s0
	s_and_saveexec_b32 s0, s18
	s_delay_alu instid0(SALU_CYCLE_1)
	s_xor_b32 s0, exec_lo, s0
	s_cbranch_execz .LBB528_1010
.LBB528_1009:
	v_and_b32_e32 v2, 0x7fff, v3
	s_delay_alu instid0(VALU_DEP_1)
	v_cmp_ne_u16_e32 vcc_lo, 0, v2
	v_cndmask_b32_e64 v2, 0, 1, vcc_lo
	global_store_b8 v[0:1], v2, off
.LBB528_1010:
	s_or_b32 exec_lo, exec_lo, s0
	s_and_saveexec_b32 s0, s17
	s_delay_alu instid0(SALU_CYCLE_1)
	s_xor_b32 s0, exec_lo, s0
	s_cbranch_execz .LBB528_1048
; %bb.1011:
	s_waitcnt vmcnt(0)
	v_cmp_gt_i16_e32 vcc_lo, 5, v4
	s_mov_b32 s14, -1
	s_cbranch_vccnz .LBB528_1032
; %bb.1012:
	v_cmp_gt_i16_e32 vcc_lo, 8, v4
	s_cbranch_vccnz .LBB528_1022
; %bb.1013:
	v_cmp_gt_i16_e32 vcc_lo, 9, v4
	s_cbranch_vccnz .LBB528_1019
; %bb.1014:
	v_cmp_lt_i16_e32 vcc_lo, 9, v4
	s_cbranch_vccz .LBB528_1016
; %bb.1015:
	v_cvt_f32_f16_e32 v2, v3
	v_mov_b32_e32 v7, 0
	s_mov_b32 s14, 0
	s_delay_alu instid0(VALU_DEP_2) | instskip(NEXT) | instid1(VALU_DEP_2)
	v_cvt_f64_f32_e32 v[5:6], v2
	v_mov_b32_e32 v8, v7
	global_store_b128 v[0:1], v[5:8], off
.LBB528_1016:
	s_and_not1_b32 vcc_lo, exec_lo, s14
	s_cbranch_vccnz .LBB528_1018
; %bb.1017:
	v_cvt_f32_f16_e32 v5, v3
	v_mov_b32_e32 v6, 0
	global_store_b64 v[0:1], v[5:6], off
.LBB528_1018:
	s_mov_b32 s14, 0
.LBB528_1019:
	s_delay_alu instid0(SALU_CYCLE_1)
	s_and_not1_b32 vcc_lo, exec_lo, s14
	s_cbranch_vccnz .LBB528_1021
; %bb.1020:
	v_and_b32_e32 v2, 0xffff, v3
	global_store_b32 v[0:1], v2, off
.LBB528_1021:
	s_mov_b32 s14, 0
.LBB528_1022:
	s_delay_alu instid0(SALU_CYCLE_1)
	s_and_not1_b32 vcc_lo, exec_lo, s14
	s_cbranch_vccnz .LBB528_1031
; %bb.1023:
	v_cmp_gt_i16_e32 vcc_lo, 6, v4
	s_mov_b32 s14, -1
	s_cbranch_vccnz .LBB528_1029
; %bb.1024:
	v_cmp_lt_i16_e32 vcc_lo, 6, v4
	s_cbranch_vccz .LBB528_1026
; %bb.1025:
	v_cvt_f32_f16_e32 v2, v3
	s_mov_b32 s14, 0
	s_delay_alu instid0(VALU_DEP_1)
	v_cvt_f64_f32_e32 v[5:6], v2
	global_store_b64 v[0:1], v[5:6], off
.LBB528_1026:
	s_and_not1_b32 vcc_lo, exec_lo, s14
	s_cbranch_vccnz .LBB528_1028
; %bb.1027:
	v_cvt_f32_f16_e32 v2, v3
	global_store_b32 v[0:1], v2, off
.LBB528_1028:
	s_mov_b32 s14, 0
.LBB528_1029:
	s_delay_alu instid0(SALU_CYCLE_1)
	s_and_not1_b32 vcc_lo, exec_lo, s14
	s_cbranch_vccnz .LBB528_1031
; %bb.1030:
	global_store_b16 v[0:1], v3, off
.LBB528_1031:
	s_mov_b32 s14, 0
.LBB528_1032:
	s_delay_alu instid0(SALU_CYCLE_1)
	s_and_not1_b32 vcc_lo, exec_lo, s14
	s_cbranch_vccnz .LBB528_1048
; %bb.1033:
	v_cmp_gt_i16_e32 vcc_lo, 2, v4
	s_mov_b32 s14, -1
	s_cbranch_vccnz .LBB528_1043
; %bb.1034:
	v_cmp_gt_i16_e32 vcc_lo, 3, v4
	s_cbranch_vccnz .LBB528_1040
; %bb.1035:
	v_cmp_lt_i16_e32 vcc_lo, 3, v4
	s_cbranch_vccz .LBB528_1037
; %bb.1036:
	v_cvt_f32_f16_e32 v2, v3
	s_mov_b32 s14, 0
	s_delay_alu instid0(VALU_DEP_1) | instskip(NEXT) | instid1(VALU_DEP_1)
	v_cvt_i32_f32_e32 v5, v2
	v_ashrrev_i32_e32 v6, 31, v5
	global_store_b64 v[0:1], v[5:6], off
.LBB528_1037:
	s_and_not1_b32 vcc_lo, exec_lo, s14
	s_cbranch_vccnz .LBB528_1039
; %bb.1038:
	v_cvt_f32_f16_e32 v2, v3
	s_delay_alu instid0(VALU_DEP_1)
	v_cvt_i32_f32_e32 v2, v2
	global_store_b32 v[0:1], v2, off
.LBB528_1039:
	s_mov_b32 s14, 0
.LBB528_1040:
	s_delay_alu instid0(SALU_CYCLE_1)
	s_and_not1_b32 vcc_lo, exec_lo, s14
	s_cbranch_vccnz .LBB528_1042
; %bb.1041:
	v_cvt_i16_f16_e32 v2, v3
	global_store_b16 v[0:1], v2, off
.LBB528_1042:
	s_mov_b32 s14, 0
.LBB528_1043:
	s_delay_alu instid0(SALU_CYCLE_1)
	s_and_not1_b32 vcc_lo, exec_lo, s14
	s_cbranch_vccnz .LBB528_1048
; %bb.1044:
	v_cmp_lt_i16_e32 vcc_lo, 0, v4
	s_mov_b32 s14, -1
	s_cbranch_vccz .LBB528_1046
; %bb.1045:
	v_cvt_i16_f16_e32 v2, v3
	s_mov_b32 s14, 0
	global_store_b8 v[0:1], v2, off
.LBB528_1046:
	s_and_not1_b32 vcc_lo, exec_lo, s14
	s_cbranch_vccnz .LBB528_1048
; %bb.1047:
	v_cvt_f32_f16_e32 v2, v3
	s_delay_alu instid0(VALU_DEP_1)
	v_cvt_i32_f32_e32 v2, v2
	global_store_b8 v[0:1], v2, off
.LBB528_1048:
	s_or_b32 exec_lo, exec_lo, s0
	s_delay_alu instid0(SALU_CYCLE_1)
	s_and_b32 s14, s16, exec_lo
                                        ; implicit-def: $vgpr2
.LBB528_1049:
	s_or_saveexec_b32 s13, s13
	s_mov_b32 s0, 0
                                        ; implicit-def: $vgpr6
                                        ; implicit-def: $vgpr0_vgpr1
                                        ; implicit-def: $vgpr4
	s_xor_b32 exec_lo, exec_lo, s13
	s_cbranch_execz .LBB528_1675
; %bb.1050:
	s_waitcnt vmcnt(0)
	v_mul_lo_u32 v4, s9, v2
	v_cmp_lt_i16_e64 s0, s3, 11
	s_delay_alu instid0(VALU_DEP_2) | instskip(SKIP_1) | instid1(VALU_DEP_2)
	v_ashrrev_i32_e32 v1, 31, v4
	v_add_co_u32 v0, vcc_lo, s6, v4
	v_add_co_ci_u32_e32 v1, vcc_lo, s7, v1, vcc_lo
	s_delay_alu instid0(VALU_DEP_4)
	s_and_b32 vcc_lo, exec_lo, s0
	s_cbranch_vccnz .LBB528_1057
; %bb.1051:
	v_cmp_gt_i16_e64 s0, s3, 25
	s_mov_b32 s15, 0
	s_delay_alu instid0(VALU_DEP_1)
	s_and_b32 vcc_lo, exec_lo, s0
	s_cbranch_vccz .LBB528_1063
; %bb.1052:
	v_cmp_gt_i16_e64 s0, s3, 28
	s_delay_alu instid0(VALU_DEP_1)
	s_and_b32 vcc_lo, exec_lo, s0
	s_cbranch_vccz .LBB528_1065
; %bb.1053:
	v_cmp_gt_i16_e64 s0, s3, 43
	;; [unrolled: 5-line block ×3, first 2 shown]
	s_delay_alu instid0(VALU_DEP_1)
	s_and_b32 vcc_lo, exec_lo, s0
	s_cbranch_vccz .LBB528_1071
; %bb.1055:
	v_cmp_eq_u16_e64 s0, s3, 46
	s_delay_alu instid0(VALU_DEP_1)
	s_and_b32 vcc_lo, exec_lo, s0
	s_cbranch_vccz .LBB528_1111
; %bb.1056:
	global_load_b32 v3, v[0:1], off
	s_mov_b32 s0, 0
	s_mov_b32 s16, -1
	s_waitcnt vmcnt(0)
	v_lshlrev_b32_e32 v3, 16, v3
	s_delay_alu instid0(VALU_DEP_1)
	v_cvt_f16_f32_e32 v5, v3
	s_branch .LBB528_1113
.LBB528_1057:
	s_mov_b32 s16, 0
	s_mov_b32 s12, s14
                                        ; implicit-def: $vgpr5
	s_cbranch_execz .LBB528_1176
; %bb.1058:
	v_cmp_lt_i16_e64 s0, s3, 5
	s_delay_alu instid0(VALU_DEP_1)
	s_and_b32 vcc_lo, exec_lo, s0
	s_cbranch_vccnz .LBB528_1064
; %bb.1059:
	v_cmp_lt_i16_e64 s0, s3, 8
	s_delay_alu instid0(VALU_DEP_1)
	s_and_b32 vcc_lo, exec_lo, s0
	s_cbranch_vccnz .LBB528_1066
	;; [unrolled: 5-line block ×3, first 2 shown]
; %bb.1061:
	v_cmp_gt_i16_e64 s0, s3, 9
	s_delay_alu instid0(VALU_DEP_1)
	s_and_b32 vcc_lo, exec_lo, s0
	s_cbranch_vccz .LBB528_1072
; %bb.1062:
	global_load_b64 v[5:6], v[0:1], off
	s_mov_b32 s0, 0
	s_waitcnt vmcnt(0)
	v_cvt_f32_f64_e32 v3, v[5:6]
	s_delay_alu instid0(VALU_DEP_1)
	v_cvt_f16_f32_e32 v5, v3
	s_branch .LBB528_1073
.LBB528_1063:
	s_mov_b32 s16, 0
	s_mov_b32 s0, 0
                                        ; implicit-def: $vgpr5
	s_cbranch_execnz .LBB528_1141
	s_branch .LBB528_1172
.LBB528_1064:
                                        ; implicit-def: $vgpr5
	s_branch .LBB528_1090
.LBB528_1065:
	s_mov_b32 s12, -1
	s_mov_b32 s16, 0
	s_mov_b32 s0, 0
                                        ; implicit-def: $vgpr5
	s_branch .LBB528_1122
.LBB528_1066:
                                        ; implicit-def: $vgpr5
	s_branch .LBB528_1079
.LBB528_1067:
	s_mov_b32 s16, 0
	s_mov_b32 s0, 0
                                        ; implicit-def: $vgpr5
	s_cbranch_execnz .LBB528_1118
	s_branch .LBB528_1121
.LBB528_1068:
	s_mov_b32 s0, -1
                                        ; implicit-def: $vgpr5
	s_branch .LBB528_1076
.LBB528_1069:
	s_cbranch_execnz .LBB528_1109
; %bb.1070:
	s_or_b32 s16, s16, exec_lo
	s_and_not1_b32 s18, s18, exec_lo
	s_or_b32 exec_lo, exec_lo, s0
	s_and_saveexec_b32 s0, s18
	s_delay_alu instid0(SALU_CYCLE_1)
	s_xor_b32 s0, exec_lo, s0
	s_cbranch_execnz .LBB528_1009
	s_branch .LBB528_1010
.LBB528_1071:
	s_mov_b32 s12, -1
	s_mov_b32 s16, 0
	s_mov_b32 s0, 0
	s_branch .LBB528_1112
.LBB528_1072:
	s_mov_b32 s0, -1
                                        ; implicit-def: $vgpr5
.LBB528_1073:
	s_delay_alu instid0(SALU_CYCLE_1)
	s_and_not1_b32 vcc_lo, exec_lo, s0
	s_cbranch_vccnz .LBB528_1075
; %bb.1074:
	global_load_b32 v3, v[0:1], off
	s_waitcnt vmcnt(0)
	v_cvt_f16_f32_e32 v5, v3
.LBB528_1075:
	s_mov_b32 s0, 0
.LBB528_1076:
	s_delay_alu instid0(SALU_CYCLE_1)
	s_and_not1_b32 vcc_lo, exec_lo, s0
	s_cbranch_vccnz .LBB528_1078
; %bb.1077:
	global_load_b32 v5, v[0:1], off
.LBB528_1078:
	s_cbranch_execnz .LBB528_1089
.LBB528_1079:
	v_cmp_lt_i16_e64 s0, s3, 6
	s_delay_alu instid0(VALU_DEP_1)
	s_and_b32 vcc_lo, exec_lo, s0
	s_cbranch_vccnz .LBB528_1082
; %bb.1080:
	v_cmp_gt_i16_e64 s0, s3, 6
	s_delay_alu instid0(VALU_DEP_1)
	s_and_b32 vcc_lo, exec_lo, s0
	s_cbranch_vccz .LBB528_1083
; %bb.1081:
	global_load_b64 v[5:6], v[0:1], off
	s_mov_b32 s0, 0
	s_waitcnt vmcnt(0)
	v_cvt_f32_f64_e32 v3, v[5:6]
	s_delay_alu instid0(VALU_DEP_1)
	v_cvt_f16_f32_e32 v5, v3
	s_branch .LBB528_1084
.LBB528_1082:
	s_mov_b32 s0, -1
                                        ; implicit-def: $vgpr5
	s_branch .LBB528_1087
.LBB528_1083:
	s_mov_b32 s0, -1
                                        ; implicit-def: $vgpr5
.LBB528_1084:
	s_delay_alu instid0(SALU_CYCLE_1)
	s_and_not1_b32 vcc_lo, exec_lo, s0
	s_cbranch_vccnz .LBB528_1086
; %bb.1085:
	global_load_b32 v3, v[0:1], off
	s_waitcnt vmcnt(0)
	v_cvt_f16_f32_e32 v5, v3
.LBB528_1086:
	s_mov_b32 s0, 0
.LBB528_1087:
	s_delay_alu instid0(SALU_CYCLE_1)
	s_and_not1_b32 vcc_lo, exec_lo, s0
	s_cbranch_vccnz .LBB528_1089
; %bb.1088:
	global_load_u16 v5, v[0:1], off
.LBB528_1089:
	s_cbranch_execnz .LBB528_1108
.LBB528_1090:
	v_cmp_lt_i16_e64 s0, s3, 2
	s_delay_alu instid0(VALU_DEP_1)
	s_and_b32 vcc_lo, exec_lo, s0
	s_cbranch_vccnz .LBB528_1094
; %bb.1091:
	v_cmp_lt_i16_e64 s0, s3, 3
	s_delay_alu instid0(VALU_DEP_1)
	s_and_b32 vcc_lo, exec_lo, s0
	s_cbranch_vccnz .LBB528_1095
; %bb.1092:
	v_cmp_gt_i16_e64 s0, s3, 3
	s_delay_alu instid0(VALU_DEP_1)
	s_and_b32 vcc_lo, exec_lo, s0
	s_cbranch_vccz .LBB528_1096
; %bb.1093:
	global_load_b64 v[5:6], v[0:1], off
	s_mov_b32 s0, 0
	s_waitcnt vmcnt(0)
	v_xor_b32_e32 v3, v5, v6
	v_cls_i32_e32 v7, v6
	s_delay_alu instid0(VALU_DEP_2) | instskip(NEXT) | instid1(VALU_DEP_2)
	v_ashrrev_i32_e32 v3, 31, v3
	v_add_nc_u32_e32 v7, -1, v7
	s_delay_alu instid0(VALU_DEP_2) | instskip(NEXT) | instid1(VALU_DEP_1)
	v_add_nc_u32_e32 v3, 32, v3
	v_min_u32_e32 v3, v7, v3
	s_delay_alu instid0(VALU_DEP_1) | instskip(SKIP_1) | instid1(VALU_DEP_2)
	v_lshlrev_b64 v[5:6], v3, v[5:6]
	v_sub_nc_u32_e32 v3, 32, v3
	v_min_u32_e32 v5, 1, v5
	s_delay_alu instid0(VALU_DEP_1) | instskip(NEXT) | instid1(VALU_DEP_1)
	v_or_b32_e32 v5, v6, v5
	v_cvt_f32_i32_e32 v5, v5
	s_delay_alu instid0(VALU_DEP_1) | instskip(NEXT) | instid1(VALU_DEP_1)
	v_ldexp_f32 v3, v5, v3
	v_cvt_f16_f32_e32 v5, v3
	s_branch .LBB528_1097
.LBB528_1094:
                                        ; implicit-def: $vgpr5
	s_branch .LBB528_1103
.LBB528_1095:
	s_mov_b32 s0, -1
                                        ; implicit-def: $vgpr5
	s_branch .LBB528_1100
.LBB528_1096:
	s_mov_b32 s0, -1
                                        ; implicit-def: $vgpr5
.LBB528_1097:
	s_delay_alu instid0(SALU_CYCLE_1)
	s_and_not1_b32 vcc_lo, exec_lo, s0
	s_cbranch_vccnz .LBB528_1099
; %bb.1098:
	global_load_b32 v3, v[0:1], off
	s_waitcnt vmcnt(0)
	v_cvt_f32_i32_e32 v3, v3
	s_delay_alu instid0(VALU_DEP_1)
	v_cvt_f16_f32_e32 v5, v3
.LBB528_1099:
	s_mov_b32 s0, 0
.LBB528_1100:
	s_delay_alu instid0(SALU_CYCLE_1)
	s_and_not1_b32 vcc_lo, exec_lo, s0
	s_cbranch_vccnz .LBB528_1102
; %bb.1101:
	global_load_u16 v3, v[0:1], off
	s_waitcnt vmcnt(0)
	v_cvt_f16_i16_e32 v5, v3
.LBB528_1102:
	s_cbranch_execnz .LBB528_1108
.LBB528_1103:
	v_cmp_gt_i16_e64 s0, s3, 0
	s_delay_alu instid0(VALU_DEP_1)
	s_and_b32 vcc_lo, exec_lo, s0
	s_mov_b32 s0, 0
	s_cbranch_vccz .LBB528_1105
; %bb.1104:
	global_load_i8 v3, v[0:1], off
	s_waitcnt vmcnt(0)
	v_cvt_f16_i16_e32 v5, v3
	s_branch .LBB528_1106
.LBB528_1105:
	s_mov_b32 s0, -1
                                        ; implicit-def: $vgpr5
.LBB528_1106:
	s_delay_alu instid0(SALU_CYCLE_1)
	s_and_not1_b32 vcc_lo, exec_lo, s0
	s_cbranch_vccnz .LBB528_1108
; %bb.1107:
	global_load_u8 v0, v[0:1], off
	s_waitcnt vmcnt(0)
	v_cvt_f16_u16_e32 v5, v0
.LBB528_1108:
	s_branch .LBB528_1177
.LBB528_1109:
	s_trap 2
	s_sendmsg_rtn_b32 s0, sendmsg(MSG_RTN_GET_DOORBELL)
	s_mov_b32 ttmp2, m0
	s_waitcnt lgkmcnt(0)
	s_and_b32 s0, s0, 0x3ff
	s_delay_alu instid0(SALU_CYCLE_1) | instskip(NEXT) | instid1(SALU_CYCLE_1)
	s_bitset1_b32 s0, 10
	s_mov_b32 m0, s0
	s_sendmsg sendmsg(MSG_INTERRUPT)
	s_mov_b32 m0, ttmp2
.LBB528_1110:                           ; =>This Inner Loop Header: Depth=1
	s_sethalt 5
	s_branch .LBB528_1110
.LBB528_1111:
	s_mov_b32 s0, -1
	s_mov_b32 s16, 0
.LBB528_1112:
                                        ; implicit-def: $vgpr5
.LBB528_1113:
	s_and_b32 vcc_lo, exec_lo, s12
	s_cbranch_vccz .LBB528_1116
; %bb.1114:
	v_cmp_eq_u16_e64 s0, s3, 44
	s_delay_alu instid0(VALU_DEP_1)
	s_and_b32 vcc_lo, exec_lo, s0
	s_cbranch_vccz .LBB528_1117
; %bb.1115:
	global_load_u8 v3, v[0:1], off
	s_mov_b32 s0, 0
	s_mov_b32 s16, -1
	s_waitcnt vmcnt(0)
	v_lshlrev_b32_e32 v5, 23, v3
	v_cmp_ne_u32_e32 vcc_lo, 0xff, v3
	s_delay_alu instid0(VALU_DEP_2) | instskip(NEXT) | instid1(VALU_DEP_1)
	v_cvt_f16_f32_e32 v5, v5
	v_cndmask_b32_e32 v5, 0x7e00, v5, vcc_lo
	v_cmp_ne_u32_e32 vcc_lo, 0, v3
	s_delay_alu instid0(VALU_DEP_2)
	v_cndmask_b32_e32 v5, 0, v5, vcc_lo
.LBB528_1116:
	s_branch .LBB528_1121
.LBB528_1117:
	s_mov_b32 s0, -1
                                        ; implicit-def: $vgpr5
	s_branch .LBB528_1121
.LBB528_1118:
	v_cmp_eq_u16_e64 s0, s3, 29
	s_delay_alu instid0(VALU_DEP_1)
	s_and_b32 vcc_lo, exec_lo, s0
	s_cbranch_vccz .LBB528_1120
; %bb.1119:
	global_load_b64 v[5:6], v[0:1], off
	s_mov_b32 s0, 0
	s_mov_b32 s16, -1
	s_mov_b32 s12, 0
	s_waitcnt vmcnt(0)
	v_clz_i32_u32_e32 v3, v6
	s_delay_alu instid0(VALU_DEP_1) | instskip(NEXT) | instid1(VALU_DEP_1)
	v_min_u32_e32 v3, 32, v3
	v_lshlrev_b64 v[5:6], v3, v[5:6]
	v_sub_nc_u32_e32 v3, 32, v3
	s_delay_alu instid0(VALU_DEP_2) | instskip(NEXT) | instid1(VALU_DEP_1)
	v_min_u32_e32 v5, 1, v5
	v_or_b32_e32 v5, v6, v5
	s_delay_alu instid0(VALU_DEP_1) | instskip(NEXT) | instid1(VALU_DEP_1)
	v_cvt_f32_u32_e32 v5, v5
	v_ldexp_f32 v3, v5, v3
	s_delay_alu instid0(VALU_DEP_1)
	v_cvt_f16_f32_e32 v5, v3
	s_branch .LBB528_1122
.LBB528_1120:
	s_mov_b32 s0, -1
                                        ; implicit-def: $vgpr5
.LBB528_1121:
	s_mov_b32 s12, 0
.LBB528_1122:
	s_delay_alu instid0(SALU_CYCLE_1)
	s_and_b32 vcc_lo, exec_lo, s12
	s_cbranch_vccz .LBB528_1140
; %bb.1123:
	v_cmp_lt_i16_e64 s12, s3, 27
	s_delay_alu instid0(VALU_DEP_1)
	s_and_b32 vcc_lo, exec_lo, s12
	s_cbranch_vccnz .LBB528_1126
; %bb.1124:
	v_cmp_gt_i16_e64 s12, s3, 27
	s_delay_alu instid0(VALU_DEP_1)
	s_and_b32 vcc_lo, exec_lo, s12
	s_cbranch_vccz .LBB528_1127
; %bb.1125:
	global_load_b32 v3, v[0:1], off
	s_mov_b32 s12, 0
	s_waitcnt vmcnt(0)
	v_cvt_f32_u32_e32 v3, v3
	s_delay_alu instid0(VALU_DEP_1)
	v_cvt_f16_f32_e32 v5, v3
	s_branch .LBB528_1128
.LBB528_1126:
	s_mov_b32 s12, -1
                                        ; implicit-def: $vgpr5
	s_branch .LBB528_1131
.LBB528_1127:
	s_mov_b32 s12, -1
                                        ; implicit-def: $vgpr5
.LBB528_1128:
	s_delay_alu instid0(SALU_CYCLE_1)
	s_and_not1_b32 vcc_lo, exec_lo, s12
	s_cbranch_vccnz .LBB528_1130
; %bb.1129:
	global_load_u16 v3, v[0:1], off
	s_waitcnt vmcnt(0)
	v_cvt_f16_u16_e32 v5, v3
.LBB528_1130:
	s_mov_b32 s12, 0
.LBB528_1131:
	s_delay_alu instid0(SALU_CYCLE_1)
	s_and_not1_b32 vcc_lo, exec_lo, s12
	s_cbranch_vccnz .LBB528_1139
; %bb.1132:
	global_load_u8 v3, v[0:1], off
	s_mov_b32 s12, 0
	s_mov_b32 s17, exec_lo
                                        ; implicit-def: $sgpr16
	s_waitcnt vmcnt(0)
	v_cmpx_lt_i16_e32 0x7f, v3
	s_xor_b32 s17, exec_lo, s17
	s_cbranch_execz .LBB528_1152
; %bb.1133:
	s_mov_b32 s12, -1
	s_mov_b32 s18, exec_lo
                                        ; implicit-def: $sgpr16
	v_cmpx_eq_u16_e32 0x80, v3
; %bb.1134:
	s_movk_i32 s16, 0x7e00
	s_xor_b32 s12, exec_lo, -1
; %bb.1135:
	s_or_b32 exec_lo, exec_lo, s18
	s_delay_alu instid0(SALU_CYCLE_1)
	s_and_b32 s12, s12, exec_lo
	s_or_saveexec_b32 s17, s17
	v_mov_b32_e32 v5, s16
	s_xor_b32 exec_lo, exec_lo, s17
	s_cbranch_execnz .LBB528_1153
.LBB528_1136:
	s_or_b32 exec_lo, exec_lo, s17
	s_and_saveexec_b32 s16, s12
	s_cbranch_execz .LBB528_1138
.LBB528_1137:
	v_and_b32_e32 v5, 0xffff, v3
	v_lshlrev_b32_e32 v3, 24, v3
	s_delay_alu instid0(VALU_DEP_2) | instskip(NEXT) | instid1(VALU_DEP_2)
	v_and_b32_e32 v6, 7, v5
	v_and_b32_e32 v3, 0x80000000, v3
	s_delay_alu instid0(VALU_DEP_2) | instskip(NEXT) | instid1(VALU_DEP_1)
	v_clz_i32_u32_e32 v7, v6
	v_min_u32_e32 v7, 32, v7
	s_delay_alu instid0(VALU_DEP_1) | instskip(SKIP_1) | instid1(VALU_DEP_2)
	v_subrev_nc_u32_e32 v8, 28, v7
	v_sub_nc_u32_e32 v7, 29, v7
	v_lshlrev_b32_e32 v8, v8, v5
	v_bfe_u32 v5, v5, 3, 4
	s_delay_alu instid0(VALU_DEP_2) | instskip(NEXT) | instid1(VALU_DEP_2)
	v_and_b32_e32 v8, 7, v8
	v_cmp_eq_u32_e32 vcc_lo, 0, v5
	s_delay_alu instid0(VALU_DEP_2) | instskip(NEXT) | instid1(VALU_DEP_1)
	v_dual_cndmask_b32 v5, v5, v7 :: v_dual_cndmask_b32 v6, v6, v8
	v_lshl_add_u32 v5, v5, 23, 0x3b800000
	s_delay_alu instid0(VALU_DEP_2) | instskip(NEXT) | instid1(VALU_DEP_1)
	v_lshlrev_b32_e32 v6, 20, v6
	v_or3_b32 v3, v3, v5, v6
	s_delay_alu instid0(VALU_DEP_1)
	v_cvt_f16_f32_e32 v5, v3
.LBB528_1138:
	s_or_b32 exec_lo, exec_lo, s16
.LBB528_1139:
	s_mov_b32 s16, -1
.LBB528_1140:
	s_branch .LBB528_1172
.LBB528_1141:
	v_cmp_gt_i16_e64 s12, s3, 22
	s_delay_alu instid0(VALU_DEP_1)
	s_and_b32 vcc_lo, exec_lo, s12
	s_cbranch_vccz .LBB528_1151
; %bb.1142:
	v_cmp_lt_i16_e64 s12, s3, 24
	s_delay_alu instid0(VALU_DEP_1)
	s_and_b32 vcc_lo, exec_lo, s12
	s_cbranch_vccnz .LBB528_1154
; %bb.1143:
	v_cmp_gt_i16_e64 s12, s3, 24
	s_delay_alu instid0(VALU_DEP_1)
	s_and_b32 vcc_lo, exec_lo, s12
	s_cbranch_vccz .LBB528_1155
; %bb.1144:
	global_load_u8 v3, v[0:1], off
	s_mov_b32 s12, 0
	s_mov_b32 s16, exec_lo
                                        ; implicit-def: $sgpr15
	s_waitcnt vmcnt(0)
	v_cmpx_lt_i16_e32 0x7f, v3
	s_xor_b32 s16, exec_lo, s16
	s_cbranch_execz .LBB528_1166
; %bb.1145:
	s_mov_b32 s12, -1
	s_mov_b32 s17, exec_lo
                                        ; implicit-def: $sgpr15
	v_cmpx_eq_u16_e32 0x80, v3
; %bb.1146:
	s_movk_i32 s15, 0x7e00
	s_xor_b32 s12, exec_lo, -1
; %bb.1147:
	s_or_b32 exec_lo, exec_lo, s17
	s_delay_alu instid0(SALU_CYCLE_1)
	s_and_b32 s12, s12, exec_lo
	s_or_saveexec_b32 s16, s16
	v_mov_b32_e32 v5, s15
	s_xor_b32 exec_lo, exec_lo, s16
	s_cbranch_execnz .LBB528_1167
.LBB528_1148:
	s_or_b32 exec_lo, exec_lo, s16
	s_and_saveexec_b32 s15, s12
	s_cbranch_execz .LBB528_1150
.LBB528_1149:
	v_and_b32_e32 v5, 0xffff, v3
	v_lshlrev_b32_e32 v3, 24, v3
	s_delay_alu instid0(VALU_DEP_2) | instskip(NEXT) | instid1(VALU_DEP_2)
	v_and_b32_e32 v6, 3, v5
	v_and_b32_e32 v3, 0x80000000, v3
	s_delay_alu instid0(VALU_DEP_2) | instskip(NEXT) | instid1(VALU_DEP_1)
	v_clz_i32_u32_e32 v7, v6
	v_min_u32_e32 v7, 32, v7
	s_delay_alu instid0(VALU_DEP_1) | instskip(SKIP_1) | instid1(VALU_DEP_2)
	v_subrev_nc_u32_e32 v8, 29, v7
	v_sub_nc_u32_e32 v7, 30, v7
	v_lshlrev_b32_e32 v8, v8, v5
	v_bfe_u32 v5, v5, 2, 5
	s_delay_alu instid0(VALU_DEP_2) | instskip(NEXT) | instid1(VALU_DEP_2)
	v_and_b32_e32 v8, 3, v8
	v_cmp_eq_u32_e32 vcc_lo, 0, v5
	s_delay_alu instid0(VALU_DEP_2) | instskip(NEXT) | instid1(VALU_DEP_1)
	v_dual_cndmask_b32 v5, v5, v7 :: v_dual_cndmask_b32 v6, v6, v8
	v_lshl_add_u32 v5, v5, 23, 0x37800000
	s_delay_alu instid0(VALU_DEP_2) | instskip(NEXT) | instid1(VALU_DEP_1)
	v_lshlrev_b32_e32 v6, 21, v6
	v_or3_b32 v3, v3, v5, v6
	s_delay_alu instid0(VALU_DEP_1)
	v_cvt_f16_f32_e32 v5, v3
.LBB528_1150:
	s_or_b32 exec_lo, exec_lo, s15
	s_mov_b32 s12, 0
	s_branch .LBB528_1156
.LBB528_1151:
                                        ; implicit-def: $vgpr5
	s_mov_b32 s15, 0
	s_branch .LBB528_1162
.LBB528_1152:
	s_or_saveexec_b32 s17, s17
	v_mov_b32_e32 v5, s16
	s_xor_b32 exec_lo, exec_lo, s17
	s_cbranch_execz .LBB528_1136
.LBB528_1153:
	v_cmp_ne_u16_e32 vcc_lo, 0, v3
	v_mov_b32_e32 v5, v3
	s_and_not1_b32 s12, s12, exec_lo
	s_and_b32 s16, vcc_lo, exec_lo
	s_delay_alu instid0(SALU_CYCLE_1)
	s_or_b32 s12, s12, s16
	s_or_b32 exec_lo, exec_lo, s17
	s_and_saveexec_b32 s16, s12
	s_cbranch_execnz .LBB528_1137
	s_branch .LBB528_1138
.LBB528_1154:
	s_mov_b32 s12, -1
                                        ; implicit-def: $vgpr5
	s_branch .LBB528_1159
.LBB528_1155:
	s_mov_b32 s12, -1
                                        ; implicit-def: $vgpr5
.LBB528_1156:
	s_delay_alu instid0(SALU_CYCLE_1)
	s_and_b32 vcc_lo, exec_lo, s12
	s_cbranch_vccz .LBB528_1158
; %bb.1157:
	global_load_u8 v3, v[0:1], off
	s_waitcnt vmcnt(0)
	v_lshlrev_b32_e32 v3, 24, v3
	s_delay_alu instid0(VALU_DEP_1) | instskip(NEXT) | instid1(VALU_DEP_1)
	v_and_b32_e32 v5, 0x7f000000, v3
	v_clz_i32_u32_e32 v6, v5
	v_cmp_ne_u32_e32 vcc_lo, 0, v5
	v_add_nc_u32_e32 v8, 0x1000000, v5
	s_delay_alu instid0(VALU_DEP_3) | instskip(NEXT) | instid1(VALU_DEP_1)
	v_min_u32_e32 v6, 32, v6
	v_sub_nc_u32_e64 v6, v6, 4 clamp
	s_delay_alu instid0(VALU_DEP_1) | instskip(SKIP_1) | instid1(VALU_DEP_2)
	v_lshlrev_b32_e32 v7, v6, v5
	v_lshlrev_b32_e32 v6, 23, v6
	v_lshrrev_b32_e32 v7, 4, v7
	s_delay_alu instid0(VALU_DEP_1) | instskip(SKIP_1) | instid1(VALU_DEP_2)
	v_sub_nc_u32_e32 v6, v7, v6
	v_ashrrev_i32_e32 v7, 8, v8
	v_add_nc_u32_e32 v6, 0x3c000000, v6
	s_delay_alu instid0(VALU_DEP_1) | instskip(NEXT) | instid1(VALU_DEP_1)
	v_and_or_b32 v6, 0x7f800000, v7, v6
	v_cndmask_b32_e32 v5, 0, v6, vcc_lo
	s_delay_alu instid0(VALU_DEP_1) | instskip(NEXT) | instid1(VALU_DEP_1)
	v_and_or_b32 v3, 0x80000000, v3, v5
	v_cvt_f16_f32_e32 v5, v3
.LBB528_1158:
	s_mov_b32 s12, 0
.LBB528_1159:
	s_delay_alu instid0(SALU_CYCLE_1)
	s_and_not1_b32 vcc_lo, exec_lo, s12
	s_cbranch_vccnz .LBB528_1161
; %bb.1160:
	global_load_u8 v3, v[0:1], off
	s_waitcnt vmcnt(0)
	v_lshlrev_b32_e32 v5, 25, v3
	v_lshlrev_b16 v3, 8, v3
	s_delay_alu instid0(VALU_DEP_2) | instskip(NEXT) | instid1(VALU_DEP_2)
	v_lshrrev_b32_e32 v6, 4, v5
	v_and_or_b32 v7, 0x7f00, v3, 0.5
	v_bfe_i32 v3, v3, 0, 16
	s_delay_alu instid0(VALU_DEP_3) | instskip(NEXT) | instid1(VALU_DEP_1)
	v_or_b32_e32 v6, 0x70000000, v6
	v_dual_add_f32 v7, -0.5, v7 :: v_dual_mul_f32 v6, 0x7800000, v6
	v_cmp_gt_u32_e32 vcc_lo, 0x8000000, v5
	s_delay_alu instid0(VALU_DEP_2) | instskip(NEXT) | instid1(VALU_DEP_1)
	v_cndmask_b32_e32 v5, v6, v7, vcc_lo
	v_and_or_b32 v3, 0x80000000, v3, v5
	s_delay_alu instid0(VALU_DEP_1)
	v_cvt_f16_f32_e32 v5, v3
.LBB528_1161:
	s_mov_b32 s16, -1
	s_mov_b32 s15, 0
	s_cbranch_execnz .LBB528_1172
.LBB528_1162:
	v_cmp_gt_i16_e64 s12, s3, 14
	s_delay_alu instid0(VALU_DEP_1)
	s_and_b32 vcc_lo, exec_lo, s12
	s_cbranch_vccz .LBB528_1165
; %bb.1163:
	v_cmp_eq_u16_e64 s0, s3, 15
	s_delay_alu instid0(VALU_DEP_1)
	s_and_b32 vcc_lo, exec_lo, s0
	s_cbranch_vccz .LBB528_1168
; %bb.1164:
	global_load_u16 v3, v[0:1], off
	s_mov_b32 s0, 0
	s_mov_b32 s16, -1
	s_waitcnt vmcnt(0)
	v_lshlrev_b32_e32 v3, 16, v3
	s_delay_alu instid0(VALU_DEP_1)
	v_cvt_f16_f32_e32 v5, v3
	s_branch .LBB528_1169
.LBB528_1165:
	s_mov_b32 s12, -1
                                        ; implicit-def: $vgpr5
	s_branch .LBB528_1170
.LBB528_1166:
	s_or_saveexec_b32 s16, s16
	v_mov_b32_e32 v5, s15
	s_xor_b32 exec_lo, exec_lo, s16
	s_cbranch_execz .LBB528_1148
.LBB528_1167:
	v_cmp_ne_u16_e32 vcc_lo, 0, v3
	v_mov_b32_e32 v5, v3
	s_and_not1_b32 s12, s12, exec_lo
	s_and_b32 s15, vcc_lo, exec_lo
	s_delay_alu instid0(SALU_CYCLE_1)
	s_or_b32 s12, s12, s15
	s_or_b32 exec_lo, exec_lo, s16
	s_and_saveexec_b32 s15, s12
	s_cbranch_execnz .LBB528_1149
	s_branch .LBB528_1150
.LBB528_1168:
	s_mov_b32 s0, -1
                                        ; implicit-def: $vgpr5
.LBB528_1169:
	s_mov_b32 s12, 0
.LBB528_1170:
	s_delay_alu instid0(SALU_CYCLE_1)
	s_and_b32 vcc_lo, exec_lo, s12
	s_cbranch_vccz .LBB528_1172
; %bb.1171:
	v_cmp_ne_u16_e64 s0, s3, 11
	s_mov_b32 s15, -1
                                        ; implicit-def: $vgpr5
.LBB528_1172:
	s_delay_alu instid0(VALU_DEP_1)
	s_and_b32 vcc_lo, exec_lo, s0
	s_mov_b32 s12, s14
	s_cbranch_vccnz .LBB528_1200
; %bb.1173:
	s_and_not1_b32 vcc_lo, exec_lo, s15
	s_cbranch_vccnz .LBB528_1175
.LBB528_1174:
	global_load_u8 v3, v[0:1], off
	s_mov_b32 s16, -1
	s_waitcnt vmcnt(0)
	v_cmp_ne_u16_e32 vcc_lo, 0, v3
	v_cndmask_b32_e64 v5, 0, 0x3c00, vcc_lo
.LBB528_1175:
.LBB528_1176:
	s_and_not1_b32 vcc_lo, exec_lo, s16
	s_cbranch_vccnz .LBB528_1673
.LBB528_1177:
	v_mov_b32_e32 v3, s10
	s_mov_b32 s0, exec_lo
	s_waitcnt vmcnt(0)
	v_cmpx_o_f16_e32 v5, v5
	s_cbranch_execz .LBB528_1181
; %bb.1178:
	v_mov_b32_e32 v3, s2
	s_mov_b32 s15, exec_lo
	v_cmpx_neq_f16_e32 0x7c00, v5
; %bb.1179:
	v_cmp_eq_f16_e32 vcc_lo, 0xfc00, v5
	v_cndmask_b32_e64 v3, v5, s11, vcc_lo
; %bb.1180:
	s_or_b32 exec_lo, exec_lo, s15
.LBB528_1181:
	s_delay_alu instid0(SALU_CYCLE_1) | instskip(SKIP_3) | instid1(VALU_DEP_1)
	s_or_b32 exec_lo, exec_lo, s0
	s_lshl_b32 s0, s9, 7
	v_cmp_lt_i16_e64 s9, s3, 11
	v_add_nc_u32_e32 v4, s0, v4
	v_ashrrev_i32_e32 v1, 31, v4
	v_add_co_u32 v0, vcc_lo, s6, v4
	s_delay_alu instid0(VALU_DEP_2)
	v_add_co_ci_u32_e32 v1, vcc_lo, s7, v1, vcc_lo
	s_and_b32 vcc_lo, exec_lo, s9
	s_cbranch_vccnz .LBB528_1188
; %bb.1182:
	v_cmp_gt_i16_e64 s9, s3, 25
	s_mov_b32 s15, 0
	s_delay_alu instid0(VALU_DEP_1)
	s_and_b32 vcc_lo, exec_lo, s9
	s_cbranch_vccz .LBB528_1194
; %bb.1183:
	v_cmp_gt_i16_e64 s9, s3, 28
	s_delay_alu instid0(VALU_DEP_1)
	s_and_b32 vcc_lo, exec_lo, s9
	s_cbranch_vccz .LBB528_1196
; %bb.1184:
	v_cmp_gt_i16_e64 s9, s3, 43
	;; [unrolled: 5-line block ×3, first 2 shown]
	s_delay_alu instid0(VALU_DEP_1)
	s_and_b32 vcc_lo, exec_lo, s9
	s_cbranch_vccz .LBB528_1204
; %bb.1186:
	v_cmp_eq_u16_e64 s9, s3, 46
	s_mov_b32 s17, 0
	s_delay_alu instid0(VALU_DEP_1)
	s_and_b32 vcc_lo, exec_lo, s9
	s_cbranch_vccz .LBB528_1248
; %bb.1187:
	global_load_b32 v5, v[0:1], off
	s_mov_b32 s9, 0
	s_mov_b32 s16, -1
	s_waitcnt vmcnt(0)
	v_lshlrev_b32_e32 v5, 16, v5
	s_delay_alu instid0(VALU_DEP_1)
	v_cvt_f16_f32_e32 v6, v5
	s_branch .LBB528_1250
.LBB528_1188:
	s_mov_b32 s16, 0
                                        ; implicit-def: $vgpr6
	s_cbranch_execz .LBB528_1315
; %bb.1189:
	v_cmp_lt_i16_e64 s9, s3, 5
	s_delay_alu instid0(VALU_DEP_1)
	s_and_b32 vcc_lo, exec_lo, s9
	s_cbranch_vccnz .LBB528_1195
; %bb.1190:
	v_cmp_lt_i16_e64 s9, s3, 8
	s_delay_alu instid0(VALU_DEP_1)
	s_and_b32 vcc_lo, exec_lo, s9
	s_cbranch_vccnz .LBB528_1197
	;; [unrolled: 5-line block ×3, first 2 shown]
; %bb.1192:
	v_cmp_gt_i16_e64 s9, s3, 9
	s_delay_alu instid0(VALU_DEP_1)
	s_and_b32 vcc_lo, exec_lo, s9
	s_cbranch_vccz .LBB528_1205
; %bb.1193:
	global_load_b64 v[5:6], v[0:1], off
	s_mov_b32 s9, 0
	s_waitcnt vmcnt(0)
	v_cvt_f32_f64_e32 v5, v[5:6]
	s_delay_alu instid0(VALU_DEP_1)
	v_cvt_f16_f32_e32 v6, v5
	s_branch .LBB528_1206
.LBB528_1194:
	s_mov_b32 s16, 0
	s_mov_b32 s9, 0
                                        ; implicit-def: $vgpr6
	s_cbranch_execnz .LBB528_1279
	s_branch .LBB528_1311
.LBB528_1195:
                                        ; implicit-def: $vgpr6
	s_branch .LBB528_1224
.LBB528_1196:
	s_mov_b32 s17, -1
	s_mov_b32 s16, 0
	s_mov_b32 s9, 0
                                        ; implicit-def: $vgpr6
	s_branch .LBB528_1260
.LBB528_1197:
	s_mov_b32 s9, -1
                                        ; implicit-def: $vgpr6
	s_branch .LBB528_1212
.LBB528_1198:
	s_mov_b32 s17, -1
	s_mov_b32 s16, 0
	s_mov_b32 s9, 0
                                        ; implicit-def: $vgpr6
	s_branch .LBB528_1255
.LBB528_1199:
	s_mov_b32 s9, -1
                                        ; implicit-def: $vgpr6
	s_branch .LBB528_1209
.LBB528_1200:
	s_cbranch_execnz .LBB528_1244
; %bb.1201:
	s_or_b32 s12, s14, exec_lo
                                        ; implicit-def: $vgpr5
	s_cbranch_execz .LBB528_1174
	s_branch .LBB528_1175
.LBB528_1202:
	s_or_saveexec_b32 s19, s19
                                        ; implicit-def: $sgpr20
	s_delay_alu instid0(SALU_CYCLE_1)
	s_xor_b32 exec_lo, exec_lo, s19
	s_cbranch_execz .LBB528_960
.LBB528_1203:
	v_add_f32_e64 v5, 0x46000000, |v2|
	s_and_not1_b32 s18, s18, exec_lo
	s_mov_b32 s20, 0
	s_delay_alu instid0(VALU_DEP_1) | instskip(NEXT) | instid1(VALU_DEP_1)
	v_and_b32_e32 v5, 0xff, v5
	v_cmp_ne_u32_e32 vcc_lo, 0, v5
	s_and_b32 s21, vcc_lo, exec_lo
	s_delay_alu instid0(SALU_CYCLE_1)
	s_or_b32 s18, s18, s21
	s_or_b32 exec_lo, exec_lo, s19
	v_mov_b32_e32 v6, s20
	s_and_saveexec_b32 s19, s18
	s_cbranch_execnz .LBB528_961
	s_branch .LBB528_962
.LBB528_1204:
	s_mov_b32 s17, -1
	s_mov_b32 s16, 0
	s_mov_b32 s9, 0
	s_branch .LBB528_1249
.LBB528_1205:
	s_mov_b32 s9, -1
                                        ; implicit-def: $vgpr6
.LBB528_1206:
	s_delay_alu instid0(SALU_CYCLE_1)
	s_and_not1_b32 vcc_lo, exec_lo, s9
	s_cbranch_vccnz .LBB528_1208
; %bb.1207:
	global_load_b32 v5, v[0:1], off
	s_waitcnt vmcnt(0)
	v_cvt_f16_f32_e32 v6, v5
.LBB528_1208:
	s_mov_b32 s9, 0
.LBB528_1209:
	s_delay_alu instid0(SALU_CYCLE_1)
	s_and_not1_b32 vcc_lo, exec_lo, s9
	s_cbranch_vccnz .LBB528_1211
; %bb.1210:
	global_load_b32 v6, v[0:1], off
.LBB528_1211:
	s_mov_b32 s9, 0
.LBB528_1212:
	s_delay_alu instid0(SALU_CYCLE_1)
	s_and_not1_b32 vcc_lo, exec_lo, s9
	s_cbranch_vccnz .LBB528_1223
; %bb.1213:
	v_cmp_lt_i16_e64 s9, s3, 6
	s_delay_alu instid0(VALU_DEP_1)
	s_and_b32 vcc_lo, exec_lo, s9
	s_cbranch_vccnz .LBB528_1216
; %bb.1214:
	v_cmp_gt_i16_e64 s9, s3, 6
	s_delay_alu instid0(VALU_DEP_1)
	s_and_b32 vcc_lo, exec_lo, s9
	s_cbranch_vccz .LBB528_1217
; %bb.1215:
	global_load_b64 v[5:6], v[0:1], off
	s_mov_b32 s9, 0
	s_waitcnt vmcnt(0)
	v_cvt_f32_f64_e32 v5, v[5:6]
	s_delay_alu instid0(VALU_DEP_1)
	v_cvt_f16_f32_e32 v6, v5
	s_branch .LBB528_1218
.LBB528_1216:
	s_mov_b32 s9, -1
                                        ; implicit-def: $vgpr6
	s_branch .LBB528_1221
.LBB528_1217:
	s_mov_b32 s9, -1
                                        ; implicit-def: $vgpr6
.LBB528_1218:
	s_delay_alu instid0(SALU_CYCLE_1)
	s_and_not1_b32 vcc_lo, exec_lo, s9
	s_cbranch_vccnz .LBB528_1220
; %bb.1219:
	global_load_b32 v5, v[0:1], off
	s_waitcnt vmcnt(0)
	v_cvt_f16_f32_e32 v6, v5
.LBB528_1220:
	s_mov_b32 s9, 0
.LBB528_1221:
	s_delay_alu instid0(SALU_CYCLE_1)
	s_and_not1_b32 vcc_lo, exec_lo, s9
	s_cbranch_vccnz .LBB528_1223
; %bb.1222:
	global_load_u16 v6, v[0:1], off
.LBB528_1223:
	s_cbranch_execnz .LBB528_1243
.LBB528_1224:
	v_cmp_lt_i16_e64 s9, s3, 2
	s_delay_alu instid0(VALU_DEP_1)
	s_and_b32 vcc_lo, exec_lo, s9
	s_cbranch_vccnz .LBB528_1228
; %bb.1225:
	v_cmp_lt_i16_e64 s9, s3, 3
	s_delay_alu instid0(VALU_DEP_1)
	s_and_b32 vcc_lo, exec_lo, s9
	s_cbranch_vccnz .LBB528_1229
; %bb.1226:
	v_cmp_gt_i16_e64 s9, s3, 3
	s_delay_alu instid0(VALU_DEP_1)
	s_and_b32 vcc_lo, exec_lo, s9
	s_cbranch_vccz .LBB528_1230
; %bb.1227:
	global_load_b64 v[5:6], v[0:1], off
	s_mov_b32 s9, 0
	s_waitcnt vmcnt(0)
	v_xor_b32_e32 v7, v5, v6
	v_cls_i32_e32 v8, v6
	s_delay_alu instid0(VALU_DEP_2) | instskip(NEXT) | instid1(VALU_DEP_2)
	v_ashrrev_i32_e32 v7, 31, v7
	v_add_nc_u32_e32 v8, -1, v8
	s_delay_alu instid0(VALU_DEP_2) | instskip(NEXT) | instid1(VALU_DEP_1)
	v_add_nc_u32_e32 v7, 32, v7
	v_min_u32_e32 v7, v8, v7
	s_delay_alu instid0(VALU_DEP_1) | instskip(NEXT) | instid1(VALU_DEP_1)
	v_lshlrev_b64 v[5:6], v7, v[5:6]
	v_min_u32_e32 v5, 1, v5
	s_delay_alu instid0(VALU_DEP_1) | instskip(SKIP_1) | instid1(VALU_DEP_2)
	v_or_b32_e32 v5, v6, v5
	v_sub_nc_u32_e32 v6, 32, v7
	v_cvt_f32_i32_e32 v5, v5
	s_delay_alu instid0(VALU_DEP_1) | instskip(NEXT) | instid1(VALU_DEP_1)
	v_ldexp_f32 v5, v5, v6
	v_cvt_f16_f32_e32 v6, v5
	s_branch .LBB528_1231
.LBB528_1228:
	s_mov_b32 s9, -1
                                        ; implicit-def: $vgpr6
	s_branch .LBB528_1237
.LBB528_1229:
	s_mov_b32 s9, -1
                                        ; implicit-def: $vgpr6
	s_branch .LBB528_1234
.LBB528_1230:
	s_mov_b32 s9, -1
                                        ; implicit-def: $vgpr6
.LBB528_1231:
	s_delay_alu instid0(SALU_CYCLE_1)
	s_and_not1_b32 vcc_lo, exec_lo, s9
	s_cbranch_vccnz .LBB528_1233
; %bb.1232:
	global_load_b32 v5, v[0:1], off
	s_waitcnt vmcnt(0)
	v_cvt_f32_i32_e32 v5, v5
	s_delay_alu instid0(VALU_DEP_1)
	v_cvt_f16_f32_e32 v6, v5
.LBB528_1233:
	s_mov_b32 s9, 0
.LBB528_1234:
	s_delay_alu instid0(SALU_CYCLE_1)
	s_and_not1_b32 vcc_lo, exec_lo, s9
	s_cbranch_vccnz .LBB528_1236
; %bb.1235:
	global_load_u16 v5, v[0:1], off
	s_waitcnt vmcnt(0)
	v_cvt_f16_i16_e32 v6, v5
.LBB528_1236:
	s_mov_b32 s9, 0
.LBB528_1237:
	s_delay_alu instid0(SALU_CYCLE_1)
	s_and_not1_b32 vcc_lo, exec_lo, s9
	s_cbranch_vccnz .LBB528_1243
; %bb.1238:
	v_cmp_gt_i16_e64 s9, s3, 0
	s_delay_alu instid0(VALU_DEP_1)
	s_and_b32 vcc_lo, exec_lo, s9
	s_mov_b32 s9, 0
	s_cbranch_vccz .LBB528_1240
; %bb.1239:
	global_load_i8 v5, v[0:1], off
	s_waitcnt vmcnt(0)
	v_cvt_f16_i16_e32 v6, v5
	s_branch .LBB528_1241
.LBB528_1240:
	s_mov_b32 s9, -1
                                        ; implicit-def: $vgpr6
.LBB528_1241:
	s_delay_alu instid0(SALU_CYCLE_1)
	s_and_not1_b32 vcc_lo, exec_lo, s9
	s_cbranch_vccnz .LBB528_1243
; %bb.1242:
	global_load_u8 v0, v[0:1], off
	s_waitcnt vmcnt(0)
	v_cvt_f16_u16_e32 v6, v0
.LBB528_1243:
	s_branch .LBB528_1316
.LBB528_1244:
	s_trap 2
	s_sendmsg_rtn_b32 s0, sendmsg(MSG_RTN_GET_DOORBELL)
	s_mov_b32 ttmp2, m0
	s_waitcnt lgkmcnt(0)
	s_and_b32 s0, s0, 0x3ff
	s_delay_alu instid0(SALU_CYCLE_1) | instskip(NEXT) | instid1(SALU_CYCLE_1)
	s_bitset1_b32 s0, 10
	s_mov_b32 m0, s0
	s_sendmsg sendmsg(MSG_INTERRUPT)
	s_mov_b32 m0, ttmp2
.LBB528_1245:                           ; =>This Inner Loop Header: Depth=1
	s_sethalt 5
	s_branch .LBB528_1245
.LBB528_1246:
	s_or_saveexec_b32 s20, s20
                                        ; implicit-def: $sgpr21
	s_delay_alu instid0(SALU_CYCLE_1)
	s_xor_b32 exec_lo, exec_lo, s20
	s_cbranch_execz .LBB528_972
.LBB528_1247:
	v_add_f32_e64 v5, 0x42800000, |v2|
	s_and_not1_b32 s19, s19, exec_lo
	s_mov_b32 s21, 0
	s_delay_alu instid0(VALU_DEP_1) | instskip(NEXT) | instid1(VALU_DEP_1)
	v_and_b32_e32 v5, 0xff, v5
	v_cmp_ne_u32_e32 vcc_lo, 0, v5
	s_and_b32 s22, vcc_lo, exec_lo
	s_delay_alu instid0(SALU_CYCLE_1)
	s_or_b32 s19, s19, s22
	s_or_b32 exec_lo, exec_lo, s20
	v_mov_b32_e32 v6, s21
	s_and_saveexec_b32 s20, s19
	s_cbranch_execnz .LBB528_973
	s_branch .LBB528_974
.LBB528_1248:
	s_mov_b32 s9, -1
	s_mov_b32 s16, 0
.LBB528_1249:
                                        ; implicit-def: $vgpr6
.LBB528_1250:
	s_and_b32 vcc_lo, exec_lo, s17
	s_cbranch_vccz .LBB528_1254
; %bb.1251:
	v_cmp_eq_u16_e64 s9, s3, 44
	s_delay_alu instid0(VALU_DEP_1)
	s_and_b32 vcc_lo, exec_lo, s9
	s_cbranch_vccz .LBB528_1253
; %bb.1252:
	global_load_u8 v5, v[0:1], off
	s_mov_b32 s9, 0
	s_mov_b32 s16, -1
	s_waitcnt vmcnt(0)
	v_lshlrev_b32_e32 v6, 23, v5
	v_cmp_ne_u32_e32 vcc_lo, 0xff, v5
	s_delay_alu instid0(VALU_DEP_2) | instskip(NEXT) | instid1(VALU_DEP_1)
	v_cvt_f16_f32_e32 v6, v6
	v_cndmask_b32_e32 v6, 0x7e00, v6, vcc_lo
	v_cmp_ne_u32_e32 vcc_lo, 0, v5
	s_delay_alu instid0(VALU_DEP_2)
	v_cndmask_b32_e32 v6, 0, v6, vcc_lo
	s_branch .LBB528_1254
.LBB528_1253:
	s_mov_b32 s9, -1
                                        ; implicit-def: $vgpr6
.LBB528_1254:
	s_mov_b32 s17, 0
.LBB528_1255:
	s_delay_alu instid0(SALU_CYCLE_1)
	s_and_b32 vcc_lo, exec_lo, s17
	s_cbranch_vccz .LBB528_1259
; %bb.1256:
	v_cmp_eq_u16_e64 s9, s3, 29
	s_delay_alu instid0(VALU_DEP_1)
	s_and_b32 vcc_lo, exec_lo, s9
	s_cbranch_vccz .LBB528_1258
; %bb.1257:
	global_load_b64 v[5:6], v[0:1], off
	s_mov_b32 s9, 0
	s_mov_b32 s16, -1
	s_mov_b32 s17, 0
	s_waitcnt vmcnt(0)
	v_clz_i32_u32_e32 v7, v6
	s_delay_alu instid0(VALU_DEP_1) | instskip(NEXT) | instid1(VALU_DEP_1)
	v_min_u32_e32 v7, 32, v7
	v_lshlrev_b64 v[5:6], v7, v[5:6]
	s_delay_alu instid0(VALU_DEP_1) | instskip(NEXT) | instid1(VALU_DEP_1)
	v_min_u32_e32 v5, 1, v5
	v_or_b32_e32 v5, v6, v5
	v_sub_nc_u32_e32 v6, 32, v7
	s_delay_alu instid0(VALU_DEP_2) | instskip(NEXT) | instid1(VALU_DEP_1)
	v_cvt_f32_u32_e32 v5, v5
	v_ldexp_f32 v5, v5, v6
	s_delay_alu instid0(VALU_DEP_1)
	v_cvt_f16_f32_e32 v6, v5
	s_branch .LBB528_1260
.LBB528_1258:
	s_mov_b32 s9, -1
                                        ; implicit-def: $vgpr6
.LBB528_1259:
	s_mov_b32 s17, 0
.LBB528_1260:
	s_delay_alu instid0(SALU_CYCLE_1)
	s_and_b32 vcc_lo, exec_lo, s17
	s_cbranch_vccz .LBB528_1278
; %bb.1261:
	v_cmp_lt_i16_e64 s16, s3, 27
	s_delay_alu instid0(VALU_DEP_1)
	s_and_b32 vcc_lo, exec_lo, s16
	s_cbranch_vccnz .LBB528_1264
; %bb.1262:
	v_cmp_gt_i16_e64 s16, s3, 27
	s_delay_alu instid0(VALU_DEP_1)
	s_and_b32 vcc_lo, exec_lo, s16
	s_cbranch_vccz .LBB528_1265
; %bb.1263:
	global_load_b32 v5, v[0:1], off
	s_mov_b32 s16, 0
	s_waitcnt vmcnt(0)
	v_cvt_f32_u32_e32 v5, v5
	s_delay_alu instid0(VALU_DEP_1)
	v_cvt_f16_f32_e32 v6, v5
	s_branch .LBB528_1266
.LBB528_1264:
	s_mov_b32 s16, -1
                                        ; implicit-def: $vgpr6
	s_branch .LBB528_1269
.LBB528_1265:
	s_mov_b32 s16, -1
                                        ; implicit-def: $vgpr6
.LBB528_1266:
	s_delay_alu instid0(SALU_CYCLE_1)
	s_and_not1_b32 vcc_lo, exec_lo, s16
	s_cbranch_vccnz .LBB528_1268
; %bb.1267:
	global_load_u16 v5, v[0:1], off
	s_waitcnt vmcnt(0)
	v_cvt_f16_u16_e32 v6, v5
.LBB528_1268:
	s_mov_b32 s16, 0
.LBB528_1269:
	s_delay_alu instid0(SALU_CYCLE_1)
	s_and_not1_b32 vcc_lo, exec_lo, s16
	s_cbranch_vccnz .LBB528_1277
; %bb.1270:
	global_load_u8 v5, v[0:1], off
	s_mov_b32 s16, 0
	s_mov_b32 s18, exec_lo
                                        ; implicit-def: $sgpr17
	s_waitcnt vmcnt(0)
	v_cmpx_lt_i16_e32 0x7f, v5
	s_xor_b32 s18, exec_lo, s18
	s_cbranch_execz .LBB528_1290
; %bb.1271:
	s_mov_b32 s16, -1
	s_mov_b32 s19, exec_lo
                                        ; implicit-def: $sgpr17
	v_cmpx_eq_u16_e32 0x80, v5
; %bb.1272:
	s_movk_i32 s17, 0x7e00
	s_xor_b32 s16, exec_lo, -1
; %bb.1273:
	s_or_b32 exec_lo, exec_lo, s19
	s_delay_alu instid0(SALU_CYCLE_1)
	s_and_b32 s16, s16, exec_lo
	s_or_saveexec_b32 s18, s18
	v_mov_b32_e32 v6, s17
	s_xor_b32 exec_lo, exec_lo, s18
	s_cbranch_execnz .LBB528_1291
.LBB528_1274:
	s_or_b32 exec_lo, exec_lo, s18
	s_and_saveexec_b32 s17, s16
	s_cbranch_execz .LBB528_1276
.LBB528_1275:
	v_and_b32_e32 v6, 0xffff, v5
	v_lshlrev_b32_e32 v5, 24, v5
	s_delay_alu instid0(VALU_DEP_2) | instskip(NEXT) | instid1(VALU_DEP_2)
	v_and_b32_e32 v7, 7, v6
	v_and_b32_e32 v5, 0x80000000, v5
	s_delay_alu instid0(VALU_DEP_2) | instskip(NEXT) | instid1(VALU_DEP_1)
	v_clz_i32_u32_e32 v8, v7
	v_min_u32_e32 v8, 32, v8
	s_delay_alu instid0(VALU_DEP_1) | instskip(SKIP_1) | instid1(VALU_DEP_2)
	v_subrev_nc_u32_e32 v9, 28, v8
	v_sub_nc_u32_e32 v8, 29, v8
	v_lshlrev_b32_e32 v9, v9, v6
	v_bfe_u32 v6, v6, 3, 4
	s_delay_alu instid0(VALU_DEP_2) | instskip(NEXT) | instid1(VALU_DEP_2)
	v_and_b32_e32 v9, 7, v9
	v_cmp_eq_u32_e32 vcc_lo, 0, v6
	s_delay_alu instid0(VALU_DEP_2) | instskip(NEXT) | instid1(VALU_DEP_1)
	v_dual_cndmask_b32 v6, v6, v8 :: v_dual_cndmask_b32 v7, v7, v9
	v_lshl_add_u32 v6, v6, 23, 0x3b800000
	s_delay_alu instid0(VALU_DEP_2) | instskip(NEXT) | instid1(VALU_DEP_1)
	v_lshlrev_b32_e32 v7, 20, v7
	v_or3_b32 v5, v5, v6, v7
	s_delay_alu instid0(VALU_DEP_1)
	v_cvt_f16_f32_e32 v6, v5
.LBB528_1276:
	s_or_b32 exec_lo, exec_lo, s17
.LBB528_1277:
	s_mov_b32 s16, -1
.LBB528_1278:
	s_branch .LBB528_1311
.LBB528_1279:
	v_cmp_gt_i16_e64 s15, s3, 22
	s_delay_alu instid0(VALU_DEP_1)
	s_and_b32 vcc_lo, exec_lo, s15
	s_cbranch_vccz .LBB528_1289
; %bb.1280:
	v_cmp_lt_i16_e64 s15, s3, 24
	s_delay_alu instid0(VALU_DEP_1)
	s_and_b32 vcc_lo, exec_lo, s15
	s_cbranch_vccnz .LBB528_1292
; %bb.1281:
	v_cmp_gt_i16_e64 s15, s3, 24
	s_delay_alu instid0(VALU_DEP_1)
	s_and_b32 vcc_lo, exec_lo, s15
	s_cbranch_vccz .LBB528_1293
; %bb.1282:
	global_load_u8 v5, v[0:1], off
	s_mov_b32 s15, 0
	s_mov_b32 s17, exec_lo
                                        ; implicit-def: $sgpr16
	s_waitcnt vmcnt(0)
	v_cmpx_lt_i16_e32 0x7f, v5
	s_xor_b32 s17, exec_lo, s17
	s_cbranch_execz .LBB528_1305
; %bb.1283:
	s_mov_b32 s15, -1
	s_mov_b32 s18, exec_lo
                                        ; implicit-def: $sgpr16
	v_cmpx_eq_u16_e32 0x80, v5
; %bb.1284:
	s_movk_i32 s16, 0x7e00
	s_xor_b32 s15, exec_lo, -1
; %bb.1285:
	s_or_b32 exec_lo, exec_lo, s18
	s_delay_alu instid0(SALU_CYCLE_1)
	s_and_b32 s15, s15, exec_lo
	s_or_saveexec_b32 s17, s17
	v_mov_b32_e32 v6, s16
	s_xor_b32 exec_lo, exec_lo, s17
	s_cbranch_execnz .LBB528_1306
.LBB528_1286:
	s_or_b32 exec_lo, exec_lo, s17
	s_and_saveexec_b32 s16, s15
	s_cbranch_execz .LBB528_1288
.LBB528_1287:
	v_and_b32_e32 v6, 0xffff, v5
	v_lshlrev_b32_e32 v5, 24, v5
	s_delay_alu instid0(VALU_DEP_2) | instskip(NEXT) | instid1(VALU_DEP_2)
	v_and_b32_e32 v7, 3, v6
	v_and_b32_e32 v5, 0x80000000, v5
	s_delay_alu instid0(VALU_DEP_2) | instskip(NEXT) | instid1(VALU_DEP_1)
	v_clz_i32_u32_e32 v8, v7
	v_min_u32_e32 v8, 32, v8
	s_delay_alu instid0(VALU_DEP_1) | instskip(SKIP_1) | instid1(VALU_DEP_2)
	v_subrev_nc_u32_e32 v9, 29, v8
	v_sub_nc_u32_e32 v8, 30, v8
	v_lshlrev_b32_e32 v9, v9, v6
	v_bfe_u32 v6, v6, 2, 5
	s_delay_alu instid0(VALU_DEP_2) | instskip(NEXT) | instid1(VALU_DEP_2)
	v_and_b32_e32 v9, 3, v9
	v_cmp_eq_u32_e32 vcc_lo, 0, v6
	s_delay_alu instid0(VALU_DEP_2) | instskip(NEXT) | instid1(VALU_DEP_1)
	v_dual_cndmask_b32 v6, v6, v8 :: v_dual_cndmask_b32 v7, v7, v9
	v_lshl_add_u32 v6, v6, 23, 0x37800000
	s_delay_alu instid0(VALU_DEP_2) | instskip(NEXT) | instid1(VALU_DEP_1)
	v_lshlrev_b32_e32 v7, 21, v7
	v_or3_b32 v5, v5, v6, v7
	s_delay_alu instid0(VALU_DEP_1)
	v_cvt_f16_f32_e32 v6, v5
.LBB528_1288:
	s_or_b32 exec_lo, exec_lo, s16
	s_mov_b32 s15, 0
	s_branch .LBB528_1294
.LBB528_1289:
	s_mov_b32 s15, -1
                                        ; implicit-def: $vgpr6
	s_branch .LBB528_1300
.LBB528_1290:
	s_or_saveexec_b32 s18, s18
	v_mov_b32_e32 v6, s17
	s_xor_b32 exec_lo, exec_lo, s18
	s_cbranch_execz .LBB528_1274
.LBB528_1291:
	v_cmp_ne_u16_e32 vcc_lo, 0, v5
	v_mov_b32_e32 v6, v5
	s_and_not1_b32 s16, s16, exec_lo
	s_and_b32 s17, vcc_lo, exec_lo
	s_delay_alu instid0(SALU_CYCLE_1)
	s_or_b32 s16, s16, s17
	s_or_b32 exec_lo, exec_lo, s18
	s_and_saveexec_b32 s17, s16
	s_cbranch_execnz .LBB528_1275
	s_branch .LBB528_1276
.LBB528_1292:
	s_mov_b32 s15, -1
                                        ; implicit-def: $vgpr6
	s_branch .LBB528_1297
.LBB528_1293:
	s_mov_b32 s15, -1
                                        ; implicit-def: $vgpr6
.LBB528_1294:
	s_delay_alu instid0(SALU_CYCLE_1)
	s_and_b32 vcc_lo, exec_lo, s15
	s_cbranch_vccz .LBB528_1296
; %bb.1295:
	global_load_u8 v5, v[0:1], off
	s_waitcnt vmcnt(0)
	v_lshlrev_b32_e32 v5, 24, v5
	s_delay_alu instid0(VALU_DEP_1) | instskip(NEXT) | instid1(VALU_DEP_1)
	v_and_b32_e32 v6, 0x7f000000, v5
	v_clz_i32_u32_e32 v7, v6
	v_add_nc_u32_e32 v9, 0x1000000, v6
	v_cmp_ne_u32_e32 vcc_lo, 0, v6
	s_delay_alu instid0(VALU_DEP_3) | instskip(NEXT) | instid1(VALU_DEP_1)
	v_min_u32_e32 v7, 32, v7
	v_sub_nc_u32_e64 v7, v7, 4 clamp
	s_delay_alu instid0(VALU_DEP_1) | instskip(SKIP_1) | instid1(VALU_DEP_2)
	v_lshlrev_b32_e32 v8, v7, v6
	v_lshlrev_b32_e32 v7, 23, v7
	v_lshrrev_b32_e32 v8, 4, v8
	s_delay_alu instid0(VALU_DEP_1) | instskip(SKIP_1) | instid1(VALU_DEP_2)
	v_sub_nc_u32_e32 v7, v8, v7
	v_ashrrev_i32_e32 v8, 8, v9
	v_add_nc_u32_e32 v7, 0x3c000000, v7
	s_delay_alu instid0(VALU_DEP_1) | instskip(NEXT) | instid1(VALU_DEP_1)
	v_and_or_b32 v7, 0x7f800000, v8, v7
	v_cndmask_b32_e32 v6, 0, v7, vcc_lo
	s_delay_alu instid0(VALU_DEP_1) | instskip(NEXT) | instid1(VALU_DEP_1)
	v_and_or_b32 v5, 0x80000000, v5, v6
	v_cvt_f16_f32_e32 v6, v5
.LBB528_1296:
	s_mov_b32 s15, 0
.LBB528_1297:
	s_delay_alu instid0(SALU_CYCLE_1)
	s_and_not1_b32 vcc_lo, exec_lo, s15
	s_cbranch_vccnz .LBB528_1299
; %bb.1298:
	global_load_u8 v5, v[0:1], off
	s_waitcnt vmcnt(0)
	v_lshlrev_b32_e32 v6, 25, v5
	v_lshlrev_b16 v5, 8, v5
	s_delay_alu instid0(VALU_DEP_2) | instskip(NEXT) | instid1(VALU_DEP_2)
	v_lshrrev_b32_e32 v7, 4, v6
	v_and_or_b32 v8, 0x7f00, v5, 0.5
	v_bfe_i32 v5, v5, 0, 16
	s_delay_alu instid0(VALU_DEP_3) | instskip(NEXT) | instid1(VALU_DEP_1)
	v_or_b32_e32 v7, 0x70000000, v7
	v_dual_add_f32 v8, -0.5, v8 :: v_dual_mul_f32 v7, 0x7800000, v7
	v_cmp_gt_u32_e32 vcc_lo, 0x8000000, v6
	s_delay_alu instid0(VALU_DEP_2) | instskip(NEXT) | instid1(VALU_DEP_1)
	v_cndmask_b32_e32 v6, v7, v8, vcc_lo
	v_and_or_b32 v5, 0x80000000, v5, v6
	s_delay_alu instid0(VALU_DEP_1)
	v_cvt_f16_f32_e32 v6, v5
.LBB528_1299:
	s_mov_b32 s15, 0
	s_mov_b32 s16, -1
.LBB528_1300:
	s_and_not1_b32 vcc_lo, exec_lo, s15
	s_mov_b32 s15, 0
	s_cbranch_vccnz .LBB528_1311
; %bb.1301:
	v_cmp_gt_i16_e64 s15, s3, 14
	s_delay_alu instid0(VALU_DEP_1)
	s_and_b32 vcc_lo, exec_lo, s15
	s_cbranch_vccz .LBB528_1304
; %bb.1302:
	v_cmp_eq_u16_e64 s9, s3, 15
	s_delay_alu instid0(VALU_DEP_1)
	s_and_b32 vcc_lo, exec_lo, s9
	s_cbranch_vccz .LBB528_1307
; %bb.1303:
	global_load_u16 v5, v[0:1], off
	s_mov_b32 s9, 0
	s_mov_b32 s16, -1
	s_waitcnt vmcnt(0)
	v_lshlrev_b32_e32 v5, 16, v5
	s_delay_alu instid0(VALU_DEP_1)
	v_cvt_f16_f32_e32 v6, v5
	s_branch .LBB528_1308
.LBB528_1304:
	s_mov_b32 s15, -1
                                        ; implicit-def: $vgpr6
	s_branch .LBB528_1309
.LBB528_1305:
	s_or_saveexec_b32 s17, s17
	v_mov_b32_e32 v6, s16
	s_xor_b32 exec_lo, exec_lo, s17
	s_cbranch_execz .LBB528_1286
.LBB528_1306:
	v_cmp_ne_u16_e32 vcc_lo, 0, v5
	v_mov_b32_e32 v6, v5
	s_and_not1_b32 s15, s15, exec_lo
	s_and_b32 s16, vcc_lo, exec_lo
	s_delay_alu instid0(SALU_CYCLE_1)
	s_or_b32 s15, s15, s16
	s_or_b32 exec_lo, exec_lo, s17
	s_and_saveexec_b32 s16, s15
	s_cbranch_execnz .LBB528_1287
	s_branch .LBB528_1288
.LBB528_1307:
	s_mov_b32 s9, -1
                                        ; implicit-def: $vgpr6
.LBB528_1308:
	s_mov_b32 s15, 0
.LBB528_1309:
	s_delay_alu instid0(SALU_CYCLE_1)
	s_and_b32 vcc_lo, exec_lo, s15
	s_mov_b32 s15, 0
	s_cbranch_vccz .LBB528_1311
; %bb.1310:
	v_cmp_ne_u16_e64 s9, s3, 11
	s_mov_b32 s15, -1
                                        ; implicit-def: $vgpr6
.LBB528_1311:
	s_delay_alu instid0(VALU_DEP_1)
	s_and_b32 vcc_lo, exec_lo, s9
	s_cbranch_vccnz .LBB528_1339
; %bb.1312:
	s_and_not1_b32 vcc_lo, exec_lo, s15
	s_cbranch_vccnz .LBB528_1314
.LBB528_1313:
	global_load_u8 v5, v[0:1], off
	s_mov_b32 s16, -1
	s_waitcnt vmcnt(0)
	v_cmp_ne_u16_e32 vcc_lo, 0, v5
	v_cndmask_b32_e64 v6, 0, 0x3c00, vcc_lo
.LBB528_1314:
.LBB528_1315:
	s_and_not1_b32 vcc_lo, exec_lo, s16
	s_cbranch_vccnz .LBB528_1673
.LBB528_1316:
	v_mov_b32_e32 v5, s10
	s_mov_b32 s9, exec_lo
	s_waitcnt vmcnt(0)
	v_cmpx_o_f16_e32 v6, v6
	s_cbranch_execz .LBB528_1320
; %bb.1317:
	v_mov_b32_e32 v5, s2
	s_mov_b32 s15, exec_lo
	v_cmpx_neq_f16_e32 0x7c00, v6
; %bb.1318:
	v_cmp_eq_f16_e32 vcc_lo, 0xfc00, v6
	v_cndmask_b32_e64 v5, v6, s11, vcc_lo
; %bb.1319:
	s_or_b32 exec_lo, exec_lo, s15
.LBB528_1320:
	s_delay_alu instid0(SALU_CYCLE_1) | instskip(SKIP_2) | instid1(VALU_DEP_2)
	s_or_b32 exec_lo, exec_lo, s9
	v_add_nc_u32_e32 v4, s0, v4
	v_cmp_lt_i16_e64 s9, s3, 11
	v_ashrrev_i32_e32 v1, 31, v4
	v_add_co_u32 v0, vcc_lo, s6, v4
	s_delay_alu instid0(VALU_DEP_2) | instskip(NEXT) | instid1(VALU_DEP_4)
	v_add_co_ci_u32_e32 v1, vcc_lo, s7, v1, vcc_lo
	s_and_b32 vcc_lo, exec_lo, s9
	s_cbranch_vccnz .LBB528_1327
; %bb.1321:
	v_cmp_gt_i16_e64 s9, s3, 25
	s_mov_b32 s15, 0
	s_delay_alu instid0(VALU_DEP_1)
	s_and_b32 vcc_lo, exec_lo, s9
	s_cbranch_vccz .LBB528_1333
; %bb.1322:
	v_cmp_gt_i16_e64 s9, s3, 28
	s_delay_alu instid0(VALU_DEP_1)
	s_and_b32 vcc_lo, exec_lo, s9
	s_cbranch_vccz .LBB528_1335
; %bb.1323:
	v_cmp_gt_i16_e64 s9, s3, 43
	;; [unrolled: 5-line block ×3, first 2 shown]
	s_delay_alu instid0(VALU_DEP_1)
	s_and_b32 vcc_lo, exec_lo, s9
	s_cbranch_vccz .LBB528_1341
; %bb.1325:
	v_cmp_eq_u16_e64 s9, s3, 46
	s_mov_b32 s17, 0
	s_delay_alu instid0(VALU_DEP_1)
	s_and_b32 vcc_lo, exec_lo, s9
	s_cbranch_vccz .LBB528_1384
; %bb.1326:
	global_load_b32 v6, v[0:1], off
	s_mov_b32 s9, 0
	s_mov_b32 s16, -1
	s_waitcnt vmcnt(0)
	v_lshlrev_b32_e32 v6, 16, v6
	s_delay_alu instid0(VALU_DEP_1)
	v_cvt_f16_f32_e32 v6, v6
	s_branch .LBB528_1386
.LBB528_1327:
	s_mov_b32 s16, 0
                                        ; implicit-def: $vgpr6
	s_cbranch_execz .LBB528_1452
; %bb.1328:
	v_cmp_lt_i16_e64 s9, s3, 5
	s_delay_alu instid0(VALU_DEP_1)
	s_and_b32 vcc_lo, exec_lo, s9
	s_cbranch_vccnz .LBB528_1334
; %bb.1329:
	v_cmp_lt_i16_e64 s9, s3, 8
	s_delay_alu instid0(VALU_DEP_1)
	s_and_b32 vcc_lo, exec_lo, s9
	s_cbranch_vccnz .LBB528_1336
	;; [unrolled: 5-line block ×3, first 2 shown]
; %bb.1331:
	v_cmp_gt_i16_e64 s9, s3, 9
	s_delay_alu instid0(VALU_DEP_1)
	s_and_b32 vcc_lo, exec_lo, s9
	s_cbranch_vccz .LBB528_1342
; %bb.1332:
	global_load_b64 v[6:7], v[0:1], off
	s_mov_b32 s9, 0
	s_waitcnt vmcnt(0)
	v_cvt_f32_f64_e32 v6, v[6:7]
	s_delay_alu instid0(VALU_DEP_1)
	v_cvt_f16_f32_e32 v6, v6
	s_branch .LBB528_1343
.LBB528_1333:
	s_mov_b32 s17, -1
	s_mov_b32 s16, 0
	s_mov_b32 s9, 0
                                        ; implicit-def: $vgpr6
	s_branch .LBB528_1415
.LBB528_1334:
	s_mov_b32 s9, -1
                                        ; implicit-def: $vgpr6
	s_branch .LBB528_1361
.LBB528_1335:
	s_mov_b32 s17, -1
	s_mov_b32 s16, 0
	s_mov_b32 s9, 0
                                        ; implicit-def: $vgpr6
	s_branch .LBB528_1396
.LBB528_1336:
	s_mov_b32 s9, -1
                                        ; implicit-def: $vgpr6
	s_branch .LBB528_1349
.LBB528_1337:
	s_mov_b32 s17, -1
	s_mov_b32 s16, 0
	s_mov_b32 s9, 0
                                        ; implicit-def: $vgpr6
	s_branch .LBB528_1391
.LBB528_1338:
	s_mov_b32 s9, -1
                                        ; implicit-def: $vgpr6
	s_branch .LBB528_1346
.LBB528_1339:
	s_cbranch_execnz .LBB528_1382
; %bb.1340:
	s_or_b32 s12, s12, exec_lo
                                        ; implicit-def: $vgpr6
	s_cbranch_execz .LBB528_1313
	s_branch .LBB528_1314
.LBB528_1341:
	s_mov_b32 s17, -1
	s_mov_b32 s16, 0
	s_mov_b32 s9, 0
	s_branch .LBB528_1385
.LBB528_1342:
	s_mov_b32 s9, -1
                                        ; implicit-def: $vgpr6
.LBB528_1343:
	s_delay_alu instid0(SALU_CYCLE_1)
	s_and_not1_b32 vcc_lo, exec_lo, s9
	s_cbranch_vccnz .LBB528_1345
; %bb.1344:
	global_load_b32 v6, v[0:1], off
	s_waitcnt vmcnt(0)
	v_cvt_f16_f32_e32 v6, v6
.LBB528_1345:
	s_mov_b32 s9, 0
.LBB528_1346:
	s_delay_alu instid0(SALU_CYCLE_1)
	s_and_not1_b32 vcc_lo, exec_lo, s9
	s_cbranch_vccnz .LBB528_1348
; %bb.1347:
	global_load_b32 v6, v[0:1], off
.LBB528_1348:
	s_mov_b32 s9, 0
.LBB528_1349:
	s_delay_alu instid0(SALU_CYCLE_1)
	s_and_not1_b32 vcc_lo, exec_lo, s9
	s_cbranch_vccnz .LBB528_1360
; %bb.1350:
	v_cmp_lt_i16_e64 s9, s3, 6
	s_delay_alu instid0(VALU_DEP_1)
	s_and_b32 vcc_lo, exec_lo, s9
	s_cbranch_vccnz .LBB528_1353
; %bb.1351:
	v_cmp_gt_i16_e64 s9, s3, 6
	s_delay_alu instid0(VALU_DEP_1)
	s_and_b32 vcc_lo, exec_lo, s9
	s_cbranch_vccz .LBB528_1354
; %bb.1352:
	global_load_b64 v[6:7], v[0:1], off
	s_mov_b32 s9, 0
	s_waitcnt vmcnt(0)
	v_cvt_f32_f64_e32 v6, v[6:7]
	s_delay_alu instid0(VALU_DEP_1)
	v_cvt_f16_f32_e32 v6, v6
	s_branch .LBB528_1355
.LBB528_1353:
	s_mov_b32 s9, -1
                                        ; implicit-def: $vgpr6
	s_branch .LBB528_1358
.LBB528_1354:
	s_mov_b32 s9, -1
                                        ; implicit-def: $vgpr6
.LBB528_1355:
	s_delay_alu instid0(SALU_CYCLE_1)
	s_and_not1_b32 vcc_lo, exec_lo, s9
	s_cbranch_vccnz .LBB528_1357
; %bb.1356:
	global_load_b32 v6, v[0:1], off
	s_waitcnt vmcnt(0)
	v_cvt_f16_f32_e32 v6, v6
.LBB528_1357:
	s_mov_b32 s9, 0
.LBB528_1358:
	s_delay_alu instid0(SALU_CYCLE_1)
	s_and_not1_b32 vcc_lo, exec_lo, s9
	s_cbranch_vccnz .LBB528_1360
; %bb.1359:
	global_load_u16 v6, v[0:1], off
.LBB528_1360:
	s_mov_b32 s9, 0
.LBB528_1361:
	s_delay_alu instid0(SALU_CYCLE_1)
	s_and_not1_b32 vcc_lo, exec_lo, s9
	s_cbranch_vccnz .LBB528_1381
; %bb.1362:
	v_cmp_lt_i16_e64 s9, s3, 2
	s_delay_alu instid0(VALU_DEP_1)
	s_and_b32 vcc_lo, exec_lo, s9
	s_cbranch_vccnz .LBB528_1366
; %bb.1363:
	v_cmp_lt_i16_e64 s9, s3, 3
	s_delay_alu instid0(VALU_DEP_1)
	s_and_b32 vcc_lo, exec_lo, s9
	s_cbranch_vccnz .LBB528_1367
; %bb.1364:
	v_cmp_gt_i16_e64 s9, s3, 3
	s_delay_alu instid0(VALU_DEP_1)
	s_and_b32 vcc_lo, exec_lo, s9
	s_cbranch_vccz .LBB528_1368
; %bb.1365:
	global_load_b64 v[6:7], v[0:1], off
	s_mov_b32 s9, 0
	s_waitcnt vmcnt(0)
	v_xor_b32_e32 v8, v6, v7
	v_cls_i32_e32 v9, v7
	s_delay_alu instid0(VALU_DEP_2) | instskip(NEXT) | instid1(VALU_DEP_2)
	v_ashrrev_i32_e32 v8, 31, v8
	v_add_nc_u32_e32 v9, -1, v9
	s_delay_alu instid0(VALU_DEP_2) | instskip(NEXT) | instid1(VALU_DEP_1)
	v_add_nc_u32_e32 v8, 32, v8
	v_min_u32_e32 v8, v9, v8
	s_delay_alu instid0(VALU_DEP_1) | instskip(NEXT) | instid1(VALU_DEP_1)
	v_lshlrev_b64 v[6:7], v8, v[6:7]
	v_min_u32_e32 v6, 1, v6
	s_delay_alu instid0(VALU_DEP_1) | instskip(SKIP_1) | instid1(VALU_DEP_2)
	v_or_b32_e32 v6, v7, v6
	v_sub_nc_u32_e32 v7, 32, v8
	v_cvt_f32_i32_e32 v6, v6
	s_delay_alu instid0(VALU_DEP_1) | instskip(NEXT) | instid1(VALU_DEP_1)
	v_ldexp_f32 v6, v6, v7
	v_cvt_f16_f32_e32 v6, v6
	s_branch .LBB528_1369
.LBB528_1366:
	s_mov_b32 s9, -1
                                        ; implicit-def: $vgpr6
	s_branch .LBB528_1375
.LBB528_1367:
	s_mov_b32 s9, -1
                                        ; implicit-def: $vgpr6
	s_branch .LBB528_1372
.LBB528_1368:
	s_mov_b32 s9, -1
                                        ; implicit-def: $vgpr6
.LBB528_1369:
	s_delay_alu instid0(SALU_CYCLE_1)
	s_and_not1_b32 vcc_lo, exec_lo, s9
	s_cbranch_vccnz .LBB528_1371
; %bb.1370:
	global_load_b32 v6, v[0:1], off
	s_waitcnt vmcnt(0)
	v_cvt_f32_i32_e32 v6, v6
	s_delay_alu instid0(VALU_DEP_1)
	v_cvt_f16_f32_e32 v6, v6
.LBB528_1371:
	s_mov_b32 s9, 0
.LBB528_1372:
	s_delay_alu instid0(SALU_CYCLE_1)
	s_and_not1_b32 vcc_lo, exec_lo, s9
	s_cbranch_vccnz .LBB528_1374
; %bb.1373:
	global_load_u16 v6, v[0:1], off
	s_waitcnt vmcnt(0)
	v_cvt_f16_i16_e32 v6, v6
.LBB528_1374:
	s_mov_b32 s9, 0
.LBB528_1375:
	s_delay_alu instid0(SALU_CYCLE_1)
	s_and_not1_b32 vcc_lo, exec_lo, s9
	s_cbranch_vccnz .LBB528_1381
; %bb.1376:
	v_cmp_gt_i16_e64 s9, s3, 0
	s_delay_alu instid0(VALU_DEP_1)
	s_and_b32 vcc_lo, exec_lo, s9
	s_mov_b32 s9, 0
	s_cbranch_vccz .LBB528_1378
; %bb.1377:
	global_load_i8 v6, v[0:1], off
	s_waitcnt vmcnt(0)
	v_cvt_f16_i16_e32 v6, v6
	s_branch .LBB528_1379
.LBB528_1378:
	s_mov_b32 s9, -1
                                        ; implicit-def: $vgpr6
.LBB528_1379:
	s_delay_alu instid0(SALU_CYCLE_1)
	s_and_not1_b32 vcc_lo, exec_lo, s9
	s_cbranch_vccnz .LBB528_1381
; %bb.1380:
	global_load_u8 v0, v[0:1], off
	s_waitcnt vmcnt(0)
	v_cvt_f16_u16_e32 v6, v0
.LBB528_1381:
	s_branch .LBB528_1453
.LBB528_1382:
	s_trap 2
	s_sendmsg_rtn_b32 s0, sendmsg(MSG_RTN_GET_DOORBELL)
	s_mov_b32 ttmp2, m0
	s_waitcnt lgkmcnt(0)
	s_and_b32 s0, s0, 0x3ff
	s_delay_alu instid0(SALU_CYCLE_1) | instskip(NEXT) | instid1(SALU_CYCLE_1)
	s_bitset1_b32 s0, 10
	s_mov_b32 m0, s0
	s_sendmsg sendmsg(MSG_INTERRUPT)
	s_mov_b32 m0, ttmp2
.LBB528_1383:                           ; =>This Inner Loop Header: Depth=1
	s_sethalt 5
	s_branch .LBB528_1383
.LBB528_1384:
	s_mov_b32 s9, -1
	s_mov_b32 s16, 0
.LBB528_1385:
                                        ; implicit-def: $vgpr6
.LBB528_1386:
	s_and_b32 vcc_lo, exec_lo, s17
	s_cbranch_vccz .LBB528_1390
; %bb.1387:
	v_cmp_eq_u16_e64 s9, s3, 44
	s_delay_alu instid0(VALU_DEP_1)
	s_and_b32 vcc_lo, exec_lo, s9
	s_cbranch_vccz .LBB528_1389
; %bb.1388:
	global_load_u8 v6, v[0:1], off
	s_mov_b32 s9, 0
	s_mov_b32 s16, -1
	s_waitcnt vmcnt(0)
	v_lshlrev_b32_e32 v7, 23, v6
	v_cmp_ne_u32_e32 vcc_lo, 0xff, v6
	s_delay_alu instid0(VALU_DEP_2) | instskip(NEXT) | instid1(VALU_DEP_1)
	v_cvt_f16_f32_e32 v7, v7
	v_cndmask_b32_e32 v7, 0x7e00, v7, vcc_lo
	v_cmp_ne_u32_e32 vcc_lo, 0, v6
	s_delay_alu instid0(VALU_DEP_2)
	v_cndmask_b32_e32 v6, 0, v7, vcc_lo
	s_branch .LBB528_1390
.LBB528_1389:
	s_mov_b32 s9, -1
                                        ; implicit-def: $vgpr6
.LBB528_1390:
	s_mov_b32 s17, 0
.LBB528_1391:
	s_delay_alu instid0(SALU_CYCLE_1)
	s_and_b32 vcc_lo, exec_lo, s17
	s_cbranch_vccz .LBB528_1395
; %bb.1392:
	v_cmp_eq_u16_e64 s9, s3, 29
	s_delay_alu instid0(VALU_DEP_1)
	s_and_b32 vcc_lo, exec_lo, s9
	s_cbranch_vccz .LBB528_1394
; %bb.1393:
	global_load_b64 v[6:7], v[0:1], off
	s_mov_b32 s9, 0
	s_mov_b32 s16, -1
	s_mov_b32 s17, 0
	s_waitcnt vmcnt(0)
	v_clz_i32_u32_e32 v8, v7
	s_delay_alu instid0(VALU_DEP_1) | instskip(NEXT) | instid1(VALU_DEP_1)
	v_min_u32_e32 v8, 32, v8
	v_lshlrev_b64 v[6:7], v8, v[6:7]
	s_delay_alu instid0(VALU_DEP_1) | instskip(NEXT) | instid1(VALU_DEP_1)
	v_min_u32_e32 v6, 1, v6
	v_or_b32_e32 v6, v7, v6
	v_sub_nc_u32_e32 v7, 32, v8
	s_delay_alu instid0(VALU_DEP_2) | instskip(NEXT) | instid1(VALU_DEP_1)
	v_cvt_f32_u32_e32 v6, v6
	v_ldexp_f32 v6, v6, v7
	s_delay_alu instid0(VALU_DEP_1)
	v_cvt_f16_f32_e32 v6, v6
	s_branch .LBB528_1396
.LBB528_1394:
	s_mov_b32 s9, -1
                                        ; implicit-def: $vgpr6
.LBB528_1395:
	s_mov_b32 s17, 0
.LBB528_1396:
	s_delay_alu instid0(SALU_CYCLE_1)
	s_and_b32 vcc_lo, exec_lo, s17
	s_cbranch_vccz .LBB528_1414
; %bb.1397:
	v_cmp_lt_i16_e64 s16, s3, 27
	s_delay_alu instid0(VALU_DEP_1)
	s_and_b32 vcc_lo, exec_lo, s16
	s_cbranch_vccnz .LBB528_1400
; %bb.1398:
	v_cmp_gt_i16_e64 s16, s3, 27
	s_delay_alu instid0(VALU_DEP_1)
	s_and_b32 vcc_lo, exec_lo, s16
	s_cbranch_vccz .LBB528_1401
; %bb.1399:
	global_load_b32 v6, v[0:1], off
	s_mov_b32 s16, 0
	s_waitcnt vmcnt(0)
	v_cvt_f32_u32_e32 v6, v6
	s_delay_alu instid0(VALU_DEP_1)
	v_cvt_f16_f32_e32 v6, v6
	s_branch .LBB528_1402
.LBB528_1400:
	s_mov_b32 s16, -1
                                        ; implicit-def: $vgpr6
	s_branch .LBB528_1405
.LBB528_1401:
	s_mov_b32 s16, -1
                                        ; implicit-def: $vgpr6
.LBB528_1402:
	s_delay_alu instid0(SALU_CYCLE_1)
	s_and_not1_b32 vcc_lo, exec_lo, s16
	s_cbranch_vccnz .LBB528_1404
; %bb.1403:
	global_load_u16 v6, v[0:1], off
	s_waitcnt vmcnt(0)
	v_cvt_f16_u16_e32 v6, v6
.LBB528_1404:
	s_mov_b32 s16, 0
.LBB528_1405:
	s_delay_alu instid0(SALU_CYCLE_1)
	s_and_not1_b32 vcc_lo, exec_lo, s16
	s_cbranch_vccnz .LBB528_1413
; %bb.1406:
	global_load_u8 v7, v[0:1], off
	s_mov_b32 s16, 0
	s_mov_b32 s18, exec_lo
                                        ; implicit-def: $sgpr17
	s_waitcnt vmcnt(0)
	v_cmpx_lt_i16_e32 0x7f, v7
	s_xor_b32 s18, exec_lo, s18
	s_cbranch_execz .LBB528_1427
; %bb.1407:
	s_mov_b32 s16, -1
	s_mov_b32 s19, exec_lo
                                        ; implicit-def: $sgpr17
	v_cmpx_eq_u16_e32 0x80, v7
; %bb.1408:
	s_movk_i32 s17, 0x7e00
	s_xor_b32 s16, exec_lo, -1
; %bb.1409:
	s_or_b32 exec_lo, exec_lo, s19
	s_delay_alu instid0(SALU_CYCLE_1)
	s_and_b32 s16, s16, exec_lo
	s_or_saveexec_b32 s18, s18
	v_mov_b32_e32 v6, s17
	s_xor_b32 exec_lo, exec_lo, s18
	s_cbranch_execnz .LBB528_1428
.LBB528_1410:
	s_or_b32 exec_lo, exec_lo, s18
	s_and_saveexec_b32 s17, s16
	s_cbranch_execz .LBB528_1412
.LBB528_1411:
	v_and_b32_e32 v6, 0xffff, v7
	s_delay_alu instid0(VALU_DEP_1) | instskip(NEXT) | instid1(VALU_DEP_1)
	v_and_b32_e32 v8, 7, v6
	v_clz_i32_u32_e32 v9, v8
	s_delay_alu instid0(VALU_DEP_1) | instskip(NEXT) | instid1(VALU_DEP_1)
	v_min_u32_e32 v9, 32, v9
	v_subrev_nc_u32_e32 v10, 28, v9
	v_sub_nc_u32_e32 v9, 29, v9
	s_delay_alu instid0(VALU_DEP_2) | instskip(SKIP_1) | instid1(VALU_DEP_2)
	v_lshlrev_b32_e32 v10, v10, v6
	v_bfe_u32 v6, v6, 3, 4
	v_and_b32_e32 v10, 7, v10
	s_delay_alu instid0(VALU_DEP_2) | instskip(SKIP_1) | instid1(VALU_DEP_1)
	v_cmp_eq_u32_e32 vcc_lo, 0, v6
	v_dual_cndmask_b32 v6, v6, v9 :: v_dual_lshlrev_b32 v7, 24, v7
	v_dual_cndmask_b32 v8, v8, v10 :: v_dual_and_b32 v7, 0x80000000, v7
	s_delay_alu instid0(VALU_DEP_2) | instskip(NEXT) | instid1(VALU_DEP_2)
	v_lshl_add_u32 v6, v6, 23, 0x3b800000
	v_lshlrev_b32_e32 v8, 20, v8
	s_delay_alu instid0(VALU_DEP_1) | instskip(NEXT) | instid1(VALU_DEP_1)
	v_or3_b32 v6, v7, v6, v8
	v_cvt_f16_f32_e32 v6, v6
.LBB528_1412:
	s_or_b32 exec_lo, exec_lo, s17
.LBB528_1413:
	s_mov_b32 s16, -1
.LBB528_1414:
	s_mov_b32 s17, 0
.LBB528_1415:
	s_delay_alu instid0(SALU_CYCLE_1)
	s_and_b32 vcc_lo, exec_lo, s17
	s_cbranch_vccz .LBB528_1448
; %bb.1416:
	v_cmp_gt_i16_e64 s15, s3, 22
	s_delay_alu instid0(VALU_DEP_1)
	s_and_b32 vcc_lo, exec_lo, s15
	s_cbranch_vccz .LBB528_1426
; %bb.1417:
	v_cmp_lt_i16_e64 s15, s3, 24
	s_delay_alu instid0(VALU_DEP_1)
	s_and_b32 vcc_lo, exec_lo, s15
	s_cbranch_vccnz .LBB528_1429
; %bb.1418:
	v_cmp_gt_i16_e64 s15, s3, 24
	s_delay_alu instid0(VALU_DEP_1)
	s_and_b32 vcc_lo, exec_lo, s15
	s_cbranch_vccz .LBB528_1430
; %bb.1419:
	global_load_u8 v7, v[0:1], off
	s_mov_b32 s15, 0
	s_mov_b32 s17, exec_lo
                                        ; implicit-def: $sgpr16
	s_waitcnt vmcnt(0)
	v_cmpx_lt_i16_e32 0x7f, v7
	s_xor_b32 s17, exec_lo, s17
	s_cbranch_execz .LBB528_1442
; %bb.1420:
	s_mov_b32 s15, -1
	s_mov_b32 s18, exec_lo
                                        ; implicit-def: $sgpr16
	v_cmpx_eq_u16_e32 0x80, v7
; %bb.1421:
	s_movk_i32 s16, 0x7e00
	s_xor_b32 s15, exec_lo, -1
; %bb.1422:
	s_or_b32 exec_lo, exec_lo, s18
	s_delay_alu instid0(SALU_CYCLE_1)
	s_and_b32 s15, s15, exec_lo
	s_or_saveexec_b32 s17, s17
	v_mov_b32_e32 v6, s16
	s_xor_b32 exec_lo, exec_lo, s17
	s_cbranch_execnz .LBB528_1443
.LBB528_1423:
	s_or_b32 exec_lo, exec_lo, s17
	s_and_saveexec_b32 s16, s15
	s_cbranch_execz .LBB528_1425
.LBB528_1424:
	v_and_b32_e32 v6, 0xffff, v7
	s_delay_alu instid0(VALU_DEP_1) | instskip(NEXT) | instid1(VALU_DEP_1)
	v_and_b32_e32 v8, 3, v6
	v_clz_i32_u32_e32 v9, v8
	s_delay_alu instid0(VALU_DEP_1) | instskip(NEXT) | instid1(VALU_DEP_1)
	v_min_u32_e32 v9, 32, v9
	v_subrev_nc_u32_e32 v10, 29, v9
	v_sub_nc_u32_e32 v9, 30, v9
	s_delay_alu instid0(VALU_DEP_2) | instskip(SKIP_1) | instid1(VALU_DEP_2)
	v_lshlrev_b32_e32 v10, v10, v6
	v_bfe_u32 v6, v6, 2, 5
	v_and_b32_e32 v10, 3, v10
	s_delay_alu instid0(VALU_DEP_2) | instskip(SKIP_1) | instid1(VALU_DEP_1)
	v_cmp_eq_u32_e32 vcc_lo, 0, v6
	v_dual_cndmask_b32 v6, v6, v9 :: v_dual_lshlrev_b32 v7, 24, v7
	v_dual_cndmask_b32 v8, v8, v10 :: v_dual_and_b32 v7, 0x80000000, v7
	s_delay_alu instid0(VALU_DEP_2) | instskip(NEXT) | instid1(VALU_DEP_2)
	v_lshl_add_u32 v6, v6, 23, 0x37800000
	v_lshlrev_b32_e32 v8, 21, v8
	s_delay_alu instid0(VALU_DEP_1) | instskip(NEXT) | instid1(VALU_DEP_1)
	v_or3_b32 v6, v7, v6, v8
	v_cvt_f16_f32_e32 v6, v6
.LBB528_1425:
	s_or_b32 exec_lo, exec_lo, s16
	s_mov_b32 s15, 0
	s_branch .LBB528_1431
.LBB528_1426:
	s_mov_b32 s15, -1
                                        ; implicit-def: $vgpr6
	s_branch .LBB528_1437
.LBB528_1427:
	s_or_saveexec_b32 s18, s18
	v_mov_b32_e32 v6, s17
	s_xor_b32 exec_lo, exec_lo, s18
	s_cbranch_execz .LBB528_1410
.LBB528_1428:
	v_cmp_ne_u16_e32 vcc_lo, 0, v7
	v_mov_b32_e32 v6, v7
	s_and_not1_b32 s16, s16, exec_lo
	s_and_b32 s17, vcc_lo, exec_lo
	s_delay_alu instid0(SALU_CYCLE_1)
	s_or_b32 s16, s16, s17
	s_or_b32 exec_lo, exec_lo, s18
	s_and_saveexec_b32 s17, s16
	s_cbranch_execnz .LBB528_1411
	s_branch .LBB528_1412
.LBB528_1429:
	s_mov_b32 s15, -1
                                        ; implicit-def: $vgpr6
	s_branch .LBB528_1434
.LBB528_1430:
	s_mov_b32 s15, -1
                                        ; implicit-def: $vgpr6
.LBB528_1431:
	s_delay_alu instid0(SALU_CYCLE_1)
	s_and_b32 vcc_lo, exec_lo, s15
	s_cbranch_vccz .LBB528_1433
; %bb.1432:
	global_load_u8 v6, v[0:1], off
	s_waitcnt vmcnt(0)
	v_lshlrev_b32_e32 v6, 24, v6
	s_delay_alu instid0(VALU_DEP_1) | instskip(NEXT) | instid1(VALU_DEP_1)
	v_and_b32_e32 v7, 0x7f000000, v6
	v_clz_i32_u32_e32 v8, v7
	v_add_nc_u32_e32 v10, 0x1000000, v7
	v_cmp_ne_u32_e32 vcc_lo, 0, v7
	s_delay_alu instid0(VALU_DEP_3) | instskip(NEXT) | instid1(VALU_DEP_1)
	v_min_u32_e32 v8, 32, v8
	v_sub_nc_u32_e64 v8, v8, 4 clamp
	s_delay_alu instid0(VALU_DEP_1) | instskip(SKIP_1) | instid1(VALU_DEP_2)
	v_lshlrev_b32_e32 v9, v8, v7
	v_lshlrev_b32_e32 v8, 23, v8
	v_lshrrev_b32_e32 v9, 4, v9
	s_delay_alu instid0(VALU_DEP_1) | instskip(SKIP_1) | instid1(VALU_DEP_2)
	v_sub_nc_u32_e32 v8, v9, v8
	v_ashrrev_i32_e32 v9, 8, v10
	v_add_nc_u32_e32 v8, 0x3c000000, v8
	s_delay_alu instid0(VALU_DEP_1) | instskip(NEXT) | instid1(VALU_DEP_1)
	v_and_or_b32 v8, 0x7f800000, v9, v8
	v_cndmask_b32_e32 v7, 0, v8, vcc_lo
	s_delay_alu instid0(VALU_DEP_1) | instskip(NEXT) | instid1(VALU_DEP_1)
	v_and_or_b32 v6, 0x80000000, v6, v7
	v_cvt_f16_f32_e32 v6, v6
.LBB528_1433:
	s_mov_b32 s15, 0
.LBB528_1434:
	s_delay_alu instid0(SALU_CYCLE_1)
	s_and_not1_b32 vcc_lo, exec_lo, s15
	s_cbranch_vccnz .LBB528_1436
; %bb.1435:
	global_load_u8 v6, v[0:1], off
	s_waitcnt vmcnt(0)
	v_lshlrev_b32_e32 v7, 25, v6
	v_lshlrev_b16 v6, 8, v6
	s_delay_alu instid0(VALU_DEP_2) | instskip(NEXT) | instid1(VALU_DEP_2)
	v_lshrrev_b32_e32 v8, 4, v7
	v_and_or_b32 v9, 0x7f00, v6, 0.5
	v_bfe_i32 v6, v6, 0, 16
	s_delay_alu instid0(VALU_DEP_3) | instskip(NEXT) | instid1(VALU_DEP_1)
	v_or_b32_e32 v8, 0x70000000, v8
	v_dual_add_f32 v9, -0.5, v9 :: v_dual_mul_f32 v8, 0x7800000, v8
	v_cmp_gt_u32_e32 vcc_lo, 0x8000000, v7
	s_delay_alu instid0(VALU_DEP_2) | instskip(NEXT) | instid1(VALU_DEP_1)
	v_cndmask_b32_e32 v7, v8, v9, vcc_lo
	v_and_or_b32 v6, 0x80000000, v6, v7
	s_delay_alu instid0(VALU_DEP_1)
	v_cvt_f16_f32_e32 v6, v6
.LBB528_1436:
	s_mov_b32 s15, 0
	s_mov_b32 s16, -1
.LBB528_1437:
	s_and_not1_b32 vcc_lo, exec_lo, s15
	s_mov_b32 s15, 0
	s_cbranch_vccnz .LBB528_1448
; %bb.1438:
	v_cmp_gt_i16_e64 s15, s3, 14
	s_delay_alu instid0(VALU_DEP_1)
	s_and_b32 vcc_lo, exec_lo, s15
	s_cbranch_vccz .LBB528_1441
; %bb.1439:
	v_cmp_eq_u16_e64 s9, s3, 15
	s_delay_alu instid0(VALU_DEP_1)
	s_and_b32 vcc_lo, exec_lo, s9
	s_cbranch_vccz .LBB528_1444
; %bb.1440:
	global_load_u16 v6, v[0:1], off
	s_mov_b32 s9, 0
	s_mov_b32 s16, -1
	s_waitcnt vmcnt(0)
	v_lshlrev_b32_e32 v6, 16, v6
	s_delay_alu instid0(VALU_DEP_1)
	v_cvt_f16_f32_e32 v6, v6
	s_branch .LBB528_1445
.LBB528_1441:
	s_mov_b32 s15, -1
                                        ; implicit-def: $vgpr6
	s_branch .LBB528_1446
.LBB528_1442:
	s_or_saveexec_b32 s17, s17
	v_mov_b32_e32 v6, s16
	s_xor_b32 exec_lo, exec_lo, s17
	s_cbranch_execz .LBB528_1423
.LBB528_1443:
	v_cmp_ne_u16_e32 vcc_lo, 0, v7
	v_mov_b32_e32 v6, v7
	s_and_not1_b32 s15, s15, exec_lo
	s_and_b32 s16, vcc_lo, exec_lo
	s_delay_alu instid0(SALU_CYCLE_1)
	s_or_b32 s15, s15, s16
	s_or_b32 exec_lo, exec_lo, s17
	s_and_saveexec_b32 s16, s15
	s_cbranch_execnz .LBB528_1424
	s_branch .LBB528_1425
.LBB528_1444:
	s_mov_b32 s9, -1
                                        ; implicit-def: $vgpr6
.LBB528_1445:
	s_mov_b32 s15, 0
.LBB528_1446:
	s_delay_alu instid0(SALU_CYCLE_1)
	s_and_b32 vcc_lo, exec_lo, s15
	s_mov_b32 s15, 0
	s_cbranch_vccz .LBB528_1448
; %bb.1447:
	v_cmp_ne_u16_e64 s9, s3, 11
	s_mov_b32 s15, -1
                                        ; implicit-def: $vgpr6
.LBB528_1448:
	s_delay_alu instid0(VALU_DEP_1)
	s_and_b32 vcc_lo, exec_lo, s9
	s_cbranch_vccnz .LBB528_1468
; %bb.1449:
	s_and_not1_b32 vcc_lo, exec_lo, s15
	s_cbranch_vccnz .LBB528_1451
.LBB528_1450:
	global_load_u8 v6, v[0:1], off
	s_mov_b32 s16, -1
	s_waitcnt vmcnt(0)
	v_cmp_ne_u16_e32 vcc_lo, 0, v6
	v_cndmask_b32_e64 v6, 0, 0x3c00, vcc_lo
.LBB528_1451:
.LBB528_1452:
	s_and_not1_b32 vcc_lo, exec_lo, s16
	s_cbranch_vccnz .LBB528_1673
.LBB528_1453:
	v_mov_b32_e32 v7, s10
	s_mov_b32 s9, exec_lo
	s_waitcnt vmcnt(0)
	v_cmpx_o_f16_e32 v6, v6
	s_cbranch_execz .LBB528_1457
; %bb.1454:
	v_mov_b32_e32 v7, s2
	s_mov_b32 s15, exec_lo
	v_cmpx_neq_f16_e32 0x7c00, v6
; %bb.1455:
	v_cmp_eq_f16_e32 vcc_lo, 0xfc00, v6
	v_cndmask_b32_e64 v7, v6, s11, vcc_lo
; %bb.1456:
	s_or_b32 exec_lo, exec_lo, s15
.LBB528_1457:
	s_delay_alu instid0(SALU_CYCLE_1) | instskip(SKIP_2) | instid1(VALU_DEP_2)
	s_or_b32 exec_lo, exec_lo, s9
	v_add_nc_u32_e32 v0, s0, v4
	v_cmp_lt_i16_e64 s0, s3, 11
	v_ashrrev_i32_e32 v1, 31, v0
	v_add_co_u32 v0, vcc_lo, s6, v0
	s_delay_alu instid0(VALU_DEP_2) | instskip(NEXT) | instid1(VALU_DEP_4)
	v_add_co_ci_u32_e32 v1, vcc_lo, s7, v1, vcc_lo
	s_and_b32 vcc_lo, exec_lo, s0
	s_cbranch_vccnz .LBB528_1464
; %bb.1458:
	v_cmp_gt_i16_e64 s0, s3, 25
	s_mov_b32 s6, 0
	s_delay_alu instid0(VALU_DEP_1)
	s_and_b32 vcc_lo, exec_lo, s0
	s_cbranch_vccz .LBB528_1465
; %bb.1459:
	v_cmp_gt_i16_e64 s0, s3, 28
	s_delay_alu instid0(VALU_DEP_1)
	s_and_b32 vcc_lo, exec_lo, s0
	s_cbranch_vccz .LBB528_1466
; %bb.1460:
	v_cmp_gt_i16_e64 s0, s3, 43
	;; [unrolled: 5-line block ×3, first 2 shown]
	s_delay_alu instid0(VALU_DEP_1)
	s_and_b32 vcc_lo, exec_lo, s0
	s_cbranch_vccz .LBB528_1470
; %bb.1462:
	v_cmp_eq_u16_e64 s0, s3, 46
	s_mov_b32 s9, 0
	s_delay_alu instid0(VALU_DEP_1)
	s_and_b32 vcc_lo, exec_lo, s0
	s_cbranch_vccz .LBB528_1473
; %bb.1463:
	global_load_b32 v4, v[0:1], off
	s_mov_b32 s0, 0
	s_mov_b32 s7, -1
	s_waitcnt vmcnt(0)
	v_lshlrev_b32_e32 v4, 16, v4
	s_delay_alu instid0(VALU_DEP_1)
	v_cvt_f16_f32_e32 v6, v4
	s_branch .LBB528_1475
.LBB528_1464:
	s_mov_b32 s0, -1
	s_mov_b32 s7, 0
                                        ; implicit-def: $vgpr6
	s_branch .LBB528_1541
.LBB528_1465:
	s_mov_b32 s9, -1
	s_mov_b32 s7, 0
	s_mov_b32 s0, 0
                                        ; implicit-def: $vgpr6
	s_branch .LBB528_1504
.LBB528_1466:
	s_mov_b32 s9, -1
	s_mov_b32 s7, 0
	s_mov_b32 s0, 0
                                        ; implicit-def: $vgpr6
	s_branch .LBB528_1485
.LBB528_1467:
	s_mov_b32 s9, -1
	s_mov_b32 s7, 0
	s_mov_b32 s0, 0
                                        ; implicit-def: $vgpr6
	s_branch .LBB528_1480
.LBB528_1468:
	s_cbranch_execnz .LBB528_1471
; %bb.1469:
	s_or_b32 s12, s12, exec_lo
                                        ; implicit-def: $vgpr6
	s_cbranch_execz .LBB528_1450
	s_branch .LBB528_1451
.LBB528_1470:
	s_mov_b32 s9, -1
	s_mov_b32 s7, 0
	s_mov_b32 s0, 0
	s_branch .LBB528_1474
.LBB528_1471:
	s_trap 2
	s_sendmsg_rtn_b32 s0, sendmsg(MSG_RTN_GET_DOORBELL)
	s_mov_b32 ttmp2, m0
	s_waitcnt lgkmcnt(0)
	s_and_b32 s0, s0, 0x3ff
	s_delay_alu instid0(SALU_CYCLE_1) | instskip(NEXT) | instid1(SALU_CYCLE_1)
	s_bitset1_b32 s0, 10
	s_mov_b32 m0, s0
	s_sendmsg sendmsg(MSG_INTERRUPT)
	s_mov_b32 m0, ttmp2
.LBB528_1472:                           ; =>This Inner Loop Header: Depth=1
	s_sethalt 5
	s_branch .LBB528_1472
.LBB528_1473:
	s_mov_b32 s0, -1
	s_mov_b32 s7, 0
.LBB528_1474:
                                        ; implicit-def: $vgpr6
.LBB528_1475:
	s_and_b32 vcc_lo, exec_lo, s9
	s_cbranch_vccz .LBB528_1479
; %bb.1476:
	v_cmp_eq_u16_e64 s0, s3, 44
	s_delay_alu instid0(VALU_DEP_1)
	s_and_b32 vcc_lo, exec_lo, s0
	s_cbranch_vccz .LBB528_1478
; %bb.1477:
	global_load_u8 v4, v[0:1], off
	s_mov_b32 s0, 0
	s_mov_b32 s7, -1
	s_waitcnt vmcnt(0)
	v_lshlrev_b32_e32 v6, 23, v4
	v_cmp_ne_u32_e32 vcc_lo, 0xff, v4
	s_delay_alu instid0(VALU_DEP_2) | instskip(NEXT) | instid1(VALU_DEP_1)
	v_cvt_f16_f32_e32 v6, v6
	v_cndmask_b32_e32 v6, 0x7e00, v6, vcc_lo
	v_cmp_ne_u32_e32 vcc_lo, 0, v4
	s_delay_alu instid0(VALU_DEP_2)
	v_cndmask_b32_e32 v6, 0, v6, vcc_lo
	s_branch .LBB528_1479
.LBB528_1478:
	s_mov_b32 s0, -1
                                        ; implicit-def: $vgpr6
.LBB528_1479:
	s_mov_b32 s9, 0
.LBB528_1480:
	s_delay_alu instid0(SALU_CYCLE_1)
	s_and_b32 vcc_lo, exec_lo, s9
	s_cbranch_vccz .LBB528_1484
; %bb.1481:
	v_cmp_eq_u16_e64 s0, s3, 29
	s_delay_alu instid0(VALU_DEP_1)
	s_and_b32 vcc_lo, exec_lo, s0
	s_cbranch_vccz .LBB528_1483
; %bb.1482:
	global_load_b64 v[8:9], v[0:1], off
	s_mov_b32 s0, 0
	s_mov_b32 s7, -1
	s_mov_b32 s9, 0
	s_waitcnt vmcnt(0)
	v_clz_i32_u32_e32 v4, v9
	s_delay_alu instid0(VALU_DEP_1) | instskip(NEXT) | instid1(VALU_DEP_1)
	v_min_u32_e32 v4, 32, v4
	v_lshlrev_b64 v[8:9], v4, v[8:9]
	v_sub_nc_u32_e32 v4, 32, v4
	s_delay_alu instid0(VALU_DEP_2) | instskip(NEXT) | instid1(VALU_DEP_1)
	v_min_u32_e32 v6, 1, v8
	v_or_b32_e32 v6, v9, v6
	s_delay_alu instid0(VALU_DEP_1) | instskip(NEXT) | instid1(VALU_DEP_1)
	v_cvt_f32_u32_e32 v6, v6
	v_ldexp_f32 v4, v6, v4
	s_delay_alu instid0(VALU_DEP_1)
	v_cvt_f16_f32_e32 v6, v4
	s_branch .LBB528_1485
.LBB528_1483:
	s_mov_b32 s0, -1
                                        ; implicit-def: $vgpr6
.LBB528_1484:
	s_mov_b32 s9, 0
.LBB528_1485:
	s_delay_alu instid0(SALU_CYCLE_1)
	s_and_b32 vcc_lo, exec_lo, s9
	s_cbranch_vccz .LBB528_1503
; %bb.1486:
	v_cmp_lt_i16_e64 s7, s3, 27
	s_delay_alu instid0(VALU_DEP_1)
	s_and_b32 vcc_lo, exec_lo, s7
	s_cbranch_vccnz .LBB528_1489
; %bb.1487:
	v_cmp_gt_i16_e64 s7, s3, 27
	s_delay_alu instid0(VALU_DEP_1)
	s_and_b32 vcc_lo, exec_lo, s7
	s_cbranch_vccz .LBB528_1490
; %bb.1488:
	global_load_b32 v4, v[0:1], off
	s_mov_b32 s7, 0
	s_waitcnt vmcnt(0)
	v_cvt_f32_u32_e32 v4, v4
	s_delay_alu instid0(VALU_DEP_1)
	v_cvt_f16_f32_e32 v6, v4
	s_branch .LBB528_1491
.LBB528_1489:
	s_mov_b32 s7, -1
                                        ; implicit-def: $vgpr6
	s_branch .LBB528_1494
.LBB528_1490:
	s_mov_b32 s7, -1
                                        ; implicit-def: $vgpr6
.LBB528_1491:
	s_delay_alu instid0(SALU_CYCLE_1)
	s_and_not1_b32 vcc_lo, exec_lo, s7
	s_cbranch_vccnz .LBB528_1493
; %bb.1492:
	global_load_u16 v4, v[0:1], off
	s_waitcnt vmcnt(0)
	v_cvt_f16_u16_e32 v6, v4
.LBB528_1493:
	s_mov_b32 s7, 0
.LBB528_1494:
	s_delay_alu instid0(SALU_CYCLE_1)
	s_and_not1_b32 vcc_lo, exec_lo, s7
	s_cbranch_vccnz .LBB528_1502
; %bb.1495:
	global_load_u8 v4, v[0:1], off
	s_mov_b32 s7, 0
	s_mov_b32 s15, exec_lo
                                        ; implicit-def: $sgpr9
	s_waitcnt vmcnt(0)
	v_cmpx_lt_i16_e32 0x7f, v4
	s_xor_b32 s15, exec_lo, s15
	s_cbranch_execz .LBB528_1516
; %bb.1496:
	s_mov_b32 s7, -1
	s_mov_b32 s16, exec_lo
                                        ; implicit-def: $sgpr9
	v_cmpx_eq_u16_e32 0x80, v4
; %bb.1497:
	s_movk_i32 s9, 0x7e00
	s_xor_b32 s7, exec_lo, -1
; %bb.1498:
	s_or_b32 exec_lo, exec_lo, s16
	s_delay_alu instid0(SALU_CYCLE_1)
	s_and_b32 s7, s7, exec_lo
	s_or_saveexec_b32 s15, s15
	v_mov_b32_e32 v6, s9
	s_xor_b32 exec_lo, exec_lo, s15
	s_cbranch_execnz .LBB528_1517
.LBB528_1499:
	s_or_b32 exec_lo, exec_lo, s15
	s_and_saveexec_b32 s9, s7
	s_cbranch_execz .LBB528_1501
.LBB528_1500:
	v_and_b32_e32 v6, 0xffff, v4
	v_lshlrev_b32_e32 v4, 24, v4
	s_delay_alu instid0(VALU_DEP_2) | instskip(NEXT) | instid1(VALU_DEP_2)
	v_and_b32_e32 v8, 7, v6
	v_and_b32_e32 v4, 0x80000000, v4
	s_delay_alu instid0(VALU_DEP_2) | instskip(NEXT) | instid1(VALU_DEP_1)
	v_clz_i32_u32_e32 v9, v8
	v_min_u32_e32 v9, 32, v9
	s_delay_alu instid0(VALU_DEP_1) | instskip(SKIP_1) | instid1(VALU_DEP_2)
	v_subrev_nc_u32_e32 v10, 28, v9
	v_sub_nc_u32_e32 v9, 29, v9
	v_lshlrev_b32_e32 v10, v10, v6
	v_bfe_u32 v6, v6, 3, 4
	s_delay_alu instid0(VALU_DEP_2) | instskip(NEXT) | instid1(VALU_DEP_2)
	v_and_b32_e32 v10, 7, v10
	v_cmp_eq_u32_e32 vcc_lo, 0, v6
	v_cndmask_b32_e32 v6, v6, v9, vcc_lo
	s_delay_alu instid0(VALU_DEP_3) | instskip(NEXT) | instid1(VALU_DEP_2)
	v_cndmask_b32_e32 v8, v8, v10, vcc_lo
	v_lshl_add_u32 v6, v6, 23, 0x3b800000
	s_delay_alu instid0(VALU_DEP_2) | instskip(NEXT) | instid1(VALU_DEP_1)
	v_lshlrev_b32_e32 v8, 20, v8
	v_or3_b32 v4, v4, v6, v8
	s_delay_alu instid0(VALU_DEP_1)
	v_cvt_f16_f32_e32 v6, v4
.LBB528_1501:
	s_or_b32 exec_lo, exec_lo, s9
.LBB528_1502:
	s_mov_b32 s7, -1
.LBB528_1503:
	s_mov_b32 s9, 0
.LBB528_1504:
	s_delay_alu instid0(SALU_CYCLE_1)
	s_and_b32 vcc_lo, exec_lo, s9
	s_cbranch_vccz .LBB528_1537
; %bb.1505:
	v_cmp_gt_i16_e64 s6, s3, 22
	s_delay_alu instid0(VALU_DEP_1)
	s_and_b32 vcc_lo, exec_lo, s6
	s_cbranch_vccz .LBB528_1515
; %bb.1506:
	v_cmp_lt_i16_e64 s6, s3, 24
	s_delay_alu instid0(VALU_DEP_1)
	s_and_b32 vcc_lo, exec_lo, s6
	s_cbranch_vccnz .LBB528_1518
; %bb.1507:
	v_cmp_gt_i16_e64 s6, s3, 24
	s_delay_alu instid0(VALU_DEP_1)
	s_and_b32 vcc_lo, exec_lo, s6
	s_cbranch_vccz .LBB528_1519
; %bb.1508:
	global_load_u8 v4, v[0:1], off
	s_mov_b32 s6, 0
	s_mov_b32 s9, exec_lo
                                        ; implicit-def: $sgpr7
	s_waitcnt vmcnt(0)
	v_cmpx_lt_i16_e32 0x7f, v4
	s_xor_b32 s9, exec_lo, s9
	s_cbranch_execz .LBB528_1531
; %bb.1509:
	s_mov_b32 s6, -1
	s_mov_b32 s15, exec_lo
                                        ; implicit-def: $sgpr7
	v_cmpx_eq_u16_e32 0x80, v4
; %bb.1510:
	s_movk_i32 s7, 0x7e00
	s_xor_b32 s6, exec_lo, -1
; %bb.1511:
	s_or_b32 exec_lo, exec_lo, s15
	s_delay_alu instid0(SALU_CYCLE_1)
	s_and_b32 s6, s6, exec_lo
	s_or_saveexec_b32 s9, s9
	v_mov_b32_e32 v6, s7
	s_xor_b32 exec_lo, exec_lo, s9
	s_cbranch_execnz .LBB528_1532
.LBB528_1512:
	s_or_b32 exec_lo, exec_lo, s9
	s_and_saveexec_b32 s7, s6
	s_cbranch_execz .LBB528_1514
.LBB528_1513:
	v_and_b32_e32 v6, 0xffff, v4
	v_lshlrev_b32_e32 v4, 24, v4
	s_delay_alu instid0(VALU_DEP_2) | instskip(NEXT) | instid1(VALU_DEP_2)
	v_and_b32_e32 v8, 3, v6
	v_and_b32_e32 v4, 0x80000000, v4
	s_delay_alu instid0(VALU_DEP_2) | instskip(NEXT) | instid1(VALU_DEP_1)
	v_clz_i32_u32_e32 v9, v8
	v_min_u32_e32 v9, 32, v9
	s_delay_alu instid0(VALU_DEP_1) | instskip(SKIP_1) | instid1(VALU_DEP_2)
	v_subrev_nc_u32_e32 v10, 29, v9
	v_sub_nc_u32_e32 v9, 30, v9
	v_lshlrev_b32_e32 v10, v10, v6
	v_bfe_u32 v6, v6, 2, 5
	s_delay_alu instid0(VALU_DEP_2) | instskip(NEXT) | instid1(VALU_DEP_2)
	v_and_b32_e32 v10, 3, v10
	v_cmp_eq_u32_e32 vcc_lo, 0, v6
	v_cndmask_b32_e32 v6, v6, v9, vcc_lo
	s_delay_alu instid0(VALU_DEP_3) | instskip(NEXT) | instid1(VALU_DEP_2)
	v_cndmask_b32_e32 v8, v8, v10, vcc_lo
	v_lshl_add_u32 v6, v6, 23, 0x37800000
	s_delay_alu instid0(VALU_DEP_2) | instskip(NEXT) | instid1(VALU_DEP_1)
	v_lshlrev_b32_e32 v8, 21, v8
	v_or3_b32 v4, v4, v6, v8
	s_delay_alu instid0(VALU_DEP_1)
	v_cvt_f16_f32_e32 v6, v4
.LBB528_1514:
	s_or_b32 exec_lo, exec_lo, s7
	s_mov_b32 s6, 0
	s_branch .LBB528_1520
.LBB528_1515:
	s_mov_b32 s6, -1
                                        ; implicit-def: $vgpr6
	s_branch .LBB528_1526
.LBB528_1516:
	s_or_saveexec_b32 s15, s15
	v_mov_b32_e32 v6, s9
	s_xor_b32 exec_lo, exec_lo, s15
	s_cbranch_execz .LBB528_1499
.LBB528_1517:
	v_cmp_ne_u16_e32 vcc_lo, 0, v4
	v_mov_b32_e32 v6, v4
	s_and_not1_b32 s7, s7, exec_lo
	s_and_b32 s9, vcc_lo, exec_lo
	s_delay_alu instid0(SALU_CYCLE_1)
	s_or_b32 s7, s7, s9
	s_or_b32 exec_lo, exec_lo, s15
	s_and_saveexec_b32 s9, s7
	s_cbranch_execnz .LBB528_1500
	s_branch .LBB528_1501
.LBB528_1518:
	s_mov_b32 s6, -1
                                        ; implicit-def: $vgpr6
	s_branch .LBB528_1523
.LBB528_1519:
	s_mov_b32 s6, -1
                                        ; implicit-def: $vgpr6
.LBB528_1520:
	s_delay_alu instid0(SALU_CYCLE_1)
	s_and_b32 vcc_lo, exec_lo, s6
	s_cbranch_vccz .LBB528_1522
; %bb.1521:
	global_load_u8 v4, v[0:1], off
	s_waitcnt vmcnt(0)
	v_lshlrev_b32_e32 v4, 24, v4
	s_delay_alu instid0(VALU_DEP_1) | instskip(NEXT) | instid1(VALU_DEP_1)
	v_and_b32_e32 v6, 0x7f000000, v4
	v_clz_i32_u32_e32 v8, v6
	v_cmp_ne_u32_e32 vcc_lo, 0, v6
	v_add_nc_u32_e32 v10, 0x1000000, v6
	s_delay_alu instid0(VALU_DEP_3) | instskip(NEXT) | instid1(VALU_DEP_1)
	v_min_u32_e32 v8, 32, v8
	v_sub_nc_u32_e64 v8, v8, 4 clamp
	s_delay_alu instid0(VALU_DEP_1) | instskip(SKIP_1) | instid1(VALU_DEP_2)
	v_lshlrev_b32_e32 v9, v8, v6
	v_lshlrev_b32_e32 v8, 23, v8
	v_lshrrev_b32_e32 v9, 4, v9
	s_delay_alu instid0(VALU_DEP_1) | instskip(SKIP_1) | instid1(VALU_DEP_2)
	v_sub_nc_u32_e32 v8, v9, v8
	v_ashrrev_i32_e32 v9, 8, v10
	v_add_nc_u32_e32 v8, 0x3c000000, v8
	s_delay_alu instid0(VALU_DEP_1) | instskip(NEXT) | instid1(VALU_DEP_1)
	v_and_or_b32 v8, 0x7f800000, v9, v8
	v_cndmask_b32_e32 v6, 0, v8, vcc_lo
	s_delay_alu instid0(VALU_DEP_1) | instskip(NEXT) | instid1(VALU_DEP_1)
	v_and_or_b32 v4, 0x80000000, v4, v6
	v_cvt_f16_f32_e32 v6, v4
.LBB528_1522:
	s_mov_b32 s6, 0
.LBB528_1523:
	s_delay_alu instid0(SALU_CYCLE_1)
	s_and_not1_b32 vcc_lo, exec_lo, s6
	s_cbranch_vccnz .LBB528_1525
; %bb.1524:
	global_load_u8 v4, v[0:1], off
	s_waitcnt vmcnt(0)
	v_lshlrev_b32_e32 v6, 25, v4
	v_lshlrev_b16 v4, 8, v4
	s_delay_alu instid0(VALU_DEP_1) | instskip(SKIP_1) | instid1(VALU_DEP_2)
	v_and_or_b32 v9, 0x7f00, v4, 0.5
	v_bfe_i32 v4, v4, 0, 16
	v_add_f32_e32 v9, -0.5, v9
	v_lshrrev_b32_e32 v8, 4, v6
	v_cmp_gt_u32_e32 vcc_lo, 0x8000000, v6
	s_delay_alu instid0(VALU_DEP_2) | instskip(NEXT) | instid1(VALU_DEP_1)
	v_or_b32_e32 v8, 0x70000000, v8
	v_mul_f32_e32 v8, 0x7800000, v8
	s_delay_alu instid0(VALU_DEP_1) | instskip(NEXT) | instid1(VALU_DEP_1)
	v_cndmask_b32_e32 v6, v8, v9, vcc_lo
	v_and_or_b32 v4, 0x80000000, v4, v6
	s_delay_alu instid0(VALU_DEP_1)
	v_cvt_f16_f32_e32 v6, v4
.LBB528_1525:
	s_mov_b32 s6, 0
	s_mov_b32 s7, -1
.LBB528_1526:
	s_and_not1_b32 vcc_lo, exec_lo, s6
	s_mov_b32 s6, 0
	s_cbranch_vccnz .LBB528_1537
; %bb.1527:
	v_cmp_gt_i16_e64 s6, s3, 14
	s_delay_alu instid0(VALU_DEP_1)
	s_and_b32 vcc_lo, exec_lo, s6
	s_cbranch_vccz .LBB528_1530
; %bb.1528:
	v_cmp_eq_u16_e64 s0, s3, 15
	s_delay_alu instid0(VALU_DEP_1)
	s_and_b32 vcc_lo, exec_lo, s0
	s_cbranch_vccz .LBB528_1533
; %bb.1529:
	global_load_u16 v4, v[0:1], off
	s_mov_b32 s0, 0
	s_mov_b32 s7, -1
	s_waitcnt vmcnt(0)
	v_lshlrev_b32_e32 v4, 16, v4
	s_delay_alu instid0(VALU_DEP_1)
	v_cvt_f16_f32_e32 v6, v4
	s_branch .LBB528_1534
.LBB528_1530:
	s_mov_b32 s6, -1
                                        ; implicit-def: $vgpr6
	s_branch .LBB528_1535
.LBB528_1531:
	s_or_saveexec_b32 s9, s9
	v_mov_b32_e32 v6, s7
	s_xor_b32 exec_lo, exec_lo, s9
	s_cbranch_execz .LBB528_1512
.LBB528_1532:
	v_cmp_ne_u16_e32 vcc_lo, 0, v4
	v_mov_b32_e32 v6, v4
	s_and_not1_b32 s6, s6, exec_lo
	s_and_b32 s7, vcc_lo, exec_lo
	s_delay_alu instid0(SALU_CYCLE_1)
	s_or_b32 s6, s6, s7
	s_or_b32 exec_lo, exec_lo, s9
	s_and_saveexec_b32 s7, s6
	s_cbranch_execnz .LBB528_1513
	s_branch .LBB528_1514
.LBB528_1533:
	s_mov_b32 s0, -1
                                        ; implicit-def: $vgpr6
.LBB528_1534:
	s_mov_b32 s6, 0
.LBB528_1535:
	s_delay_alu instid0(SALU_CYCLE_1)
	s_and_b32 vcc_lo, exec_lo, s6
	s_mov_b32 s6, 0
	s_cbranch_vccz .LBB528_1537
; %bb.1536:
	v_cmp_ne_u16_e64 s0, s3, 11
	s_mov_b32 s6, -1
                                        ; implicit-def: $vgpr6
.LBB528_1537:
	s_delay_alu instid0(VALU_DEP_1)
	s_and_b32 vcc_lo, exec_lo, s0
	s_cbranch_vccnz .LBB528_2075
; %bb.1538:
	s_and_not1_b32 vcc_lo, exec_lo, s6
	s_cbranch_vccnz .LBB528_1540
.LBB528_1539:
	global_load_u8 v4, v[0:1], off
	s_mov_b32 s7, -1
	s_waitcnt vmcnt(0)
	v_cmp_ne_u16_e32 vcc_lo, 0, v4
	v_cndmask_b32_e64 v6, 0, 0x3c00, vcc_lo
.LBB528_1540:
	s_mov_b32 s0, 0
.LBB528_1541:
	s_delay_alu instid0(SALU_CYCLE_1)
	s_and_b32 vcc_lo, exec_lo, s0
	s_cbranch_vccz .LBB528_1590
; %bb.1542:
	v_cmp_lt_i16_e64 s0, s3, 5
	s_delay_alu instid0(VALU_DEP_1)
	s_and_b32 vcc_lo, exec_lo, s0
	s_cbranch_vccnz .LBB528_1547
; %bb.1543:
	v_cmp_lt_i16_e64 s0, s3, 8
	s_delay_alu instid0(VALU_DEP_1)
	s_and_b32 vcc_lo, exec_lo, s0
	s_cbranch_vccnz .LBB528_1548
	;; [unrolled: 5-line block ×3, first 2 shown]
; %bb.1545:
	v_cmp_gt_i16_e64 s0, s3, 9
	s_delay_alu instid0(VALU_DEP_1)
	s_and_b32 vcc_lo, exec_lo, s0
	s_cbranch_vccz .LBB528_1550
; %bb.1546:
	global_load_b64 v[8:9], v[0:1], off
	s_mov_b32 s0, 0
	s_waitcnt vmcnt(0)
	v_cvt_f32_f64_e32 v4, v[8:9]
	s_delay_alu instid0(VALU_DEP_1)
	v_cvt_f16_f32_e32 v6, v4
	s_branch .LBB528_1551
.LBB528_1547:
	s_mov_b32 s0, -1
                                        ; implicit-def: $vgpr6
	s_branch .LBB528_1569
.LBB528_1548:
	s_mov_b32 s0, -1
                                        ; implicit-def: $vgpr6
	s_branch .LBB528_1557
.LBB528_1549:
	s_mov_b32 s0, -1
                                        ; implicit-def: $vgpr6
	s_branch .LBB528_1554
.LBB528_1550:
	s_mov_b32 s0, -1
                                        ; implicit-def: $vgpr6
.LBB528_1551:
	s_delay_alu instid0(SALU_CYCLE_1)
	s_and_not1_b32 vcc_lo, exec_lo, s0
	s_cbranch_vccnz .LBB528_1553
; %bb.1552:
	global_load_b32 v4, v[0:1], off
	s_waitcnt vmcnt(0)
	v_cvt_f16_f32_e32 v6, v4
.LBB528_1553:
	s_mov_b32 s0, 0
.LBB528_1554:
	s_delay_alu instid0(SALU_CYCLE_1)
	s_and_not1_b32 vcc_lo, exec_lo, s0
	s_cbranch_vccnz .LBB528_1556
; %bb.1555:
	global_load_b32 v6, v[0:1], off
.LBB528_1556:
	s_mov_b32 s0, 0
.LBB528_1557:
	s_delay_alu instid0(SALU_CYCLE_1)
	s_and_not1_b32 vcc_lo, exec_lo, s0
	s_cbranch_vccnz .LBB528_1568
; %bb.1558:
	v_cmp_lt_i16_e64 s0, s3, 6
	s_delay_alu instid0(VALU_DEP_1)
	s_and_b32 vcc_lo, exec_lo, s0
	s_cbranch_vccnz .LBB528_1561
; %bb.1559:
	v_cmp_gt_i16_e64 s0, s3, 6
	s_delay_alu instid0(VALU_DEP_1)
	s_and_b32 vcc_lo, exec_lo, s0
	s_cbranch_vccz .LBB528_1562
; %bb.1560:
	global_load_b64 v[8:9], v[0:1], off
	s_mov_b32 s0, 0
	s_waitcnt vmcnt(0)
	v_cvt_f32_f64_e32 v4, v[8:9]
	s_delay_alu instid0(VALU_DEP_1)
	v_cvt_f16_f32_e32 v6, v4
	s_branch .LBB528_1563
.LBB528_1561:
	s_mov_b32 s0, -1
                                        ; implicit-def: $vgpr6
	s_branch .LBB528_1566
.LBB528_1562:
	s_mov_b32 s0, -1
                                        ; implicit-def: $vgpr6
.LBB528_1563:
	s_delay_alu instid0(SALU_CYCLE_1)
	s_and_not1_b32 vcc_lo, exec_lo, s0
	s_cbranch_vccnz .LBB528_1565
; %bb.1564:
	global_load_b32 v4, v[0:1], off
	s_waitcnt vmcnt(0)
	v_cvt_f16_f32_e32 v6, v4
.LBB528_1565:
	s_mov_b32 s0, 0
.LBB528_1566:
	s_delay_alu instid0(SALU_CYCLE_1)
	s_and_not1_b32 vcc_lo, exec_lo, s0
	s_cbranch_vccnz .LBB528_1568
; %bb.1567:
	global_load_u16 v6, v[0:1], off
.LBB528_1568:
	s_mov_b32 s0, 0
.LBB528_1569:
	s_delay_alu instid0(SALU_CYCLE_1)
	s_and_not1_b32 vcc_lo, exec_lo, s0
	s_cbranch_vccnz .LBB528_1589
; %bb.1570:
	v_cmp_lt_i16_e64 s0, s3, 2
	s_delay_alu instid0(VALU_DEP_1)
	s_and_b32 vcc_lo, exec_lo, s0
	s_cbranch_vccnz .LBB528_1574
; %bb.1571:
	v_cmp_lt_i16_e64 s0, s3, 3
	s_delay_alu instid0(VALU_DEP_1)
	s_and_b32 vcc_lo, exec_lo, s0
	s_cbranch_vccnz .LBB528_1575
; %bb.1572:
	v_cmp_gt_i16_e64 s0, s3, 3
	s_delay_alu instid0(VALU_DEP_1)
	s_and_b32 vcc_lo, exec_lo, s0
	s_cbranch_vccz .LBB528_1576
; %bb.1573:
	global_load_b64 v[8:9], v[0:1], off
	s_mov_b32 s0, 0
	s_waitcnt vmcnt(0)
	v_xor_b32_e32 v4, v8, v9
	v_cls_i32_e32 v6, v9
	s_delay_alu instid0(VALU_DEP_2) | instskip(NEXT) | instid1(VALU_DEP_2)
	v_ashrrev_i32_e32 v4, 31, v4
	v_add_nc_u32_e32 v6, -1, v6
	s_delay_alu instid0(VALU_DEP_2) | instskip(NEXT) | instid1(VALU_DEP_1)
	v_add_nc_u32_e32 v4, 32, v4
	v_min_u32_e32 v4, v6, v4
	s_delay_alu instid0(VALU_DEP_1) | instskip(SKIP_1) | instid1(VALU_DEP_2)
	v_lshlrev_b64 v[8:9], v4, v[8:9]
	v_sub_nc_u32_e32 v4, 32, v4
	v_min_u32_e32 v6, 1, v8
	s_delay_alu instid0(VALU_DEP_1) | instskip(NEXT) | instid1(VALU_DEP_1)
	v_or_b32_e32 v6, v9, v6
	v_cvt_f32_i32_e32 v6, v6
	s_delay_alu instid0(VALU_DEP_1) | instskip(NEXT) | instid1(VALU_DEP_1)
	v_ldexp_f32 v4, v6, v4
	v_cvt_f16_f32_e32 v6, v4
	s_branch .LBB528_1577
.LBB528_1574:
	s_mov_b32 s0, -1
                                        ; implicit-def: $vgpr6
	s_branch .LBB528_1583
.LBB528_1575:
	s_mov_b32 s0, -1
                                        ; implicit-def: $vgpr6
	s_branch .LBB528_1580
.LBB528_1576:
	s_mov_b32 s0, -1
                                        ; implicit-def: $vgpr6
.LBB528_1577:
	s_delay_alu instid0(SALU_CYCLE_1)
	s_and_not1_b32 vcc_lo, exec_lo, s0
	s_cbranch_vccnz .LBB528_1579
; %bb.1578:
	global_load_b32 v4, v[0:1], off
	s_waitcnt vmcnt(0)
	v_cvt_f32_i32_e32 v4, v4
	s_delay_alu instid0(VALU_DEP_1)
	v_cvt_f16_f32_e32 v6, v4
.LBB528_1579:
	s_mov_b32 s0, 0
.LBB528_1580:
	s_delay_alu instid0(SALU_CYCLE_1)
	s_and_not1_b32 vcc_lo, exec_lo, s0
	s_cbranch_vccnz .LBB528_1582
; %bb.1581:
	global_load_u16 v4, v[0:1], off
	s_waitcnt vmcnt(0)
	v_cvt_f16_i16_e32 v6, v4
.LBB528_1582:
	s_mov_b32 s0, 0
.LBB528_1583:
	s_delay_alu instid0(SALU_CYCLE_1)
	s_and_not1_b32 vcc_lo, exec_lo, s0
	s_cbranch_vccnz .LBB528_1589
; %bb.1584:
	v_cmp_gt_i16_e64 s0, s3, 0
	s_delay_alu instid0(VALU_DEP_1)
	s_and_b32 vcc_lo, exec_lo, s0
	s_mov_b32 s0, 0
	s_cbranch_vccz .LBB528_1586
; %bb.1585:
	global_load_i8 v4, v[0:1], off
	s_waitcnt vmcnt(0)
	v_cvt_f16_i16_e32 v6, v4
	s_branch .LBB528_1587
.LBB528_1586:
	s_mov_b32 s0, -1
                                        ; implicit-def: $vgpr6
.LBB528_1587:
	s_delay_alu instid0(SALU_CYCLE_1)
	s_and_not1_b32 vcc_lo, exec_lo, s0
	s_cbranch_vccnz .LBB528_1589
; %bb.1588:
	global_load_u8 v0, v[0:1], off
	s_waitcnt vmcnt(0)
	v_cvt_f16_u16_e32 v6, v0
.LBB528_1589:
	s_mov_b32 s7, -1
.LBB528_1590:
	s_delay_alu instid0(SALU_CYCLE_1)
	s_and_not1_b32 vcc_lo, exec_lo, s7
	s_cbranch_vccnz .LBB528_1673
; %bb.1591:
	v_mov_b32_e32 v4, s10
	s_mov_b32 s0, exec_lo
	s_waitcnt vmcnt(0)
	v_cmpx_o_f16_e32 v6, v6
	s_cbranch_execz .LBB528_1595
; %bb.1592:
	v_mov_b32_e32 v4, s2
	s_mov_b32 s2, exec_lo
	v_cmpx_neq_f16_e32 0x7c00, v6
; %bb.1593:
	v_cmp_eq_f16_e32 vcc_lo, 0xfc00, v6
	v_cndmask_b32_e64 v4, v6, s11, vcc_lo
; %bb.1594:
	s_or_b32 exec_lo, exec_lo, s2
.LBB528_1595:
	s_delay_alu instid0(SALU_CYCLE_1) | instskip(SKIP_2) | instid1(VALU_DEP_1)
	s_or_b32 exec_lo, exec_lo, s0
	v_mul_lo_u32 v2, s8, v2
	v_and_b32_e64 v6, 0xff, s1
	v_cmp_gt_i16_e32 vcc_lo, 11, v6
	s_delay_alu instid0(VALU_DEP_3) | instskip(SKIP_1) | instid1(VALU_DEP_1)
	v_ashrrev_i32_e32 v1, 31, v2
	v_add_co_u32 v0, s0, s4, v2
	v_add_co_ci_u32_e64 v1, s0, s5, v1, s0
	s_cbranch_vccnz .LBB528_1718
; %bb.1596:
	v_cmp_lt_i16_e32 vcc_lo, 25, v6
	s_mov_b32 s3, -1
	s_mov_b32 s1, 0
	s_mov_b32 s2, 0
	;; [unrolled: 1-line block ×3, first 2 shown]
	s_cbranch_vccz .LBB528_1629
; %bb.1597:
	v_cmp_lt_i16_e32 vcc_lo, 28, v6
	s_cbranch_vccz .LBB528_1612
; %bb.1598:
	v_cmp_lt_i16_e32 vcc_lo, 43, v6
	;; [unrolled: 3-line block ×3, first 2 shown]
	s_cbranch_vccz .LBB528_1602
; %bb.1600:
	v_cmp_eq_u16_e32 vcc_lo, 46, v6
	s_mov_b32 s0, -1
	s_mov_b32 s3, 0
	s_cbranch_vccz .LBB528_1602
; %bb.1601:
	v_cvt_f32_f16_e32 v8, v3
	v_cmp_o_f16_e32 vcc_lo, v3, v3
	s_mov_b32 s0, 0
	s_mov_b32 s2, -1
	s_delay_alu instid0(VALU_DEP_2) | instskip(NEXT) | instid1(VALU_DEP_1)
	v_bfe_u32 v9, v8, 16, 1
	v_add3_u32 v8, v8, v9, 0x7fff
	s_delay_alu instid0(VALU_DEP_1) | instskip(NEXT) | instid1(VALU_DEP_1)
	v_lshrrev_b32_e32 v8, 16, v8
	v_cndmask_b32_e32 v8, 0x7fc0, v8, vcc_lo
	global_store_b32 v[0:1], v8, off
.LBB528_1602:
	s_and_b32 vcc_lo, exec_lo, s3
	s_cbranch_vccz .LBB528_1607
; %bb.1603:
	v_cmp_eq_u16_e32 vcc_lo, 44, v6
	s_mov_b32 s0, -1
	s_cbranch_vccz .LBB528_1607
; %bb.1604:
	v_cvt_f32_f16_e32 v8, v3
	v_mov_b32_e32 v9, 0xff
	s_mov_b32 s2, exec_lo
	s_delay_alu instid0(VALU_DEP_2) | instskip(NEXT) | instid1(VALU_DEP_1)
	v_bfe_u32 v10, v8, 23, 8
	v_cmpx_ne_u32_e32 0xff, v10
; %bb.1605:
	v_and_b32_e32 v9, 0x400000, v8
	v_and_or_b32 v10, 0x3fffff, v8, v10
	v_lshrrev_b32_e32 v8, 23, v8
	s_delay_alu instid0(VALU_DEP_3) | instskip(NEXT) | instid1(VALU_DEP_3)
	v_cmp_ne_u32_e32 vcc_lo, 0, v9
	v_cmp_ne_u32_e64 s0, 0, v10
	s_delay_alu instid0(VALU_DEP_1) | instskip(NEXT) | instid1(SALU_CYCLE_1)
	s_and_b32 s0, vcc_lo, s0
	v_cndmask_b32_e64 v9, 0, 1, s0
	s_delay_alu instid0(VALU_DEP_1)
	v_add_nc_u32_e32 v9, v8, v9
; %bb.1606:
	s_or_b32 exec_lo, exec_lo, s2
	s_mov_b32 s0, 0
	s_mov_b32 s2, -1
	global_store_b8 v[0:1], v9, off
.LBB528_1607:
	s_mov_b32 s3, 0
.LBB528_1608:
	s_delay_alu instid0(SALU_CYCLE_1)
	s_and_b32 vcc_lo, exec_lo, s3
	s_cbranch_vccz .LBB528_1611
; %bb.1609:
	v_cmp_eq_u16_e32 vcc_lo, 29, v6
	s_mov_b32 s0, -1
	s_cbranch_vccz .LBB528_1611
; %bb.1610:
	v_cvt_f32_f16_e32 v8, v3
	v_mov_b32_e32 v9, 0
	s_mov_b32 s0, 0
	s_mov_b32 s2, -1
	s_delay_alu instid0(VALU_DEP_2)
	v_cvt_u32_f32_e32 v8, v8
	global_store_b64 v[0:1], v[8:9], off
.LBB528_1611:
	s_mov_b32 s3, 0
.LBB528_1612:
	s_delay_alu instid0(SALU_CYCLE_1)
	s_and_b32 vcc_lo, exec_lo, s3
	s_cbranch_vccz .LBB528_1628
; %bb.1613:
	v_cmp_gt_i16_e32 vcc_lo, 27, v6
	s_mov_b32 s2, -1
	s_cbranch_vccnz .LBB528_1619
; %bb.1614:
	v_cmp_lt_i16_e32 vcc_lo, 27, v6
	s_cbranch_vccz .LBB528_1616
; %bb.1615:
	v_cvt_f32_f16_e32 v8, v3
	s_mov_b32 s2, 0
	s_delay_alu instid0(VALU_DEP_1)
	v_cvt_u32_f32_e32 v8, v8
	global_store_b32 v[0:1], v8, off
.LBB528_1616:
	s_and_not1_b32 vcc_lo, exec_lo, s2
	s_cbranch_vccnz .LBB528_1618
; %bb.1617:
	v_cvt_u16_f16_e32 v8, v3
	global_store_b16 v[0:1], v8, off
.LBB528_1618:
	s_mov_b32 s2, 0
.LBB528_1619:
	s_delay_alu instid0(SALU_CYCLE_1)
	s_and_not1_b32 vcc_lo, exec_lo, s2
	s_cbranch_vccnz .LBB528_1627
; %bb.1620:
	v_cvt_f32_f16_e32 v8, v3
	v_mov_b32_e32 v10, 0x80
	s_mov_b32 s2, exec_lo
	s_delay_alu instid0(VALU_DEP_2) | instskip(NEXT) | instid1(VALU_DEP_1)
	v_and_b32_e32 v9, 0x7fffffff, v8
	v_cmpx_gt_u32_e32 0x43800000, v9
	s_cbranch_execz .LBB528_1626
; %bb.1621:
	v_cmp_lt_u32_e32 vcc_lo, 0x3bffffff, v9
	s_mov_b32 s3, 0
                                        ; implicit-def: $vgpr9
	s_and_saveexec_b32 s6, vcc_lo
	s_delay_alu instid0(SALU_CYCLE_1)
	s_xor_b32 s6, exec_lo, s6
	s_cbranch_execz .LBB528_2077
; %bb.1622:
	v_bfe_u32 v9, v8, 20, 1
	s_mov_b32 s3, exec_lo
	s_delay_alu instid0(VALU_DEP_1) | instskip(NEXT) | instid1(VALU_DEP_1)
	v_add3_u32 v9, v8, v9, 0x487ffff
	v_lshrrev_b32_e32 v9, 20, v9
	s_or_saveexec_b32 s6, s6
                                        ; implicit-def: $sgpr7
	s_delay_alu instid0(SALU_CYCLE_1)
	s_xor_b32 exec_lo, exec_lo, s6
	s_cbranch_execnz .LBB528_2078
.LBB528_1623:
	s_or_b32 exec_lo, exec_lo, s6
	v_mov_b32_e32 v10, s7
	s_and_saveexec_b32 s6, s3
.LBB528_1624:
	v_lshrrev_b32_e32 v8, 24, v8
	s_delay_alu instid0(VALU_DEP_1)
	v_and_or_b32 v10, 0x80, v8, v9
.LBB528_1625:
	s_or_b32 exec_lo, exec_lo, s6
.LBB528_1626:
	s_delay_alu instid0(SALU_CYCLE_1)
	s_or_b32 exec_lo, exec_lo, s2
	global_store_b8 v[0:1], v10, off
.LBB528_1627:
	s_mov_b32 s2, -1
.LBB528_1628:
	s_mov_b32 s3, 0
.LBB528_1629:
	s_delay_alu instid0(SALU_CYCLE_1)
	s_and_b32 vcc_lo, exec_lo, s3
	s_cbranch_vccz .LBB528_1669
; %bb.1630:
	v_cmp_lt_i16_e32 vcc_lo, 22, v6
	s_mov_b32 s1, -1
	s_cbranch_vccz .LBB528_1662
; %bb.1631:
	v_cmp_gt_i16_e32 vcc_lo, 24, v6
	s_cbranch_vccnz .LBB528_1651
; %bb.1632:
	v_cmp_lt_i16_e32 vcc_lo, 24, v6
	s_cbranch_vccz .LBB528_1640
; %bb.1633:
	v_cvt_f32_f16_e32 v8, v3
	v_mov_b32_e32 v10, 0x80
	s_mov_b32 s1, exec_lo
	s_delay_alu instid0(VALU_DEP_2) | instskip(NEXT) | instid1(VALU_DEP_1)
	v_and_b32_e32 v9, 0x7fffffff, v8
	v_cmpx_gt_u32_e32 0x47800000, v9
	s_cbranch_execz .LBB528_1639
; %bb.1634:
	v_cmp_lt_u32_e32 vcc_lo, 0x37ffffff, v9
	s_mov_b32 s2, 0
                                        ; implicit-def: $vgpr9
	s_and_saveexec_b32 s3, vcc_lo
	s_delay_alu instid0(SALU_CYCLE_1)
	s_xor_b32 s3, exec_lo, s3
	s_cbranch_execz .LBB528_2083
; %bb.1635:
	v_bfe_u32 v9, v8, 21, 1
	s_mov_b32 s2, exec_lo
	s_delay_alu instid0(VALU_DEP_1) | instskip(NEXT) | instid1(VALU_DEP_1)
	v_add3_u32 v9, v8, v9, 0x88fffff
	v_lshrrev_b32_e32 v9, 21, v9
	s_or_saveexec_b32 s3, s3
                                        ; implicit-def: $sgpr6
	s_delay_alu instid0(SALU_CYCLE_1)
	s_xor_b32 exec_lo, exec_lo, s3
	s_cbranch_execnz .LBB528_2084
.LBB528_1636:
	s_or_b32 exec_lo, exec_lo, s3
	v_mov_b32_e32 v10, s6
	s_and_saveexec_b32 s3, s2
.LBB528_1637:
	v_lshrrev_b32_e32 v8, 24, v8
	s_delay_alu instid0(VALU_DEP_1)
	v_and_or_b32 v10, 0x80, v8, v9
.LBB528_1638:
	s_or_b32 exec_lo, exec_lo, s3
.LBB528_1639:
	s_delay_alu instid0(SALU_CYCLE_1)
	s_or_b32 exec_lo, exec_lo, s1
	s_mov_b32 s1, 0
	global_store_b8 v[0:1], v10, off
.LBB528_1640:
	s_and_b32 vcc_lo, exec_lo, s1
	s_cbranch_vccz .LBB528_1650
; %bb.1641:
	v_cvt_f32_f16_e32 v8, v3
	s_mov_b32 s1, exec_lo
                                        ; implicit-def: $vgpr9
	s_delay_alu instid0(VALU_DEP_1) | instskip(NEXT) | instid1(VALU_DEP_1)
	v_and_b32_e32 v10, 0x7fffffff, v8
	v_cmpx_gt_u32_e32 0x43f00000, v10
	s_xor_b32 s1, exec_lo, s1
	s_cbranch_execz .LBB528_1647
; %bb.1642:
	s_mov_b32 s2, exec_lo
                                        ; implicit-def: $vgpr9
	v_cmpx_lt_u32_e32 0x3c7fffff, v10
	s_xor_b32 s2, exec_lo, s2
; %bb.1643:
	v_bfe_u32 v9, v8, 20, 1
	s_delay_alu instid0(VALU_DEP_1) | instskip(NEXT) | instid1(VALU_DEP_1)
	v_add3_u32 v9, v8, v9, 0x407ffff
	v_and_b32_e32 v10, 0xff00000, v9
	v_lshrrev_b32_e32 v9, 20, v9
	s_delay_alu instid0(VALU_DEP_2) | instskip(NEXT) | instid1(VALU_DEP_2)
	v_cmp_ne_u32_e32 vcc_lo, 0x7f00000, v10
	v_cndmask_b32_e32 v9, 0x7e, v9, vcc_lo
; %bb.1644:
	s_and_not1_saveexec_b32 s2, s2
; %bb.1645:
	v_add_f32_e64 v9, 0x46800000, |v8|
; %bb.1646:
	s_or_b32 exec_lo, exec_lo, s2
                                        ; implicit-def: $vgpr10
.LBB528_1647:
	s_and_not1_saveexec_b32 s1, s1
; %bb.1648:
	v_mov_b32_e32 v9, 0x7f
	v_cmp_lt_u32_e32 vcc_lo, 0x7f800000, v10
	s_delay_alu instid0(VALU_DEP_2)
	v_cndmask_b32_e32 v9, 0x7e, v9, vcc_lo
; %bb.1649:
	s_or_b32 exec_lo, exec_lo, s1
	v_lshrrev_b32_e32 v8, 24, v8
	s_delay_alu instid0(VALU_DEP_1)
	v_and_or_b32 v8, 0x80, v8, v9
	global_store_b8 v[0:1], v8, off
.LBB528_1650:
	s_mov_b32 s1, 0
.LBB528_1651:
	s_delay_alu instid0(SALU_CYCLE_1)
	s_and_not1_b32 vcc_lo, exec_lo, s1
	s_cbranch_vccnz .LBB528_1661
; %bb.1652:
	v_cvt_f32_f16_e32 v8, v3
	s_mov_b32 s1, exec_lo
                                        ; implicit-def: $vgpr9
	s_delay_alu instid0(VALU_DEP_1) | instskip(NEXT) | instid1(VALU_DEP_1)
	v_and_b32_e32 v10, 0x7fffffff, v8
	v_cmpx_gt_u32_e32 0x47800000, v10
	s_xor_b32 s1, exec_lo, s1
	s_cbranch_execz .LBB528_1658
; %bb.1653:
	s_mov_b32 s2, exec_lo
                                        ; implicit-def: $vgpr9
	v_cmpx_lt_u32_e32 0x387fffff, v10
	s_xor_b32 s2, exec_lo, s2
; %bb.1654:
	v_bfe_u32 v9, v8, 21, 1
	s_delay_alu instid0(VALU_DEP_1) | instskip(NEXT) | instid1(VALU_DEP_1)
	v_add3_u32 v9, v8, v9, 0x80fffff
	v_lshrrev_b32_e32 v9, 21, v9
; %bb.1655:
	s_and_not1_saveexec_b32 s2, s2
; %bb.1656:
	v_add_f32_e64 v9, 0x43000000, |v8|
; %bb.1657:
	s_or_b32 exec_lo, exec_lo, s2
                                        ; implicit-def: $vgpr10
.LBB528_1658:
	s_and_not1_saveexec_b32 s1, s1
; %bb.1659:
	v_mov_b32_e32 v9, 0x7f
	v_cmp_lt_u32_e32 vcc_lo, 0x7f800000, v10
	s_delay_alu instid0(VALU_DEP_2)
	v_cndmask_b32_e32 v9, 0x7c, v9, vcc_lo
; %bb.1660:
	s_or_b32 exec_lo, exec_lo, s1
	v_lshrrev_b32_e32 v8, 24, v8
	s_delay_alu instid0(VALU_DEP_1)
	v_and_or_b32 v8, 0x80, v8, v9
	global_store_b8 v[0:1], v8, off
.LBB528_1661:
	s_mov_b32 s1, 0
	s_mov_b32 s2, -1
.LBB528_1662:
	s_and_not1_b32 vcc_lo, exec_lo, s1
	s_mov_b32 s1, 0
	s_cbranch_vccnz .LBB528_1669
; %bb.1663:
	v_cmp_lt_i16_e32 vcc_lo, 14, v6
	s_mov_b32 s1, -1
	s_cbranch_vccz .LBB528_1667
; %bb.1664:
	v_cmp_eq_u16_e32 vcc_lo, 15, v6
	s_mov_b32 s0, -1
	s_cbranch_vccz .LBB528_1666
; %bb.1665:
	v_cvt_f32_f16_e32 v8, v3
	v_cmp_o_f16_e32 vcc_lo, v3, v3
	s_mov_b32 s0, 0
	s_mov_b32 s2, -1
	s_delay_alu instid0(VALU_DEP_2) | instskip(NEXT) | instid1(VALU_DEP_1)
	v_bfe_u32 v9, v8, 16, 1
	v_add3_u32 v8, v8, v9, 0x7fff
	s_delay_alu instid0(VALU_DEP_1) | instskip(NEXT) | instid1(VALU_DEP_1)
	v_lshrrev_b32_e32 v8, 16, v8
	v_cndmask_b32_e32 v8, 0x7fc0, v8, vcc_lo
	global_store_b16 v[0:1], v8, off
.LBB528_1666:
	s_mov_b32 s1, 0
.LBB528_1667:
	s_delay_alu instid0(SALU_CYCLE_1)
	s_and_b32 vcc_lo, exec_lo, s1
	s_mov_b32 s1, 0
	s_cbranch_vccz .LBB528_1669
; %bb.1668:
	v_cmp_ne_u16_e64 s0, 11, v6
	s_mov_b32 s1, -1
.LBB528_1669:
	s_delay_alu instid0(VALU_DEP_1)
	s_and_b32 vcc_lo, exec_lo, s0
	s_cbranch_vccnz .LBB528_2081
; %bb.1670:
	s_and_not1_b32 vcc_lo, exec_lo, s1
	s_cbranch_vccnz .LBB528_1672
.LBB528_1671:
	v_and_b32_e32 v8, 0x7fff, v3
	s_mov_b32 s2, -1
	s_delay_alu instid0(VALU_DEP_1)
	v_cmp_ne_u16_e32 vcc_lo, 0, v8
	v_cndmask_b32_e64 v8, 0, 1, vcc_lo
	global_store_b8 v[0:1], v8, off
.LBB528_1672:
	s_mov_b32 s0, 0
	s_branch .LBB528_1719
.LBB528_1673:
	s_mov_b32 s0, 0
	s_mov_b32 s1, 0
                                        ; implicit-def: $vgpr6
                                        ; implicit-def: $vgpr0_vgpr1
                                        ; implicit-def: $vgpr4
.LBB528_1674:
	s_and_not1_b32 s2, s14, exec_lo
	s_and_b32 s3, s12, exec_lo
	s_and_b32 s0, s0, exec_lo
	;; [unrolled: 1-line block ×3, first 2 shown]
	s_or_b32 s14, s2, s3
.LBB528_1675:
	s_or_b32 exec_lo, exec_lo, s13
	s_and_saveexec_b32 s1, s14
	s_cbranch_execz .LBB528_1678
; %bb.1676:
	; divergent unreachable
	s_or_b32 exec_lo, exec_lo, s1
	s_and_saveexec_b32 s1, s12
	s_delay_alu instid0(SALU_CYCLE_1)
	s_xor_b32 s1, exec_lo, s1
	s_cbranch_execnz .LBB528_1679
.LBB528_1677:
	s_or_b32 exec_lo, exec_lo, s1
	s_and_saveexec_b32 s1, s0
	s_cbranch_execnz .LBB528_1680
	s_branch .LBB528_1717
.LBB528_1678:
	s_or_b32 exec_lo, exec_lo, s1
	s_and_saveexec_b32 s1, s12
	s_delay_alu instid0(SALU_CYCLE_1)
	s_xor_b32 s1, exec_lo, s1
	s_cbranch_execz .LBB528_1677
.LBB528_1679:
	s_waitcnt vmcnt(0)
	v_and_b32_e32 v2, 0x7fff, v4
	s_delay_alu instid0(VALU_DEP_1)
	v_cmp_ne_u16_e32 vcc_lo, 0, v2
	v_cndmask_b32_e64 v2, 0, 1, vcc_lo
	global_store_b8 v[0:1], v2, off
	s_or_b32 exec_lo, exec_lo, s1
	s_and_saveexec_b32 s1, s0
	s_cbranch_execz .LBB528_1717
.LBB528_1680:
	s_waitcnt vmcnt(0)
	v_cmp_gt_i16_e32 vcc_lo, 5, v6
	s_mov_b32 s0, -1
	s_cbranch_vccnz .LBB528_1701
; %bb.1681:
	v_cmp_gt_i16_e32 vcc_lo, 8, v6
	s_cbranch_vccnz .LBB528_1691
; %bb.1682:
	v_cmp_gt_i16_e32 vcc_lo, 9, v6
	s_cbranch_vccnz .LBB528_1688
; %bb.1683:
	v_cmp_lt_i16_e32 vcc_lo, 9, v6
	s_cbranch_vccz .LBB528_1685
; %bb.1684:
	v_cvt_f32_f16_e32 v2, v4
	v_mov_b32_e32 v9, 0
	s_mov_b32 s0, 0
	s_delay_alu instid0(VALU_DEP_2) | instskip(NEXT) | instid1(VALU_DEP_2)
	v_cvt_f64_f32_e32 v[7:8], v2
	v_mov_b32_e32 v10, v9
	global_store_b128 v[0:1], v[7:10], off
.LBB528_1685:
	s_and_not1_b32 vcc_lo, exec_lo, s0
	s_cbranch_vccnz .LBB528_1687
; %bb.1686:
	v_cvt_f32_f16_e32 v2, v4
	v_mov_b32_e32 v3, 0
	global_store_b64 v[0:1], v[2:3], off
.LBB528_1687:
	s_mov_b32 s0, 0
.LBB528_1688:
	s_delay_alu instid0(SALU_CYCLE_1)
	s_and_not1_b32 vcc_lo, exec_lo, s0
	s_cbranch_vccnz .LBB528_1690
; %bb.1689:
	v_and_b32_e32 v2, 0xffff, v4
	global_store_b32 v[0:1], v2, off
.LBB528_1690:
	s_mov_b32 s0, 0
.LBB528_1691:
	s_delay_alu instid0(SALU_CYCLE_1)
	s_and_not1_b32 vcc_lo, exec_lo, s0
	s_cbranch_vccnz .LBB528_1700
; %bb.1692:
	v_cmp_gt_i16_e32 vcc_lo, 6, v6
	s_mov_b32 s0, -1
	s_cbranch_vccnz .LBB528_1698
; %bb.1693:
	v_cmp_lt_i16_e32 vcc_lo, 6, v6
	s_cbranch_vccz .LBB528_1695
; %bb.1694:
	v_cvt_f32_f16_e32 v2, v4
	s_mov_b32 s0, 0
	s_delay_alu instid0(VALU_DEP_1)
	v_cvt_f64_f32_e32 v[2:3], v2
	global_store_b64 v[0:1], v[2:3], off
.LBB528_1695:
	s_and_not1_b32 vcc_lo, exec_lo, s0
	s_cbranch_vccnz .LBB528_1697
; %bb.1696:
	v_cvt_f32_f16_e32 v2, v4
	global_store_b32 v[0:1], v2, off
.LBB528_1697:
	s_mov_b32 s0, 0
.LBB528_1698:
	s_delay_alu instid0(SALU_CYCLE_1)
	s_and_not1_b32 vcc_lo, exec_lo, s0
	s_cbranch_vccnz .LBB528_1700
; %bb.1699:
	global_store_b16 v[0:1], v4, off
.LBB528_1700:
	s_mov_b32 s0, 0
.LBB528_1701:
	s_delay_alu instid0(SALU_CYCLE_1)
	s_and_not1_b32 vcc_lo, exec_lo, s0
	s_cbranch_vccnz .LBB528_1717
; %bb.1702:
	v_cmp_gt_i16_e32 vcc_lo, 2, v6
	s_mov_b32 s0, -1
	s_cbranch_vccnz .LBB528_1712
; %bb.1703:
	v_cmp_gt_i16_e32 vcc_lo, 3, v6
	s_cbranch_vccnz .LBB528_1709
; %bb.1704:
	v_cmp_lt_i16_e32 vcc_lo, 3, v6
	s_cbranch_vccz .LBB528_1706
; %bb.1705:
	v_cvt_f32_f16_e32 v2, v4
	s_mov_b32 s0, 0
	s_delay_alu instid0(VALU_DEP_1) | instskip(NEXT) | instid1(VALU_DEP_1)
	v_cvt_i32_f32_e32 v2, v2
	v_ashrrev_i32_e32 v3, 31, v2
	global_store_b64 v[0:1], v[2:3], off
.LBB528_1706:
	s_and_not1_b32 vcc_lo, exec_lo, s0
	s_cbranch_vccnz .LBB528_1708
; %bb.1707:
	v_cvt_f32_f16_e32 v2, v4
	s_delay_alu instid0(VALU_DEP_1)
	v_cvt_i32_f32_e32 v2, v2
	global_store_b32 v[0:1], v2, off
.LBB528_1708:
	s_mov_b32 s0, 0
.LBB528_1709:
	s_delay_alu instid0(SALU_CYCLE_1)
	s_and_not1_b32 vcc_lo, exec_lo, s0
	s_cbranch_vccnz .LBB528_1711
; %bb.1710:
	v_cvt_i16_f16_e32 v2, v4
	global_store_b16 v[0:1], v2, off
.LBB528_1711:
	s_mov_b32 s0, 0
.LBB528_1712:
	s_delay_alu instid0(SALU_CYCLE_1)
	s_and_not1_b32 vcc_lo, exec_lo, s0
	s_cbranch_vccnz .LBB528_1717
; %bb.1713:
	v_cmp_lt_i16_e32 vcc_lo, 0, v6
	s_mov_b32 s0, -1
	s_cbranch_vccz .LBB528_1715
; %bb.1714:
	v_cvt_i16_f16_e32 v2, v4
	s_mov_b32 s0, 0
	global_store_b8 v[0:1], v2, off
.LBB528_1715:
	s_and_not1_b32 vcc_lo, exec_lo, s0
	s_cbranch_vccnz .LBB528_1717
; %bb.1716:
	v_cvt_f32_f16_e32 v2, v4
	s_delay_alu instid0(VALU_DEP_1)
	v_cvt_i32_f32_e32 v2, v2
	global_store_b8 v[0:1], v2, off
	s_nop 0
	s_sendmsg sendmsg(MSG_DEALLOC_VGPRS)
	s_endpgm
.LBB528_1717:
	s_nop 0
	s_sendmsg sendmsg(MSG_DEALLOC_VGPRS)
	s_endpgm
.LBB528_1718:
	s_mov_b32 s0, -1
	s_mov_b32 s2, 0
.LBB528_1719:
	s_and_b32 vcc_lo, exec_lo, s0
	s_cbranch_vccz .LBB528_1758
; %bb.1720:
	v_cmp_gt_i16_e32 vcc_lo, 5, v6
	s_mov_b32 s0, -1
	s_cbranch_vccnz .LBB528_1741
; %bb.1721:
	v_cmp_gt_i16_e32 vcc_lo, 8, v6
	s_cbranch_vccnz .LBB528_1731
; %bb.1722:
	v_cmp_gt_i16_e32 vcc_lo, 9, v6
	s_cbranch_vccnz .LBB528_1728
; %bb.1723:
	v_cmp_lt_i16_e32 vcc_lo, 9, v6
	s_cbranch_vccz .LBB528_1725
; %bb.1724:
	v_cvt_f32_f16_e32 v8, v3
	v_mov_b32_e32 v10, 0
	s_mov_b32 s0, 0
	s_delay_alu instid0(VALU_DEP_2) | instskip(NEXT) | instid1(VALU_DEP_2)
	v_cvt_f64_f32_e32 v[8:9], v8
	v_mov_b32_e32 v11, v10
	global_store_b128 v[0:1], v[8:11], off
.LBB528_1725:
	s_and_not1_b32 vcc_lo, exec_lo, s0
	s_cbranch_vccnz .LBB528_1727
; %bb.1726:
	v_cvt_f32_f16_e32 v8, v3
	v_mov_b32_e32 v9, 0
	global_store_b64 v[0:1], v[8:9], off
.LBB528_1727:
	s_mov_b32 s0, 0
.LBB528_1728:
	s_delay_alu instid0(SALU_CYCLE_1)
	s_and_not1_b32 vcc_lo, exec_lo, s0
	s_cbranch_vccnz .LBB528_1730
; %bb.1729:
	v_and_b32_e32 v8, 0xffff, v3
	global_store_b32 v[0:1], v8, off
.LBB528_1730:
	s_mov_b32 s0, 0
.LBB528_1731:
	s_delay_alu instid0(SALU_CYCLE_1)
	s_and_not1_b32 vcc_lo, exec_lo, s0
	s_cbranch_vccnz .LBB528_1740
; %bb.1732:
	v_cmp_gt_i16_e32 vcc_lo, 6, v6
	s_mov_b32 s0, -1
	s_cbranch_vccnz .LBB528_1738
; %bb.1733:
	v_cmp_lt_i16_e32 vcc_lo, 6, v6
	s_cbranch_vccz .LBB528_1735
; %bb.1734:
	v_cvt_f32_f16_e32 v8, v3
	s_mov_b32 s0, 0
	s_delay_alu instid0(VALU_DEP_1)
	v_cvt_f64_f32_e32 v[8:9], v8
	global_store_b64 v[0:1], v[8:9], off
.LBB528_1735:
	s_and_not1_b32 vcc_lo, exec_lo, s0
	s_cbranch_vccnz .LBB528_1737
; %bb.1736:
	v_cvt_f32_f16_e32 v8, v3
	global_store_b32 v[0:1], v8, off
.LBB528_1737:
	s_mov_b32 s0, 0
.LBB528_1738:
	s_delay_alu instid0(SALU_CYCLE_1)
	s_and_not1_b32 vcc_lo, exec_lo, s0
	s_cbranch_vccnz .LBB528_1740
; %bb.1739:
	global_store_b16 v[0:1], v3, off
.LBB528_1740:
	s_mov_b32 s0, 0
.LBB528_1741:
	s_delay_alu instid0(SALU_CYCLE_1)
	s_and_not1_b32 vcc_lo, exec_lo, s0
	s_cbranch_vccnz .LBB528_1757
; %bb.1742:
	v_cmp_gt_i16_e32 vcc_lo, 2, v6
	s_mov_b32 s0, -1
	s_cbranch_vccnz .LBB528_1752
; %bb.1743:
	v_cmp_gt_i16_e32 vcc_lo, 3, v6
	s_cbranch_vccnz .LBB528_1749
; %bb.1744:
	v_cmp_lt_i16_e32 vcc_lo, 3, v6
	s_cbranch_vccz .LBB528_1746
; %bb.1745:
	v_cvt_f32_f16_e32 v8, v3
	s_mov_b32 s0, 0
	s_delay_alu instid0(VALU_DEP_1) | instskip(NEXT) | instid1(VALU_DEP_1)
	v_cvt_i32_f32_e32 v8, v8
	v_ashrrev_i32_e32 v9, 31, v8
	global_store_b64 v[0:1], v[8:9], off
.LBB528_1746:
	s_and_not1_b32 vcc_lo, exec_lo, s0
	s_cbranch_vccnz .LBB528_1748
; %bb.1747:
	v_cvt_f32_f16_e32 v8, v3
	s_delay_alu instid0(VALU_DEP_1)
	v_cvt_i32_f32_e32 v8, v8
	global_store_b32 v[0:1], v8, off
.LBB528_1748:
	s_mov_b32 s0, 0
.LBB528_1749:
	s_delay_alu instid0(SALU_CYCLE_1)
	s_and_not1_b32 vcc_lo, exec_lo, s0
	s_cbranch_vccnz .LBB528_1751
; %bb.1750:
	v_cvt_i16_f16_e32 v8, v3
	global_store_b16 v[0:1], v8, off
.LBB528_1751:
	s_mov_b32 s0, 0
.LBB528_1752:
	s_delay_alu instid0(SALU_CYCLE_1)
	s_and_not1_b32 vcc_lo, exec_lo, s0
	s_cbranch_vccnz .LBB528_1757
; %bb.1753:
	v_cmp_lt_i16_e32 vcc_lo, 0, v6
	s_mov_b32 s0, -1
	s_cbranch_vccz .LBB528_1755
; %bb.1754:
	v_cvt_i16_f16_e32 v8, v3
	s_mov_b32 s0, 0
	global_store_b8 v[0:1], v8, off
.LBB528_1755:
	s_and_not1_b32 vcc_lo, exec_lo, s0
	s_cbranch_vccnz .LBB528_1757
; %bb.1756:
	v_cvt_f32_f16_e32 v3, v3
	s_delay_alu instid0(VALU_DEP_1)
	v_cvt_i32_f32_e32 v3, v3
	global_store_b8 v[0:1], v3, off
.LBB528_1757:
	s_mov_b32 s2, -1
.LBB528_1758:
	s_delay_alu instid0(SALU_CYCLE_1)
	s_and_not1_b32 vcc_lo, exec_lo, s2
	s_cbranch_vccnz .LBB528_2073
; %bb.1759:
	s_lshl_b32 s1, s8, 7
	v_cmp_gt_i16_e32 vcc_lo, 11, v6
	v_add_nc_u32_e32 v2, s1, v2
	s_delay_alu instid0(VALU_DEP_1) | instskip(SKIP_1) | instid1(VALU_DEP_1)
	v_ashrrev_i32_e32 v1, 31, v2
	v_add_co_u32 v0, s0, s4, v2
	v_add_co_ci_u32_e64 v1, s0, s5, v1, s0
	s_cbranch_vccnz .LBB528_1837
; %bb.1760:
	v_cmp_lt_i16_e32 vcc_lo, 25, v6
	s_mov_b32 s6, -1
	s_mov_b32 s2, 0
	s_mov_b32 s3, 0
	;; [unrolled: 1-line block ×3, first 2 shown]
	s_cbranch_vccz .LBB528_1793
; %bb.1761:
	v_cmp_lt_i16_e32 vcc_lo, 28, v6
	s_cbranch_vccz .LBB528_1776
; %bb.1762:
	v_cmp_lt_i16_e32 vcc_lo, 43, v6
	s_cbranch_vccz .LBB528_1772
; %bb.1763:
	v_cmp_lt_i16_e32 vcc_lo, 45, v6
	s_cbranch_vccz .LBB528_1766
; %bb.1764:
	v_cmp_eq_u16_e32 vcc_lo, 46, v6
	s_mov_b32 s0, -1
	s_mov_b32 s6, 0
	s_cbranch_vccz .LBB528_1766
; %bb.1765:
	v_cvt_f32_f16_e32 v3, v5
	v_cmp_o_f16_e32 vcc_lo, v5, v5
	s_mov_b32 s0, 0
	s_mov_b32 s3, -1
	s_delay_alu instid0(VALU_DEP_2) | instskip(NEXT) | instid1(VALU_DEP_1)
	v_bfe_u32 v8, v3, 16, 1
	v_add3_u32 v3, v3, v8, 0x7fff
	s_delay_alu instid0(VALU_DEP_1) | instskip(NEXT) | instid1(VALU_DEP_1)
	v_lshrrev_b32_e32 v3, 16, v3
	v_cndmask_b32_e32 v3, 0x7fc0, v3, vcc_lo
	global_store_b32 v[0:1], v3, off
.LBB528_1766:
	s_and_b32 vcc_lo, exec_lo, s6
	s_cbranch_vccz .LBB528_1771
; %bb.1767:
	v_cmp_eq_u16_e32 vcc_lo, 44, v6
	s_mov_b32 s0, -1
	s_cbranch_vccz .LBB528_1771
; %bb.1768:
	v_cvt_f32_f16_e32 v3, v5
	v_mov_b32_e32 v8, 0xff
	s_mov_b32 s3, exec_lo
	s_delay_alu instid0(VALU_DEP_2) | instskip(NEXT) | instid1(VALU_DEP_1)
	v_bfe_u32 v9, v3, 23, 8
	v_cmpx_ne_u32_e32 0xff, v9
; %bb.1769:
	v_and_b32_e32 v8, 0x400000, v3
	v_and_or_b32 v9, 0x3fffff, v3, v9
	v_lshrrev_b32_e32 v3, 23, v3
	s_delay_alu instid0(VALU_DEP_3) | instskip(NEXT) | instid1(VALU_DEP_3)
	v_cmp_ne_u32_e32 vcc_lo, 0, v8
	v_cmp_ne_u32_e64 s0, 0, v9
	s_delay_alu instid0(VALU_DEP_1) | instskip(NEXT) | instid1(SALU_CYCLE_1)
	s_and_b32 s0, vcc_lo, s0
	v_cndmask_b32_e64 v8, 0, 1, s0
	s_delay_alu instid0(VALU_DEP_1)
	v_add_nc_u32_e32 v8, v3, v8
; %bb.1770:
	s_or_b32 exec_lo, exec_lo, s3
	s_mov_b32 s0, 0
	s_mov_b32 s3, -1
	global_store_b8 v[0:1], v8, off
.LBB528_1771:
	s_mov_b32 s6, 0
.LBB528_1772:
	s_delay_alu instid0(SALU_CYCLE_1)
	s_and_b32 vcc_lo, exec_lo, s6
	s_cbranch_vccz .LBB528_1775
; %bb.1773:
	v_cmp_eq_u16_e32 vcc_lo, 29, v6
	s_mov_b32 s0, -1
	s_cbranch_vccz .LBB528_1775
; %bb.1774:
	v_cvt_f32_f16_e32 v3, v5
	v_mov_b32_e32 v9, 0
	s_mov_b32 s0, 0
	s_mov_b32 s3, -1
	s_delay_alu instid0(VALU_DEP_2)
	v_cvt_u32_f32_e32 v8, v3
	global_store_b64 v[0:1], v[8:9], off
.LBB528_1775:
	s_mov_b32 s6, 0
.LBB528_1776:
	s_delay_alu instid0(SALU_CYCLE_1)
	s_and_b32 vcc_lo, exec_lo, s6
	s_cbranch_vccz .LBB528_1792
; %bb.1777:
	v_cmp_gt_i16_e32 vcc_lo, 27, v6
	s_mov_b32 s3, -1
	s_cbranch_vccnz .LBB528_1783
; %bb.1778:
	v_cmp_lt_i16_e32 vcc_lo, 27, v6
	s_cbranch_vccz .LBB528_1780
; %bb.1779:
	v_cvt_f32_f16_e32 v3, v5
	s_mov_b32 s3, 0
	s_delay_alu instid0(VALU_DEP_1)
	v_cvt_u32_f32_e32 v3, v3
	global_store_b32 v[0:1], v3, off
.LBB528_1780:
	s_and_not1_b32 vcc_lo, exec_lo, s3
	s_cbranch_vccnz .LBB528_1782
; %bb.1781:
	v_cvt_u16_f16_e32 v3, v5
	global_store_b16 v[0:1], v3, off
.LBB528_1782:
	s_mov_b32 s3, 0
.LBB528_1783:
	s_delay_alu instid0(SALU_CYCLE_1)
	s_and_not1_b32 vcc_lo, exec_lo, s3
	s_cbranch_vccnz .LBB528_1791
; %bb.1784:
	v_cvt_f32_f16_e32 v3, v5
	v_mov_b32_e32 v9, 0x80
	s_mov_b32 s3, exec_lo
	s_delay_alu instid0(VALU_DEP_2) | instskip(NEXT) | instid1(VALU_DEP_1)
	v_and_b32_e32 v8, 0x7fffffff, v3
	v_cmpx_gt_u32_e32 0x43800000, v8
	s_cbranch_execz .LBB528_1790
; %bb.1785:
	v_cmp_lt_u32_e32 vcc_lo, 0x3bffffff, v8
	s_mov_b32 s6, 0
                                        ; implicit-def: $vgpr8
	s_and_saveexec_b32 s7, vcc_lo
	s_delay_alu instid0(SALU_CYCLE_1)
	s_xor_b32 s7, exec_lo, s7
	s_cbranch_execz .LBB528_2085
; %bb.1786:
	v_bfe_u32 v8, v3, 20, 1
	s_mov_b32 s6, exec_lo
	s_delay_alu instid0(VALU_DEP_1) | instskip(NEXT) | instid1(VALU_DEP_1)
	v_add3_u32 v8, v3, v8, 0x487ffff
	v_lshrrev_b32_e32 v8, 20, v8
	s_or_saveexec_b32 s7, s7
                                        ; implicit-def: $sgpr8
	s_delay_alu instid0(SALU_CYCLE_1)
	s_xor_b32 exec_lo, exec_lo, s7
	s_cbranch_execnz .LBB528_2086
.LBB528_1787:
	s_or_b32 exec_lo, exec_lo, s7
	v_mov_b32_e32 v9, s8
	s_and_saveexec_b32 s7, s6
.LBB528_1788:
	v_lshrrev_b32_e32 v3, 24, v3
	s_delay_alu instid0(VALU_DEP_1)
	v_and_or_b32 v9, 0x80, v3, v8
.LBB528_1789:
	s_or_b32 exec_lo, exec_lo, s7
.LBB528_1790:
	s_delay_alu instid0(SALU_CYCLE_1)
	s_or_b32 exec_lo, exec_lo, s3
	global_store_b8 v[0:1], v9, off
.LBB528_1791:
	s_mov_b32 s3, -1
.LBB528_1792:
	s_mov_b32 s6, 0
.LBB528_1793:
	s_delay_alu instid0(SALU_CYCLE_1)
	s_and_b32 vcc_lo, exec_lo, s6
	s_cbranch_vccz .LBB528_1833
; %bb.1794:
	v_cmp_lt_i16_e32 vcc_lo, 22, v6
	s_mov_b32 s2, -1
	s_cbranch_vccz .LBB528_1826
; %bb.1795:
	v_cmp_gt_i16_e32 vcc_lo, 24, v6
	s_cbranch_vccnz .LBB528_1815
; %bb.1796:
	v_cmp_lt_i16_e32 vcc_lo, 24, v6
	s_cbranch_vccz .LBB528_1804
; %bb.1797:
	v_cvt_f32_f16_e32 v3, v5
	v_mov_b32_e32 v9, 0x80
	s_mov_b32 s2, exec_lo
	s_delay_alu instid0(VALU_DEP_2) | instskip(NEXT) | instid1(VALU_DEP_1)
	v_and_b32_e32 v8, 0x7fffffff, v3
	v_cmpx_gt_u32_e32 0x47800000, v8
	s_cbranch_execz .LBB528_1803
; %bb.1798:
	v_cmp_lt_u32_e32 vcc_lo, 0x37ffffff, v8
	s_mov_b32 s3, 0
                                        ; implicit-def: $vgpr8
	s_and_saveexec_b32 s6, vcc_lo
	s_delay_alu instid0(SALU_CYCLE_1)
	s_xor_b32 s6, exec_lo, s6
	s_cbranch_execz .LBB528_2091
; %bb.1799:
	v_bfe_u32 v8, v3, 21, 1
	s_mov_b32 s3, exec_lo
	s_delay_alu instid0(VALU_DEP_1) | instskip(NEXT) | instid1(VALU_DEP_1)
	v_add3_u32 v8, v3, v8, 0x88fffff
	v_lshrrev_b32_e32 v8, 21, v8
	s_or_saveexec_b32 s6, s6
                                        ; implicit-def: $sgpr7
	s_delay_alu instid0(SALU_CYCLE_1)
	s_xor_b32 exec_lo, exec_lo, s6
	s_cbranch_execnz .LBB528_2092
.LBB528_1800:
	s_or_b32 exec_lo, exec_lo, s6
	v_mov_b32_e32 v9, s7
	s_and_saveexec_b32 s6, s3
.LBB528_1801:
	v_lshrrev_b32_e32 v3, 24, v3
	s_delay_alu instid0(VALU_DEP_1)
	v_and_or_b32 v9, 0x80, v3, v8
.LBB528_1802:
	s_or_b32 exec_lo, exec_lo, s6
.LBB528_1803:
	s_delay_alu instid0(SALU_CYCLE_1)
	s_or_b32 exec_lo, exec_lo, s2
	s_mov_b32 s2, 0
	global_store_b8 v[0:1], v9, off
.LBB528_1804:
	s_and_b32 vcc_lo, exec_lo, s2
	s_cbranch_vccz .LBB528_1814
; %bb.1805:
	v_cvt_f32_f16_e32 v3, v5
	s_mov_b32 s2, exec_lo
                                        ; implicit-def: $vgpr8
	s_delay_alu instid0(VALU_DEP_1) | instskip(NEXT) | instid1(VALU_DEP_1)
	v_and_b32_e32 v9, 0x7fffffff, v3
	v_cmpx_gt_u32_e32 0x43f00000, v9
	s_xor_b32 s2, exec_lo, s2
	s_cbranch_execz .LBB528_1811
; %bb.1806:
	s_mov_b32 s3, exec_lo
                                        ; implicit-def: $vgpr8
	v_cmpx_lt_u32_e32 0x3c7fffff, v9
	s_xor_b32 s3, exec_lo, s3
; %bb.1807:
	v_bfe_u32 v8, v3, 20, 1
	s_delay_alu instid0(VALU_DEP_1) | instskip(NEXT) | instid1(VALU_DEP_1)
	v_add3_u32 v8, v3, v8, 0x407ffff
	v_and_b32_e32 v9, 0xff00000, v8
	v_lshrrev_b32_e32 v8, 20, v8
	s_delay_alu instid0(VALU_DEP_2) | instskip(NEXT) | instid1(VALU_DEP_2)
	v_cmp_ne_u32_e32 vcc_lo, 0x7f00000, v9
	v_cndmask_b32_e32 v8, 0x7e, v8, vcc_lo
; %bb.1808:
	s_and_not1_saveexec_b32 s3, s3
; %bb.1809:
	v_add_f32_e64 v8, 0x46800000, |v3|
; %bb.1810:
	s_or_b32 exec_lo, exec_lo, s3
                                        ; implicit-def: $vgpr9
.LBB528_1811:
	s_and_not1_saveexec_b32 s2, s2
; %bb.1812:
	v_mov_b32_e32 v8, 0x7f
	v_cmp_lt_u32_e32 vcc_lo, 0x7f800000, v9
	s_delay_alu instid0(VALU_DEP_2)
	v_cndmask_b32_e32 v8, 0x7e, v8, vcc_lo
; %bb.1813:
	s_or_b32 exec_lo, exec_lo, s2
	v_lshrrev_b32_e32 v3, 24, v3
	s_delay_alu instid0(VALU_DEP_1)
	v_and_or_b32 v3, 0x80, v3, v8
	global_store_b8 v[0:1], v3, off
.LBB528_1814:
	s_mov_b32 s2, 0
.LBB528_1815:
	s_delay_alu instid0(SALU_CYCLE_1)
	s_and_not1_b32 vcc_lo, exec_lo, s2
	s_cbranch_vccnz .LBB528_1825
; %bb.1816:
	v_cvt_f32_f16_e32 v3, v5
	s_mov_b32 s2, exec_lo
                                        ; implicit-def: $vgpr8
	s_delay_alu instid0(VALU_DEP_1) | instskip(NEXT) | instid1(VALU_DEP_1)
	v_and_b32_e32 v9, 0x7fffffff, v3
	v_cmpx_gt_u32_e32 0x47800000, v9
	s_xor_b32 s2, exec_lo, s2
	s_cbranch_execz .LBB528_1822
; %bb.1817:
	s_mov_b32 s3, exec_lo
                                        ; implicit-def: $vgpr8
	v_cmpx_lt_u32_e32 0x387fffff, v9
	s_xor_b32 s3, exec_lo, s3
; %bb.1818:
	v_bfe_u32 v8, v3, 21, 1
	s_delay_alu instid0(VALU_DEP_1) | instskip(NEXT) | instid1(VALU_DEP_1)
	v_add3_u32 v8, v3, v8, 0x80fffff
	v_lshrrev_b32_e32 v8, 21, v8
; %bb.1819:
	s_and_not1_saveexec_b32 s3, s3
; %bb.1820:
	v_add_f32_e64 v8, 0x43000000, |v3|
; %bb.1821:
	s_or_b32 exec_lo, exec_lo, s3
                                        ; implicit-def: $vgpr9
.LBB528_1822:
	s_and_not1_saveexec_b32 s2, s2
; %bb.1823:
	v_mov_b32_e32 v8, 0x7f
	v_cmp_lt_u32_e32 vcc_lo, 0x7f800000, v9
	s_delay_alu instid0(VALU_DEP_2)
	v_cndmask_b32_e32 v8, 0x7c, v8, vcc_lo
; %bb.1824:
	s_or_b32 exec_lo, exec_lo, s2
	v_lshrrev_b32_e32 v3, 24, v3
	s_delay_alu instid0(VALU_DEP_1)
	v_and_or_b32 v3, 0x80, v3, v8
	global_store_b8 v[0:1], v3, off
.LBB528_1825:
	s_mov_b32 s2, 0
	s_mov_b32 s3, -1
.LBB528_1826:
	s_and_not1_b32 vcc_lo, exec_lo, s2
	s_mov_b32 s2, 0
	s_cbranch_vccnz .LBB528_1833
; %bb.1827:
	v_cmp_lt_i16_e32 vcc_lo, 14, v6
	s_mov_b32 s2, -1
	s_cbranch_vccz .LBB528_1831
; %bb.1828:
	v_cmp_eq_u16_e32 vcc_lo, 15, v6
	s_mov_b32 s0, -1
	s_cbranch_vccz .LBB528_1830
; %bb.1829:
	v_cvt_f32_f16_e32 v3, v5
	v_cmp_o_f16_e32 vcc_lo, v5, v5
	s_mov_b32 s0, 0
	s_mov_b32 s3, -1
	s_delay_alu instid0(VALU_DEP_2) | instskip(NEXT) | instid1(VALU_DEP_1)
	v_bfe_u32 v8, v3, 16, 1
	v_add3_u32 v3, v3, v8, 0x7fff
	s_delay_alu instid0(VALU_DEP_1) | instskip(NEXT) | instid1(VALU_DEP_1)
	v_lshrrev_b32_e32 v3, 16, v3
	v_cndmask_b32_e32 v3, 0x7fc0, v3, vcc_lo
	global_store_b16 v[0:1], v3, off
.LBB528_1830:
	s_mov_b32 s2, 0
.LBB528_1831:
	s_delay_alu instid0(SALU_CYCLE_1)
	s_and_b32 vcc_lo, exec_lo, s2
	s_mov_b32 s2, 0
	s_cbranch_vccz .LBB528_1833
; %bb.1832:
	v_cmp_ne_u16_e64 s0, 11, v6
	s_mov_b32 s2, -1
.LBB528_1833:
	s_delay_alu instid0(VALU_DEP_1)
	s_and_b32 vcc_lo, exec_lo, s0
	s_cbranch_vccnz .LBB528_2089
; %bb.1834:
	s_and_not1_b32 vcc_lo, exec_lo, s2
	s_cbranch_vccnz .LBB528_1836
.LBB528_1835:
	v_and_b32_e32 v3, 0x7fff, v5
	s_mov_b32 s3, -1
	s_delay_alu instid0(VALU_DEP_1)
	v_cmp_ne_u16_e32 vcc_lo, 0, v3
	v_cndmask_b32_e64 v3, 0, 1, vcc_lo
	global_store_b8 v[0:1], v3, off
.LBB528_1836:
	s_mov_b32 s0, 0
	s_branch .LBB528_1838
.LBB528_1837:
	s_mov_b32 s0, -1
	s_mov_b32 s3, 0
.LBB528_1838:
	s_and_b32 vcc_lo, exec_lo, s0
	s_cbranch_vccz .LBB528_1877
; %bb.1839:
	v_cmp_gt_i16_e32 vcc_lo, 5, v6
	s_mov_b32 s0, -1
	s_cbranch_vccnz .LBB528_1860
; %bb.1840:
	v_cmp_gt_i16_e32 vcc_lo, 8, v6
	s_cbranch_vccnz .LBB528_1850
; %bb.1841:
	v_cmp_gt_i16_e32 vcc_lo, 9, v6
	s_cbranch_vccnz .LBB528_1847
; %bb.1842:
	v_cmp_lt_i16_e32 vcc_lo, 9, v6
	s_cbranch_vccz .LBB528_1844
; %bb.1843:
	v_cvt_f32_f16_e32 v3, v5
	v_mov_b32_e32 v10, 0
	s_mov_b32 s0, 0
	s_delay_alu instid0(VALU_DEP_2) | instskip(NEXT) | instid1(VALU_DEP_2)
	v_cvt_f64_f32_e32 v[8:9], v3
	v_mov_b32_e32 v11, v10
	global_store_b128 v[0:1], v[8:11], off
.LBB528_1844:
	s_and_not1_b32 vcc_lo, exec_lo, s0
	s_cbranch_vccnz .LBB528_1846
; %bb.1845:
	v_cvt_f32_f16_e32 v8, v5
	v_mov_b32_e32 v9, 0
	global_store_b64 v[0:1], v[8:9], off
.LBB528_1846:
	s_mov_b32 s0, 0
.LBB528_1847:
	s_delay_alu instid0(SALU_CYCLE_1)
	s_and_not1_b32 vcc_lo, exec_lo, s0
	s_cbranch_vccnz .LBB528_1849
; %bb.1848:
	v_and_b32_e32 v3, 0xffff, v5
	global_store_b32 v[0:1], v3, off
.LBB528_1849:
	s_mov_b32 s0, 0
.LBB528_1850:
	s_delay_alu instid0(SALU_CYCLE_1)
	s_and_not1_b32 vcc_lo, exec_lo, s0
	s_cbranch_vccnz .LBB528_1859
; %bb.1851:
	v_cmp_gt_i16_e32 vcc_lo, 6, v6
	s_mov_b32 s0, -1
	s_cbranch_vccnz .LBB528_1857
; %bb.1852:
	v_cmp_lt_i16_e32 vcc_lo, 6, v6
	s_cbranch_vccz .LBB528_1854
; %bb.1853:
	v_cvt_f32_f16_e32 v3, v5
	s_mov_b32 s0, 0
	s_delay_alu instid0(VALU_DEP_1)
	v_cvt_f64_f32_e32 v[8:9], v3
	global_store_b64 v[0:1], v[8:9], off
.LBB528_1854:
	s_and_not1_b32 vcc_lo, exec_lo, s0
	s_cbranch_vccnz .LBB528_1856
; %bb.1855:
	v_cvt_f32_f16_e32 v3, v5
	global_store_b32 v[0:1], v3, off
.LBB528_1856:
	s_mov_b32 s0, 0
.LBB528_1857:
	s_delay_alu instid0(SALU_CYCLE_1)
	s_and_not1_b32 vcc_lo, exec_lo, s0
	s_cbranch_vccnz .LBB528_1859
; %bb.1858:
	global_store_b16 v[0:1], v5, off
.LBB528_1859:
	s_mov_b32 s0, 0
.LBB528_1860:
	s_delay_alu instid0(SALU_CYCLE_1)
	s_and_not1_b32 vcc_lo, exec_lo, s0
	s_cbranch_vccnz .LBB528_1876
; %bb.1861:
	v_cmp_gt_i16_e32 vcc_lo, 2, v6
	s_mov_b32 s0, -1
	s_cbranch_vccnz .LBB528_1871
; %bb.1862:
	v_cmp_gt_i16_e32 vcc_lo, 3, v6
	s_cbranch_vccnz .LBB528_1868
; %bb.1863:
	v_cmp_lt_i16_e32 vcc_lo, 3, v6
	s_cbranch_vccz .LBB528_1865
; %bb.1864:
	v_cvt_f32_f16_e32 v3, v5
	s_mov_b32 s0, 0
	s_delay_alu instid0(VALU_DEP_1) | instskip(NEXT) | instid1(VALU_DEP_1)
	v_cvt_i32_f32_e32 v8, v3
	v_ashrrev_i32_e32 v9, 31, v8
	global_store_b64 v[0:1], v[8:9], off
.LBB528_1865:
	s_and_not1_b32 vcc_lo, exec_lo, s0
	s_cbranch_vccnz .LBB528_1867
; %bb.1866:
	v_cvt_f32_f16_e32 v3, v5
	s_delay_alu instid0(VALU_DEP_1)
	v_cvt_i32_f32_e32 v3, v3
	global_store_b32 v[0:1], v3, off
.LBB528_1867:
	s_mov_b32 s0, 0
.LBB528_1868:
	s_delay_alu instid0(SALU_CYCLE_1)
	s_and_not1_b32 vcc_lo, exec_lo, s0
	s_cbranch_vccnz .LBB528_1870
; %bb.1869:
	v_cvt_i16_f16_e32 v3, v5
	global_store_b16 v[0:1], v3, off
.LBB528_1870:
	s_mov_b32 s0, 0
.LBB528_1871:
	s_delay_alu instid0(SALU_CYCLE_1)
	s_and_not1_b32 vcc_lo, exec_lo, s0
	s_cbranch_vccnz .LBB528_1876
; %bb.1872:
	v_cmp_lt_i16_e32 vcc_lo, 0, v6
	s_mov_b32 s0, -1
	s_cbranch_vccz .LBB528_1874
; %bb.1873:
	v_cvt_i16_f16_e32 v3, v5
	s_mov_b32 s0, 0
	global_store_b8 v[0:1], v3, off
.LBB528_1874:
	s_and_not1_b32 vcc_lo, exec_lo, s0
	s_cbranch_vccnz .LBB528_1876
; %bb.1875:
	v_cvt_f32_f16_e32 v3, v5
	s_delay_alu instid0(VALU_DEP_1)
	v_cvt_i32_f32_e32 v3, v3
	global_store_b8 v[0:1], v3, off
.LBB528_1876:
	s_mov_b32 s3, -1
.LBB528_1877:
	s_delay_alu instid0(SALU_CYCLE_1)
	s_and_not1_b32 vcc_lo, exec_lo, s3
	s_cbranch_vccnz .LBB528_2073
; %bb.1878:
	v_add_nc_u32_e32 v2, s1, v2
	v_cmp_gt_i16_e32 vcc_lo, 11, v6
	s_delay_alu instid0(VALU_DEP_2) | instskip(SKIP_1) | instid1(VALU_DEP_1)
	v_ashrrev_i32_e32 v1, 31, v2
	v_add_co_u32 v0, s0, s4, v2
	v_add_co_ci_u32_e64 v1, s0, s5, v1, s0
	s_cbranch_vccnz .LBB528_1956
; %bb.1879:
	v_cmp_lt_i16_e32 vcc_lo, 25, v6
	s_mov_b32 s6, -1
	s_mov_b32 s2, 0
	s_mov_b32 s3, 0
	;; [unrolled: 1-line block ×3, first 2 shown]
	s_cbranch_vccz .LBB528_1912
; %bb.1880:
	v_cmp_lt_i16_e32 vcc_lo, 28, v6
	s_cbranch_vccz .LBB528_1895
; %bb.1881:
	v_cmp_lt_i16_e32 vcc_lo, 43, v6
	;; [unrolled: 3-line block ×3, first 2 shown]
	s_cbranch_vccz .LBB528_1885
; %bb.1883:
	v_cmp_eq_u16_e32 vcc_lo, 46, v6
	s_mov_b32 s0, -1
	s_mov_b32 s6, 0
	s_cbranch_vccz .LBB528_1885
; %bb.1884:
	v_cvt_f32_f16_e32 v3, v7
	v_cmp_o_f16_e32 vcc_lo, v7, v7
	s_mov_b32 s0, 0
	s_mov_b32 s3, -1
	s_delay_alu instid0(VALU_DEP_2) | instskip(NEXT) | instid1(VALU_DEP_1)
	v_bfe_u32 v5, v3, 16, 1
	v_add3_u32 v3, v3, v5, 0x7fff
	s_delay_alu instid0(VALU_DEP_1) | instskip(NEXT) | instid1(VALU_DEP_1)
	v_lshrrev_b32_e32 v3, 16, v3
	v_cndmask_b32_e32 v3, 0x7fc0, v3, vcc_lo
	global_store_b32 v[0:1], v3, off
.LBB528_1885:
	s_and_b32 vcc_lo, exec_lo, s6
	s_cbranch_vccz .LBB528_1890
; %bb.1886:
	v_cmp_eq_u16_e32 vcc_lo, 44, v6
	s_mov_b32 s0, -1
	s_cbranch_vccz .LBB528_1890
; %bb.1887:
	v_cvt_f32_f16_e32 v3, v7
	v_mov_b32_e32 v5, 0xff
	s_mov_b32 s3, exec_lo
	s_delay_alu instid0(VALU_DEP_2) | instskip(NEXT) | instid1(VALU_DEP_1)
	v_bfe_u32 v8, v3, 23, 8
	v_cmpx_ne_u32_e32 0xff, v8
; %bb.1888:
	v_and_b32_e32 v5, 0x400000, v3
	v_and_or_b32 v8, 0x3fffff, v3, v8
	v_lshrrev_b32_e32 v3, 23, v3
	s_delay_alu instid0(VALU_DEP_3) | instskip(NEXT) | instid1(VALU_DEP_3)
	v_cmp_ne_u32_e32 vcc_lo, 0, v5
	v_cmp_ne_u32_e64 s0, 0, v8
	s_delay_alu instid0(VALU_DEP_1) | instskip(NEXT) | instid1(SALU_CYCLE_1)
	s_and_b32 s0, vcc_lo, s0
	v_cndmask_b32_e64 v5, 0, 1, s0
	s_delay_alu instid0(VALU_DEP_1)
	v_add_nc_u32_e32 v5, v3, v5
; %bb.1889:
	s_or_b32 exec_lo, exec_lo, s3
	s_mov_b32 s0, 0
	s_mov_b32 s3, -1
	global_store_b8 v[0:1], v5, off
.LBB528_1890:
	s_mov_b32 s6, 0
.LBB528_1891:
	s_delay_alu instid0(SALU_CYCLE_1)
	s_and_b32 vcc_lo, exec_lo, s6
	s_cbranch_vccz .LBB528_1894
; %bb.1892:
	v_cmp_eq_u16_e32 vcc_lo, 29, v6
	s_mov_b32 s0, -1
	s_cbranch_vccz .LBB528_1894
; %bb.1893:
	v_cvt_f32_f16_e32 v3, v7
	v_mov_b32_e32 v9, 0
	s_mov_b32 s0, 0
	s_mov_b32 s3, -1
	s_delay_alu instid0(VALU_DEP_2)
	v_cvt_u32_f32_e32 v8, v3
	global_store_b64 v[0:1], v[8:9], off
.LBB528_1894:
	s_mov_b32 s6, 0
.LBB528_1895:
	s_delay_alu instid0(SALU_CYCLE_1)
	s_and_b32 vcc_lo, exec_lo, s6
	s_cbranch_vccz .LBB528_1911
; %bb.1896:
	v_cmp_gt_i16_e32 vcc_lo, 27, v6
	s_mov_b32 s3, -1
	s_cbranch_vccnz .LBB528_1902
; %bb.1897:
	v_cmp_lt_i16_e32 vcc_lo, 27, v6
	s_cbranch_vccz .LBB528_1899
; %bb.1898:
	v_cvt_f32_f16_e32 v3, v7
	s_mov_b32 s3, 0
	s_delay_alu instid0(VALU_DEP_1)
	v_cvt_u32_f32_e32 v3, v3
	global_store_b32 v[0:1], v3, off
.LBB528_1899:
	s_and_not1_b32 vcc_lo, exec_lo, s3
	s_cbranch_vccnz .LBB528_1901
; %bb.1900:
	v_cvt_u16_f16_e32 v3, v7
	global_store_b16 v[0:1], v3, off
.LBB528_1901:
	s_mov_b32 s3, 0
.LBB528_1902:
	s_delay_alu instid0(SALU_CYCLE_1)
	s_and_not1_b32 vcc_lo, exec_lo, s3
	s_cbranch_vccnz .LBB528_1910
; %bb.1903:
	v_cvt_f32_f16_e32 v3, v7
	v_mov_b32_e32 v8, 0x80
	s_mov_b32 s3, exec_lo
	s_delay_alu instid0(VALU_DEP_2) | instskip(NEXT) | instid1(VALU_DEP_1)
	v_and_b32_e32 v5, 0x7fffffff, v3
	v_cmpx_gt_u32_e32 0x43800000, v5
	s_cbranch_execz .LBB528_1909
; %bb.1904:
	v_cmp_lt_u32_e32 vcc_lo, 0x3bffffff, v5
	s_mov_b32 s6, 0
                                        ; implicit-def: $vgpr5
	s_and_saveexec_b32 s7, vcc_lo
	s_delay_alu instid0(SALU_CYCLE_1)
	s_xor_b32 s7, exec_lo, s7
	s_cbranch_execz .LBB528_2093
; %bb.1905:
	v_bfe_u32 v5, v3, 20, 1
	s_mov_b32 s6, exec_lo
	s_delay_alu instid0(VALU_DEP_1) | instskip(NEXT) | instid1(VALU_DEP_1)
	v_add3_u32 v5, v3, v5, 0x487ffff
	v_lshrrev_b32_e32 v5, 20, v5
	s_or_saveexec_b32 s7, s7
                                        ; implicit-def: $sgpr8
	s_delay_alu instid0(SALU_CYCLE_1)
	s_xor_b32 exec_lo, exec_lo, s7
	s_cbranch_execnz .LBB528_2094
.LBB528_1906:
	s_or_b32 exec_lo, exec_lo, s7
	v_mov_b32_e32 v8, s8
	s_and_saveexec_b32 s7, s6
.LBB528_1907:
	v_lshrrev_b32_e32 v3, 24, v3
	s_delay_alu instid0(VALU_DEP_1)
	v_and_or_b32 v8, 0x80, v3, v5
.LBB528_1908:
	s_or_b32 exec_lo, exec_lo, s7
.LBB528_1909:
	s_delay_alu instid0(SALU_CYCLE_1)
	s_or_b32 exec_lo, exec_lo, s3
	global_store_b8 v[0:1], v8, off
.LBB528_1910:
	s_mov_b32 s3, -1
.LBB528_1911:
	s_mov_b32 s6, 0
.LBB528_1912:
	s_delay_alu instid0(SALU_CYCLE_1)
	s_and_b32 vcc_lo, exec_lo, s6
	s_cbranch_vccz .LBB528_1952
; %bb.1913:
	v_cmp_lt_i16_e32 vcc_lo, 22, v6
	s_mov_b32 s2, -1
	s_cbranch_vccz .LBB528_1945
; %bb.1914:
	v_cmp_gt_i16_e32 vcc_lo, 24, v6
	s_cbranch_vccnz .LBB528_1934
; %bb.1915:
	v_cmp_lt_i16_e32 vcc_lo, 24, v6
	s_cbranch_vccz .LBB528_1923
; %bb.1916:
	v_cvt_f32_f16_e32 v3, v7
	v_mov_b32_e32 v8, 0x80
	s_mov_b32 s2, exec_lo
	s_delay_alu instid0(VALU_DEP_2) | instskip(NEXT) | instid1(VALU_DEP_1)
	v_and_b32_e32 v5, 0x7fffffff, v3
	v_cmpx_gt_u32_e32 0x47800000, v5
	s_cbranch_execz .LBB528_1922
; %bb.1917:
	v_cmp_lt_u32_e32 vcc_lo, 0x37ffffff, v5
	s_mov_b32 s3, 0
                                        ; implicit-def: $vgpr5
	s_and_saveexec_b32 s6, vcc_lo
	s_delay_alu instid0(SALU_CYCLE_1)
	s_xor_b32 s6, exec_lo, s6
	s_cbranch_execz .LBB528_2099
; %bb.1918:
	v_bfe_u32 v5, v3, 21, 1
	s_mov_b32 s3, exec_lo
	s_delay_alu instid0(VALU_DEP_1) | instskip(NEXT) | instid1(VALU_DEP_1)
	v_add3_u32 v5, v3, v5, 0x88fffff
	v_lshrrev_b32_e32 v5, 21, v5
	s_or_saveexec_b32 s6, s6
                                        ; implicit-def: $sgpr7
	s_delay_alu instid0(SALU_CYCLE_1)
	s_xor_b32 exec_lo, exec_lo, s6
	s_cbranch_execnz .LBB528_2100
.LBB528_1919:
	s_or_b32 exec_lo, exec_lo, s6
	v_mov_b32_e32 v8, s7
	s_and_saveexec_b32 s6, s3
.LBB528_1920:
	v_lshrrev_b32_e32 v3, 24, v3
	s_delay_alu instid0(VALU_DEP_1)
	v_and_or_b32 v8, 0x80, v3, v5
.LBB528_1921:
	s_or_b32 exec_lo, exec_lo, s6
.LBB528_1922:
	s_delay_alu instid0(SALU_CYCLE_1)
	s_or_b32 exec_lo, exec_lo, s2
	s_mov_b32 s2, 0
	global_store_b8 v[0:1], v8, off
.LBB528_1923:
	s_and_b32 vcc_lo, exec_lo, s2
	s_cbranch_vccz .LBB528_1933
; %bb.1924:
	v_cvt_f32_f16_e32 v3, v7
	s_mov_b32 s2, exec_lo
                                        ; implicit-def: $vgpr5
	s_delay_alu instid0(VALU_DEP_1) | instskip(NEXT) | instid1(VALU_DEP_1)
	v_and_b32_e32 v8, 0x7fffffff, v3
	v_cmpx_gt_u32_e32 0x43f00000, v8
	s_xor_b32 s2, exec_lo, s2
	s_cbranch_execz .LBB528_1930
; %bb.1925:
	s_mov_b32 s3, exec_lo
                                        ; implicit-def: $vgpr5
	v_cmpx_lt_u32_e32 0x3c7fffff, v8
	s_xor_b32 s3, exec_lo, s3
; %bb.1926:
	v_bfe_u32 v5, v3, 20, 1
	s_delay_alu instid0(VALU_DEP_1) | instskip(NEXT) | instid1(VALU_DEP_1)
	v_add3_u32 v5, v3, v5, 0x407ffff
	v_and_b32_e32 v8, 0xff00000, v5
	v_lshrrev_b32_e32 v5, 20, v5
	s_delay_alu instid0(VALU_DEP_2) | instskip(NEXT) | instid1(VALU_DEP_2)
	v_cmp_ne_u32_e32 vcc_lo, 0x7f00000, v8
	v_cndmask_b32_e32 v5, 0x7e, v5, vcc_lo
; %bb.1927:
	s_and_not1_saveexec_b32 s3, s3
; %bb.1928:
	v_add_f32_e64 v5, 0x46800000, |v3|
; %bb.1929:
	s_or_b32 exec_lo, exec_lo, s3
                                        ; implicit-def: $vgpr8
.LBB528_1930:
	s_and_not1_saveexec_b32 s2, s2
; %bb.1931:
	v_mov_b32_e32 v5, 0x7f
	v_cmp_lt_u32_e32 vcc_lo, 0x7f800000, v8
	s_delay_alu instid0(VALU_DEP_2)
	v_cndmask_b32_e32 v5, 0x7e, v5, vcc_lo
; %bb.1932:
	s_or_b32 exec_lo, exec_lo, s2
	v_lshrrev_b32_e32 v3, 24, v3
	s_delay_alu instid0(VALU_DEP_1)
	v_and_or_b32 v3, 0x80, v3, v5
	global_store_b8 v[0:1], v3, off
.LBB528_1933:
	s_mov_b32 s2, 0
.LBB528_1934:
	s_delay_alu instid0(SALU_CYCLE_1)
	s_and_not1_b32 vcc_lo, exec_lo, s2
	s_cbranch_vccnz .LBB528_1944
; %bb.1935:
	v_cvt_f32_f16_e32 v3, v7
	s_mov_b32 s2, exec_lo
                                        ; implicit-def: $vgpr5
	s_delay_alu instid0(VALU_DEP_1) | instskip(NEXT) | instid1(VALU_DEP_1)
	v_and_b32_e32 v8, 0x7fffffff, v3
	v_cmpx_gt_u32_e32 0x47800000, v8
	s_xor_b32 s2, exec_lo, s2
	s_cbranch_execz .LBB528_1941
; %bb.1936:
	s_mov_b32 s3, exec_lo
                                        ; implicit-def: $vgpr5
	v_cmpx_lt_u32_e32 0x387fffff, v8
	s_xor_b32 s3, exec_lo, s3
; %bb.1937:
	v_bfe_u32 v5, v3, 21, 1
	s_delay_alu instid0(VALU_DEP_1) | instskip(NEXT) | instid1(VALU_DEP_1)
	v_add3_u32 v5, v3, v5, 0x80fffff
	v_lshrrev_b32_e32 v5, 21, v5
; %bb.1938:
	s_and_not1_saveexec_b32 s3, s3
; %bb.1939:
	v_add_f32_e64 v5, 0x43000000, |v3|
; %bb.1940:
	s_or_b32 exec_lo, exec_lo, s3
                                        ; implicit-def: $vgpr8
.LBB528_1941:
	s_and_not1_saveexec_b32 s2, s2
; %bb.1942:
	v_mov_b32_e32 v5, 0x7f
	v_cmp_lt_u32_e32 vcc_lo, 0x7f800000, v8
	s_delay_alu instid0(VALU_DEP_2)
	v_cndmask_b32_e32 v5, 0x7c, v5, vcc_lo
; %bb.1943:
	s_or_b32 exec_lo, exec_lo, s2
	v_lshrrev_b32_e32 v3, 24, v3
	s_delay_alu instid0(VALU_DEP_1)
	v_and_or_b32 v3, 0x80, v3, v5
	global_store_b8 v[0:1], v3, off
.LBB528_1944:
	s_mov_b32 s2, 0
	s_mov_b32 s3, -1
.LBB528_1945:
	s_and_not1_b32 vcc_lo, exec_lo, s2
	s_mov_b32 s2, 0
	s_cbranch_vccnz .LBB528_1952
; %bb.1946:
	v_cmp_lt_i16_e32 vcc_lo, 14, v6
	s_mov_b32 s2, -1
	s_cbranch_vccz .LBB528_1950
; %bb.1947:
	v_cmp_eq_u16_e32 vcc_lo, 15, v6
	s_mov_b32 s0, -1
	s_cbranch_vccz .LBB528_1949
; %bb.1948:
	v_cvt_f32_f16_e32 v3, v7
	v_cmp_o_f16_e32 vcc_lo, v7, v7
	s_mov_b32 s0, 0
	s_mov_b32 s3, -1
	s_delay_alu instid0(VALU_DEP_2) | instskip(NEXT) | instid1(VALU_DEP_1)
	v_bfe_u32 v5, v3, 16, 1
	v_add3_u32 v3, v3, v5, 0x7fff
	s_delay_alu instid0(VALU_DEP_1) | instskip(NEXT) | instid1(VALU_DEP_1)
	v_lshrrev_b32_e32 v3, 16, v3
	v_cndmask_b32_e32 v3, 0x7fc0, v3, vcc_lo
	global_store_b16 v[0:1], v3, off
.LBB528_1949:
	s_mov_b32 s2, 0
.LBB528_1950:
	s_delay_alu instid0(SALU_CYCLE_1)
	s_and_b32 vcc_lo, exec_lo, s2
	s_mov_b32 s2, 0
	s_cbranch_vccz .LBB528_1952
; %bb.1951:
	v_cmp_ne_u16_e64 s0, 11, v6
	s_mov_b32 s2, -1
.LBB528_1952:
	s_delay_alu instid0(VALU_DEP_1)
	s_and_b32 vcc_lo, exec_lo, s0
	s_cbranch_vccnz .LBB528_2097
; %bb.1953:
	s_and_not1_b32 vcc_lo, exec_lo, s2
	s_cbranch_vccnz .LBB528_1955
.LBB528_1954:
	v_and_b32_e32 v3, 0x7fff, v7
	s_mov_b32 s3, -1
	s_delay_alu instid0(VALU_DEP_1)
	v_cmp_ne_u16_e32 vcc_lo, 0, v3
	v_cndmask_b32_e64 v3, 0, 1, vcc_lo
	global_store_b8 v[0:1], v3, off
.LBB528_1955:
	s_mov_b32 s0, 0
	s_branch .LBB528_1957
.LBB528_1956:
	s_mov_b32 s0, -1
	s_mov_b32 s3, 0
.LBB528_1957:
	s_and_b32 vcc_lo, exec_lo, s0
	s_cbranch_vccz .LBB528_1996
; %bb.1958:
	v_cmp_gt_i16_e32 vcc_lo, 5, v6
	s_mov_b32 s0, -1
	s_cbranch_vccnz .LBB528_1979
; %bb.1959:
	v_cmp_gt_i16_e32 vcc_lo, 8, v6
	s_cbranch_vccnz .LBB528_1969
; %bb.1960:
	v_cmp_gt_i16_e32 vcc_lo, 9, v6
	s_cbranch_vccnz .LBB528_1966
; %bb.1961:
	v_cmp_lt_i16_e32 vcc_lo, 9, v6
	s_cbranch_vccz .LBB528_1963
; %bb.1962:
	v_cvt_f32_f16_e32 v3, v7
	v_mov_b32_e32 v10, 0
	s_mov_b32 s0, 0
	s_delay_alu instid0(VALU_DEP_2) | instskip(NEXT) | instid1(VALU_DEP_2)
	v_cvt_f64_f32_e32 v[8:9], v3
	v_mov_b32_e32 v11, v10
	global_store_b128 v[0:1], v[8:11], off
.LBB528_1963:
	s_and_not1_b32 vcc_lo, exec_lo, s0
	s_cbranch_vccnz .LBB528_1965
; %bb.1964:
	v_cvt_f32_f16_e32 v8, v7
	v_mov_b32_e32 v9, 0
	global_store_b64 v[0:1], v[8:9], off
.LBB528_1965:
	s_mov_b32 s0, 0
.LBB528_1966:
	s_delay_alu instid0(SALU_CYCLE_1)
	s_and_not1_b32 vcc_lo, exec_lo, s0
	s_cbranch_vccnz .LBB528_1968
; %bb.1967:
	v_and_b32_e32 v3, 0xffff, v7
	global_store_b32 v[0:1], v3, off
.LBB528_1968:
	s_mov_b32 s0, 0
.LBB528_1969:
	s_delay_alu instid0(SALU_CYCLE_1)
	s_and_not1_b32 vcc_lo, exec_lo, s0
	s_cbranch_vccnz .LBB528_1978
; %bb.1970:
	v_cmp_gt_i16_e32 vcc_lo, 6, v6
	s_mov_b32 s0, -1
	s_cbranch_vccnz .LBB528_1976
; %bb.1971:
	v_cmp_lt_i16_e32 vcc_lo, 6, v6
	s_cbranch_vccz .LBB528_1973
; %bb.1972:
	v_cvt_f32_f16_e32 v3, v7
	s_mov_b32 s0, 0
	s_delay_alu instid0(VALU_DEP_1)
	v_cvt_f64_f32_e32 v[8:9], v3
	global_store_b64 v[0:1], v[8:9], off
.LBB528_1973:
	s_and_not1_b32 vcc_lo, exec_lo, s0
	s_cbranch_vccnz .LBB528_1975
; %bb.1974:
	v_cvt_f32_f16_e32 v3, v7
	global_store_b32 v[0:1], v3, off
.LBB528_1975:
	s_mov_b32 s0, 0
.LBB528_1976:
	s_delay_alu instid0(SALU_CYCLE_1)
	s_and_not1_b32 vcc_lo, exec_lo, s0
	s_cbranch_vccnz .LBB528_1978
; %bb.1977:
	global_store_b16 v[0:1], v7, off
.LBB528_1978:
	s_mov_b32 s0, 0
.LBB528_1979:
	s_delay_alu instid0(SALU_CYCLE_1)
	s_and_not1_b32 vcc_lo, exec_lo, s0
	s_cbranch_vccnz .LBB528_1995
; %bb.1980:
	v_cmp_gt_i16_e32 vcc_lo, 2, v6
	s_mov_b32 s0, -1
	s_cbranch_vccnz .LBB528_1990
; %bb.1981:
	v_cmp_gt_i16_e32 vcc_lo, 3, v6
	s_cbranch_vccnz .LBB528_1987
; %bb.1982:
	v_cmp_lt_i16_e32 vcc_lo, 3, v6
	s_cbranch_vccz .LBB528_1984
; %bb.1983:
	v_cvt_f32_f16_e32 v3, v7
	s_mov_b32 s0, 0
	s_delay_alu instid0(VALU_DEP_1) | instskip(NEXT) | instid1(VALU_DEP_1)
	v_cvt_i32_f32_e32 v8, v3
	v_ashrrev_i32_e32 v9, 31, v8
	global_store_b64 v[0:1], v[8:9], off
.LBB528_1984:
	s_and_not1_b32 vcc_lo, exec_lo, s0
	s_cbranch_vccnz .LBB528_1986
; %bb.1985:
	v_cvt_f32_f16_e32 v3, v7
	s_delay_alu instid0(VALU_DEP_1)
	v_cvt_i32_f32_e32 v3, v3
	global_store_b32 v[0:1], v3, off
.LBB528_1986:
	s_mov_b32 s0, 0
.LBB528_1987:
	s_delay_alu instid0(SALU_CYCLE_1)
	s_and_not1_b32 vcc_lo, exec_lo, s0
	s_cbranch_vccnz .LBB528_1989
; %bb.1988:
	v_cvt_i16_f16_e32 v3, v7
	global_store_b16 v[0:1], v3, off
.LBB528_1989:
	s_mov_b32 s0, 0
.LBB528_1990:
	s_delay_alu instid0(SALU_CYCLE_1)
	s_and_not1_b32 vcc_lo, exec_lo, s0
	s_cbranch_vccnz .LBB528_1995
; %bb.1991:
	v_cmp_lt_i16_e32 vcc_lo, 0, v6
	s_mov_b32 s0, -1
	s_cbranch_vccz .LBB528_1993
; %bb.1992:
	v_cvt_i16_f16_e32 v3, v7
	s_mov_b32 s0, 0
	global_store_b8 v[0:1], v3, off
.LBB528_1993:
	s_and_not1_b32 vcc_lo, exec_lo, s0
	s_cbranch_vccnz .LBB528_1995
; %bb.1994:
	v_cvt_f32_f16_e32 v3, v7
	s_delay_alu instid0(VALU_DEP_1)
	v_cvt_i32_f32_e32 v3, v3
	global_store_b8 v[0:1], v3, off
.LBB528_1995:
	s_mov_b32 s3, -1
.LBB528_1996:
	s_delay_alu instid0(SALU_CYCLE_1)
	s_and_not1_b32 vcc_lo, exec_lo, s3
	s_cbranch_vccnz .LBB528_2073
; %bb.1997:
	v_add_nc_u32_e32 v0, s1, v2
	v_cmp_gt_i16_e32 vcc_lo, 11, v6
	s_delay_alu instid0(VALU_DEP_2) | instskip(SKIP_1) | instid1(VALU_DEP_1)
	v_ashrrev_i32_e32 v1, 31, v0
	v_add_co_u32 v0, s0, s4, v0
	v_add_co_ci_u32_e64 v1, s0, s5, v1, s0
	s_cbranch_vccnz .LBB528_2074
; %bb.1998:
	v_cmp_lt_i16_e32 vcc_lo, 25, v6
	s_mov_b32 s2, -1
	s_mov_b32 s1, 0
	s_mov_b32 s0, 0
	s_cbranch_vccz .LBB528_2031
; %bb.1999:
	v_cmp_lt_i16_e32 vcc_lo, 28, v6
	s_cbranch_vccz .LBB528_2015
; %bb.2000:
	v_cmp_lt_i16_e32 vcc_lo, 43, v6
	;; [unrolled: 3-line block ×3, first 2 shown]
	s_cbranch_vccz .LBB528_2005
; %bb.2002:
	v_cmp_eq_u16_e32 vcc_lo, 46, v6
	s_mov_b32 s0, -1
	s_cbranch_vccz .LBB528_2004
; %bb.2003:
	v_cvt_f32_f16_e32 v2, v4
	v_cmp_o_f16_e32 vcc_lo, v4, v4
	s_mov_b32 s0, 0
	s_delay_alu instid0(VALU_DEP_2) | instskip(NEXT) | instid1(VALU_DEP_1)
	v_bfe_u32 v3, v2, 16, 1
	v_add3_u32 v2, v2, v3, 0x7fff
	s_delay_alu instid0(VALU_DEP_1) | instskip(NEXT) | instid1(VALU_DEP_1)
	v_lshrrev_b32_e32 v2, 16, v2
	v_cndmask_b32_e32 v2, 0x7fc0, v2, vcc_lo
	global_store_b32 v[0:1], v2, off
.LBB528_2004:
	s_mov_b32 s2, 0
.LBB528_2005:
	s_delay_alu instid0(SALU_CYCLE_1)
	s_and_b32 vcc_lo, exec_lo, s2
	s_cbranch_vccz .LBB528_2010
; %bb.2006:
	v_cmp_eq_u16_e32 vcc_lo, 44, v6
	s_mov_b32 s0, -1
	s_cbranch_vccz .LBB528_2010
; %bb.2007:
	v_cvt_f32_f16_e32 v2, v4
	v_mov_b32_e32 v3, 0xff
	s_mov_b32 s2, exec_lo
	s_delay_alu instid0(VALU_DEP_2) | instskip(NEXT) | instid1(VALU_DEP_1)
	v_bfe_u32 v5, v2, 23, 8
	v_cmpx_ne_u32_e32 0xff, v5
; %bb.2008:
	v_and_b32_e32 v3, 0x400000, v2
	v_and_or_b32 v5, 0x3fffff, v2, v5
	v_lshrrev_b32_e32 v2, 23, v2
	s_delay_alu instid0(VALU_DEP_3) | instskip(NEXT) | instid1(VALU_DEP_3)
	v_cmp_ne_u32_e32 vcc_lo, 0, v3
	v_cmp_ne_u32_e64 s0, 0, v5
	s_delay_alu instid0(VALU_DEP_1) | instskip(NEXT) | instid1(SALU_CYCLE_1)
	s_and_b32 s0, vcc_lo, s0
	v_cndmask_b32_e64 v3, 0, 1, s0
	s_delay_alu instid0(VALU_DEP_1)
	v_add_nc_u32_e32 v3, v2, v3
; %bb.2009:
	s_or_b32 exec_lo, exec_lo, s2
	s_mov_b32 s0, 0
	global_store_b8 v[0:1], v3, off
.LBB528_2010:
	s_mov_b32 s2, 0
.LBB528_2011:
	s_delay_alu instid0(SALU_CYCLE_1)
	s_and_b32 vcc_lo, exec_lo, s2
	s_cbranch_vccz .LBB528_2014
; %bb.2012:
	v_cmp_eq_u16_e32 vcc_lo, 29, v6
	s_mov_b32 s0, -1
	s_cbranch_vccz .LBB528_2014
; %bb.2013:
	v_cvt_f32_f16_e32 v2, v4
	v_mov_b32_e32 v3, 0
	s_mov_b32 s0, 0
	s_delay_alu instid0(VALU_DEP_2)
	v_cvt_u32_f32_e32 v2, v2
	global_store_b64 v[0:1], v[2:3], off
.LBB528_2014:
	s_mov_b32 s2, 0
.LBB528_2015:
	s_delay_alu instid0(SALU_CYCLE_1)
	s_and_b32 vcc_lo, exec_lo, s2
	s_cbranch_vccz .LBB528_2030
; %bb.2016:
	v_cmp_gt_i16_e32 vcc_lo, 27, v6
	s_mov_b32 s2, -1
	s_cbranch_vccnz .LBB528_2022
; %bb.2017:
	v_cmp_lt_i16_e32 vcc_lo, 27, v6
	s_cbranch_vccz .LBB528_2019
; %bb.2018:
	v_cvt_f32_f16_e32 v2, v4
	s_mov_b32 s2, 0
	s_delay_alu instid0(VALU_DEP_1)
	v_cvt_u32_f32_e32 v2, v2
	global_store_b32 v[0:1], v2, off
.LBB528_2019:
	s_and_not1_b32 vcc_lo, exec_lo, s2
	s_cbranch_vccnz .LBB528_2021
; %bb.2020:
	v_cvt_u16_f16_e32 v2, v4
	global_store_b16 v[0:1], v2, off
.LBB528_2021:
	s_mov_b32 s2, 0
.LBB528_2022:
	s_delay_alu instid0(SALU_CYCLE_1)
	s_and_not1_b32 vcc_lo, exec_lo, s2
	s_cbranch_vccnz .LBB528_2030
; %bb.2023:
	v_cvt_f32_f16_e32 v2, v4
	v_mov_b32_e32 v5, 0x80
	s_mov_b32 s2, exec_lo
	s_delay_alu instid0(VALU_DEP_2) | instskip(NEXT) | instid1(VALU_DEP_1)
	v_and_b32_e32 v3, 0x7fffffff, v2
	v_cmpx_gt_u32_e32 0x43800000, v3
	s_cbranch_execz .LBB528_2029
; %bb.2024:
	v_cmp_lt_u32_e32 vcc_lo, 0x3bffffff, v3
	s_mov_b32 s3, 0
                                        ; implicit-def: $vgpr3
	s_and_saveexec_b32 s4, vcc_lo
	s_delay_alu instid0(SALU_CYCLE_1)
	s_xor_b32 s4, exec_lo, s4
	s_cbranch_execz .LBB528_2101
; %bb.2025:
	v_bfe_u32 v3, v2, 20, 1
	s_mov_b32 s3, exec_lo
	s_delay_alu instid0(VALU_DEP_1) | instskip(NEXT) | instid1(VALU_DEP_1)
	v_add3_u32 v3, v2, v3, 0x487ffff
	v_lshrrev_b32_e32 v3, 20, v3
	s_or_saveexec_b32 s4, s4
                                        ; implicit-def: $sgpr5
	s_delay_alu instid0(SALU_CYCLE_1)
	s_xor_b32 exec_lo, exec_lo, s4
	s_cbranch_execnz .LBB528_2102
.LBB528_2026:
	s_or_b32 exec_lo, exec_lo, s4
	v_mov_b32_e32 v5, s5
	s_and_saveexec_b32 s4, s3
.LBB528_2027:
	v_lshrrev_b32_e32 v2, 24, v2
	s_delay_alu instid0(VALU_DEP_1)
	v_and_or_b32 v5, 0x80, v2, v3
.LBB528_2028:
	s_or_b32 exec_lo, exec_lo, s4
.LBB528_2029:
	s_delay_alu instid0(SALU_CYCLE_1)
	s_or_b32 exec_lo, exec_lo, s2
	global_store_b8 v[0:1], v5, off
.LBB528_2030:
	s_mov_b32 s2, 0
.LBB528_2031:
	s_delay_alu instid0(SALU_CYCLE_1)
	s_and_b32 vcc_lo, exec_lo, s2
	s_cbranch_vccz .LBB528_2071
; %bb.2032:
	v_cmp_lt_i16_e32 vcc_lo, 22, v6
	s_mov_b32 s1, -1
	s_cbranch_vccz .LBB528_2064
; %bb.2033:
	v_cmp_gt_i16_e32 vcc_lo, 24, v6
	s_cbranch_vccnz .LBB528_2053
; %bb.2034:
	v_cmp_lt_i16_e32 vcc_lo, 24, v6
	s_cbranch_vccz .LBB528_2042
; %bb.2035:
	v_cvt_f32_f16_e32 v2, v4
	v_mov_b32_e32 v5, 0x80
	s_mov_b32 s1, exec_lo
	s_delay_alu instid0(VALU_DEP_2) | instskip(NEXT) | instid1(VALU_DEP_1)
	v_and_b32_e32 v3, 0x7fffffff, v2
	v_cmpx_gt_u32_e32 0x47800000, v3
	s_cbranch_execz .LBB528_2041
; %bb.2036:
	v_cmp_lt_u32_e32 vcc_lo, 0x37ffffff, v3
	s_mov_b32 s2, 0
                                        ; implicit-def: $vgpr3
	s_and_saveexec_b32 s3, vcc_lo
	s_delay_alu instid0(SALU_CYCLE_1)
	s_xor_b32 s3, exec_lo, s3
	s_cbranch_execz .LBB528_2107
; %bb.2037:
	v_bfe_u32 v3, v2, 21, 1
	s_mov_b32 s2, exec_lo
	s_delay_alu instid0(VALU_DEP_1) | instskip(NEXT) | instid1(VALU_DEP_1)
	v_add3_u32 v3, v2, v3, 0x88fffff
	v_lshrrev_b32_e32 v3, 21, v3
	s_or_saveexec_b32 s3, s3
                                        ; implicit-def: $sgpr4
	s_delay_alu instid0(SALU_CYCLE_1)
	s_xor_b32 exec_lo, exec_lo, s3
	s_cbranch_execnz .LBB528_2108
.LBB528_2038:
	s_or_b32 exec_lo, exec_lo, s3
	v_mov_b32_e32 v5, s4
	s_and_saveexec_b32 s3, s2
.LBB528_2039:
	v_lshrrev_b32_e32 v2, 24, v2
	s_delay_alu instid0(VALU_DEP_1)
	v_and_or_b32 v5, 0x80, v2, v3
.LBB528_2040:
	s_or_b32 exec_lo, exec_lo, s3
.LBB528_2041:
	s_delay_alu instid0(SALU_CYCLE_1)
	s_or_b32 exec_lo, exec_lo, s1
	s_mov_b32 s1, 0
	global_store_b8 v[0:1], v5, off
.LBB528_2042:
	s_and_b32 vcc_lo, exec_lo, s1
	s_cbranch_vccz .LBB528_2052
; %bb.2043:
	v_cvt_f32_f16_e32 v2, v4
	s_mov_b32 s1, exec_lo
                                        ; implicit-def: $vgpr3
	s_delay_alu instid0(VALU_DEP_1) | instskip(NEXT) | instid1(VALU_DEP_1)
	v_and_b32_e32 v5, 0x7fffffff, v2
	v_cmpx_gt_u32_e32 0x43f00000, v5
	s_xor_b32 s1, exec_lo, s1
	s_cbranch_execz .LBB528_2049
; %bb.2044:
	s_mov_b32 s2, exec_lo
                                        ; implicit-def: $vgpr3
	v_cmpx_lt_u32_e32 0x3c7fffff, v5
	s_xor_b32 s2, exec_lo, s2
; %bb.2045:
	v_bfe_u32 v3, v2, 20, 1
	s_delay_alu instid0(VALU_DEP_1) | instskip(NEXT) | instid1(VALU_DEP_1)
	v_add3_u32 v3, v2, v3, 0x407ffff
	v_and_b32_e32 v5, 0xff00000, v3
	v_lshrrev_b32_e32 v3, 20, v3
	s_delay_alu instid0(VALU_DEP_2) | instskip(NEXT) | instid1(VALU_DEP_2)
	v_cmp_ne_u32_e32 vcc_lo, 0x7f00000, v5
	v_cndmask_b32_e32 v3, 0x7e, v3, vcc_lo
; %bb.2046:
	s_and_not1_saveexec_b32 s2, s2
; %bb.2047:
	v_add_f32_e64 v3, 0x46800000, |v2|
; %bb.2048:
	s_or_b32 exec_lo, exec_lo, s2
                                        ; implicit-def: $vgpr5
.LBB528_2049:
	s_and_not1_saveexec_b32 s1, s1
; %bb.2050:
	v_mov_b32_e32 v3, 0x7f
	v_cmp_lt_u32_e32 vcc_lo, 0x7f800000, v5
	s_delay_alu instid0(VALU_DEP_2)
	v_cndmask_b32_e32 v3, 0x7e, v3, vcc_lo
; %bb.2051:
	s_or_b32 exec_lo, exec_lo, s1
	v_lshrrev_b32_e32 v2, 24, v2
	s_delay_alu instid0(VALU_DEP_1)
	v_and_or_b32 v2, 0x80, v2, v3
	global_store_b8 v[0:1], v2, off
.LBB528_2052:
	s_mov_b32 s1, 0
.LBB528_2053:
	s_delay_alu instid0(SALU_CYCLE_1)
	s_and_not1_b32 vcc_lo, exec_lo, s1
	s_cbranch_vccnz .LBB528_2063
; %bb.2054:
	v_cvt_f32_f16_e32 v2, v4
	s_mov_b32 s1, exec_lo
                                        ; implicit-def: $vgpr3
	s_delay_alu instid0(VALU_DEP_1) | instskip(NEXT) | instid1(VALU_DEP_1)
	v_and_b32_e32 v5, 0x7fffffff, v2
	v_cmpx_gt_u32_e32 0x47800000, v5
	s_xor_b32 s1, exec_lo, s1
	s_cbranch_execz .LBB528_2060
; %bb.2055:
	s_mov_b32 s2, exec_lo
                                        ; implicit-def: $vgpr3
	v_cmpx_lt_u32_e32 0x387fffff, v5
	s_xor_b32 s2, exec_lo, s2
; %bb.2056:
	v_bfe_u32 v3, v2, 21, 1
	s_delay_alu instid0(VALU_DEP_1) | instskip(NEXT) | instid1(VALU_DEP_1)
	v_add3_u32 v3, v2, v3, 0x80fffff
	v_lshrrev_b32_e32 v3, 21, v3
; %bb.2057:
	s_and_not1_saveexec_b32 s2, s2
; %bb.2058:
	v_add_f32_e64 v3, 0x43000000, |v2|
; %bb.2059:
	s_or_b32 exec_lo, exec_lo, s2
                                        ; implicit-def: $vgpr5
.LBB528_2060:
	s_and_not1_saveexec_b32 s1, s1
; %bb.2061:
	v_mov_b32_e32 v3, 0x7f
	v_cmp_lt_u32_e32 vcc_lo, 0x7f800000, v5
	s_delay_alu instid0(VALU_DEP_2)
	v_cndmask_b32_e32 v3, 0x7c, v3, vcc_lo
; %bb.2062:
	s_or_b32 exec_lo, exec_lo, s1
	v_lshrrev_b32_e32 v2, 24, v2
	s_delay_alu instid0(VALU_DEP_1)
	v_and_or_b32 v2, 0x80, v2, v3
	global_store_b8 v[0:1], v2, off
.LBB528_2063:
	s_mov_b32 s1, 0
.LBB528_2064:
	s_delay_alu instid0(SALU_CYCLE_1)
	s_and_not1_b32 vcc_lo, exec_lo, s1
	s_mov_b32 s1, 0
	s_cbranch_vccnz .LBB528_2071
; %bb.2065:
	v_cmp_lt_i16_e32 vcc_lo, 14, v6
	s_mov_b32 s1, -1
	s_cbranch_vccz .LBB528_2069
; %bb.2066:
	v_cmp_eq_u16_e32 vcc_lo, 15, v6
	s_mov_b32 s0, -1
	s_cbranch_vccz .LBB528_2068
; %bb.2067:
	v_cvt_f32_f16_e32 v2, v4
	v_cmp_o_f16_e32 vcc_lo, v4, v4
	s_mov_b32 s0, 0
	s_delay_alu instid0(VALU_DEP_2) | instskip(NEXT) | instid1(VALU_DEP_1)
	v_bfe_u32 v3, v2, 16, 1
	v_add3_u32 v2, v2, v3, 0x7fff
	s_delay_alu instid0(VALU_DEP_1) | instskip(NEXT) | instid1(VALU_DEP_1)
	v_lshrrev_b32_e32 v2, 16, v2
	v_cndmask_b32_e32 v2, 0x7fc0, v2, vcc_lo
	global_store_b16 v[0:1], v2, off
.LBB528_2068:
	s_mov_b32 s1, 0
.LBB528_2069:
	s_delay_alu instid0(SALU_CYCLE_1)
	s_and_b32 vcc_lo, exec_lo, s1
	s_mov_b32 s1, 0
	s_cbranch_vccz .LBB528_2071
; %bb.2070:
	v_cmp_ne_u16_e64 s0, 11, v6
	s_mov_b32 s1, -1
.LBB528_2071:
	s_delay_alu instid0(VALU_DEP_1)
	s_and_b32 vcc_lo, exec_lo, s0
	s_cbranch_vccnz .LBB528_2105
.LBB528_2072:
	s_mov_b32 s0, 0
	s_branch .LBB528_1674
.LBB528_2073:
	s_mov_b32 s0, 0
	s_mov_b32 s1, 0
                                        ; implicit-def: $vgpr6
                                        ; implicit-def: $vgpr0_vgpr1
	s_branch .LBB528_1674
.LBB528_2074:
	s_mov_b32 s1, 0
	s_mov_b32 s0, -1
	s_branch .LBB528_1674
.LBB528_2075:
	s_cbranch_execnz .LBB528_2079
; %bb.2076:
	s_or_b32 s12, s12, exec_lo
                                        ; implicit-def: $vgpr6
	s_cbranch_execz .LBB528_1539
	s_branch .LBB528_1540
.LBB528_2077:
	s_or_saveexec_b32 s6, s6
                                        ; implicit-def: $sgpr7
	s_delay_alu instid0(SALU_CYCLE_1)
	s_xor_b32 exec_lo, exec_lo, s6
	s_cbranch_execz .LBB528_1623
.LBB528_2078:
	v_add_f32_e64 v9, 0x46000000, |v8|
	s_and_not1_b32 s3, s3, exec_lo
	s_mov_b32 s7, 0
	s_delay_alu instid0(VALU_DEP_1) | instskip(NEXT) | instid1(VALU_DEP_1)
	v_and_b32_e32 v9, 0xff, v9
	v_cmp_ne_u32_e32 vcc_lo, 0, v9
	s_and_b32 s9, vcc_lo, exec_lo
	s_delay_alu instid0(SALU_CYCLE_1)
	s_or_b32 s3, s3, s9
	s_or_b32 exec_lo, exec_lo, s6
	v_mov_b32_e32 v10, s7
	s_and_saveexec_b32 s6, s3
	s_cbranch_execnz .LBB528_1624
	s_branch .LBB528_1625
.LBB528_2079:
	s_trap 2
	s_sendmsg_rtn_b32 s0, sendmsg(MSG_RTN_GET_DOORBELL)
	s_mov_b32 ttmp2, m0
	s_waitcnt lgkmcnt(0)
	s_and_b32 s0, s0, 0x3ff
	s_delay_alu instid0(SALU_CYCLE_1) | instskip(NEXT) | instid1(SALU_CYCLE_1)
	s_bitset1_b32 s0, 10
	s_mov_b32 m0, s0
	s_sendmsg sendmsg(MSG_INTERRUPT)
	s_mov_b32 m0, ttmp2
.LBB528_2080:                           ; =>This Inner Loop Header: Depth=1
	s_sethalt 5
	s_branch .LBB528_2080
.LBB528_2081:
	s_cbranch_execnz .LBB528_2087
; %bb.2082:
	s_or_b32 s12, s12, exec_lo
	s_cbranch_execz .LBB528_1671
	s_branch .LBB528_1672
.LBB528_2083:
	s_or_saveexec_b32 s3, s3
                                        ; implicit-def: $sgpr6
	s_delay_alu instid0(SALU_CYCLE_1)
	s_xor_b32 exec_lo, exec_lo, s3
	s_cbranch_execz .LBB528_1636
.LBB528_2084:
	v_add_f32_e64 v9, 0x42800000, |v8|
	s_and_not1_b32 s2, s2, exec_lo
	s_mov_b32 s6, 0
	s_delay_alu instid0(VALU_DEP_1) | instskip(NEXT) | instid1(VALU_DEP_1)
	v_and_b32_e32 v9, 0xff, v9
	v_cmp_ne_u32_e32 vcc_lo, 0, v9
	s_and_b32 s7, vcc_lo, exec_lo
	s_delay_alu instid0(SALU_CYCLE_1)
	s_or_b32 s2, s2, s7
	s_or_b32 exec_lo, exec_lo, s3
	v_mov_b32_e32 v10, s6
	s_and_saveexec_b32 s3, s2
	s_cbranch_execnz .LBB528_1637
	s_branch .LBB528_1638
.LBB528_2085:
	s_or_saveexec_b32 s7, s7
                                        ; implicit-def: $sgpr8
	s_delay_alu instid0(SALU_CYCLE_1)
	s_xor_b32 exec_lo, exec_lo, s7
	s_cbranch_execz .LBB528_1787
.LBB528_2086:
	v_add_f32_e64 v8, 0x46000000, |v3|
	s_and_not1_b32 s6, s6, exec_lo
	s_mov_b32 s8, 0
	s_delay_alu instid0(VALU_DEP_1) | instskip(NEXT) | instid1(VALU_DEP_1)
	v_and_b32_e32 v8, 0xff, v8
	v_cmp_ne_u32_e32 vcc_lo, 0, v8
	s_and_b32 s9, vcc_lo, exec_lo
	s_delay_alu instid0(SALU_CYCLE_1)
	s_or_b32 s6, s6, s9
	s_or_b32 exec_lo, exec_lo, s7
	v_mov_b32_e32 v9, s8
	s_and_saveexec_b32 s7, s6
	s_cbranch_execnz .LBB528_1788
	s_branch .LBB528_1789
.LBB528_2087:
	s_trap 2
	s_sendmsg_rtn_b32 s0, sendmsg(MSG_RTN_GET_DOORBELL)
	s_mov_b32 ttmp2, m0
	s_waitcnt lgkmcnt(0)
	s_and_b32 s0, s0, 0x3ff
	s_delay_alu instid0(SALU_CYCLE_1) | instskip(NEXT) | instid1(SALU_CYCLE_1)
	s_bitset1_b32 s0, 10
	s_mov_b32 m0, s0
	s_sendmsg sendmsg(MSG_INTERRUPT)
	s_mov_b32 m0, ttmp2
.LBB528_2088:                           ; =>This Inner Loop Header: Depth=1
	s_sethalt 5
	s_branch .LBB528_2088
.LBB528_2089:
	s_cbranch_execnz .LBB528_2095
; %bb.2090:
	s_or_b32 s12, s12, exec_lo
	s_cbranch_execz .LBB528_1835
	s_branch .LBB528_1836
.LBB528_2091:
	s_or_saveexec_b32 s6, s6
                                        ; implicit-def: $sgpr7
	s_delay_alu instid0(SALU_CYCLE_1)
	s_xor_b32 exec_lo, exec_lo, s6
	s_cbranch_execz .LBB528_1800
.LBB528_2092:
	v_add_f32_e64 v8, 0x42800000, |v3|
	s_and_not1_b32 s3, s3, exec_lo
	s_mov_b32 s7, 0
	s_delay_alu instid0(VALU_DEP_1) | instskip(NEXT) | instid1(VALU_DEP_1)
	v_and_b32_e32 v8, 0xff, v8
	v_cmp_ne_u32_e32 vcc_lo, 0, v8
	s_and_b32 s8, vcc_lo, exec_lo
	s_delay_alu instid0(SALU_CYCLE_1)
	s_or_b32 s3, s3, s8
	s_or_b32 exec_lo, exec_lo, s6
	v_mov_b32_e32 v9, s7
	s_and_saveexec_b32 s6, s3
	s_cbranch_execnz .LBB528_1801
	s_branch .LBB528_1802
.LBB528_2093:
	s_or_saveexec_b32 s7, s7
                                        ; implicit-def: $sgpr8
	s_delay_alu instid0(SALU_CYCLE_1)
	s_xor_b32 exec_lo, exec_lo, s7
	s_cbranch_execz .LBB528_1906
.LBB528_2094:
	v_add_f32_e64 v5, 0x46000000, |v3|
	s_and_not1_b32 s6, s6, exec_lo
	s_mov_b32 s8, 0
	s_delay_alu instid0(VALU_DEP_1) | instskip(NEXT) | instid1(VALU_DEP_1)
	v_and_b32_e32 v5, 0xff, v5
	v_cmp_ne_u32_e32 vcc_lo, 0, v5
	s_and_b32 s9, vcc_lo, exec_lo
	s_delay_alu instid0(SALU_CYCLE_1)
	s_or_b32 s6, s6, s9
	s_or_b32 exec_lo, exec_lo, s7
	v_mov_b32_e32 v8, s8
	s_and_saveexec_b32 s7, s6
	s_cbranch_execnz .LBB528_1907
	s_branch .LBB528_1908
.LBB528_2095:
	s_trap 2
	s_sendmsg_rtn_b32 s0, sendmsg(MSG_RTN_GET_DOORBELL)
	s_mov_b32 ttmp2, m0
	s_waitcnt lgkmcnt(0)
	s_and_b32 s0, s0, 0x3ff
	s_delay_alu instid0(SALU_CYCLE_1) | instskip(NEXT) | instid1(SALU_CYCLE_1)
	s_bitset1_b32 s0, 10
	s_mov_b32 m0, s0
	s_sendmsg sendmsg(MSG_INTERRUPT)
	s_mov_b32 m0, ttmp2
.LBB528_2096:                           ; =>This Inner Loop Header: Depth=1
	s_sethalt 5
	s_branch .LBB528_2096
.LBB528_2097:
	s_cbranch_execnz .LBB528_2103
; %bb.2098:
	s_or_b32 s12, s12, exec_lo
	s_cbranch_execz .LBB528_1954
	s_branch .LBB528_1955
.LBB528_2099:
	s_or_saveexec_b32 s6, s6
                                        ; implicit-def: $sgpr7
	s_delay_alu instid0(SALU_CYCLE_1)
	s_xor_b32 exec_lo, exec_lo, s6
	s_cbranch_execz .LBB528_1919
.LBB528_2100:
	v_add_f32_e64 v5, 0x42800000, |v3|
	s_and_not1_b32 s3, s3, exec_lo
	s_mov_b32 s7, 0
	s_delay_alu instid0(VALU_DEP_1) | instskip(NEXT) | instid1(VALU_DEP_1)
	v_and_b32_e32 v5, 0xff, v5
	v_cmp_ne_u32_e32 vcc_lo, 0, v5
	s_and_b32 s8, vcc_lo, exec_lo
	s_delay_alu instid0(SALU_CYCLE_1)
	s_or_b32 s3, s3, s8
	s_or_b32 exec_lo, exec_lo, s6
	v_mov_b32_e32 v8, s7
	s_and_saveexec_b32 s6, s3
	s_cbranch_execnz .LBB528_1920
	s_branch .LBB528_1921
.LBB528_2101:
	s_or_saveexec_b32 s4, s4
                                        ; implicit-def: $sgpr5
	s_delay_alu instid0(SALU_CYCLE_1)
	s_xor_b32 exec_lo, exec_lo, s4
	s_cbranch_execz .LBB528_2026
.LBB528_2102:
	v_add_f32_e64 v3, 0x46000000, |v2|
	s_and_not1_b32 s3, s3, exec_lo
	s_mov_b32 s5, 0
	s_delay_alu instid0(VALU_DEP_1) | instskip(NEXT) | instid1(VALU_DEP_1)
	v_and_b32_e32 v3, 0xff, v3
	v_cmp_ne_u32_e32 vcc_lo, 0, v3
	s_and_b32 s6, vcc_lo, exec_lo
	s_delay_alu instid0(SALU_CYCLE_1)
	s_or_b32 s3, s3, s6
	s_or_b32 exec_lo, exec_lo, s4
	v_mov_b32_e32 v5, s5
	s_and_saveexec_b32 s4, s3
	s_cbranch_execnz .LBB528_2027
	s_branch .LBB528_2028
.LBB528_2103:
	s_trap 2
	s_sendmsg_rtn_b32 s0, sendmsg(MSG_RTN_GET_DOORBELL)
	s_mov_b32 ttmp2, m0
	s_waitcnt lgkmcnt(0)
	s_and_b32 s0, s0, 0x3ff
	s_delay_alu instid0(SALU_CYCLE_1) | instskip(NEXT) | instid1(SALU_CYCLE_1)
	s_bitset1_b32 s0, 10
	s_mov_b32 m0, s0
	s_sendmsg sendmsg(MSG_INTERRUPT)
	s_mov_b32 m0, ttmp2
.LBB528_2104:                           ; =>This Inner Loop Header: Depth=1
	s_sethalt 5
	s_branch .LBB528_2104
.LBB528_2105:
	s_cbranch_execnz .LBB528_2109
; %bb.2106:
	s_mov_b32 s1, 0
	s_or_b32 s12, s12, exec_lo
	s_branch .LBB528_2072
.LBB528_2107:
	s_or_saveexec_b32 s3, s3
                                        ; implicit-def: $sgpr4
	s_delay_alu instid0(SALU_CYCLE_1)
	s_xor_b32 exec_lo, exec_lo, s3
	s_cbranch_execz .LBB528_2038
.LBB528_2108:
	v_add_f32_e64 v3, 0x42800000, |v2|
	s_and_not1_b32 s2, s2, exec_lo
	s_mov_b32 s4, 0
	s_delay_alu instid0(VALU_DEP_1) | instskip(NEXT) | instid1(VALU_DEP_1)
	v_and_b32_e32 v3, 0xff, v3
	v_cmp_ne_u32_e32 vcc_lo, 0, v3
	s_and_b32 s5, vcc_lo, exec_lo
	s_delay_alu instid0(SALU_CYCLE_1)
	s_or_b32 s2, s2, s5
	s_or_b32 exec_lo, exec_lo, s3
	v_mov_b32_e32 v5, s4
	s_and_saveexec_b32 s3, s2
	s_cbranch_execnz .LBB528_2039
	s_branch .LBB528_2040
.LBB528_2109:
	s_trap 2
	s_sendmsg_rtn_b32 s0, sendmsg(MSG_RTN_GET_DOORBELL)
	s_mov_b32 ttmp2, m0
	s_waitcnt lgkmcnt(0)
	s_and_b32 s0, s0, 0x3ff
	s_delay_alu instid0(SALU_CYCLE_1) | instskip(NEXT) | instid1(SALU_CYCLE_1)
	s_bitset1_b32 s0, 10
	s_mov_b32 m0, s0
	s_sendmsg sendmsg(MSG_INTERRUPT)
	s_mov_b32 m0, ttmp2
.LBB528_2110:                           ; =>This Inner Loop Header: Depth=1
	s_sethalt 5
	s_branch .LBB528_2110
	.section	.rodata,"a",@progbits
	.p2align	6, 0x0
	.amdhsa_kernel _ZN2at6native32elementwise_kernel_manual_unrollILi128ELi4EZNS0_15gpu_kernel_implIZZZNS0_22nan_to_num_kernel_cudaERNS_18TensorIteratorBaseESt8optionalIdES6_S6_ENKUlvE0_clEvENKUlvE1_clEvEUlN3c104HalfEE_EEvS4_RKT_EUlibE_EEviT1_
		.amdhsa_group_segment_fixed_size 0
		.amdhsa_private_segment_fixed_size 0
		.amdhsa_kernarg_size 40
		.amdhsa_user_sgpr_count 15
		.amdhsa_user_sgpr_dispatch_ptr 0
		.amdhsa_user_sgpr_queue_ptr 0
		.amdhsa_user_sgpr_kernarg_segment_ptr 1
		.amdhsa_user_sgpr_dispatch_id 0
		.amdhsa_user_sgpr_private_segment_size 0
		.amdhsa_wavefront_size32 1
		.amdhsa_uses_dynamic_stack 0
		.amdhsa_enable_private_segment 0
		.amdhsa_system_sgpr_workgroup_id_x 1
		.amdhsa_system_sgpr_workgroup_id_y 0
		.amdhsa_system_sgpr_workgroup_id_z 0
		.amdhsa_system_sgpr_workgroup_info 0
		.amdhsa_system_vgpr_workitem_id 0
		.amdhsa_next_free_vgpr 12
		.amdhsa_next_free_sgpr 29
		.amdhsa_reserve_vcc 1
		.amdhsa_float_round_mode_32 0
		.amdhsa_float_round_mode_16_64 0
		.amdhsa_float_denorm_mode_32 3
		.amdhsa_float_denorm_mode_16_64 3
		.amdhsa_dx10_clamp 1
		.amdhsa_ieee_mode 1
		.amdhsa_fp16_overflow 0
		.amdhsa_workgroup_processor_mode 1
		.amdhsa_memory_ordered 1
		.amdhsa_forward_progress 0
		.amdhsa_shared_vgpr_count 0
		.amdhsa_exception_fp_ieee_invalid_op 0
		.amdhsa_exception_fp_denorm_src 0
		.amdhsa_exception_fp_ieee_div_zero 0
		.amdhsa_exception_fp_ieee_overflow 0
		.amdhsa_exception_fp_ieee_underflow 0
		.amdhsa_exception_fp_ieee_inexact 0
		.amdhsa_exception_int_div_zero 0
	.end_amdhsa_kernel
	.section	.text._ZN2at6native32elementwise_kernel_manual_unrollILi128ELi4EZNS0_15gpu_kernel_implIZZZNS0_22nan_to_num_kernel_cudaERNS_18TensorIteratorBaseESt8optionalIdES6_S6_ENKUlvE0_clEvENKUlvE1_clEvEUlN3c104HalfEE_EEvS4_RKT_EUlibE_EEviT1_,"axG",@progbits,_ZN2at6native32elementwise_kernel_manual_unrollILi128ELi4EZNS0_15gpu_kernel_implIZZZNS0_22nan_to_num_kernel_cudaERNS_18TensorIteratorBaseESt8optionalIdES6_S6_ENKUlvE0_clEvENKUlvE1_clEvEUlN3c104HalfEE_EEvS4_RKT_EUlibE_EEviT1_,comdat
.Lfunc_end528:
	.size	_ZN2at6native32elementwise_kernel_manual_unrollILi128ELi4EZNS0_15gpu_kernel_implIZZZNS0_22nan_to_num_kernel_cudaERNS_18TensorIteratorBaseESt8optionalIdES6_S6_ENKUlvE0_clEvENKUlvE1_clEvEUlN3c104HalfEE_EEvS4_RKT_EUlibE_EEviT1_, .Lfunc_end528-_ZN2at6native32elementwise_kernel_manual_unrollILi128ELi4EZNS0_15gpu_kernel_implIZZZNS0_22nan_to_num_kernel_cudaERNS_18TensorIteratorBaseESt8optionalIdES6_S6_ENKUlvE0_clEvENKUlvE1_clEvEUlN3c104HalfEE_EEvS4_RKT_EUlibE_EEviT1_
                                        ; -- End function
	.section	.AMDGPU.csdata,"",@progbits
; Kernel info:
; codeLenInByte = 38432
; NumSgprs: 31
; NumVgprs: 12
; ScratchSize: 0
; MemoryBound: 0
; FloatMode: 240
; IeeeMode: 1
; LDSByteSize: 0 bytes/workgroup (compile time only)
; SGPRBlocks: 3
; VGPRBlocks: 1
; NumSGPRsForWavesPerEU: 31
; NumVGPRsForWavesPerEU: 12
; Occupancy: 16
; WaveLimiterHint : 0
; COMPUTE_PGM_RSRC2:SCRATCH_EN: 0
; COMPUTE_PGM_RSRC2:USER_SGPR: 15
; COMPUTE_PGM_RSRC2:TRAP_HANDLER: 0
; COMPUTE_PGM_RSRC2:TGID_X_EN: 1
; COMPUTE_PGM_RSRC2:TGID_Y_EN: 0
; COMPUTE_PGM_RSRC2:TGID_Z_EN: 0
; COMPUTE_PGM_RSRC2:TIDIG_COMP_CNT: 0
	.section	.text._ZN2at6native32elementwise_kernel_manual_unrollILi128ELi4EZNS0_15gpu_kernel_implIZZZNS0_22nan_to_num_kernel_cudaERNS_18TensorIteratorBaseESt8optionalIdES6_S6_ENKUlvE0_clEvENKUlvE1_clEvEUlN3c104HalfEE_EEvS4_RKT_EUlibE0_EEviT1_,"axG",@progbits,_ZN2at6native32elementwise_kernel_manual_unrollILi128ELi4EZNS0_15gpu_kernel_implIZZZNS0_22nan_to_num_kernel_cudaERNS_18TensorIteratorBaseESt8optionalIdES6_S6_ENKUlvE0_clEvENKUlvE1_clEvEUlN3c104HalfEE_EEvS4_RKT_EUlibE0_EEviT1_,comdat
	.globl	_ZN2at6native32elementwise_kernel_manual_unrollILi128ELi4EZNS0_15gpu_kernel_implIZZZNS0_22nan_to_num_kernel_cudaERNS_18TensorIteratorBaseESt8optionalIdES6_S6_ENKUlvE0_clEvENKUlvE1_clEvEUlN3c104HalfEE_EEvS4_RKT_EUlibE0_EEviT1_ ; -- Begin function _ZN2at6native32elementwise_kernel_manual_unrollILi128ELi4EZNS0_15gpu_kernel_implIZZZNS0_22nan_to_num_kernel_cudaERNS_18TensorIteratorBaseESt8optionalIdES6_S6_ENKUlvE0_clEvENKUlvE1_clEvEUlN3c104HalfEE_EEvS4_RKT_EUlibE0_EEviT1_
	.p2align	8
	.type	_ZN2at6native32elementwise_kernel_manual_unrollILi128ELi4EZNS0_15gpu_kernel_implIZZZNS0_22nan_to_num_kernel_cudaERNS_18TensorIteratorBaseESt8optionalIdES6_S6_ENKUlvE0_clEvENKUlvE1_clEvEUlN3c104HalfEE_EEvS4_RKT_EUlibE0_EEviT1_,@function
_ZN2at6native32elementwise_kernel_manual_unrollILi128ELi4EZNS0_15gpu_kernel_implIZZZNS0_22nan_to_num_kernel_cudaERNS_18TensorIteratorBaseESt8optionalIdES6_S6_ENKUlvE0_clEvENKUlvE1_clEvEUlN3c104HalfEE_EEvS4_RKT_EUlibE0_EEviT1_: ; @_ZN2at6native32elementwise_kernel_manual_unrollILi128ELi4EZNS0_15gpu_kernel_implIZZZNS0_22nan_to_num_kernel_cudaERNS_18TensorIteratorBaseESt8optionalIdES6_S6_ENKUlvE0_clEvENKUlvE1_clEvEUlN3c104HalfEE_EEvS4_RKT_EUlibE0_EEviT1_
; %bb.0:
	s_clause 0x1
	s_load_b32 s26, s[0:1], 0x8
	s_load_b32 s36, s[0:1], 0x0
	v_lshl_or_b32 v4, s15, 9, v0
	s_or_b32 s16, s0, 8
	s_mov_b32 s3, -1
	s_mov_b32 s28, 0
	s_mov_b32 s17, s1
	v_or_b32_e32 v8, 0x180, v4
	s_mov_b32 s8, 0
	s_mov_b32 s2, exec_lo
	s_waitcnt lgkmcnt(0)
	s_add_i32 s27, s26, -1
	s_delay_alu instid0(SALU_CYCLE_1)
	s_cmp_gt_u32 s27, 1
	s_cselect_b32 s29, -1, 0
	v_cmpx_le_i32_e64 s36, v8
	s_xor_b32 s30, exec_lo, s2
	s_cbranch_execz .LBB529_1092
; %bb.1:
	s_clause 0x5
	s_load_b32 s2, s[0:1], 0x164
	s_load_b128 s[8:11], s[16:17], 0x4
	s_load_b64 s[18:19], s[16:17], 0x158
	s_load_b128 s[4:7], s[16:17], 0x148
	s_load_b64 s[20:21], s[16:17], 0x14
	s_load_b128 s[12:15], s[16:17], 0xc4
	s_cmp_lg_u32 s26, 0
	s_mov_b32 s42, 0
	s_cselect_b32 s38, -1, 0
	s_add_u32 s22, s16, 0xc4
	s_addc_u32 s23, s17, 0
	s_min_u32 s37, s27, 15
	s_cmp_gt_u32 s26, 1
	s_mov_b32 s40, 0
	s_cselect_b32 s35, -1, 0
	s_mov_b32 s39, 0
	s_mov_b32 s41, exec_lo
	s_waitcnt lgkmcnt(0)
	s_lshr_b32 s31, s2, 16
	s_lshr_b32 s34, s2, 24
	;; [unrolled: 1-line block ×3, first 2 shown]
	v_cmpx_gt_i32_e64 s36, v4
	s_cbranch_execz .LBB529_267
; %bb.2:
	s_and_not1_b32 vcc_lo, exec_lo, s29
	s_cbranch_vccnz .LBB529_7
; %bb.3:
	v_dual_mov_b32 v0, 0 :: v_dual_mov_b32 v1, 0
	s_and_not1_b32 vcc_lo, exec_lo, s38
	s_cbranch_vccnz .LBB529_12
; %bb.4:
	v_mov_b32_e32 v0, 0
	s_add_i32 s43, s37, 1
	s_cmp_eq_u32 s27, 2
	s_cbranch_scc1 .LBB529_8
; %bb.5:
	v_dual_mov_b32 v1, 0 :: v_dual_mov_b32 v0, 0
	v_mov_b32_e32 v2, v4
	s_and_b32 s40, s43, 28
	s_mov_b32 s44, 0
	s_mov_b64 s[2:3], s[22:23]
	s_mov_b64 s[24:25], s[16:17]
.LBB529_6:                              ; =>This Inner Loop Header: Depth=1
	s_clause 0x1
	s_load_b256 s[48:55], s[24:25], 0x4
	s_load_b128 s[64:67], s[24:25], 0x24
	s_load_b256 s[56:63], s[2:3], 0x0
	s_add_u32 s24, s24, 48
	s_addc_u32 s25, s25, 0
	s_add_i32 s44, s44, 4
	s_add_u32 s2, s2, 32
	s_addc_u32 s3, s3, 0
	s_cmp_lg_u32 s40, s44
	s_waitcnt lgkmcnt(0)
	v_mul_hi_u32 v3, s49, v2
	s_delay_alu instid0(VALU_DEP_1) | instskip(NEXT) | instid1(VALU_DEP_1)
	v_add_nc_u32_e32 v3, v2, v3
	v_lshrrev_b32_e32 v3, s50, v3
	s_delay_alu instid0(VALU_DEP_1) | instskip(SKIP_1) | instid1(VALU_DEP_2)
	v_mul_hi_u32 v5, s52, v3
	v_mul_lo_u32 v7, v3, s48
	v_add_nc_u32_e32 v5, v3, v5
	s_delay_alu instid0(VALU_DEP_2) | instskip(NEXT) | instid1(VALU_DEP_2)
	v_sub_nc_u32_e32 v2, v2, v7
	v_lshrrev_b32_e32 v5, s53, v5
	s_delay_alu instid0(VALU_DEP_2) | instskip(SKIP_1) | instid1(VALU_DEP_3)
	v_mul_lo_u32 v7, v2, s56
	v_mul_lo_u32 v9, v2, s57
	v_mul_hi_u32 v6, s55, v5
	s_delay_alu instid0(VALU_DEP_1) | instskip(NEXT) | instid1(VALU_DEP_1)
	v_add_nc_u32_e32 v6, v5, v6
	v_lshrrev_b32_e32 v6, s64, v6
	s_delay_alu instid0(VALU_DEP_1) | instskip(SKIP_1) | instid1(VALU_DEP_2)
	v_mul_hi_u32 v8, s66, v6
	v_mul_lo_u32 v10, v6, s54
	v_add_nc_u32_e32 v2, v6, v8
	v_mul_lo_u32 v8, v5, s51
	s_delay_alu instid0(VALU_DEP_3) | instskip(NEXT) | instid1(VALU_DEP_3)
	v_sub_nc_u32_e32 v5, v5, v10
	v_lshrrev_b32_e32 v2, s67, v2
	s_delay_alu instid0(VALU_DEP_2) | instskip(SKIP_2) | instid1(VALU_DEP_4)
	v_mul_lo_u32 v10, v5, s60
	v_mul_lo_u32 v5, v5, s61
	v_sub_nc_u32_e32 v3, v3, v8
	v_mul_lo_u32 v11, v2, s65
	s_delay_alu instid0(VALU_DEP_2) | instskip(SKIP_1) | instid1(VALU_DEP_3)
	v_mul_lo_u32 v8, v3, s58
	v_mul_lo_u32 v3, v3, s59
	v_sub_nc_u32_e32 v6, v6, v11
	s_delay_alu instid0(VALU_DEP_3) | instskip(NEXT) | instid1(VALU_DEP_2)
	v_add3_u32 v0, v7, v0, v8
	v_mul_lo_u32 v11, v6, s62
	v_mul_lo_u32 v6, v6, s63
	v_add3_u32 v1, v9, v1, v3
	s_delay_alu instid0(VALU_DEP_3) | instskip(NEXT) | instid1(VALU_DEP_2)
	v_add3_u32 v0, v10, v0, v11
	v_add3_u32 v1, v5, v1, v6
	s_cbranch_scc1 .LBB529_6
	s_branch .LBB529_9
.LBB529_7:
	s_mov_b32 s39, -1
                                        ; implicit-def: $vgpr0
                                        ; implicit-def: $vgpr1
	s_branch .LBB529_12
.LBB529_8:
	v_dual_mov_b32 v2, v4 :: v_dual_mov_b32 v1, 0
.LBB529_9:
	s_and_b32 s43, s43, 3
	s_delay_alu instid0(SALU_CYCLE_1)
	s_cmp_eq_u32 s43, 0
	s_cbranch_scc1 .LBB529_12
; %bb.10:
	s_lshl_b32 s2, s40, 3
	s_mul_i32 s24, s40, 12
	s_add_u32 s2, s2, s16
	s_addc_u32 s3, s17, 0
	s_add_u32 s2, s2, 0xc4
	s_addc_u32 s3, s3, 0
	;; [unrolled: 2-line block ×3, first 2 shown]
	.p2align	6
.LBB529_11:                             ; =>This Inner Loop Header: Depth=1
	s_clause 0x1
	s_load_b64 s[44:45], s[24:25], 0x4
	s_load_b32 s40, s[24:25], 0xc
	s_load_b64 s[46:47], s[2:3], 0x0
	s_add_u32 s24, s24, 12
	s_addc_u32 s25, s25, 0
	s_add_u32 s2, s2, 8
	s_addc_u32 s3, s3, 0
	s_add_i32 s43, s43, -1
	s_delay_alu instid0(SALU_CYCLE_1) | instskip(SKIP_2) | instid1(VALU_DEP_1)
	s_cmp_lg_u32 s43, 0
	s_waitcnt lgkmcnt(0)
	v_mul_hi_u32 v3, s45, v2
	v_add_nc_u32_e32 v3, v2, v3
	s_delay_alu instid0(VALU_DEP_1) | instskip(NEXT) | instid1(VALU_DEP_1)
	v_lshrrev_b32_e32 v3, s40, v3
	v_mul_lo_u32 v5, v3, s44
	s_delay_alu instid0(VALU_DEP_1) | instskip(NEXT) | instid1(VALU_DEP_1)
	v_sub_nc_u32_e32 v2, v2, v5
	v_mad_u64_u32 v[5:6], null, v2, s46, v[0:1]
	v_mad_u64_u32 v[6:7], null, v2, s47, v[1:2]
	v_mov_b32_e32 v2, v3
	s_delay_alu instid0(VALU_DEP_2)
	v_dual_mov_b32 v0, v5 :: v_dual_mov_b32 v1, v6
	s_cbranch_scc1 .LBB529_11
.LBB529_12:
	s_and_not1_b32 vcc_lo, exec_lo, s39
	s_cbranch_vccnz .LBB529_15
; %bb.13:
	v_mul_hi_u32 v0, s9, v4
	s_and_not1_b32 vcc_lo, exec_lo, s35
	s_delay_alu instid0(VALU_DEP_1) | instskip(NEXT) | instid1(VALU_DEP_1)
	v_add_nc_u32_e32 v0, v4, v0
	v_lshrrev_b32_e32 v2, s10, v0
	s_delay_alu instid0(VALU_DEP_1) | instskip(NEXT) | instid1(VALU_DEP_1)
	v_mul_lo_u32 v0, v2, s8
	v_sub_nc_u32_e32 v1, v4, v0
	s_delay_alu instid0(VALU_DEP_1)
	v_mul_lo_u32 v0, v1, s12
	v_mul_lo_u32 v1, v1, s13
	s_cbranch_vccnz .LBB529_15
; %bb.14:
	v_mul_hi_u32 v3, s20, v2
	s_delay_alu instid0(VALU_DEP_1) | instskip(NEXT) | instid1(VALU_DEP_1)
	v_add_nc_u32_e32 v3, v2, v3
	v_lshrrev_b32_e32 v3, s21, v3
	s_delay_alu instid0(VALU_DEP_1) | instskip(NEXT) | instid1(VALU_DEP_1)
	v_mul_lo_u32 v3, v3, s11
	v_sub_nc_u32_e32 v7, v2, v3
	s_delay_alu instid0(VALU_DEP_1) | instskip(NEXT) | instid1(VALU_DEP_1)
	v_mad_u64_u32 v[2:3], null, v7, s14, v[0:1]
	v_mad_u64_u32 v[5:6], null, v7, s15, v[1:2]
	s_delay_alu instid0(VALU_DEP_1)
	v_dual_mov_b32 v0, v2 :: v_dual_mov_b32 v1, v5
.LBB529_15:
	v_cmp_lt_i16_e64 s2, s34, 11
	s_delay_alu instid0(VALU_DEP_2) | instskip(NEXT) | instid1(VALU_DEP_1)
	v_add_co_u32 v1, s3, s6, v1
	v_add_co_ci_u32_e64 v2, null, s7, 0, s3
	s_delay_alu instid0(VALU_DEP_3)
	s_and_b32 vcc_lo, exec_lo, s2
	s_mov_b32 s3, 0
	s_cbranch_vccnz .LBB529_22
; %bb.16:
	v_cmp_gt_i16_e64 s2, s34, 25
	s_delay_alu instid0(VALU_DEP_1)
	s_and_b32 vcc_lo, exec_lo, s2
	s_cbranch_vccz .LBB529_145
; %bb.17:
	v_cmp_gt_i16_e64 s2, s34, 28
	s_delay_alu instid0(VALU_DEP_1)
	s_and_b32 vcc_lo, exec_lo, s2
	s_cbranch_vccz .LBB529_146
	;; [unrolled: 5-line block ×4, first 2 shown]
; %bb.20:
	v_cmp_eq_u16_e64 s2, s34, 46
	s_mov_b32 s24, 0
	s_delay_alu instid0(VALU_DEP_1)
	s_and_b32 vcc_lo, exec_lo, s2
	s_cbranch_vccz .LBB529_149
; %bb.21:
	global_load_b32 v3, v[1:2], off
	s_mov_b32 s2, -1
	s_waitcnt vmcnt(0)
	v_lshlrev_b32_e32 v3, 16, v3
	s_delay_alu instid0(VALU_DEP_1)
	v_cvt_f16_f32_e32 v3, v3
	s_branch .LBB529_151
.LBB529_22:
	s_mov_b32 s2, 0
                                        ; implicit-def: $vgpr3
	s_cbranch_execnz .LBB529_217
.LBB529_23:
	s_and_not1_b32 vcc_lo, exec_lo, s2
	s_cbranch_vccnz .LBB529_264
.LBB529_24:
	v_mov_b32_e32 v2, s18
	s_mov_b32 s2, exec_lo
	s_waitcnt vmcnt(0)
	v_cmpx_o_f16_e32 v3, v3
	s_cbranch_execz .LBB529_28
; %bb.25:
	v_mov_b32_e32 v2, s33
	s_mov_b32 s24, exec_lo
	v_cmpx_neq_f16_e32 0x7c00, v3
; %bb.26:
	v_cmp_eq_f16_e32 vcc_lo, 0xfc00, v3
	v_cndmask_b32_e64 v2, v3, s19, vcc_lo
; %bb.27:
	s_or_b32 exec_lo, exec_lo, s24
.LBB529_28:
	s_delay_alu instid0(SALU_CYCLE_1) | instskip(SKIP_2) | instid1(VALU_DEP_1)
	s_or_b32 exec_lo, exec_lo, s2
	v_and_b32_e64 v3, 0xff, s31
	v_add_co_u32 v0, s24, s4, v0
	v_add_co_ci_u32_e64 v1, null, s5, 0, s24
	s_delay_alu instid0(VALU_DEP_3)
	v_cmp_gt_i16_e32 vcc_lo, 11, v3
	s_mov_b32 s2, 0
	s_mov_b32 s25, -1
	s_mov_b32 s24, 0
	s_cbranch_vccnz .LBB529_105
; %bb.29:
	v_cmp_lt_i16_e32 vcc_lo, 25, v3
	s_cbranch_vccz .LBB529_62
; %bb.30:
	v_cmp_lt_i16_e32 vcc_lo, 28, v3
	s_cbranch_vccz .LBB529_45
	;; [unrolled: 3-line block ×4, first 2 shown]
; %bb.33:
	v_cmp_eq_u16_e32 vcc_lo, 46, v3
	s_mov_b32 s25, 0
	s_mov_b32 s2, -1
	s_cbranch_vccz .LBB529_35
; %bb.34:
	v_cvt_f32_f16_e32 v5, v2
	v_cmp_o_f16_e32 vcc_lo, v2, v2
	s_mov_b32 s24, -1
	s_mov_b32 s2, 0
	s_delay_alu instid0(VALU_DEP_2) | instskip(NEXT) | instid1(VALU_DEP_1)
	v_bfe_u32 v6, v5, 16, 1
	v_add3_u32 v5, v5, v6, 0x7fff
	s_delay_alu instid0(VALU_DEP_1) | instskip(NEXT) | instid1(VALU_DEP_1)
	v_lshrrev_b32_e32 v5, 16, v5
	v_cndmask_b32_e32 v5, 0x7fc0, v5, vcc_lo
	global_store_b32 v[0:1], v5, off
.LBB529_35:
	s_and_b32 vcc_lo, exec_lo, s25
	s_cbranch_vccz .LBB529_40
; %bb.36:
	v_cmp_eq_u16_e32 vcc_lo, 44, v3
	s_mov_b32 s2, -1
	s_cbranch_vccz .LBB529_40
; %bb.37:
	v_cvt_f32_f16_e32 v5, v2
	v_mov_b32_e32 v6, 0xff
	s_mov_b32 s24, exec_lo
	s_delay_alu instid0(VALU_DEP_2) | instskip(NEXT) | instid1(VALU_DEP_1)
	v_bfe_u32 v7, v5, 23, 8
	v_cmpx_ne_u32_e32 0xff, v7
; %bb.38:
	v_and_b32_e32 v6, 0x400000, v5
	v_and_or_b32 v7, 0x3fffff, v5, v7
	v_lshrrev_b32_e32 v5, 23, v5
	s_delay_alu instid0(VALU_DEP_3) | instskip(NEXT) | instid1(VALU_DEP_3)
	v_cmp_ne_u32_e32 vcc_lo, 0, v6
	v_cmp_ne_u32_e64 s2, 0, v7
	s_delay_alu instid0(VALU_DEP_1) | instskip(NEXT) | instid1(SALU_CYCLE_1)
	s_and_b32 s2, vcc_lo, s2
	v_cndmask_b32_e64 v6, 0, 1, s2
	s_delay_alu instid0(VALU_DEP_1)
	v_add_nc_u32_e32 v6, v5, v6
; %bb.39:
	s_or_b32 exec_lo, exec_lo, s24
	s_mov_b32 s24, -1
	s_mov_b32 s2, 0
	global_store_b8 v[0:1], v6, off
.LBB529_40:
	s_mov_b32 s25, 0
.LBB529_41:
	s_delay_alu instid0(SALU_CYCLE_1)
	s_and_b32 vcc_lo, exec_lo, s25
	s_cbranch_vccz .LBB529_44
; %bb.42:
	v_cmp_eq_u16_e32 vcc_lo, 29, v3
	s_mov_b32 s2, -1
	s_cbranch_vccz .LBB529_44
; %bb.43:
	v_cvt_f32_f16_e32 v5, v2
	v_mov_b32_e32 v6, 0
	s_mov_b32 s2, 0
	s_mov_b32 s24, -1
	s_delay_alu instid0(VALU_DEP_2)
	v_cvt_u32_f32_e32 v5, v5
	global_store_b64 v[0:1], v[5:6], off
.LBB529_44:
	s_mov_b32 s25, 0
.LBB529_45:
	s_delay_alu instid0(SALU_CYCLE_1)
	s_and_b32 vcc_lo, exec_lo, s25
	s_cbranch_vccz .LBB529_61
; %bb.46:
	v_cmp_gt_i16_e32 vcc_lo, 27, v3
	s_mov_b32 s24, -1
	s_cbranch_vccnz .LBB529_52
; %bb.47:
	v_cmp_lt_i16_e32 vcc_lo, 27, v3
	s_cbranch_vccz .LBB529_49
; %bb.48:
	v_cvt_f32_f16_e32 v5, v2
	s_mov_b32 s24, 0
	s_delay_alu instid0(VALU_DEP_1)
	v_cvt_u32_f32_e32 v5, v5
	global_store_b32 v[0:1], v5, off
.LBB529_49:
	s_and_not1_b32 vcc_lo, exec_lo, s24
	s_cbranch_vccnz .LBB529_51
; %bb.50:
	v_cvt_u16_f16_e32 v5, v2
	global_store_b16 v[0:1], v5, off
.LBB529_51:
	s_mov_b32 s24, 0
.LBB529_52:
	s_delay_alu instid0(SALU_CYCLE_1)
	s_and_not1_b32 vcc_lo, exec_lo, s24
	s_cbranch_vccnz .LBB529_60
; %bb.53:
	v_cvt_f32_f16_e32 v5, v2
	v_mov_b32_e32 v7, 0x80
	s_mov_b32 s24, exec_lo
	s_delay_alu instid0(VALU_DEP_2) | instskip(NEXT) | instid1(VALU_DEP_1)
	v_and_b32_e32 v6, 0x7fffffff, v5
	v_cmpx_gt_u32_e32 0x43800000, v6
	s_cbranch_execz .LBB529_59
; %bb.54:
	v_cmp_lt_u32_e32 vcc_lo, 0x3bffffff, v6
	s_mov_b32 s25, 0
                                        ; implicit-def: $vgpr6
	s_and_saveexec_b32 s39, vcc_lo
	s_delay_alu instid0(SALU_CYCLE_1)
	s_xor_b32 s39, exec_lo, s39
	s_cbranch_execz .LBB529_154
; %bb.55:
	v_bfe_u32 v6, v5, 20, 1
	s_mov_b32 s25, exec_lo
	s_delay_alu instid0(VALU_DEP_1) | instskip(NEXT) | instid1(VALU_DEP_1)
	v_add3_u32 v6, v5, v6, 0x487ffff
	v_lshrrev_b32_e32 v6, 20, v6
	s_or_saveexec_b32 s39, s39
                                        ; implicit-def: $sgpr40
	s_delay_alu instid0(SALU_CYCLE_1)
	s_xor_b32 exec_lo, exec_lo, s39
	s_cbranch_execnz .LBB529_155
.LBB529_56:
	s_or_b32 exec_lo, exec_lo, s39
	v_mov_b32_e32 v7, s40
	s_and_saveexec_b32 s39, s25
.LBB529_57:
	v_lshrrev_b32_e32 v5, 24, v5
	s_delay_alu instid0(VALU_DEP_1)
	v_and_or_b32 v7, 0x80, v5, v6
.LBB529_58:
	s_or_b32 exec_lo, exec_lo, s39
.LBB529_59:
	s_delay_alu instid0(SALU_CYCLE_1)
	s_or_b32 exec_lo, exec_lo, s24
	global_store_b8 v[0:1], v7, off
.LBB529_60:
	s_mov_b32 s24, -1
.LBB529_61:
	s_mov_b32 s25, 0
.LBB529_62:
	s_delay_alu instid0(SALU_CYCLE_1)
	s_and_b32 vcc_lo, exec_lo, s25
	s_cbranch_vccz .LBB529_103
; %bb.63:
	v_cmp_lt_i16_e32 vcc_lo, 22, v3
	s_mov_b32 s25, -1
	s_cbranch_vccz .LBB529_95
; %bb.64:
	v_cmp_gt_i16_e32 vcc_lo, 24, v3
	s_mov_b32 s24, -1
	s_cbranch_vccnz .LBB529_84
; %bb.65:
	v_cmp_lt_i16_e32 vcc_lo, 24, v3
	s_cbranch_vccz .LBB529_73
; %bb.66:
	v_cvt_f32_f16_e32 v5, v2
	v_mov_b32_e32 v7, 0x80
	s_mov_b32 s24, exec_lo
	s_delay_alu instid0(VALU_DEP_2) | instskip(NEXT) | instid1(VALU_DEP_1)
	v_and_b32_e32 v6, 0x7fffffff, v5
	v_cmpx_gt_u32_e32 0x47800000, v6
	s_cbranch_execz .LBB529_72
; %bb.67:
	v_cmp_lt_u32_e32 vcc_lo, 0x37ffffff, v6
	s_mov_b32 s25, 0
                                        ; implicit-def: $vgpr6
	s_and_saveexec_b32 s39, vcc_lo
	s_delay_alu instid0(SALU_CYCLE_1)
	s_xor_b32 s39, exec_lo, s39
	s_cbranch_execz .LBB529_349
; %bb.68:
	v_bfe_u32 v6, v5, 21, 1
	s_mov_b32 s25, exec_lo
	s_delay_alu instid0(VALU_DEP_1) | instskip(NEXT) | instid1(VALU_DEP_1)
	v_add3_u32 v6, v5, v6, 0x88fffff
	v_lshrrev_b32_e32 v6, 21, v6
	s_or_saveexec_b32 s39, s39
                                        ; implicit-def: $sgpr40
	s_delay_alu instid0(SALU_CYCLE_1)
	s_xor_b32 exec_lo, exec_lo, s39
	s_cbranch_execnz .LBB529_350
.LBB529_69:
	s_or_b32 exec_lo, exec_lo, s39
	v_mov_b32_e32 v7, s40
	s_and_saveexec_b32 s39, s25
.LBB529_70:
	v_lshrrev_b32_e32 v5, 24, v5
	s_delay_alu instid0(VALU_DEP_1)
	v_and_or_b32 v7, 0x80, v5, v6
.LBB529_71:
	s_or_b32 exec_lo, exec_lo, s39
.LBB529_72:
	s_delay_alu instid0(SALU_CYCLE_1)
	s_or_b32 exec_lo, exec_lo, s24
	s_mov_b32 s24, 0
	global_store_b8 v[0:1], v7, off
.LBB529_73:
	s_and_b32 vcc_lo, exec_lo, s24
	s_cbranch_vccz .LBB529_83
; %bb.74:
	v_cvt_f32_f16_e32 v5, v2
	s_mov_b32 s24, exec_lo
                                        ; implicit-def: $vgpr6
	s_delay_alu instid0(VALU_DEP_1) | instskip(NEXT) | instid1(VALU_DEP_1)
	v_and_b32_e32 v7, 0x7fffffff, v5
	v_cmpx_gt_u32_e32 0x43f00000, v7
	s_xor_b32 s24, exec_lo, s24
	s_cbranch_execz .LBB529_80
; %bb.75:
	s_mov_b32 s25, exec_lo
                                        ; implicit-def: $vgpr6
	v_cmpx_lt_u32_e32 0x3c7fffff, v7
	s_xor_b32 s25, exec_lo, s25
; %bb.76:
	v_bfe_u32 v6, v5, 20, 1
	s_delay_alu instid0(VALU_DEP_1) | instskip(NEXT) | instid1(VALU_DEP_1)
	v_add3_u32 v6, v5, v6, 0x407ffff
	v_and_b32_e32 v7, 0xff00000, v6
	v_lshrrev_b32_e32 v6, 20, v6
	s_delay_alu instid0(VALU_DEP_2) | instskip(NEXT) | instid1(VALU_DEP_2)
	v_cmp_ne_u32_e32 vcc_lo, 0x7f00000, v7
	v_cndmask_b32_e32 v6, 0x7e, v6, vcc_lo
; %bb.77:
	s_and_not1_saveexec_b32 s25, s25
; %bb.78:
	v_add_f32_e64 v6, 0x46800000, |v5|
; %bb.79:
	s_or_b32 exec_lo, exec_lo, s25
                                        ; implicit-def: $vgpr7
.LBB529_80:
	s_and_not1_saveexec_b32 s24, s24
; %bb.81:
	v_mov_b32_e32 v6, 0x7f
	v_cmp_lt_u32_e32 vcc_lo, 0x7f800000, v7
	s_delay_alu instid0(VALU_DEP_2)
	v_cndmask_b32_e32 v6, 0x7e, v6, vcc_lo
; %bb.82:
	s_or_b32 exec_lo, exec_lo, s24
	v_lshrrev_b32_e32 v5, 24, v5
	s_delay_alu instid0(VALU_DEP_1)
	v_and_or_b32 v5, 0x80, v5, v6
	global_store_b8 v[0:1], v5, off
.LBB529_83:
	s_mov_b32 s24, 0
.LBB529_84:
	s_delay_alu instid0(SALU_CYCLE_1)
	s_and_not1_b32 vcc_lo, exec_lo, s24
	s_cbranch_vccnz .LBB529_94
; %bb.85:
	v_cvt_f32_f16_e32 v5, v2
	s_mov_b32 s24, exec_lo
                                        ; implicit-def: $vgpr6
	s_delay_alu instid0(VALU_DEP_1) | instskip(NEXT) | instid1(VALU_DEP_1)
	v_and_b32_e32 v7, 0x7fffffff, v5
	v_cmpx_gt_u32_e32 0x47800000, v7
	s_xor_b32 s24, exec_lo, s24
	s_cbranch_execz .LBB529_91
; %bb.86:
	s_mov_b32 s25, exec_lo
                                        ; implicit-def: $vgpr6
	v_cmpx_lt_u32_e32 0x387fffff, v7
	s_xor_b32 s25, exec_lo, s25
; %bb.87:
	v_bfe_u32 v6, v5, 21, 1
	s_delay_alu instid0(VALU_DEP_1) | instskip(NEXT) | instid1(VALU_DEP_1)
	v_add3_u32 v6, v5, v6, 0x80fffff
	v_lshrrev_b32_e32 v6, 21, v6
; %bb.88:
	s_and_not1_saveexec_b32 s25, s25
; %bb.89:
	v_add_f32_e64 v6, 0x43000000, |v5|
; %bb.90:
	s_or_b32 exec_lo, exec_lo, s25
                                        ; implicit-def: $vgpr7
.LBB529_91:
	s_and_not1_saveexec_b32 s24, s24
; %bb.92:
	v_mov_b32_e32 v6, 0x7f
	v_cmp_lt_u32_e32 vcc_lo, 0x7f800000, v7
	s_delay_alu instid0(VALU_DEP_2)
	v_cndmask_b32_e32 v6, 0x7c, v6, vcc_lo
; %bb.93:
	s_or_b32 exec_lo, exec_lo, s24
	v_lshrrev_b32_e32 v5, 24, v5
	s_delay_alu instid0(VALU_DEP_1)
	v_and_or_b32 v5, 0x80, v5, v6
	global_store_b8 v[0:1], v5, off
.LBB529_94:
	s_mov_b32 s25, 0
	s_mov_b32 s24, -1
.LBB529_95:
	s_and_not1_b32 vcc_lo, exec_lo, s25
	s_cbranch_vccnz .LBB529_103
; %bb.96:
	v_cmp_lt_i16_e32 vcc_lo, 14, v3
	s_mov_b32 s25, -1
	s_cbranch_vccz .LBB529_100
; %bb.97:
	v_cmp_eq_u16_e32 vcc_lo, 15, v3
	s_mov_b32 s2, -1
	s_cbranch_vccz .LBB529_99
; %bb.98:
	v_cvt_f32_f16_e32 v5, v2
	v_cmp_o_f16_e32 vcc_lo, v2, v2
	s_mov_b32 s24, -1
	s_mov_b32 s2, 0
	s_delay_alu instid0(VALU_DEP_2) | instskip(NEXT) | instid1(VALU_DEP_1)
	v_bfe_u32 v6, v5, 16, 1
	v_add3_u32 v5, v5, v6, 0x7fff
	s_delay_alu instid0(VALU_DEP_1) | instskip(NEXT) | instid1(VALU_DEP_1)
	v_lshrrev_b32_e32 v5, 16, v5
	v_cndmask_b32_e32 v5, 0x7fc0, v5, vcc_lo
	global_store_b16 v[0:1], v5, off
.LBB529_99:
	s_mov_b32 s25, 0
.LBB529_100:
	s_delay_alu instid0(SALU_CYCLE_1)
	s_and_b32 vcc_lo, exec_lo, s25
	s_cbranch_vccz .LBB529_103
; %bb.101:
	v_cmp_eq_u16_e32 vcc_lo, 11, v3
	s_mov_b32 s2, -1
	s_cbranch_vccz .LBB529_103
; %bb.102:
	v_and_b32_e32 v5, 0x7fff, v2
	s_mov_b32 s2, 0
	s_mov_b32 s24, -1
	s_delay_alu instid0(VALU_DEP_1)
	v_cmp_ne_u16_e32 vcc_lo, 0, v5
	v_cndmask_b32_e64 v5, 0, 1, vcc_lo
	global_store_b8 v[0:1], v5, off
.LBB529_103:
.LBB529_104:
	s_and_not1_b32 vcc_lo, exec_lo, s24
	s_cbranch_vccz .LBB529_144
	s_branch .LBB529_265
.LBB529_105:
	s_and_b32 vcc_lo, exec_lo, s25
	s_cbranch_vccz .LBB529_104
; %bb.106:
	v_cmp_gt_i16_e32 vcc_lo, 5, v3
	s_mov_b32 s24, -1
	s_cbranch_vccnz .LBB529_127
; %bb.107:
	v_cmp_gt_i16_e32 vcc_lo, 8, v3
	s_cbranch_vccnz .LBB529_117
; %bb.108:
	v_cmp_gt_i16_e32 vcc_lo, 9, v3
	s_cbranch_vccnz .LBB529_114
; %bb.109:
	v_cmp_lt_i16_e32 vcc_lo, 9, v3
	s_cbranch_vccz .LBB529_111
; %bb.110:
	v_cvt_f32_f16_e32 v5, v2
	v_mov_b32_e32 v7, 0
	s_mov_b32 s24, 0
	s_delay_alu instid0(VALU_DEP_2) | instskip(NEXT) | instid1(VALU_DEP_2)
	v_cvt_f64_f32_e32 v[5:6], v5
	v_mov_b32_e32 v8, v7
	global_store_b128 v[0:1], v[5:8], off
.LBB529_111:
	s_and_not1_b32 vcc_lo, exec_lo, s24
	s_cbranch_vccnz .LBB529_113
; %bb.112:
	v_cvt_f32_f16_e32 v5, v2
	v_mov_b32_e32 v6, 0
	global_store_b64 v[0:1], v[5:6], off
.LBB529_113:
	s_mov_b32 s24, 0
.LBB529_114:
	s_delay_alu instid0(SALU_CYCLE_1)
	s_and_not1_b32 vcc_lo, exec_lo, s24
	s_cbranch_vccnz .LBB529_116
; %bb.115:
	v_and_b32_e32 v5, 0xffff, v2
	global_store_b32 v[0:1], v5, off
.LBB529_116:
	s_mov_b32 s24, 0
.LBB529_117:
	s_delay_alu instid0(SALU_CYCLE_1)
	s_and_not1_b32 vcc_lo, exec_lo, s24
	s_cbranch_vccnz .LBB529_126
; %bb.118:
	v_cmp_gt_i16_e32 vcc_lo, 6, v3
	s_mov_b32 s24, -1
	s_cbranch_vccnz .LBB529_124
; %bb.119:
	v_cmp_lt_i16_e32 vcc_lo, 6, v3
	s_cbranch_vccz .LBB529_121
; %bb.120:
	v_cvt_f32_f16_e32 v5, v2
	s_mov_b32 s24, 0
	s_delay_alu instid0(VALU_DEP_1)
	v_cvt_f64_f32_e32 v[5:6], v5
	global_store_b64 v[0:1], v[5:6], off
.LBB529_121:
	s_and_not1_b32 vcc_lo, exec_lo, s24
	s_cbranch_vccnz .LBB529_123
; %bb.122:
	v_cvt_f32_f16_e32 v5, v2
	global_store_b32 v[0:1], v5, off
.LBB529_123:
	s_mov_b32 s24, 0
.LBB529_124:
	s_delay_alu instid0(SALU_CYCLE_1)
	s_and_not1_b32 vcc_lo, exec_lo, s24
	s_cbranch_vccnz .LBB529_126
; %bb.125:
	global_store_b16 v[0:1], v2, off
.LBB529_126:
	s_mov_b32 s24, 0
.LBB529_127:
	s_delay_alu instid0(SALU_CYCLE_1)
	s_and_not1_b32 vcc_lo, exec_lo, s24
	s_cbranch_vccnz .LBB529_143
; %bb.128:
	v_cmp_gt_i16_e32 vcc_lo, 2, v3
	s_mov_b32 s24, -1
	s_cbranch_vccnz .LBB529_138
; %bb.129:
	v_cmp_gt_i16_e32 vcc_lo, 3, v3
	s_cbranch_vccnz .LBB529_135
; %bb.130:
	v_cmp_lt_i16_e32 vcc_lo, 3, v3
	s_cbranch_vccz .LBB529_132
; %bb.131:
	v_cvt_f32_f16_e32 v5, v2
	s_mov_b32 s24, 0
	s_delay_alu instid0(VALU_DEP_1) | instskip(NEXT) | instid1(VALU_DEP_1)
	v_cvt_i32_f32_e32 v5, v5
	v_ashrrev_i32_e32 v6, 31, v5
	global_store_b64 v[0:1], v[5:6], off
.LBB529_132:
	s_and_not1_b32 vcc_lo, exec_lo, s24
	s_cbranch_vccnz .LBB529_134
; %bb.133:
	v_cvt_f32_f16_e32 v5, v2
	s_delay_alu instid0(VALU_DEP_1)
	v_cvt_i32_f32_e32 v5, v5
	global_store_b32 v[0:1], v5, off
.LBB529_134:
	s_mov_b32 s24, 0
.LBB529_135:
	s_delay_alu instid0(SALU_CYCLE_1)
	s_and_not1_b32 vcc_lo, exec_lo, s24
	s_cbranch_vccnz .LBB529_137
; %bb.136:
	v_cvt_i16_f16_e32 v5, v2
	global_store_b16 v[0:1], v5, off
.LBB529_137:
	s_mov_b32 s24, 0
.LBB529_138:
	s_delay_alu instid0(SALU_CYCLE_1)
	s_and_not1_b32 vcc_lo, exec_lo, s24
	s_cbranch_vccnz .LBB529_143
; %bb.139:
	v_cmp_lt_i16_e32 vcc_lo, 0, v3
	s_mov_b32 s24, -1
	s_cbranch_vccz .LBB529_141
; %bb.140:
	v_cvt_i16_f16_e32 v3, v2
	s_mov_b32 s24, 0
	global_store_b8 v[0:1], v3, off
.LBB529_141:
	s_and_not1_b32 vcc_lo, exec_lo, s24
	s_cbranch_vccnz .LBB529_143
; %bb.142:
	v_cvt_f32_f16_e32 v2, v2
	s_delay_alu instid0(VALU_DEP_1)
	v_cvt_i32_f32_e32 v2, v2
	global_store_b8 v[0:1], v2, off
.LBB529_143:
.LBB529_144:
	v_add_nc_u32_e32 v4, 0x80, v4
	s_mov_b32 s24, -1
	s_branch .LBB529_266
.LBB529_145:
	s_mov_b32 s2, 0
                                        ; implicit-def: $vgpr3
	s_cbranch_execnz .LBB529_182
	s_branch .LBB529_216
.LBB529_146:
	s_mov_b32 s24, -1
	s_mov_b32 s2, 0
                                        ; implicit-def: $vgpr3
	s_branch .LBB529_163
.LBB529_147:
	s_mov_b32 s24, -1
	s_mov_b32 s2, 0
                                        ; implicit-def: $vgpr3
	s_branch .LBB529_158
.LBB529_148:
	s_mov_b32 s24, -1
	s_branch .LBB529_150
.LBB529_149:
	s_mov_b32 s3, -1
.LBB529_150:
	s_mov_b32 s2, 0
                                        ; implicit-def: $vgpr3
.LBB529_151:
	s_and_b32 vcc_lo, exec_lo, s24
	s_cbranch_vccz .LBB529_157
; %bb.152:
	v_cmp_eq_u16_e64 s3, s34, 44
	s_delay_alu instid0(VALU_DEP_1)
	s_and_b32 vcc_lo, exec_lo, s3
	s_cbranch_vccz .LBB529_156
; %bb.153:
	global_load_u8 v3, v[1:2], off
	s_mov_b32 s3, 0
	s_mov_b32 s2, -1
	s_waitcnt vmcnt(0)
	v_lshlrev_b32_e32 v5, 23, v3
	v_cmp_ne_u32_e32 vcc_lo, 0xff, v3
	s_delay_alu instid0(VALU_DEP_2) | instskip(NEXT) | instid1(VALU_DEP_1)
	v_cvt_f16_f32_e32 v5, v5
	v_cndmask_b32_e32 v5, 0x7e00, v5, vcc_lo
	v_cmp_ne_u32_e32 vcc_lo, 0, v3
	s_delay_alu instid0(VALU_DEP_2)
	v_cndmask_b32_e32 v3, 0, v5, vcc_lo
	s_branch .LBB529_157
.LBB529_154:
	s_or_saveexec_b32 s39, s39
                                        ; implicit-def: $sgpr40
	s_delay_alu instid0(SALU_CYCLE_1)
	s_xor_b32 exec_lo, exec_lo, s39
	s_cbranch_execz .LBB529_56
.LBB529_155:
	v_add_f32_e64 v6, 0x46000000, |v5|
	s_and_not1_b32 s25, s25, exec_lo
	s_mov_b32 s40, 0
	s_delay_alu instid0(VALU_DEP_1) | instskip(NEXT) | instid1(VALU_DEP_1)
	v_and_b32_e32 v6, 0xff, v6
	v_cmp_ne_u32_e32 vcc_lo, 0, v6
	s_and_b32 s43, vcc_lo, exec_lo
	s_delay_alu instid0(SALU_CYCLE_1)
	s_or_b32 s25, s25, s43
	s_or_b32 exec_lo, exec_lo, s39
	v_mov_b32_e32 v7, s40
	s_and_saveexec_b32 s39, s25
	s_cbranch_execnz .LBB529_57
	s_branch .LBB529_58
.LBB529_156:
	s_mov_b32 s3, -1
                                        ; implicit-def: $vgpr3
.LBB529_157:
	s_mov_b32 s24, 0
.LBB529_158:
	s_delay_alu instid0(SALU_CYCLE_1)
	s_and_b32 vcc_lo, exec_lo, s24
	s_cbranch_vccz .LBB529_162
; %bb.159:
	v_cmp_eq_u16_e64 s3, s34, 29
	s_delay_alu instid0(VALU_DEP_1)
	s_and_b32 vcc_lo, exec_lo, s3
	s_cbranch_vccz .LBB529_161
; %bb.160:
	global_load_b64 v[5:6], v[1:2], off
	s_mov_b32 s2, -1
	s_mov_b32 s3, 0
	s_mov_b32 s24, 0
	s_waitcnt vmcnt(0)
	v_clz_i32_u32_e32 v3, v6
	s_delay_alu instid0(VALU_DEP_1) | instskip(NEXT) | instid1(VALU_DEP_1)
	v_min_u32_e32 v3, 32, v3
	v_lshlrev_b64 v[5:6], v3, v[5:6]
	v_sub_nc_u32_e32 v3, 32, v3
	s_delay_alu instid0(VALU_DEP_2) | instskip(NEXT) | instid1(VALU_DEP_1)
	v_min_u32_e32 v5, 1, v5
	v_or_b32_e32 v5, v6, v5
	s_delay_alu instid0(VALU_DEP_1) | instskip(NEXT) | instid1(VALU_DEP_1)
	v_cvt_f32_u32_e32 v5, v5
	v_ldexp_f32 v3, v5, v3
	s_delay_alu instid0(VALU_DEP_1)
	v_cvt_f16_f32_e32 v3, v3
	s_branch .LBB529_163
.LBB529_161:
	s_mov_b32 s3, -1
                                        ; implicit-def: $vgpr3
.LBB529_162:
	s_mov_b32 s24, 0
.LBB529_163:
	s_delay_alu instid0(SALU_CYCLE_1)
	s_and_b32 vcc_lo, exec_lo, s24
	s_cbranch_vccz .LBB529_181
; %bb.164:
	v_cmp_lt_i16_e64 s2, s34, 27
	s_delay_alu instid0(VALU_DEP_1)
	s_and_b32 vcc_lo, exec_lo, s2
	s_cbranch_vccnz .LBB529_167
; %bb.165:
	v_cmp_gt_i16_e64 s2, s34, 27
	s_delay_alu instid0(VALU_DEP_1)
	s_and_b32 vcc_lo, exec_lo, s2
	s_cbranch_vccz .LBB529_168
; %bb.166:
	global_load_b32 v3, v[1:2], off
	s_mov_b32 s2, 0
	s_waitcnt vmcnt(0)
	v_cvt_f32_u32_e32 v3, v3
	s_delay_alu instid0(VALU_DEP_1)
	v_cvt_f16_f32_e32 v3, v3
	s_branch .LBB529_169
.LBB529_167:
	s_mov_b32 s2, -1
                                        ; implicit-def: $vgpr3
	s_branch .LBB529_172
.LBB529_168:
	s_mov_b32 s2, -1
                                        ; implicit-def: $vgpr3
.LBB529_169:
	s_delay_alu instid0(SALU_CYCLE_1)
	s_and_not1_b32 vcc_lo, exec_lo, s2
	s_cbranch_vccnz .LBB529_171
; %bb.170:
	global_load_u16 v3, v[1:2], off
	s_waitcnt vmcnt(0)
	v_cvt_f16_u16_e32 v3, v3
.LBB529_171:
	s_mov_b32 s2, 0
.LBB529_172:
	s_delay_alu instid0(SALU_CYCLE_1)
	s_and_not1_b32 vcc_lo, exec_lo, s2
	s_cbranch_vccnz .LBB529_180
; %bb.173:
	global_load_u8 v5, v[1:2], off
	s_mov_b32 s2, 0
	s_mov_b32 s25, exec_lo
                                        ; implicit-def: $sgpr24
	s_waitcnt vmcnt(0)
	v_cmpx_lt_i16_e32 0x7f, v5
	s_xor_b32 s25, exec_lo, s25
	s_cbranch_execz .LBB529_193
; %bb.174:
	s_mov_b32 s2, -1
	s_mov_b32 s39, exec_lo
                                        ; implicit-def: $sgpr24
	v_cmpx_eq_u16_e32 0x80, v5
; %bb.175:
	s_movk_i32 s24, 0x7e00
	s_xor_b32 s2, exec_lo, -1
; %bb.176:
	s_or_b32 exec_lo, exec_lo, s39
	s_delay_alu instid0(SALU_CYCLE_1)
	s_and_b32 s2, s2, exec_lo
	s_or_saveexec_b32 s25, s25
	v_mov_b32_e32 v3, s24
	s_xor_b32 exec_lo, exec_lo, s25
	s_cbranch_execnz .LBB529_194
.LBB529_177:
	s_or_b32 exec_lo, exec_lo, s25
	s_and_saveexec_b32 s24, s2
	s_cbranch_execz .LBB529_179
.LBB529_178:
	v_and_b32_e32 v3, 0xffff, v5
	v_lshlrev_b32_e32 v5, 24, v5
	s_delay_alu instid0(VALU_DEP_2) | instskip(NEXT) | instid1(VALU_DEP_2)
	v_and_b32_e32 v6, 7, v3
	v_and_b32_e32 v5, 0x80000000, v5
	s_delay_alu instid0(VALU_DEP_2) | instskip(NEXT) | instid1(VALU_DEP_1)
	v_clz_i32_u32_e32 v7, v6
	v_min_u32_e32 v7, 32, v7
	s_delay_alu instid0(VALU_DEP_1) | instskip(SKIP_1) | instid1(VALU_DEP_2)
	v_subrev_nc_u32_e32 v8, 28, v7
	v_sub_nc_u32_e32 v7, 29, v7
	v_lshlrev_b32_e32 v8, v8, v3
	v_bfe_u32 v3, v3, 3, 4
	s_delay_alu instid0(VALU_DEP_1) | instskip(NEXT) | instid1(VALU_DEP_3)
	v_cmp_eq_u32_e32 vcc_lo, 0, v3
	v_dual_cndmask_b32 v3, v3, v7 :: v_dual_and_b32 v8, 7, v8
	s_delay_alu instid0(VALU_DEP_1) | instskip(NEXT) | instid1(VALU_DEP_2)
	v_cndmask_b32_e32 v6, v6, v8, vcc_lo
	v_lshl_add_u32 v3, v3, 23, 0x3b800000
	s_delay_alu instid0(VALU_DEP_2) | instskip(NEXT) | instid1(VALU_DEP_1)
	v_lshlrev_b32_e32 v6, 20, v6
	v_or3_b32 v3, v5, v3, v6
	s_delay_alu instid0(VALU_DEP_1)
	v_cvt_f16_f32_e32 v3, v3
.LBB529_179:
	s_or_b32 exec_lo, exec_lo, s24
.LBB529_180:
	s_mov_b32 s2, -1
.LBB529_181:
	s_branch .LBB529_216
.LBB529_182:
	v_cmp_gt_i16_e64 s24, s34, 22
	s_delay_alu instid0(VALU_DEP_1)
	s_and_b32 vcc_lo, exec_lo, s24
	s_cbranch_vccz .LBB529_192
; %bb.183:
	v_cmp_lt_i16_e64 s2, s34, 24
	s_delay_alu instid0(VALU_DEP_1)
	s_and_b32 vcc_lo, exec_lo, s2
	s_cbranch_vccnz .LBB529_195
; %bb.184:
	v_cmp_gt_i16_e64 s2, s34, 24
	s_delay_alu instid0(VALU_DEP_1)
	s_and_b32 vcc_lo, exec_lo, s2
	s_cbranch_vccz .LBB529_196
; %bb.185:
	global_load_u8 v5, v[1:2], off
	s_mov_b32 s2, 0
	s_mov_b32 s25, exec_lo
                                        ; implicit-def: $sgpr24
	s_waitcnt vmcnt(0)
	v_cmpx_lt_i16_e32 0x7f, v5
	s_xor_b32 s25, exec_lo, s25
	s_cbranch_execz .LBB529_208
; %bb.186:
	s_mov_b32 s2, -1
	s_mov_b32 s39, exec_lo
                                        ; implicit-def: $sgpr24
	v_cmpx_eq_u16_e32 0x80, v5
; %bb.187:
	s_movk_i32 s24, 0x7e00
	s_xor_b32 s2, exec_lo, -1
; %bb.188:
	s_or_b32 exec_lo, exec_lo, s39
	s_delay_alu instid0(SALU_CYCLE_1)
	s_and_b32 s2, s2, exec_lo
	s_or_saveexec_b32 s25, s25
	v_mov_b32_e32 v3, s24
	s_xor_b32 exec_lo, exec_lo, s25
	s_cbranch_execnz .LBB529_209
.LBB529_189:
	s_or_b32 exec_lo, exec_lo, s25
	s_and_saveexec_b32 s24, s2
	s_cbranch_execz .LBB529_191
.LBB529_190:
	v_and_b32_e32 v3, 0xffff, v5
	v_lshlrev_b32_e32 v5, 24, v5
	s_delay_alu instid0(VALU_DEP_2) | instskip(NEXT) | instid1(VALU_DEP_2)
	v_and_b32_e32 v6, 3, v3
	v_and_b32_e32 v5, 0x80000000, v5
	s_delay_alu instid0(VALU_DEP_2) | instskip(NEXT) | instid1(VALU_DEP_1)
	v_clz_i32_u32_e32 v7, v6
	v_min_u32_e32 v7, 32, v7
	s_delay_alu instid0(VALU_DEP_1) | instskip(SKIP_1) | instid1(VALU_DEP_2)
	v_subrev_nc_u32_e32 v8, 29, v7
	v_sub_nc_u32_e32 v7, 30, v7
	v_lshlrev_b32_e32 v8, v8, v3
	v_bfe_u32 v3, v3, 2, 5
	s_delay_alu instid0(VALU_DEP_1) | instskip(NEXT) | instid1(VALU_DEP_3)
	v_cmp_eq_u32_e32 vcc_lo, 0, v3
	v_dual_cndmask_b32 v3, v3, v7 :: v_dual_and_b32 v8, 3, v8
	s_delay_alu instid0(VALU_DEP_1) | instskip(NEXT) | instid1(VALU_DEP_2)
	v_cndmask_b32_e32 v6, v6, v8, vcc_lo
	v_lshl_add_u32 v3, v3, 23, 0x37800000
	s_delay_alu instid0(VALU_DEP_2) | instskip(NEXT) | instid1(VALU_DEP_1)
	v_lshlrev_b32_e32 v6, 21, v6
	v_or3_b32 v3, v5, v3, v6
	s_delay_alu instid0(VALU_DEP_1)
	v_cvt_f16_f32_e32 v3, v3
.LBB529_191:
	s_or_b32 exec_lo, exec_lo, s24
	s_mov_b32 s2, 0
	s_branch .LBB529_197
.LBB529_192:
	s_mov_b32 s24, -1
                                        ; implicit-def: $vgpr3
	s_branch .LBB529_203
.LBB529_193:
	s_or_saveexec_b32 s25, s25
	v_mov_b32_e32 v3, s24
	s_xor_b32 exec_lo, exec_lo, s25
	s_cbranch_execz .LBB529_177
.LBB529_194:
	v_cmp_ne_u16_e32 vcc_lo, 0, v5
	v_mov_b32_e32 v3, v5
	s_and_not1_b32 s2, s2, exec_lo
	s_and_b32 s24, vcc_lo, exec_lo
	s_delay_alu instid0(SALU_CYCLE_1)
	s_or_b32 s2, s2, s24
	s_or_b32 exec_lo, exec_lo, s25
	s_and_saveexec_b32 s24, s2
	s_cbranch_execnz .LBB529_178
	s_branch .LBB529_179
.LBB529_195:
	s_mov_b32 s2, -1
                                        ; implicit-def: $vgpr3
	s_branch .LBB529_200
.LBB529_196:
	s_mov_b32 s2, -1
                                        ; implicit-def: $vgpr3
.LBB529_197:
	s_delay_alu instid0(SALU_CYCLE_1)
	s_and_b32 vcc_lo, exec_lo, s2
	s_cbranch_vccz .LBB529_199
; %bb.198:
	global_load_u8 v3, v[1:2], off
	s_waitcnt vmcnt(0)
	v_lshlrev_b32_e32 v3, 24, v3
	s_delay_alu instid0(VALU_DEP_1) | instskip(NEXT) | instid1(VALU_DEP_1)
	v_and_b32_e32 v5, 0x7f000000, v3
	v_clz_i32_u32_e32 v6, v5
	v_cmp_ne_u32_e32 vcc_lo, 0, v5
	v_add_nc_u32_e32 v8, 0x1000000, v5
	s_delay_alu instid0(VALU_DEP_3) | instskip(NEXT) | instid1(VALU_DEP_1)
	v_min_u32_e32 v6, 32, v6
	v_sub_nc_u32_e64 v6, v6, 4 clamp
	s_delay_alu instid0(VALU_DEP_1) | instskip(SKIP_1) | instid1(VALU_DEP_2)
	v_lshlrev_b32_e32 v7, v6, v5
	v_lshlrev_b32_e32 v6, 23, v6
	v_lshrrev_b32_e32 v7, 4, v7
	s_delay_alu instid0(VALU_DEP_1) | instskip(SKIP_1) | instid1(VALU_DEP_2)
	v_sub_nc_u32_e32 v6, v7, v6
	v_ashrrev_i32_e32 v7, 8, v8
	v_add_nc_u32_e32 v6, 0x3c000000, v6
	s_delay_alu instid0(VALU_DEP_1) | instskip(NEXT) | instid1(VALU_DEP_1)
	v_and_or_b32 v6, 0x7f800000, v7, v6
	v_cndmask_b32_e32 v5, 0, v6, vcc_lo
	s_delay_alu instid0(VALU_DEP_1) | instskip(NEXT) | instid1(VALU_DEP_1)
	v_and_or_b32 v3, 0x80000000, v3, v5
	v_cvt_f16_f32_e32 v3, v3
.LBB529_199:
	s_mov_b32 s2, 0
.LBB529_200:
	s_delay_alu instid0(SALU_CYCLE_1)
	s_and_not1_b32 vcc_lo, exec_lo, s2
	s_cbranch_vccnz .LBB529_202
; %bb.201:
	global_load_u8 v3, v[1:2], off
	s_waitcnt vmcnt(0)
	v_lshlrev_b32_e32 v5, 25, v3
	v_lshlrev_b16 v3, 8, v3
	s_delay_alu instid0(VALU_DEP_2) | instskip(NEXT) | instid1(VALU_DEP_2)
	v_lshrrev_b32_e32 v6, 4, v5
	v_and_or_b32 v7, 0x7f00, v3, 0.5
	v_bfe_i32 v3, v3, 0, 16
	s_delay_alu instid0(VALU_DEP_3) | instskip(NEXT) | instid1(VALU_DEP_1)
	v_or_b32_e32 v6, 0x70000000, v6
	v_dual_add_f32 v7, -0.5, v7 :: v_dual_mul_f32 v6, 0x7800000, v6
	v_cmp_gt_u32_e32 vcc_lo, 0x8000000, v5
	s_delay_alu instid0(VALU_DEP_2) | instskip(NEXT) | instid1(VALU_DEP_1)
	v_cndmask_b32_e32 v5, v6, v7, vcc_lo
	v_and_or_b32 v3, 0x80000000, v3, v5
	s_delay_alu instid0(VALU_DEP_1)
	v_cvt_f16_f32_e32 v3, v3
.LBB529_202:
	s_mov_b32 s24, 0
	s_mov_b32 s2, -1
.LBB529_203:
	s_and_not1_b32 vcc_lo, exec_lo, s24
	s_cbranch_vccnz .LBB529_216
; %bb.204:
	v_cmp_gt_i16_e64 s24, s34, 14
	s_delay_alu instid0(VALU_DEP_1)
	s_and_b32 vcc_lo, exec_lo, s24
	s_cbranch_vccz .LBB529_207
; %bb.205:
	v_cmp_eq_u16_e64 s3, s34, 15
	s_delay_alu instid0(VALU_DEP_1)
	s_and_b32 vcc_lo, exec_lo, s3
	s_cbranch_vccz .LBB529_210
; %bb.206:
	global_load_u16 v3, v[1:2], off
	s_mov_b32 s2, -1
	s_mov_b32 s3, 0
	s_waitcnt vmcnt(0)
	v_lshlrev_b32_e32 v3, 16, v3
	s_delay_alu instid0(VALU_DEP_1)
	v_cvt_f16_f32_e32 v3, v3
	s_branch .LBB529_211
.LBB529_207:
	s_mov_b32 s24, -1
                                        ; implicit-def: $vgpr3
	s_branch .LBB529_212
.LBB529_208:
	s_or_saveexec_b32 s25, s25
	v_mov_b32_e32 v3, s24
	s_xor_b32 exec_lo, exec_lo, s25
	s_cbranch_execz .LBB529_189
.LBB529_209:
	v_cmp_ne_u16_e32 vcc_lo, 0, v5
	v_mov_b32_e32 v3, v5
	s_and_not1_b32 s2, s2, exec_lo
	s_and_b32 s24, vcc_lo, exec_lo
	s_delay_alu instid0(SALU_CYCLE_1)
	s_or_b32 s2, s2, s24
	s_or_b32 exec_lo, exec_lo, s25
	s_and_saveexec_b32 s24, s2
	s_cbranch_execnz .LBB529_190
	s_branch .LBB529_191
.LBB529_210:
	s_mov_b32 s3, -1
                                        ; implicit-def: $vgpr3
.LBB529_211:
	s_mov_b32 s24, 0
.LBB529_212:
	s_delay_alu instid0(SALU_CYCLE_1)
	s_and_b32 vcc_lo, exec_lo, s24
	s_cbranch_vccz .LBB529_216
; %bb.213:
	v_cmp_eq_u16_e64 s3, s34, 11
	s_delay_alu instid0(VALU_DEP_1)
	s_and_b32 vcc_lo, exec_lo, s3
	s_cbranch_vccz .LBB529_215
; %bb.214:
	global_load_u8 v3, v[1:2], off
	s_mov_b32 s3, 0
	s_mov_b32 s2, -1
	s_waitcnt vmcnt(0)
	v_cmp_ne_u16_e32 vcc_lo, 0, v3
	v_cndmask_b32_e64 v3, 0, 0x3c00, vcc_lo
	s_branch .LBB529_216
.LBB529_215:
	s_mov_b32 s3, -1
                                        ; implicit-def: $vgpr3
.LBB529_216:
	s_branch .LBB529_23
.LBB529_217:
	v_cmp_lt_i16_e64 s2, s34, 5
	s_delay_alu instid0(VALU_DEP_1)
	s_and_b32 vcc_lo, exec_lo, s2
	s_cbranch_vccnz .LBB529_222
; %bb.218:
	v_cmp_lt_i16_e64 s2, s34, 8
	s_delay_alu instid0(VALU_DEP_1)
	s_and_b32 vcc_lo, exec_lo, s2
	s_cbranch_vccnz .LBB529_223
; %bb.219:
	;; [unrolled: 5-line block ×3, first 2 shown]
	v_cmp_gt_i16_e64 s2, s34, 9
	s_delay_alu instid0(VALU_DEP_1)
	s_and_b32 vcc_lo, exec_lo, s2
	s_cbranch_vccz .LBB529_225
; %bb.221:
	global_load_b64 v[5:6], v[1:2], off
	s_mov_b32 s2, 0
	s_waitcnt vmcnt(0)
	v_cvt_f32_f64_e32 v3, v[5:6]
	s_delay_alu instid0(VALU_DEP_1)
	v_cvt_f16_f32_e32 v3, v3
	s_branch .LBB529_226
.LBB529_222:
                                        ; implicit-def: $vgpr3
	s_branch .LBB529_244
.LBB529_223:
	s_mov_b32 s2, -1
                                        ; implicit-def: $vgpr3
	s_branch .LBB529_232
.LBB529_224:
	s_mov_b32 s2, -1
                                        ; implicit-def: $vgpr3
	s_branch .LBB529_229
.LBB529_225:
	s_mov_b32 s2, -1
                                        ; implicit-def: $vgpr3
.LBB529_226:
	s_delay_alu instid0(SALU_CYCLE_1)
	s_and_not1_b32 vcc_lo, exec_lo, s2
	s_cbranch_vccnz .LBB529_228
; %bb.227:
	global_load_b32 v3, v[1:2], off
	s_waitcnt vmcnt(0)
	v_cvt_f16_f32_e32 v3, v3
.LBB529_228:
	s_mov_b32 s2, 0
.LBB529_229:
	s_delay_alu instid0(SALU_CYCLE_1)
	s_and_not1_b32 vcc_lo, exec_lo, s2
	s_cbranch_vccnz .LBB529_231
; %bb.230:
	global_load_b32 v3, v[1:2], off
.LBB529_231:
	s_mov_b32 s2, 0
.LBB529_232:
	s_delay_alu instid0(SALU_CYCLE_1)
	s_and_not1_b32 vcc_lo, exec_lo, s2
	s_cbranch_vccnz .LBB529_243
; %bb.233:
	v_cmp_lt_i16_e64 s2, s34, 6
	s_delay_alu instid0(VALU_DEP_1)
	s_and_b32 vcc_lo, exec_lo, s2
	s_cbranch_vccnz .LBB529_236
; %bb.234:
	v_cmp_gt_i16_e64 s2, s34, 6
	s_delay_alu instid0(VALU_DEP_1)
	s_and_b32 vcc_lo, exec_lo, s2
	s_cbranch_vccz .LBB529_237
; %bb.235:
	global_load_b64 v[5:6], v[1:2], off
	s_mov_b32 s2, 0
	s_waitcnt vmcnt(0)
	v_cvt_f32_f64_e32 v3, v[5:6]
	s_delay_alu instid0(VALU_DEP_1)
	v_cvt_f16_f32_e32 v3, v3
	s_branch .LBB529_238
.LBB529_236:
	s_mov_b32 s2, -1
                                        ; implicit-def: $vgpr3
	s_branch .LBB529_241
.LBB529_237:
	s_mov_b32 s2, -1
                                        ; implicit-def: $vgpr3
.LBB529_238:
	s_delay_alu instid0(SALU_CYCLE_1)
	s_and_not1_b32 vcc_lo, exec_lo, s2
	s_cbranch_vccnz .LBB529_240
; %bb.239:
	global_load_b32 v3, v[1:2], off
	s_waitcnt vmcnt(0)
	v_cvt_f16_f32_e32 v3, v3
.LBB529_240:
	s_mov_b32 s2, 0
.LBB529_241:
	s_delay_alu instid0(SALU_CYCLE_1)
	s_and_not1_b32 vcc_lo, exec_lo, s2
	s_cbranch_vccnz .LBB529_243
; %bb.242:
	global_load_u16 v3, v[1:2], off
.LBB529_243:
	s_cbranch_execnz .LBB529_263
.LBB529_244:
	v_cmp_lt_i16_e64 s2, s34, 2
	s_delay_alu instid0(VALU_DEP_1)
	s_and_b32 vcc_lo, exec_lo, s2
	s_cbranch_vccnz .LBB529_248
; %bb.245:
	v_cmp_lt_i16_e64 s2, s34, 3
	s_delay_alu instid0(VALU_DEP_1)
	s_and_b32 vcc_lo, exec_lo, s2
	s_cbranch_vccnz .LBB529_249
; %bb.246:
	v_cmp_gt_i16_e64 s2, s34, 3
	s_delay_alu instid0(VALU_DEP_1)
	s_and_b32 vcc_lo, exec_lo, s2
	s_cbranch_vccz .LBB529_250
; %bb.247:
	global_load_b64 v[5:6], v[1:2], off
	s_mov_b32 s2, 0
	s_waitcnt vmcnt(0)
	v_xor_b32_e32 v3, v5, v6
	v_cls_i32_e32 v7, v6
	s_delay_alu instid0(VALU_DEP_2) | instskip(NEXT) | instid1(VALU_DEP_2)
	v_ashrrev_i32_e32 v3, 31, v3
	v_add_nc_u32_e32 v7, -1, v7
	s_delay_alu instid0(VALU_DEP_2) | instskip(NEXT) | instid1(VALU_DEP_1)
	v_add_nc_u32_e32 v3, 32, v3
	v_min_u32_e32 v3, v7, v3
	s_delay_alu instid0(VALU_DEP_1) | instskip(SKIP_1) | instid1(VALU_DEP_2)
	v_lshlrev_b64 v[5:6], v3, v[5:6]
	v_sub_nc_u32_e32 v3, 32, v3
	v_min_u32_e32 v5, 1, v5
	s_delay_alu instid0(VALU_DEP_1) | instskip(NEXT) | instid1(VALU_DEP_1)
	v_or_b32_e32 v5, v6, v5
	v_cvt_f32_i32_e32 v5, v5
	s_delay_alu instid0(VALU_DEP_1) | instskip(NEXT) | instid1(VALU_DEP_1)
	v_ldexp_f32 v3, v5, v3
	v_cvt_f16_f32_e32 v3, v3
	s_branch .LBB529_251
.LBB529_248:
	s_mov_b32 s2, -1
                                        ; implicit-def: $vgpr3
	s_branch .LBB529_257
.LBB529_249:
	s_mov_b32 s2, -1
                                        ; implicit-def: $vgpr3
	s_branch .LBB529_254
.LBB529_250:
	s_mov_b32 s2, -1
                                        ; implicit-def: $vgpr3
.LBB529_251:
	s_delay_alu instid0(SALU_CYCLE_1)
	s_and_not1_b32 vcc_lo, exec_lo, s2
	s_cbranch_vccnz .LBB529_253
; %bb.252:
	global_load_b32 v3, v[1:2], off
	s_waitcnt vmcnt(0)
	v_cvt_f32_i32_e32 v3, v3
	s_delay_alu instid0(VALU_DEP_1)
	v_cvt_f16_f32_e32 v3, v3
.LBB529_253:
	s_mov_b32 s2, 0
.LBB529_254:
	s_delay_alu instid0(SALU_CYCLE_1)
	s_and_not1_b32 vcc_lo, exec_lo, s2
	s_cbranch_vccnz .LBB529_256
; %bb.255:
	global_load_u16 v3, v[1:2], off
	s_waitcnt vmcnt(0)
	v_cvt_f16_i16_e32 v3, v3
.LBB529_256:
	s_mov_b32 s2, 0
.LBB529_257:
	s_delay_alu instid0(SALU_CYCLE_1)
	s_and_not1_b32 vcc_lo, exec_lo, s2
	s_cbranch_vccnz .LBB529_263
; %bb.258:
	v_cmp_gt_i16_e64 s2, s34, 0
	s_delay_alu instid0(VALU_DEP_1)
	s_and_b32 vcc_lo, exec_lo, s2
	s_mov_b32 s2, 0
	s_cbranch_vccz .LBB529_260
; %bb.259:
	global_load_i8 v3, v[1:2], off
	s_waitcnt vmcnt(0)
	v_cvt_f16_i16_e32 v3, v3
	s_branch .LBB529_261
.LBB529_260:
	s_mov_b32 s2, -1
                                        ; implicit-def: $vgpr3
.LBB529_261:
	s_delay_alu instid0(SALU_CYCLE_1)
	s_and_not1_b32 vcc_lo, exec_lo, s2
	s_cbranch_vccnz .LBB529_263
; %bb.262:
	global_load_u8 v1, v[1:2], off
	s_waitcnt vmcnt(0)
	v_cvt_f16_u16_e32 v3, v1
.LBB529_263:
	s_branch .LBB529_24
.LBB529_264:
	s_mov_b32 s2, 0
.LBB529_265:
	s_mov_b32 s24, 0
                                        ; implicit-def: $vgpr4
.LBB529_266:
	s_and_b32 s39, s2, exec_lo
	s_and_b32 s40, s3, exec_lo
	s_or_not1_b32 s3, s24, exec_lo
.LBB529_267:
	s_or_b32 exec_lo, exec_lo, s41
	s_mov_b32 s24, 0
	s_mov_b32 s2, 0
                                        ; implicit-def: $vgpr1_vgpr2
                                        ; implicit-def: $vgpr0
                                        ; implicit-def: $vgpr5
	s_and_saveexec_b32 s41, s3
	s_cbranch_execz .LBB529_918
; %bb.268:
	s_mov_b32 s2, -1
	s_mov_b32 s42, s40
	s_mov_b32 s43, s39
	s_mov_b32 s44, exec_lo
	v_cmpx_gt_i32_e64 s36, v4
	s_cbranch_execz .LBB529_541
; %bb.269:
	s_and_not1_b32 vcc_lo, exec_lo, s29
	s_cbranch_vccnz .LBB529_274
; %bb.270:
	v_dual_mov_b32 v0, 0 :: v_dual_mov_b32 v1, 0
	s_and_not1_b32 vcc_lo, exec_lo, s38
	s_mov_b32 s42, 0
	s_cbranch_vccnz .LBB529_279
; %bb.271:
	v_mov_b32_e32 v0, 0
	s_add_i32 s45, s37, 1
	s_cmp_eq_u32 s27, 2
	s_mov_b32 s43, 0
	s_cbranch_scc1 .LBB529_275
; %bb.272:
	v_dual_mov_b32 v1, 0 :: v_dual_mov_b32 v0, 0
	v_mov_b32_e32 v2, v4
	s_and_b32 s43, s45, 28
	s_mov_b32 s46, 0
	s_mov_b64 s[2:3], s[22:23]
	s_mov_b64 s[24:25], s[16:17]
.LBB529_273:                            ; =>This Inner Loop Header: Depth=1
	s_clause 0x1
	s_load_b256 s[48:55], s[24:25], 0x4
	s_load_b128 s[64:67], s[24:25], 0x24
	s_load_b256 s[56:63], s[2:3], 0x0
	s_add_u32 s24, s24, 48
	s_addc_u32 s25, s25, 0
	s_add_i32 s46, s46, 4
	s_add_u32 s2, s2, 32
	s_addc_u32 s3, s3, 0
	s_cmp_eq_u32 s43, s46
	s_waitcnt vmcnt(0) lgkmcnt(0)
	v_mul_hi_u32 v3, s49, v2
	s_delay_alu instid0(VALU_DEP_1) | instskip(NEXT) | instid1(VALU_DEP_1)
	v_add_nc_u32_e32 v3, v2, v3
	v_lshrrev_b32_e32 v3, s50, v3
	s_delay_alu instid0(VALU_DEP_1) | instskip(SKIP_1) | instid1(VALU_DEP_2)
	v_mul_hi_u32 v5, s52, v3
	v_mul_lo_u32 v7, v3, s48
	v_add_nc_u32_e32 v5, v3, v5
	s_delay_alu instid0(VALU_DEP_2) | instskip(NEXT) | instid1(VALU_DEP_2)
	v_sub_nc_u32_e32 v2, v2, v7
	v_lshrrev_b32_e32 v5, s53, v5
	s_delay_alu instid0(VALU_DEP_2) | instskip(SKIP_1) | instid1(VALU_DEP_3)
	v_mul_lo_u32 v7, v2, s56
	v_mul_lo_u32 v9, v2, s57
	v_mul_hi_u32 v6, s55, v5
	s_delay_alu instid0(VALU_DEP_1) | instskip(NEXT) | instid1(VALU_DEP_1)
	v_add_nc_u32_e32 v6, v5, v6
	v_lshrrev_b32_e32 v6, s64, v6
	s_delay_alu instid0(VALU_DEP_1) | instskip(SKIP_1) | instid1(VALU_DEP_2)
	v_mul_hi_u32 v8, s66, v6
	v_mul_lo_u32 v10, v6, s54
	v_add_nc_u32_e32 v2, v6, v8
	v_mul_lo_u32 v8, v5, s51
	s_delay_alu instid0(VALU_DEP_3) | instskip(NEXT) | instid1(VALU_DEP_3)
	v_sub_nc_u32_e32 v5, v5, v10
	v_lshrrev_b32_e32 v2, s67, v2
	s_delay_alu instid0(VALU_DEP_2) | instskip(SKIP_2) | instid1(VALU_DEP_4)
	v_mul_lo_u32 v10, v5, s60
	v_mul_lo_u32 v5, v5, s61
	v_sub_nc_u32_e32 v3, v3, v8
	v_mul_lo_u32 v11, v2, s65
	s_delay_alu instid0(VALU_DEP_2) | instskip(SKIP_1) | instid1(VALU_DEP_3)
	v_mul_lo_u32 v8, v3, s58
	v_mul_lo_u32 v3, v3, s59
	v_sub_nc_u32_e32 v6, v6, v11
	s_delay_alu instid0(VALU_DEP_3) | instskip(NEXT) | instid1(VALU_DEP_2)
	v_add3_u32 v0, v7, v0, v8
	v_mul_lo_u32 v11, v6, s62
	v_mul_lo_u32 v6, v6, s63
	v_add3_u32 v1, v9, v1, v3
	s_delay_alu instid0(VALU_DEP_3) | instskip(NEXT) | instid1(VALU_DEP_2)
	v_add3_u32 v0, v10, v0, v11
	v_add3_u32 v1, v5, v1, v6
	s_cbranch_scc0 .LBB529_273
	s_branch .LBB529_276
.LBB529_274:
	s_mov_b32 s42, -1
                                        ; implicit-def: $vgpr0
                                        ; implicit-def: $vgpr1
	s_branch .LBB529_279
.LBB529_275:
	v_dual_mov_b32 v2, v4 :: v_dual_mov_b32 v1, 0
.LBB529_276:
	s_and_b32 s45, s45, 3
	s_delay_alu instid0(SALU_CYCLE_1)
	s_cmp_eq_u32 s45, 0
	s_cbranch_scc1 .LBB529_279
; %bb.277:
	s_lshl_b32 s2, s43, 3
	s_mul_i32 s24, s43, 12
	s_add_u32 s2, s2, s16
	s_addc_u32 s3, s17, 0
	s_add_u32 s2, s2, 0xc4
	s_addc_u32 s3, s3, 0
	;; [unrolled: 2-line block ×3, first 2 shown]
	.p2align	6
.LBB529_278:                            ; =>This Inner Loop Header: Depth=1
	s_clause 0x1
	s_load_b64 s[46:47], s[24:25], 0x4
	s_load_b32 s43, s[24:25], 0xc
	s_load_b64 s[48:49], s[2:3], 0x0
	s_add_u32 s24, s24, 12
	s_addc_u32 s25, s25, 0
	s_add_u32 s2, s2, 8
	s_addc_u32 s3, s3, 0
	s_add_i32 s45, s45, -1
	s_delay_alu instid0(SALU_CYCLE_1) | instskip(SKIP_2) | instid1(VALU_DEP_1)
	s_cmp_lg_u32 s45, 0
	s_waitcnt vmcnt(0) lgkmcnt(0)
	v_mul_hi_u32 v3, s47, v2
	v_add_nc_u32_e32 v3, v2, v3
	s_delay_alu instid0(VALU_DEP_1) | instskip(NEXT) | instid1(VALU_DEP_1)
	v_lshrrev_b32_e32 v3, s43, v3
	v_mul_lo_u32 v5, v3, s46
	s_delay_alu instid0(VALU_DEP_1) | instskip(NEXT) | instid1(VALU_DEP_1)
	v_sub_nc_u32_e32 v2, v2, v5
	v_mad_u64_u32 v[5:6], null, v2, s48, v[0:1]
	v_mad_u64_u32 v[6:7], null, v2, s49, v[1:2]
	v_mov_b32_e32 v2, v3
	s_delay_alu instid0(VALU_DEP_2)
	v_dual_mov_b32 v0, v5 :: v_dual_mov_b32 v1, v6
	s_cbranch_scc1 .LBB529_278
.LBB529_279:
	s_and_not1_b32 vcc_lo, exec_lo, s42
	s_cbranch_vccnz .LBB529_282
; %bb.280:
	v_mul_hi_u32 v0, s9, v4
	s_and_not1_b32 vcc_lo, exec_lo, s35
	s_delay_alu instid0(VALU_DEP_1) | instskip(NEXT) | instid1(VALU_DEP_1)
	v_add_nc_u32_e32 v0, v4, v0
	v_lshrrev_b32_e32 v2, s10, v0
	s_delay_alu instid0(VALU_DEP_1) | instskip(NEXT) | instid1(VALU_DEP_1)
	v_mul_lo_u32 v0, v2, s8
	v_sub_nc_u32_e32 v1, v4, v0
	s_delay_alu instid0(VALU_DEP_1)
	v_mul_lo_u32 v0, v1, s12
	v_mul_lo_u32 v1, v1, s13
	s_cbranch_vccnz .LBB529_282
; %bb.281:
	s_waitcnt vmcnt(0)
	v_mul_hi_u32 v3, s20, v2
	s_delay_alu instid0(VALU_DEP_1) | instskip(NEXT) | instid1(VALU_DEP_1)
	v_add_nc_u32_e32 v3, v2, v3
	v_lshrrev_b32_e32 v3, s21, v3
	s_delay_alu instid0(VALU_DEP_1) | instskip(NEXT) | instid1(VALU_DEP_1)
	v_mul_lo_u32 v3, v3, s11
	v_sub_nc_u32_e32 v7, v2, v3
	s_delay_alu instid0(VALU_DEP_1) | instskip(NEXT) | instid1(VALU_DEP_1)
	v_mad_u64_u32 v[2:3], null, v7, s14, v[0:1]
	v_mad_u64_u32 v[5:6], null, v7, s15, v[1:2]
	s_delay_alu instid0(VALU_DEP_1)
	v_dual_mov_b32 v0, v2 :: v_dual_mov_b32 v1, v5
.LBB529_282:
	v_cmp_lt_i16_e64 s2, s34, 11
	s_delay_alu instid0(VALU_DEP_2) | instskip(NEXT) | instid1(VALU_DEP_1)
	v_add_co_u32 v1, s3, s6, v1
	v_add_co_ci_u32_e64 v2, null, s7, 0, s3
	s_delay_alu instid0(VALU_DEP_3)
	s_and_b32 vcc_lo, exec_lo, s2
	s_mov_b32 s2, 0
	s_cbranch_vccnz .LBB529_289
; %bb.283:
	v_cmp_gt_i16_e64 s2, s34, 25
	s_delay_alu instid0(VALU_DEP_1)
	s_and_b32 vcc_lo, exec_lo, s2
	s_cbranch_vccz .LBB529_342
; %bb.284:
	v_cmp_gt_i16_e64 s2, s34, 28
	s_delay_alu instid0(VALU_DEP_1)
	s_and_b32 vcc_lo, exec_lo, s2
	s_cbranch_vccz .LBB529_343
	;; [unrolled: 5-line block ×4, first 2 shown]
; %bb.287:
	v_cmp_eq_u16_e64 s2, s34, 46
	s_mov_b32 s24, 0
	s_delay_alu instid0(VALU_DEP_1)
	s_and_b32 vcc_lo, exec_lo, s2
	s_cbranch_vccz .LBB529_351
; %bb.288:
	global_load_b32 v3, v[1:2], off
	s_mov_b32 s2, -1
	s_mov_b32 s3, 0
	s_waitcnt vmcnt(0)
	v_lshlrev_b32_e32 v3, 16, v3
	s_delay_alu instid0(VALU_DEP_1)
	v_cvt_f16_f32_e32 v3, v3
	s_branch .LBB529_353
.LBB529_289:
	s_mov_b32 s3, s40
                                        ; implicit-def: $vgpr3
	s_cbranch_execnz .LBB529_490
.LBB529_290:
	s_and_not1_b32 vcc_lo, exec_lo, s2
	s_cbranch_vccnz .LBB529_538
.LBB529_291:
	v_mov_b32_e32 v2, s18
	s_mov_b32 s2, exec_lo
	s_waitcnt vmcnt(0)
	v_cmpx_o_f16_e32 v3, v3
	s_cbranch_execz .LBB529_295
; %bb.292:
	v_mov_b32_e32 v2, s33
	s_mov_b32 s24, exec_lo
	v_cmpx_neq_f16_e32 0x7c00, v3
; %bb.293:
	v_cmp_eq_f16_e32 vcc_lo, 0xfc00, v3
	v_cndmask_b32_e64 v2, v3, s19, vcc_lo
; %bb.294:
	s_or_b32 exec_lo, exec_lo, s24
.LBB529_295:
	s_delay_alu instid0(SALU_CYCLE_1) | instskip(SKIP_2) | instid1(VALU_DEP_1)
	s_or_b32 exec_lo, exec_lo, s2
	v_and_b32_e64 v3, 0xff, s31
	v_add_co_u32 v0, s2, s4, v0
	v_add_co_ci_u32_e64 v1, null, s5, 0, s2
	s_delay_alu instid0(VALU_DEP_3)
	v_cmp_gt_i16_e32 vcc_lo, 11, v3
	s_mov_b32 s24, 0
	s_mov_b32 s25, -1
	s_mov_b32 s2, s39
	s_cbranch_vccnz .LBB529_302
; %bb.296:
	v_cmp_lt_i16_e32 vcc_lo, 25, v3
	s_cbranch_vccz .LBB529_344
; %bb.297:
	v_cmp_lt_i16_e32 vcc_lo, 28, v3
	s_cbranch_vccz .LBB529_346
	;; [unrolled: 3-line block ×4, first 2 shown]
; %bb.300:
	v_cmp_eq_u16_e32 vcc_lo, 46, v3
	s_mov_b32 s25, 0
	s_mov_b32 s2, -1
	s_cbranch_vccz .LBB529_357
; %bb.301:
	v_cvt_f32_f16_e32 v5, v2
	v_cmp_o_f16_e32 vcc_lo, v2, v2
	s_mov_b32 s24, -1
	s_mov_b32 s2, 0
	s_delay_alu instid0(VALU_DEP_2) | instskip(NEXT) | instid1(VALU_DEP_1)
	v_bfe_u32 v6, v5, 16, 1
	v_add3_u32 v5, v5, v6, 0x7fff
	s_delay_alu instid0(VALU_DEP_1) | instskip(NEXT) | instid1(VALU_DEP_1)
	v_lshrrev_b32_e32 v5, 16, v5
	v_cndmask_b32_e32 v5, 0x7fc0, v5, vcc_lo
	global_store_b32 v[0:1], v5, off
	s_branch .LBB529_357
.LBB529_302:
	s_and_b32 vcc_lo, exec_lo, s25
	s_cbranch_vccz .LBB529_426
; %bb.303:
	v_cmp_gt_i16_e32 vcc_lo, 5, v3
	s_mov_b32 s24, -1
	s_cbranch_vccnz .LBB529_324
; %bb.304:
	v_cmp_gt_i16_e32 vcc_lo, 8, v3
	s_cbranch_vccnz .LBB529_314
; %bb.305:
	v_cmp_gt_i16_e32 vcc_lo, 9, v3
	s_cbranch_vccnz .LBB529_311
; %bb.306:
	v_cmp_lt_i16_e32 vcc_lo, 9, v3
	s_cbranch_vccz .LBB529_308
; %bb.307:
	v_cvt_f32_f16_e32 v5, v2
	v_mov_b32_e32 v7, 0
	s_mov_b32 s24, 0
	s_delay_alu instid0(VALU_DEP_2) | instskip(NEXT) | instid1(VALU_DEP_2)
	v_cvt_f64_f32_e32 v[5:6], v5
	v_mov_b32_e32 v8, v7
	global_store_b128 v[0:1], v[5:8], off
.LBB529_308:
	s_and_not1_b32 vcc_lo, exec_lo, s24
	s_cbranch_vccnz .LBB529_310
; %bb.309:
	v_cvt_f32_f16_e32 v5, v2
	v_mov_b32_e32 v6, 0
	global_store_b64 v[0:1], v[5:6], off
.LBB529_310:
	s_mov_b32 s24, 0
.LBB529_311:
	s_delay_alu instid0(SALU_CYCLE_1)
	s_and_not1_b32 vcc_lo, exec_lo, s24
	s_cbranch_vccnz .LBB529_313
; %bb.312:
	v_and_b32_e32 v5, 0xffff, v2
	global_store_b32 v[0:1], v5, off
.LBB529_313:
	s_mov_b32 s24, 0
.LBB529_314:
	s_delay_alu instid0(SALU_CYCLE_1)
	s_and_not1_b32 vcc_lo, exec_lo, s24
	s_cbranch_vccnz .LBB529_323
; %bb.315:
	v_cmp_gt_i16_e32 vcc_lo, 6, v3
	s_mov_b32 s24, -1
	s_cbranch_vccnz .LBB529_321
; %bb.316:
	v_cmp_lt_i16_e32 vcc_lo, 6, v3
	s_cbranch_vccz .LBB529_318
; %bb.317:
	v_cvt_f32_f16_e32 v5, v2
	s_mov_b32 s24, 0
	s_delay_alu instid0(VALU_DEP_1)
	v_cvt_f64_f32_e32 v[5:6], v5
	global_store_b64 v[0:1], v[5:6], off
.LBB529_318:
	s_and_not1_b32 vcc_lo, exec_lo, s24
	s_cbranch_vccnz .LBB529_320
; %bb.319:
	v_cvt_f32_f16_e32 v5, v2
	global_store_b32 v[0:1], v5, off
.LBB529_320:
	s_mov_b32 s24, 0
.LBB529_321:
	s_delay_alu instid0(SALU_CYCLE_1)
	s_and_not1_b32 vcc_lo, exec_lo, s24
	s_cbranch_vccnz .LBB529_323
; %bb.322:
	global_store_b16 v[0:1], v2, off
.LBB529_323:
	s_mov_b32 s24, 0
.LBB529_324:
	s_delay_alu instid0(SALU_CYCLE_1)
	s_and_not1_b32 vcc_lo, exec_lo, s24
	s_cbranch_vccnz .LBB529_340
; %bb.325:
	v_cmp_gt_i16_e32 vcc_lo, 2, v3
	s_mov_b32 s24, -1
	s_cbranch_vccnz .LBB529_335
; %bb.326:
	v_cmp_gt_i16_e32 vcc_lo, 3, v3
	s_cbranch_vccnz .LBB529_332
; %bb.327:
	v_cmp_lt_i16_e32 vcc_lo, 3, v3
	s_cbranch_vccz .LBB529_329
; %bb.328:
	v_cvt_f32_f16_e32 v5, v2
	s_mov_b32 s24, 0
	s_delay_alu instid0(VALU_DEP_1) | instskip(NEXT) | instid1(VALU_DEP_1)
	v_cvt_i32_f32_e32 v5, v5
	v_ashrrev_i32_e32 v6, 31, v5
	global_store_b64 v[0:1], v[5:6], off
.LBB529_329:
	s_and_not1_b32 vcc_lo, exec_lo, s24
	s_cbranch_vccnz .LBB529_331
; %bb.330:
	v_cvt_f32_f16_e32 v5, v2
	s_delay_alu instid0(VALU_DEP_1)
	v_cvt_i32_f32_e32 v5, v5
	global_store_b32 v[0:1], v5, off
.LBB529_331:
	s_mov_b32 s24, 0
.LBB529_332:
	s_delay_alu instid0(SALU_CYCLE_1)
	s_and_not1_b32 vcc_lo, exec_lo, s24
	s_cbranch_vccnz .LBB529_334
; %bb.333:
	v_cvt_i16_f16_e32 v5, v2
	global_store_b16 v[0:1], v5, off
.LBB529_334:
	s_mov_b32 s24, 0
.LBB529_335:
	s_delay_alu instid0(SALU_CYCLE_1)
	s_and_not1_b32 vcc_lo, exec_lo, s24
	s_cbranch_vccnz .LBB529_340
; %bb.336:
	v_cmp_lt_i16_e32 vcc_lo, 0, v3
	s_mov_b32 s24, -1
	s_cbranch_vccz .LBB529_338
; %bb.337:
	v_cvt_i16_f16_e32 v3, v2
	s_mov_b32 s24, 0
	global_store_b8 v[0:1], v3, off
.LBB529_338:
	s_and_not1_b32 vcc_lo, exec_lo, s24
	s_cbranch_vccnz .LBB529_340
; %bb.339:
	v_cvt_f32_f16_e32 v2, v2
	s_delay_alu instid0(VALU_DEP_1)
	v_cvt_i32_f32_e32 v2, v2
	global_store_b8 v[0:1], v2, off
.LBB529_340:
	s_branch .LBB529_427
.LBB529_341:
	s_mov_b32 s24, 0
	s_branch .LBB529_539
.LBB529_342:
	s_mov_b32 s24, -1
	s_mov_b32 s2, 0
	s_mov_b32 s3, s40
                                        ; implicit-def: $vgpr3
	s_branch .LBB529_454
.LBB529_343:
	s_mov_b32 s24, -1
	s_mov_b32 s2, 0
	s_mov_b32 s3, s40
                                        ; implicit-def: $vgpr3
	s_branch .LBB529_435
.LBB529_344:
	s_mov_b32 s2, s39
	s_branch .LBB529_384
.LBB529_345:
	s_mov_b32 s24, -1
	s_mov_b32 s2, 0
	s_mov_b32 s3, s40
                                        ; implicit-def: $vgpr3
	s_branch .LBB529_430
.LBB529_346:
	s_mov_b32 s2, s39
	s_branch .LBB529_367
.LBB529_347:
	s_mov_b32 s24, -1
	s_mov_b32 s2, 0
	s_mov_b32 s3, s40
	s_branch .LBB529_352
.LBB529_348:
	s_mov_b32 s2, s39
	s_branch .LBB529_363
.LBB529_349:
	s_or_saveexec_b32 s39, s39
                                        ; implicit-def: $sgpr40
	s_delay_alu instid0(SALU_CYCLE_1)
	s_xor_b32 exec_lo, exec_lo, s39
	s_cbranch_execz .LBB529_69
.LBB529_350:
	v_add_f32_e64 v6, 0x42800000, |v5|
	s_and_not1_b32 s25, s25, exec_lo
	s_mov_b32 s40, 0
	s_delay_alu instid0(VALU_DEP_1) | instskip(NEXT) | instid1(VALU_DEP_1)
	v_and_b32_e32 v6, 0xff, v6
	v_cmp_ne_u32_e32 vcc_lo, 0, v6
	s_and_b32 s43, vcc_lo, exec_lo
	s_delay_alu instid0(SALU_CYCLE_1)
	s_or_b32 s25, s25, s43
	s_or_b32 exec_lo, exec_lo, s39
	v_mov_b32_e32 v7, s40
	s_and_saveexec_b32 s39, s25
	s_cbranch_execnz .LBB529_70
	s_branch .LBB529_71
.LBB529_351:
	s_mov_b32 s3, -1
	s_mov_b32 s2, 0
.LBB529_352:
                                        ; implicit-def: $vgpr3
.LBB529_353:
	s_and_b32 vcc_lo, exec_lo, s24
	s_cbranch_vccz .LBB529_429
; %bb.354:
	v_cmp_eq_u16_e64 s3, s34, 44
	s_delay_alu instid0(VALU_DEP_1)
	s_and_b32 vcc_lo, exec_lo, s3
	s_cbranch_vccz .LBB529_428
; %bb.355:
	global_load_u8 v3, v[1:2], off
	s_mov_b32 s3, 0
	s_mov_b32 s2, -1
	s_waitcnt vmcnt(0)
	v_lshlrev_b32_e32 v5, 23, v3
	v_cmp_ne_u32_e32 vcc_lo, 0xff, v3
	s_delay_alu instid0(VALU_DEP_2) | instskip(NEXT) | instid1(VALU_DEP_1)
	v_cvt_f16_f32_e32 v5, v5
	v_cndmask_b32_e32 v5, 0x7e00, v5, vcc_lo
	v_cmp_ne_u32_e32 vcc_lo, 0, v3
	s_delay_alu instid0(VALU_DEP_2)
	v_cndmask_b32_e32 v3, 0, v5, vcc_lo
	s_branch .LBB529_429
.LBB529_356:
	s_mov_b32 s2, s39
.LBB529_357:
	s_and_b32 vcc_lo, exec_lo, s25
	s_cbranch_vccz .LBB529_362
; %bb.358:
	v_cmp_eq_u16_e32 vcc_lo, 44, v3
	s_mov_b32 s2, -1
	s_cbranch_vccz .LBB529_362
; %bb.359:
	v_cvt_f32_f16_e32 v5, v2
	v_mov_b32_e32 v6, 0xff
	s_mov_b32 s24, exec_lo
	s_delay_alu instid0(VALU_DEP_2) | instskip(NEXT) | instid1(VALU_DEP_1)
	v_bfe_u32 v7, v5, 23, 8
	v_cmpx_ne_u32_e32 0xff, v7
; %bb.360:
	v_and_b32_e32 v6, 0x400000, v5
	v_and_or_b32 v7, 0x3fffff, v5, v7
	v_lshrrev_b32_e32 v5, 23, v5
	s_delay_alu instid0(VALU_DEP_3) | instskip(NEXT) | instid1(VALU_DEP_3)
	v_cmp_ne_u32_e32 vcc_lo, 0, v6
	v_cmp_ne_u32_e64 s2, 0, v7
	s_delay_alu instid0(VALU_DEP_1) | instskip(NEXT) | instid1(SALU_CYCLE_1)
	s_and_b32 s2, vcc_lo, s2
	v_cndmask_b32_e64 v6, 0, 1, s2
	s_delay_alu instid0(VALU_DEP_1)
	v_add_nc_u32_e32 v6, v5, v6
; %bb.361:
	s_or_b32 exec_lo, exec_lo, s24
	s_mov_b32 s24, -1
	s_mov_b32 s2, 0
	global_store_b8 v[0:1], v6, off
.LBB529_362:
	s_mov_b32 s25, 0
.LBB529_363:
	s_delay_alu instid0(SALU_CYCLE_1)
	s_and_b32 vcc_lo, exec_lo, s25
	s_cbranch_vccz .LBB529_366
; %bb.364:
	v_cmp_eq_u16_e32 vcc_lo, 29, v3
	s_mov_b32 s2, -1
	s_cbranch_vccz .LBB529_366
; %bb.365:
	v_cvt_f32_f16_e32 v5, v2
	v_mov_b32_e32 v6, 0
	s_mov_b32 s2, 0
	s_mov_b32 s24, -1
	s_mov_b32 s25, 0
	v_cvt_u32_f32_e32 v5, v5
	global_store_b64 v[0:1], v[5:6], off
	s_branch .LBB529_367
.LBB529_366:
	s_mov_b32 s25, 0
.LBB529_367:
	s_delay_alu instid0(SALU_CYCLE_1)
	s_and_b32 vcc_lo, exec_lo, s25
	s_cbranch_vccz .LBB529_383
; %bb.368:
	v_cmp_gt_i16_e32 vcc_lo, 27, v3
	s_mov_b32 s24, -1
	s_cbranch_vccnz .LBB529_374
; %bb.369:
	v_cmp_lt_i16_e32 vcc_lo, 27, v3
	s_cbranch_vccz .LBB529_371
; %bb.370:
	v_cvt_f32_f16_e32 v5, v2
	s_mov_b32 s24, 0
	s_delay_alu instid0(VALU_DEP_1)
	v_cvt_u32_f32_e32 v5, v5
	global_store_b32 v[0:1], v5, off
.LBB529_371:
	s_and_not1_b32 vcc_lo, exec_lo, s24
	s_cbranch_vccnz .LBB529_373
; %bb.372:
	v_cvt_u16_f16_e32 v5, v2
	global_store_b16 v[0:1], v5, off
.LBB529_373:
	s_mov_b32 s24, 0
.LBB529_374:
	s_delay_alu instid0(SALU_CYCLE_1)
	s_and_not1_b32 vcc_lo, exec_lo, s24
	s_cbranch_vccnz .LBB529_382
; %bb.375:
	v_cvt_f32_f16_e32 v5, v2
	v_mov_b32_e32 v7, 0x80
	s_mov_b32 s24, exec_lo
	s_delay_alu instid0(VALU_DEP_2) | instskip(NEXT) | instid1(VALU_DEP_1)
	v_and_b32_e32 v6, 0x7fffffff, v5
	v_cmpx_gt_u32_e32 0x43800000, v6
	s_cbranch_execz .LBB529_381
; %bb.376:
	v_cmp_lt_u32_e32 vcc_lo, 0x3bffffff, v6
	s_mov_b32 s25, 0
                                        ; implicit-def: $vgpr6
	s_and_saveexec_b32 s42, vcc_lo
	s_delay_alu instid0(SALU_CYCLE_1)
	s_xor_b32 s42, exec_lo, s42
	s_cbranch_execz .LBB529_567
; %bb.377:
	v_bfe_u32 v6, v5, 20, 1
	s_mov_b32 s25, exec_lo
	s_delay_alu instid0(VALU_DEP_1) | instskip(NEXT) | instid1(VALU_DEP_1)
	v_add3_u32 v6, v5, v6, 0x487ffff
	v_lshrrev_b32_e32 v6, 20, v6
	s_or_saveexec_b32 s42, s42
                                        ; implicit-def: $sgpr43
	s_delay_alu instid0(SALU_CYCLE_1)
	s_xor_b32 exec_lo, exec_lo, s42
	s_cbranch_execnz .LBB529_568
.LBB529_378:
	s_or_b32 exec_lo, exec_lo, s42
	v_mov_b32_e32 v7, s43
	s_and_saveexec_b32 s42, s25
.LBB529_379:
	v_lshrrev_b32_e32 v5, 24, v5
	s_delay_alu instid0(VALU_DEP_1)
	v_and_or_b32 v7, 0x80, v5, v6
.LBB529_380:
	s_or_b32 exec_lo, exec_lo, s42
.LBB529_381:
	s_delay_alu instid0(SALU_CYCLE_1)
	s_or_b32 exec_lo, exec_lo, s24
	global_store_b8 v[0:1], v7, off
.LBB529_382:
	s_mov_b32 s24, -1
.LBB529_383:
	s_mov_b32 s25, 0
.LBB529_384:
	s_delay_alu instid0(SALU_CYCLE_1)
	s_and_b32 vcc_lo, exec_lo, s25
	s_cbranch_vccz .LBB529_425
; %bb.385:
	v_cmp_lt_i16_e32 vcc_lo, 22, v3
	s_mov_b32 s25, -1
	s_cbranch_vccz .LBB529_417
; %bb.386:
	v_cmp_gt_i16_e32 vcc_lo, 24, v3
	s_mov_b32 s24, -1
	s_cbranch_vccnz .LBB529_406
; %bb.387:
	v_cmp_lt_i16_e32 vcc_lo, 24, v3
	s_cbranch_vccz .LBB529_395
; %bb.388:
	v_cvt_f32_f16_e32 v5, v2
	v_mov_b32_e32 v7, 0x80
	s_mov_b32 s24, exec_lo
	s_delay_alu instid0(VALU_DEP_2) | instskip(NEXT) | instid1(VALU_DEP_1)
	v_and_b32_e32 v6, 0x7fffffff, v5
	v_cmpx_gt_u32_e32 0x47800000, v6
	s_cbranch_execz .LBB529_394
; %bb.389:
	v_cmp_lt_u32_e32 vcc_lo, 0x37ffffff, v6
	s_mov_b32 s25, 0
                                        ; implicit-def: $vgpr6
	s_and_saveexec_b32 s42, vcc_lo
	s_delay_alu instid0(SALU_CYCLE_1)
	s_xor_b32 s42, exec_lo, s42
	s_cbranch_execz .LBB529_570
; %bb.390:
	v_bfe_u32 v6, v5, 21, 1
	s_mov_b32 s25, exec_lo
	s_delay_alu instid0(VALU_DEP_1) | instskip(NEXT) | instid1(VALU_DEP_1)
	v_add3_u32 v6, v5, v6, 0x88fffff
	v_lshrrev_b32_e32 v6, 21, v6
	s_or_saveexec_b32 s42, s42
                                        ; implicit-def: $sgpr43
	s_delay_alu instid0(SALU_CYCLE_1)
	s_xor_b32 exec_lo, exec_lo, s42
	s_cbranch_execnz .LBB529_571
.LBB529_391:
	s_or_b32 exec_lo, exec_lo, s42
	v_mov_b32_e32 v7, s43
	s_and_saveexec_b32 s42, s25
.LBB529_392:
	v_lshrrev_b32_e32 v5, 24, v5
	s_delay_alu instid0(VALU_DEP_1)
	v_and_or_b32 v7, 0x80, v5, v6
.LBB529_393:
	s_or_b32 exec_lo, exec_lo, s42
.LBB529_394:
	s_delay_alu instid0(SALU_CYCLE_1)
	s_or_b32 exec_lo, exec_lo, s24
	s_mov_b32 s24, 0
	global_store_b8 v[0:1], v7, off
.LBB529_395:
	s_and_b32 vcc_lo, exec_lo, s24
	s_cbranch_vccz .LBB529_405
; %bb.396:
	v_cvt_f32_f16_e32 v5, v2
	s_mov_b32 s24, exec_lo
                                        ; implicit-def: $vgpr6
	s_delay_alu instid0(VALU_DEP_1) | instskip(NEXT) | instid1(VALU_DEP_1)
	v_and_b32_e32 v7, 0x7fffffff, v5
	v_cmpx_gt_u32_e32 0x43f00000, v7
	s_xor_b32 s24, exec_lo, s24
	s_cbranch_execz .LBB529_402
; %bb.397:
	s_mov_b32 s25, exec_lo
                                        ; implicit-def: $vgpr6
	v_cmpx_lt_u32_e32 0x3c7fffff, v7
	s_xor_b32 s25, exec_lo, s25
; %bb.398:
	v_bfe_u32 v6, v5, 20, 1
	s_delay_alu instid0(VALU_DEP_1) | instskip(NEXT) | instid1(VALU_DEP_1)
	v_add3_u32 v6, v5, v6, 0x407ffff
	v_and_b32_e32 v7, 0xff00000, v6
	v_lshrrev_b32_e32 v6, 20, v6
	s_delay_alu instid0(VALU_DEP_2) | instskip(NEXT) | instid1(VALU_DEP_2)
	v_cmp_ne_u32_e32 vcc_lo, 0x7f00000, v7
	v_cndmask_b32_e32 v6, 0x7e, v6, vcc_lo
; %bb.399:
	s_and_not1_saveexec_b32 s25, s25
; %bb.400:
	v_add_f32_e64 v6, 0x46800000, |v5|
; %bb.401:
	s_or_b32 exec_lo, exec_lo, s25
                                        ; implicit-def: $vgpr7
.LBB529_402:
	s_and_not1_saveexec_b32 s24, s24
; %bb.403:
	v_mov_b32_e32 v6, 0x7f
	v_cmp_lt_u32_e32 vcc_lo, 0x7f800000, v7
	s_delay_alu instid0(VALU_DEP_2)
	v_cndmask_b32_e32 v6, 0x7e, v6, vcc_lo
; %bb.404:
	s_or_b32 exec_lo, exec_lo, s24
	v_lshrrev_b32_e32 v5, 24, v5
	s_delay_alu instid0(VALU_DEP_1)
	v_and_or_b32 v5, 0x80, v5, v6
	global_store_b8 v[0:1], v5, off
.LBB529_405:
	s_mov_b32 s24, 0
.LBB529_406:
	s_delay_alu instid0(SALU_CYCLE_1)
	s_and_not1_b32 vcc_lo, exec_lo, s24
	s_cbranch_vccnz .LBB529_416
; %bb.407:
	v_cvt_f32_f16_e32 v5, v2
	s_mov_b32 s24, exec_lo
                                        ; implicit-def: $vgpr6
	s_delay_alu instid0(VALU_DEP_1) | instskip(NEXT) | instid1(VALU_DEP_1)
	v_and_b32_e32 v7, 0x7fffffff, v5
	v_cmpx_gt_u32_e32 0x47800000, v7
	s_xor_b32 s24, exec_lo, s24
	s_cbranch_execz .LBB529_413
; %bb.408:
	s_mov_b32 s25, exec_lo
                                        ; implicit-def: $vgpr6
	v_cmpx_lt_u32_e32 0x387fffff, v7
	s_xor_b32 s25, exec_lo, s25
; %bb.409:
	v_bfe_u32 v6, v5, 21, 1
	s_delay_alu instid0(VALU_DEP_1) | instskip(NEXT) | instid1(VALU_DEP_1)
	v_add3_u32 v6, v5, v6, 0x80fffff
	v_lshrrev_b32_e32 v6, 21, v6
; %bb.410:
	s_and_not1_saveexec_b32 s25, s25
; %bb.411:
	v_add_f32_e64 v6, 0x43000000, |v5|
; %bb.412:
	s_or_b32 exec_lo, exec_lo, s25
                                        ; implicit-def: $vgpr7
.LBB529_413:
	s_and_not1_saveexec_b32 s24, s24
; %bb.414:
	v_mov_b32_e32 v6, 0x7f
	v_cmp_lt_u32_e32 vcc_lo, 0x7f800000, v7
	s_delay_alu instid0(VALU_DEP_2)
	v_cndmask_b32_e32 v6, 0x7c, v6, vcc_lo
; %bb.415:
	s_or_b32 exec_lo, exec_lo, s24
	v_lshrrev_b32_e32 v5, 24, v5
	s_delay_alu instid0(VALU_DEP_1)
	v_and_or_b32 v5, 0x80, v5, v6
	global_store_b8 v[0:1], v5, off
.LBB529_416:
	s_mov_b32 s25, 0
	s_mov_b32 s24, -1
.LBB529_417:
	s_and_not1_b32 vcc_lo, exec_lo, s25
	s_cbranch_vccnz .LBB529_425
; %bb.418:
	v_cmp_lt_i16_e32 vcc_lo, 14, v3
	s_mov_b32 s25, -1
	s_cbranch_vccz .LBB529_422
; %bb.419:
	v_cmp_eq_u16_e32 vcc_lo, 15, v3
	s_mov_b32 s2, -1
	s_cbranch_vccz .LBB529_421
; %bb.420:
	v_cvt_f32_f16_e32 v5, v2
	v_cmp_o_f16_e32 vcc_lo, v2, v2
	s_mov_b32 s24, -1
	s_mov_b32 s2, 0
	s_delay_alu instid0(VALU_DEP_2) | instskip(NEXT) | instid1(VALU_DEP_1)
	v_bfe_u32 v6, v5, 16, 1
	v_add3_u32 v5, v5, v6, 0x7fff
	s_delay_alu instid0(VALU_DEP_1) | instskip(NEXT) | instid1(VALU_DEP_1)
	v_lshrrev_b32_e32 v5, 16, v5
	v_cndmask_b32_e32 v5, 0x7fc0, v5, vcc_lo
	global_store_b16 v[0:1], v5, off
.LBB529_421:
	s_mov_b32 s25, 0
.LBB529_422:
	s_delay_alu instid0(SALU_CYCLE_1)
	s_and_b32 vcc_lo, exec_lo, s25
	s_cbranch_vccz .LBB529_425
; %bb.423:
	v_cmp_eq_u16_e32 vcc_lo, 11, v3
	s_mov_b32 s2, -1
	s_cbranch_vccz .LBB529_425
; %bb.424:
	v_and_b32_e32 v5, 0x7fff, v2
	s_mov_b32 s2, 0
	s_mov_b32 s24, -1
	s_delay_alu instid0(VALU_DEP_1)
	v_cmp_ne_u16_e32 vcc_lo, 0, v5
	v_cndmask_b32_e64 v5, 0, 1, vcc_lo
	global_store_b8 v[0:1], v5, off
.LBB529_425:
.LBB529_426:
	s_and_not1_b32 vcc_lo, exec_lo, s24
	s_cbranch_vccnz .LBB529_341
.LBB529_427:
	v_add_nc_u32_e32 v4, 0x80, v4
	s_mov_b32 s24, -1
	s_branch .LBB529_540
.LBB529_428:
	s_mov_b32 s3, -1
                                        ; implicit-def: $vgpr3
.LBB529_429:
	s_mov_b32 s24, 0
.LBB529_430:
	s_delay_alu instid0(SALU_CYCLE_1)
	s_and_b32 vcc_lo, exec_lo, s24
	s_cbranch_vccz .LBB529_434
; %bb.431:
	v_cmp_eq_u16_e64 s3, s34, 29
	s_delay_alu instid0(VALU_DEP_1)
	s_and_b32 vcc_lo, exec_lo, s3
	s_cbranch_vccz .LBB529_433
; %bb.432:
	global_load_b64 v[5:6], v[1:2], off
	s_mov_b32 s2, -1
	s_mov_b32 s3, 0
	s_mov_b32 s24, 0
	s_waitcnt vmcnt(0)
	v_clz_i32_u32_e32 v3, v6
	s_delay_alu instid0(VALU_DEP_1) | instskip(NEXT) | instid1(VALU_DEP_1)
	v_min_u32_e32 v3, 32, v3
	v_lshlrev_b64 v[5:6], v3, v[5:6]
	v_sub_nc_u32_e32 v3, 32, v3
	s_delay_alu instid0(VALU_DEP_2) | instskip(NEXT) | instid1(VALU_DEP_1)
	v_min_u32_e32 v5, 1, v5
	v_or_b32_e32 v5, v6, v5
	s_delay_alu instid0(VALU_DEP_1) | instskip(NEXT) | instid1(VALU_DEP_1)
	v_cvt_f32_u32_e32 v5, v5
	v_ldexp_f32 v3, v5, v3
	s_delay_alu instid0(VALU_DEP_1)
	v_cvt_f16_f32_e32 v3, v3
	s_branch .LBB529_435
.LBB529_433:
	s_mov_b32 s3, -1
                                        ; implicit-def: $vgpr3
.LBB529_434:
	s_mov_b32 s24, 0
.LBB529_435:
	s_delay_alu instid0(SALU_CYCLE_1)
	s_and_b32 vcc_lo, exec_lo, s24
	s_cbranch_vccz .LBB529_453
; %bb.436:
	v_cmp_lt_i16_e64 s2, s34, 27
	s_delay_alu instid0(VALU_DEP_1)
	s_and_b32 vcc_lo, exec_lo, s2
	s_cbranch_vccnz .LBB529_439
; %bb.437:
	v_cmp_gt_i16_e64 s2, s34, 27
	s_delay_alu instid0(VALU_DEP_1)
	s_and_b32 vcc_lo, exec_lo, s2
	s_cbranch_vccz .LBB529_440
; %bb.438:
	global_load_b32 v3, v[1:2], off
	s_mov_b32 s2, 0
	s_waitcnt vmcnt(0)
	v_cvt_f32_u32_e32 v3, v3
	s_delay_alu instid0(VALU_DEP_1)
	v_cvt_f16_f32_e32 v3, v3
	s_branch .LBB529_441
.LBB529_439:
	s_mov_b32 s2, -1
                                        ; implicit-def: $vgpr3
	s_branch .LBB529_444
.LBB529_440:
	s_mov_b32 s2, -1
                                        ; implicit-def: $vgpr3
.LBB529_441:
	s_delay_alu instid0(SALU_CYCLE_1)
	s_and_not1_b32 vcc_lo, exec_lo, s2
	s_cbranch_vccnz .LBB529_443
; %bb.442:
	global_load_u16 v3, v[1:2], off
	s_waitcnt vmcnt(0)
	v_cvt_f16_u16_e32 v3, v3
.LBB529_443:
	s_mov_b32 s2, 0
.LBB529_444:
	s_delay_alu instid0(SALU_CYCLE_1)
	s_and_not1_b32 vcc_lo, exec_lo, s2
	s_cbranch_vccnz .LBB529_452
; %bb.445:
	global_load_u8 v5, v[1:2], off
	s_mov_b32 s2, 0
	s_mov_b32 s25, exec_lo
                                        ; implicit-def: $sgpr24
	s_waitcnt vmcnt(0)
	v_cmpx_lt_i16_e32 0x7f, v5
	s_xor_b32 s25, exec_lo, s25
	s_cbranch_execz .LBB529_466
; %bb.446:
	s_mov_b32 s2, -1
	s_mov_b32 s42, exec_lo
                                        ; implicit-def: $sgpr24
	v_cmpx_eq_u16_e32 0x80, v5
; %bb.447:
	s_movk_i32 s24, 0x7e00
	s_xor_b32 s2, exec_lo, -1
; %bb.448:
	s_or_b32 exec_lo, exec_lo, s42
	s_delay_alu instid0(SALU_CYCLE_1)
	s_and_b32 s2, s2, exec_lo
	s_or_saveexec_b32 s25, s25
	v_mov_b32_e32 v3, s24
	s_xor_b32 exec_lo, exec_lo, s25
	s_cbranch_execnz .LBB529_467
.LBB529_449:
	s_or_b32 exec_lo, exec_lo, s25
	s_and_saveexec_b32 s24, s2
	s_cbranch_execz .LBB529_451
.LBB529_450:
	v_and_b32_e32 v3, 0xffff, v5
	v_lshlrev_b32_e32 v5, 24, v5
	s_delay_alu instid0(VALU_DEP_2) | instskip(NEXT) | instid1(VALU_DEP_2)
	v_and_b32_e32 v6, 7, v3
	v_and_b32_e32 v5, 0x80000000, v5
	s_delay_alu instid0(VALU_DEP_2) | instskip(NEXT) | instid1(VALU_DEP_1)
	v_clz_i32_u32_e32 v7, v6
	v_min_u32_e32 v7, 32, v7
	s_delay_alu instid0(VALU_DEP_1) | instskip(SKIP_1) | instid1(VALU_DEP_2)
	v_subrev_nc_u32_e32 v8, 28, v7
	v_sub_nc_u32_e32 v7, 29, v7
	v_lshlrev_b32_e32 v8, v8, v3
	v_bfe_u32 v3, v3, 3, 4
	s_delay_alu instid0(VALU_DEP_1) | instskip(NEXT) | instid1(VALU_DEP_3)
	v_cmp_eq_u32_e32 vcc_lo, 0, v3
	v_dual_cndmask_b32 v3, v3, v7 :: v_dual_and_b32 v8, 7, v8
	s_delay_alu instid0(VALU_DEP_1) | instskip(NEXT) | instid1(VALU_DEP_2)
	v_cndmask_b32_e32 v6, v6, v8, vcc_lo
	v_lshl_add_u32 v3, v3, 23, 0x3b800000
	s_delay_alu instid0(VALU_DEP_2) | instskip(NEXT) | instid1(VALU_DEP_1)
	v_lshlrev_b32_e32 v6, 20, v6
	v_or3_b32 v3, v5, v3, v6
	s_delay_alu instid0(VALU_DEP_1)
	v_cvt_f16_f32_e32 v3, v3
.LBB529_451:
	s_or_b32 exec_lo, exec_lo, s24
.LBB529_452:
	s_mov_b32 s2, -1
.LBB529_453:
	s_mov_b32 s24, 0
.LBB529_454:
	s_delay_alu instid0(SALU_CYCLE_1)
	s_and_b32 vcc_lo, exec_lo, s24
	s_cbranch_vccz .LBB529_489
; %bb.455:
	v_cmp_gt_i16_e64 s24, s34, 22
	s_delay_alu instid0(VALU_DEP_1)
	s_and_b32 vcc_lo, exec_lo, s24
	s_cbranch_vccz .LBB529_465
; %bb.456:
	v_cmp_lt_i16_e64 s2, s34, 24
	s_delay_alu instid0(VALU_DEP_1)
	s_and_b32 vcc_lo, exec_lo, s2
	s_cbranch_vccnz .LBB529_468
; %bb.457:
	v_cmp_gt_i16_e64 s2, s34, 24
	s_delay_alu instid0(VALU_DEP_1)
	s_and_b32 vcc_lo, exec_lo, s2
	s_cbranch_vccz .LBB529_469
; %bb.458:
	global_load_u8 v5, v[1:2], off
	s_mov_b32 s2, 0
	s_mov_b32 s25, exec_lo
                                        ; implicit-def: $sgpr24
	s_waitcnt vmcnt(0)
	v_cmpx_lt_i16_e32 0x7f, v5
	s_xor_b32 s25, exec_lo, s25
	s_cbranch_execz .LBB529_481
; %bb.459:
	s_mov_b32 s2, -1
	s_mov_b32 s42, exec_lo
                                        ; implicit-def: $sgpr24
	v_cmpx_eq_u16_e32 0x80, v5
; %bb.460:
	s_movk_i32 s24, 0x7e00
	s_xor_b32 s2, exec_lo, -1
; %bb.461:
	s_or_b32 exec_lo, exec_lo, s42
	s_delay_alu instid0(SALU_CYCLE_1)
	s_and_b32 s2, s2, exec_lo
	s_or_saveexec_b32 s25, s25
	v_mov_b32_e32 v3, s24
	s_xor_b32 exec_lo, exec_lo, s25
	s_cbranch_execnz .LBB529_482
.LBB529_462:
	s_or_b32 exec_lo, exec_lo, s25
	s_and_saveexec_b32 s24, s2
	s_cbranch_execz .LBB529_464
.LBB529_463:
	v_and_b32_e32 v3, 0xffff, v5
	v_lshlrev_b32_e32 v5, 24, v5
	s_delay_alu instid0(VALU_DEP_2) | instskip(NEXT) | instid1(VALU_DEP_2)
	v_and_b32_e32 v6, 3, v3
	v_and_b32_e32 v5, 0x80000000, v5
	s_delay_alu instid0(VALU_DEP_2) | instskip(NEXT) | instid1(VALU_DEP_1)
	v_clz_i32_u32_e32 v7, v6
	v_min_u32_e32 v7, 32, v7
	s_delay_alu instid0(VALU_DEP_1) | instskip(SKIP_1) | instid1(VALU_DEP_2)
	v_subrev_nc_u32_e32 v8, 29, v7
	v_sub_nc_u32_e32 v7, 30, v7
	v_lshlrev_b32_e32 v8, v8, v3
	v_bfe_u32 v3, v3, 2, 5
	s_delay_alu instid0(VALU_DEP_1) | instskip(NEXT) | instid1(VALU_DEP_3)
	v_cmp_eq_u32_e32 vcc_lo, 0, v3
	v_dual_cndmask_b32 v3, v3, v7 :: v_dual_and_b32 v8, 3, v8
	s_delay_alu instid0(VALU_DEP_1) | instskip(NEXT) | instid1(VALU_DEP_2)
	v_cndmask_b32_e32 v6, v6, v8, vcc_lo
	v_lshl_add_u32 v3, v3, 23, 0x37800000
	s_delay_alu instid0(VALU_DEP_2) | instskip(NEXT) | instid1(VALU_DEP_1)
	v_lshlrev_b32_e32 v6, 21, v6
	v_or3_b32 v3, v5, v3, v6
	s_delay_alu instid0(VALU_DEP_1)
	v_cvt_f16_f32_e32 v3, v3
.LBB529_464:
	s_or_b32 exec_lo, exec_lo, s24
	s_mov_b32 s2, 0
	s_branch .LBB529_470
.LBB529_465:
	s_mov_b32 s24, -1
                                        ; implicit-def: $vgpr3
	s_branch .LBB529_476
.LBB529_466:
	s_or_saveexec_b32 s25, s25
	v_mov_b32_e32 v3, s24
	s_xor_b32 exec_lo, exec_lo, s25
	s_cbranch_execz .LBB529_449
.LBB529_467:
	v_cmp_ne_u16_e32 vcc_lo, 0, v5
	v_mov_b32_e32 v3, v5
	s_and_not1_b32 s2, s2, exec_lo
	s_and_b32 s24, vcc_lo, exec_lo
	s_delay_alu instid0(SALU_CYCLE_1)
	s_or_b32 s2, s2, s24
	s_or_b32 exec_lo, exec_lo, s25
	s_and_saveexec_b32 s24, s2
	s_cbranch_execnz .LBB529_450
	s_branch .LBB529_451
.LBB529_468:
	s_mov_b32 s2, -1
                                        ; implicit-def: $vgpr3
	s_branch .LBB529_473
.LBB529_469:
	s_mov_b32 s2, -1
                                        ; implicit-def: $vgpr3
.LBB529_470:
	s_delay_alu instid0(SALU_CYCLE_1)
	s_and_b32 vcc_lo, exec_lo, s2
	s_cbranch_vccz .LBB529_472
; %bb.471:
	global_load_u8 v3, v[1:2], off
	s_waitcnt vmcnt(0)
	v_lshlrev_b32_e32 v3, 24, v3
	s_delay_alu instid0(VALU_DEP_1) | instskip(NEXT) | instid1(VALU_DEP_1)
	v_and_b32_e32 v5, 0x7f000000, v3
	v_clz_i32_u32_e32 v6, v5
	v_cmp_ne_u32_e32 vcc_lo, 0, v5
	v_add_nc_u32_e32 v8, 0x1000000, v5
	s_delay_alu instid0(VALU_DEP_3) | instskip(NEXT) | instid1(VALU_DEP_1)
	v_min_u32_e32 v6, 32, v6
	v_sub_nc_u32_e64 v6, v6, 4 clamp
	s_delay_alu instid0(VALU_DEP_1) | instskip(SKIP_1) | instid1(VALU_DEP_2)
	v_lshlrev_b32_e32 v7, v6, v5
	v_lshlrev_b32_e32 v6, 23, v6
	v_lshrrev_b32_e32 v7, 4, v7
	s_delay_alu instid0(VALU_DEP_1) | instskip(SKIP_1) | instid1(VALU_DEP_2)
	v_sub_nc_u32_e32 v6, v7, v6
	v_ashrrev_i32_e32 v7, 8, v8
	v_add_nc_u32_e32 v6, 0x3c000000, v6
	s_delay_alu instid0(VALU_DEP_1) | instskip(NEXT) | instid1(VALU_DEP_1)
	v_and_or_b32 v6, 0x7f800000, v7, v6
	v_cndmask_b32_e32 v5, 0, v6, vcc_lo
	s_delay_alu instid0(VALU_DEP_1) | instskip(NEXT) | instid1(VALU_DEP_1)
	v_and_or_b32 v3, 0x80000000, v3, v5
	v_cvt_f16_f32_e32 v3, v3
.LBB529_472:
	s_mov_b32 s2, 0
.LBB529_473:
	s_delay_alu instid0(SALU_CYCLE_1)
	s_and_not1_b32 vcc_lo, exec_lo, s2
	s_cbranch_vccnz .LBB529_475
; %bb.474:
	global_load_u8 v3, v[1:2], off
	s_waitcnt vmcnt(0)
	v_lshlrev_b32_e32 v5, 25, v3
	v_lshlrev_b16 v3, 8, v3
	s_delay_alu instid0(VALU_DEP_2) | instskip(NEXT) | instid1(VALU_DEP_2)
	v_lshrrev_b32_e32 v6, 4, v5
	v_and_or_b32 v7, 0x7f00, v3, 0.5
	v_bfe_i32 v3, v3, 0, 16
	s_delay_alu instid0(VALU_DEP_3) | instskip(NEXT) | instid1(VALU_DEP_1)
	v_or_b32_e32 v6, 0x70000000, v6
	v_dual_add_f32 v7, -0.5, v7 :: v_dual_mul_f32 v6, 0x7800000, v6
	v_cmp_gt_u32_e32 vcc_lo, 0x8000000, v5
	s_delay_alu instid0(VALU_DEP_2) | instskip(NEXT) | instid1(VALU_DEP_1)
	v_cndmask_b32_e32 v5, v6, v7, vcc_lo
	v_and_or_b32 v3, 0x80000000, v3, v5
	s_delay_alu instid0(VALU_DEP_1)
	v_cvt_f16_f32_e32 v3, v3
.LBB529_475:
	s_mov_b32 s24, 0
	s_mov_b32 s2, -1
.LBB529_476:
	s_and_not1_b32 vcc_lo, exec_lo, s24
	s_cbranch_vccnz .LBB529_489
; %bb.477:
	v_cmp_gt_i16_e64 s24, s34, 14
	s_delay_alu instid0(VALU_DEP_1)
	s_and_b32 vcc_lo, exec_lo, s24
	s_cbranch_vccz .LBB529_480
; %bb.478:
	v_cmp_eq_u16_e64 s3, s34, 15
	s_delay_alu instid0(VALU_DEP_1)
	s_and_b32 vcc_lo, exec_lo, s3
	s_cbranch_vccz .LBB529_483
; %bb.479:
	global_load_u16 v3, v[1:2], off
	s_mov_b32 s2, -1
	s_mov_b32 s3, 0
	s_waitcnt vmcnt(0)
	v_lshlrev_b32_e32 v3, 16, v3
	s_delay_alu instid0(VALU_DEP_1)
	v_cvt_f16_f32_e32 v3, v3
	s_branch .LBB529_484
.LBB529_480:
	s_mov_b32 s24, -1
                                        ; implicit-def: $vgpr3
	s_branch .LBB529_485
.LBB529_481:
	s_or_saveexec_b32 s25, s25
	v_mov_b32_e32 v3, s24
	s_xor_b32 exec_lo, exec_lo, s25
	s_cbranch_execz .LBB529_462
.LBB529_482:
	v_cmp_ne_u16_e32 vcc_lo, 0, v5
	v_mov_b32_e32 v3, v5
	s_and_not1_b32 s2, s2, exec_lo
	s_and_b32 s24, vcc_lo, exec_lo
	s_delay_alu instid0(SALU_CYCLE_1)
	s_or_b32 s2, s2, s24
	s_or_b32 exec_lo, exec_lo, s25
	s_and_saveexec_b32 s24, s2
	s_cbranch_execnz .LBB529_463
	s_branch .LBB529_464
.LBB529_483:
	s_mov_b32 s3, -1
                                        ; implicit-def: $vgpr3
.LBB529_484:
	s_mov_b32 s24, 0
.LBB529_485:
	s_delay_alu instid0(SALU_CYCLE_1)
	s_and_b32 vcc_lo, exec_lo, s24
	s_cbranch_vccz .LBB529_489
; %bb.486:
	v_cmp_eq_u16_e64 s3, s34, 11
	s_delay_alu instid0(VALU_DEP_1)
	s_and_b32 vcc_lo, exec_lo, s3
	s_cbranch_vccz .LBB529_488
; %bb.487:
	global_load_u8 v3, v[1:2], off
	s_mov_b32 s3, 0
	s_mov_b32 s2, -1
	s_waitcnt vmcnt(0)
	v_cmp_ne_u16_e32 vcc_lo, 0, v3
	v_cndmask_b32_e64 v3, 0, 0x3c00, vcc_lo
	s_branch .LBB529_489
.LBB529_488:
	s_mov_b32 s3, -1
                                        ; implicit-def: $vgpr3
.LBB529_489:
	s_branch .LBB529_290
.LBB529_490:
	v_cmp_lt_i16_e64 s2, s34, 5
	s_delay_alu instid0(VALU_DEP_1)
	s_and_b32 vcc_lo, exec_lo, s2
	s_cbranch_vccnz .LBB529_495
; %bb.491:
	v_cmp_lt_i16_e64 s2, s34, 8
	s_delay_alu instid0(VALU_DEP_1)
	s_and_b32 vcc_lo, exec_lo, s2
	s_cbranch_vccnz .LBB529_496
; %bb.492:
	v_cmp_lt_i16_e64 s2, s34, 9
	s_delay_alu instid0(VALU_DEP_1)
	s_and_b32 vcc_lo, exec_lo, s2
	s_cbranch_vccnz .LBB529_497
; %bb.493:
	v_cmp_gt_i16_e64 s2, s34, 9
	s_delay_alu instid0(VALU_DEP_1)
	s_and_b32 vcc_lo, exec_lo, s2
	s_cbranch_vccz .LBB529_498
; %bb.494:
	global_load_b64 v[5:6], v[1:2], off
	s_mov_b32 s2, 0
	s_waitcnt vmcnt(0)
	v_cvt_f32_f64_e32 v3, v[5:6]
	s_delay_alu instid0(VALU_DEP_1)
	v_cvt_f16_f32_e32 v3, v3
	s_branch .LBB529_499
.LBB529_495:
	s_mov_b32 s2, -1
                                        ; implicit-def: $vgpr3
	s_branch .LBB529_517
.LBB529_496:
	s_mov_b32 s2, -1
                                        ; implicit-def: $vgpr3
	s_branch .LBB529_505
.LBB529_497:
	s_mov_b32 s2, -1
                                        ; implicit-def: $vgpr3
	s_branch .LBB529_502
.LBB529_498:
	s_mov_b32 s2, -1
                                        ; implicit-def: $vgpr3
.LBB529_499:
	s_delay_alu instid0(SALU_CYCLE_1)
	s_and_not1_b32 vcc_lo, exec_lo, s2
	s_cbranch_vccnz .LBB529_501
; %bb.500:
	global_load_b32 v3, v[1:2], off
	s_waitcnt vmcnt(0)
	v_cvt_f16_f32_e32 v3, v3
.LBB529_501:
	s_mov_b32 s2, 0
.LBB529_502:
	s_delay_alu instid0(SALU_CYCLE_1)
	s_and_not1_b32 vcc_lo, exec_lo, s2
	s_cbranch_vccnz .LBB529_504
; %bb.503:
	global_load_b32 v3, v[1:2], off
.LBB529_504:
	s_mov_b32 s2, 0
.LBB529_505:
	s_delay_alu instid0(SALU_CYCLE_1)
	s_and_not1_b32 vcc_lo, exec_lo, s2
	s_cbranch_vccnz .LBB529_516
; %bb.506:
	v_cmp_lt_i16_e64 s2, s34, 6
	s_delay_alu instid0(VALU_DEP_1)
	s_and_b32 vcc_lo, exec_lo, s2
	s_cbranch_vccnz .LBB529_509
; %bb.507:
	v_cmp_gt_i16_e64 s2, s34, 6
	s_delay_alu instid0(VALU_DEP_1)
	s_and_b32 vcc_lo, exec_lo, s2
	s_cbranch_vccz .LBB529_510
; %bb.508:
	global_load_b64 v[5:6], v[1:2], off
	s_mov_b32 s2, 0
	s_waitcnt vmcnt(0)
	v_cvt_f32_f64_e32 v3, v[5:6]
	s_delay_alu instid0(VALU_DEP_1)
	v_cvt_f16_f32_e32 v3, v3
	s_branch .LBB529_511
.LBB529_509:
	s_mov_b32 s2, -1
                                        ; implicit-def: $vgpr3
	s_branch .LBB529_514
.LBB529_510:
	s_mov_b32 s2, -1
                                        ; implicit-def: $vgpr3
.LBB529_511:
	s_delay_alu instid0(SALU_CYCLE_1)
	s_and_not1_b32 vcc_lo, exec_lo, s2
	s_cbranch_vccnz .LBB529_513
; %bb.512:
	global_load_b32 v3, v[1:2], off
	s_waitcnt vmcnt(0)
	v_cvt_f16_f32_e32 v3, v3
.LBB529_513:
	s_mov_b32 s2, 0
.LBB529_514:
	s_delay_alu instid0(SALU_CYCLE_1)
	s_and_not1_b32 vcc_lo, exec_lo, s2
	s_cbranch_vccnz .LBB529_516
; %bb.515:
	global_load_u16 v3, v[1:2], off
.LBB529_516:
	s_mov_b32 s2, 0
.LBB529_517:
	s_delay_alu instid0(SALU_CYCLE_1)
	s_and_not1_b32 vcc_lo, exec_lo, s2
	s_cbranch_vccnz .LBB529_537
; %bb.518:
	v_cmp_lt_i16_e64 s2, s34, 2
	s_delay_alu instid0(VALU_DEP_1)
	s_and_b32 vcc_lo, exec_lo, s2
	s_cbranch_vccnz .LBB529_522
; %bb.519:
	v_cmp_lt_i16_e64 s2, s34, 3
	s_delay_alu instid0(VALU_DEP_1)
	s_and_b32 vcc_lo, exec_lo, s2
	s_cbranch_vccnz .LBB529_523
; %bb.520:
	v_cmp_gt_i16_e64 s2, s34, 3
	s_delay_alu instid0(VALU_DEP_1)
	s_and_b32 vcc_lo, exec_lo, s2
	s_cbranch_vccz .LBB529_524
; %bb.521:
	global_load_b64 v[5:6], v[1:2], off
	s_mov_b32 s2, 0
	s_waitcnt vmcnt(0)
	v_xor_b32_e32 v3, v5, v6
	v_cls_i32_e32 v7, v6
	s_delay_alu instid0(VALU_DEP_2) | instskip(NEXT) | instid1(VALU_DEP_2)
	v_ashrrev_i32_e32 v3, 31, v3
	v_add_nc_u32_e32 v7, -1, v7
	s_delay_alu instid0(VALU_DEP_2) | instskip(NEXT) | instid1(VALU_DEP_1)
	v_add_nc_u32_e32 v3, 32, v3
	v_min_u32_e32 v3, v7, v3
	s_delay_alu instid0(VALU_DEP_1) | instskip(SKIP_1) | instid1(VALU_DEP_2)
	v_lshlrev_b64 v[5:6], v3, v[5:6]
	v_sub_nc_u32_e32 v3, 32, v3
	v_min_u32_e32 v5, 1, v5
	s_delay_alu instid0(VALU_DEP_1) | instskip(NEXT) | instid1(VALU_DEP_1)
	v_or_b32_e32 v5, v6, v5
	v_cvt_f32_i32_e32 v5, v5
	s_delay_alu instid0(VALU_DEP_1) | instskip(NEXT) | instid1(VALU_DEP_1)
	v_ldexp_f32 v3, v5, v3
	v_cvt_f16_f32_e32 v3, v3
	s_branch .LBB529_525
.LBB529_522:
	s_mov_b32 s2, -1
                                        ; implicit-def: $vgpr3
	s_branch .LBB529_531
.LBB529_523:
	s_mov_b32 s2, -1
                                        ; implicit-def: $vgpr3
	s_branch .LBB529_528
.LBB529_524:
	s_mov_b32 s2, -1
                                        ; implicit-def: $vgpr3
.LBB529_525:
	s_delay_alu instid0(SALU_CYCLE_1)
	s_and_not1_b32 vcc_lo, exec_lo, s2
	s_cbranch_vccnz .LBB529_527
; %bb.526:
	global_load_b32 v3, v[1:2], off
	s_waitcnt vmcnt(0)
	v_cvt_f32_i32_e32 v3, v3
	s_delay_alu instid0(VALU_DEP_1)
	v_cvt_f16_f32_e32 v3, v3
.LBB529_527:
	s_mov_b32 s2, 0
.LBB529_528:
	s_delay_alu instid0(SALU_CYCLE_1)
	s_and_not1_b32 vcc_lo, exec_lo, s2
	s_cbranch_vccnz .LBB529_530
; %bb.529:
	global_load_u16 v3, v[1:2], off
	s_waitcnt vmcnt(0)
	v_cvt_f16_i16_e32 v3, v3
.LBB529_530:
	s_mov_b32 s2, 0
.LBB529_531:
	s_delay_alu instid0(SALU_CYCLE_1)
	s_and_not1_b32 vcc_lo, exec_lo, s2
	s_cbranch_vccnz .LBB529_537
; %bb.532:
	v_cmp_gt_i16_e64 s2, s34, 0
	s_delay_alu instid0(VALU_DEP_1)
	s_and_b32 vcc_lo, exec_lo, s2
	s_mov_b32 s2, 0
	s_cbranch_vccz .LBB529_534
; %bb.533:
	global_load_i8 v3, v[1:2], off
	s_waitcnt vmcnt(0)
	v_cvt_f16_i16_e32 v3, v3
	s_branch .LBB529_535
.LBB529_534:
	s_mov_b32 s2, -1
                                        ; implicit-def: $vgpr3
.LBB529_535:
	s_delay_alu instid0(SALU_CYCLE_1)
	s_and_not1_b32 vcc_lo, exec_lo, s2
	s_cbranch_vccnz .LBB529_537
; %bb.536:
	global_load_u8 v1, v[1:2], off
	s_waitcnt vmcnt(0)
	v_cvt_f16_u16_e32 v3, v1
.LBB529_537:
	s_branch .LBB529_291
.LBB529_538:
	s_mov_b32 s24, 0
	s_mov_b32 s2, s39
.LBB529_539:
                                        ; implicit-def: $vgpr4
.LBB529_540:
	s_and_not1_b32 s25, s39, exec_lo
	s_and_b32 s2, s2, exec_lo
	s_and_not1_b32 s42, s40, exec_lo
	s_and_b32 s3, s3, exec_lo
	s_or_b32 s43, s25, s2
	s_or_b32 s42, s42, s3
	s_or_not1_b32 s2, s24, exec_lo
.LBB529_541:
	s_or_b32 exec_lo, exec_lo, s44
	s_mov_b32 s3, 0
	s_mov_b32 s25, 0
	;; [unrolled: 1-line block ×3, first 2 shown]
                                        ; implicit-def: $vgpr1_vgpr2
                                        ; implicit-def: $vgpr0
                                        ; implicit-def: $vgpr5
	s_and_saveexec_b32 s44, s2
	s_cbranch_execz .LBB529_917
; %bb.542:
	s_mov_b32 s47, -1
	s_mov_b32 s24, s42
	s_mov_b32 s25, s43
	s_mov_b32 s45, exec_lo
	v_cmpx_gt_i32_e64 s36, v4
	s_cbranch_execz .LBB529_818
; %bb.543:
	s_and_not1_b32 vcc_lo, exec_lo, s29
	s_cbranch_vccnz .LBB529_548
; %bb.544:
	v_dual_mov_b32 v0, 0 :: v_dual_mov_b32 v1, 0
	s_and_not1_b32 vcc_lo, exec_lo, s38
	s_mov_b32 s46, 0
	s_cbranch_vccnz .LBB529_553
; %bb.545:
	v_mov_b32_e32 v0, 0
	s_add_i32 s48, s37, 1
	s_cmp_eq_u32 s27, 2
	s_mov_b32 s47, 0
	s_cbranch_scc1 .LBB529_549
; %bb.546:
	v_dual_mov_b32 v1, 0 :: v_dual_mov_b32 v0, 0
	v_mov_b32_e32 v2, v4
	s_and_b32 s47, s48, 28
	s_mov_b32 s49, 0
	s_mov_b64 s[2:3], s[22:23]
	s_mov_b64 s[24:25], s[16:17]
.LBB529_547:                            ; =>This Inner Loop Header: Depth=1
	s_clause 0x1
	s_load_b256 s[52:59], s[24:25], 0x4
	s_load_b128 s[68:71], s[24:25], 0x24
	s_load_b256 s[60:67], s[2:3], 0x0
	s_add_u32 s24, s24, 48
	s_addc_u32 s25, s25, 0
	s_add_i32 s49, s49, 4
	s_add_u32 s2, s2, 32
	s_addc_u32 s3, s3, 0
	s_cmp_eq_u32 s47, s49
	s_waitcnt vmcnt(0) lgkmcnt(0)
	v_mul_hi_u32 v3, s53, v2
	s_delay_alu instid0(VALU_DEP_1) | instskip(NEXT) | instid1(VALU_DEP_1)
	v_add_nc_u32_e32 v3, v2, v3
	v_lshrrev_b32_e32 v3, s54, v3
	s_delay_alu instid0(VALU_DEP_1) | instskip(SKIP_1) | instid1(VALU_DEP_2)
	v_mul_hi_u32 v5, s56, v3
	v_mul_lo_u32 v7, v3, s52
	v_add_nc_u32_e32 v5, v3, v5
	s_delay_alu instid0(VALU_DEP_2) | instskip(NEXT) | instid1(VALU_DEP_2)
	v_sub_nc_u32_e32 v2, v2, v7
	v_lshrrev_b32_e32 v5, s57, v5
	s_delay_alu instid0(VALU_DEP_2) | instskip(SKIP_1) | instid1(VALU_DEP_3)
	v_mul_lo_u32 v7, v2, s60
	v_mul_lo_u32 v9, v2, s61
	v_mul_hi_u32 v6, s59, v5
	s_delay_alu instid0(VALU_DEP_1) | instskip(NEXT) | instid1(VALU_DEP_1)
	v_add_nc_u32_e32 v6, v5, v6
	v_lshrrev_b32_e32 v6, s68, v6
	s_delay_alu instid0(VALU_DEP_1) | instskip(SKIP_1) | instid1(VALU_DEP_2)
	v_mul_hi_u32 v8, s70, v6
	v_mul_lo_u32 v10, v6, s58
	v_add_nc_u32_e32 v2, v6, v8
	v_mul_lo_u32 v8, v5, s55
	s_delay_alu instid0(VALU_DEP_3) | instskip(NEXT) | instid1(VALU_DEP_3)
	v_sub_nc_u32_e32 v5, v5, v10
	v_lshrrev_b32_e32 v2, s71, v2
	s_delay_alu instid0(VALU_DEP_2) | instskip(SKIP_2) | instid1(VALU_DEP_4)
	v_mul_lo_u32 v10, v5, s64
	v_mul_lo_u32 v5, v5, s65
	v_sub_nc_u32_e32 v3, v3, v8
	v_mul_lo_u32 v11, v2, s69
	s_delay_alu instid0(VALU_DEP_2) | instskip(SKIP_1) | instid1(VALU_DEP_3)
	v_mul_lo_u32 v8, v3, s62
	v_mul_lo_u32 v3, v3, s63
	v_sub_nc_u32_e32 v6, v6, v11
	s_delay_alu instid0(VALU_DEP_3) | instskip(NEXT) | instid1(VALU_DEP_2)
	v_add3_u32 v0, v7, v0, v8
	v_mul_lo_u32 v11, v6, s66
	v_mul_lo_u32 v6, v6, s67
	v_add3_u32 v1, v9, v1, v3
	s_delay_alu instid0(VALU_DEP_3) | instskip(NEXT) | instid1(VALU_DEP_2)
	v_add3_u32 v0, v10, v0, v11
	v_add3_u32 v1, v5, v1, v6
	s_cbranch_scc0 .LBB529_547
	s_branch .LBB529_550
.LBB529_548:
	s_mov_b32 s46, -1
                                        ; implicit-def: $vgpr0
                                        ; implicit-def: $vgpr1
	s_branch .LBB529_553
.LBB529_549:
	v_dual_mov_b32 v2, v4 :: v_dual_mov_b32 v1, 0
.LBB529_550:
	s_and_b32 s48, s48, 3
	s_delay_alu instid0(SALU_CYCLE_1)
	s_cmp_eq_u32 s48, 0
	s_cbranch_scc1 .LBB529_553
; %bb.551:
	s_lshl_b32 s2, s47, 3
	s_mul_i32 s24, s47, 12
	s_add_u32 s2, s2, s16
	s_addc_u32 s3, s17, 0
	s_add_u32 s2, s2, 0xc4
	s_addc_u32 s3, s3, 0
	;; [unrolled: 2-line block ×3, first 2 shown]
	.p2align	6
.LBB529_552:                            ; =>This Inner Loop Header: Depth=1
	s_clause 0x1
	s_load_b64 s[50:51], s[24:25], 0x4
	s_load_b32 s47, s[24:25], 0xc
	s_load_b64 s[52:53], s[2:3], 0x0
	s_add_u32 s24, s24, 12
	s_addc_u32 s25, s25, 0
	s_add_u32 s2, s2, 8
	s_addc_u32 s3, s3, 0
	s_add_i32 s48, s48, -1
	s_delay_alu instid0(SALU_CYCLE_1) | instskip(SKIP_2) | instid1(VALU_DEP_1)
	s_cmp_lg_u32 s48, 0
	s_waitcnt vmcnt(0) lgkmcnt(0)
	v_mul_hi_u32 v3, s51, v2
	v_add_nc_u32_e32 v3, v2, v3
	s_delay_alu instid0(VALU_DEP_1) | instskip(NEXT) | instid1(VALU_DEP_1)
	v_lshrrev_b32_e32 v3, s47, v3
	v_mul_lo_u32 v5, v3, s50
	s_delay_alu instid0(VALU_DEP_1) | instskip(NEXT) | instid1(VALU_DEP_1)
	v_sub_nc_u32_e32 v2, v2, v5
	v_mad_u64_u32 v[5:6], null, v2, s52, v[0:1]
	v_mad_u64_u32 v[6:7], null, v2, s53, v[1:2]
	v_mov_b32_e32 v2, v3
	s_delay_alu instid0(VALU_DEP_2)
	v_dual_mov_b32 v0, v5 :: v_dual_mov_b32 v1, v6
	s_cbranch_scc1 .LBB529_552
.LBB529_553:
	s_and_not1_b32 vcc_lo, exec_lo, s46
	s_cbranch_vccnz .LBB529_556
; %bb.554:
	v_mul_hi_u32 v0, s9, v4
	s_and_not1_b32 vcc_lo, exec_lo, s35
	s_delay_alu instid0(VALU_DEP_1) | instskip(NEXT) | instid1(VALU_DEP_1)
	v_add_nc_u32_e32 v0, v4, v0
	v_lshrrev_b32_e32 v2, s10, v0
	s_delay_alu instid0(VALU_DEP_1) | instskip(NEXT) | instid1(VALU_DEP_1)
	v_mul_lo_u32 v0, v2, s8
	v_sub_nc_u32_e32 v1, v4, v0
	s_delay_alu instid0(VALU_DEP_1)
	v_mul_lo_u32 v0, v1, s12
	v_mul_lo_u32 v1, v1, s13
	s_cbranch_vccnz .LBB529_556
; %bb.555:
	s_waitcnt vmcnt(0)
	v_mul_hi_u32 v3, s20, v2
	s_delay_alu instid0(VALU_DEP_1) | instskip(NEXT) | instid1(VALU_DEP_1)
	v_add_nc_u32_e32 v3, v2, v3
	v_lshrrev_b32_e32 v3, s21, v3
	s_delay_alu instid0(VALU_DEP_1) | instskip(NEXT) | instid1(VALU_DEP_1)
	v_mul_lo_u32 v3, v3, s11
	v_sub_nc_u32_e32 v7, v2, v3
	s_delay_alu instid0(VALU_DEP_1) | instskip(NEXT) | instid1(VALU_DEP_1)
	v_mad_u64_u32 v[2:3], null, v7, s14, v[0:1]
	v_mad_u64_u32 v[5:6], null, v7, s15, v[1:2]
	s_delay_alu instid0(VALU_DEP_1)
	v_dual_mov_b32 v0, v2 :: v_dual_mov_b32 v1, v5
.LBB529_556:
	v_cmp_lt_i16_e64 s2, s34, 11
	s_delay_alu instid0(VALU_DEP_2) | instskip(NEXT) | instid1(VALU_DEP_1)
	v_add_co_u32 v1, s3, s6, v1
	v_add_co_ci_u32_e64 v2, null, s7, 0, s3
	s_delay_alu instid0(VALU_DEP_3)
	s_and_b32 vcc_lo, exec_lo, s2
	s_mov_b32 s2, 0
	s_cbranch_vccnz .LBB529_563
; %bb.557:
	v_cmp_gt_i16_e64 s2, s34, 25
	s_delay_alu instid0(VALU_DEP_1)
	s_and_b32 vcc_lo, exec_lo, s2
	s_cbranch_vccz .LBB529_564
; %bb.558:
	v_cmp_gt_i16_e64 s2, s34, 28
	s_delay_alu instid0(VALU_DEP_1)
	s_and_b32 vcc_lo, exec_lo, s2
	s_cbranch_vccz .LBB529_565
	;; [unrolled: 5-line block ×4, first 2 shown]
; %bb.561:
	v_cmp_eq_u16_e64 s2, s34, 46
	s_mov_b32 s24, 0
	s_delay_alu instid0(VALU_DEP_1)
	s_and_b32 vcc_lo, exec_lo, s2
	s_cbranch_vccz .LBB529_572
; %bb.562:
	global_load_b32 v3, v[1:2], off
	s_mov_b32 s2, -1
	s_mov_b32 s3, 0
	s_waitcnt vmcnt(0)
	v_lshlrev_b32_e32 v3, 16, v3
	s_delay_alu instid0(VALU_DEP_1)
	v_cvt_f16_f32_e32 v3, v3
	s_branch .LBB529_574
.LBB529_563:
	s_mov_b32 s24, -1
	s_mov_b32 s3, s42
                                        ; implicit-def: $vgpr3
	s_branch .LBB529_639
.LBB529_564:
	s_mov_b32 s24, -1
	s_mov_b32 s2, 0
	s_mov_b32 s3, s42
                                        ; implicit-def: $vgpr3
	s_branch .LBB529_603
.LBB529_565:
	s_mov_b32 s24, -1
	s_mov_b32 s2, 0
	s_mov_b32 s3, s42
                                        ; implicit-def: $vgpr3
	s_branch .LBB529_584
.LBB529_566:
	s_mov_b32 s24, -1
	s_mov_b32 s2, 0
	s_mov_b32 s3, s42
                                        ; implicit-def: $vgpr3
	s_branch .LBB529_579
.LBB529_567:
	s_or_saveexec_b32 s42, s42
                                        ; implicit-def: $sgpr43
	s_delay_alu instid0(SALU_CYCLE_1)
	s_xor_b32 exec_lo, exec_lo, s42
	s_cbranch_execz .LBB529_378
.LBB529_568:
	v_add_f32_e64 v6, 0x46000000, |v5|
	s_and_not1_b32 s25, s25, exec_lo
	s_mov_b32 s43, 0
	s_delay_alu instid0(VALU_DEP_1) | instskip(NEXT) | instid1(VALU_DEP_1)
	v_and_b32_e32 v6, 0xff, v6
	v_cmp_ne_u32_e32 vcc_lo, 0, v6
	s_and_b32 s45, vcc_lo, exec_lo
	s_delay_alu instid0(SALU_CYCLE_1)
	s_or_b32 s25, s25, s45
	s_or_b32 exec_lo, exec_lo, s42
	v_mov_b32_e32 v7, s43
	s_and_saveexec_b32 s42, s25
	s_cbranch_execnz .LBB529_379
	s_branch .LBB529_380
.LBB529_569:
	s_mov_b32 s24, -1
	s_mov_b32 s2, 0
	s_mov_b32 s3, s42
	s_branch .LBB529_573
.LBB529_570:
	s_or_saveexec_b32 s42, s42
                                        ; implicit-def: $sgpr43
	s_delay_alu instid0(SALU_CYCLE_1)
	s_xor_b32 exec_lo, exec_lo, s42
	s_cbranch_execz .LBB529_391
.LBB529_571:
	v_add_f32_e64 v6, 0x42800000, |v5|
	s_and_not1_b32 s25, s25, exec_lo
	s_mov_b32 s43, 0
	s_delay_alu instid0(VALU_DEP_1) | instskip(NEXT) | instid1(VALU_DEP_1)
	v_and_b32_e32 v6, 0xff, v6
	v_cmp_ne_u32_e32 vcc_lo, 0, v6
	s_and_b32 s45, vcc_lo, exec_lo
	s_delay_alu instid0(SALU_CYCLE_1)
	s_or_b32 s25, s25, s45
	s_or_b32 exec_lo, exec_lo, s42
	v_mov_b32_e32 v7, s43
	s_and_saveexec_b32 s42, s25
	s_cbranch_execnz .LBB529_392
	s_branch .LBB529_393
.LBB529_572:
	s_mov_b32 s3, -1
	s_mov_b32 s2, 0
.LBB529_573:
                                        ; implicit-def: $vgpr3
.LBB529_574:
	s_and_b32 vcc_lo, exec_lo, s24
	s_cbranch_vccz .LBB529_578
; %bb.575:
	v_cmp_eq_u16_e64 s3, s34, 44
	s_delay_alu instid0(VALU_DEP_1)
	s_and_b32 vcc_lo, exec_lo, s3
	s_cbranch_vccz .LBB529_577
; %bb.576:
	global_load_u8 v3, v[1:2], off
	s_mov_b32 s3, 0
	s_mov_b32 s2, -1
	s_waitcnt vmcnt(0)
	v_lshlrev_b32_e32 v5, 23, v3
	v_cmp_ne_u32_e32 vcc_lo, 0xff, v3
	s_delay_alu instid0(VALU_DEP_2) | instskip(NEXT) | instid1(VALU_DEP_1)
	v_cvt_f16_f32_e32 v5, v5
	v_cndmask_b32_e32 v5, 0x7e00, v5, vcc_lo
	v_cmp_ne_u32_e32 vcc_lo, 0, v3
	s_delay_alu instid0(VALU_DEP_2)
	v_cndmask_b32_e32 v3, 0, v5, vcc_lo
	s_branch .LBB529_578
.LBB529_577:
	s_mov_b32 s3, -1
                                        ; implicit-def: $vgpr3
.LBB529_578:
	s_mov_b32 s24, 0
.LBB529_579:
	s_delay_alu instid0(SALU_CYCLE_1)
	s_and_b32 vcc_lo, exec_lo, s24
	s_cbranch_vccz .LBB529_583
; %bb.580:
	v_cmp_eq_u16_e64 s3, s34, 29
	s_delay_alu instid0(VALU_DEP_1)
	s_and_b32 vcc_lo, exec_lo, s3
	s_cbranch_vccz .LBB529_582
; %bb.581:
	global_load_b64 v[5:6], v[1:2], off
	s_mov_b32 s2, -1
	s_mov_b32 s3, 0
	s_mov_b32 s24, 0
	s_waitcnt vmcnt(0)
	v_clz_i32_u32_e32 v3, v6
	s_delay_alu instid0(VALU_DEP_1) | instskip(NEXT) | instid1(VALU_DEP_1)
	v_min_u32_e32 v3, 32, v3
	v_lshlrev_b64 v[5:6], v3, v[5:6]
	v_sub_nc_u32_e32 v3, 32, v3
	s_delay_alu instid0(VALU_DEP_2) | instskip(NEXT) | instid1(VALU_DEP_1)
	v_min_u32_e32 v5, 1, v5
	v_or_b32_e32 v5, v6, v5
	s_delay_alu instid0(VALU_DEP_1) | instskip(NEXT) | instid1(VALU_DEP_1)
	v_cvt_f32_u32_e32 v5, v5
	v_ldexp_f32 v3, v5, v3
	s_delay_alu instid0(VALU_DEP_1)
	v_cvt_f16_f32_e32 v3, v3
	s_branch .LBB529_584
.LBB529_582:
	s_mov_b32 s3, -1
                                        ; implicit-def: $vgpr3
.LBB529_583:
	s_mov_b32 s24, 0
.LBB529_584:
	s_delay_alu instid0(SALU_CYCLE_1)
	s_and_b32 vcc_lo, exec_lo, s24
	s_cbranch_vccz .LBB529_602
; %bb.585:
	v_cmp_lt_i16_e64 s2, s34, 27
	s_delay_alu instid0(VALU_DEP_1)
	s_and_b32 vcc_lo, exec_lo, s2
	s_cbranch_vccnz .LBB529_588
; %bb.586:
	v_cmp_gt_i16_e64 s2, s34, 27
	s_delay_alu instid0(VALU_DEP_1)
	s_and_b32 vcc_lo, exec_lo, s2
	s_cbranch_vccz .LBB529_589
; %bb.587:
	global_load_b32 v3, v[1:2], off
	s_mov_b32 s2, 0
	s_waitcnt vmcnt(0)
	v_cvt_f32_u32_e32 v3, v3
	s_delay_alu instid0(VALU_DEP_1)
	v_cvt_f16_f32_e32 v3, v3
	s_branch .LBB529_590
.LBB529_588:
	s_mov_b32 s2, -1
                                        ; implicit-def: $vgpr3
	s_branch .LBB529_593
.LBB529_589:
	s_mov_b32 s2, -1
                                        ; implicit-def: $vgpr3
.LBB529_590:
	s_delay_alu instid0(SALU_CYCLE_1)
	s_and_not1_b32 vcc_lo, exec_lo, s2
	s_cbranch_vccnz .LBB529_592
; %bb.591:
	global_load_u16 v3, v[1:2], off
	s_waitcnt vmcnt(0)
	v_cvt_f16_u16_e32 v3, v3
.LBB529_592:
	s_mov_b32 s2, 0
.LBB529_593:
	s_delay_alu instid0(SALU_CYCLE_1)
	s_and_not1_b32 vcc_lo, exec_lo, s2
	s_cbranch_vccnz .LBB529_601
; %bb.594:
	global_load_u8 v5, v[1:2], off
	s_mov_b32 s2, 0
	s_mov_b32 s25, exec_lo
                                        ; implicit-def: $sgpr24
	s_waitcnt vmcnt(0)
	v_cmpx_lt_i16_e32 0x7f, v5
	s_xor_b32 s25, exec_lo, s25
	s_cbranch_execz .LBB529_615
; %bb.595:
	s_mov_b32 s2, -1
	s_mov_b32 s46, exec_lo
                                        ; implicit-def: $sgpr24
	v_cmpx_eq_u16_e32 0x80, v5
; %bb.596:
	s_movk_i32 s24, 0x7e00
	s_xor_b32 s2, exec_lo, -1
; %bb.597:
	s_or_b32 exec_lo, exec_lo, s46
	s_delay_alu instid0(SALU_CYCLE_1)
	s_and_b32 s2, s2, exec_lo
	s_or_saveexec_b32 s25, s25
	v_mov_b32_e32 v3, s24
	s_xor_b32 exec_lo, exec_lo, s25
	s_cbranch_execnz .LBB529_616
.LBB529_598:
	s_or_b32 exec_lo, exec_lo, s25
	s_and_saveexec_b32 s24, s2
	s_cbranch_execz .LBB529_600
.LBB529_599:
	v_and_b32_e32 v3, 0xffff, v5
	v_lshlrev_b32_e32 v5, 24, v5
	s_delay_alu instid0(VALU_DEP_2) | instskip(NEXT) | instid1(VALU_DEP_2)
	v_and_b32_e32 v6, 7, v3
	v_and_b32_e32 v5, 0x80000000, v5
	s_delay_alu instid0(VALU_DEP_2) | instskip(NEXT) | instid1(VALU_DEP_1)
	v_clz_i32_u32_e32 v7, v6
	v_min_u32_e32 v7, 32, v7
	s_delay_alu instid0(VALU_DEP_1) | instskip(SKIP_1) | instid1(VALU_DEP_2)
	v_subrev_nc_u32_e32 v8, 28, v7
	v_sub_nc_u32_e32 v7, 29, v7
	v_lshlrev_b32_e32 v8, v8, v3
	v_bfe_u32 v3, v3, 3, 4
	s_delay_alu instid0(VALU_DEP_1) | instskip(NEXT) | instid1(VALU_DEP_3)
	v_cmp_eq_u32_e32 vcc_lo, 0, v3
	v_dual_cndmask_b32 v3, v3, v7 :: v_dual_and_b32 v8, 7, v8
	s_delay_alu instid0(VALU_DEP_1) | instskip(NEXT) | instid1(VALU_DEP_2)
	v_cndmask_b32_e32 v6, v6, v8, vcc_lo
	v_lshl_add_u32 v3, v3, 23, 0x3b800000
	s_delay_alu instid0(VALU_DEP_2) | instskip(NEXT) | instid1(VALU_DEP_1)
	v_lshlrev_b32_e32 v6, 20, v6
	v_or3_b32 v3, v5, v3, v6
	s_delay_alu instid0(VALU_DEP_1)
	v_cvt_f16_f32_e32 v3, v3
.LBB529_600:
	s_or_b32 exec_lo, exec_lo, s24
.LBB529_601:
	s_mov_b32 s2, -1
.LBB529_602:
	s_mov_b32 s24, 0
.LBB529_603:
	s_delay_alu instid0(SALU_CYCLE_1)
	s_and_b32 vcc_lo, exec_lo, s24
	s_cbranch_vccz .LBB529_638
; %bb.604:
	v_cmp_gt_i16_e64 s24, s34, 22
	s_delay_alu instid0(VALU_DEP_1)
	s_and_b32 vcc_lo, exec_lo, s24
	s_cbranch_vccz .LBB529_614
; %bb.605:
	v_cmp_lt_i16_e64 s2, s34, 24
	s_delay_alu instid0(VALU_DEP_1)
	s_and_b32 vcc_lo, exec_lo, s2
	s_cbranch_vccnz .LBB529_617
; %bb.606:
	v_cmp_gt_i16_e64 s2, s34, 24
	s_delay_alu instid0(VALU_DEP_1)
	s_and_b32 vcc_lo, exec_lo, s2
	s_cbranch_vccz .LBB529_618
; %bb.607:
	global_load_u8 v5, v[1:2], off
	s_mov_b32 s2, 0
	s_mov_b32 s25, exec_lo
                                        ; implicit-def: $sgpr24
	s_waitcnt vmcnt(0)
	v_cmpx_lt_i16_e32 0x7f, v5
	s_xor_b32 s25, exec_lo, s25
	s_cbranch_execz .LBB529_630
; %bb.608:
	s_mov_b32 s2, -1
	s_mov_b32 s46, exec_lo
                                        ; implicit-def: $sgpr24
	v_cmpx_eq_u16_e32 0x80, v5
; %bb.609:
	s_movk_i32 s24, 0x7e00
	s_xor_b32 s2, exec_lo, -1
; %bb.610:
	s_or_b32 exec_lo, exec_lo, s46
	s_delay_alu instid0(SALU_CYCLE_1)
	s_and_b32 s2, s2, exec_lo
	s_or_saveexec_b32 s25, s25
	v_mov_b32_e32 v3, s24
	s_xor_b32 exec_lo, exec_lo, s25
	s_cbranch_execnz .LBB529_631
.LBB529_611:
	s_or_b32 exec_lo, exec_lo, s25
	s_and_saveexec_b32 s24, s2
	s_cbranch_execz .LBB529_613
.LBB529_612:
	v_and_b32_e32 v3, 0xffff, v5
	v_lshlrev_b32_e32 v5, 24, v5
	s_delay_alu instid0(VALU_DEP_2) | instskip(NEXT) | instid1(VALU_DEP_2)
	v_and_b32_e32 v6, 3, v3
	v_and_b32_e32 v5, 0x80000000, v5
	s_delay_alu instid0(VALU_DEP_2) | instskip(NEXT) | instid1(VALU_DEP_1)
	v_clz_i32_u32_e32 v7, v6
	v_min_u32_e32 v7, 32, v7
	s_delay_alu instid0(VALU_DEP_1) | instskip(SKIP_1) | instid1(VALU_DEP_2)
	v_subrev_nc_u32_e32 v8, 29, v7
	v_sub_nc_u32_e32 v7, 30, v7
	v_lshlrev_b32_e32 v8, v8, v3
	v_bfe_u32 v3, v3, 2, 5
	s_delay_alu instid0(VALU_DEP_1) | instskip(NEXT) | instid1(VALU_DEP_3)
	v_cmp_eq_u32_e32 vcc_lo, 0, v3
	v_dual_cndmask_b32 v3, v3, v7 :: v_dual_and_b32 v8, 3, v8
	s_delay_alu instid0(VALU_DEP_1) | instskip(NEXT) | instid1(VALU_DEP_2)
	v_cndmask_b32_e32 v6, v6, v8, vcc_lo
	v_lshl_add_u32 v3, v3, 23, 0x37800000
	s_delay_alu instid0(VALU_DEP_2) | instskip(NEXT) | instid1(VALU_DEP_1)
	v_lshlrev_b32_e32 v6, 21, v6
	v_or3_b32 v3, v5, v3, v6
	s_delay_alu instid0(VALU_DEP_1)
	v_cvt_f16_f32_e32 v3, v3
.LBB529_613:
	s_or_b32 exec_lo, exec_lo, s24
	s_mov_b32 s2, 0
	s_branch .LBB529_619
.LBB529_614:
	s_mov_b32 s24, -1
                                        ; implicit-def: $vgpr3
	s_branch .LBB529_625
.LBB529_615:
	s_or_saveexec_b32 s25, s25
	v_mov_b32_e32 v3, s24
	s_xor_b32 exec_lo, exec_lo, s25
	s_cbranch_execz .LBB529_598
.LBB529_616:
	v_cmp_ne_u16_e32 vcc_lo, 0, v5
	v_mov_b32_e32 v3, v5
	s_and_not1_b32 s2, s2, exec_lo
	s_and_b32 s24, vcc_lo, exec_lo
	s_delay_alu instid0(SALU_CYCLE_1)
	s_or_b32 s2, s2, s24
	s_or_b32 exec_lo, exec_lo, s25
	s_and_saveexec_b32 s24, s2
	s_cbranch_execnz .LBB529_599
	s_branch .LBB529_600
.LBB529_617:
	s_mov_b32 s2, -1
                                        ; implicit-def: $vgpr3
	s_branch .LBB529_622
.LBB529_618:
	s_mov_b32 s2, -1
                                        ; implicit-def: $vgpr3
.LBB529_619:
	s_delay_alu instid0(SALU_CYCLE_1)
	s_and_b32 vcc_lo, exec_lo, s2
	s_cbranch_vccz .LBB529_621
; %bb.620:
	global_load_u8 v3, v[1:2], off
	s_waitcnt vmcnt(0)
	v_lshlrev_b32_e32 v3, 24, v3
	s_delay_alu instid0(VALU_DEP_1) | instskip(NEXT) | instid1(VALU_DEP_1)
	v_and_b32_e32 v5, 0x7f000000, v3
	v_clz_i32_u32_e32 v6, v5
	v_cmp_ne_u32_e32 vcc_lo, 0, v5
	v_add_nc_u32_e32 v8, 0x1000000, v5
	s_delay_alu instid0(VALU_DEP_3) | instskip(NEXT) | instid1(VALU_DEP_1)
	v_min_u32_e32 v6, 32, v6
	v_sub_nc_u32_e64 v6, v6, 4 clamp
	s_delay_alu instid0(VALU_DEP_1) | instskip(SKIP_1) | instid1(VALU_DEP_2)
	v_lshlrev_b32_e32 v7, v6, v5
	v_lshlrev_b32_e32 v6, 23, v6
	v_lshrrev_b32_e32 v7, 4, v7
	s_delay_alu instid0(VALU_DEP_1) | instskip(SKIP_1) | instid1(VALU_DEP_2)
	v_sub_nc_u32_e32 v6, v7, v6
	v_ashrrev_i32_e32 v7, 8, v8
	v_add_nc_u32_e32 v6, 0x3c000000, v6
	s_delay_alu instid0(VALU_DEP_1) | instskip(NEXT) | instid1(VALU_DEP_1)
	v_and_or_b32 v6, 0x7f800000, v7, v6
	v_cndmask_b32_e32 v5, 0, v6, vcc_lo
	s_delay_alu instid0(VALU_DEP_1) | instskip(NEXT) | instid1(VALU_DEP_1)
	v_and_or_b32 v3, 0x80000000, v3, v5
	v_cvt_f16_f32_e32 v3, v3
.LBB529_621:
	s_mov_b32 s2, 0
.LBB529_622:
	s_delay_alu instid0(SALU_CYCLE_1)
	s_and_not1_b32 vcc_lo, exec_lo, s2
	s_cbranch_vccnz .LBB529_624
; %bb.623:
	global_load_u8 v3, v[1:2], off
	s_waitcnt vmcnt(0)
	v_lshlrev_b32_e32 v5, 25, v3
	v_lshlrev_b16 v3, 8, v3
	s_delay_alu instid0(VALU_DEP_2) | instskip(NEXT) | instid1(VALU_DEP_2)
	v_lshrrev_b32_e32 v6, 4, v5
	v_and_or_b32 v7, 0x7f00, v3, 0.5
	v_bfe_i32 v3, v3, 0, 16
	s_delay_alu instid0(VALU_DEP_3) | instskip(NEXT) | instid1(VALU_DEP_1)
	v_or_b32_e32 v6, 0x70000000, v6
	v_dual_add_f32 v7, -0.5, v7 :: v_dual_mul_f32 v6, 0x7800000, v6
	v_cmp_gt_u32_e32 vcc_lo, 0x8000000, v5
	s_delay_alu instid0(VALU_DEP_2) | instskip(NEXT) | instid1(VALU_DEP_1)
	v_cndmask_b32_e32 v5, v6, v7, vcc_lo
	v_and_or_b32 v3, 0x80000000, v3, v5
	s_delay_alu instid0(VALU_DEP_1)
	v_cvt_f16_f32_e32 v3, v3
.LBB529_624:
	s_mov_b32 s24, 0
	s_mov_b32 s2, -1
.LBB529_625:
	s_and_not1_b32 vcc_lo, exec_lo, s24
	s_cbranch_vccnz .LBB529_638
; %bb.626:
	v_cmp_gt_i16_e64 s24, s34, 14
	s_delay_alu instid0(VALU_DEP_1)
	s_and_b32 vcc_lo, exec_lo, s24
	s_cbranch_vccz .LBB529_629
; %bb.627:
	v_cmp_eq_u16_e64 s3, s34, 15
	s_delay_alu instid0(VALU_DEP_1)
	s_and_b32 vcc_lo, exec_lo, s3
	s_cbranch_vccz .LBB529_632
; %bb.628:
	global_load_u16 v3, v[1:2], off
	s_mov_b32 s2, -1
	s_mov_b32 s3, 0
	s_waitcnt vmcnt(0)
	v_lshlrev_b32_e32 v3, 16, v3
	s_delay_alu instid0(VALU_DEP_1)
	v_cvt_f16_f32_e32 v3, v3
	s_branch .LBB529_633
.LBB529_629:
	s_mov_b32 s24, -1
                                        ; implicit-def: $vgpr3
	s_branch .LBB529_634
.LBB529_630:
	s_or_saveexec_b32 s25, s25
	v_mov_b32_e32 v3, s24
	s_xor_b32 exec_lo, exec_lo, s25
	s_cbranch_execz .LBB529_611
.LBB529_631:
	v_cmp_ne_u16_e32 vcc_lo, 0, v5
	v_mov_b32_e32 v3, v5
	s_and_not1_b32 s2, s2, exec_lo
	s_and_b32 s24, vcc_lo, exec_lo
	s_delay_alu instid0(SALU_CYCLE_1)
	s_or_b32 s2, s2, s24
	s_or_b32 exec_lo, exec_lo, s25
	s_and_saveexec_b32 s24, s2
	s_cbranch_execnz .LBB529_612
	s_branch .LBB529_613
.LBB529_632:
	s_mov_b32 s3, -1
                                        ; implicit-def: $vgpr3
.LBB529_633:
	s_mov_b32 s24, 0
.LBB529_634:
	s_delay_alu instid0(SALU_CYCLE_1)
	s_and_b32 vcc_lo, exec_lo, s24
	s_cbranch_vccz .LBB529_638
; %bb.635:
	v_cmp_eq_u16_e64 s3, s34, 11
	s_delay_alu instid0(VALU_DEP_1)
	s_and_b32 vcc_lo, exec_lo, s3
	s_cbranch_vccz .LBB529_637
; %bb.636:
	global_load_u8 v3, v[1:2], off
	s_mov_b32 s3, 0
	s_mov_b32 s2, -1
	s_waitcnt vmcnt(0)
	v_cmp_ne_u16_e32 vcc_lo, 0, v3
	v_cndmask_b32_e64 v3, 0, 0x3c00, vcc_lo
	s_branch .LBB529_638
.LBB529_637:
	s_mov_b32 s3, -1
                                        ; implicit-def: $vgpr3
.LBB529_638:
	s_mov_b32 s24, 0
.LBB529_639:
	s_delay_alu instid0(SALU_CYCLE_1)
	s_and_b32 vcc_lo, exec_lo, s24
	s_cbranch_vccz .LBB529_688
; %bb.640:
	v_cmp_lt_i16_e64 s2, s34, 5
	s_delay_alu instid0(VALU_DEP_1)
	s_and_b32 vcc_lo, exec_lo, s2
	s_cbranch_vccnz .LBB529_645
; %bb.641:
	v_cmp_lt_i16_e64 s2, s34, 8
	s_delay_alu instid0(VALU_DEP_1)
	s_and_b32 vcc_lo, exec_lo, s2
	s_cbranch_vccnz .LBB529_646
; %bb.642:
	v_cmp_lt_i16_e64 s2, s34, 9
	s_delay_alu instid0(VALU_DEP_1)
	s_and_b32 vcc_lo, exec_lo, s2
	s_cbranch_vccnz .LBB529_647
; %bb.643:
	v_cmp_gt_i16_e64 s2, s34, 9
	s_delay_alu instid0(VALU_DEP_1)
	s_and_b32 vcc_lo, exec_lo, s2
	s_cbranch_vccz .LBB529_648
; %bb.644:
	global_load_b64 v[5:6], v[1:2], off
	s_mov_b32 s2, 0
	s_waitcnt vmcnt(0)
	v_cvt_f32_f64_e32 v3, v[5:6]
	s_delay_alu instid0(VALU_DEP_1)
	v_cvt_f16_f32_e32 v3, v3
	s_branch .LBB529_649
.LBB529_645:
	s_mov_b32 s2, -1
                                        ; implicit-def: $vgpr3
	s_branch .LBB529_667
.LBB529_646:
	s_mov_b32 s2, -1
                                        ; implicit-def: $vgpr3
	s_branch .LBB529_655
.LBB529_647:
	s_mov_b32 s2, -1
                                        ; implicit-def: $vgpr3
	s_branch .LBB529_652
.LBB529_648:
	s_mov_b32 s2, -1
                                        ; implicit-def: $vgpr3
.LBB529_649:
	s_delay_alu instid0(SALU_CYCLE_1)
	s_and_not1_b32 vcc_lo, exec_lo, s2
	s_cbranch_vccnz .LBB529_651
; %bb.650:
	global_load_b32 v3, v[1:2], off
	s_waitcnt vmcnt(0)
	v_cvt_f16_f32_e32 v3, v3
.LBB529_651:
	s_mov_b32 s2, 0
.LBB529_652:
	s_delay_alu instid0(SALU_CYCLE_1)
	s_and_not1_b32 vcc_lo, exec_lo, s2
	s_cbranch_vccnz .LBB529_654
; %bb.653:
	global_load_b32 v3, v[1:2], off
.LBB529_654:
	s_mov_b32 s2, 0
.LBB529_655:
	s_delay_alu instid0(SALU_CYCLE_1)
	s_and_not1_b32 vcc_lo, exec_lo, s2
	s_cbranch_vccnz .LBB529_666
; %bb.656:
	v_cmp_lt_i16_e64 s2, s34, 6
	s_delay_alu instid0(VALU_DEP_1)
	s_and_b32 vcc_lo, exec_lo, s2
	s_cbranch_vccnz .LBB529_659
; %bb.657:
	v_cmp_gt_i16_e64 s2, s34, 6
	s_delay_alu instid0(VALU_DEP_1)
	s_and_b32 vcc_lo, exec_lo, s2
	s_cbranch_vccz .LBB529_660
; %bb.658:
	global_load_b64 v[5:6], v[1:2], off
	s_mov_b32 s2, 0
	s_waitcnt vmcnt(0)
	v_cvt_f32_f64_e32 v3, v[5:6]
	s_delay_alu instid0(VALU_DEP_1)
	v_cvt_f16_f32_e32 v3, v3
	s_branch .LBB529_661
.LBB529_659:
	s_mov_b32 s2, -1
                                        ; implicit-def: $vgpr3
	s_branch .LBB529_664
.LBB529_660:
	s_mov_b32 s2, -1
                                        ; implicit-def: $vgpr3
.LBB529_661:
	s_delay_alu instid0(SALU_CYCLE_1)
	s_and_not1_b32 vcc_lo, exec_lo, s2
	s_cbranch_vccnz .LBB529_663
; %bb.662:
	global_load_b32 v3, v[1:2], off
	s_waitcnt vmcnt(0)
	v_cvt_f16_f32_e32 v3, v3
.LBB529_663:
	s_mov_b32 s2, 0
.LBB529_664:
	s_delay_alu instid0(SALU_CYCLE_1)
	s_and_not1_b32 vcc_lo, exec_lo, s2
	s_cbranch_vccnz .LBB529_666
; %bb.665:
	global_load_u16 v3, v[1:2], off
.LBB529_666:
	s_mov_b32 s2, 0
.LBB529_667:
	s_delay_alu instid0(SALU_CYCLE_1)
	s_and_not1_b32 vcc_lo, exec_lo, s2
	s_cbranch_vccnz .LBB529_687
; %bb.668:
	v_cmp_lt_i16_e64 s2, s34, 2
	s_delay_alu instid0(VALU_DEP_1)
	s_and_b32 vcc_lo, exec_lo, s2
	s_cbranch_vccnz .LBB529_672
; %bb.669:
	v_cmp_lt_i16_e64 s2, s34, 3
	s_delay_alu instid0(VALU_DEP_1)
	s_and_b32 vcc_lo, exec_lo, s2
	s_cbranch_vccnz .LBB529_673
; %bb.670:
	v_cmp_gt_i16_e64 s2, s34, 3
	s_delay_alu instid0(VALU_DEP_1)
	s_and_b32 vcc_lo, exec_lo, s2
	s_cbranch_vccz .LBB529_674
; %bb.671:
	global_load_b64 v[5:6], v[1:2], off
	s_mov_b32 s2, 0
	s_waitcnt vmcnt(0)
	v_xor_b32_e32 v3, v5, v6
	v_cls_i32_e32 v7, v6
	s_delay_alu instid0(VALU_DEP_2) | instskip(NEXT) | instid1(VALU_DEP_2)
	v_ashrrev_i32_e32 v3, 31, v3
	v_add_nc_u32_e32 v7, -1, v7
	s_delay_alu instid0(VALU_DEP_2) | instskip(NEXT) | instid1(VALU_DEP_1)
	v_add_nc_u32_e32 v3, 32, v3
	v_min_u32_e32 v3, v7, v3
	s_delay_alu instid0(VALU_DEP_1) | instskip(SKIP_1) | instid1(VALU_DEP_2)
	v_lshlrev_b64 v[5:6], v3, v[5:6]
	v_sub_nc_u32_e32 v3, 32, v3
	v_min_u32_e32 v5, 1, v5
	s_delay_alu instid0(VALU_DEP_1) | instskip(NEXT) | instid1(VALU_DEP_1)
	v_or_b32_e32 v5, v6, v5
	v_cvt_f32_i32_e32 v5, v5
	s_delay_alu instid0(VALU_DEP_1) | instskip(NEXT) | instid1(VALU_DEP_1)
	v_ldexp_f32 v3, v5, v3
	v_cvt_f16_f32_e32 v3, v3
	s_branch .LBB529_675
.LBB529_672:
	s_mov_b32 s2, -1
                                        ; implicit-def: $vgpr3
	s_branch .LBB529_681
.LBB529_673:
	s_mov_b32 s2, -1
                                        ; implicit-def: $vgpr3
	s_branch .LBB529_678
.LBB529_674:
	s_mov_b32 s2, -1
                                        ; implicit-def: $vgpr3
.LBB529_675:
	s_delay_alu instid0(SALU_CYCLE_1)
	s_and_not1_b32 vcc_lo, exec_lo, s2
	s_cbranch_vccnz .LBB529_677
; %bb.676:
	global_load_b32 v3, v[1:2], off
	s_waitcnt vmcnt(0)
	v_cvt_f32_i32_e32 v3, v3
	s_delay_alu instid0(VALU_DEP_1)
	v_cvt_f16_f32_e32 v3, v3
.LBB529_677:
	s_mov_b32 s2, 0
.LBB529_678:
	s_delay_alu instid0(SALU_CYCLE_1)
	s_and_not1_b32 vcc_lo, exec_lo, s2
	s_cbranch_vccnz .LBB529_680
; %bb.679:
	global_load_u16 v3, v[1:2], off
	s_waitcnt vmcnt(0)
	v_cvt_f16_i16_e32 v3, v3
.LBB529_680:
	s_mov_b32 s2, 0
.LBB529_681:
	s_delay_alu instid0(SALU_CYCLE_1)
	s_and_not1_b32 vcc_lo, exec_lo, s2
	s_cbranch_vccnz .LBB529_687
; %bb.682:
	v_cmp_gt_i16_e64 s2, s34, 0
	s_delay_alu instid0(VALU_DEP_1)
	s_and_b32 vcc_lo, exec_lo, s2
	s_mov_b32 s2, 0
	s_cbranch_vccz .LBB529_684
; %bb.683:
	global_load_i8 v3, v[1:2], off
	s_waitcnt vmcnt(0)
	v_cvt_f16_i16_e32 v3, v3
	s_branch .LBB529_685
.LBB529_684:
	s_mov_b32 s2, -1
                                        ; implicit-def: $vgpr3
.LBB529_685:
	s_delay_alu instid0(SALU_CYCLE_1)
	s_and_not1_b32 vcc_lo, exec_lo, s2
	s_cbranch_vccnz .LBB529_687
; %bb.686:
	global_load_u8 v1, v[1:2], off
	s_waitcnt vmcnt(0)
	v_cvt_f16_u16_e32 v3, v1
.LBB529_687:
	s_mov_b32 s2, -1
.LBB529_688:
	s_delay_alu instid0(SALU_CYCLE_1)
	s_and_not1_b32 vcc_lo, exec_lo, s2
	s_cbranch_vccnz .LBB529_700
; %bb.689:
	v_mov_b32_e32 v2, s18
	s_mov_b32 s2, exec_lo
	s_waitcnt vmcnt(0)
	v_cmpx_o_f16_e32 v3, v3
	s_cbranch_execz .LBB529_693
; %bb.690:
	v_mov_b32_e32 v2, s33
	s_mov_b32 s24, exec_lo
	v_cmpx_neq_f16_e32 0x7c00, v3
; %bb.691:
	v_cmp_eq_f16_e32 vcc_lo, 0xfc00, v3
	v_cndmask_b32_e64 v2, v3, s19, vcc_lo
; %bb.692:
	s_or_b32 exec_lo, exec_lo, s24
.LBB529_693:
	s_delay_alu instid0(SALU_CYCLE_1) | instskip(SKIP_2) | instid1(VALU_DEP_1)
	s_or_b32 exec_lo, exec_lo, s2
	v_and_b32_e64 v3, 0xff, s31
	v_add_co_u32 v0, s2, s4, v0
	v_add_co_ci_u32_e64 v1, null, s5, 0, s2
	s_delay_alu instid0(VALU_DEP_3)
	v_cmp_gt_i16_e32 vcc_lo, 11, v3
	s_mov_b32 s24, 0
	s_mov_b32 s25, -1
	s_mov_b32 s2, s43
	s_cbranch_vccnz .LBB529_701
; %bb.694:
	v_cmp_lt_i16_e32 vcc_lo, 25, v3
	s_cbranch_vccz .LBB529_742
; %bb.695:
	v_cmp_lt_i16_e32 vcc_lo, 28, v3
	s_cbranch_vccz .LBB529_743
	;; [unrolled: 3-line block ×4, first 2 shown]
; %bb.698:
	v_cmp_eq_u16_e32 vcc_lo, 46, v3
	s_mov_b32 s25, 0
	s_mov_b32 s2, -1
	s_cbranch_vccz .LBB529_746
; %bb.699:
	v_cvt_f32_f16_e32 v5, v2
	v_cmp_o_f16_e32 vcc_lo, v2, v2
	s_mov_b32 s24, -1
	s_mov_b32 s2, 0
	s_delay_alu instid0(VALU_DEP_2) | instskip(NEXT) | instid1(VALU_DEP_1)
	v_bfe_u32 v6, v5, 16, 1
	v_add3_u32 v5, v5, v6, 0x7fff
	s_delay_alu instid0(VALU_DEP_1) | instskip(NEXT) | instid1(VALU_DEP_1)
	v_lshrrev_b32_e32 v5, 16, v5
	v_cndmask_b32_e32 v5, 0x7fc0, v5, vcc_lo
	global_store_b32 v[0:1], v5, off
	s_branch .LBB529_746
.LBB529_700:
	s_mov_b32 s46, 0
	s_mov_b32 s2, s43
	s_branch .LBB529_741
.LBB529_701:
	s_and_b32 vcc_lo, exec_lo, s25
	s_cbranch_vccz .LBB529_815
; %bb.702:
	v_cmp_gt_i16_e32 vcc_lo, 5, v3
	s_mov_b32 s24, -1
	s_cbranch_vccnz .LBB529_723
; %bb.703:
	v_cmp_gt_i16_e32 vcc_lo, 8, v3
	s_cbranch_vccnz .LBB529_713
; %bb.704:
	v_cmp_gt_i16_e32 vcc_lo, 9, v3
	s_cbranch_vccnz .LBB529_710
; %bb.705:
	v_cmp_lt_i16_e32 vcc_lo, 9, v3
	s_cbranch_vccz .LBB529_707
; %bb.706:
	v_cvt_f32_f16_e32 v5, v2
	v_mov_b32_e32 v7, 0
	s_mov_b32 s24, 0
	s_delay_alu instid0(VALU_DEP_2) | instskip(NEXT) | instid1(VALU_DEP_2)
	v_cvt_f64_f32_e32 v[5:6], v5
	v_mov_b32_e32 v8, v7
	global_store_b128 v[0:1], v[5:8], off
.LBB529_707:
	s_and_not1_b32 vcc_lo, exec_lo, s24
	s_cbranch_vccnz .LBB529_709
; %bb.708:
	v_cvt_f32_f16_e32 v5, v2
	v_mov_b32_e32 v6, 0
	global_store_b64 v[0:1], v[5:6], off
.LBB529_709:
	s_mov_b32 s24, 0
.LBB529_710:
	s_delay_alu instid0(SALU_CYCLE_1)
	s_and_not1_b32 vcc_lo, exec_lo, s24
	s_cbranch_vccnz .LBB529_712
; %bb.711:
	v_and_b32_e32 v5, 0xffff, v2
	global_store_b32 v[0:1], v5, off
.LBB529_712:
	s_mov_b32 s24, 0
.LBB529_713:
	s_delay_alu instid0(SALU_CYCLE_1)
	s_and_not1_b32 vcc_lo, exec_lo, s24
	s_cbranch_vccnz .LBB529_722
; %bb.714:
	v_cmp_gt_i16_e32 vcc_lo, 6, v3
	s_mov_b32 s24, -1
	s_cbranch_vccnz .LBB529_720
; %bb.715:
	v_cmp_lt_i16_e32 vcc_lo, 6, v3
	s_cbranch_vccz .LBB529_717
; %bb.716:
	v_cvt_f32_f16_e32 v5, v2
	s_mov_b32 s24, 0
	s_delay_alu instid0(VALU_DEP_1)
	v_cvt_f64_f32_e32 v[5:6], v5
	global_store_b64 v[0:1], v[5:6], off
.LBB529_717:
	s_and_not1_b32 vcc_lo, exec_lo, s24
	s_cbranch_vccnz .LBB529_719
; %bb.718:
	v_cvt_f32_f16_e32 v5, v2
	global_store_b32 v[0:1], v5, off
.LBB529_719:
	s_mov_b32 s24, 0
.LBB529_720:
	s_delay_alu instid0(SALU_CYCLE_1)
	s_and_not1_b32 vcc_lo, exec_lo, s24
	s_cbranch_vccnz .LBB529_722
; %bb.721:
	global_store_b16 v[0:1], v2, off
.LBB529_722:
	s_mov_b32 s24, 0
.LBB529_723:
	s_delay_alu instid0(SALU_CYCLE_1)
	s_and_not1_b32 vcc_lo, exec_lo, s24
	s_cbranch_vccnz .LBB529_739
; %bb.724:
	v_cmp_gt_i16_e32 vcc_lo, 2, v3
	s_mov_b32 s24, -1
	s_cbranch_vccnz .LBB529_734
; %bb.725:
	v_cmp_gt_i16_e32 vcc_lo, 3, v3
	s_cbranch_vccnz .LBB529_731
; %bb.726:
	v_cmp_lt_i16_e32 vcc_lo, 3, v3
	s_cbranch_vccz .LBB529_728
; %bb.727:
	v_cvt_f32_f16_e32 v5, v2
	s_mov_b32 s24, 0
	s_delay_alu instid0(VALU_DEP_1) | instskip(NEXT) | instid1(VALU_DEP_1)
	v_cvt_i32_f32_e32 v5, v5
	v_ashrrev_i32_e32 v6, 31, v5
	global_store_b64 v[0:1], v[5:6], off
.LBB529_728:
	s_and_not1_b32 vcc_lo, exec_lo, s24
	s_cbranch_vccnz .LBB529_730
; %bb.729:
	v_cvt_f32_f16_e32 v5, v2
	s_delay_alu instid0(VALU_DEP_1)
	v_cvt_i32_f32_e32 v5, v5
	global_store_b32 v[0:1], v5, off
.LBB529_730:
	s_mov_b32 s24, 0
.LBB529_731:
	s_delay_alu instid0(SALU_CYCLE_1)
	s_and_not1_b32 vcc_lo, exec_lo, s24
	s_cbranch_vccnz .LBB529_733
; %bb.732:
	v_cvt_i16_f16_e32 v5, v2
	global_store_b16 v[0:1], v5, off
.LBB529_733:
	s_mov_b32 s24, 0
.LBB529_734:
	s_delay_alu instid0(SALU_CYCLE_1)
	s_and_not1_b32 vcc_lo, exec_lo, s24
	s_cbranch_vccnz .LBB529_739
; %bb.735:
	v_cmp_lt_i16_e32 vcc_lo, 0, v3
	s_mov_b32 s24, -1
	s_cbranch_vccz .LBB529_737
; %bb.736:
	v_cvt_i16_f16_e32 v3, v2
	s_mov_b32 s24, 0
	global_store_b8 v[0:1], v3, off
.LBB529_737:
	s_and_not1_b32 vcc_lo, exec_lo, s24
	s_cbranch_vccnz .LBB529_739
; %bb.738:
	v_cvt_f32_f16_e32 v2, v2
	s_delay_alu instid0(VALU_DEP_1)
	v_cvt_i32_f32_e32 v2, v2
	global_store_b8 v[0:1], v2, off
.LBB529_739:
	s_branch .LBB529_816
.LBB529_740:
	s_mov_b32 s46, 0
.LBB529_741:
                                        ; implicit-def: $vgpr4
	s_branch .LBB529_817
.LBB529_742:
	s_mov_b32 s2, s43
	s_branch .LBB529_773
.LBB529_743:
	s_mov_b32 s2, s43
	s_branch .LBB529_756
.LBB529_744:
	s_mov_b32 s2, s43
	s_branch .LBB529_752
.LBB529_745:
	s_mov_b32 s2, s43
.LBB529_746:
	s_and_b32 vcc_lo, exec_lo, s25
	s_cbranch_vccz .LBB529_751
; %bb.747:
	v_cmp_eq_u16_e32 vcc_lo, 44, v3
	s_mov_b32 s2, -1
	s_cbranch_vccz .LBB529_751
; %bb.748:
	v_cvt_f32_f16_e32 v5, v2
	v_mov_b32_e32 v6, 0xff
	s_mov_b32 s24, exec_lo
	s_delay_alu instid0(VALU_DEP_2) | instskip(NEXT) | instid1(VALU_DEP_1)
	v_bfe_u32 v7, v5, 23, 8
	v_cmpx_ne_u32_e32 0xff, v7
; %bb.749:
	v_and_b32_e32 v6, 0x400000, v5
	v_and_or_b32 v7, 0x3fffff, v5, v7
	v_lshrrev_b32_e32 v5, 23, v5
	s_delay_alu instid0(VALU_DEP_3) | instskip(NEXT) | instid1(VALU_DEP_3)
	v_cmp_ne_u32_e32 vcc_lo, 0, v6
	v_cmp_ne_u32_e64 s2, 0, v7
	s_delay_alu instid0(VALU_DEP_1) | instskip(NEXT) | instid1(SALU_CYCLE_1)
	s_and_b32 s2, vcc_lo, s2
	v_cndmask_b32_e64 v6, 0, 1, s2
	s_delay_alu instid0(VALU_DEP_1)
	v_add_nc_u32_e32 v6, v5, v6
; %bb.750:
	s_or_b32 exec_lo, exec_lo, s24
	s_mov_b32 s24, -1
	s_mov_b32 s2, 0
	global_store_b8 v[0:1], v6, off
.LBB529_751:
	s_mov_b32 s25, 0
.LBB529_752:
	s_delay_alu instid0(SALU_CYCLE_1)
	s_and_b32 vcc_lo, exec_lo, s25
	s_cbranch_vccz .LBB529_755
; %bb.753:
	v_cmp_eq_u16_e32 vcc_lo, 29, v3
	s_mov_b32 s2, -1
	s_cbranch_vccz .LBB529_755
; %bb.754:
	v_cvt_f32_f16_e32 v5, v2
	v_mov_b32_e32 v6, 0
	s_mov_b32 s2, 0
	s_mov_b32 s24, -1
	s_mov_b32 s25, 0
	v_cvt_u32_f32_e32 v5, v5
	global_store_b64 v[0:1], v[5:6], off
	s_branch .LBB529_756
.LBB529_755:
	s_mov_b32 s25, 0
.LBB529_756:
	s_delay_alu instid0(SALU_CYCLE_1)
	s_and_b32 vcc_lo, exec_lo, s25
	s_cbranch_vccz .LBB529_772
; %bb.757:
	v_cmp_gt_i16_e32 vcc_lo, 27, v3
	s_mov_b32 s24, -1
	s_cbranch_vccnz .LBB529_763
; %bb.758:
	v_cmp_lt_i16_e32 vcc_lo, 27, v3
	s_cbranch_vccz .LBB529_760
; %bb.759:
	v_cvt_f32_f16_e32 v5, v2
	s_mov_b32 s24, 0
	s_delay_alu instid0(VALU_DEP_1)
	v_cvt_u32_f32_e32 v5, v5
	global_store_b32 v[0:1], v5, off
.LBB529_760:
	s_and_not1_b32 vcc_lo, exec_lo, s24
	s_cbranch_vccnz .LBB529_762
; %bb.761:
	v_cvt_u16_f16_e32 v5, v2
	global_store_b16 v[0:1], v5, off
.LBB529_762:
	s_mov_b32 s24, 0
.LBB529_763:
	s_delay_alu instid0(SALU_CYCLE_1)
	s_and_not1_b32 vcc_lo, exec_lo, s24
	s_cbranch_vccnz .LBB529_771
; %bb.764:
	v_cvt_f32_f16_e32 v5, v2
	v_mov_b32_e32 v7, 0x80
	s_mov_b32 s24, exec_lo
	s_delay_alu instid0(VALU_DEP_2) | instskip(NEXT) | instid1(VALU_DEP_1)
	v_and_b32_e32 v6, 0x7fffffff, v5
	v_cmpx_gt_u32_e32 0x43800000, v6
	s_cbranch_execz .LBB529_770
; %bb.765:
	v_cmp_lt_u32_e32 vcc_lo, 0x3bffffff, v6
	s_mov_b32 s25, 0
                                        ; implicit-def: $vgpr6
	s_and_saveexec_b32 s46, vcc_lo
	s_delay_alu instid0(SALU_CYCLE_1)
	s_xor_b32 s46, exec_lo, s46
	s_cbranch_execz .LBB529_844
; %bb.766:
	v_bfe_u32 v6, v5, 20, 1
	s_mov_b32 s25, exec_lo
	s_delay_alu instid0(VALU_DEP_1) | instskip(NEXT) | instid1(VALU_DEP_1)
	v_add3_u32 v6, v5, v6, 0x487ffff
	v_lshrrev_b32_e32 v6, 20, v6
	s_or_saveexec_b32 s46, s46
                                        ; implicit-def: $sgpr47
	s_delay_alu instid0(SALU_CYCLE_1)
	s_xor_b32 exec_lo, exec_lo, s46
	s_cbranch_execnz .LBB529_845
.LBB529_767:
	s_or_b32 exec_lo, exec_lo, s46
	v_mov_b32_e32 v7, s47
	s_and_saveexec_b32 s46, s25
.LBB529_768:
	v_lshrrev_b32_e32 v5, 24, v5
	s_delay_alu instid0(VALU_DEP_1)
	v_and_or_b32 v7, 0x80, v5, v6
.LBB529_769:
	s_or_b32 exec_lo, exec_lo, s46
.LBB529_770:
	s_delay_alu instid0(SALU_CYCLE_1)
	s_or_b32 exec_lo, exec_lo, s24
	global_store_b8 v[0:1], v7, off
.LBB529_771:
	s_mov_b32 s24, -1
.LBB529_772:
	s_mov_b32 s25, 0
.LBB529_773:
	s_delay_alu instid0(SALU_CYCLE_1)
	s_and_b32 vcc_lo, exec_lo, s25
	s_cbranch_vccz .LBB529_814
; %bb.774:
	v_cmp_lt_i16_e32 vcc_lo, 22, v3
	s_mov_b32 s25, -1
	s_cbranch_vccz .LBB529_806
; %bb.775:
	v_cmp_gt_i16_e32 vcc_lo, 24, v3
	s_mov_b32 s24, -1
	s_cbranch_vccnz .LBB529_795
; %bb.776:
	v_cmp_lt_i16_e32 vcc_lo, 24, v3
	s_cbranch_vccz .LBB529_784
; %bb.777:
	v_cvt_f32_f16_e32 v5, v2
	v_mov_b32_e32 v7, 0x80
	s_mov_b32 s24, exec_lo
	s_delay_alu instid0(VALU_DEP_2) | instskip(NEXT) | instid1(VALU_DEP_1)
	v_and_b32_e32 v6, 0x7fffffff, v5
	v_cmpx_gt_u32_e32 0x47800000, v6
	s_cbranch_execz .LBB529_783
; %bb.778:
	v_cmp_lt_u32_e32 vcc_lo, 0x37ffffff, v6
	s_mov_b32 s25, 0
                                        ; implicit-def: $vgpr6
	s_and_saveexec_b32 s46, vcc_lo
	s_delay_alu instid0(SALU_CYCLE_1)
	s_xor_b32 s46, exec_lo, s46
	s_cbranch_execz .LBB529_847
; %bb.779:
	v_bfe_u32 v6, v5, 21, 1
	s_mov_b32 s25, exec_lo
	s_delay_alu instid0(VALU_DEP_1) | instskip(NEXT) | instid1(VALU_DEP_1)
	v_add3_u32 v6, v5, v6, 0x88fffff
	v_lshrrev_b32_e32 v6, 21, v6
	s_or_saveexec_b32 s46, s46
                                        ; implicit-def: $sgpr47
	s_delay_alu instid0(SALU_CYCLE_1)
	s_xor_b32 exec_lo, exec_lo, s46
	s_cbranch_execnz .LBB529_848
.LBB529_780:
	s_or_b32 exec_lo, exec_lo, s46
	v_mov_b32_e32 v7, s47
	s_and_saveexec_b32 s46, s25
.LBB529_781:
	v_lshrrev_b32_e32 v5, 24, v5
	s_delay_alu instid0(VALU_DEP_1)
	v_and_or_b32 v7, 0x80, v5, v6
.LBB529_782:
	s_or_b32 exec_lo, exec_lo, s46
.LBB529_783:
	s_delay_alu instid0(SALU_CYCLE_1)
	s_or_b32 exec_lo, exec_lo, s24
	s_mov_b32 s24, 0
	global_store_b8 v[0:1], v7, off
.LBB529_784:
	s_and_b32 vcc_lo, exec_lo, s24
	s_cbranch_vccz .LBB529_794
; %bb.785:
	v_cvt_f32_f16_e32 v5, v2
	s_mov_b32 s24, exec_lo
                                        ; implicit-def: $vgpr6
	s_delay_alu instid0(VALU_DEP_1) | instskip(NEXT) | instid1(VALU_DEP_1)
	v_and_b32_e32 v7, 0x7fffffff, v5
	v_cmpx_gt_u32_e32 0x43f00000, v7
	s_xor_b32 s24, exec_lo, s24
	s_cbranch_execz .LBB529_791
; %bb.786:
	s_mov_b32 s25, exec_lo
                                        ; implicit-def: $vgpr6
	v_cmpx_lt_u32_e32 0x3c7fffff, v7
	s_xor_b32 s25, exec_lo, s25
; %bb.787:
	v_bfe_u32 v6, v5, 20, 1
	s_delay_alu instid0(VALU_DEP_1) | instskip(NEXT) | instid1(VALU_DEP_1)
	v_add3_u32 v6, v5, v6, 0x407ffff
	v_and_b32_e32 v7, 0xff00000, v6
	v_lshrrev_b32_e32 v6, 20, v6
	s_delay_alu instid0(VALU_DEP_2) | instskip(NEXT) | instid1(VALU_DEP_2)
	v_cmp_ne_u32_e32 vcc_lo, 0x7f00000, v7
	v_cndmask_b32_e32 v6, 0x7e, v6, vcc_lo
; %bb.788:
	s_and_not1_saveexec_b32 s25, s25
; %bb.789:
	v_add_f32_e64 v6, 0x46800000, |v5|
; %bb.790:
	s_or_b32 exec_lo, exec_lo, s25
                                        ; implicit-def: $vgpr7
.LBB529_791:
	s_and_not1_saveexec_b32 s24, s24
; %bb.792:
	v_mov_b32_e32 v6, 0x7f
	v_cmp_lt_u32_e32 vcc_lo, 0x7f800000, v7
	s_delay_alu instid0(VALU_DEP_2)
	v_cndmask_b32_e32 v6, 0x7e, v6, vcc_lo
; %bb.793:
	s_or_b32 exec_lo, exec_lo, s24
	v_lshrrev_b32_e32 v5, 24, v5
	s_delay_alu instid0(VALU_DEP_1)
	v_and_or_b32 v5, 0x80, v5, v6
	global_store_b8 v[0:1], v5, off
.LBB529_794:
	s_mov_b32 s24, 0
.LBB529_795:
	s_delay_alu instid0(SALU_CYCLE_1)
	s_and_not1_b32 vcc_lo, exec_lo, s24
	s_cbranch_vccnz .LBB529_805
; %bb.796:
	v_cvt_f32_f16_e32 v5, v2
	s_mov_b32 s24, exec_lo
                                        ; implicit-def: $vgpr6
	s_delay_alu instid0(VALU_DEP_1) | instskip(NEXT) | instid1(VALU_DEP_1)
	v_and_b32_e32 v7, 0x7fffffff, v5
	v_cmpx_gt_u32_e32 0x47800000, v7
	s_xor_b32 s24, exec_lo, s24
	s_cbranch_execz .LBB529_802
; %bb.797:
	s_mov_b32 s25, exec_lo
                                        ; implicit-def: $vgpr6
	v_cmpx_lt_u32_e32 0x387fffff, v7
	s_xor_b32 s25, exec_lo, s25
; %bb.798:
	v_bfe_u32 v6, v5, 21, 1
	s_delay_alu instid0(VALU_DEP_1) | instskip(NEXT) | instid1(VALU_DEP_1)
	v_add3_u32 v6, v5, v6, 0x80fffff
	v_lshrrev_b32_e32 v6, 21, v6
; %bb.799:
	s_and_not1_saveexec_b32 s25, s25
; %bb.800:
	v_add_f32_e64 v6, 0x43000000, |v5|
; %bb.801:
	s_or_b32 exec_lo, exec_lo, s25
                                        ; implicit-def: $vgpr7
.LBB529_802:
	s_and_not1_saveexec_b32 s24, s24
; %bb.803:
	v_mov_b32_e32 v6, 0x7f
	v_cmp_lt_u32_e32 vcc_lo, 0x7f800000, v7
	s_delay_alu instid0(VALU_DEP_2)
	v_cndmask_b32_e32 v6, 0x7c, v6, vcc_lo
; %bb.804:
	s_or_b32 exec_lo, exec_lo, s24
	v_lshrrev_b32_e32 v5, 24, v5
	s_delay_alu instid0(VALU_DEP_1)
	v_and_or_b32 v5, 0x80, v5, v6
	global_store_b8 v[0:1], v5, off
.LBB529_805:
	s_mov_b32 s25, 0
	s_mov_b32 s24, -1
.LBB529_806:
	s_and_not1_b32 vcc_lo, exec_lo, s25
	s_cbranch_vccnz .LBB529_814
; %bb.807:
	v_cmp_lt_i16_e32 vcc_lo, 14, v3
	s_mov_b32 s25, -1
	s_cbranch_vccz .LBB529_811
; %bb.808:
	v_cmp_eq_u16_e32 vcc_lo, 15, v3
	s_mov_b32 s2, -1
	s_cbranch_vccz .LBB529_810
; %bb.809:
	v_cvt_f32_f16_e32 v5, v2
	v_cmp_o_f16_e32 vcc_lo, v2, v2
	s_mov_b32 s24, -1
	s_mov_b32 s2, 0
	s_delay_alu instid0(VALU_DEP_2) | instskip(NEXT) | instid1(VALU_DEP_1)
	v_bfe_u32 v6, v5, 16, 1
	v_add3_u32 v5, v5, v6, 0x7fff
	s_delay_alu instid0(VALU_DEP_1) | instskip(NEXT) | instid1(VALU_DEP_1)
	v_lshrrev_b32_e32 v5, 16, v5
	v_cndmask_b32_e32 v5, 0x7fc0, v5, vcc_lo
	global_store_b16 v[0:1], v5, off
.LBB529_810:
	s_mov_b32 s25, 0
.LBB529_811:
	s_delay_alu instid0(SALU_CYCLE_1)
	s_and_b32 vcc_lo, exec_lo, s25
	s_cbranch_vccz .LBB529_814
; %bb.812:
	v_cmp_eq_u16_e32 vcc_lo, 11, v3
	s_mov_b32 s2, -1
	s_cbranch_vccz .LBB529_814
; %bb.813:
	v_and_b32_e32 v5, 0x7fff, v2
	s_mov_b32 s2, 0
	s_mov_b32 s24, -1
	s_delay_alu instid0(VALU_DEP_1)
	v_cmp_ne_u16_e32 vcc_lo, 0, v5
	v_cndmask_b32_e64 v5, 0, 1, vcc_lo
	global_store_b8 v[0:1], v5, off
.LBB529_814:
.LBB529_815:
	s_and_not1_b32 vcc_lo, exec_lo, s24
	s_cbranch_vccnz .LBB529_740
.LBB529_816:
	v_add_nc_u32_e32 v4, 0x80, v4
	s_mov_b32 s46, -1
.LBB529_817:
	s_and_not1_b32 s24, s43, exec_lo
	s_and_b32 s2, s2, exec_lo
	s_and_not1_b32 s47, s42, exec_lo
	s_and_b32 s3, s3, exec_lo
	s_or_b32 s25, s24, s2
	s_or_b32 s24, s47, s3
	s_or_not1_b32 s47, s46, exec_lo
.LBB529_818:
	s_or_b32 exec_lo, exec_lo, s45
	s_mov_b32 s2, 0
	s_mov_b32 s3, 0
	;; [unrolled: 1-line block ×3, first 2 shown]
                                        ; implicit-def: $vgpr1_vgpr2
                                        ; implicit-def: $vgpr0
                                        ; implicit-def: $vgpr5
	s_and_saveexec_b32 s45, s47
	s_cbranch_execz .LBB529_916
; %bb.819:
	v_cmp_gt_i32_e32 vcc_lo, s36, v4
	s_mov_b32 s48, s24
	s_mov_b32 s47, 0
                                        ; implicit-def: $vgpr1_vgpr2
                                        ; implicit-def: $vgpr0
                                        ; implicit-def: $vgpr5
	s_and_saveexec_b32 s36, vcc_lo
	s_cbranch_execz .LBB529_915
; %bb.820:
	s_and_not1_b32 vcc_lo, exec_lo, s29
	s_cbranch_vccnz .LBB529_825
; %bb.821:
	v_dual_mov_b32 v0, 0 :: v_dual_mov_b32 v1, 0
	s_and_not1_b32 vcc_lo, exec_lo, s38
	s_mov_b32 s38, 0
	s_cbranch_vccnz .LBB529_830
; %bb.822:
	v_mov_b32_e32 v0, 0
	s_add_i32 s46, s37, 1
	s_cmp_eq_u32 s27, 2
	s_mov_b32 s37, 0
	s_cbranch_scc1 .LBB529_826
; %bb.823:
	v_dual_mov_b32 v1, 0 :: v_dual_mov_b32 v0, 0
	v_mov_b32_e32 v2, v4
	s_and_b32 s37, s46, 28
	s_mov_b64 s[2:3], s[16:17]
.LBB529_824:                            ; =>This Inner Loop Header: Depth=1
	s_clause 0x1
	s_load_b256 s[48:55], s[2:3], 0x4
	s_load_b128 s[64:67], s[2:3], 0x24
	s_load_b256 s[56:63], s[22:23], 0x0
	s_add_u32 s2, s2, 48
	s_addc_u32 s3, s3, 0
	s_add_i32 s47, s47, 4
	s_add_u32 s22, s22, 32
	s_addc_u32 s23, s23, 0
	s_cmp_eq_u32 s37, s47
	s_waitcnt vmcnt(0) lgkmcnt(0)
	v_mul_hi_u32 v3, s49, v2
	s_delay_alu instid0(VALU_DEP_1) | instskip(NEXT) | instid1(VALU_DEP_1)
	v_add_nc_u32_e32 v3, v2, v3
	v_lshrrev_b32_e32 v3, s50, v3
	s_delay_alu instid0(VALU_DEP_1) | instskip(SKIP_1) | instid1(VALU_DEP_2)
	v_mul_hi_u32 v5, s52, v3
	v_mul_lo_u32 v7, v3, s48
	v_add_nc_u32_e32 v5, v3, v5
	s_delay_alu instid0(VALU_DEP_2) | instskip(NEXT) | instid1(VALU_DEP_2)
	v_sub_nc_u32_e32 v2, v2, v7
	v_lshrrev_b32_e32 v5, s53, v5
	s_delay_alu instid0(VALU_DEP_2) | instskip(SKIP_1) | instid1(VALU_DEP_3)
	v_mul_lo_u32 v7, v2, s56
	v_mul_lo_u32 v9, v2, s57
	v_mul_hi_u32 v6, s55, v5
	s_delay_alu instid0(VALU_DEP_1) | instskip(NEXT) | instid1(VALU_DEP_1)
	v_add_nc_u32_e32 v6, v5, v6
	v_lshrrev_b32_e32 v6, s64, v6
	s_delay_alu instid0(VALU_DEP_1) | instskip(SKIP_1) | instid1(VALU_DEP_2)
	v_mul_hi_u32 v8, s66, v6
	v_mul_lo_u32 v10, v6, s54
	v_add_nc_u32_e32 v2, v6, v8
	v_mul_lo_u32 v8, v5, s51
	s_delay_alu instid0(VALU_DEP_3) | instskip(NEXT) | instid1(VALU_DEP_3)
	v_sub_nc_u32_e32 v5, v5, v10
	v_lshrrev_b32_e32 v2, s67, v2
	s_delay_alu instid0(VALU_DEP_2) | instskip(SKIP_2) | instid1(VALU_DEP_4)
	v_mul_lo_u32 v10, v5, s60
	v_mul_lo_u32 v5, v5, s61
	v_sub_nc_u32_e32 v3, v3, v8
	v_mul_lo_u32 v11, v2, s65
	s_delay_alu instid0(VALU_DEP_2) | instskip(SKIP_1) | instid1(VALU_DEP_3)
	v_mul_lo_u32 v8, v3, s58
	v_mul_lo_u32 v3, v3, s59
	v_sub_nc_u32_e32 v6, v6, v11
	s_delay_alu instid0(VALU_DEP_3) | instskip(NEXT) | instid1(VALU_DEP_2)
	v_add3_u32 v0, v7, v0, v8
	v_mul_lo_u32 v11, v6, s62
	v_mul_lo_u32 v6, v6, s63
	v_add3_u32 v1, v9, v1, v3
	s_delay_alu instid0(VALU_DEP_3) | instskip(NEXT) | instid1(VALU_DEP_2)
	v_add3_u32 v0, v10, v0, v11
	v_add3_u32 v1, v5, v1, v6
	s_cbranch_scc0 .LBB529_824
	s_branch .LBB529_827
.LBB529_825:
	s_mov_b32 s38, -1
                                        ; implicit-def: $vgpr0
                                        ; implicit-def: $vgpr1
	s_branch .LBB529_830
.LBB529_826:
	v_dual_mov_b32 v2, v4 :: v_dual_mov_b32 v1, 0
.LBB529_827:
	s_and_b32 s46, s46, 3
	s_delay_alu instid0(SALU_CYCLE_1)
	s_cmp_eq_u32 s46, 0
	s_cbranch_scc1 .LBB529_830
; %bb.828:
	s_lshl_b32 s2, s37, 3
	s_mul_i32 s22, s37, 12
	s_add_u32 s2, s2, s16
	s_addc_u32 s3, s17, 0
	s_add_u32 s2, s2, 0xc4
	s_addc_u32 s3, s3, 0
	;; [unrolled: 2-line block ×3, first 2 shown]
.LBB529_829:                            ; =>This Inner Loop Header: Depth=1
	s_clause 0x1
	s_load_b64 s[48:49], s[22:23], 0x4
	s_load_b32 s37, s[22:23], 0xc
	s_load_b64 s[50:51], s[2:3], 0x0
	s_add_u32 s22, s22, 12
	s_addc_u32 s23, s23, 0
	s_add_u32 s2, s2, 8
	s_addc_u32 s3, s3, 0
	s_add_i32 s46, s46, -1
	s_delay_alu instid0(SALU_CYCLE_1) | instskip(SKIP_2) | instid1(VALU_DEP_1)
	s_cmp_lg_u32 s46, 0
	s_waitcnt vmcnt(0) lgkmcnt(0)
	v_mul_hi_u32 v3, s49, v2
	v_add_nc_u32_e32 v3, v2, v3
	s_delay_alu instid0(VALU_DEP_1) | instskip(NEXT) | instid1(VALU_DEP_1)
	v_lshrrev_b32_e32 v3, s37, v3
	v_mul_lo_u32 v5, v3, s48
	s_delay_alu instid0(VALU_DEP_1) | instskip(NEXT) | instid1(VALU_DEP_1)
	v_sub_nc_u32_e32 v2, v2, v5
	v_mad_u64_u32 v[5:6], null, v2, s50, v[0:1]
	v_mad_u64_u32 v[6:7], null, v2, s51, v[1:2]
	v_mov_b32_e32 v2, v3
	s_delay_alu instid0(VALU_DEP_2)
	v_dual_mov_b32 v0, v5 :: v_dual_mov_b32 v1, v6
	s_cbranch_scc1 .LBB529_829
.LBB529_830:
	s_and_not1_b32 vcc_lo, exec_lo, s38
	s_cbranch_vccnz .LBB529_833
; %bb.831:
	v_mul_hi_u32 v0, s9, v4
	s_and_not1_b32 vcc_lo, exec_lo, s35
	s_delay_alu instid0(VALU_DEP_1) | instskip(NEXT) | instid1(VALU_DEP_1)
	v_add_nc_u32_e32 v0, v4, v0
	v_lshrrev_b32_e32 v2, s10, v0
	s_delay_alu instid0(VALU_DEP_1) | instskip(NEXT) | instid1(VALU_DEP_1)
	v_mul_lo_u32 v0, v2, s8
	v_sub_nc_u32_e32 v1, v4, v0
	s_delay_alu instid0(VALU_DEP_1)
	v_mul_lo_u32 v0, v1, s12
	v_mul_lo_u32 v1, v1, s13
	s_cbranch_vccnz .LBB529_833
; %bb.832:
	s_waitcnt vmcnt(0)
	v_mul_hi_u32 v3, s20, v2
	s_delay_alu instid0(VALU_DEP_1) | instskip(NEXT) | instid1(VALU_DEP_1)
	v_add_nc_u32_e32 v3, v2, v3
	v_lshrrev_b32_e32 v3, s21, v3
	s_delay_alu instid0(VALU_DEP_1) | instskip(NEXT) | instid1(VALU_DEP_1)
	v_mul_lo_u32 v3, v3, s11
	v_sub_nc_u32_e32 v5, v2, v3
	s_delay_alu instid0(VALU_DEP_1) | instskip(NEXT) | instid1(VALU_DEP_1)
	v_mad_u64_u32 v[2:3], null, v5, s14, v[0:1]
	v_mad_u64_u32 v[3:4], null, v5, s15, v[1:2]
	s_delay_alu instid0(VALU_DEP_1)
	v_dual_mov_b32 v0, v2 :: v_dual_mov_b32 v1, v3
.LBB529_833:
	v_cmp_lt_i16_e64 s2, s34, 11
	s_delay_alu instid0(VALU_DEP_2) | instskip(NEXT) | instid1(VALU_DEP_1)
	v_add_co_u32 v1, s3, s6, v1
	v_add_co_ci_u32_e64 v2, null, s7, 0, s3
	s_delay_alu instid0(VALU_DEP_3)
	s_and_b32 vcc_lo, exec_lo, s2
	s_mov_b32 s6, 0
	s_cbranch_vccnz .LBB529_840
; %bb.834:
	v_cmp_gt_i16_e64 s2, s34, 25
	s_mov_b32 s3, 0
	s_delay_alu instid0(VALU_DEP_1)
	s_and_b32 vcc_lo, exec_lo, s2
	s_cbranch_vccz .LBB529_841
; %bb.835:
	v_cmp_gt_i16_e64 s2, s34, 28
	s_delay_alu instid0(VALU_DEP_1)
	s_and_b32 vcc_lo, exec_lo, s2
	s_cbranch_vccz .LBB529_842
; %bb.836:
	v_cmp_gt_i16_e64 s2, s34, 43
	;; [unrolled: 5-line block ×3, first 2 shown]
	s_delay_alu instid0(VALU_DEP_1)
	s_and_b32 vcc_lo, exec_lo, s2
	s_cbranch_vccz .LBB529_846
; %bb.838:
	v_cmp_eq_u16_e64 s2, s34, 46
	s_mov_b32 s7, 0
	s_delay_alu instid0(VALU_DEP_1)
	s_and_b32 vcc_lo, exec_lo, s2
	s_cbranch_vccz .LBB529_849
; %bb.839:
	global_load_b32 v3, v[1:2], off
	s_mov_b32 s2, 0
	s_mov_b32 s6, -1
	s_waitcnt vmcnt(0)
	v_lshlrev_b32_e32 v3, 16, v3
	s_delay_alu instid0(VALU_DEP_1)
	v_cvt_f16_f32_e32 v5, v3
	s_branch .LBB529_851
.LBB529_840:
	s_mov_b32 s7, -1
	s_mov_b32 s3, 0
	s_mov_b32 s2, s24
                                        ; implicit-def: $vgpr5
	s_branch .LBB529_914
.LBB529_841:
	s_mov_b32 s7, -1
	s_mov_b32 s2, s24
                                        ; implicit-def: $vgpr5
	s_branch .LBB529_880
.LBB529_842:
	s_mov_b32 s7, -1
	s_mov_b32 s2, s24
                                        ; implicit-def: $vgpr5
	s_branch .LBB529_861
.LBB529_843:
	s_mov_b32 s7, -1
	s_mov_b32 s2, s24
                                        ; implicit-def: $vgpr5
	s_branch .LBB529_856
.LBB529_844:
	s_or_saveexec_b32 s46, s46
                                        ; implicit-def: $sgpr47
	s_delay_alu instid0(SALU_CYCLE_1)
	s_xor_b32 exec_lo, exec_lo, s46
	s_cbranch_execz .LBB529_767
.LBB529_845:
	v_add_f32_e64 v6, 0x46000000, |v5|
	s_and_not1_b32 s25, s25, exec_lo
	s_mov_b32 s47, 0
	s_delay_alu instid0(VALU_DEP_1) | instskip(NEXT) | instid1(VALU_DEP_1)
	v_and_b32_e32 v6, 0xff, v6
	v_cmp_ne_u32_e32 vcc_lo, 0, v6
	s_and_b32 s48, vcc_lo, exec_lo
	s_delay_alu instid0(SALU_CYCLE_1)
	s_or_b32 s25, s25, s48
	s_or_b32 exec_lo, exec_lo, s46
	v_mov_b32_e32 v7, s47
	s_and_saveexec_b32 s46, s25
	s_cbranch_execnz .LBB529_768
	s_branch .LBB529_769
.LBB529_846:
	s_mov_b32 s7, -1
	s_mov_b32 s2, s24
	s_branch .LBB529_850
.LBB529_847:
	s_or_saveexec_b32 s46, s46
                                        ; implicit-def: $sgpr47
	s_delay_alu instid0(SALU_CYCLE_1)
	s_xor_b32 exec_lo, exec_lo, s46
	s_cbranch_execz .LBB529_780
.LBB529_848:
	v_add_f32_e64 v6, 0x42800000, |v5|
	s_and_not1_b32 s25, s25, exec_lo
	s_mov_b32 s47, 0
	s_delay_alu instid0(VALU_DEP_1) | instskip(NEXT) | instid1(VALU_DEP_1)
	v_and_b32_e32 v6, 0xff, v6
	v_cmp_ne_u32_e32 vcc_lo, 0, v6
	s_and_b32 s48, vcc_lo, exec_lo
	s_delay_alu instid0(SALU_CYCLE_1)
	s_or_b32 s25, s25, s48
	s_or_b32 exec_lo, exec_lo, s46
	v_mov_b32_e32 v7, s47
	s_and_saveexec_b32 s46, s25
	s_cbranch_execnz .LBB529_781
	s_branch .LBB529_782
.LBB529_849:
	s_mov_b32 s2, -1
.LBB529_850:
                                        ; implicit-def: $vgpr5
.LBB529_851:
	s_and_b32 vcc_lo, exec_lo, s7
	s_cbranch_vccz .LBB529_855
; %bb.852:
	v_cmp_eq_u16_e64 s2, s34, 44
	s_delay_alu instid0(VALU_DEP_1)
	s_and_b32 vcc_lo, exec_lo, s2
	s_cbranch_vccz .LBB529_854
; %bb.853:
	global_load_u8 v3, v[1:2], off
	s_mov_b32 s2, 0
	s_mov_b32 s6, -1
	s_waitcnt vmcnt(0)
	v_lshlrev_b32_e32 v4, 23, v3
	v_cmp_ne_u32_e32 vcc_lo, 0xff, v3
	s_delay_alu instid0(VALU_DEP_2) | instskip(NEXT) | instid1(VALU_DEP_1)
	v_cvt_f16_f32_e32 v4, v4
	v_cndmask_b32_e32 v4, 0x7e00, v4, vcc_lo
	v_cmp_ne_u32_e32 vcc_lo, 0, v3
	s_delay_alu instid0(VALU_DEP_2)
	v_cndmask_b32_e32 v5, 0, v4, vcc_lo
	s_branch .LBB529_855
.LBB529_854:
	s_mov_b32 s2, -1
                                        ; implicit-def: $vgpr5
.LBB529_855:
	s_mov_b32 s7, 0
.LBB529_856:
	s_delay_alu instid0(SALU_CYCLE_1)
	s_and_b32 vcc_lo, exec_lo, s7
	s_cbranch_vccz .LBB529_860
; %bb.857:
	v_cmp_eq_u16_e64 s2, s34, 29
	s_delay_alu instid0(VALU_DEP_1)
	s_and_b32 vcc_lo, exec_lo, s2
	s_cbranch_vccz .LBB529_859
; %bb.858:
	global_load_b64 v[3:4], v[1:2], off
	s_mov_b32 s2, 0
	s_mov_b32 s6, -1
	s_mov_b32 s7, 0
	s_waitcnt vmcnt(0)
	v_clz_i32_u32_e32 v5, v4
	s_delay_alu instid0(VALU_DEP_1) | instskip(NEXT) | instid1(VALU_DEP_1)
	v_min_u32_e32 v5, 32, v5
	v_lshlrev_b64 v[3:4], v5, v[3:4]
	s_delay_alu instid0(VALU_DEP_1) | instskip(NEXT) | instid1(VALU_DEP_1)
	v_min_u32_e32 v3, 1, v3
	v_or_b32_e32 v3, v4, v3
	v_sub_nc_u32_e32 v4, 32, v5
	s_delay_alu instid0(VALU_DEP_2) | instskip(NEXT) | instid1(VALU_DEP_1)
	v_cvt_f32_u32_e32 v3, v3
	v_ldexp_f32 v3, v3, v4
	s_delay_alu instid0(VALU_DEP_1)
	v_cvt_f16_f32_e32 v5, v3
	s_branch .LBB529_861
.LBB529_859:
	s_mov_b32 s2, -1
                                        ; implicit-def: $vgpr5
.LBB529_860:
	s_mov_b32 s7, 0
.LBB529_861:
	s_delay_alu instid0(SALU_CYCLE_1)
	s_and_b32 vcc_lo, exec_lo, s7
	s_cbranch_vccz .LBB529_879
; %bb.862:
	v_cmp_lt_i16_e64 s6, s34, 27
	s_delay_alu instid0(VALU_DEP_1)
	s_and_b32 vcc_lo, exec_lo, s6
	s_cbranch_vccnz .LBB529_865
; %bb.863:
	v_cmp_gt_i16_e64 s6, s34, 27
	s_delay_alu instid0(VALU_DEP_1)
	s_and_b32 vcc_lo, exec_lo, s6
	s_cbranch_vccz .LBB529_866
; %bb.864:
	global_load_b32 v3, v[1:2], off
	s_mov_b32 s6, 0
	s_waitcnt vmcnt(0)
	v_cvt_f32_u32_e32 v3, v3
	s_delay_alu instid0(VALU_DEP_1)
	v_cvt_f16_f32_e32 v5, v3
	s_branch .LBB529_867
.LBB529_865:
	s_mov_b32 s6, -1
                                        ; implicit-def: $vgpr5
	s_branch .LBB529_870
.LBB529_866:
	s_mov_b32 s6, -1
                                        ; implicit-def: $vgpr5
.LBB529_867:
	s_delay_alu instid0(SALU_CYCLE_1)
	s_and_not1_b32 vcc_lo, exec_lo, s6
	s_cbranch_vccnz .LBB529_869
; %bb.868:
	global_load_u16 v3, v[1:2], off
	s_waitcnt vmcnt(0)
	v_cvt_f16_u16_e32 v5, v3
.LBB529_869:
	s_mov_b32 s6, 0
.LBB529_870:
	s_delay_alu instid0(SALU_CYCLE_1)
	s_and_not1_b32 vcc_lo, exec_lo, s6
	s_cbranch_vccnz .LBB529_878
; %bb.871:
	global_load_u8 v3, v[1:2], off
	s_mov_b32 s6, 0
	s_mov_b32 s8, exec_lo
                                        ; implicit-def: $sgpr7
	s_waitcnt vmcnt(0)
	v_cmpx_lt_i16_e32 0x7f, v3
	s_xor_b32 s8, exec_lo, s8
	s_cbranch_execz .LBB529_892
; %bb.872:
	s_mov_b32 s6, -1
	s_mov_b32 s9, exec_lo
                                        ; implicit-def: $sgpr7
	v_cmpx_eq_u16_e32 0x80, v3
; %bb.873:
	s_movk_i32 s7, 0x7e00
	s_xor_b32 s6, exec_lo, -1
; %bb.874:
	s_or_b32 exec_lo, exec_lo, s9
	s_delay_alu instid0(SALU_CYCLE_1)
	s_and_b32 s6, s6, exec_lo
	s_or_saveexec_b32 s8, s8
	v_mov_b32_e32 v5, s7
	s_xor_b32 exec_lo, exec_lo, s8
	s_cbranch_execnz .LBB529_893
.LBB529_875:
	s_or_b32 exec_lo, exec_lo, s8
	s_and_saveexec_b32 s7, s6
	s_cbranch_execz .LBB529_877
.LBB529_876:
	v_and_b32_e32 v4, 0xffff, v3
	v_lshlrev_b32_e32 v3, 24, v3
	s_delay_alu instid0(VALU_DEP_2) | instskip(NEXT) | instid1(VALU_DEP_2)
	v_and_b32_e32 v5, 7, v4
	v_and_b32_e32 v3, 0x80000000, v3
	s_delay_alu instid0(VALU_DEP_2) | instskip(NEXT) | instid1(VALU_DEP_1)
	v_clz_i32_u32_e32 v6, v5
	v_min_u32_e32 v6, 32, v6
	s_delay_alu instid0(VALU_DEP_1) | instskip(SKIP_1) | instid1(VALU_DEP_2)
	v_subrev_nc_u32_e32 v7, 28, v6
	v_sub_nc_u32_e32 v6, 29, v6
	v_lshlrev_b32_e32 v7, v7, v4
	v_bfe_u32 v4, v4, 3, 4
	s_delay_alu instid0(VALU_DEP_2) | instskip(NEXT) | instid1(VALU_DEP_2)
	v_and_b32_e32 v7, 7, v7
	v_cmp_eq_u32_e32 vcc_lo, 0, v4
	s_delay_alu instid0(VALU_DEP_2) | instskip(NEXT) | instid1(VALU_DEP_1)
	v_dual_cndmask_b32 v4, v4, v6 :: v_dual_cndmask_b32 v5, v5, v7
	v_lshl_add_u32 v4, v4, 23, 0x3b800000
	s_delay_alu instid0(VALU_DEP_2) | instskip(NEXT) | instid1(VALU_DEP_1)
	v_lshlrev_b32_e32 v5, 20, v5
	v_or3_b32 v3, v3, v4, v5
	s_delay_alu instid0(VALU_DEP_1)
	v_cvt_f16_f32_e32 v5, v3
.LBB529_877:
	s_or_b32 exec_lo, exec_lo, s7
.LBB529_878:
	s_mov_b32 s6, -1
.LBB529_879:
	s_mov_b32 s7, 0
.LBB529_880:
	s_delay_alu instid0(SALU_CYCLE_1)
	s_and_b32 vcc_lo, exec_lo, s7
	s_cbranch_vccz .LBB529_913
; %bb.881:
	v_cmp_gt_i16_e64 s3, s34, 22
	s_delay_alu instid0(VALU_DEP_1)
	s_and_b32 vcc_lo, exec_lo, s3
	s_cbranch_vccz .LBB529_891
; %bb.882:
	v_cmp_lt_i16_e64 s3, s34, 24
	s_delay_alu instid0(VALU_DEP_1)
	s_and_b32 vcc_lo, exec_lo, s3
	s_cbranch_vccnz .LBB529_894
; %bb.883:
	v_cmp_gt_i16_e64 s3, s34, 24
	s_delay_alu instid0(VALU_DEP_1)
	s_and_b32 vcc_lo, exec_lo, s3
	s_cbranch_vccz .LBB529_895
; %bb.884:
	global_load_u8 v3, v[1:2], off
	s_mov_b32 s3, 0
	s_mov_b32 s7, exec_lo
                                        ; implicit-def: $sgpr6
	s_waitcnt vmcnt(0)
	v_cmpx_lt_i16_e32 0x7f, v3
	s_xor_b32 s7, exec_lo, s7
	s_cbranch_execz .LBB529_907
; %bb.885:
	s_mov_b32 s3, -1
	s_mov_b32 s8, exec_lo
                                        ; implicit-def: $sgpr6
	v_cmpx_eq_u16_e32 0x80, v3
; %bb.886:
	s_movk_i32 s6, 0x7e00
	s_xor_b32 s3, exec_lo, -1
; %bb.887:
	s_or_b32 exec_lo, exec_lo, s8
	s_delay_alu instid0(SALU_CYCLE_1)
	s_and_b32 s3, s3, exec_lo
	s_or_saveexec_b32 s7, s7
	v_mov_b32_e32 v5, s6
	s_xor_b32 exec_lo, exec_lo, s7
	s_cbranch_execnz .LBB529_908
.LBB529_888:
	s_or_b32 exec_lo, exec_lo, s7
	s_and_saveexec_b32 s6, s3
	s_cbranch_execz .LBB529_890
.LBB529_889:
	v_and_b32_e32 v4, 0xffff, v3
	v_lshlrev_b32_e32 v3, 24, v3
	s_delay_alu instid0(VALU_DEP_2) | instskip(NEXT) | instid1(VALU_DEP_2)
	v_and_b32_e32 v5, 3, v4
	v_and_b32_e32 v3, 0x80000000, v3
	s_delay_alu instid0(VALU_DEP_2) | instskip(NEXT) | instid1(VALU_DEP_1)
	v_clz_i32_u32_e32 v6, v5
	v_min_u32_e32 v6, 32, v6
	s_delay_alu instid0(VALU_DEP_1) | instskip(SKIP_1) | instid1(VALU_DEP_2)
	v_subrev_nc_u32_e32 v7, 29, v6
	v_sub_nc_u32_e32 v6, 30, v6
	v_lshlrev_b32_e32 v7, v7, v4
	v_bfe_u32 v4, v4, 2, 5
	s_delay_alu instid0(VALU_DEP_2) | instskip(NEXT) | instid1(VALU_DEP_2)
	v_and_b32_e32 v7, 3, v7
	v_cmp_eq_u32_e32 vcc_lo, 0, v4
	s_delay_alu instid0(VALU_DEP_2) | instskip(NEXT) | instid1(VALU_DEP_1)
	v_dual_cndmask_b32 v4, v4, v6 :: v_dual_cndmask_b32 v5, v5, v7
	v_lshl_add_u32 v4, v4, 23, 0x37800000
	s_delay_alu instid0(VALU_DEP_2) | instskip(NEXT) | instid1(VALU_DEP_1)
	v_lshlrev_b32_e32 v5, 21, v5
	v_or3_b32 v3, v3, v4, v5
	s_delay_alu instid0(VALU_DEP_1)
	v_cvt_f16_f32_e32 v5, v3
.LBB529_890:
	s_or_b32 exec_lo, exec_lo, s6
	s_mov_b32 s3, 0
	s_branch .LBB529_896
.LBB529_891:
	s_mov_b32 s3, -1
                                        ; implicit-def: $vgpr5
	s_branch .LBB529_902
.LBB529_892:
	s_or_saveexec_b32 s8, s8
	v_mov_b32_e32 v5, s7
	s_xor_b32 exec_lo, exec_lo, s8
	s_cbranch_execz .LBB529_875
.LBB529_893:
	v_cmp_ne_u16_e32 vcc_lo, 0, v3
	v_mov_b32_e32 v5, v3
	s_and_not1_b32 s6, s6, exec_lo
	s_and_b32 s7, vcc_lo, exec_lo
	s_delay_alu instid0(SALU_CYCLE_1)
	s_or_b32 s6, s6, s7
	s_or_b32 exec_lo, exec_lo, s8
	s_and_saveexec_b32 s7, s6
	s_cbranch_execnz .LBB529_876
	s_branch .LBB529_877
.LBB529_894:
	s_mov_b32 s3, -1
                                        ; implicit-def: $vgpr5
	s_branch .LBB529_899
.LBB529_895:
	s_mov_b32 s3, -1
                                        ; implicit-def: $vgpr5
.LBB529_896:
	s_delay_alu instid0(SALU_CYCLE_1)
	s_and_b32 vcc_lo, exec_lo, s3
	s_cbranch_vccz .LBB529_898
; %bb.897:
	global_load_u8 v3, v[1:2], off
	s_waitcnt vmcnt(0)
	v_lshlrev_b32_e32 v3, 24, v3
	s_delay_alu instid0(VALU_DEP_1) | instskip(NEXT) | instid1(VALU_DEP_1)
	v_and_b32_e32 v4, 0x7f000000, v3
	v_clz_i32_u32_e32 v5, v4
	v_add_nc_u32_e32 v7, 0x1000000, v4
	v_cmp_ne_u32_e32 vcc_lo, 0, v4
	s_delay_alu instid0(VALU_DEP_3) | instskip(NEXT) | instid1(VALU_DEP_1)
	v_min_u32_e32 v5, 32, v5
	v_sub_nc_u32_e64 v5, v5, 4 clamp
	s_delay_alu instid0(VALU_DEP_1) | instskip(SKIP_1) | instid1(VALU_DEP_2)
	v_lshlrev_b32_e32 v6, v5, v4
	v_lshlrev_b32_e32 v5, 23, v5
	v_lshrrev_b32_e32 v6, 4, v6
	s_delay_alu instid0(VALU_DEP_1) | instskip(SKIP_1) | instid1(VALU_DEP_2)
	v_sub_nc_u32_e32 v5, v6, v5
	v_ashrrev_i32_e32 v6, 8, v7
	v_add_nc_u32_e32 v5, 0x3c000000, v5
	s_delay_alu instid0(VALU_DEP_1) | instskip(NEXT) | instid1(VALU_DEP_1)
	v_and_or_b32 v5, 0x7f800000, v6, v5
	v_cndmask_b32_e32 v4, 0, v5, vcc_lo
	s_delay_alu instid0(VALU_DEP_1) | instskip(NEXT) | instid1(VALU_DEP_1)
	v_and_or_b32 v3, 0x80000000, v3, v4
	v_cvt_f16_f32_e32 v5, v3
.LBB529_898:
	s_mov_b32 s3, 0
.LBB529_899:
	s_delay_alu instid0(SALU_CYCLE_1)
	s_and_not1_b32 vcc_lo, exec_lo, s3
	s_cbranch_vccnz .LBB529_901
; %bb.900:
	global_load_u8 v3, v[1:2], off
	s_waitcnt vmcnt(0)
	v_lshlrev_b32_e32 v4, 25, v3
	v_lshlrev_b16 v3, 8, v3
	s_delay_alu instid0(VALU_DEP_2) | instskip(NEXT) | instid1(VALU_DEP_2)
	v_lshrrev_b32_e32 v5, 4, v4
	v_and_or_b32 v6, 0x7f00, v3, 0.5
	v_bfe_i32 v3, v3, 0, 16
	s_delay_alu instid0(VALU_DEP_3) | instskip(NEXT) | instid1(VALU_DEP_1)
	v_or_b32_e32 v5, 0x70000000, v5
	v_dual_add_f32 v6, -0.5, v6 :: v_dual_mul_f32 v5, 0x7800000, v5
	v_cmp_gt_u32_e32 vcc_lo, 0x8000000, v4
	s_delay_alu instid0(VALU_DEP_2) | instskip(NEXT) | instid1(VALU_DEP_1)
	v_cndmask_b32_e32 v4, v5, v6, vcc_lo
	v_and_or_b32 v3, 0x80000000, v3, v4
	s_delay_alu instid0(VALU_DEP_1)
	v_cvt_f16_f32_e32 v5, v3
.LBB529_901:
	s_mov_b32 s3, 0
	s_mov_b32 s6, -1
.LBB529_902:
	s_and_not1_b32 vcc_lo, exec_lo, s3
	s_mov_b32 s3, 0
	s_cbranch_vccnz .LBB529_913
; %bb.903:
	v_cmp_gt_i16_e64 s3, s34, 14
	s_delay_alu instid0(VALU_DEP_1)
	s_and_b32 vcc_lo, exec_lo, s3
	s_cbranch_vccz .LBB529_906
; %bb.904:
	v_cmp_eq_u16_e64 s2, s34, 15
	s_delay_alu instid0(VALU_DEP_1)
	s_and_b32 vcc_lo, exec_lo, s2
	s_cbranch_vccz .LBB529_909
; %bb.905:
	global_load_u16 v3, v[1:2], off
	s_mov_b32 s2, 0
	s_mov_b32 s6, -1
	s_waitcnt vmcnt(0)
	v_lshlrev_b32_e32 v3, 16, v3
	s_delay_alu instid0(VALU_DEP_1)
	v_cvt_f16_f32_e32 v5, v3
	s_branch .LBB529_910
.LBB529_906:
	s_mov_b32 s3, -1
                                        ; implicit-def: $vgpr5
	s_branch .LBB529_911
.LBB529_907:
	s_or_saveexec_b32 s7, s7
	v_mov_b32_e32 v5, s6
	s_xor_b32 exec_lo, exec_lo, s7
	s_cbranch_execz .LBB529_888
.LBB529_908:
	v_cmp_ne_u16_e32 vcc_lo, 0, v3
	v_mov_b32_e32 v5, v3
	s_and_not1_b32 s3, s3, exec_lo
	s_and_b32 s6, vcc_lo, exec_lo
	s_delay_alu instid0(SALU_CYCLE_1)
	s_or_b32 s3, s3, s6
	s_or_b32 exec_lo, exec_lo, s7
	s_and_saveexec_b32 s6, s3
	s_cbranch_execnz .LBB529_889
	s_branch .LBB529_890
.LBB529_909:
	s_mov_b32 s2, -1
                                        ; implicit-def: $vgpr5
.LBB529_910:
	s_mov_b32 s3, 0
.LBB529_911:
	s_delay_alu instid0(SALU_CYCLE_1)
	s_and_b32 vcc_lo, exec_lo, s3
	s_mov_b32 s3, 0
	s_cbranch_vccz .LBB529_913
; %bb.912:
	v_cmp_ne_u16_e64 s3, s34, 11
	s_and_not1_b32 s2, s2, exec_lo
                                        ; implicit-def: $vgpr5
	s_delay_alu instid0(VALU_DEP_1)
	s_and_b32 s7, s3, exec_lo
	s_mov_b32 s3, -1
	s_or_b32 s2, s2, s7
.LBB529_913:
	s_mov_b32 s7, 0
.LBB529_914:
	s_and_b32 s46, s6, exec_lo
	s_and_b32 s47, s7, exec_lo
	s_and_not1_b32 s6, s24, exec_lo
	s_and_b32 s7, s2, exec_lo
	s_and_b32 s2, s3, exec_lo
	s_or_b32 s48, s6, s7
.LBB529_915:
	s_or_b32 exec_lo, exec_lo, s36
	s_delay_alu instid0(SALU_CYCLE_1)
	s_and_not1_b32 s6, s24, exec_lo
	s_and_b32 s7, s48, exec_lo
	s_and_b32 s46, s46, exec_lo
	;; [unrolled: 1-line block ×4, first 2 shown]
	s_or_b32 s24, s6, s7
.LBB529_916:
	s_or_b32 exec_lo, exec_lo, s45
	s_delay_alu instid0(SALU_CYCLE_1)
	s_and_not1_b32 s6, s43, exec_lo
	s_and_b32 s7, s25, exec_lo
	s_and_b32 s45, s46, exec_lo
	s_or_b32 s43, s6, s7
	s_and_not1_b32 s6, s42, exec_lo
	s_and_b32 s7, s24, exec_lo
	s_and_b32 s25, s3, exec_lo
	;; [unrolled: 1-line block ×3, first 2 shown]
	s_or_b32 s42, s6, s7
.LBB529_917:
	s_or_b32 exec_lo, exec_lo, s44
	s_delay_alu instid0(SALU_CYCLE_1)
	s_and_not1_b32 s2, s39, exec_lo
	s_and_b32 s6, s43, exec_lo
	s_and_b32 s7, s42, exec_lo
	s_or_b32 s39, s2, s6
	s_and_not1_b32 s6, s40, exec_lo
	s_and_b32 s2, s45, exec_lo
	s_and_b32 s24, s25, exec_lo
	;; [unrolled: 1-line block ×3, first 2 shown]
	s_or_b32 s40, s6, s7
.LBB529_918:
	s_or_b32 exec_lo, exec_lo, s41
	s_mov_b32 s3, 0
	s_and_saveexec_b32 s6, s40
	s_cbranch_execnz .LBB529_930
; %bb.919:
	s_or_b32 exec_lo, exec_lo, s6
	s_and_saveexec_b32 s6, s42
	s_delay_alu instid0(SALU_CYCLE_1)
	s_xor_b32 s6, exec_lo, s6
	s_cbranch_execz .LBB529_921
.LBB529_920:
	global_load_u8 v3, v[1:2], off
	s_or_b32 s2, s2, exec_lo
	s_waitcnt vmcnt(0)
	v_cmp_ne_u16_e32 vcc_lo, 0, v3
	v_cndmask_b32_e64 v5, 0, 0x3c00, vcc_lo
.LBB529_921:
	s_or_b32 exec_lo, exec_lo, s6
	s_and_saveexec_b32 s6, s24
	s_cbranch_execz .LBB529_969
; %bb.922:
	v_cmp_lt_i16_e64 s7, s34, 5
	s_delay_alu instid0(VALU_DEP_1)
	s_and_b32 vcc_lo, exec_lo, s7
	s_cbranch_vccnz .LBB529_927
; %bb.923:
	v_cmp_lt_i16_e64 s7, s34, 8
	s_delay_alu instid0(VALU_DEP_1)
	s_and_b32 vcc_lo, exec_lo, s7
	s_cbranch_vccnz .LBB529_928
	;; [unrolled: 5-line block ×3, first 2 shown]
; %bb.925:
	v_cmp_gt_i16_e64 s7, s34, 9
	s_delay_alu instid0(VALU_DEP_1)
	s_and_b32 vcc_lo, exec_lo, s7
	s_cbranch_vccz .LBB529_932
; %bb.926:
	global_load_b64 v[3:4], v[1:2], off
	s_mov_b32 s7, 0
	s_waitcnt vmcnt(0)
	v_cvt_f32_f64_e32 v3, v[3:4]
	s_delay_alu instid0(VALU_DEP_1)
	v_cvt_f16_f32_e32 v5, v3
	s_branch .LBB529_933
.LBB529_927:
                                        ; implicit-def: $vgpr5
	s_branch .LBB529_950
.LBB529_928:
                                        ; implicit-def: $vgpr5
	s_branch .LBB529_939
.LBB529_929:
	s_mov_b32 s7, -1
                                        ; implicit-def: $vgpr5
	s_branch .LBB529_936
.LBB529_930:
	s_cbranch_execnz .LBB529_1204
; %bb.931:
	s_mov_b32 s3, exec_lo
	s_and_not1_b32 s42, s42, exec_lo
                                        ; implicit-def: $vgpr5
	s_or_b32 exec_lo, exec_lo, s6
	s_and_saveexec_b32 s6, s42
	s_delay_alu instid0(SALU_CYCLE_1)
	s_xor_b32 s6, exec_lo, s6
	s_cbranch_execnz .LBB529_920
	s_branch .LBB529_921
.LBB529_932:
	s_mov_b32 s7, -1
                                        ; implicit-def: $vgpr5
.LBB529_933:
	s_delay_alu instid0(SALU_CYCLE_1)
	s_and_not1_b32 vcc_lo, exec_lo, s7
	s_cbranch_vccnz .LBB529_935
; %bb.934:
	global_load_b32 v3, v[1:2], off
	s_waitcnt vmcnt(0)
	v_cvt_f16_f32_e32 v5, v3
.LBB529_935:
	s_mov_b32 s7, 0
.LBB529_936:
	s_delay_alu instid0(SALU_CYCLE_1)
	s_and_not1_b32 vcc_lo, exec_lo, s7
	s_cbranch_vccnz .LBB529_938
; %bb.937:
	global_load_b32 v5, v[1:2], off
.LBB529_938:
	s_cbranch_execnz .LBB529_949
.LBB529_939:
	v_cmp_lt_i16_e64 s7, s34, 6
	s_delay_alu instid0(VALU_DEP_1)
	s_and_b32 vcc_lo, exec_lo, s7
	s_cbranch_vccnz .LBB529_942
; %bb.940:
	v_cmp_gt_i16_e64 s7, s34, 6
	s_delay_alu instid0(VALU_DEP_1)
	s_and_b32 vcc_lo, exec_lo, s7
	s_cbranch_vccz .LBB529_943
; %bb.941:
	global_load_b64 v[3:4], v[1:2], off
	s_mov_b32 s7, 0
	s_waitcnt vmcnt(0)
	v_cvt_f32_f64_e32 v3, v[3:4]
	s_delay_alu instid0(VALU_DEP_1)
	v_cvt_f16_f32_e32 v5, v3
	s_branch .LBB529_944
.LBB529_942:
	s_mov_b32 s7, -1
                                        ; implicit-def: $vgpr5
	s_branch .LBB529_947
.LBB529_943:
	s_mov_b32 s7, -1
                                        ; implicit-def: $vgpr5
.LBB529_944:
	s_delay_alu instid0(SALU_CYCLE_1)
	s_and_not1_b32 vcc_lo, exec_lo, s7
	s_cbranch_vccnz .LBB529_946
; %bb.945:
	global_load_b32 v3, v[1:2], off
	s_waitcnt vmcnt(0)
	v_cvt_f16_f32_e32 v5, v3
.LBB529_946:
	s_mov_b32 s7, 0
.LBB529_947:
	s_delay_alu instid0(SALU_CYCLE_1)
	s_and_not1_b32 vcc_lo, exec_lo, s7
	s_cbranch_vccnz .LBB529_949
; %bb.948:
	global_load_u16 v5, v[1:2], off
.LBB529_949:
	s_cbranch_execnz .LBB529_968
.LBB529_950:
	v_cmp_lt_i16_e64 s7, s34, 2
	s_delay_alu instid0(VALU_DEP_1)
	s_and_b32 vcc_lo, exec_lo, s7
	s_cbranch_vccnz .LBB529_954
; %bb.951:
	v_cmp_lt_i16_e64 s7, s34, 3
	s_delay_alu instid0(VALU_DEP_1)
	s_and_b32 vcc_lo, exec_lo, s7
	s_cbranch_vccnz .LBB529_955
; %bb.952:
	v_cmp_gt_i16_e64 s7, s34, 3
	s_delay_alu instid0(VALU_DEP_1)
	s_and_b32 vcc_lo, exec_lo, s7
	s_cbranch_vccz .LBB529_956
; %bb.953:
	global_load_b64 v[3:4], v[1:2], off
	s_mov_b32 s7, 0
	s_waitcnt vmcnt(0)
	v_xor_b32_e32 v5, v3, v4
	v_cls_i32_e32 v6, v4
	s_delay_alu instid0(VALU_DEP_2) | instskip(NEXT) | instid1(VALU_DEP_2)
	v_ashrrev_i32_e32 v5, 31, v5
	v_add_nc_u32_e32 v6, -1, v6
	s_delay_alu instid0(VALU_DEP_2) | instskip(NEXT) | instid1(VALU_DEP_1)
	v_add_nc_u32_e32 v5, 32, v5
	v_min_u32_e32 v5, v6, v5
	s_delay_alu instid0(VALU_DEP_1) | instskip(NEXT) | instid1(VALU_DEP_1)
	v_lshlrev_b64 v[3:4], v5, v[3:4]
	v_min_u32_e32 v3, 1, v3
	s_delay_alu instid0(VALU_DEP_1) | instskip(SKIP_1) | instid1(VALU_DEP_2)
	v_or_b32_e32 v3, v4, v3
	v_sub_nc_u32_e32 v4, 32, v5
	v_cvt_f32_i32_e32 v3, v3
	s_delay_alu instid0(VALU_DEP_1) | instskip(NEXT) | instid1(VALU_DEP_1)
	v_ldexp_f32 v3, v3, v4
	v_cvt_f16_f32_e32 v5, v3
	s_branch .LBB529_957
.LBB529_954:
                                        ; implicit-def: $vgpr5
	s_branch .LBB529_963
.LBB529_955:
	s_mov_b32 s7, -1
                                        ; implicit-def: $vgpr5
	s_branch .LBB529_960
.LBB529_956:
	s_mov_b32 s7, -1
                                        ; implicit-def: $vgpr5
.LBB529_957:
	s_delay_alu instid0(SALU_CYCLE_1)
	s_and_not1_b32 vcc_lo, exec_lo, s7
	s_cbranch_vccnz .LBB529_959
; %bb.958:
	global_load_b32 v3, v[1:2], off
	s_waitcnt vmcnt(0)
	v_cvt_f32_i32_e32 v3, v3
	s_delay_alu instid0(VALU_DEP_1)
	v_cvt_f16_f32_e32 v5, v3
.LBB529_959:
	s_mov_b32 s7, 0
.LBB529_960:
	s_delay_alu instid0(SALU_CYCLE_1)
	s_and_not1_b32 vcc_lo, exec_lo, s7
	s_cbranch_vccnz .LBB529_962
; %bb.961:
	global_load_u16 v3, v[1:2], off
	s_waitcnt vmcnt(0)
	v_cvt_f16_i16_e32 v5, v3
.LBB529_962:
	s_cbranch_execnz .LBB529_968
.LBB529_963:
	v_cmp_gt_i16_e64 s7, s34, 0
	s_delay_alu instid0(VALU_DEP_1)
	s_and_b32 vcc_lo, exec_lo, s7
	s_mov_b32 s7, 0
	s_cbranch_vccz .LBB529_965
; %bb.964:
	global_load_i8 v3, v[1:2], off
	s_waitcnt vmcnt(0)
	v_cvt_f16_i16_e32 v5, v3
	s_branch .LBB529_966
.LBB529_965:
	s_mov_b32 s7, -1
                                        ; implicit-def: $vgpr5
.LBB529_966:
	s_delay_alu instid0(SALU_CYCLE_1)
	s_and_not1_b32 vcc_lo, exec_lo, s7
	s_cbranch_vccnz .LBB529_968
; %bb.967:
	global_load_u8 v1, v[1:2], off
	s_waitcnt vmcnt(0)
	v_cvt_f16_u16_e32 v5, v1
.LBB529_968:
	s_or_b32 s2, s2, exec_lo
.LBB529_969:
	s_or_b32 exec_lo, exec_lo, s6
	s_mov_b32 s8, 0
	s_mov_b32 s7, 0
                                        ; implicit-def: $vgpr4
                                        ; implicit-def: $vgpr1_vgpr2
                                        ; implicit-def: $vgpr3
	s_and_saveexec_b32 s6, s2
	s_cbranch_execz .LBB529_1050
; %bb.970:
	s_waitcnt vmcnt(0)
	v_mov_b32_e32 v3, s18
	s_mov_b32 s2, exec_lo
	v_cmpx_o_f16_e32 v5, v5
	s_cbranch_execz .LBB529_974
; %bb.971:
	v_mov_b32_e32 v3, s33
	s_mov_b32 s7, exec_lo
	v_cmpx_neq_f16_e32 0x7c00, v5
; %bb.972:
	v_cmp_eq_f16_e32 vcc_lo, 0xfc00, v5
	v_cndmask_b32_e64 v3, v5, s19, vcc_lo
; %bb.973:
	s_or_b32 exec_lo, exec_lo, s7
.LBB529_974:
	s_delay_alu instid0(SALU_CYCLE_1) | instskip(SKIP_2) | instid1(VALU_DEP_1)
	s_or_b32 exec_lo, exec_lo, s2
	v_and_b32_e64 v4, 0xff, s31
	v_add_co_u32 v1, s2, s4, v0
	v_add_co_ci_u32_e64 v2, null, s5, 0, s2
	s_delay_alu instid0(VALU_DEP_3)
	v_cmp_gt_i16_e32 vcc_lo, 11, v4
	s_mov_b32 s4, -1
	s_mov_b32 s2, s39
	s_cbranch_vccnz .LBB529_1049
; %bb.975:
	v_cmp_lt_i16_e32 vcc_lo, 25, v4
	s_mov_b32 s2, s39
	s_cbranch_vccz .LBB529_1008
; %bb.976:
	v_cmp_lt_i16_e32 vcc_lo, 28, v4
	s_mov_b32 s2, s39
	s_cbranch_vccz .LBB529_992
	;; [unrolled: 4-line block ×4, first 2 shown]
; %bb.979:
	v_cmp_eq_u16_e32 vcc_lo, 46, v4
	s_mov_b32 s2, -1
	s_cbranch_vccz .LBB529_981
; %bb.980:
	v_cvt_f32_f16_e32 v0, v3
	v_cmp_o_f16_e32 vcc_lo, v3, v3
	s_mov_b32 s2, 0
	s_delay_alu instid0(VALU_DEP_2) | instskip(NEXT) | instid1(VALU_DEP_1)
	v_bfe_u32 v5, v0, 16, 1
	v_add3_u32 v0, v0, v5, 0x7fff
	s_delay_alu instid0(VALU_DEP_1) | instskip(NEXT) | instid1(VALU_DEP_1)
	v_lshrrev_b32_e32 v0, 16, v0
	v_cndmask_b32_e32 v0, 0x7fc0, v0, vcc_lo
	global_store_b32 v[1:2], v0, off
.LBB529_981:
	s_mov_b32 s4, 0
.LBB529_982:
	s_delay_alu instid0(SALU_CYCLE_1)
	s_and_b32 vcc_lo, exec_lo, s4
	s_cbranch_vccz .LBB529_987
; %bb.983:
	v_cmp_eq_u16_e32 vcc_lo, 44, v4
	s_mov_b32 s2, -1
	s_cbranch_vccz .LBB529_987
; %bb.984:
	v_cvt_f32_f16_e32 v0, v3
	v_mov_b32_e32 v5, 0xff
	s_mov_b32 s4, exec_lo
	s_delay_alu instid0(VALU_DEP_2) | instskip(NEXT) | instid1(VALU_DEP_1)
	v_bfe_u32 v6, v0, 23, 8
	v_cmpx_ne_u32_e32 0xff, v6
; %bb.985:
	v_and_b32_e32 v5, 0x400000, v0
	v_and_or_b32 v6, 0x3fffff, v0, v6
	v_lshrrev_b32_e32 v0, 23, v0
	s_delay_alu instid0(VALU_DEP_3) | instskip(NEXT) | instid1(VALU_DEP_3)
	v_cmp_ne_u32_e32 vcc_lo, 0, v5
	v_cmp_ne_u32_e64 s2, 0, v6
	s_delay_alu instid0(VALU_DEP_1) | instskip(NEXT) | instid1(SALU_CYCLE_1)
	s_and_b32 s2, vcc_lo, s2
	v_cndmask_b32_e64 v5, 0, 1, s2
	s_delay_alu instid0(VALU_DEP_1)
	v_add_nc_u32_e32 v5, v0, v5
; %bb.986:
	s_or_b32 exec_lo, exec_lo, s4
	s_mov_b32 s2, 0
	global_store_b8 v[1:2], v5, off
.LBB529_987:
	s_mov_b32 s4, 0
.LBB529_988:
	s_delay_alu instid0(SALU_CYCLE_1)
	s_and_b32 vcc_lo, exec_lo, s4
	s_cbranch_vccz .LBB529_991
; %bb.989:
	v_cmp_eq_u16_e32 vcc_lo, 29, v4
	s_mov_b32 s2, -1
	s_cbranch_vccz .LBB529_991
; %bb.990:
	v_cvt_f32_f16_e32 v0, v3
	v_mov_b32_e32 v6, 0
	s_mov_b32 s2, 0
	s_delay_alu instid0(VALU_DEP_2)
	v_cvt_u32_f32_e32 v5, v0
	global_store_b64 v[1:2], v[5:6], off
.LBB529_991:
	s_mov_b32 s4, 0
.LBB529_992:
	s_delay_alu instid0(SALU_CYCLE_1)
	s_and_b32 vcc_lo, exec_lo, s4
	s_cbranch_vccz .LBB529_1007
; %bb.993:
	v_cmp_gt_i16_e32 vcc_lo, 27, v4
	s_mov_b32 s4, -1
	s_cbranch_vccnz .LBB529_999
; %bb.994:
	v_cmp_lt_i16_e32 vcc_lo, 27, v4
	s_cbranch_vccz .LBB529_996
; %bb.995:
	v_cvt_f32_f16_e32 v0, v3
	s_mov_b32 s4, 0
	s_delay_alu instid0(VALU_DEP_1)
	v_cvt_u32_f32_e32 v0, v0
	global_store_b32 v[1:2], v0, off
.LBB529_996:
	s_and_not1_b32 vcc_lo, exec_lo, s4
	s_cbranch_vccnz .LBB529_998
; %bb.997:
	v_cvt_u16_f16_e32 v0, v3
	global_store_b16 v[1:2], v0, off
.LBB529_998:
	s_mov_b32 s4, 0
.LBB529_999:
	s_delay_alu instid0(SALU_CYCLE_1)
	s_and_not1_b32 vcc_lo, exec_lo, s4
	s_cbranch_vccnz .LBB529_1007
; %bb.1000:
	v_cvt_f32_f16_e32 v0, v3
	v_mov_b32_e32 v6, 0x80
	s_mov_b32 s4, exec_lo
	s_delay_alu instid0(VALU_DEP_2) | instskip(NEXT) | instid1(VALU_DEP_1)
	v_and_b32_e32 v5, 0x7fffffff, v0
	v_cmpx_gt_u32_e32 0x43800000, v5
	s_cbranch_execz .LBB529_1006
; %bb.1001:
	v_cmp_lt_u32_e32 vcc_lo, 0x3bffffff, v5
	s_mov_b32 s5, 0
                                        ; implicit-def: $vgpr5
	s_and_saveexec_b32 s7, vcc_lo
	s_delay_alu instid0(SALU_CYCLE_1)
	s_xor_b32 s7, exec_lo, s7
	s_cbranch_execz .LBB529_1299
; %bb.1002:
	v_bfe_u32 v5, v0, 20, 1
	s_mov_b32 s5, exec_lo
	s_delay_alu instid0(VALU_DEP_1) | instskip(NEXT) | instid1(VALU_DEP_1)
	v_add3_u32 v5, v0, v5, 0x487ffff
	v_lshrrev_b32_e32 v5, 20, v5
	s_or_saveexec_b32 s7, s7
                                        ; implicit-def: $sgpr8
	s_delay_alu instid0(SALU_CYCLE_1)
	s_xor_b32 exec_lo, exec_lo, s7
	s_cbranch_execnz .LBB529_1300
.LBB529_1003:
	s_or_b32 exec_lo, exec_lo, s7
	v_mov_b32_e32 v6, s8
	s_and_saveexec_b32 s7, s5
.LBB529_1004:
	v_lshrrev_b32_e32 v0, 24, v0
	s_delay_alu instid0(VALU_DEP_1)
	v_and_or_b32 v6, 0x80, v0, v5
.LBB529_1005:
	s_or_b32 exec_lo, exec_lo, s7
.LBB529_1006:
	s_delay_alu instid0(SALU_CYCLE_1)
	s_or_b32 exec_lo, exec_lo, s4
	global_store_b8 v[1:2], v6, off
.LBB529_1007:
	s_mov_b32 s4, 0
.LBB529_1008:
	s_delay_alu instid0(SALU_CYCLE_1)
	s_and_b32 vcc_lo, exec_lo, s4
	s_mov_b32 s4, 0
	s_cbranch_vccz .LBB529_1048
; %bb.1009:
	v_cmp_lt_i16_e32 vcc_lo, 22, v4
	s_mov_b32 s5, -1
	s_cbranch_vccz .LBB529_1041
; %bb.1010:
	v_cmp_gt_i16_e32 vcc_lo, 24, v4
	s_cbranch_vccnz .LBB529_1030
; %bb.1011:
	v_cmp_lt_i16_e32 vcc_lo, 24, v4
	s_cbranch_vccz .LBB529_1019
; %bb.1012:
	v_cvt_f32_f16_e32 v0, v3
	v_mov_b32_e32 v6, 0x80
	s_mov_b32 s5, exec_lo
	s_delay_alu instid0(VALU_DEP_2) | instskip(NEXT) | instid1(VALU_DEP_1)
	v_and_b32_e32 v5, 0x7fffffff, v0
	v_cmpx_gt_u32_e32 0x47800000, v5
	s_cbranch_execz .LBB529_1018
; %bb.1013:
	v_cmp_lt_u32_e32 vcc_lo, 0x37ffffff, v5
	s_mov_b32 s7, 0
                                        ; implicit-def: $vgpr5
	s_and_saveexec_b32 s8, vcc_lo
	s_delay_alu instid0(SALU_CYCLE_1)
	s_xor_b32 s8, exec_lo, s8
	s_cbranch_execz .LBB529_1343
; %bb.1014:
	v_bfe_u32 v5, v0, 21, 1
	s_mov_b32 s7, exec_lo
	s_delay_alu instid0(VALU_DEP_1) | instskip(NEXT) | instid1(VALU_DEP_1)
	v_add3_u32 v5, v0, v5, 0x88fffff
	v_lshrrev_b32_e32 v5, 21, v5
	s_or_saveexec_b32 s8, s8
                                        ; implicit-def: $sgpr9
	s_delay_alu instid0(SALU_CYCLE_1)
	s_xor_b32 exec_lo, exec_lo, s8
	s_cbranch_execnz .LBB529_1344
.LBB529_1015:
	s_or_b32 exec_lo, exec_lo, s8
	v_mov_b32_e32 v6, s9
	s_and_saveexec_b32 s8, s7
.LBB529_1016:
	v_lshrrev_b32_e32 v0, 24, v0
	s_delay_alu instid0(VALU_DEP_1)
	v_and_or_b32 v6, 0x80, v0, v5
.LBB529_1017:
	s_or_b32 exec_lo, exec_lo, s8
.LBB529_1018:
	s_delay_alu instid0(SALU_CYCLE_1)
	s_or_b32 exec_lo, exec_lo, s5
	s_mov_b32 s5, 0
	global_store_b8 v[1:2], v6, off
.LBB529_1019:
	s_and_b32 vcc_lo, exec_lo, s5
	s_cbranch_vccz .LBB529_1029
; %bb.1020:
	v_cvt_f32_f16_e32 v0, v3
	s_mov_b32 s5, exec_lo
                                        ; implicit-def: $vgpr5
	s_delay_alu instid0(VALU_DEP_1) | instskip(NEXT) | instid1(VALU_DEP_1)
	v_and_b32_e32 v6, 0x7fffffff, v0
	v_cmpx_gt_u32_e32 0x43f00000, v6
	s_xor_b32 s5, exec_lo, s5
	s_cbranch_execz .LBB529_1026
; %bb.1021:
	s_mov_b32 s7, exec_lo
                                        ; implicit-def: $vgpr5
	v_cmpx_lt_u32_e32 0x3c7fffff, v6
	s_xor_b32 s7, exec_lo, s7
; %bb.1022:
	v_bfe_u32 v5, v0, 20, 1
	s_delay_alu instid0(VALU_DEP_1) | instskip(NEXT) | instid1(VALU_DEP_1)
	v_add3_u32 v5, v0, v5, 0x407ffff
	v_and_b32_e32 v6, 0xff00000, v5
	v_lshrrev_b32_e32 v5, 20, v5
	s_delay_alu instid0(VALU_DEP_2) | instskip(NEXT) | instid1(VALU_DEP_2)
	v_cmp_ne_u32_e32 vcc_lo, 0x7f00000, v6
	v_cndmask_b32_e32 v5, 0x7e, v5, vcc_lo
; %bb.1023:
	s_and_not1_saveexec_b32 s7, s7
; %bb.1024:
	v_add_f32_e64 v5, 0x46800000, |v0|
; %bb.1025:
	s_or_b32 exec_lo, exec_lo, s7
                                        ; implicit-def: $vgpr6
.LBB529_1026:
	s_and_not1_saveexec_b32 s5, s5
; %bb.1027:
	v_mov_b32_e32 v5, 0x7f
	v_cmp_lt_u32_e32 vcc_lo, 0x7f800000, v6
	s_delay_alu instid0(VALU_DEP_2)
	v_cndmask_b32_e32 v5, 0x7e, v5, vcc_lo
; %bb.1028:
	s_or_b32 exec_lo, exec_lo, s5
	v_lshrrev_b32_e32 v0, 24, v0
	s_delay_alu instid0(VALU_DEP_1)
	v_and_or_b32 v0, 0x80, v0, v5
	global_store_b8 v[1:2], v0, off
.LBB529_1029:
	s_mov_b32 s5, 0
.LBB529_1030:
	s_delay_alu instid0(SALU_CYCLE_1)
	s_and_not1_b32 vcc_lo, exec_lo, s5
	s_cbranch_vccnz .LBB529_1040
; %bb.1031:
	v_cvt_f32_f16_e32 v0, v3
	s_mov_b32 s5, exec_lo
                                        ; implicit-def: $vgpr5
	s_delay_alu instid0(VALU_DEP_1) | instskip(NEXT) | instid1(VALU_DEP_1)
	v_and_b32_e32 v6, 0x7fffffff, v0
	v_cmpx_gt_u32_e32 0x47800000, v6
	s_xor_b32 s5, exec_lo, s5
	s_cbranch_execz .LBB529_1037
; %bb.1032:
	s_mov_b32 s7, exec_lo
                                        ; implicit-def: $vgpr5
	v_cmpx_lt_u32_e32 0x387fffff, v6
	s_xor_b32 s7, exec_lo, s7
; %bb.1033:
	v_bfe_u32 v5, v0, 21, 1
	s_delay_alu instid0(VALU_DEP_1) | instskip(NEXT) | instid1(VALU_DEP_1)
	v_add3_u32 v5, v0, v5, 0x80fffff
	v_lshrrev_b32_e32 v5, 21, v5
; %bb.1034:
	s_and_not1_saveexec_b32 s7, s7
; %bb.1035:
	v_add_f32_e64 v5, 0x43000000, |v0|
; %bb.1036:
	s_or_b32 exec_lo, exec_lo, s7
                                        ; implicit-def: $vgpr6
.LBB529_1037:
	s_and_not1_saveexec_b32 s5, s5
; %bb.1038:
	v_mov_b32_e32 v5, 0x7f
	v_cmp_lt_u32_e32 vcc_lo, 0x7f800000, v6
	s_delay_alu instid0(VALU_DEP_2)
	v_cndmask_b32_e32 v5, 0x7c, v5, vcc_lo
; %bb.1039:
	s_or_b32 exec_lo, exec_lo, s5
	v_lshrrev_b32_e32 v0, 24, v0
	s_delay_alu instid0(VALU_DEP_1)
	v_and_or_b32 v0, 0x80, v0, v5
	global_store_b8 v[1:2], v0, off
.LBB529_1040:
	s_mov_b32 s5, 0
.LBB529_1041:
	s_delay_alu instid0(SALU_CYCLE_1)
	s_and_not1_b32 vcc_lo, exec_lo, s5
	s_mov_b32 s8, 0
	s_cbranch_vccnz .LBB529_1049
; %bb.1042:
	v_cmp_lt_i16_e32 vcc_lo, 14, v4
	s_mov_b32 s5, -1
	s_cbranch_vccz .LBB529_1046
; %bb.1043:
	v_cmp_eq_u16_e32 vcc_lo, 15, v4
	s_mov_b32 s2, -1
	s_cbranch_vccz .LBB529_1045
; %bb.1044:
	v_cvt_f32_f16_e32 v0, v3
	v_cmp_o_f16_e32 vcc_lo, v3, v3
	s_mov_b32 s2, 0
	s_delay_alu instid0(VALU_DEP_2) | instskip(NEXT) | instid1(VALU_DEP_1)
	v_bfe_u32 v5, v0, 16, 1
	v_add3_u32 v0, v0, v5, 0x7fff
	s_delay_alu instid0(VALU_DEP_1) | instskip(NEXT) | instid1(VALU_DEP_1)
	v_lshrrev_b32_e32 v0, 16, v0
	v_cndmask_b32_e32 v0, 0x7fc0, v0, vcc_lo
	global_store_b16 v[1:2], v0, off
.LBB529_1045:
	s_mov_b32 s5, 0
.LBB529_1046:
	s_delay_alu instid0(SALU_CYCLE_1)
	s_and_b32 vcc_lo, exec_lo, s5
	s_cbranch_vccz .LBB529_1049
; %bb.1047:
	v_cmp_ne_u16_e32 vcc_lo, 11, v4
	s_and_not1_b32 s2, s2, exec_lo
	s_mov_b32 s8, -1
	s_and_b32 s5, vcc_lo, exec_lo
	s_delay_alu instid0(SALU_CYCLE_1)
	s_or_b32 s2, s2, s5
	s_branch .LBB529_1049
.LBB529_1048:
	s_mov_b32 s8, 0
.LBB529_1049:
	s_and_b32 s7, s4, exec_lo
	s_and_not1_b32 s4, s39, exec_lo
	s_and_b32 s2, s2, exec_lo
	s_and_b32 s8, s8, exec_lo
	s_or_b32 s39, s4, s2
.LBB529_1050:
	s_or_b32 exec_lo, exec_lo, s6
	s_and_saveexec_b32 s2, s39
	s_cbranch_execnz .LBB529_1164
; %bb.1051:
	s_or_b32 exec_lo, exec_lo, s2
	s_and_saveexec_b32 s2, s8
	s_delay_alu instid0(SALU_CYCLE_1)
	s_xor_b32 s2, exec_lo, s2
	s_cbranch_execz .LBB529_1053
.LBB529_1052:
	s_waitcnt vmcnt(0)
	v_and_b32_e32 v0, 0x7fff, v3
	s_delay_alu instid0(VALU_DEP_1)
	v_cmp_ne_u16_e32 vcc_lo, 0, v0
	v_cndmask_b32_e64 v0, 0, 1, vcc_lo
	global_store_b8 v[1:2], v0, off
.LBB529_1053:
	s_or_b32 exec_lo, exec_lo, s2
	s_and_saveexec_b32 s2, s7
	s_delay_alu instid0(SALU_CYCLE_1)
	s_xor_b32 s2, exec_lo, s2
	s_cbranch_execz .LBB529_1091
; %bb.1054:
	v_cmp_gt_i16_e32 vcc_lo, 5, v4
	s_mov_b32 s4, -1
	s_cbranch_vccnz .LBB529_1075
; %bb.1055:
	v_cmp_gt_i16_e32 vcc_lo, 8, v4
	s_cbranch_vccnz .LBB529_1065
; %bb.1056:
	v_cmp_gt_i16_e32 vcc_lo, 9, v4
	s_cbranch_vccnz .LBB529_1062
; %bb.1057:
	v_cmp_lt_i16_e32 vcc_lo, 9, v4
	s_cbranch_vccz .LBB529_1059
; %bb.1058:
	s_waitcnt vmcnt(0)
	v_cvt_f32_f16_e32 v0, v3
	v_mov_b32_e32 v7, 0
	s_mov_b32 s4, 0
	s_delay_alu instid0(VALU_DEP_2) | instskip(NEXT) | instid1(VALU_DEP_2)
	v_cvt_f64_f32_e32 v[5:6], v0
	v_mov_b32_e32 v8, v7
	global_store_b128 v[1:2], v[5:8], off
.LBB529_1059:
	s_and_not1_b32 vcc_lo, exec_lo, s4
	s_cbranch_vccnz .LBB529_1061
; %bb.1060:
	s_waitcnt vmcnt(0)
	v_cvt_f32_f16_e32 v5, v3
	v_mov_b32_e32 v6, 0
	global_store_b64 v[1:2], v[5:6], off
.LBB529_1061:
	s_mov_b32 s4, 0
.LBB529_1062:
	s_delay_alu instid0(SALU_CYCLE_1)
	s_and_not1_b32 vcc_lo, exec_lo, s4
	s_cbranch_vccnz .LBB529_1064
; %bb.1063:
	s_waitcnt vmcnt(0)
	v_and_b32_e32 v0, 0xffff, v3
	global_store_b32 v[1:2], v0, off
.LBB529_1064:
	s_mov_b32 s4, 0
.LBB529_1065:
	s_delay_alu instid0(SALU_CYCLE_1)
	s_and_not1_b32 vcc_lo, exec_lo, s4
	s_cbranch_vccnz .LBB529_1074
; %bb.1066:
	v_cmp_gt_i16_e32 vcc_lo, 6, v4
	s_mov_b32 s4, -1
	s_cbranch_vccnz .LBB529_1072
; %bb.1067:
	v_cmp_lt_i16_e32 vcc_lo, 6, v4
	s_cbranch_vccz .LBB529_1069
; %bb.1068:
	s_waitcnt vmcnt(0)
	v_cvt_f32_f16_e32 v0, v3
	s_mov_b32 s4, 0
	s_delay_alu instid0(VALU_DEP_1)
	v_cvt_f64_f32_e32 v[5:6], v0
	global_store_b64 v[1:2], v[5:6], off
.LBB529_1069:
	s_and_not1_b32 vcc_lo, exec_lo, s4
	s_cbranch_vccnz .LBB529_1071
; %bb.1070:
	s_waitcnt vmcnt(0)
	v_cvt_f32_f16_e32 v0, v3
	global_store_b32 v[1:2], v0, off
.LBB529_1071:
	s_mov_b32 s4, 0
.LBB529_1072:
	s_delay_alu instid0(SALU_CYCLE_1)
	s_and_not1_b32 vcc_lo, exec_lo, s4
	s_cbranch_vccnz .LBB529_1074
; %bb.1073:
	s_waitcnt vmcnt(0)
	global_store_b16 v[1:2], v3, off
.LBB529_1074:
	s_mov_b32 s4, 0
.LBB529_1075:
	s_delay_alu instid0(SALU_CYCLE_1)
	s_and_not1_b32 vcc_lo, exec_lo, s4
	s_cbranch_vccnz .LBB529_1091
; %bb.1076:
	v_cmp_gt_i16_e32 vcc_lo, 2, v4
	s_mov_b32 s4, -1
	s_cbranch_vccnz .LBB529_1086
; %bb.1077:
	v_cmp_gt_i16_e32 vcc_lo, 3, v4
	s_cbranch_vccnz .LBB529_1083
; %bb.1078:
	v_cmp_lt_i16_e32 vcc_lo, 3, v4
	s_cbranch_vccz .LBB529_1080
; %bb.1079:
	s_waitcnt vmcnt(0)
	v_cvt_f32_f16_e32 v0, v3
	s_mov_b32 s4, 0
	s_delay_alu instid0(VALU_DEP_1) | instskip(NEXT) | instid1(VALU_DEP_1)
	v_cvt_i32_f32_e32 v5, v0
	v_ashrrev_i32_e32 v6, 31, v5
	global_store_b64 v[1:2], v[5:6], off
.LBB529_1080:
	s_and_not1_b32 vcc_lo, exec_lo, s4
	s_cbranch_vccnz .LBB529_1082
; %bb.1081:
	s_waitcnt vmcnt(0)
	v_cvt_f32_f16_e32 v0, v3
	s_delay_alu instid0(VALU_DEP_1)
	v_cvt_i32_f32_e32 v0, v0
	global_store_b32 v[1:2], v0, off
.LBB529_1082:
	s_mov_b32 s4, 0
.LBB529_1083:
	s_delay_alu instid0(SALU_CYCLE_1)
	s_and_not1_b32 vcc_lo, exec_lo, s4
	s_cbranch_vccnz .LBB529_1085
; %bb.1084:
	s_waitcnt vmcnt(0)
	v_cvt_i16_f16_e32 v0, v3
	global_store_b16 v[1:2], v0, off
.LBB529_1085:
	s_mov_b32 s4, 0
.LBB529_1086:
	s_delay_alu instid0(SALU_CYCLE_1)
	s_and_not1_b32 vcc_lo, exec_lo, s4
	s_cbranch_vccnz .LBB529_1091
; %bb.1087:
	v_cmp_lt_i16_e32 vcc_lo, 0, v4
	s_mov_b32 s4, -1
	s_cbranch_vccz .LBB529_1089
; %bb.1088:
	s_waitcnt vmcnt(0)
	v_cvt_i16_f16_e32 v0, v3
	s_mov_b32 s4, 0
	global_store_b8 v[1:2], v0, off
.LBB529_1089:
	s_and_not1_b32 vcc_lo, exec_lo, s4
	s_cbranch_vccnz .LBB529_1091
; %bb.1090:
	s_waitcnt vmcnt(0)
	v_cvt_f32_f16_e32 v0, v3
	s_delay_alu instid0(VALU_DEP_1)
	v_cvt_i32_f32_e32 v0, v0
	global_store_b8 v[1:2], v0, off
.LBB529_1091:
	s_or_b32 exec_lo, exec_lo, s2
	s_delay_alu instid0(SALU_CYCLE_1)
	s_and_b32 s8, s3, exec_lo
                                        ; implicit-def: $vgpr8
                                        ; implicit-def: $vgpr4
.LBB529_1092:
	s_or_saveexec_b32 s9, s30
	s_mov_b32 s3, 0
                                        ; implicit-def: $vgpr0_vgpr1
                                        ; implicit-def: $vgpr6
                                        ; implicit-def: $vgpr5
	s_xor_b32 exec_lo, exec_lo, s9
	s_cbranch_execz .LBB529_2124
; %bb.1093:
	v_cndmask_b32_e64 v0, 0, 1, s29
	s_and_not1_b32 vcc_lo, exec_lo, s29
	s_cbranch_vccnz .LBB529_1099
; %bb.1094:
	s_waitcnt vmcnt(0)
	v_mov_b32_e32 v3, 0
	v_mov_b32_e32 v7, 0
	s_cmp_lg_u32 s26, 0
	s_mov_b32 s6, 0
	s_cbranch_scc0 .LBB529_1103
; %bb.1095:
	s_min_u32 s7, s27, 15
	v_mov_b32_e32 v3, 0
	s_add_i32 s7, s7, 1
	s_cmp_eq_u32 s27, 2
	s_mov_b32 s10, 0
	s_cbranch_scc1 .LBB529_1100
; %bb.1096:
	v_mov_b32_e32 v7, 0
	v_mov_b32_e32 v3, 0
	;; [unrolled: 1-line block ×3, first 2 shown]
	s_add_u32 s2, s16, 0xc4
	s_addc_u32 s3, s17, 0
	s_and_b32 s10, s7, 28
	s_mov_b32 s11, 0
	s_mov_b64 s[4:5], s[16:17]
.LBB529_1097:                           ; =>This Inner Loop Header: Depth=1
	s_clause 0x1
	s_load_b256 s[36:43], s[4:5], 0x4
	s_load_b128 s[12:15], s[4:5], 0x24
	s_load_b256 s[44:51], s[2:3], 0x0
	s_add_u32 s4, s4, 48
	s_addc_u32 s5, s5, 0
	s_add_i32 s11, s11, 4
	s_add_u32 s2, s2, 32
	s_addc_u32 s3, s3, 0
	s_cmp_lg_u32 s10, s11
	s_waitcnt lgkmcnt(0)
	v_mul_hi_u32 v2, s37, v1
	s_delay_alu instid0(VALU_DEP_1) | instskip(NEXT) | instid1(VALU_DEP_1)
	v_add_nc_u32_e32 v2, v1, v2
	v_lshrrev_b32_e32 v2, s38, v2
	s_delay_alu instid0(VALU_DEP_1) | instskip(SKIP_1) | instid1(VALU_DEP_2)
	v_mul_hi_u32 v5, s40, v2
	v_mul_lo_u32 v9, v2, s36
	v_add_nc_u32_e32 v5, v2, v5
	s_delay_alu instid0(VALU_DEP_2) | instskip(NEXT) | instid1(VALU_DEP_2)
	v_sub_nc_u32_e32 v1, v1, v9
	v_lshrrev_b32_e32 v5, s41, v5
	s_delay_alu instid0(VALU_DEP_2) | instskip(SKIP_1) | instid1(VALU_DEP_3)
	v_mul_lo_u32 v9, v1, s44
	v_mul_lo_u32 v11, v1, s45
	v_mul_hi_u32 v6, s43, v5
	s_delay_alu instid0(VALU_DEP_1) | instskip(NEXT) | instid1(VALU_DEP_1)
	v_add_nc_u32_e32 v6, v5, v6
	v_lshrrev_b32_e32 v6, s12, v6
	s_delay_alu instid0(VALU_DEP_1) | instskip(SKIP_1) | instid1(VALU_DEP_2)
	v_mul_hi_u32 v10, s14, v6
	v_mul_lo_u32 v12, v6, s42
	v_add_nc_u32_e32 v1, v6, v10
	v_mul_lo_u32 v10, v5, s39
	s_delay_alu instid0(VALU_DEP_3) | instskip(NEXT) | instid1(VALU_DEP_3)
	v_sub_nc_u32_e32 v5, v5, v12
	v_lshrrev_b32_e32 v1, s15, v1
	s_delay_alu instid0(VALU_DEP_2) | instskip(SKIP_2) | instid1(VALU_DEP_4)
	v_mul_lo_u32 v12, v5, s48
	v_mul_lo_u32 v5, v5, s49
	v_sub_nc_u32_e32 v2, v2, v10
	v_mul_lo_u32 v13, v1, s13
	s_delay_alu instid0(VALU_DEP_2) | instskip(SKIP_1) | instid1(VALU_DEP_3)
	v_mul_lo_u32 v10, v2, s46
	v_mul_lo_u32 v2, v2, s47
	v_sub_nc_u32_e32 v6, v6, v13
	s_delay_alu instid0(VALU_DEP_3) | instskip(NEXT) | instid1(VALU_DEP_2)
	v_add3_u32 v3, v9, v3, v10
	v_mul_lo_u32 v13, v6, s50
	v_mul_lo_u32 v6, v6, s51
	v_add3_u32 v2, v11, v7, v2
	s_delay_alu instid0(VALU_DEP_3) | instskip(NEXT) | instid1(VALU_DEP_2)
	v_add3_u32 v3, v12, v3, v13
	v_add3_u32 v7, v5, v2, v6
	s_cbranch_scc1 .LBB529_1097
; %bb.1098:
	s_and_b32 s7, s7, 3
	s_delay_alu instid0(SALU_CYCLE_1)
	s_cmp_eq_u32 s7, 0
	s_cbranch_scc0 .LBB529_1101
	s_branch .LBB529_1103
.LBB529_1099:
	s_mov_b32 s6, -1
                                        ; implicit-def: $vgpr3
                                        ; implicit-def: $vgpr7
	s_branch .LBB529_1103
.LBB529_1100:
	v_mov_b32_e32 v1, v4
	v_mov_b32_e32 v7, 0
	s_and_b32 s7, s7, 3
	s_delay_alu instid0(SALU_CYCLE_1)
	s_cmp_eq_u32 s7, 0
	s_cbranch_scc1 .LBB529_1103
.LBB529_1101:
	s_lshl_b32 s2, s10, 3
	s_mul_i32 s4, s10, 12
	s_add_u32 s2, s2, s16
	s_addc_u32 s3, 0, s17
	s_add_u32 s2, s2, 0xc4
	s_addc_u32 s3, s3, 0
	;; [unrolled: 2-line block ×3, first 2 shown]
	.p2align	6
.LBB529_1102:                           ; =>This Inner Loop Header: Depth=1
	s_clause 0x1
	s_load_b64 s[10:11], s[4:5], 0x4
	s_load_b32 s14, s[4:5], 0xc
	s_load_b64 s[12:13], s[2:3], 0x0
	s_add_u32 s4, s4, 12
	s_addc_u32 s5, s5, 0
	s_add_u32 s2, s2, 8
	s_addc_u32 s3, s3, 0
	s_add_i32 s7, s7, -1
	s_delay_alu instid0(SALU_CYCLE_1) | instskip(SKIP_2) | instid1(VALU_DEP_1)
	s_cmp_lg_u32 s7, 0
	s_waitcnt lgkmcnt(0)
	v_mul_hi_u32 v2, s11, v1
	v_add_nc_u32_e32 v2, v1, v2
	s_delay_alu instid0(VALU_DEP_1) | instskip(NEXT) | instid1(VALU_DEP_1)
	v_lshrrev_b32_e32 v9, s14, v2
	v_mul_lo_u32 v2, v9, s10
	s_delay_alu instid0(VALU_DEP_1) | instskip(NEXT) | instid1(VALU_DEP_1)
	v_sub_nc_u32_e32 v1, v1, v2
	v_mad_u64_u32 v[5:6], null, v1, s12, v[3:4]
	v_mad_u64_u32 v[2:3], null, v1, s13, v[7:8]
	v_mov_b32_e32 v1, v9
	s_delay_alu instid0(VALU_DEP_3) | instskip(NEXT) | instid1(VALU_DEP_3)
	v_mov_b32_e32 v3, v5
	v_mov_b32_e32 v7, v2
	s_cbranch_scc1 .LBB529_1102
.LBB529_1103:
	s_and_not1_b32 vcc_lo, exec_lo, s6
	s_cbranch_vccnz .LBB529_1106
; %bb.1104:
	s_clause 0x1
	s_load_b128 s[4:7], s[16:17], 0x4
	s_load_b64 s[2:3], s[16:17], 0xc4
	s_cmp_lt_u32 s26, 2
	s_waitcnt lgkmcnt(0)
	v_mul_hi_u32 v1, s5, v4
	s_delay_alu instid0(VALU_DEP_1) | instskip(NEXT) | instid1(VALU_DEP_1)
	v_add_nc_u32_e32 v1, v4, v1
	v_lshrrev_b32_e32 v1, s6, v1
	s_delay_alu instid0(VALU_DEP_1) | instskip(NEXT) | instid1(VALU_DEP_1)
	v_mul_lo_u32 v2, v1, s4
	v_sub_nc_u32_e32 v2, v4, v2
	s_waitcnt vmcnt(0)
	s_delay_alu instid0(VALU_DEP_1)
	v_mul_lo_u32 v3, v2, s2
	v_mul_lo_u32 v7, v2, s3
	s_cbranch_scc1 .LBB529_1106
; %bb.1105:
	s_clause 0x1
	s_load_b128 s[4:7], s[16:17], 0x10
	s_load_b64 s[2:3], s[16:17], 0xcc
	s_waitcnt lgkmcnt(0)
	v_mul_hi_u32 v2, s5, v1
	s_delay_alu instid0(VALU_DEP_1) | instskip(NEXT) | instid1(VALU_DEP_1)
	v_add_nc_u32_e32 v2, v1, v2
	v_lshrrev_b32_e32 v2, s6, v2
	s_delay_alu instid0(VALU_DEP_1) | instskip(NEXT) | instid1(VALU_DEP_1)
	v_mul_lo_u32 v2, v2, s4
	v_sub_nc_u32_e32 v5, v1, v2
	s_delay_alu instid0(VALU_DEP_1) | instskip(SKIP_1) | instid1(VALU_DEP_2)
	v_mad_u64_u32 v[1:2], null, v5, s2, v[3:4]
	v_mad_u64_u32 v[2:3], null, v5, s3, v[7:8]
	v_mov_b32_e32 v3, v1
	s_delay_alu instid0(VALU_DEP_2)
	v_mov_b32_e32 v7, v2
.LBB529_1106:
	v_cmp_ne_u32_e32 vcc_lo, 1, v0
	v_add_nc_u32_e32 v1, 0x80, v4
	s_cbranch_vccnz .LBB529_1112
; %bb.1107:
	v_mov_b32_e32 v2, 0
	v_mov_b32_e32 v6, 0
	s_cmp_lg_u32 s26, 0
	s_mov_b32 s6, 0
	s_cbranch_scc0 .LBB529_1116
; %bb.1108:
	s_min_u32 s7, s27, 15
	v_mov_b32_e32 v2, 0
	s_add_i32 s7, s7, 1
	s_cmp_eq_u32 s27, 2
	s_mov_b32 s10, 0
	s_cbranch_scc1 .LBB529_1113
; %bb.1109:
	s_waitcnt vmcnt(0)
	v_dual_mov_b32 v6, 0 :: v_dual_mov_b32 v5, v1
	v_mov_b32_e32 v2, 0
	s_add_u32 s2, s16, 0xc4
	s_addc_u32 s3, s17, 0
	s_and_b32 s10, s7, 28
	s_mov_b32 s11, 0
	s_mov_b64 s[4:5], s[16:17]
.LBB529_1110:                           ; =>This Inner Loop Header: Depth=1
	s_clause 0x1
	s_load_b256 s[36:43], s[4:5], 0x4
	s_load_b128 s[12:15], s[4:5], 0x24
	s_load_b256 s[44:51], s[2:3], 0x0
	s_add_u32 s4, s4, 48
	s_addc_u32 s5, s5, 0
	s_add_i32 s11, s11, 4
	s_add_u32 s2, s2, 32
	s_addc_u32 s3, s3, 0
	s_cmp_lg_u32 s10, s11
	s_waitcnt lgkmcnt(0)
	v_mul_hi_u32 v9, s37, v5
	s_delay_alu instid0(VALU_DEP_1) | instskip(NEXT) | instid1(VALU_DEP_1)
	v_add_nc_u32_e32 v9, v5, v9
	v_lshrrev_b32_e32 v9, s38, v9
	s_delay_alu instid0(VALU_DEP_1) | instskip(SKIP_1) | instid1(VALU_DEP_2)
	v_mul_hi_u32 v10, s40, v9
	v_mul_lo_u32 v12, v9, s36
	v_add_nc_u32_e32 v10, v9, v10
	s_delay_alu instid0(VALU_DEP_2) | instskip(NEXT) | instid1(VALU_DEP_2)
	v_sub_nc_u32_e32 v5, v5, v12
	v_lshrrev_b32_e32 v10, s41, v10
	s_delay_alu instid0(VALU_DEP_2) | instskip(SKIP_1) | instid1(VALU_DEP_3)
	v_mul_lo_u32 v12, v5, s44
	v_mul_lo_u32 v14, v5, s45
	v_mul_hi_u32 v11, s43, v10
	s_delay_alu instid0(VALU_DEP_1) | instskip(NEXT) | instid1(VALU_DEP_1)
	v_add_nc_u32_e32 v11, v10, v11
	v_lshrrev_b32_e32 v11, s12, v11
	s_delay_alu instid0(VALU_DEP_1) | instskip(SKIP_1) | instid1(VALU_DEP_2)
	v_mul_hi_u32 v13, s14, v11
	v_mul_lo_u32 v15, v11, s42
	v_add_nc_u32_e32 v5, v11, v13
	v_mul_lo_u32 v13, v10, s39
	s_delay_alu instid0(VALU_DEP_3) | instskip(NEXT) | instid1(VALU_DEP_3)
	v_sub_nc_u32_e32 v10, v10, v15
	v_lshrrev_b32_e32 v5, s15, v5
	s_delay_alu instid0(VALU_DEP_2) | instskip(SKIP_2) | instid1(VALU_DEP_4)
	v_mul_lo_u32 v15, v10, s48
	v_mul_lo_u32 v10, v10, s49
	v_sub_nc_u32_e32 v9, v9, v13
	v_mul_lo_u32 v16, v5, s13
	s_delay_alu instid0(VALU_DEP_2) | instskip(SKIP_1) | instid1(VALU_DEP_3)
	v_mul_lo_u32 v13, v9, s46
	v_mul_lo_u32 v9, v9, s47
	v_sub_nc_u32_e32 v11, v11, v16
	s_delay_alu instid0(VALU_DEP_3) | instskip(NEXT) | instid1(VALU_DEP_2)
	v_add3_u32 v2, v12, v2, v13
	v_mul_lo_u32 v16, v11, s50
	v_mul_lo_u32 v11, v11, s51
	v_add3_u32 v6, v14, v6, v9
	s_delay_alu instid0(VALU_DEP_3) | instskip(NEXT) | instid1(VALU_DEP_2)
	v_add3_u32 v2, v15, v2, v16
	v_add3_u32 v6, v10, v6, v11
	s_cbranch_scc1 .LBB529_1110
; %bb.1111:
	s_and_b32 s7, s7, 3
	s_delay_alu instid0(SALU_CYCLE_1)
	s_cmp_eq_u32 s7, 0
	s_cbranch_scc0 .LBB529_1114
	s_branch .LBB529_1116
.LBB529_1112:
	s_mov_b32 s6, -1
                                        ; implicit-def: $vgpr2
                                        ; implicit-def: $vgpr6
	s_branch .LBB529_1116
.LBB529_1113:
	s_waitcnt vmcnt(0)
	v_dual_mov_b32 v5, v1 :: v_dual_mov_b32 v6, 0
	s_and_b32 s7, s7, 3
	s_delay_alu instid0(SALU_CYCLE_1)
	s_cmp_eq_u32 s7, 0
	s_cbranch_scc1 .LBB529_1116
.LBB529_1114:
	s_lshl_b32 s2, s10, 3
	s_mul_i32 s4, s10, 12
	s_add_u32 s2, s2, s16
	s_addc_u32 s3, 0, s17
	s_add_u32 s2, s2, 0xc4
	s_addc_u32 s3, s3, 0
	;; [unrolled: 2-line block ×3, first 2 shown]
	.p2align	6
.LBB529_1115:                           ; =>This Inner Loop Header: Depth=1
	s_clause 0x1
	s_load_b64 s[10:11], s[4:5], 0x4
	s_load_b32 s14, s[4:5], 0xc
	s_load_b64 s[12:13], s[2:3], 0x0
	s_add_u32 s4, s4, 12
	s_addc_u32 s5, s5, 0
	s_add_u32 s2, s2, 8
	s_addc_u32 s3, s3, 0
	s_add_i32 s7, s7, -1
	s_delay_alu instid0(SALU_CYCLE_1) | instskip(SKIP_2) | instid1(VALU_DEP_1)
	s_cmp_lg_u32 s7, 0
	s_waitcnt lgkmcnt(0)
	v_mul_hi_u32 v9, s11, v5
	v_add_nc_u32_e32 v9, v5, v9
	s_delay_alu instid0(VALU_DEP_1) | instskip(NEXT) | instid1(VALU_DEP_1)
	v_lshrrev_b32_e32 v12, s14, v9
	v_mul_lo_u32 v9, v12, s10
	s_delay_alu instid0(VALU_DEP_1) | instskip(NEXT) | instid1(VALU_DEP_1)
	v_sub_nc_u32_e32 v5, v5, v9
	v_mad_u64_u32 v[9:10], null, v5, s12, v[2:3]
	v_mad_u64_u32 v[10:11], null, v5, s13, v[6:7]
	s_delay_alu instid0(VALU_DEP_2) | instskip(NEXT) | instid1(VALU_DEP_2)
	v_dual_mov_b32 v5, v12 :: v_dual_mov_b32 v2, v9
	v_mov_b32_e32 v6, v10
	s_cbranch_scc1 .LBB529_1115
.LBB529_1116:
	s_and_not1_b32 vcc_lo, exec_lo, s6
	s_cbranch_vccnz .LBB529_1119
; %bb.1117:
	s_clause 0x1
	s_load_b128 s[4:7], s[16:17], 0x4
	s_load_b64 s[2:3], s[16:17], 0xc4
	s_cmp_lt_u32 s26, 2
	s_waitcnt lgkmcnt(0)
	v_mul_hi_u32 v2, s5, v1
	s_delay_alu instid0(VALU_DEP_1) | instskip(SKIP_1) | instid1(VALU_DEP_1)
	v_add_nc_u32_e32 v2, v1, v2
	s_waitcnt vmcnt(0)
	v_lshrrev_b32_e32 v5, s6, v2
	s_delay_alu instid0(VALU_DEP_1) | instskip(NEXT) | instid1(VALU_DEP_1)
	v_mul_lo_u32 v2, v5, s4
	v_sub_nc_u32_e32 v1, v1, v2
	s_delay_alu instid0(VALU_DEP_1)
	v_mul_lo_u32 v2, v1, s2
	v_mul_lo_u32 v6, v1, s3
	s_cbranch_scc1 .LBB529_1119
; %bb.1118:
	s_clause 0x1
	s_load_b128 s[4:7], s[16:17], 0x10
	s_load_b64 s[2:3], s[16:17], 0xcc
	s_waitcnt lgkmcnt(0)
	v_mul_hi_u32 v1, s5, v5
	s_delay_alu instid0(VALU_DEP_1) | instskip(NEXT) | instid1(VALU_DEP_1)
	v_add_nc_u32_e32 v1, v5, v1
	v_lshrrev_b32_e32 v1, s6, v1
	s_delay_alu instid0(VALU_DEP_1) | instskip(NEXT) | instid1(VALU_DEP_1)
	v_mul_lo_u32 v1, v1, s4
	v_sub_nc_u32_e32 v5, v5, v1
	s_delay_alu instid0(VALU_DEP_1) | instskip(SKIP_1) | instid1(VALU_DEP_2)
	v_mad_u64_u32 v[9:10], null, v5, s2, v[2:3]
	v_mad_u64_u32 v[1:2], null, v5, s3, v[6:7]
	v_mov_b32_e32 v2, v9
	s_delay_alu instid0(VALU_DEP_2)
	v_mov_b32_e32 v6, v1
.LBB529_1119:
	v_cmp_ne_u32_e32 vcc_lo, 1, v0
	v_add_nc_u32_e32 v4, 0x100, v4
	s_cbranch_vccnz .LBB529_1125
; %bb.1120:
	v_mov_b32_e32 v1, 0
	s_waitcnt vmcnt(0)
	v_mov_b32_e32 v5, 0
	s_cmp_lg_u32 s26, 0
	s_mov_b32 s6, 0
	s_cbranch_scc0 .LBB529_1129
; %bb.1121:
	s_min_u32 s7, s27, 15
	v_mov_b32_e32 v1, 0
	s_add_i32 s7, s7, 1
	s_cmp_eq_u32 s27, 2
	s_mov_b32 s10, 0
	s_cbranch_scc1 .LBB529_1126
; %bb.1122:
	v_mov_b32_e32 v5, 0
	v_mov_b32_e32 v1, 0
	;; [unrolled: 1-line block ×3, first 2 shown]
	s_add_u32 s2, s16, 0xc4
	s_addc_u32 s3, s17, 0
	s_and_b32 s10, s7, 28
	s_mov_b32 s11, 0
	s_mov_b64 s[4:5], s[16:17]
.LBB529_1123:                           ; =>This Inner Loop Header: Depth=1
	s_clause 0x1
	s_load_b256 s[36:43], s[4:5], 0x4
	s_load_b128 s[12:15], s[4:5], 0x24
	s_load_b256 s[44:51], s[2:3], 0x0
	s_add_u32 s4, s4, 48
	s_addc_u32 s5, s5, 0
	s_add_i32 s11, s11, 4
	s_add_u32 s2, s2, 32
	s_addc_u32 s3, s3, 0
	s_cmp_lg_u32 s10, s11
	s_waitcnt lgkmcnt(0)
	v_mul_hi_u32 v10, s37, v9
	s_delay_alu instid0(VALU_DEP_1) | instskip(NEXT) | instid1(VALU_DEP_1)
	v_add_nc_u32_e32 v10, v9, v10
	v_lshrrev_b32_e32 v10, s38, v10
	s_delay_alu instid0(VALU_DEP_1) | instskip(SKIP_1) | instid1(VALU_DEP_2)
	v_mul_hi_u32 v11, s40, v10
	v_mul_lo_u32 v13, v10, s36
	v_add_nc_u32_e32 v11, v10, v11
	s_delay_alu instid0(VALU_DEP_2) | instskip(NEXT) | instid1(VALU_DEP_2)
	v_sub_nc_u32_e32 v9, v9, v13
	v_lshrrev_b32_e32 v11, s41, v11
	s_delay_alu instid0(VALU_DEP_2) | instskip(SKIP_1) | instid1(VALU_DEP_3)
	v_mul_lo_u32 v13, v9, s44
	v_mul_lo_u32 v15, v9, s45
	v_mul_hi_u32 v12, s43, v11
	s_delay_alu instid0(VALU_DEP_1) | instskip(NEXT) | instid1(VALU_DEP_1)
	v_add_nc_u32_e32 v12, v11, v12
	v_lshrrev_b32_e32 v12, s12, v12
	s_delay_alu instid0(VALU_DEP_1) | instskip(SKIP_1) | instid1(VALU_DEP_2)
	v_mul_hi_u32 v14, s14, v12
	v_mul_lo_u32 v16, v12, s42
	v_add_nc_u32_e32 v9, v12, v14
	v_mul_lo_u32 v14, v11, s39
	s_delay_alu instid0(VALU_DEP_3) | instskip(NEXT) | instid1(VALU_DEP_3)
	v_sub_nc_u32_e32 v11, v11, v16
	v_lshrrev_b32_e32 v9, s15, v9
	s_delay_alu instid0(VALU_DEP_2) | instskip(SKIP_2) | instid1(VALU_DEP_4)
	v_mul_lo_u32 v16, v11, s48
	v_mul_lo_u32 v11, v11, s49
	v_sub_nc_u32_e32 v10, v10, v14
	v_mul_lo_u32 v17, v9, s13
	s_delay_alu instid0(VALU_DEP_2) | instskip(SKIP_1) | instid1(VALU_DEP_3)
	v_mul_lo_u32 v14, v10, s46
	v_mul_lo_u32 v10, v10, s47
	v_sub_nc_u32_e32 v12, v12, v17
	s_delay_alu instid0(VALU_DEP_3) | instskip(NEXT) | instid1(VALU_DEP_2)
	v_add3_u32 v1, v13, v1, v14
	v_mul_lo_u32 v17, v12, s50
	v_mul_lo_u32 v12, v12, s51
	v_add3_u32 v5, v15, v5, v10
	s_delay_alu instid0(VALU_DEP_3) | instskip(NEXT) | instid1(VALU_DEP_2)
	v_add3_u32 v1, v16, v1, v17
	v_add3_u32 v5, v11, v5, v12
	s_cbranch_scc1 .LBB529_1123
; %bb.1124:
	s_and_b32 s7, s7, 3
	s_delay_alu instid0(SALU_CYCLE_1)
	s_cmp_eq_u32 s7, 0
	s_cbranch_scc0 .LBB529_1127
	s_branch .LBB529_1129
.LBB529_1125:
	s_mov_b32 s6, -1
                                        ; implicit-def: $vgpr1
                                        ; implicit-def: $vgpr5
	s_branch .LBB529_1129
.LBB529_1126:
	v_mov_b32_e32 v9, v4
	v_mov_b32_e32 v5, 0
	s_and_b32 s7, s7, 3
	s_delay_alu instid0(SALU_CYCLE_1)
	s_cmp_eq_u32 s7, 0
	s_cbranch_scc1 .LBB529_1129
.LBB529_1127:
	s_lshl_b32 s2, s10, 3
	s_mul_i32 s4, s10, 12
	s_add_u32 s2, s2, s16
	s_addc_u32 s3, 0, s17
	s_add_u32 s2, s2, 0xc4
	s_addc_u32 s3, s3, 0
	;; [unrolled: 2-line block ×3, first 2 shown]
	.p2align	6
.LBB529_1128:                           ; =>This Inner Loop Header: Depth=1
	s_clause 0x1
	s_load_b64 s[10:11], s[4:5], 0x4
	s_load_b32 s14, s[4:5], 0xc
	s_load_b64 s[12:13], s[2:3], 0x0
	s_add_u32 s4, s4, 12
	s_addc_u32 s5, s5, 0
	s_add_u32 s2, s2, 8
	s_addc_u32 s3, s3, 0
	s_add_i32 s7, s7, -1
	s_delay_alu instid0(SALU_CYCLE_1) | instskip(SKIP_2) | instid1(VALU_DEP_1)
	s_cmp_lg_u32 s7, 0
	s_waitcnt lgkmcnt(0)
	v_mul_hi_u32 v10, s11, v9
	v_add_nc_u32_e32 v10, v9, v10
	s_delay_alu instid0(VALU_DEP_1) | instskip(NEXT) | instid1(VALU_DEP_1)
	v_lshrrev_b32_e32 v13, s14, v10
	v_mul_lo_u32 v10, v13, s10
	s_delay_alu instid0(VALU_DEP_1) | instskip(NEXT) | instid1(VALU_DEP_1)
	v_sub_nc_u32_e32 v9, v9, v10
	v_mad_u64_u32 v[10:11], null, v9, s12, v[1:2]
	v_mad_u64_u32 v[11:12], null, v9, s13, v[5:6]
	v_mov_b32_e32 v9, v13
	s_delay_alu instid0(VALU_DEP_3) | instskip(NEXT) | instid1(VALU_DEP_3)
	v_mov_b32_e32 v1, v10
	v_mov_b32_e32 v5, v11
	s_cbranch_scc1 .LBB529_1128
.LBB529_1129:
	s_and_not1_b32 vcc_lo, exec_lo, s6
	s_cbranch_vccnz .LBB529_1132
; %bb.1130:
	s_clause 0x1
	s_load_b128 s[4:7], s[16:17], 0x4
	s_load_b64 s[2:3], s[16:17], 0xc4
	s_cmp_lt_u32 s26, 2
	s_waitcnt lgkmcnt(0)
	v_mul_hi_u32 v1, s5, v4
	s_delay_alu instid0(VALU_DEP_1) | instskip(NEXT) | instid1(VALU_DEP_1)
	v_add_nc_u32_e32 v1, v4, v1
	v_lshrrev_b32_e32 v9, s6, v1
	s_delay_alu instid0(VALU_DEP_1) | instskip(NEXT) | instid1(VALU_DEP_1)
	v_mul_lo_u32 v1, v9, s4
	v_sub_nc_u32_e32 v4, v4, v1
	s_delay_alu instid0(VALU_DEP_1)
	v_mul_lo_u32 v1, v4, s2
	s_waitcnt vmcnt(0)
	v_mul_lo_u32 v5, v4, s3
	s_cbranch_scc1 .LBB529_1132
; %bb.1131:
	s_clause 0x1
	s_load_b128 s[4:7], s[16:17], 0x10
	s_load_b64 s[2:3], s[16:17], 0xcc
	s_waitcnt lgkmcnt(0)
	v_mul_hi_u32 v4, s5, v9
	s_delay_alu instid0(VALU_DEP_1) | instskip(NEXT) | instid1(VALU_DEP_1)
	v_add_nc_u32_e32 v4, v9, v4
	v_lshrrev_b32_e32 v4, s6, v4
	s_delay_alu instid0(VALU_DEP_1) | instskip(NEXT) | instid1(VALU_DEP_1)
	v_mul_lo_u32 v4, v4, s4
	v_sub_nc_u32_e32 v4, v9, v4
	s_delay_alu instid0(VALU_DEP_1) | instskip(SKIP_1) | instid1(VALU_DEP_2)
	v_mad_u64_u32 v[9:10], null, v4, s2, v[1:2]
	v_mad_u64_u32 v[10:11], null, v4, s3, v[5:6]
	v_mov_b32_e32 v1, v9
	s_delay_alu instid0(VALU_DEP_2)
	v_mov_b32_e32 v5, v10
.LBB529_1132:
	v_cmp_ne_u32_e32 vcc_lo, 1, v0
	s_cbranch_vccnz .LBB529_1138
; %bb.1133:
	v_mov_b32_e32 v0, 0
	v_mov_b32_e32 v4, 0
	s_cmp_lg_u32 s26, 0
	s_mov_b32 s6, 0
	s_cbranch_scc0 .LBB529_1142
; %bb.1134:
	s_min_u32 s7, s27, 15
	v_mov_b32_e32 v0, 0
	s_add_i32 s7, s7, 1
	s_cmp_eq_u32 s27, 2
	s_mov_b32 s10, 0
	s_cbranch_scc1 .LBB529_1139
; %bb.1135:
	v_dual_mov_b32 v4, 0 :: v_dual_mov_b32 v9, v8
	v_mov_b32_e32 v0, 0
	s_add_u32 s2, s16, 0xc4
	s_addc_u32 s3, s17, 0
	s_and_b32 s10, s7, 28
	s_mov_b32 s11, 0
	s_mov_b64 s[4:5], s[16:17]
.LBB529_1136:                           ; =>This Inner Loop Header: Depth=1
	s_clause 0x1
	s_load_b256 s[36:43], s[4:5], 0x4
	s_load_b128 s[12:15], s[4:5], 0x24
	s_load_b256 s[44:51], s[2:3], 0x0
	s_add_u32 s4, s4, 48
	s_addc_u32 s5, s5, 0
	s_add_i32 s11, s11, 4
	s_add_u32 s2, s2, 32
	s_addc_u32 s3, s3, 0
	s_cmp_lg_u32 s10, s11
	s_waitcnt lgkmcnt(0)
	v_mul_hi_u32 v10, s37, v9
	s_delay_alu instid0(VALU_DEP_1) | instskip(NEXT) | instid1(VALU_DEP_1)
	v_add_nc_u32_e32 v10, v9, v10
	v_lshrrev_b32_e32 v10, s38, v10
	s_delay_alu instid0(VALU_DEP_1) | instskip(SKIP_1) | instid1(VALU_DEP_2)
	v_mul_hi_u32 v11, s40, v10
	v_mul_lo_u32 v13, v10, s36
	v_add_nc_u32_e32 v11, v10, v11
	s_delay_alu instid0(VALU_DEP_2) | instskip(NEXT) | instid1(VALU_DEP_2)
	v_sub_nc_u32_e32 v9, v9, v13
	v_lshrrev_b32_e32 v11, s41, v11
	s_delay_alu instid0(VALU_DEP_2) | instskip(SKIP_1) | instid1(VALU_DEP_3)
	v_mul_lo_u32 v13, v9, s44
	v_mul_lo_u32 v15, v9, s45
	v_mul_hi_u32 v12, s43, v11
	s_delay_alu instid0(VALU_DEP_1) | instskip(NEXT) | instid1(VALU_DEP_1)
	v_add_nc_u32_e32 v12, v11, v12
	v_lshrrev_b32_e32 v12, s12, v12
	s_delay_alu instid0(VALU_DEP_1) | instskip(SKIP_1) | instid1(VALU_DEP_2)
	v_mul_hi_u32 v14, s14, v12
	v_mul_lo_u32 v16, v12, s42
	v_add_nc_u32_e32 v9, v12, v14
	v_mul_lo_u32 v14, v11, s39
	s_delay_alu instid0(VALU_DEP_3) | instskip(NEXT) | instid1(VALU_DEP_3)
	v_sub_nc_u32_e32 v11, v11, v16
	v_lshrrev_b32_e32 v9, s15, v9
	s_delay_alu instid0(VALU_DEP_2) | instskip(SKIP_2) | instid1(VALU_DEP_4)
	v_mul_lo_u32 v16, v11, s48
	v_mul_lo_u32 v11, v11, s49
	v_sub_nc_u32_e32 v10, v10, v14
	v_mul_lo_u32 v17, v9, s13
	s_delay_alu instid0(VALU_DEP_2) | instskip(SKIP_1) | instid1(VALU_DEP_3)
	v_mul_lo_u32 v14, v10, s46
	v_mul_lo_u32 v10, v10, s47
	v_sub_nc_u32_e32 v12, v12, v17
	s_delay_alu instid0(VALU_DEP_3) | instskip(NEXT) | instid1(VALU_DEP_2)
	v_add3_u32 v0, v13, v0, v14
	v_mul_lo_u32 v17, v12, s50
	v_mul_lo_u32 v12, v12, s51
	v_add3_u32 v4, v15, v4, v10
	s_delay_alu instid0(VALU_DEP_3) | instskip(NEXT) | instid1(VALU_DEP_2)
	v_add3_u32 v0, v16, v0, v17
	v_add3_u32 v4, v11, v4, v12
	s_cbranch_scc1 .LBB529_1136
; %bb.1137:
	s_and_b32 s7, s7, 3
	s_delay_alu instid0(SALU_CYCLE_1)
	s_cmp_eq_u32 s7, 0
	s_cbranch_scc0 .LBB529_1140
	s_branch .LBB529_1142
.LBB529_1138:
	s_mov_b32 s6, -1
                                        ; implicit-def: $vgpr0
                                        ; implicit-def: $vgpr4
	s_branch .LBB529_1142
.LBB529_1139:
	v_dual_mov_b32 v9, v8 :: v_dual_mov_b32 v4, 0
	s_and_b32 s7, s7, 3
	s_delay_alu instid0(SALU_CYCLE_1)
	s_cmp_eq_u32 s7, 0
	s_cbranch_scc1 .LBB529_1142
.LBB529_1140:
	s_lshl_b32 s2, s10, 3
	s_mul_i32 s4, s10, 12
	s_add_u32 s2, s2, s16
	s_addc_u32 s3, 0, s17
	s_add_u32 s2, s2, 0xc4
	s_addc_u32 s3, s3, 0
	s_add_u32 s4, s16, s4
	s_addc_u32 s5, 0, s17
	.p2align	6
.LBB529_1141:                           ; =>This Inner Loop Header: Depth=1
	s_clause 0x1
	s_load_b64 s[10:11], s[4:5], 0x4
	s_load_b32 s14, s[4:5], 0xc
	s_load_b64 s[12:13], s[2:3], 0x0
	s_add_u32 s4, s4, 12
	s_addc_u32 s5, s5, 0
	s_add_u32 s2, s2, 8
	s_addc_u32 s3, s3, 0
	s_add_i32 s7, s7, -1
	s_delay_alu instid0(SALU_CYCLE_1) | instskip(SKIP_2) | instid1(VALU_DEP_1)
	s_cmp_lg_u32 s7, 0
	s_waitcnt lgkmcnt(0)
	v_mul_hi_u32 v10, s11, v9
	v_add_nc_u32_e32 v10, v9, v10
	s_delay_alu instid0(VALU_DEP_1) | instskip(NEXT) | instid1(VALU_DEP_1)
	v_lshrrev_b32_e32 v13, s14, v10
	v_mul_lo_u32 v10, v13, s10
	s_delay_alu instid0(VALU_DEP_1) | instskip(NEXT) | instid1(VALU_DEP_1)
	v_sub_nc_u32_e32 v9, v9, v10
	v_mad_u64_u32 v[10:11], null, v9, s12, v[0:1]
	s_waitcnt vmcnt(0)
	v_mad_u64_u32 v[11:12], null, v9, s13, v[4:5]
	s_delay_alu instid0(VALU_DEP_2) | instskip(NEXT) | instid1(VALU_DEP_2)
	v_dual_mov_b32 v9, v13 :: v_dual_mov_b32 v0, v10
	v_mov_b32_e32 v4, v11
	s_cbranch_scc1 .LBB529_1141
.LBB529_1142:
	s_and_not1_b32 vcc_lo, exec_lo, s6
	s_cbranch_vccnz .LBB529_1145
; %bb.1143:
	s_clause 0x1
	s_load_b128 s[4:7], s[16:17], 0x4
	s_load_b64 s[2:3], s[16:17], 0xc4
	s_cmp_lt_u32 s26, 2
	s_waitcnt lgkmcnt(0)
	v_mul_hi_u32 v0, s5, v8
	s_delay_alu instid0(VALU_DEP_1) | instskip(NEXT) | instid1(VALU_DEP_1)
	v_add_nc_u32_e32 v0, v8, v0
	v_lshrrev_b32_e32 v9, s6, v0
	s_delay_alu instid0(VALU_DEP_1) | instskip(NEXT) | instid1(VALU_DEP_1)
	v_mul_lo_u32 v0, v9, s4
	v_sub_nc_u32_e32 v4, v8, v0
	s_delay_alu instid0(VALU_DEP_1)
	v_mul_lo_u32 v0, v4, s2
	v_mul_lo_u32 v4, v4, s3
	s_cbranch_scc1 .LBB529_1145
; %bb.1144:
	s_clause 0x1
	s_load_b128 s[4:7], s[16:17], 0x10
	s_load_b64 s[2:3], s[16:17], 0xcc
	s_waitcnt lgkmcnt(0)
	v_mul_hi_u32 v8, s5, v9
	s_delay_alu instid0(VALU_DEP_1) | instskip(NEXT) | instid1(VALU_DEP_1)
	v_add_nc_u32_e32 v8, v9, v8
	v_lshrrev_b32_e32 v8, s6, v8
	s_delay_alu instid0(VALU_DEP_1) | instskip(NEXT) | instid1(VALU_DEP_1)
	v_mul_lo_u32 v8, v8, s4
	v_sub_nc_u32_e32 v11, v9, v8
	s_delay_alu instid0(VALU_DEP_1) | instskip(SKIP_2) | instid1(VALU_DEP_2)
	v_mad_u64_u32 v[8:9], null, v11, s2, v[0:1]
	s_waitcnt vmcnt(0)
	v_mad_u64_u32 v[9:10], null, v11, s3, v[4:5]
	v_mov_b32_e32 v0, v8
	s_delay_alu instid0(VALU_DEP_2)
	v_mov_b32_e32 v4, v9
.LBB529_1145:
	s_clause 0x1
	s_load_b32 s3, s[0:1], 0x164
	s_load_b128 s[4:7], s[16:17], 0x148
	s_mov_b32 s12, 0
	s_waitcnt lgkmcnt(0)
	s_lshr_b32 s10, s3, 24
	v_add_co_u32 v7, s11, s6, v7
	v_cmp_lt_i16_e64 s2, s10, 11
	v_add_co_ci_u32_e64 v8, null, s7, 0, s11
	s_delay_alu instid0(VALU_DEP_2)
	s_and_b32 vcc_lo, exec_lo, s2
	s_cbranch_vccnz .LBB529_1152
; %bb.1146:
	v_cmp_gt_i16_e64 s2, s10, 25
	s_mov_b32 s11, 0
	s_delay_alu instid0(VALU_DEP_1)
	s_and_b32 vcc_lo, exec_lo, s2
	s_cbranch_vccz .LBB529_1158
; %bb.1147:
	v_cmp_gt_i16_e64 s2, s10, 28
	s_delay_alu instid0(VALU_DEP_1)
	s_and_b32 vcc_lo, exec_lo, s2
	s_cbranch_vccz .LBB529_1160
; %bb.1148:
	v_cmp_gt_i16_e64 s2, s10, 43
	;; [unrolled: 5-line block ×3, first 2 shown]
	s_delay_alu instid0(VALU_DEP_1)
	s_and_b32 vcc_lo, exec_lo, s2
	s_cbranch_vccz .LBB529_1166
; %bb.1150:
	v_cmp_eq_u16_e64 s2, s10, 46
	s_mov_b32 s13, 0
	s_delay_alu instid0(VALU_DEP_1)
	s_and_b32 vcc_lo, exec_lo, s2
	s_cbranch_vccz .LBB529_1208
; %bb.1151:
	global_load_b32 v9, v[7:8], off
	s_mov_b32 s2, 0
	s_mov_b32 s12, -1
	s_waitcnt vmcnt(0)
	v_lshlrev_b32_e32 v9, 16, v9
	s_delay_alu instid0(VALU_DEP_1)
	v_cvt_f16_f32_e32 v9, v9
	s_branch .LBB529_1210
.LBB529_1152:
	s_mov_b32 s2, s8
                                        ; implicit-def: $vgpr9
	s_cbranch_execz .LBB529_1273
; %bb.1153:
	v_cmp_lt_i16_e64 s11, s10, 5
	s_delay_alu instid0(VALU_DEP_1)
	s_and_b32 vcc_lo, exec_lo, s11
	s_cbranch_vccnz .LBB529_1159
; %bb.1154:
	v_cmp_lt_i16_e64 s11, s10, 8
	s_delay_alu instid0(VALU_DEP_1)
	s_and_b32 vcc_lo, exec_lo, s11
	s_cbranch_vccnz .LBB529_1161
	;; [unrolled: 5-line block ×3, first 2 shown]
; %bb.1156:
	v_cmp_gt_i16_e64 s11, s10, 9
	s_delay_alu instid0(VALU_DEP_1)
	s_and_b32 vcc_lo, exec_lo, s11
	s_cbranch_vccz .LBB529_1167
; %bb.1157:
	global_load_b64 v[9:10], v[7:8], off
	s_mov_b32 s11, 0
	s_waitcnt vmcnt(0)
	v_cvt_f32_f64_e32 v9, v[9:10]
	s_delay_alu instid0(VALU_DEP_1)
	v_cvt_f16_f32_e32 v9, v9
	s_branch .LBB529_1168
.LBB529_1158:
	s_mov_b32 s2, 0
                                        ; implicit-def: $vgpr9
	s_cbranch_execnz .LBB529_1238
	s_branch .LBB529_1269
.LBB529_1159:
                                        ; implicit-def: $vgpr9
	s_branch .LBB529_1185
.LBB529_1160:
	s_mov_b32 s13, -1
	s_mov_b32 s2, 0
                                        ; implicit-def: $vgpr9
	s_branch .LBB529_1219
.LBB529_1161:
                                        ; implicit-def: $vgpr9
	s_branch .LBB529_1174
.LBB529_1162:
	s_mov_b32 s2, 0
                                        ; implicit-def: $vgpr9
	s_cbranch_execnz .LBB529_1215
	s_branch .LBB529_1218
.LBB529_1163:
	s_mov_b32 s11, -1
                                        ; implicit-def: $vgpr9
	s_branch .LBB529_1171
.LBB529_1164:
	s_cbranch_execnz .LBB529_1206
; %bb.1165:
	s_or_b32 s3, s3, exec_lo
	s_and_not1_b32 s8, s8, exec_lo
	s_or_b32 exec_lo, exec_lo, s2
	s_and_saveexec_b32 s2, s8
	s_delay_alu instid0(SALU_CYCLE_1)
	s_xor_b32 s2, exec_lo, s2
	s_cbranch_execnz .LBB529_1052
	s_branch .LBB529_1053
.LBB529_1166:
	s_mov_b32 s13, -1
	s_mov_b32 s2, 0
	s_branch .LBB529_1209
.LBB529_1167:
	s_mov_b32 s11, -1
                                        ; implicit-def: $vgpr9
.LBB529_1168:
	s_delay_alu instid0(SALU_CYCLE_1)
	s_and_not1_b32 vcc_lo, exec_lo, s11
	s_cbranch_vccnz .LBB529_1170
; %bb.1169:
	global_load_b32 v9, v[7:8], off
	s_waitcnt vmcnt(0)
	v_cvt_f16_f32_e32 v9, v9
.LBB529_1170:
	s_mov_b32 s11, 0
.LBB529_1171:
	s_delay_alu instid0(SALU_CYCLE_1)
	s_and_not1_b32 vcc_lo, exec_lo, s11
	s_cbranch_vccnz .LBB529_1173
; %bb.1172:
	global_load_b32 v9, v[7:8], off
.LBB529_1173:
	s_cbranch_execnz .LBB529_1184
.LBB529_1174:
	v_cmp_lt_i16_e64 s11, s10, 6
	s_delay_alu instid0(VALU_DEP_1)
	s_and_b32 vcc_lo, exec_lo, s11
	s_cbranch_vccnz .LBB529_1177
; %bb.1175:
	v_cmp_gt_i16_e64 s11, s10, 6
	s_delay_alu instid0(VALU_DEP_1)
	s_and_b32 vcc_lo, exec_lo, s11
	s_cbranch_vccz .LBB529_1178
; %bb.1176:
	global_load_b64 v[9:10], v[7:8], off
	s_mov_b32 s11, 0
	s_waitcnt vmcnt(0)
	v_cvt_f32_f64_e32 v9, v[9:10]
	s_delay_alu instid0(VALU_DEP_1)
	v_cvt_f16_f32_e32 v9, v9
	s_branch .LBB529_1179
.LBB529_1177:
	s_mov_b32 s11, -1
                                        ; implicit-def: $vgpr9
	s_branch .LBB529_1182
.LBB529_1178:
	s_mov_b32 s11, -1
                                        ; implicit-def: $vgpr9
.LBB529_1179:
	s_delay_alu instid0(SALU_CYCLE_1)
	s_and_not1_b32 vcc_lo, exec_lo, s11
	s_cbranch_vccnz .LBB529_1181
; %bb.1180:
	global_load_b32 v9, v[7:8], off
	s_waitcnt vmcnt(0)
	v_cvt_f16_f32_e32 v9, v9
.LBB529_1181:
	s_mov_b32 s11, 0
.LBB529_1182:
	s_delay_alu instid0(SALU_CYCLE_1)
	s_and_not1_b32 vcc_lo, exec_lo, s11
	s_cbranch_vccnz .LBB529_1184
; %bb.1183:
	global_load_u16 v9, v[7:8], off
.LBB529_1184:
	s_cbranch_execnz .LBB529_1203
.LBB529_1185:
	v_cmp_lt_i16_e64 s11, s10, 2
	s_delay_alu instid0(VALU_DEP_1)
	s_and_b32 vcc_lo, exec_lo, s11
	s_cbranch_vccnz .LBB529_1189
; %bb.1186:
	v_cmp_lt_i16_e64 s11, s10, 3
	s_delay_alu instid0(VALU_DEP_1)
	s_and_b32 vcc_lo, exec_lo, s11
	s_cbranch_vccnz .LBB529_1190
; %bb.1187:
	v_cmp_gt_i16_e64 s11, s10, 3
	s_delay_alu instid0(VALU_DEP_1)
	s_and_b32 vcc_lo, exec_lo, s11
	s_cbranch_vccz .LBB529_1191
; %bb.1188:
	global_load_b64 v[9:10], v[7:8], off
	s_mov_b32 s11, 0
	s_waitcnt vmcnt(0)
	v_xor_b32_e32 v11, v9, v10
	v_cls_i32_e32 v12, v10
	s_delay_alu instid0(VALU_DEP_2) | instskip(NEXT) | instid1(VALU_DEP_2)
	v_ashrrev_i32_e32 v11, 31, v11
	v_add_nc_u32_e32 v12, -1, v12
	s_delay_alu instid0(VALU_DEP_2) | instskip(NEXT) | instid1(VALU_DEP_1)
	v_add_nc_u32_e32 v11, 32, v11
	v_min_u32_e32 v11, v12, v11
	s_delay_alu instid0(VALU_DEP_1) | instskip(NEXT) | instid1(VALU_DEP_1)
	v_lshlrev_b64 v[9:10], v11, v[9:10]
	v_min_u32_e32 v9, 1, v9
	s_delay_alu instid0(VALU_DEP_1) | instskip(SKIP_1) | instid1(VALU_DEP_2)
	v_or_b32_e32 v9, v10, v9
	v_sub_nc_u32_e32 v10, 32, v11
	v_cvt_f32_i32_e32 v9, v9
	s_delay_alu instid0(VALU_DEP_1) | instskip(NEXT) | instid1(VALU_DEP_1)
	v_ldexp_f32 v9, v9, v10
	v_cvt_f16_f32_e32 v9, v9
	s_branch .LBB529_1192
.LBB529_1189:
                                        ; implicit-def: $vgpr9
	s_branch .LBB529_1198
.LBB529_1190:
	s_mov_b32 s11, -1
                                        ; implicit-def: $vgpr9
	s_branch .LBB529_1195
.LBB529_1191:
	s_mov_b32 s11, -1
                                        ; implicit-def: $vgpr9
.LBB529_1192:
	s_delay_alu instid0(SALU_CYCLE_1)
	s_and_not1_b32 vcc_lo, exec_lo, s11
	s_cbranch_vccnz .LBB529_1194
; %bb.1193:
	global_load_b32 v9, v[7:8], off
	s_waitcnt vmcnt(0)
	v_cvt_f32_i32_e32 v9, v9
	s_delay_alu instid0(VALU_DEP_1)
	v_cvt_f16_f32_e32 v9, v9
.LBB529_1194:
	s_mov_b32 s11, 0
.LBB529_1195:
	s_delay_alu instid0(SALU_CYCLE_1)
	s_and_not1_b32 vcc_lo, exec_lo, s11
	s_cbranch_vccnz .LBB529_1197
; %bb.1196:
	global_load_u16 v9, v[7:8], off
	s_waitcnt vmcnt(0)
	v_cvt_f16_i16_e32 v9, v9
.LBB529_1197:
	s_cbranch_execnz .LBB529_1203
.LBB529_1198:
	v_cmp_gt_i16_e64 s11, s10, 0
	s_delay_alu instid0(VALU_DEP_1)
	s_and_b32 vcc_lo, exec_lo, s11
	s_mov_b32 s11, 0
	s_cbranch_vccz .LBB529_1200
; %bb.1199:
	global_load_i8 v9, v[7:8], off
	s_waitcnt vmcnt(0)
	v_cvt_f16_i16_e32 v9, v9
	s_branch .LBB529_1201
.LBB529_1200:
	s_mov_b32 s11, -1
                                        ; implicit-def: $vgpr9
.LBB529_1201:
	s_delay_alu instid0(SALU_CYCLE_1)
	s_and_not1_b32 vcc_lo, exec_lo, s11
	s_cbranch_vccnz .LBB529_1203
; %bb.1202:
	global_load_u8 v7, v[7:8], off
	s_waitcnt vmcnt(0)
	v_cvt_f16_u16_e32 v9, v7
.LBB529_1203:
	s_branch .LBB529_1274
.LBB529_1204:
	s_trap 2
	s_sendmsg_rtn_b32 s0, sendmsg(MSG_RTN_GET_DOORBELL)
	s_mov_b32 ttmp2, m0
	s_waitcnt lgkmcnt(0)
	s_and_b32 s0, s0, 0x3ff
	s_delay_alu instid0(SALU_CYCLE_1) | instskip(NEXT) | instid1(SALU_CYCLE_1)
	s_bitset1_b32 s0, 10
	s_mov_b32 m0, s0
	s_sendmsg sendmsg(MSG_INTERRUPT)
	s_mov_b32 m0, ttmp2
.LBB529_1205:                           ; =>This Inner Loop Header: Depth=1
	s_sethalt 5
	s_branch .LBB529_1205
.LBB529_1206:
	s_trap 2
	s_sendmsg_rtn_b32 s0, sendmsg(MSG_RTN_GET_DOORBELL)
	s_mov_b32 ttmp2, m0
	s_waitcnt lgkmcnt(0)
	s_and_b32 s0, s0, 0x3ff
	s_delay_alu instid0(SALU_CYCLE_1) | instskip(NEXT) | instid1(SALU_CYCLE_1)
	s_bitset1_b32 s0, 10
	s_mov_b32 m0, s0
	s_sendmsg sendmsg(MSG_INTERRUPT)
	s_mov_b32 m0, ttmp2
.LBB529_1207:                           ; =>This Inner Loop Header: Depth=1
	s_sethalt 5
	s_branch .LBB529_1207
.LBB529_1208:
	s_mov_b32 s2, -1
.LBB529_1209:
                                        ; implicit-def: $vgpr9
.LBB529_1210:
	s_and_b32 vcc_lo, exec_lo, s13
	s_cbranch_vccz .LBB529_1213
; %bb.1211:
	v_cmp_eq_u16_e64 s2, s10, 44
	s_delay_alu instid0(VALU_DEP_1)
	s_and_b32 vcc_lo, exec_lo, s2
	s_cbranch_vccz .LBB529_1214
; %bb.1212:
	global_load_u8 v9, v[7:8], off
	s_mov_b32 s2, 0
	s_mov_b32 s12, -1
	s_waitcnt vmcnt(0)
	v_lshlrev_b32_e32 v10, 23, v9
	v_cmp_ne_u32_e32 vcc_lo, 0xff, v9
	s_delay_alu instid0(VALU_DEP_2) | instskip(NEXT) | instid1(VALU_DEP_1)
	v_cvt_f16_f32_e32 v10, v10
	v_cndmask_b32_e32 v10, 0x7e00, v10, vcc_lo
	v_cmp_ne_u32_e32 vcc_lo, 0, v9
	s_delay_alu instid0(VALU_DEP_2)
	v_cndmask_b32_e32 v9, 0, v10, vcc_lo
.LBB529_1213:
	s_branch .LBB529_1218
.LBB529_1214:
	s_mov_b32 s2, -1
                                        ; implicit-def: $vgpr9
	s_branch .LBB529_1218
.LBB529_1215:
	v_cmp_eq_u16_e64 s2, s10, 29
	s_delay_alu instid0(VALU_DEP_1)
	s_and_b32 vcc_lo, exec_lo, s2
	s_cbranch_vccz .LBB529_1217
; %bb.1216:
	global_load_b64 v[9:10], v[7:8], off
	s_mov_b32 s2, 0
	s_mov_b32 s12, -1
	s_mov_b32 s13, 0
	s_waitcnt vmcnt(0)
	v_clz_i32_u32_e32 v11, v10
	s_delay_alu instid0(VALU_DEP_1) | instskip(NEXT) | instid1(VALU_DEP_1)
	v_min_u32_e32 v11, 32, v11
	v_lshlrev_b64 v[9:10], v11, v[9:10]
	s_delay_alu instid0(VALU_DEP_1) | instskip(NEXT) | instid1(VALU_DEP_1)
	v_min_u32_e32 v9, 1, v9
	v_or_b32_e32 v9, v10, v9
	v_sub_nc_u32_e32 v10, 32, v11
	s_delay_alu instid0(VALU_DEP_2) | instskip(NEXT) | instid1(VALU_DEP_1)
	v_cvt_f32_u32_e32 v9, v9
	v_ldexp_f32 v9, v9, v10
	s_delay_alu instid0(VALU_DEP_1)
	v_cvt_f16_f32_e32 v9, v9
	s_branch .LBB529_1219
.LBB529_1217:
	s_mov_b32 s2, -1
                                        ; implicit-def: $vgpr9
.LBB529_1218:
	s_mov_b32 s13, 0
.LBB529_1219:
	s_delay_alu instid0(SALU_CYCLE_1)
	s_and_b32 vcc_lo, exec_lo, s13
	s_cbranch_vccz .LBB529_1237
; %bb.1220:
	v_cmp_lt_i16_e64 s12, s10, 27
	s_delay_alu instid0(VALU_DEP_1)
	s_and_b32 vcc_lo, exec_lo, s12
	s_cbranch_vccnz .LBB529_1223
; %bb.1221:
	v_cmp_gt_i16_e64 s12, s10, 27
	s_delay_alu instid0(VALU_DEP_1)
	s_and_b32 vcc_lo, exec_lo, s12
	s_cbranch_vccz .LBB529_1224
; %bb.1222:
	global_load_b32 v9, v[7:8], off
	s_mov_b32 s12, 0
	s_waitcnt vmcnt(0)
	v_cvt_f32_u32_e32 v9, v9
	s_delay_alu instid0(VALU_DEP_1)
	v_cvt_f16_f32_e32 v9, v9
	s_branch .LBB529_1225
.LBB529_1223:
	s_mov_b32 s12, -1
                                        ; implicit-def: $vgpr9
	s_branch .LBB529_1228
.LBB529_1224:
	s_mov_b32 s12, -1
                                        ; implicit-def: $vgpr9
.LBB529_1225:
	s_delay_alu instid0(SALU_CYCLE_1)
	s_and_not1_b32 vcc_lo, exec_lo, s12
	s_cbranch_vccnz .LBB529_1227
; %bb.1226:
	global_load_u16 v9, v[7:8], off
	s_waitcnt vmcnt(0)
	v_cvt_f16_u16_e32 v9, v9
.LBB529_1227:
	s_mov_b32 s12, 0
.LBB529_1228:
	s_delay_alu instid0(SALU_CYCLE_1)
	s_and_not1_b32 vcc_lo, exec_lo, s12
	s_cbranch_vccnz .LBB529_1236
; %bb.1229:
	global_load_u8 v10, v[7:8], off
	s_mov_b32 s12, 0
	s_mov_b32 s14, exec_lo
                                        ; implicit-def: $sgpr13
	s_waitcnt vmcnt(0)
	v_cmpx_lt_i16_e32 0x7f, v10
	s_xor_b32 s14, exec_lo, s14
	s_cbranch_execz .LBB529_1249
; %bb.1230:
	s_mov_b32 s12, -1
	s_mov_b32 s15, exec_lo
                                        ; implicit-def: $sgpr13
	v_cmpx_eq_u16_e32 0x80, v10
; %bb.1231:
	s_movk_i32 s13, 0x7e00
	s_xor_b32 s12, exec_lo, -1
; %bb.1232:
	s_or_b32 exec_lo, exec_lo, s15
	s_delay_alu instid0(SALU_CYCLE_1)
	s_and_b32 s12, s12, exec_lo
	s_or_saveexec_b32 s14, s14
	v_mov_b32_e32 v9, s13
	s_xor_b32 exec_lo, exec_lo, s14
	s_cbranch_execnz .LBB529_1250
.LBB529_1233:
	s_or_b32 exec_lo, exec_lo, s14
	s_and_saveexec_b32 s13, s12
	s_cbranch_execz .LBB529_1235
.LBB529_1234:
	v_and_b32_e32 v9, 0xffff, v10
	s_delay_alu instid0(VALU_DEP_1) | instskip(NEXT) | instid1(VALU_DEP_1)
	v_and_b32_e32 v11, 7, v9
	v_clz_i32_u32_e32 v12, v11
	s_delay_alu instid0(VALU_DEP_1) | instskip(NEXT) | instid1(VALU_DEP_1)
	v_min_u32_e32 v12, 32, v12
	v_subrev_nc_u32_e32 v13, 28, v12
	v_sub_nc_u32_e32 v12, 29, v12
	s_delay_alu instid0(VALU_DEP_2) | instskip(SKIP_1) | instid1(VALU_DEP_2)
	v_lshlrev_b32_e32 v13, v13, v9
	v_bfe_u32 v9, v9, 3, 4
	v_and_b32_e32 v13, 7, v13
	s_delay_alu instid0(VALU_DEP_2) | instskip(SKIP_1) | instid1(VALU_DEP_1)
	v_cmp_eq_u32_e32 vcc_lo, 0, v9
	v_dual_cndmask_b32 v9, v9, v12 :: v_dual_lshlrev_b32 v10, 24, v10
	v_dual_cndmask_b32 v11, v11, v13 :: v_dual_and_b32 v10, 0x80000000, v10
	s_delay_alu instid0(VALU_DEP_2) | instskip(NEXT) | instid1(VALU_DEP_2)
	v_lshl_add_u32 v9, v9, 23, 0x3b800000
	v_lshlrev_b32_e32 v11, 20, v11
	s_delay_alu instid0(VALU_DEP_1) | instskip(NEXT) | instid1(VALU_DEP_1)
	v_or3_b32 v9, v10, v9, v11
	v_cvt_f16_f32_e32 v9, v9
.LBB529_1235:
	s_or_b32 exec_lo, exec_lo, s13
.LBB529_1236:
	s_mov_b32 s12, -1
.LBB529_1237:
	s_branch .LBB529_1269
.LBB529_1238:
	v_cmp_gt_i16_e64 s11, s10, 22
	s_delay_alu instid0(VALU_DEP_1)
	s_and_b32 vcc_lo, exec_lo, s11
	s_cbranch_vccz .LBB529_1248
; %bb.1239:
	v_cmp_lt_i16_e64 s11, s10, 24
	s_delay_alu instid0(VALU_DEP_1)
	s_and_b32 vcc_lo, exec_lo, s11
	s_cbranch_vccnz .LBB529_1251
; %bb.1240:
	v_cmp_gt_i16_e64 s11, s10, 24
	s_delay_alu instid0(VALU_DEP_1)
	s_and_b32 vcc_lo, exec_lo, s11
	s_cbranch_vccz .LBB529_1252
; %bb.1241:
	global_load_u8 v10, v[7:8], off
	s_mov_b32 s11, 0
	s_mov_b32 s13, exec_lo
                                        ; implicit-def: $sgpr12
	s_waitcnt vmcnt(0)
	v_cmpx_lt_i16_e32 0x7f, v10
	s_xor_b32 s13, exec_lo, s13
	s_cbranch_execz .LBB529_1263
; %bb.1242:
	s_mov_b32 s11, -1
	s_mov_b32 s14, exec_lo
                                        ; implicit-def: $sgpr12
	v_cmpx_eq_u16_e32 0x80, v10
; %bb.1243:
	s_movk_i32 s12, 0x7e00
	s_xor_b32 s11, exec_lo, -1
; %bb.1244:
	s_or_b32 exec_lo, exec_lo, s14
	s_delay_alu instid0(SALU_CYCLE_1)
	s_and_b32 s11, s11, exec_lo
	s_or_saveexec_b32 s13, s13
	v_mov_b32_e32 v9, s12
	s_xor_b32 exec_lo, exec_lo, s13
	s_cbranch_execnz .LBB529_1264
.LBB529_1245:
	s_or_b32 exec_lo, exec_lo, s13
	s_and_saveexec_b32 s12, s11
	s_cbranch_execz .LBB529_1247
.LBB529_1246:
	v_and_b32_e32 v9, 0xffff, v10
	s_delay_alu instid0(VALU_DEP_1) | instskip(NEXT) | instid1(VALU_DEP_1)
	v_and_b32_e32 v11, 3, v9
	v_clz_i32_u32_e32 v12, v11
	s_delay_alu instid0(VALU_DEP_1) | instskip(NEXT) | instid1(VALU_DEP_1)
	v_min_u32_e32 v12, 32, v12
	v_subrev_nc_u32_e32 v13, 29, v12
	v_sub_nc_u32_e32 v12, 30, v12
	s_delay_alu instid0(VALU_DEP_2) | instskip(SKIP_1) | instid1(VALU_DEP_2)
	v_lshlrev_b32_e32 v13, v13, v9
	v_bfe_u32 v9, v9, 2, 5
	v_and_b32_e32 v13, 3, v13
	s_delay_alu instid0(VALU_DEP_2) | instskip(SKIP_1) | instid1(VALU_DEP_1)
	v_cmp_eq_u32_e32 vcc_lo, 0, v9
	v_dual_cndmask_b32 v9, v9, v12 :: v_dual_lshlrev_b32 v10, 24, v10
	v_dual_cndmask_b32 v11, v11, v13 :: v_dual_and_b32 v10, 0x80000000, v10
	s_delay_alu instid0(VALU_DEP_2) | instskip(NEXT) | instid1(VALU_DEP_2)
	v_lshl_add_u32 v9, v9, 23, 0x37800000
	v_lshlrev_b32_e32 v11, 21, v11
	s_delay_alu instid0(VALU_DEP_1) | instskip(NEXT) | instid1(VALU_DEP_1)
	v_or3_b32 v9, v10, v9, v11
	v_cvt_f16_f32_e32 v9, v9
.LBB529_1247:
	s_or_b32 exec_lo, exec_lo, s12
	s_mov_b32 s11, 0
	s_branch .LBB529_1253
.LBB529_1248:
                                        ; implicit-def: $vgpr9
	s_mov_b32 s11, 0
	s_branch .LBB529_1259
.LBB529_1249:
	s_or_saveexec_b32 s14, s14
	v_mov_b32_e32 v9, s13
	s_xor_b32 exec_lo, exec_lo, s14
	s_cbranch_execz .LBB529_1233
.LBB529_1250:
	v_cmp_ne_u16_e32 vcc_lo, 0, v10
	v_mov_b32_e32 v9, v10
	s_and_not1_b32 s12, s12, exec_lo
	s_and_b32 s13, vcc_lo, exec_lo
	s_delay_alu instid0(SALU_CYCLE_1)
	s_or_b32 s12, s12, s13
	s_or_b32 exec_lo, exec_lo, s14
	s_and_saveexec_b32 s13, s12
	s_cbranch_execnz .LBB529_1234
	s_branch .LBB529_1235
.LBB529_1251:
	s_mov_b32 s11, -1
                                        ; implicit-def: $vgpr9
	s_branch .LBB529_1256
.LBB529_1252:
	s_mov_b32 s11, -1
                                        ; implicit-def: $vgpr9
.LBB529_1253:
	s_delay_alu instid0(SALU_CYCLE_1)
	s_and_b32 vcc_lo, exec_lo, s11
	s_cbranch_vccz .LBB529_1255
; %bb.1254:
	global_load_u8 v9, v[7:8], off
	s_waitcnt vmcnt(0)
	v_lshlrev_b32_e32 v9, 24, v9
	s_delay_alu instid0(VALU_DEP_1) | instskip(NEXT) | instid1(VALU_DEP_1)
	v_and_b32_e32 v10, 0x7f000000, v9
	v_clz_i32_u32_e32 v11, v10
	v_add_nc_u32_e32 v13, 0x1000000, v10
	v_cmp_ne_u32_e32 vcc_lo, 0, v10
	s_delay_alu instid0(VALU_DEP_3) | instskip(NEXT) | instid1(VALU_DEP_1)
	v_min_u32_e32 v11, 32, v11
	v_sub_nc_u32_e64 v11, v11, 4 clamp
	s_delay_alu instid0(VALU_DEP_1) | instskip(SKIP_1) | instid1(VALU_DEP_2)
	v_lshlrev_b32_e32 v12, v11, v10
	v_lshlrev_b32_e32 v11, 23, v11
	v_lshrrev_b32_e32 v12, 4, v12
	s_delay_alu instid0(VALU_DEP_1) | instskip(SKIP_1) | instid1(VALU_DEP_2)
	v_sub_nc_u32_e32 v11, v12, v11
	v_ashrrev_i32_e32 v12, 8, v13
	v_add_nc_u32_e32 v11, 0x3c000000, v11
	s_delay_alu instid0(VALU_DEP_1) | instskip(NEXT) | instid1(VALU_DEP_1)
	v_and_or_b32 v11, 0x7f800000, v12, v11
	v_cndmask_b32_e32 v10, 0, v11, vcc_lo
	s_delay_alu instid0(VALU_DEP_1) | instskip(NEXT) | instid1(VALU_DEP_1)
	v_and_or_b32 v9, 0x80000000, v9, v10
	v_cvt_f16_f32_e32 v9, v9
.LBB529_1255:
	s_mov_b32 s11, 0
.LBB529_1256:
	s_delay_alu instid0(SALU_CYCLE_1)
	s_and_not1_b32 vcc_lo, exec_lo, s11
	s_cbranch_vccnz .LBB529_1258
; %bb.1257:
	global_load_u8 v9, v[7:8], off
	s_waitcnt vmcnt(0)
	v_lshlrev_b32_e32 v10, 25, v9
	v_lshlrev_b16 v9, 8, v9
	s_delay_alu instid0(VALU_DEP_2) | instskip(NEXT) | instid1(VALU_DEP_2)
	v_lshrrev_b32_e32 v11, 4, v10
	v_and_or_b32 v12, 0x7f00, v9, 0.5
	v_bfe_i32 v9, v9, 0, 16
	s_delay_alu instid0(VALU_DEP_3) | instskip(NEXT) | instid1(VALU_DEP_1)
	v_or_b32_e32 v11, 0x70000000, v11
	v_dual_add_f32 v12, -0.5, v12 :: v_dual_mul_f32 v11, 0x7800000, v11
	v_cmp_gt_u32_e32 vcc_lo, 0x8000000, v10
	s_delay_alu instid0(VALU_DEP_2) | instskip(NEXT) | instid1(VALU_DEP_1)
	v_cndmask_b32_e32 v10, v11, v12, vcc_lo
	v_and_or_b32 v9, 0x80000000, v9, v10
	s_delay_alu instid0(VALU_DEP_1)
	v_cvt_f16_f32_e32 v9, v9
.LBB529_1258:
	s_mov_b32 s12, -1
	s_mov_b32 s11, 0
	s_cbranch_execnz .LBB529_1269
.LBB529_1259:
	v_cmp_gt_i16_e64 s11, s10, 14
	s_delay_alu instid0(VALU_DEP_1)
	s_and_b32 vcc_lo, exec_lo, s11
	s_cbranch_vccz .LBB529_1262
; %bb.1260:
	v_cmp_eq_u16_e64 s2, s10, 15
	s_delay_alu instid0(VALU_DEP_1)
	s_and_b32 vcc_lo, exec_lo, s2
	s_cbranch_vccz .LBB529_1265
; %bb.1261:
	global_load_u16 v9, v[7:8], off
	s_mov_b32 s2, 0
	s_mov_b32 s12, -1
	s_waitcnt vmcnt(0)
	v_lshlrev_b32_e32 v9, 16, v9
	s_delay_alu instid0(VALU_DEP_1)
	v_cvt_f16_f32_e32 v9, v9
	s_branch .LBB529_1266
.LBB529_1262:
	s_mov_b32 s11, -1
                                        ; implicit-def: $vgpr9
	s_branch .LBB529_1267
.LBB529_1263:
	s_or_saveexec_b32 s13, s13
	v_mov_b32_e32 v9, s12
	s_xor_b32 exec_lo, exec_lo, s13
	s_cbranch_execz .LBB529_1245
.LBB529_1264:
	v_cmp_ne_u16_e32 vcc_lo, 0, v10
	v_mov_b32_e32 v9, v10
	s_and_not1_b32 s11, s11, exec_lo
	s_and_b32 s12, vcc_lo, exec_lo
	s_delay_alu instid0(SALU_CYCLE_1)
	s_or_b32 s11, s11, s12
	s_or_b32 exec_lo, exec_lo, s13
	s_and_saveexec_b32 s12, s11
	s_cbranch_execnz .LBB529_1246
	s_branch .LBB529_1247
.LBB529_1265:
	s_mov_b32 s2, -1
                                        ; implicit-def: $vgpr9
.LBB529_1266:
	s_mov_b32 s11, 0
.LBB529_1267:
	s_delay_alu instid0(SALU_CYCLE_1)
	s_and_b32 vcc_lo, exec_lo, s11
	s_mov_b32 s11, 0
	s_cbranch_vccz .LBB529_1269
; %bb.1268:
	v_cmp_ne_u16_e64 s2, s10, 11
	s_mov_b32 s11, -1
                                        ; implicit-def: $vgpr9
.LBB529_1269:
	s_delay_alu instid0(VALU_DEP_1)
	s_and_b32 vcc_lo, exec_lo, s2
	s_mov_b32 s2, s8
	s_cbranch_vccnz .LBB529_1297
; %bb.1270:
	s_and_not1_b32 vcc_lo, exec_lo, s11
	s_cbranch_vccnz .LBB529_1272
.LBB529_1271:
	global_load_u8 v9, v[7:8], off
	s_mov_b32 s12, -1
	s_waitcnt vmcnt(0)
	v_cmp_ne_u16_e32 vcc_lo, 0, v9
	v_cndmask_b32_e64 v9, 0, 0x3c00, vcc_lo
.LBB529_1272:
.LBB529_1273:
	s_and_not1_b32 vcc_lo, exec_lo, s12
	s_cbranch_vccnz .LBB529_2122
.LBB529_1274:
	s_load_b32 s11, s[16:17], 0x158
	s_mov_b32 s12, exec_lo
	s_waitcnt lgkmcnt(0)
	v_mov_b32_e32 v8, s11
	s_waitcnt vmcnt(0)
	v_cmpx_o_f16_e32 v9, v9
	s_cbranch_execz .LBB529_1278
; %bb.1275:
	s_load_b32 s13, s[0:1], 0x160
	s_waitcnt lgkmcnt(0)
	s_lshr_b32 s13, s13, 16
	s_delay_alu instid0(SALU_CYCLE_1)
	v_mov_b32_e32 v8, s13
	s_mov_b32 s13, exec_lo
	v_cmpx_neq_f16_e32 0x7c00, v9
	s_cbranch_execz .LBB529_1277
; %bb.1276:
	s_load_b32 s14, s[16:17], 0x15c
	v_cmp_eq_f16_e32 vcc_lo, 0xfc00, v9
	s_waitcnt lgkmcnt(0)
	v_cndmask_b32_e64 v8, v9, s14, vcc_lo
.LBB529_1277:
	s_or_b32 exec_lo, exec_lo, s13
.LBB529_1278:
	s_delay_alu instid0(SALU_CYCLE_1) | instskip(SKIP_2) | instid1(VALU_DEP_1)
	s_or_b32 exec_lo, exec_lo, s12
	v_cmp_lt_i16_e64 s12, s10, 11
	v_add_co_u32 v6, s13, s6, v6
	v_add_co_ci_u32_e64 v7, null, s7, 0, s13
	s_delay_alu instid0(VALU_DEP_3)
	s_and_b32 vcc_lo, exec_lo, s12
	s_mov_b32 s14, 0
	s_cbranch_vccnz .LBB529_1285
; %bb.1279:
	v_cmp_gt_i16_e64 s12, s10, 25
	s_mov_b32 s13, 0
	s_delay_alu instid0(VALU_DEP_1)
	s_and_b32 vcc_lo, exec_lo, s12
	s_cbranch_vccz .LBB529_1291
; %bb.1280:
	v_cmp_gt_i16_e64 s12, s10, 28
	s_delay_alu instid0(VALU_DEP_1)
	s_and_b32 vcc_lo, exec_lo, s12
	s_cbranch_vccz .LBB529_1293
; %bb.1281:
	v_cmp_gt_i16_e64 s12, s10, 43
	;; [unrolled: 5-line block ×3, first 2 shown]
	s_delay_alu instid0(VALU_DEP_1)
	s_and_b32 vcc_lo, exec_lo, s12
	s_cbranch_vccz .LBB529_1301
; %bb.1283:
	v_cmp_eq_u16_e64 s12, s10, 46
	s_mov_b32 s15, 0
	s_delay_alu instid0(VALU_DEP_1)
	s_and_b32 vcc_lo, exec_lo, s12
	s_cbranch_vccz .LBB529_1345
; %bb.1284:
	global_load_b32 v9, v[6:7], off
	s_mov_b32 s12, 0
	s_mov_b32 s14, -1
	s_waitcnt vmcnt(0)
	v_lshlrev_b32_e32 v9, 16, v9
	s_delay_alu instid0(VALU_DEP_1)
	v_cvt_f16_f32_e32 v9, v9
	s_branch .LBB529_1347
.LBB529_1285:
                                        ; implicit-def: $vgpr9
	s_cbranch_execz .LBB529_1412
; %bb.1286:
	v_cmp_lt_i16_e64 s12, s10, 5
	s_delay_alu instid0(VALU_DEP_1)
	s_and_b32 vcc_lo, exec_lo, s12
	s_cbranch_vccnz .LBB529_1292
; %bb.1287:
	v_cmp_lt_i16_e64 s12, s10, 8
	s_delay_alu instid0(VALU_DEP_1)
	s_and_b32 vcc_lo, exec_lo, s12
	s_cbranch_vccnz .LBB529_1294
	;; [unrolled: 5-line block ×3, first 2 shown]
; %bb.1289:
	v_cmp_gt_i16_e64 s12, s10, 9
	s_delay_alu instid0(VALU_DEP_1)
	s_and_b32 vcc_lo, exec_lo, s12
	s_cbranch_vccz .LBB529_1302
; %bb.1290:
	global_load_b64 v[9:10], v[6:7], off
	s_mov_b32 s12, 0
	s_waitcnt vmcnt(0)
	v_cvt_f32_f64_e32 v9, v[9:10]
	s_delay_alu instid0(VALU_DEP_1)
	v_cvt_f16_f32_e32 v9, v9
	s_branch .LBB529_1303
.LBB529_1291:
	s_mov_b32 s12, 0
                                        ; implicit-def: $vgpr9
	s_cbranch_execnz .LBB529_1376
	s_branch .LBB529_1408
.LBB529_1292:
                                        ; implicit-def: $vgpr9
	s_branch .LBB529_1321
.LBB529_1293:
	s_mov_b32 s15, -1
	s_mov_b32 s12, 0
                                        ; implicit-def: $vgpr9
	s_branch .LBB529_1357
.LBB529_1294:
	s_mov_b32 s12, -1
                                        ; implicit-def: $vgpr9
	s_branch .LBB529_1309
.LBB529_1295:
	s_mov_b32 s15, -1
	s_mov_b32 s12, 0
                                        ; implicit-def: $vgpr9
	s_branch .LBB529_1352
.LBB529_1296:
	s_mov_b32 s12, -1
                                        ; implicit-def: $vgpr9
	s_branch .LBB529_1306
.LBB529_1297:
	s_cbranch_execnz .LBB529_1341
; %bb.1298:
	s_or_b32 s2, s8, exec_lo
                                        ; implicit-def: $vgpr9
	s_cbranch_execz .LBB529_1271
	s_branch .LBB529_1272
.LBB529_1299:
	s_or_saveexec_b32 s7, s7
                                        ; implicit-def: $sgpr8
	s_delay_alu instid0(SALU_CYCLE_1)
	s_xor_b32 exec_lo, exec_lo, s7
	s_cbranch_execz .LBB529_1003
.LBB529_1300:
	v_add_f32_e64 v5, 0x46000000, |v0|
	s_and_not1_b32 s5, s5, exec_lo
	s_mov_b32 s8, 0
	s_delay_alu instid0(VALU_DEP_1) | instskip(NEXT) | instid1(VALU_DEP_1)
	v_and_b32_e32 v5, 0xff, v5
	v_cmp_ne_u32_e32 vcc_lo, 0, v5
	s_and_b32 s9, vcc_lo, exec_lo
	s_delay_alu instid0(SALU_CYCLE_1)
	s_or_b32 s5, s5, s9
	s_or_b32 exec_lo, exec_lo, s7
	v_mov_b32_e32 v6, s8
	s_and_saveexec_b32 s7, s5
	s_cbranch_execnz .LBB529_1004
	s_branch .LBB529_1005
.LBB529_1301:
	s_mov_b32 s15, -1
	s_mov_b32 s12, 0
	s_branch .LBB529_1346
.LBB529_1302:
	s_mov_b32 s12, -1
                                        ; implicit-def: $vgpr9
.LBB529_1303:
	s_delay_alu instid0(SALU_CYCLE_1)
	s_and_not1_b32 vcc_lo, exec_lo, s12
	s_cbranch_vccnz .LBB529_1305
; %bb.1304:
	global_load_b32 v9, v[6:7], off
	s_waitcnt vmcnt(0)
	v_cvt_f16_f32_e32 v9, v9
.LBB529_1305:
	s_mov_b32 s12, 0
.LBB529_1306:
	s_delay_alu instid0(SALU_CYCLE_1)
	s_and_not1_b32 vcc_lo, exec_lo, s12
	s_cbranch_vccnz .LBB529_1308
; %bb.1307:
	global_load_b32 v9, v[6:7], off
.LBB529_1308:
	s_mov_b32 s12, 0
.LBB529_1309:
	s_delay_alu instid0(SALU_CYCLE_1)
	s_and_not1_b32 vcc_lo, exec_lo, s12
	s_cbranch_vccnz .LBB529_1320
; %bb.1310:
	v_cmp_lt_i16_e64 s12, s10, 6
	s_delay_alu instid0(VALU_DEP_1)
	s_and_b32 vcc_lo, exec_lo, s12
	s_cbranch_vccnz .LBB529_1313
; %bb.1311:
	v_cmp_gt_i16_e64 s12, s10, 6
	s_delay_alu instid0(VALU_DEP_1)
	s_and_b32 vcc_lo, exec_lo, s12
	s_cbranch_vccz .LBB529_1314
; %bb.1312:
	global_load_b64 v[9:10], v[6:7], off
	s_mov_b32 s12, 0
	s_waitcnt vmcnt(0)
	v_cvt_f32_f64_e32 v9, v[9:10]
	s_delay_alu instid0(VALU_DEP_1)
	v_cvt_f16_f32_e32 v9, v9
	s_branch .LBB529_1315
.LBB529_1313:
	s_mov_b32 s12, -1
                                        ; implicit-def: $vgpr9
	s_branch .LBB529_1318
.LBB529_1314:
	s_mov_b32 s12, -1
                                        ; implicit-def: $vgpr9
.LBB529_1315:
	s_delay_alu instid0(SALU_CYCLE_1)
	s_and_not1_b32 vcc_lo, exec_lo, s12
	s_cbranch_vccnz .LBB529_1317
; %bb.1316:
	global_load_b32 v9, v[6:7], off
	s_waitcnt vmcnt(0)
	v_cvt_f16_f32_e32 v9, v9
.LBB529_1317:
	s_mov_b32 s12, 0
.LBB529_1318:
	s_delay_alu instid0(SALU_CYCLE_1)
	s_and_not1_b32 vcc_lo, exec_lo, s12
	s_cbranch_vccnz .LBB529_1320
; %bb.1319:
	global_load_u16 v9, v[6:7], off
.LBB529_1320:
	s_cbranch_execnz .LBB529_1340
.LBB529_1321:
	v_cmp_lt_i16_e64 s12, s10, 2
	s_delay_alu instid0(VALU_DEP_1)
	s_and_b32 vcc_lo, exec_lo, s12
	s_cbranch_vccnz .LBB529_1325
; %bb.1322:
	v_cmp_lt_i16_e64 s12, s10, 3
	s_delay_alu instid0(VALU_DEP_1)
	s_and_b32 vcc_lo, exec_lo, s12
	s_cbranch_vccnz .LBB529_1326
; %bb.1323:
	v_cmp_gt_i16_e64 s12, s10, 3
	s_delay_alu instid0(VALU_DEP_1)
	s_and_b32 vcc_lo, exec_lo, s12
	s_cbranch_vccz .LBB529_1327
; %bb.1324:
	global_load_b64 v[9:10], v[6:7], off
	s_mov_b32 s12, 0
	s_waitcnt vmcnt(0)
	v_xor_b32_e32 v11, v9, v10
	v_cls_i32_e32 v12, v10
	s_delay_alu instid0(VALU_DEP_2) | instskip(NEXT) | instid1(VALU_DEP_2)
	v_ashrrev_i32_e32 v11, 31, v11
	v_add_nc_u32_e32 v12, -1, v12
	s_delay_alu instid0(VALU_DEP_2) | instskip(NEXT) | instid1(VALU_DEP_1)
	v_add_nc_u32_e32 v11, 32, v11
	v_min_u32_e32 v11, v12, v11
	s_delay_alu instid0(VALU_DEP_1) | instskip(NEXT) | instid1(VALU_DEP_1)
	v_lshlrev_b64 v[9:10], v11, v[9:10]
	v_min_u32_e32 v9, 1, v9
	s_delay_alu instid0(VALU_DEP_1) | instskip(SKIP_1) | instid1(VALU_DEP_2)
	v_or_b32_e32 v9, v10, v9
	v_sub_nc_u32_e32 v10, 32, v11
	v_cvt_f32_i32_e32 v9, v9
	s_delay_alu instid0(VALU_DEP_1) | instskip(NEXT) | instid1(VALU_DEP_1)
	v_ldexp_f32 v9, v9, v10
	v_cvt_f16_f32_e32 v9, v9
	s_branch .LBB529_1328
.LBB529_1325:
	s_mov_b32 s12, -1
                                        ; implicit-def: $vgpr9
	s_branch .LBB529_1334
.LBB529_1326:
	s_mov_b32 s12, -1
                                        ; implicit-def: $vgpr9
	s_branch .LBB529_1331
.LBB529_1327:
	s_mov_b32 s12, -1
                                        ; implicit-def: $vgpr9
.LBB529_1328:
	s_delay_alu instid0(SALU_CYCLE_1)
	s_and_not1_b32 vcc_lo, exec_lo, s12
	s_cbranch_vccnz .LBB529_1330
; %bb.1329:
	global_load_b32 v9, v[6:7], off
	s_waitcnt vmcnt(0)
	v_cvt_f32_i32_e32 v9, v9
	s_delay_alu instid0(VALU_DEP_1)
	v_cvt_f16_f32_e32 v9, v9
.LBB529_1330:
	s_mov_b32 s12, 0
.LBB529_1331:
	s_delay_alu instid0(SALU_CYCLE_1)
	s_and_not1_b32 vcc_lo, exec_lo, s12
	s_cbranch_vccnz .LBB529_1333
; %bb.1332:
	global_load_u16 v9, v[6:7], off
	s_waitcnt vmcnt(0)
	v_cvt_f16_i16_e32 v9, v9
.LBB529_1333:
	s_mov_b32 s12, 0
.LBB529_1334:
	s_delay_alu instid0(SALU_CYCLE_1)
	s_and_not1_b32 vcc_lo, exec_lo, s12
	s_cbranch_vccnz .LBB529_1340
; %bb.1335:
	v_cmp_gt_i16_e64 s12, s10, 0
	s_delay_alu instid0(VALU_DEP_1)
	s_and_b32 vcc_lo, exec_lo, s12
	s_mov_b32 s12, 0
	s_cbranch_vccz .LBB529_1337
; %bb.1336:
	global_load_i8 v9, v[6:7], off
	s_waitcnt vmcnt(0)
	v_cvt_f16_i16_e32 v9, v9
	s_branch .LBB529_1338
.LBB529_1337:
	s_mov_b32 s12, -1
                                        ; implicit-def: $vgpr9
.LBB529_1338:
	s_delay_alu instid0(SALU_CYCLE_1)
	s_and_not1_b32 vcc_lo, exec_lo, s12
	s_cbranch_vccnz .LBB529_1340
; %bb.1339:
	global_load_u8 v6, v[6:7], off
	s_waitcnt vmcnt(0)
	v_cvt_f16_u16_e32 v9, v6
.LBB529_1340:
	s_branch .LBB529_1413
.LBB529_1341:
	s_trap 2
	s_sendmsg_rtn_b32 s0, sendmsg(MSG_RTN_GET_DOORBELL)
	s_mov_b32 ttmp2, m0
	s_waitcnt lgkmcnt(0)
	s_and_b32 s0, s0, 0x3ff
	s_delay_alu instid0(SALU_CYCLE_1) | instskip(NEXT) | instid1(SALU_CYCLE_1)
	s_bitset1_b32 s0, 10
	s_mov_b32 m0, s0
	s_sendmsg sendmsg(MSG_INTERRUPT)
	s_mov_b32 m0, ttmp2
.LBB529_1342:                           ; =>This Inner Loop Header: Depth=1
	s_sethalt 5
	s_branch .LBB529_1342
.LBB529_1343:
	s_or_saveexec_b32 s8, s8
                                        ; implicit-def: $sgpr9
	s_delay_alu instid0(SALU_CYCLE_1)
	s_xor_b32 exec_lo, exec_lo, s8
	s_cbranch_execz .LBB529_1015
.LBB529_1344:
	v_add_f32_e64 v5, 0x42800000, |v0|
	s_and_not1_b32 s7, s7, exec_lo
	s_mov_b32 s9, 0
	s_delay_alu instid0(VALU_DEP_1) | instskip(NEXT) | instid1(VALU_DEP_1)
	v_and_b32_e32 v5, 0xff, v5
	v_cmp_ne_u32_e32 vcc_lo, 0, v5
	s_and_b32 s10, vcc_lo, exec_lo
	s_delay_alu instid0(SALU_CYCLE_1)
	s_or_b32 s7, s7, s10
	s_or_b32 exec_lo, exec_lo, s8
	v_mov_b32_e32 v6, s9
	s_and_saveexec_b32 s8, s7
	s_cbranch_execnz .LBB529_1016
	s_branch .LBB529_1017
.LBB529_1345:
	s_mov_b32 s12, -1
.LBB529_1346:
                                        ; implicit-def: $vgpr9
.LBB529_1347:
	s_and_b32 vcc_lo, exec_lo, s15
	s_cbranch_vccz .LBB529_1351
; %bb.1348:
	v_cmp_eq_u16_e64 s12, s10, 44
	s_delay_alu instid0(VALU_DEP_1)
	s_and_b32 vcc_lo, exec_lo, s12
	s_cbranch_vccz .LBB529_1350
; %bb.1349:
	global_load_u8 v9, v[6:7], off
	s_mov_b32 s12, 0
	s_mov_b32 s14, -1
	s_waitcnt vmcnt(0)
	v_lshlrev_b32_e32 v10, 23, v9
	v_cmp_ne_u32_e32 vcc_lo, 0xff, v9
	s_delay_alu instid0(VALU_DEP_2) | instskip(NEXT) | instid1(VALU_DEP_1)
	v_cvt_f16_f32_e32 v10, v10
	v_cndmask_b32_e32 v10, 0x7e00, v10, vcc_lo
	v_cmp_ne_u32_e32 vcc_lo, 0, v9
	s_delay_alu instid0(VALU_DEP_2)
	v_cndmask_b32_e32 v9, 0, v10, vcc_lo
	s_branch .LBB529_1351
.LBB529_1350:
	s_mov_b32 s12, -1
                                        ; implicit-def: $vgpr9
.LBB529_1351:
	s_mov_b32 s15, 0
.LBB529_1352:
	s_delay_alu instid0(SALU_CYCLE_1)
	s_and_b32 vcc_lo, exec_lo, s15
	s_cbranch_vccz .LBB529_1356
; %bb.1353:
	v_cmp_eq_u16_e64 s12, s10, 29
	s_delay_alu instid0(VALU_DEP_1)
	s_and_b32 vcc_lo, exec_lo, s12
	s_cbranch_vccz .LBB529_1355
; %bb.1354:
	global_load_b64 v[9:10], v[6:7], off
	s_mov_b32 s12, 0
	s_mov_b32 s14, -1
	s_mov_b32 s15, 0
	s_waitcnt vmcnt(0)
	v_clz_i32_u32_e32 v11, v10
	s_delay_alu instid0(VALU_DEP_1) | instskip(NEXT) | instid1(VALU_DEP_1)
	v_min_u32_e32 v11, 32, v11
	v_lshlrev_b64 v[9:10], v11, v[9:10]
	s_delay_alu instid0(VALU_DEP_1) | instskip(NEXT) | instid1(VALU_DEP_1)
	v_min_u32_e32 v9, 1, v9
	v_or_b32_e32 v9, v10, v9
	v_sub_nc_u32_e32 v10, 32, v11
	s_delay_alu instid0(VALU_DEP_2) | instskip(NEXT) | instid1(VALU_DEP_1)
	v_cvt_f32_u32_e32 v9, v9
	v_ldexp_f32 v9, v9, v10
	s_delay_alu instid0(VALU_DEP_1)
	v_cvt_f16_f32_e32 v9, v9
	s_branch .LBB529_1357
.LBB529_1355:
	s_mov_b32 s12, -1
                                        ; implicit-def: $vgpr9
.LBB529_1356:
	s_mov_b32 s15, 0
.LBB529_1357:
	s_delay_alu instid0(SALU_CYCLE_1)
	s_and_b32 vcc_lo, exec_lo, s15
	s_cbranch_vccz .LBB529_1375
; %bb.1358:
	v_cmp_lt_i16_e64 s14, s10, 27
	s_delay_alu instid0(VALU_DEP_1)
	s_and_b32 vcc_lo, exec_lo, s14
	s_cbranch_vccnz .LBB529_1361
; %bb.1359:
	v_cmp_gt_i16_e64 s14, s10, 27
	s_delay_alu instid0(VALU_DEP_1)
	s_and_b32 vcc_lo, exec_lo, s14
	s_cbranch_vccz .LBB529_1362
; %bb.1360:
	global_load_b32 v9, v[6:7], off
	s_mov_b32 s14, 0
	s_waitcnt vmcnt(0)
	v_cvt_f32_u32_e32 v9, v9
	s_delay_alu instid0(VALU_DEP_1)
	v_cvt_f16_f32_e32 v9, v9
	s_branch .LBB529_1363
.LBB529_1361:
	s_mov_b32 s14, -1
                                        ; implicit-def: $vgpr9
	s_branch .LBB529_1366
.LBB529_1362:
	s_mov_b32 s14, -1
                                        ; implicit-def: $vgpr9
.LBB529_1363:
	s_delay_alu instid0(SALU_CYCLE_1)
	s_and_not1_b32 vcc_lo, exec_lo, s14
	s_cbranch_vccnz .LBB529_1365
; %bb.1364:
	global_load_u16 v9, v[6:7], off
	s_waitcnt vmcnt(0)
	v_cvt_f16_u16_e32 v9, v9
.LBB529_1365:
	s_mov_b32 s14, 0
.LBB529_1366:
	s_delay_alu instid0(SALU_CYCLE_1)
	s_and_not1_b32 vcc_lo, exec_lo, s14
	s_cbranch_vccnz .LBB529_1374
; %bb.1367:
	global_load_u8 v10, v[6:7], off
	s_mov_b32 s14, 0
	s_mov_b32 s18, exec_lo
                                        ; implicit-def: $sgpr15
	s_waitcnt vmcnt(0)
	v_cmpx_lt_i16_e32 0x7f, v10
	s_xor_b32 s18, exec_lo, s18
	s_cbranch_execz .LBB529_1387
; %bb.1368:
	s_mov_b32 s14, -1
	s_mov_b32 s19, exec_lo
                                        ; implicit-def: $sgpr15
	v_cmpx_eq_u16_e32 0x80, v10
; %bb.1369:
	s_movk_i32 s15, 0x7e00
	s_xor_b32 s14, exec_lo, -1
; %bb.1370:
	s_or_b32 exec_lo, exec_lo, s19
	s_delay_alu instid0(SALU_CYCLE_1)
	s_and_b32 s14, s14, exec_lo
	s_or_saveexec_b32 s18, s18
	v_mov_b32_e32 v9, s15
	s_xor_b32 exec_lo, exec_lo, s18
	s_cbranch_execnz .LBB529_1388
.LBB529_1371:
	s_or_b32 exec_lo, exec_lo, s18
	s_and_saveexec_b32 s15, s14
	s_cbranch_execz .LBB529_1373
.LBB529_1372:
	v_and_b32_e32 v9, 0xffff, v10
	s_delay_alu instid0(VALU_DEP_1) | instskip(NEXT) | instid1(VALU_DEP_1)
	v_and_b32_e32 v11, 7, v9
	v_clz_i32_u32_e32 v12, v11
	s_delay_alu instid0(VALU_DEP_1) | instskip(NEXT) | instid1(VALU_DEP_1)
	v_min_u32_e32 v12, 32, v12
	v_subrev_nc_u32_e32 v13, 28, v12
	v_sub_nc_u32_e32 v12, 29, v12
	s_delay_alu instid0(VALU_DEP_2) | instskip(SKIP_1) | instid1(VALU_DEP_2)
	v_lshlrev_b32_e32 v13, v13, v9
	v_bfe_u32 v9, v9, 3, 4
	v_and_b32_e32 v13, 7, v13
	s_delay_alu instid0(VALU_DEP_2) | instskip(SKIP_1) | instid1(VALU_DEP_1)
	v_cmp_eq_u32_e32 vcc_lo, 0, v9
	v_dual_cndmask_b32 v9, v9, v12 :: v_dual_lshlrev_b32 v10, 24, v10
	v_dual_cndmask_b32 v11, v11, v13 :: v_dual_and_b32 v10, 0x80000000, v10
	s_delay_alu instid0(VALU_DEP_2) | instskip(NEXT) | instid1(VALU_DEP_2)
	v_lshl_add_u32 v9, v9, 23, 0x3b800000
	v_lshlrev_b32_e32 v11, 20, v11
	s_delay_alu instid0(VALU_DEP_1) | instskip(NEXT) | instid1(VALU_DEP_1)
	v_or3_b32 v9, v10, v9, v11
	v_cvt_f16_f32_e32 v9, v9
.LBB529_1373:
	s_or_b32 exec_lo, exec_lo, s15
.LBB529_1374:
	s_mov_b32 s14, -1
.LBB529_1375:
	s_branch .LBB529_1408
.LBB529_1376:
	v_cmp_gt_i16_e64 s13, s10, 22
	s_delay_alu instid0(VALU_DEP_1)
	s_and_b32 vcc_lo, exec_lo, s13
	s_cbranch_vccz .LBB529_1386
; %bb.1377:
	v_cmp_lt_i16_e64 s13, s10, 24
	s_delay_alu instid0(VALU_DEP_1)
	s_and_b32 vcc_lo, exec_lo, s13
	s_cbranch_vccnz .LBB529_1389
; %bb.1378:
	v_cmp_gt_i16_e64 s13, s10, 24
	s_delay_alu instid0(VALU_DEP_1)
	s_and_b32 vcc_lo, exec_lo, s13
	s_cbranch_vccz .LBB529_1390
; %bb.1379:
	global_load_u8 v10, v[6:7], off
	s_mov_b32 s13, 0
	s_mov_b32 s15, exec_lo
                                        ; implicit-def: $sgpr14
	s_waitcnt vmcnt(0)
	v_cmpx_lt_i16_e32 0x7f, v10
	s_xor_b32 s15, exec_lo, s15
	s_cbranch_execz .LBB529_1402
; %bb.1380:
	s_mov_b32 s13, -1
	s_mov_b32 s18, exec_lo
                                        ; implicit-def: $sgpr14
	v_cmpx_eq_u16_e32 0x80, v10
; %bb.1381:
	s_movk_i32 s14, 0x7e00
	s_xor_b32 s13, exec_lo, -1
; %bb.1382:
	s_or_b32 exec_lo, exec_lo, s18
	s_delay_alu instid0(SALU_CYCLE_1)
	s_and_b32 s13, s13, exec_lo
	s_or_saveexec_b32 s15, s15
	v_mov_b32_e32 v9, s14
	s_xor_b32 exec_lo, exec_lo, s15
	s_cbranch_execnz .LBB529_1403
.LBB529_1383:
	s_or_b32 exec_lo, exec_lo, s15
	s_and_saveexec_b32 s14, s13
	s_cbranch_execz .LBB529_1385
.LBB529_1384:
	v_and_b32_e32 v9, 0xffff, v10
	s_delay_alu instid0(VALU_DEP_1) | instskip(NEXT) | instid1(VALU_DEP_1)
	v_and_b32_e32 v11, 3, v9
	v_clz_i32_u32_e32 v12, v11
	s_delay_alu instid0(VALU_DEP_1) | instskip(NEXT) | instid1(VALU_DEP_1)
	v_min_u32_e32 v12, 32, v12
	v_subrev_nc_u32_e32 v13, 29, v12
	v_sub_nc_u32_e32 v12, 30, v12
	s_delay_alu instid0(VALU_DEP_2) | instskip(SKIP_1) | instid1(VALU_DEP_2)
	v_lshlrev_b32_e32 v13, v13, v9
	v_bfe_u32 v9, v9, 2, 5
	v_and_b32_e32 v13, 3, v13
	s_delay_alu instid0(VALU_DEP_2) | instskip(SKIP_1) | instid1(VALU_DEP_1)
	v_cmp_eq_u32_e32 vcc_lo, 0, v9
	v_dual_cndmask_b32 v9, v9, v12 :: v_dual_lshlrev_b32 v10, 24, v10
	v_dual_cndmask_b32 v11, v11, v13 :: v_dual_and_b32 v10, 0x80000000, v10
	s_delay_alu instid0(VALU_DEP_2) | instskip(NEXT) | instid1(VALU_DEP_2)
	v_lshl_add_u32 v9, v9, 23, 0x37800000
	v_lshlrev_b32_e32 v11, 21, v11
	s_delay_alu instid0(VALU_DEP_1) | instskip(NEXT) | instid1(VALU_DEP_1)
	v_or3_b32 v9, v10, v9, v11
	v_cvt_f16_f32_e32 v9, v9
.LBB529_1385:
	s_or_b32 exec_lo, exec_lo, s14
	s_mov_b32 s13, 0
	s_branch .LBB529_1391
.LBB529_1386:
	s_mov_b32 s13, -1
                                        ; implicit-def: $vgpr9
	s_branch .LBB529_1397
.LBB529_1387:
	s_or_saveexec_b32 s18, s18
	v_mov_b32_e32 v9, s15
	s_xor_b32 exec_lo, exec_lo, s18
	s_cbranch_execz .LBB529_1371
.LBB529_1388:
	v_cmp_ne_u16_e32 vcc_lo, 0, v10
	v_mov_b32_e32 v9, v10
	s_and_not1_b32 s14, s14, exec_lo
	s_and_b32 s15, vcc_lo, exec_lo
	s_delay_alu instid0(SALU_CYCLE_1)
	s_or_b32 s14, s14, s15
	s_or_b32 exec_lo, exec_lo, s18
	s_and_saveexec_b32 s15, s14
	s_cbranch_execnz .LBB529_1372
	s_branch .LBB529_1373
.LBB529_1389:
	s_mov_b32 s13, -1
                                        ; implicit-def: $vgpr9
	s_branch .LBB529_1394
.LBB529_1390:
	s_mov_b32 s13, -1
                                        ; implicit-def: $vgpr9
.LBB529_1391:
	s_delay_alu instid0(SALU_CYCLE_1)
	s_and_b32 vcc_lo, exec_lo, s13
	s_cbranch_vccz .LBB529_1393
; %bb.1392:
	global_load_u8 v9, v[6:7], off
	s_waitcnt vmcnt(0)
	v_lshlrev_b32_e32 v9, 24, v9
	s_delay_alu instid0(VALU_DEP_1) | instskip(NEXT) | instid1(VALU_DEP_1)
	v_and_b32_e32 v10, 0x7f000000, v9
	v_clz_i32_u32_e32 v11, v10
	v_add_nc_u32_e32 v13, 0x1000000, v10
	v_cmp_ne_u32_e32 vcc_lo, 0, v10
	s_delay_alu instid0(VALU_DEP_3) | instskip(NEXT) | instid1(VALU_DEP_1)
	v_min_u32_e32 v11, 32, v11
	v_sub_nc_u32_e64 v11, v11, 4 clamp
	s_delay_alu instid0(VALU_DEP_1) | instskip(SKIP_1) | instid1(VALU_DEP_2)
	v_lshlrev_b32_e32 v12, v11, v10
	v_lshlrev_b32_e32 v11, 23, v11
	v_lshrrev_b32_e32 v12, 4, v12
	s_delay_alu instid0(VALU_DEP_1) | instskip(SKIP_1) | instid1(VALU_DEP_2)
	v_sub_nc_u32_e32 v11, v12, v11
	v_ashrrev_i32_e32 v12, 8, v13
	v_add_nc_u32_e32 v11, 0x3c000000, v11
	s_delay_alu instid0(VALU_DEP_1) | instskip(NEXT) | instid1(VALU_DEP_1)
	v_and_or_b32 v11, 0x7f800000, v12, v11
	v_cndmask_b32_e32 v10, 0, v11, vcc_lo
	s_delay_alu instid0(VALU_DEP_1) | instskip(NEXT) | instid1(VALU_DEP_1)
	v_and_or_b32 v9, 0x80000000, v9, v10
	v_cvt_f16_f32_e32 v9, v9
.LBB529_1393:
	s_mov_b32 s13, 0
.LBB529_1394:
	s_delay_alu instid0(SALU_CYCLE_1)
	s_and_not1_b32 vcc_lo, exec_lo, s13
	s_cbranch_vccnz .LBB529_1396
; %bb.1395:
	global_load_u8 v9, v[6:7], off
	s_waitcnt vmcnt(0)
	v_lshlrev_b32_e32 v10, 25, v9
	v_lshlrev_b16 v9, 8, v9
	s_delay_alu instid0(VALU_DEP_2) | instskip(NEXT) | instid1(VALU_DEP_2)
	v_lshrrev_b32_e32 v11, 4, v10
	v_and_or_b32 v12, 0x7f00, v9, 0.5
	v_bfe_i32 v9, v9, 0, 16
	s_delay_alu instid0(VALU_DEP_3) | instskip(NEXT) | instid1(VALU_DEP_1)
	v_or_b32_e32 v11, 0x70000000, v11
	v_dual_add_f32 v12, -0.5, v12 :: v_dual_mul_f32 v11, 0x7800000, v11
	v_cmp_gt_u32_e32 vcc_lo, 0x8000000, v10
	s_delay_alu instid0(VALU_DEP_2) | instskip(NEXT) | instid1(VALU_DEP_1)
	v_cndmask_b32_e32 v10, v11, v12, vcc_lo
	v_and_or_b32 v9, 0x80000000, v9, v10
	s_delay_alu instid0(VALU_DEP_1)
	v_cvt_f16_f32_e32 v9, v9
.LBB529_1396:
	s_mov_b32 s13, 0
	s_mov_b32 s14, -1
.LBB529_1397:
	s_and_not1_b32 vcc_lo, exec_lo, s13
	s_mov_b32 s13, 0
	s_cbranch_vccnz .LBB529_1408
; %bb.1398:
	v_cmp_gt_i16_e64 s13, s10, 14
	s_delay_alu instid0(VALU_DEP_1)
	s_and_b32 vcc_lo, exec_lo, s13
	s_cbranch_vccz .LBB529_1401
; %bb.1399:
	v_cmp_eq_u16_e64 s12, s10, 15
	s_delay_alu instid0(VALU_DEP_1)
	s_and_b32 vcc_lo, exec_lo, s12
	s_cbranch_vccz .LBB529_1404
; %bb.1400:
	global_load_u16 v9, v[6:7], off
	s_mov_b32 s12, 0
	s_mov_b32 s14, -1
	s_waitcnt vmcnt(0)
	v_lshlrev_b32_e32 v9, 16, v9
	s_delay_alu instid0(VALU_DEP_1)
	v_cvt_f16_f32_e32 v9, v9
	s_branch .LBB529_1405
.LBB529_1401:
	s_mov_b32 s13, -1
                                        ; implicit-def: $vgpr9
	s_branch .LBB529_1406
.LBB529_1402:
	s_or_saveexec_b32 s15, s15
	v_mov_b32_e32 v9, s14
	s_xor_b32 exec_lo, exec_lo, s15
	s_cbranch_execz .LBB529_1383
.LBB529_1403:
	v_cmp_ne_u16_e32 vcc_lo, 0, v10
	v_mov_b32_e32 v9, v10
	s_and_not1_b32 s13, s13, exec_lo
	s_and_b32 s14, vcc_lo, exec_lo
	s_delay_alu instid0(SALU_CYCLE_1)
	s_or_b32 s13, s13, s14
	s_or_b32 exec_lo, exec_lo, s15
	s_and_saveexec_b32 s14, s13
	s_cbranch_execnz .LBB529_1384
	s_branch .LBB529_1385
.LBB529_1404:
	s_mov_b32 s12, -1
                                        ; implicit-def: $vgpr9
.LBB529_1405:
	s_mov_b32 s13, 0
.LBB529_1406:
	s_delay_alu instid0(SALU_CYCLE_1)
	s_and_b32 vcc_lo, exec_lo, s13
	s_mov_b32 s13, 0
	s_cbranch_vccz .LBB529_1408
; %bb.1407:
	v_cmp_ne_u16_e64 s12, s10, 11
	s_mov_b32 s13, -1
                                        ; implicit-def: $vgpr9
.LBB529_1408:
	s_delay_alu instid0(VALU_DEP_1)
	s_and_b32 vcc_lo, exec_lo, s12
	s_cbranch_vccnz .LBB529_1436
; %bb.1409:
	s_and_not1_b32 vcc_lo, exec_lo, s13
	s_cbranch_vccnz .LBB529_1411
.LBB529_1410:
	global_load_u8 v9, v[6:7], off
	s_mov_b32 s14, -1
	s_waitcnt vmcnt(0)
	v_cmp_ne_u16_e32 vcc_lo, 0, v9
	v_cndmask_b32_e64 v9, 0, 0x3c00, vcc_lo
.LBB529_1411:
.LBB529_1412:
	s_and_not1_b32 vcc_lo, exec_lo, s14
	s_cbranch_vccnz .LBB529_2122
.LBB529_1413:
	v_mov_b32_e32 v7, s11
	s_mov_b32 s12, exec_lo
	s_waitcnt vmcnt(0)
	v_cmpx_o_f16_e32 v9, v9
	s_cbranch_execz .LBB529_1417
; %bb.1414:
	s_load_b32 s13, s[0:1], 0x160
	s_waitcnt lgkmcnt(0)
	s_lshr_b32 s13, s13, 16
	s_delay_alu instid0(SALU_CYCLE_1)
	v_mov_b32_e32 v7, s13
	s_mov_b32 s13, exec_lo
	v_cmpx_neq_f16_e32 0x7c00, v9
	s_cbranch_execz .LBB529_1416
; %bb.1415:
	s_load_b32 s14, s[16:17], 0x15c
	v_cmp_eq_f16_e32 vcc_lo, 0xfc00, v9
	s_waitcnt lgkmcnt(0)
	v_cndmask_b32_e64 v7, v9, s14, vcc_lo
.LBB529_1416:
	s_or_b32 exec_lo, exec_lo, s13
.LBB529_1417:
	s_delay_alu instid0(SALU_CYCLE_1) | instskip(SKIP_2) | instid1(VALU_DEP_1)
	s_or_b32 exec_lo, exec_lo, s12
	v_cmp_lt_i16_e64 s12, s10, 11
	v_add_co_u32 v5, s13, s6, v5
	v_add_co_ci_u32_e64 v6, null, s7, 0, s13
	s_delay_alu instid0(VALU_DEP_3)
	s_and_b32 vcc_lo, exec_lo, s12
	s_mov_b32 s14, 0
	s_cbranch_vccnz .LBB529_1424
; %bb.1418:
	v_cmp_gt_i16_e64 s12, s10, 25
	s_mov_b32 s13, 0
	s_delay_alu instid0(VALU_DEP_1)
	s_and_b32 vcc_lo, exec_lo, s12
	s_cbranch_vccz .LBB529_1430
; %bb.1419:
	v_cmp_gt_i16_e64 s12, s10, 28
	s_delay_alu instid0(VALU_DEP_1)
	s_and_b32 vcc_lo, exec_lo, s12
	s_cbranch_vccz .LBB529_1432
; %bb.1420:
	v_cmp_gt_i16_e64 s12, s10, 43
	;; [unrolled: 5-line block ×3, first 2 shown]
	s_delay_alu instid0(VALU_DEP_1)
	s_and_b32 vcc_lo, exec_lo, s12
	s_cbranch_vccz .LBB529_1438
; %bb.1422:
	v_cmp_eq_u16_e64 s12, s10, 46
	s_mov_b32 s15, 0
	s_delay_alu instid0(VALU_DEP_1)
	s_and_b32 vcc_lo, exec_lo, s12
	s_cbranch_vccz .LBB529_1481
; %bb.1423:
	global_load_b32 v9, v[5:6], off
	s_mov_b32 s12, 0
	s_mov_b32 s14, -1
	s_waitcnt vmcnt(0)
	v_lshlrev_b32_e32 v9, 16, v9
	s_delay_alu instid0(VALU_DEP_1)
	v_cvt_f16_f32_e32 v10, v9
	s_branch .LBB529_1483
.LBB529_1424:
                                        ; implicit-def: $vgpr10
	s_cbranch_execz .LBB529_1549
; %bb.1425:
	v_cmp_lt_i16_e64 s12, s10, 5
	s_delay_alu instid0(VALU_DEP_1)
	s_and_b32 vcc_lo, exec_lo, s12
	s_cbranch_vccnz .LBB529_1431
; %bb.1426:
	v_cmp_lt_i16_e64 s12, s10, 8
	s_delay_alu instid0(VALU_DEP_1)
	s_and_b32 vcc_lo, exec_lo, s12
	s_cbranch_vccnz .LBB529_1433
	;; [unrolled: 5-line block ×3, first 2 shown]
; %bb.1428:
	v_cmp_gt_i16_e64 s12, s10, 9
	s_delay_alu instid0(VALU_DEP_1)
	s_and_b32 vcc_lo, exec_lo, s12
	s_cbranch_vccz .LBB529_1439
; %bb.1429:
	global_load_b64 v[9:10], v[5:6], off
	s_mov_b32 s12, 0
	s_waitcnt vmcnt(0)
	v_cvt_f32_f64_e32 v9, v[9:10]
	s_delay_alu instid0(VALU_DEP_1)
	v_cvt_f16_f32_e32 v10, v9
	s_branch .LBB529_1440
.LBB529_1430:
	s_mov_b32 s15, -1
	s_mov_b32 s12, 0
                                        ; implicit-def: $vgpr10
	s_branch .LBB529_1512
.LBB529_1431:
	s_mov_b32 s12, -1
                                        ; implicit-def: $vgpr10
	s_branch .LBB529_1458
.LBB529_1432:
	s_mov_b32 s15, -1
	s_mov_b32 s12, 0
                                        ; implicit-def: $vgpr10
	s_branch .LBB529_1493
.LBB529_1433:
	s_mov_b32 s12, -1
                                        ; implicit-def: $vgpr10
	s_branch .LBB529_1446
.LBB529_1434:
	s_mov_b32 s15, -1
	s_mov_b32 s12, 0
                                        ; implicit-def: $vgpr10
	s_branch .LBB529_1488
.LBB529_1435:
	s_mov_b32 s12, -1
                                        ; implicit-def: $vgpr10
	s_branch .LBB529_1443
.LBB529_1436:
	s_cbranch_execnz .LBB529_1479
; %bb.1437:
	s_or_b32 s2, s2, exec_lo
                                        ; implicit-def: $vgpr9
	s_cbranch_execz .LBB529_1410
	s_branch .LBB529_1411
.LBB529_1438:
	s_mov_b32 s15, -1
	s_mov_b32 s12, 0
	s_branch .LBB529_1482
.LBB529_1439:
	s_mov_b32 s12, -1
                                        ; implicit-def: $vgpr10
.LBB529_1440:
	s_delay_alu instid0(SALU_CYCLE_1)
	s_and_not1_b32 vcc_lo, exec_lo, s12
	s_cbranch_vccnz .LBB529_1442
; %bb.1441:
	global_load_b32 v9, v[5:6], off
	s_waitcnt vmcnt(0)
	v_cvt_f16_f32_e32 v10, v9
.LBB529_1442:
	s_mov_b32 s12, 0
.LBB529_1443:
	s_delay_alu instid0(SALU_CYCLE_1)
	s_and_not1_b32 vcc_lo, exec_lo, s12
	s_cbranch_vccnz .LBB529_1445
; %bb.1444:
	global_load_b32 v10, v[5:6], off
.LBB529_1445:
	s_mov_b32 s12, 0
.LBB529_1446:
	s_delay_alu instid0(SALU_CYCLE_1)
	s_and_not1_b32 vcc_lo, exec_lo, s12
	s_cbranch_vccnz .LBB529_1457
; %bb.1447:
	v_cmp_lt_i16_e64 s12, s10, 6
	s_delay_alu instid0(VALU_DEP_1)
	s_and_b32 vcc_lo, exec_lo, s12
	s_cbranch_vccnz .LBB529_1450
; %bb.1448:
	v_cmp_gt_i16_e64 s12, s10, 6
	s_delay_alu instid0(VALU_DEP_1)
	s_and_b32 vcc_lo, exec_lo, s12
	s_cbranch_vccz .LBB529_1451
; %bb.1449:
	global_load_b64 v[9:10], v[5:6], off
	s_mov_b32 s12, 0
	s_waitcnt vmcnt(0)
	v_cvt_f32_f64_e32 v9, v[9:10]
	s_delay_alu instid0(VALU_DEP_1)
	v_cvt_f16_f32_e32 v10, v9
	s_branch .LBB529_1452
.LBB529_1450:
	s_mov_b32 s12, -1
                                        ; implicit-def: $vgpr10
	s_branch .LBB529_1455
.LBB529_1451:
	s_mov_b32 s12, -1
                                        ; implicit-def: $vgpr10
.LBB529_1452:
	s_delay_alu instid0(SALU_CYCLE_1)
	s_and_not1_b32 vcc_lo, exec_lo, s12
	s_cbranch_vccnz .LBB529_1454
; %bb.1453:
	global_load_b32 v9, v[5:6], off
	s_waitcnt vmcnt(0)
	v_cvt_f16_f32_e32 v10, v9
.LBB529_1454:
	s_mov_b32 s12, 0
.LBB529_1455:
	s_delay_alu instid0(SALU_CYCLE_1)
	s_and_not1_b32 vcc_lo, exec_lo, s12
	s_cbranch_vccnz .LBB529_1457
; %bb.1456:
	global_load_u16 v10, v[5:6], off
.LBB529_1457:
	s_mov_b32 s12, 0
.LBB529_1458:
	s_delay_alu instid0(SALU_CYCLE_1)
	s_and_not1_b32 vcc_lo, exec_lo, s12
	s_cbranch_vccnz .LBB529_1478
; %bb.1459:
	v_cmp_lt_i16_e64 s12, s10, 2
	s_delay_alu instid0(VALU_DEP_1)
	s_and_b32 vcc_lo, exec_lo, s12
	s_cbranch_vccnz .LBB529_1463
; %bb.1460:
	v_cmp_lt_i16_e64 s12, s10, 3
	s_delay_alu instid0(VALU_DEP_1)
	s_and_b32 vcc_lo, exec_lo, s12
	s_cbranch_vccnz .LBB529_1464
; %bb.1461:
	v_cmp_gt_i16_e64 s12, s10, 3
	s_delay_alu instid0(VALU_DEP_1)
	s_and_b32 vcc_lo, exec_lo, s12
	s_cbranch_vccz .LBB529_1465
; %bb.1462:
	global_load_b64 v[9:10], v[5:6], off
	s_mov_b32 s12, 0
	s_waitcnt vmcnt(0)
	v_xor_b32_e32 v11, v9, v10
	v_cls_i32_e32 v12, v10
	s_delay_alu instid0(VALU_DEP_2) | instskip(NEXT) | instid1(VALU_DEP_2)
	v_ashrrev_i32_e32 v11, 31, v11
	v_add_nc_u32_e32 v12, -1, v12
	s_delay_alu instid0(VALU_DEP_2) | instskip(NEXT) | instid1(VALU_DEP_1)
	v_add_nc_u32_e32 v11, 32, v11
	v_min_u32_e32 v11, v12, v11
	s_delay_alu instid0(VALU_DEP_1) | instskip(NEXT) | instid1(VALU_DEP_1)
	v_lshlrev_b64 v[9:10], v11, v[9:10]
	v_min_u32_e32 v9, 1, v9
	s_delay_alu instid0(VALU_DEP_1) | instskip(SKIP_1) | instid1(VALU_DEP_2)
	v_or_b32_e32 v9, v10, v9
	v_sub_nc_u32_e32 v10, 32, v11
	v_cvt_f32_i32_e32 v9, v9
	s_delay_alu instid0(VALU_DEP_1) | instskip(NEXT) | instid1(VALU_DEP_1)
	v_ldexp_f32 v9, v9, v10
	v_cvt_f16_f32_e32 v10, v9
	s_branch .LBB529_1466
.LBB529_1463:
	s_mov_b32 s12, -1
                                        ; implicit-def: $vgpr10
	s_branch .LBB529_1472
.LBB529_1464:
	s_mov_b32 s12, -1
                                        ; implicit-def: $vgpr10
	s_branch .LBB529_1469
.LBB529_1465:
	s_mov_b32 s12, -1
                                        ; implicit-def: $vgpr10
.LBB529_1466:
	s_delay_alu instid0(SALU_CYCLE_1)
	s_and_not1_b32 vcc_lo, exec_lo, s12
	s_cbranch_vccnz .LBB529_1468
; %bb.1467:
	global_load_b32 v9, v[5:6], off
	s_waitcnt vmcnt(0)
	v_cvt_f32_i32_e32 v9, v9
	s_delay_alu instid0(VALU_DEP_1)
	v_cvt_f16_f32_e32 v10, v9
.LBB529_1468:
	s_mov_b32 s12, 0
.LBB529_1469:
	s_delay_alu instid0(SALU_CYCLE_1)
	s_and_not1_b32 vcc_lo, exec_lo, s12
	s_cbranch_vccnz .LBB529_1471
; %bb.1470:
	global_load_u16 v9, v[5:6], off
	s_waitcnt vmcnt(0)
	v_cvt_f16_i16_e32 v10, v9
.LBB529_1471:
	s_mov_b32 s12, 0
.LBB529_1472:
	s_delay_alu instid0(SALU_CYCLE_1)
	s_and_not1_b32 vcc_lo, exec_lo, s12
	s_cbranch_vccnz .LBB529_1478
; %bb.1473:
	v_cmp_gt_i16_e64 s12, s10, 0
	s_delay_alu instid0(VALU_DEP_1)
	s_and_b32 vcc_lo, exec_lo, s12
	s_mov_b32 s12, 0
	s_cbranch_vccz .LBB529_1475
; %bb.1474:
	global_load_i8 v9, v[5:6], off
	s_waitcnt vmcnt(0)
	v_cvt_f16_i16_e32 v10, v9
	s_branch .LBB529_1476
.LBB529_1475:
	s_mov_b32 s12, -1
                                        ; implicit-def: $vgpr10
.LBB529_1476:
	s_delay_alu instid0(SALU_CYCLE_1)
	s_and_not1_b32 vcc_lo, exec_lo, s12
	s_cbranch_vccnz .LBB529_1478
; %bb.1477:
	global_load_u8 v5, v[5:6], off
	s_waitcnt vmcnt(0)
	v_cvt_f16_u16_e32 v10, v5
.LBB529_1478:
	s_branch .LBB529_1550
.LBB529_1479:
	s_trap 2
	s_sendmsg_rtn_b32 s0, sendmsg(MSG_RTN_GET_DOORBELL)
	s_mov_b32 ttmp2, m0
	s_waitcnt lgkmcnt(0)
	s_and_b32 s0, s0, 0x3ff
	s_delay_alu instid0(SALU_CYCLE_1) | instskip(NEXT) | instid1(SALU_CYCLE_1)
	s_bitset1_b32 s0, 10
	s_mov_b32 m0, s0
	s_sendmsg sendmsg(MSG_INTERRUPT)
	s_mov_b32 m0, ttmp2
.LBB529_1480:                           ; =>This Inner Loop Header: Depth=1
	s_sethalt 5
	s_branch .LBB529_1480
.LBB529_1481:
	s_mov_b32 s12, -1
.LBB529_1482:
                                        ; implicit-def: $vgpr10
.LBB529_1483:
	s_and_b32 vcc_lo, exec_lo, s15
	s_cbranch_vccz .LBB529_1487
; %bb.1484:
	v_cmp_eq_u16_e64 s12, s10, 44
	s_delay_alu instid0(VALU_DEP_1)
	s_and_b32 vcc_lo, exec_lo, s12
	s_cbranch_vccz .LBB529_1486
; %bb.1485:
	global_load_u8 v9, v[5:6], off
	s_mov_b32 s12, 0
	s_mov_b32 s14, -1
	s_waitcnt vmcnt(0)
	v_lshlrev_b32_e32 v10, 23, v9
	v_cmp_ne_u32_e32 vcc_lo, 0xff, v9
	s_delay_alu instid0(VALU_DEP_2) | instskip(NEXT) | instid1(VALU_DEP_1)
	v_cvt_f16_f32_e32 v10, v10
	v_cndmask_b32_e32 v10, 0x7e00, v10, vcc_lo
	v_cmp_ne_u32_e32 vcc_lo, 0, v9
	s_delay_alu instid0(VALU_DEP_2)
	v_cndmask_b32_e32 v10, 0, v10, vcc_lo
	s_branch .LBB529_1487
.LBB529_1486:
	s_mov_b32 s12, -1
                                        ; implicit-def: $vgpr10
.LBB529_1487:
	s_mov_b32 s15, 0
.LBB529_1488:
	s_delay_alu instid0(SALU_CYCLE_1)
	s_and_b32 vcc_lo, exec_lo, s15
	s_cbranch_vccz .LBB529_1492
; %bb.1489:
	v_cmp_eq_u16_e64 s12, s10, 29
	s_delay_alu instid0(VALU_DEP_1)
	s_and_b32 vcc_lo, exec_lo, s12
	s_cbranch_vccz .LBB529_1491
; %bb.1490:
	global_load_b64 v[9:10], v[5:6], off
	s_mov_b32 s12, 0
	s_mov_b32 s14, -1
	s_mov_b32 s15, 0
	s_waitcnt vmcnt(0)
	v_clz_i32_u32_e32 v11, v10
	s_delay_alu instid0(VALU_DEP_1) | instskip(NEXT) | instid1(VALU_DEP_1)
	v_min_u32_e32 v11, 32, v11
	v_lshlrev_b64 v[9:10], v11, v[9:10]
	s_delay_alu instid0(VALU_DEP_1) | instskip(NEXT) | instid1(VALU_DEP_1)
	v_min_u32_e32 v9, 1, v9
	v_or_b32_e32 v9, v10, v9
	v_sub_nc_u32_e32 v10, 32, v11
	s_delay_alu instid0(VALU_DEP_2) | instskip(NEXT) | instid1(VALU_DEP_1)
	v_cvt_f32_u32_e32 v9, v9
	v_ldexp_f32 v9, v9, v10
	s_delay_alu instid0(VALU_DEP_1)
	v_cvt_f16_f32_e32 v10, v9
	s_branch .LBB529_1493
.LBB529_1491:
	s_mov_b32 s12, -1
                                        ; implicit-def: $vgpr10
.LBB529_1492:
	s_mov_b32 s15, 0
.LBB529_1493:
	s_delay_alu instid0(SALU_CYCLE_1)
	s_and_b32 vcc_lo, exec_lo, s15
	s_cbranch_vccz .LBB529_1511
; %bb.1494:
	v_cmp_lt_i16_e64 s14, s10, 27
	s_delay_alu instid0(VALU_DEP_1)
	s_and_b32 vcc_lo, exec_lo, s14
	s_cbranch_vccnz .LBB529_1497
; %bb.1495:
	v_cmp_gt_i16_e64 s14, s10, 27
	s_delay_alu instid0(VALU_DEP_1)
	s_and_b32 vcc_lo, exec_lo, s14
	s_cbranch_vccz .LBB529_1498
; %bb.1496:
	global_load_b32 v9, v[5:6], off
	s_mov_b32 s14, 0
	s_waitcnt vmcnt(0)
	v_cvt_f32_u32_e32 v9, v9
	s_delay_alu instid0(VALU_DEP_1)
	v_cvt_f16_f32_e32 v10, v9
	s_branch .LBB529_1499
.LBB529_1497:
	s_mov_b32 s14, -1
                                        ; implicit-def: $vgpr10
	s_branch .LBB529_1502
.LBB529_1498:
	s_mov_b32 s14, -1
                                        ; implicit-def: $vgpr10
.LBB529_1499:
	s_delay_alu instid0(SALU_CYCLE_1)
	s_and_not1_b32 vcc_lo, exec_lo, s14
	s_cbranch_vccnz .LBB529_1501
; %bb.1500:
	global_load_u16 v9, v[5:6], off
	s_waitcnt vmcnt(0)
	v_cvt_f16_u16_e32 v10, v9
.LBB529_1501:
	s_mov_b32 s14, 0
.LBB529_1502:
	s_delay_alu instid0(SALU_CYCLE_1)
	s_and_not1_b32 vcc_lo, exec_lo, s14
	s_cbranch_vccnz .LBB529_1510
; %bb.1503:
	global_load_u8 v9, v[5:6], off
	s_mov_b32 s14, 0
	s_mov_b32 s18, exec_lo
                                        ; implicit-def: $sgpr15
	s_waitcnt vmcnt(0)
	v_cmpx_lt_i16_e32 0x7f, v9
	s_xor_b32 s18, exec_lo, s18
	s_cbranch_execz .LBB529_1524
; %bb.1504:
	s_mov_b32 s14, -1
	s_mov_b32 s19, exec_lo
                                        ; implicit-def: $sgpr15
	v_cmpx_eq_u16_e32 0x80, v9
; %bb.1505:
	s_movk_i32 s15, 0x7e00
	s_xor_b32 s14, exec_lo, -1
; %bb.1506:
	s_or_b32 exec_lo, exec_lo, s19
	s_delay_alu instid0(SALU_CYCLE_1)
	s_and_b32 s14, s14, exec_lo
	s_or_saveexec_b32 s18, s18
	v_mov_b32_e32 v10, s15
	s_xor_b32 exec_lo, exec_lo, s18
	s_cbranch_execnz .LBB529_1525
.LBB529_1507:
	s_or_b32 exec_lo, exec_lo, s18
	s_and_saveexec_b32 s15, s14
	s_cbranch_execz .LBB529_1509
.LBB529_1508:
	v_and_b32_e32 v10, 0xffff, v9
	v_lshlrev_b32_e32 v9, 24, v9
	s_delay_alu instid0(VALU_DEP_2) | instskip(NEXT) | instid1(VALU_DEP_2)
	v_and_b32_e32 v11, 7, v10
	v_and_b32_e32 v9, 0x80000000, v9
	s_delay_alu instid0(VALU_DEP_2) | instskip(NEXT) | instid1(VALU_DEP_1)
	v_clz_i32_u32_e32 v12, v11
	v_min_u32_e32 v12, 32, v12
	s_delay_alu instid0(VALU_DEP_1) | instskip(SKIP_1) | instid1(VALU_DEP_2)
	v_subrev_nc_u32_e32 v13, 28, v12
	v_sub_nc_u32_e32 v12, 29, v12
	v_lshlrev_b32_e32 v13, v13, v10
	v_bfe_u32 v10, v10, 3, 4
	s_delay_alu instid0(VALU_DEP_2) | instskip(NEXT) | instid1(VALU_DEP_2)
	v_and_b32_e32 v13, 7, v13
	v_cmp_eq_u32_e32 vcc_lo, 0, v10
	s_delay_alu instid0(VALU_DEP_2) | instskip(NEXT) | instid1(VALU_DEP_1)
	v_dual_cndmask_b32 v10, v10, v12 :: v_dual_cndmask_b32 v11, v11, v13
	v_lshl_add_u32 v10, v10, 23, 0x3b800000
	s_delay_alu instid0(VALU_DEP_2) | instskip(NEXT) | instid1(VALU_DEP_1)
	v_lshlrev_b32_e32 v11, 20, v11
	v_or3_b32 v9, v9, v10, v11
	s_delay_alu instid0(VALU_DEP_1)
	v_cvt_f16_f32_e32 v10, v9
.LBB529_1509:
	s_or_b32 exec_lo, exec_lo, s15
.LBB529_1510:
	s_mov_b32 s14, -1
.LBB529_1511:
	s_mov_b32 s15, 0
.LBB529_1512:
	s_delay_alu instid0(SALU_CYCLE_1)
	s_and_b32 vcc_lo, exec_lo, s15
	s_cbranch_vccz .LBB529_1545
; %bb.1513:
	v_cmp_gt_i16_e64 s13, s10, 22
	s_delay_alu instid0(VALU_DEP_1)
	s_and_b32 vcc_lo, exec_lo, s13
	s_cbranch_vccz .LBB529_1523
; %bb.1514:
	v_cmp_lt_i16_e64 s13, s10, 24
	s_delay_alu instid0(VALU_DEP_1)
	s_and_b32 vcc_lo, exec_lo, s13
	s_cbranch_vccnz .LBB529_1526
; %bb.1515:
	v_cmp_gt_i16_e64 s13, s10, 24
	s_delay_alu instid0(VALU_DEP_1)
	s_and_b32 vcc_lo, exec_lo, s13
	s_cbranch_vccz .LBB529_1527
; %bb.1516:
	global_load_u8 v9, v[5:6], off
	s_mov_b32 s13, 0
	s_mov_b32 s15, exec_lo
                                        ; implicit-def: $sgpr14
	s_waitcnt vmcnt(0)
	v_cmpx_lt_i16_e32 0x7f, v9
	s_xor_b32 s15, exec_lo, s15
	s_cbranch_execz .LBB529_1539
; %bb.1517:
	s_mov_b32 s13, -1
	s_mov_b32 s18, exec_lo
                                        ; implicit-def: $sgpr14
	v_cmpx_eq_u16_e32 0x80, v9
; %bb.1518:
	s_movk_i32 s14, 0x7e00
	s_xor_b32 s13, exec_lo, -1
; %bb.1519:
	s_or_b32 exec_lo, exec_lo, s18
	s_delay_alu instid0(SALU_CYCLE_1)
	s_and_b32 s13, s13, exec_lo
	s_or_saveexec_b32 s15, s15
	v_mov_b32_e32 v10, s14
	s_xor_b32 exec_lo, exec_lo, s15
	s_cbranch_execnz .LBB529_1540
.LBB529_1520:
	s_or_b32 exec_lo, exec_lo, s15
	s_and_saveexec_b32 s14, s13
	s_cbranch_execz .LBB529_1522
.LBB529_1521:
	v_and_b32_e32 v10, 0xffff, v9
	v_lshlrev_b32_e32 v9, 24, v9
	s_delay_alu instid0(VALU_DEP_2) | instskip(NEXT) | instid1(VALU_DEP_2)
	v_and_b32_e32 v11, 3, v10
	v_and_b32_e32 v9, 0x80000000, v9
	s_delay_alu instid0(VALU_DEP_2) | instskip(NEXT) | instid1(VALU_DEP_1)
	v_clz_i32_u32_e32 v12, v11
	v_min_u32_e32 v12, 32, v12
	s_delay_alu instid0(VALU_DEP_1) | instskip(SKIP_1) | instid1(VALU_DEP_2)
	v_subrev_nc_u32_e32 v13, 29, v12
	v_sub_nc_u32_e32 v12, 30, v12
	v_lshlrev_b32_e32 v13, v13, v10
	v_bfe_u32 v10, v10, 2, 5
	s_delay_alu instid0(VALU_DEP_2) | instskip(NEXT) | instid1(VALU_DEP_2)
	v_and_b32_e32 v13, 3, v13
	v_cmp_eq_u32_e32 vcc_lo, 0, v10
	s_delay_alu instid0(VALU_DEP_2) | instskip(NEXT) | instid1(VALU_DEP_1)
	v_dual_cndmask_b32 v10, v10, v12 :: v_dual_cndmask_b32 v11, v11, v13
	v_lshl_add_u32 v10, v10, 23, 0x37800000
	s_delay_alu instid0(VALU_DEP_2) | instskip(NEXT) | instid1(VALU_DEP_1)
	v_lshlrev_b32_e32 v11, 21, v11
	v_or3_b32 v9, v9, v10, v11
	s_delay_alu instid0(VALU_DEP_1)
	v_cvt_f16_f32_e32 v10, v9
.LBB529_1522:
	s_or_b32 exec_lo, exec_lo, s14
	s_mov_b32 s13, 0
	s_branch .LBB529_1528
.LBB529_1523:
	s_mov_b32 s13, -1
                                        ; implicit-def: $vgpr10
	s_branch .LBB529_1534
.LBB529_1524:
	s_or_saveexec_b32 s18, s18
	v_mov_b32_e32 v10, s15
	s_xor_b32 exec_lo, exec_lo, s18
	s_cbranch_execz .LBB529_1507
.LBB529_1525:
	v_cmp_ne_u16_e32 vcc_lo, 0, v9
	v_mov_b32_e32 v10, v9
	s_and_not1_b32 s14, s14, exec_lo
	s_and_b32 s15, vcc_lo, exec_lo
	s_delay_alu instid0(SALU_CYCLE_1)
	s_or_b32 s14, s14, s15
	s_or_b32 exec_lo, exec_lo, s18
	s_and_saveexec_b32 s15, s14
	s_cbranch_execnz .LBB529_1508
	s_branch .LBB529_1509
.LBB529_1526:
	s_mov_b32 s13, -1
                                        ; implicit-def: $vgpr10
	s_branch .LBB529_1531
.LBB529_1527:
	s_mov_b32 s13, -1
                                        ; implicit-def: $vgpr10
.LBB529_1528:
	s_delay_alu instid0(SALU_CYCLE_1)
	s_and_b32 vcc_lo, exec_lo, s13
	s_cbranch_vccz .LBB529_1530
; %bb.1529:
	global_load_u8 v9, v[5:6], off
	s_waitcnt vmcnt(0)
	v_lshlrev_b32_e32 v9, 24, v9
	s_delay_alu instid0(VALU_DEP_1) | instskip(NEXT) | instid1(VALU_DEP_1)
	v_and_b32_e32 v10, 0x7f000000, v9
	v_clz_i32_u32_e32 v11, v10
	v_add_nc_u32_e32 v13, 0x1000000, v10
	v_cmp_ne_u32_e32 vcc_lo, 0, v10
	s_delay_alu instid0(VALU_DEP_3) | instskip(NEXT) | instid1(VALU_DEP_1)
	v_min_u32_e32 v11, 32, v11
	v_sub_nc_u32_e64 v11, v11, 4 clamp
	s_delay_alu instid0(VALU_DEP_1) | instskip(SKIP_1) | instid1(VALU_DEP_2)
	v_lshlrev_b32_e32 v12, v11, v10
	v_lshlrev_b32_e32 v11, 23, v11
	v_lshrrev_b32_e32 v12, 4, v12
	s_delay_alu instid0(VALU_DEP_1) | instskip(SKIP_1) | instid1(VALU_DEP_2)
	v_sub_nc_u32_e32 v11, v12, v11
	v_ashrrev_i32_e32 v12, 8, v13
	v_add_nc_u32_e32 v11, 0x3c000000, v11
	s_delay_alu instid0(VALU_DEP_1) | instskip(NEXT) | instid1(VALU_DEP_1)
	v_and_or_b32 v11, 0x7f800000, v12, v11
	v_cndmask_b32_e32 v10, 0, v11, vcc_lo
	s_delay_alu instid0(VALU_DEP_1) | instskip(NEXT) | instid1(VALU_DEP_1)
	v_and_or_b32 v9, 0x80000000, v9, v10
	v_cvt_f16_f32_e32 v10, v9
.LBB529_1530:
	s_mov_b32 s13, 0
.LBB529_1531:
	s_delay_alu instid0(SALU_CYCLE_1)
	s_and_not1_b32 vcc_lo, exec_lo, s13
	s_cbranch_vccnz .LBB529_1533
; %bb.1532:
	global_load_u8 v9, v[5:6], off
	s_waitcnt vmcnt(0)
	v_lshlrev_b32_e32 v10, 25, v9
	v_lshlrev_b16 v9, 8, v9
	s_delay_alu instid0(VALU_DEP_2) | instskip(NEXT) | instid1(VALU_DEP_2)
	v_lshrrev_b32_e32 v11, 4, v10
	v_and_or_b32 v12, 0x7f00, v9, 0.5
	v_bfe_i32 v9, v9, 0, 16
	s_delay_alu instid0(VALU_DEP_3) | instskip(NEXT) | instid1(VALU_DEP_1)
	v_or_b32_e32 v11, 0x70000000, v11
	v_dual_add_f32 v12, -0.5, v12 :: v_dual_mul_f32 v11, 0x7800000, v11
	v_cmp_gt_u32_e32 vcc_lo, 0x8000000, v10
	s_delay_alu instid0(VALU_DEP_2) | instskip(NEXT) | instid1(VALU_DEP_1)
	v_cndmask_b32_e32 v10, v11, v12, vcc_lo
	v_and_or_b32 v9, 0x80000000, v9, v10
	s_delay_alu instid0(VALU_DEP_1)
	v_cvt_f16_f32_e32 v10, v9
.LBB529_1533:
	s_mov_b32 s13, 0
	s_mov_b32 s14, -1
.LBB529_1534:
	s_and_not1_b32 vcc_lo, exec_lo, s13
	s_mov_b32 s13, 0
	s_cbranch_vccnz .LBB529_1545
; %bb.1535:
	v_cmp_gt_i16_e64 s13, s10, 14
	s_delay_alu instid0(VALU_DEP_1)
	s_and_b32 vcc_lo, exec_lo, s13
	s_cbranch_vccz .LBB529_1538
; %bb.1536:
	v_cmp_eq_u16_e64 s12, s10, 15
	s_delay_alu instid0(VALU_DEP_1)
	s_and_b32 vcc_lo, exec_lo, s12
	s_cbranch_vccz .LBB529_1541
; %bb.1537:
	global_load_u16 v9, v[5:6], off
	s_mov_b32 s12, 0
	s_mov_b32 s14, -1
	s_waitcnt vmcnt(0)
	v_lshlrev_b32_e32 v9, 16, v9
	s_delay_alu instid0(VALU_DEP_1)
	v_cvt_f16_f32_e32 v10, v9
	s_branch .LBB529_1542
.LBB529_1538:
	s_mov_b32 s13, -1
                                        ; implicit-def: $vgpr10
	s_branch .LBB529_1543
.LBB529_1539:
	s_or_saveexec_b32 s15, s15
	v_mov_b32_e32 v10, s14
	s_xor_b32 exec_lo, exec_lo, s15
	s_cbranch_execz .LBB529_1520
.LBB529_1540:
	v_cmp_ne_u16_e32 vcc_lo, 0, v9
	v_mov_b32_e32 v10, v9
	s_and_not1_b32 s13, s13, exec_lo
	s_and_b32 s14, vcc_lo, exec_lo
	s_delay_alu instid0(SALU_CYCLE_1)
	s_or_b32 s13, s13, s14
	s_or_b32 exec_lo, exec_lo, s15
	s_and_saveexec_b32 s14, s13
	s_cbranch_execnz .LBB529_1521
	s_branch .LBB529_1522
.LBB529_1541:
	s_mov_b32 s12, -1
                                        ; implicit-def: $vgpr10
.LBB529_1542:
	s_mov_b32 s13, 0
.LBB529_1543:
	s_delay_alu instid0(SALU_CYCLE_1)
	s_and_b32 vcc_lo, exec_lo, s13
	s_mov_b32 s13, 0
	s_cbranch_vccz .LBB529_1545
; %bb.1544:
	v_cmp_ne_u16_e64 s12, s10, 11
	s_mov_b32 s13, -1
                                        ; implicit-def: $vgpr10
.LBB529_1545:
	s_delay_alu instid0(VALU_DEP_1)
	s_and_b32 vcc_lo, exec_lo, s12
	s_cbranch_vccnz .LBB529_1565
; %bb.1546:
	s_and_not1_b32 vcc_lo, exec_lo, s13
	s_cbranch_vccnz .LBB529_1548
.LBB529_1547:
	global_load_u8 v9, v[5:6], off
	s_mov_b32 s14, -1
	s_waitcnt vmcnt(0)
	v_cmp_ne_u16_e32 vcc_lo, 0, v9
	v_cndmask_b32_e64 v10, 0, 0x3c00, vcc_lo
.LBB529_1548:
.LBB529_1549:
	s_and_not1_b32 vcc_lo, exec_lo, s14
	s_cbranch_vccnz .LBB529_2122
.LBB529_1550:
	v_mov_b32_e32 v9, s11
	s_mov_b32 s12, exec_lo
	s_waitcnt vmcnt(0)
	v_cmpx_o_f16_e32 v10, v10
	s_cbranch_execz .LBB529_1554
; %bb.1551:
	s_load_b32 s13, s[0:1], 0x160
	s_waitcnt lgkmcnt(0)
	s_lshr_b32 s13, s13, 16
	s_delay_alu instid0(SALU_CYCLE_1)
	v_mov_b32_e32 v9, s13
	s_mov_b32 s13, exec_lo
	v_cmpx_neq_f16_e32 0x7c00, v10
	s_cbranch_execz .LBB529_1553
; %bb.1552:
	s_load_b32 s14, s[16:17], 0x15c
	v_cmp_eq_f16_e32 vcc_lo, 0xfc00, v10
	s_waitcnt lgkmcnt(0)
	v_cndmask_b32_e64 v9, v10, s14, vcc_lo
.LBB529_1553:
	s_or_b32 exec_lo, exec_lo, s13
.LBB529_1554:
	s_delay_alu instid0(SALU_CYCLE_1) | instskip(SKIP_2) | instid1(VALU_DEP_1)
	s_or_b32 exec_lo, exec_lo, s12
	v_cmp_lt_i16_e64 s12, s10, 11
	v_add_co_u32 v4, s6, s6, v4
	v_add_co_ci_u32_e64 v5, null, s7, 0, s6
	s_delay_alu instid0(VALU_DEP_3)
	s_and_b32 vcc_lo, exec_lo, s12
	s_mov_b32 s12, 0
	s_cbranch_vccnz .LBB529_1561
; %bb.1555:
	v_cmp_gt_i16_e64 s6, s10, 25
	s_mov_b32 s7, 0
	s_delay_alu instid0(VALU_DEP_1)
	s_and_b32 vcc_lo, exec_lo, s6
	s_cbranch_vccz .LBB529_1562
; %bb.1556:
	v_cmp_gt_i16_e64 s6, s10, 28
	s_delay_alu instid0(VALU_DEP_1)
	s_and_b32 vcc_lo, exec_lo, s6
	s_cbranch_vccz .LBB529_1563
; %bb.1557:
	v_cmp_gt_i16_e64 s6, s10, 43
	;; [unrolled: 5-line block ×3, first 2 shown]
	s_delay_alu instid0(VALU_DEP_1)
	s_and_b32 vcc_lo, exec_lo, s6
	s_cbranch_vccz .LBB529_1567
; %bb.1559:
	v_cmp_eq_u16_e64 s6, s10, 46
	s_mov_b32 s13, 0
	s_delay_alu instid0(VALU_DEP_1)
	s_and_b32 vcc_lo, exec_lo, s6
	s_cbranch_vccz .LBB529_1570
; %bb.1560:
	global_load_b32 v6, v[4:5], off
	s_mov_b32 s6, 0
	s_mov_b32 s12, -1
	s_waitcnt vmcnt(0)
	v_lshlrev_b32_e32 v6, 16, v6
	s_delay_alu instid0(VALU_DEP_1)
	v_cvt_f16_f32_e32 v6, v6
	s_branch .LBB529_1572
.LBB529_1561:
	s_mov_b32 s6, -1
                                        ; implicit-def: $vgpr6
	s_branch .LBB529_1638
.LBB529_1562:
	s_mov_b32 s13, -1
	s_mov_b32 s6, 0
                                        ; implicit-def: $vgpr6
	s_branch .LBB529_1601
.LBB529_1563:
	s_mov_b32 s13, -1
	s_mov_b32 s6, 0
                                        ; implicit-def: $vgpr6
	s_branch .LBB529_1582
.LBB529_1564:
	s_mov_b32 s13, -1
	s_mov_b32 s6, 0
                                        ; implicit-def: $vgpr6
	s_branch .LBB529_1577
.LBB529_1565:
	s_cbranch_execnz .LBB529_1568
; %bb.1566:
	s_or_b32 s2, s2, exec_lo
                                        ; implicit-def: $vgpr10
	s_cbranch_execz .LBB529_1547
	s_branch .LBB529_1548
.LBB529_1567:
	s_mov_b32 s13, -1
	s_mov_b32 s6, 0
	s_branch .LBB529_1571
.LBB529_1568:
	s_trap 2
	s_sendmsg_rtn_b32 s0, sendmsg(MSG_RTN_GET_DOORBELL)
	s_mov_b32 ttmp2, m0
	s_waitcnt lgkmcnt(0)
	s_and_b32 s0, s0, 0x3ff
	s_delay_alu instid0(SALU_CYCLE_1) | instskip(NEXT) | instid1(SALU_CYCLE_1)
	s_bitset1_b32 s0, 10
	s_mov_b32 m0, s0
	s_sendmsg sendmsg(MSG_INTERRUPT)
	s_mov_b32 m0, ttmp2
.LBB529_1569:                           ; =>This Inner Loop Header: Depth=1
	s_sethalt 5
	s_branch .LBB529_1569
.LBB529_1570:
	s_mov_b32 s6, -1
.LBB529_1571:
                                        ; implicit-def: $vgpr6
.LBB529_1572:
	s_and_b32 vcc_lo, exec_lo, s13
	s_cbranch_vccz .LBB529_1576
; %bb.1573:
	v_cmp_eq_u16_e64 s6, s10, 44
	s_delay_alu instid0(VALU_DEP_1)
	s_and_b32 vcc_lo, exec_lo, s6
	s_cbranch_vccz .LBB529_1575
; %bb.1574:
	global_load_u8 v6, v[4:5], off
	s_mov_b32 s6, 0
	s_mov_b32 s12, -1
	s_waitcnt vmcnt(0)
	v_lshlrev_b32_e32 v10, 23, v6
	v_cmp_ne_u32_e32 vcc_lo, 0xff, v6
	s_delay_alu instid0(VALU_DEP_2) | instskip(NEXT) | instid1(VALU_DEP_1)
	v_cvt_f16_f32_e32 v10, v10
	v_cndmask_b32_e32 v10, 0x7e00, v10, vcc_lo
	v_cmp_ne_u32_e32 vcc_lo, 0, v6
	s_delay_alu instid0(VALU_DEP_2)
	v_cndmask_b32_e32 v6, 0, v10, vcc_lo
	s_branch .LBB529_1576
.LBB529_1575:
	s_mov_b32 s6, -1
                                        ; implicit-def: $vgpr6
.LBB529_1576:
	s_mov_b32 s13, 0
.LBB529_1577:
	s_delay_alu instid0(SALU_CYCLE_1)
	s_and_b32 vcc_lo, exec_lo, s13
	s_cbranch_vccz .LBB529_1581
; %bb.1578:
	v_cmp_eq_u16_e64 s6, s10, 29
	s_delay_alu instid0(VALU_DEP_1)
	s_and_b32 vcc_lo, exec_lo, s6
	s_cbranch_vccz .LBB529_1580
; %bb.1579:
	global_load_b64 v[10:11], v[4:5], off
	s_mov_b32 s6, 0
	s_mov_b32 s12, -1
	s_mov_b32 s13, 0
	s_waitcnt vmcnt(0)
	v_clz_i32_u32_e32 v6, v11
	s_delay_alu instid0(VALU_DEP_1) | instskip(NEXT) | instid1(VALU_DEP_1)
	v_min_u32_e32 v6, 32, v6
	v_lshlrev_b64 v[10:11], v6, v[10:11]
	v_sub_nc_u32_e32 v6, 32, v6
	s_delay_alu instid0(VALU_DEP_2) | instskip(NEXT) | instid1(VALU_DEP_1)
	v_min_u32_e32 v10, 1, v10
	v_or_b32_e32 v10, v11, v10
	s_delay_alu instid0(VALU_DEP_1) | instskip(NEXT) | instid1(VALU_DEP_1)
	v_cvt_f32_u32_e32 v10, v10
	v_ldexp_f32 v6, v10, v6
	s_delay_alu instid0(VALU_DEP_1)
	v_cvt_f16_f32_e32 v6, v6
	s_branch .LBB529_1582
.LBB529_1580:
	s_mov_b32 s6, -1
                                        ; implicit-def: $vgpr6
.LBB529_1581:
	s_mov_b32 s13, 0
.LBB529_1582:
	s_delay_alu instid0(SALU_CYCLE_1)
	s_and_b32 vcc_lo, exec_lo, s13
	s_cbranch_vccz .LBB529_1600
; %bb.1583:
	v_cmp_lt_i16_e64 s12, s10, 27
	s_delay_alu instid0(VALU_DEP_1)
	s_and_b32 vcc_lo, exec_lo, s12
	s_cbranch_vccnz .LBB529_1586
; %bb.1584:
	v_cmp_gt_i16_e64 s12, s10, 27
	s_delay_alu instid0(VALU_DEP_1)
	s_and_b32 vcc_lo, exec_lo, s12
	s_cbranch_vccz .LBB529_1587
; %bb.1585:
	global_load_b32 v6, v[4:5], off
	s_mov_b32 s12, 0
	s_waitcnt vmcnt(0)
	v_cvt_f32_u32_e32 v6, v6
	s_delay_alu instid0(VALU_DEP_1)
	v_cvt_f16_f32_e32 v6, v6
	s_branch .LBB529_1588
.LBB529_1586:
	s_mov_b32 s12, -1
                                        ; implicit-def: $vgpr6
	s_branch .LBB529_1591
.LBB529_1587:
	s_mov_b32 s12, -1
                                        ; implicit-def: $vgpr6
.LBB529_1588:
	s_delay_alu instid0(SALU_CYCLE_1)
	s_and_not1_b32 vcc_lo, exec_lo, s12
	s_cbranch_vccnz .LBB529_1590
; %bb.1589:
	global_load_u16 v6, v[4:5], off
	s_waitcnt vmcnt(0)
	v_cvt_f16_u16_e32 v6, v6
.LBB529_1590:
	s_mov_b32 s12, 0
.LBB529_1591:
	s_delay_alu instid0(SALU_CYCLE_1)
	s_and_not1_b32 vcc_lo, exec_lo, s12
	s_cbranch_vccnz .LBB529_1599
; %bb.1592:
	global_load_u8 v10, v[4:5], off
	s_mov_b32 s12, 0
	s_mov_b32 s14, exec_lo
                                        ; implicit-def: $sgpr13
	s_waitcnt vmcnt(0)
	v_cmpx_lt_i16_e32 0x7f, v10
	s_xor_b32 s14, exec_lo, s14
	s_cbranch_execz .LBB529_1613
; %bb.1593:
	s_mov_b32 s12, -1
	s_mov_b32 s15, exec_lo
                                        ; implicit-def: $sgpr13
	v_cmpx_eq_u16_e32 0x80, v10
; %bb.1594:
	s_movk_i32 s13, 0x7e00
	s_xor_b32 s12, exec_lo, -1
; %bb.1595:
	s_or_b32 exec_lo, exec_lo, s15
	s_delay_alu instid0(SALU_CYCLE_1)
	s_and_b32 s12, s12, exec_lo
	s_or_saveexec_b32 s14, s14
	v_mov_b32_e32 v6, s13
	s_xor_b32 exec_lo, exec_lo, s14
	s_cbranch_execnz .LBB529_1614
.LBB529_1596:
	s_or_b32 exec_lo, exec_lo, s14
	s_and_saveexec_b32 s13, s12
	s_cbranch_execz .LBB529_1598
.LBB529_1597:
	v_and_b32_e32 v6, 0xffff, v10
	v_lshlrev_b32_e32 v10, 24, v10
	s_delay_alu instid0(VALU_DEP_2) | instskip(NEXT) | instid1(VALU_DEP_2)
	v_and_b32_e32 v11, 7, v6
	v_and_b32_e32 v10, 0x80000000, v10
	s_delay_alu instid0(VALU_DEP_2) | instskip(NEXT) | instid1(VALU_DEP_1)
	v_clz_i32_u32_e32 v12, v11
	v_min_u32_e32 v12, 32, v12
	s_delay_alu instid0(VALU_DEP_1) | instskip(SKIP_1) | instid1(VALU_DEP_2)
	v_subrev_nc_u32_e32 v13, 28, v12
	v_sub_nc_u32_e32 v12, 29, v12
	v_lshlrev_b32_e32 v13, v13, v6
	v_bfe_u32 v6, v6, 3, 4
	s_delay_alu instid0(VALU_DEP_2) | instskip(NEXT) | instid1(VALU_DEP_2)
	v_and_b32_e32 v13, 7, v13
	v_cmp_eq_u32_e32 vcc_lo, 0, v6
	s_delay_alu instid0(VALU_DEP_2) | instskip(NEXT) | instid1(VALU_DEP_1)
	v_dual_cndmask_b32 v6, v6, v12 :: v_dual_cndmask_b32 v11, v11, v13
	v_lshl_add_u32 v6, v6, 23, 0x3b800000
	s_delay_alu instid0(VALU_DEP_2) | instskip(NEXT) | instid1(VALU_DEP_1)
	v_lshlrev_b32_e32 v11, 20, v11
	v_or3_b32 v6, v10, v6, v11
	s_delay_alu instid0(VALU_DEP_1)
	v_cvt_f16_f32_e32 v6, v6
.LBB529_1598:
	s_or_b32 exec_lo, exec_lo, s13
.LBB529_1599:
	s_mov_b32 s12, -1
.LBB529_1600:
	s_mov_b32 s13, 0
.LBB529_1601:
	s_delay_alu instid0(SALU_CYCLE_1)
	s_and_b32 vcc_lo, exec_lo, s13
	s_cbranch_vccz .LBB529_1634
; %bb.1602:
	v_cmp_gt_i16_e64 s7, s10, 22
	s_delay_alu instid0(VALU_DEP_1)
	s_and_b32 vcc_lo, exec_lo, s7
	s_cbranch_vccz .LBB529_1612
; %bb.1603:
	v_cmp_lt_i16_e64 s7, s10, 24
	s_delay_alu instid0(VALU_DEP_1)
	s_and_b32 vcc_lo, exec_lo, s7
	s_cbranch_vccnz .LBB529_1615
; %bb.1604:
	v_cmp_gt_i16_e64 s7, s10, 24
	s_delay_alu instid0(VALU_DEP_1)
	s_and_b32 vcc_lo, exec_lo, s7
	s_cbranch_vccz .LBB529_1616
; %bb.1605:
	global_load_u8 v10, v[4:5], off
	s_mov_b32 s7, 0
	s_mov_b32 s13, exec_lo
                                        ; implicit-def: $sgpr12
	s_waitcnt vmcnt(0)
	v_cmpx_lt_i16_e32 0x7f, v10
	s_xor_b32 s13, exec_lo, s13
	s_cbranch_execz .LBB529_1628
; %bb.1606:
	s_mov_b32 s7, -1
	s_mov_b32 s14, exec_lo
                                        ; implicit-def: $sgpr12
	v_cmpx_eq_u16_e32 0x80, v10
; %bb.1607:
	s_movk_i32 s12, 0x7e00
	s_xor_b32 s7, exec_lo, -1
; %bb.1608:
	s_or_b32 exec_lo, exec_lo, s14
	s_delay_alu instid0(SALU_CYCLE_1)
	s_and_b32 s7, s7, exec_lo
	s_or_saveexec_b32 s13, s13
	v_mov_b32_e32 v6, s12
	s_xor_b32 exec_lo, exec_lo, s13
	s_cbranch_execnz .LBB529_1629
.LBB529_1609:
	s_or_b32 exec_lo, exec_lo, s13
	s_and_saveexec_b32 s12, s7
	s_cbranch_execz .LBB529_1611
.LBB529_1610:
	v_and_b32_e32 v6, 0xffff, v10
	v_lshlrev_b32_e32 v10, 24, v10
	s_delay_alu instid0(VALU_DEP_2) | instskip(NEXT) | instid1(VALU_DEP_2)
	v_and_b32_e32 v11, 3, v6
	v_and_b32_e32 v10, 0x80000000, v10
	s_delay_alu instid0(VALU_DEP_2) | instskip(NEXT) | instid1(VALU_DEP_1)
	v_clz_i32_u32_e32 v12, v11
	v_min_u32_e32 v12, 32, v12
	s_delay_alu instid0(VALU_DEP_1) | instskip(SKIP_1) | instid1(VALU_DEP_2)
	v_subrev_nc_u32_e32 v13, 29, v12
	v_sub_nc_u32_e32 v12, 30, v12
	v_lshlrev_b32_e32 v13, v13, v6
	v_bfe_u32 v6, v6, 2, 5
	s_delay_alu instid0(VALU_DEP_2) | instskip(NEXT) | instid1(VALU_DEP_2)
	v_and_b32_e32 v13, 3, v13
	v_cmp_eq_u32_e32 vcc_lo, 0, v6
	s_delay_alu instid0(VALU_DEP_2) | instskip(NEXT) | instid1(VALU_DEP_1)
	v_dual_cndmask_b32 v6, v6, v12 :: v_dual_cndmask_b32 v11, v11, v13
	v_lshl_add_u32 v6, v6, 23, 0x37800000
	s_delay_alu instid0(VALU_DEP_2) | instskip(NEXT) | instid1(VALU_DEP_1)
	v_lshlrev_b32_e32 v11, 21, v11
	v_or3_b32 v6, v10, v6, v11
	s_delay_alu instid0(VALU_DEP_1)
	v_cvt_f16_f32_e32 v6, v6
.LBB529_1611:
	s_or_b32 exec_lo, exec_lo, s12
	s_mov_b32 s7, 0
	s_branch .LBB529_1617
.LBB529_1612:
	s_mov_b32 s7, -1
                                        ; implicit-def: $vgpr6
	s_branch .LBB529_1623
.LBB529_1613:
	s_or_saveexec_b32 s14, s14
	v_mov_b32_e32 v6, s13
	s_xor_b32 exec_lo, exec_lo, s14
	s_cbranch_execz .LBB529_1596
.LBB529_1614:
	v_cmp_ne_u16_e32 vcc_lo, 0, v10
	v_mov_b32_e32 v6, v10
	s_and_not1_b32 s12, s12, exec_lo
	s_and_b32 s13, vcc_lo, exec_lo
	s_delay_alu instid0(SALU_CYCLE_1)
	s_or_b32 s12, s12, s13
	s_or_b32 exec_lo, exec_lo, s14
	s_and_saveexec_b32 s13, s12
	s_cbranch_execnz .LBB529_1597
	s_branch .LBB529_1598
.LBB529_1615:
	s_mov_b32 s7, -1
                                        ; implicit-def: $vgpr6
	s_branch .LBB529_1620
.LBB529_1616:
	s_mov_b32 s7, -1
                                        ; implicit-def: $vgpr6
.LBB529_1617:
	s_delay_alu instid0(SALU_CYCLE_1)
	s_and_b32 vcc_lo, exec_lo, s7
	s_cbranch_vccz .LBB529_1619
; %bb.1618:
	global_load_u8 v6, v[4:5], off
	s_waitcnt vmcnt(0)
	v_lshlrev_b32_e32 v6, 24, v6
	s_delay_alu instid0(VALU_DEP_1) | instskip(NEXT) | instid1(VALU_DEP_1)
	v_and_b32_e32 v10, 0x7f000000, v6
	v_clz_i32_u32_e32 v11, v10
	v_cmp_ne_u32_e32 vcc_lo, 0, v10
	v_add_nc_u32_e32 v13, 0x1000000, v10
	s_delay_alu instid0(VALU_DEP_3) | instskip(NEXT) | instid1(VALU_DEP_1)
	v_min_u32_e32 v11, 32, v11
	v_sub_nc_u32_e64 v11, v11, 4 clamp
	s_delay_alu instid0(VALU_DEP_1) | instskip(SKIP_1) | instid1(VALU_DEP_2)
	v_lshlrev_b32_e32 v12, v11, v10
	v_lshlrev_b32_e32 v11, 23, v11
	v_lshrrev_b32_e32 v12, 4, v12
	s_delay_alu instid0(VALU_DEP_1) | instskip(SKIP_1) | instid1(VALU_DEP_2)
	v_sub_nc_u32_e32 v11, v12, v11
	v_ashrrev_i32_e32 v12, 8, v13
	v_add_nc_u32_e32 v11, 0x3c000000, v11
	s_delay_alu instid0(VALU_DEP_1) | instskip(NEXT) | instid1(VALU_DEP_1)
	v_and_or_b32 v11, 0x7f800000, v12, v11
	v_cndmask_b32_e32 v10, 0, v11, vcc_lo
	s_delay_alu instid0(VALU_DEP_1) | instskip(NEXT) | instid1(VALU_DEP_1)
	v_and_or_b32 v6, 0x80000000, v6, v10
	v_cvt_f16_f32_e32 v6, v6
.LBB529_1619:
	s_mov_b32 s7, 0
.LBB529_1620:
	s_delay_alu instid0(SALU_CYCLE_1)
	s_and_not1_b32 vcc_lo, exec_lo, s7
	s_cbranch_vccnz .LBB529_1622
; %bb.1621:
	global_load_u8 v6, v[4:5], off
	s_waitcnt vmcnt(0)
	v_lshlrev_b32_e32 v10, 25, v6
	v_lshlrev_b16 v6, 8, v6
	s_delay_alu instid0(VALU_DEP_2) | instskip(NEXT) | instid1(VALU_DEP_2)
	v_lshrrev_b32_e32 v11, 4, v10
	v_and_or_b32 v12, 0x7f00, v6, 0.5
	v_bfe_i32 v6, v6, 0, 16
	s_delay_alu instid0(VALU_DEP_3) | instskip(NEXT) | instid1(VALU_DEP_1)
	v_or_b32_e32 v11, 0x70000000, v11
	v_dual_add_f32 v12, -0.5, v12 :: v_dual_mul_f32 v11, 0x7800000, v11
	v_cmp_gt_u32_e32 vcc_lo, 0x8000000, v10
	s_delay_alu instid0(VALU_DEP_2) | instskip(NEXT) | instid1(VALU_DEP_1)
	v_cndmask_b32_e32 v10, v11, v12, vcc_lo
	v_and_or_b32 v6, 0x80000000, v6, v10
	s_delay_alu instid0(VALU_DEP_1)
	v_cvt_f16_f32_e32 v6, v6
.LBB529_1622:
	s_mov_b32 s7, 0
	s_mov_b32 s12, -1
.LBB529_1623:
	s_and_not1_b32 vcc_lo, exec_lo, s7
	s_mov_b32 s7, 0
	s_cbranch_vccnz .LBB529_1634
; %bb.1624:
	v_cmp_gt_i16_e64 s7, s10, 14
	s_delay_alu instid0(VALU_DEP_1)
	s_and_b32 vcc_lo, exec_lo, s7
	s_cbranch_vccz .LBB529_1627
; %bb.1625:
	v_cmp_eq_u16_e64 s6, s10, 15
	s_delay_alu instid0(VALU_DEP_1)
	s_and_b32 vcc_lo, exec_lo, s6
	s_cbranch_vccz .LBB529_1630
; %bb.1626:
	global_load_u16 v6, v[4:5], off
	s_mov_b32 s6, 0
	s_mov_b32 s12, -1
	s_waitcnt vmcnt(0)
	v_lshlrev_b32_e32 v6, 16, v6
	s_delay_alu instid0(VALU_DEP_1)
	v_cvt_f16_f32_e32 v6, v6
	s_branch .LBB529_1631
.LBB529_1627:
	s_mov_b32 s7, -1
                                        ; implicit-def: $vgpr6
	s_branch .LBB529_1632
.LBB529_1628:
	s_or_saveexec_b32 s13, s13
	v_mov_b32_e32 v6, s12
	s_xor_b32 exec_lo, exec_lo, s13
	s_cbranch_execz .LBB529_1609
.LBB529_1629:
	v_cmp_ne_u16_e32 vcc_lo, 0, v10
	v_mov_b32_e32 v6, v10
	s_and_not1_b32 s7, s7, exec_lo
	s_and_b32 s12, vcc_lo, exec_lo
	s_delay_alu instid0(SALU_CYCLE_1)
	s_or_b32 s7, s7, s12
	s_or_b32 exec_lo, exec_lo, s13
	s_and_saveexec_b32 s12, s7
	s_cbranch_execnz .LBB529_1610
	s_branch .LBB529_1611
.LBB529_1630:
	s_mov_b32 s6, -1
                                        ; implicit-def: $vgpr6
.LBB529_1631:
	s_mov_b32 s7, 0
.LBB529_1632:
	s_delay_alu instid0(SALU_CYCLE_1)
	s_and_b32 vcc_lo, exec_lo, s7
	s_mov_b32 s7, 0
	s_cbranch_vccz .LBB529_1634
; %bb.1633:
	v_cmp_ne_u16_e64 s6, s10, 11
	s_mov_b32 s7, -1
                                        ; implicit-def: $vgpr6
.LBB529_1634:
	s_delay_alu instid0(VALU_DEP_1)
	s_and_b32 vcc_lo, exec_lo, s6
	s_cbranch_vccnz .LBB529_2168
; %bb.1635:
	s_and_not1_b32 vcc_lo, exec_lo, s7
	s_cbranch_vccnz .LBB529_1637
.LBB529_1636:
	global_load_u8 v6, v[4:5], off
	s_mov_b32 s12, -1
	s_waitcnt vmcnt(0)
	v_cmp_ne_u16_e32 vcc_lo, 0, v6
	v_cndmask_b32_e64 v6, 0, 0x3c00, vcc_lo
.LBB529_1637:
	s_mov_b32 s6, 0
.LBB529_1638:
	s_delay_alu instid0(SALU_CYCLE_1)
	s_and_b32 vcc_lo, exec_lo, s6
	s_cbranch_vccz .LBB529_1687
; %bb.1639:
	v_cmp_lt_i16_e64 s6, s10, 5
	s_delay_alu instid0(VALU_DEP_1)
	s_and_b32 vcc_lo, exec_lo, s6
	s_cbranch_vccnz .LBB529_1644
; %bb.1640:
	v_cmp_lt_i16_e64 s6, s10, 8
	s_delay_alu instid0(VALU_DEP_1)
	s_and_b32 vcc_lo, exec_lo, s6
	s_cbranch_vccnz .LBB529_1645
; %bb.1641:
	v_cmp_lt_i16_e64 s6, s10, 9
	s_delay_alu instid0(VALU_DEP_1)
	s_and_b32 vcc_lo, exec_lo, s6
	s_cbranch_vccnz .LBB529_1646
; %bb.1642:
	v_cmp_gt_i16_e64 s6, s10, 9
	s_delay_alu instid0(VALU_DEP_1)
	s_and_b32 vcc_lo, exec_lo, s6
	s_cbranch_vccz .LBB529_1647
; %bb.1643:
	global_load_b64 v[10:11], v[4:5], off
	s_mov_b32 s6, 0
	s_waitcnt vmcnt(0)
	v_cvt_f32_f64_e32 v6, v[10:11]
	s_delay_alu instid0(VALU_DEP_1)
	v_cvt_f16_f32_e32 v6, v6
	s_branch .LBB529_1648
.LBB529_1644:
	s_mov_b32 s6, -1
                                        ; implicit-def: $vgpr6
	s_branch .LBB529_1666
.LBB529_1645:
	s_mov_b32 s6, -1
                                        ; implicit-def: $vgpr6
	s_branch .LBB529_1654
.LBB529_1646:
	s_mov_b32 s6, -1
                                        ; implicit-def: $vgpr6
	s_branch .LBB529_1651
.LBB529_1647:
	s_mov_b32 s6, -1
                                        ; implicit-def: $vgpr6
.LBB529_1648:
	s_delay_alu instid0(SALU_CYCLE_1)
	s_and_not1_b32 vcc_lo, exec_lo, s6
	s_cbranch_vccnz .LBB529_1650
; %bb.1649:
	global_load_b32 v6, v[4:5], off
	s_waitcnt vmcnt(0)
	v_cvt_f16_f32_e32 v6, v6
.LBB529_1650:
	s_mov_b32 s6, 0
.LBB529_1651:
	s_delay_alu instid0(SALU_CYCLE_1)
	s_and_not1_b32 vcc_lo, exec_lo, s6
	s_cbranch_vccnz .LBB529_1653
; %bb.1652:
	global_load_b32 v6, v[4:5], off
.LBB529_1653:
	s_mov_b32 s6, 0
.LBB529_1654:
	s_delay_alu instid0(SALU_CYCLE_1)
	s_and_not1_b32 vcc_lo, exec_lo, s6
	s_cbranch_vccnz .LBB529_1665
; %bb.1655:
	v_cmp_lt_i16_e64 s6, s10, 6
	s_delay_alu instid0(VALU_DEP_1)
	s_and_b32 vcc_lo, exec_lo, s6
	s_cbranch_vccnz .LBB529_1658
; %bb.1656:
	v_cmp_gt_i16_e64 s6, s10, 6
	s_delay_alu instid0(VALU_DEP_1)
	s_and_b32 vcc_lo, exec_lo, s6
	s_cbranch_vccz .LBB529_1659
; %bb.1657:
	global_load_b64 v[10:11], v[4:5], off
	s_mov_b32 s6, 0
	s_waitcnt vmcnt(0)
	v_cvt_f32_f64_e32 v6, v[10:11]
	s_delay_alu instid0(VALU_DEP_1)
	v_cvt_f16_f32_e32 v6, v6
	s_branch .LBB529_1660
.LBB529_1658:
	s_mov_b32 s6, -1
                                        ; implicit-def: $vgpr6
	s_branch .LBB529_1663
.LBB529_1659:
	s_mov_b32 s6, -1
                                        ; implicit-def: $vgpr6
.LBB529_1660:
	s_delay_alu instid0(SALU_CYCLE_1)
	s_and_not1_b32 vcc_lo, exec_lo, s6
	s_cbranch_vccnz .LBB529_1662
; %bb.1661:
	global_load_b32 v6, v[4:5], off
	s_waitcnt vmcnt(0)
	v_cvt_f16_f32_e32 v6, v6
.LBB529_1662:
	s_mov_b32 s6, 0
.LBB529_1663:
	s_delay_alu instid0(SALU_CYCLE_1)
	s_and_not1_b32 vcc_lo, exec_lo, s6
	s_cbranch_vccnz .LBB529_1665
; %bb.1664:
	global_load_u16 v6, v[4:5], off
.LBB529_1665:
	s_mov_b32 s6, 0
.LBB529_1666:
	s_delay_alu instid0(SALU_CYCLE_1)
	s_and_not1_b32 vcc_lo, exec_lo, s6
	s_cbranch_vccnz .LBB529_1686
; %bb.1667:
	v_cmp_lt_i16_e64 s6, s10, 2
	s_delay_alu instid0(VALU_DEP_1)
	s_and_b32 vcc_lo, exec_lo, s6
	s_cbranch_vccnz .LBB529_1671
; %bb.1668:
	v_cmp_lt_i16_e64 s6, s10, 3
	s_delay_alu instid0(VALU_DEP_1)
	s_and_b32 vcc_lo, exec_lo, s6
	s_cbranch_vccnz .LBB529_1672
; %bb.1669:
	v_cmp_gt_i16_e64 s6, s10, 3
	s_delay_alu instid0(VALU_DEP_1)
	s_and_b32 vcc_lo, exec_lo, s6
	s_cbranch_vccz .LBB529_1673
; %bb.1670:
	global_load_b64 v[10:11], v[4:5], off
	s_mov_b32 s6, 0
	s_waitcnt vmcnt(0)
	v_xor_b32_e32 v6, v10, v11
	v_cls_i32_e32 v12, v11
	s_delay_alu instid0(VALU_DEP_2) | instskip(NEXT) | instid1(VALU_DEP_2)
	v_ashrrev_i32_e32 v6, 31, v6
	v_add_nc_u32_e32 v12, -1, v12
	s_delay_alu instid0(VALU_DEP_2) | instskip(NEXT) | instid1(VALU_DEP_1)
	v_add_nc_u32_e32 v6, 32, v6
	v_min_u32_e32 v6, v12, v6
	s_delay_alu instid0(VALU_DEP_1) | instskip(SKIP_1) | instid1(VALU_DEP_2)
	v_lshlrev_b64 v[10:11], v6, v[10:11]
	v_sub_nc_u32_e32 v6, 32, v6
	v_min_u32_e32 v10, 1, v10
	s_delay_alu instid0(VALU_DEP_1) | instskip(NEXT) | instid1(VALU_DEP_1)
	v_or_b32_e32 v10, v11, v10
	v_cvt_f32_i32_e32 v10, v10
	s_delay_alu instid0(VALU_DEP_1) | instskip(NEXT) | instid1(VALU_DEP_1)
	v_ldexp_f32 v6, v10, v6
	v_cvt_f16_f32_e32 v6, v6
	s_branch .LBB529_1674
.LBB529_1671:
	s_mov_b32 s6, -1
                                        ; implicit-def: $vgpr6
	s_branch .LBB529_1680
.LBB529_1672:
	s_mov_b32 s6, -1
                                        ; implicit-def: $vgpr6
	s_branch .LBB529_1677
.LBB529_1673:
	s_mov_b32 s6, -1
                                        ; implicit-def: $vgpr6
.LBB529_1674:
	s_delay_alu instid0(SALU_CYCLE_1)
	s_and_not1_b32 vcc_lo, exec_lo, s6
	s_cbranch_vccnz .LBB529_1676
; %bb.1675:
	global_load_b32 v6, v[4:5], off
	s_waitcnt vmcnt(0)
	v_cvt_f32_i32_e32 v6, v6
	s_delay_alu instid0(VALU_DEP_1)
	v_cvt_f16_f32_e32 v6, v6
.LBB529_1676:
	s_mov_b32 s6, 0
.LBB529_1677:
	s_delay_alu instid0(SALU_CYCLE_1)
	s_and_not1_b32 vcc_lo, exec_lo, s6
	s_cbranch_vccnz .LBB529_1679
; %bb.1678:
	global_load_u16 v6, v[4:5], off
	s_waitcnt vmcnt(0)
	v_cvt_f16_i16_e32 v6, v6
.LBB529_1679:
	s_mov_b32 s6, 0
.LBB529_1680:
	s_delay_alu instid0(SALU_CYCLE_1)
	s_and_not1_b32 vcc_lo, exec_lo, s6
	s_cbranch_vccnz .LBB529_1686
; %bb.1681:
	v_cmp_gt_i16_e64 s6, s10, 0
	s_delay_alu instid0(VALU_DEP_1)
	s_and_b32 vcc_lo, exec_lo, s6
	s_mov_b32 s6, 0
	s_cbranch_vccz .LBB529_1683
; %bb.1682:
	global_load_i8 v6, v[4:5], off
	s_waitcnt vmcnt(0)
	v_cvt_f16_i16_e32 v6, v6
	s_branch .LBB529_1684
.LBB529_1683:
	s_mov_b32 s6, -1
                                        ; implicit-def: $vgpr6
.LBB529_1684:
	s_delay_alu instid0(SALU_CYCLE_1)
	s_and_not1_b32 vcc_lo, exec_lo, s6
	s_cbranch_vccnz .LBB529_1686
; %bb.1685:
	global_load_u8 v4, v[4:5], off
	s_waitcnt vmcnt(0)
	v_cvt_f16_u16_e32 v6, v4
.LBB529_1686:
	s_mov_b32 s12, -1
.LBB529_1687:
	s_delay_alu instid0(SALU_CYCLE_1)
	s_and_not1_b32 vcc_lo, exec_lo, s12
	s_cbranch_vccnz .LBB529_2122
; %bb.1688:
	v_mov_b32_e32 v5, s11
	s_mov_b32 s6, exec_lo
	s_waitcnt vmcnt(0)
	v_cmpx_o_f16_e32 v6, v6
	s_cbranch_execz .LBB529_1692
; %bb.1689:
	s_load_b32 s0, s[0:1], 0x160
	s_waitcnt lgkmcnt(0)
	s_lshr_b32 s0, s0, 16
	s_delay_alu instid0(SALU_CYCLE_1)
	v_mov_b32_e32 v5, s0
	s_mov_b32 s0, exec_lo
	v_cmpx_neq_f16_e32 0x7c00, v6
	s_cbranch_execz .LBB529_1691
; %bb.1690:
	s_load_b32 s1, s[16:17], 0x15c
	v_cmp_eq_f16_e32 vcc_lo, 0xfc00, v6
	s_waitcnt lgkmcnt(0)
	v_cndmask_b32_e64 v5, v6, s1, vcc_lo
.LBB529_1691:
	s_or_b32 exec_lo, exec_lo, s0
.LBB529_1692:
	s_delay_alu instid0(SALU_CYCLE_1) | instskip(SKIP_4) | instid1(VALU_DEP_1)
	s_or_b32 exec_lo, exec_lo, s6
	s_lshr_b32 s0, s3, 16
	s_mov_b32 s3, 0
	v_and_b32_e64 v6, 0xff, s0
	v_add_co_u32 v3, s0, s4, v3
	v_add_co_ci_u32_e64 v4, null, s5, 0, s0
	s_delay_alu instid0(VALU_DEP_3)
	v_cmp_gt_i16_e32 vcc_lo, 11, v6
	s_mov_b32 s0, -1
	s_cbranch_vccnz .LBB529_1770
; %bb.1693:
	v_cmp_lt_i16_e32 vcc_lo, 25, v6
	s_mov_b32 s6, -1
	s_mov_b32 s1, 0
	s_mov_b32 s0, 0
	s_cbranch_vccz .LBB529_1726
; %bb.1694:
	v_cmp_lt_i16_e32 vcc_lo, 28, v6
	s_cbranch_vccz .LBB529_1709
; %bb.1695:
	v_cmp_lt_i16_e32 vcc_lo, 43, v6
	;; [unrolled: 3-line block ×3, first 2 shown]
	s_cbranch_vccz .LBB529_1699
; %bb.1697:
	v_cmp_eq_u16_e32 vcc_lo, 46, v6
	s_mov_b32 s0, -1
	s_mov_b32 s6, 0
	s_cbranch_vccz .LBB529_1699
; %bb.1698:
	v_cvt_f32_f16_e32 v10, v8
	v_cmp_o_f16_e32 vcc_lo, v8, v8
	s_mov_b32 s0, 0
	s_mov_b32 s3, -1
	s_delay_alu instid0(VALU_DEP_2) | instskip(NEXT) | instid1(VALU_DEP_1)
	v_bfe_u32 v11, v10, 16, 1
	v_add3_u32 v10, v10, v11, 0x7fff
	s_delay_alu instid0(VALU_DEP_1) | instskip(NEXT) | instid1(VALU_DEP_1)
	v_lshrrev_b32_e32 v10, 16, v10
	v_cndmask_b32_e32 v10, 0x7fc0, v10, vcc_lo
	global_store_b32 v[3:4], v10, off
.LBB529_1699:
	s_and_b32 vcc_lo, exec_lo, s6
	s_cbranch_vccz .LBB529_1704
; %bb.1700:
	v_cmp_eq_u16_e32 vcc_lo, 44, v6
	s_mov_b32 s0, -1
	s_cbranch_vccz .LBB529_1704
; %bb.1701:
	v_cvt_f32_f16_e32 v10, v8
	v_mov_b32_e32 v11, 0xff
	s_mov_b32 s3, exec_lo
	s_delay_alu instid0(VALU_DEP_2) | instskip(NEXT) | instid1(VALU_DEP_1)
	v_bfe_u32 v12, v10, 23, 8
	v_cmpx_ne_u32_e32 0xff, v12
; %bb.1702:
	v_and_b32_e32 v11, 0x400000, v10
	v_and_or_b32 v12, 0x3fffff, v10, v12
	v_lshrrev_b32_e32 v10, 23, v10
	s_delay_alu instid0(VALU_DEP_3) | instskip(NEXT) | instid1(VALU_DEP_3)
	v_cmp_ne_u32_e32 vcc_lo, 0, v11
	v_cmp_ne_u32_e64 s0, 0, v12
	s_delay_alu instid0(VALU_DEP_1) | instskip(NEXT) | instid1(SALU_CYCLE_1)
	s_and_b32 s0, vcc_lo, s0
	v_cndmask_b32_e64 v11, 0, 1, s0
	s_delay_alu instid0(VALU_DEP_1)
	v_add_nc_u32_e32 v11, v10, v11
; %bb.1703:
	s_or_b32 exec_lo, exec_lo, s3
	s_mov_b32 s0, 0
	s_mov_b32 s3, -1
	global_store_b8 v[3:4], v11, off
.LBB529_1704:
	s_mov_b32 s6, 0
.LBB529_1705:
	s_delay_alu instid0(SALU_CYCLE_1)
	s_and_b32 vcc_lo, exec_lo, s6
	s_cbranch_vccz .LBB529_1708
; %bb.1706:
	v_cmp_eq_u16_e32 vcc_lo, 29, v6
	s_mov_b32 s0, -1
	s_cbranch_vccz .LBB529_1708
; %bb.1707:
	v_cvt_f32_f16_e32 v10, v8
	v_mov_b32_e32 v11, 0
	s_mov_b32 s0, 0
	s_mov_b32 s3, -1
	s_delay_alu instid0(VALU_DEP_2)
	v_cvt_u32_f32_e32 v10, v10
	global_store_b64 v[3:4], v[10:11], off
.LBB529_1708:
	s_mov_b32 s6, 0
.LBB529_1709:
	s_delay_alu instid0(SALU_CYCLE_1)
	s_and_b32 vcc_lo, exec_lo, s6
	s_cbranch_vccz .LBB529_1725
; %bb.1710:
	v_cmp_gt_i16_e32 vcc_lo, 27, v6
	s_mov_b32 s3, -1
	s_cbranch_vccnz .LBB529_1716
; %bb.1711:
	v_cmp_lt_i16_e32 vcc_lo, 27, v6
	s_cbranch_vccz .LBB529_1713
; %bb.1712:
	v_cvt_f32_f16_e32 v10, v8
	s_mov_b32 s3, 0
	s_delay_alu instid0(VALU_DEP_1)
	v_cvt_u32_f32_e32 v10, v10
	global_store_b32 v[3:4], v10, off
.LBB529_1713:
	s_and_not1_b32 vcc_lo, exec_lo, s3
	s_cbranch_vccnz .LBB529_1715
; %bb.1714:
	v_cvt_u16_f16_e32 v10, v8
	global_store_b16 v[3:4], v10, off
.LBB529_1715:
	s_mov_b32 s3, 0
.LBB529_1716:
	s_delay_alu instid0(SALU_CYCLE_1)
	s_and_not1_b32 vcc_lo, exec_lo, s3
	s_cbranch_vccnz .LBB529_1724
; %bb.1717:
	v_cvt_f32_f16_e32 v10, v8
	v_mov_b32_e32 v12, 0x80
	s_mov_b32 s3, exec_lo
	s_delay_alu instid0(VALU_DEP_2) | instskip(NEXT) | instid1(VALU_DEP_1)
	v_and_b32_e32 v11, 0x7fffffff, v10
	v_cmpx_gt_u32_e32 0x43800000, v11
	s_cbranch_execz .LBB529_1723
; %bb.1718:
	v_cmp_lt_u32_e32 vcc_lo, 0x3bffffff, v11
	s_mov_b32 s6, 0
                                        ; implicit-def: $vgpr11
	s_and_saveexec_b32 s7, vcc_lo
	s_delay_alu instid0(SALU_CYCLE_1)
	s_xor_b32 s7, exec_lo, s7
	s_cbranch_execz .LBB529_2170
; %bb.1719:
	v_bfe_u32 v11, v10, 20, 1
	s_mov_b32 s6, exec_lo
	s_delay_alu instid0(VALU_DEP_1) | instskip(NEXT) | instid1(VALU_DEP_1)
	v_add3_u32 v11, v10, v11, 0x487ffff
	v_lshrrev_b32_e32 v11, 20, v11
	s_or_saveexec_b32 s7, s7
                                        ; implicit-def: $sgpr10
	s_delay_alu instid0(SALU_CYCLE_1)
	s_xor_b32 exec_lo, exec_lo, s7
	s_cbranch_execnz .LBB529_2171
.LBB529_1720:
	s_or_b32 exec_lo, exec_lo, s7
	v_mov_b32_e32 v12, s10
	s_and_saveexec_b32 s7, s6
.LBB529_1721:
	v_lshrrev_b32_e32 v10, 24, v10
	s_delay_alu instid0(VALU_DEP_1)
	v_and_or_b32 v12, 0x80, v10, v11
.LBB529_1722:
	s_or_b32 exec_lo, exec_lo, s7
.LBB529_1723:
	s_delay_alu instid0(SALU_CYCLE_1)
	s_or_b32 exec_lo, exec_lo, s3
	global_store_b8 v[3:4], v12, off
.LBB529_1724:
	s_mov_b32 s3, -1
.LBB529_1725:
	s_mov_b32 s6, 0
.LBB529_1726:
	s_delay_alu instid0(SALU_CYCLE_1)
	s_and_b32 vcc_lo, exec_lo, s6
	s_cbranch_vccz .LBB529_1766
; %bb.1727:
	v_cmp_lt_i16_e32 vcc_lo, 22, v6
	s_mov_b32 s1, -1
	s_cbranch_vccz .LBB529_1759
; %bb.1728:
	v_cmp_gt_i16_e32 vcc_lo, 24, v6
	s_cbranch_vccnz .LBB529_1748
; %bb.1729:
	v_cmp_lt_i16_e32 vcc_lo, 24, v6
	s_cbranch_vccz .LBB529_1737
; %bb.1730:
	v_cvt_f32_f16_e32 v10, v8
	v_mov_b32_e32 v12, 0x80
	s_mov_b32 s1, exec_lo
	s_delay_alu instid0(VALU_DEP_2) | instskip(NEXT) | instid1(VALU_DEP_1)
	v_and_b32_e32 v11, 0x7fffffff, v10
	v_cmpx_gt_u32_e32 0x47800000, v11
	s_cbranch_execz .LBB529_1736
; %bb.1731:
	v_cmp_lt_u32_e32 vcc_lo, 0x37ffffff, v11
	s_mov_b32 s3, 0
                                        ; implicit-def: $vgpr11
	s_and_saveexec_b32 s6, vcc_lo
	s_delay_alu instid0(SALU_CYCLE_1)
	s_xor_b32 s6, exec_lo, s6
	s_cbranch_execz .LBB529_2176
; %bb.1732:
	v_bfe_u32 v11, v10, 21, 1
	s_mov_b32 s3, exec_lo
	s_delay_alu instid0(VALU_DEP_1) | instskip(NEXT) | instid1(VALU_DEP_1)
	v_add3_u32 v11, v10, v11, 0x88fffff
	v_lshrrev_b32_e32 v11, 21, v11
	s_or_saveexec_b32 s6, s6
                                        ; implicit-def: $sgpr7
	s_delay_alu instid0(SALU_CYCLE_1)
	s_xor_b32 exec_lo, exec_lo, s6
	s_cbranch_execnz .LBB529_2177
.LBB529_1733:
	s_or_b32 exec_lo, exec_lo, s6
	v_mov_b32_e32 v12, s7
	s_and_saveexec_b32 s6, s3
.LBB529_1734:
	v_lshrrev_b32_e32 v10, 24, v10
	s_delay_alu instid0(VALU_DEP_1)
	v_and_or_b32 v12, 0x80, v10, v11
.LBB529_1735:
	s_or_b32 exec_lo, exec_lo, s6
.LBB529_1736:
	s_delay_alu instid0(SALU_CYCLE_1)
	s_or_b32 exec_lo, exec_lo, s1
	s_mov_b32 s1, 0
	global_store_b8 v[3:4], v12, off
.LBB529_1737:
	s_and_b32 vcc_lo, exec_lo, s1
	s_cbranch_vccz .LBB529_1747
; %bb.1738:
	v_cvt_f32_f16_e32 v10, v8
	s_mov_b32 s1, exec_lo
                                        ; implicit-def: $vgpr11
	s_delay_alu instid0(VALU_DEP_1) | instskip(NEXT) | instid1(VALU_DEP_1)
	v_and_b32_e32 v12, 0x7fffffff, v10
	v_cmpx_gt_u32_e32 0x43f00000, v12
	s_xor_b32 s1, exec_lo, s1
	s_cbranch_execz .LBB529_1744
; %bb.1739:
	s_mov_b32 s3, exec_lo
                                        ; implicit-def: $vgpr11
	v_cmpx_lt_u32_e32 0x3c7fffff, v12
	s_xor_b32 s3, exec_lo, s3
; %bb.1740:
	v_bfe_u32 v11, v10, 20, 1
	s_delay_alu instid0(VALU_DEP_1) | instskip(NEXT) | instid1(VALU_DEP_1)
	v_add3_u32 v11, v10, v11, 0x407ffff
	v_and_b32_e32 v12, 0xff00000, v11
	v_lshrrev_b32_e32 v11, 20, v11
	s_delay_alu instid0(VALU_DEP_2) | instskip(NEXT) | instid1(VALU_DEP_2)
	v_cmp_ne_u32_e32 vcc_lo, 0x7f00000, v12
	v_cndmask_b32_e32 v11, 0x7e, v11, vcc_lo
; %bb.1741:
	s_and_not1_saveexec_b32 s3, s3
; %bb.1742:
	v_add_f32_e64 v11, 0x46800000, |v10|
; %bb.1743:
	s_or_b32 exec_lo, exec_lo, s3
                                        ; implicit-def: $vgpr12
.LBB529_1744:
	s_and_not1_saveexec_b32 s1, s1
; %bb.1745:
	v_mov_b32_e32 v11, 0x7f
	v_cmp_lt_u32_e32 vcc_lo, 0x7f800000, v12
	s_delay_alu instid0(VALU_DEP_2)
	v_cndmask_b32_e32 v11, 0x7e, v11, vcc_lo
; %bb.1746:
	s_or_b32 exec_lo, exec_lo, s1
	v_lshrrev_b32_e32 v10, 24, v10
	s_delay_alu instid0(VALU_DEP_1)
	v_and_or_b32 v10, 0x80, v10, v11
	global_store_b8 v[3:4], v10, off
.LBB529_1747:
	s_mov_b32 s1, 0
.LBB529_1748:
	s_delay_alu instid0(SALU_CYCLE_1)
	s_and_not1_b32 vcc_lo, exec_lo, s1
	s_cbranch_vccnz .LBB529_1758
; %bb.1749:
	v_cvt_f32_f16_e32 v10, v8
	s_mov_b32 s1, exec_lo
                                        ; implicit-def: $vgpr11
	s_delay_alu instid0(VALU_DEP_1) | instskip(NEXT) | instid1(VALU_DEP_1)
	v_and_b32_e32 v12, 0x7fffffff, v10
	v_cmpx_gt_u32_e32 0x47800000, v12
	s_xor_b32 s1, exec_lo, s1
	s_cbranch_execz .LBB529_1755
; %bb.1750:
	s_mov_b32 s3, exec_lo
                                        ; implicit-def: $vgpr11
	v_cmpx_lt_u32_e32 0x387fffff, v12
	s_xor_b32 s3, exec_lo, s3
; %bb.1751:
	v_bfe_u32 v11, v10, 21, 1
	s_delay_alu instid0(VALU_DEP_1) | instskip(NEXT) | instid1(VALU_DEP_1)
	v_add3_u32 v11, v10, v11, 0x80fffff
	v_lshrrev_b32_e32 v11, 21, v11
; %bb.1752:
	s_and_not1_saveexec_b32 s3, s3
; %bb.1753:
	v_add_f32_e64 v11, 0x43000000, |v10|
; %bb.1754:
	s_or_b32 exec_lo, exec_lo, s3
                                        ; implicit-def: $vgpr12
.LBB529_1755:
	s_and_not1_saveexec_b32 s1, s1
; %bb.1756:
	v_mov_b32_e32 v11, 0x7f
	v_cmp_lt_u32_e32 vcc_lo, 0x7f800000, v12
	s_delay_alu instid0(VALU_DEP_2)
	v_cndmask_b32_e32 v11, 0x7c, v11, vcc_lo
; %bb.1757:
	s_or_b32 exec_lo, exec_lo, s1
	v_lshrrev_b32_e32 v10, 24, v10
	s_delay_alu instid0(VALU_DEP_1)
	v_and_or_b32 v10, 0x80, v10, v11
	global_store_b8 v[3:4], v10, off
.LBB529_1758:
	s_mov_b32 s1, 0
	s_mov_b32 s3, -1
.LBB529_1759:
	s_and_not1_b32 vcc_lo, exec_lo, s1
	s_mov_b32 s1, 0
	s_cbranch_vccnz .LBB529_1766
; %bb.1760:
	v_cmp_lt_i16_e32 vcc_lo, 14, v6
	s_mov_b32 s1, -1
	s_cbranch_vccz .LBB529_1764
; %bb.1761:
	v_cmp_eq_u16_e32 vcc_lo, 15, v6
	s_mov_b32 s0, -1
	s_cbranch_vccz .LBB529_1763
; %bb.1762:
	v_cvt_f32_f16_e32 v10, v8
	v_cmp_o_f16_e32 vcc_lo, v8, v8
	s_mov_b32 s0, 0
	s_mov_b32 s3, -1
	s_delay_alu instid0(VALU_DEP_2) | instskip(NEXT) | instid1(VALU_DEP_1)
	v_bfe_u32 v11, v10, 16, 1
	v_add3_u32 v10, v10, v11, 0x7fff
	s_delay_alu instid0(VALU_DEP_1) | instskip(NEXT) | instid1(VALU_DEP_1)
	v_lshrrev_b32_e32 v10, 16, v10
	v_cndmask_b32_e32 v10, 0x7fc0, v10, vcc_lo
	global_store_b16 v[3:4], v10, off
.LBB529_1763:
	s_mov_b32 s1, 0
.LBB529_1764:
	s_delay_alu instid0(SALU_CYCLE_1)
	s_and_b32 vcc_lo, exec_lo, s1
	s_mov_b32 s1, 0
	s_cbranch_vccz .LBB529_1766
; %bb.1765:
	v_cmp_ne_u16_e64 s0, 11, v6
	s_mov_b32 s1, -1
.LBB529_1766:
	s_delay_alu instid0(VALU_DEP_1)
	s_and_b32 vcc_lo, exec_lo, s0
	s_cbranch_vccnz .LBB529_2174
; %bb.1767:
	s_and_not1_b32 vcc_lo, exec_lo, s1
	s_cbranch_vccnz .LBB529_1769
.LBB529_1768:
	v_and_b32_e32 v10, 0x7fff, v8
	s_mov_b32 s3, -1
	s_delay_alu instid0(VALU_DEP_1)
	v_cmp_ne_u16_e32 vcc_lo, 0, v10
	v_cndmask_b32_e64 v10, 0, 1, vcc_lo
	global_store_b8 v[3:4], v10, off
.LBB529_1769:
	s_mov_b32 s0, 0
.LBB529_1770:
	s_delay_alu instid0(SALU_CYCLE_1)
	s_and_b32 vcc_lo, exec_lo, s0
	s_cbranch_vccz .LBB529_1809
; %bb.1771:
	v_cmp_gt_i16_e32 vcc_lo, 5, v6
	s_mov_b32 s0, -1
	s_cbranch_vccnz .LBB529_1792
; %bb.1772:
	v_cmp_gt_i16_e32 vcc_lo, 8, v6
	s_cbranch_vccnz .LBB529_1782
; %bb.1773:
	v_cmp_gt_i16_e32 vcc_lo, 9, v6
	s_cbranch_vccnz .LBB529_1779
; %bb.1774:
	v_cmp_lt_i16_e32 vcc_lo, 9, v6
	s_cbranch_vccz .LBB529_1776
; %bb.1775:
	v_cvt_f32_f16_e32 v10, v8
	v_mov_b32_e32 v12, 0
	s_mov_b32 s0, 0
	s_delay_alu instid0(VALU_DEP_2) | instskip(NEXT) | instid1(VALU_DEP_2)
	v_cvt_f64_f32_e32 v[10:11], v10
	v_mov_b32_e32 v13, v12
	global_store_b128 v[3:4], v[10:13], off
.LBB529_1776:
	s_and_not1_b32 vcc_lo, exec_lo, s0
	s_cbranch_vccnz .LBB529_1778
; %bb.1777:
	v_cvt_f32_f16_e32 v10, v8
	v_mov_b32_e32 v11, 0
	global_store_b64 v[3:4], v[10:11], off
.LBB529_1778:
	s_mov_b32 s0, 0
.LBB529_1779:
	s_delay_alu instid0(SALU_CYCLE_1)
	s_and_not1_b32 vcc_lo, exec_lo, s0
	s_cbranch_vccnz .LBB529_1781
; %bb.1780:
	v_and_b32_e32 v10, 0xffff, v8
	global_store_b32 v[3:4], v10, off
.LBB529_1781:
	s_mov_b32 s0, 0
.LBB529_1782:
	s_delay_alu instid0(SALU_CYCLE_1)
	s_and_not1_b32 vcc_lo, exec_lo, s0
	s_cbranch_vccnz .LBB529_1791
; %bb.1783:
	v_cmp_gt_i16_e32 vcc_lo, 6, v6
	s_mov_b32 s0, -1
	s_cbranch_vccnz .LBB529_1789
; %bb.1784:
	v_cmp_lt_i16_e32 vcc_lo, 6, v6
	s_cbranch_vccz .LBB529_1786
; %bb.1785:
	v_cvt_f32_f16_e32 v10, v8
	s_mov_b32 s0, 0
	s_delay_alu instid0(VALU_DEP_1)
	v_cvt_f64_f32_e32 v[10:11], v10
	global_store_b64 v[3:4], v[10:11], off
.LBB529_1786:
	s_and_not1_b32 vcc_lo, exec_lo, s0
	s_cbranch_vccnz .LBB529_1788
; %bb.1787:
	v_cvt_f32_f16_e32 v10, v8
	global_store_b32 v[3:4], v10, off
.LBB529_1788:
	s_mov_b32 s0, 0
.LBB529_1789:
	s_delay_alu instid0(SALU_CYCLE_1)
	s_and_not1_b32 vcc_lo, exec_lo, s0
	s_cbranch_vccnz .LBB529_1791
; %bb.1790:
	global_store_b16 v[3:4], v8, off
.LBB529_1791:
	s_mov_b32 s0, 0
.LBB529_1792:
	s_delay_alu instid0(SALU_CYCLE_1)
	s_and_not1_b32 vcc_lo, exec_lo, s0
	s_cbranch_vccnz .LBB529_1808
; %bb.1793:
	v_cmp_gt_i16_e32 vcc_lo, 2, v6
	s_mov_b32 s0, -1
	s_cbranch_vccnz .LBB529_1803
; %bb.1794:
	v_cmp_gt_i16_e32 vcc_lo, 3, v6
	s_cbranch_vccnz .LBB529_1800
; %bb.1795:
	v_cmp_lt_i16_e32 vcc_lo, 3, v6
	s_cbranch_vccz .LBB529_1797
; %bb.1796:
	v_cvt_f32_f16_e32 v10, v8
	s_mov_b32 s0, 0
	s_delay_alu instid0(VALU_DEP_1) | instskip(NEXT) | instid1(VALU_DEP_1)
	v_cvt_i32_f32_e32 v10, v10
	v_ashrrev_i32_e32 v11, 31, v10
	global_store_b64 v[3:4], v[10:11], off
.LBB529_1797:
	s_and_not1_b32 vcc_lo, exec_lo, s0
	s_cbranch_vccnz .LBB529_1799
; %bb.1798:
	v_cvt_f32_f16_e32 v10, v8
	s_delay_alu instid0(VALU_DEP_1)
	v_cvt_i32_f32_e32 v10, v10
	global_store_b32 v[3:4], v10, off
.LBB529_1799:
	s_mov_b32 s0, 0
.LBB529_1800:
	s_delay_alu instid0(SALU_CYCLE_1)
	s_and_not1_b32 vcc_lo, exec_lo, s0
	s_cbranch_vccnz .LBB529_1802
; %bb.1801:
	v_cvt_i16_f16_e32 v10, v8
	global_store_b16 v[3:4], v10, off
.LBB529_1802:
	s_mov_b32 s0, 0
.LBB529_1803:
	s_delay_alu instid0(SALU_CYCLE_1)
	s_and_not1_b32 vcc_lo, exec_lo, s0
	s_cbranch_vccnz .LBB529_1808
; %bb.1804:
	v_cmp_lt_i16_e32 vcc_lo, 0, v6
	s_mov_b32 s0, -1
	s_cbranch_vccz .LBB529_1806
; %bb.1805:
	v_cvt_i16_f16_e32 v10, v8
	s_mov_b32 s0, 0
	global_store_b8 v[3:4], v10, off
.LBB529_1806:
	s_and_not1_b32 vcc_lo, exec_lo, s0
	s_cbranch_vccnz .LBB529_1808
; %bb.1807:
	v_cvt_f32_f16_e32 v8, v8
	s_delay_alu instid0(VALU_DEP_1)
	v_cvt_i32_f32_e32 v8, v8
	global_store_b8 v[3:4], v8, off
.LBB529_1808:
	s_mov_b32 s3, -1
.LBB529_1809:
	s_delay_alu instid0(SALU_CYCLE_1)
	s_and_not1_b32 vcc_lo, exec_lo, s3
	s_cbranch_vccnz .LBB529_2167
; %bb.1810:
	v_cmp_gt_i16_e32 vcc_lo, 11, v6
	v_add_co_u32 v2, s0, s4, v2
	s_delay_alu instid0(VALU_DEP_1)
	v_add_co_ci_u32_e64 v3, null, s5, 0, s0
	s_mov_b32 s3, 0
	s_mov_b32 s0, -1
	s_cbranch_vccnz .LBB529_1888
; %bb.1811:
	v_cmp_lt_i16_e32 vcc_lo, 25, v6
	s_mov_b32 s6, -1
	s_mov_b32 s1, 0
	s_mov_b32 s0, 0
	s_cbranch_vccz .LBB529_1844
; %bb.1812:
	v_cmp_lt_i16_e32 vcc_lo, 28, v6
	s_cbranch_vccz .LBB529_1827
; %bb.1813:
	v_cmp_lt_i16_e32 vcc_lo, 43, v6
	;; [unrolled: 3-line block ×3, first 2 shown]
	s_cbranch_vccz .LBB529_1817
; %bb.1815:
	v_cmp_eq_u16_e32 vcc_lo, 46, v6
	s_mov_b32 s0, -1
	s_mov_b32 s6, 0
	s_cbranch_vccz .LBB529_1817
; %bb.1816:
	v_cvt_f32_f16_e32 v4, v7
	v_cmp_o_f16_e32 vcc_lo, v7, v7
	s_mov_b32 s0, 0
	s_mov_b32 s3, -1
	s_delay_alu instid0(VALU_DEP_2) | instskip(NEXT) | instid1(VALU_DEP_1)
	v_bfe_u32 v8, v4, 16, 1
	v_add3_u32 v4, v4, v8, 0x7fff
	s_delay_alu instid0(VALU_DEP_1) | instskip(NEXT) | instid1(VALU_DEP_1)
	v_lshrrev_b32_e32 v4, 16, v4
	v_cndmask_b32_e32 v4, 0x7fc0, v4, vcc_lo
	global_store_b32 v[2:3], v4, off
.LBB529_1817:
	s_and_b32 vcc_lo, exec_lo, s6
	s_cbranch_vccz .LBB529_1822
; %bb.1818:
	v_cmp_eq_u16_e32 vcc_lo, 44, v6
	s_mov_b32 s0, -1
	s_cbranch_vccz .LBB529_1822
; %bb.1819:
	v_cvt_f32_f16_e32 v4, v7
	v_mov_b32_e32 v8, 0xff
	s_mov_b32 s3, exec_lo
	s_delay_alu instid0(VALU_DEP_2) | instskip(NEXT) | instid1(VALU_DEP_1)
	v_bfe_u32 v10, v4, 23, 8
	v_cmpx_ne_u32_e32 0xff, v10
; %bb.1820:
	v_and_b32_e32 v8, 0x400000, v4
	v_and_or_b32 v10, 0x3fffff, v4, v10
	v_lshrrev_b32_e32 v4, 23, v4
	s_delay_alu instid0(VALU_DEP_3) | instskip(NEXT) | instid1(VALU_DEP_3)
	v_cmp_ne_u32_e32 vcc_lo, 0, v8
	v_cmp_ne_u32_e64 s0, 0, v10
	s_delay_alu instid0(VALU_DEP_1) | instskip(NEXT) | instid1(SALU_CYCLE_1)
	s_and_b32 s0, vcc_lo, s0
	v_cndmask_b32_e64 v8, 0, 1, s0
	s_delay_alu instid0(VALU_DEP_1)
	v_add_nc_u32_e32 v8, v4, v8
; %bb.1821:
	s_or_b32 exec_lo, exec_lo, s3
	s_mov_b32 s0, 0
	s_mov_b32 s3, -1
	global_store_b8 v[2:3], v8, off
.LBB529_1822:
	s_mov_b32 s6, 0
.LBB529_1823:
	s_delay_alu instid0(SALU_CYCLE_1)
	s_and_b32 vcc_lo, exec_lo, s6
	s_cbranch_vccz .LBB529_1826
; %bb.1824:
	v_cmp_eq_u16_e32 vcc_lo, 29, v6
	s_mov_b32 s0, -1
	s_cbranch_vccz .LBB529_1826
; %bb.1825:
	v_cvt_f32_f16_e32 v4, v7
	v_mov_b32_e32 v11, 0
	s_mov_b32 s0, 0
	s_mov_b32 s3, -1
	s_delay_alu instid0(VALU_DEP_2)
	v_cvt_u32_f32_e32 v10, v4
	global_store_b64 v[2:3], v[10:11], off
.LBB529_1826:
	s_mov_b32 s6, 0
.LBB529_1827:
	s_delay_alu instid0(SALU_CYCLE_1)
	s_and_b32 vcc_lo, exec_lo, s6
	s_cbranch_vccz .LBB529_1843
; %bb.1828:
	v_cmp_gt_i16_e32 vcc_lo, 27, v6
	s_mov_b32 s3, -1
	s_cbranch_vccnz .LBB529_1834
; %bb.1829:
	v_cmp_lt_i16_e32 vcc_lo, 27, v6
	s_cbranch_vccz .LBB529_1831
; %bb.1830:
	v_cvt_f32_f16_e32 v4, v7
	s_mov_b32 s3, 0
	s_delay_alu instid0(VALU_DEP_1)
	v_cvt_u32_f32_e32 v4, v4
	global_store_b32 v[2:3], v4, off
.LBB529_1831:
	s_and_not1_b32 vcc_lo, exec_lo, s3
	s_cbranch_vccnz .LBB529_1833
; %bb.1832:
	v_cvt_u16_f16_e32 v4, v7
	global_store_b16 v[2:3], v4, off
.LBB529_1833:
	s_mov_b32 s3, 0
.LBB529_1834:
	s_delay_alu instid0(SALU_CYCLE_1)
	s_and_not1_b32 vcc_lo, exec_lo, s3
	s_cbranch_vccnz .LBB529_1842
; %bb.1835:
	v_cvt_f32_f16_e32 v4, v7
	v_mov_b32_e32 v10, 0x80
	s_mov_b32 s3, exec_lo
	s_delay_alu instid0(VALU_DEP_2) | instskip(NEXT) | instid1(VALU_DEP_1)
	v_and_b32_e32 v8, 0x7fffffff, v4
	v_cmpx_gt_u32_e32 0x43800000, v8
	s_cbranch_execz .LBB529_1841
; %bb.1836:
	v_cmp_lt_u32_e32 vcc_lo, 0x3bffffff, v8
	s_mov_b32 s6, 0
                                        ; implicit-def: $vgpr8
	s_and_saveexec_b32 s7, vcc_lo
	s_delay_alu instid0(SALU_CYCLE_1)
	s_xor_b32 s7, exec_lo, s7
	s_cbranch_execz .LBB529_2178
; %bb.1837:
	v_bfe_u32 v8, v4, 20, 1
	s_mov_b32 s6, exec_lo
	s_delay_alu instid0(VALU_DEP_1) | instskip(NEXT) | instid1(VALU_DEP_1)
	v_add3_u32 v8, v4, v8, 0x487ffff
	v_lshrrev_b32_e32 v8, 20, v8
	s_or_saveexec_b32 s7, s7
                                        ; implicit-def: $sgpr10
	s_delay_alu instid0(SALU_CYCLE_1)
	s_xor_b32 exec_lo, exec_lo, s7
	s_cbranch_execnz .LBB529_2179
.LBB529_1838:
	s_or_b32 exec_lo, exec_lo, s7
	v_mov_b32_e32 v10, s10
	s_and_saveexec_b32 s7, s6
.LBB529_1839:
	v_lshrrev_b32_e32 v4, 24, v4
	s_delay_alu instid0(VALU_DEP_1)
	v_and_or_b32 v10, 0x80, v4, v8
.LBB529_1840:
	s_or_b32 exec_lo, exec_lo, s7
.LBB529_1841:
	s_delay_alu instid0(SALU_CYCLE_1)
	s_or_b32 exec_lo, exec_lo, s3
	global_store_b8 v[2:3], v10, off
.LBB529_1842:
	s_mov_b32 s3, -1
.LBB529_1843:
	s_mov_b32 s6, 0
.LBB529_1844:
	s_delay_alu instid0(SALU_CYCLE_1)
	s_and_b32 vcc_lo, exec_lo, s6
	s_cbranch_vccz .LBB529_1884
; %bb.1845:
	v_cmp_lt_i16_e32 vcc_lo, 22, v6
	s_mov_b32 s1, -1
	s_cbranch_vccz .LBB529_1877
; %bb.1846:
	v_cmp_gt_i16_e32 vcc_lo, 24, v6
	s_cbranch_vccnz .LBB529_1866
; %bb.1847:
	v_cmp_lt_i16_e32 vcc_lo, 24, v6
	s_cbranch_vccz .LBB529_1855
; %bb.1848:
	v_cvt_f32_f16_e32 v4, v7
	v_mov_b32_e32 v10, 0x80
	s_mov_b32 s1, exec_lo
	s_delay_alu instid0(VALU_DEP_2) | instskip(NEXT) | instid1(VALU_DEP_1)
	v_and_b32_e32 v8, 0x7fffffff, v4
	v_cmpx_gt_u32_e32 0x47800000, v8
	s_cbranch_execz .LBB529_1854
; %bb.1849:
	v_cmp_lt_u32_e32 vcc_lo, 0x37ffffff, v8
	s_mov_b32 s3, 0
                                        ; implicit-def: $vgpr8
	s_and_saveexec_b32 s6, vcc_lo
	s_delay_alu instid0(SALU_CYCLE_1)
	s_xor_b32 s6, exec_lo, s6
	s_cbranch_execz .LBB529_2184
; %bb.1850:
	v_bfe_u32 v8, v4, 21, 1
	s_mov_b32 s3, exec_lo
	s_delay_alu instid0(VALU_DEP_1) | instskip(NEXT) | instid1(VALU_DEP_1)
	v_add3_u32 v8, v4, v8, 0x88fffff
	v_lshrrev_b32_e32 v8, 21, v8
	s_or_saveexec_b32 s6, s6
                                        ; implicit-def: $sgpr7
	s_delay_alu instid0(SALU_CYCLE_1)
	s_xor_b32 exec_lo, exec_lo, s6
	s_cbranch_execnz .LBB529_2185
.LBB529_1851:
	s_or_b32 exec_lo, exec_lo, s6
	v_mov_b32_e32 v10, s7
	s_and_saveexec_b32 s6, s3
.LBB529_1852:
	v_lshrrev_b32_e32 v4, 24, v4
	s_delay_alu instid0(VALU_DEP_1)
	v_and_or_b32 v10, 0x80, v4, v8
.LBB529_1853:
	s_or_b32 exec_lo, exec_lo, s6
.LBB529_1854:
	s_delay_alu instid0(SALU_CYCLE_1)
	s_or_b32 exec_lo, exec_lo, s1
	s_mov_b32 s1, 0
	global_store_b8 v[2:3], v10, off
.LBB529_1855:
	s_and_b32 vcc_lo, exec_lo, s1
	s_cbranch_vccz .LBB529_1865
; %bb.1856:
	v_cvt_f32_f16_e32 v4, v7
	s_mov_b32 s1, exec_lo
                                        ; implicit-def: $vgpr8
	s_delay_alu instid0(VALU_DEP_1) | instskip(NEXT) | instid1(VALU_DEP_1)
	v_and_b32_e32 v10, 0x7fffffff, v4
	v_cmpx_gt_u32_e32 0x43f00000, v10
	s_xor_b32 s1, exec_lo, s1
	s_cbranch_execz .LBB529_1862
; %bb.1857:
	s_mov_b32 s3, exec_lo
                                        ; implicit-def: $vgpr8
	v_cmpx_lt_u32_e32 0x3c7fffff, v10
	s_xor_b32 s3, exec_lo, s3
; %bb.1858:
	v_bfe_u32 v8, v4, 20, 1
	s_delay_alu instid0(VALU_DEP_1) | instskip(NEXT) | instid1(VALU_DEP_1)
	v_add3_u32 v8, v4, v8, 0x407ffff
	v_and_b32_e32 v10, 0xff00000, v8
	v_lshrrev_b32_e32 v8, 20, v8
	s_delay_alu instid0(VALU_DEP_2) | instskip(NEXT) | instid1(VALU_DEP_2)
	v_cmp_ne_u32_e32 vcc_lo, 0x7f00000, v10
	v_cndmask_b32_e32 v8, 0x7e, v8, vcc_lo
; %bb.1859:
	s_and_not1_saveexec_b32 s3, s3
; %bb.1860:
	v_add_f32_e64 v8, 0x46800000, |v4|
; %bb.1861:
	s_or_b32 exec_lo, exec_lo, s3
                                        ; implicit-def: $vgpr10
.LBB529_1862:
	s_and_not1_saveexec_b32 s1, s1
; %bb.1863:
	v_mov_b32_e32 v8, 0x7f
	v_cmp_lt_u32_e32 vcc_lo, 0x7f800000, v10
	s_delay_alu instid0(VALU_DEP_2)
	v_cndmask_b32_e32 v8, 0x7e, v8, vcc_lo
; %bb.1864:
	s_or_b32 exec_lo, exec_lo, s1
	v_lshrrev_b32_e32 v4, 24, v4
	s_delay_alu instid0(VALU_DEP_1)
	v_and_or_b32 v4, 0x80, v4, v8
	global_store_b8 v[2:3], v4, off
.LBB529_1865:
	s_mov_b32 s1, 0
.LBB529_1866:
	s_delay_alu instid0(SALU_CYCLE_1)
	s_and_not1_b32 vcc_lo, exec_lo, s1
	s_cbranch_vccnz .LBB529_1876
; %bb.1867:
	v_cvt_f32_f16_e32 v4, v7
	s_mov_b32 s1, exec_lo
                                        ; implicit-def: $vgpr8
	s_delay_alu instid0(VALU_DEP_1) | instskip(NEXT) | instid1(VALU_DEP_1)
	v_and_b32_e32 v10, 0x7fffffff, v4
	v_cmpx_gt_u32_e32 0x47800000, v10
	s_xor_b32 s1, exec_lo, s1
	s_cbranch_execz .LBB529_1873
; %bb.1868:
	s_mov_b32 s3, exec_lo
                                        ; implicit-def: $vgpr8
	v_cmpx_lt_u32_e32 0x387fffff, v10
	s_xor_b32 s3, exec_lo, s3
; %bb.1869:
	v_bfe_u32 v8, v4, 21, 1
	s_delay_alu instid0(VALU_DEP_1) | instskip(NEXT) | instid1(VALU_DEP_1)
	v_add3_u32 v8, v4, v8, 0x80fffff
	v_lshrrev_b32_e32 v8, 21, v8
; %bb.1870:
	s_and_not1_saveexec_b32 s3, s3
; %bb.1871:
	v_add_f32_e64 v8, 0x43000000, |v4|
; %bb.1872:
	s_or_b32 exec_lo, exec_lo, s3
                                        ; implicit-def: $vgpr10
.LBB529_1873:
	s_and_not1_saveexec_b32 s1, s1
; %bb.1874:
	v_mov_b32_e32 v8, 0x7f
	v_cmp_lt_u32_e32 vcc_lo, 0x7f800000, v10
	s_delay_alu instid0(VALU_DEP_2)
	v_cndmask_b32_e32 v8, 0x7c, v8, vcc_lo
; %bb.1875:
	s_or_b32 exec_lo, exec_lo, s1
	v_lshrrev_b32_e32 v4, 24, v4
	s_delay_alu instid0(VALU_DEP_1)
	v_and_or_b32 v4, 0x80, v4, v8
	global_store_b8 v[2:3], v4, off
.LBB529_1876:
	s_mov_b32 s1, 0
	s_mov_b32 s3, -1
.LBB529_1877:
	s_and_not1_b32 vcc_lo, exec_lo, s1
	s_mov_b32 s1, 0
	s_cbranch_vccnz .LBB529_1884
; %bb.1878:
	v_cmp_lt_i16_e32 vcc_lo, 14, v6
	s_mov_b32 s1, -1
	s_cbranch_vccz .LBB529_1882
; %bb.1879:
	v_cmp_eq_u16_e32 vcc_lo, 15, v6
	s_mov_b32 s0, -1
	s_cbranch_vccz .LBB529_1881
; %bb.1880:
	v_cvt_f32_f16_e32 v4, v7
	v_cmp_o_f16_e32 vcc_lo, v7, v7
	s_mov_b32 s0, 0
	s_mov_b32 s3, -1
	s_delay_alu instid0(VALU_DEP_2) | instskip(NEXT) | instid1(VALU_DEP_1)
	v_bfe_u32 v8, v4, 16, 1
	v_add3_u32 v4, v4, v8, 0x7fff
	s_delay_alu instid0(VALU_DEP_1) | instskip(NEXT) | instid1(VALU_DEP_1)
	v_lshrrev_b32_e32 v4, 16, v4
	v_cndmask_b32_e32 v4, 0x7fc0, v4, vcc_lo
	global_store_b16 v[2:3], v4, off
.LBB529_1881:
	s_mov_b32 s1, 0
.LBB529_1882:
	s_delay_alu instid0(SALU_CYCLE_1)
	s_and_b32 vcc_lo, exec_lo, s1
	s_mov_b32 s1, 0
	s_cbranch_vccz .LBB529_1884
; %bb.1883:
	v_cmp_ne_u16_e64 s0, 11, v6
	s_mov_b32 s1, -1
.LBB529_1884:
	s_delay_alu instid0(VALU_DEP_1)
	s_and_b32 vcc_lo, exec_lo, s0
	s_cbranch_vccnz .LBB529_2182
; %bb.1885:
	s_and_not1_b32 vcc_lo, exec_lo, s1
	s_cbranch_vccnz .LBB529_1887
.LBB529_1886:
	v_and_b32_e32 v4, 0x7fff, v7
	s_mov_b32 s3, -1
	s_delay_alu instid0(VALU_DEP_1)
	v_cmp_ne_u16_e32 vcc_lo, 0, v4
	v_cndmask_b32_e64 v4, 0, 1, vcc_lo
	global_store_b8 v[2:3], v4, off
.LBB529_1887:
	s_mov_b32 s0, 0
.LBB529_1888:
	s_delay_alu instid0(SALU_CYCLE_1)
	s_and_b32 vcc_lo, exec_lo, s0
	s_cbranch_vccz .LBB529_1927
; %bb.1889:
	v_cmp_gt_i16_e32 vcc_lo, 5, v6
	s_mov_b32 s0, -1
	s_cbranch_vccnz .LBB529_1910
; %bb.1890:
	v_cmp_gt_i16_e32 vcc_lo, 8, v6
	s_cbranch_vccnz .LBB529_1900
; %bb.1891:
	v_cmp_gt_i16_e32 vcc_lo, 9, v6
	s_cbranch_vccnz .LBB529_1897
; %bb.1892:
	v_cmp_lt_i16_e32 vcc_lo, 9, v6
	s_cbranch_vccz .LBB529_1894
; %bb.1893:
	v_cvt_f32_f16_e32 v4, v7
	v_mov_b32_e32 v12, 0
	s_mov_b32 s0, 0
	s_delay_alu instid0(VALU_DEP_2) | instskip(NEXT) | instid1(VALU_DEP_2)
	v_cvt_f64_f32_e32 v[10:11], v4
	v_mov_b32_e32 v13, v12
	global_store_b128 v[2:3], v[10:13], off
.LBB529_1894:
	s_and_not1_b32 vcc_lo, exec_lo, s0
	s_cbranch_vccnz .LBB529_1896
; %bb.1895:
	v_cvt_f32_f16_e32 v10, v7
	v_mov_b32_e32 v11, 0
	global_store_b64 v[2:3], v[10:11], off
.LBB529_1896:
	s_mov_b32 s0, 0
.LBB529_1897:
	s_delay_alu instid0(SALU_CYCLE_1)
	s_and_not1_b32 vcc_lo, exec_lo, s0
	s_cbranch_vccnz .LBB529_1899
; %bb.1898:
	v_and_b32_e32 v4, 0xffff, v7
	global_store_b32 v[2:3], v4, off
.LBB529_1899:
	s_mov_b32 s0, 0
.LBB529_1900:
	s_delay_alu instid0(SALU_CYCLE_1)
	s_and_not1_b32 vcc_lo, exec_lo, s0
	s_cbranch_vccnz .LBB529_1909
; %bb.1901:
	v_cmp_gt_i16_e32 vcc_lo, 6, v6
	s_mov_b32 s0, -1
	s_cbranch_vccnz .LBB529_1907
; %bb.1902:
	v_cmp_lt_i16_e32 vcc_lo, 6, v6
	s_cbranch_vccz .LBB529_1904
; %bb.1903:
	v_cvt_f32_f16_e32 v4, v7
	s_mov_b32 s0, 0
	s_delay_alu instid0(VALU_DEP_1)
	v_cvt_f64_f32_e32 v[10:11], v4
	global_store_b64 v[2:3], v[10:11], off
.LBB529_1904:
	s_and_not1_b32 vcc_lo, exec_lo, s0
	s_cbranch_vccnz .LBB529_1906
; %bb.1905:
	v_cvt_f32_f16_e32 v4, v7
	global_store_b32 v[2:3], v4, off
.LBB529_1906:
	s_mov_b32 s0, 0
.LBB529_1907:
	s_delay_alu instid0(SALU_CYCLE_1)
	s_and_not1_b32 vcc_lo, exec_lo, s0
	s_cbranch_vccnz .LBB529_1909
; %bb.1908:
	global_store_b16 v[2:3], v7, off
.LBB529_1909:
	s_mov_b32 s0, 0
.LBB529_1910:
	s_delay_alu instid0(SALU_CYCLE_1)
	s_and_not1_b32 vcc_lo, exec_lo, s0
	s_cbranch_vccnz .LBB529_1926
; %bb.1911:
	v_cmp_gt_i16_e32 vcc_lo, 2, v6
	s_mov_b32 s0, -1
	s_cbranch_vccnz .LBB529_1921
; %bb.1912:
	v_cmp_gt_i16_e32 vcc_lo, 3, v6
	s_cbranch_vccnz .LBB529_1918
; %bb.1913:
	v_cmp_lt_i16_e32 vcc_lo, 3, v6
	s_cbranch_vccz .LBB529_1915
; %bb.1914:
	v_cvt_f32_f16_e32 v4, v7
	s_mov_b32 s0, 0
	s_delay_alu instid0(VALU_DEP_1) | instskip(NEXT) | instid1(VALU_DEP_1)
	v_cvt_i32_f32_e32 v10, v4
	v_ashrrev_i32_e32 v11, 31, v10
	global_store_b64 v[2:3], v[10:11], off
.LBB529_1915:
	s_and_not1_b32 vcc_lo, exec_lo, s0
	s_cbranch_vccnz .LBB529_1917
; %bb.1916:
	v_cvt_f32_f16_e32 v4, v7
	s_delay_alu instid0(VALU_DEP_1)
	v_cvt_i32_f32_e32 v4, v4
	global_store_b32 v[2:3], v4, off
.LBB529_1917:
	s_mov_b32 s0, 0
.LBB529_1918:
	s_delay_alu instid0(SALU_CYCLE_1)
	s_and_not1_b32 vcc_lo, exec_lo, s0
	s_cbranch_vccnz .LBB529_1920
; %bb.1919:
	v_cvt_i16_f16_e32 v4, v7
	global_store_b16 v[2:3], v4, off
.LBB529_1920:
	s_mov_b32 s0, 0
.LBB529_1921:
	s_delay_alu instid0(SALU_CYCLE_1)
	s_and_not1_b32 vcc_lo, exec_lo, s0
	s_cbranch_vccnz .LBB529_1926
; %bb.1922:
	v_cmp_lt_i16_e32 vcc_lo, 0, v6
	s_mov_b32 s0, -1
	s_cbranch_vccz .LBB529_1924
; %bb.1923:
	v_cvt_i16_f16_e32 v4, v7
	s_mov_b32 s0, 0
	global_store_b8 v[2:3], v4, off
.LBB529_1924:
	s_and_not1_b32 vcc_lo, exec_lo, s0
	s_cbranch_vccnz .LBB529_1926
; %bb.1925:
	v_cvt_f32_f16_e32 v4, v7
	s_delay_alu instid0(VALU_DEP_1)
	v_cvt_i32_f32_e32 v4, v4
	global_store_b8 v[2:3], v4, off
.LBB529_1926:
	s_mov_b32 s3, -1
.LBB529_1927:
	s_delay_alu instid0(SALU_CYCLE_1)
	s_and_not1_b32 vcc_lo, exec_lo, s3
	s_cbranch_vccnz .LBB529_2167
; %bb.1928:
	v_cmp_gt_i16_e32 vcc_lo, 11, v6
	v_add_co_u32 v1, s0, s4, v1
	s_delay_alu instid0(VALU_DEP_1)
	v_add_co_ci_u32_e64 v2, null, s5, 0, s0
	s_mov_b32 s3, 0
	s_mov_b32 s0, -1
	s_cbranch_vccnz .LBB529_2006
; %bb.1929:
	v_cmp_lt_i16_e32 vcc_lo, 25, v6
	s_mov_b32 s6, -1
	s_mov_b32 s1, 0
	s_mov_b32 s0, 0
	s_cbranch_vccz .LBB529_1962
; %bb.1930:
	v_cmp_lt_i16_e32 vcc_lo, 28, v6
	s_cbranch_vccz .LBB529_1945
; %bb.1931:
	v_cmp_lt_i16_e32 vcc_lo, 43, v6
	;; [unrolled: 3-line block ×3, first 2 shown]
	s_cbranch_vccz .LBB529_1935
; %bb.1933:
	v_cmp_eq_u16_e32 vcc_lo, 46, v6
	s_mov_b32 s0, -1
	s_mov_b32 s6, 0
	s_cbranch_vccz .LBB529_1935
; %bb.1934:
	v_cvt_f32_f16_e32 v3, v9
	v_cmp_o_f16_e32 vcc_lo, v9, v9
	s_mov_b32 s0, 0
	s_mov_b32 s3, -1
	s_delay_alu instid0(VALU_DEP_2) | instskip(NEXT) | instid1(VALU_DEP_1)
	v_bfe_u32 v4, v3, 16, 1
	v_add3_u32 v3, v3, v4, 0x7fff
	s_delay_alu instid0(VALU_DEP_1) | instskip(NEXT) | instid1(VALU_DEP_1)
	v_lshrrev_b32_e32 v3, 16, v3
	v_cndmask_b32_e32 v3, 0x7fc0, v3, vcc_lo
	global_store_b32 v[1:2], v3, off
.LBB529_1935:
	s_and_b32 vcc_lo, exec_lo, s6
	s_cbranch_vccz .LBB529_1940
; %bb.1936:
	v_cmp_eq_u16_e32 vcc_lo, 44, v6
	s_mov_b32 s0, -1
	s_cbranch_vccz .LBB529_1940
; %bb.1937:
	v_cvt_f32_f16_e32 v3, v9
	v_mov_b32_e32 v4, 0xff
	s_mov_b32 s3, exec_lo
	s_delay_alu instid0(VALU_DEP_2) | instskip(NEXT) | instid1(VALU_DEP_1)
	v_bfe_u32 v7, v3, 23, 8
	v_cmpx_ne_u32_e32 0xff, v7
; %bb.1938:
	v_and_b32_e32 v4, 0x400000, v3
	v_and_or_b32 v7, 0x3fffff, v3, v7
	v_lshrrev_b32_e32 v3, 23, v3
	s_delay_alu instid0(VALU_DEP_3) | instskip(NEXT) | instid1(VALU_DEP_3)
	v_cmp_ne_u32_e32 vcc_lo, 0, v4
	v_cmp_ne_u32_e64 s0, 0, v7
	s_delay_alu instid0(VALU_DEP_1) | instskip(NEXT) | instid1(SALU_CYCLE_1)
	s_and_b32 s0, vcc_lo, s0
	v_cndmask_b32_e64 v4, 0, 1, s0
	s_delay_alu instid0(VALU_DEP_1)
	v_add_nc_u32_e32 v4, v3, v4
; %bb.1939:
	s_or_b32 exec_lo, exec_lo, s3
	s_mov_b32 s0, 0
	s_mov_b32 s3, -1
	global_store_b8 v[1:2], v4, off
.LBB529_1940:
	s_mov_b32 s6, 0
.LBB529_1941:
	s_delay_alu instid0(SALU_CYCLE_1)
	s_and_b32 vcc_lo, exec_lo, s6
	s_cbranch_vccz .LBB529_1944
; %bb.1942:
	v_cmp_eq_u16_e32 vcc_lo, 29, v6
	s_mov_b32 s0, -1
	s_cbranch_vccz .LBB529_1944
; %bb.1943:
	v_cvt_f32_f16_e32 v3, v9
	v_mov_b32_e32 v4, 0
	s_mov_b32 s0, 0
	s_mov_b32 s3, -1
	s_delay_alu instid0(VALU_DEP_2)
	v_cvt_u32_f32_e32 v3, v3
	global_store_b64 v[1:2], v[3:4], off
.LBB529_1944:
	s_mov_b32 s6, 0
.LBB529_1945:
	s_delay_alu instid0(SALU_CYCLE_1)
	s_and_b32 vcc_lo, exec_lo, s6
	s_cbranch_vccz .LBB529_1961
; %bb.1946:
	v_cmp_gt_i16_e32 vcc_lo, 27, v6
	s_mov_b32 s3, -1
	s_cbranch_vccnz .LBB529_1952
; %bb.1947:
	v_cmp_lt_i16_e32 vcc_lo, 27, v6
	s_cbranch_vccz .LBB529_1949
; %bb.1948:
	v_cvt_f32_f16_e32 v3, v9
	s_mov_b32 s3, 0
	s_delay_alu instid0(VALU_DEP_1)
	v_cvt_u32_f32_e32 v3, v3
	global_store_b32 v[1:2], v3, off
.LBB529_1949:
	s_and_not1_b32 vcc_lo, exec_lo, s3
	s_cbranch_vccnz .LBB529_1951
; %bb.1950:
	v_cvt_u16_f16_e32 v3, v9
	global_store_b16 v[1:2], v3, off
.LBB529_1951:
	s_mov_b32 s3, 0
.LBB529_1952:
	s_delay_alu instid0(SALU_CYCLE_1)
	s_and_not1_b32 vcc_lo, exec_lo, s3
	s_cbranch_vccnz .LBB529_1960
; %bb.1953:
	v_cvt_f32_f16_e32 v3, v9
	v_mov_b32_e32 v7, 0x80
	s_mov_b32 s3, exec_lo
	s_delay_alu instid0(VALU_DEP_2) | instskip(NEXT) | instid1(VALU_DEP_1)
	v_and_b32_e32 v4, 0x7fffffff, v3
	v_cmpx_gt_u32_e32 0x43800000, v4
	s_cbranch_execz .LBB529_1959
; %bb.1954:
	v_cmp_lt_u32_e32 vcc_lo, 0x3bffffff, v4
	s_mov_b32 s6, 0
                                        ; implicit-def: $vgpr4
	s_and_saveexec_b32 s7, vcc_lo
	s_delay_alu instid0(SALU_CYCLE_1)
	s_xor_b32 s7, exec_lo, s7
	s_cbranch_execz .LBB529_2186
; %bb.1955:
	v_bfe_u32 v4, v3, 20, 1
	s_mov_b32 s6, exec_lo
	s_delay_alu instid0(VALU_DEP_1) | instskip(NEXT) | instid1(VALU_DEP_1)
	v_add3_u32 v4, v3, v4, 0x487ffff
	v_lshrrev_b32_e32 v4, 20, v4
	s_or_saveexec_b32 s7, s7
                                        ; implicit-def: $sgpr10
	s_delay_alu instid0(SALU_CYCLE_1)
	s_xor_b32 exec_lo, exec_lo, s7
	s_cbranch_execnz .LBB529_2187
.LBB529_1956:
	s_or_b32 exec_lo, exec_lo, s7
	v_mov_b32_e32 v7, s10
	s_and_saveexec_b32 s7, s6
.LBB529_1957:
	v_lshrrev_b32_e32 v3, 24, v3
	s_delay_alu instid0(VALU_DEP_1)
	v_and_or_b32 v7, 0x80, v3, v4
.LBB529_1958:
	s_or_b32 exec_lo, exec_lo, s7
.LBB529_1959:
	s_delay_alu instid0(SALU_CYCLE_1)
	s_or_b32 exec_lo, exec_lo, s3
	global_store_b8 v[1:2], v7, off
.LBB529_1960:
	s_mov_b32 s3, -1
.LBB529_1961:
	s_mov_b32 s6, 0
.LBB529_1962:
	s_delay_alu instid0(SALU_CYCLE_1)
	s_and_b32 vcc_lo, exec_lo, s6
	s_cbranch_vccz .LBB529_2002
; %bb.1963:
	v_cmp_lt_i16_e32 vcc_lo, 22, v6
	s_mov_b32 s1, -1
	s_cbranch_vccz .LBB529_1995
; %bb.1964:
	v_cmp_gt_i16_e32 vcc_lo, 24, v6
	s_cbranch_vccnz .LBB529_1984
; %bb.1965:
	v_cmp_lt_i16_e32 vcc_lo, 24, v6
	s_cbranch_vccz .LBB529_1973
; %bb.1966:
	v_cvt_f32_f16_e32 v3, v9
	v_mov_b32_e32 v7, 0x80
	s_mov_b32 s1, exec_lo
	s_delay_alu instid0(VALU_DEP_2) | instskip(NEXT) | instid1(VALU_DEP_1)
	v_and_b32_e32 v4, 0x7fffffff, v3
	v_cmpx_gt_u32_e32 0x47800000, v4
	s_cbranch_execz .LBB529_1972
; %bb.1967:
	v_cmp_lt_u32_e32 vcc_lo, 0x37ffffff, v4
	s_mov_b32 s3, 0
                                        ; implicit-def: $vgpr4
	s_and_saveexec_b32 s6, vcc_lo
	s_delay_alu instid0(SALU_CYCLE_1)
	s_xor_b32 s6, exec_lo, s6
	s_cbranch_execz .LBB529_2192
; %bb.1968:
	v_bfe_u32 v4, v3, 21, 1
	s_mov_b32 s3, exec_lo
	s_delay_alu instid0(VALU_DEP_1) | instskip(NEXT) | instid1(VALU_DEP_1)
	v_add3_u32 v4, v3, v4, 0x88fffff
	v_lshrrev_b32_e32 v4, 21, v4
	s_or_saveexec_b32 s6, s6
                                        ; implicit-def: $sgpr7
	s_delay_alu instid0(SALU_CYCLE_1)
	s_xor_b32 exec_lo, exec_lo, s6
	s_cbranch_execnz .LBB529_2193
.LBB529_1969:
	s_or_b32 exec_lo, exec_lo, s6
	v_mov_b32_e32 v7, s7
	s_and_saveexec_b32 s6, s3
.LBB529_1970:
	v_lshrrev_b32_e32 v3, 24, v3
	s_delay_alu instid0(VALU_DEP_1)
	v_and_or_b32 v7, 0x80, v3, v4
.LBB529_1971:
	s_or_b32 exec_lo, exec_lo, s6
.LBB529_1972:
	s_delay_alu instid0(SALU_CYCLE_1)
	s_or_b32 exec_lo, exec_lo, s1
	s_mov_b32 s1, 0
	global_store_b8 v[1:2], v7, off
.LBB529_1973:
	s_and_b32 vcc_lo, exec_lo, s1
	s_cbranch_vccz .LBB529_1983
; %bb.1974:
	v_cvt_f32_f16_e32 v3, v9
	s_mov_b32 s1, exec_lo
                                        ; implicit-def: $vgpr4
	s_delay_alu instid0(VALU_DEP_1) | instskip(NEXT) | instid1(VALU_DEP_1)
	v_and_b32_e32 v7, 0x7fffffff, v3
	v_cmpx_gt_u32_e32 0x43f00000, v7
	s_xor_b32 s1, exec_lo, s1
	s_cbranch_execz .LBB529_1980
; %bb.1975:
	s_mov_b32 s3, exec_lo
                                        ; implicit-def: $vgpr4
	v_cmpx_lt_u32_e32 0x3c7fffff, v7
	s_xor_b32 s3, exec_lo, s3
; %bb.1976:
	v_bfe_u32 v4, v3, 20, 1
	s_delay_alu instid0(VALU_DEP_1) | instskip(NEXT) | instid1(VALU_DEP_1)
	v_add3_u32 v4, v3, v4, 0x407ffff
	v_and_b32_e32 v7, 0xff00000, v4
	v_lshrrev_b32_e32 v4, 20, v4
	s_delay_alu instid0(VALU_DEP_2) | instskip(NEXT) | instid1(VALU_DEP_2)
	v_cmp_ne_u32_e32 vcc_lo, 0x7f00000, v7
	v_cndmask_b32_e32 v4, 0x7e, v4, vcc_lo
; %bb.1977:
	s_and_not1_saveexec_b32 s3, s3
; %bb.1978:
	v_add_f32_e64 v4, 0x46800000, |v3|
; %bb.1979:
	s_or_b32 exec_lo, exec_lo, s3
                                        ; implicit-def: $vgpr7
.LBB529_1980:
	s_and_not1_saveexec_b32 s1, s1
; %bb.1981:
	v_mov_b32_e32 v4, 0x7f
	v_cmp_lt_u32_e32 vcc_lo, 0x7f800000, v7
	s_delay_alu instid0(VALU_DEP_2)
	v_cndmask_b32_e32 v4, 0x7e, v4, vcc_lo
; %bb.1982:
	s_or_b32 exec_lo, exec_lo, s1
	v_lshrrev_b32_e32 v3, 24, v3
	s_delay_alu instid0(VALU_DEP_1)
	v_and_or_b32 v3, 0x80, v3, v4
	global_store_b8 v[1:2], v3, off
.LBB529_1983:
	s_mov_b32 s1, 0
.LBB529_1984:
	s_delay_alu instid0(SALU_CYCLE_1)
	s_and_not1_b32 vcc_lo, exec_lo, s1
	s_cbranch_vccnz .LBB529_1994
; %bb.1985:
	v_cvt_f32_f16_e32 v3, v9
	s_mov_b32 s1, exec_lo
                                        ; implicit-def: $vgpr4
	s_delay_alu instid0(VALU_DEP_1) | instskip(NEXT) | instid1(VALU_DEP_1)
	v_and_b32_e32 v7, 0x7fffffff, v3
	v_cmpx_gt_u32_e32 0x47800000, v7
	s_xor_b32 s1, exec_lo, s1
	s_cbranch_execz .LBB529_1991
; %bb.1986:
	s_mov_b32 s3, exec_lo
                                        ; implicit-def: $vgpr4
	v_cmpx_lt_u32_e32 0x387fffff, v7
	s_xor_b32 s3, exec_lo, s3
; %bb.1987:
	v_bfe_u32 v4, v3, 21, 1
	s_delay_alu instid0(VALU_DEP_1) | instskip(NEXT) | instid1(VALU_DEP_1)
	v_add3_u32 v4, v3, v4, 0x80fffff
	v_lshrrev_b32_e32 v4, 21, v4
; %bb.1988:
	s_and_not1_saveexec_b32 s3, s3
; %bb.1989:
	v_add_f32_e64 v4, 0x43000000, |v3|
; %bb.1990:
	s_or_b32 exec_lo, exec_lo, s3
                                        ; implicit-def: $vgpr7
.LBB529_1991:
	s_and_not1_saveexec_b32 s1, s1
; %bb.1992:
	v_mov_b32_e32 v4, 0x7f
	v_cmp_lt_u32_e32 vcc_lo, 0x7f800000, v7
	s_delay_alu instid0(VALU_DEP_2)
	v_cndmask_b32_e32 v4, 0x7c, v4, vcc_lo
; %bb.1993:
	s_or_b32 exec_lo, exec_lo, s1
	v_lshrrev_b32_e32 v3, 24, v3
	s_delay_alu instid0(VALU_DEP_1)
	v_and_or_b32 v3, 0x80, v3, v4
	global_store_b8 v[1:2], v3, off
.LBB529_1994:
	s_mov_b32 s1, 0
	s_mov_b32 s3, -1
.LBB529_1995:
	s_and_not1_b32 vcc_lo, exec_lo, s1
	s_mov_b32 s1, 0
	s_cbranch_vccnz .LBB529_2002
; %bb.1996:
	v_cmp_lt_i16_e32 vcc_lo, 14, v6
	s_mov_b32 s1, -1
	s_cbranch_vccz .LBB529_2000
; %bb.1997:
	v_cmp_eq_u16_e32 vcc_lo, 15, v6
	s_mov_b32 s0, -1
	s_cbranch_vccz .LBB529_1999
; %bb.1998:
	v_cvt_f32_f16_e32 v3, v9
	v_cmp_o_f16_e32 vcc_lo, v9, v9
	s_mov_b32 s0, 0
	s_mov_b32 s3, -1
	s_delay_alu instid0(VALU_DEP_2) | instskip(NEXT) | instid1(VALU_DEP_1)
	v_bfe_u32 v4, v3, 16, 1
	v_add3_u32 v3, v3, v4, 0x7fff
	s_delay_alu instid0(VALU_DEP_1) | instskip(NEXT) | instid1(VALU_DEP_1)
	v_lshrrev_b32_e32 v3, 16, v3
	v_cndmask_b32_e32 v3, 0x7fc0, v3, vcc_lo
	global_store_b16 v[1:2], v3, off
.LBB529_1999:
	s_mov_b32 s1, 0
.LBB529_2000:
	s_delay_alu instid0(SALU_CYCLE_1)
	s_and_b32 vcc_lo, exec_lo, s1
	s_mov_b32 s1, 0
	s_cbranch_vccz .LBB529_2002
; %bb.2001:
	v_cmp_ne_u16_e64 s0, 11, v6
	s_mov_b32 s1, -1
.LBB529_2002:
	s_delay_alu instid0(VALU_DEP_1)
	s_and_b32 vcc_lo, exec_lo, s0
	s_cbranch_vccnz .LBB529_2190
; %bb.2003:
	s_and_not1_b32 vcc_lo, exec_lo, s1
	s_cbranch_vccnz .LBB529_2005
.LBB529_2004:
	v_and_b32_e32 v3, 0x7fff, v9
	s_mov_b32 s3, -1
	s_delay_alu instid0(VALU_DEP_1)
	v_cmp_ne_u16_e32 vcc_lo, 0, v3
	v_cndmask_b32_e64 v3, 0, 1, vcc_lo
	global_store_b8 v[1:2], v3, off
.LBB529_2005:
	s_mov_b32 s0, 0
.LBB529_2006:
	s_delay_alu instid0(SALU_CYCLE_1)
	s_and_b32 vcc_lo, exec_lo, s0
	s_cbranch_vccz .LBB529_2045
; %bb.2007:
	v_cmp_gt_i16_e32 vcc_lo, 5, v6
	s_mov_b32 s0, -1
	s_cbranch_vccnz .LBB529_2028
; %bb.2008:
	v_cmp_gt_i16_e32 vcc_lo, 8, v6
	s_cbranch_vccnz .LBB529_2018
; %bb.2009:
	v_cmp_gt_i16_e32 vcc_lo, 9, v6
	s_cbranch_vccnz .LBB529_2015
; %bb.2010:
	v_cmp_lt_i16_e32 vcc_lo, 9, v6
	s_cbranch_vccz .LBB529_2012
; %bb.2011:
	v_cvt_f32_f16_e32 v3, v9
	v_mov_b32_e32 v12, 0
	s_mov_b32 s0, 0
	s_delay_alu instid0(VALU_DEP_2) | instskip(NEXT) | instid1(VALU_DEP_2)
	v_cvt_f64_f32_e32 v[10:11], v3
	v_mov_b32_e32 v13, v12
	global_store_b128 v[1:2], v[10:13], off
.LBB529_2012:
	s_and_not1_b32 vcc_lo, exec_lo, s0
	s_cbranch_vccnz .LBB529_2014
; %bb.2013:
	v_cvt_f32_f16_e32 v3, v9
	v_mov_b32_e32 v4, 0
	global_store_b64 v[1:2], v[3:4], off
.LBB529_2014:
	s_mov_b32 s0, 0
.LBB529_2015:
	s_delay_alu instid0(SALU_CYCLE_1)
	s_and_not1_b32 vcc_lo, exec_lo, s0
	s_cbranch_vccnz .LBB529_2017
; %bb.2016:
	v_and_b32_e32 v3, 0xffff, v9
	global_store_b32 v[1:2], v3, off
.LBB529_2017:
	s_mov_b32 s0, 0
.LBB529_2018:
	s_delay_alu instid0(SALU_CYCLE_1)
	s_and_not1_b32 vcc_lo, exec_lo, s0
	s_cbranch_vccnz .LBB529_2027
; %bb.2019:
	v_cmp_gt_i16_e32 vcc_lo, 6, v6
	s_mov_b32 s0, -1
	s_cbranch_vccnz .LBB529_2025
; %bb.2020:
	v_cmp_lt_i16_e32 vcc_lo, 6, v6
	s_cbranch_vccz .LBB529_2022
; %bb.2021:
	v_cvt_f32_f16_e32 v3, v9
	s_mov_b32 s0, 0
	s_delay_alu instid0(VALU_DEP_1)
	v_cvt_f64_f32_e32 v[3:4], v3
	global_store_b64 v[1:2], v[3:4], off
.LBB529_2022:
	s_and_not1_b32 vcc_lo, exec_lo, s0
	s_cbranch_vccnz .LBB529_2024
; %bb.2023:
	v_cvt_f32_f16_e32 v3, v9
	global_store_b32 v[1:2], v3, off
.LBB529_2024:
	s_mov_b32 s0, 0
.LBB529_2025:
	s_delay_alu instid0(SALU_CYCLE_1)
	s_and_not1_b32 vcc_lo, exec_lo, s0
	s_cbranch_vccnz .LBB529_2027
; %bb.2026:
	global_store_b16 v[1:2], v9, off
.LBB529_2027:
	s_mov_b32 s0, 0
.LBB529_2028:
	s_delay_alu instid0(SALU_CYCLE_1)
	s_and_not1_b32 vcc_lo, exec_lo, s0
	s_cbranch_vccnz .LBB529_2044
; %bb.2029:
	v_cmp_gt_i16_e32 vcc_lo, 2, v6
	s_mov_b32 s0, -1
	s_cbranch_vccnz .LBB529_2039
; %bb.2030:
	v_cmp_gt_i16_e32 vcc_lo, 3, v6
	s_cbranch_vccnz .LBB529_2036
; %bb.2031:
	v_cmp_lt_i16_e32 vcc_lo, 3, v6
	s_cbranch_vccz .LBB529_2033
; %bb.2032:
	v_cvt_f32_f16_e32 v3, v9
	s_mov_b32 s0, 0
	s_delay_alu instid0(VALU_DEP_1) | instskip(NEXT) | instid1(VALU_DEP_1)
	v_cvt_i32_f32_e32 v3, v3
	v_ashrrev_i32_e32 v4, 31, v3
	global_store_b64 v[1:2], v[3:4], off
.LBB529_2033:
	s_and_not1_b32 vcc_lo, exec_lo, s0
	s_cbranch_vccnz .LBB529_2035
; %bb.2034:
	v_cvt_f32_f16_e32 v3, v9
	s_delay_alu instid0(VALU_DEP_1)
	v_cvt_i32_f32_e32 v3, v3
	global_store_b32 v[1:2], v3, off
.LBB529_2035:
	s_mov_b32 s0, 0
.LBB529_2036:
	s_delay_alu instid0(SALU_CYCLE_1)
	s_and_not1_b32 vcc_lo, exec_lo, s0
	s_cbranch_vccnz .LBB529_2038
; %bb.2037:
	v_cvt_i16_f16_e32 v3, v9
	global_store_b16 v[1:2], v3, off
.LBB529_2038:
	s_mov_b32 s0, 0
.LBB529_2039:
	s_delay_alu instid0(SALU_CYCLE_1)
	s_and_not1_b32 vcc_lo, exec_lo, s0
	s_cbranch_vccnz .LBB529_2044
; %bb.2040:
	v_cmp_lt_i16_e32 vcc_lo, 0, v6
	s_mov_b32 s0, -1
	s_cbranch_vccz .LBB529_2042
; %bb.2041:
	v_cvt_i16_f16_e32 v3, v9
	s_mov_b32 s0, 0
	global_store_b8 v[1:2], v3, off
.LBB529_2042:
	s_and_not1_b32 vcc_lo, exec_lo, s0
	s_cbranch_vccnz .LBB529_2044
; %bb.2043:
	v_cvt_f32_f16_e32 v3, v9
	s_delay_alu instid0(VALU_DEP_1)
	v_cvt_i32_f32_e32 v3, v3
	global_store_b8 v[1:2], v3, off
.LBB529_2044:
	s_mov_b32 s3, -1
.LBB529_2045:
	s_delay_alu instid0(SALU_CYCLE_1)
	s_and_not1_b32 vcc_lo, exec_lo, s3
	s_cbranch_vccnz .LBB529_2167
; %bb.2046:
	v_cmp_gt_i16_e32 vcc_lo, 11, v6
	v_add_co_u32 v0, s0, s4, v0
	s_delay_alu instid0(VALU_DEP_1)
	v_add_co_ci_u32_e64 v1, null, s5, 0, s0
	s_mov_b32 s1, 0
	s_mov_b32 s0, -1
	s_cbranch_vccnz .LBB529_2123
; %bb.2047:
	v_cmp_lt_i16_e32 vcc_lo, 25, v6
	s_mov_b32 s3, -1
	s_mov_b32 s0, 0
	s_cbranch_vccz .LBB529_2080
; %bb.2048:
	v_cmp_lt_i16_e32 vcc_lo, 28, v6
	s_cbranch_vccz .LBB529_2064
; %bb.2049:
	v_cmp_lt_i16_e32 vcc_lo, 43, v6
	;; [unrolled: 3-line block ×3, first 2 shown]
	s_cbranch_vccz .LBB529_2054
; %bb.2051:
	v_cmp_eq_u16_e32 vcc_lo, 46, v6
	s_mov_b32 s0, -1
	s_cbranch_vccz .LBB529_2053
; %bb.2052:
	v_cvt_f32_f16_e32 v2, v5
	v_cmp_o_f16_e32 vcc_lo, v5, v5
	s_mov_b32 s0, 0
	s_delay_alu instid0(VALU_DEP_2) | instskip(NEXT) | instid1(VALU_DEP_1)
	v_bfe_u32 v3, v2, 16, 1
	v_add3_u32 v2, v2, v3, 0x7fff
	s_delay_alu instid0(VALU_DEP_1) | instskip(NEXT) | instid1(VALU_DEP_1)
	v_lshrrev_b32_e32 v2, 16, v2
	v_cndmask_b32_e32 v2, 0x7fc0, v2, vcc_lo
	global_store_b32 v[0:1], v2, off
.LBB529_2053:
	s_mov_b32 s3, 0
.LBB529_2054:
	s_delay_alu instid0(SALU_CYCLE_1)
	s_and_b32 vcc_lo, exec_lo, s3
	s_cbranch_vccz .LBB529_2059
; %bb.2055:
	v_cmp_eq_u16_e32 vcc_lo, 44, v6
	s_mov_b32 s0, -1
	s_cbranch_vccz .LBB529_2059
; %bb.2056:
	v_cvt_f32_f16_e32 v2, v5
	v_mov_b32_e32 v3, 0xff
	s_mov_b32 s3, exec_lo
	s_delay_alu instid0(VALU_DEP_2) | instskip(NEXT) | instid1(VALU_DEP_1)
	v_bfe_u32 v4, v2, 23, 8
	v_cmpx_ne_u32_e32 0xff, v4
; %bb.2057:
	v_and_b32_e32 v3, 0x400000, v2
	v_and_or_b32 v4, 0x3fffff, v2, v4
	v_lshrrev_b32_e32 v2, 23, v2
	s_delay_alu instid0(VALU_DEP_3) | instskip(NEXT) | instid1(VALU_DEP_3)
	v_cmp_ne_u32_e32 vcc_lo, 0, v3
	v_cmp_ne_u32_e64 s0, 0, v4
	s_delay_alu instid0(VALU_DEP_1) | instskip(NEXT) | instid1(SALU_CYCLE_1)
	s_and_b32 s0, vcc_lo, s0
	v_cndmask_b32_e64 v3, 0, 1, s0
	s_delay_alu instid0(VALU_DEP_1)
	v_add_nc_u32_e32 v3, v2, v3
; %bb.2058:
	s_or_b32 exec_lo, exec_lo, s3
	s_mov_b32 s0, 0
	global_store_b8 v[0:1], v3, off
.LBB529_2059:
	s_mov_b32 s3, 0
.LBB529_2060:
	s_delay_alu instid0(SALU_CYCLE_1)
	s_and_b32 vcc_lo, exec_lo, s3
	s_cbranch_vccz .LBB529_2063
; %bb.2061:
	v_cmp_eq_u16_e32 vcc_lo, 29, v6
	s_mov_b32 s0, -1
	s_cbranch_vccz .LBB529_2063
; %bb.2062:
	v_cvt_f32_f16_e32 v2, v5
	v_mov_b32_e32 v3, 0
	s_mov_b32 s0, 0
	s_delay_alu instid0(VALU_DEP_2)
	v_cvt_u32_f32_e32 v2, v2
	global_store_b64 v[0:1], v[2:3], off
.LBB529_2063:
	s_mov_b32 s3, 0
.LBB529_2064:
	s_delay_alu instid0(SALU_CYCLE_1)
	s_and_b32 vcc_lo, exec_lo, s3
	s_cbranch_vccz .LBB529_2079
; %bb.2065:
	v_cmp_gt_i16_e32 vcc_lo, 27, v6
	s_mov_b32 s3, -1
	s_cbranch_vccnz .LBB529_2071
; %bb.2066:
	v_cmp_lt_i16_e32 vcc_lo, 27, v6
	s_cbranch_vccz .LBB529_2068
; %bb.2067:
	v_cvt_f32_f16_e32 v2, v5
	s_mov_b32 s3, 0
	s_delay_alu instid0(VALU_DEP_1)
	v_cvt_u32_f32_e32 v2, v2
	global_store_b32 v[0:1], v2, off
.LBB529_2068:
	s_and_not1_b32 vcc_lo, exec_lo, s3
	s_cbranch_vccnz .LBB529_2070
; %bb.2069:
	v_cvt_u16_f16_e32 v2, v5
	global_store_b16 v[0:1], v2, off
.LBB529_2070:
	s_mov_b32 s3, 0
.LBB529_2071:
	s_delay_alu instid0(SALU_CYCLE_1)
	s_and_not1_b32 vcc_lo, exec_lo, s3
	s_cbranch_vccnz .LBB529_2079
; %bb.2072:
	v_cvt_f32_f16_e32 v2, v5
	v_mov_b32_e32 v4, 0x80
	s_mov_b32 s3, exec_lo
	s_delay_alu instid0(VALU_DEP_2) | instskip(NEXT) | instid1(VALU_DEP_1)
	v_and_b32_e32 v3, 0x7fffffff, v2
	v_cmpx_gt_u32_e32 0x43800000, v3
	s_cbranch_execz .LBB529_2078
; %bb.2073:
	v_cmp_lt_u32_e32 vcc_lo, 0x3bffffff, v3
	s_mov_b32 s4, 0
                                        ; implicit-def: $vgpr3
	s_and_saveexec_b32 s5, vcc_lo
	s_delay_alu instid0(SALU_CYCLE_1)
	s_xor_b32 s5, exec_lo, s5
	s_cbranch_execz .LBB529_2194
; %bb.2074:
	v_bfe_u32 v3, v2, 20, 1
	s_mov_b32 s4, exec_lo
	s_delay_alu instid0(VALU_DEP_1) | instskip(NEXT) | instid1(VALU_DEP_1)
	v_add3_u32 v3, v2, v3, 0x487ffff
	v_lshrrev_b32_e32 v3, 20, v3
	s_or_saveexec_b32 s5, s5
                                        ; implicit-def: $sgpr6
	s_delay_alu instid0(SALU_CYCLE_1)
	s_xor_b32 exec_lo, exec_lo, s5
	s_cbranch_execnz .LBB529_2195
.LBB529_2075:
	s_or_b32 exec_lo, exec_lo, s5
	v_mov_b32_e32 v4, s6
	s_and_saveexec_b32 s5, s4
.LBB529_2076:
	v_lshrrev_b32_e32 v2, 24, v2
	s_delay_alu instid0(VALU_DEP_1)
	v_and_or_b32 v4, 0x80, v2, v3
.LBB529_2077:
	s_or_b32 exec_lo, exec_lo, s5
.LBB529_2078:
	s_delay_alu instid0(SALU_CYCLE_1)
	s_or_b32 exec_lo, exec_lo, s3
	global_store_b8 v[0:1], v4, off
.LBB529_2079:
	s_mov_b32 s3, 0
.LBB529_2080:
	s_delay_alu instid0(SALU_CYCLE_1)
	s_and_b32 vcc_lo, exec_lo, s3
	s_cbranch_vccz .LBB529_2120
; %bb.2081:
	v_cmp_lt_i16_e32 vcc_lo, 22, v6
	s_mov_b32 s1, -1
	s_cbranch_vccz .LBB529_2113
; %bb.2082:
	v_cmp_gt_i16_e32 vcc_lo, 24, v6
	s_cbranch_vccnz .LBB529_2102
; %bb.2083:
	v_cmp_lt_i16_e32 vcc_lo, 24, v6
	s_cbranch_vccz .LBB529_2091
; %bb.2084:
	v_cvt_f32_f16_e32 v2, v5
	v_mov_b32_e32 v4, 0x80
	s_mov_b32 s1, exec_lo
	s_delay_alu instid0(VALU_DEP_2) | instskip(NEXT) | instid1(VALU_DEP_1)
	v_and_b32_e32 v3, 0x7fffffff, v2
	v_cmpx_gt_u32_e32 0x47800000, v3
	s_cbranch_execz .LBB529_2090
; %bb.2085:
	v_cmp_lt_u32_e32 vcc_lo, 0x37ffffff, v3
	s_mov_b32 s3, 0
                                        ; implicit-def: $vgpr3
	s_and_saveexec_b32 s4, vcc_lo
	s_delay_alu instid0(SALU_CYCLE_1)
	s_xor_b32 s4, exec_lo, s4
	s_cbranch_execz .LBB529_2200
; %bb.2086:
	v_bfe_u32 v3, v2, 21, 1
	s_mov_b32 s3, exec_lo
	s_delay_alu instid0(VALU_DEP_1) | instskip(NEXT) | instid1(VALU_DEP_1)
	v_add3_u32 v3, v2, v3, 0x88fffff
	v_lshrrev_b32_e32 v3, 21, v3
	s_or_saveexec_b32 s4, s4
                                        ; implicit-def: $sgpr5
	s_delay_alu instid0(SALU_CYCLE_1)
	s_xor_b32 exec_lo, exec_lo, s4
	s_cbranch_execnz .LBB529_2201
.LBB529_2087:
	s_or_b32 exec_lo, exec_lo, s4
	v_mov_b32_e32 v4, s5
	s_and_saveexec_b32 s4, s3
.LBB529_2088:
	v_lshrrev_b32_e32 v2, 24, v2
	s_delay_alu instid0(VALU_DEP_1)
	v_and_or_b32 v4, 0x80, v2, v3
.LBB529_2089:
	s_or_b32 exec_lo, exec_lo, s4
.LBB529_2090:
	s_delay_alu instid0(SALU_CYCLE_1)
	s_or_b32 exec_lo, exec_lo, s1
	s_mov_b32 s1, 0
	global_store_b8 v[0:1], v4, off
.LBB529_2091:
	s_and_b32 vcc_lo, exec_lo, s1
	s_cbranch_vccz .LBB529_2101
; %bb.2092:
	v_cvt_f32_f16_e32 v2, v5
	s_mov_b32 s1, exec_lo
                                        ; implicit-def: $vgpr3
	s_delay_alu instid0(VALU_DEP_1) | instskip(NEXT) | instid1(VALU_DEP_1)
	v_and_b32_e32 v4, 0x7fffffff, v2
	v_cmpx_gt_u32_e32 0x43f00000, v4
	s_xor_b32 s1, exec_lo, s1
	s_cbranch_execz .LBB529_2098
; %bb.2093:
	s_mov_b32 s3, exec_lo
                                        ; implicit-def: $vgpr3
	v_cmpx_lt_u32_e32 0x3c7fffff, v4
	s_xor_b32 s3, exec_lo, s3
; %bb.2094:
	v_bfe_u32 v3, v2, 20, 1
	s_delay_alu instid0(VALU_DEP_1) | instskip(NEXT) | instid1(VALU_DEP_1)
	v_add3_u32 v3, v2, v3, 0x407ffff
	v_and_b32_e32 v4, 0xff00000, v3
	v_lshrrev_b32_e32 v3, 20, v3
	s_delay_alu instid0(VALU_DEP_2) | instskip(NEXT) | instid1(VALU_DEP_2)
	v_cmp_ne_u32_e32 vcc_lo, 0x7f00000, v4
	v_cndmask_b32_e32 v3, 0x7e, v3, vcc_lo
; %bb.2095:
	s_and_not1_saveexec_b32 s3, s3
; %bb.2096:
	v_add_f32_e64 v3, 0x46800000, |v2|
; %bb.2097:
	s_or_b32 exec_lo, exec_lo, s3
                                        ; implicit-def: $vgpr4
.LBB529_2098:
	s_and_not1_saveexec_b32 s1, s1
; %bb.2099:
	v_mov_b32_e32 v3, 0x7f
	v_cmp_lt_u32_e32 vcc_lo, 0x7f800000, v4
	s_delay_alu instid0(VALU_DEP_2)
	v_cndmask_b32_e32 v3, 0x7e, v3, vcc_lo
; %bb.2100:
	s_or_b32 exec_lo, exec_lo, s1
	v_lshrrev_b32_e32 v2, 24, v2
	s_delay_alu instid0(VALU_DEP_1)
	v_and_or_b32 v2, 0x80, v2, v3
	global_store_b8 v[0:1], v2, off
.LBB529_2101:
	s_mov_b32 s1, 0
.LBB529_2102:
	s_delay_alu instid0(SALU_CYCLE_1)
	s_and_not1_b32 vcc_lo, exec_lo, s1
	s_cbranch_vccnz .LBB529_2112
; %bb.2103:
	v_cvt_f32_f16_e32 v2, v5
	s_mov_b32 s1, exec_lo
                                        ; implicit-def: $vgpr3
	s_delay_alu instid0(VALU_DEP_1) | instskip(NEXT) | instid1(VALU_DEP_1)
	v_and_b32_e32 v4, 0x7fffffff, v2
	v_cmpx_gt_u32_e32 0x47800000, v4
	s_xor_b32 s1, exec_lo, s1
	s_cbranch_execz .LBB529_2109
; %bb.2104:
	s_mov_b32 s3, exec_lo
                                        ; implicit-def: $vgpr3
	v_cmpx_lt_u32_e32 0x387fffff, v4
	s_xor_b32 s3, exec_lo, s3
; %bb.2105:
	v_bfe_u32 v3, v2, 21, 1
	s_delay_alu instid0(VALU_DEP_1) | instskip(NEXT) | instid1(VALU_DEP_1)
	v_add3_u32 v3, v2, v3, 0x80fffff
	v_lshrrev_b32_e32 v3, 21, v3
; %bb.2106:
	s_and_not1_saveexec_b32 s3, s3
; %bb.2107:
	v_add_f32_e64 v3, 0x43000000, |v2|
; %bb.2108:
	s_or_b32 exec_lo, exec_lo, s3
                                        ; implicit-def: $vgpr4
.LBB529_2109:
	s_and_not1_saveexec_b32 s1, s1
; %bb.2110:
	v_mov_b32_e32 v3, 0x7f
	v_cmp_lt_u32_e32 vcc_lo, 0x7f800000, v4
	s_delay_alu instid0(VALU_DEP_2)
	v_cndmask_b32_e32 v3, 0x7c, v3, vcc_lo
; %bb.2111:
	s_or_b32 exec_lo, exec_lo, s1
	v_lshrrev_b32_e32 v2, 24, v2
	s_delay_alu instid0(VALU_DEP_1)
	v_and_or_b32 v2, 0x80, v2, v3
	global_store_b8 v[0:1], v2, off
.LBB529_2112:
	s_mov_b32 s1, 0
.LBB529_2113:
	s_delay_alu instid0(SALU_CYCLE_1)
	s_and_not1_b32 vcc_lo, exec_lo, s1
	s_mov_b32 s1, 0
	s_cbranch_vccnz .LBB529_2120
; %bb.2114:
	v_cmp_lt_i16_e32 vcc_lo, 14, v6
	s_mov_b32 s1, -1
	s_cbranch_vccz .LBB529_2118
; %bb.2115:
	v_cmp_eq_u16_e32 vcc_lo, 15, v6
	s_mov_b32 s0, -1
	s_cbranch_vccz .LBB529_2117
; %bb.2116:
	v_cvt_f32_f16_e32 v2, v5
	v_cmp_o_f16_e32 vcc_lo, v5, v5
	s_mov_b32 s0, 0
	s_delay_alu instid0(VALU_DEP_2) | instskip(NEXT) | instid1(VALU_DEP_1)
	v_bfe_u32 v3, v2, 16, 1
	v_add3_u32 v2, v2, v3, 0x7fff
	s_delay_alu instid0(VALU_DEP_1) | instskip(NEXT) | instid1(VALU_DEP_1)
	v_lshrrev_b32_e32 v2, 16, v2
	v_cndmask_b32_e32 v2, 0x7fc0, v2, vcc_lo
	global_store_b16 v[0:1], v2, off
.LBB529_2117:
	s_mov_b32 s1, 0
.LBB529_2118:
	s_delay_alu instid0(SALU_CYCLE_1)
	s_and_b32 vcc_lo, exec_lo, s1
	s_mov_b32 s1, 0
	s_cbranch_vccz .LBB529_2120
; %bb.2119:
	v_cmp_ne_u16_e64 s0, 11, v6
	s_mov_b32 s1, -1
.LBB529_2120:
	s_delay_alu instid0(VALU_DEP_1)
	s_and_b32 vcc_lo, exec_lo, s0
	s_cbranch_vccnz .LBB529_2198
.LBB529_2121:
	s_mov_b32 s0, 0
	s_branch .LBB529_2123
.LBB529_2122:
	s_mov_b32 s0, 0
	s_mov_b32 s1, 0
                                        ; implicit-def: $vgpr0_vgpr1
                                        ; implicit-def: $vgpr6
                                        ; implicit-def: $vgpr5
.LBB529_2123:
	s_and_b32 s3, s0, exec_lo
	s_and_not1_b32 s0, s8, exec_lo
	s_and_b32 s2, s2, exec_lo
	s_and_b32 s28, s1, exec_lo
	s_or_b32 s8, s0, s2
.LBB529_2124:
	s_or_b32 exec_lo, exec_lo, s9
	s_and_saveexec_b32 s0, s8
	s_cbranch_execz .LBB529_2127
; %bb.2125:
	; divergent unreachable
	s_or_b32 exec_lo, exec_lo, s0
	s_and_saveexec_b32 s0, s28
	s_delay_alu instid0(SALU_CYCLE_1)
	s_xor_b32 s0, exec_lo, s0
	s_cbranch_execnz .LBB529_2128
.LBB529_2126:
	s_or_b32 exec_lo, exec_lo, s0
	s_and_saveexec_b32 s0, s3
	s_cbranch_execnz .LBB529_2129
	s_branch .LBB529_2166
.LBB529_2127:
	s_or_b32 exec_lo, exec_lo, s0
	s_and_saveexec_b32 s0, s28
	s_delay_alu instid0(SALU_CYCLE_1)
	s_xor_b32 s0, exec_lo, s0
	s_cbranch_execz .LBB529_2126
.LBB529_2128:
	s_waitcnt vmcnt(0)
	v_and_b32_e32 v2, 0x7fff, v5
	s_delay_alu instid0(VALU_DEP_1)
	v_cmp_ne_u16_e32 vcc_lo, 0, v2
	v_cndmask_b32_e64 v2, 0, 1, vcc_lo
	global_store_b8 v[0:1], v2, off
	s_or_b32 exec_lo, exec_lo, s0
	s_and_saveexec_b32 s0, s3
	s_cbranch_execz .LBB529_2166
.LBB529_2129:
	s_waitcnt vmcnt(0)
	v_cmp_gt_i16_e32 vcc_lo, 5, v6
	s_mov_b32 s0, -1
	s_cbranch_vccnz .LBB529_2150
; %bb.2130:
	v_cmp_gt_i16_e32 vcc_lo, 8, v6
	s_cbranch_vccnz .LBB529_2140
; %bb.2131:
	v_cmp_gt_i16_e32 vcc_lo, 9, v6
	s_cbranch_vccnz .LBB529_2137
; %bb.2132:
	v_cmp_lt_i16_e32 vcc_lo, 9, v6
	s_cbranch_vccz .LBB529_2134
; %bb.2133:
	v_cvt_f32_f16_e32 v2, v5
	v_mov_b32_e32 v9, 0
	s_mov_b32 s0, 0
	s_delay_alu instid0(VALU_DEP_2) | instskip(NEXT) | instid1(VALU_DEP_2)
	v_cvt_f64_f32_e32 v[7:8], v2
	v_mov_b32_e32 v10, v9
	global_store_b128 v[0:1], v[7:10], off
.LBB529_2134:
	s_and_not1_b32 vcc_lo, exec_lo, s0
	s_cbranch_vccnz .LBB529_2136
; %bb.2135:
	v_cvt_f32_f16_e32 v2, v5
	v_mov_b32_e32 v3, 0
	global_store_b64 v[0:1], v[2:3], off
.LBB529_2136:
	s_mov_b32 s0, 0
.LBB529_2137:
	s_delay_alu instid0(SALU_CYCLE_1)
	s_and_not1_b32 vcc_lo, exec_lo, s0
	s_cbranch_vccnz .LBB529_2139
; %bb.2138:
	v_and_b32_e32 v2, 0xffff, v5
	global_store_b32 v[0:1], v2, off
.LBB529_2139:
	s_mov_b32 s0, 0
.LBB529_2140:
	s_delay_alu instid0(SALU_CYCLE_1)
	s_and_not1_b32 vcc_lo, exec_lo, s0
	s_cbranch_vccnz .LBB529_2149
; %bb.2141:
	v_cmp_gt_i16_e32 vcc_lo, 6, v6
	s_mov_b32 s0, -1
	s_cbranch_vccnz .LBB529_2147
; %bb.2142:
	v_cmp_lt_i16_e32 vcc_lo, 6, v6
	s_cbranch_vccz .LBB529_2144
; %bb.2143:
	v_cvt_f32_f16_e32 v2, v5
	s_mov_b32 s0, 0
	s_delay_alu instid0(VALU_DEP_1)
	v_cvt_f64_f32_e32 v[2:3], v2
	global_store_b64 v[0:1], v[2:3], off
.LBB529_2144:
	s_and_not1_b32 vcc_lo, exec_lo, s0
	s_cbranch_vccnz .LBB529_2146
; %bb.2145:
	v_cvt_f32_f16_e32 v2, v5
	global_store_b32 v[0:1], v2, off
.LBB529_2146:
	s_mov_b32 s0, 0
.LBB529_2147:
	s_delay_alu instid0(SALU_CYCLE_1)
	s_and_not1_b32 vcc_lo, exec_lo, s0
	s_cbranch_vccnz .LBB529_2149
; %bb.2148:
	global_store_b16 v[0:1], v5, off
.LBB529_2149:
	s_mov_b32 s0, 0
.LBB529_2150:
	s_delay_alu instid0(SALU_CYCLE_1)
	s_and_not1_b32 vcc_lo, exec_lo, s0
	s_cbranch_vccnz .LBB529_2166
; %bb.2151:
	v_cmp_gt_i16_e32 vcc_lo, 2, v6
	s_mov_b32 s0, -1
	s_cbranch_vccnz .LBB529_2161
; %bb.2152:
	v_cmp_gt_i16_e32 vcc_lo, 3, v6
	s_cbranch_vccnz .LBB529_2158
; %bb.2153:
	v_cmp_lt_i16_e32 vcc_lo, 3, v6
	s_cbranch_vccz .LBB529_2155
; %bb.2154:
	v_cvt_f32_f16_e32 v2, v5
	s_mov_b32 s0, 0
	s_delay_alu instid0(VALU_DEP_1) | instskip(NEXT) | instid1(VALU_DEP_1)
	v_cvt_i32_f32_e32 v2, v2
	v_ashrrev_i32_e32 v3, 31, v2
	global_store_b64 v[0:1], v[2:3], off
.LBB529_2155:
	s_and_not1_b32 vcc_lo, exec_lo, s0
	s_cbranch_vccnz .LBB529_2157
; %bb.2156:
	v_cvt_f32_f16_e32 v2, v5
	s_delay_alu instid0(VALU_DEP_1)
	v_cvt_i32_f32_e32 v2, v2
	global_store_b32 v[0:1], v2, off
.LBB529_2157:
	s_mov_b32 s0, 0
.LBB529_2158:
	s_delay_alu instid0(SALU_CYCLE_1)
	s_and_not1_b32 vcc_lo, exec_lo, s0
	s_cbranch_vccnz .LBB529_2160
; %bb.2159:
	v_cvt_i16_f16_e32 v2, v5
	global_store_b16 v[0:1], v2, off
.LBB529_2160:
	s_mov_b32 s0, 0
.LBB529_2161:
	s_delay_alu instid0(SALU_CYCLE_1)
	s_and_not1_b32 vcc_lo, exec_lo, s0
	s_cbranch_vccnz .LBB529_2166
; %bb.2162:
	v_cmp_lt_i16_e32 vcc_lo, 0, v6
	s_mov_b32 s0, -1
	s_cbranch_vccz .LBB529_2164
; %bb.2163:
	v_cvt_i16_f16_e32 v2, v5
	s_mov_b32 s0, 0
	global_store_b8 v[0:1], v2, off
.LBB529_2164:
	s_and_not1_b32 vcc_lo, exec_lo, s0
	s_cbranch_vccnz .LBB529_2166
; %bb.2165:
	v_cvt_f32_f16_e32 v2, v5
	s_delay_alu instid0(VALU_DEP_1)
	v_cvt_i32_f32_e32 v2, v2
	global_store_b8 v[0:1], v2, off
	s_nop 0
	s_sendmsg sendmsg(MSG_DEALLOC_VGPRS)
	s_endpgm
.LBB529_2166:
	s_nop 0
	s_sendmsg sendmsg(MSG_DEALLOC_VGPRS)
	s_endpgm
.LBB529_2167:
	s_mov_b32 s0, 0
	s_mov_b32 s1, 0
                                        ; implicit-def: $vgpr0_vgpr1
                                        ; implicit-def: $vgpr6
	s_branch .LBB529_2123
.LBB529_2168:
	s_cbranch_execnz .LBB529_2172
; %bb.2169:
	s_or_b32 s2, s2, exec_lo
                                        ; implicit-def: $vgpr6
	s_cbranch_execz .LBB529_1636
	s_branch .LBB529_1637
.LBB529_2170:
	s_or_saveexec_b32 s7, s7
                                        ; implicit-def: $sgpr10
	s_delay_alu instid0(SALU_CYCLE_1)
	s_xor_b32 exec_lo, exec_lo, s7
	s_cbranch_execz .LBB529_1720
.LBB529_2171:
	v_add_f32_e64 v11, 0x46000000, |v10|
	s_and_not1_b32 s6, s6, exec_lo
	s_mov_b32 s10, 0
	s_delay_alu instid0(VALU_DEP_1) | instskip(NEXT) | instid1(VALU_DEP_1)
	v_and_b32_e32 v11, 0xff, v11
	v_cmp_ne_u32_e32 vcc_lo, 0, v11
	s_and_b32 s11, vcc_lo, exec_lo
	s_delay_alu instid0(SALU_CYCLE_1)
	s_or_b32 s6, s6, s11
	s_or_b32 exec_lo, exec_lo, s7
	v_mov_b32_e32 v12, s10
	s_and_saveexec_b32 s7, s6
	s_cbranch_execnz .LBB529_1721
	s_branch .LBB529_1722
.LBB529_2172:
	s_trap 2
	s_sendmsg_rtn_b32 s0, sendmsg(MSG_RTN_GET_DOORBELL)
	s_mov_b32 ttmp2, m0
	s_waitcnt lgkmcnt(0)
	s_and_b32 s0, s0, 0x3ff
	s_delay_alu instid0(SALU_CYCLE_1) | instskip(NEXT) | instid1(SALU_CYCLE_1)
	s_bitset1_b32 s0, 10
	s_mov_b32 m0, s0
	s_sendmsg sendmsg(MSG_INTERRUPT)
	s_mov_b32 m0, ttmp2
.LBB529_2173:                           ; =>This Inner Loop Header: Depth=1
	s_sethalt 5
	s_branch .LBB529_2173
.LBB529_2174:
	s_cbranch_execnz .LBB529_2180
; %bb.2175:
	s_or_b32 s2, s2, exec_lo
	s_cbranch_execz .LBB529_1768
	s_branch .LBB529_1769
.LBB529_2176:
	s_or_saveexec_b32 s6, s6
                                        ; implicit-def: $sgpr7
	s_delay_alu instid0(SALU_CYCLE_1)
	s_xor_b32 exec_lo, exec_lo, s6
	s_cbranch_execz .LBB529_1733
.LBB529_2177:
	v_add_f32_e64 v11, 0x42800000, |v10|
	s_and_not1_b32 s3, s3, exec_lo
	s_mov_b32 s7, 0
	s_delay_alu instid0(VALU_DEP_1) | instskip(NEXT) | instid1(VALU_DEP_1)
	v_and_b32_e32 v11, 0xff, v11
	v_cmp_ne_u32_e32 vcc_lo, 0, v11
	s_and_b32 s10, vcc_lo, exec_lo
	s_delay_alu instid0(SALU_CYCLE_1)
	s_or_b32 s3, s3, s10
	s_or_b32 exec_lo, exec_lo, s6
	v_mov_b32_e32 v12, s7
	s_and_saveexec_b32 s6, s3
	s_cbranch_execnz .LBB529_1734
	s_branch .LBB529_1735
.LBB529_2178:
	s_or_saveexec_b32 s7, s7
                                        ; implicit-def: $sgpr10
	s_delay_alu instid0(SALU_CYCLE_1)
	s_xor_b32 exec_lo, exec_lo, s7
	s_cbranch_execz .LBB529_1838
.LBB529_2179:
	v_add_f32_e64 v8, 0x46000000, |v4|
	s_and_not1_b32 s6, s6, exec_lo
	s_mov_b32 s10, 0
	s_delay_alu instid0(VALU_DEP_1) | instskip(NEXT) | instid1(VALU_DEP_1)
	v_and_b32_e32 v8, 0xff, v8
	v_cmp_ne_u32_e32 vcc_lo, 0, v8
	s_and_b32 s11, vcc_lo, exec_lo
	s_delay_alu instid0(SALU_CYCLE_1)
	s_or_b32 s6, s6, s11
	s_or_b32 exec_lo, exec_lo, s7
	v_mov_b32_e32 v10, s10
	s_and_saveexec_b32 s7, s6
	s_cbranch_execnz .LBB529_1839
	s_branch .LBB529_1840
.LBB529_2180:
	s_trap 2
	s_sendmsg_rtn_b32 s0, sendmsg(MSG_RTN_GET_DOORBELL)
	s_mov_b32 ttmp2, m0
	s_waitcnt lgkmcnt(0)
	s_and_b32 s0, s0, 0x3ff
	s_delay_alu instid0(SALU_CYCLE_1) | instskip(NEXT) | instid1(SALU_CYCLE_1)
	s_bitset1_b32 s0, 10
	s_mov_b32 m0, s0
	s_sendmsg sendmsg(MSG_INTERRUPT)
	s_mov_b32 m0, ttmp2
.LBB529_2181:                           ; =>This Inner Loop Header: Depth=1
	s_sethalt 5
	s_branch .LBB529_2181
.LBB529_2182:
	s_cbranch_execnz .LBB529_2188
; %bb.2183:
	s_or_b32 s2, s2, exec_lo
	s_cbranch_execz .LBB529_1886
	s_branch .LBB529_1887
.LBB529_2184:
	s_or_saveexec_b32 s6, s6
                                        ; implicit-def: $sgpr7
	s_delay_alu instid0(SALU_CYCLE_1)
	s_xor_b32 exec_lo, exec_lo, s6
	s_cbranch_execz .LBB529_1851
.LBB529_2185:
	v_add_f32_e64 v8, 0x42800000, |v4|
	s_and_not1_b32 s3, s3, exec_lo
	s_mov_b32 s7, 0
	s_delay_alu instid0(VALU_DEP_1) | instskip(NEXT) | instid1(VALU_DEP_1)
	v_and_b32_e32 v8, 0xff, v8
	v_cmp_ne_u32_e32 vcc_lo, 0, v8
	s_and_b32 s10, vcc_lo, exec_lo
	s_delay_alu instid0(SALU_CYCLE_1)
	s_or_b32 s3, s3, s10
	s_or_b32 exec_lo, exec_lo, s6
	v_mov_b32_e32 v10, s7
	s_and_saveexec_b32 s6, s3
	s_cbranch_execnz .LBB529_1852
	s_branch .LBB529_1853
.LBB529_2186:
	s_or_saveexec_b32 s7, s7
                                        ; implicit-def: $sgpr10
	s_delay_alu instid0(SALU_CYCLE_1)
	s_xor_b32 exec_lo, exec_lo, s7
	s_cbranch_execz .LBB529_1956
.LBB529_2187:
	v_add_f32_e64 v4, 0x46000000, |v3|
	s_and_not1_b32 s6, s6, exec_lo
	s_mov_b32 s10, 0
	s_delay_alu instid0(VALU_DEP_1) | instskip(NEXT) | instid1(VALU_DEP_1)
	v_and_b32_e32 v4, 0xff, v4
	v_cmp_ne_u32_e32 vcc_lo, 0, v4
	s_and_b32 s11, vcc_lo, exec_lo
	s_delay_alu instid0(SALU_CYCLE_1)
	s_or_b32 s6, s6, s11
	s_or_b32 exec_lo, exec_lo, s7
	v_mov_b32_e32 v7, s10
	s_and_saveexec_b32 s7, s6
	s_cbranch_execnz .LBB529_1957
	s_branch .LBB529_1958
.LBB529_2188:
	s_trap 2
	s_sendmsg_rtn_b32 s0, sendmsg(MSG_RTN_GET_DOORBELL)
	s_mov_b32 ttmp2, m0
	s_waitcnt lgkmcnt(0)
	s_and_b32 s0, s0, 0x3ff
	s_delay_alu instid0(SALU_CYCLE_1) | instskip(NEXT) | instid1(SALU_CYCLE_1)
	s_bitset1_b32 s0, 10
	s_mov_b32 m0, s0
	s_sendmsg sendmsg(MSG_INTERRUPT)
	s_mov_b32 m0, ttmp2
.LBB529_2189:                           ; =>This Inner Loop Header: Depth=1
	s_sethalt 5
	s_branch .LBB529_2189
.LBB529_2190:
	s_cbranch_execnz .LBB529_2196
; %bb.2191:
	s_or_b32 s2, s2, exec_lo
	s_cbranch_execz .LBB529_2004
	s_branch .LBB529_2005
.LBB529_2192:
	s_or_saveexec_b32 s6, s6
                                        ; implicit-def: $sgpr7
	s_delay_alu instid0(SALU_CYCLE_1)
	s_xor_b32 exec_lo, exec_lo, s6
	s_cbranch_execz .LBB529_1969
.LBB529_2193:
	v_add_f32_e64 v4, 0x42800000, |v3|
	s_and_not1_b32 s3, s3, exec_lo
	s_mov_b32 s7, 0
	s_delay_alu instid0(VALU_DEP_1) | instskip(NEXT) | instid1(VALU_DEP_1)
	v_and_b32_e32 v4, 0xff, v4
	v_cmp_ne_u32_e32 vcc_lo, 0, v4
	s_and_b32 s10, vcc_lo, exec_lo
	s_delay_alu instid0(SALU_CYCLE_1)
	s_or_b32 s3, s3, s10
	s_or_b32 exec_lo, exec_lo, s6
	v_mov_b32_e32 v7, s7
	s_and_saveexec_b32 s6, s3
	s_cbranch_execnz .LBB529_1970
	s_branch .LBB529_1971
.LBB529_2194:
	s_or_saveexec_b32 s5, s5
                                        ; implicit-def: $sgpr6
	s_delay_alu instid0(SALU_CYCLE_1)
	s_xor_b32 exec_lo, exec_lo, s5
	s_cbranch_execz .LBB529_2075
.LBB529_2195:
	v_add_f32_e64 v3, 0x46000000, |v2|
	s_and_not1_b32 s4, s4, exec_lo
	s_mov_b32 s6, 0
	s_delay_alu instid0(VALU_DEP_1) | instskip(NEXT) | instid1(VALU_DEP_1)
	v_and_b32_e32 v3, 0xff, v3
	v_cmp_ne_u32_e32 vcc_lo, 0, v3
	s_and_b32 s7, vcc_lo, exec_lo
	s_delay_alu instid0(SALU_CYCLE_1)
	s_or_b32 s4, s4, s7
	s_or_b32 exec_lo, exec_lo, s5
	v_mov_b32_e32 v4, s6
	s_and_saveexec_b32 s5, s4
	s_cbranch_execnz .LBB529_2076
	s_branch .LBB529_2077
.LBB529_2196:
	s_trap 2
	s_sendmsg_rtn_b32 s0, sendmsg(MSG_RTN_GET_DOORBELL)
	s_mov_b32 ttmp2, m0
	s_waitcnt lgkmcnt(0)
	s_and_b32 s0, s0, 0x3ff
	s_delay_alu instid0(SALU_CYCLE_1) | instskip(NEXT) | instid1(SALU_CYCLE_1)
	s_bitset1_b32 s0, 10
	s_mov_b32 m0, s0
	s_sendmsg sendmsg(MSG_INTERRUPT)
	s_mov_b32 m0, ttmp2
.LBB529_2197:                           ; =>This Inner Loop Header: Depth=1
	s_sethalt 5
	s_branch .LBB529_2197
.LBB529_2198:
	s_cbranch_execnz .LBB529_2202
; %bb.2199:
	s_mov_b32 s1, 0
	s_or_b32 s2, s2, exec_lo
	s_branch .LBB529_2121
.LBB529_2200:
	s_or_saveexec_b32 s4, s4
                                        ; implicit-def: $sgpr5
	s_delay_alu instid0(SALU_CYCLE_1)
	s_xor_b32 exec_lo, exec_lo, s4
	s_cbranch_execz .LBB529_2087
.LBB529_2201:
	v_add_f32_e64 v3, 0x42800000, |v2|
	s_and_not1_b32 s3, s3, exec_lo
	s_mov_b32 s5, 0
	s_delay_alu instid0(VALU_DEP_1) | instskip(NEXT) | instid1(VALU_DEP_1)
	v_and_b32_e32 v3, 0xff, v3
	v_cmp_ne_u32_e32 vcc_lo, 0, v3
	s_and_b32 s6, vcc_lo, exec_lo
	s_delay_alu instid0(SALU_CYCLE_1)
	s_or_b32 s3, s3, s6
	s_or_b32 exec_lo, exec_lo, s4
	v_mov_b32_e32 v4, s5
	s_and_saveexec_b32 s4, s3
	s_cbranch_execnz .LBB529_2088
	s_branch .LBB529_2089
.LBB529_2202:
	s_trap 2
	s_sendmsg_rtn_b32 s0, sendmsg(MSG_RTN_GET_DOORBELL)
	s_mov_b32 ttmp2, m0
	s_waitcnt lgkmcnt(0)
	s_and_b32 s0, s0, 0x3ff
	s_delay_alu instid0(SALU_CYCLE_1) | instskip(NEXT) | instid1(SALU_CYCLE_1)
	s_bitset1_b32 s0, 10
	s_mov_b32 m0, s0
	s_sendmsg sendmsg(MSG_INTERRUPT)
	s_mov_b32 m0, ttmp2
.LBB529_2203:                           ; =>This Inner Loop Header: Depth=1
	s_sethalt 5
	s_branch .LBB529_2203
	.section	.rodata,"a",@progbits
	.p2align	6, 0x0
	.amdhsa_kernel _ZN2at6native32elementwise_kernel_manual_unrollILi128ELi4EZNS0_15gpu_kernel_implIZZZNS0_22nan_to_num_kernel_cudaERNS_18TensorIteratorBaseESt8optionalIdES6_S6_ENKUlvE0_clEvENKUlvE1_clEvEUlN3c104HalfEE_EEvS4_RKT_EUlibE0_EEviT1_
		.amdhsa_group_segment_fixed_size 0
		.amdhsa_private_segment_fixed_size 0
		.amdhsa_kernarg_size 360
		.amdhsa_user_sgpr_count 15
		.amdhsa_user_sgpr_dispatch_ptr 0
		.amdhsa_user_sgpr_queue_ptr 0
		.amdhsa_user_sgpr_kernarg_segment_ptr 1
		.amdhsa_user_sgpr_dispatch_id 0
		.amdhsa_user_sgpr_private_segment_size 0
		.amdhsa_wavefront_size32 1
		.amdhsa_uses_dynamic_stack 0
		.amdhsa_enable_private_segment 0
		.amdhsa_system_sgpr_workgroup_id_x 1
		.amdhsa_system_sgpr_workgroup_id_y 0
		.amdhsa_system_sgpr_workgroup_id_z 0
		.amdhsa_system_sgpr_workgroup_info 0
		.amdhsa_system_vgpr_workitem_id 0
		.amdhsa_next_free_vgpr 18
		.amdhsa_next_free_sgpr 72
		.amdhsa_reserve_vcc 1
		.amdhsa_float_round_mode_32 0
		.amdhsa_float_round_mode_16_64 0
		.amdhsa_float_denorm_mode_32 3
		.amdhsa_float_denorm_mode_16_64 3
		.amdhsa_dx10_clamp 1
		.amdhsa_ieee_mode 1
		.amdhsa_fp16_overflow 0
		.amdhsa_workgroup_processor_mode 1
		.amdhsa_memory_ordered 1
		.amdhsa_forward_progress 0
		.amdhsa_shared_vgpr_count 0
		.amdhsa_exception_fp_ieee_invalid_op 0
		.amdhsa_exception_fp_denorm_src 0
		.amdhsa_exception_fp_ieee_div_zero 0
		.amdhsa_exception_fp_ieee_overflow 0
		.amdhsa_exception_fp_ieee_underflow 0
		.amdhsa_exception_fp_ieee_inexact 0
		.amdhsa_exception_int_div_zero 0
	.end_amdhsa_kernel
	.section	.text._ZN2at6native32elementwise_kernel_manual_unrollILi128ELi4EZNS0_15gpu_kernel_implIZZZNS0_22nan_to_num_kernel_cudaERNS_18TensorIteratorBaseESt8optionalIdES6_S6_ENKUlvE0_clEvENKUlvE1_clEvEUlN3c104HalfEE_EEvS4_RKT_EUlibE0_EEviT1_,"axG",@progbits,_ZN2at6native32elementwise_kernel_manual_unrollILi128ELi4EZNS0_15gpu_kernel_implIZZZNS0_22nan_to_num_kernel_cudaERNS_18TensorIteratorBaseESt8optionalIdES6_S6_ENKUlvE0_clEvENKUlvE1_clEvEUlN3c104HalfEE_EEvS4_RKT_EUlibE0_EEviT1_,comdat
.Lfunc_end529:
	.size	_ZN2at6native32elementwise_kernel_manual_unrollILi128ELi4EZNS0_15gpu_kernel_implIZZZNS0_22nan_to_num_kernel_cudaERNS_18TensorIteratorBaseESt8optionalIdES6_S6_ENKUlvE0_clEvENKUlvE1_clEvEUlN3c104HalfEE_EEvS4_RKT_EUlibE0_EEviT1_, .Lfunc_end529-_ZN2at6native32elementwise_kernel_manual_unrollILi128ELi4EZNS0_15gpu_kernel_implIZZZNS0_22nan_to_num_kernel_cudaERNS_18TensorIteratorBaseESt8optionalIdES6_S6_ENKUlvE0_clEvENKUlvE1_clEvEUlN3c104HalfEE_EEvS4_RKT_EUlibE0_EEviT1_
                                        ; -- End function
	.section	.AMDGPU.csdata,"",@progbits
; Kernel info:
; codeLenInByte = 44572
; NumSgprs: 74
; NumVgprs: 18
; ScratchSize: 0
; MemoryBound: 0
; FloatMode: 240
; IeeeMode: 1
; LDSByteSize: 0 bytes/workgroup (compile time only)
; SGPRBlocks: 9
; VGPRBlocks: 2
; NumSGPRsForWavesPerEU: 74
; NumVGPRsForWavesPerEU: 18
; Occupancy: 16
; WaveLimiterHint : 1
; COMPUTE_PGM_RSRC2:SCRATCH_EN: 0
; COMPUTE_PGM_RSRC2:USER_SGPR: 15
; COMPUTE_PGM_RSRC2:TRAP_HANDLER: 0
; COMPUTE_PGM_RSRC2:TGID_X_EN: 1
; COMPUTE_PGM_RSRC2:TGID_Y_EN: 0
; COMPUTE_PGM_RSRC2:TGID_Z_EN: 0
; COMPUTE_PGM_RSRC2:TIDIG_COMP_CNT: 0
	.section	.text._ZN2at6native29vectorized_elementwise_kernelILi16EZZZNS0_22nan_to_num_kernel_cudaERNS_18TensorIteratorBaseESt8optionalIdES5_S5_ENKUlvE0_clEvENKUlvE2_clEvEUlN3c108BFloat16EE_St5arrayIPcLm2EEEEviT0_T1_,"axG",@progbits,_ZN2at6native29vectorized_elementwise_kernelILi16EZZZNS0_22nan_to_num_kernel_cudaERNS_18TensorIteratorBaseESt8optionalIdES5_S5_ENKUlvE0_clEvENKUlvE2_clEvEUlN3c108BFloat16EE_St5arrayIPcLm2EEEEviT0_T1_,comdat
	.globl	_ZN2at6native29vectorized_elementwise_kernelILi16EZZZNS0_22nan_to_num_kernel_cudaERNS_18TensorIteratorBaseESt8optionalIdES5_S5_ENKUlvE0_clEvENKUlvE2_clEvEUlN3c108BFloat16EE_St5arrayIPcLm2EEEEviT0_T1_ ; -- Begin function _ZN2at6native29vectorized_elementwise_kernelILi16EZZZNS0_22nan_to_num_kernel_cudaERNS_18TensorIteratorBaseESt8optionalIdES5_S5_ENKUlvE0_clEvENKUlvE2_clEvEUlN3c108BFloat16EE_St5arrayIPcLm2EEEEviT0_T1_
	.p2align	8
	.type	_ZN2at6native29vectorized_elementwise_kernelILi16EZZZNS0_22nan_to_num_kernel_cudaERNS_18TensorIteratorBaseESt8optionalIdES5_S5_ENKUlvE0_clEvENKUlvE2_clEvEUlN3c108BFloat16EE_St5arrayIPcLm2EEEEviT0_T1_,@function
_ZN2at6native29vectorized_elementwise_kernelILi16EZZZNS0_22nan_to_num_kernel_cudaERNS_18TensorIteratorBaseESt8optionalIdES5_S5_ENKUlvE0_clEvENKUlvE2_clEvEUlN3c108BFloat16EE_St5arrayIPcLm2EEEEviT0_T1_: ; @_ZN2at6native29vectorized_elementwise_kernelILi16EZZZNS0_22nan_to_num_kernel_cudaERNS_18TensorIteratorBaseESt8optionalIdES5_S5_ENKUlvE0_clEvENKUlvE2_clEvEUlN3c108BFloat16EE_St5arrayIPcLm2EEEEviT0_T1_
; %bb.0:
	s_clause 0x2
	s_load_b64 s[8:9], s[0:1], 0x0
	s_load_b32 s10, s[0:1], 0x8
	s_load_b128 s[4:7], s[0:1], 0x10
	s_lshl_b32 s2, s15, 11
	s_mov_b32 s0, -1
	s_waitcnt lgkmcnt(0)
	s_sub_i32 s8, s8, s2
	s_delay_alu instid0(SALU_CYCLE_1)
	s_cmpk_gt_i32 s8, 0x7ff
	s_cbranch_scc0 .LBB530_34
; %bb.1:
	s_ashr_i32 s3, s2, 31
	v_dual_mov_b32 v6, s9 :: v_dual_lshlrev_b32 v5, 4, v0
	s_lshl_b64 s[0:1], s[2:3], 1
	s_lshr_b32 s3, s9, 16
	s_add_u32 s12, s6, s0
	s_addc_u32 s13, s7, s1
	s_mov_b32 s11, exec_lo
	global_load_b128 v[1:4], v5, s[12:13]
	s_waitcnt vmcnt(0)
	v_lshlrev_b32_e32 v7, 16, v1
	s_delay_alu instid0(VALU_DEP_1)
	v_cmpx_o_f32_e32 v7, v7
	s_cbranch_execz .LBB530_5
; %bb.2:
	v_mov_b32_e32 v6, s3
	s_mov_b32 s12, exec_lo
	v_cmpx_neq_f32_e32 0x7f800000, v7
; %bb.3:
	v_cmp_eq_f32_e32 vcc_lo, 0xff800000, v7
	v_cndmask_b32_e64 v6, v1, s10, vcc_lo
; %bb.4:
	s_or_b32 exec_lo, exec_lo, s12
.LBB530_5:
	s_delay_alu instid0(SALU_CYCLE_1) | instskip(SKIP_2) | instid1(VALU_DEP_1)
	s_or_b32 exec_lo, exec_lo, s11
	v_dual_mov_b32 v7, s9 :: v_dual_and_b32 v8, 0xffff0000, v1
	s_mov_b32 s11, exec_lo
	v_cmpx_o_f32_e32 v8, v8
	s_cbranch_execz .LBB530_9
; %bb.6:
	v_mov_b32_e32 v7, s3
	s_mov_b32 s12, exec_lo
	v_cmpx_neq_f32_e32 0x7f800000, v8
; %bb.7:
	v_lshrrev_b32_e32 v1, 16, v1
	v_cmp_eq_f32_e32 vcc_lo, 0xff800000, v8
	s_delay_alu instid0(VALU_DEP_2)
	v_cndmask_b32_e64 v7, v1, s10, vcc_lo
; %bb.8:
	s_or_b32 exec_lo, exec_lo, s12
.LBB530_9:
	s_delay_alu instid0(SALU_CYCLE_1) | instskip(SKIP_2) | instid1(VALU_DEP_1)
	s_or_b32 exec_lo, exec_lo, s11
	v_dual_mov_b32 v1, s9 :: v_dual_lshlrev_b32 v8, 16, v2
	s_mov_b32 s11, exec_lo
	v_cmpx_o_f32_e32 v8, v8
	s_cbranch_execz .LBB530_13
; %bb.10:
	v_mov_b32_e32 v1, s3
	s_mov_b32 s12, exec_lo
	v_cmpx_neq_f32_e32 0x7f800000, v8
; %bb.11:
	v_and_b32_e32 v1, 0xffff, v2
	v_cmp_eq_f32_e32 vcc_lo, 0xff800000, v8
	s_delay_alu instid0(VALU_DEP_2)
	v_cndmask_b32_e64 v1, v1, s10, vcc_lo
; %bb.12:
	s_or_b32 exec_lo, exec_lo, s12
.LBB530_13:
	s_delay_alu instid0(SALU_CYCLE_1) | instskip(SKIP_2) | instid1(VALU_DEP_1)
	s_or_b32 exec_lo, exec_lo, s11
	v_dual_mov_b32 v8, s9 :: v_dual_and_b32 v9, 0xffff0000, v2
	s_mov_b32 s11, exec_lo
	v_cmpx_o_f32_e32 v9, v9
	s_cbranch_execz .LBB530_17
; %bb.14:
	v_mov_b32_e32 v8, s3
	s_mov_b32 s12, exec_lo
	v_cmpx_neq_f32_e32 0x7f800000, v9
; %bb.15:
	v_lshrrev_b32_e32 v2, 16, v2
	v_cmp_eq_f32_e32 vcc_lo, 0xff800000, v9
	s_delay_alu instid0(VALU_DEP_2)
	v_cndmask_b32_e64 v8, v2, s10, vcc_lo
; %bb.16:
	s_or_b32 exec_lo, exec_lo, s12
.LBB530_17:
	s_delay_alu instid0(SALU_CYCLE_1) | instskip(SKIP_2) | instid1(VALU_DEP_1)
	s_or_b32 exec_lo, exec_lo, s11
	v_dual_mov_b32 v2, s9 :: v_dual_lshlrev_b32 v9, 16, v3
	s_mov_b32 s11, exec_lo
	v_cmpx_o_f32_e32 v9, v9
	s_cbranch_execz .LBB530_21
; %bb.18:
	v_mov_b32_e32 v2, s3
	s_mov_b32 s12, exec_lo
	v_cmpx_neq_f32_e32 0x7f800000, v9
; %bb.19:
	v_and_b32_e32 v2, 0xffff, v3
	v_cmp_eq_f32_e32 vcc_lo, 0xff800000, v9
	s_delay_alu instid0(VALU_DEP_2)
	v_cndmask_b32_e64 v2, v2, s10, vcc_lo
; %bb.20:
	s_or_b32 exec_lo, exec_lo, s12
.LBB530_21:
	;; [unrolled: 36-line block ×3, first 2 shown]
	s_delay_alu instid0(SALU_CYCLE_1) | instskip(SKIP_2) | instid1(VALU_DEP_1)
	s_or_b32 exec_lo, exec_lo, s11
	v_dual_mov_b32 v10, s9 :: v_dual_and_b32 v11, 0xffff0000, v4
	s_mov_b32 s11, exec_lo
	v_cmpx_o_f32_e32 v11, v11
	s_cbranch_execz .LBB530_33
; %bb.30:
	v_mov_b32_e32 v10, s3
	s_mov_b32 s3, exec_lo
	v_cmpx_neq_f32_e32 0x7f800000, v11
; %bb.31:
	v_lshrrev_b32_e32 v4, 16, v4
	v_cmp_eq_f32_e32 vcc_lo, 0xff800000, v11
	s_delay_alu instid0(VALU_DEP_2)
	v_cndmask_b32_e64 v10, v4, s10, vcc_lo
; %bb.32:
	s_or_b32 exec_lo, exec_lo, s3
.LBB530_33:
	s_delay_alu instid0(SALU_CYCLE_1) | instskip(NEXT) | instid1(VALU_DEP_1)
	s_or_b32 exec_lo, exec_lo, s11
	v_perm_b32 v4, v10, v3, 0x5040100
	v_perm_b32 v3, v9, v2, 0x5040100
	;; [unrolled: 1-line block ×4, first 2 shown]
	s_add_u32 s12, s4, s0
	s_addc_u32 s13, s5, s1
	s_mov_b32 s0, 0
	global_store_b128 v5, v[1:4], s[12:13]
.LBB530_34:
	s_and_b32 vcc_lo, exec_lo, s0
	s_cbranch_vccz .LBB530_107
; %bb.35:
	v_cmp_gt_i32_e32 vcc_lo, s8, v0
	v_mov_b32_e32 v8, 0
	v_or_b32_e32 v1, s2, v0
	v_or_b32_e32 v3, 0x100, v0
	v_mov_b32_e32 v6, 0
	v_mov_b32_e32 v4, v0
	s_and_saveexec_b32 s1, vcc_lo
	s_cbranch_execz .LBB530_37
; %bb.36:
	v_mov_b32_e32 v2, 0
	s_delay_alu instid0(VALU_DEP_1) | instskip(NEXT) | instid1(VALU_DEP_1)
	v_lshlrev_b64 v[4:5], 1, v[1:2]
	v_add_co_u32 v4, s0, s6, v4
	s_delay_alu instid0(VALU_DEP_1)
	v_add_co_ci_u32_e64 v5, s0, s7, v5, s0
	global_load_u16 v6, v[4:5], off
	v_or_b32_e32 v4, 0x100, v0
.LBB530_37:
	s_or_b32 exec_lo, exec_lo, s1
	s_delay_alu instid0(SALU_CYCLE_1) | instskip(NEXT) | instid1(VALU_DEP_1)
	s_mov_b32 s1, exec_lo
	v_cmpx_gt_i32_e64 s8, v4
	s_cbranch_execz .LBB530_39
; %bb.38:
	v_dual_mov_b32 v8, 0 :: v_dual_add_nc_u32 v7, s2, v4
	v_add_nc_u32_e32 v4, 0x100, v4
	s_delay_alu instid0(VALU_DEP_2) | instskip(NEXT) | instid1(VALU_DEP_1)
	v_lshlrev_b64 v[7:8], 1, v[7:8]
	v_add_co_u32 v7, s0, s6, v7
	s_delay_alu instid0(VALU_DEP_1)
	v_add_co_ci_u32_e64 v8, s0, s7, v8, s0
	global_load_u16 v8, v[7:8], off
.LBB530_39:
	s_or_b32 exec_lo, exec_lo, s1
	v_mov_b32_e32 v9, 0
	v_mov_b32_e32 v11, 0
	s_mov_b32 s1, exec_lo
	v_cmpx_gt_i32_e64 s8, v4
	s_cbranch_execz .LBB530_41
; %bb.40:
	v_dual_mov_b32 v11, 0 :: v_dual_add_nc_u32 v10, s2, v4
	v_add_nc_u32_e32 v4, 0x100, v4
	s_delay_alu instid0(VALU_DEP_2) | instskip(NEXT) | instid1(VALU_DEP_1)
	v_lshlrev_b64 v[10:11], 1, v[10:11]
	v_add_co_u32 v10, s0, s6, v10
	s_delay_alu instid0(VALU_DEP_1)
	v_add_co_ci_u32_e64 v11, s0, s7, v11, s0
	global_load_u16 v11, v[10:11], off
.LBB530_41:
	s_or_b32 exec_lo, exec_lo, s1
	s_delay_alu instid0(SALU_CYCLE_1)
	s_mov_b32 s1, exec_lo
	v_cmpx_gt_i32_e64 s8, v4
	s_cbranch_execz .LBB530_43
; %bb.42:
	v_dual_mov_b32 v10, 0 :: v_dual_add_nc_u32 v9, s2, v4
	v_add_nc_u32_e32 v4, 0x100, v4
	s_delay_alu instid0(VALU_DEP_2) | instskip(NEXT) | instid1(VALU_DEP_1)
	v_lshlrev_b64 v[9:10], 1, v[9:10]
	v_add_co_u32 v9, s0, s6, v9
	s_delay_alu instid0(VALU_DEP_1)
	v_add_co_ci_u32_e64 v10, s0, s7, v10, s0
	global_load_u16 v9, v[9:10], off
.LBB530_43:
	s_or_b32 exec_lo, exec_lo, s1
	v_dual_mov_b32 v5, 0 :: v_dual_mov_b32 v10, 0
	s_mov_b32 s1, exec_lo
	v_cmpx_gt_i32_e64 s8, v4
	s_cbranch_execz .LBB530_45
; %bb.44:
	v_dual_mov_b32 v13, 0 :: v_dual_add_nc_u32 v12, s2, v4
	v_add_nc_u32_e32 v4, 0x100, v4
	s_delay_alu instid0(VALU_DEP_2) | instskip(NEXT) | instid1(VALU_DEP_1)
	v_lshlrev_b64 v[12:13], 1, v[12:13]
	v_add_co_u32 v12, s0, s6, v12
	s_delay_alu instid0(VALU_DEP_1)
	v_add_co_ci_u32_e64 v13, s0, s7, v13, s0
	global_load_u16 v10, v[12:13], off
.LBB530_45:
	s_or_b32 exec_lo, exec_lo, s1
	s_delay_alu instid0(SALU_CYCLE_1)
	s_mov_b32 s1, exec_lo
	v_cmpx_gt_i32_e64 s8, v4
	s_cbranch_execz .LBB530_47
; %bb.46:
	v_dual_mov_b32 v13, 0 :: v_dual_add_nc_u32 v12, s2, v4
	v_add_nc_u32_e32 v4, 0x100, v4
	s_delay_alu instid0(VALU_DEP_2) | instskip(NEXT) | instid1(VALU_DEP_1)
	v_lshlrev_b64 v[12:13], 1, v[12:13]
	v_add_co_u32 v12, s0, s6, v12
	s_delay_alu instid0(VALU_DEP_1)
	v_add_co_ci_u32_e64 v13, s0, s7, v13, s0
	global_load_u16 v5, v[12:13], off
.LBB530_47:
	s_or_b32 exec_lo, exec_lo, s1
	v_dual_mov_b32 v2, 0 :: v_dual_mov_b32 v7, 0
	s_mov_b32 s1, exec_lo
	v_cmpx_gt_i32_e64 s8, v4
	s_cbranch_execz .LBB530_49
; %bb.48:
	v_dual_mov_b32 v13, 0 :: v_dual_add_nc_u32 v12, s2, v4
	v_add_nc_u32_e32 v4, 0x100, v4
	s_delay_alu instid0(VALU_DEP_2) | instskip(NEXT) | instid1(VALU_DEP_1)
	v_lshlrev_b64 v[12:13], 1, v[12:13]
	v_add_co_u32 v12, s0, s6, v12
	s_delay_alu instid0(VALU_DEP_1) | instskip(SKIP_2) | instid1(SALU_CYCLE_1)
	v_add_co_ci_u32_e64 v13, s0, s7, v13, s0
	global_load_u16 v7, v[12:13], off
	s_or_b32 exec_lo, exec_lo, s1
	s_mov_b32 s1, exec_lo
	v_cmpx_gt_i32_e64 s8, v4
	s_cbranch_execz .LBB530_51
	s_branch .LBB530_50
.LBB530_49:
	s_or_b32 exec_lo, exec_lo, s1
	s_delay_alu instid0(SALU_CYCLE_1)
	s_mov_b32 s1, exec_lo
	v_cmpx_gt_i32_e64 s8, v4
	s_cbranch_execz .LBB530_51
.LBB530_50:
	v_dual_mov_b32 v13, 0 :: v_dual_add_nc_u32 v12, s2, v4
	s_delay_alu instid0(VALU_DEP_1) | instskip(NEXT) | instid1(VALU_DEP_1)
	v_lshlrev_b64 v[12:13], 1, v[12:13]
	v_add_co_u32 v12, s0, s6, v12
	s_delay_alu instid0(VALU_DEP_1)
	v_add_co_ci_u32_e64 v13, s0, s7, v13, s0
	global_load_u16 v2, v[12:13], off
.LBB530_51:
	s_or_b32 exec_lo, exec_lo, s1
	s_lshr_b32 s1, s9, 16
                                        ; implicit-def: $vgpr4
	s_and_saveexec_b32 s3, vcc_lo
	s_cbranch_execz .LBB530_57
; %bb.52:
	s_waitcnt vmcnt(0)
	v_lshlrev_b32_e32 v12, 16, v6
	v_mov_b32_e32 v4, s9
	s_mov_b32 s6, exec_lo
	s_delay_alu instid0(VALU_DEP_2)
	v_cmpx_o_f32_e32 v12, v12
	s_cbranch_execz .LBB530_56
; %bb.53:
	v_mov_b32_e32 v4, s1
	s_mov_b32 s7, exec_lo
	v_cmpx_neq_f32_e32 0x7f800000, v12
; %bb.54:
	v_cmp_eq_f32_e64 s0, 0xff800000, v12
	s_delay_alu instid0(VALU_DEP_1)
	v_cndmask_b32_e64 v4, v6, s10, s0
; %bb.55:
	s_or_b32 exec_lo, exec_lo, s7
.LBB530_56:
	s_delay_alu instid0(SALU_CYCLE_1)
	s_or_b32 exec_lo, exec_lo, s6
.LBB530_57:
	s_delay_alu instid0(SALU_CYCLE_1) | instskip(NEXT) | instid1(SALU_CYCLE_1)
	s_or_b32 exec_lo, exec_lo, s3
	s_mov_b32 s3, exec_lo
                                        ; implicit-def: $vgpr6
	v_cmpx_gt_i32_e64 s8, v3
	s_cbranch_execz .LBB530_63
; %bb.58:
	s_waitcnt vmcnt(0)
	v_lshlrev_b32_e32 v12, 16, v8
	v_mov_b32_e32 v6, s9
	s_mov_b32 s6, exec_lo
	s_delay_alu instid0(VALU_DEP_2)
	v_cmpx_o_f32_e32 v12, v12
	s_cbranch_execz .LBB530_62
; %bb.59:
	v_mov_b32_e32 v6, s1
	s_mov_b32 s7, exec_lo
	v_cmpx_neq_f32_e32 0x7f800000, v12
; %bb.60:
	v_cmp_eq_f32_e64 s0, 0xff800000, v12
	s_delay_alu instid0(VALU_DEP_1)
	v_cndmask_b32_e64 v6, v8, s10, s0
; %bb.61:
	s_or_b32 exec_lo, exec_lo, s7
.LBB530_62:
	s_delay_alu instid0(SALU_CYCLE_1)
	s_or_b32 exec_lo, exec_lo, s6
.LBB530_63:
	s_delay_alu instid0(SALU_CYCLE_1) | instskip(SKIP_2) | instid1(VALU_DEP_1)
	s_or_b32 exec_lo, exec_lo, s3
	s_waitcnt vmcnt(0)
	v_or_b32_e32 v8, 0x200, v0
	v_cmp_gt_i32_e64 s0, s8, v8
                                        ; implicit-def: $vgpr8
	s_delay_alu instid0(VALU_DEP_1)
	s_and_saveexec_b32 s3, s0
	s_cbranch_execz .LBB530_69
; %bb.64:
	v_lshlrev_b32_e32 v12, 16, v11
	v_mov_b32_e32 v8, s9
	s_mov_b32 s6, exec_lo
	s_delay_alu instid0(VALU_DEP_2)
	v_cmpx_o_f32_e32 v12, v12
	s_cbranch_execz .LBB530_68
; %bb.65:
	v_mov_b32_e32 v8, s1
	s_mov_b32 s7, exec_lo
	v_cmpx_neq_f32_e32 0x7f800000, v12
; %bb.66:
	v_cmp_eq_f32_e64 s0, 0xff800000, v12
	s_delay_alu instid0(VALU_DEP_1)
	v_cndmask_b32_e64 v8, v11, s10, s0
; %bb.67:
	s_or_b32 exec_lo, exec_lo, s7
.LBB530_68:
	s_delay_alu instid0(SALU_CYCLE_1)
	s_or_b32 exec_lo, exec_lo, s6
.LBB530_69:
	s_delay_alu instid0(SALU_CYCLE_1) | instskip(SKIP_1) | instid1(VALU_DEP_1)
	s_or_b32 exec_lo, exec_lo, s3
	v_or_b32_e32 v11, 0x300, v0
	v_cmp_gt_i32_e64 s0, s8, v11
                                        ; implicit-def: $vgpr11
	s_delay_alu instid0(VALU_DEP_1)
	s_and_saveexec_b32 s3, s0
	s_cbranch_execz .LBB530_75
; %bb.70:
	v_dual_mov_b32 v11, s9 :: v_dual_lshlrev_b32 v12, 16, v9
	s_mov_b32 s6, exec_lo
	s_delay_alu instid0(VALU_DEP_1)
	v_cmpx_o_f32_e32 v12, v12
	s_cbranch_execz .LBB530_74
; %bb.71:
	v_mov_b32_e32 v11, s1
	s_mov_b32 s7, exec_lo
	v_cmpx_neq_f32_e32 0x7f800000, v12
; %bb.72:
	v_cmp_eq_f32_e64 s0, 0xff800000, v12
	s_delay_alu instid0(VALU_DEP_1)
	v_cndmask_b32_e64 v11, v9, s10, s0
; %bb.73:
	s_or_b32 exec_lo, exec_lo, s7
.LBB530_74:
	s_delay_alu instid0(SALU_CYCLE_1)
	s_or_b32 exec_lo, exec_lo, s6
.LBB530_75:
	s_delay_alu instid0(SALU_CYCLE_1) | instskip(SKIP_1) | instid1(VALU_DEP_1)
	s_or_b32 exec_lo, exec_lo, s3
	v_or_b32_e32 v9, 0x400, v0
	v_cmp_gt_i32_e64 s0, s8, v9
                                        ; implicit-def: $vgpr9
	s_delay_alu instid0(VALU_DEP_1)
	s_and_saveexec_b32 s3, s0
	s_cbranch_execz .LBB530_81
; %bb.76:
	v_dual_mov_b32 v9, s9 :: v_dual_lshlrev_b32 v12, 16, v10
	s_mov_b32 s6, exec_lo
	s_delay_alu instid0(VALU_DEP_1)
	v_cmpx_o_f32_e32 v12, v12
	s_cbranch_execz .LBB530_80
; %bb.77:
	v_mov_b32_e32 v9, s1
	s_mov_b32 s7, exec_lo
	v_cmpx_neq_f32_e32 0x7f800000, v12
; %bb.78:
	v_cmp_eq_f32_e64 s0, 0xff800000, v12
	s_delay_alu instid0(VALU_DEP_1)
	v_cndmask_b32_e64 v9, v10, s10, s0
; %bb.79:
	s_or_b32 exec_lo, exec_lo, s7
.LBB530_80:
	s_delay_alu instid0(SALU_CYCLE_1)
	s_or_b32 exec_lo, exec_lo, s6
.LBB530_81:
	s_delay_alu instid0(SALU_CYCLE_1) | instskip(SKIP_1) | instid1(VALU_DEP_1)
	s_or_b32 exec_lo, exec_lo, s3
	v_or_b32_e32 v10, 0x500, v0
	v_cmp_gt_i32_e64 s0, s8, v10
                                        ; implicit-def: $vgpr10
	s_delay_alu instid0(VALU_DEP_1)
	s_and_saveexec_b32 s3, s0
	s_cbranch_execz .LBB530_87
; %bb.82:
	v_lshlrev_b32_e32 v12, 16, v5
	v_mov_b32_e32 v10, s9
	s_mov_b32 s6, exec_lo
	s_delay_alu instid0(VALU_DEP_2)
	v_cmpx_o_f32_e32 v12, v12
	s_cbranch_execz .LBB530_86
; %bb.83:
	v_mov_b32_e32 v10, s1
	s_mov_b32 s7, exec_lo
	v_cmpx_neq_f32_e32 0x7f800000, v12
; %bb.84:
	v_cmp_eq_f32_e64 s0, 0xff800000, v12
	s_delay_alu instid0(VALU_DEP_1)
	v_cndmask_b32_e64 v10, v5, s10, s0
; %bb.85:
	s_or_b32 exec_lo, exec_lo, s7
.LBB530_86:
	s_delay_alu instid0(SALU_CYCLE_1)
	s_or_b32 exec_lo, exec_lo, s6
.LBB530_87:
	s_delay_alu instid0(SALU_CYCLE_1) | instskip(SKIP_1) | instid1(VALU_DEP_1)
	s_or_b32 exec_lo, exec_lo, s3
	v_or_b32_e32 v5, 0x600, v0
	v_cmp_gt_i32_e64 s0, s8, v5
                                        ; implicit-def: $vgpr5
	s_delay_alu instid0(VALU_DEP_1)
	s_and_saveexec_b32 s3, s0
	s_cbranch_execz .LBB530_93
; %bb.88:
	v_dual_mov_b32 v5, s9 :: v_dual_lshlrev_b32 v12, 16, v7
	s_mov_b32 s6, exec_lo
	s_delay_alu instid0(VALU_DEP_1)
	v_cmpx_o_f32_e32 v12, v12
	s_cbranch_execz .LBB530_92
; %bb.89:
	v_mov_b32_e32 v5, s1
	s_mov_b32 s7, exec_lo
	v_cmpx_neq_f32_e32 0x7f800000, v12
; %bb.90:
	v_cmp_eq_f32_e64 s0, 0xff800000, v12
	s_delay_alu instid0(VALU_DEP_1)
	v_cndmask_b32_e64 v5, v7, s10, s0
; %bb.91:
	s_or_b32 exec_lo, exec_lo, s7
.LBB530_92:
	s_delay_alu instid0(SALU_CYCLE_1)
	s_or_b32 exec_lo, exec_lo, s6
.LBB530_93:
	s_delay_alu instid0(SALU_CYCLE_1) | instskip(SKIP_1) | instid1(VALU_DEP_1)
	s_or_b32 exec_lo, exec_lo, s3
	v_or_b32_e32 v7, 0x700, v0
	v_cmp_gt_i32_e64 s0, s8, v7
                                        ; implicit-def: $vgpr7
	s_delay_alu instid0(VALU_DEP_1)
	s_and_saveexec_b32 s3, s0
	s_cbranch_execz .LBB530_108
; %bb.94:
	v_dual_mov_b32 v7, s9 :: v_dual_lshlrev_b32 v12, 16, v2
	s_mov_b32 s6, exec_lo
	s_delay_alu instid0(VALU_DEP_1)
	v_cmpx_o_f32_e32 v12, v12
	s_cbranch_execz .LBB530_98
; %bb.95:
	v_mov_b32_e32 v7, s1
	s_mov_b32 s1, exec_lo
	v_cmpx_neq_f32_e32 0x7f800000, v12
; %bb.96:
	v_cmp_eq_f32_e64 s0, 0xff800000, v12
	s_delay_alu instid0(VALU_DEP_1)
	v_cndmask_b32_e64 v7, v2, s10, s0
; %bb.97:
	s_or_b32 exec_lo, exec_lo, s1
.LBB530_98:
	s_delay_alu instid0(SALU_CYCLE_1) | instskip(NEXT) | instid1(SALU_CYCLE_1)
	s_or_b32 exec_lo, exec_lo, s6
	s_or_b32 exec_lo, exec_lo, s3
	s_and_saveexec_b32 s0, vcc_lo
	s_delay_alu instid0(SALU_CYCLE_1)
	s_xor_b32 s0, exec_lo, s0
	s_cbranch_execnz .LBB530_109
.LBB530_99:
	s_or_b32 exec_lo, exec_lo, s0
	s_delay_alu instid0(SALU_CYCLE_1)
	s_mov_b32 s0, exec_lo
	v_cmpx_gt_i32_e64 s8, v0
	s_cbranch_execz .LBB530_110
.LBB530_100:
	v_dual_mov_b32 v2, 0 :: v_dual_add_nc_u32 v1, s2, v0
	v_add_nc_u32_e32 v0, 0x100, v0
	s_delay_alu instid0(VALU_DEP_2) | instskip(NEXT) | instid1(VALU_DEP_1)
	v_lshlrev_b64 v[1:2], 1, v[1:2]
	v_add_co_u32 v1, vcc_lo, s4, v1
	s_delay_alu instid0(VALU_DEP_2) | instskip(SKIP_2) | instid1(SALU_CYCLE_1)
	v_add_co_ci_u32_e32 v2, vcc_lo, s5, v2, vcc_lo
	global_store_b16 v[1:2], v6, off
	s_or_b32 exec_lo, exec_lo, s0
	s_mov_b32 s0, exec_lo
	v_cmpx_gt_i32_e64 s8, v0
	s_cbranch_execnz .LBB530_111
.LBB530_101:
	s_or_b32 exec_lo, exec_lo, s0
	s_delay_alu instid0(SALU_CYCLE_1)
	s_mov_b32 s0, exec_lo
	v_cmpx_gt_i32_e64 s8, v0
	s_cbranch_execz .LBB530_112
.LBB530_102:
	v_dual_mov_b32 v2, 0 :: v_dual_add_nc_u32 v1, s2, v0
	v_add_nc_u32_e32 v0, 0x100, v0
	s_delay_alu instid0(VALU_DEP_2) | instskip(NEXT) | instid1(VALU_DEP_1)
	v_lshlrev_b64 v[1:2], 1, v[1:2]
	v_add_co_u32 v1, vcc_lo, s4, v1
	s_delay_alu instid0(VALU_DEP_2) | instskip(SKIP_2) | instid1(SALU_CYCLE_1)
	v_add_co_ci_u32_e32 v2, vcc_lo, s5, v2, vcc_lo
	global_store_b16 v[1:2], v11, off
	s_or_b32 exec_lo, exec_lo, s0
	s_mov_b32 s0, exec_lo
	v_cmpx_gt_i32_e64 s8, v0
	s_cbranch_execnz .LBB530_113
.LBB530_103:
	s_or_b32 exec_lo, exec_lo, s0
	s_delay_alu instid0(SALU_CYCLE_1)
	s_mov_b32 s0, exec_lo
	v_cmpx_gt_i32_e64 s8, v0
	s_cbranch_execz .LBB530_114
.LBB530_104:
	v_dual_mov_b32 v2, 0 :: v_dual_add_nc_u32 v1, s2, v0
	v_add_nc_u32_e32 v0, 0x100, v0
	s_delay_alu instid0(VALU_DEP_2) | instskip(NEXT) | instid1(VALU_DEP_1)
	v_lshlrev_b64 v[1:2], 1, v[1:2]
	v_add_co_u32 v1, vcc_lo, s4, v1
	s_delay_alu instid0(VALU_DEP_2) | instskip(SKIP_2) | instid1(SALU_CYCLE_1)
	v_add_co_ci_u32_e32 v2, vcc_lo, s5, v2, vcc_lo
	global_store_b16 v[1:2], v10, off
	s_or_b32 exec_lo, exec_lo, s0
	s_mov_b32 s0, exec_lo
	v_cmpx_gt_i32_e64 s8, v0
	s_cbranch_execnz .LBB530_115
.LBB530_105:
	s_or_b32 exec_lo, exec_lo, s0
	s_delay_alu instid0(SALU_CYCLE_1)
	s_mov_b32 s0, exec_lo
	v_cmpx_gt_i32_e64 s8, v0
	s_cbranch_execz .LBB530_107
.LBB530_106:
	v_dual_mov_b32 v1, 0 :: v_dual_add_nc_u32 v0, s2, v0
	s_delay_alu instid0(VALU_DEP_1) | instskip(NEXT) | instid1(VALU_DEP_1)
	v_lshlrev_b64 v[0:1], 1, v[0:1]
	v_add_co_u32 v0, vcc_lo, s4, v0
	s_delay_alu instid0(VALU_DEP_2)
	v_add_co_ci_u32_e32 v1, vcc_lo, s5, v1, vcc_lo
	global_store_b16 v[0:1], v7, off
.LBB530_107:
	s_nop 0
	s_sendmsg sendmsg(MSG_DEALLOC_VGPRS)
	s_endpgm
.LBB530_108:
	s_or_b32 exec_lo, exec_lo, s3
	s_and_saveexec_b32 s0, vcc_lo
	s_delay_alu instid0(SALU_CYCLE_1)
	s_xor_b32 s0, exec_lo, s0
	s_cbranch_execz .LBB530_99
.LBB530_109:
	v_mov_b32_e32 v2, 0
	s_delay_alu instid0(VALU_DEP_1) | instskip(NEXT) | instid1(VALU_DEP_1)
	v_lshlrev_b64 v[0:1], 1, v[1:2]
	v_add_co_u32 v12, vcc_lo, s4, v0
	s_delay_alu instid0(VALU_DEP_2) | instskip(SKIP_3) | instid1(SALU_CYCLE_1)
	v_add_co_ci_u32_e32 v13, vcc_lo, s5, v1, vcc_lo
	v_mov_b32_e32 v0, v3
	global_store_b16 v[12:13], v4, off
	s_or_b32 exec_lo, exec_lo, s0
	s_mov_b32 s0, exec_lo
	v_cmpx_gt_i32_e64 s8, v0
	s_cbranch_execnz .LBB530_100
.LBB530_110:
	s_or_b32 exec_lo, exec_lo, s0
	s_delay_alu instid0(SALU_CYCLE_1)
	s_mov_b32 s0, exec_lo
	v_cmpx_gt_i32_e64 s8, v0
	s_cbranch_execz .LBB530_101
.LBB530_111:
	v_dual_mov_b32 v2, 0 :: v_dual_add_nc_u32 v1, s2, v0
	v_add_nc_u32_e32 v0, 0x100, v0
	s_delay_alu instid0(VALU_DEP_2) | instskip(NEXT) | instid1(VALU_DEP_1)
	v_lshlrev_b64 v[1:2], 1, v[1:2]
	v_add_co_u32 v1, vcc_lo, s4, v1
	s_delay_alu instid0(VALU_DEP_2) | instskip(SKIP_2) | instid1(SALU_CYCLE_1)
	v_add_co_ci_u32_e32 v2, vcc_lo, s5, v2, vcc_lo
	global_store_b16 v[1:2], v8, off
	s_or_b32 exec_lo, exec_lo, s0
	s_mov_b32 s0, exec_lo
	v_cmpx_gt_i32_e64 s8, v0
	s_cbranch_execnz .LBB530_102
.LBB530_112:
	s_or_b32 exec_lo, exec_lo, s0
	s_delay_alu instid0(SALU_CYCLE_1)
	s_mov_b32 s0, exec_lo
	v_cmpx_gt_i32_e64 s8, v0
	s_cbranch_execz .LBB530_103
.LBB530_113:
	v_dual_mov_b32 v2, 0 :: v_dual_add_nc_u32 v1, s2, v0
	v_add_nc_u32_e32 v0, 0x100, v0
	s_delay_alu instid0(VALU_DEP_2) | instskip(NEXT) | instid1(VALU_DEP_1)
	v_lshlrev_b64 v[1:2], 1, v[1:2]
	v_add_co_u32 v1, vcc_lo, s4, v1
	s_delay_alu instid0(VALU_DEP_2) | instskip(SKIP_2) | instid1(SALU_CYCLE_1)
	v_add_co_ci_u32_e32 v2, vcc_lo, s5, v2, vcc_lo
	global_store_b16 v[1:2], v9, off
	s_or_b32 exec_lo, exec_lo, s0
	s_mov_b32 s0, exec_lo
	v_cmpx_gt_i32_e64 s8, v0
	s_cbranch_execnz .LBB530_104
.LBB530_114:
	s_or_b32 exec_lo, exec_lo, s0
	s_delay_alu instid0(SALU_CYCLE_1)
	s_mov_b32 s0, exec_lo
	v_cmpx_gt_i32_e64 s8, v0
	s_cbranch_execz .LBB530_105
.LBB530_115:
	v_dual_mov_b32 v2, 0 :: v_dual_add_nc_u32 v1, s2, v0
	v_add_nc_u32_e32 v0, 0x100, v0
	s_delay_alu instid0(VALU_DEP_2) | instskip(NEXT) | instid1(VALU_DEP_1)
	v_lshlrev_b64 v[1:2], 1, v[1:2]
	v_add_co_u32 v1, vcc_lo, s4, v1
	s_delay_alu instid0(VALU_DEP_2) | instskip(SKIP_2) | instid1(SALU_CYCLE_1)
	v_add_co_ci_u32_e32 v2, vcc_lo, s5, v2, vcc_lo
	global_store_b16 v[1:2], v5, off
	s_or_b32 exec_lo, exec_lo, s0
	s_mov_b32 s0, exec_lo
	v_cmpx_gt_i32_e64 s8, v0
	s_cbranch_execnz .LBB530_106
	s_branch .LBB530_107
	.section	.rodata,"a",@progbits
	.p2align	6, 0x0
	.amdhsa_kernel _ZN2at6native29vectorized_elementwise_kernelILi16EZZZNS0_22nan_to_num_kernel_cudaERNS_18TensorIteratorBaseESt8optionalIdES5_S5_ENKUlvE0_clEvENKUlvE2_clEvEUlN3c108BFloat16EE_St5arrayIPcLm2EEEEviT0_T1_
		.amdhsa_group_segment_fixed_size 0
		.amdhsa_private_segment_fixed_size 0
		.amdhsa_kernarg_size 32
		.amdhsa_user_sgpr_count 15
		.amdhsa_user_sgpr_dispatch_ptr 0
		.amdhsa_user_sgpr_queue_ptr 0
		.amdhsa_user_sgpr_kernarg_segment_ptr 1
		.amdhsa_user_sgpr_dispatch_id 0
		.amdhsa_user_sgpr_private_segment_size 0
		.amdhsa_wavefront_size32 1
		.amdhsa_uses_dynamic_stack 0
		.amdhsa_enable_private_segment 0
		.amdhsa_system_sgpr_workgroup_id_x 1
		.amdhsa_system_sgpr_workgroup_id_y 0
		.amdhsa_system_sgpr_workgroup_id_z 0
		.amdhsa_system_sgpr_workgroup_info 0
		.amdhsa_system_vgpr_workitem_id 0
		.amdhsa_next_free_vgpr 14
		.amdhsa_next_free_sgpr 16
		.amdhsa_reserve_vcc 1
		.amdhsa_float_round_mode_32 0
		.amdhsa_float_round_mode_16_64 0
		.amdhsa_float_denorm_mode_32 3
		.amdhsa_float_denorm_mode_16_64 3
		.amdhsa_dx10_clamp 1
		.amdhsa_ieee_mode 1
		.amdhsa_fp16_overflow 0
		.amdhsa_workgroup_processor_mode 1
		.amdhsa_memory_ordered 1
		.amdhsa_forward_progress 0
		.amdhsa_shared_vgpr_count 0
		.amdhsa_exception_fp_ieee_invalid_op 0
		.amdhsa_exception_fp_denorm_src 0
		.amdhsa_exception_fp_ieee_div_zero 0
		.amdhsa_exception_fp_ieee_overflow 0
		.amdhsa_exception_fp_ieee_underflow 0
		.amdhsa_exception_fp_ieee_inexact 0
		.amdhsa_exception_int_div_zero 0
	.end_amdhsa_kernel
	.section	.text._ZN2at6native29vectorized_elementwise_kernelILi16EZZZNS0_22nan_to_num_kernel_cudaERNS_18TensorIteratorBaseESt8optionalIdES5_S5_ENKUlvE0_clEvENKUlvE2_clEvEUlN3c108BFloat16EE_St5arrayIPcLm2EEEEviT0_T1_,"axG",@progbits,_ZN2at6native29vectorized_elementwise_kernelILi16EZZZNS0_22nan_to_num_kernel_cudaERNS_18TensorIteratorBaseESt8optionalIdES5_S5_ENKUlvE0_clEvENKUlvE2_clEvEUlN3c108BFloat16EE_St5arrayIPcLm2EEEEviT0_T1_,comdat
.Lfunc_end530:
	.size	_ZN2at6native29vectorized_elementwise_kernelILi16EZZZNS0_22nan_to_num_kernel_cudaERNS_18TensorIteratorBaseESt8optionalIdES5_S5_ENKUlvE0_clEvENKUlvE2_clEvEUlN3c108BFloat16EE_St5arrayIPcLm2EEEEviT0_T1_, .Lfunc_end530-_ZN2at6native29vectorized_elementwise_kernelILi16EZZZNS0_22nan_to_num_kernel_cudaERNS_18TensorIteratorBaseESt8optionalIdES5_S5_ENKUlvE0_clEvENKUlvE2_clEvEUlN3c108BFloat16EE_St5arrayIPcLm2EEEEviT0_T1_
                                        ; -- End function
	.section	.AMDGPU.csdata,"",@progbits
; Kernel info:
; codeLenInByte = 3084
; NumSgprs: 18
; NumVgprs: 14
; ScratchSize: 0
; MemoryBound: 0
; FloatMode: 240
; IeeeMode: 1
; LDSByteSize: 0 bytes/workgroup (compile time only)
; SGPRBlocks: 2
; VGPRBlocks: 1
; NumSGPRsForWavesPerEU: 18
; NumVGPRsForWavesPerEU: 14
; Occupancy: 16
; WaveLimiterHint : 0
; COMPUTE_PGM_RSRC2:SCRATCH_EN: 0
; COMPUTE_PGM_RSRC2:USER_SGPR: 15
; COMPUTE_PGM_RSRC2:TRAP_HANDLER: 0
; COMPUTE_PGM_RSRC2:TGID_X_EN: 1
; COMPUTE_PGM_RSRC2:TGID_Y_EN: 0
; COMPUTE_PGM_RSRC2:TGID_Z_EN: 0
; COMPUTE_PGM_RSRC2:TIDIG_COMP_CNT: 0
	.section	.text._ZN2at6native29vectorized_elementwise_kernelILi8EZZZNS0_22nan_to_num_kernel_cudaERNS_18TensorIteratorBaseESt8optionalIdES5_S5_ENKUlvE0_clEvENKUlvE2_clEvEUlN3c108BFloat16EE_St5arrayIPcLm2EEEEviT0_T1_,"axG",@progbits,_ZN2at6native29vectorized_elementwise_kernelILi8EZZZNS0_22nan_to_num_kernel_cudaERNS_18TensorIteratorBaseESt8optionalIdES5_S5_ENKUlvE0_clEvENKUlvE2_clEvEUlN3c108BFloat16EE_St5arrayIPcLm2EEEEviT0_T1_,comdat
	.globl	_ZN2at6native29vectorized_elementwise_kernelILi8EZZZNS0_22nan_to_num_kernel_cudaERNS_18TensorIteratorBaseESt8optionalIdES5_S5_ENKUlvE0_clEvENKUlvE2_clEvEUlN3c108BFloat16EE_St5arrayIPcLm2EEEEviT0_T1_ ; -- Begin function _ZN2at6native29vectorized_elementwise_kernelILi8EZZZNS0_22nan_to_num_kernel_cudaERNS_18TensorIteratorBaseESt8optionalIdES5_S5_ENKUlvE0_clEvENKUlvE2_clEvEUlN3c108BFloat16EE_St5arrayIPcLm2EEEEviT0_T1_
	.p2align	8
	.type	_ZN2at6native29vectorized_elementwise_kernelILi8EZZZNS0_22nan_to_num_kernel_cudaERNS_18TensorIteratorBaseESt8optionalIdES5_S5_ENKUlvE0_clEvENKUlvE2_clEvEUlN3c108BFloat16EE_St5arrayIPcLm2EEEEviT0_T1_,@function
_ZN2at6native29vectorized_elementwise_kernelILi8EZZZNS0_22nan_to_num_kernel_cudaERNS_18TensorIteratorBaseESt8optionalIdES5_S5_ENKUlvE0_clEvENKUlvE2_clEvEUlN3c108BFloat16EE_St5arrayIPcLm2EEEEviT0_T1_: ; @_ZN2at6native29vectorized_elementwise_kernelILi8EZZZNS0_22nan_to_num_kernel_cudaERNS_18TensorIteratorBaseESt8optionalIdES5_S5_ENKUlvE0_clEvENKUlvE2_clEvEUlN3c108BFloat16EE_St5arrayIPcLm2EEEEviT0_T1_
; %bb.0:
	s_clause 0x2
	s_load_b64 s[8:9], s[0:1], 0x0
	s_load_b32 s10, s[0:1], 0x8
	s_load_b128 s[4:7], s[0:1], 0x10
	s_lshl_b32 s2, s15, 11
	s_mov_b32 s0, -1
	s_waitcnt lgkmcnt(0)
	s_sub_i32 s8, s8, s2
	s_delay_alu instid0(SALU_CYCLE_1)
	s_cmpk_gt_i32 s8, 0x7ff
	s_cbranch_scc0 .LBB531_34
; %bb.1:
	s_ashr_i32 s3, s2, 31
	v_dual_mov_b32 v6, s9 :: v_dual_lshlrev_b32 v5, 4, v0
	s_lshl_b64 s[0:1], s[2:3], 1
	s_lshr_b32 s3, s9, 16
	s_add_u32 s12, s6, s0
	s_addc_u32 s13, s7, s1
	s_mov_b32 s11, exec_lo
	global_load_b128 v[1:4], v5, s[12:13]
	s_waitcnt vmcnt(0)
	v_lshlrev_b32_e32 v7, 16, v1
	s_delay_alu instid0(VALU_DEP_1)
	v_cmpx_o_f32_e32 v7, v7
	s_cbranch_execz .LBB531_5
; %bb.2:
	v_mov_b32_e32 v6, s3
	s_mov_b32 s12, exec_lo
	v_cmpx_neq_f32_e32 0x7f800000, v7
; %bb.3:
	v_cmp_eq_f32_e32 vcc_lo, 0xff800000, v7
	v_cndmask_b32_e64 v6, v1, s10, vcc_lo
; %bb.4:
	s_or_b32 exec_lo, exec_lo, s12
.LBB531_5:
	s_delay_alu instid0(SALU_CYCLE_1) | instskip(SKIP_2) | instid1(VALU_DEP_1)
	s_or_b32 exec_lo, exec_lo, s11
	v_dual_mov_b32 v7, s9 :: v_dual_and_b32 v8, 0xffff0000, v1
	s_mov_b32 s11, exec_lo
	v_cmpx_o_f32_e32 v8, v8
	s_cbranch_execz .LBB531_9
; %bb.6:
	v_mov_b32_e32 v7, s3
	s_mov_b32 s12, exec_lo
	v_cmpx_neq_f32_e32 0x7f800000, v8
; %bb.7:
	v_lshrrev_b32_e32 v1, 16, v1
	v_cmp_eq_f32_e32 vcc_lo, 0xff800000, v8
	s_delay_alu instid0(VALU_DEP_2)
	v_cndmask_b32_e64 v7, v1, s10, vcc_lo
; %bb.8:
	s_or_b32 exec_lo, exec_lo, s12
.LBB531_9:
	s_delay_alu instid0(SALU_CYCLE_1) | instskip(SKIP_2) | instid1(VALU_DEP_1)
	s_or_b32 exec_lo, exec_lo, s11
	v_dual_mov_b32 v1, s9 :: v_dual_lshlrev_b32 v8, 16, v2
	s_mov_b32 s11, exec_lo
	v_cmpx_o_f32_e32 v8, v8
	s_cbranch_execz .LBB531_13
; %bb.10:
	v_mov_b32_e32 v1, s3
	s_mov_b32 s12, exec_lo
	v_cmpx_neq_f32_e32 0x7f800000, v8
; %bb.11:
	v_and_b32_e32 v1, 0xffff, v2
	v_cmp_eq_f32_e32 vcc_lo, 0xff800000, v8
	s_delay_alu instid0(VALU_DEP_2)
	v_cndmask_b32_e64 v1, v1, s10, vcc_lo
; %bb.12:
	s_or_b32 exec_lo, exec_lo, s12
.LBB531_13:
	s_delay_alu instid0(SALU_CYCLE_1) | instskip(SKIP_2) | instid1(VALU_DEP_1)
	s_or_b32 exec_lo, exec_lo, s11
	v_dual_mov_b32 v8, s9 :: v_dual_and_b32 v9, 0xffff0000, v2
	s_mov_b32 s11, exec_lo
	v_cmpx_o_f32_e32 v9, v9
	s_cbranch_execz .LBB531_17
; %bb.14:
	v_mov_b32_e32 v8, s3
	s_mov_b32 s12, exec_lo
	v_cmpx_neq_f32_e32 0x7f800000, v9
; %bb.15:
	v_lshrrev_b32_e32 v2, 16, v2
	v_cmp_eq_f32_e32 vcc_lo, 0xff800000, v9
	s_delay_alu instid0(VALU_DEP_2)
	v_cndmask_b32_e64 v8, v2, s10, vcc_lo
; %bb.16:
	s_or_b32 exec_lo, exec_lo, s12
.LBB531_17:
	s_delay_alu instid0(SALU_CYCLE_1) | instskip(SKIP_2) | instid1(VALU_DEP_1)
	s_or_b32 exec_lo, exec_lo, s11
	v_dual_mov_b32 v2, s9 :: v_dual_lshlrev_b32 v9, 16, v3
	s_mov_b32 s11, exec_lo
	v_cmpx_o_f32_e32 v9, v9
	s_cbranch_execz .LBB531_21
; %bb.18:
	v_mov_b32_e32 v2, s3
	s_mov_b32 s12, exec_lo
	v_cmpx_neq_f32_e32 0x7f800000, v9
; %bb.19:
	v_and_b32_e32 v2, 0xffff, v3
	v_cmp_eq_f32_e32 vcc_lo, 0xff800000, v9
	s_delay_alu instid0(VALU_DEP_2)
	v_cndmask_b32_e64 v2, v2, s10, vcc_lo
; %bb.20:
	s_or_b32 exec_lo, exec_lo, s12
.LBB531_21:
	;; [unrolled: 36-line block ×3, first 2 shown]
	s_delay_alu instid0(SALU_CYCLE_1) | instskip(SKIP_2) | instid1(VALU_DEP_1)
	s_or_b32 exec_lo, exec_lo, s11
	v_dual_mov_b32 v10, s9 :: v_dual_and_b32 v11, 0xffff0000, v4
	s_mov_b32 s11, exec_lo
	v_cmpx_o_f32_e32 v11, v11
	s_cbranch_execz .LBB531_33
; %bb.30:
	v_mov_b32_e32 v10, s3
	s_mov_b32 s3, exec_lo
	v_cmpx_neq_f32_e32 0x7f800000, v11
; %bb.31:
	v_lshrrev_b32_e32 v4, 16, v4
	v_cmp_eq_f32_e32 vcc_lo, 0xff800000, v11
	s_delay_alu instid0(VALU_DEP_2)
	v_cndmask_b32_e64 v10, v4, s10, vcc_lo
; %bb.32:
	s_or_b32 exec_lo, exec_lo, s3
.LBB531_33:
	s_delay_alu instid0(SALU_CYCLE_1) | instskip(NEXT) | instid1(VALU_DEP_1)
	s_or_b32 exec_lo, exec_lo, s11
	v_perm_b32 v4, v10, v3, 0x5040100
	v_perm_b32 v3, v9, v2, 0x5040100
	;; [unrolled: 1-line block ×4, first 2 shown]
	s_add_u32 s12, s4, s0
	s_addc_u32 s13, s5, s1
	s_mov_b32 s0, 0
	global_store_b128 v5, v[1:4], s[12:13]
.LBB531_34:
	s_and_b32 vcc_lo, exec_lo, s0
	s_cbranch_vccz .LBB531_107
; %bb.35:
	v_cmp_gt_i32_e32 vcc_lo, s8, v0
	v_mov_b32_e32 v8, 0
	v_or_b32_e32 v1, s2, v0
	v_or_b32_e32 v3, 0x100, v0
	v_mov_b32_e32 v6, 0
	v_mov_b32_e32 v4, v0
	s_and_saveexec_b32 s1, vcc_lo
	s_cbranch_execz .LBB531_37
; %bb.36:
	v_mov_b32_e32 v2, 0
	s_delay_alu instid0(VALU_DEP_1) | instskip(NEXT) | instid1(VALU_DEP_1)
	v_lshlrev_b64 v[4:5], 1, v[1:2]
	v_add_co_u32 v4, s0, s6, v4
	s_delay_alu instid0(VALU_DEP_1)
	v_add_co_ci_u32_e64 v5, s0, s7, v5, s0
	global_load_u16 v6, v[4:5], off
	v_or_b32_e32 v4, 0x100, v0
.LBB531_37:
	s_or_b32 exec_lo, exec_lo, s1
	s_delay_alu instid0(SALU_CYCLE_1) | instskip(NEXT) | instid1(VALU_DEP_1)
	s_mov_b32 s1, exec_lo
	v_cmpx_gt_i32_e64 s8, v4
	s_cbranch_execz .LBB531_39
; %bb.38:
	v_dual_mov_b32 v8, 0 :: v_dual_add_nc_u32 v7, s2, v4
	v_add_nc_u32_e32 v4, 0x100, v4
	s_delay_alu instid0(VALU_DEP_2) | instskip(NEXT) | instid1(VALU_DEP_1)
	v_lshlrev_b64 v[7:8], 1, v[7:8]
	v_add_co_u32 v7, s0, s6, v7
	s_delay_alu instid0(VALU_DEP_1)
	v_add_co_ci_u32_e64 v8, s0, s7, v8, s0
	global_load_u16 v8, v[7:8], off
.LBB531_39:
	s_or_b32 exec_lo, exec_lo, s1
	v_mov_b32_e32 v9, 0
	v_mov_b32_e32 v11, 0
	s_mov_b32 s1, exec_lo
	v_cmpx_gt_i32_e64 s8, v4
	s_cbranch_execz .LBB531_41
; %bb.40:
	v_dual_mov_b32 v11, 0 :: v_dual_add_nc_u32 v10, s2, v4
	v_add_nc_u32_e32 v4, 0x100, v4
	s_delay_alu instid0(VALU_DEP_2) | instskip(NEXT) | instid1(VALU_DEP_1)
	v_lshlrev_b64 v[10:11], 1, v[10:11]
	v_add_co_u32 v10, s0, s6, v10
	s_delay_alu instid0(VALU_DEP_1)
	v_add_co_ci_u32_e64 v11, s0, s7, v11, s0
	global_load_u16 v11, v[10:11], off
.LBB531_41:
	s_or_b32 exec_lo, exec_lo, s1
	s_delay_alu instid0(SALU_CYCLE_1)
	s_mov_b32 s1, exec_lo
	v_cmpx_gt_i32_e64 s8, v4
	s_cbranch_execz .LBB531_43
; %bb.42:
	v_dual_mov_b32 v10, 0 :: v_dual_add_nc_u32 v9, s2, v4
	v_add_nc_u32_e32 v4, 0x100, v4
	s_delay_alu instid0(VALU_DEP_2) | instskip(NEXT) | instid1(VALU_DEP_1)
	v_lshlrev_b64 v[9:10], 1, v[9:10]
	v_add_co_u32 v9, s0, s6, v9
	s_delay_alu instid0(VALU_DEP_1)
	v_add_co_ci_u32_e64 v10, s0, s7, v10, s0
	global_load_u16 v9, v[9:10], off
.LBB531_43:
	s_or_b32 exec_lo, exec_lo, s1
	v_dual_mov_b32 v5, 0 :: v_dual_mov_b32 v10, 0
	s_mov_b32 s1, exec_lo
	v_cmpx_gt_i32_e64 s8, v4
	s_cbranch_execz .LBB531_45
; %bb.44:
	v_dual_mov_b32 v13, 0 :: v_dual_add_nc_u32 v12, s2, v4
	v_add_nc_u32_e32 v4, 0x100, v4
	s_delay_alu instid0(VALU_DEP_2) | instskip(NEXT) | instid1(VALU_DEP_1)
	v_lshlrev_b64 v[12:13], 1, v[12:13]
	v_add_co_u32 v12, s0, s6, v12
	s_delay_alu instid0(VALU_DEP_1)
	v_add_co_ci_u32_e64 v13, s0, s7, v13, s0
	global_load_u16 v10, v[12:13], off
.LBB531_45:
	s_or_b32 exec_lo, exec_lo, s1
	s_delay_alu instid0(SALU_CYCLE_1)
	s_mov_b32 s1, exec_lo
	v_cmpx_gt_i32_e64 s8, v4
	s_cbranch_execz .LBB531_47
; %bb.46:
	v_dual_mov_b32 v13, 0 :: v_dual_add_nc_u32 v12, s2, v4
	v_add_nc_u32_e32 v4, 0x100, v4
	s_delay_alu instid0(VALU_DEP_2) | instskip(NEXT) | instid1(VALU_DEP_1)
	v_lshlrev_b64 v[12:13], 1, v[12:13]
	v_add_co_u32 v12, s0, s6, v12
	s_delay_alu instid0(VALU_DEP_1)
	v_add_co_ci_u32_e64 v13, s0, s7, v13, s0
	global_load_u16 v5, v[12:13], off
.LBB531_47:
	s_or_b32 exec_lo, exec_lo, s1
	v_dual_mov_b32 v2, 0 :: v_dual_mov_b32 v7, 0
	s_mov_b32 s1, exec_lo
	v_cmpx_gt_i32_e64 s8, v4
	s_cbranch_execz .LBB531_49
; %bb.48:
	v_dual_mov_b32 v13, 0 :: v_dual_add_nc_u32 v12, s2, v4
	v_add_nc_u32_e32 v4, 0x100, v4
	s_delay_alu instid0(VALU_DEP_2) | instskip(NEXT) | instid1(VALU_DEP_1)
	v_lshlrev_b64 v[12:13], 1, v[12:13]
	v_add_co_u32 v12, s0, s6, v12
	s_delay_alu instid0(VALU_DEP_1) | instskip(SKIP_2) | instid1(SALU_CYCLE_1)
	v_add_co_ci_u32_e64 v13, s0, s7, v13, s0
	global_load_u16 v7, v[12:13], off
	s_or_b32 exec_lo, exec_lo, s1
	s_mov_b32 s1, exec_lo
	v_cmpx_gt_i32_e64 s8, v4
	s_cbranch_execz .LBB531_51
	s_branch .LBB531_50
.LBB531_49:
	s_or_b32 exec_lo, exec_lo, s1
	s_delay_alu instid0(SALU_CYCLE_1)
	s_mov_b32 s1, exec_lo
	v_cmpx_gt_i32_e64 s8, v4
	s_cbranch_execz .LBB531_51
.LBB531_50:
	v_dual_mov_b32 v13, 0 :: v_dual_add_nc_u32 v12, s2, v4
	s_delay_alu instid0(VALU_DEP_1) | instskip(NEXT) | instid1(VALU_DEP_1)
	v_lshlrev_b64 v[12:13], 1, v[12:13]
	v_add_co_u32 v12, s0, s6, v12
	s_delay_alu instid0(VALU_DEP_1)
	v_add_co_ci_u32_e64 v13, s0, s7, v13, s0
	global_load_u16 v2, v[12:13], off
.LBB531_51:
	s_or_b32 exec_lo, exec_lo, s1
	s_lshr_b32 s1, s9, 16
                                        ; implicit-def: $vgpr4
	s_and_saveexec_b32 s3, vcc_lo
	s_cbranch_execz .LBB531_57
; %bb.52:
	s_waitcnt vmcnt(0)
	v_lshlrev_b32_e32 v12, 16, v6
	v_mov_b32_e32 v4, s9
	s_mov_b32 s6, exec_lo
	s_delay_alu instid0(VALU_DEP_2)
	v_cmpx_o_f32_e32 v12, v12
	s_cbranch_execz .LBB531_56
; %bb.53:
	v_mov_b32_e32 v4, s1
	s_mov_b32 s7, exec_lo
	v_cmpx_neq_f32_e32 0x7f800000, v12
; %bb.54:
	v_cmp_eq_f32_e64 s0, 0xff800000, v12
	s_delay_alu instid0(VALU_DEP_1)
	v_cndmask_b32_e64 v4, v6, s10, s0
; %bb.55:
	s_or_b32 exec_lo, exec_lo, s7
.LBB531_56:
	s_delay_alu instid0(SALU_CYCLE_1)
	s_or_b32 exec_lo, exec_lo, s6
.LBB531_57:
	s_delay_alu instid0(SALU_CYCLE_1) | instskip(NEXT) | instid1(SALU_CYCLE_1)
	s_or_b32 exec_lo, exec_lo, s3
	s_mov_b32 s3, exec_lo
                                        ; implicit-def: $vgpr6
	v_cmpx_gt_i32_e64 s8, v3
	s_cbranch_execz .LBB531_63
; %bb.58:
	s_waitcnt vmcnt(0)
	v_lshlrev_b32_e32 v12, 16, v8
	v_mov_b32_e32 v6, s9
	s_mov_b32 s6, exec_lo
	s_delay_alu instid0(VALU_DEP_2)
	v_cmpx_o_f32_e32 v12, v12
	s_cbranch_execz .LBB531_62
; %bb.59:
	v_mov_b32_e32 v6, s1
	s_mov_b32 s7, exec_lo
	v_cmpx_neq_f32_e32 0x7f800000, v12
; %bb.60:
	v_cmp_eq_f32_e64 s0, 0xff800000, v12
	s_delay_alu instid0(VALU_DEP_1)
	v_cndmask_b32_e64 v6, v8, s10, s0
; %bb.61:
	s_or_b32 exec_lo, exec_lo, s7
.LBB531_62:
	s_delay_alu instid0(SALU_CYCLE_1)
	s_or_b32 exec_lo, exec_lo, s6
.LBB531_63:
	s_delay_alu instid0(SALU_CYCLE_1) | instskip(SKIP_2) | instid1(VALU_DEP_1)
	s_or_b32 exec_lo, exec_lo, s3
	s_waitcnt vmcnt(0)
	v_or_b32_e32 v8, 0x200, v0
	v_cmp_gt_i32_e64 s0, s8, v8
                                        ; implicit-def: $vgpr8
	s_delay_alu instid0(VALU_DEP_1)
	s_and_saveexec_b32 s3, s0
	s_cbranch_execz .LBB531_69
; %bb.64:
	v_lshlrev_b32_e32 v12, 16, v11
	v_mov_b32_e32 v8, s9
	s_mov_b32 s6, exec_lo
	s_delay_alu instid0(VALU_DEP_2)
	v_cmpx_o_f32_e32 v12, v12
	s_cbranch_execz .LBB531_68
; %bb.65:
	v_mov_b32_e32 v8, s1
	s_mov_b32 s7, exec_lo
	v_cmpx_neq_f32_e32 0x7f800000, v12
; %bb.66:
	v_cmp_eq_f32_e64 s0, 0xff800000, v12
	s_delay_alu instid0(VALU_DEP_1)
	v_cndmask_b32_e64 v8, v11, s10, s0
; %bb.67:
	s_or_b32 exec_lo, exec_lo, s7
.LBB531_68:
	s_delay_alu instid0(SALU_CYCLE_1)
	s_or_b32 exec_lo, exec_lo, s6
.LBB531_69:
	s_delay_alu instid0(SALU_CYCLE_1) | instskip(SKIP_1) | instid1(VALU_DEP_1)
	s_or_b32 exec_lo, exec_lo, s3
	v_or_b32_e32 v11, 0x300, v0
	v_cmp_gt_i32_e64 s0, s8, v11
                                        ; implicit-def: $vgpr11
	s_delay_alu instid0(VALU_DEP_1)
	s_and_saveexec_b32 s3, s0
	s_cbranch_execz .LBB531_75
; %bb.70:
	v_dual_mov_b32 v11, s9 :: v_dual_lshlrev_b32 v12, 16, v9
	s_mov_b32 s6, exec_lo
	s_delay_alu instid0(VALU_DEP_1)
	v_cmpx_o_f32_e32 v12, v12
	s_cbranch_execz .LBB531_74
; %bb.71:
	v_mov_b32_e32 v11, s1
	s_mov_b32 s7, exec_lo
	v_cmpx_neq_f32_e32 0x7f800000, v12
; %bb.72:
	v_cmp_eq_f32_e64 s0, 0xff800000, v12
	s_delay_alu instid0(VALU_DEP_1)
	v_cndmask_b32_e64 v11, v9, s10, s0
; %bb.73:
	s_or_b32 exec_lo, exec_lo, s7
.LBB531_74:
	s_delay_alu instid0(SALU_CYCLE_1)
	s_or_b32 exec_lo, exec_lo, s6
.LBB531_75:
	s_delay_alu instid0(SALU_CYCLE_1) | instskip(SKIP_1) | instid1(VALU_DEP_1)
	s_or_b32 exec_lo, exec_lo, s3
	v_or_b32_e32 v9, 0x400, v0
	v_cmp_gt_i32_e64 s0, s8, v9
                                        ; implicit-def: $vgpr9
	s_delay_alu instid0(VALU_DEP_1)
	s_and_saveexec_b32 s3, s0
	s_cbranch_execz .LBB531_81
; %bb.76:
	v_dual_mov_b32 v9, s9 :: v_dual_lshlrev_b32 v12, 16, v10
	s_mov_b32 s6, exec_lo
	s_delay_alu instid0(VALU_DEP_1)
	v_cmpx_o_f32_e32 v12, v12
	s_cbranch_execz .LBB531_80
; %bb.77:
	v_mov_b32_e32 v9, s1
	s_mov_b32 s7, exec_lo
	v_cmpx_neq_f32_e32 0x7f800000, v12
; %bb.78:
	v_cmp_eq_f32_e64 s0, 0xff800000, v12
	s_delay_alu instid0(VALU_DEP_1)
	v_cndmask_b32_e64 v9, v10, s10, s0
; %bb.79:
	s_or_b32 exec_lo, exec_lo, s7
.LBB531_80:
	s_delay_alu instid0(SALU_CYCLE_1)
	s_or_b32 exec_lo, exec_lo, s6
.LBB531_81:
	s_delay_alu instid0(SALU_CYCLE_1) | instskip(SKIP_1) | instid1(VALU_DEP_1)
	s_or_b32 exec_lo, exec_lo, s3
	v_or_b32_e32 v10, 0x500, v0
	v_cmp_gt_i32_e64 s0, s8, v10
                                        ; implicit-def: $vgpr10
	s_delay_alu instid0(VALU_DEP_1)
	s_and_saveexec_b32 s3, s0
	s_cbranch_execz .LBB531_87
; %bb.82:
	v_lshlrev_b32_e32 v12, 16, v5
	v_mov_b32_e32 v10, s9
	s_mov_b32 s6, exec_lo
	s_delay_alu instid0(VALU_DEP_2)
	v_cmpx_o_f32_e32 v12, v12
	s_cbranch_execz .LBB531_86
; %bb.83:
	v_mov_b32_e32 v10, s1
	s_mov_b32 s7, exec_lo
	v_cmpx_neq_f32_e32 0x7f800000, v12
; %bb.84:
	v_cmp_eq_f32_e64 s0, 0xff800000, v12
	s_delay_alu instid0(VALU_DEP_1)
	v_cndmask_b32_e64 v10, v5, s10, s0
; %bb.85:
	s_or_b32 exec_lo, exec_lo, s7
.LBB531_86:
	s_delay_alu instid0(SALU_CYCLE_1)
	s_or_b32 exec_lo, exec_lo, s6
.LBB531_87:
	s_delay_alu instid0(SALU_CYCLE_1) | instskip(SKIP_1) | instid1(VALU_DEP_1)
	s_or_b32 exec_lo, exec_lo, s3
	v_or_b32_e32 v5, 0x600, v0
	v_cmp_gt_i32_e64 s0, s8, v5
                                        ; implicit-def: $vgpr5
	s_delay_alu instid0(VALU_DEP_1)
	s_and_saveexec_b32 s3, s0
	s_cbranch_execz .LBB531_93
; %bb.88:
	v_dual_mov_b32 v5, s9 :: v_dual_lshlrev_b32 v12, 16, v7
	s_mov_b32 s6, exec_lo
	s_delay_alu instid0(VALU_DEP_1)
	v_cmpx_o_f32_e32 v12, v12
	s_cbranch_execz .LBB531_92
; %bb.89:
	v_mov_b32_e32 v5, s1
	s_mov_b32 s7, exec_lo
	v_cmpx_neq_f32_e32 0x7f800000, v12
; %bb.90:
	v_cmp_eq_f32_e64 s0, 0xff800000, v12
	s_delay_alu instid0(VALU_DEP_1)
	v_cndmask_b32_e64 v5, v7, s10, s0
; %bb.91:
	s_or_b32 exec_lo, exec_lo, s7
.LBB531_92:
	s_delay_alu instid0(SALU_CYCLE_1)
	s_or_b32 exec_lo, exec_lo, s6
.LBB531_93:
	s_delay_alu instid0(SALU_CYCLE_1) | instskip(SKIP_1) | instid1(VALU_DEP_1)
	s_or_b32 exec_lo, exec_lo, s3
	v_or_b32_e32 v7, 0x700, v0
	v_cmp_gt_i32_e64 s0, s8, v7
                                        ; implicit-def: $vgpr7
	s_delay_alu instid0(VALU_DEP_1)
	s_and_saveexec_b32 s3, s0
	s_cbranch_execz .LBB531_108
; %bb.94:
	v_dual_mov_b32 v7, s9 :: v_dual_lshlrev_b32 v12, 16, v2
	s_mov_b32 s6, exec_lo
	s_delay_alu instid0(VALU_DEP_1)
	v_cmpx_o_f32_e32 v12, v12
	s_cbranch_execz .LBB531_98
; %bb.95:
	v_mov_b32_e32 v7, s1
	s_mov_b32 s1, exec_lo
	v_cmpx_neq_f32_e32 0x7f800000, v12
; %bb.96:
	v_cmp_eq_f32_e64 s0, 0xff800000, v12
	s_delay_alu instid0(VALU_DEP_1)
	v_cndmask_b32_e64 v7, v2, s10, s0
; %bb.97:
	s_or_b32 exec_lo, exec_lo, s1
.LBB531_98:
	s_delay_alu instid0(SALU_CYCLE_1) | instskip(NEXT) | instid1(SALU_CYCLE_1)
	s_or_b32 exec_lo, exec_lo, s6
	s_or_b32 exec_lo, exec_lo, s3
	s_and_saveexec_b32 s0, vcc_lo
	s_delay_alu instid0(SALU_CYCLE_1)
	s_xor_b32 s0, exec_lo, s0
	s_cbranch_execnz .LBB531_109
.LBB531_99:
	s_or_b32 exec_lo, exec_lo, s0
	s_delay_alu instid0(SALU_CYCLE_1)
	s_mov_b32 s0, exec_lo
	v_cmpx_gt_i32_e64 s8, v0
	s_cbranch_execz .LBB531_110
.LBB531_100:
	v_dual_mov_b32 v2, 0 :: v_dual_add_nc_u32 v1, s2, v0
	v_add_nc_u32_e32 v0, 0x100, v0
	s_delay_alu instid0(VALU_DEP_2) | instskip(NEXT) | instid1(VALU_DEP_1)
	v_lshlrev_b64 v[1:2], 1, v[1:2]
	v_add_co_u32 v1, vcc_lo, s4, v1
	s_delay_alu instid0(VALU_DEP_2) | instskip(SKIP_2) | instid1(SALU_CYCLE_1)
	v_add_co_ci_u32_e32 v2, vcc_lo, s5, v2, vcc_lo
	global_store_b16 v[1:2], v6, off
	s_or_b32 exec_lo, exec_lo, s0
	s_mov_b32 s0, exec_lo
	v_cmpx_gt_i32_e64 s8, v0
	s_cbranch_execnz .LBB531_111
.LBB531_101:
	s_or_b32 exec_lo, exec_lo, s0
	s_delay_alu instid0(SALU_CYCLE_1)
	s_mov_b32 s0, exec_lo
	v_cmpx_gt_i32_e64 s8, v0
	s_cbranch_execz .LBB531_112
.LBB531_102:
	v_dual_mov_b32 v2, 0 :: v_dual_add_nc_u32 v1, s2, v0
	v_add_nc_u32_e32 v0, 0x100, v0
	s_delay_alu instid0(VALU_DEP_2) | instskip(NEXT) | instid1(VALU_DEP_1)
	v_lshlrev_b64 v[1:2], 1, v[1:2]
	v_add_co_u32 v1, vcc_lo, s4, v1
	s_delay_alu instid0(VALU_DEP_2) | instskip(SKIP_2) | instid1(SALU_CYCLE_1)
	v_add_co_ci_u32_e32 v2, vcc_lo, s5, v2, vcc_lo
	global_store_b16 v[1:2], v11, off
	s_or_b32 exec_lo, exec_lo, s0
	s_mov_b32 s0, exec_lo
	v_cmpx_gt_i32_e64 s8, v0
	s_cbranch_execnz .LBB531_113
.LBB531_103:
	s_or_b32 exec_lo, exec_lo, s0
	s_delay_alu instid0(SALU_CYCLE_1)
	s_mov_b32 s0, exec_lo
	v_cmpx_gt_i32_e64 s8, v0
	s_cbranch_execz .LBB531_114
.LBB531_104:
	v_dual_mov_b32 v2, 0 :: v_dual_add_nc_u32 v1, s2, v0
	v_add_nc_u32_e32 v0, 0x100, v0
	s_delay_alu instid0(VALU_DEP_2) | instskip(NEXT) | instid1(VALU_DEP_1)
	v_lshlrev_b64 v[1:2], 1, v[1:2]
	v_add_co_u32 v1, vcc_lo, s4, v1
	s_delay_alu instid0(VALU_DEP_2) | instskip(SKIP_2) | instid1(SALU_CYCLE_1)
	v_add_co_ci_u32_e32 v2, vcc_lo, s5, v2, vcc_lo
	global_store_b16 v[1:2], v10, off
	s_or_b32 exec_lo, exec_lo, s0
	s_mov_b32 s0, exec_lo
	v_cmpx_gt_i32_e64 s8, v0
	s_cbranch_execnz .LBB531_115
.LBB531_105:
	s_or_b32 exec_lo, exec_lo, s0
	s_delay_alu instid0(SALU_CYCLE_1)
	s_mov_b32 s0, exec_lo
	v_cmpx_gt_i32_e64 s8, v0
	s_cbranch_execz .LBB531_107
.LBB531_106:
	v_dual_mov_b32 v1, 0 :: v_dual_add_nc_u32 v0, s2, v0
	s_delay_alu instid0(VALU_DEP_1) | instskip(NEXT) | instid1(VALU_DEP_1)
	v_lshlrev_b64 v[0:1], 1, v[0:1]
	v_add_co_u32 v0, vcc_lo, s4, v0
	s_delay_alu instid0(VALU_DEP_2)
	v_add_co_ci_u32_e32 v1, vcc_lo, s5, v1, vcc_lo
	global_store_b16 v[0:1], v7, off
.LBB531_107:
	s_nop 0
	s_sendmsg sendmsg(MSG_DEALLOC_VGPRS)
	s_endpgm
.LBB531_108:
	s_or_b32 exec_lo, exec_lo, s3
	s_and_saveexec_b32 s0, vcc_lo
	s_delay_alu instid0(SALU_CYCLE_1)
	s_xor_b32 s0, exec_lo, s0
	s_cbranch_execz .LBB531_99
.LBB531_109:
	v_mov_b32_e32 v2, 0
	s_delay_alu instid0(VALU_DEP_1) | instskip(NEXT) | instid1(VALU_DEP_1)
	v_lshlrev_b64 v[0:1], 1, v[1:2]
	v_add_co_u32 v12, vcc_lo, s4, v0
	s_delay_alu instid0(VALU_DEP_2) | instskip(SKIP_3) | instid1(SALU_CYCLE_1)
	v_add_co_ci_u32_e32 v13, vcc_lo, s5, v1, vcc_lo
	v_mov_b32_e32 v0, v3
	global_store_b16 v[12:13], v4, off
	s_or_b32 exec_lo, exec_lo, s0
	s_mov_b32 s0, exec_lo
	v_cmpx_gt_i32_e64 s8, v0
	s_cbranch_execnz .LBB531_100
.LBB531_110:
	s_or_b32 exec_lo, exec_lo, s0
	s_delay_alu instid0(SALU_CYCLE_1)
	s_mov_b32 s0, exec_lo
	v_cmpx_gt_i32_e64 s8, v0
	s_cbranch_execz .LBB531_101
.LBB531_111:
	v_dual_mov_b32 v2, 0 :: v_dual_add_nc_u32 v1, s2, v0
	v_add_nc_u32_e32 v0, 0x100, v0
	s_delay_alu instid0(VALU_DEP_2) | instskip(NEXT) | instid1(VALU_DEP_1)
	v_lshlrev_b64 v[1:2], 1, v[1:2]
	v_add_co_u32 v1, vcc_lo, s4, v1
	s_delay_alu instid0(VALU_DEP_2) | instskip(SKIP_2) | instid1(SALU_CYCLE_1)
	v_add_co_ci_u32_e32 v2, vcc_lo, s5, v2, vcc_lo
	global_store_b16 v[1:2], v8, off
	s_or_b32 exec_lo, exec_lo, s0
	s_mov_b32 s0, exec_lo
	v_cmpx_gt_i32_e64 s8, v0
	s_cbranch_execnz .LBB531_102
.LBB531_112:
	s_or_b32 exec_lo, exec_lo, s0
	s_delay_alu instid0(SALU_CYCLE_1)
	s_mov_b32 s0, exec_lo
	v_cmpx_gt_i32_e64 s8, v0
	s_cbranch_execz .LBB531_103
.LBB531_113:
	v_dual_mov_b32 v2, 0 :: v_dual_add_nc_u32 v1, s2, v0
	v_add_nc_u32_e32 v0, 0x100, v0
	s_delay_alu instid0(VALU_DEP_2) | instskip(NEXT) | instid1(VALU_DEP_1)
	v_lshlrev_b64 v[1:2], 1, v[1:2]
	v_add_co_u32 v1, vcc_lo, s4, v1
	s_delay_alu instid0(VALU_DEP_2) | instskip(SKIP_2) | instid1(SALU_CYCLE_1)
	v_add_co_ci_u32_e32 v2, vcc_lo, s5, v2, vcc_lo
	global_store_b16 v[1:2], v9, off
	s_or_b32 exec_lo, exec_lo, s0
	s_mov_b32 s0, exec_lo
	v_cmpx_gt_i32_e64 s8, v0
	s_cbranch_execnz .LBB531_104
.LBB531_114:
	s_or_b32 exec_lo, exec_lo, s0
	s_delay_alu instid0(SALU_CYCLE_1)
	s_mov_b32 s0, exec_lo
	v_cmpx_gt_i32_e64 s8, v0
	s_cbranch_execz .LBB531_105
.LBB531_115:
	v_dual_mov_b32 v2, 0 :: v_dual_add_nc_u32 v1, s2, v0
	v_add_nc_u32_e32 v0, 0x100, v0
	s_delay_alu instid0(VALU_DEP_2) | instskip(NEXT) | instid1(VALU_DEP_1)
	v_lshlrev_b64 v[1:2], 1, v[1:2]
	v_add_co_u32 v1, vcc_lo, s4, v1
	s_delay_alu instid0(VALU_DEP_2) | instskip(SKIP_2) | instid1(SALU_CYCLE_1)
	v_add_co_ci_u32_e32 v2, vcc_lo, s5, v2, vcc_lo
	global_store_b16 v[1:2], v5, off
	s_or_b32 exec_lo, exec_lo, s0
	s_mov_b32 s0, exec_lo
	v_cmpx_gt_i32_e64 s8, v0
	s_cbranch_execnz .LBB531_106
	s_branch .LBB531_107
	.section	.rodata,"a",@progbits
	.p2align	6, 0x0
	.amdhsa_kernel _ZN2at6native29vectorized_elementwise_kernelILi8EZZZNS0_22nan_to_num_kernel_cudaERNS_18TensorIteratorBaseESt8optionalIdES5_S5_ENKUlvE0_clEvENKUlvE2_clEvEUlN3c108BFloat16EE_St5arrayIPcLm2EEEEviT0_T1_
		.amdhsa_group_segment_fixed_size 0
		.amdhsa_private_segment_fixed_size 0
		.amdhsa_kernarg_size 32
		.amdhsa_user_sgpr_count 15
		.amdhsa_user_sgpr_dispatch_ptr 0
		.amdhsa_user_sgpr_queue_ptr 0
		.amdhsa_user_sgpr_kernarg_segment_ptr 1
		.amdhsa_user_sgpr_dispatch_id 0
		.amdhsa_user_sgpr_private_segment_size 0
		.amdhsa_wavefront_size32 1
		.amdhsa_uses_dynamic_stack 0
		.amdhsa_enable_private_segment 0
		.amdhsa_system_sgpr_workgroup_id_x 1
		.amdhsa_system_sgpr_workgroup_id_y 0
		.amdhsa_system_sgpr_workgroup_id_z 0
		.amdhsa_system_sgpr_workgroup_info 0
		.amdhsa_system_vgpr_workitem_id 0
		.amdhsa_next_free_vgpr 14
		.amdhsa_next_free_sgpr 16
		.amdhsa_reserve_vcc 1
		.amdhsa_float_round_mode_32 0
		.amdhsa_float_round_mode_16_64 0
		.amdhsa_float_denorm_mode_32 3
		.amdhsa_float_denorm_mode_16_64 3
		.amdhsa_dx10_clamp 1
		.amdhsa_ieee_mode 1
		.amdhsa_fp16_overflow 0
		.amdhsa_workgroup_processor_mode 1
		.amdhsa_memory_ordered 1
		.amdhsa_forward_progress 0
		.amdhsa_shared_vgpr_count 0
		.amdhsa_exception_fp_ieee_invalid_op 0
		.amdhsa_exception_fp_denorm_src 0
		.amdhsa_exception_fp_ieee_div_zero 0
		.amdhsa_exception_fp_ieee_overflow 0
		.amdhsa_exception_fp_ieee_underflow 0
		.amdhsa_exception_fp_ieee_inexact 0
		.amdhsa_exception_int_div_zero 0
	.end_amdhsa_kernel
	.section	.text._ZN2at6native29vectorized_elementwise_kernelILi8EZZZNS0_22nan_to_num_kernel_cudaERNS_18TensorIteratorBaseESt8optionalIdES5_S5_ENKUlvE0_clEvENKUlvE2_clEvEUlN3c108BFloat16EE_St5arrayIPcLm2EEEEviT0_T1_,"axG",@progbits,_ZN2at6native29vectorized_elementwise_kernelILi8EZZZNS0_22nan_to_num_kernel_cudaERNS_18TensorIteratorBaseESt8optionalIdES5_S5_ENKUlvE0_clEvENKUlvE2_clEvEUlN3c108BFloat16EE_St5arrayIPcLm2EEEEviT0_T1_,comdat
.Lfunc_end531:
	.size	_ZN2at6native29vectorized_elementwise_kernelILi8EZZZNS0_22nan_to_num_kernel_cudaERNS_18TensorIteratorBaseESt8optionalIdES5_S5_ENKUlvE0_clEvENKUlvE2_clEvEUlN3c108BFloat16EE_St5arrayIPcLm2EEEEviT0_T1_, .Lfunc_end531-_ZN2at6native29vectorized_elementwise_kernelILi8EZZZNS0_22nan_to_num_kernel_cudaERNS_18TensorIteratorBaseESt8optionalIdES5_S5_ENKUlvE0_clEvENKUlvE2_clEvEUlN3c108BFloat16EE_St5arrayIPcLm2EEEEviT0_T1_
                                        ; -- End function
	.section	.AMDGPU.csdata,"",@progbits
; Kernel info:
; codeLenInByte = 3084
; NumSgprs: 18
; NumVgprs: 14
; ScratchSize: 0
; MemoryBound: 0
; FloatMode: 240
; IeeeMode: 1
; LDSByteSize: 0 bytes/workgroup (compile time only)
; SGPRBlocks: 2
; VGPRBlocks: 1
; NumSGPRsForWavesPerEU: 18
; NumVGPRsForWavesPerEU: 14
; Occupancy: 16
; WaveLimiterHint : 0
; COMPUTE_PGM_RSRC2:SCRATCH_EN: 0
; COMPUTE_PGM_RSRC2:USER_SGPR: 15
; COMPUTE_PGM_RSRC2:TRAP_HANDLER: 0
; COMPUTE_PGM_RSRC2:TGID_X_EN: 1
; COMPUTE_PGM_RSRC2:TGID_Y_EN: 0
; COMPUTE_PGM_RSRC2:TGID_Z_EN: 0
; COMPUTE_PGM_RSRC2:TIDIG_COMP_CNT: 0
	.section	.text._ZN2at6native29vectorized_elementwise_kernelILi4EZZZNS0_22nan_to_num_kernel_cudaERNS_18TensorIteratorBaseESt8optionalIdES5_S5_ENKUlvE0_clEvENKUlvE2_clEvEUlN3c108BFloat16EE_St5arrayIPcLm2EEEEviT0_T1_,"axG",@progbits,_ZN2at6native29vectorized_elementwise_kernelILi4EZZZNS0_22nan_to_num_kernel_cudaERNS_18TensorIteratorBaseESt8optionalIdES5_S5_ENKUlvE0_clEvENKUlvE2_clEvEUlN3c108BFloat16EE_St5arrayIPcLm2EEEEviT0_T1_,comdat
	.globl	_ZN2at6native29vectorized_elementwise_kernelILi4EZZZNS0_22nan_to_num_kernel_cudaERNS_18TensorIteratorBaseESt8optionalIdES5_S5_ENKUlvE0_clEvENKUlvE2_clEvEUlN3c108BFloat16EE_St5arrayIPcLm2EEEEviT0_T1_ ; -- Begin function _ZN2at6native29vectorized_elementwise_kernelILi4EZZZNS0_22nan_to_num_kernel_cudaERNS_18TensorIteratorBaseESt8optionalIdES5_S5_ENKUlvE0_clEvENKUlvE2_clEvEUlN3c108BFloat16EE_St5arrayIPcLm2EEEEviT0_T1_
	.p2align	8
	.type	_ZN2at6native29vectorized_elementwise_kernelILi4EZZZNS0_22nan_to_num_kernel_cudaERNS_18TensorIteratorBaseESt8optionalIdES5_S5_ENKUlvE0_clEvENKUlvE2_clEvEUlN3c108BFloat16EE_St5arrayIPcLm2EEEEviT0_T1_,@function
_ZN2at6native29vectorized_elementwise_kernelILi4EZZZNS0_22nan_to_num_kernel_cudaERNS_18TensorIteratorBaseESt8optionalIdES5_S5_ENKUlvE0_clEvENKUlvE2_clEvEUlN3c108BFloat16EE_St5arrayIPcLm2EEEEviT0_T1_: ; @_ZN2at6native29vectorized_elementwise_kernelILi4EZZZNS0_22nan_to_num_kernel_cudaERNS_18TensorIteratorBaseESt8optionalIdES5_S5_ENKUlvE0_clEvENKUlvE2_clEvEUlN3c108BFloat16EE_St5arrayIPcLm2EEEEviT0_T1_
; %bb.0:
	s_clause 0x2
	s_load_b64 s[8:9], s[0:1], 0x0
	s_load_b32 s10, s[0:1], 0x8
	s_load_b128 s[4:7], s[0:1], 0x10
	s_lshl_b32 s2, s15, 11
	s_mov_b32 s0, -1
	s_waitcnt lgkmcnt(0)
	s_sub_i32 s8, s8, s2
	s_delay_alu instid0(SALU_CYCLE_1)
	s_cmpk_gt_i32 s8, 0x7ff
	s_cbranch_scc0 .LBB532_34
; %bb.1:
	s_ashr_i32 s3, s2, 31
	v_dual_mov_b32 v6, s9 :: v_dual_lshlrev_b32 v5, 3, v0
	s_lshl_b64 s[0:1], s[2:3], 1
	s_lshr_b32 s3, s9, 16
	s_add_u32 s12, s6, s0
	s_addc_u32 s13, s7, s1
	s_clause 0x1
	global_load_b64 v[3:4], v5, s[12:13]
	global_load_b64 v[1:2], v5, s[12:13] offset:2048
	s_mov_b32 s11, exec_lo
	s_waitcnt vmcnt(1)
	v_lshlrev_b32_e32 v7, 16, v3
	s_delay_alu instid0(VALU_DEP_1)
	v_cmpx_o_f32_e32 v7, v7
	s_cbranch_execz .LBB532_5
; %bb.2:
	v_mov_b32_e32 v6, s3
	s_mov_b32 s12, exec_lo
	v_cmpx_neq_f32_e32 0x7f800000, v7
; %bb.3:
	v_cmp_eq_f32_e32 vcc_lo, 0xff800000, v7
	v_cndmask_b32_e64 v6, v3, s10, vcc_lo
; %bb.4:
	s_or_b32 exec_lo, exec_lo, s12
.LBB532_5:
	s_delay_alu instid0(SALU_CYCLE_1) | instskip(SKIP_2) | instid1(VALU_DEP_1)
	s_or_b32 exec_lo, exec_lo, s11
	v_dual_mov_b32 v7, s9 :: v_dual_and_b32 v8, 0xffff0000, v3
	s_mov_b32 s11, exec_lo
	v_cmpx_o_f32_e32 v8, v8
	s_cbranch_execz .LBB532_9
; %bb.6:
	v_mov_b32_e32 v7, s3
	s_mov_b32 s12, exec_lo
	v_cmpx_neq_f32_e32 0x7f800000, v8
; %bb.7:
	v_lshrrev_b32_e32 v3, 16, v3
	v_cmp_eq_f32_e32 vcc_lo, 0xff800000, v8
	s_delay_alu instid0(VALU_DEP_2)
	v_cndmask_b32_e64 v7, v3, s10, vcc_lo
; %bb.8:
	s_or_b32 exec_lo, exec_lo, s12
.LBB532_9:
	s_delay_alu instid0(SALU_CYCLE_1) | instskip(SKIP_2) | instid1(VALU_DEP_1)
	s_or_b32 exec_lo, exec_lo, s11
	v_dual_mov_b32 v3, s9 :: v_dual_lshlrev_b32 v8, 16, v4
	s_mov_b32 s11, exec_lo
	v_cmpx_o_f32_e32 v8, v8
	s_cbranch_execz .LBB532_13
; %bb.10:
	v_mov_b32_e32 v3, s3
	s_mov_b32 s12, exec_lo
	v_cmpx_neq_f32_e32 0x7f800000, v8
; %bb.11:
	v_cmp_eq_f32_e32 vcc_lo, 0xff800000, v8
	v_cndmask_b32_e64 v3, v4, s10, vcc_lo
; %bb.12:
	s_or_b32 exec_lo, exec_lo, s12
.LBB532_13:
	s_delay_alu instid0(SALU_CYCLE_1) | instskip(SKIP_2) | instid1(VALU_DEP_1)
	s_or_b32 exec_lo, exec_lo, s11
	v_dual_mov_b32 v8, s9 :: v_dual_and_b32 v9, 0xffff0000, v4
	s_mov_b32 s11, exec_lo
	v_cmpx_o_f32_e32 v9, v9
	s_cbranch_execz .LBB532_17
; %bb.14:
	v_mov_b32_e32 v8, s3
	s_mov_b32 s12, exec_lo
	v_cmpx_neq_f32_e32 0x7f800000, v9
; %bb.15:
	v_lshrrev_b32_e32 v4, 16, v4
	v_cmp_eq_f32_e32 vcc_lo, 0xff800000, v9
	s_delay_alu instid0(VALU_DEP_2)
	v_cndmask_b32_e64 v8, v4, s10, vcc_lo
; %bb.16:
	s_or_b32 exec_lo, exec_lo, s12
.LBB532_17:
	s_delay_alu instid0(SALU_CYCLE_1) | instskip(SKIP_3) | instid1(VALU_DEP_1)
	s_or_b32 exec_lo, exec_lo, s11
	s_waitcnt vmcnt(0)
	v_dual_mov_b32 v4, s9 :: v_dual_lshlrev_b32 v9, 16, v1
	s_mov_b32 s11, exec_lo
	v_cmpx_o_f32_e32 v9, v9
	s_cbranch_execz .LBB532_21
; %bb.18:
	v_mov_b32_e32 v4, s3
	s_mov_b32 s12, exec_lo
	v_cmpx_neq_f32_e32 0x7f800000, v9
; %bb.19:
	v_cmp_eq_f32_e32 vcc_lo, 0xff800000, v9
	v_cndmask_b32_e64 v4, v1, s10, vcc_lo
; %bb.20:
	s_or_b32 exec_lo, exec_lo, s12
.LBB532_21:
	s_delay_alu instid0(SALU_CYCLE_1) | instskip(SKIP_2) | instid1(VALU_DEP_1)
	s_or_b32 exec_lo, exec_lo, s11
	v_dual_mov_b32 v9, s9 :: v_dual_and_b32 v10, 0xffff0000, v1
	s_mov_b32 s11, exec_lo
	v_cmpx_o_f32_e32 v10, v10
	s_cbranch_execz .LBB532_25
; %bb.22:
	v_mov_b32_e32 v9, s3
	s_mov_b32 s12, exec_lo
	v_cmpx_neq_f32_e32 0x7f800000, v10
; %bb.23:
	v_lshrrev_b32_e32 v1, 16, v1
	v_cmp_eq_f32_e32 vcc_lo, 0xff800000, v10
	s_delay_alu instid0(VALU_DEP_2)
	v_cndmask_b32_e64 v9, v1, s10, vcc_lo
; %bb.24:
	s_or_b32 exec_lo, exec_lo, s12
.LBB532_25:
	s_delay_alu instid0(SALU_CYCLE_1) | instskip(SKIP_2) | instid1(VALU_DEP_1)
	s_or_b32 exec_lo, exec_lo, s11
	v_dual_mov_b32 v1, s9 :: v_dual_lshlrev_b32 v10, 16, v2
	s_mov_b32 s11, exec_lo
	v_cmpx_o_f32_e32 v10, v10
	s_cbranch_execz .LBB532_29
; %bb.26:
	v_mov_b32_e32 v1, s3
	s_mov_b32 s12, exec_lo
	v_cmpx_neq_f32_e32 0x7f800000, v10
; %bb.27:
	v_cmp_eq_f32_e32 vcc_lo, 0xff800000, v10
	v_cndmask_b32_e64 v1, v2, s10, vcc_lo
; %bb.28:
	s_or_b32 exec_lo, exec_lo, s12
.LBB532_29:
	s_delay_alu instid0(SALU_CYCLE_1) | instskip(SKIP_2) | instid1(VALU_DEP_1)
	s_or_b32 exec_lo, exec_lo, s11
	v_dual_mov_b32 v10, s9 :: v_dual_and_b32 v11, 0xffff0000, v2
	s_mov_b32 s11, exec_lo
	v_cmpx_o_f32_e32 v11, v11
	s_cbranch_execz .LBB532_33
; %bb.30:
	v_mov_b32_e32 v10, s3
	s_mov_b32 s3, exec_lo
	v_cmpx_neq_f32_e32 0x7f800000, v11
; %bb.31:
	v_lshrrev_b32_e32 v2, 16, v2
	v_cmp_eq_f32_e32 vcc_lo, 0xff800000, v11
	s_delay_alu instid0(VALU_DEP_2)
	v_cndmask_b32_e64 v10, v2, s10, vcc_lo
; %bb.32:
	s_or_b32 exec_lo, exec_lo, s3
.LBB532_33:
	s_delay_alu instid0(SALU_CYCLE_1)
	s_or_b32 exec_lo, exec_lo, s11
	v_lshlrev_b32_e32 v2, 16, v7
	v_and_b32_e32 v6, 0xffff, v6
	v_lshlrev_b32_e32 v7, 16, v8
	v_lshlrev_b32_e32 v8, 16, v9
	v_and_b32_e32 v4, 0xffff, v4
	v_and_b32_e32 v3, 0xffff, v3
	v_or_b32_e32 v6, v2, v6
	v_lshlrev_b32_e32 v9, 16, v10
	v_and_b32_e32 v10, 0xffff, v1
	v_or_b32_e32 v8, v8, v4
	v_or3_b32 v2, v3, 0, v7
	v_or3_b32 v1, 0, v6, 0
	s_add_u32 s12, s4, s0
	v_or3_b32 v4, v10, 0, v9
	v_or3_b32 v3, 0, v8, 0
	s_addc_u32 s13, s5, s1
	s_mov_b32 s0, 0
	s_clause 0x1
	global_store_b64 v5, v[1:2], s[12:13]
	global_store_b64 v5, v[3:4], s[12:13] offset:2048
.LBB532_34:
	s_and_b32 vcc_lo, exec_lo, s0
	s_cbranch_vccz .LBB532_107
; %bb.35:
	v_cmp_gt_i32_e32 vcc_lo, s8, v0
	v_mov_b32_e32 v8, 0
	v_or_b32_e32 v1, s2, v0
	v_or_b32_e32 v3, 0x100, v0
	v_mov_b32_e32 v6, 0
	v_mov_b32_e32 v4, v0
	s_and_saveexec_b32 s1, vcc_lo
	s_cbranch_execz .LBB532_37
; %bb.36:
	v_mov_b32_e32 v2, 0
	s_delay_alu instid0(VALU_DEP_1) | instskip(NEXT) | instid1(VALU_DEP_1)
	v_lshlrev_b64 v[4:5], 1, v[1:2]
	v_add_co_u32 v4, s0, s6, v4
	s_delay_alu instid0(VALU_DEP_1)
	v_add_co_ci_u32_e64 v5, s0, s7, v5, s0
	global_load_u16 v6, v[4:5], off
	v_or_b32_e32 v4, 0x100, v0
.LBB532_37:
	s_or_b32 exec_lo, exec_lo, s1
	s_delay_alu instid0(SALU_CYCLE_1) | instskip(NEXT) | instid1(VALU_DEP_1)
	s_mov_b32 s1, exec_lo
	v_cmpx_gt_i32_e64 s8, v4
	s_cbranch_execz .LBB532_39
; %bb.38:
	v_dual_mov_b32 v8, 0 :: v_dual_add_nc_u32 v7, s2, v4
	v_add_nc_u32_e32 v4, 0x100, v4
	s_delay_alu instid0(VALU_DEP_2) | instskip(NEXT) | instid1(VALU_DEP_1)
	v_lshlrev_b64 v[7:8], 1, v[7:8]
	v_add_co_u32 v7, s0, s6, v7
	s_delay_alu instid0(VALU_DEP_1)
	v_add_co_ci_u32_e64 v8, s0, s7, v8, s0
	global_load_u16 v8, v[7:8], off
.LBB532_39:
	s_or_b32 exec_lo, exec_lo, s1
	v_mov_b32_e32 v9, 0
	v_mov_b32_e32 v11, 0
	s_mov_b32 s1, exec_lo
	v_cmpx_gt_i32_e64 s8, v4
	s_cbranch_execz .LBB532_41
; %bb.40:
	v_dual_mov_b32 v11, 0 :: v_dual_add_nc_u32 v10, s2, v4
	v_add_nc_u32_e32 v4, 0x100, v4
	s_delay_alu instid0(VALU_DEP_2) | instskip(NEXT) | instid1(VALU_DEP_1)
	v_lshlrev_b64 v[10:11], 1, v[10:11]
	v_add_co_u32 v10, s0, s6, v10
	s_delay_alu instid0(VALU_DEP_1)
	v_add_co_ci_u32_e64 v11, s0, s7, v11, s0
	global_load_u16 v11, v[10:11], off
.LBB532_41:
	s_or_b32 exec_lo, exec_lo, s1
	s_delay_alu instid0(SALU_CYCLE_1)
	s_mov_b32 s1, exec_lo
	v_cmpx_gt_i32_e64 s8, v4
	s_cbranch_execz .LBB532_43
; %bb.42:
	v_dual_mov_b32 v10, 0 :: v_dual_add_nc_u32 v9, s2, v4
	v_add_nc_u32_e32 v4, 0x100, v4
	s_delay_alu instid0(VALU_DEP_2) | instskip(NEXT) | instid1(VALU_DEP_1)
	v_lshlrev_b64 v[9:10], 1, v[9:10]
	v_add_co_u32 v9, s0, s6, v9
	s_delay_alu instid0(VALU_DEP_1)
	v_add_co_ci_u32_e64 v10, s0, s7, v10, s0
	global_load_u16 v9, v[9:10], off
.LBB532_43:
	s_or_b32 exec_lo, exec_lo, s1
	v_dual_mov_b32 v5, 0 :: v_dual_mov_b32 v10, 0
	s_mov_b32 s1, exec_lo
	v_cmpx_gt_i32_e64 s8, v4
	s_cbranch_execz .LBB532_45
; %bb.44:
	v_dual_mov_b32 v13, 0 :: v_dual_add_nc_u32 v12, s2, v4
	v_add_nc_u32_e32 v4, 0x100, v4
	s_delay_alu instid0(VALU_DEP_2) | instskip(NEXT) | instid1(VALU_DEP_1)
	v_lshlrev_b64 v[12:13], 1, v[12:13]
	v_add_co_u32 v12, s0, s6, v12
	s_delay_alu instid0(VALU_DEP_1)
	v_add_co_ci_u32_e64 v13, s0, s7, v13, s0
	global_load_u16 v10, v[12:13], off
.LBB532_45:
	s_or_b32 exec_lo, exec_lo, s1
	s_delay_alu instid0(SALU_CYCLE_1)
	s_mov_b32 s1, exec_lo
	v_cmpx_gt_i32_e64 s8, v4
	s_cbranch_execz .LBB532_47
; %bb.46:
	v_dual_mov_b32 v13, 0 :: v_dual_add_nc_u32 v12, s2, v4
	v_add_nc_u32_e32 v4, 0x100, v4
	s_delay_alu instid0(VALU_DEP_2) | instskip(NEXT) | instid1(VALU_DEP_1)
	v_lshlrev_b64 v[12:13], 1, v[12:13]
	v_add_co_u32 v12, s0, s6, v12
	s_delay_alu instid0(VALU_DEP_1)
	v_add_co_ci_u32_e64 v13, s0, s7, v13, s0
	global_load_u16 v5, v[12:13], off
.LBB532_47:
	s_or_b32 exec_lo, exec_lo, s1
	v_dual_mov_b32 v2, 0 :: v_dual_mov_b32 v7, 0
	s_mov_b32 s1, exec_lo
	v_cmpx_gt_i32_e64 s8, v4
	s_cbranch_execz .LBB532_49
; %bb.48:
	v_dual_mov_b32 v13, 0 :: v_dual_add_nc_u32 v12, s2, v4
	v_add_nc_u32_e32 v4, 0x100, v4
	s_delay_alu instid0(VALU_DEP_2) | instskip(NEXT) | instid1(VALU_DEP_1)
	v_lshlrev_b64 v[12:13], 1, v[12:13]
	v_add_co_u32 v12, s0, s6, v12
	s_delay_alu instid0(VALU_DEP_1) | instskip(SKIP_2) | instid1(SALU_CYCLE_1)
	v_add_co_ci_u32_e64 v13, s0, s7, v13, s0
	global_load_u16 v7, v[12:13], off
	s_or_b32 exec_lo, exec_lo, s1
	s_mov_b32 s1, exec_lo
	v_cmpx_gt_i32_e64 s8, v4
	s_cbranch_execz .LBB532_51
	s_branch .LBB532_50
.LBB532_49:
	s_or_b32 exec_lo, exec_lo, s1
	s_delay_alu instid0(SALU_CYCLE_1)
	s_mov_b32 s1, exec_lo
	v_cmpx_gt_i32_e64 s8, v4
	s_cbranch_execz .LBB532_51
.LBB532_50:
	v_dual_mov_b32 v13, 0 :: v_dual_add_nc_u32 v12, s2, v4
	s_delay_alu instid0(VALU_DEP_1) | instskip(NEXT) | instid1(VALU_DEP_1)
	v_lshlrev_b64 v[12:13], 1, v[12:13]
	v_add_co_u32 v12, s0, s6, v12
	s_delay_alu instid0(VALU_DEP_1)
	v_add_co_ci_u32_e64 v13, s0, s7, v13, s0
	global_load_u16 v2, v[12:13], off
.LBB532_51:
	s_or_b32 exec_lo, exec_lo, s1
	s_lshr_b32 s1, s9, 16
                                        ; implicit-def: $vgpr4
	s_and_saveexec_b32 s3, vcc_lo
	s_cbranch_execz .LBB532_57
; %bb.52:
	s_waitcnt vmcnt(0)
	v_lshlrev_b32_e32 v12, 16, v6
	v_mov_b32_e32 v4, s9
	s_mov_b32 s6, exec_lo
	s_delay_alu instid0(VALU_DEP_2)
	v_cmpx_o_f32_e32 v12, v12
	s_cbranch_execz .LBB532_56
; %bb.53:
	v_mov_b32_e32 v4, s1
	s_mov_b32 s7, exec_lo
	v_cmpx_neq_f32_e32 0x7f800000, v12
; %bb.54:
	v_cmp_eq_f32_e64 s0, 0xff800000, v12
	s_delay_alu instid0(VALU_DEP_1)
	v_cndmask_b32_e64 v4, v6, s10, s0
; %bb.55:
	s_or_b32 exec_lo, exec_lo, s7
.LBB532_56:
	s_delay_alu instid0(SALU_CYCLE_1)
	s_or_b32 exec_lo, exec_lo, s6
.LBB532_57:
	s_delay_alu instid0(SALU_CYCLE_1) | instskip(NEXT) | instid1(SALU_CYCLE_1)
	s_or_b32 exec_lo, exec_lo, s3
	s_mov_b32 s3, exec_lo
                                        ; implicit-def: $vgpr6
	v_cmpx_gt_i32_e64 s8, v3
	s_cbranch_execz .LBB532_63
; %bb.58:
	s_waitcnt vmcnt(0)
	v_lshlrev_b32_e32 v12, 16, v8
	v_mov_b32_e32 v6, s9
	s_mov_b32 s6, exec_lo
	s_delay_alu instid0(VALU_DEP_2)
	v_cmpx_o_f32_e32 v12, v12
	s_cbranch_execz .LBB532_62
; %bb.59:
	v_mov_b32_e32 v6, s1
	s_mov_b32 s7, exec_lo
	v_cmpx_neq_f32_e32 0x7f800000, v12
; %bb.60:
	v_cmp_eq_f32_e64 s0, 0xff800000, v12
	s_delay_alu instid0(VALU_DEP_1)
	v_cndmask_b32_e64 v6, v8, s10, s0
; %bb.61:
	s_or_b32 exec_lo, exec_lo, s7
.LBB532_62:
	s_delay_alu instid0(SALU_CYCLE_1)
	s_or_b32 exec_lo, exec_lo, s6
.LBB532_63:
	s_delay_alu instid0(SALU_CYCLE_1) | instskip(SKIP_2) | instid1(VALU_DEP_1)
	s_or_b32 exec_lo, exec_lo, s3
	s_waitcnt vmcnt(0)
	v_or_b32_e32 v8, 0x200, v0
	v_cmp_gt_i32_e64 s0, s8, v8
                                        ; implicit-def: $vgpr8
	s_delay_alu instid0(VALU_DEP_1)
	s_and_saveexec_b32 s3, s0
	s_cbranch_execz .LBB532_69
; %bb.64:
	v_lshlrev_b32_e32 v12, 16, v11
	v_mov_b32_e32 v8, s9
	s_mov_b32 s6, exec_lo
	s_delay_alu instid0(VALU_DEP_2)
	v_cmpx_o_f32_e32 v12, v12
	s_cbranch_execz .LBB532_68
; %bb.65:
	v_mov_b32_e32 v8, s1
	s_mov_b32 s7, exec_lo
	v_cmpx_neq_f32_e32 0x7f800000, v12
; %bb.66:
	v_cmp_eq_f32_e64 s0, 0xff800000, v12
	s_delay_alu instid0(VALU_DEP_1)
	v_cndmask_b32_e64 v8, v11, s10, s0
; %bb.67:
	s_or_b32 exec_lo, exec_lo, s7
.LBB532_68:
	s_delay_alu instid0(SALU_CYCLE_1)
	s_or_b32 exec_lo, exec_lo, s6
.LBB532_69:
	s_delay_alu instid0(SALU_CYCLE_1) | instskip(SKIP_1) | instid1(VALU_DEP_1)
	s_or_b32 exec_lo, exec_lo, s3
	v_or_b32_e32 v11, 0x300, v0
	v_cmp_gt_i32_e64 s0, s8, v11
                                        ; implicit-def: $vgpr11
	s_delay_alu instid0(VALU_DEP_1)
	s_and_saveexec_b32 s3, s0
	s_cbranch_execz .LBB532_75
; %bb.70:
	v_dual_mov_b32 v11, s9 :: v_dual_lshlrev_b32 v12, 16, v9
	s_mov_b32 s6, exec_lo
	s_delay_alu instid0(VALU_DEP_1)
	v_cmpx_o_f32_e32 v12, v12
	s_cbranch_execz .LBB532_74
; %bb.71:
	v_mov_b32_e32 v11, s1
	s_mov_b32 s7, exec_lo
	v_cmpx_neq_f32_e32 0x7f800000, v12
; %bb.72:
	v_cmp_eq_f32_e64 s0, 0xff800000, v12
	s_delay_alu instid0(VALU_DEP_1)
	v_cndmask_b32_e64 v11, v9, s10, s0
; %bb.73:
	s_or_b32 exec_lo, exec_lo, s7
.LBB532_74:
	s_delay_alu instid0(SALU_CYCLE_1)
	s_or_b32 exec_lo, exec_lo, s6
.LBB532_75:
	s_delay_alu instid0(SALU_CYCLE_1) | instskip(SKIP_1) | instid1(VALU_DEP_1)
	s_or_b32 exec_lo, exec_lo, s3
	v_or_b32_e32 v9, 0x400, v0
	v_cmp_gt_i32_e64 s0, s8, v9
                                        ; implicit-def: $vgpr9
	s_delay_alu instid0(VALU_DEP_1)
	s_and_saveexec_b32 s3, s0
	s_cbranch_execz .LBB532_81
; %bb.76:
	v_dual_mov_b32 v9, s9 :: v_dual_lshlrev_b32 v12, 16, v10
	s_mov_b32 s6, exec_lo
	s_delay_alu instid0(VALU_DEP_1)
	v_cmpx_o_f32_e32 v12, v12
	s_cbranch_execz .LBB532_80
; %bb.77:
	v_mov_b32_e32 v9, s1
	s_mov_b32 s7, exec_lo
	v_cmpx_neq_f32_e32 0x7f800000, v12
; %bb.78:
	v_cmp_eq_f32_e64 s0, 0xff800000, v12
	s_delay_alu instid0(VALU_DEP_1)
	v_cndmask_b32_e64 v9, v10, s10, s0
; %bb.79:
	s_or_b32 exec_lo, exec_lo, s7
.LBB532_80:
	s_delay_alu instid0(SALU_CYCLE_1)
	s_or_b32 exec_lo, exec_lo, s6
.LBB532_81:
	s_delay_alu instid0(SALU_CYCLE_1) | instskip(SKIP_1) | instid1(VALU_DEP_1)
	s_or_b32 exec_lo, exec_lo, s3
	v_or_b32_e32 v10, 0x500, v0
	v_cmp_gt_i32_e64 s0, s8, v10
                                        ; implicit-def: $vgpr10
	s_delay_alu instid0(VALU_DEP_1)
	s_and_saveexec_b32 s3, s0
	s_cbranch_execz .LBB532_87
; %bb.82:
	v_lshlrev_b32_e32 v12, 16, v5
	v_mov_b32_e32 v10, s9
	s_mov_b32 s6, exec_lo
	s_delay_alu instid0(VALU_DEP_2)
	v_cmpx_o_f32_e32 v12, v12
	s_cbranch_execz .LBB532_86
; %bb.83:
	v_mov_b32_e32 v10, s1
	s_mov_b32 s7, exec_lo
	v_cmpx_neq_f32_e32 0x7f800000, v12
; %bb.84:
	v_cmp_eq_f32_e64 s0, 0xff800000, v12
	s_delay_alu instid0(VALU_DEP_1)
	v_cndmask_b32_e64 v10, v5, s10, s0
; %bb.85:
	s_or_b32 exec_lo, exec_lo, s7
.LBB532_86:
	s_delay_alu instid0(SALU_CYCLE_1)
	s_or_b32 exec_lo, exec_lo, s6
.LBB532_87:
	s_delay_alu instid0(SALU_CYCLE_1) | instskip(SKIP_1) | instid1(VALU_DEP_1)
	s_or_b32 exec_lo, exec_lo, s3
	v_or_b32_e32 v5, 0x600, v0
	v_cmp_gt_i32_e64 s0, s8, v5
                                        ; implicit-def: $vgpr5
	s_delay_alu instid0(VALU_DEP_1)
	s_and_saveexec_b32 s3, s0
	s_cbranch_execz .LBB532_93
; %bb.88:
	v_dual_mov_b32 v5, s9 :: v_dual_lshlrev_b32 v12, 16, v7
	s_mov_b32 s6, exec_lo
	s_delay_alu instid0(VALU_DEP_1)
	v_cmpx_o_f32_e32 v12, v12
	s_cbranch_execz .LBB532_92
; %bb.89:
	v_mov_b32_e32 v5, s1
	s_mov_b32 s7, exec_lo
	v_cmpx_neq_f32_e32 0x7f800000, v12
; %bb.90:
	v_cmp_eq_f32_e64 s0, 0xff800000, v12
	s_delay_alu instid0(VALU_DEP_1)
	v_cndmask_b32_e64 v5, v7, s10, s0
; %bb.91:
	s_or_b32 exec_lo, exec_lo, s7
.LBB532_92:
	s_delay_alu instid0(SALU_CYCLE_1)
	s_or_b32 exec_lo, exec_lo, s6
.LBB532_93:
	s_delay_alu instid0(SALU_CYCLE_1) | instskip(SKIP_1) | instid1(VALU_DEP_1)
	s_or_b32 exec_lo, exec_lo, s3
	v_or_b32_e32 v7, 0x700, v0
	v_cmp_gt_i32_e64 s0, s8, v7
                                        ; implicit-def: $vgpr7
	s_delay_alu instid0(VALU_DEP_1)
	s_and_saveexec_b32 s3, s0
	s_cbranch_execz .LBB532_108
; %bb.94:
	v_dual_mov_b32 v7, s9 :: v_dual_lshlrev_b32 v12, 16, v2
	s_mov_b32 s6, exec_lo
	s_delay_alu instid0(VALU_DEP_1)
	v_cmpx_o_f32_e32 v12, v12
	s_cbranch_execz .LBB532_98
; %bb.95:
	v_mov_b32_e32 v7, s1
	s_mov_b32 s1, exec_lo
	v_cmpx_neq_f32_e32 0x7f800000, v12
; %bb.96:
	v_cmp_eq_f32_e64 s0, 0xff800000, v12
	s_delay_alu instid0(VALU_DEP_1)
	v_cndmask_b32_e64 v7, v2, s10, s0
; %bb.97:
	s_or_b32 exec_lo, exec_lo, s1
.LBB532_98:
	s_delay_alu instid0(SALU_CYCLE_1) | instskip(NEXT) | instid1(SALU_CYCLE_1)
	s_or_b32 exec_lo, exec_lo, s6
	s_or_b32 exec_lo, exec_lo, s3
	s_and_saveexec_b32 s0, vcc_lo
	s_delay_alu instid0(SALU_CYCLE_1)
	s_xor_b32 s0, exec_lo, s0
	s_cbranch_execnz .LBB532_109
.LBB532_99:
	s_or_b32 exec_lo, exec_lo, s0
	s_delay_alu instid0(SALU_CYCLE_1)
	s_mov_b32 s0, exec_lo
	v_cmpx_gt_i32_e64 s8, v0
	s_cbranch_execz .LBB532_110
.LBB532_100:
	v_dual_mov_b32 v2, 0 :: v_dual_add_nc_u32 v1, s2, v0
	v_add_nc_u32_e32 v0, 0x100, v0
	s_delay_alu instid0(VALU_DEP_2) | instskip(NEXT) | instid1(VALU_DEP_1)
	v_lshlrev_b64 v[1:2], 1, v[1:2]
	v_add_co_u32 v1, vcc_lo, s4, v1
	s_delay_alu instid0(VALU_DEP_2) | instskip(SKIP_2) | instid1(SALU_CYCLE_1)
	v_add_co_ci_u32_e32 v2, vcc_lo, s5, v2, vcc_lo
	global_store_b16 v[1:2], v6, off
	s_or_b32 exec_lo, exec_lo, s0
	s_mov_b32 s0, exec_lo
	v_cmpx_gt_i32_e64 s8, v0
	s_cbranch_execnz .LBB532_111
.LBB532_101:
	s_or_b32 exec_lo, exec_lo, s0
	s_delay_alu instid0(SALU_CYCLE_1)
	s_mov_b32 s0, exec_lo
	v_cmpx_gt_i32_e64 s8, v0
	s_cbranch_execz .LBB532_112
.LBB532_102:
	v_dual_mov_b32 v2, 0 :: v_dual_add_nc_u32 v1, s2, v0
	v_add_nc_u32_e32 v0, 0x100, v0
	s_delay_alu instid0(VALU_DEP_2) | instskip(NEXT) | instid1(VALU_DEP_1)
	v_lshlrev_b64 v[1:2], 1, v[1:2]
	v_add_co_u32 v1, vcc_lo, s4, v1
	s_delay_alu instid0(VALU_DEP_2) | instskip(SKIP_2) | instid1(SALU_CYCLE_1)
	v_add_co_ci_u32_e32 v2, vcc_lo, s5, v2, vcc_lo
	global_store_b16 v[1:2], v11, off
	s_or_b32 exec_lo, exec_lo, s0
	s_mov_b32 s0, exec_lo
	v_cmpx_gt_i32_e64 s8, v0
	s_cbranch_execnz .LBB532_113
.LBB532_103:
	s_or_b32 exec_lo, exec_lo, s0
	s_delay_alu instid0(SALU_CYCLE_1)
	s_mov_b32 s0, exec_lo
	v_cmpx_gt_i32_e64 s8, v0
	s_cbranch_execz .LBB532_114
.LBB532_104:
	v_dual_mov_b32 v2, 0 :: v_dual_add_nc_u32 v1, s2, v0
	v_add_nc_u32_e32 v0, 0x100, v0
	s_delay_alu instid0(VALU_DEP_2) | instskip(NEXT) | instid1(VALU_DEP_1)
	v_lshlrev_b64 v[1:2], 1, v[1:2]
	v_add_co_u32 v1, vcc_lo, s4, v1
	s_delay_alu instid0(VALU_DEP_2) | instskip(SKIP_2) | instid1(SALU_CYCLE_1)
	v_add_co_ci_u32_e32 v2, vcc_lo, s5, v2, vcc_lo
	global_store_b16 v[1:2], v10, off
	s_or_b32 exec_lo, exec_lo, s0
	s_mov_b32 s0, exec_lo
	v_cmpx_gt_i32_e64 s8, v0
	s_cbranch_execnz .LBB532_115
.LBB532_105:
	s_or_b32 exec_lo, exec_lo, s0
	s_delay_alu instid0(SALU_CYCLE_1)
	s_mov_b32 s0, exec_lo
	v_cmpx_gt_i32_e64 s8, v0
	s_cbranch_execz .LBB532_107
.LBB532_106:
	v_dual_mov_b32 v1, 0 :: v_dual_add_nc_u32 v0, s2, v0
	s_delay_alu instid0(VALU_DEP_1) | instskip(NEXT) | instid1(VALU_DEP_1)
	v_lshlrev_b64 v[0:1], 1, v[0:1]
	v_add_co_u32 v0, vcc_lo, s4, v0
	s_delay_alu instid0(VALU_DEP_2)
	v_add_co_ci_u32_e32 v1, vcc_lo, s5, v1, vcc_lo
	global_store_b16 v[0:1], v7, off
.LBB532_107:
	s_nop 0
	s_sendmsg sendmsg(MSG_DEALLOC_VGPRS)
	s_endpgm
.LBB532_108:
	s_or_b32 exec_lo, exec_lo, s3
	s_and_saveexec_b32 s0, vcc_lo
	s_delay_alu instid0(SALU_CYCLE_1)
	s_xor_b32 s0, exec_lo, s0
	s_cbranch_execz .LBB532_99
.LBB532_109:
	v_mov_b32_e32 v2, 0
	s_delay_alu instid0(VALU_DEP_1) | instskip(NEXT) | instid1(VALU_DEP_1)
	v_lshlrev_b64 v[0:1], 1, v[1:2]
	v_add_co_u32 v12, vcc_lo, s4, v0
	s_delay_alu instid0(VALU_DEP_2) | instskip(SKIP_3) | instid1(SALU_CYCLE_1)
	v_add_co_ci_u32_e32 v13, vcc_lo, s5, v1, vcc_lo
	v_mov_b32_e32 v0, v3
	global_store_b16 v[12:13], v4, off
	s_or_b32 exec_lo, exec_lo, s0
	s_mov_b32 s0, exec_lo
	v_cmpx_gt_i32_e64 s8, v0
	s_cbranch_execnz .LBB532_100
.LBB532_110:
	s_or_b32 exec_lo, exec_lo, s0
	s_delay_alu instid0(SALU_CYCLE_1)
	s_mov_b32 s0, exec_lo
	v_cmpx_gt_i32_e64 s8, v0
	s_cbranch_execz .LBB532_101
.LBB532_111:
	v_dual_mov_b32 v2, 0 :: v_dual_add_nc_u32 v1, s2, v0
	v_add_nc_u32_e32 v0, 0x100, v0
	s_delay_alu instid0(VALU_DEP_2) | instskip(NEXT) | instid1(VALU_DEP_1)
	v_lshlrev_b64 v[1:2], 1, v[1:2]
	v_add_co_u32 v1, vcc_lo, s4, v1
	s_delay_alu instid0(VALU_DEP_2) | instskip(SKIP_2) | instid1(SALU_CYCLE_1)
	v_add_co_ci_u32_e32 v2, vcc_lo, s5, v2, vcc_lo
	global_store_b16 v[1:2], v8, off
	s_or_b32 exec_lo, exec_lo, s0
	s_mov_b32 s0, exec_lo
	v_cmpx_gt_i32_e64 s8, v0
	s_cbranch_execnz .LBB532_102
.LBB532_112:
	s_or_b32 exec_lo, exec_lo, s0
	s_delay_alu instid0(SALU_CYCLE_1)
	s_mov_b32 s0, exec_lo
	v_cmpx_gt_i32_e64 s8, v0
	s_cbranch_execz .LBB532_103
.LBB532_113:
	v_dual_mov_b32 v2, 0 :: v_dual_add_nc_u32 v1, s2, v0
	v_add_nc_u32_e32 v0, 0x100, v0
	s_delay_alu instid0(VALU_DEP_2) | instskip(NEXT) | instid1(VALU_DEP_1)
	v_lshlrev_b64 v[1:2], 1, v[1:2]
	v_add_co_u32 v1, vcc_lo, s4, v1
	s_delay_alu instid0(VALU_DEP_2) | instskip(SKIP_2) | instid1(SALU_CYCLE_1)
	v_add_co_ci_u32_e32 v2, vcc_lo, s5, v2, vcc_lo
	global_store_b16 v[1:2], v9, off
	s_or_b32 exec_lo, exec_lo, s0
	s_mov_b32 s0, exec_lo
	v_cmpx_gt_i32_e64 s8, v0
	s_cbranch_execnz .LBB532_104
.LBB532_114:
	s_or_b32 exec_lo, exec_lo, s0
	s_delay_alu instid0(SALU_CYCLE_1)
	s_mov_b32 s0, exec_lo
	v_cmpx_gt_i32_e64 s8, v0
	s_cbranch_execz .LBB532_105
.LBB532_115:
	v_dual_mov_b32 v2, 0 :: v_dual_add_nc_u32 v1, s2, v0
	v_add_nc_u32_e32 v0, 0x100, v0
	s_delay_alu instid0(VALU_DEP_2) | instskip(NEXT) | instid1(VALU_DEP_1)
	v_lshlrev_b64 v[1:2], 1, v[1:2]
	v_add_co_u32 v1, vcc_lo, s4, v1
	s_delay_alu instid0(VALU_DEP_2) | instskip(SKIP_2) | instid1(SALU_CYCLE_1)
	v_add_co_ci_u32_e32 v2, vcc_lo, s5, v2, vcc_lo
	global_store_b16 v[1:2], v5, off
	s_or_b32 exec_lo, exec_lo, s0
	s_mov_b32 s0, exec_lo
	v_cmpx_gt_i32_e64 s8, v0
	s_cbranch_execnz .LBB532_106
	s_branch .LBB532_107
	.section	.rodata,"a",@progbits
	.p2align	6, 0x0
	.amdhsa_kernel _ZN2at6native29vectorized_elementwise_kernelILi4EZZZNS0_22nan_to_num_kernel_cudaERNS_18TensorIteratorBaseESt8optionalIdES5_S5_ENKUlvE0_clEvENKUlvE2_clEvEUlN3c108BFloat16EE_St5arrayIPcLm2EEEEviT0_T1_
		.amdhsa_group_segment_fixed_size 0
		.amdhsa_private_segment_fixed_size 0
		.amdhsa_kernarg_size 32
		.amdhsa_user_sgpr_count 15
		.amdhsa_user_sgpr_dispatch_ptr 0
		.amdhsa_user_sgpr_queue_ptr 0
		.amdhsa_user_sgpr_kernarg_segment_ptr 1
		.amdhsa_user_sgpr_dispatch_id 0
		.amdhsa_user_sgpr_private_segment_size 0
		.amdhsa_wavefront_size32 1
		.amdhsa_uses_dynamic_stack 0
		.amdhsa_enable_private_segment 0
		.amdhsa_system_sgpr_workgroup_id_x 1
		.amdhsa_system_sgpr_workgroup_id_y 0
		.amdhsa_system_sgpr_workgroup_id_z 0
		.amdhsa_system_sgpr_workgroup_info 0
		.amdhsa_system_vgpr_workitem_id 0
		.amdhsa_next_free_vgpr 14
		.amdhsa_next_free_sgpr 16
		.amdhsa_reserve_vcc 1
		.amdhsa_float_round_mode_32 0
		.amdhsa_float_round_mode_16_64 0
		.amdhsa_float_denorm_mode_32 3
		.amdhsa_float_denorm_mode_16_64 3
		.amdhsa_dx10_clamp 1
		.amdhsa_ieee_mode 1
		.amdhsa_fp16_overflow 0
		.amdhsa_workgroup_processor_mode 1
		.amdhsa_memory_ordered 1
		.amdhsa_forward_progress 0
		.amdhsa_shared_vgpr_count 0
		.amdhsa_exception_fp_ieee_invalid_op 0
		.amdhsa_exception_fp_denorm_src 0
		.amdhsa_exception_fp_ieee_div_zero 0
		.amdhsa_exception_fp_ieee_overflow 0
		.amdhsa_exception_fp_ieee_underflow 0
		.amdhsa_exception_fp_ieee_inexact 0
		.amdhsa_exception_int_div_zero 0
	.end_amdhsa_kernel
	.section	.text._ZN2at6native29vectorized_elementwise_kernelILi4EZZZNS0_22nan_to_num_kernel_cudaERNS_18TensorIteratorBaseESt8optionalIdES5_S5_ENKUlvE0_clEvENKUlvE2_clEvEUlN3c108BFloat16EE_St5arrayIPcLm2EEEEviT0_T1_,"axG",@progbits,_ZN2at6native29vectorized_elementwise_kernelILi4EZZZNS0_22nan_to_num_kernel_cudaERNS_18TensorIteratorBaseESt8optionalIdES5_S5_ENKUlvE0_clEvENKUlvE2_clEvEUlN3c108BFloat16EE_St5arrayIPcLm2EEEEviT0_T1_,comdat
.Lfunc_end532:
	.size	_ZN2at6native29vectorized_elementwise_kernelILi4EZZZNS0_22nan_to_num_kernel_cudaERNS_18TensorIteratorBaseESt8optionalIdES5_S5_ENKUlvE0_clEvENKUlvE2_clEvEUlN3c108BFloat16EE_St5arrayIPcLm2EEEEviT0_T1_, .Lfunc_end532-_ZN2at6native29vectorized_elementwise_kernelILi4EZZZNS0_22nan_to_num_kernel_cudaERNS_18TensorIteratorBaseESt8optionalIdES5_S5_ENKUlvE0_clEvENKUlvE2_clEvEUlN3c108BFloat16EE_St5arrayIPcLm2EEEEviT0_T1_
                                        ; -- End function
	.section	.AMDGPU.csdata,"",@progbits
; Kernel info:
; codeLenInByte = 3116
; NumSgprs: 18
; NumVgprs: 14
; ScratchSize: 0
; MemoryBound: 0
; FloatMode: 240
; IeeeMode: 1
; LDSByteSize: 0 bytes/workgroup (compile time only)
; SGPRBlocks: 2
; VGPRBlocks: 1
; NumSGPRsForWavesPerEU: 18
; NumVGPRsForWavesPerEU: 14
; Occupancy: 16
; WaveLimiterHint : 1
; COMPUTE_PGM_RSRC2:SCRATCH_EN: 0
; COMPUTE_PGM_RSRC2:USER_SGPR: 15
; COMPUTE_PGM_RSRC2:TRAP_HANDLER: 0
; COMPUTE_PGM_RSRC2:TGID_X_EN: 1
; COMPUTE_PGM_RSRC2:TGID_Y_EN: 0
; COMPUTE_PGM_RSRC2:TGID_Z_EN: 0
; COMPUTE_PGM_RSRC2:TIDIG_COMP_CNT: 0
	.section	.text._ZN2at6native29vectorized_elementwise_kernelILi2EZZZNS0_22nan_to_num_kernel_cudaERNS_18TensorIteratorBaseESt8optionalIdES5_S5_ENKUlvE0_clEvENKUlvE2_clEvEUlN3c108BFloat16EE_St5arrayIPcLm2EEEEviT0_T1_,"axG",@progbits,_ZN2at6native29vectorized_elementwise_kernelILi2EZZZNS0_22nan_to_num_kernel_cudaERNS_18TensorIteratorBaseESt8optionalIdES5_S5_ENKUlvE0_clEvENKUlvE2_clEvEUlN3c108BFloat16EE_St5arrayIPcLm2EEEEviT0_T1_,comdat
	.globl	_ZN2at6native29vectorized_elementwise_kernelILi2EZZZNS0_22nan_to_num_kernel_cudaERNS_18TensorIteratorBaseESt8optionalIdES5_S5_ENKUlvE0_clEvENKUlvE2_clEvEUlN3c108BFloat16EE_St5arrayIPcLm2EEEEviT0_T1_ ; -- Begin function _ZN2at6native29vectorized_elementwise_kernelILi2EZZZNS0_22nan_to_num_kernel_cudaERNS_18TensorIteratorBaseESt8optionalIdES5_S5_ENKUlvE0_clEvENKUlvE2_clEvEUlN3c108BFloat16EE_St5arrayIPcLm2EEEEviT0_T1_
	.p2align	8
	.type	_ZN2at6native29vectorized_elementwise_kernelILi2EZZZNS0_22nan_to_num_kernel_cudaERNS_18TensorIteratorBaseESt8optionalIdES5_S5_ENKUlvE0_clEvENKUlvE2_clEvEUlN3c108BFloat16EE_St5arrayIPcLm2EEEEviT0_T1_,@function
_ZN2at6native29vectorized_elementwise_kernelILi2EZZZNS0_22nan_to_num_kernel_cudaERNS_18TensorIteratorBaseESt8optionalIdES5_S5_ENKUlvE0_clEvENKUlvE2_clEvEUlN3c108BFloat16EE_St5arrayIPcLm2EEEEviT0_T1_: ; @_ZN2at6native29vectorized_elementwise_kernelILi2EZZZNS0_22nan_to_num_kernel_cudaERNS_18TensorIteratorBaseESt8optionalIdES5_S5_ENKUlvE0_clEvENKUlvE2_clEvEUlN3c108BFloat16EE_St5arrayIPcLm2EEEEviT0_T1_
; %bb.0:
	s_clause 0x2
	s_load_b64 s[8:9], s[0:1], 0x0
	s_load_b32 s3, s[0:1], 0x8
	s_load_b128 s[4:7], s[0:1], 0x10
	s_lshl_b32 s2, s15, 11
	s_mov_b32 s0, -1
	s_waitcnt lgkmcnt(0)
	s_sub_i32 s8, s8, s2
	s_and_b32 s10, s3, 0xffff
	s_cmpk_gt_i32 s8, 0x7ff
	s_cbranch_scc0 .LBB533_34
; %bb.1:
	s_ashr_i32 s3, s2, 31
	v_dual_mov_b32 v2, s9 :: v_dual_lshlrev_b32 v1, 2, v0
	s_lshl_b64 s[0:1], s[2:3], 1
	s_lshr_b32 s3, s9, 16
	s_add_u32 s12, s6, s0
	s_addc_u32 s13, s7, s1
	s_clause 0x3
	global_load_b32 v5, v1, s[12:13]
	global_load_b32 v8, v1, s[12:13] offset:1024
	global_load_b32 v6, v1, s[12:13] offset:2048
	;; [unrolled: 1-line block ×3, first 2 shown]
	s_mov_b32 s11, exec_lo
	s_waitcnt vmcnt(3)
	v_lshlrev_b32_e32 v4, 16, v5
	s_delay_alu instid0(VALU_DEP_1)
	v_cmpx_o_f32_e32 v4, v4
	s_cbranch_execz .LBB533_5
; %bb.2:
	v_mov_b32_e32 v2, s3
	s_mov_b32 s12, exec_lo
	v_cmpx_neq_f32_e32 0x7f800000, v4
; %bb.3:
	v_cmp_eq_f32_e32 vcc_lo, 0xff800000, v4
	v_cndmask_b32_e64 v2, v5, s10, vcc_lo
; %bb.4:
	s_or_b32 exec_lo, exec_lo, s12
.LBB533_5:
	s_delay_alu instid0(SALU_CYCLE_1) | instskip(SKIP_2) | instid1(VALU_DEP_1)
	s_or_b32 exec_lo, exec_lo, s11
	v_dual_mov_b32 v4, s9 :: v_dual_and_b32 v7, 0xffff0000, v5
	s_mov_b32 s11, exec_lo
	v_cmpx_o_f32_e32 v7, v7
	s_cbranch_execz .LBB533_9
; %bb.6:
	v_mov_b32_e32 v4, s3
	s_mov_b32 s12, exec_lo
	v_cmpx_neq_f32_e32 0x7f800000, v7
; %bb.7:
	v_lshrrev_b32_e32 v4, 16, v5
	v_cmp_eq_f32_e32 vcc_lo, 0xff800000, v7
	s_delay_alu instid0(VALU_DEP_2)
	v_cndmask_b32_e64 v4, v4, s10, vcc_lo
; %bb.8:
	s_or_b32 exec_lo, exec_lo, s12
.LBB533_9:
	s_delay_alu instid0(SALU_CYCLE_1) | instskip(SKIP_4) | instid1(VALU_DEP_2)
	s_or_b32 exec_lo, exec_lo, s11
	s_waitcnt vmcnt(2)
	v_lshlrev_b32_e32 v7, 16, v8
	v_mov_b32_e32 v5, s9
	s_mov_b32 s11, exec_lo
	v_cmpx_o_f32_e32 v7, v7
	s_cbranch_execz .LBB533_13
; %bb.10:
	v_mov_b32_e32 v5, s3
	s_mov_b32 s12, exec_lo
	v_cmpx_neq_f32_e32 0x7f800000, v7
; %bb.11:
	v_cmp_eq_f32_e32 vcc_lo, 0xff800000, v7
	v_cndmask_b32_e64 v5, v8, s10, vcc_lo
; %bb.12:
	s_or_b32 exec_lo, exec_lo, s12
.LBB533_13:
	s_delay_alu instid0(SALU_CYCLE_1) | instskip(SKIP_3) | instid1(VALU_DEP_2)
	s_or_b32 exec_lo, exec_lo, s11
	v_and_b32_e32 v9, 0xffff0000, v8
	v_mov_b32_e32 v7, s9
	s_mov_b32 s11, exec_lo
	v_cmpx_o_f32_e32 v9, v9
	s_cbranch_execz .LBB533_17
; %bb.14:
	v_mov_b32_e32 v7, s3
	s_mov_b32 s12, exec_lo
	v_cmpx_neq_f32_e32 0x7f800000, v9
; %bb.15:
	v_lshrrev_b32_e32 v7, 16, v8
	v_cmp_eq_f32_e32 vcc_lo, 0xff800000, v9
	s_delay_alu instid0(VALU_DEP_2)
	v_cndmask_b32_e64 v7, v7, s10, vcc_lo
; %bb.16:
	s_or_b32 exec_lo, exec_lo, s12
.LBB533_17:
	s_delay_alu instid0(SALU_CYCLE_1) | instskip(SKIP_3) | instid1(VALU_DEP_1)
	s_or_b32 exec_lo, exec_lo, s11
	s_waitcnt vmcnt(1)
	v_dual_mov_b32 v8, s9 :: v_dual_lshlrev_b32 v9, 16, v6
	s_mov_b32 s11, exec_lo
	v_cmpx_o_f32_e32 v9, v9
	s_cbranch_execz .LBB533_21
; %bb.18:
	v_mov_b32_e32 v8, s3
	s_mov_b32 s12, exec_lo
	v_cmpx_neq_f32_e32 0x7f800000, v9
; %bb.19:
	v_cmp_eq_f32_e32 vcc_lo, 0xff800000, v9
	v_cndmask_b32_e64 v8, v6, s10, vcc_lo
; %bb.20:
	s_or_b32 exec_lo, exec_lo, s12
.LBB533_21:
	s_delay_alu instid0(SALU_CYCLE_1) | instskip(SKIP_2) | instid1(VALU_DEP_1)
	s_or_b32 exec_lo, exec_lo, s11
	v_dual_mov_b32 v9, s9 :: v_dual_and_b32 v10, 0xffff0000, v6
	s_mov_b32 s11, exec_lo
	v_cmpx_o_f32_e32 v10, v10
	s_cbranch_execz .LBB533_25
; %bb.22:
	v_mov_b32_e32 v9, s3
	s_mov_b32 s12, exec_lo
	v_cmpx_neq_f32_e32 0x7f800000, v10
; %bb.23:
	v_lshrrev_b32_e32 v6, 16, v6
	v_cmp_eq_f32_e32 vcc_lo, 0xff800000, v10
	s_delay_alu instid0(VALU_DEP_2)
	v_cndmask_b32_e64 v9, v6, s10, vcc_lo
; %bb.24:
	s_or_b32 exec_lo, exec_lo, s12
.LBB533_25:
	s_delay_alu instid0(SALU_CYCLE_1) | instskip(SKIP_4) | instid1(VALU_DEP_2)
	s_or_b32 exec_lo, exec_lo, s11
	s_waitcnt vmcnt(0)
	v_lshlrev_b32_e32 v10, 16, v3
	v_mov_b32_e32 v6, s9
	s_mov_b32 s11, exec_lo
	v_cmpx_o_f32_e32 v10, v10
	s_cbranch_execz .LBB533_29
; %bb.26:
	v_mov_b32_e32 v6, s3
	s_mov_b32 s12, exec_lo
	v_cmpx_neq_f32_e32 0x7f800000, v10
; %bb.27:
	v_cmp_eq_f32_e32 vcc_lo, 0xff800000, v10
	v_cndmask_b32_e64 v6, v3, s10, vcc_lo
; %bb.28:
	s_or_b32 exec_lo, exec_lo, s12
.LBB533_29:
	s_delay_alu instid0(SALU_CYCLE_1) | instskip(SKIP_2) | instid1(VALU_DEP_1)
	s_or_b32 exec_lo, exec_lo, s11
	v_dual_mov_b32 v10, s9 :: v_dual_and_b32 v11, 0xffff0000, v3
	s_mov_b32 s11, exec_lo
	v_cmpx_o_f32_e32 v11, v11
	s_cbranch_execz .LBB533_33
; %bb.30:
	v_mov_b32_e32 v10, s3
	s_mov_b32 s3, exec_lo
	v_cmpx_neq_f32_e32 0x7f800000, v11
; %bb.31:
	v_lshrrev_b32_e32 v3, 16, v3
	v_cmp_eq_f32_e32 vcc_lo, 0xff800000, v11
	s_delay_alu instid0(VALU_DEP_2)
	v_cndmask_b32_e64 v10, v3, s10, vcc_lo
; %bb.32:
	s_or_b32 exec_lo, exec_lo, s3
.LBB533_33:
	s_delay_alu instid0(SALU_CYCLE_1)
	s_or_b32 exec_lo, exec_lo, s11
	v_and_b32_e32 v2, 0xffff, v2
	v_and_b32_e32 v3, 0xffff, v5
	;; [unrolled: 1-line block ×4, first 2 shown]
	s_add_u32 s12, s4, s0
	v_lshl_or_b32 v2, v4, 16, v2
	v_lshl_or_b32 v3, v7, 16, v3
	;; [unrolled: 1-line block ×3, first 2 shown]
	s_addc_u32 s13, s5, s1
	v_lshl_or_b32 v5, v10, 16, v6
	s_mov_b32 s0, 0
	s_clause 0x3
	global_store_b32 v1, v2, s[12:13]
	global_store_b32 v1, v3, s[12:13] offset:1024
	global_store_b32 v1, v4, s[12:13] offset:2048
	;; [unrolled: 1-line block ×3, first 2 shown]
.LBB533_34:
	s_and_b32 vcc_lo, exec_lo, s0
	s_cbranch_vccz .LBB533_107
; %bb.35:
	v_cmp_gt_i32_e32 vcc_lo, s8, v0
	v_mov_b32_e32 v8, 0
	v_or_b32_e32 v1, s2, v0
	v_or_b32_e32 v3, 0x100, v0
	v_mov_b32_e32 v6, 0
	v_mov_b32_e32 v4, v0
	s_and_saveexec_b32 s1, vcc_lo
	s_cbranch_execz .LBB533_37
; %bb.36:
	v_mov_b32_e32 v2, 0
	s_delay_alu instid0(VALU_DEP_1) | instskip(NEXT) | instid1(VALU_DEP_1)
	v_lshlrev_b64 v[4:5], 1, v[1:2]
	v_add_co_u32 v4, s0, s6, v4
	s_delay_alu instid0(VALU_DEP_1)
	v_add_co_ci_u32_e64 v5, s0, s7, v5, s0
	global_load_u16 v6, v[4:5], off
	v_or_b32_e32 v4, 0x100, v0
.LBB533_37:
	s_or_b32 exec_lo, exec_lo, s1
	s_delay_alu instid0(SALU_CYCLE_1) | instskip(NEXT) | instid1(VALU_DEP_1)
	s_mov_b32 s1, exec_lo
	v_cmpx_gt_i32_e64 s8, v4
	s_cbranch_execz .LBB533_39
; %bb.38:
	v_dual_mov_b32 v8, 0 :: v_dual_add_nc_u32 v7, s2, v4
	v_add_nc_u32_e32 v4, 0x100, v4
	s_delay_alu instid0(VALU_DEP_2) | instskip(NEXT) | instid1(VALU_DEP_1)
	v_lshlrev_b64 v[7:8], 1, v[7:8]
	v_add_co_u32 v7, s0, s6, v7
	s_delay_alu instid0(VALU_DEP_1)
	v_add_co_ci_u32_e64 v8, s0, s7, v8, s0
	global_load_u16 v8, v[7:8], off
.LBB533_39:
	s_or_b32 exec_lo, exec_lo, s1
	v_mov_b32_e32 v9, 0
	v_mov_b32_e32 v11, 0
	s_mov_b32 s1, exec_lo
	v_cmpx_gt_i32_e64 s8, v4
	s_cbranch_execz .LBB533_41
; %bb.40:
	v_dual_mov_b32 v11, 0 :: v_dual_add_nc_u32 v10, s2, v4
	v_add_nc_u32_e32 v4, 0x100, v4
	s_delay_alu instid0(VALU_DEP_2) | instskip(NEXT) | instid1(VALU_DEP_1)
	v_lshlrev_b64 v[10:11], 1, v[10:11]
	v_add_co_u32 v10, s0, s6, v10
	s_delay_alu instid0(VALU_DEP_1)
	v_add_co_ci_u32_e64 v11, s0, s7, v11, s0
	global_load_u16 v11, v[10:11], off
.LBB533_41:
	s_or_b32 exec_lo, exec_lo, s1
	s_delay_alu instid0(SALU_CYCLE_1)
	s_mov_b32 s1, exec_lo
	v_cmpx_gt_i32_e64 s8, v4
	s_cbranch_execz .LBB533_43
; %bb.42:
	v_dual_mov_b32 v10, 0 :: v_dual_add_nc_u32 v9, s2, v4
	v_add_nc_u32_e32 v4, 0x100, v4
	s_delay_alu instid0(VALU_DEP_2) | instskip(NEXT) | instid1(VALU_DEP_1)
	v_lshlrev_b64 v[9:10], 1, v[9:10]
	v_add_co_u32 v9, s0, s6, v9
	s_delay_alu instid0(VALU_DEP_1)
	v_add_co_ci_u32_e64 v10, s0, s7, v10, s0
	global_load_u16 v9, v[9:10], off
.LBB533_43:
	s_or_b32 exec_lo, exec_lo, s1
	v_dual_mov_b32 v5, 0 :: v_dual_mov_b32 v10, 0
	s_mov_b32 s1, exec_lo
	v_cmpx_gt_i32_e64 s8, v4
	s_cbranch_execz .LBB533_45
; %bb.44:
	v_dual_mov_b32 v13, 0 :: v_dual_add_nc_u32 v12, s2, v4
	v_add_nc_u32_e32 v4, 0x100, v4
	s_delay_alu instid0(VALU_DEP_2) | instskip(NEXT) | instid1(VALU_DEP_1)
	v_lshlrev_b64 v[12:13], 1, v[12:13]
	v_add_co_u32 v12, s0, s6, v12
	s_delay_alu instid0(VALU_DEP_1)
	v_add_co_ci_u32_e64 v13, s0, s7, v13, s0
	global_load_u16 v10, v[12:13], off
.LBB533_45:
	s_or_b32 exec_lo, exec_lo, s1
	s_delay_alu instid0(SALU_CYCLE_1)
	s_mov_b32 s1, exec_lo
	v_cmpx_gt_i32_e64 s8, v4
	s_cbranch_execz .LBB533_47
; %bb.46:
	v_dual_mov_b32 v13, 0 :: v_dual_add_nc_u32 v12, s2, v4
	v_add_nc_u32_e32 v4, 0x100, v4
	s_delay_alu instid0(VALU_DEP_2) | instskip(NEXT) | instid1(VALU_DEP_1)
	v_lshlrev_b64 v[12:13], 1, v[12:13]
	v_add_co_u32 v12, s0, s6, v12
	s_delay_alu instid0(VALU_DEP_1)
	v_add_co_ci_u32_e64 v13, s0, s7, v13, s0
	global_load_u16 v5, v[12:13], off
.LBB533_47:
	s_or_b32 exec_lo, exec_lo, s1
	v_dual_mov_b32 v2, 0 :: v_dual_mov_b32 v7, 0
	s_mov_b32 s1, exec_lo
	v_cmpx_gt_i32_e64 s8, v4
	s_cbranch_execz .LBB533_49
; %bb.48:
	v_dual_mov_b32 v13, 0 :: v_dual_add_nc_u32 v12, s2, v4
	v_add_nc_u32_e32 v4, 0x100, v4
	s_delay_alu instid0(VALU_DEP_2) | instskip(NEXT) | instid1(VALU_DEP_1)
	v_lshlrev_b64 v[12:13], 1, v[12:13]
	v_add_co_u32 v12, s0, s6, v12
	s_delay_alu instid0(VALU_DEP_1) | instskip(SKIP_2) | instid1(SALU_CYCLE_1)
	v_add_co_ci_u32_e64 v13, s0, s7, v13, s0
	global_load_u16 v7, v[12:13], off
	s_or_b32 exec_lo, exec_lo, s1
	s_mov_b32 s1, exec_lo
	v_cmpx_gt_i32_e64 s8, v4
	s_cbranch_execz .LBB533_51
	s_branch .LBB533_50
.LBB533_49:
	s_or_b32 exec_lo, exec_lo, s1
	s_delay_alu instid0(SALU_CYCLE_1)
	s_mov_b32 s1, exec_lo
	v_cmpx_gt_i32_e64 s8, v4
	s_cbranch_execz .LBB533_51
.LBB533_50:
	v_dual_mov_b32 v13, 0 :: v_dual_add_nc_u32 v12, s2, v4
	s_delay_alu instid0(VALU_DEP_1) | instskip(NEXT) | instid1(VALU_DEP_1)
	v_lshlrev_b64 v[12:13], 1, v[12:13]
	v_add_co_u32 v12, s0, s6, v12
	s_delay_alu instid0(VALU_DEP_1)
	v_add_co_ci_u32_e64 v13, s0, s7, v13, s0
	global_load_u16 v2, v[12:13], off
.LBB533_51:
	s_or_b32 exec_lo, exec_lo, s1
	s_lshr_b32 s1, s9, 16
                                        ; implicit-def: $vgpr4
	s_and_saveexec_b32 s3, vcc_lo
	s_cbranch_execz .LBB533_57
; %bb.52:
	s_waitcnt vmcnt(0)
	v_lshlrev_b32_e32 v12, 16, v6
	v_mov_b32_e32 v4, s9
	s_mov_b32 s6, exec_lo
	s_delay_alu instid0(VALU_DEP_2)
	v_cmpx_o_f32_e32 v12, v12
	s_cbranch_execz .LBB533_56
; %bb.53:
	v_mov_b32_e32 v4, s1
	s_mov_b32 s7, exec_lo
	v_cmpx_neq_f32_e32 0x7f800000, v12
; %bb.54:
	v_cmp_eq_f32_e64 s0, 0xff800000, v12
	s_delay_alu instid0(VALU_DEP_1)
	v_cndmask_b32_e64 v4, v6, s10, s0
; %bb.55:
	s_or_b32 exec_lo, exec_lo, s7
.LBB533_56:
	s_delay_alu instid0(SALU_CYCLE_1)
	s_or_b32 exec_lo, exec_lo, s6
.LBB533_57:
	s_delay_alu instid0(SALU_CYCLE_1) | instskip(NEXT) | instid1(SALU_CYCLE_1)
	s_or_b32 exec_lo, exec_lo, s3
	s_mov_b32 s3, exec_lo
                                        ; implicit-def: $vgpr6
	v_cmpx_gt_i32_e64 s8, v3
	s_cbranch_execz .LBB533_63
; %bb.58:
	s_waitcnt vmcnt(0)
	v_lshlrev_b32_e32 v12, 16, v8
	v_mov_b32_e32 v6, s9
	s_mov_b32 s6, exec_lo
	s_delay_alu instid0(VALU_DEP_2)
	v_cmpx_o_f32_e32 v12, v12
	s_cbranch_execz .LBB533_62
; %bb.59:
	v_mov_b32_e32 v6, s1
	s_mov_b32 s7, exec_lo
	v_cmpx_neq_f32_e32 0x7f800000, v12
; %bb.60:
	v_cmp_eq_f32_e64 s0, 0xff800000, v12
	s_delay_alu instid0(VALU_DEP_1)
	v_cndmask_b32_e64 v6, v8, s10, s0
; %bb.61:
	s_or_b32 exec_lo, exec_lo, s7
.LBB533_62:
	s_delay_alu instid0(SALU_CYCLE_1)
	s_or_b32 exec_lo, exec_lo, s6
.LBB533_63:
	s_delay_alu instid0(SALU_CYCLE_1) | instskip(SKIP_2) | instid1(VALU_DEP_1)
	s_or_b32 exec_lo, exec_lo, s3
	s_waitcnt vmcnt(0)
	v_or_b32_e32 v8, 0x200, v0
	v_cmp_gt_i32_e64 s0, s8, v8
                                        ; implicit-def: $vgpr8
	s_delay_alu instid0(VALU_DEP_1)
	s_and_saveexec_b32 s3, s0
	s_cbranch_execz .LBB533_69
; %bb.64:
	v_lshlrev_b32_e32 v12, 16, v11
	v_mov_b32_e32 v8, s9
	s_mov_b32 s6, exec_lo
	s_delay_alu instid0(VALU_DEP_2)
	v_cmpx_o_f32_e32 v12, v12
	s_cbranch_execz .LBB533_68
; %bb.65:
	v_mov_b32_e32 v8, s1
	s_mov_b32 s7, exec_lo
	v_cmpx_neq_f32_e32 0x7f800000, v12
; %bb.66:
	v_cmp_eq_f32_e64 s0, 0xff800000, v12
	s_delay_alu instid0(VALU_DEP_1)
	v_cndmask_b32_e64 v8, v11, s10, s0
; %bb.67:
	s_or_b32 exec_lo, exec_lo, s7
.LBB533_68:
	s_delay_alu instid0(SALU_CYCLE_1)
	s_or_b32 exec_lo, exec_lo, s6
.LBB533_69:
	s_delay_alu instid0(SALU_CYCLE_1) | instskip(SKIP_1) | instid1(VALU_DEP_1)
	s_or_b32 exec_lo, exec_lo, s3
	v_or_b32_e32 v11, 0x300, v0
	v_cmp_gt_i32_e64 s0, s8, v11
                                        ; implicit-def: $vgpr11
	s_delay_alu instid0(VALU_DEP_1)
	s_and_saveexec_b32 s3, s0
	s_cbranch_execz .LBB533_75
; %bb.70:
	v_dual_mov_b32 v11, s9 :: v_dual_lshlrev_b32 v12, 16, v9
	s_mov_b32 s6, exec_lo
	s_delay_alu instid0(VALU_DEP_1)
	v_cmpx_o_f32_e32 v12, v12
	s_cbranch_execz .LBB533_74
; %bb.71:
	v_mov_b32_e32 v11, s1
	s_mov_b32 s7, exec_lo
	v_cmpx_neq_f32_e32 0x7f800000, v12
; %bb.72:
	v_cmp_eq_f32_e64 s0, 0xff800000, v12
	s_delay_alu instid0(VALU_DEP_1)
	v_cndmask_b32_e64 v11, v9, s10, s0
; %bb.73:
	s_or_b32 exec_lo, exec_lo, s7
.LBB533_74:
	s_delay_alu instid0(SALU_CYCLE_1)
	s_or_b32 exec_lo, exec_lo, s6
.LBB533_75:
	s_delay_alu instid0(SALU_CYCLE_1) | instskip(SKIP_1) | instid1(VALU_DEP_1)
	s_or_b32 exec_lo, exec_lo, s3
	v_or_b32_e32 v9, 0x400, v0
	v_cmp_gt_i32_e64 s0, s8, v9
                                        ; implicit-def: $vgpr9
	s_delay_alu instid0(VALU_DEP_1)
	s_and_saveexec_b32 s3, s0
	s_cbranch_execz .LBB533_81
; %bb.76:
	v_dual_mov_b32 v9, s9 :: v_dual_lshlrev_b32 v12, 16, v10
	s_mov_b32 s6, exec_lo
	s_delay_alu instid0(VALU_DEP_1)
	v_cmpx_o_f32_e32 v12, v12
	s_cbranch_execz .LBB533_80
; %bb.77:
	v_mov_b32_e32 v9, s1
	s_mov_b32 s7, exec_lo
	v_cmpx_neq_f32_e32 0x7f800000, v12
; %bb.78:
	v_cmp_eq_f32_e64 s0, 0xff800000, v12
	s_delay_alu instid0(VALU_DEP_1)
	v_cndmask_b32_e64 v9, v10, s10, s0
; %bb.79:
	s_or_b32 exec_lo, exec_lo, s7
.LBB533_80:
	s_delay_alu instid0(SALU_CYCLE_1)
	s_or_b32 exec_lo, exec_lo, s6
.LBB533_81:
	s_delay_alu instid0(SALU_CYCLE_1) | instskip(SKIP_1) | instid1(VALU_DEP_1)
	s_or_b32 exec_lo, exec_lo, s3
	v_or_b32_e32 v10, 0x500, v0
	v_cmp_gt_i32_e64 s0, s8, v10
                                        ; implicit-def: $vgpr10
	s_delay_alu instid0(VALU_DEP_1)
	s_and_saveexec_b32 s3, s0
	s_cbranch_execz .LBB533_87
; %bb.82:
	v_lshlrev_b32_e32 v12, 16, v5
	v_mov_b32_e32 v10, s9
	s_mov_b32 s6, exec_lo
	s_delay_alu instid0(VALU_DEP_2)
	v_cmpx_o_f32_e32 v12, v12
	s_cbranch_execz .LBB533_86
; %bb.83:
	v_mov_b32_e32 v10, s1
	s_mov_b32 s7, exec_lo
	v_cmpx_neq_f32_e32 0x7f800000, v12
; %bb.84:
	v_cmp_eq_f32_e64 s0, 0xff800000, v12
	s_delay_alu instid0(VALU_DEP_1)
	v_cndmask_b32_e64 v10, v5, s10, s0
; %bb.85:
	s_or_b32 exec_lo, exec_lo, s7
.LBB533_86:
	s_delay_alu instid0(SALU_CYCLE_1)
	s_or_b32 exec_lo, exec_lo, s6
.LBB533_87:
	s_delay_alu instid0(SALU_CYCLE_1) | instskip(SKIP_1) | instid1(VALU_DEP_1)
	s_or_b32 exec_lo, exec_lo, s3
	v_or_b32_e32 v5, 0x600, v0
	v_cmp_gt_i32_e64 s0, s8, v5
                                        ; implicit-def: $vgpr5
	s_delay_alu instid0(VALU_DEP_1)
	s_and_saveexec_b32 s3, s0
	s_cbranch_execz .LBB533_93
; %bb.88:
	v_dual_mov_b32 v5, s9 :: v_dual_lshlrev_b32 v12, 16, v7
	s_mov_b32 s6, exec_lo
	s_delay_alu instid0(VALU_DEP_1)
	v_cmpx_o_f32_e32 v12, v12
	s_cbranch_execz .LBB533_92
; %bb.89:
	v_mov_b32_e32 v5, s1
	s_mov_b32 s7, exec_lo
	v_cmpx_neq_f32_e32 0x7f800000, v12
; %bb.90:
	v_cmp_eq_f32_e64 s0, 0xff800000, v12
	s_delay_alu instid0(VALU_DEP_1)
	v_cndmask_b32_e64 v5, v7, s10, s0
; %bb.91:
	s_or_b32 exec_lo, exec_lo, s7
.LBB533_92:
	s_delay_alu instid0(SALU_CYCLE_1)
	s_or_b32 exec_lo, exec_lo, s6
.LBB533_93:
	s_delay_alu instid0(SALU_CYCLE_1) | instskip(SKIP_1) | instid1(VALU_DEP_1)
	s_or_b32 exec_lo, exec_lo, s3
	v_or_b32_e32 v7, 0x700, v0
	v_cmp_gt_i32_e64 s0, s8, v7
                                        ; implicit-def: $vgpr7
	s_delay_alu instid0(VALU_DEP_1)
	s_and_saveexec_b32 s3, s0
	s_cbranch_execz .LBB533_108
; %bb.94:
	v_dual_mov_b32 v7, s9 :: v_dual_lshlrev_b32 v12, 16, v2
	s_mov_b32 s6, exec_lo
	s_delay_alu instid0(VALU_DEP_1)
	v_cmpx_o_f32_e32 v12, v12
	s_cbranch_execz .LBB533_98
; %bb.95:
	v_mov_b32_e32 v7, s1
	s_mov_b32 s1, exec_lo
	v_cmpx_neq_f32_e32 0x7f800000, v12
; %bb.96:
	v_cmp_eq_f32_e64 s0, 0xff800000, v12
	s_delay_alu instid0(VALU_DEP_1)
	v_cndmask_b32_e64 v7, v2, s10, s0
; %bb.97:
	s_or_b32 exec_lo, exec_lo, s1
.LBB533_98:
	s_delay_alu instid0(SALU_CYCLE_1) | instskip(NEXT) | instid1(SALU_CYCLE_1)
	s_or_b32 exec_lo, exec_lo, s6
	s_or_b32 exec_lo, exec_lo, s3
	s_and_saveexec_b32 s0, vcc_lo
	s_delay_alu instid0(SALU_CYCLE_1)
	s_xor_b32 s0, exec_lo, s0
	s_cbranch_execnz .LBB533_109
.LBB533_99:
	s_or_b32 exec_lo, exec_lo, s0
	s_delay_alu instid0(SALU_CYCLE_1)
	s_mov_b32 s0, exec_lo
	v_cmpx_gt_i32_e64 s8, v0
	s_cbranch_execz .LBB533_110
.LBB533_100:
	v_dual_mov_b32 v2, 0 :: v_dual_add_nc_u32 v1, s2, v0
	v_add_nc_u32_e32 v0, 0x100, v0
	s_delay_alu instid0(VALU_DEP_2) | instskip(NEXT) | instid1(VALU_DEP_1)
	v_lshlrev_b64 v[1:2], 1, v[1:2]
	v_add_co_u32 v1, vcc_lo, s4, v1
	s_delay_alu instid0(VALU_DEP_2) | instskip(SKIP_2) | instid1(SALU_CYCLE_1)
	v_add_co_ci_u32_e32 v2, vcc_lo, s5, v2, vcc_lo
	global_store_b16 v[1:2], v6, off
	s_or_b32 exec_lo, exec_lo, s0
	s_mov_b32 s0, exec_lo
	v_cmpx_gt_i32_e64 s8, v0
	s_cbranch_execnz .LBB533_111
.LBB533_101:
	s_or_b32 exec_lo, exec_lo, s0
	s_delay_alu instid0(SALU_CYCLE_1)
	s_mov_b32 s0, exec_lo
	v_cmpx_gt_i32_e64 s8, v0
	s_cbranch_execz .LBB533_112
.LBB533_102:
	v_dual_mov_b32 v2, 0 :: v_dual_add_nc_u32 v1, s2, v0
	v_add_nc_u32_e32 v0, 0x100, v0
	s_delay_alu instid0(VALU_DEP_2) | instskip(NEXT) | instid1(VALU_DEP_1)
	v_lshlrev_b64 v[1:2], 1, v[1:2]
	v_add_co_u32 v1, vcc_lo, s4, v1
	s_delay_alu instid0(VALU_DEP_2) | instskip(SKIP_2) | instid1(SALU_CYCLE_1)
	v_add_co_ci_u32_e32 v2, vcc_lo, s5, v2, vcc_lo
	global_store_b16 v[1:2], v11, off
	s_or_b32 exec_lo, exec_lo, s0
	s_mov_b32 s0, exec_lo
	v_cmpx_gt_i32_e64 s8, v0
	s_cbranch_execnz .LBB533_113
.LBB533_103:
	s_or_b32 exec_lo, exec_lo, s0
	s_delay_alu instid0(SALU_CYCLE_1)
	s_mov_b32 s0, exec_lo
	v_cmpx_gt_i32_e64 s8, v0
	s_cbranch_execz .LBB533_114
.LBB533_104:
	v_dual_mov_b32 v2, 0 :: v_dual_add_nc_u32 v1, s2, v0
	v_add_nc_u32_e32 v0, 0x100, v0
	s_delay_alu instid0(VALU_DEP_2) | instskip(NEXT) | instid1(VALU_DEP_1)
	v_lshlrev_b64 v[1:2], 1, v[1:2]
	v_add_co_u32 v1, vcc_lo, s4, v1
	s_delay_alu instid0(VALU_DEP_2) | instskip(SKIP_2) | instid1(SALU_CYCLE_1)
	v_add_co_ci_u32_e32 v2, vcc_lo, s5, v2, vcc_lo
	global_store_b16 v[1:2], v10, off
	s_or_b32 exec_lo, exec_lo, s0
	s_mov_b32 s0, exec_lo
	v_cmpx_gt_i32_e64 s8, v0
	s_cbranch_execnz .LBB533_115
.LBB533_105:
	s_or_b32 exec_lo, exec_lo, s0
	s_delay_alu instid0(SALU_CYCLE_1)
	s_mov_b32 s0, exec_lo
	v_cmpx_gt_i32_e64 s8, v0
	s_cbranch_execz .LBB533_107
.LBB533_106:
	v_dual_mov_b32 v1, 0 :: v_dual_add_nc_u32 v0, s2, v0
	s_delay_alu instid0(VALU_DEP_1) | instskip(NEXT) | instid1(VALU_DEP_1)
	v_lshlrev_b64 v[0:1], 1, v[0:1]
	v_add_co_u32 v0, vcc_lo, s4, v0
	s_delay_alu instid0(VALU_DEP_2)
	v_add_co_ci_u32_e32 v1, vcc_lo, s5, v1, vcc_lo
	global_store_b16 v[0:1], v7, off
.LBB533_107:
	s_nop 0
	s_sendmsg sendmsg(MSG_DEALLOC_VGPRS)
	s_endpgm
.LBB533_108:
	s_or_b32 exec_lo, exec_lo, s3
	s_and_saveexec_b32 s0, vcc_lo
	s_delay_alu instid0(SALU_CYCLE_1)
	s_xor_b32 s0, exec_lo, s0
	s_cbranch_execz .LBB533_99
.LBB533_109:
	v_mov_b32_e32 v2, 0
	s_delay_alu instid0(VALU_DEP_1) | instskip(NEXT) | instid1(VALU_DEP_1)
	v_lshlrev_b64 v[0:1], 1, v[1:2]
	v_add_co_u32 v12, vcc_lo, s4, v0
	s_delay_alu instid0(VALU_DEP_2) | instskip(SKIP_3) | instid1(SALU_CYCLE_1)
	v_add_co_ci_u32_e32 v13, vcc_lo, s5, v1, vcc_lo
	v_mov_b32_e32 v0, v3
	global_store_b16 v[12:13], v4, off
	s_or_b32 exec_lo, exec_lo, s0
	s_mov_b32 s0, exec_lo
	v_cmpx_gt_i32_e64 s8, v0
	s_cbranch_execnz .LBB533_100
.LBB533_110:
	s_or_b32 exec_lo, exec_lo, s0
	s_delay_alu instid0(SALU_CYCLE_1)
	s_mov_b32 s0, exec_lo
	v_cmpx_gt_i32_e64 s8, v0
	s_cbranch_execz .LBB533_101
.LBB533_111:
	v_dual_mov_b32 v2, 0 :: v_dual_add_nc_u32 v1, s2, v0
	v_add_nc_u32_e32 v0, 0x100, v0
	s_delay_alu instid0(VALU_DEP_2) | instskip(NEXT) | instid1(VALU_DEP_1)
	v_lshlrev_b64 v[1:2], 1, v[1:2]
	v_add_co_u32 v1, vcc_lo, s4, v1
	s_delay_alu instid0(VALU_DEP_2) | instskip(SKIP_2) | instid1(SALU_CYCLE_1)
	v_add_co_ci_u32_e32 v2, vcc_lo, s5, v2, vcc_lo
	global_store_b16 v[1:2], v8, off
	s_or_b32 exec_lo, exec_lo, s0
	s_mov_b32 s0, exec_lo
	v_cmpx_gt_i32_e64 s8, v0
	s_cbranch_execnz .LBB533_102
.LBB533_112:
	s_or_b32 exec_lo, exec_lo, s0
	s_delay_alu instid0(SALU_CYCLE_1)
	s_mov_b32 s0, exec_lo
	v_cmpx_gt_i32_e64 s8, v0
	s_cbranch_execz .LBB533_103
.LBB533_113:
	v_dual_mov_b32 v2, 0 :: v_dual_add_nc_u32 v1, s2, v0
	v_add_nc_u32_e32 v0, 0x100, v0
	s_delay_alu instid0(VALU_DEP_2) | instskip(NEXT) | instid1(VALU_DEP_1)
	v_lshlrev_b64 v[1:2], 1, v[1:2]
	v_add_co_u32 v1, vcc_lo, s4, v1
	s_delay_alu instid0(VALU_DEP_2) | instskip(SKIP_2) | instid1(SALU_CYCLE_1)
	v_add_co_ci_u32_e32 v2, vcc_lo, s5, v2, vcc_lo
	global_store_b16 v[1:2], v9, off
	s_or_b32 exec_lo, exec_lo, s0
	s_mov_b32 s0, exec_lo
	v_cmpx_gt_i32_e64 s8, v0
	s_cbranch_execnz .LBB533_104
.LBB533_114:
	s_or_b32 exec_lo, exec_lo, s0
	s_delay_alu instid0(SALU_CYCLE_1)
	s_mov_b32 s0, exec_lo
	v_cmpx_gt_i32_e64 s8, v0
	s_cbranch_execz .LBB533_105
.LBB533_115:
	v_dual_mov_b32 v2, 0 :: v_dual_add_nc_u32 v1, s2, v0
	v_add_nc_u32_e32 v0, 0x100, v0
	s_delay_alu instid0(VALU_DEP_2) | instskip(NEXT) | instid1(VALU_DEP_1)
	v_lshlrev_b64 v[1:2], 1, v[1:2]
	v_add_co_u32 v1, vcc_lo, s4, v1
	s_delay_alu instid0(VALU_DEP_2) | instskip(SKIP_2) | instid1(SALU_CYCLE_1)
	v_add_co_ci_u32_e32 v2, vcc_lo, s5, v2, vcc_lo
	global_store_b16 v[1:2], v5, off
	s_or_b32 exec_lo, exec_lo, s0
	s_mov_b32 s0, exec_lo
	v_cmpx_gt_i32_e64 s8, v0
	s_cbranch_execnz .LBB533_106
	s_branch .LBB533_107
	.section	.rodata,"a",@progbits
	.p2align	6, 0x0
	.amdhsa_kernel _ZN2at6native29vectorized_elementwise_kernelILi2EZZZNS0_22nan_to_num_kernel_cudaERNS_18TensorIteratorBaseESt8optionalIdES5_S5_ENKUlvE0_clEvENKUlvE2_clEvEUlN3c108BFloat16EE_St5arrayIPcLm2EEEEviT0_T1_
		.amdhsa_group_segment_fixed_size 0
		.amdhsa_private_segment_fixed_size 0
		.amdhsa_kernarg_size 32
		.amdhsa_user_sgpr_count 15
		.amdhsa_user_sgpr_dispatch_ptr 0
		.amdhsa_user_sgpr_queue_ptr 0
		.amdhsa_user_sgpr_kernarg_segment_ptr 1
		.amdhsa_user_sgpr_dispatch_id 0
		.amdhsa_user_sgpr_private_segment_size 0
		.amdhsa_wavefront_size32 1
		.amdhsa_uses_dynamic_stack 0
		.amdhsa_enable_private_segment 0
		.amdhsa_system_sgpr_workgroup_id_x 1
		.amdhsa_system_sgpr_workgroup_id_y 0
		.amdhsa_system_sgpr_workgroup_id_z 0
		.amdhsa_system_sgpr_workgroup_info 0
		.amdhsa_system_vgpr_workitem_id 0
		.amdhsa_next_free_vgpr 14
		.amdhsa_next_free_sgpr 16
		.amdhsa_reserve_vcc 1
		.amdhsa_float_round_mode_32 0
		.amdhsa_float_round_mode_16_64 0
		.amdhsa_float_denorm_mode_32 3
		.amdhsa_float_denorm_mode_16_64 3
		.amdhsa_dx10_clamp 1
		.amdhsa_ieee_mode 1
		.amdhsa_fp16_overflow 0
		.amdhsa_workgroup_processor_mode 1
		.amdhsa_memory_ordered 1
		.amdhsa_forward_progress 0
		.amdhsa_shared_vgpr_count 0
		.amdhsa_exception_fp_ieee_invalid_op 0
		.amdhsa_exception_fp_denorm_src 0
		.amdhsa_exception_fp_ieee_div_zero 0
		.amdhsa_exception_fp_ieee_overflow 0
		.amdhsa_exception_fp_ieee_underflow 0
		.amdhsa_exception_fp_ieee_inexact 0
		.amdhsa_exception_int_div_zero 0
	.end_amdhsa_kernel
	.section	.text._ZN2at6native29vectorized_elementwise_kernelILi2EZZZNS0_22nan_to_num_kernel_cudaERNS_18TensorIteratorBaseESt8optionalIdES5_S5_ENKUlvE0_clEvENKUlvE2_clEvEUlN3c108BFloat16EE_St5arrayIPcLm2EEEEviT0_T1_,"axG",@progbits,_ZN2at6native29vectorized_elementwise_kernelILi2EZZZNS0_22nan_to_num_kernel_cudaERNS_18TensorIteratorBaseESt8optionalIdES5_S5_ENKUlvE0_clEvENKUlvE2_clEvEUlN3c108BFloat16EE_St5arrayIPcLm2EEEEviT0_T1_,comdat
.Lfunc_end533:
	.size	_ZN2at6native29vectorized_elementwise_kernelILi2EZZZNS0_22nan_to_num_kernel_cudaERNS_18TensorIteratorBaseESt8optionalIdES5_S5_ENKUlvE0_clEvENKUlvE2_clEvEUlN3c108BFloat16EE_St5arrayIPcLm2EEEEviT0_T1_, .Lfunc_end533-_ZN2at6native29vectorized_elementwise_kernelILi2EZZZNS0_22nan_to_num_kernel_cudaERNS_18TensorIteratorBaseESt8optionalIdES5_S5_ENKUlvE0_clEvENKUlvE2_clEvEUlN3c108BFloat16EE_St5arrayIPcLm2EEEEviT0_T1_
                                        ; -- End function
	.section	.AMDGPU.csdata,"",@progbits
; Kernel info:
; codeLenInByte = 3136
; NumSgprs: 18
; NumVgprs: 14
; ScratchSize: 0
; MemoryBound: 0
; FloatMode: 240
; IeeeMode: 1
; LDSByteSize: 0 bytes/workgroup (compile time only)
; SGPRBlocks: 2
; VGPRBlocks: 1
; NumSGPRsForWavesPerEU: 18
; NumVGPRsForWavesPerEU: 14
; Occupancy: 16
; WaveLimiterHint : 1
; COMPUTE_PGM_RSRC2:SCRATCH_EN: 0
; COMPUTE_PGM_RSRC2:USER_SGPR: 15
; COMPUTE_PGM_RSRC2:TRAP_HANDLER: 0
; COMPUTE_PGM_RSRC2:TGID_X_EN: 1
; COMPUTE_PGM_RSRC2:TGID_Y_EN: 0
; COMPUTE_PGM_RSRC2:TGID_Z_EN: 0
; COMPUTE_PGM_RSRC2:TIDIG_COMP_CNT: 0
	.section	.text._ZN2at6native27unrolled_elementwise_kernelIZZZNS0_22nan_to_num_kernel_cudaERNS_18TensorIteratorBaseESt8optionalIdES5_S5_ENKUlvE0_clEvENKUlvE2_clEvEUlN3c108BFloat16EE_St5arrayIPcLm2EELi4E23TrivialOffsetCalculatorILi1EjESF_NS0_6memory15LoadWithoutCastENSG_16StoreWithoutCastEEEviT_T0_T2_T3_T4_T5_,"axG",@progbits,_ZN2at6native27unrolled_elementwise_kernelIZZZNS0_22nan_to_num_kernel_cudaERNS_18TensorIteratorBaseESt8optionalIdES5_S5_ENKUlvE0_clEvENKUlvE2_clEvEUlN3c108BFloat16EE_St5arrayIPcLm2EELi4E23TrivialOffsetCalculatorILi1EjESF_NS0_6memory15LoadWithoutCastENSG_16StoreWithoutCastEEEviT_T0_T2_T3_T4_T5_,comdat
	.globl	_ZN2at6native27unrolled_elementwise_kernelIZZZNS0_22nan_to_num_kernel_cudaERNS_18TensorIteratorBaseESt8optionalIdES5_S5_ENKUlvE0_clEvENKUlvE2_clEvEUlN3c108BFloat16EE_St5arrayIPcLm2EELi4E23TrivialOffsetCalculatorILi1EjESF_NS0_6memory15LoadWithoutCastENSG_16StoreWithoutCastEEEviT_T0_T2_T3_T4_T5_ ; -- Begin function _ZN2at6native27unrolled_elementwise_kernelIZZZNS0_22nan_to_num_kernel_cudaERNS_18TensorIteratorBaseESt8optionalIdES5_S5_ENKUlvE0_clEvENKUlvE2_clEvEUlN3c108BFloat16EE_St5arrayIPcLm2EELi4E23TrivialOffsetCalculatorILi1EjESF_NS0_6memory15LoadWithoutCastENSG_16StoreWithoutCastEEEviT_T0_T2_T3_T4_T5_
	.p2align	8
	.type	_ZN2at6native27unrolled_elementwise_kernelIZZZNS0_22nan_to_num_kernel_cudaERNS_18TensorIteratorBaseESt8optionalIdES5_S5_ENKUlvE0_clEvENKUlvE2_clEvEUlN3c108BFloat16EE_St5arrayIPcLm2EELi4E23TrivialOffsetCalculatorILi1EjESF_NS0_6memory15LoadWithoutCastENSG_16StoreWithoutCastEEEviT_T0_T2_T3_T4_T5_,@function
_ZN2at6native27unrolled_elementwise_kernelIZZZNS0_22nan_to_num_kernel_cudaERNS_18TensorIteratorBaseESt8optionalIdES5_S5_ENKUlvE0_clEvENKUlvE2_clEvEUlN3c108BFloat16EE_St5arrayIPcLm2EELi4E23TrivialOffsetCalculatorILi1EjESF_NS0_6memory15LoadWithoutCastENSG_16StoreWithoutCastEEEviT_T0_T2_T3_T4_T5_: ; @_ZN2at6native27unrolled_elementwise_kernelIZZZNS0_22nan_to_num_kernel_cudaERNS_18TensorIteratorBaseESt8optionalIdES5_S5_ENKUlvE0_clEvENKUlvE2_clEvEUlN3c108BFloat16EE_St5arrayIPcLm2EELi4E23TrivialOffsetCalculatorILi1EjESF_NS0_6memory15LoadWithoutCastENSG_16StoreWithoutCastEEEviT_T0_T2_T3_T4_T5_
; %bb.0:
	s_clause 0x1
	s_load_b64 s[2:3], s[0:1], 0x0
	s_load_b128 s[4:7], s[0:1], 0x10
	s_lshl_b32 s8, s15, 10
	v_dual_mov_b32 v5, 0 :: v_dual_mov_b32 v6, 0
	v_or_b32_e32 v1, s8, v0
	v_or_b32_e32 v3, 0x100, v0
	v_mov_b32_e32 v4, v0
	s_waitcnt lgkmcnt(0)
	s_sub_i32 s9, s2, s8
	s_delay_alu instid0(SALU_CYCLE_1)
	v_cmp_gt_i32_e32 vcc_lo, s9, v0
	s_and_saveexec_b32 s10, vcc_lo
	s_cbranch_execz .LBB534_2
; %bb.1:
	v_mov_b32_e32 v2, 0
	v_or_b32_e32 v4, 0x100, v0
	s_delay_alu instid0(VALU_DEP_2) | instskip(NEXT) | instid1(VALU_DEP_1)
	v_lshlrev_b64 v[6:7], 1, v[1:2]
	v_add_co_u32 v6, s2, s6, v6
	s_delay_alu instid0(VALU_DEP_1)
	v_add_co_ci_u32_e64 v7, s2, s7, v7, s2
	global_load_u16 v6, v[6:7], off
.LBB534_2:
	s_or_b32 exec_lo, exec_lo, s10
	s_delay_alu instid0(SALU_CYCLE_1)
	s_mov_b32 s10, exec_lo
	v_cmpx_gt_i32_e64 s9, v4
	s_cbranch_execz .LBB534_4
; %bb.3:
	v_dual_mov_b32 v8, 0 :: v_dual_add_nc_u32 v7, s8, v4
	v_add_nc_u32_e32 v4, 0x100, v4
	s_delay_alu instid0(VALU_DEP_2) | instskip(NEXT) | instid1(VALU_DEP_1)
	v_lshlrev_b64 v[7:8], 1, v[7:8]
	v_add_co_u32 v7, s2, s6, v7
	s_delay_alu instid0(VALU_DEP_1)
	v_add_co_ci_u32_e64 v8, s2, s7, v8, s2
	global_load_u16 v5, v[7:8], off
.LBB534_4:
	s_or_b32 exec_lo, exec_lo, s10
	v_dual_mov_b32 v2, 0 :: v_dual_mov_b32 v7, 0
	s_mov_b32 s10, exec_lo
	v_cmpx_gt_i32_e64 s9, v4
	s_cbranch_execz .LBB534_6
; %bb.5:
	v_dual_mov_b32 v8, 0 :: v_dual_add_nc_u32 v7, s8, v4
	v_add_nc_u32_e32 v4, 0x100, v4
	s_delay_alu instid0(VALU_DEP_2) | instskip(NEXT) | instid1(VALU_DEP_1)
	v_lshlrev_b64 v[7:8], 1, v[7:8]
	v_add_co_u32 v7, s2, s6, v7
	s_delay_alu instid0(VALU_DEP_1)
	v_add_co_ci_u32_e64 v8, s2, s7, v8, s2
	global_load_u16 v7, v[7:8], off
.LBB534_6:
	s_or_b32 exec_lo, exec_lo, s10
	s_delay_alu instid0(SALU_CYCLE_1)
	s_mov_b32 s10, exec_lo
	v_cmpx_gt_i32_e64 s9, v4
	s_cbranch_execz .LBB534_8
; %bb.7:
	v_dual_mov_b32 v9, 0 :: v_dual_add_nc_u32 v8, s8, v4
	s_delay_alu instid0(VALU_DEP_1) | instskip(NEXT) | instid1(VALU_DEP_1)
	v_lshlrev_b64 v[8:9], 1, v[8:9]
	v_add_co_u32 v8, s2, s6, v8
	s_delay_alu instid0(VALU_DEP_1)
	v_add_co_ci_u32_e64 v9, s2, s7, v9, s2
	global_load_u16 v2, v[8:9], off
.LBB534_8:
	s_or_b32 exec_lo, exec_lo, s10
	s_load_b32 s1, s[0:1], 0x8
	s_lshr_b32 s2, s3, 16
                                        ; implicit-def: $vgpr4
	s_and_saveexec_b32 s6, vcc_lo
	s_cbranch_execz .LBB534_14
; %bb.9:
	s_waitcnt vmcnt(0)
	v_lshlrev_b32_e32 v8, 16, v6
	v_mov_b32_e32 v4, s3
	s_mov_b32 s7, exec_lo
	s_delay_alu instid0(VALU_DEP_2)
	v_cmpx_o_f32_e32 v8, v8
	s_cbranch_execz .LBB534_13
; %bb.10:
	v_mov_b32_e32 v4, s2
	s_mov_b32 s10, exec_lo
	v_cmpx_neq_f32_e32 0x7f800000, v8
	s_cbranch_execz .LBB534_12
; %bb.11:
	v_cmp_eq_f32_e64 s0, 0xff800000, v8
	s_waitcnt lgkmcnt(0)
	s_delay_alu instid0(VALU_DEP_1)
	v_cndmask_b32_e64 v4, v6, s1, s0
.LBB534_12:
	s_or_b32 exec_lo, exec_lo, s10
.LBB534_13:
	s_delay_alu instid0(SALU_CYCLE_1)
	s_or_b32 exec_lo, exec_lo, s7
.LBB534_14:
	s_delay_alu instid0(SALU_CYCLE_1) | instskip(NEXT) | instid1(SALU_CYCLE_1)
	s_or_b32 exec_lo, exec_lo, s6
	s_mov_b32 s6, exec_lo
                                        ; implicit-def: $vgpr6
	v_cmpx_gt_i32_e64 s9, v3
	s_cbranch_execz .LBB534_20
; %bb.15:
	s_waitcnt vmcnt(0)
	v_lshlrev_b32_e32 v8, 16, v5
	v_mov_b32_e32 v6, s3
	s_mov_b32 s7, exec_lo
	s_delay_alu instid0(VALU_DEP_2)
	v_cmpx_o_f32_e32 v8, v8
	s_cbranch_execz .LBB534_19
; %bb.16:
	v_mov_b32_e32 v6, s2
	s_mov_b32 s10, exec_lo
	v_cmpx_neq_f32_e32 0x7f800000, v8
	s_cbranch_execz .LBB534_18
; %bb.17:
	v_cmp_eq_f32_e64 s0, 0xff800000, v8
	s_waitcnt lgkmcnt(0)
	s_delay_alu instid0(VALU_DEP_1)
	v_cndmask_b32_e64 v6, v5, s1, s0
.LBB534_18:
	s_or_b32 exec_lo, exec_lo, s10
.LBB534_19:
	s_delay_alu instid0(SALU_CYCLE_1)
	s_or_b32 exec_lo, exec_lo, s7
.LBB534_20:
	s_delay_alu instid0(SALU_CYCLE_1) | instskip(SKIP_2) | instid1(VALU_DEP_1)
	s_or_b32 exec_lo, exec_lo, s6
	s_waitcnt vmcnt(0)
	v_or_b32_e32 v5, 0x200, v0
	v_cmp_gt_i32_e64 s0, s9, v5
                                        ; implicit-def: $vgpr5
	s_delay_alu instid0(VALU_DEP_1)
	s_and_saveexec_b32 s6, s0
	s_cbranch_execz .LBB534_26
; %bb.21:
	v_dual_mov_b32 v5, s3 :: v_dual_lshlrev_b32 v8, 16, v7
	s_mov_b32 s7, exec_lo
	s_delay_alu instid0(VALU_DEP_1)
	v_cmpx_o_f32_e32 v8, v8
	s_cbranch_execz .LBB534_25
; %bb.22:
	v_mov_b32_e32 v5, s2
	s_mov_b32 s10, exec_lo
	v_cmpx_neq_f32_e32 0x7f800000, v8
	s_cbranch_execz .LBB534_24
; %bb.23:
	v_cmp_eq_f32_e64 s0, 0xff800000, v8
	s_waitcnt lgkmcnt(0)
	s_delay_alu instid0(VALU_DEP_1)
	v_cndmask_b32_e64 v5, v7, s1, s0
.LBB534_24:
	s_or_b32 exec_lo, exec_lo, s10
.LBB534_25:
	s_delay_alu instid0(SALU_CYCLE_1)
	s_or_b32 exec_lo, exec_lo, s7
.LBB534_26:
	s_delay_alu instid0(SALU_CYCLE_1) | instskip(SKIP_1) | instid1(VALU_DEP_1)
	s_or_b32 exec_lo, exec_lo, s6
	v_or_b32_e32 v7, 0x300, v0
	v_cmp_gt_i32_e64 s0, s9, v7
                                        ; implicit-def: $vgpr7
	s_delay_alu instid0(VALU_DEP_1)
	s_and_saveexec_b32 s6, s0
	s_cbranch_execnz .LBB534_32
; %bb.27:
	s_or_b32 exec_lo, exec_lo, s6
	s_and_saveexec_b32 s0, vcc_lo
	s_delay_alu instid0(SALU_CYCLE_1)
	s_xor_b32 s0, exec_lo, s0
	s_cbranch_execnz .LBB534_37
.LBB534_28:
	s_or_b32 exec_lo, exec_lo, s0
	s_delay_alu instid0(SALU_CYCLE_1)
	s_mov_b32 s0, exec_lo
	v_cmpx_gt_i32_e64 s9, v0
	s_cbranch_execnz .LBB534_38
.LBB534_29:
	s_or_b32 exec_lo, exec_lo, s0
	s_delay_alu instid0(SALU_CYCLE_1)
	s_mov_b32 s0, exec_lo
	v_cmpx_gt_i32_e64 s9, v0
	s_cbranch_execnz .LBB534_39
.LBB534_30:
	s_or_b32 exec_lo, exec_lo, s0
	s_delay_alu instid0(SALU_CYCLE_1)
	s_mov_b32 s0, exec_lo
	v_cmpx_gt_i32_e64 s9, v0
	s_cbranch_execnz .LBB534_40
.LBB534_31:
	s_nop 0
	s_sendmsg sendmsg(MSG_DEALLOC_VGPRS)
	s_endpgm
.LBB534_32:
	v_dual_mov_b32 v7, s3 :: v_dual_lshlrev_b32 v8, 16, v2
	s_mov_b32 s3, exec_lo
	s_delay_alu instid0(VALU_DEP_1)
	v_cmpx_o_f32_e32 v8, v8
	s_cbranch_execz .LBB534_36
; %bb.33:
	v_mov_b32_e32 v7, s2
	s_mov_b32 s2, exec_lo
	v_cmpx_neq_f32_e32 0x7f800000, v8
	s_cbranch_execz .LBB534_35
; %bb.34:
	v_cmp_eq_f32_e64 s0, 0xff800000, v8
	s_waitcnt lgkmcnt(0)
	s_delay_alu instid0(VALU_DEP_1)
	v_cndmask_b32_e64 v7, v2, s1, s0
.LBB534_35:
	s_or_b32 exec_lo, exec_lo, s2
.LBB534_36:
	s_delay_alu instid0(SALU_CYCLE_1) | instskip(NEXT) | instid1(SALU_CYCLE_1)
	s_or_b32 exec_lo, exec_lo, s3
	s_or_b32 exec_lo, exec_lo, s6
	s_and_saveexec_b32 s0, vcc_lo
	s_delay_alu instid0(SALU_CYCLE_1)
	s_xor_b32 s0, exec_lo, s0
	s_cbranch_execz .LBB534_28
.LBB534_37:
	v_mov_b32_e32 v2, 0
	s_delay_alu instid0(VALU_DEP_1) | instskip(NEXT) | instid1(VALU_DEP_1)
	v_lshlrev_b64 v[0:1], 1, v[1:2]
	v_add_co_u32 v8, vcc_lo, s4, v0
	s_delay_alu instid0(VALU_DEP_2) | instskip(SKIP_3) | instid1(SALU_CYCLE_1)
	v_add_co_ci_u32_e32 v9, vcc_lo, s5, v1, vcc_lo
	v_mov_b32_e32 v0, v3
	global_store_b16 v[8:9], v4, off
	s_or_b32 exec_lo, exec_lo, s0
	s_mov_b32 s0, exec_lo
	v_cmpx_gt_i32_e64 s9, v0
	s_cbranch_execz .LBB534_29
.LBB534_38:
	v_dual_mov_b32 v2, 0 :: v_dual_add_nc_u32 v1, s8, v0
	v_add_nc_u32_e32 v0, 0x100, v0
	s_delay_alu instid0(VALU_DEP_2) | instskip(NEXT) | instid1(VALU_DEP_1)
	v_lshlrev_b64 v[1:2], 1, v[1:2]
	v_add_co_u32 v1, vcc_lo, s4, v1
	s_delay_alu instid0(VALU_DEP_2) | instskip(SKIP_2) | instid1(SALU_CYCLE_1)
	v_add_co_ci_u32_e32 v2, vcc_lo, s5, v2, vcc_lo
	global_store_b16 v[1:2], v6, off
	s_or_b32 exec_lo, exec_lo, s0
	s_mov_b32 s0, exec_lo
	v_cmpx_gt_i32_e64 s9, v0
	s_cbranch_execz .LBB534_30
.LBB534_39:
	v_dual_mov_b32 v2, 0 :: v_dual_add_nc_u32 v1, s8, v0
	v_add_nc_u32_e32 v0, 0x100, v0
	s_delay_alu instid0(VALU_DEP_2) | instskip(NEXT) | instid1(VALU_DEP_1)
	v_lshlrev_b64 v[1:2], 1, v[1:2]
	v_add_co_u32 v1, vcc_lo, s4, v1
	s_delay_alu instid0(VALU_DEP_2) | instskip(SKIP_2) | instid1(SALU_CYCLE_1)
	v_add_co_ci_u32_e32 v2, vcc_lo, s5, v2, vcc_lo
	global_store_b16 v[1:2], v5, off
	s_or_b32 exec_lo, exec_lo, s0
	s_mov_b32 s0, exec_lo
	v_cmpx_gt_i32_e64 s9, v0
	s_cbranch_execz .LBB534_31
.LBB534_40:
	v_dual_mov_b32 v1, 0 :: v_dual_add_nc_u32 v0, s8, v0
	s_delay_alu instid0(VALU_DEP_1) | instskip(NEXT) | instid1(VALU_DEP_1)
	v_lshlrev_b64 v[0:1], 1, v[0:1]
	v_add_co_u32 v0, vcc_lo, s4, v0
	s_delay_alu instid0(VALU_DEP_2)
	v_add_co_ci_u32_e32 v1, vcc_lo, s5, v1, vcc_lo
	global_store_b16 v[0:1], v7, off
	s_nop 0
	s_sendmsg sendmsg(MSG_DEALLOC_VGPRS)
	s_endpgm
	.section	.rodata,"a",@progbits
	.p2align	6, 0x0
	.amdhsa_kernel _ZN2at6native27unrolled_elementwise_kernelIZZZNS0_22nan_to_num_kernel_cudaERNS_18TensorIteratorBaseESt8optionalIdES5_S5_ENKUlvE0_clEvENKUlvE2_clEvEUlN3c108BFloat16EE_St5arrayIPcLm2EELi4E23TrivialOffsetCalculatorILi1EjESF_NS0_6memory15LoadWithoutCastENSG_16StoreWithoutCastEEEviT_T0_T2_T3_T4_T5_
		.amdhsa_group_segment_fixed_size 0
		.amdhsa_private_segment_fixed_size 0
		.amdhsa_kernarg_size 36
		.amdhsa_user_sgpr_count 15
		.amdhsa_user_sgpr_dispatch_ptr 0
		.amdhsa_user_sgpr_queue_ptr 0
		.amdhsa_user_sgpr_kernarg_segment_ptr 1
		.amdhsa_user_sgpr_dispatch_id 0
		.amdhsa_user_sgpr_private_segment_size 0
		.amdhsa_wavefront_size32 1
		.amdhsa_uses_dynamic_stack 0
		.amdhsa_enable_private_segment 0
		.amdhsa_system_sgpr_workgroup_id_x 1
		.amdhsa_system_sgpr_workgroup_id_y 0
		.amdhsa_system_sgpr_workgroup_id_z 0
		.amdhsa_system_sgpr_workgroup_info 0
		.amdhsa_system_vgpr_workitem_id 0
		.amdhsa_next_free_vgpr 10
		.amdhsa_next_free_sgpr 16
		.amdhsa_reserve_vcc 1
		.amdhsa_float_round_mode_32 0
		.amdhsa_float_round_mode_16_64 0
		.amdhsa_float_denorm_mode_32 3
		.amdhsa_float_denorm_mode_16_64 3
		.amdhsa_dx10_clamp 1
		.amdhsa_ieee_mode 1
		.amdhsa_fp16_overflow 0
		.amdhsa_workgroup_processor_mode 1
		.amdhsa_memory_ordered 1
		.amdhsa_forward_progress 0
		.amdhsa_shared_vgpr_count 0
		.amdhsa_exception_fp_ieee_invalid_op 0
		.amdhsa_exception_fp_denorm_src 0
		.amdhsa_exception_fp_ieee_div_zero 0
		.amdhsa_exception_fp_ieee_overflow 0
		.amdhsa_exception_fp_ieee_underflow 0
		.amdhsa_exception_fp_ieee_inexact 0
		.amdhsa_exception_int_div_zero 0
	.end_amdhsa_kernel
	.section	.text._ZN2at6native27unrolled_elementwise_kernelIZZZNS0_22nan_to_num_kernel_cudaERNS_18TensorIteratorBaseESt8optionalIdES5_S5_ENKUlvE0_clEvENKUlvE2_clEvEUlN3c108BFloat16EE_St5arrayIPcLm2EELi4E23TrivialOffsetCalculatorILi1EjESF_NS0_6memory15LoadWithoutCastENSG_16StoreWithoutCastEEEviT_T0_T2_T3_T4_T5_,"axG",@progbits,_ZN2at6native27unrolled_elementwise_kernelIZZZNS0_22nan_to_num_kernel_cudaERNS_18TensorIteratorBaseESt8optionalIdES5_S5_ENKUlvE0_clEvENKUlvE2_clEvEUlN3c108BFloat16EE_St5arrayIPcLm2EELi4E23TrivialOffsetCalculatorILi1EjESF_NS0_6memory15LoadWithoutCastENSG_16StoreWithoutCastEEEviT_T0_T2_T3_T4_T5_,comdat
.Lfunc_end534:
	.size	_ZN2at6native27unrolled_elementwise_kernelIZZZNS0_22nan_to_num_kernel_cudaERNS_18TensorIteratorBaseESt8optionalIdES5_S5_ENKUlvE0_clEvENKUlvE2_clEvEUlN3c108BFloat16EE_St5arrayIPcLm2EELi4E23TrivialOffsetCalculatorILi1EjESF_NS0_6memory15LoadWithoutCastENSG_16StoreWithoutCastEEEviT_T0_T2_T3_T4_T5_, .Lfunc_end534-_ZN2at6native27unrolled_elementwise_kernelIZZZNS0_22nan_to_num_kernel_cudaERNS_18TensorIteratorBaseESt8optionalIdES5_S5_ENKUlvE0_clEvENKUlvE2_clEvEUlN3c108BFloat16EE_St5arrayIPcLm2EELi4E23TrivialOffsetCalculatorILi1EjESF_NS0_6memory15LoadWithoutCastENSG_16StoreWithoutCastEEEviT_T0_T2_T3_T4_T5_
                                        ; -- End function
	.section	.AMDGPU.csdata,"",@progbits
; Kernel info:
; codeLenInByte = 1216
; NumSgprs: 18
; NumVgprs: 10
; ScratchSize: 0
; MemoryBound: 0
; FloatMode: 240
; IeeeMode: 1
; LDSByteSize: 0 bytes/workgroup (compile time only)
; SGPRBlocks: 2
; VGPRBlocks: 1
; NumSGPRsForWavesPerEU: 18
; NumVGPRsForWavesPerEU: 10
; Occupancy: 16
; WaveLimiterHint : 0
; COMPUTE_PGM_RSRC2:SCRATCH_EN: 0
; COMPUTE_PGM_RSRC2:USER_SGPR: 15
; COMPUTE_PGM_RSRC2:TRAP_HANDLER: 0
; COMPUTE_PGM_RSRC2:TGID_X_EN: 1
; COMPUTE_PGM_RSRC2:TGID_Y_EN: 0
; COMPUTE_PGM_RSRC2:TGID_Z_EN: 0
; COMPUTE_PGM_RSRC2:TIDIG_COMP_CNT: 0
	.section	.text._ZN2at6native32elementwise_kernel_manual_unrollILi128ELi8EZNS0_22gpu_kernel_impl_nocastIZZZNS0_22nan_to_num_kernel_cudaERNS_18TensorIteratorBaseESt8optionalIdES6_S6_ENKUlvE0_clEvENKUlvE2_clEvEUlN3c108BFloat16EE_EEvS4_RKT_EUlibE_EEviT1_,"axG",@progbits,_ZN2at6native32elementwise_kernel_manual_unrollILi128ELi8EZNS0_22gpu_kernel_impl_nocastIZZZNS0_22nan_to_num_kernel_cudaERNS_18TensorIteratorBaseESt8optionalIdES6_S6_ENKUlvE0_clEvENKUlvE2_clEvEUlN3c108BFloat16EE_EEvS4_RKT_EUlibE_EEviT1_,comdat
	.globl	_ZN2at6native32elementwise_kernel_manual_unrollILi128ELi8EZNS0_22gpu_kernel_impl_nocastIZZZNS0_22nan_to_num_kernel_cudaERNS_18TensorIteratorBaseESt8optionalIdES6_S6_ENKUlvE0_clEvENKUlvE2_clEvEUlN3c108BFloat16EE_EEvS4_RKT_EUlibE_EEviT1_ ; -- Begin function _ZN2at6native32elementwise_kernel_manual_unrollILi128ELi8EZNS0_22gpu_kernel_impl_nocastIZZZNS0_22nan_to_num_kernel_cudaERNS_18TensorIteratorBaseESt8optionalIdES6_S6_ENKUlvE0_clEvENKUlvE2_clEvEUlN3c108BFloat16EE_EEvS4_RKT_EUlibE_EEviT1_
	.p2align	8
	.type	_ZN2at6native32elementwise_kernel_manual_unrollILi128ELi8EZNS0_22gpu_kernel_impl_nocastIZZZNS0_22nan_to_num_kernel_cudaERNS_18TensorIteratorBaseESt8optionalIdES6_S6_ENKUlvE0_clEvENKUlvE2_clEvEUlN3c108BFloat16EE_EEvS4_RKT_EUlibE_EEviT1_,@function
_ZN2at6native32elementwise_kernel_manual_unrollILi128ELi8EZNS0_22gpu_kernel_impl_nocastIZZZNS0_22nan_to_num_kernel_cudaERNS_18TensorIteratorBaseESt8optionalIdES6_S6_ENKUlvE0_clEvENKUlvE2_clEvEUlN3c108BFloat16EE_EEvS4_RKT_EUlibE_EEviT1_: ; @_ZN2at6native32elementwise_kernel_manual_unrollILi128ELi8EZNS0_22gpu_kernel_impl_nocastIZZZNS0_22nan_to_num_kernel_cudaERNS_18TensorIteratorBaseESt8optionalIdES6_S6_ENKUlvE0_clEvENKUlvE2_clEvEUlN3c108BFloat16EE_EEvS4_RKT_EUlibE_EEviT1_
; %bb.0:
	s_clause 0x1
	s_load_b32 s26, s[0:1], 0x8
	s_load_b32 s33, s[0:1], 0x0
	v_lshl_or_b32 v12, s15, 10, v0
	s_or_b32 s2, s0, 8
	s_mov_b32 s3, s1
	s_mov_b32 s4, exec_lo
	s_delay_alu instid0(VALU_DEP_1) | instskip(SKIP_2) | instid1(SALU_CYCLE_1)
	v_or_b32_e32 v16, 0x380, v12
	s_waitcnt lgkmcnt(0)
	s_add_i32 s27, s26, -1
	s_cmp_gt_u32 s27, 1
	s_cselect_b32 s28, -1, 0
	v_cmpx_le_i32_e64 s33, v16
	s_xor_b32 s29, exec_lo, s4
	s_cbranch_execz .LBB535_7
; %bb.1:
	s_clause 0x4
	s_load_b128 s[8:11], s[2:3], 0x4
	s_load_b64 s[18:19], s[2:3], 0x14
	s_load_b64 s[16:17], s[2:3], 0x158
	s_load_b128 s[12:15], s[2:3], 0xc4
	s_load_b128 s[4:7], s[2:3], 0x148
	s_cmp_lg_u32 s26, 0
	s_mov_b32 s36, exec_lo
	s_cselect_b32 s35, -1, 0
	s_add_u32 s20, s2, 0xc4
	s_addc_u32 s21, s3, 0
	s_min_u32 s34, s27, 15
	s_cmp_gt_u32 s26, 1
	s_cselect_b32 s31, -1, 0
	s_waitcnt lgkmcnt(0)
	s_lshr_b32 s30, s16, 16
	v_cmpx_gt_i32_e64 s33, v12
	s_cbranch_execz .LBB535_14
; %bb.2:
	s_and_not1_b32 vcc_lo, exec_lo, s28
	s_cbranch_vccnz .LBB535_21
; %bb.3:
	v_dual_mov_b32 v0, 0 :: v_dual_mov_b32 v1, 0
	s_and_not1_b32 vcc_lo, exec_lo, s35
	s_mov_b32 s37, 0
	s_cbranch_vccnz .LBB535_157
; %bb.4:
	v_mov_b32_e32 v0, 0
	s_add_i32 s39, s34, 1
	s_cmp_eq_u32 s27, 2
	s_mov_b32 s38, 0
	s_cbranch_scc1 .LBB535_153
; %bb.5:
	v_dual_mov_b32 v1, 0 :: v_dual_mov_b32 v0, 0
	v_mov_b32_e32 v2, v12
	s_and_b32 s38, s39, 28
	s_mov_b32 s40, 0
	s_mov_b64 s[22:23], s[20:21]
	s_mov_b64 s[24:25], s[2:3]
.LBB535_6:                              ; =>This Inner Loop Header: Depth=1
	s_clause 0x1
	s_load_b256 s[44:51], s[24:25], 0x4
	s_load_b128 s[60:63], s[24:25], 0x24
	s_load_b256 s[52:59], s[22:23], 0x0
	s_add_u32 s24, s24, 48
	s_addc_u32 s25, s25, 0
	s_add_i32 s40, s40, 4
	s_add_u32 s22, s22, 32
	s_addc_u32 s23, s23, 0
	s_cmp_lg_u32 s38, s40
	s_waitcnt lgkmcnt(0)
	v_mul_hi_u32 v3, s45, v2
	s_delay_alu instid0(VALU_DEP_1) | instskip(NEXT) | instid1(VALU_DEP_1)
	v_add_nc_u32_e32 v3, v2, v3
	v_lshrrev_b32_e32 v3, s46, v3
	s_delay_alu instid0(VALU_DEP_1) | instskip(SKIP_1) | instid1(VALU_DEP_2)
	v_mul_hi_u32 v4, s48, v3
	v_mul_lo_u32 v6, v3, s44
	v_add_nc_u32_e32 v4, v3, v4
	s_delay_alu instid0(VALU_DEP_2) | instskip(NEXT) | instid1(VALU_DEP_2)
	v_sub_nc_u32_e32 v2, v2, v6
	v_lshrrev_b32_e32 v4, s49, v4
	s_delay_alu instid0(VALU_DEP_2) | instskip(SKIP_1) | instid1(VALU_DEP_3)
	v_mul_lo_u32 v6, v2, s52
	v_mul_lo_u32 v8, v2, s53
	v_mul_hi_u32 v5, s51, v4
	s_delay_alu instid0(VALU_DEP_1) | instskip(NEXT) | instid1(VALU_DEP_1)
	v_add_nc_u32_e32 v5, v4, v5
	v_lshrrev_b32_e32 v5, s60, v5
	s_delay_alu instid0(VALU_DEP_1) | instskip(SKIP_1) | instid1(VALU_DEP_2)
	v_mul_hi_u32 v7, s62, v5
	v_mul_lo_u32 v9, v5, s50
	v_add_nc_u32_e32 v2, v5, v7
	v_mul_lo_u32 v7, v4, s47
	s_delay_alu instid0(VALU_DEP_3) | instskip(NEXT) | instid1(VALU_DEP_3)
	v_sub_nc_u32_e32 v4, v4, v9
	v_lshrrev_b32_e32 v2, s63, v2
	s_delay_alu instid0(VALU_DEP_2) | instskip(SKIP_2) | instid1(VALU_DEP_4)
	v_mul_lo_u32 v9, v4, s56
	v_mul_lo_u32 v4, v4, s57
	v_sub_nc_u32_e32 v3, v3, v7
	v_mul_lo_u32 v10, v2, s61
	s_delay_alu instid0(VALU_DEP_2) | instskip(SKIP_1) | instid1(VALU_DEP_3)
	v_mul_lo_u32 v7, v3, s54
	v_mul_lo_u32 v3, v3, s55
	v_sub_nc_u32_e32 v5, v5, v10
	s_delay_alu instid0(VALU_DEP_3) | instskip(NEXT) | instid1(VALU_DEP_2)
	v_add3_u32 v0, v6, v0, v7
	v_mul_lo_u32 v10, v5, s58
	v_mul_lo_u32 v5, v5, s59
	v_add3_u32 v1, v8, v1, v3
	s_delay_alu instid0(VALU_DEP_3) | instskip(NEXT) | instid1(VALU_DEP_2)
	v_add3_u32 v0, v9, v0, v10
	v_add3_u32 v1, v4, v1, v5
	s_cbranch_scc1 .LBB535_6
	s_branch .LBB535_154
.LBB535_7:
	s_and_not1_saveexec_b32 s4, s29
	s_cbranch_execz .LBB535_262
.LBB535_8:
	v_cndmask_b32_e64 v14, 0, 1, s28
	s_and_not1_b32 vcc_lo, exec_lo, s28
	s_cbranch_vccnz .LBB535_20
; %bb.9:
	v_dual_mov_b32 v0, 0 :: v_dual_mov_b32 v1, 0
	s_cmp_lg_u32 s26, 0
	s_mov_b32 s8, 0
	s_cbranch_scc0 .LBB535_26
; %bb.10:
	s_min_u32 s9, s27, 15
	v_mov_b32_e32 v0, 0
	s_add_i32 s9, s9, 1
	s_cmp_eq_u32 s27, 2
	s_mov_b32 s10, 0
	s_cbranch_scc1 .LBB535_23
; %bb.11:
	v_dual_mov_b32 v1, 0 :: v_dual_mov_b32 v0, 0
	v_mov_b32_e32 v2, v12
	s_add_u32 s4, s2, 0xc4
	s_addc_u32 s5, s3, 0
	s_and_b32 s10, s9, 28
	s_mov_b32 s11, 0
	s_mov_b64 s[6:7], s[2:3]
.LBB535_12:                             ; =>This Inner Loop Header: Depth=1
	s_clause 0x1
	s_load_b256 s[12:19], s[6:7], 0x4
	s_load_b128 s[20:23], s[6:7], 0x24
	s_load_b256 s[36:43], s[4:5], 0x0
	s_add_u32 s6, s6, 48
	s_addc_u32 s7, s7, 0
	s_add_i32 s11, s11, 4
	s_add_u32 s4, s4, 32
	s_addc_u32 s5, s5, 0
	s_cmp_lg_u32 s10, s11
	s_waitcnt lgkmcnt(0)
	v_mul_hi_u32 v3, s13, v2
	s_delay_alu instid0(VALU_DEP_1) | instskip(NEXT) | instid1(VALU_DEP_1)
	v_add_nc_u32_e32 v3, v2, v3
	v_lshrrev_b32_e32 v3, s14, v3
	s_delay_alu instid0(VALU_DEP_1) | instskip(SKIP_1) | instid1(VALU_DEP_2)
	v_mul_hi_u32 v4, s16, v3
	v_mul_lo_u32 v6, v3, s12
	v_add_nc_u32_e32 v4, v3, v4
	s_delay_alu instid0(VALU_DEP_2) | instskip(NEXT) | instid1(VALU_DEP_2)
	v_sub_nc_u32_e32 v2, v2, v6
	v_lshrrev_b32_e32 v4, s17, v4
	s_delay_alu instid0(VALU_DEP_2) | instskip(SKIP_1) | instid1(VALU_DEP_3)
	v_mul_lo_u32 v6, v2, s36
	v_mul_lo_u32 v8, v2, s37
	v_mul_hi_u32 v5, s19, v4
	s_delay_alu instid0(VALU_DEP_1) | instskip(NEXT) | instid1(VALU_DEP_1)
	v_add_nc_u32_e32 v5, v4, v5
	v_lshrrev_b32_e32 v5, s20, v5
	s_delay_alu instid0(VALU_DEP_1) | instskip(SKIP_1) | instid1(VALU_DEP_2)
	v_mul_hi_u32 v7, s22, v5
	v_mul_lo_u32 v9, v5, s18
	v_add_nc_u32_e32 v2, v5, v7
	v_mul_lo_u32 v7, v4, s15
	s_delay_alu instid0(VALU_DEP_3) | instskip(NEXT) | instid1(VALU_DEP_3)
	v_sub_nc_u32_e32 v4, v4, v9
	v_lshrrev_b32_e32 v2, s23, v2
	s_delay_alu instid0(VALU_DEP_2) | instskip(SKIP_2) | instid1(VALU_DEP_4)
	v_mul_lo_u32 v9, v4, s40
	v_mul_lo_u32 v4, v4, s41
	v_sub_nc_u32_e32 v3, v3, v7
	v_mul_lo_u32 v10, v2, s21
	s_delay_alu instid0(VALU_DEP_2) | instskip(SKIP_1) | instid1(VALU_DEP_3)
	v_mul_lo_u32 v7, v3, s38
	v_mul_lo_u32 v3, v3, s39
	v_sub_nc_u32_e32 v5, v5, v10
	s_delay_alu instid0(VALU_DEP_3) | instskip(NEXT) | instid1(VALU_DEP_2)
	v_add3_u32 v0, v6, v0, v7
	v_mul_lo_u32 v10, v5, s42
	v_mul_lo_u32 v5, v5, s43
	v_add3_u32 v1, v8, v1, v3
	s_delay_alu instid0(VALU_DEP_3) | instskip(NEXT) | instid1(VALU_DEP_2)
	v_add3_u32 v0, v9, v0, v10
	v_add3_u32 v1, v4, v1, v5
	s_cbranch_scc1 .LBB535_12
; %bb.13:
	s_and_b32 s9, s9, 3
	s_delay_alu instid0(SALU_CYCLE_1)
	s_cmp_eq_u32 s9, 0
	s_cbranch_scc0 .LBB535_24
	s_branch .LBB535_26
.LBB535_14:
	s_or_b32 exec_lo, exec_lo, s36
	s_delay_alu instid0(SALU_CYCLE_1)
	s_mov_b32 s36, exec_lo
	v_cmpx_gt_i32_e64 s33, v12
	s_cbranch_execz .LBB535_165
.LBB535_15:
	s_and_not1_b32 vcc_lo, exec_lo, s28
	s_cbranch_vccnz .LBB535_22
; %bb.16:
	v_dual_mov_b32 v0, 0 :: v_dual_mov_b32 v1, 0
	s_and_not1_b32 vcc_lo, exec_lo, s35
	s_mov_b32 s37, 0
	s_cbranch_vccnz .LBB535_176
; %bb.17:
	v_mov_b32_e32 v0, 0
	s_add_i32 s39, s34, 1
	s_cmp_eq_u32 s27, 2
	s_mov_b32 s38, 0
	s_cbranch_scc1 .LBB535_172
; %bb.18:
	v_dual_mov_b32 v1, 0 :: v_dual_mov_b32 v0, 0
	v_mov_b32_e32 v2, v12
	s_and_b32 s38, s39, 28
	s_mov_b32 s40, 0
	s_mov_b64 s[22:23], s[20:21]
	s_mov_b64 s[24:25], s[2:3]
.LBB535_19:                             ; =>This Inner Loop Header: Depth=1
	s_clause 0x1
	s_load_b256 s[44:51], s[24:25], 0x4
	s_load_b128 s[60:63], s[24:25], 0x24
	s_load_b256 s[52:59], s[22:23], 0x0
	s_add_u32 s24, s24, 48
	s_addc_u32 s25, s25, 0
	s_add_i32 s40, s40, 4
	s_add_u32 s22, s22, 32
	s_addc_u32 s23, s23, 0
	s_cmp_eq_u32 s38, s40
	s_waitcnt lgkmcnt(0)
	v_mul_hi_u32 v3, s45, v2
	s_delay_alu instid0(VALU_DEP_1) | instskip(NEXT) | instid1(VALU_DEP_1)
	v_add_nc_u32_e32 v3, v2, v3
	v_lshrrev_b32_e32 v3, s46, v3
	s_delay_alu instid0(VALU_DEP_1) | instskip(SKIP_1) | instid1(VALU_DEP_2)
	v_mul_hi_u32 v4, s48, v3
	v_mul_lo_u32 v6, v3, s44
	v_add_nc_u32_e32 v4, v3, v4
	s_delay_alu instid0(VALU_DEP_2) | instskip(NEXT) | instid1(VALU_DEP_2)
	v_sub_nc_u32_e32 v2, v2, v6
	v_lshrrev_b32_e32 v4, s49, v4
	s_delay_alu instid0(VALU_DEP_2) | instskip(SKIP_1) | instid1(VALU_DEP_3)
	v_mul_lo_u32 v6, v2, s52
	v_mul_lo_u32 v8, v2, s53
	v_mul_hi_u32 v5, s51, v4
	s_delay_alu instid0(VALU_DEP_1) | instskip(NEXT) | instid1(VALU_DEP_1)
	v_add_nc_u32_e32 v5, v4, v5
	v_lshrrev_b32_e32 v5, s60, v5
	s_delay_alu instid0(VALU_DEP_1) | instskip(SKIP_1) | instid1(VALU_DEP_2)
	v_mul_hi_u32 v7, s62, v5
	v_mul_lo_u32 v9, v5, s50
	v_add_nc_u32_e32 v2, v5, v7
	v_mul_lo_u32 v7, v4, s47
	s_delay_alu instid0(VALU_DEP_3) | instskip(NEXT) | instid1(VALU_DEP_3)
	v_sub_nc_u32_e32 v4, v4, v9
	v_lshrrev_b32_e32 v2, s63, v2
	s_delay_alu instid0(VALU_DEP_2) | instskip(SKIP_2) | instid1(VALU_DEP_4)
	v_mul_lo_u32 v9, v4, s56
	v_mul_lo_u32 v4, v4, s57
	v_sub_nc_u32_e32 v3, v3, v7
	v_mul_lo_u32 v10, v2, s61
	s_delay_alu instid0(VALU_DEP_2) | instskip(SKIP_1) | instid1(VALU_DEP_3)
	v_mul_lo_u32 v7, v3, s54
	v_mul_lo_u32 v3, v3, s55
	v_sub_nc_u32_e32 v5, v5, v10
	s_delay_alu instid0(VALU_DEP_3) | instskip(NEXT) | instid1(VALU_DEP_2)
	v_add3_u32 v0, v6, v0, v7
	v_mul_lo_u32 v10, v5, s58
	v_mul_lo_u32 v5, v5, s59
	v_add3_u32 v1, v8, v1, v3
	s_delay_alu instid0(VALU_DEP_3) | instskip(NEXT) | instid1(VALU_DEP_2)
	v_add3_u32 v0, v9, v0, v10
	v_add3_u32 v1, v4, v1, v5
	s_cbranch_scc0 .LBB535_19
	s_branch .LBB535_173
.LBB535_20:
	s_mov_b32 s8, -1
                                        ; implicit-def: $vgpr0
                                        ; implicit-def: $vgpr1
	s_branch .LBB535_26
.LBB535_21:
	s_mov_b32 s37, -1
                                        ; implicit-def: $vgpr0
                                        ; implicit-def: $vgpr1
	s_branch .LBB535_157
.LBB535_22:
	s_mov_b32 s37, -1
                                        ; implicit-def: $vgpr0
                                        ; implicit-def: $vgpr1
	s_branch .LBB535_176
.LBB535_23:
	v_dual_mov_b32 v2, v12 :: v_dual_mov_b32 v1, 0
	s_and_b32 s9, s9, 3
	s_delay_alu instid0(SALU_CYCLE_1)
	s_cmp_eq_u32 s9, 0
	s_cbranch_scc1 .LBB535_26
.LBB535_24:
	s_lshl_b32 s4, s10, 3
	s_mul_i32 s6, s10, 12
	s_add_u32 s4, s4, s2
	s_addc_u32 s5, 0, s3
	s_add_u32 s4, s4, 0xc4
	s_addc_u32 s5, s5, 0
	;; [unrolled: 2-line block ×3, first 2 shown]
	.p2align	6
.LBB535_25:                             ; =>This Inner Loop Header: Depth=1
	s_clause 0x1
	s_load_b64 s[10:11], s[6:7], 0x4
	s_load_b32 s14, s[6:7], 0xc
	s_load_b64 s[12:13], s[4:5], 0x0
	s_add_u32 s6, s6, 12
	s_addc_u32 s7, s7, 0
	s_add_u32 s4, s4, 8
	s_addc_u32 s5, s5, 0
	s_add_i32 s9, s9, -1
	s_delay_alu instid0(SALU_CYCLE_1) | instskip(SKIP_2) | instid1(VALU_DEP_1)
	s_cmp_lg_u32 s9, 0
	s_waitcnt lgkmcnt(0)
	v_mul_hi_u32 v3, s11, v2
	v_add_nc_u32_e32 v3, v2, v3
	s_delay_alu instid0(VALU_DEP_1) | instskip(NEXT) | instid1(VALU_DEP_1)
	v_lshrrev_b32_e32 v6, s14, v3
	v_mul_lo_u32 v3, v6, s10
	s_delay_alu instid0(VALU_DEP_1) | instskip(NEXT) | instid1(VALU_DEP_1)
	v_sub_nc_u32_e32 v2, v2, v3
	v_mad_u64_u32 v[3:4], null, v2, s12, v[0:1]
	v_mad_u64_u32 v[4:5], null, v2, s13, v[1:2]
	v_mov_b32_e32 v2, v6
	s_delay_alu instid0(VALU_DEP_2)
	v_dual_mov_b32 v0, v3 :: v_dual_mov_b32 v1, v4
	s_cbranch_scc1 .LBB535_25
.LBB535_26:
	s_and_not1_b32 vcc_lo, exec_lo, s8
	s_cbranch_vccnz .LBB535_29
; %bb.27:
	s_clause 0x1
	s_load_b128 s[4:7], s[2:3], 0x4
	s_load_b64 s[8:9], s[2:3], 0xc4
	s_cmp_lt_u32 s26, 2
	s_waitcnt lgkmcnt(0)
	v_mul_hi_u32 v0, s5, v12
	s_delay_alu instid0(VALU_DEP_1) | instskip(NEXT) | instid1(VALU_DEP_1)
	v_add_nc_u32_e32 v0, v12, v0
	v_lshrrev_b32_e32 v2, s6, v0
	s_delay_alu instid0(VALU_DEP_1) | instskip(NEXT) | instid1(VALU_DEP_1)
	v_mul_lo_u32 v0, v2, s4
	v_sub_nc_u32_e32 v1, v12, v0
	s_delay_alu instid0(VALU_DEP_1)
	v_mul_lo_u32 v0, v1, s8
	v_mul_lo_u32 v1, v1, s9
	s_cbranch_scc1 .LBB535_29
; %bb.28:
	s_clause 0x1
	s_load_b128 s[4:7], s[2:3], 0x10
	s_load_b64 s[8:9], s[2:3], 0xcc
	s_waitcnt lgkmcnt(0)
	v_mul_hi_u32 v3, s5, v2
	s_delay_alu instid0(VALU_DEP_1) | instskip(NEXT) | instid1(VALU_DEP_1)
	v_add_nc_u32_e32 v3, v2, v3
	v_lshrrev_b32_e32 v3, s6, v3
	s_delay_alu instid0(VALU_DEP_1) | instskip(NEXT) | instid1(VALU_DEP_1)
	v_mul_lo_u32 v3, v3, s4
	v_sub_nc_u32_e32 v5, v2, v3
	s_delay_alu instid0(VALU_DEP_1) | instskip(NEXT) | instid1(VALU_DEP_1)
	v_mad_u64_u32 v[2:3], null, v5, s8, v[0:1]
	v_mad_u64_u32 v[3:4], null, v5, s9, v[1:2]
	s_delay_alu instid0(VALU_DEP_1)
	v_dual_mov_b32 v0, v2 :: v_dual_mov_b32 v1, v3
.LBB535_29:
	v_cmp_ne_u32_e32 vcc_lo, 1, v14
	v_add_nc_u32_e32 v4, 0x80, v12
	s_cbranch_vccnz .LBB535_35
; %bb.30:
	v_dual_mov_b32 v2, 0 :: v_dual_mov_b32 v3, 0
	s_cmp_lg_u32 s26, 0
	s_mov_b32 s8, 0
	s_cbranch_scc0 .LBB535_39
; %bb.31:
	s_min_u32 s9, s27, 15
	v_mov_b32_e32 v2, 0
	s_add_i32 s9, s9, 1
	s_cmp_eq_u32 s27, 2
	s_mov_b32 s10, 0
	s_cbranch_scc1 .LBB535_36
; %bb.32:
	v_dual_mov_b32 v3, 0 :: v_dual_mov_b32 v2, 0
	v_mov_b32_e32 v5, v4
	s_add_u32 s4, s2, 0xc4
	s_addc_u32 s5, s3, 0
	s_and_b32 s10, s9, 28
	s_mov_b32 s11, 0
	s_mov_b64 s[6:7], s[2:3]
.LBB535_33:                             ; =>This Inner Loop Header: Depth=1
	s_clause 0x1
	s_load_b256 s[12:19], s[6:7], 0x4
	s_load_b128 s[20:23], s[6:7], 0x24
	s_load_b256 s[36:43], s[4:5], 0x0
	s_add_u32 s6, s6, 48
	s_addc_u32 s7, s7, 0
	s_add_i32 s11, s11, 4
	s_add_u32 s4, s4, 32
	s_addc_u32 s5, s5, 0
	s_cmp_lg_u32 s10, s11
	s_waitcnt lgkmcnt(0)
	v_mul_hi_u32 v6, s13, v5
	s_delay_alu instid0(VALU_DEP_1) | instskip(NEXT) | instid1(VALU_DEP_1)
	v_add_nc_u32_e32 v6, v5, v6
	v_lshrrev_b32_e32 v6, s14, v6
	s_delay_alu instid0(VALU_DEP_1) | instskip(SKIP_1) | instid1(VALU_DEP_2)
	v_mul_hi_u32 v7, s16, v6
	v_mul_lo_u32 v9, v6, s12
	v_add_nc_u32_e32 v7, v6, v7
	s_delay_alu instid0(VALU_DEP_2) | instskip(NEXT) | instid1(VALU_DEP_2)
	v_sub_nc_u32_e32 v5, v5, v9
	v_lshrrev_b32_e32 v7, s17, v7
	s_delay_alu instid0(VALU_DEP_2) | instskip(SKIP_1) | instid1(VALU_DEP_3)
	v_mul_lo_u32 v9, v5, s36
	v_mul_lo_u32 v11, v5, s37
	v_mul_hi_u32 v8, s19, v7
	s_delay_alu instid0(VALU_DEP_1) | instskip(NEXT) | instid1(VALU_DEP_1)
	v_add_nc_u32_e32 v8, v7, v8
	v_lshrrev_b32_e32 v8, s20, v8
	s_delay_alu instid0(VALU_DEP_1) | instskip(SKIP_1) | instid1(VALU_DEP_2)
	v_mul_hi_u32 v10, s22, v8
	v_mul_lo_u32 v13, v8, s18
	v_add_nc_u32_e32 v5, v8, v10
	v_mul_lo_u32 v10, v7, s15
	s_delay_alu instid0(VALU_DEP_3) | instskip(NEXT) | instid1(VALU_DEP_3)
	v_sub_nc_u32_e32 v7, v7, v13
	v_lshrrev_b32_e32 v5, s23, v5
	s_delay_alu instid0(VALU_DEP_2) | instskip(SKIP_2) | instid1(VALU_DEP_4)
	v_mul_lo_u32 v13, v7, s40
	v_mul_lo_u32 v7, v7, s41
	v_sub_nc_u32_e32 v6, v6, v10
	v_mul_lo_u32 v15, v5, s21
	s_delay_alu instid0(VALU_DEP_2) | instskip(SKIP_1) | instid1(VALU_DEP_3)
	v_mul_lo_u32 v10, v6, s38
	v_mul_lo_u32 v6, v6, s39
	v_sub_nc_u32_e32 v8, v8, v15
	s_delay_alu instid0(VALU_DEP_3) | instskip(NEXT) | instid1(VALU_DEP_2)
	v_add3_u32 v2, v9, v2, v10
	v_mul_lo_u32 v15, v8, s42
	v_mul_lo_u32 v8, v8, s43
	v_add3_u32 v3, v11, v3, v6
	s_delay_alu instid0(VALU_DEP_3) | instskip(NEXT) | instid1(VALU_DEP_2)
	v_add3_u32 v2, v13, v2, v15
	v_add3_u32 v3, v7, v3, v8
	s_cbranch_scc1 .LBB535_33
; %bb.34:
	s_and_b32 s9, s9, 3
	s_delay_alu instid0(SALU_CYCLE_1)
	s_cmp_eq_u32 s9, 0
	s_cbranch_scc0 .LBB535_37
	s_branch .LBB535_39
.LBB535_35:
	s_mov_b32 s8, -1
                                        ; implicit-def: $vgpr2
                                        ; implicit-def: $vgpr3
	s_branch .LBB535_39
.LBB535_36:
	v_mov_b32_e32 v5, v4
	v_mov_b32_e32 v3, 0
	s_and_b32 s9, s9, 3
	s_delay_alu instid0(SALU_CYCLE_1)
	s_cmp_eq_u32 s9, 0
	s_cbranch_scc1 .LBB535_39
.LBB535_37:
	s_lshl_b32 s4, s10, 3
	s_mul_i32 s6, s10, 12
	s_add_u32 s4, s4, s2
	s_addc_u32 s5, 0, s3
	s_add_u32 s4, s4, 0xc4
	s_addc_u32 s5, s5, 0
	;; [unrolled: 2-line block ×3, first 2 shown]
	.p2align	6
.LBB535_38:                             ; =>This Inner Loop Header: Depth=1
	s_clause 0x1
	s_load_b64 s[10:11], s[6:7], 0x4
	s_load_b32 s14, s[6:7], 0xc
	s_load_b64 s[12:13], s[4:5], 0x0
	s_add_u32 s6, s6, 12
	s_addc_u32 s7, s7, 0
	s_add_u32 s4, s4, 8
	s_addc_u32 s5, s5, 0
	s_add_i32 s9, s9, -1
	s_delay_alu instid0(SALU_CYCLE_1) | instskip(SKIP_2) | instid1(VALU_DEP_1)
	s_cmp_lg_u32 s9, 0
	s_waitcnt lgkmcnt(0)
	v_mul_hi_u32 v6, s11, v5
	v_add_nc_u32_e32 v6, v5, v6
	s_delay_alu instid0(VALU_DEP_1) | instskip(NEXT) | instid1(VALU_DEP_1)
	v_lshrrev_b32_e32 v9, s14, v6
	v_mul_lo_u32 v6, v9, s10
	s_delay_alu instid0(VALU_DEP_1) | instskip(NEXT) | instid1(VALU_DEP_1)
	v_sub_nc_u32_e32 v5, v5, v6
	v_mad_u64_u32 v[6:7], null, v5, s12, v[2:3]
	v_mad_u64_u32 v[7:8], null, v5, s13, v[3:4]
	s_delay_alu instid0(VALU_DEP_2) | instskip(NEXT) | instid1(VALU_DEP_2)
	v_dual_mov_b32 v5, v9 :: v_dual_mov_b32 v2, v6
	v_mov_b32_e32 v3, v7
	s_cbranch_scc1 .LBB535_38
.LBB535_39:
	s_and_not1_b32 vcc_lo, exec_lo, s8
	s_cbranch_vccnz .LBB535_42
; %bb.40:
	s_clause 0x1
	s_load_b128 s[4:7], s[2:3], 0x4
	s_load_b64 s[8:9], s[2:3], 0xc4
	s_cmp_lt_u32 s26, 2
	s_waitcnt lgkmcnt(0)
	v_mul_hi_u32 v2, s5, v4
	s_delay_alu instid0(VALU_DEP_1) | instskip(NEXT) | instid1(VALU_DEP_1)
	v_add_nc_u32_e32 v2, v4, v2
	v_lshrrev_b32_e32 v5, s6, v2
	s_delay_alu instid0(VALU_DEP_1) | instskip(NEXT) | instid1(VALU_DEP_1)
	v_mul_lo_u32 v2, v5, s4
	v_sub_nc_u32_e32 v3, v4, v2
	s_delay_alu instid0(VALU_DEP_1)
	v_mul_lo_u32 v2, v3, s8
	v_mul_lo_u32 v3, v3, s9
	s_cbranch_scc1 .LBB535_42
; %bb.41:
	s_clause 0x1
	s_load_b128 s[4:7], s[2:3], 0x10
	s_load_b64 s[8:9], s[2:3], 0xcc
	s_waitcnt lgkmcnt(0)
	v_mul_hi_u32 v4, s5, v5
	s_delay_alu instid0(VALU_DEP_1) | instskip(NEXT) | instid1(VALU_DEP_1)
	v_add_nc_u32_e32 v4, v5, v4
	v_lshrrev_b32_e32 v4, s6, v4
	s_delay_alu instid0(VALU_DEP_1) | instskip(NEXT) | instid1(VALU_DEP_1)
	v_mul_lo_u32 v4, v4, s4
	v_sub_nc_u32_e32 v7, v5, v4
	s_delay_alu instid0(VALU_DEP_1) | instskip(NEXT) | instid1(VALU_DEP_1)
	v_mad_u64_u32 v[4:5], null, v7, s8, v[2:3]
	v_mad_u64_u32 v[5:6], null, v7, s9, v[3:4]
	s_delay_alu instid0(VALU_DEP_1)
	v_dual_mov_b32 v2, v4 :: v_dual_mov_b32 v3, v5
.LBB535_42:
	v_cmp_ne_u32_e32 vcc_lo, 1, v14
	v_add_nc_u32_e32 v6, 0x100, v12
	s_cbranch_vccnz .LBB535_48
; %bb.43:
	v_dual_mov_b32 v4, 0 :: v_dual_mov_b32 v5, 0
	s_cmp_lg_u32 s26, 0
	s_mov_b32 s8, 0
	s_cbranch_scc0 .LBB535_52
; %bb.44:
	s_min_u32 s9, s27, 15
	v_mov_b32_e32 v4, 0
	s_add_i32 s9, s9, 1
	s_cmp_eq_u32 s27, 2
	s_mov_b32 s10, 0
	s_cbranch_scc1 .LBB535_49
; %bb.45:
	v_dual_mov_b32 v5, 0 :: v_dual_mov_b32 v4, 0
	v_mov_b32_e32 v7, v6
	s_add_u32 s4, s2, 0xc4
	s_addc_u32 s5, s3, 0
	s_and_b32 s10, s9, 28
	s_mov_b32 s11, 0
	s_mov_b64 s[6:7], s[2:3]
.LBB535_46:                             ; =>This Inner Loop Header: Depth=1
	s_clause 0x1
	s_load_b256 s[12:19], s[6:7], 0x4
	s_load_b128 s[20:23], s[6:7], 0x24
	s_load_b256 s[36:43], s[4:5], 0x0
	s_add_u32 s6, s6, 48
	s_addc_u32 s7, s7, 0
	s_add_i32 s11, s11, 4
	s_add_u32 s4, s4, 32
	s_addc_u32 s5, s5, 0
	s_cmp_lg_u32 s10, s11
	s_waitcnt lgkmcnt(0)
	v_mul_hi_u32 v8, s13, v7
	s_delay_alu instid0(VALU_DEP_1) | instskip(NEXT) | instid1(VALU_DEP_1)
	v_add_nc_u32_e32 v8, v7, v8
	v_lshrrev_b32_e32 v8, s14, v8
	s_delay_alu instid0(VALU_DEP_1) | instskip(SKIP_1) | instid1(VALU_DEP_2)
	v_mul_hi_u32 v9, s16, v8
	v_mul_lo_u32 v11, v8, s12
	v_add_nc_u32_e32 v9, v8, v9
	s_delay_alu instid0(VALU_DEP_2) | instskip(NEXT) | instid1(VALU_DEP_2)
	v_sub_nc_u32_e32 v7, v7, v11
	v_lshrrev_b32_e32 v9, s17, v9
	s_delay_alu instid0(VALU_DEP_2) | instskip(SKIP_1) | instid1(VALU_DEP_3)
	v_mul_lo_u32 v11, v7, s36
	v_mul_lo_u32 v15, v7, s37
	v_mul_hi_u32 v10, s19, v9
	s_delay_alu instid0(VALU_DEP_1) | instskip(NEXT) | instid1(VALU_DEP_1)
	v_add_nc_u32_e32 v10, v9, v10
	v_lshrrev_b32_e32 v10, s20, v10
	s_delay_alu instid0(VALU_DEP_1) | instskip(SKIP_1) | instid1(VALU_DEP_2)
	v_mul_hi_u32 v13, s22, v10
	v_mul_lo_u32 v17, v10, s18
	v_add_nc_u32_e32 v7, v10, v13
	v_mul_lo_u32 v13, v9, s15
	s_delay_alu instid0(VALU_DEP_3) | instskip(NEXT) | instid1(VALU_DEP_3)
	v_sub_nc_u32_e32 v9, v9, v17
	v_lshrrev_b32_e32 v7, s23, v7
	s_delay_alu instid0(VALU_DEP_2) | instskip(SKIP_2) | instid1(VALU_DEP_4)
	v_mul_lo_u32 v17, v9, s40
	v_mul_lo_u32 v9, v9, s41
	v_sub_nc_u32_e32 v8, v8, v13
	v_mul_lo_u32 v18, v7, s21
	s_delay_alu instid0(VALU_DEP_2) | instskip(SKIP_1) | instid1(VALU_DEP_3)
	v_mul_lo_u32 v13, v8, s38
	v_mul_lo_u32 v8, v8, s39
	v_sub_nc_u32_e32 v10, v10, v18
	s_delay_alu instid0(VALU_DEP_3) | instskip(NEXT) | instid1(VALU_DEP_2)
	v_add3_u32 v4, v11, v4, v13
	v_mul_lo_u32 v18, v10, s42
	v_mul_lo_u32 v10, v10, s43
	v_add3_u32 v5, v15, v5, v8
	s_delay_alu instid0(VALU_DEP_3) | instskip(NEXT) | instid1(VALU_DEP_2)
	v_add3_u32 v4, v17, v4, v18
	v_add3_u32 v5, v9, v5, v10
	s_cbranch_scc1 .LBB535_46
; %bb.47:
	s_and_b32 s9, s9, 3
	s_delay_alu instid0(SALU_CYCLE_1)
	s_cmp_eq_u32 s9, 0
	s_cbranch_scc0 .LBB535_50
	s_branch .LBB535_52
.LBB535_48:
	s_mov_b32 s8, -1
                                        ; implicit-def: $vgpr4
                                        ; implicit-def: $vgpr5
	s_branch .LBB535_52
.LBB535_49:
	v_mov_b32_e32 v7, v6
	v_mov_b32_e32 v5, 0
	s_and_b32 s9, s9, 3
	s_delay_alu instid0(SALU_CYCLE_1)
	s_cmp_eq_u32 s9, 0
	s_cbranch_scc1 .LBB535_52
.LBB535_50:
	s_lshl_b32 s4, s10, 3
	s_mul_i32 s6, s10, 12
	s_add_u32 s4, s4, s2
	s_addc_u32 s5, 0, s3
	s_add_u32 s4, s4, 0xc4
	s_addc_u32 s5, s5, 0
	;; [unrolled: 2-line block ×3, first 2 shown]
	.p2align	6
.LBB535_51:                             ; =>This Inner Loop Header: Depth=1
	s_clause 0x1
	s_load_b64 s[10:11], s[6:7], 0x4
	s_load_b32 s14, s[6:7], 0xc
	s_load_b64 s[12:13], s[4:5], 0x0
	s_add_u32 s6, s6, 12
	s_addc_u32 s7, s7, 0
	s_add_u32 s4, s4, 8
	s_addc_u32 s5, s5, 0
	s_add_i32 s9, s9, -1
	s_delay_alu instid0(SALU_CYCLE_1) | instskip(SKIP_2) | instid1(VALU_DEP_1)
	s_cmp_lg_u32 s9, 0
	s_waitcnt lgkmcnt(0)
	v_mul_hi_u32 v8, s11, v7
	v_add_nc_u32_e32 v8, v7, v8
	s_delay_alu instid0(VALU_DEP_1) | instskip(NEXT) | instid1(VALU_DEP_1)
	v_lshrrev_b32_e32 v11, s14, v8
	v_mul_lo_u32 v8, v11, s10
	s_delay_alu instid0(VALU_DEP_1) | instskip(NEXT) | instid1(VALU_DEP_1)
	v_sub_nc_u32_e32 v7, v7, v8
	v_mad_u64_u32 v[8:9], null, v7, s12, v[4:5]
	v_mad_u64_u32 v[9:10], null, v7, s13, v[5:6]
	s_delay_alu instid0(VALU_DEP_2) | instskip(NEXT) | instid1(VALU_DEP_2)
	v_dual_mov_b32 v7, v11 :: v_dual_mov_b32 v4, v8
	v_mov_b32_e32 v5, v9
	s_cbranch_scc1 .LBB535_51
.LBB535_52:
	s_and_not1_b32 vcc_lo, exec_lo, s8
	s_cbranch_vccnz .LBB535_55
; %bb.53:
	s_clause 0x1
	s_load_b128 s[4:7], s[2:3], 0x4
	s_load_b64 s[8:9], s[2:3], 0xc4
	s_cmp_lt_u32 s26, 2
	s_waitcnt lgkmcnt(0)
	v_mul_hi_u32 v4, s5, v6
	s_delay_alu instid0(VALU_DEP_1) | instskip(NEXT) | instid1(VALU_DEP_1)
	v_add_nc_u32_e32 v4, v6, v4
	v_lshrrev_b32_e32 v7, s6, v4
	s_delay_alu instid0(VALU_DEP_1) | instskip(NEXT) | instid1(VALU_DEP_1)
	v_mul_lo_u32 v4, v7, s4
	v_sub_nc_u32_e32 v5, v6, v4
	s_delay_alu instid0(VALU_DEP_1)
	v_mul_lo_u32 v4, v5, s8
	v_mul_lo_u32 v5, v5, s9
	s_cbranch_scc1 .LBB535_55
; %bb.54:
	s_clause 0x1
	s_load_b128 s[4:7], s[2:3], 0x10
	s_load_b64 s[8:9], s[2:3], 0xcc
	s_waitcnt lgkmcnt(0)
	v_mul_hi_u32 v6, s5, v7
	s_delay_alu instid0(VALU_DEP_1) | instskip(NEXT) | instid1(VALU_DEP_1)
	v_add_nc_u32_e32 v6, v7, v6
	v_lshrrev_b32_e32 v6, s6, v6
	s_delay_alu instid0(VALU_DEP_1) | instskip(NEXT) | instid1(VALU_DEP_1)
	v_mul_lo_u32 v6, v6, s4
	v_sub_nc_u32_e32 v9, v7, v6
	s_delay_alu instid0(VALU_DEP_1) | instskip(NEXT) | instid1(VALU_DEP_1)
	v_mad_u64_u32 v[6:7], null, v9, s8, v[4:5]
	v_mad_u64_u32 v[7:8], null, v9, s9, v[5:6]
	s_delay_alu instid0(VALU_DEP_1)
	v_dual_mov_b32 v4, v6 :: v_dual_mov_b32 v5, v7
.LBB535_55:
	v_cmp_ne_u32_e32 vcc_lo, 1, v14
	v_add_nc_u32_e32 v8, 0x180, v12
	s_cbranch_vccnz .LBB535_61
; %bb.56:
	v_dual_mov_b32 v6, 0 :: v_dual_mov_b32 v7, 0
	s_cmp_lg_u32 s26, 0
	s_mov_b32 s8, 0
	s_cbranch_scc0 .LBB535_65
; %bb.57:
	s_min_u32 s9, s27, 15
	v_mov_b32_e32 v6, 0
	s_add_i32 s9, s9, 1
	s_cmp_eq_u32 s27, 2
	s_mov_b32 s10, 0
	s_cbranch_scc1 .LBB535_62
; %bb.58:
	v_dual_mov_b32 v7, 0 :: v_dual_mov_b32 v6, 0
	v_mov_b32_e32 v9, v8
	s_add_u32 s4, s2, 0xc4
	s_addc_u32 s5, s3, 0
	s_and_b32 s10, s9, 28
	s_mov_b32 s11, 0
	s_mov_b64 s[6:7], s[2:3]
.LBB535_59:                             ; =>This Inner Loop Header: Depth=1
	s_clause 0x1
	s_load_b256 s[12:19], s[6:7], 0x4
	s_load_b128 s[20:23], s[6:7], 0x24
	s_load_b256 s[36:43], s[4:5], 0x0
	s_add_u32 s6, s6, 48
	s_addc_u32 s7, s7, 0
	s_add_i32 s11, s11, 4
	s_add_u32 s4, s4, 32
	s_addc_u32 s5, s5, 0
	s_cmp_lg_u32 s10, s11
	s_waitcnt lgkmcnt(0)
	v_mul_hi_u32 v10, s13, v9
	s_delay_alu instid0(VALU_DEP_1) | instskip(NEXT) | instid1(VALU_DEP_1)
	v_add_nc_u32_e32 v10, v9, v10
	v_lshrrev_b32_e32 v10, s14, v10
	s_delay_alu instid0(VALU_DEP_1) | instskip(SKIP_1) | instid1(VALU_DEP_2)
	v_mul_hi_u32 v11, s16, v10
	v_mul_lo_u32 v15, v10, s12
	v_add_nc_u32_e32 v11, v10, v11
	s_delay_alu instid0(VALU_DEP_2) | instskip(NEXT) | instid1(VALU_DEP_2)
	v_sub_nc_u32_e32 v9, v9, v15
	v_lshrrev_b32_e32 v11, s17, v11
	s_delay_alu instid0(VALU_DEP_2) | instskip(SKIP_1) | instid1(VALU_DEP_3)
	v_mul_lo_u32 v15, v9, s36
	v_mul_lo_u32 v18, v9, s37
	v_mul_hi_u32 v13, s19, v11
	s_delay_alu instid0(VALU_DEP_1) | instskip(NEXT) | instid1(VALU_DEP_1)
	v_add_nc_u32_e32 v13, v11, v13
	v_lshrrev_b32_e32 v13, s20, v13
	s_delay_alu instid0(VALU_DEP_1) | instskip(SKIP_1) | instid1(VALU_DEP_2)
	v_mul_hi_u32 v17, s22, v13
	v_mul_lo_u32 v19, v13, s18
	v_add_nc_u32_e32 v9, v13, v17
	v_mul_lo_u32 v17, v11, s15
	s_delay_alu instid0(VALU_DEP_3) | instskip(NEXT) | instid1(VALU_DEP_3)
	v_sub_nc_u32_e32 v11, v11, v19
	v_lshrrev_b32_e32 v9, s23, v9
	s_delay_alu instid0(VALU_DEP_2) | instskip(SKIP_2) | instid1(VALU_DEP_4)
	v_mul_lo_u32 v19, v11, s40
	v_mul_lo_u32 v11, v11, s41
	v_sub_nc_u32_e32 v10, v10, v17
	v_mul_lo_u32 v20, v9, s21
	s_delay_alu instid0(VALU_DEP_2) | instskip(SKIP_1) | instid1(VALU_DEP_3)
	v_mul_lo_u32 v17, v10, s38
	v_mul_lo_u32 v10, v10, s39
	v_sub_nc_u32_e32 v13, v13, v20
	s_delay_alu instid0(VALU_DEP_3) | instskip(NEXT) | instid1(VALU_DEP_2)
	v_add3_u32 v6, v15, v6, v17
	v_mul_lo_u32 v20, v13, s42
	v_mul_lo_u32 v13, v13, s43
	v_add3_u32 v7, v18, v7, v10
	s_delay_alu instid0(VALU_DEP_3) | instskip(NEXT) | instid1(VALU_DEP_2)
	v_add3_u32 v6, v19, v6, v20
	v_add3_u32 v7, v11, v7, v13
	s_cbranch_scc1 .LBB535_59
; %bb.60:
	s_and_b32 s9, s9, 3
	s_delay_alu instid0(SALU_CYCLE_1)
	s_cmp_eq_u32 s9, 0
	s_cbranch_scc0 .LBB535_63
	s_branch .LBB535_65
.LBB535_61:
	s_mov_b32 s8, -1
                                        ; implicit-def: $vgpr6
                                        ; implicit-def: $vgpr7
	s_branch .LBB535_65
.LBB535_62:
	v_mov_b32_e32 v9, v8
	v_mov_b32_e32 v7, 0
	s_and_b32 s9, s9, 3
	s_delay_alu instid0(SALU_CYCLE_1)
	s_cmp_eq_u32 s9, 0
	s_cbranch_scc1 .LBB535_65
.LBB535_63:
	s_lshl_b32 s4, s10, 3
	s_mul_i32 s6, s10, 12
	s_add_u32 s4, s4, s2
	s_addc_u32 s5, 0, s3
	s_add_u32 s4, s4, 0xc4
	s_addc_u32 s5, s5, 0
	;; [unrolled: 2-line block ×3, first 2 shown]
	.p2align	6
.LBB535_64:                             ; =>This Inner Loop Header: Depth=1
	s_clause 0x1
	s_load_b64 s[10:11], s[6:7], 0x4
	s_load_b32 s14, s[6:7], 0xc
	s_load_b64 s[12:13], s[4:5], 0x0
	s_add_u32 s6, s6, 12
	s_addc_u32 s7, s7, 0
	s_add_u32 s4, s4, 8
	s_addc_u32 s5, s5, 0
	s_add_i32 s9, s9, -1
	s_delay_alu instid0(SALU_CYCLE_1) | instskip(SKIP_2) | instid1(VALU_DEP_1)
	s_cmp_lg_u32 s9, 0
	s_waitcnt lgkmcnt(0)
	v_mul_hi_u32 v10, s11, v9
	v_add_nc_u32_e32 v10, v9, v10
	s_delay_alu instid0(VALU_DEP_1) | instskip(NEXT) | instid1(VALU_DEP_1)
	v_lshrrev_b32_e32 v13, s14, v10
	v_mul_lo_u32 v10, v13, s10
	s_delay_alu instid0(VALU_DEP_1) | instskip(NEXT) | instid1(VALU_DEP_1)
	v_sub_nc_u32_e32 v9, v9, v10
	v_mad_u64_u32 v[10:11], null, v9, s12, v[6:7]
	v_mad_u64_u32 v[17:18], null, v9, s13, v[7:8]
	s_delay_alu instid0(VALU_DEP_2) | instskip(NEXT) | instid1(VALU_DEP_2)
	v_dual_mov_b32 v9, v13 :: v_dual_mov_b32 v6, v10
	v_mov_b32_e32 v7, v17
	s_cbranch_scc1 .LBB535_64
.LBB535_65:
	s_and_not1_b32 vcc_lo, exec_lo, s8
	s_cbranch_vccnz .LBB535_68
; %bb.66:
	s_clause 0x1
	s_load_b128 s[4:7], s[2:3], 0x4
	s_load_b64 s[8:9], s[2:3], 0xc4
	s_cmp_lt_u32 s26, 2
	s_waitcnt lgkmcnt(0)
	v_mul_hi_u32 v6, s5, v8
	s_delay_alu instid0(VALU_DEP_1) | instskip(NEXT) | instid1(VALU_DEP_1)
	v_add_nc_u32_e32 v6, v8, v6
	v_lshrrev_b32_e32 v9, s6, v6
	s_delay_alu instid0(VALU_DEP_1) | instskip(NEXT) | instid1(VALU_DEP_1)
	v_mul_lo_u32 v6, v9, s4
	v_sub_nc_u32_e32 v7, v8, v6
	s_delay_alu instid0(VALU_DEP_1)
	v_mul_lo_u32 v6, v7, s8
	v_mul_lo_u32 v7, v7, s9
	s_cbranch_scc1 .LBB535_68
; %bb.67:
	s_clause 0x1
	s_load_b128 s[4:7], s[2:3], 0x10
	s_load_b64 s[8:9], s[2:3], 0xcc
	s_waitcnt lgkmcnt(0)
	v_mul_hi_u32 v8, s5, v9
	s_delay_alu instid0(VALU_DEP_1) | instskip(NEXT) | instid1(VALU_DEP_1)
	v_add_nc_u32_e32 v8, v9, v8
	v_lshrrev_b32_e32 v8, s6, v8
	s_delay_alu instid0(VALU_DEP_1) | instskip(NEXT) | instid1(VALU_DEP_1)
	v_mul_lo_u32 v8, v8, s4
	v_sub_nc_u32_e32 v11, v9, v8
	s_delay_alu instid0(VALU_DEP_1) | instskip(NEXT) | instid1(VALU_DEP_1)
	v_mad_u64_u32 v[8:9], null, v11, s8, v[6:7]
	v_mad_u64_u32 v[9:10], null, v11, s9, v[7:8]
	s_delay_alu instid0(VALU_DEP_1)
	v_dual_mov_b32 v6, v8 :: v_dual_mov_b32 v7, v9
.LBB535_68:
	v_cmp_ne_u32_e32 vcc_lo, 1, v14
	v_add_nc_u32_e32 v10, 0x200, v12
	s_cbranch_vccnz .LBB535_74
; %bb.69:
	v_dual_mov_b32 v8, 0 :: v_dual_mov_b32 v9, 0
	s_cmp_lg_u32 s26, 0
	s_mov_b32 s8, 0
	s_cbranch_scc0 .LBB535_78
; %bb.70:
	s_min_u32 s9, s27, 15
	v_mov_b32_e32 v8, 0
	s_add_i32 s9, s9, 1
	s_cmp_eq_u32 s27, 2
	s_mov_b32 s10, 0
	s_cbranch_scc1 .LBB535_75
; %bb.71:
	v_dual_mov_b32 v9, 0 :: v_dual_mov_b32 v8, 0
	v_mov_b32_e32 v11, v10
	s_add_u32 s4, s2, 0xc4
	s_addc_u32 s5, s3, 0
	s_and_b32 s10, s9, 28
	s_mov_b32 s11, 0
	s_mov_b64 s[6:7], s[2:3]
.LBB535_72:                             ; =>This Inner Loop Header: Depth=1
	s_clause 0x1
	s_load_b256 s[12:19], s[6:7], 0x4
	s_load_b128 s[20:23], s[6:7], 0x24
	s_load_b256 s[36:43], s[4:5], 0x0
	s_add_u32 s6, s6, 48
	s_addc_u32 s7, s7, 0
	s_add_i32 s11, s11, 4
	s_add_u32 s4, s4, 32
	s_addc_u32 s5, s5, 0
	s_cmp_lg_u32 s10, s11
	s_waitcnt lgkmcnt(0)
	v_mul_hi_u32 v13, s13, v11
	s_delay_alu instid0(VALU_DEP_1) | instskip(NEXT) | instid1(VALU_DEP_1)
	v_add_nc_u32_e32 v13, v11, v13
	v_lshrrev_b32_e32 v13, s14, v13
	s_delay_alu instid0(VALU_DEP_1) | instskip(SKIP_1) | instid1(VALU_DEP_2)
	v_mul_hi_u32 v15, s16, v13
	v_mul_lo_u32 v18, v13, s12
	v_add_nc_u32_e32 v15, v13, v15
	s_delay_alu instid0(VALU_DEP_2) | instskip(NEXT) | instid1(VALU_DEP_2)
	v_sub_nc_u32_e32 v11, v11, v18
	v_lshrrev_b32_e32 v15, s17, v15
	s_delay_alu instid0(VALU_DEP_2) | instskip(SKIP_1) | instid1(VALU_DEP_3)
	v_mul_lo_u32 v18, v11, s36
	v_mul_lo_u32 v20, v11, s37
	v_mul_hi_u32 v17, s19, v15
	s_delay_alu instid0(VALU_DEP_1) | instskip(NEXT) | instid1(VALU_DEP_1)
	v_add_nc_u32_e32 v17, v15, v17
	v_lshrrev_b32_e32 v17, s20, v17
	s_delay_alu instid0(VALU_DEP_1) | instskip(SKIP_1) | instid1(VALU_DEP_2)
	v_mul_hi_u32 v19, s22, v17
	v_mul_lo_u32 v21, v17, s18
	v_add_nc_u32_e32 v11, v17, v19
	v_mul_lo_u32 v19, v15, s15
	s_delay_alu instid0(VALU_DEP_3) | instskip(NEXT) | instid1(VALU_DEP_3)
	v_sub_nc_u32_e32 v15, v15, v21
	v_lshrrev_b32_e32 v11, s23, v11
	s_delay_alu instid0(VALU_DEP_2) | instskip(SKIP_2) | instid1(VALU_DEP_4)
	v_mul_lo_u32 v21, v15, s40
	v_mul_lo_u32 v15, v15, s41
	v_sub_nc_u32_e32 v13, v13, v19
	v_mul_lo_u32 v22, v11, s21
	s_delay_alu instid0(VALU_DEP_2) | instskip(SKIP_1) | instid1(VALU_DEP_3)
	v_mul_lo_u32 v19, v13, s38
	v_mul_lo_u32 v13, v13, s39
	v_sub_nc_u32_e32 v17, v17, v22
	s_delay_alu instid0(VALU_DEP_3) | instskip(NEXT) | instid1(VALU_DEP_2)
	v_add3_u32 v8, v18, v8, v19
	v_mul_lo_u32 v22, v17, s42
	v_mul_lo_u32 v17, v17, s43
	v_add3_u32 v9, v20, v9, v13
	s_delay_alu instid0(VALU_DEP_3) | instskip(NEXT) | instid1(VALU_DEP_2)
	v_add3_u32 v8, v21, v8, v22
	v_add3_u32 v9, v15, v9, v17
	s_cbranch_scc1 .LBB535_72
; %bb.73:
	s_and_b32 s9, s9, 3
	s_delay_alu instid0(SALU_CYCLE_1)
	s_cmp_eq_u32 s9, 0
	s_cbranch_scc0 .LBB535_76
	s_branch .LBB535_78
.LBB535_74:
	s_mov_b32 s8, -1
                                        ; implicit-def: $vgpr8
                                        ; implicit-def: $vgpr9
	s_branch .LBB535_78
.LBB535_75:
	v_mov_b32_e32 v11, v10
	v_mov_b32_e32 v9, 0
	s_and_b32 s9, s9, 3
	s_delay_alu instid0(SALU_CYCLE_1)
	s_cmp_eq_u32 s9, 0
	s_cbranch_scc1 .LBB535_78
.LBB535_76:
	s_lshl_b32 s4, s10, 3
	s_mul_i32 s6, s10, 12
	s_add_u32 s4, s4, s2
	s_addc_u32 s5, 0, s3
	s_add_u32 s4, s4, 0xc4
	s_addc_u32 s5, s5, 0
	;; [unrolled: 2-line block ×3, first 2 shown]
	.p2align	6
.LBB535_77:                             ; =>This Inner Loop Header: Depth=1
	s_clause 0x1
	s_load_b64 s[10:11], s[6:7], 0x4
	s_load_b32 s14, s[6:7], 0xc
	s_load_b64 s[12:13], s[4:5], 0x0
	s_add_u32 s6, s6, 12
	s_addc_u32 s7, s7, 0
	s_add_u32 s4, s4, 8
	s_addc_u32 s5, s5, 0
	s_add_i32 s9, s9, -1
	s_delay_alu instid0(SALU_CYCLE_1) | instskip(SKIP_2) | instid1(VALU_DEP_1)
	s_cmp_lg_u32 s9, 0
	s_waitcnt lgkmcnt(0)
	v_mul_hi_u32 v13, s11, v11
	v_add_nc_u32_e32 v13, v11, v13
	s_delay_alu instid0(VALU_DEP_1) | instskip(NEXT) | instid1(VALU_DEP_1)
	v_lshrrev_b32_e32 v13, s14, v13
	v_mul_lo_u32 v15, v13, s10
	s_delay_alu instid0(VALU_DEP_1) | instskip(NEXT) | instid1(VALU_DEP_1)
	v_sub_nc_u32_e32 v11, v11, v15
	v_mad_u64_u32 v[17:18], null, v11, s12, v[8:9]
	v_mad_u64_u32 v[18:19], null, v11, s13, v[9:10]
	v_mov_b32_e32 v11, v13
	s_delay_alu instid0(VALU_DEP_2)
	v_dual_mov_b32 v8, v17 :: v_dual_mov_b32 v9, v18
	s_cbranch_scc1 .LBB535_77
.LBB535_78:
	s_and_not1_b32 vcc_lo, exec_lo, s8
	s_cbranch_vccnz .LBB535_81
; %bb.79:
	s_clause 0x1
	s_load_b128 s[4:7], s[2:3], 0x4
	s_load_b64 s[8:9], s[2:3], 0xc4
	s_cmp_lt_u32 s26, 2
	s_waitcnt lgkmcnt(0)
	v_mul_hi_u32 v8, s5, v10
	s_delay_alu instid0(VALU_DEP_1) | instskip(NEXT) | instid1(VALU_DEP_1)
	v_add_nc_u32_e32 v8, v10, v8
	v_lshrrev_b32_e32 v11, s6, v8
	s_delay_alu instid0(VALU_DEP_1) | instskip(NEXT) | instid1(VALU_DEP_1)
	v_mul_lo_u32 v8, v11, s4
	v_sub_nc_u32_e32 v9, v10, v8
	s_delay_alu instid0(VALU_DEP_1)
	v_mul_lo_u32 v8, v9, s8
	v_mul_lo_u32 v9, v9, s9
	s_cbranch_scc1 .LBB535_81
; %bb.80:
	s_clause 0x1
	s_load_b128 s[4:7], s[2:3], 0x10
	s_load_b64 s[8:9], s[2:3], 0xcc
	s_waitcnt lgkmcnt(0)
	v_mul_hi_u32 v10, s5, v11
	s_delay_alu instid0(VALU_DEP_1) | instskip(NEXT) | instid1(VALU_DEP_1)
	v_add_nc_u32_e32 v10, v11, v10
	v_lshrrev_b32_e32 v10, s6, v10
	s_delay_alu instid0(VALU_DEP_1) | instskip(NEXT) | instid1(VALU_DEP_1)
	v_mul_lo_u32 v10, v10, s4
	v_sub_nc_u32_e32 v13, v11, v10
	s_delay_alu instid0(VALU_DEP_1) | instskip(NEXT) | instid1(VALU_DEP_1)
	v_mad_u64_u32 v[10:11], null, v13, s8, v[8:9]
	v_mad_u64_u32 v[17:18], null, v13, s9, v[9:10]
	s_delay_alu instid0(VALU_DEP_1)
	v_dual_mov_b32 v8, v10 :: v_dual_mov_b32 v9, v17
.LBB535_81:
	v_cmp_ne_u32_e32 vcc_lo, 1, v14
	v_add_nc_u32_e32 v13, 0x280, v12
	s_cbranch_vccnz .LBB535_87
; %bb.82:
	v_dual_mov_b32 v10, 0 :: v_dual_mov_b32 v11, 0
	s_cmp_lg_u32 s26, 0
	s_mov_b32 s8, 0
	s_cbranch_scc0 .LBB535_91
; %bb.83:
	s_min_u32 s9, s27, 15
	v_mov_b32_e32 v10, 0
	s_add_i32 s9, s9, 1
	s_cmp_eq_u32 s27, 2
	s_mov_b32 s10, 0
	s_cbranch_scc1 .LBB535_88
; %bb.84:
	v_dual_mov_b32 v11, 0 :: v_dual_mov_b32 v10, 0
	v_mov_b32_e32 v15, v13
	s_add_u32 s4, s2, 0xc4
	s_addc_u32 s5, s3, 0
	s_and_b32 s10, s9, 28
	s_mov_b32 s11, 0
	s_mov_b64 s[6:7], s[2:3]
.LBB535_85:                             ; =>This Inner Loop Header: Depth=1
	s_clause 0x1
	s_load_b256 s[12:19], s[6:7], 0x4
	s_load_b128 s[20:23], s[6:7], 0x24
	s_load_b256 s[36:43], s[4:5], 0x0
	s_add_u32 s6, s6, 48
	s_addc_u32 s7, s7, 0
	s_add_i32 s11, s11, 4
	s_add_u32 s4, s4, 32
	s_addc_u32 s5, s5, 0
	s_cmp_lg_u32 s10, s11
	s_waitcnt lgkmcnt(0)
	v_mul_hi_u32 v17, s13, v15
	s_delay_alu instid0(VALU_DEP_1) | instskip(NEXT) | instid1(VALU_DEP_1)
	v_add_nc_u32_e32 v17, v15, v17
	v_lshrrev_b32_e32 v17, s14, v17
	s_delay_alu instid0(VALU_DEP_1) | instskip(SKIP_1) | instid1(VALU_DEP_2)
	v_mul_hi_u32 v18, s16, v17
	v_mul_lo_u32 v20, v17, s12
	v_add_nc_u32_e32 v18, v17, v18
	s_delay_alu instid0(VALU_DEP_2) | instskip(NEXT) | instid1(VALU_DEP_2)
	v_sub_nc_u32_e32 v15, v15, v20
	v_lshrrev_b32_e32 v18, s17, v18
	s_delay_alu instid0(VALU_DEP_2) | instskip(SKIP_1) | instid1(VALU_DEP_3)
	v_mul_lo_u32 v20, v15, s36
	v_mul_lo_u32 v22, v15, s37
	v_mul_hi_u32 v19, s19, v18
	s_delay_alu instid0(VALU_DEP_1) | instskip(NEXT) | instid1(VALU_DEP_1)
	v_add_nc_u32_e32 v19, v18, v19
	v_lshrrev_b32_e32 v19, s20, v19
	s_delay_alu instid0(VALU_DEP_1) | instskip(SKIP_1) | instid1(VALU_DEP_2)
	v_mul_hi_u32 v21, s22, v19
	v_mul_lo_u32 v23, v19, s18
	v_add_nc_u32_e32 v15, v19, v21
	v_mul_lo_u32 v21, v18, s15
	s_delay_alu instid0(VALU_DEP_3) | instskip(NEXT) | instid1(VALU_DEP_3)
	v_sub_nc_u32_e32 v18, v18, v23
	v_lshrrev_b32_e32 v15, s23, v15
	s_delay_alu instid0(VALU_DEP_2) | instskip(SKIP_2) | instid1(VALU_DEP_4)
	v_mul_lo_u32 v23, v18, s40
	v_mul_lo_u32 v18, v18, s41
	v_sub_nc_u32_e32 v17, v17, v21
	v_mul_lo_u32 v24, v15, s21
	s_delay_alu instid0(VALU_DEP_2) | instskip(SKIP_1) | instid1(VALU_DEP_3)
	v_mul_lo_u32 v21, v17, s38
	v_mul_lo_u32 v17, v17, s39
	v_sub_nc_u32_e32 v19, v19, v24
	s_delay_alu instid0(VALU_DEP_3) | instskip(NEXT) | instid1(VALU_DEP_2)
	v_add3_u32 v10, v20, v10, v21
	v_mul_lo_u32 v24, v19, s42
	v_mul_lo_u32 v19, v19, s43
	v_add3_u32 v11, v22, v11, v17
	s_delay_alu instid0(VALU_DEP_3) | instskip(NEXT) | instid1(VALU_DEP_2)
	v_add3_u32 v10, v23, v10, v24
	v_add3_u32 v11, v18, v11, v19
	s_cbranch_scc1 .LBB535_85
; %bb.86:
	s_and_b32 s9, s9, 3
	s_delay_alu instid0(SALU_CYCLE_1)
	s_cmp_eq_u32 s9, 0
	s_cbranch_scc0 .LBB535_89
	s_branch .LBB535_91
.LBB535_87:
	s_mov_b32 s8, -1
                                        ; implicit-def: $vgpr10
                                        ; implicit-def: $vgpr11
	s_branch .LBB535_91
.LBB535_88:
	v_mov_b32_e32 v15, v13
	v_mov_b32_e32 v11, 0
	s_and_b32 s9, s9, 3
	s_delay_alu instid0(SALU_CYCLE_1)
	s_cmp_eq_u32 s9, 0
	s_cbranch_scc1 .LBB535_91
.LBB535_89:
	s_lshl_b32 s4, s10, 3
	s_mul_i32 s6, s10, 12
	s_add_u32 s4, s4, s2
	s_addc_u32 s5, 0, s3
	s_add_u32 s4, s4, 0xc4
	s_addc_u32 s5, s5, 0
	;; [unrolled: 2-line block ×3, first 2 shown]
	.p2align	6
.LBB535_90:                             ; =>This Inner Loop Header: Depth=1
	s_clause 0x1
	s_load_b64 s[10:11], s[6:7], 0x4
	s_load_b32 s14, s[6:7], 0xc
	s_load_b64 s[12:13], s[4:5], 0x0
	s_add_u32 s6, s6, 12
	s_addc_u32 s7, s7, 0
	s_add_u32 s4, s4, 8
	s_addc_u32 s5, s5, 0
	s_add_i32 s9, s9, -1
	s_delay_alu instid0(SALU_CYCLE_1) | instskip(SKIP_2) | instid1(VALU_DEP_1)
	s_cmp_lg_u32 s9, 0
	s_waitcnt lgkmcnt(0)
	v_mul_hi_u32 v17, s11, v15
	v_add_nc_u32_e32 v17, v15, v17
	s_delay_alu instid0(VALU_DEP_1) | instskip(NEXT) | instid1(VALU_DEP_1)
	v_lshrrev_b32_e32 v20, s14, v17
	v_mul_lo_u32 v17, v20, s10
	s_delay_alu instid0(VALU_DEP_1) | instskip(NEXT) | instid1(VALU_DEP_1)
	v_sub_nc_u32_e32 v15, v15, v17
	v_mad_u64_u32 v[17:18], null, v15, s12, v[10:11]
	v_mad_u64_u32 v[18:19], null, v15, s13, v[11:12]
	s_delay_alu instid0(VALU_DEP_2) | instskip(NEXT) | instid1(VALU_DEP_2)
	v_dual_mov_b32 v15, v20 :: v_dual_mov_b32 v10, v17
	v_mov_b32_e32 v11, v18
	s_cbranch_scc1 .LBB535_90
.LBB535_91:
	s_and_not1_b32 vcc_lo, exec_lo, s8
	s_cbranch_vccnz .LBB535_94
; %bb.92:
	s_clause 0x1
	s_load_b128 s[4:7], s[2:3], 0x4
	s_load_b64 s[8:9], s[2:3], 0xc4
	s_cmp_lt_u32 s26, 2
	s_waitcnt lgkmcnt(0)
	v_mul_hi_u32 v10, s5, v13
	s_delay_alu instid0(VALU_DEP_1) | instskip(NEXT) | instid1(VALU_DEP_1)
	v_add_nc_u32_e32 v10, v13, v10
	v_lshrrev_b32_e32 v15, s6, v10
	s_delay_alu instid0(VALU_DEP_1) | instskip(NEXT) | instid1(VALU_DEP_1)
	v_mul_lo_u32 v10, v15, s4
	v_sub_nc_u32_e32 v11, v13, v10
	s_delay_alu instid0(VALU_DEP_1)
	v_mul_lo_u32 v10, v11, s8
	v_mul_lo_u32 v11, v11, s9
	s_cbranch_scc1 .LBB535_94
; %bb.93:
	s_clause 0x1
	s_load_b128 s[4:7], s[2:3], 0x10
	s_load_b64 s[8:9], s[2:3], 0xcc
	s_waitcnt lgkmcnt(0)
	v_mul_hi_u32 v13, s5, v15
	s_delay_alu instid0(VALU_DEP_1) | instskip(NEXT) | instid1(VALU_DEP_1)
	v_add_nc_u32_e32 v13, v15, v13
	v_lshrrev_b32_e32 v13, s6, v13
	s_delay_alu instid0(VALU_DEP_1) | instskip(NEXT) | instid1(VALU_DEP_1)
	v_mul_lo_u32 v13, v13, s4
	v_sub_nc_u32_e32 v13, v15, v13
	s_delay_alu instid0(VALU_DEP_1) | instskip(SKIP_1) | instid1(VALU_DEP_1)
	v_mad_u64_u32 v[17:18], null, v13, s8, v[10:11]
	v_mad_u64_u32 v[18:19], null, v13, s9, v[11:12]
	v_dual_mov_b32 v10, v17 :: v_dual_mov_b32 v11, v18
.LBB535_94:
	v_cmp_ne_u32_e32 vcc_lo, 1, v14
	v_add_nc_u32_e32 v15, 0x300, v12
	s_cbranch_vccnz .LBB535_100
; %bb.95:
	v_dual_mov_b32 v12, 0 :: v_dual_mov_b32 v13, 0
	s_cmp_lg_u32 s26, 0
	s_mov_b32 s8, 0
	s_cbranch_scc0 .LBB535_104
; %bb.96:
	s_min_u32 s9, s27, 15
	v_mov_b32_e32 v12, 0
	s_add_i32 s9, s9, 1
	s_cmp_eq_u32 s27, 2
	s_mov_b32 s10, 0
	s_cbranch_scc1 .LBB535_101
; %bb.97:
	v_dual_mov_b32 v13, 0 :: v_dual_mov_b32 v12, 0
	v_mov_b32_e32 v17, v15
	s_add_u32 s4, s2, 0xc4
	s_addc_u32 s5, s3, 0
	s_and_b32 s10, s9, 28
	s_mov_b32 s11, 0
	s_mov_b64 s[6:7], s[2:3]
.LBB535_98:                             ; =>This Inner Loop Header: Depth=1
	s_clause 0x1
	s_load_b256 s[12:19], s[6:7], 0x4
	s_load_b128 s[20:23], s[6:7], 0x24
	s_load_b256 s[36:43], s[4:5], 0x0
	s_add_u32 s6, s6, 48
	s_addc_u32 s7, s7, 0
	s_add_i32 s11, s11, 4
	s_add_u32 s4, s4, 32
	s_addc_u32 s5, s5, 0
	s_cmp_lg_u32 s10, s11
	s_waitcnt lgkmcnt(0)
	v_mul_hi_u32 v18, s13, v17
	s_delay_alu instid0(VALU_DEP_1) | instskip(NEXT) | instid1(VALU_DEP_1)
	v_add_nc_u32_e32 v18, v17, v18
	v_lshrrev_b32_e32 v18, s14, v18
	s_delay_alu instid0(VALU_DEP_1) | instskip(SKIP_1) | instid1(VALU_DEP_2)
	v_mul_hi_u32 v19, s16, v18
	v_mul_lo_u32 v21, v18, s12
	v_add_nc_u32_e32 v19, v18, v19
	s_delay_alu instid0(VALU_DEP_2) | instskip(NEXT) | instid1(VALU_DEP_2)
	v_sub_nc_u32_e32 v17, v17, v21
	v_lshrrev_b32_e32 v19, s17, v19
	s_delay_alu instid0(VALU_DEP_2) | instskip(SKIP_1) | instid1(VALU_DEP_3)
	v_mul_lo_u32 v21, v17, s36
	v_mul_lo_u32 v23, v17, s37
	v_mul_hi_u32 v20, s19, v19
	s_delay_alu instid0(VALU_DEP_1) | instskip(NEXT) | instid1(VALU_DEP_1)
	v_add_nc_u32_e32 v20, v19, v20
	v_lshrrev_b32_e32 v20, s20, v20
	s_delay_alu instid0(VALU_DEP_1) | instskip(SKIP_1) | instid1(VALU_DEP_2)
	v_mul_hi_u32 v22, s22, v20
	v_mul_lo_u32 v24, v20, s18
	v_add_nc_u32_e32 v17, v20, v22
	v_mul_lo_u32 v22, v19, s15
	s_delay_alu instid0(VALU_DEP_3) | instskip(NEXT) | instid1(VALU_DEP_3)
	v_sub_nc_u32_e32 v19, v19, v24
	v_lshrrev_b32_e32 v17, s23, v17
	s_delay_alu instid0(VALU_DEP_2) | instskip(SKIP_2) | instid1(VALU_DEP_4)
	v_mul_lo_u32 v24, v19, s40
	v_mul_lo_u32 v19, v19, s41
	v_sub_nc_u32_e32 v18, v18, v22
	v_mul_lo_u32 v25, v17, s21
	s_delay_alu instid0(VALU_DEP_2) | instskip(SKIP_1) | instid1(VALU_DEP_3)
	v_mul_lo_u32 v22, v18, s38
	v_mul_lo_u32 v18, v18, s39
	v_sub_nc_u32_e32 v20, v20, v25
	s_delay_alu instid0(VALU_DEP_3) | instskip(NEXT) | instid1(VALU_DEP_2)
	v_add3_u32 v12, v21, v12, v22
	v_mul_lo_u32 v25, v20, s42
	v_mul_lo_u32 v20, v20, s43
	v_add3_u32 v13, v23, v13, v18
	s_delay_alu instid0(VALU_DEP_3) | instskip(NEXT) | instid1(VALU_DEP_2)
	v_add3_u32 v12, v24, v12, v25
	v_add3_u32 v13, v19, v13, v20
	s_cbranch_scc1 .LBB535_98
; %bb.99:
	s_and_b32 s9, s9, 3
	s_delay_alu instid0(SALU_CYCLE_1)
	s_cmp_eq_u32 s9, 0
	s_cbranch_scc0 .LBB535_102
	s_branch .LBB535_104
.LBB535_100:
	s_mov_b32 s8, -1
                                        ; implicit-def: $vgpr12
                                        ; implicit-def: $vgpr13
	s_branch .LBB535_104
.LBB535_101:
	v_mov_b32_e32 v17, v15
	v_mov_b32_e32 v13, 0
	s_and_b32 s9, s9, 3
	s_delay_alu instid0(SALU_CYCLE_1)
	s_cmp_eq_u32 s9, 0
	s_cbranch_scc1 .LBB535_104
.LBB535_102:
	s_lshl_b32 s4, s10, 3
	s_mul_i32 s6, s10, 12
	s_add_u32 s4, s4, s2
	s_addc_u32 s5, 0, s3
	s_add_u32 s4, s4, 0xc4
	s_addc_u32 s5, s5, 0
	;; [unrolled: 2-line block ×3, first 2 shown]
	.p2align	6
.LBB535_103:                            ; =>This Inner Loop Header: Depth=1
	s_clause 0x1
	s_load_b64 s[10:11], s[6:7], 0x4
	s_load_b32 s14, s[6:7], 0xc
	s_load_b64 s[12:13], s[4:5], 0x0
	s_add_u32 s6, s6, 12
	s_addc_u32 s7, s7, 0
	s_add_u32 s4, s4, 8
	s_addc_u32 s5, s5, 0
	s_add_i32 s9, s9, -1
	s_delay_alu instid0(SALU_CYCLE_1) | instskip(SKIP_2) | instid1(VALU_DEP_1)
	s_cmp_lg_u32 s9, 0
	s_waitcnt lgkmcnt(0)
	v_mul_hi_u32 v18, s11, v17
	v_add_nc_u32_e32 v18, v17, v18
	s_delay_alu instid0(VALU_DEP_1) | instskip(NEXT) | instid1(VALU_DEP_1)
	v_lshrrev_b32_e32 v21, s14, v18
	v_mul_lo_u32 v18, v21, s10
	s_delay_alu instid0(VALU_DEP_1) | instskip(NEXT) | instid1(VALU_DEP_1)
	v_sub_nc_u32_e32 v17, v17, v18
	v_mad_u64_u32 v[18:19], null, v17, s12, v[12:13]
	v_mad_u64_u32 v[19:20], null, v17, s13, v[13:14]
	s_delay_alu instid0(VALU_DEP_2) | instskip(NEXT) | instid1(VALU_DEP_2)
	v_dual_mov_b32 v17, v21 :: v_dual_mov_b32 v12, v18
	v_mov_b32_e32 v13, v19
	s_cbranch_scc1 .LBB535_103
.LBB535_104:
	s_and_not1_b32 vcc_lo, exec_lo, s8
	s_cbranch_vccnz .LBB535_107
; %bb.105:
	s_clause 0x1
	s_load_b128 s[4:7], s[2:3], 0x4
	s_load_b64 s[8:9], s[2:3], 0xc4
	s_cmp_lt_u32 s26, 2
	s_waitcnt lgkmcnt(0)
	v_mul_hi_u32 v12, s5, v15
	s_delay_alu instid0(VALU_DEP_1) | instskip(NEXT) | instid1(VALU_DEP_1)
	v_add_nc_u32_e32 v12, v15, v12
	v_lshrrev_b32_e32 v17, s6, v12
	s_delay_alu instid0(VALU_DEP_1) | instskip(NEXT) | instid1(VALU_DEP_1)
	v_mul_lo_u32 v12, v17, s4
	v_sub_nc_u32_e32 v13, v15, v12
	s_delay_alu instid0(VALU_DEP_1)
	v_mul_lo_u32 v12, v13, s8
	v_mul_lo_u32 v13, v13, s9
	s_cbranch_scc1 .LBB535_107
; %bb.106:
	s_clause 0x1
	s_load_b128 s[4:7], s[2:3], 0x10
	s_load_b64 s[8:9], s[2:3], 0xcc
	s_waitcnt lgkmcnt(0)
	v_mul_hi_u32 v15, s5, v17
	s_delay_alu instid0(VALU_DEP_1) | instskip(NEXT) | instid1(VALU_DEP_1)
	v_add_nc_u32_e32 v15, v17, v15
	v_lshrrev_b32_e32 v15, s6, v15
	s_delay_alu instid0(VALU_DEP_1) | instskip(NEXT) | instid1(VALU_DEP_1)
	v_mul_lo_u32 v15, v15, s4
	v_sub_nc_u32_e32 v15, v17, v15
	s_delay_alu instid0(VALU_DEP_1) | instskip(SKIP_1) | instid1(VALU_DEP_1)
	v_mad_u64_u32 v[17:18], null, v15, s8, v[12:13]
	v_mad_u64_u32 v[18:19], null, v15, s9, v[13:14]
	v_dual_mov_b32 v12, v17 :: v_dual_mov_b32 v13, v18
.LBB535_107:
	v_cmp_ne_u32_e32 vcc_lo, 1, v14
	s_cbranch_vccnz .LBB535_113
; %bb.108:
	v_dual_mov_b32 v14, 0 :: v_dual_mov_b32 v15, 0
	s_cmp_lg_u32 s26, 0
	s_mov_b32 s8, 0
	s_cbranch_scc0 .LBB535_117
; %bb.109:
	s_min_u32 s9, s27, 15
	v_mov_b32_e32 v14, 0
	s_add_i32 s9, s9, 1
	s_cmp_eq_u32 s27, 2
	s_mov_b32 s10, 0
	s_cbranch_scc1 .LBB535_114
; %bb.110:
	v_dual_mov_b32 v15, 0 :: v_dual_mov_b32 v14, 0
	v_mov_b32_e32 v17, v16
	s_add_u32 s4, s2, 0xc4
	s_addc_u32 s5, s3, 0
	s_and_b32 s10, s9, 28
	s_mov_b32 s11, 0
	s_mov_b64 s[6:7], s[2:3]
.LBB535_111:                            ; =>This Inner Loop Header: Depth=1
	s_clause 0x1
	s_load_b256 s[12:19], s[6:7], 0x4
	s_load_b128 s[20:23], s[6:7], 0x24
	s_load_b256 s[36:43], s[4:5], 0x0
	s_add_u32 s6, s6, 48
	s_addc_u32 s7, s7, 0
	s_add_i32 s11, s11, 4
	s_add_u32 s4, s4, 32
	s_addc_u32 s5, s5, 0
	s_cmp_lg_u32 s10, s11
	s_waitcnt lgkmcnt(0)
	v_mul_hi_u32 v18, s13, v17
	s_delay_alu instid0(VALU_DEP_1) | instskip(NEXT) | instid1(VALU_DEP_1)
	v_add_nc_u32_e32 v18, v17, v18
	v_lshrrev_b32_e32 v18, s14, v18
	s_delay_alu instid0(VALU_DEP_1) | instskip(SKIP_1) | instid1(VALU_DEP_2)
	v_mul_hi_u32 v19, s16, v18
	v_mul_lo_u32 v21, v18, s12
	v_add_nc_u32_e32 v19, v18, v19
	s_delay_alu instid0(VALU_DEP_2) | instskip(NEXT) | instid1(VALU_DEP_2)
	v_sub_nc_u32_e32 v17, v17, v21
	v_lshrrev_b32_e32 v19, s17, v19
	s_delay_alu instid0(VALU_DEP_2) | instskip(SKIP_1) | instid1(VALU_DEP_3)
	v_mul_lo_u32 v21, v17, s36
	v_mul_lo_u32 v23, v17, s37
	v_mul_hi_u32 v20, s19, v19
	s_delay_alu instid0(VALU_DEP_1) | instskip(NEXT) | instid1(VALU_DEP_1)
	v_add_nc_u32_e32 v20, v19, v20
	v_lshrrev_b32_e32 v20, s20, v20
	s_delay_alu instid0(VALU_DEP_1) | instskip(SKIP_1) | instid1(VALU_DEP_2)
	v_mul_hi_u32 v22, s22, v20
	v_mul_lo_u32 v24, v20, s18
	v_add_nc_u32_e32 v17, v20, v22
	v_mul_lo_u32 v22, v19, s15
	s_delay_alu instid0(VALU_DEP_3) | instskip(NEXT) | instid1(VALU_DEP_3)
	v_sub_nc_u32_e32 v19, v19, v24
	v_lshrrev_b32_e32 v17, s23, v17
	s_delay_alu instid0(VALU_DEP_2) | instskip(SKIP_2) | instid1(VALU_DEP_4)
	v_mul_lo_u32 v24, v19, s40
	v_mul_lo_u32 v19, v19, s41
	v_sub_nc_u32_e32 v18, v18, v22
	v_mul_lo_u32 v25, v17, s21
	s_delay_alu instid0(VALU_DEP_2) | instskip(SKIP_1) | instid1(VALU_DEP_3)
	v_mul_lo_u32 v22, v18, s38
	v_mul_lo_u32 v18, v18, s39
	v_sub_nc_u32_e32 v20, v20, v25
	s_delay_alu instid0(VALU_DEP_3) | instskip(NEXT) | instid1(VALU_DEP_2)
	v_add3_u32 v14, v21, v14, v22
	v_mul_lo_u32 v25, v20, s42
	v_mul_lo_u32 v20, v20, s43
	v_add3_u32 v15, v23, v15, v18
	s_delay_alu instid0(VALU_DEP_3) | instskip(NEXT) | instid1(VALU_DEP_2)
	v_add3_u32 v14, v24, v14, v25
	v_add3_u32 v15, v19, v15, v20
	s_cbranch_scc1 .LBB535_111
; %bb.112:
	s_and_b32 s9, s9, 3
	s_delay_alu instid0(SALU_CYCLE_1)
	s_cmp_eq_u32 s9, 0
	s_cbranch_scc0 .LBB535_115
	s_branch .LBB535_117
.LBB535_113:
	s_mov_b32 s8, -1
                                        ; implicit-def: $vgpr14
                                        ; implicit-def: $vgpr15
	s_branch .LBB535_117
.LBB535_114:
	v_mov_b32_e32 v17, v16
	v_mov_b32_e32 v15, 0
	s_and_b32 s9, s9, 3
	s_delay_alu instid0(SALU_CYCLE_1)
	s_cmp_eq_u32 s9, 0
	s_cbranch_scc1 .LBB535_117
.LBB535_115:
	s_lshl_b32 s4, s10, 3
	s_mul_i32 s6, s10, 12
	s_add_u32 s4, s4, s2
	s_addc_u32 s5, 0, s3
	s_add_u32 s4, s4, 0xc4
	s_addc_u32 s5, s5, 0
	;; [unrolled: 2-line block ×3, first 2 shown]
	.p2align	6
.LBB535_116:                            ; =>This Inner Loop Header: Depth=1
	s_clause 0x1
	s_load_b64 s[10:11], s[6:7], 0x4
	s_load_b32 s14, s[6:7], 0xc
	s_load_b64 s[12:13], s[4:5], 0x0
	s_add_u32 s6, s6, 12
	s_addc_u32 s7, s7, 0
	s_add_u32 s4, s4, 8
	s_addc_u32 s5, s5, 0
	s_add_i32 s9, s9, -1
	s_delay_alu instid0(SALU_CYCLE_1) | instskip(SKIP_2) | instid1(VALU_DEP_1)
	s_cmp_lg_u32 s9, 0
	s_waitcnt lgkmcnt(0)
	v_mul_hi_u32 v18, s11, v17
	v_add_nc_u32_e32 v18, v17, v18
	s_delay_alu instid0(VALU_DEP_1) | instskip(NEXT) | instid1(VALU_DEP_1)
	v_lshrrev_b32_e32 v21, s14, v18
	v_mul_lo_u32 v18, v21, s10
	s_delay_alu instid0(VALU_DEP_1) | instskip(NEXT) | instid1(VALU_DEP_1)
	v_sub_nc_u32_e32 v17, v17, v18
	v_mad_u64_u32 v[18:19], null, v17, s12, v[14:15]
	v_mad_u64_u32 v[19:20], null, v17, s13, v[15:16]
	s_delay_alu instid0(VALU_DEP_2) | instskip(NEXT) | instid1(VALU_DEP_2)
	v_dual_mov_b32 v17, v21 :: v_dual_mov_b32 v14, v18
	v_mov_b32_e32 v15, v19
	s_cbranch_scc1 .LBB535_116
.LBB535_117:
	s_and_not1_b32 vcc_lo, exec_lo, s8
	s_cbranch_vccnz .LBB535_120
; %bb.118:
	s_clause 0x1
	s_load_b128 s[4:7], s[2:3], 0x4
	s_load_b64 s[8:9], s[2:3], 0xc4
	s_cmp_lt_u32 s26, 2
	s_waitcnt lgkmcnt(0)
	v_mul_hi_u32 v14, s5, v16
	s_delay_alu instid0(VALU_DEP_1) | instskip(NEXT) | instid1(VALU_DEP_1)
	v_add_nc_u32_e32 v14, v16, v14
	v_lshrrev_b32_e32 v17, s6, v14
	s_delay_alu instid0(VALU_DEP_1) | instskip(NEXT) | instid1(VALU_DEP_1)
	v_mul_lo_u32 v14, v17, s4
	v_sub_nc_u32_e32 v15, v16, v14
	s_delay_alu instid0(VALU_DEP_1)
	v_mul_lo_u32 v14, v15, s8
	v_mul_lo_u32 v15, v15, s9
	s_cbranch_scc1 .LBB535_120
; %bb.119:
	s_clause 0x1
	s_load_b128 s[4:7], s[2:3], 0x10
	s_load_b64 s[8:9], s[2:3], 0xcc
	s_waitcnt lgkmcnt(0)
	v_mul_hi_u32 v16, s5, v17
	s_delay_alu instid0(VALU_DEP_1) | instskip(NEXT) | instid1(VALU_DEP_1)
	v_add_nc_u32_e32 v16, v17, v16
	v_lshrrev_b32_e32 v16, s6, v16
	s_delay_alu instid0(VALU_DEP_1) | instskip(NEXT) | instid1(VALU_DEP_1)
	v_mul_lo_u32 v16, v16, s4
	v_sub_nc_u32_e32 v19, v17, v16
	s_delay_alu instid0(VALU_DEP_1) | instskip(NEXT) | instid1(VALU_DEP_1)
	v_mad_u64_u32 v[16:17], null, v19, s8, v[14:15]
	v_mad_u64_u32 v[17:18], null, v19, s9, v[15:16]
	s_delay_alu instid0(VALU_DEP_1)
	v_dual_mov_b32 v14, v16 :: v_dual_mov_b32 v15, v17
.LBB535_120:
	s_clause 0x1
	s_load_b128 s[4:7], s[2:3], 0x148
	s_load_b32 s8, s[2:3], 0x158
	s_mov_b32 s9, exec_lo
	s_waitcnt lgkmcnt(0)
	global_load_u16 v16, v1, s[6:7]
	v_mov_b32_e32 v1, s8
	s_waitcnt vmcnt(0)
	v_lshlrev_b32_e32 v17, 16, v16
	s_delay_alu instid0(VALU_DEP_1)
	v_cmpx_o_f32_e32 v17, v17
	s_cbranch_execz .LBB535_124
; %bb.121:
	s_load_b32 s10, s[0:1], 0x160
	s_waitcnt lgkmcnt(0)
	s_lshr_b32 s10, s10, 16
	s_delay_alu instid0(SALU_CYCLE_1)
	v_mov_b32_e32 v1, s10
	s_mov_b32 s10, exec_lo
	v_cmpx_neq_f32_e32 0x7f800000, v17
	s_cbranch_execz .LBB535_123
; %bb.122:
	s_load_b32 s11, s[2:3], 0x15c
	v_cmp_eq_f32_e32 vcc_lo, 0xff800000, v17
	s_waitcnt lgkmcnt(0)
	v_cndmask_b32_e64 v1, v16, s11, vcc_lo
.LBB535_123:
	s_or_b32 exec_lo, exec_lo, s10
.LBB535_124:
	s_delay_alu instid0(SALU_CYCLE_1)
	s_or_b32 exec_lo, exec_lo, s9
	global_load_u16 v16, v3, s[6:7]
	v_mov_b32_e32 v3, s8
	s_mov_b32 s9, exec_lo
	s_waitcnt vmcnt(0)
	v_lshlrev_b32_e32 v17, 16, v16
	s_delay_alu instid0(VALU_DEP_1)
	v_cmpx_o_f32_e32 v17, v17
	s_cbranch_execz .LBB535_128
; %bb.125:
	s_load_b32 s10, s[0:1], 0x160
	s_waitcnt lgkmcnt(0)
	s_lshr_b32 s10, s10, 16
	s_delay_alu instid0(SALU_CYCLE_1)
	v_mov_b32_e32 v3, s10
	s_mov_b32 s10, exec_lo
	v_cmpx_neq_f32_e32 0x7f800000, v17
	s_cbranch_execz .LBB535_127
; %bb.126:
	s_load_b32 s11, s[2:3], 0x15c
	v_cmp_eq_f32_e32 vcc_lo, 0xff800000, v17
	s_waitcnt lgkmcnt(0)
	v_cndmask_b32_e64 v3, v16, s11, vcc_lo
.LBB535_127:
	s_or_b32 exec_lo, exec_lo, s10
.LBB535_128:
	s_delay_alu instid0(SALU_CYCLE_1)
	s_or_b32 exec_lo, exec_lo, s9
	global_load_u16 v16, v5, s[6:7]
	v_mov_b32_e32 v5, s8
	s_mov_b32 s9, exec_lo
	;; [unrolled: 27-line block ×7, first 2 shown]
	s_waitcnt vmcnt(0)
	v_lshlrev_b32_e32 v17, 16, v16
	s_delay_alu instid0(VALU_DEP_1)
	v_cmpx_o_f32_e32 v17, v17
	s_cbranch_execz .LBB535_152
; %bb.149:
	s_load_b32 s0, s[0:1], 0x160
	s_waitcnt lgkmcnt(0)
	s_lshr_b32 s0, s0, 16
	s_delay_alu instid0(SALU_CYCLE_1)
	v_mov_b32_e32 v15, s0
	s_mov_b32 s0, exec_lo
	v_cmpx_neq_f32_e32 0x7f800000, v17
	s_cbranch_execz .LBB535_151
; %bb.150:
	s_load_b32 s1, s[2:3], 0x15c
	v_cmp_eq_f32_e32 vcc_lo, 0xff800000, v17
	s_waitcnt lgkmcnt(0)
	v_cndmask_b32_e64 v15, v16, s1, vcc_lo
.LBB535_151:
	s_or_b32 exec_lo, exec_lo, s0
.LBB535_152:
	s_delay_alu instid0(SALU_CYCLE_1)
	s_or_b32 exec_lo, exec_lo, s6
	s_clause 0x7
	global_store_b16 v0, v1, s[4:5]
	global_store_b16 v2, v3, s[4:5]
	;; [unrolled: 1-line block ×8, first 2 shown]
	s_nop 0
	s_sendmsg sendmsg(MSG_DEALLOC_VGPRS)
	s_endpgm
.LBB535_153:
	v_dual_mov_b32 v2, v12 :: v_dual_mov_b32 v1, 0
.LBB535_154:
	s_and_b32 s39, s39, 3
	s_delay_alu instid0(SALU_CYCLE_1)
	s_cmp_eq_u32 s39, 0
	s_cbranch_scc1 .LBB535_157
; %bb.155:
	s_lshl_b32 s22, s38, 3
	s_mul_i32 s24, s38, 12
	s_add_u32 s22, s22, s2
	s_addc_u32 s23, s3, 0
	s_add_u32 s22, s22, 0xc4
	s_addc_u32 s23, s23, 0
	;; [unrolled: 2-line block ×3, first 2 shown]
	.p2align	6
.LBB535_156:                            ; =>This Inner Loop Header: Depth=1
	s_clause 0x1
	s_load_b64 s[40:41], s[24:25], 0x4
	s_load_b32 s38, s[24:25], 0xc
	s_load_b64 s[42:43], s[22:23], 0x0
	s_add_u32 s24, s24, 12
	s_addc_u32 s25, s25, 0
	s_add_u32 s22, s22, 8
	s_addc_u32 s23, s23, 0
	s_add_i32 s39, s39, -1
	s_delay_alu instid0(SALU_CYCLE_1) | instskip(SKIP_2) | instid1(VALU_DEP_1)
	s_cmp_lg_u32 s39, 0
	s_waitcnt lgkmcnt(0)
	v_mul_hi_u32 v3, s41, v2
	v_add_nc_u32_e32 v3, v2, v3
	s_delay_alu instid0(VALU_DEP_1) | instskip(NEXT) | instid1(VALU_DEP_1)
	v_lshrrev_b32_e32 v6, s38, v3
	v_mul_lo_u32 v3, v6, s40
	s_delay_alu instid0(VALU_DEP_1) | instskip(NEXT) | instid1(VALU_DEP_1)
	v_sub_nc_u32_e32 v2, v2, v3
	v_mad_u64_u32 v[3:4], null, v2, s42, v[0:1]
	v_mad_u64_u32 v[4:5], null, v2, s43, v[1:2]
	v_mov_b32_e32 v2, v6
	s_delay_alu instid0(VALU_DEP_2)
	v_dual_mov_b32 v0, v3 :: v_dual_mov_b32 v1, v4
	s_cbranch_scc1 .LBB535_156
.LBB535_157:
	s_and_not1_b32 vcc_lo, exec_lo, s37
	s_cbranch_vccnz .LBB535_160
; %bb.158:
	v_mul_hi_u32 v0, s9, v12
	s_and_not1_b32 vcc_lo, exec_lo, s31
	s_delay_alu instid0(VALU_DEP_1) | instskip(NEXT) | instid1(VALU_DEP_1)
	v_add_nc_u32_e32 v0, v12, v0
	v_lshrrev_b32_e32 v2, s10, v0
	s_delay_alu instid0(VALU_DEP_1) | instskip(NEXT) | instid1(VALU_DEP_1)
	v_mul_lo_u32 v0, v2, s8
	v_sub_nc_u32_e32 v1, v12, v0
	s_delay_alu instid0(VALU_DEP_1)
	v_mul_lo_u32 v0, v1, s12
	v_mul_lo_u32 v1, v1, s13
	s_cbranch_vccnz .LBB535_160
; %bb.159:
	v_mul_hi_u32 v3, s18, v2
	s_delay_alu instid0(VALU_DEP_1) | instskip(NEXT) | instid1(VALU_DEP_1)
	v_add_nc_u32_e32 v3, v2, v3
	v_lshrrev_b32_e32 v3, s19, v3
	s_delay_alu instid0(VALU_DEP_1) | instskip(NEXT) | instid1(VALU_DEP_1)
	v_mul_lo_u32 v3, v3, s11
	v_sub_nc_u32_e32 v5, v2, v3
	s_delay_alu instid0(VALU_DEP_1) | instskip(NEXT) | instid1(VALU_DEP_1)
	v_mad_u64_u32 v[2:3], null, v5, s14, v[0:1]
	v_mad_u64_u32 v[3:4], null, v5, s15, v[1:2]
	s_delay_alu instid0(VALU_DEP_1)
	v_dual_mov_b32 v0, v2 :: v_dual_mov_b32 v1, v3
.LBB535_160:
	global_load_u16 v2, v1, s[6:7]
	v_mov_b32_e32 v1, s16
	s_mov_b32 s22, exec_lo
	s_waitcnt vmcnt(0)
	v_lshlrev_b32_e32 v3, 16, v2
	s_delay_alu instid0(VALU_DEP_1)
	v_cmpx_o_f32_e32 v3, v3
	s_cbranch_execz .LBB535_164
; %bb.161:
	v_mov_b32_e32 v1, s30
	s_mov_b32 s23, exec_lo
	v_cmpx_neq_f32_e32 0x7f800000, v3
; %bb.162:
	v_cmp_eq_f32_e32 vcc_lo, 0xff800000, v3
	v_cndmask_b32_e64 v1, v2, s17, vcc_lo
; %bb.163:
	s_or_b32 exec_lo, exec_lo, s23
.LBB535_164:
	s_delay_alu instid0(SALU_CYCLE_1) | instskip(SKIP_3) | instid1(SALU_CYCLE_1)
	s_or_b32 exec_lo, exec_lo, s22
	v_add_nc_u32_e32 v12, 0x80, v12
	global_store_b16 v0, v1, s[4:5]
	s_or_b32 exec_lo, exec_lo, s36
	s_mov_b32 s36, exec_lo
	v_cmpx_gt_i32_e64 s33, v12
	s_cbranch_execnz .LBB535_15
.LBB535_165:
	s_or_b32 exec_lo, exec_lo, s36
	s_delay_alu instid0(SALU_CYCLE_1)
	s_mov_b32 s36, exec_lo
	v_cmpx_gt_i32_e64 s33, v12
	s_cbranch_execz .LBB535_184
.LBB535_166:
	s_and_not1_b32 vcc_lo, exec_lo, s28
	s_cbranch_vccnz .LBB535_171
; %bb.167:
	v_dual_mov_b32 v0, 0 :: v_dual_mov_b32 v1, 0
	s_and_not1_b32 vcc_lo, exec_lo, s35
	s_mov_b32 s37, 0
	s_cbranch_vccnz .LBB535_195
; %bb.168:
	v_mov_b32_e32 v0, 0
	s_add_i32 s39, s34, 1
	s_cmp_eq_u32 s27, 2
	s_mov_b32 s38, 0
	s_cbranch_scc1 .LBB535_191
; %bb.169:
	v_dual_mov_b32 v1, 0 :: v_dual_mov_b32 v0, 0
	v_mov_b32_e32 v2, v12
	s_and_b32 s38, s39, 28
	s_mov_b32 s40, 0
	s_mov_b64 s[22:23], s[20:21]
	s_mov_b64 s[24:25], s[2:3]
.LBB535_170:                            ; =>This Inner Loop Header: Depth=1
	s_clause 0x1
	s_load_b256 s[44:51], s[24:25], 0x4
	s_load_b128 s[60:63], s[24:25], 0x24
	s_load_b256 s[52:59], s[22:23], 0x0
	s_add_u32 s24, s24, 48
	s_addc_u32 s25, s25, 0
	s_add_i32 s40, s40, 4
	s_add_u32 s22, s22, 32
	s_addc_u32 s23, s23, 0
	s_cmp_eq_u32 s38, s40
	s_waitcnt lgkmcnt(0)
	v_mul_hi_u32 v3, s45, v2
	s_delay_alu instid0(VALU_DEP_1) | instskip(NEXT) | instid1(VALU_DEP_1)
	v_add_nc_u32_e32 v3, v2, v3
	v_lshrrev_b32_e32 v3, s46, v3
	s_delay_alu instid0(VALU_DEP_1) | instskip(SKIP_1) | instid1(VALU_DEP_2)
	v_mul_hi_u32 v4, s48, v3
	v_mul_lo_u32 v6, v3, s44
	v_add_nc_u32_e32 v4, v3, v4
	s_delay_alu instid0(VALU_DEP_2) | instskip(NEXT) | instid1(VALU_DEP_2)
	v_sub_nc_u32_e32 v2, v2, v6
	v_lshrrev_b32_e32 v4, s49, v4
	s_delay_alu instid0(VALU_DEP_2) | instskip(SKIP_1) | instid1(VALU_DEP_3)
	v_mul_lo_u32 v6, v2, s52
	v_mul_lo_u32 v8, v2, s53
	v_mul_hi_u32 v5, s51, v4
	s_delay_alu instid0(VALU_DEP_1) | instskip(NEXT) | instid1(VALU_DEP_1)
	v_add_nc_u32_e32 v5, v4, v5
	v_lshrrev_b32_e32 v5, s60, v5
	s_delay_alu instid0(VALU_DEP_1) | instskip(SKIP_1) | instid1(VALU_DEP_2)
	v_mul_hi_u32 v7, s62, v5
	v_mul_lo_u32 v9, v5, s50
	v_add_nc_u32_e32 v2, v5, v7
	v_mul_lo_u32 v7, v4, s47
	s_delay_alu instid0(VALU_DEP_3) | instskip(NEXT) | instid1(VALU_DEP_3)
	v_sub_nc_u32_e32 v4, v4, v9
	v_lshrrev_b32_e32 v2, s63, v2
	s_delay_alu instid0(VALU_DEP_2) | instskip(SKIP_2) | instid1(VALU_DEP_4)
	v_mul_lo_u32 v9, v4, s56
	v_mul_lo_u32 v4, v4, s57
	v_sub_nc_u32_e32 v3, v3, v7
	v_mul_lo_u32 v10, v2, s61
	s_delay_alu instid0(VALU_DEP_2) | instskip(SKIP_1) | instid1(VALU_DEP_3)
	v_mul_lo_u32 v7, v3, s54
	v_mul_lo_u32 v3, v3, s55
	v_sub_nc_u32_e32 v5, v5, v10
	s_delay_alu instid0(VALU_DEP_3) | instskip(NEXT) | instid1(VALU_DEP_2)
	v_add3_u32 v0, v6, v0, v7
	v_mul_lo_u32 v10, v5, s58
	v_mul_lo_u32 v5, v5, s59
	v_add3_u32 v1, v8, v1, v3
	s_delay_alu instid0(VALU_DEP_3) | instskip(NEXT) | instid1(VALU_DEP_2)
	v_add3_u32 v0, v9, v0, v10
	v_add3_u32 v1, v4, v1, v5
	s_cbranch_scc0 .LBB535_170
	s_branch .LBB535_192
.LBB535_171:
	s_mov_b32 s37, -1
                                        ; implicit-def: $vgpr0
                                        ; implicit-def: $vgpr1
	s_branch .LBB535_195
.LBB535_172:
	v_dual_mov_b32 v2, v12 :: v_dual_mov_b32 v1, 0
.LBB535_173:
	s_and_b32 s39, s39, 3
	s_delay_alu instid0(SALU_CYCLE_1)
	s_cmp_eq_u32 s39, 0
	s_cbranch_scc1 .LBB535_176
; %bb.174:
	s_lshl_b32 s22, s38, 3
	s_mul_i32 s24, s38, 12
	s_add_u32 s22, s22, s2
	s_addc_u32 s23, s3, 0
	s_add_u32 s22, s22, 0xc4
	s_addc_u32 s23, s23, 0
	s_add_u32 s24, s2, s24
	s_addc_u32 s25, s3, 0
	.p2align	6
.LBB535_175:                            ; =>This Inner Loop Header: Depth=1
	s_clause 0x1
	s_load_b64 s[40:41], s[24:25], 0x4
	s_load_b32 s38, s[24:25], 0xc
	s_load_b64 s[42:43], s[22:23], 0x0
	s_add_u32 s24, s24, 12
	s_addc_u32 s25, s25, 0
	s_add_u32 s22, s22, 8
	s_addc_u32 s23, s23, 0
	s_add_i32 s39, s39, -1
	s_delay_alu instid0(SALU_CYCLE_1) | instskip(SKIP_2) | instid1(VALU_DEP_1)
	s_cmp_lg_u32 s39, 0
	s_waitcnt lgkmcnt(0)
	v_mul_hi_u32 v3, s41, v2
	v_add_nc_u32_e32 v3, v2, v3
	s_delay_alu instid0(VALU_DEP_1) | instskip(NEXT) | instid1(VALU_DEP_1)
	v_lshrrev_b32_e32 v6, s38, v3
	v_mul_lo_u32 v3, v6, s40
	s_delay_alu instid0(VALU_DEP_1) | instskip(NEXT) | instid1(VALU_DEP_1)
	v_sub_nc_u32_e32 v2, v2, v3
	v_mad_u64_u32 v[3:4], null, v2, s42, v[0:1]
	v_mad_u64_u32 v[4:5], null, v2, s43, v[1:2]
	v_mov_b32_e32 v2, v6
	s_delay_alu instid0(VALU_DEP_2)
	v_dual_mov_b32 v0, v3 :: v_dual_mov_b32 v1, v4
	s_cbranch_scc1 .LBB535_175
.LBB535_176:
	s_and_not1_b32 vcc_lo, exec_lo, s37
	s_cbranch_vccnz .LBB535_179
; %bb.177:
	v_mul_hi_u32 v0, s9, v12
	s_and_not1_b32 vcc_lo, exec_lo, s31
	s_delay_alu instid0(VALU_DEP_1) | instskip(NEXT) | instid1(VALU_DEP_1)
	v_add_nc_u32_e32 v0, v12, v0
	v_lshrrev_b32_e32 v2, s10, v0
	s_delay_alu instid0(VALU_DEP_1) | instskip(NEXT) | instid1(VALU_DEP_1)
	v_mul_lo_u32 v0, v2, s8
	v_sub_nc_u32_e32 v1, v12, v0
	s_delay_alu instid0(VALU_DEP_1)
	v_mul_lo_u32 v0, v1, s12
	v_mul_lo_u32 v1, v1, s13
	s_cbranch_vccnz .LBB535_179
; %bb.178:
	v_mul_hi_u32 v3, s18, v2
	s_delay_alu instid0(VALU_DEP_1) | instskip(NEXT) | instid1(VALU_DEP_1)
	v_add_nc_u32_e32 v3, v2, v3
	v_lshrrev_b32_e32 v3, s19, v3
	s_delay_alu instid0(VALU_DEP_1) | instskip(NEXT) | instid1(VALU_DEP_1)
	v_mul_lo_u32 v3, v3, s11
	v_sub_nc_u32_e32 v5, v2, v3
	s_delay_alu instid0(VALU_DEP_1) | instskip(NEXT) | instid1(VALU_DEP_1)
	v_mad_u64_u32 v[2:3], null, v5, s14, v[0:1]
	v_mad_u64_u32 v[3:4], null, v5, s15, v[1:2]
	s_delay_alu instid0(VALU_DEP_1)
	v_dual_mov_b32 v0, v2 :: v_dual_mov_b32 v1, v3
.LBB535_179:
	global_load_u16 v2, v1, s[6:7]
	v_mov_b32_e32 v1, s16
	s_mov_b32 s22, exec_lo
	s_waitcnt vmcnt(0)
	v_lshlrev_b32_e32 v3, 16, v2
	s_delay_alu instid0(VALU_DEP_1)
	v_cmpx_o_f32_e32 v3, v3
	s_cbranch_execz .LBB535_183
; %bb.180:
	v_mov_b32_e32 v1, s30
	s_mov_b32 s23, exec_lo
	v_cmpx_neq_f32_e32 0x7f800000, v3
; %bb.181:
	v_cmp_eq_f32_e32 vcc_lo, 0xff800000, v3
	v_cndmask_b32_e64 v1, v2, s17, vcc_lo
; %bb.182:
	s_or_b32 exec_lo, exec_lo, s23
.LBB535_183:
	s_delay_alu instid0(SALU_CYCLE_1) | instskip(SKIP_3) | instid1(SALU_CYCLE_1)
	s_or_b32 exec_lo, exec_lo, s22
	v_add_nc_u32_e32 v12, 0x80, v12
	global_store_b16 v0, v1, s[4:5]
	s_or_b32 exec_lo, exec_lo, s36
	s_mov_b32 s36, exec_lo
	v_cmpx_gt_i32_e64 s33, v12
	s_cbranch_execnz .LBB535_166
.LBB535_184:
	s_or_b32 exec_lo, exec_lo, s36
	s_delay_alu instid0(SALU_CYCLE_1)
	s_mov_b32 s36, exec_lo
	v_cmpx_gt_i32_e64 s33, v12
	s_cbranch_execz .LBB535_203
.LBB535_185:
	s_and_not1_b32 vcc_lo, exec_lo, s28
	s_cbranch_vccnz .LBB535_190
; %bb.186:
	v_dual_mov_b32 v0, 0 :: v_dual_mov_b32 v1, 0
	s_and_not1_b32 vcc_lo, exec_lo, s35
	s_mov_b32 s37, 0
	s_cbranch_vccnz .LBB535_214
; %bb.187:
	v_mov_b32_e32 v0, 0
	s_add_i32 s39, s34, 1
	s_cmp_eq_u32 s27, 2
	s_mov_b32 s38, 0
	s_cbranch_scc1 .LBB535_210
; %bb.188:
	v_dual_mov_b32 v1, 0 :: v_dual_mov_b32 v0, 0
	v_mov_b32_e32 v2, v12
	s_and_b32 s38, s39, 28
	s_mov_b32 s40, 0
	s_mov_b64 s[22:23], s[20:21]
	s_mov_b64 s[24:25], s[2:3]
.LBB535_189:                            ; =>This Inner Loop Header: Depth=1
	s_clause 0x1
	s_load_b256 s[44:51], s[24:25], 0x4
	s_load_b128 s[60:63], s[24:25], 0x24
	s_load_b256 s[52:59], s[22:23], 0x0
	s_add_u32 s24, s24, 48
	s_addc_u32 s25, s25, 0
	s_add_i32 s40, s40, 4
	s_add_u32 s22, s22, 32
	s_addc_u32 s23, s23, 0
	s_cmp_eq_u32 s38, s40
	s_waitcnt lgkmcnt(0)
	v_mul_hi_u32 v3, s45, v2
	s_delay_alu instid0(VALU_DEP_1) | instskip(NEXT) | instid1(VALU_DEP_1)
	v_add_nc_u32_e32 v3, v2, v3
	v_lshrrev_b32_e32 v3, s46, v3
	s_delay_alu instid0(VALU_DEP_1) | instskip(SKIP_1) | instid1(VALU_DEP_2)
	v_mul_hi_u32 v4, s48, v3
	v_mul_lo_u32 v6, v3, s44
	v_add_nc_u32_e32 v4, v3, v4
	s_delay_alu instid0(VALU_DEP_2) | instskip(NEXT) | instid1(VALU_DEP_2)
	v_sub_nc_u32_e32 v2, v2, v6
	v_lshrrev_b32_e32 v4, s49, v4
	s_delay_alu instid0(VALU_DEP_2) | instskip(SKIP_1) | instid1(VALU_DEP_3)
	v_mul_lo_u32 v6, v2, s52
	v_mul_lo_u32 v8, v2, s53
	v_mul_hi_u32 v5, s51, v4
	s_delay_alu instid0(VALU_DEP_1) | instskip(NEXT) | instid1(VALU_DEP_1)
	v_add_nc_u32_e32 v5, v4, v5
	v_lshrrev_b32_e32 v5, s60, v5
	s_delay_alu instid0(VALU_DEP_1) | instskip(SKIP_1) | instid1(VALU_DEP_2)
	v_mul_hi_u32 v7, s62, v5
	v_mul_lo_u32 v9, v5, s50
	v_add_nc_u32_e32 v2, v5, v7
	v_mul_lo_u32 v7, v4, s47
	s_delay_alu instid0(VALU_DEP_3) | instskip(NEXT) | instid1(VALU_DEP_3)
	v_sub_nc_u32_e32 v4, v4, v9
	v_lshrrev_b32_e32 v2, s63, v2
	s_delay_alu instid0(VALU_DEP_2) | instskip(SKIP_2) | instid1(VALU_DEP_4)
	v_mul_lo_u32 v9, v4, s56
	v_mul_lo_u32 v4, v4, s57
	v_sub_nc_u32_e32 v3, v3, v7
	v_mul_lo_u32 v10, v2, s61
	s_delay_alu instid0(VALU_DEP_2) | instskip(SKIP_1) | instid1(VALU_DEP_3)
	v_mul_lo_u32 v7, v3, s54
	v_mul_lo_u32 v3, v3, s55
	v_sub_nc_u32_e32 v5, v5, v10
	s_delay_alu instid0(VALU_DEP_3) | instskip(NEXT) | instid1(VALU_DEP_2)
	v_add3_u32 v0, v6, v0, v7
	v_mul_lo_u32 v10, v5, s58
	v_mul_lo_u32 v5, v5, s59
	v_add3_u32 v1, v8, v1, v3
	s_delay_alu instid0(VALU_DEP_3) | instskip(NEXT) | instid1(VALU_DEP_2)
	v_add3_u32 v0, v9, v0, v10
	v_add3_u32 v1, v4, v1, v5
	s_cbranch_scc0 .LBB535_189
	s_branch .LBB535_211
.LBB535_190:
	s_mov_b32 s37, -1
                                        ; implicit-def: $vgpr0
                                        ; implicit-def: $vgpr1
	s_branch .LBB535_214
.LBB535_191:
	v_dual_mov_b32 v2, v12 :: v_dual_mov_b32 v1, 0
.LBB535_192:
	s_and_b32 s39, s39, 3
	s_delay_alu instid0(SALU_CYCLE_1)
	s_cmp_eq_u32 s39, 0
	s_cbranch_scc1 .LBB535_195
; %bb.193:
	s_lshl_b32 s22, s38, 3
	s_mul_i32 s24, s38, 12
	s_add_u32 s22, s22, s2
	s_addc_u32 s23, s3, 0
	s_add_u32 s22, s22, 0xc4
	s_addc_u32 s23, s23, 0
	;; [unrolled: 2-line block ×3, first 2 shown]
	.p2align	6
.LBB535_194:                            ; =>This Inner Loop Header: Depth=1
	s_clause 0x1
	s_load_b64 s[40:41], s[24:25], 0x4
	s_load_b32 s38, s[24:25], 0xc
	s_load_b64 s[42:43], s[22:23], 0x0
	s_add_u32 s24, s24, 12
	s_addc_u32 s25, s25, 0
	s_add_u32 s22, s22, 8
	s_addc_u32 s23, s23, 0
	s_add_i32 s39, s39, -1
	s_delay_alu instid0(SALU_CYCLE_1) | instskip(SKIP_2) | instid1(VALU_DEP_1)
	s_cmp_lg_u32 s39, 0
	s_waitcnt lgkmcnt(0)
	v_mul_hi_u32 v3, s41, v2
	v_add_nc_u32_e32 v3, v2, v3
	s_delay_alu instid0(VALU_DEP_1) | instskip(NEXT) | instid1(VALU_DEP_1)
	v_lshrrev_b32_e32 v6, s38, v3
	v_mul_lo_u32 v3, v6, s40
	s_delay_alu instid0(VALU_DEP_1) | instskip(NEXT) | instid1(VALU_DEP_1)
	v_sub_nc_u32_e32 v2, v2, v3
	v_mad_u64_u32 v[3:4], null, v2, s42, v[0:1]
	v_mad_u64_u32 v[4:5], null, v2, s43, v[1:2]
	v_mov_b32_e32 v2, v6
	s_delay_alu instid0(VALU_DEP_2)
	v_dual_mov_b32 v0, v3 :: v_dual_mov_b32 v1, v4
	s_cbranch_scc1 .LBB535_194
.LBB535_195:
	s_and_not1_b32 vcc_lo, exec_lo, s37
	s_cbranch_vccnz .LBB535_198
; %bb.196:
	v_mul_hi_u32 v0, s9, v12
	s_and_not1_b32 vcc_lo, exec_lo, s31
	s_delay_alu instid0(VALU_DEP_1) | instskip(NEXT) | instid1(VALU_DEP_1)
	v_add_nc_u32_e32 v0, v12, v0
	v_lshrrev_b32_e32 v2, s10, v0
	s_delay_alu instid0(VALU_DEP_1) | instskip(NEXT) | instid1(VALU_DEP_1)
	v_mul_lo_u32 v0, v2, s8
	v_sub_nc_u32_e32 v1, v12, v0
	s_delay_alu instid0(VALU_DEP_1)
	v_mul_lo_u32 v0, v1, s12
	v_mul_lo_u32 v1, v1, s13
	s_cbranch_vccnz .LBB535_198
; %bb.197:
	v_mul_hi_u32 v3, s18, v2
	s_delay_alu instid0(VALU_DEP_1) | instskip(NEXT) | instid1(VALU_DEP_1)
	v_add_nc_u32_e32 v3, v2, v3
	v_lshrrev_b32_e32 v3, s19, v3
	s_delay_alu instid0(VALU_DEP_1) | instskip(NEXT) | instid1(VALU_DEP_1)
	v_mul_lo_u32 v3, v3, s11
	v_sub_nc_u32_e32 v5, v2, v3
	s_delay_alu instid0(VALU_DEP_1) | instskip(NEXT) | instid1(VALU_DEP_1)
	v_mad_u64_u32 v[2:3], null, v5, s14, v[0:1]
	v_mad_u64_u32 v[3:4], null, v5, s15, v[1:2]
	s_delay_alu instid0(VALU_DEP_1)
	v_dual_mov_b32 v0, v2 :: v_dual_mov_b32 v1, v3
.LBB535_198:
	global_load_u16 v2, v1, s[6:7]
	v_mov_b32_e32 v1, s16
	s_mov_b32 s22, exec_lo
	s_waitcnt vmcnt(0)
	v_lshlrev_b32_e32 v3, 16, v2
	s_delay_alu instid0(VALU_DEP_1)
	v_cmpx_o_f32_e32 v3, v3
	s_cbranch_execz .LBB535_202
; %bb.199:
	v_mov_b32_e32 v1, s30
	s_mov_b32 s23, exec_lo
	v_cmpx_neq_f32_e32 0x7f800000, v3
; %bb.200:
	v_cmp_eq_f32_e32 vcc_lo, 0xff800000, v3
	v_cndmask_b32_e64 v1, v2, s17, vcc_lo
; %bb.201:
	s_or_b32 exec_lo, exec_lo, s23
.LBB535_202:
	s_delay_alu instid0(SALU_CYCLE_1) | instskip(SKIP_3) | instid1(SALU_CYCLE_1)
	s_or_b32 exec_lo, exec_lo, s22
	v_add_nc_u32_e32 v12, 0x80, v12
	global_store_b16 v0, v1, s[4:5]
	s_or_b32 exec_lo, exec_lo, s36
	s_mov_b32 s36, exec_lo
	v_cmpx_gt_i32_e64 s33, v12
	s_cbranch_execnz .LBB535_185
.LBB535_203:
	s_or_b32 exec_lo, exec_lo, s36
	s_delay_alu instid0(SALU_CYCLE_1)
	s_mov_b32 s36, exec_lo
	v_cmpx_gt_i32_e64 s33, v12
	s_cbranch_execz .LBB535_222
.LBB535_204:
	s_and_not1_b32 vcc_lo, exec_lo, s28
	s_cbranch_vccnz .LBB535_209
; %bb.205:
	v_dual_mov_b32 v0, 0 :: v_dual_mov_b32 v1, 0
	s_and_not1_b32 vcc_lo, exec_lo, s35
	s_mov_b32 s37, 0
	s_cbranch_vccnz .LBB535_233
; %bb.206:
	v_mov_b32_e32 v0, 0
	s_add_i32 s39, s34, 1
	s_cmp_eq_u32 s27, 2
	s_mov_b32 s38, 0
	s_cbranch_scc1 .LBB535_229
; %bb.207:
	v_dual_mov_b32 v1, 0 :: v_dual_mov_b32 v0, 0
	v_mov_b32_e32 v2, v12
	s_and_b32 s38, s39, 28
	s_mov_b32 s40, 0
	s_mov_b64 s[22:23], s[20:21]
	s_mov_b64 s[24:25], s[2:3]
.LBB535_208:                            ; =>This Inner Loop Header: Depth=1
	s_clause 0x1
	s_load_b256 s[44:51], s[24:25], 0x4
	s_load_b128 s[60:63], s[24:25], 0x24
	s_load_b256 s[52:59], s[22:23], 0x0
	s_add_u32 s24, s24, 48
	s_addc_u32 s25, s25, 0
	s_add_i32 s40, s40, 4
	s_add_u32 s22, s22, 32
	s_addc_u32 s23, s23, 0
	s_cmp_eq_u32 s38, s40
	s_waitcnt lgkmcnt(0)
	v_mul_hi_u32 v3, s45, v2
	s_delay_alu instid0(VALU_DEP_1) | instskip(NEXT) | instid1(VALU_DEP_1)
	v_add_nc_u32_e32 v3, v2, v3
	v_lshrrev_b32_e32 v3, s46, v3
	s_delay_alu instid0(VALU_DEP_1) | instskip(SKIP_1) | instid1(VALU_DEP_2)
	v_mul_hi_u32 v4, s48, v3
	v_mul_lo_u32 v6, v3, s44
	v_add_nc_u32_e32 v4, v3, v4
	s_delay_alu instid0(VALU_DEP_2) | instskip(NEXT) | instid1(VALU_DEP_2)
	v_sub_nc_u32_e32 v2, v2, v6
	v_lshrrev_b32_e32 v4, s49, v4
	s_delay_alu instid0(VALU_DEP_2) | instskip(SKIP_1) | instid1(VALU_DEP_3)
	v_mul_lo_u32 v6, v2, s52
	v_mul_lo_u32 v8, v2, s53
	v_mul_hi_u32 v5, s51, v4
	s_delay_alu instid0(VALU_DEP_1) | instskip(NEXT) | instid1(VALU_DEP_1)
	v_add_nc_u32_e32 v5, v4, v5
	v_lshrrev_b32_e32 v5, s60, v5
	s_delay_alu instid0(VALU_DEP_1) | instskip(SKIP_1) | instid1(VALU_DEP_2)
	v_mul_hi_u32 v7, s62, v5
	v_mul_lo_u32 v9, v5, s50
	v_add_nc_u32_e32 v2, v5, v7
	v_mul_lo_u32 v7, v4, s47
	s_delay_alu instid0(VALU_DEP_3) | instskip(NEXT) | instid1(VALU_DEP_3)
	v_sub_nc_u32_e32 v4, v4, v9
	v_lshrrev_b32_e32 v2, s63, v2
	s_delay_alu instid0(VALU_DEP_2) | instskip(SKIP_2) | instid1(VALU_DEP_4)
	v_mul_lo_u32 v9, v4, s56
	v_mul_lo_u32 v4, v4, s57
	v_sub_nc_u32_e32 v3, v3, v7
	v_mul_lo_u32 v10, v2, s61
	s_delay_alu instid0(VALU_DEP_2) | instskip(SKIP_1) | instid1(VALU_DEP_3)
	v_mul_lo_u32 v7, v3, s54
	v_mul_lo_u32 v3, v3, s55
	v_sub_nc_u32_e32 v5, v5, v10
	s_delay_alu instid0(VALU_DEP_3) | instskip(NEXT) | instid1(VALU_DEP_2)
	v_add3_u32 v0, v6, v0, v7
	v_mul_lo_u32 v10, v5, s58
	v_mul_lo_u32 v5, v5, s59
	v_add3_u32 v1, v8, v1, v3
	s_delay_alu instid0(VALU_DEP_3) | instskip(NEXT) | instid1(VALU_DEP_2)
	v_add3_u32 v0, v9, v0, v10
	v_add3_u32 v1, v4, v1, v5
	s_cbranch_scc0 .LBB535_208
	s_branch .LBB535_230
.LBB535_209:
	s_mov_b32 s37, -1
                                        ; implicit-def: $vgpr0
                                        ; implicit-def: $vgpr1
	s_branch .LBB535_233
.LBB535_210:
	v_dual_mov_b32 v2, v12 :: v_dual_mov_b32 v1, 0
.LBB535_211:
	s_and_b32 s39, s39, 3
	s_delay_alu instid0(SALU_CYCLE_1)
	s_cmp_eq_u32 s39, 0
	s_cbranch_scc1 .LBB535_214
; %bb.212:
	s_lshl_b32 s22, s38, 3
	s_mul_i32 s24, s38, 12
	s_add_u32 s22, s22, s2
	s_addc_u32 s23, s3, 0
	s_add_u32 s22, s22, 0xc4
	s_addc_u32 s23, s23, 0
	;; [unrolled: 2-line block ×3, first 2 shown]
	.p2align	6
.LBB535_213:                            ; =>This Inner Loop Header: Depth=1
	s_clause 0x1
	s_load_b64 s[40:41], s[24:25], 0x4
	s_load_b32 s38, s[24:25], 0xc
	s_load_b64 s[42:43], s[22:23], 0x0
	s_add_u32 s24, s24, 12
	s_addc_u32 s25, s25, 0
	s_add_u32 s22, s22, 8
	s_addc_u32 s23, s23, 0
	s_add_i32 s39, s39, -1
	s_delay_alu instid0(SALU_CYCLE_1) | instskip(SKIP_2) | instid1(VALU_DEP_1)
	s_cmp_lg_u32 s39, 0
	s_waitcnt lgkmcnt(0)
	v_mul_hi_u32 v3, s41, v2
	v_add_nc_u32_e32 v3, v2, v3
	s_delay_alu instid0(VALU_DEP_1) | instskip(NEXT) | instid1(VALU_DEP_1)
	v_lshrrev_b32_e32 v6, s38, v3
	v_mul_lo_u32 v3, v6, s40
	s_delay_alu instid0(VALU_DEP_1) | instskip(NEXT) | instid1(VALU_DEP_1)
	v_sub_nc_u32_e32 v2, v2, v3
	v_mad_u64_u32 v[3:4], null, v2, s42, v[0:1]
	v_mad_u64_u32 v[4:5], null, v2, s43, v[1:2]
	v_mov_b32_e32 v2, v6
	s_delay_alu instid0(VALU_DEP_2)
	v_dual_mov_b32 v0, v3 :: v_dual_mov_b32 v1, v4
	s_cbranch_scc1 .LBB535_213
.LBB535_214:
	s_and_not1_b32 vcc_lo, exec_lo, s37
	s_cbranch_vccnz .LBB535_217
; %bb.215:
	v_mul_hi_u32 v0, s9, v12
	s_and_not1_b32 vcc_lo, exec_lo, s31
	s_delay_alu instid0(VALU_DEP_1) | instskip(NEXT) | instid1(VALU_DEP_1)
	v_add_nc_u32_e32 v0, v12, v0
	v_lshrrev_b32_e32 v2, s10, v0
	s_delay_alu instid0(VALU_DEP_1) | instskip(NEXT) | instid1(VALU_DEP_1)
	v_mul_lo_u32 v0, v2, s8
	v_sub_nc_u32_e32 v1, v12, v0
	s_delay_alu instid0(VALU_DEP_1)
	v_mul_lo_u32 v0, v1, s12
	v_mul_lo_u32 v1, v1, s13
	s_cbranch_vccnz .LBB535_217
; %bb.216:
	v_mul_hi_u32 v3, s18, v2
	s_delay_alu instid0(VALU_DEP_1) | instskip(NEXT) | instid1(VALU_DEP_1)
	v_add_nc_u32_e32 v3, v2, v3
	v_lshrrev_b32_e32 v3, s19, v3
	s_delay_alu instid0(VALU_DEP_1) | instskip(NEXT) | instid1(VALU_DEP_1)
	v_mul_lo_u32 v3, v3, s11
	v_sub_nc_u32_e32 v5, v2, v3
	s_delay_alu instid0(VALU_DEP_1) | instskip(NEXT) | instid1(VALU_DEP_1)
	v_mad_u64_u32 v[2:3], null, v5, s14, v[0:1]
	v_mad_u64_u32 v[3:4], null, v5, s15, v[1:2]
	s_delay_alu instid0(VALU_DEP_1)
	v_dual_mov_b32 v0, v2 :: v_dual_mov_b32 v1, v3
.LBB535_217:
	global_load_u16 v2, v1, s[6:7]
	v_mov_b32_e32 v1, s16
	s_mov_b32 s22, exec_lo
	s_waitcnt vmcnt(0)
	v_lshlrev_b32_e32 v3, 16, v2
	s_delay_alu instid0(VALU_DEP_1)
	v_cmpx_o_f32_e32 v3, v3
	s_cbranch_execz .LBB535_221
; %bb.218:
	v_mov_b32_e32 v1, s30
	s_mov_b32 s23, exec_lo
	v_cmpx_neq_f32_e32 0x7f800000, v3
; %bb.219:
	v_cmp_eq_f32_e32 vcc_lo, 0xff800000, v3
	v_cndmask_b32_e64 v1, v2, s17, vcc_lo
; %bb.220:
	s_or_b32 exec_lo, exec_lo, s23
.LBB535_221:
	s_delay_alu instid0(SALU_CYCLE_1) | instskip(SKIP_3) | instid1(SALU_CYCLE_1)
	s_or_b32 exec_lo, exec_lo, s22
	v_add_nc_u32_e32 v12, 0x80, v12
	global_store_b16 v0, v1, s[4:5]
	s_or_b32 exec_lo, exec_lo, s36
	s_mov_b32 s36, exec_lo
	v_cmpx_gt_i32_e64 s33, v12
	s_cbranch_execnz .LBB535_204
.LBB535_222:
	s_or_b32 exec_lo, exec_lo, s36
	s_delay_alu instid0(SALU_CYCLE_1)
	s_mov_b32 s36, exec_lo
	v_cmpx_gt_i32_e64 s33, v12
	s_cbranch_execz .LBB535_241
.LBB535_223:
	s_and_not1_b32 vcc_lo, exec_lo, s28
	s_cbranch_vccnz .LBB535_228
; %bb.224:
	v_dual_mov_b32 v0, 0 :: v_dual_mov_b32 v1, 0
	s_and_not1_b32 vcc_lo, exec_lo, s35
	s_mov_b32 s37, 0
	s_cbranch_vccnz .LBB535_252
; %bb.225:
	v_mov_b32_e32 v0, 0
	s_add_i32 s39, s34, 1
	s_cmp_eq_u32 s27, 2
	s_mov_b32 s38, 0
	s_cbranch_scc1 .LBB535_248
; %bb.226:
	v_dual_mov_b32 v1, 0 :: v_dual_mov_b32 v0, 0
	v_mov_b32_e32 v2, v12
	s_and_b32 s38, s39, 28
	s_mov_b32 s40, 0
	s_mov_b64 s[22:23], s[20:21]
	s_mov_b64 s[24:25], s[2:3]
.LBB535_227:                            ; =>This Inner Loop Header: Depth=1
	s_clause 0x1
	s_load_b256 s[44:51], s[24:25], 0x4
	s_load_b128 s[60:63], s[24:25], 0x24
	s_load_b256 s[52:59], s[22:23], 0x0
	s_add_u32 s24, s24, 48
	s_addc_u32 s25, s25, 0
	s_add_i32 s40, s40, 4
	s_add_u32 s22, s22, 32
	s_addc_u32 s23, s23, 0
	s_cmp_eq_u32 s38, s40
	s_waitcnt lgkmcnt(0)
	v_mul_hi_u32 v3, s45, v2
	s_delay_alu instid0(VALU_DEP_1) | instskip(NEXT) | instid1(VALU_DEP_1)
	v_add_nc_u32_e32 v3, v2, v3
	v_lshrrev_b32_e32 v3, s46, v3
	s_delay_alu instid0(VALU_DEP_1) | instskip(SKIP_1) | instid1(VALU_DEP_2)
	v_mul_hi_u32 v4, s48, v3
	v_mul_lo_u32 v6, v3, s44
	v_add_nc_u32_e32 v4, v3, v4
	s_delay_alu instid0(VALU_DEP_2) | instskip(NEXT) | instid1(VALU_DEP_2)
	v_sub_nc_u32_e32 v2, v2, v6
	v_lshrrev_b32_e32 v4, s49, v4
	s_delay_alu instid0(VALU_DEP_2) | instskip(SKIP_1) | instid1(VALU_DEP_3)
	v_mul_lo_u32 v6, v2, s52
	v_mul_lo_u32 v8, v2, s53
	v_mul_hi_u32 v5, s51, v4
	s_delay_alu instid0(VALU_DEP_1) | instskip(NEXT) | instid1(VALU_DEP_1)
	v_add_nc_u32_e32 v5, v4, v5
	v_lshrrev_b32_e32 v5, s60, v5
	s_delay_alu instid0(VALU_DEP_1) | instskip(SKIP_1) | instid1(VALU_DEP_2)
	v_mul_hi_u32 v7, s62, v5
	v_mul_lo_u32 v9, v5, s50
	v_add_nc_u32_e32 v2, v5, v7
	v_mul_lo_u32 v7, v4, s47
	s_delay_alu instid0(VALU_DEP_3) | instskip(NEXT) | instid1(VALU_DEP_3)
	v_sub_nc_u32_e32 v4, v4, v9
	v_lshrrev_b32_e32 v2, s63, v2
	s_delay_alu instid0(VALU_DEP_2) | instskip(SKIP_2) | instid1(VALU_DEP_4)
	v_mul_lo_u32 v9, v4, s56
	v_mul_lo_u32 v4, v4, s57
	v_sub_nc_u32_e32 v3, v3, v7
	v_mul_lo_u32 v10, v2, s61
	s_delay_alu instid0(VALU_DEP_2) | instskip(SKIP_1) | instid1(VALU_DEP_3)
	v_mul_lo_u32 v7, v3, s54
	v_mul_lo_u32 v3, v3, s55
	v_sub_nc_u32_e32 v5, v5, v10
	s_delay_alu instid0(VALU_DEP_3) | instskip(NEXT) | instid1(VALU_DEP_2)
	v_add3_u32 v0, v6, v0, v7
	v_mul_lo_u32 v10, v5, s58
	v_mul_lo_u32 v5, v5, s59
	v_add3_u32 v1, v8, v1, v3
	s_delay_alu instid0(VALU_DEP_3) | instskip(NEXT) | instid1(VALU_DEP_2)
	v_add3_u32 v0, v9, v0, v10
	v_add3_u32 v1, v4, v1, v5
	s_cbranch_scc0 .LBB535_227
	s_branch .LBB535_249
.LBB535_228:
	s_mov_b32 s37, -1
                                        ; implicit-def: $vgpr0
                                        ; implicit-def: $vgpr1
	s_branch .LBB535_252
.LBB535_229:
	v_dual_mov_b32 v2, v12 :: v_dual_mov_b32 v1, 0
.LBB535_230:
	s_and_b32 s39, s39, 3
	s_delay_alu instid0(SALU_CYCLE_1)
	s_cmp_eq_u32 s39, 0
	s_cbranch_scc1 .LBB535_233
; %bb.231:
	s_lshl_b32 s22, s38, 3
	s_mul_i32 s24, s38, 12
	s_add_u32 s22, s22, s2
	s_addc_u32 s23, s3, 0
	s_add_u32 s22, s22, 0xc4
	s_addc_u32 s23, s23, 0
	;; [unrolled: 2-line block ×3, first 2 shown]
	.p2align	6
.LBB535_232:                            ; =>This Inner Loop Header: Depth=1
	s_clause 0x1
	s_load_b64 s[40:41], s[24:25], 0x4
	s_load_b32 s38, s[24:25], 0xc
	s_load_b64 s[42:43], s[22:23], 0x0
	s_add_u32 s24, s24, 12
	s_addc_u32 s25, s25, 0
	s_add_u32 s22, s22, 8
	s_addc_u32 s23, s23, 0
	s_add_i32 s39, s39, -1
	s_delay_alu instid0(SALU_CYCLE_1) | instskip(SKIP_2) | instid1(VALU_DEP_1)
	s_cmp_lg_u32 s39, 0
	s_waitcnt lgkmcnt(0)
	v_mul_hi_u32 v3, s41, v2
	v_add_nc_u32_e32 v3, v2, v3
	s_delay_alu instid0(VALU_DEP_1) | instskip(NEXT) | instid1(VALU_DEP_1)
	v_lshrrev_b32_e32 v6, s38, v3
	v_mul_lo_u32 v3, v6, s40
	s_delay_alu instid0(VALU_DEP_1) | instskip(NEXT) | instid1(VALU_DEP_1)
	v_sub_nc_u32_e32 v2, v2, v3
	v_mad_u64_u32 v[3:4], null, v2, s42, v[0:1]
	v_mad_u64_u32 v[4:5], null, v2, s43, v[1:2]
	v_mov_b32_e32 v2, v6
	s_delay_alu instid0(VALU_DEP_2)
	v_dual_mov_b32 v0, v3 :: v_dual_mov_b32 v1, v4
	s_cbranch_scc1 .LBB535_232
.LBB535_233:
	s_and_not1_b32 vcc_lo, exec_lo, s37
	s_cbranch_vccnz .LBB535_236
; %bb.234:
	v_mul_hi_u32 v0, s9, v12
	s_and_not1_b32 vcc_lo, exec_lo, s31
	s_delay_alu instid0(VALU_DEP_1) | instskip(NEXT) | instid1(VALU_DEP_1)
	v_add_nc_u32_e32 v0, v12, v0
	v_lshrrev_b32_e32 v2, s10, v0
	s_delay_alu instid0(VALU_DEP_1) | instskip(NEXT) | instid1(VALU_DEP_1)
	v_mul_lo_u32 v0, v2, s8
	v_sub_nc_u32_e32 v1, v12, v0
	s_delay_alu instid0(VALU_DEP_1)
	v_mul_lo_u32 v0, v1, s12
	v_mul_lo_u32 v1, v1, s13
	s_cbranch_vccnz .LBB535_236
; %bb.235:
	v_mul_hi_u32 v3, s18, v2
	s_delay_alu instid0(VALU_DEP_1) | instskip(NEXT) | instid1(VALU_DEP_1)
	v_add_nc_u32_e32 v3, v2, v3
	v_lshrrev_b32_e32 v3, s19, v3
	s_delay_alu instid0(VALU_DEP_1) | instskip(NEXT) | instid1(VALU_DEP_1)
	v_mul_lo_u32 v3, v3, s11
	v_sub_nc_u32_e32 v5, v2, v3
	s_delay_alu instid0(VALU_DEP_1) | instskip(NEXT) | instid1(VALU_DEP_1)
	v_mad_u64_u32 v[2:3], null, v5, s14, v[0:1]
	v_mad_u64_u32 v[3:4], null, v5, s15, v[1:2]
	s_delay_alu instid0(VALU_DEP_1)
	v_dual_mov_b32 v0, v2 :: v_dual_mov_b32 v1, v3
.LBB535_236:
	global_load_u16 v2, v1, s[6:7]
	v_mov_b32_e32 v1, s16
	s_mov_b32 s22, exec_lo
	s_waitcnt vmcnt(0)
	v_lshlrev_b32_e32 v3, 16, v2
	s_delay_alu instid0(VALU_DEP_1)
	v_cmpx_o_f32_e32 v3, v3
	s_cbranch_execz .LBB535_240
; %bb.237:
	v_mov_b32_e32 v1, s30
	s_mov_b32 s23, exec_lo
	v_cmpx_neq_f32_e32 0x7f800000, v3
; %bb.238:
	v_cmp_eq_f32_e32 vcc_lo, 0xff800000, v3
	v_cndmask_b32_e64 v1, v2, s17, vcc_lo
; %bb.239:
	s_or_b32 exec_lo, exec_lo, s23
.LBB535_240:
	s_delay_alu instid0(SALU_CYCLE_1) | instskip(SKIP_3) | instid1(SALU_CYCLE_1)
	s_or_b32 exec_lo, exec_lo, s22
	v_add_nc_u32_e32 v12, 0x80, v12
	global_store_b16 v0, v1, s[4:5]
	s_or_b32 exec_lo, exec_lo, s36
	s_mov_b32 s36, exec_lo
	v_cmpx_gt_i32_e64 s33, v12
	s_cbranch_execnz .LBB535_223
.LBB535_241:
	s_or_b32 exec_lo, exec_lo, s36
	s_delay_alu instid0(SALU_CYCLE_1)
	s_mov_b32 s36, exec_lo
	v_cmpx_gt_i32_e64 s33, v12
	s_cbranch_execz .LBB535_260
.LBB535_242:
	s_and_not1_b32 vcc_lo, exec_lo, s28
	s_cbranch_vccnz .LBB535_247
; %bb.243:
	v_dual_mov_b32 v0, 0 :: v_dual_mov_b32 v1, 0
	s_and_not1_b32 vcc_lo, exec_lo, s35
	s_mov_b32 s37, 0
	s_cbranch_vccnz .LBB535_267
; %bb.244:
	v_mov_b32_e32 v0, 0
	s_add_i32 s39, s34, 1
	s_cmp_eq_u32 s27, 2
	s_mov_b32 s38, 0
	s_cbranch_scc1 .LBB535_263
; %bb.245:
	v_dual_mov_b32 v1, 0 :: v_dual_mov_b32 v0, 0
	v_mov_b32_e32 v2, v12
	s_and_b32 s38, s39, 28
	s_mov_b32 s40, 0
	s_mov_b64 s[22:23], s[20:21]
	s_mov_b64 s[24:25], s[2:3]
.LBB535_246:                            ; =>This Inner Loop Header: Depth=1
	s_clause 0x1
	s_load_b256 s[44:51], s[24:25], 0x4
	s_load_b128 s[60:63], s[24:25], 0x24
	s_load_b256 s[52:59], s[22:23], 0x0
	s_add_u32 s24, s24, 48
	s_addc_u32 s25, s25, 0
	s_add_i32 s40, s40, 4
	s_add_u32 s22, s22, 32
	s_addc_u32 s23, s23, 0
	s_cmp_eq_u32 s38, s40
	s_waitcnt lgkmcnt(0)
	v_mul_hi_u32 v3, s45, v2
	s_delay_alu instid0(VALU_DEP_1) | instskip(NEXT) | instid1(VALU_DEP_1)
	v_add_nc_u32_e32 v3, v2, v3
	v_lshrrev_b32_e32 v3, s46, v3
	s_delay_alu instid0(VALU_DEP_1) | instskip(SKIP_1) | instid1(VALU_DEP_2)
	v_mul_hi_u32 v4, s48, v3
	v_mul_lo_u32 v6, v3, s44
	v_add_nc_u32_e32 v4, v3, v4
	s_delay_alu instid0(VALU_DEP_2) | instskip(NEXT) | instid1(VALU_DEP_2)
	v_sub_nc_u32_e32 v2, v2, v6
	v_lshrrev_b32_e32 v4, s49, v4
	s_delay_alu instid0(VALU_DEP_2) | instskip(SKIP_1) | instid1(VALU_DEP_3)
	v_mul_lo_u32 v6, v2, s52
	v_mul_lo_u32 v8, v2, s53
	v_mul_hi_u32 v5, s51, v4
	s_delay_alu instid0(VALU_DEP_1) | instskip(NEXT) | instid1(VALU_DEP_1)
	v_add_nc_u32_e32 v5, v4, v5
	v_lshrrev_b32_e32 v5, s60, v5
	s_delay_alu instid0(VALU_DEP_1) | instskip(SKIP_1) | instid1(VALU_DEP_2)
	v_mul_hi_u32 v7, s62, v5
	v_mul_lo_u32 v9, v5, s50
	v_add_nc_u32_e32 v2, v5, v7
	v_mul_lo_u32 v7, v4, s47
	s_delay_alu instid0(VALU_DEP_3) | instskip(NEXT) | instid1(VALU_DEP_3)
	v_sub_nc_u32_e32 v4, v4, v9
	v_lshrrev_b32_e32 v2, s63, v2
	s_delay_alu instid0(VALU_DEP_2) | instskip(SKIP_2) | instid1(VALU_DEP_4)
	v_mul_lo_u32 v9, v4, s56
	v_mul_lo_u32 v4, v4, s57
	v_sub_nc_u32_e32 v3, v3, v7
	v_mul_lo_u32 v10, v2, s61
	s_delay_alu instid0(VALU_DEP_2) | instskip(SKIP_1) | instid1(VALU_DEP_3)
	v_mul_lo_u32 v7, v3, s54
	v_mul_lo_u32 v3, v3, s55
	v_sub_nc_u32_e32 v5, v5, v10
	s_delay_alu instid0(VALU_DEP_3) | instskip(NEXT) | instid1(VALU_DEP_2)
	v_add3_u32 v0, v6, v0, v7
	v_mul_lo_u32 v10, v5, s58
	v_mul_lo_u32 v5, v5, s59
	v_add3_u32 v1, v8, v1, v3
	s_delay_alu instid0(VALU_DEP_3) | instskip(NEXT) | instid1(VALU_DEP_2)
	v_add3_u32 v0, v9, v0, v10
	v_add3_u32 v1, v4, v1, v5
	s_cbranch_scc0 .LBB535_246
	s_branch .LBB535_264
.LBB535_247:
	s_mov_b32 s37, -1
                                        ; implicit-def: $vgpr0
                                        ; implicit-def: $vgpr1
	s_branch .LBB535_267
.LBB535_248:
	v_dual_mov_b32 v2, v12 :: v_dual_mov_b32 v1, 0
.LBB535_249:
	s_and_b32 s39, s39, 3
	s_delay_alu instid0(SALU_CYCLE_1)
	s_cmp_eq_u32 s39, 0
	s_cbranch_scc1 .LBB535_252
; %bb.250:
	s_lshl_b32 s22, s38, 3
	s_mul_i32 s24, s38, 12
	s_add_u32 s22, s22, s2
	s_addc_u32 s23, s3, 0
	s_add_u32 s22, s22, 0xc4
	s_addc_u32 s23, s23, 0
	;; [unrolled: 2-line block ×3, first 2 shown]
	.p2align	6
.LBB535_251:                            ; =>This Inner Loop Header: Depth=1
	s_clause 0x1
	s_load_b64 s[40:41], s[24:25], 0x4
	s_load_b32 s38, s[24:25], 0xc
	s_load_b64 s[42:43], s[22:23], 0x0
	s_add_u32 s24, s24, 12
	s_addc_u32 s25, s25, 0
	s_add_u32 s22, s22, 8
	s_addc_u32 s23, s23, 0
	s_add_i32 s39, s39, -1
	s_delay_alu instid0(SALU_CYCLE_1) | instskip(SKIP_2) | instid1(VALU_DEP_1)
	s_cmp_lg_u32 s39, 0
	s_waitcnt lgkmcnt(0)
	v_mul_hi_u32 v3, s41, v2
	v_add_nc_u32_e32 v3, v2, v3
	s_delay_alu instid0(VALU_DEP_1) | instskip(NEXT) | instid1(VALU_DEP_1)
	v_lshrrev_b32_e32 v6, s38, v3
	v_mul_lo_u32 v3, v6, s40
	s_delay_alu instid0(VALU_DEP_1) | instskip(NEXT) | instid1(VALU_DEP_1)
	v_sub_nc_u32_e32 v2, v2, v3
	v_mad_u64_u32 v[3:4], null, v2, s42, v[0:1]
	v_mad_u64_u32 v[4:5], null, v2, s43, v[1:2]
	v_mov_b32_e32 v2, v6
	s_delay_alu instid0(VALU_DEP_2)
	v_dual_mov_b32 v0, v3 :: v_dual_mov_b32 v1, v4
	s_cbranch_scc1 .LBB535_251
.LBB535_252:
	s_and_not1_b32 vcc_lo, exec_lo, s37
	s_cbranch_vccnz .LBB535_255
; %bb.253:
	v_mul_hi_u32 v0, s9, v12
	s_and_not1_b32 vcc_lo, exec_lo, s31
	s_delay_alu instid0(VALU_DEP_1) | instskip(NEXT) | instid1(VALU_DEP_1)
	v_add_nc_u32_e32 v0, v12, v0
	v_lshrrev_b32_e32 v2, s10, v0
	s_delay_alu instid0(VALU_DEP_1) | instskip(NEXT) | instid1(VALU_DEP_1)
	v_mul_lo_u32 v0, v2, s8
	v_sub_nc_u32_e32 v1, v12, v0
	s_delay_alu instid0(VALU_DEP_1)
	v_mul_lo_u32 v0, v1, s12
	v_mul_lo_u32 v1, v1, s13
	s_cbranch_vccnz .LBB535_255
; %bb.254:
	v_mul_hi_u32 v3, s18, v2
	s_delay_alu instid0(VALU_DEP_1) | instskip(NEXT) | instid1(VALU_DEP_1)
	v_add_nc_u32_e32 v3, v2, v3
	v_lshrrev_b32_e32 v3, s19, v3
	s_delay_alu instid0(VALU_DEP_1) | instskip(NEXT) | instid1(VALU_DEP_1)
	v_mul_lo_u32 v3, v3, s11
	v_sub_nc_u32_e32 v5, v2, v3
	s_delay_alu instid0(VALU_DEP_1) | instskip(NEXT) | instid1(VALU_DEP_1)
	v_mad_u64_u32 v[2:3], null, v5, s14, v[0:1]
	v_mad_u64_u32 v[3:4], null, v5, s15, v[1:2]
	s_delay_alu instid0(VALU_DEP_1)
	v_dual_mov_b32 v0, v2 :: v_dual_mov_b32 v1, v3
.LBB535_255:
	global_load_u16 v2, v1, s[6:7]
	v_mov_b32_e32 v1, s16
	s_mov_b32 s22, exec_lo
	s_waitcnt vmcnt(0)
	v_lshlrev_b32_e32 v3, 16, v2
	s_delay_alu instid0(VALU_DEP_1)
	v_cmpx_o_f32_e32 v3, v3
	s_cbranch_execz .LBB535_259
; %bb.256:
	v_mov_b32_e32 v1, s30
	s_mov_b32 s23, exec_lo
	v_cmpx_neq_f32_e32 0x7f800000, v3
; %bb.257:
	v_cmp_eq_f32_e32 vcc_lo, 0xff800000, v3
	v_cndmask_b32_e64 v1, v2, s17, vcc_lo
; %bb.258:
	s_or_b32 exec_lo, exec_lo, s23
.LBB535_259:
	s_delay_alu instid0(SALU_CYCLE_1) | instskip(SKIP_3) | instid1(SALU_CYCLE_1)
	s_or_b32 exec_lo, exec_lo, s22
	v_add_nc_u32_e32 v12, 0x80, v12
	global_store_b16 v0, v1, s[4:5]
	s_or_b32 exec_lo, exec_lo, s36
	s_mov_b32 s36, exec_lo
	v_cmpx_gt_i32_e64 s33, v12
	s_cbranch_execnz .LBB535_242
.LBB535_260:
	s_or_b32 exec_lo, exec_lo, s36
	s_delay_alu instid0(SALU_CYCLE_1)
	s_mov_b32 s24, exec_lo
	v_cmpx_gt_i32_e64 s33, v12
	s_cbranch_execnz .LBB535_275
.LBB535_261:
	s_or_b32 exec_lo, exec_lo, s24
                                        ; implicit-def: $vgpr16
                                        ; implicit-def: $vgpr12
	s_and_not1_saveexec_b32 s4, s29
	s_cbranch_execnz .LBB535_8
.LBB535_262:
	s_nop 0
	s_sendmsg sendmsg(MSG_DEALLOC_VGPRS)
	s_endpgm
.LBB535_263:
	v_dual_mov_b32 v2, v12 :: v_dual_mov_b32 v1, 0
.LBB535_264:
	s_and_b32 s39, s39, 3
	s_delay_alu instid0(SALU_CYCLE_1)
	s_cmp_eq_u32 s39, 0
	s_cbranch_scc1 .LBB535_267
; %bb.265:
	s_lshl_b32 s22, s38, 3
	s_mul_i32 s24, s38, 12
	s_add_u32 s22, s22, s2
	s_addc_u32 s23, s3, 0
	s_add_u32 s22, s22, 0xc4
	s_addc_u32 s23, s23, 0
	;; [unrolled: 2-line block ×3, first 2 shown]
	.p2align	6
.LBB535_266:                            ; =>This Inner Loop Header: Depth=1
	s_clause 0x1
	s_load_b64 s[40:41], s[24:25], 0x4
	s_load_b32 s38, s[24:25], 0xc
	s_load_b64 s[42:43], s[22:23], 0x0
	s_add_u32 s24, s24, 12
	s_addc_u32 s25, s25, 0
	s_add_u32 s22, s22, 8
	s_addc_u32 s23, s23, 0
	s_add_i32 s39, s39, -1
	s_delay_alu instid0(SALU_CYCLE_1) | instskip(SKIP_2) | instid1(VALU_DEP_1)
	s_cmp_lg_u32 s39, 0
	s_waitcnt lgkmcnt(0)
	v_mul_hi_u32 v3, s41, v2
	v_add_nc_u32_e32 v3, v2, v3
	s_delay_alu instid0(VALU_DEP_1) | instskip(NEXT) | instid1(VALU_DEP_1)
	v_lshrrev_b32_e32 v6, s38, v3
	v_mul_lo_u32 v3, v6, s40
	s_delay_alu instid0(VALU_DEP_1) | instskip(NEXT) | instid1(VALU_DEP_1)
	v_sub_nc_u32_e32 v2, v2, v3
	v_mad_u64_u32 v[3:4], null, v2, s42, v[0:1]
	v_mad_u64_u32 v[4:5], null, v2, s43, v[1:2]
	v_mov_b32_e32 v2, v6
	s_delay_alu instid0(VALU_DEP_2)
	v_dual_mov_b32 v0, v3 :: v_dual_mov_b32 v1, v4
	s_cbranch_scc1 .LBB535_266
.LBB535_267:
	s_and_not1_b32 vcc_lo, exec_lo, s37
	s_cbranch_vccnz .LBB535_270
; %bb.268:
	v_mul_hi_u32 v0, s9, v12
	s_and_not1_b32 vcc_lo, exec_lo, s31
	s_delay_alu instid0(VALU_DEP_1) | instskip(NEXT) | instid1(VALU_DEP_1)
	v_add_nc_u32_e32 v0, v12, v0
	v_lshrrev_b32_e32 v2, s10, v0
	s_delay_alu instid0(VALU_DEP_1) | instskip(NEXT) | instid1(VALU_DEP_1)
	v_mul_lo_u32 v0, v2, s8
	v_sub_nc_u32_e32 v1, v12, v0
	s_delay_alu instid0(VALU_DEP_1)
	v_mul_lo_u32 v0, v1, s12
	v_mul_lo_u32 v1, v1, s13
	s_cbranch_vccnz .LBB535_270
; %bb.269:
	v_mul_hi_u32 v3, s18, v2
	s_delay_alu instid0(VALU_DEP_1) | instskip(NEXT) | instid1(VALU_DEP_1)
	v_add_nc_u32_e32 v3, v2, v3
	v_lshrrev_b32_e32 v3, s19, v3
	s_delay_alu instid0(VALU_DEP_1) | instskip(NEXT) | instid1(VALU_DEP_1)
	v_mul_lo_u32 v3, v3, s11
	v_sub_nc_u32_e32 v5, v2, v3
	s_delay_alu instid0(VALU_DEP_1) | instskip(NEXT) | instid1(VALU_DEP_1)
	v_mad_u64_u32 v[2:3], null, v5, s14, v[0:1]
	v_mad_u64_u32 v[3:4], null, v5, s15, v[1:2]
	s_delay_alu instid0(VALU_DEP_1)
	v_dual_mov_b32 v0, v2 :: v_dual_mov_b32 v1, v3
.LBB535_270:
	global_load_u16 v2, v1, s[6:7]
	v_mov_b32_e32 v1, s16
	s_mov_b32 s22, exec_lo
	s_waitcnt vmcnt(0)
	v_lshlrev_b32_e32 v3, 16, v2
	s_delay_alu instid0(VALU_DEP_1)
	v_cmpx_o_f32_e32 v3, v3
	s_cbranch_execz .LBB535_274
; %bb.271:
	v_mov_b32_e32 v1, s30
	s_mov_b32 s23, exec_lo
	v_cmpx_neq_f32_e32 0x7f800000, v3
; %bb.272:
	v_cmp_eq_f32_e32 vcc_lo, 0xff800000, v3
	v_cndmask_b32_e64 v1, v2, s17, vcc_lo
; %bb.273:
	s_or_b32 exec_lo, exec_lo, s23
.LBB535_274:
	s_delay_alu instid0(SALU_CYCLE_1) | instskip(SKIP_3) | instid1(SALU_CYCLE_1)
	s_or_b32 exec_lo, exec_lo, s22
	v_add_nc_u32_e32 v12, 0x80, v12
	global_store_b16 v0, v1, s[4:5]
	s_or_b32 exec_lo, exec_lo, s36
	s_mov_b32 s24, exec_lo
	v_cmpx_gt_i32_e64 s33, v12
	s_cbranch_execz .LBB535_261
.LBB535_275:
	s_and_not1_b32 vcc_lo, exec_lo, s28
	s_cbranch_vccnz .LBB535_280
; %bb.276:
	v_dual_mov_b32 v0, 0 :: v_dual_mov_b32 v1, 0
	s_and_not1_b32 vcc_lo, exec_lo, s35
	s_mov_b32 s25, 0
	s_cbranch_vccnz .LBB535_285
; %bb.277:
	v_mov_b32_e32 v0, 0
	s_add_i32 s34, s34, 1
	s_cmp_eq_u32 s27, 2
	s_mov_b32 s33, 0
	s_cbranch_scc1 .LBB535_281
; %bb.278:
	v_dual_mov_b32 v1, 0 :: v_dual_mov_b32 v0, 0
	v_mov_b32_e32 v2, v12
	s_and_b32 s33, s34, 28
	s_mov_b32 s35, 0
	s_mov_b64 s[22:23], s[2:3]
.LBB535_279:                            ; =>This Inner Loop Header: Depth=1
	s_clause 0x1
	s_load_b256 s[36:43], s[22:23], 0x4
	s_load_b128 s[52:55], s[22:23], 0x24
	s_load_b256 s[44:51], s[20:21], 0x0
	s_add_u32 s22, s22, 48
	s_addc_u32 s23, s23, 0
	s_add_i32 s35, s35, 4
	s_add_u32 s20, s20, 32
	s_addc_u32 s21, s21, 0
	s_cmp_eq_u32 s33, s35
	s_waitcnt lgkmcnt(0)
	v_mul_hi_u32 v3, s37, v2
	s_delay_alu instid0(VALU_DEP_1) | instskip(NEXT) | instid1(VALU_DEP_1)
	v_add_nc_u32_e32 v3, v2, v3
	v_lshrrev_b32_e32 v3, s38, v3
	s_delay_alu instid0(VALU_DEP_1) | instskip(SKIP_1) | instid1(VALU_DEP_2)
	v_mul_hi_u32 v4, s40, v3
	v_mul_lo_u32 v6, v3, s36
	v_add_nc_u32_e32 v4, v3, v4
	s_delay_alu instid0(VALU_DEP_2) | instskip(NEXT) | instid1(VALU_DEP_2)
	v_sub_nc_u32_e32 v2, v2, v6
	v_lshrrev_b32_e32 v4, s41, v4
	s_delay_alu instid0(VALU_DEP_2) | instskip(SKIP_1) | instid1(VALU_DEP_3)
	v_mul_lo_u32 v6, v2, s44
	v_mul_lo_u32 v8, v2, s45
	v_mul_hi_u32 v5, s43, v4
	s_delay_alu instid0(VALU_DEP_1) | instskip(NEXT) | instid1(VALU_DEP_1)
	v_add_nc_u32_e32 v5, v4, v5
	v_lshrrev_b32_e32 v5, s52, v5
	s_delay_alu instid0(VALU_DEP_1) | instskip(SKIP_1) | instid1(VALU_DEP_2)
	v_mul_hi_u32 v7, s54, v5
	v_mul_lo_u32 v9, v5, s42
	v_add_nc_u32_e32 v2, v5, v7
	v_mul_lo_u32 v7, v4, s39
	s_delay_alu instid0(VALU_DEP_3) | instskip(NEXT) | instid1(VALU_DEP_3)
	v_sub_nc_u32_e32 v4, v4, v9
	v_lshrrev_b32_e32 v2, s55, v2
	s_delay_alu instid0(VALU_DEP_2) | instskip(SKIP_2) | instid1(VALU_DEP_4)
	v_mul_lo_u32 v9, v4, s48
	v_mul_lo_u32 v4, v4, s49
	v_sub_nc_u32_e32 v3, v3, v7
	v_mul_lo_u32 v10, v2, s53
	s_delay_alu instid0(VALU_DEP_2) | instskip(SKIP_1) | instid1(VALU_DEP_3)
	v_mul_lo_u32 v7, v3, s46
	v_mul_lo_u32 v3, v3, s47
	v_sub_nc_u32_e32 v5, v5, v10
	s_delay_alu instid0(VALU_DEP_3) | instskip(NEXT) | instid1(VALU_DEP_2)
	v_add3_u32 v0, v6, v0, v7
	v_mul_lo_u32 v10, v5, s50
	v_mul_lo_u32 v5, v5, s51
	v_add3_u32 v1, v8, v1, v3
	s_delay_alu instid0(VALU_DEP_3) | instskip(NEXT) | instid1(VALU_DEP_2)
	v_add3_u32 v0, v9, v0, v10
	v_add3_u32 v1, v4, v1, v5
	s_cbranch_scc0 .LBB535_279
	s_branch .LBB535_282
.LBB535_280:
	s_mov_b32 s25, -1
                                        ; implicit-def: $vgpr0
                                        ; implicit-def: $vgpr1
	s_branch .LBB535_285
.LBB535_281:
	v_dual_mov_b32 v2, v12 :: v_dual_mov_b32 v1, 0
.LBB535_282:
	s_and_b32 s34, s34, 3
	s_delay_alu instid0(SALU_CYCLE_1)
	s_cmp_eq_u32 s34, 0
	s_cbranch_scc1 .LBB535_285
; %bb.283:
	s_lshl_b32 s20, s33, 3
	s_mul_i32 s22, s33, 12
	s_add_u32 s20, s20, s2
	s_addc_u32 s21, s3, 0
	s_add_u32 s20, s20, 0xc4
	s_addc_u32 s21, s21, 0
	;; [unrolled: 2-line block ×3, first 2 shown]
	.p2align	6
.LBB535_284:                            ; =>This Inner Loop Header: Depth=1
	s_clause 0x1
	s_load_b64 s[36:37], s[22:23], 0x4
	s_load_b32 s33, s[22:23], 0xc
	s_load_b64 s[38:39], s[20:21], 0x0
	s_add_u32 s22, s22, 12
	s_addc_u32 s23, s23, 0
	s_add_u32 s20, s20, 8
	s_addc_u32 s21, s21, 0
	s_add_i32 s34, s34, -1
	s_delay_alu instid0(SALU_CYCLE_1) | instskip(SKIP_2) | instid1(VALU_DEP_1)
	s_cmp_lg_u32 s34, 0
	s_waitcnt lgkmcnt(0)
	v_mul_hi_u32 v3, s37, v2
	v_add_nc_u32_e32 v3, v2, v3
	s_delay_alu instid0(VALU_DEP_1) | instskip(NEXT) | instid1(VALU_DEP_1)
	v_lshrrev_b32_e32 v6, s33, v3
	v_mul_lo_u32 v3, v6, s36
	s_delay_alu instid0(VALU_DEP_1) | instskip(NEXT) | instid1(VALU_DEP_1)
	v_sub_nc_u32_e32 v2, v2, v3
	v_mad_u64_u32 v[3:4], null, v2, s38, v[0:1]
	v_mad_u64_u32 v[4:5], null, v2, s39, v[1:2]
	v_mov_b32_e32 v2, v6
	s_delay_alu instid0(VALU_DEP_2)
	v_dual_mov_b32 v0, v3 :: v_dual_mov_b32 v1, v4
	s_cbranch_scc1 .LBB535_284
.LBB535_285:
	s_and_not1_b32 vcc_lo, exec_lo, s25
	s_cbranch_vccnz .LBB535_288
; %bb.286:
	v_mul_hi_u32 v0, s9, v12
	s_and_not1_b32 vcc_lo, exec_lo, s31
	s_delay_alu instid0(VALU_DEP_1) | instskip(NEXT) | instid1(VALU_DEP_1)
	v_add_nc_u32_e32 v0, v12, v0
	v_lshrrev_b32_e32 v2, s10, v0
	s_delay_alu instid0(VALU_DEP_1) | instskip(NEXT) | instid1(VALU_DEP_1)
	v_mul_lo_u32 v0, v2, s8
	v_sub_nc_u32_e32 v1, v12, v0
	s_delay_alu instid0(VALU_DEP_1)
	v_mul_lo_u32 v0, v1, s12
	v_mul_lo_u32 v1, v1, s13
	s_cbranch_vccnz .LBB535_288
; %bb.287:
	v_mul_hi_u32 v3, s18, v2
	s_delay_alu instid0(VALU_DEP_1) | instskip(NEXT) | instid1(VALU_DEP_1)
	v_add_nc_u32_e32 v3, v2, v3
	v_lshrrev_b32_e32 v3, s19, v3
	s_delay_alu instid0(VALU_DEP_1) | instskip(NEXT) | instid1(VALU_DEP_1)
	v_mul_lo_u32 v3, v3, s11
	v_sub_nc_u32_e32 v5, v2, v3
	s_delay_alu instid0(VALU_DEP_1) | instskip(NEXT) | instid1(VALU_DEP_1)
	v_mad_u64_u32 v[2:3], null, v5, s14, v[0:1]
	v_mad_u64_u32 v[3:4], null, v5, s15, v[1:2]
	s_delay_alu instid0(VALU_DEP_1)
	v_dual_mov_b32 v0, v2 :: v_dual_mov_b32 v1, v3
.LBB535_288:
	global_load_u16 v2, v1, s[6:7]
	v_mov_b32_e32 v1, s16
	s_mov_b32 s6, exec_lo
	s_waitcnt vmcnt(0)
	v_lshlrev_b32_e32 v3, 16, v2
	s_delay_alu instid0(VALU_DEP_1)
	v_cmpx_o_f32_e32 v3, v3
	s_cbranch_execz .LBB535_292
; %bb.289:
	v_mov_b32_e32 v1, s30
	s_mov_b32 s7, exec_lo
	v_cmpx_neq_f32_e32 0x7f800000, v3
; %bb.290:
	v_cmp_eq_f32_e32 vcc_lo, 0xff800000, v3
	v_cndmask_b32_e64 v1, v2, s17, vcc_lo
; %bb.291:
	s_or_b32 exec_lo, exec_lo, s7
.LBB535_292:
	s_delay_alu instid0(SALU_CYCLE_1)
	s_or_b32 exec_lo, exec_lo, s6
	global_store_b16 v0, v1, s[4:5]
	s_or_b32 exec_lo, exec_lo, s24
                                        ; implicit-def: $vgpr16
                                        ; implicit-def: $vgpr12
	s_and_not1_saveexec_b32 s4, s29
	s_cbranch_execz .LBB535_262
	s_branch .LBB535_8
	.section	.rodata,"a",@progbits
	.p2align	6, 0x0
	.amdhsa_kernel _ZN2at6native32elementwise_kernel_manual_unrollILi128ELi8EZNS0_22gpu_kernel_impl_nocastIZZZNS0_22nan_to_num_kernel_cudaERNS_18TensorIteratorBaseESt8optionalIdES6_S6_ENKUlvE0_clEvENKUlvE2_clEvEUlN3c108BFloat16EE_EEvS4_RKT_EUlibE_EEviT1_
		.amdhsa_group_segment_fixed_size 0
		.amdhsa_private_segment_fixed_size 0
		.amdhsa_kernarg_size 360
		.amdhsa_user_sgpr_count 15
		.amdhsa_user_sgpr_dispatch_ptr 0
		.amdhsa_user_sgpr_queue_ptr 0
		.amdhsa_user_sgpr_kernarg_segment_ptr 1
		.amdhsa_user_sgpr_dispatch_id 0
		.amdhsa_user_sgpr_private_segment_size 0
		.amdhsa_wavefront_size32 1
		.amdhsa_uses_dynamic_stack 0
		.amdhsa_enable_private_segment 0
		.amdhsa_system_sgpr_workgroup_id_x 1
		.amdhsa_system_sgpr_workgroup_id_y 0
		.amdhsa_system_sgpr_workgroup_id_z 0
		.amdhsa_system_sgpr_workgroup_info 0
		.amdhsa_system_vgpr_workitem_id 0
		.amdhsa_next_free_vgpr 26
		.amdhsa_next_free_sgpr 64
		.amdhsa_reserve_vcc 1
		.amdhsa_float_round_mode_32 0
		.amdhsa_float_round_mode_16_64 0
		.amdhsa_float_denorm_mode_32 3
		.amdhsa_float_denorm_mode_16_64 3
		.amdhsa_dx10_clamp 1
		.amdhsa_ieee_mode 1
		.amdhsa_fp16_overflow 0
		.amdhsa_workgroup_processor_mode 1
		.amdhsa_memory_ordered 1
		.amdhsa_forward_progress 0
		.amdhsa_shared_vgpr_count 0
		.amdhsa_exception_fp_ieee_invalid_op 0
		.amdhsa_exception_fp_denorm_src 0
		.amdhsa_exception_fp_ieee_div_zero 0
		.amdhsa_exception_fp_ieee_overflow 0
		.amdhsa_exception_fp_ieee_underflow 0
		.amdhsa_exception_fp_ieee_inexact 0
		.amdhsa_exception_int_div_zero 0
	.end_amdhsa_kernel
	.section	.text._ZN2at6native32elementwise_kernel_manual_unrollILi128ELi8EZNS0_22gpu_kernel_impl_nocastIZZZNS0_22nan_to_num_kernel_cudaERNS_18TensorIteratorBaseESt8optionalIdES6_S6_ENKUlvE0_clEvENKUlvE2_clEvEUlN3c108BFloat16EE_EEvS4_RKT_EUlibE_EEviT1_,"axG",@progbits,_ZN2at6native32elementwise_kernel_manual_unrollILi128ELi8EZNS0_22gpu_kernel_impl_nocastIZZZNS0_22nan_to_num_kernel_cudaERNS_18TensorIteratorBaseESt8optionalIdES6_S6_ENKUlvE0_clEvENKUlvE2_clEvEUlN3c108BFloat16EE_EEvS4_RKT_EUlibE_EEviT1_,comdat
.Lfunc_end535:
	.size	_ZN2at6native32elementwise_kernel_manual_unrollILi128ELi8EZNS0_22gpu_kernel_impl_nocastIZZZNS0_22nan_to_num_kernel_cudaERNS_18TensorIteratorBaseESt8optionalIdES6_S6_ENKUlvE0_clEvENKUlvE2_clEvEUlN3c108BFloat16EE_EEvS4_RKT_EUlibE_EEviT1_, .Lfunc_end535-_ZN2at6native32elementwise_kernel_manual_unrollILi128ELi8EZNS0_22gpu_kernel_impl_nocastIZZZNS0_22nan_to_num_kernel_cudaERNS_18TensorIteratorBaseESt8optionalIdES6_S6_ENKUlvE0_clEvENKUlvE2_clEvEUlN3c108BFloat16EE_EEvS4_RKT_EUlibE_EEviT1_
                                        ; -- End function
	.section	.AMDGPU.csdata,"",@progbits
; Kernel info:
; codeLenInByte = 14696
; NumSgprs: 66
; NumVgprs: 26
; ScratchSize: 0
; MemoryBound: 0
; FloatMode: 240
; IeeeMode: 1
; LDSByteSize: 0 bytes/workgroup (compile time only)
; SGPRBlocks: 8
; VGPRBlocks: 3
; NumSGPRsForWavesPerEU: 66
; NumVGPRsForWavesPerEU: 26
; Occupancy: 16
; WaveLimiterHint : 1
; COMPUTE_PGM_RSRC2:SCRATCH_EN: 0
; COMPUTE_PGM_RSRC2:USER_SGPR: 15
; COMPUTE_PGM_RSRC2:TRAP_HANDLER: 0
; COMPUTE_PGM_RSRC2:TGID_X_EN: 1
; COMPUTE_PGM_RSRC2:TGID_Y_EN: 0
; COMPUTE_PGM_RSRC2:TGID_Z_EN: 0
; COMPUTE_PGM_RSRC2:TIDIG_COMP_CNT: 0
	.section	.text._ZN2at6native32elementwise_kernel_manual_unrollILi128ELi4EZNS0_15gpu_kernel_implIZZZNS0_22nan_to_num_kernel_cudaERNS_18TensorIteratorBaseESt8optionalIdES6_S6_ENKUlvE0_clEvENKUlvE2_clEvEUlN3c108BFloat16EE_EEvS4_RKT_EUlibE_EEviT1_,"axG",@progbits,_ZN2at6native32elementwise_kernel_manual_unrollILi128ELi4EZNS0_15gpu_kernel_implIZZZNS0_22nan_to_num_kernel_cudaERNS_18TensorIteratorBaseESt8optionalIdES6_S6_ENKUlvE0_clEvENKUlvE2_clEvEUlN3c108BFloat16EE_EEvS4_RKT_EUlibE_EEviT1_,comdat
	.globl	_ZN2at6native32elementwise_kernel_manual_unrollILi128ELi4EZNS0_15gpu_kernel_implIZZZNS0_22nan_to_num_kernel_cudaERNS_18TensorIteratorBaseESt8optionalIdES6_S6_ENKUlvE0_clEvENKUlvE2_clEvEUlN3c108BFloat16EE_EEvS4_RKT_EUlibE_EEviT1_ ; -- Begin function _ZN2at6native32elementwise_kernel_manual_unrollILi128ELi4EZNS0_15gpu_kernel_implIZZZNS0_22nan_to_num_kernel_cudaERNS_18TensorIteratorBaseESt8optionalIdES6_S6_ENKUlvE0_clEvENKUlvE2_clEvEUlN3c108BFloat16EE_EEvS4_RKT_EUlibE_EEviT1_
	.p2align	8
	.type	_ZN2at6native32elementwise_kernel_manual_unrollILi128ELi4EZNS0_15gpu_kernel_implIZZZNS0_22nan_to_num_kernel_cudaERNS_18TensorIteratorBaseESt8optionalIdES6_S6_ENKUlvE0_clEvENKUlvE2_clEvEUlN3c108BFloat16EE_EEvS4_RKT_EUlibE_EEviT1_,@function
_ZN2at6native32elementwise_kernel_manual_unrollILi128ELi4EZNS0_15gpu_kernel_implIZZZNS0_22nan_to_num_kernel_cudaERNS_18TensorIteratorBaseESt8optionalIdES6_S6_ENKUlvE0_clEvENKUlvE2_clEvEUlN3c108BFloat16EE_EEvS4_RKT_EUlibE_EEviT1_: ; @_ZN2at6native32elementwise_kernel_manual_unrollILi128ELi4EZNS0_15gpu_kernel_implIZZZNS0_22nan_to_num_kernel_cudaERNS_18TensorIteratorBaseESt8optionalIdES6_S6_ENKUlvE0_clEvENKUlvE2_clEvEUlN3c108BFloat16EE_EEvS4_RKT_EUlibE_EEviT1_
; %bb.0:
	s_clause 0x2
	s_load_b256 s[4:11], s[0:1], 0x8
	s_load_b32 s3, s[0:1], 0x24
	s_load_b32 s16, s[0:1], 0x0
	v_lshl_or_b32 v2, s15, 9, v0
	s_mov_b32 s12, 0
	s_mov_b32 s14, 0
	s_mov_b32 s0, exec_lo
	s_delay_alu instid0(VALU_DEP_1)
	v_or_b32_e32 v0, 0x180, v2
	s_waitcnt lgkmcnt(0)
	s_lshr_b32 s2, s10, 16
	s_lshr_b32 s1, s3, 16
	;; [unrolled: 1-line block ×3, first 2 shown]
	v_cmpx_le_i32_e64 s16, v0
	s_xor_b32 s13, exec_lo, s0
	s_cbranch_execz .LBB536_1049
; %bb.1:
	s_mov_b32 s20, -1
	s_mov_b32 s18, 0
	s_mov_b32 s15, 0
	s_mov_b32 s17, exec_lo
	v_cmpx_gt_i32_e64 s16, v2
	s_cbranch_execz .LBB536_256
; %bb.2:
	v_mul_lo_u32 v0, v2, s9
	v_cmp_lt_i16_e64 s0, s3, 11
	s_delay_alu instid0(VALU_DEP_2) | instskip(SKIP_1) | instid1(VALU_DEP_2)
	v_ashrrev_i32_e32 v1, 31, v0
	v_add_co_u32 v0, vcc_lo, s6, v0
	v_add_co_ci_u32_e32 v1, vcc_lo, s7, v1, vcc_lo
	s_delay_alu instid0(VALU_DEP_4)
	s_and_b32 vcc_lo, exec_lo, s0
	s_cbranch_vccnz .LBB536_9
; %bb.3:
	v_cmp_gt_i16_e64 s0, s3, 25
	s_delay_alu instid0(VALU_DEP_1)
	s_and_b32 vcc_lo, exec_lo, s0
	s_cbranch_vccz .LBB536_22
; %bb.4:
	v_cmp_gt_i16_e64 s0, s3, 28
	s_delay_alu instid0(VALU_DEP_1)
	s_and_b32 vcc_lo, exec_lo, s0
	s_cbranch_vccz .LBB536_25
; %bb.5:
	v_cmp_gt_i16_e64 s0, s3, 43
	s_delay_alu instid0(VALU_DEP_1)
	s_and_b32 vcc_lo, exec_lo, s0
	s_cbranch_vccz .LBB536_27
; %bb.6:
	v_cmp_gt_i16_e64 s0, s3, 45
	s_delay_alu instid0(VALU_DEP_1)
	s_and_b32 vcc_lo, exec_lo, s0
	s_cbranch_vccz .LBB536_29
; %bb.7:
	v_cmp_eq_u16_e64 s0, s3, 46
	s_delay_alu instid0(VALU_DEP_1)
	s_and_b32 vcc_lo, exec_lo, s0
	s_cbranch_vccz .LBB536_31
; %bb.8:
	global_load_b32 v4, v[0:1], off
	s_mov_b32 s0, -1
	s_branch .LBB536_33
.LBB536_9:
	s_mov_b32 s0, 0
                                        ; implicit-def: $vgpr4
	s_cbranch_execnz .LBB536_206
.LBB536_10:
	s_and_not1_b32 vcc_lo, exec_lo, s0
	s_cbranch_vccnz .LBB536_253
.LBB536_11:
	s_waitcnt vmcnt(0)
	s_delay_alu instid0(VALU_DEP_1) | instskip(SKIP_1) | instid1(VALU_DEP_1)
	v_dual_mov_b32 v3, s10 :: v_dual_lshlrev_b32 v0, 16, v4
	s_mov_b32 s0, exec_lo
	v_cmpx_o_f32_e32 v0, v0
	s_cbranch_execz .LBB536_15
; %bb.12:
	v_mov_b32_e32 v3, s2
	s_mov_b32 s14, exec_lo
	v_cmpx_neq_f32_e32 0x7f800000, v0
; %bb.13:
	v_cmp_eq_f32_e32 vcc_lo, 0xff800000, v0
	v_cndmask_b32_e64 v3, v4, s11, vcc_lo
; %bb.14:
	s_or_b32 exec_lo, exec_lo, s14
.LBB536_15:
	s_delay_alu instid0(SALU_CYCLE_1) | instskip(SKIP_2) | instid1(VALU_DEP_1)
	s_or_b32 exec_lo, exec_lo, s0
	v_mul_lo_u32 v0, v2, s8
	v_and_b32_e64 v4, 0xff, s1
	v_cmp_gt_i16_e32 vcc_lo, 11, v4
	s_delay_alu instid0(VALU_DEP_3) | instskip(SKIP_1) | instid1(VALU_DEP_1)
	v_ashrrev_i32_e32 v1, 31, v0
	v_add_co_u32 v0, s0, s4, v0
	v_add_co_ci_u32_e64 v1, s0, s5, v1, s0
	s_cbranch_vccnz .LBB536_23
; %bb.16:
	v_cmp_lt_i16_e32 vcc_lo, 25, v4
	s_cbranch_vccz .LBB536_26
; %bb.17:
	v_cmp_lt_i16_e32 vcc_lo, 28, v4
	s_cbranch_vccz .LBB536_28
	;; [unrolled: 3-line block ×4, first 2 shown]
; %bb.20:
	v_cmp_eq_u16_e32 vcc_lo, 46, v4
	s_mov_b32 s19, 0
	s_mov_b32 s0, -1
	s_mov_b32 s14, 0
	s_cbranch_vccz .LBB536_37
; %bb.21:
	v_and_b32_e32 v5, 0xffff, v3
	s_mov_b32 s14, -1
	s_mov_b32 s0, 0
	global_store_b32 v[0:1], v5, off
	s_branch .LBB536_37
.LBB536_22:
	s_mov_b32 s0, 0
                                        ; implicit-def: $vgpr4
	s_cbranch_execnz .LBB536_171
	s_branch .LBB536_205
.LBB536_23:
	s_mov_b32 s0, 0
	s_mov_b32 s14, 0
	s_cbranch_execnz .LBB536_106
.LBB536_24:
	s_and_not1_b32 vcc_lo, exec_lo, s14
	s_cbranch_vccnz .LBB536_254
	s_branch .LBB536_144
.LBB536_25:
	s_mov_b32 s14, -1
	s_mov_b32 s0, 0
                                        ; implicit-def: $vgpr4
	s_branch .LBB536_152
.LBB536_26:
	s_mov_b32 s19, -1
	s_mov_b32 s0, 0
	s_mov_b32 s14, 0
	s_branch .LBB536_64
.LBB536_27:
	s_mov_b32 s14, -1
	s_mov_b32 s0, 0
                                        ; implicit-def: $vgpr4
	s_branch .LBB536_147
.LBB536_28:
	s_mov_b32 s19, -1
	s_mov_b32 s0, 0
	s_mov_b32 s14, 0
	s_branch .LBB536_47
.LBB536_29:
	s_mov_b32 s14, -1
	s_branch .LBB536_32
.LBB536_30:
	s_mov_b32 s19, -1
	s_mov_b32 s0, 0
	s_mov_b32 s14, 0
	s_branch .LBB536_43
.LBB536_31:
	s_mov_b32 s15, -1
.LBB536_32:
	s_mov_b32 s0, 0
                                        ; implicit-def: $vgpr4
.LBB536_33:
	s_and_b32 vcc_lo, exec_lo, s14
	s_cbranch_vccz .LBB536_146
; %bb.34:
	v_cmp_eq_u16_e64 s14, s3, 44
	s_delay_alu instid0(VALU_DEP_1)
	s_and_b32 vcc_lo, exec_lo, s14
	s_cbranch_vccz .LBB536_145
; %bb.35:
	global_load_u8 v3, v[0:1], off
	s_mov_b32 s15, 0
	s_mov_b32 s0, -1
	s_waitcnt vmcnt(0)
	v_lshlrev_b32_e32 v4, 23, v3
	v_cmp_ne_u32_e32 vcc_lo, 0xff, v3
	s_delay_alu instid0(VALU_DEP_2) | instskip(SKIP_1) | instid1(VALU_DEP_2)
	v_cndmask_b32_e32 v4, 0x7f800001, v4, vcc_lo
	v_cmp_ne_u32_e32 vcc_lo, 0, v3
	v_cndmask_b32_e32 v3, 0x400000, v4, vcc_lo
	s_delay_alu instid0(VALU_DEP_1) | instskip(SKIP_1) | instid1(VALU_DEP_2)
	v_add_nc_u32_e32 v4, 0x7fff, v3
	v_cmp_o_f32_e32 vcc_lo, v3, v3
	v_lshrrev_b32_e32 v4, 16, v4
	s_delay_alu instid0(VALU_DEP_1)
	v_cndmask_b32_e32 v4, 0x7fc0, v4, vcc_lo
	s_branch .LBB536_146
.LBB536_36:
	s_mov_b32 s19, -1
	s_mov_b32 s0, 0
	s_mov_b32 s14, 0
.LBB536_37:
	s_and_b32 vcc_lo, exec_lo, s19
	s_cbranch_vccz .LBB536_42
; %bb.38:
	v_cmp_eq_u16_e32 vcc_lo, 44, v4
	s_mov_b32 s0, -1
	s_cbranch_vccz .LBB536_42
; %bb.39:
	v_and_b32_e32 v5, 0xffff, v3
	v_mov_b32_e32 v6, 0xff
	s_mov_b32 s14, exec_lo
	s_delay_alu instid0(VALU_DEP_2) | instskip(NEXT) | instid1(VALU_DEP_1)
	v_bfe_u32 v7, v5, 7, 8
	v_cmpx_ne_u32_e32 0xff, v7
; %bb.40:
	v_lshlrev_b32_e32 v6, 16, v5
	v_and_b32_e32 v8, 64, v5
	v_lshrrev_b32_e32 v5, 7, v5
	s_delay_alu instid0(VALU_DEP_3) | instskip(NEXT) | instid1(VALU_DEP_3)
	v_and_or_b32 v6, 0x3f0000, v6, v7
	v_cmp_ne_u32_e32 vcc_lo, 0, v8
	s_delay_alu instid0(VALU_DEP_2) | instskip(NEXT) | instid1(VALU_DEP_1)
	v_cmp_ne_u32_e64 s0, 0, v6
	s_and_b32 s0, vcc_lo, s0
	s_delay_alu instid0(SALU_CYCLE_1) | instskip(NEXT) | instid1(VALU_DEP_1)
	v_cndmask_b32_e64 v6, 0, 1, s0
	v_add_nc_u32_e32 v6, v5, v6
; %bb.41:
	s_or_b32 exec_lo, exec_lo, s14
	s_mov_b32 s14, -1
	s_mov_b32 s0, 0
	global_store_b8 v[0:1], v6, off
.LBB536_42:
	s_mov_b32 s19, 0
.LBB536_43:
	s_delay_alu instid0(SALU_CYCLE_1)
	s_and_b32 vcc_lo, exec_lo, s19
	s_cbranch_vccz .LBB536_46
; %bb.44:
	v_cmp_eq_u16_e32 vcc_lo, 29, v4
	s_mov_b32 s0, -1
	s_cbranch_vccz .LBB536_46
; %bb.45:
	v_lshlrev_b32_e32 v5, 16, v3
	s_mov_b32 s14, -1
	s_mov_b32 s0, 0
	s_mov_b32 s19, 0
	s_delay_alu instid0(VALU_DEP_1) | instskip(NEXT) | instid1(VALU_DEP_1)
	v_trunc_f32_e32 v5, v5
	v_mul_f32_e32 v6, 0x2f800000, v5
	s_delay_alu instid0(VALU_DEP_1) | instskip(NEXT) | instid1(VALU_DEP_1)
	v_floor_f32_e32 v6, v6
	v_fmamk_f32 v5, v6, 0xcf800000, v5
	v_cvt_u32_f32_e32 v6, v6
	s_delay_alu instid0(VALU_DEP_2)
	v_cvt_u32_f32_e32 v5, v5
	global_store_b64 v[0:1], v[5:6], off
	s_branch .LBB536_47
.LBB536_46:
	s_mov_b32 s19, 0
.LBB536_47:
	s_delay_alu instid0(SALU_CYCLE_1)
	s_and_b32 vcc_lo, exec_lo, s19
	s_cbranch_vccz .LBB536_63
; %bb.48:
	v_cmp_gt_i16_e32 vcc_lo, 27, v4
	s_mov_b32 s14, -1
	s_cbranch_vccnz .LBB536_54
; %bb.49:
	v_cmp_lt_i16_e32 vcc_lo, 27, v4
	s_cbranch_vccz .LBB536_51
; %bb.50:
	v_lshlrev_b32_e32 v5, 16, v3
	s_mov_b32 s14, 0
	s_delay_alu instid0(VALU_DEP_1)
	v_cvt_u32_f32_e32 v5, v5
	global_store_b32 v[0:1], v5, off
.LBB536_51:
	s_and_not1_b32 vcc_lo, exec_lo, s14
	s_cbranch_vccnz .LBB536_53
; %bb.52:
	v_lshlrev_b32_e32 v5, 16, v3
	s_delay_alu instid0(VALU_DEP_1)
	v_cvt_u32_f32_e32 v5, v5
	global_store_b16 v[0:1], v5, off
.LBB536_53:
	s_mov_b32 s14, 0
.LBB536_54:
	s_delay_alu instid0(SALU_CYCLE_1)
	s_and_not1_b32 vcc_lo, exec_lo, s14
	s_cbranch_vccnz .LBB536_62
; %bb.55:
	v_dual_mov_b32 v8, 0x80 :: v_dual_lshlrev_b32 v7, 16, v3
	s_mov_b32 s14, exec_lo
	s_delay_alu instid0(VALU_DEP_1) | instskip(NEXT) | instid1(VALU_DEP_1)
	v_and_b32_e32 v6, 0x7fffffff, v7
	v_cmpx_gt_u32_e32 0x43800000, v6
	s_cbranch_execz .LBB536_61
; %bb.56:
	v_and_b32_e32 v5, 0xffff, v3
	v_cmp_lt_u32_e32 vcc_lo, 0x3bffffff, v6
	s_mov_b32 s19, 0
                                        ; implicit-def: $vgpr6
	s_and_saveexec_b32 s20, vcc_lo
	s_delay_alu instid0(SALU_CYCLE_1)
	s_xor_b32 s20, exec_lo, s20
	s_cbranch_execz .LBB536_284
; %bb.57:
	v_bfe_u32 v6, v5, 4, 1
	s_mov_b32 s19, exec_lo
	s_delay_alu instid0(VALU_DEP_1) | instskip(NEXT) | instid1(VALU_DEP_1)
	v_add3_u32 v6, v7, v6, 0x487ffff
                                        ; implicit-def: $vgpr7
	v_lshrrev_b32_e32 v6, 20, v6
	s_or_saveexec_b32 s20, s20
                                        ; implicit-def: $sgpr21
	s_delay_alu instid0(SALU_CYCLE_1)
	s_xor_b32 exec_lo, exec_lo, s20
	s_cbranch_execnz .LBB536_285
.LBB536_58:
	s_or_b32 exec_lo, exec_lo, s20
	v_mov_b32_e32 v8, s21
	s_and_saveexec_b32 s20, s19
.LBB536_59:
	v_lshrrev_b32_e32 v5, 8, v5
	s_delay_alu instid0(VALU_DEP_1)
	v_and_or_b32 v8, 0x80, v5, v6
.LBB536_60:
	s_or_b32 exec_lo, exec_lo, s20
.LBB536_61:
	s_delay_alu instid0(SALU_CYCLE_1)
	s_or_b32 exec_lo, exec_lo, s14
	global_store_b8 v[0:1], v8, off
.LBB536_62:
	s_mov_b32 s14, -1
.LBB536_63:
	s_mov_b32 s19, 0
.LBB536_64:
	s_delay_alu instid0(SALU_CYCLE_1)
	s_and_b32 vcc_lo, exec_lo, s19
	s_cbranch_vccz .LBB536_105
; %bb.65:
	v_cmp_lt_i16_e32 vcc_lo, 22, v4
	s_mov_b32 s19, -1
	s_cbranch_vccz .LBB536_97
; %bb.66:
	v_cmp_gt_i16_e32 vcc_lo, 24, v4
	s_mov_b32 s14, -1
	s_cbranch_vccnz .LBB536_86
; %bb.67:
	v_cmp_lt_i16_e32 vcc_lo, 24, v4
	s_cbranch_vccz .LBB536_75
; %bb.68:
	v_dual_mov_b32 v8, 0x80 :: v_dual_lshlrev_b32 v7, 16, v3
	s_mov_b32 s14, exec_lo
	s_delay_alu instid0(VALU_DEP_1) | instskip(NEXT) | instid1(VALU_DEP_1)
	v_and_b32_e32 v6, 0x7fffffff, v7
	v_cmpx_gt_u32_e32 0x47800000, v6
	s_cbranch_execz .LBB536_74
; %bb.69:
	v_and_b32_e32 v5, 0xffff, v3
	v_cmp_lt_u32_e32 vcc_lo, 0x37ffffff, v6
	s_mov_b32 s19, 0
                                        ; implicit-def: $vgpr6
	s_and_saveexec_b32 s20, vcc_lo
	s_delay_alu instid0(SALU_CYCLE_1)
	s_xor_b32 s20, exec_lo, s20
	s_cbranch_execz .LBB536_288
; %bb.70:
	v_bfe_u32 v6, v5, 5, 1
	s_mov_b32 s19, exec_lo
	s_delay_alu instid0(VALU_DEP_1) | instskip(NEXT) | instid1(VALU_DEP_1)
	v_add3_u32 v6, v7, v6, 0x88fffff
                                        ; implicit-def: $vgpr7
	v_lshrrev_b32_e32 v6, 21, v6
	s_or_saveexec_b32 s20, s20
                                        ; implicit-def: $sgpr21
	s_delay_alu instid0(SALU_CYCLE_1)
	s_xor_b32 exec_lo, exec_lo, s20
	s_cbranch_execnz .LBB536_289
.LBB536_71:
	s_or_b32 exec_lo, exec_lo, s20
	v_mov_b32_e32 v8, s21
	s_and_saveexec_b32 s20, s19
.LBB536_72:
	v_lshrrev_b32_e32 v5, 8, v5
	s_delay_alu instid0(VALU_DEP_1)
	v_and_or_b32 v8, 0x80, v5, v6
.LBB536_73:
	s_or_b32 exec_lo, exec_lo, s20
.LBB536_74:
	s_delay_alu instid0(SALU_CYCLE_1)
	s_or_b32 exec_lo, exec_lo, s14
	s_mov_b32 s14, 0
	global_store_b8 v[0:1], v8, off
.LBB536_75:
	s_and_b32 vcc_lo, exec_lo, s14
	s_cbranch_vccz .LBB536_85
; %bb.76:
	v_lshlrev_b32_e32 v7, 16, v3
	v_and_b32_e32 v5, 0xffff, v3
	s_mov_b32 s14, exec_lo
                                        ; implicit-def: $vgpr6
	s_delay_alu instid0(VALU_DEP_2) | instskip(NEXT) | instid1(VALU_DEP_1)
	v_and_b32_e32 v8, 0x7fffffff, v7
	v_cmpx_gt_u32_e32 0x43f00000, v8
	s_xor_b32 s14, exec_lo, s14
	s_cbranch_execz .LBB536_82
; %bb.77:
	s_mov_b32 s19, exec_lo
                                        ; implicit-def: $vgpr6
	v_cmpx_lt_u32_e32 0x3c7fffff, v8
	s_xor_b32 s19, exec_lo, s19
; %bb.78:
	v_bfe_u32 v6, v5, 4, 1
	s_delay_alu instid0(VALU_DEP_1) | instskip(NEXT) | instid1(VALU_DEP_1)
	v_add3_u32 v6, v7, v6, 0x407ffff
	v_and_b32_e32 v7, 0xff00000, v6
	v_lshrrev_b32_e32 v6, 20, v6
	s_delay_alu instid0(VALU_DEP_2) | instskip(NEXT) | instid1(VALU_DEP_2)
	v_cmp_ne_u32_e32 vcc_lo, 0x7f00000, v7
                                        ; implicit-def: $vgpr7
	v_cndmask_b32_e32 v6, 0x7e, v6, vcc_lo
; %bb.79:
	s_and_not1_saveexec_b32 s19, s19
; %bb.80:
	v_add_f32_e64 v6, 0x46800000, |v7|
; %bb.81:
	s_or_b32 exec_lo, exec_lo, s19
                                        ; implicit-def: $vgpr8
.LBB536_82:
	s_and_not1_saveexec_b32 s14, s14
; %bb.83:
	v_mov_b32_e32 v6, 0x7f
	v_cmp_lt_u32_e32 vcc_lo, 0x7f800000, v8
	s_delay_alu instid0(VALU_DEP_2)
	v_cndmask_b32_e32 v6, 0x7e, v6, vcc_lo
; %bb.84:
	s_or_b32 exec_lo, exec_lo, s14
	v_lshrrev_b32_e32 v5, 8, v5
	s_delay_alu instid0(VALU_DEP_1)
	v_and_or_b32 v5, 0x80, v5, v6
	global_store_b8 v[0:1], v5, off
.LBB536_85:
	s_mov_b32 s14, 0
.LBB536_86:
	s_delay_alu instid0(SALU_CYCLE_1)
	s_and_not1_b32 vcc_lo, exec_lo, s14
	s_cbranch_vccnz .LBB536_96
; %bb.87:
	v_lshlrev_b32_e32 v7, 16, v3
	v_and_b32_e32 v5, 0xffff, v3
	s_mov_b32 s14, exec_lo
                                        ; implicit-def: $vgpr6
	s_delay_alu instid0(VALU_DEP_2) | instskip(NEXT) | instid1(VALU_DEP_1)
	v_and_b32_e32 v8, 0x7fffffff, v7
	v_cmpx_gt_u32_e32 0x47800000, v8
	s_xor_b32 s14, exec_lo, s14
	s_cbranch_execz .LBB536_93
; %bb.88:
	s_mov_b32 s19, exec_lo
                                        ; implicit-def: $vgpr6
	v_cmpx_lt_u32_e32 0x387fffff, v8
	s_xor_b32 s19, exec_lo, s19
; %bb.89:
	v_bfe_u32 v6, v5, 5, 1
	s_delay_alu instid0(VALU_DEP_1) | instskip(NEXT) | instid1(VALU_DEP_1)
	v_add3_u32 v6, v7, v6, 0x80fffff
                                        ; implicit-def: $vgpr7
	v_lshrrev_b32_e32 v6, 21, v6
; %bb.90:
	s_and_not1_saveexec_b32 s19, s19
; %bb.91:
	v_add_f32_e64 v6, 0x43000000, |v7|
; %bb.92:
	s_or_b32 exec_lo, exec_lo, s19
                                        ; implicit-def: $vgpr8
.LBB536_93:
	s_and_not1_saveexec_b32 s14, s14
; %bb.94:
	v_mov_b32_e32 v6, 0x7f
	v_cmp_lt_u32_e32 vcc_lo, 0x7f800000, v8
	s_delay_alu instid0(VALU_DEP_2)
	v_cndmask_b32_e32 v6, 0x7c, v6, vcc_lo
; %bb.95:
	s_or_b32 exec_lo, exec_lo, s14
	v_lshrrev_b32_e32 v5, 8, v5
	s_delay_alu instid0(VALU_DEP_1)
	v_and_or_b32 v5, 0x80, v5, v6
	global_store_b8 v[0:1], v5, off
.LBB536_96:
	s_mov_b32 s19, 0
	s_mov_b32 s14, -1
.LBB536_97:
	s_and_not1_b32 vcc_lo, exec_lo, s19
	s_cbranch_vccnz .LBB536_105
; %bb.98:
	v_cmp_lt_i16_e32 vcc_lo, 14, v4
	s_mov_b32 s19, -1
	s_cbranch_vccz .LBB536_102
; %bb.99:
	v_cmp_eq_u16_e32 vcc_lo, 15, v4
	s_mov_b32 s0, -1
	s_cbranch_vccz .LBB536_101
; %bb.100:
	s_mov_b32 s14, -1
	s_mov_b32 s0, 0
	global_store_b16 v[0:1], v3, off
.LBB536_101:
	s_mov_b32 s19, 0
.LBB536_102:
	s_delay_alu instid0(SALU_CYCLE_1)
	s_and_b32 vcc_lo, exec_lo, s19
	s_cbranch_vccz .LBB536_105
; %bb.103:
	v_cmp_eq_u16_e32 vcc_lo, 11, v4
	s_mov_b32 s0, -1
	s_cbranch_vccz .LBB536_105
; %bb.104:
	v_and_b32_e32 v5, 0x7fff, v3
	s_mov_b32 s0, 0
	s_mov_b32 s14, -1
	s_delay_alu instid0(VALU_DEP_1)
	v_cmp_ne_u16_e32 vcc_lo, 0, v5
	v_cndmask_b32_e64 v5, 0, 1, vcc_lo
	global_store_b8 v[0:1], v5, off
.LBB536_105:
	s_branch .LBB536_24
.LBB536_106:
	v_cmp_gt_i16_e32 vcc_lo, 5, v4
	s_mov_b32 s14, -1
	s_cbranch_vccnz .LBB536_127
; %bb.107:
	v_cmp_gt_i16_e32 vcc_lo, 8, v4
	s_cbranch_vccnz .LBB536_117
; %bb.108:
	v_cmp_gt_i16_e32 vcc_lo, 9, v4
	s_cbranch_vccnz .LBB536_114
; %bb.109:
	v_cmp_lt_i16_e32 vcc_lo, 9, v4
	s_cbranch_vccz .LBB536_111
; %bb.110:
	v_mov_b32_e32 v7, 0
	v_lshlrev_b32_e32 v5, 16, v3
	s_mov_b32 s14, 0
	s_delay_alu instid0(VALU_DEP_2) | instskip(NEXT) | instid1(VALU_DEP_2)
	v_mov_b32_e32 v8, v7
	v_cvt_f64_f32_e32 v[5:6], v5
	global_store_b128 v[0:1], v[5:8], off
.LBB536_111:
	s_and_not1_b32 vcc_lo, exec_lo, s14
	s_cbranch_vccnz .LBB536_113
; %bb.112:
	v_dual_mov_b32 v6, 0 :: v_dual_lshlrev_b32 v5, 16, v3
	global_store_b64 v[0:1], v[5:6], off
.LBB536_113:
	s_mov_b32 s14, 0
.LBB536_114:
	s_delay_alu instid0(SALU_CYCLE_1)
	s_and_not1_b32 vcc_lo, exec_lo, s14
	s_cbranch_vccnz .LBB536_116
; %bb.115:
	v_lshlrev_b32_e32 v5, 16, v3
	s_delay_alu instid0(VALU_DEP_1) | instskip(NEXT) | instid1(VALU_DEP_1)
	v_cvt_f16_f32_e32 v5, v5
	v_and_b32_e32 v5, 0xffff, v5
	global_store_b32 v[0:1], v5, off
.LBB536_116:
	s_mov_b32 s14, 0
.LBB536_117:
	s_delay_alu instid0(SALU_CYCLE_1)
	s_and_not1_b32 vcc_lo, exec_lo, s14
	s_cbranch_vccnz .LBB536_126
; %bb.118:
	v_cmp_gt_i16_e32 vcc_lo, 6, v4
	s_mov_b32 s14, -1
	s_cbranch_vccnz .LBB536_124
; %bb.119:
	v_cmp_lt_i16_e32 vcc_lo, 6, v4
	s_cbranch_vccz .LBB536_121
; %bb.120:
	v_lshlrev_b32_e32 v5, 16, v3
	s_mov_b32 s14, 0
	s_delay_alu instid0(VALU_DEP_1)
	v_cvt_f64_f32_e32 v[5:6], v5
	global_store_b64 v[0:1], v[5:6], off
.LBB536_121:
	s_and_not1_b32 vcc_lo, exec_lo, s14
	s_cbranch_vccnz .LBB536_123
; %bb.122:
	v_lshlrev_b32_e32 v5, 16, v3
	global_store_b32 v[0:1], v5, off
.LBB536_123:
	s_mov_b32 s14, 0
.LBB536_124:
	s_delay_alu instid0(SALU_CYCLE_1)
	s_and_not1_b32 vcc_lo, exec_lo, s14
	s_cbranch_vccnz .LBB536_126
; %bb.125:
	v_lshlrev_b32_e32 v5, 16, v3
	s_delay_alu instid0(VALU_DEP_1)
	v_cvt_f16_f32_e32 v5, v5
	global_store_b16 v[0:1], v5, off
.LBB536_126:
	s_mov_b32 s14, 0
.LBB536_127:
	s_delay_alu instid0(SALU_CYCLE_1)
	s_and_not1_b32 vcc_lo, exec_lo, s14
	s_cbranch_vccnz .LBB536_143
; %bb.128:
	v_cmp_gt_i16_e32 vcc_lo, 2, v4
	s_mov_b32 s14, -1
	s_cbranch_vccnz .LBB536_138
; %bb.129:
	v_cmp_gt_i16_e32 vcc_lo, 3, v4
	s_cbranch_vccnz .LBB536_135
; %bb.130:
	v_cmp_lt_i16_e32 vcc_lo, 3, v4
	s_cbranch_vccz .LBB536_132
; %bb.131:
	v_lshlrev_b32_e32 v5, 16, v3
	s_mov_b32 s14, 0
	s_delay_alu instid0(VALU_DEP_1) | instskip(NEXT) | instid1(VALU_DEP_1)
	v_trunc_f32_e32 v5, v5
	v_mul_f32_e64 v6, 0x2f800000, |v5|
	v_ashrrev_i32_e32 v8, 31, v5
	s_delay_alu instid0(VALU_DEP_2) | instskip(NEXT) | instid1(VALU_DEP_1)
	v_floor_f32_e32 v6, v6
	v_fma_f32 v7, 0xcf800000, v6, |v5|
	v_cvt_u32_f32_e32 v6, v6
	s_delay_alu instid0(VALU_DEP_2) | instskip(NEXT) | instid1(VALU_DEP_2)
	v_cvt_u32_f32_e32 v5, v7
	v_xor_b32_e32 v6, v6, v8
	s_delay_alu instid0(VALU_DEP_2) | instskip(NEXT) | instid1(VALU_DEP_1)
	v_xor_b32_e32 v5, v5, v8
	v_sub_co_u32 v5, vcc_lo, v5, v8
	s_delay_alu instid0(VALU_DEP_3)
	v_sub_co_ci_u32_e32 v6, vcc_lo, v6, v8, vcc_lo
	global_store_b64 v[0:1], v[5:6], off
.LBB536_132:
	s_and_not1_b32 vcc_lo, exec_lo, s14
	s_cbranch_vccnz .LBB536_134
; %bb.133:
	v_lshlrev_b32_e32 v5, 16, v3
	s_delay_alu instid0(VALU_DEP_1)
	v_cvt_i32_f32_e32 v5, v5
	global_store_b32 v[0:1], v5, off
.LBB536_134:
	s_mov_b32 s14, 0
.LBB536_135:
	s_delay_alu instid0(SALU_CYCLE_1)
	s_and_not1_b32 vcc_lo, exec_lo, s14
	s_cbranch_vccnz .LBB536_137
; %bb.136:
	v_lshlrev_b32_e32 v5, 16, v3
	s_delay_alu instid0(VALU_DEP_1)
	v_cvt_i32_f32_e32 v5, v5
	global_store_b16 v[0:1], v5, off
.LBB536_137:
	s_mov_b32 s14, 0
.LBB536_138:
	s_delay_alu instid0(SALU_CYCLE_1)
	s_and_not1_b32 vcc_lo, exec_lo, s14
	s_cbranch_vccnz .LBB536_143
; %bb.139:
	v_cmp_lt_i16_e32 vcc_lo, 0, v4
	v_lshlrev_b32_e32 v3, 16, v3
	s_mov_b32 s14, -1
	s_cbranch_vccz .LBB536_141
; %bb.140:
	s_delay_alu instid0(VALU_DEP_1)
	v_cvt_i32_f32_e32 v4, v3
	s_mov_b32 s14, 0
	global_store_b8 v[0:1], v4, off
.LBB536_141:
	s_and_not1_b32 vcc_lo, exec_lo, s14
	s_cbranch_vccnz .LBB536_143
; %bb.142:
	v_trunc_f32_e32 v3, v3
	s_delay_alu instid0(VALU_DEP_1) | instskip(NEXT) | instid1(VALU_DEP_1)
	v_mul_f32_e64 v4, 0x2f800000, |v3|
	v_floor_f32_e32 v4, v4
	s_delay_alu instid0(VALU_DEP_1) | instskip(SKIP_1) | instid1(VALU_DEP_2)
	v_fma_f32 v4, 0xcf800000, v4, |v3|
	v_ashrrev_i32_e32 v3, 31, v3
	v_cvt_u32_f32_e32 v4, v4
	s_delay_alu instid0(VALU_DEP_1) | instskip(NEXT) | instid1(VALU_DEP_1)
	v_xor_b32_e32 v4, v4, v3
	v_sub_nc_u32_e32 v3, v4, v3
	global_store_b8 v[0:1], v3, off
.LBB536_143:
.LBB536_144:
	v_add_nc_u32_e32 v2, 0x80, v2
	s_mov_b32 s19, -1
	s_branch .LBB536_255
.LBB536_145:
	s_mov_b32 s15, -1
                                        ; implicit-def: $vgpr4
.LBB536_146:
	s_mov_b32 s14, 0
.LBB536_147:
	s_delay_alu instid0(SALU_CYCLE_1)
	s_and_b32 vcc_lo, exec_lo, s14
	s_cbranch_vccz .LBB536_151
; %bb.148:
	v_cmp_eq_u16_e64 s14, s3, 29
	s_delay_alu instid0(VALU_DEP_1)
	s_and_b32 vcc_lo, exec_lo, s14
	s_cbranch_vccz .LBB536_150
; %bb.149:
	global_load_b64 v[3:4], v[0:1], off
	s_mov_b32 s0, -1
	s_mov_b32 s15, 0
	s_mov_b32 s14, 0
	s_waitcnt vmcnt(0)
	v_clz_i32_u32_e32 v5, v4
	s_delay_alu instid0(VALU_DEP_1) | instskip(NEXT) | instid1(VALU_DEP_1)
	v_min_u32_e32 v5, 32, v5
	v_lshlrev_b64 v[3:4], v5, v[3:4]
	s_delay_alu instid0(VALU_DEP_1) | instskip(NEXT) | instid1(VALU_DEP_1)
	v_min_u32_e32 v3, 1, v3
	v_or_b32_e32 v3, v4, v3
	v_sub_nc_u32_e32 v4, 32, v5
	s_delay_alu instid0(VALU_DEP_2) | instskip(NEXT) | instid1(VALU_DEP_1)
	v_cvt_f32_u32_e32 v3, v3
	v_ldexp_f32 v3, v3, v4
	s_delay_alu instid0(VALU_DEP_1) | instskip(NEXT) | instid1(VALU_DEP_1)
	v_bfe_u32 v4, v3, 16, 1
	v_add3_u32 v3, v3, v4, 0x7fff
	s_delay_alu instid0(VALU_DEP_1)
	v_lshrrev_b32_e32 v4, 16, v3
	s_branch .LBB536_152
.LBB536_150:
	s_mov_b32 s15, -1
                                        ; implicit-def: $vgpr4
.LBB536_151:
	s_mov_b32 s14, 0
.LBB536_152:
	s_delay_alu instid0(SALU_CYCLE_1)
	s_and_b32 vcc_lo, exec_lo, s14
	s_cbranch_vccz .LBB536_170
; %bb.153:
	v_cmp_lt_i16_e64 s0, s3, 27
	s_delay_alu instid0(VALU_DEP_1)
	s_and_b32 vcc_lo, exec_lo, s0
	s_cbranch_vccnz .LBB536_156
; %bb.154:
	v_cmp_gt_i16_e64 s0, s3, 27
	s_delay_alu instid0(VALU_DEP_1)
	s_and_b32 vcc_lo, exec_lo, s0
	s_cbranch_vccz .LBB536_157
; %bb.155:
	global_load_b32 v3, v[0:1], off
	s_mov_b32 s0, 0
	s_waitcnt vmcnt(0)
	v_cvt_f32_u32_e32 v3, v3
	s_delay_alu instid0(VALU_DEP_1) | instskip(NEXT) | instid1(VALU_DEP_1)
	v_bfe_u32 v4, v3, 16, 1
	v_add3_u32 v3, v3, v4, 0x7fff
	s_delay_alu instid0(VALU_DEP_1)
	v_lshrrev_b32_e32 v4, 16, v3
	s_branch .LBB536_158
.LBB536_156:
	s_mov_b32 s0, -1
                                        ; implicit-def: $vgpr4
	s_branch .LBB536_161
.LBB536_157:
	s_mov_b32 s0, -1
                                        ; implicit-def: $vgpr4
.LBB536_158:
	s_delay_alu instid0(SALU_CYCLE_1)
	s_and_not1_b32 vcc_lo, exec_lo, s0
	s_cbranch_vccnz .LBB536_160
; %bb.159:
	global_load_u16 v3, v[0:1], off
	s_waitcnt vmcnt(0)
	v_cvt_f32_u32_e32 v3, v3
	s_delay_alu instid0(VALU_DEP_1) | instskip(NEXT) | instid1(VALU_DEP_1)
	v_bfe_u32 v4, v3, 16, 1
	v_add3_u32 v3, v3, v4, 0x7fff
	s_delay_alu instid0(VALU_DEP_1)
	v_lshrrev_b32_e32 v4, 16, v3
.LBB536_160:
	s_mov_b32 s0, 0
.LBB536_161:
	s_delay_alu instid0(SALU_CYCLE_1)
	s_and_not1_b32 vcc_lo, exec_lo, s0
	s_cbranch_vccnz .LBB536_169
; %bb.162:
	global_load_u8 v3, v[0:1], off
	s_mov_b32 s0, 0
	s_mov_b32 s19, exec_lo
                                        ; implicit-def: $sgpr14
	s_waitcnt vmcnt(0)
	v_cmpx_lt_i16_e32 0x7f, v3
	s_xor_b32 s19, exec_lo, s19
	s_cbranch_execz .LBB536_182
; %bb.163:
	s_mov_b32 s0, -1
	s_mov_b32 s20, exec_lo
                                        ; implicit-def: $sgpr14
	v_cmpx_eq_u16_e32 0x80, v3
; %bb.164:
	s_mov_b32 s14, 0x7f800001
	s_xor_b32 s0, exec_lo, -1
; %bb.165:
	s_or_b32 exec_lo, exec_lo, s20
	s_delay_alu instid0(SALU_CYCLE_1)
	s_and_b32 s0, s0, exec_lo
	s_or_saveexec_b32 s19, s19
	v_mov_b32_e32 v4, s14
	s_xor_b32 exec_lo, exec_lo, s19
	s_cbranch_execnz .LBB536_183
.LBB536_166:
	s_or_b32 exec_lo, exec_lo, s19
	s_and_saveexec_b32 s14, s0
	s_cbranch_execz .LBB536_168
.LBB536_167:
	v_and_b32_e32 v4, 0xffff, v3
	v_lshlrev_b32_e32 v3, 24, v3
	s_delay_alu instid0(VALU_DEP_2) | instskip(NEXT) | instid1(VALU_DEP_2)
	v_and_b32_e32 v5, 7, v4
	v_and_b32_e32 v3, 0x80000000, v3
	s_delay_alu instid0(VALU_DEP_2) | instskip(NEXT) | instid1(VALU_DEP_1)
	v_clz_i32_u32_e32 v6, v5
	v_min_u32_e32 v6, 32, v6
	s_delay_alu instid0(VALU_DEP_1) | instskip(SKIP_1) | instid1(VALU_DEP_2)
	v_subrev_nc_u32_e32 v7, 28, v6
	v_sub_nc_u32_e32 v6, 29, v6
	v_lshlrev_b32_e32 v7, v7, v4
	v_bfe_u32 v4, v4, 3, 4
	s_delay_alu instid0(VALU_DEP_2) | instskip(NEXT) | instid1(VALU_DEP_2)
	v_and_b32_e32 v7, 7, v7
	v_cmp_eq_u32_e32 vcc_lo, 0, v4
	s_delay_alu instid0(VALU_DEP_2) | instskip(NEXT) | instid1(VALU_DEP_1)
	v_dual_cndmask_b32 v4, v4, v6 :: v_dual_cndmask_b32 v5, v5, v7
	v_lshl_add_u32 v4, v4, 23, 0x3b800000
	s_delay_alu instid0(VALU_DEP_2) | instskip(NEXT) | instid1(VALU_DEP_1)
	v_lshlrev_b32_e32 v5, 20, v5
	v_or3_b32 v4, v3, v4, v5
.LBB536_168:
	s_or_b32 exec_lo, exec_lo, s14
	s_delay_alu instid0(VALU_DEP_1) | instskip(SKIP_1) | instid1(VALU_DEP_2)
	v_bfe_u32 v3, v4, 16, 1
	v_cmp_o_f32_e32 vcc_lo, v4, v4
	v_add3_u32 v3, v4, v3, 0x7fff
	s_delay_alu instid0(VALU_DEP_1) | instskip(NEXT) | instid1(VALU_DEP_1)
	v_lshrrev_b32_e32 v3, 16, v3
	v_cndmask_b32_e32 v4, 0x7fc0, v3, vcc_lo
.LBB536_169:
	s_mov_b32 s0, -1
.LBB536_170:
	s_branch .LBB536_205
.LBB536_171:
	v_cmp_gt_i16_e64 s14, s3, 22
	s_delay_alu instid0(VALU_DEP_1)
	s_and_b32 vcc_lo, exec_lo, s14
	s_cbranch_vccz .LBB536_181
; %bb.172:
	v_cmp_lt_i16_e64 s0, s3, 24
	s_delay_alu instid0(VALU_DEP_1)
	s_and_b32 vcc_lo, exec_lo, s0
	s_cbranch_vccnz .LBB536_184
; %bb.173:
	v_cmp_gt_i16_e64 s0, s3, 24
	s_delay_alu instid0(VALU_DEP_1)
	s_and_b32 vcc_lo, exec_lo, s0
	s_cbranch_vccz .LBB536_185
; %bb.174:
	global_load_u8 v3, v[0:1], off
	s_mov_b32 s0, 0
	s_mov_b32 s19, exec_lo
                                        ; implicit-def: $sgpr14
	s_waitcnt vmcnt(0)
	v_cmpx_lt_i16_e32 0x7f, v3
	s_xor_b32 s19, exec_lo, s19
	s_cbranch_execz .LBB536_197
; %bb.175:
	s_mov_b32 s0, -1
	s_mov_b32 s20, exec_lo
                                        ; implicit-def: $sgpr14
	v_cmpx_eq_u16_e32 0x80, v3
; %bb.176:
	s_mov_b32 s14, 0x7f800001
	s_xor_b32 s0, exec_lo, -1
; %bb.177:
	s_or_b32 exec_lo, exec_lo, s20
	s_delay_alu instid0(SALU_CYCLE_1)
	s_and_b32 s0, s0, exec_lo
	s_or_saveexec_b32 s19, s19
	v_mov_b32_e32 v4, s14
	s_xor_b32 exec_lo, exec_lo, s19
	s_cbranch_execnz .LBB536_198
.LBB536_178:
	s_or_b32 exec_lo, exec_lo, s19
	s_and_saveexec_b32 s14, s0
	s_cbranch_execz .LBB536_180
.LBB536_179:
	v_and_b32_e32 v4, 0xffff, v3
	v_lshlrev_b32_e32 v3, 24, v3
	s_delay_alu instid0(VALU_DEP_2) | instskip(NEXT) | instid1(VALU_DEP_2)
	v_and_b32_e32 v5, 3, v4
	v_and_b32_e32 v3, 0x80000000, v3
	s_delay_alu instid0(VALU_DEP_2) | instskip(NEXT) | instid1(VALU_DEP_1)
	v_clz_i32_u32_e32 v6, v5
	v_min_u32_e32 v6, 32, v6
	s_delay_alu instid0(VALU_DEP_1) | instskip(SKIP_1) | instid1(VALU_DEP_2)
	v_subrev_nc_u32_e32 v7, 29, v6
	v_sub_nc_u32_e32 v6, 30, v6
	v_lshlrev_b32_e32 v7, v7, v4
	v_bfe_u32 v4, v4, 2, 5
	s_delay_alu instid0(VALU_DEP_2) | instskip(NEXT) | instid1(VALU_DEP_2)
	v_and_b32_e32 v7, 3, v7
	v_cmp_eq_u32_e32 vcc_lo, 0, v4
	s_delay_alu instid0(VALU_DEP_2) | instskip(NEXT) | instid1(VALU_DEP_1)
	v_dual_cndmask_b32 v4, v4, v6 :: v_dual_cndmask_b32 v5, v5, v7
	v_lshl_add_u32 v4, v4, 23, 0x37800000
	s_delay_alu instid0(VALU_DEP_2) | instskip(NEXT) | instid1(VALU_DEP_1)
	v_lshlrev_b32_e32 v5, 21, v5
	v_or3_b32 v4, v3, v4, v5
.LBB536_180:
	s_or_b32 exec_lo, exec_lo, s14
	s_delay_alu instid0(VALU_DEP_1) | instskip(SKIP_2) | instid1(VALU_DEP_2)
	v_bfe_u32 v3, v4, 16, 1
	v_cmp_o_f32_e32 vcc_lo, v4, v4
	s_mov_b32 s0, 0
	v_add3_u32 v3, v4, v3, 0x7fff
	s_delay_alu instid0(VALU_DEP_1) | instskip(NEXT) | instid1(VALU_DEP_1)
	v_lshrrev_b32_e32 v3, 16, v3
	v_cndmask_b32_e32 v4, 0x7fc0, v3, vcc_lo
	s_branch .LBB536_186
.LBB536_181:
	s_mov_b32 s14, -1
                                        ; implicit-def: $vgpr4
	s_branch .LBB536_192
.LBB536_182:
	s_or_saveexec_b32 s19, s19
	v_mov_b32_e32 v4, s14
	s_xor_b32 exec_lo, exec_lo, s19
	s_cbranch_execz .LBB536_166
.LBB536_183:
	v_cmp_ne_u16_e32 vcc_lo, 0, v3
	v_mov_b32_e32 v4, 0
	s_and_not1_b32 s0, s0, exec_lo
	s_and_b32 s14, vcc_lo, exec_lo
	s_delay_alu instid0(SALU_CYCLE_1)
	s_or_b32 s0, s0, s14
	s_or_b32 exec_lo, exec_lo, s19
	s_and_saveexec_b32 s14, s0
	s_cbranch_execnz .LBB536_167
	s_branch .LBB536_168
.LBB536_184:
	s_mov_b32 s0, -1
                                        ; implicit-def: $vgpr4
	s_branch .LBB536_189
.LBB536_185:
	s_mov_b32 s0, -1
                                        ; implicit-def: $vgpr4
.LBB536_186:
	s_delay_alu instid0(SALU_CYCLE_1)
	s_and_b32 vcc_lo, exec_lo, s0
	s_cbranch_vccz .LBB536_188
; %bb.187:
	global_load_u8 v3, v[0:1], off
	s_waitcnt vmcnt(0)
	v_lshlrev_b32_e32 v3, 24, v3
	s_delay_alu instid0(VALU_DEP_1) | instskip(NEXT) | instid1(VALU_DEP_1)
	v_and_b32_e32 v4, 0x7f000000, v3
	v_clz_i32_u32_e32 v5, v4
	v_add_nc_u32_e32 v7, 0x1000000, v4
	v_cmp_ne_u32_e32 vcc_lo, 0, v4
	s_delay_alu instid0(VALU_DEP_3) | instskip(NEXT) | instid1(VALU_DEP_1)
	v_min_u32_e32 v5, 32, v5
	v_sub_nc_u32_e64 v5, v5, 4 clamp
	s_delay_alu instid0(VALU_DEP_1) | instskip(SKIP_1) | instid1(VALU_DEP_2)
	v_lshlrev_b32_e32 v6, v5, v4
	v_lshlrev_b32_e32 v5, 23, v5
	v_lshrrev_b32_e32 v6, 4, v6
	s_delay_alu instid0(VALU_DEP_1) | instskip(SKIP_1) | instid1(VALU_DEP_2)
	v_sub_nc_u32_e32 v5, v6, v5
	v_ashrrev_i32_e32 v6, 8, v7
	v_add_nc_u32_e32 v5, 0x3c000000, v5
	s_delay_alu instid0(VALU_DEP_1) | instskip(NEXT) | instid1(VALU_DEP_1)
	v_and_or_b32 v5, 0x7f800000, v6, v5
	v_cndmask_b32_e32 v4, 0, v5, vcc_lo
	s_delay_alu instid0(VALU_DEP_1) | instskip(SKIP_1) | instid1(VALU_DEP_2)
	v_and_or_b32 v3, 0x80000000, v3, v4
	v_bfe_u32 v4, v4, 16, 1
	v_cmp_o_f32_e32 vcc_lo, v3, v3
	s_delay_alu instid0(VALU_DEP_2) | instskip(NEXT) | instid1(VALU_DEP_1)
	v_add3_u32 v4, v3, v4, 0x7fff
	v_lshrrev_b32_e32 v4, 16, v4
	s_delay_alu instid0(VALU_DEP_1)
	v_cndmask_b32_e32 v4, 0x7fc0, v4, vcc_lo
.LBB536_188:
	s_mov_b32 s0, 0
.LBB536_189:
	s_delay_alu instid0(SALU_CYCLE_1)
	s_and_not1_b32 vcc_lo, exec_lo, s0
	s_cbranch_vccnz .LBB536_191
; %bb.190:
	global_load_u8 v3, v[0:1], off
	s_waitcnt vmcnt(0)
	v_lshlrev_b32_e32 v4, 25, v3
	v_lshlrev_b16 v3, 8, v3
	s_delay_alu instid0(VALU_DEP_2) | instskip(NEXT) | instid1(VALU_DEP_2)
	v_lshrrev_b32_e32 v5, 4, v4
	v_and_or_b32 v6, 0x7f00, v3, 0.5
	v_bfe_i32 v3, v3, 0, 16
	s_delay_alu instid0(VALU_DEP_3) | instskip(NEXT) | instid1(VALU_DEP_1)
	v_or_b32_e32 v5, 0x70000000, v5
	v_dual_add_f32 v6, -0.5, v6 :: v_dual_mul_f32 v5, 0x7800000, v5
	v_cmp_gt_u32_e32 vcc_lo, 0x8000000, v4
	s_delay_alu instid0(VALU_DEP_2) | instskip(NEXT) | instid1(VALU_DEP_1)
	v_cndmask_b32_e32 v4, v5, v6, vcc_lo
	v_and_or_b32 v3, 0x80000000, v3, v4
	v_bfe_u32 v4, v4, 16, 1
	s_delay_alu instid0(VALU_DEP_2) | instskip(NEXT) | instid1(VALU_DEP_2)
	v_cmp_o_f32_e32 vcc_lo, v3, v3
	v_add3_u32 v4, v3, v4, 0x7fff
	s_delay_alu instid0(VALU_DEP_1) | instskip(NEXT) | instid1(VALU_DEP_1)
	v_lshrrev_b32_e32 v4, 16, v4
	v_cndmask_b32_e32 v4, 0x7fc0, v4, vcc_lo
.LBB536_191:
	s_mov_b32 s14, 0
	s_mov_b32 s0, -1
.LBB536_192:
	s_and_not1_b32 vcc_lo, exec_lo, s14
	s_cbranch_vccnz .LBB536_205
; %bb.193:
	v_cmp_gt_i16_e64 s14, s3, 14
	s_delay_alu instid0(VALU_DEP_1)
	s_and_b32 vcc_lo, exec_lo, s14
	s_cbranch_vccz .LBB536_196
; %bb.194:
	v_cmp_eq_u16_e64 s14, s3, 15
	s_delay_alu instid0(VALU_DEP_1)
	s_and_b32 vcc_lo, exec_lo, s14
	s_cbranch_vccz .LBB536_199
; %bb.195:
	global_load_u16 v4, v[0:1], off
	s_mov_b32 s0, -1
	s_mov_b32 s15, 0
	s_branch .LBB536_200
.LBB536_196:
	s_mov_b32 s14, -1
                                        ; implicit-def: $vgpr4
	s_branch .LBB536_201
.LBB536_197:
	s_or_saveexec_b32 s19, s19
	v_mov_b32_e32 v4, s14
	s_xor_b32 exec_lo, exec_lo, s19
	s_cbranch_execz .LBB536_178
.LBB536_198:
	v_cmp_ne_u16_e32 vcc_lo, 0, v3
	v_mov_b32_e32 v4, 0
	s_and_not1_b32 s0, s0, exec_lo
	s_and_b32 s14, vcc_lo, exec_lo
	s_delay_alu instid0(SALU_CYCLE_1)
	s_or_b32 s0, s0, s14
	s_or_b32 exec_lo, exec_lo, s19
	s_and_saveexec_b32 s14, s0
	s_cbranch_execnz .LBB536_179
	s_branch .LBB536_180
.LBB536_199:
	s_mov_b32 s15, -1
                                        ; implicit-def: $vgpr4
.LBB536_200:
	s_mov_b32 s14, 0
.LBB536_201:
	s_delay_alu instid0(SALU_CYCLE_1)
	s_and_b32 vcc_lo, exec_lo, s14
	s_cbranch_vccz .LBB536_205
; %bb.202:
	v_cmp_eq_u16_e64 s14, s3, 11
	s_delay_alu instid0(VALU_DEP_1)
	s_and_b32 vcc_lo, exec_lo, s14
	s_cbranch_vccz .LBB536_204
; %bb.203:
	global_load_u8 v3, v[0:1], off
	s_mov_b32 s15, 0
	s_mov_b32 s0, -1
	s_waitcnt vmcnt(0)
	v_cmp_ne_u16_e32 vcc_lo, 0, v3
	v_cndmask_b32_e64 v3, 0, 1.0, vcc_lo
	s_delay_alu instid0(VALU_DEP_1)
	v_lshrrev_b32_e32 v4, 16, v3
	s_branch .LBB536_205
.LBB536_204:
	s_mov_b32 s15, -1
                                        ; implicit-def: $vgpr4
.LBB536_205:
	s_branch .LBB536_10
.LBB536_206:
	v_cmp_lt_i16_e64 s0, s3, 5
	s_delay_alu instid0(VALU_DEP_1)
	s_and_b32 vcc_lo, exec_lo, s0
	s_cbranch_vccnz .LBB536_211
; %bb.207:
	v_cmp_lt_i16_e64 s0, s3, 8
	s_delay_alu instid0(VALU_DEP_1)
	s_and_b32 vcc_lo, exec_lo, s0
	s_cbranch_vccnz .LBB536_212
; %bb.208:
	;; [unrolled: 5-line block ×3, first 2 shown]
	v_cmp_gt_i16_e64 s0, s3, 9
	s_delay_alu instid0(VALU_DEP_1)
	s_and_b32 vcc_lo, exec_lo, s0
	s_cbranch_vccz .LBB536_214
; %bb.210:
	global_load_b64 v[3:4], v[0:1], off
	s_mov_b32 s0, 0
	s_waitcnt vmcnt(0)
	v_cvt_f32_f64_e32 v3, v[3:4]
	s_delay_alu instid0(VALU_DEP_1) | instskip(SKIP_1) | instid1(VALU_DEP_2)
	v_bfe_u32 v4, v3, 16, 1
	v_cmp_o_f32_e32 vcc_lo, v3, v3
	v_add3_u32 v4, v3, v4, 0x7fff
	s_delay_alu instid0(VALU_DEP_1) | instskip(NEXT) | instid1(VALU_DEP_1)
	v_lshrrev_b32_e32 v4, 16, v4
	v_cndmask_b32_e32 v4, 0x7fc0, v4, vcc_lo
	s_branch .LBB536_215
.LBB536_211:
                                        ; implicit-def: $vgpr4
	s_branch .LBB536_233
.LBB536_212:
	s_mov_b32 s0, -1
                                        ; implicit-def: $vgpr4
	s_branch .LBB536_221
.LBB536_213:
	s_mov_b32 s0, -1
                                        ; implicit-def: $vgpr4
	s_branch .LBB536_218
.LBB536_214:
	s_mov_b32 s0, -1
                                        ; implicit-def: $vgpr4
.LBB536_215:
	s_delay_alu instid0(SALU_CYCLE_1)
	s_and_not1_b32 vcc_lo, exec_lo, s0
	s_cbranch_vccnz .LBB536_217
; %bb.216:
	global_load_b32 v3, v[0:1], off
	s_waitcnt vmcnt(0)
	v_bfe_u32 v4, v3, 16, 1
	v_cmp_o_f32_e32 vcc_lo, v3, v3
	s_delay_alu instid0(VALU_DEP_2) | instskip(NEXT) | instid1(VALU_DEP_1)
	v_add3_u32 v4, v3, v4, 0x7fff
	v_lshrrev_b32_e32 v4, 16, v4
	s_delay_alu instid0(VALU_DEP_1)
	v_cndmask_b32_e32 v4, 0x7fc0, v4, vcc_lo
.LBB536_217:
	s_mov_b32 s0, 0
.LBB536_218:
	s_delay_alu instid0(SALU_CYCLE_1)
	s_and_not1_b32 vcc_lo, exec_lo, s0
	s_cbranch_vccnz .LBB536_220
; %bb.219:
	global_load_b32 v3, v[0:1], off
	s_waitcnt vmcnt(0)
	v_cvt_f32_f16_e32 v4, v3
	v_cmp_o_f16_e32 vcc_lo, v3, v3
	s_delay_alu instid0(VALU_DEP_2) | instskip(NEXT) | instid1(VALU_DEP_1)
	v_bfe_u32 v5, v4, 16, 1
	v_add3_u32 v4, v4, v5, 0x7fff
	s_delay_alu instid0(VALU_DEP_1) | instskip(NEXT) | instid1(VALU_DEP_1)
	v_lshrrev_b32_e32 v4, 16, v4
	v_cndmask_b32_e32 v4, 0x7fc0, v4, vcc_lo
.LBB536_220:
	s_mov_b32 s0, 0
.LBB536_221:
	s_delay_alu instid0(SALU_CYCLE_1)
	s_and_not1_b32 vcc_lo, exec_lo, s0
	s_cbranch_vccnz .LBB536_232
; %bb.222:
	v_cmp_lt_i16_e64 s0, s3, 6
	s_delay_alu instid0(VALU_DEP_1)
	s_and_b32 vcc_lo, exec_lo, s0
	s_cbranch_vccnz .LBB536_225
; %bb.223:
	v_cmp_gt_i16_e64 s0, s3, 6
	s_delay_alu instid0(VALU_DEP_1)
	s_and_b32 vcc_lo, exec_lo, s0
	s_cbranch_vccz .LBB536_226
; %bb.224:
	global_load_b64 v[3:4], v[0:1], off
	s_mov_b32 s0, 0
	s_waitcnt vmcnt(0)
	v_cvt_f32_f64_e32 v3, v[3:4]
	s_delay_alu instid0(VALU_DEP_1) | instskip(SKIP_1) | instid1(VALU_DEP_2)
	v_bfe_u32 v4, v3, 16, 1
	v_cmp_o_f32_e32 vcc_lo, v3, v3
	v_add3_u32 v4, v3, v4, 0x7fff
	s_delay_alu instid0(VALU_DEP_1) | instskip(NEXT) | instid1(VALU_DEP_1)
	v_lshrrev_b32_e32 v4, 16, v4
	v_cndmask_b32_e32 v4, 0x7fc0, v4, vcc_lo
	s_branch .LBB536_227
.LBB536_225:
	s_mov_b32 s0, -1
                                        ; implicit-def: $vgpr4
	s_branch .LBB536_230
.LBB536_226:
	s_mov_b32 s0, -1
                                        ; implicit-def: $vgpr4
.LBB536_227:
	s_delay_alu instid0(SALU_CYCLE_1)
	s_and_not1_b32 vcc_lo, exec_lo, s0
	s_cbranch_vccnz .LBB536_229
; %bb.228:
	global_load_b32 v3, v[0:1], off
	s_waitcnt vmcnt(0)
	v_bfe_u32 v4, v3, 16, 1
	v_cmp_o_f32_e32 vcc_lo, v3, v3
	s_delay_alu instid0(VALU_DEP_2) | instskip(NEXT) | instid1(VALU_DEP_1)
	v_add3_u32 v4, v3, v4, 0x7fff
	v_lshrrev_b32_e32 v4, 16, v4
	s_delay_alu instid0(VALU_DEP_1)
	v_cndmask_b32_e32 v4, 0x7fc0, v4, vcc_lo
.LBB536_229:
	s_mov_b32 s0, 0
.LBB536_230:
	s_delay_alu instid0(SALU_CYCLE_1)
	s_and_not1_b32 vcc_lo, exec_lo, s0
	s_cbranch_vccnz .LBB536_232
; %bb.231:
	global_load_u16 v3, v[0:1], off
	s_waitcnt vmcnt(0)
	v_cvt_f32_f16_e32 v4, v3
	v_cmp_o_f16_e32 vcc_lo, v3, v3
	s_delay_alu instid0(VALU_DEP_2) | instskip(NEXT) | instid1(VALU_DEP_1)
	v_bfe_u32 v5, v4, 16, 1
	v_add3_u32 v4, v4, v5, 0x7fff
	s_delay_alu instid0(VALU_DEP_1) | instskip(NEXT) | instid1(VALU_DEP_1)
	v_lshrrev_b32_e32 v4, 16, v4
	v_cndmask_b32_e32 v4, 0x7fc0, v4, vcc_lo
.LBB536_232:
	s_cbranch_execnz .LBB536_252
.LBB536_233:
	v_cmp_lt_i16_e64 s0, s3, 2
	s_delay_alu instid0(VALU_DEP_1)
	s_and_b32 vcc_lo, exec_lo, s0
	s_cbranch_vccnz .LBB536_237
; %bb.234:
	v_cmp_lt_i16_e64 s0, s3, 3
	s_delay_alu instid0(VALU_DEP_1)
	s_and_b32 vcc_lo, exec_lo, s0
	s_cbranch_vccnz .LBB536_238
; %bb.235:
	v_cmp_gt_i16_e64 s0, s3, 3
	s_delay_alu instid0(VALU_DEP_1)
	s_and_b32 vcc_lo, exec_lo, s0
	s_cbranch_vccz .LBB536_239
; %bb.236:
	global_load_b64 v[3:4], v[0:1], off
	s_mov_b32 s0, 0
	s_waitcnt vmcnt(0)
	v_xor_b32_e32 v5, v3, v4
	v_cls_i32_e32 v6, v4
	s_delay_alu instid0(VALU_DEP_2) | instskip(NEXT) | instid1(VALU_DEP_2)
	v_ashrrev_i32_e32 v5, 31, v5
	v_add_nc_u32_e32 v6, -1, v6
	s_delay_alu instid0(VALU_DEP_2) | instskip(NEXT) | instid1(VALU_DEP_1)
	v_add_nc_u32_e32 v5, 32, v5
	v_min_u32_e32 v5, v6, v5
	s_delay_alu instid0(VALU_DEP_1) | instskip(NEXT) | instid1(VALU_DEP_1)
	v_lshlrev_b64 v[3:4], v5, v[3:4]
	v_min_u32_e32 v3, 1, v3
	s_delay_alu instid0(VALU_DEP_1) | instskip(SKIP_1) | instid1(VALU_DEP_2)
	v_or_b32_e32 v3, v4, v3
	v_sub_nc_u32_e32 v4, 32, v5
	v_cvt_f32_i32_e32 v3, v3
	s_delay_alu instid0(VALU_DEP_1) | instskip(NEXT) | instid1(VALU_DEP_1)
	v_ldexp_f32 v3, v3, v4
	v_bfe_u32 v4, v3, 16, 1
	s_delay_alu instid0(VALU_DEP_1) | instskip(NEXT) | instid1(VALU_DEP_1)
	v_add3_u32 v3, v3, v4, 0x7fff
	v_lshrrev_b32_e32 v4, 16, v3
	s_branch .LBB536_240
.LBB536_237:
	s_mov_b32 s0, -1
                                        ; implicit-def: $vgpr4
	s_branch .LBB536_246
.LBB536_238:
	s_mov_b32 s0, -1
                                        ; implicit-def: $vgpr4
	s_branch .LBB536_243
.LBB536_239:
	s_mov_b32 s0, -1
                                        ; implicit-def: $vgpr4
.LBB536_240:
	s_delay_alu instid0(SALU_CYCLE_1)
	s_and_not1_b32 vcc_lo, exec_lo, s0
	s_cbranch_vccnz .LBB536_242
; %bb.241:
	global_load_b32 v3, v[0:1], off
	s_waitcnt vmcnt(0)
	v_cvt_f32_i32_e32 v3, v3
	s_delay_alu instid0(VALU_DEP_1) | instskip(NEXT) | instid1(VALU_DEP_1)
	v_bfe_u32 v4, v3, 16, 1
	v_add3_u32 v3, v3, v4, 0x7fff
	s_delay_alu instid0(VALU_DEP_1)
	v_lshrrev_b32_e32 v4, 16, v3
.LBB536_242:
	s_mov_b32 s0, 0
.LBB536_243:
	s_delay_alu instid0(SALU_CYCLE_1)
	s_and_not1_b32 vcc_lo, exec_lo, s0
	s_cbranch_vccnz .LBB536_245
; %bb.244:
	global_load_i16 v3, v[0:1], off
	s_waitcnt vmcnt(0)
	v_cvt_f32_i32_e32 v3, v3
	s_delay_alu instid0(VALU_DEP_1) | instskip(NEXT) | instid1(VALU_DEP_1)
	v_bfe_u32 v4, v3, 16, 1
	v_add3_u32 v3, v3, v4, 0x7fff
	s_delay_alu instid0(VALU_DEP_1)
	v_lshrrev_b32_e32 v4, 16, v3
.LBB536_245:
	s_mov_b32 s0, 0
.LBB536_246:
	s_delay_alu instid0(SALU_CYCLE_1)
	s_and_not1_b32 vcc_lo, exec_lo, s0
	s_cbranch_vccnz .LBB536_252
; %bb.247:
	v_cmp_gt_i16_e64 s0, s3, 0
	s_delay_alu instid0(VALU_DEP_1)
	s_and_b32 vcc_lo, exec_lo, s0
	s_mov_b32 s0, 0
	s_cbranch_vccz .LBB536_249
; %bb.248:
	global_load_i8 v3, v[0:1], off
	s_waitcnt vmcnt(0)
	v_cvt_f32_i32_e32 v3, v3
	s_delay_alu instid0(VALU_DEP_1) | instskip(NEXT) | instid1(VALU_DEP_1)
	v_bfe_u32 v4, v3, 16, 1
	v_add3_u32 v3, v3, v4, 0x7fff
	s_delay_alu instid0(VALU_DEP_1)
	v_lshrrev_b32_e32 v4, 16, v3
	s_branch .LBB536_250
.LBB536_249:
	s_mov_b32 s0, -1
                                        ; implicit-def: $vgpr4
.LBB536_250:
	s_delay_alu instid0(SALU_CYCLE_1)
	s_and_not1_b32 vcc_lo, exec_lo, s0
	s_cbranch_vccnz .LBB536_252
; %bb.251:
	global_load_u8 v0, v[0:1], off
	s_waitcnt vmcnt(0)
	v_cvt_f32_ubyte0_e32 v0, v0
	s_delay_alu instid0(VALU_DEP_1) | instskip(NEXT) | instid1(VALU_DEP_1)
	v_bfe_u32 v1, v0, 16, 1
	v_add3_u32 v0, v0, v1, 0x7fff
	s_delay_alu instid0(VALU_DEP_1)
	v_lshrrev_b32_e32 v4, 16, v0
.LBB536_252:
	s_branch .LBB536_11
.LBB536_253:
	s_mov_b32 s0, 0
.LBB536_254:
	s_mov_b32 s19, 0
                                        ; implicit-def: $vgpr2
.LBB536_255:
	s_and_b32 s14, s0, exec_lo
	s_and_b32 s15, s15, exec_lo
	s_or_not1_b32 s20, s19, exec_lo
.LBB536_256:
	s_or_b32 exec_lo, exec_lo, s17
	s_mov_b32 s19, 0
	s_mov_b32 s0, 0
                                        ; implicit-def: $vgpr0_vgpr1
                                        ; implicit-def: $vgpr5
	s_and_saveexec_b32 s17, s20
	s_cbranch_execz .LBB536_872
; %bb.257:
	s_mov_b32 s0, -1
	s_mov_b32 s18, s15
	s_mov_b32 s19, s14
	s_mov_b32 s20, exec_lo
	v_cmpx_gt_i32_e64 s16, v2
	s_cbranch_execz .LBB536_520
; %bb.258:
	v_mul_lo_u32 v0, v2, s9
	v_cmp_lt_i16_e64 s0, s3, 11
	s_delay_alu instid0(VALU_DEP_2) | instskip(SKIP_1) | instid1(VALU_DEP_2)
	v_ashrrev_i32_e32 v1, 31, v0
	v_add_co_u32 v0, vcc_lo, s6, v0
	v_add_co_ci_u32_e32 v1, vcc_lo, s7, v1, vcc_lo
	s_delay_alu instid0(VALU_DEP_4)
	s_and_b32 vcc_lo, exec_lo, s0
	s_cbranch_vccnz .LBB536_265
; %bb.259:
	v_cmp_gt_i16_e64 s0, s3, 25
	s_delay_alu instid0(VALU_DEP_1)
	s_and_b32 vcc_lo, exec_lo, s0
	s_cbranch_vccz .LBB536_278
; %bb.260:
	v_cmp_gt_i16_e64 s0, s3, 28
	s_delay_alu instid0(VALU_DEP_1)
	s_and_b32 vcc_lo, exec_lo, s0
	s_cbranch_vccz .LBB536_280
	;; [unrolled: 5-line block ×4, first 2 shown]
; %bb.263:
	v_cmp_eq_u16_e64 s0, s3, 46
	s_mov_b32 s19, 0
	s_delay_alu instid0(VALU_DEP_1)
	s_and_b32 vcc_lo, exec_lo, s0
	s_cbranch_vccz .LBB536_290
; %bb.264:
	global_load_b32 v4, v[0:1], off
	s_mov_b32 s0, -1
	s_mov_b32 s18, 0
	s_branch .LBB536_292
.LBB536_265:
	s_mov_b32 s0, 0
	s_mov_b32 s18, s15
                                        ; implicit-def: $vgpr4
	s_cbranch_execnz .LBB536_469
.LBB536_266:
	s_and_not1_b32 vcc_lo, exec_lo, s0
	s_cbranch_vccnz .LBB536_517
.LBB536_267:
	s_waitcnt vmcnt(0)
	s_delay_alu instid0(VALU_DEP_1) | instskip(SKIP_1) | instid1(VALU_DEP_1)
	v_dual_mov_b32 v3, s10 :: v_dual_lshlrev_b32 v0, 16, v4
	s_mov_b32 s0, exec_lo
	v_cmpx_o_f32_e32 v0, v0
	s_cbranch_execz .LBB536_271
; %bb.268:
	v_mov_b32_e32 v3, s2
	s_mov_b32 s19, exec_lo
	v_cmpx_neq_f32_e32 0x7f800000, v0
; %bb.269:
	v_cmp_eq_f32_e32 vcc_lo, 0xff800000, v0
	v_cndmask_b32_e64 v3, v4, s11, vcc_lo
; %bb.270:
	s_or_b32 exec_lo, exec_lo, s19
.LBB536_271:
	s_delay_alu instid0(SALU_CYCLE_1) | instskip(SKIP_2) | instid1(VALU_DEP_1)
	s_or_b32 exec_lo, exec_lo, s0
	v_mul_lo_u32 v0, v2, s8
	v_and_b32_e64 v4, 0xff, s1
	v_cmp_gt_i16_e32 vcc_lo, 11, v4
	s_delay_alu instid0(VALU_DEP_3) | instskip(SKIP_1) | instid1(VALU_DEP_1)
	v_ashrrev_i32_e32 v1, 31, v0
	v_add_co_u32 v0, s0, s4, v0
	v_add_co_ci_u32_e64 v1, s0, s5, v1, s0
	s_cbranch_vccnz .LBB536_279
; %bb.272:
	v_cmp_lt_i16_e32 vcc_lo, 25, v4
	s_cbranch_vccz .LBB536_281
; %bb.273:
	v_cmp_lt_i16_e32 vcc_lo, 28, v4
	s_cbranch_vccz .LBB536_283
	;; [unrolled: 3-line block ×4, first 2 shown]
; %bb.276:
	v_cmp_eq_u16_e32 vcc_lo, 46, v4
	s_mov_b32 s21, 0
	s_mov_b32 s0, -1
	s_mov_b32 s19, 0
	s_cbranch_vccz .LBB536_296
; %bb.277:
	v_and_b32_e32 v5, 0xffff, v3
	s_mov_b32 s19, -1
	s_mov_b32 s0, 0
	global_store_b32 v[0:1], v5, off
	s_branch .LBB536_296
.LBB536_278:
	s_mov_b32 s19, -1
	s_mov_b32 s0, 0
	s_mov_b32 s18, s15
                                        ; implicit-def: $vgpr4
	s_branch .LBB536_433
.LBB536_279:
	s_mov_b32 s21, -1
	s_mov_b32 s19, 0
	s_mov_b32 s0, s14
	s_branch .LBB536_365
.LBB536_280:
	s_mov_b32 s19, -1
	s_mov_b32 s0, 0
	s_mov_b32 s18, s15
                                        ; implicit-def: $vgpr4
	s_branch .LBB536_414
.LBB536_281:
	s_mov_b32 s21, -1
	s_mov_b32 s19, 0
	s_mov_b32 s0, s14
	s_branch .LBB536_323
.LBB536_282:
	s_mov_b32 s19, -1
	s_mov_b32 s0, 0
	s_mov_b32 s18, s15
                                        ; implicit-def: $vgpr4
	s_branch .LBB536_409
.LBB536_283:
	s_mov_b32 s21, -1
	s_mov_b32 s19, 0
	s_mov_b32 s0, s14
	s_branch .LBB536_306
.LBB536_284:
	s_or_saveexec_b32 s20, s20
                                        ; implicit-def: $sgpr21
	s_delay_alu instid0(SALU_CYCLE_1)
	s_xor_b32 exec_lo, exec_lo, s20
	s_cbranch_execz .LBB536_58
.LBB536_285:
	v_add_f32_e64 v6, 0x46000000, |v7|
	s_and_not1_b32 s19, s19, exec_lo
	s_mov_b32 s21, 0
	s_delay_alu instid0(VALU_DEP_1) | instskip(NEXT) | instid1(VALU_DEP_1)
	v_and_b32_e32 v6, 0xff, v6
	v_cmp_ne_u32_e32 vcc_lo, 0, v6
	s_and_b32 s22, vcc_lo, exec_lo
	s_delay_alu instid0(SALU_CYCLE_1)
	s_or_b32 s19, s19, s22
	s_or_b32 exec_lo, exec_lo, s20
	v_mov_b32_e32 v8, s21
	s_and_saveexec_b32 s20, s19
	s_cbranch_execnz .LBB536_59
	s_branch .LBB536_60
.LBB536_286:
	s_mov_b32 s19, -1
	s_mov_b32 s0, 0
	s_mov_b32 s18, s15
	s_branch .LBB536_291
.LBB536_287:
	s_mov_b32 s21, -1
	s_mov_b32 s19, 0
	s_mov_b32 s0, s14
	s_branch .LBB536_302
.LBB536_288:
	s_or_saveexec_b32 s20, s20
                                        ; implicit-def: $sgpr21
	s_delay_alu instid0(SALU_CYCLE_1)
	s_xor_b32 exec_lo, exec_lo, s20
	s_cbranch_execz .LBB536_71
.LBB536_289:
	v_add_f32_e64 v6, 0x42800000, |v7|
	s_and_not1_b32 s19, s19, exec_lo
	s_mov_b32 s21, 0
	s_delay_alu instid0(VALU_DEP_1) | instskip(NEXT) | instid1(VALU_DEP_1)
	v_and_b32_e32 v6, 0xff, v6
	v_cmp_ne_u32_e32 vcc_lo, 0, v6
	s_and_b32 s22, vcc_lo, exec_lo
	s_delay_alu instid0(SALU_CYCLE_1)
	s_or_b32 s19, s19, s22
	s_or_b32 exec_lo, exec_lo, s20
	v_mov_b32_e32 v8, s21
	s_and_saveexec_b32 s20, s19
	s_cbranch_execnz .LBB536_72
	s_branch .LBB536_73
.LBB536_290:
	s_mov_b32 s18, -1
	s_mov_b32 s0, 0
.LBB536_291:
                                        ; implicit-def: $vgpr4
.LBB536_292:
	s_and_b32 vcc_lo, exec_lo, s19
	s_cbranch_vccz .LBB536_408
; %bb.293:
	v_cmp_eq_u16_e64 s18, s3, 44
	s_delay_alu instid0(VALU_DEP_1)
	s_and_b32 vcc_lo, exec_lo, s18
	s_cbranch_vccz .LBB536_407
; %bb.294:
	global_load_u8 v3, v[0:1], off
	s_mov_b32 s18, 0
	s_mov_b32 s0, -1
	s_waitcnt vmcnt(0)
	v_lshlrev_b32_e32 v4, 23, v3
	v_cmp_ne_u32_e32 vcc_lo, 0xff, v3
	s_delay_alu instid0(VALU_DEP_2) | instskip(SKIP_1) | instid1(VALU_DEP_2)
	v_cndmask_b32_e32 v4, 0x7f800001, v4, vcc_lo
	v_cmp_ne_u32_e32 vcc_lo, 0, v3
	v_cndmask_b32_e32 v3, 0x400000, v4, vcc_lo
	s_delay_alu instid0(VALU_DEP_1) | instskip(SKIP_1) | instid1(VALU_DEP_2)
	v_add_nc_u32_e32 v4, 0x7fff, v3
	v_cmp_o_f32_e32 vcc_lo, v3, v3
	v_lshrrev_b32_e32 v4, 16, v4
	s_delay_alu instid0(VALU_DEP_1)
	v_cndmask_b32_e32 v4, 0x7fc0, v4, vcc_lo
	s_branch .LBB536_408
.LBB536_295:
	s_mov_b32 s21, -1
	s_mov_b32 s19, 0
	s_mov_b32 s0, s14
.LBB536_296:
	s_and_b32 vcc_lo, exec_lo, s21
	s_cbranch_vccz .LBB536_301
; %bb.297:
	v_cmp_eq_u16_e32 vcc_lo, 44, v4
	s_mov_b32 s0, -1
	s_cbranch_vccz .LBB536_301
; %bb.298:
	v_and_b32_e32 v5, 0xffff, v3
	v_mov_b32_e32 v6, 0xff
	s_mov_b32 s19, exec_lo
	s_delay_alu instid0(VALU_DEP_2) | instskip(NEXT) | instid1(VALU_DEP_1)
	v_bfe_u32 v7, v5, 7, 8
	v_cmpx_ne_u32_e32 0xff, v7
; %bb.299:
	v_lshlrev_b32_e32 v6, 16, v5
	v_and_b32_e32 v8, 64, v5
	v_lshrrev_b32_e32 v5, 7, v5
	s_delay_alu instid0(VALU_DEP_3) | instskip(NEXT) | instid1(VALU_DEP_3)
	v_and_or_b32 v6, 0x3f0000, v6, v7
	v_cmp_ne_u32_e32 vcc_lo, 0, v8
	s_delay_alu instid0(VALU_DEP_2) | instskip(NEXT) | instid1(VALU_DEP_1)
	v_cmp_ne_u32_e64 s0, 0, v6
	s_and_b32 s0, vcc_lo, s0
	s_delay_alu instid0(SALU_CYCLE_1) | instskip(NEXT) | instid1(VALU_DEP_1)
	v_cndmask_b32_e64 v6, 0, 1, s0
	v_add_nc_u32_e32 v6, v5, v6
; %bb.300:
	s_or_b32 exec_lo, exec_lo, s19
	s_mov_b32 s19, -1
	s_mov_b32 s0, 0
	global_store_b8 v[0:1], v6, off
.LBB536_301:
	s_mov_b32 s21, 0
.LBB536_302:
	s_delay_alu instid0(SALU_CYCLE_1)
	s_and_b32 vcc_lo, exec_lo, s21
	s_cbranch_vccz .LBB536_305
; %bb.303:
	v_cmp_eq_u16_e32 vcc_lo, 29, v4
	s_mov_b32 s0, -1
	s_cbranch_vccz .LBB536_305
; %bb.304:
	v_lshlrev_b32_e32 v5, 16, v3
	s_mov_b32 s19, -1
	s_mov_b32 s0, 0
	s_mov_b32 s21, 0
	s_delay_alu instid0(VALU_DEP_1) | instskip(NEXT) | instid1(VALU_DEP_1)
	v_trunc_f32_e32 v5, v5
	v_mul_f32_e32 v6, 0x2f800000, v5
	s_delay_alu instid0(VALU_DEP_1) | instskip(NEXT) | instid1(VALU_DEP_1)
	v_floor_f32_e32 v6, v6
	v_fmamk_f32 v5, v6, 0xcf800000, v5
	v_cvt_u32_f32_e32 v6, v6
	s_delay_alu instid0(VALU_DEP_2)
	v_cvt_u32_f32_e32 v5, v5
	global_store_b64 v[0:1], v[5:6], off
	s_branch .LBB536_306
.LBB536_305:
	s_mov_b32 s21, 0
.LBB536_306:
	s_delay_alu instid0(SALU_CYCLE_1)
	s_and_b32 vcc_lo, exec_lo, s21
	s_cbranch_vccz .LBB536_322
; %bb.307:
	v_cmp_gt_i16_e32 vcc_lo, 27, v4
	s_mov_b32 s19, -1
	s_cbranch_vccnz .LBB536_313
; %bb.308:
	v_cmp_lt_i16_e32 vcc_lo, 27, v4
	s_cbranch_vccz .LBB536_310
; %bb.309:
	v_lshlrev_b32_e32 v5, 16, v3
	s_mov_b32 s19, 0
	s_delay_alu instid0(VALU_DEP_1)
	v_cvt_u32_f32_e32 v5, v5
	global_store_b32 v[0:1], v5, off
.LBB536_310:
	s_and_not1_b32 vcc_lo, exec_lo, s19
	s_cbranch_vccnz .LBB536_312
; %bb.311:
	v_lshlrev_b32_e32 v5, 16, v3
	s_delay_alu instid0(VALU_DEP_1)
	v_cvt_u32_f32_e32 v5, v5
	global_store_b16 v[0:1], v5, off
.LBB536_312:
	s_mov_b32 s19, 0
.LBB536_313:
	s_delay_alu instid0(SALU_CYCLE_1)
	s_and_not1_b32 vcc_lo, exec_lo, s19
	s_cbranch_vccnz .LBB536_321
; %bb.314:
	v_dual_mov_b32 v8, 0x80 :: v_dual_lshlrev_b32 v7, 16, v3
	s_mov_b32 s19, exec_lo
	s_delay_alu instid0(VALU_DEP_1) | instskip(NEXT) | instid1(VALU_DEP_1)
	v_and_b32_e32 v6, 0x7fffffff, v7
	v_cmpx_gt_u32_e32 0x43800000, v6
	s_cbranch_execz .LBB536_320
; %bb.315:
	v_and_b32_e32 v5, 0xffff, v3
	v_cmp_lt_u32_e32 vcc_lo, 0x3bffffff, v6
	s_mov_b32 s21, 0
                                        ; implicit-def: $vgpr6
	s_and_saveexec_b32 s22, vcc_lo
	s_delay_alu instid0(SALU_CYCLE_1)
	s_xor_b32 s22, exec_lo, s22
	s_cbranch_execz .LBB536_533
; %bb.316:
	v_bfe_u32 v6, v5, 4, 1
	s_mov_b32 s21, exec_lo
	s_delay_alu instid0(VALU_DEP_1) | instskip(NEXT) | instid1(VALU_DEP_1)
	v_add3_u32 v6, v7, v6, 0x487ffff
                                        ; implicit-def: $vgpr7
	v_lshrrev_b32_e32 v6, 20, v6
	s_or_saveexec_b32 s22, s22
                                        ; implicit-def: $sgpr23
	s_delay_alu instid0(SALU_CYCLE_1)
	s_xor_b32 exec_lo, exec_lo, s22
	s_cbranch_execnz .LBB536_534
.LBB536_317:
	s_or_b32 exec_lo, exec_lo, s22
	v_mov_b32_e32 v8, s23
	s_and_saveexec_b32 s22, s21
.LBB536_318:
	v_lshrrev_b32_e32 v5, 8, v5
	s_delay_alu instid0(VALU_DEP_1)
	v_and_or_b32 v8, 0x80, v5, v6
.LBB536_319:
	s_or_b32 exec_lo, exec_lo, s22
.LBB536_320:
	s_delay_alu instid0(SALU_CYCLE_1)
	s_or_b32 exec_lo, exec_lo, s19
	global_store_b8 v[0:1], v8, off
.LBB536_321:
	s_mov_b32 s19, -1
.LBB536_322:
	s_mov_b32 s21, 0
.LBB536_323:
	s_delay_alu instid0(SALU_CYCLE_1)
	s_and_b32 vcc_lo, exec_lo, s21
	s_cbranch_vccz .LBB536_364
; %bb.324:
	v_cmp_lt_i16_e32 vcc_lo, 22, v4
	s_mov_b32 s21, -1
	s_cbranch_vccz .LBB536_356
; %bb.325:
	v_cmp_gt_i16_e32 vcc_lo, 24, v4
	s_mov_b32 s19, -1
	s_cbranch_vccnz .LBB536_345
; %bb.326:
	v_cmp_lt_i16_e32 vcc_lo, 24, v4
	s_cbranch_vccz .LBB536_334
; %bb.327:
	v_dual_mov_b32 v8, 0x80 :: v_dual_lshlrev_b32 v7, 16, v3
	s_mov_b32 s19, exec_lo
	s_delay_alu instid0(VALU_DEP_1) | instskip(NEXT) | instid1(VALU_DEP_1)
	v_and_b32_e32 v6, 0x7fffffff, v7
	v_cmpx_gt_u32_e32 0x47800000, v6
	s_cbranch_execz .LBB536_333
; %bb.328:
	v_and_b32_e32 v5, 0xffff, v3
	v_cmp_lt_u32_e32 vcc_lo, 0x37ffffff, v6
	s_mov_b32 s21, 0
                                        ; implicit-def: $vgpr6
	s_and_saveexec_b32 s22, vcc_lo
	s_delay_alu instid0(SALU_CYCLE_1)
	s_xor_b32 s22, exec_lo, s22
	s_cbranch_execz .LBB536_536
; %bb.329:
	v_bfe_u32 v6, v5, 5, 1
	s_mov_b32 s21, exec_lo
	s_delay_alu instid0(VALU_DEP_1) | instskip(NEXT) | instid1(VALU_DEP_1)
	v_add3_u32 v6, v7, v6, 0x88fffff
                                        ; implicit-def: $vgpr7
	v_lshrrev_b32_e32 v6, 21, v6
	s_or_saveexec_b32 s22, s22
                                        ; implicit-def: $sgpr23
	s_delay_alu instid0(SALU_CYCLE_1)
	s_xor_b32 exec_lo, exec_lo, s22
	s_cbranch_execnz .LBB536_537
.LBB536_330:
	s_or_b32 exec_lo, exec_lo, s22
	v_mov_b32_e32 v8, s23
	s_and_saveexec_b32 s22, s21
.LBB536_331:
	v_lshrrev_b32_e32 v5, 8, v5
	s_delay_alu instid0(VALU_DEP_1)
	v_and_or_b32 v8, 0x80, v5, v6
.LBB536_332:
	s_or_b32 exec_lo, exec_lo, s22
.LBB536_333:
	s_delay_alu instid0(SALU_CYCLE_1)
	s_or_b32 exec_lo, exec_lo, s19
	s_mov_b32 s19, 0
	global_store_b8 v[0:1], v8, off
.LBB536_334:
	s_and_b32 vcc_lo, exec_lo, s19
	s_cbranch_vccz .LBB536_344
; %bb.335:
	v_lshlrev_b32_e32 v7, 16, v3
	v_and_b32_e32 v5, 0xffff, v3
	s_mov_b32 s19, exec_lo
                                        ; implicit-def: $vgpr6
	s_delay_alu instid0(VALU_DEP_2) | instskip(NEXT) | instid1(VALU_DEP_1)
	v_and_b32_e32 v8, 0x7fffffff, v7
	v_cmpx_gt_u32_e32 0x43f00000, v8
	s_xor_b32 s19, exec_lo, s19
	s_cbranch_execz .LBB536_341
; %bb.336:
	s_mov_b32 s21, exec_lo
                                        ; implicit-def: $vgpr6
	v_cmpx_lt_u32_e32 0x3c7fffff, v8
	s_xor_b32 s21, exec_lo, s21
; %bb.337:
	v_bfe_u32 v6, v5, 4, 1
	s_delay_alu instid0(VALU_DEP_1) | instskip(NEXT) | instid1(VALU_DEP_1)
	v_add3_u32 v6, v7, v6, 0x407ffff
	v_and_b32_e32 v7, 0xff00000, v6
	v_lshrrev_b32_e32 v6, 20, v6
	s_delay_alu instid0(VALU_DEP_2) | instskip(NEXT) | instid1(VALU_DEP_2)
	v_cmp_ne_u32_e32 vcc_lo, 0x7f00000, v7
                                        ; implicit-def: $vgpr7
	v_cndmask_b32_e32 v6, 0x7e, v6, vcc_lo
; %bb.338:
	s_and_not1_saveexec_b32 s21, s21
; %bb.339:
	v_add_f32_e64 v6, 0x46800000, |v7|
; %bb.340:
	s_or_b32 exec_lo, exec_lo, s21
                                        ; implicit-def: $vgpr8
.LBB536_341:
	s_and_not1_saveexec_b32 s19, s19
; %bb.342:
	v_mov_b32_e32 v6, 0x7f
	v_cmp_lt_u32_e32 vcc_lo, 0x7f800000, v8
	s_delay_alu instid0(VALU_DEP_2)
	v_cndmask_b32_e32 v6, 0x7e, v6, vcc_lo
; %bb.343:
	s_or_b32 exec_lo, exec_lo, s19
	v_lshrrev_b32_e32 v5, 8, v5
	s_delay_alu instid0(VALU_DEP_1)
	v_and_or_b32 v5, 0x80, v5, v6
	global_store_b8 v[0:1], v5, off
.LBB536_344:
	s_mov_b32 s19, 0
.LBB536_345:
	s_delay_alu instid0(SALU_CYCLE_1)
	s_and_not1_b32 vcc_lo, exec_lo, s19
	s_cbranch_vccnz .LBB536_355
; %bb.346:
	v_lshlrev_b32_e32 v7, 16, v3
	v_and_b32_e32 v5, 0xffff, v3
	s_mov_b32 s19, exec_lo
                                        ; implicit-def: $vgpr6
	s_delay_alu instid0(VALU_DEP_2) | instskip(NEXT) | instid1(VALU_DEP_1)
	v_and_b32_e32 v8, 0x7fffffff, v7
	v_cmpx_gt_u32_e32 0x47800000, v8
	s_xor_b32 s19, exec_lo, s19
	s_cbranch_execz .LBB536_352
; %bb.347:
	s_mov_b32 s21, exec_lo
                                        ; implicit-def: $vgpr6
	v_cmpx_lt_u32_e32 0x387fffff, v8
	s_xor_b32 s21, exec_lo, s21
; %bb.348:
	v_bfe_u32 v6, v5, 5, 1
	s_delay_alu instid0(VALU_DEP_1) | instskip(NEXT) | instid1(VALU_DEP_1)
	v_add3_u32 v6, v7, v6, 0x80fffff
                                        ; implicit-def: $vgpr7
	v_lshrrev_b32_e32 v6, 21, v6
; %bb.349:
	s_and_not1_saveexec_b32 s21, s21
; %bb.350:
	v_add_f32_e64 v6, 0x43000000, |v7|
; %bb.351:
	s_or_b32 exec_lo, exec_lo, s21
                                        ; implicit-def: $vgpr8
.LBB536_352:
	s_and_not1_saveexec_b32 s19, s19
; %bb.353:
	v_mov_b32_e32 v6, 0x7f
	v_cmp_lt_u32_e32 vcc_lo, 0x7f800000, v8
	s_delay_alu instid0(VALU_DEP_2)
	v_cndmask_b32_e32 v6, 0x7c, v6, vcc_lo
; %bb.354:
	s_or_b32 exec_lo, exec_lo, s19
	v_lshrrev_b32_e32 v5, 8, v5
	s_delay_alu instid0(VALU_DEP_1)
	v_and_or_b32 v5, 0x80, v5, v6
	global_store_b8 v[0:1], v5, off
.LBB536_355:
	s_mov_b32 s21, 0
	s_mov_b32 s19, -1
.LBB536_356:
	s_and_not1_b32 vcc_lo, exec_lo, s21
	s_cbranch_vccnz .LBB536_364
; %bb.357:
	v_cmp_lt_i16_e32 vcc_lo, 14, v4
	s_mov_b32 s21, -1
	s_cbranch_vccz .LBB536_361
; %bb.358:
	v_cmp_eq_u16_e32 vcc_lo, 15, v4
	s_mov_b32 s0, -1
	s_cbranch_vccz .LBB536_360
; %bb.359:
	s_mov_b32 s19, -1
	s_mov_b32 s0, 0
	global_store_b16 v[0:1], v3, off
.LBB536_360:
	s_mov_b32 s21, 0
.LBB536_361:
	s_delay_alu instid0(SALU_CYCLE_1)
	s_and_b32 vcc_lo, exec_lo, s21
	s_cbranch_vccz .LBB536_364
; %bb.362:
	v_cmp_eq_u16_e32 vcc_lo, 11, v4
	s_mov_b32 s0, -1
	s_cbranch_vccz .LBB536_364
; %bb.363:
	v_and_b32_e32 v5, 0x7fff, v3
	s_mov_b32 s0, 0
	s_mov_b32 s19, -1
	s_delay_alu instid0(VALU_DEP_1)
	v_cmp_ne_u16_e32 vcc_lo, 0, v5
	v_cndmask_b32_e64 v5, 0, 1, vcc_lo
	global_store_b8 v[0:1], v5, off
.LBB536_364:
	s_mov_b32 s21, 0
.LBB536_365:
	s_delay_alu instid0(SALU_CYCLE_1)
	s_and_b32 vcc_lo, exec_lo, s21
	s_cbranch_vccz .LBB536_404
; %bb.366:
	v_cmp_gt_i16_e32 vcc_lo, 5, v4
	s_mov_b32 s19, -1
	s_cbranch_vccnz .LBB536_387
; %bb.367:
	v_cmp_gt_i16_e32 vcc_lo, 8, v4
	s_cbranch_vccnz .LBB536_377
; %bb.368:
	v_cmp_gt_i16_e32 vcc_lo, 9, v4
	s_cbranch_vccnz .LBB536_374
; %bb.369:
	v_cmp_lt_i16_e32 vcc_lo, 9, v4
	s_cbranch_vccz .LBB536_371
; %bb.370:
	v_mov_b32_e32 v7, 0
	v_lshlrev_b32_e32 v5, 16, v3
	s_mov_b32 s19, 0
	s_delay_alu instid0(VALU_DEP_2) | instskip(NEXT) | instid1(VALU_DEP_2)
	v_mov_b32_e32 v8, v7
	v_cvt_f64_f32_e32 v[5:6], v5
	global_store_b128 v[0:1], v[5:8], off
.LBB536_371:
	s_and_not1_b32 vcc_lo, exec_lo, s19
	s_cbranch_vccnz .LBB536_373
; %bb.372:
	v_dual_mov_b32 v6, 0 :: v_dual_lshlrev_b32 v5, 16, v3
	global_store_b64 v[0:1], v[5:6], off
.LBB536_373:
	s_mov_b32 s19, 0
.LBB536_374:
	s_delay_alu instid0(SALU_CYCLE_1)
	s_and_not1_b32 vcc_lo, exec_lo, s19
	s_cbranch_vccnz .LBB536_376
; %bb.375:
	v_lshlrev_b32_e32 v5, 16, v3
	s_delay_alu instid0(VALU_DEP_1) | instskip(NEXT) | instid1(VALU_DEP_1)
	v_cvt_f16_f32_e32 v5, v5
	v_and_b32_e32 v5, 0xffff, v5
	global_store_b32 v[0:1], v5, off
.LBB536_376:
	s_mov_b32 s19, 0
.LBB536_377:
	s_delay_alu instid0(SALU_CYCLE_1)
	s_and_not1_b32 vcc_lo, exec_lo, s19
	s_cbranch_vccnz .LBB536_386
; %bb.378:
	v_cmp_gt_i16_e32 vcc_lo, 6, v4
	s_mov_b32 s19, -1
	s_cbranch_vccnz .LBB536_384
; %bb.379:
	v_cmp_lt_i16_e32 vcc_lo, 6, v4
	s_cbranch_vccz .LBB536_381
; %bb.380:
	v_lshlrev_b32_e32 v5, 16, v3
	s_mov_b32 s19, 0
	s_delay_alu instid0(VALU_DEP_1)
	v_cvt_f64_f32_e32 v[5:6], v5
	global_store_b64 v[0:1], v[5:6], off
.LBB536_381:
	s_and_not1_b32 vcc_lo, exec_lo, s19
	s_cbranch_vccnz .LBB536_383
; %bb.382:
	v_lshlrev_b32_e32 v5, 16, v3
	global_store_b32 v[0:1], v5, off
.LBB536_383:
	s_mov_b32 s19, 0
.LBB536_384:
	s_delay_alu instid0(SALU_CYCLE_1)
	s_and_not1_b32 vcc_lo, exec_lo, s19
	s_cbranch_vccnz .LBB536_386
; %bb.385:
	v_lshlrev_b32_e32 v5, 16, v3
	s_delay_alu instid0(VALU_DEP_1)
	v_cvt_f16_f32_e32 v5, v5
	global_store_b16 v[0:1], v5, off
.LBB536_386:
	s_mov_b32 s19, 0
.LBB536_387:
	s_delay_alu instid0(SALU_CYCLE_1)
	s_and_not1_b32 vcc_lo, exec_lo, s19
	s_cbranch_vccnz .LBB536_403
; %bb.388:
	v_cmp_gt_i16_e32 vcc_lo, 2, v4
	s_mov_b32 s19, -1
	s_cbranch_vccnz .LBB536_398
; %bb.389:
	v_cmp_gt_i16_e32 vcc_lo, 3, v4
	s_cbranch_vccnz .LBB536_395
; %bb.390:
	v_cmp_lt_i16_e32 vcc_lo, 3, v4
	s_cbranch_vccz .LBB536_392
; %bb.391:
	v_lshlrev_b32_e32 v5, 16, v3
	s_mov_b32 s19, 0
	s_delay_alu instid0(VALU_DEP_1) | instskip(NEXT) | instid1(VALU_DEP_1)
	v_trunc_f32_e32 v5, v5
	v_mul_f32_e64 v6, 0x2f800000, |v5|
	v_ashrrev_i32_e32 v8, 31, v5
	s_delay_alu instid0(VALU_DEP_2) | instskip(NEXT) | instid1(VALU_DEP_1)
	v_floor_f32_e32 v6, v6
	v_fma_f32 v7, 0xcf800000, v6, |v5|
	v_cvt_u32_f32_e32 v6, v6
	s_delay_alu instid0(VALU_DEP_2) | instskip(NEXT) | instid1(VALU_DEP_2)
	v_cvt_u32_f32_e32 v5, v7
	v_xor_b32_e32 v6, v6, v8
	s_delay_alu instid0(VALU_DEP_2) | instskip(NEXT) | instid1(VALU_DEP_1)
	v_xor_b32_e32 v5, v5, v8
	v_sub_co_u32 v5, vcc_lo, v5, v8
	s_delay_alu instid0(VALU_DEP_3)
	v_sub_co_ci_u32_e32 v6, vcc_lo, v6, v8, vcc_lo
	global_store_b64 v[0:1], v[5:6], off
.LBB536_392:
	s_and_not1_b32 vcc_lo, exec_lo, s19
	s_cbranch_vccnz .LBB536_394
; %bb.393:
	v_lshlrev_b32_e32 v5, 16, v3
	s_delay_alu instid0(VALU_DEP_1)
	v_cvt_i32_f32_e32 v5, v5
	global_store_b32 v[0:1], v5, off
.LBB536_394:
	s_mov_b32 s19, 0
.LBB536_395:
	s_delay_alu instid0(SALU_CYCLE_1)
	s_and_not1_b32 vcc_lo, exec_lo, s19
	s_cbranch_vccnz .LBB536_397
; %bb.396:
	v_lshlrev_b32_e32 v5, 16, v3
	s_delay_alu instid0(VALU_DEP_1)
	v_cvt_i32_f32_e32 v5, v5
	global_store_b16 v[0:1], v5, off
.LBB536_397:
	s_mov_b32 s19, 0
.LBB536_398:
	s_delay_alu instid0(SALU_CYCLE_1)
	s_and_not1_b32 vcc_lo, exec_lo, s19
	s_cbranch_vccnz .LBB536_403
; %bb.399:
	v_cmp_lt_i16_e32 vcc_lo, 0, v4
	s_mov_b32 s19, -1
	s_cbranch_vccz .LBB536_401
; %bb.400:
	v_lshlrev_b32_e32 v4, 16, v3
	s_mov_b32 s19, 0
	s_delay_alu instid0(VALU_DEP_1)
	v_cvt_i32_f32_e32 v4, v4
	global_store_b8 v[0:1], v4, off
.LBB536_401:
	s_and_not1_b32 vcc_lo, exec_lo, s19
	s_cbranch_vccnz .LBB536_403
; %bb.402:
	v_lshlrev_b32_e32 v3, 16, v3
	s_delay_alu instid0(VALU_DEP_1) | instskip(NEXT) | instid1(VALU_DEP_1)
	v_trunc_f32_e32 v3, v3
	v_mul_f32_e64 v4, 0x2f800000, |v3|
	s_delay_alu instid0(VALU_DEP_1) | instskip(NEXT) | instid1(VALU_DEP_1)
	v_floor_f32_e32 v4, v4
	v_fma_f32 v4, 0xcf800000, v4, |v3|
	v_ashrrev_i32_e32 v3, 31, v3
	s_delay_alu instid0(VALU_DEP_2) | instskip(NEXT) | instid1(VALU_DEP_1)
	v_cvt_u32_f32_e32 v4, v4
	v_xor_b32_e32 v4, v4, v3
	s_delay_alu instid0(VALU_DEP_1)
	v_sub_nc_u32_e32 v3, v4, v3
	global_store_b8 v[0:1], v3, off
.LBB536_403:
	s_mov_b32 s19, -1
.LBB536_404:
	s_delay_alu instid0(SALU_CYCLE_1)
	s_and_not1_b32 vcc_lo, exec_lo, s19
	s_cbranch_vccnz .LBB536_406
; %bb.405:
	v_add_nc_u32_e32 v2, 0x80, v2
	s_mov_b32 s21, -1
	s_branch .LBB536_519
.LBB536_406:
	s_mov_b32 s21, 0
	s_branch .LBB536_518
.LBB536_407:
	s_mov_b32 s18, -1
                                        ; implicit-def: $vgpr4
.LBB536_408:
	s_mov_b32 s19, 0
.LBB536_409:
	s_delay_alu instid0(SALU_CYCLE_1)
	s_and_b32 vcc_lo, exec_lo, s19
	s_cbranch_vccz .LBB536_413
; %bb.410:
	v_cmp_eq_u16_e64 s18, s3, 29
	s_delay_alu instid0(VALU_DEP_1)
	s_and_b32 vcc_lo, exec_lo, s18
	s_cbranch_vccz .LBB536_412
; %bb.411:
	global_load_b64 v[3:4], v[0:1], off
	s_mov_b32 s0, -1
	s_mov_b32 s18, 0
	s_mov_b32 s19, 0
	s_waitcnt vmcnt(0)
	v_clz_i32_u32_e32 v5, v4
	s_delay_alu instid0(VALU_DEP_1) | instskip(NEXT) | instid1(VALU_DEP_1)
	v_min_u32_e32 v5, 32, v5
	v_lshlrev_b64 v[3:4], v5, v[3:4]
	s_delay_alu instid0(VALU_DEP_1) | instskip(NEXT) | instid1(VALU_DEP_1)
	v_min_u32_e32 v3, 1, v3
	v_or_b32_e32 v3, v4, v3
	v_sub_nc_u32_e32 v4, 32, v5
	s_delay_alu instid0(VALU_DEP_2) | instskip(NEXT) | instid1(VALU_DEP_1)
	v_cvt_f32_u32_e32 v3, v3
	v_ldexp_f32 v3, v3, v4
	s_delay_alu instid0(VALU_DEP_1) | instskip(NEXT) | instid1(VALU_DEP_1)
	v_bfe_u32 v4, v3, 16, 1
	v_add3_u32 v3, v3, v4, 0x7fff
	s_delay_alu instid0(VALU_DEP_1)
	v_lshrrev_b32_e32 v4, 16, v3
	s_branch .LBB536_414
.LBB536_412:
	s_mov_b32 s18, -1
                                        ; implicit-def: $vgpr4
.LBB536_413:
	s_mov_b32 s19, 0
.LBB536_414:
	s_delay_alu instid0(SALU_CYCLE_1)
	s_and_b32 vcc_lo, exec_lo, s19
	s_cbranch_vccz .LBB536_432
; %bb.415:
	v_cmp_lt_i16_e64 s0, s3, 27
	s_delay_alu instid0(VALU_DEP_1)
	s_and_b32 vcc_lo, exec_lo, s0
	s_cbranch_vccnz .LBB536_418
; %bb.416:
	v_cmp_gt_i16_e64 s0, s3, 27
	s_delay_alu instid0(VALU_DEP_1)
	s_and_b32 vcc_lo, exec_lo, s0
	s_cbranch_vccz .LBB536_419
; %bb.417:
	global_load_b32 v3, v[0:1], off
	s_mov_b32 s0, 0
	s_waitcnt vmcnt(0)
	v_cvt_f32_u32_e32 v3, v3
	s_delay_alu instid0(VALU_DEP_1) | instskip(NEXT) | instid1(VALU_DEP_1)
	v_bfe_u32 v4, v3, 16, 1
	v_add3_u32 v3, v3, v4, 0x7fff
	s_delay_alu instid0(VALU_DEP_1)
	v_lshrrev_b32_e32 v4, 16, v3
	s_branch .LBB536_420
.LBB536_418:
	s_mov_b32 s0, -1
                                        ; implicit-def: $vgpr4
	s_branch .LBB536_423
.LBB536_419:
	s_mov_b32 s0, -1
                                        ; implicit-def: $vgpr4
.LBB536_420:
	s_delay_alu instid0(SALU_CYCLE_1)
	s_and_not1_b32 vcc_lo, exec_lo, s0
	s_cbranch_vccnz .LBB536_422
; %bb.421:
	global_load_u16 v3, v[0:1], off
	s_waitcnt vmcnt(0)
	v_cvt_f32_u32_e32 v3, v3
	s_delay_alu instid0(VALU_DEP_1) | instskip(NEXT) | instid1(VALU_DEP_1)
	v_bfe_u32 v4, v3, 16, 1
	v_add3_u32 v3, v3, v4, 0x7fff
	s_delay_alu instid0(VALU_DEP_1)
	v_lshrrev_b32_e32 v4, 16, v3
.LBB536_422:
	s_mov_b32 s0, 0
.LBB536_423:
	s_delay_alu instid0(SALU_CYCLE_1)
	s_and_not1_b32 vcc_lo, exec_lo, s0
	s_cbranch_vccnz .LBB536_431
; %bb.424:
	global_load_u8 v3, v[0:1], off
	s_mov_b32 s0, 0
	s_mov_b32 s21, exec_lo
                                        ; implicit-def: $sgpr19
	s_waitcnt vmcnt(0)
	v_cmpx_lt_i16_e32 0x7f, v3
	s_xor_b32 s21, exec_lo, s21
	s_cbranch_execz .LBB536_445
; %bb.425:
	s_mov_b32 s0, -1
	s_mov_b32 s22, exec_lo
                                        ; implicit-def: $sgpr19
	v_cmpx_eq_u16_e32 0x80, v3
; %bb.426:
	s_mov_b32 s19, 0x7f800001
	s_xor_b32 s0, exec_lo, -1
; %bb.427:
	s_or_b32 exec_lo, exec_lo, s22
	s_delay_alu instid0(SALU_CYCLE_1)
	s_and_b32 s0, s0, exec_lo
	s_or_saveexec_b32 s21, s21
	v_mov_b32_e32 v4, s19
	s_xor_b32 exec_lo, exec_lo, s21
	s_cbranch_execnz .LBB536_446
.LBB536_428:
	s_or_b32 exec_lo, exec_lo, s21
	s_and_saveexec_b32 s19, s0
	s_cbranch_execz .LBB536_430
.LBB536_429:
	v_and_b32_e32 v4, 0xffff, v3
	v_lshlrev_b32_e32 v3, 24, v3
	s_delay_alu instid0(VALU_DEP_2) | instskip(NEXT) | instid1(VALU_DEP_2)
	v_and_b32_e32 v5, 7, v4
	v_and_b32_e32 v3, 0x80000000, v3
	s_delay_alu instid0(VALU_DEP_2) | instskip(NEXT) | instid1(VALU_DEP_1)
	v_clz_i32_u32_e32 v6, v5
	v_min_u32_e32 v6, 32, v6
	s_delay_alu instid0(VALU_DEP_1) | instskip(SKIP_1) | instid1(VALU_DEP_2)
	v_subrev_nc_u32_e32 v7, 28, v6
	v_sub_nc_u32_e32 v6, 29, v6
	v_lshlrev_b32_e32 v7, v7, v4
	v_bfe_u32 v4, v4, 3, 4
	s_delay_alu instid0(VALU_DEP_2) | instskip(NEXT) | instid1(VALU_DEP_2)
	v_and_b32_e32 v7, 7, v7
	v_cmp_eq_u32_e32 vcc_lo, 0, v4
	s_delay_alu instid0(VALU_DEP_2) | instskip(NEXT) | instid1(VALU_DEP_1)
	v_dual_cndmask_b32 v4, v4, v6 :: v_dual_cndmask_b32 v5, v5, v7
	v_lshl_add_u32 v4, v4, 23, 0x3b800000
	s_delay_alu instid0(VALU_DEP_2) | instskip(NEXT) | instid1(VALU_DEP_1)
	v_lshlrev_b32_e32 v5, 20, v5
	v_or3_b32 v4, v3, v4, v5
.LBB536_430:
	s_or_b32 exec_lo, exec_lo, s19
	s_delay_alu instid0(VALU_DEP_1) | instskip(SKIP_1) | instid1(VALU_DEP_2)
	v_bfe_u32 v3, v4, 16, 1
	v_cmp_o_f32_e32 vcc_lo, v4, v4
	v_add3_u32 v3, v4, v3, 0x7fff
	s_delay_alu instid0(VALU_DEP_1) | instskip(NEXT) | instid1(VALU_DEP_1)
	v_lshrrev_b32_e32 v3, 16, v3
	v_cndmask_b32_e32 v4, 0x7fc0, v3, vcc_lo
.LBB536_431:
	s_mov_b32 s0, -1
.LBB536_432:
	s_mov_b32 s19, 0
.LBB536_433:
	s_delay_alu instid0(SALU_CYCLE_1)
	s_and_b32 vcc_lo, exec_lo, s19
	s_cbranch_vccz .LBB536_468
; %bb.434:
	v_cmp_gt_i16_e64 s19, s3, 22
	s_delay_alu instid0(VALU_DEP_1)
	s_and_b32 vcc_lo, exec_lo, s19
	s_cbranch_vccz .LBB536_444
; %bb.435:
	v_cmp_lt_i16_e64 s0, s3, 24
	s_delay_alu instid0(VALU_DEP_1)
	s_and_b32 vcc_lo, exec_lo, s0
	s_cbranch_vccnz .LBB536_447
; %bb.436:
	v_cmp_gt_i16_e64 s0, s3, 24
	s_delay_alu instid0(VALU_DEP_1)
	s_and_b32 vcc_lo, exec_lo, s0
	s_cbranch_vccz .LBB536_448
; %bb.437:
	global_load_u8 v3, v[0:1], off
	s_mov_b32 s0, 0
	s_mov_b32 s21, exec_lo
                                        ; implicit-def: $sgpr19
	s_waitcnt vmcnt(0)
	v_cmpx_lt_i16_e32 0x7f, v3
	s_xor_b32 s21, exec_lo, s21
	s_cbranch_execz .LBB536_460
; %bb.438:
	s_mov_b32 s0, -1
	s_mov_b32 s22, exec_lo
                                        ; implicit-def: $sgpr19
	v_cmpx_eq_u16_e32 0x80, v3
; %bb.439:
	s_mov_b32 s19, 0x7f800001
	s_xor_b32 s0, exec_lo, -1
; %bb.440:
	s_or_b32 exec_lo, exec_lo, s22
	s_delay_alu instid0(SALU_CYCLE_1)
	s_and_b32 s0, s0, exec_lo
	s_or_saveexec_b32 s21, s21
	v_mov_b32_e32 v4, s19
	s_xor_b32 exec_lo, exec_lo, s21
	s_cbranch_execnz .LBB536_461
.LBB536_441:
	s_or_b32 exec_lo, exec_lo, s21
	s_and_saveexec_b32 s19, s0
	s_cbranch_execz .LBB536_443
.LBB536_442:
	v_and_b32_e32 v4, 0xffff, v3
	v_lshlrev_b32_e32 v3, 24, v3
	s_delay_alu instid0(VALU_DEP_2) | instskip(NEXT) | instid1(VALU_DEP_2)
	v_and_b32_e32 v5, 3, v4
	v_and_b32_e32 v3, 0x80000000, v3
	s_delay_alu instid0(VALU_DEP_2) | instskip(NEXT) | instid1(VALU_DEP_1)
	v_clz_i32_u32_e32 v6, v5
	v_min_u32_e32 v6, 32, v6
	s_delay_alu instid0(VALU_DEP_1) | instskip(SKIP_1) | instid1(VALU_DEP_2)
	v_subrev_nc_u32_e32 v7, 29, v6
	v_sub_nc_u32_e32 v6, 30, v6
	v_lshlrev_b32_e32 v7, v7, v4
	v_bfe_u32 v4, v4, 2, 5
	s_delay_alu instid0(VALU_DEP_2) | instskip(NEXT) | instid1(VALU_DEP_2)
	v_and_b32_e32 v7, 3, v7
	v_cmp_eq_u32_e32 vcc_lo, 0, v4
	s_delay_alu instid0(VALU_DEP_2) | instskip(NEXT) | instid1(VALU_DEP_1)
	v_dual_cndmask_b32 v4, v4, v6 :: v_dual_cndmask_b32 v5, v5, v7
	v_lshl_add_u32 v4, v4, 23, 0x37800000
	s_delay_alu instid0(VALU_DEP_2) | instskip(NEXT) | instid1(VALU_DEP_1)
	v_lshlrev_b32_e32 v5, 21, v5
	v_or3_b32 v4, v3, v4, v5
.LBB536_443:
	s_or_b32 exec_lo, exec_lo, s19
	s_delay_alu instid0(VALU_DEP_1) | instskip(SKIP_2) | instid1(VALU_DEP_2)
	v_bfe_u32 v3, v4, 16, 1
	v_cmp_o_f32_e32 vcc_lo, v4, v4
	s_mov_b32 s0, 0
	v_add3_u32 v3, v4, v3, 0x7fff
	s_delay_alu instid0(VALU_DEP_1) | instskip(NEXT) | instid1(VALU_DEP_1)
	v_lshrrev_b32_e32 v3, 16, v3
	v_cndmask_b32_e32 v4, 0x7fc0, v3, vcc_lo
	s_branch .LBB536_449
.LBB536_444:
	s_mov_b32 s19, -1
                                        ; implicit-def: $vgpr4
	s_branch .LBB536_455
.LBB536_445:
	s_or_saveexec_b32 s21, s21
	v_mov_b32_e32 v4, s19
	s_xor_b32 exec_lo, exec_lo, s21
	s_cbranch_execz .LBB536_428
.LBB536_446:
	v_cmp_ne_u16_e32 vcc_lo, 0, v3
	v_mov_b32_e32 v4, 0
	s_and_not1_b32 s0, s0, exec_lo
	s_and_b32 s19, vcc_lo, exec_lo
	s_delay_alu instid0(SALU_CYCLE_1)
	s_or_b32 s0, s0, s19
	s_or_b32 exec_lo, exec_lo, s21
	s_and_saveexec_b32 s19, s0
	s_cbranch_execnz .LBB536_429
	s_branch .LBB536_430
.LBB536_447:
	s_mov_b32 s0, -1
                                        ; implicit-def: $vgpr4
	s_branch .LBB536_452
.LBB536_448:
	s_mov_b32 s0, -1
                                        ; implicit-def: $vgpr4
.LBB536_449:
	s_delay_alu instid0(SALU_CYCLE_1)
	s_and_b32 vcc_lo, exec_lo, s0
	s_cbranch_vccz .LBB536_451
; %bb.450:
	global_load_u8 v3, v[0:1], off
	s_waitcnt vmcnt(0)
	v_lshlrev_b32_e32 v3, 24, v3
	s_delay_alu instid0(VALU_DEP_1) | instskip(NEXT) | instid1(VALU_DEP_1)
	v_and_b32_e32 v4, 0x7f000000, v3
	v_clz_i32_u32_e32 v5, v4
	v_add_nc_u32_e32 v7, 0x1000000, v4
	v_cmp_ne_u32_e32 vcc_lo, 0, v4
	s_delay_alu instid0(VALU_DEP_3) | instskip(NEXT) | instid1(VALU_DEP_1)
	v_min_u32_e32 v5, 32, v5
	v_sub_nc_u32_e64 v5, v5, 4 clamp
	s_delay_alu instid0(VALU_DEP_1) | instskip(SKIP_1) | instid1(VALU_DEP_2)
	v_lshlrev_b32_e32 v6, v5, v4
	v_lshlrev_b32_e32 v5, 23, v5
	v_lshrrev_b32_e32 v6, 4, v6
	s_delay_alu instid0(VALU_DEP_1) | instskip(SKIP_1) | instid1(VALU_DEP_2)
	v_sub_nc_u32_e32 v5, v6, v5
	v_ashrrev_i32_e32 v6, 8, v7
	v_add_nc_u32_e32 v5, 0x3c000000, v5
	s_delay_alu instid0(VALU_DEP_1) | instskip(NEXT) | instid1(VALU_DEP_1)
	v_and_or_b32 v5, 0x7f800000, v6, v5
	v_cndmask_b32_e32 v4, 0, v5, vcc_lo
	s_delay_alu instid0(VALU_DEP_1) | instskip(SKIP_1) | instid1(VALU_DEP_2)
	v_and_or_b32 v3, 0x80000000, v3, v4
	v_bfe_u32 v4, v4, 16, 1
	v_cmp_o_f32_e32 vcc_lo, v3, v3
	s_delay_alu instid0(VALU_DEP_2) | instskip(NEXT) | instid1(VALU_DEP_1)
	v_add3_u32 v4, v3, v4, 0x7fff
	v_lshrrev_b32_e32 v4, 16, v4
	s_delay_alu instid0(VALU_DEP_1)
	v_cndmask_b32_e32 v4, 0x7fc0, v4, vcc_lo
.LBB536_451:
	s_mov_b32 s0, 0
.LBB536_452:
	s_delay_alu instid0(SALU_CYCLE_1)
	s_and_not1_b32 vcc_lo, exec_lo, s0
	s_cbranch_vccnz .LBB536_454
; %bb.453:
	global_load_u8 v3, v[0:1], off
	s_waitcnt vmcnt(0)
	v_lshlrev_b32_e32 v4, 25, v3
	v_lshlrev_b16 v3, 8, v3
	s_delay_alu instid0(VALU_DEP_2) | instskip(NEXT) | instid1(VALU_DEP_2)
	v_lshrrev_b32_e32 v5, 4, v4
	v_and_or_b32 v6, 0x7f00, v3, 0.5
	v_bfe_i32 v3, v3, 0, 16
	s_delay_alu instid0(VALU_DEP_3) | instskip(NEXT) | instid1(VALU_DEP_1)
	v_or_b32_e32 v5, 0x70000000, v5
	v_dual_add_f32 v6, -0.5, v6 :: v_dual_mul_f32 v5, 0x7800000, v5
	v_cmp_gt_u32_e32 vcc_lo, 0x8000000, v4
	s_delay_alu instid0(VALU_DEP_2) | instskip(NEXT) | instid1(VALU_DEP_1)
	v_cndmask_b32_e32 v4, v5, v6, vcc_lo
	v_and_or_b32 v3, 0x80000000, v3, v4
	v_bfe_u32 v4, v4, 16, 1
	s_delay_alu instid0(VALU_DEP_2) | instskip(NEXT) | instid1(VALU_DEP_2)
	v_cmp_o_f32_e32 vcc_lo, v3, v3
	v_add3_u32 v4, v3, v4, 0x7fff
	s_delay_alu instid0(VALU_DEP_1) | instskip(NEXT) | instid1(VALU_DEP_1)
	v_lshrrev_b32_e32 v4, 16, v4
	v_cndmask_b32_e32 v4, 0x7fc0, v4, vcc_lo
.LBB536_454:
	s_mov_b32 s19, 0
	s_mov_b32 s0, -1
.LBB536_455:
	s_and_not1_b32 vcc_lo, exec_lo, s19
	s_cbranch_vccnz .LBB536_468
; %bb.456:
	v_cmp_gt_i16_e64 s19, s3, 14
	s_delay_alu instid0(VALU_DEP_1)
	s_and_b32 vcc_lo, exec_lo, s19
	s_cbranch_vccz .LBB536_459
; %bb.457:
	v_cmp_eq_u16_e64 s18, s3, 15
	s_delay_alu instid0(VALU_DEP_1)
	s_and_b32 vcc_lo, exec_lo, s18
	s_cbranch_vccz .LBB536_462
; %bb.458:
	global_load_u16 v4, v[0:1], off
	s_mov_b32 s0, -1
	s_mov_b32 s18, 0
	s_branch .LBB536_463
.LBB536_459:
	s_mov_b32 s19, -1
                                        ; implicit-def: $vgpr4
	s_branch .LBB536_464
.LBB536_460:
	s_or_saveexec_b32 s21, s21
	v_mov_b32_e32 v4, s19
	s_xor_b32 exec_lo, exec_lo, s21
	s_cbranch_execz .LBB536_441
.LBB536_461:
	v_cmp_ne_u16_e32 vcc_lo, 0, v3
	v_mov_b32_e32 v4, 0
	s_and_not1_b32 s0, s0, exec_lo
	s_and_b32 s19, vcc_lo, exec_lo
	s_delay_alu instid0(SALU_CYCLE_1)
	s_or_b32 s0, s0, s19
	s_or_b32 exec_lo, exec_lo, s21
	s_and_saveexec_b32 s19, s0
	s_cbranch_execnz .LBB536_442
	s_branch .LBB536_443
.LBB536_462:
	s_mov_b32 s18, -1
                                        ; implicit-def: $vgpr4
.LBB536_463:
	s_mov_b32 s19, 0
.LBB536_464:
	s_delay_alu instid0(SALU_CYCLE_1)
	s_and_b32 vcc_lo, exec_lo, s19
	s_cbranch_vccz .LBB536_468
; %bb.465:
	v_cmp_eq_u16_e64 s18, s3, 11
	s_delay_alu instid0(VALU_DEP_1)
	s_and_b32 vcc_lo, exec_lo, s18
	s_cbranch_vccz .LBB536_467
; %bb.466:
	global_load_u8 v3, v[0:1], off
	s_mov_b32 s18, 0
	s_mov_b32 s0, -1
	s_waitcnt vmcnt(0)
	v_cmp_ne_u16_e32 vcc_lo, 0, v3
	v_cndmask_b32_e64 v3, 0, 1.0, vcc_lo
	s_delay_alu instid0(VALU_DEP_1)
	v_lshrrev_b32_e32 v4, 16, v3
	s_branch .LBB536_468
.LBB536_467:
	s_mov_b32 s18, -1
                                        ; implicit-def: $vgpr4
.LBB536_468:
	s_branch .LBB536_266
.LBB536_469:
	v_cmp_lt_i16_e64 s0, s3, 5
	s_delay_alu instid0(VALU_DEP_1)
	s_and_b32 vcc_lo, exec_lo, s0
	s_cbranch_vccnz .LBB536_474
; %bb.470:
	v_cmp_lt_i16_e64 s0, s3, 8
	s_delay_alu instid0(VALU_DEP_1)
	s_and_b32 vcc_lo, exec_lo, s0
	s_cbranch_vccnz .LBB536_475
; %bb.471:
	;; [unrolled: 5-line block ×3, first 2 shown]
	v_cmp_gt_i16_e64 s0, s3, 9
	s_delay_alu instid0(VALU_DEP_1)
	s_and_b32 vcc_lo, exec_lo, s0
	s_cbranch_vccz .LBB536_477
; %bb.473:
	global_load_b64 v[3:4], v[0:1], off
	s_mov_b32 s0, 0
	s_waitcnt vmcnt(0)
	v_cvt_f32_f64_e32 v3, v[3:4]
	s_delay_alu instid0(VALU_DEP_1) | instskip(SKIP_1) | instid1(VALU_DEP_2)
	v_bfe_u32 v4, v3, 16, 1
	v_cmp_o_f32_e32 vcc_lo, v3, v3
	v_add3_u32 v4, v3, v4, 0x7fff
	s_delay_alu instid0(VALU_DEP_1) | instskip(NEXT) | instid1(VALU_DEP_1)
	v_lshrrev_b32_e32 v4, 16, v4
	v_cndmask_b32_e32 v4, 0x7fc0, v4, vcc_lo
	s_branch .LBB536_478
.LBB536_474:
	s_mov_b32 s0, -1
                                        ; implicit-def: $vgpr4
	s_branch .LBB536_496
.LBB536_475:
	s_mov_b32 s0, -1
                                        ; implicit-def: $vgpr4
	s_branch .LBB536_484
.LBB536_476:
	s_mov_b32 s0, -1
                                        ; implicit-def: $vgpr4
	s_branch .LBB536_481
.LBB536_477:
	s_mov_b32 s0, -1
                                        ; implicit-def: $vgpr4
.LBB536_478:
	s_delay_alu instid0(SALU_CYCLE_1)
	s_and_not1_b32 vcc_lo, exec_lo, s0
	s_cbranch_vccnz .LBB536_480
; %bb.479:
	global_load_b32 v3, v[0:1], off
	s_waitcnt vmcnt(0)
	v_bfe_u32 v4, v3, 16, 1
	v_cmp_o_f32_e32 vcc_lo, v3, v3
	s_delay_alu instid0(VALU_DEP_2) | instskip(NEXT) | instid1(VALU_DEP_1)
	v_add3_u32 v4, v3, v4, 0x7fff
	v_lshrrev_b32_e32 v4, 16, v4
	s_delay_alu instid0(VALU_DEP_1)
	v_cndmask_b32_e32 v4, 0x7fc0, v4, vcc_lo
.LBB536_480:
	s_mov_b32 s0, 0
.LBB536_481:
	s_delay_alu instid0(SALU_CYCLE_1)
	s_and_not1_b32 vcc_lo, exec_lo, s0
	s_cbranch_vccnz .LBB536_483
; %bb.482:
	global_load_b32 v3, v[0:1], off
	s_waitcnt vmcnt(0)
	v_cvt_f32_f16_e32 v4, v3
	v_cmp_o_f16_e32 vcc_lo, v3, v3
	s_delay_alu instid0(VALU_DEP_2) | instskip(NEXT) | instid1(VALU_DEP_1)
	v_bfe_u32 v5, v4, 16, 1
	v_add3_u32 v4, v4, v5, 0x7fff
	s_delay_alu instid0(VALU_DEP_1) | instskip(NEXT) | instid1(VALU_DEP_1)
	v_lshrrev_b32_e32 v4, 16, v4
	v_cndmask_b32_e32 v4, 0x7fc0, v4, vcc_lo
.LBB536_483:
	s_mov_b32 s0, 0
.LBB536_484:
	s_delay_alu instid0(SALU_CYCLE_1)
	s_and_not1_b32 vcc_lo, exec_lo, s0
	s_cbranch_vccnz .LBB536_495
; %bb.485:
	v_cmp_lt_i16_e64 s0, s3, 6
	s_delay_alu instid0(VALU_DEP_1)
	s_and_b32 vcc_lo, exec_lo, s0
	s_cbranch_vccnz .LBB536_488
; %bb.486:
	v_cmp_gt_i16_e64 s0, s3, 6
	s_delay_alu instid0(VALU_DEP_1)
	s_and_b32 vcc_lo, exec_lo, s0
	s_cbranch_vccz .LBB536_489
; %bb.487:
	global_load_b64 v[3:4], v[0:1], off
	s_mov_b32 s0, 0
	s_waitcnt vmcnt(0)
	v_cvt_f32_f64_e32 v3, v[3:4]
	s_delay_alu instid0(VALU_DEP_1) | instskip(SKIP_1) | instid1(VALU_DEP_2)
	v_bfe_u32 v4, v3, 16, 1
	v_cmp_o_f32_e32 vcc_lo, v3, v3
	v_add3_u32 v4, v3, v4, 0x7fff
	s_delay_alu instid0(VALU_DEP_1) | instskip(NEXT) | instid1(VALU_DEP_1)
	v_lshrrev_b32_e32 v4, 16, v4
	v_cndmask_b32_e32 v4, 0x7fc0, v4, vcc_lo
	s_branch .LBB536_490
.LBB536_488:
	s_mov_b32 s0, -1
                                        ; implicit-def: $vgpr4
	s_branch .LBB536_493
.LBB536_489:
	s_mov_b32 s0, -1
                                        ; implicit-def: $vgpr4
.LBB536_490:
	s_delay_alu instid0(SALU_CYCLE_1)
	s_and_not1_b32 vcc_lo, exec_lo, s0
	s_cbranch_vccnz .LBB536_492
; %bb.491:
	global_load_b32 v3, v[0:1], off
	s_waitcnt vmcnt(0)
	v_bfe_u32 v4, v3, 16, 1
	v_cmp_o_f32_e32 vcc_lo, v3, v3
	s_delay_alu instid0(VALU_DEP_2) | instskip(NEXT) | instid1(VALU_DEP_1)
	v_add3_u32 v4, v3, v4, 0x7fff
	v_lshrrev_b32_e32 v4, 16, v4
	s_delay_alu instid0(VALU_DEP_1)
	v_cndmask_b32_e32 v4, 0x7fc0, v4, vcc_lo
.LBB536_492:
	s_mov_b32 s0, 0
.LBB536_493:
	s_delay_alu instid0(SALU_CYCLE_1)
	s_and_not1_b32 vcc_lo, exec_lo, s0
	s_cbranch_vccnz .LBB536_495
; %bb.494:
	global_load_u16 v3, v[0:1], off
	s_waitcnt vmcnt(0)
	v_cvt_f32_f16_e32 v4, v3
	v_cmp_o_f16_e32 vcc_lo, v3, v3
	s_delay_alu instid0(VALU_DEP_2) | instskip(NEXT) | instid1(VALU_DEP_1)
	v_bfe_u32 v5, v4, 16, 1
	v_add3_u32 v4, v4, v5, 0x7fff
	s_delay_alu instid0(VALU_DEP_1) | instskip(NEXT) | instid1(VALU_DEP_1)
	v_lshrrev_b32_e32 v4, 16, v4
	v_cndmask_b32_e32 v4, 0x7fc0, v4, vcc_lo
.LBB536_495:
	s_mov_b32 s0, 0
.LBB536_496:
	s_delay_alu instid0(SALU_CYCLE_1)
	s_and_not1_b32 vcc_lo, exec_lo, s0
	s_cbranch_vccnz .LBB536_516
; %bb.497:
	v_cmp_lt_i16_e64 s0, s3, 2
	s_delay_alu instid0(VALU_DEP_1)
	s_and_b32 vcc_lo, exec_lo, s0
	s_cbranch_vccnz .LBB536_501
; %bb.498:
	v_cmp_lt_i16_e64 s0, s3, 3
	s_delay_alu instid0(VALU_DEP_1)
	s_and_b32 vcc_lo, exec_lo, s0
	s_cbranch_vccnz .LBB536_502
; %bb.499:
	v_cmp_gt_i16_e64 s0, s3, 3
	s_delay_alu instid0(VALU_DEP_1)
	s_and_b32 vcc_lo, exec_lo, s0
	s_cbranch_vccz .LBB536_503
; %bb.500:
	global_load_b64 v[3:4], v[0:1], off
	s_mov_b32 s0, 0
	s_waitcnt vmcnt(0)
	v_xor_b32_e32 v5, v3, v4
	v_cls_i32_e32 v6, v4
	s_delay_alu instid0(VALU_DEP_2) | instskip(NEXT) | instid1(VALU_DEP_2)
	v_ashrrev_i32_e32 v5, 31, v5
	v_add_nc_u32_e32 v6, -1, v6
	s_delay_alu instid0(VALU_DEP_2) | instskip(NEXT) | instid1(VALU_DEP_1)
	v_add_nc_u32_e32 v5, 32, v5
	v_min_u32_e32 v5, v6, v5
	s_delay_alu instid0(VALU_DEP_1) | instskip(NEXT) | instid1(VALU_DEP_1)
	v_lshlrev_b64 v[3:4], v5, v[3:4]
	v_min_u32_e32 v3, 1, v3
	s_delay_alu instid0(VALU_DEP_1) | instskip(SKIP_1) | instid1(VALU_DEP_2)
	v_or_b32_e32 v3, v4, v3
	v_sub_nc_u32_e32 v4, 32, v5
	v_cvt_f32_i32_e32 v3, v3
	s_delay_alu instid0(VALU_DEP_1) | instskip(NEXT) | instid1(VALU_DEP_1)
	v_ldexp_f32 v3, v3, v4
	v_bfe_u32 v4, v3, 16, 1
	s_delay_alu instid0(VALU_DEP_1) | instskip(NEXT) | instid1(VALU_DEP_1)
	v_add3_u32 v3, v3, v4, 0x7fff
	v_lshrrev_b32_e32 v4, 16, v3
	s_branch .LBB536_504
.LBB536_501:
	s_mov_b32 s0, -1
                                        ; implicit-def: $vgpr4
	s_branch .LBB536_510
.LBB536_502:
	s_mov_b32 s0, -1
                                        ; implicit-def: $vgpr4
	s_branch .LBB536_507
.LBB536_503:
	s_mov_b32 s0, -1
                                        ; implicit-def: $vgpr4
.LBB536_504:
	s_delay_alu instid0(SALU_CYCLE_1)
	s_and_not1_b32 vcc_lo, exec_lo, s0
	s_cbranch_vccnz .LBB536_506
; %bb.505:
	global_load_b32 v3, v[0:1], off
	s_waitcnt vmcnt(0)
	v_cvt_f32_i32_e32 v3, v3
	s_delay_alu instid0(VALU_DEP_1) | instskip(NEXT) | instid1(VALU_DEP_1)
	v_bfe_u32 v4, v3, 16, 1
	v_add3_u32 v3, v3, v4, 0x7fff
	s_delay_alu instid0(VALU_DEP_1)
	v_lshrrev_b32_e32 v4, 16, v3
.LBB536_506:
	s_mov_b32 s0, 0
.LBB536_507:
	s_delay_alu instid0(SALU_CYCLE_1)
	s_and_not1_b32 vcc_lo, exec_lo, s0
	s_cbranch_vccnz .LBB536_509
; %bb.508:
	global_load_i16 v3, v[0:1], off
	s_waitcnt vmcnt(0)
	v_cvt_f32_i32_e32 v3, v3
	s_delay_alu instid0(VALU_DEP_1) | instskip(NEXT) | instid1(VALU_DEP_1)
	v_bfe_u32 v4, v3, 16, 1
	v_add3_u32 v3, v3, v4, 0x7fff
	s_delay_alu instid0(VALU_DEP_1)
	v_lshrrev_b32_e32 v4, 16, v3
.LBB536_509:
	s_mov_b32 s0, 0
.LBB536_510:
	s_delay_alu instid0(SALU_CYCLE_1)
	s_and_not1_b32 vcc_lo, exec_lo, s0
	s_cbranch_vccnz .LBB536_516
; %bb.511:
	v_cmp_gt_i16_e64 s0, s3, 0
	s_delay_alu instid0(VALU_DEP_1)
	s_and_b32 vcc_lo, exec_lo, s0
	s_mov_b32 s0, 0
	s_cbranch_vccz .LBB536_513
; %bb.512:
	global_load_i8 v3, v[0:1], off
	s_waitcnt vmcnt(0)
	v_cvt_f32_i32_e32 v3, v3
	s_delay_alu instid0(VALU_DEP_1) | instskip(NEXT) | instid1(VALU_DEP_1)
	v_bfe_u32 v4, v3, 16, 1
	v_add3_u32 v3, v3, v4, 0x7fff
	s_delay_alu instid0(VALU_DEP_1)
	v_lshrrev_b32_e32 v4, 16, v3
	s_branch .LBB536_514
.LBB536_513:
	s_mov_b32 s0, -1
                                        ; implicit-def: $vgpr4
.LBB536_514:
	s_delay_alu instid0(SALU_CYCLE_1)
	s_and_not1_b32 vcc_lo, exec_lo, s0
	s_cbranch_vccnz .LBB536_516
; %bb.515:
	global_load_u8 v0, v[0:1], off
	s_waitcnt vmcnt(0)
	v_cvt_f32_ubyte0_e32 v0, v0
	s_delay_alu instid0(VALU_DEP_1) | instskip(NEXT) | instid1(VALU_DEP_1)
	v_bfe_u32 v1, v0, 16, 1
	v_add3_u32 v0, v0, v1, 0x7fff
	s_delay_alu instid0(VALU_DEP_1)
	v_lshrrev_b32_e32 v4, 16, v0
.LBB536_516:
	s_branch .LBB536_267
.LBB536_517:
	s_mov_b32 s21, 0
	s_mov_b32 s0, s14
.LBB536_518:
                                        ; implicit-def: $vgpr2
.LBB536_519:
	s_and_not1_b32 s19, s14, exec_lo
	s_and_b32 s0, s0, exec_lo
	s_and_not1_b32 s22, s15, exec_lo
	s_and_b32 s18, s18, exec_lo
	s_or_b32 s19, s19, s0
	s_or_b32 s18, s22, s18
	s_or_not1_b32 s0, s21, exec_lo
.LBB536_520:
	s_or_b32 exec_lo, exec_lo, s20
	s_mov_b32 s21, 0
	s_mov_b32 s22, 0
	;; [unrolled: 1-line block ×3, first 2 shown]
                                        ; implicit-def: $vgpr0_vgpr1
                                        ; implicit-def: $vgpr5
	s_and_saveexec_b32 s20, s0
	s_cbranch_execz .LBB536_871
; %bb.521:
	s_mov_b32 s23, -1
	s_mov_b32 s0, s18
	s_mov_b32 s22, s19
	s_mov_b32 s21, exec_lo
	v_cmpx_gt_i32_e64 s16, v2
	s_cbranch_execz .LBB536_785
; %bb.522:
	v_mul_lo_u32 v0, v2, s9
	v_cmp_lt_i16_e64 s0, s3, 11
	s_delay_alu instid0(VALU_DEP_2) | instskip(SKIP_1) | instid1(VALU_DEP_2)
	v_ashrrev_i32_e32 v1, 31, v0
	v_add_co_u32 v0, vcc_lo, s6, v0
	v_add_co_ci_u32_e32 v1, vcc_lo, s7, v1, vcc_lo
	s_delay_alu instid0(VALU_DEP_4)
	s_and_b32 vcc_lo, exec_lo, s0
	s_cbranch_vccnz .LBB536_529
; %bb.523:
	v_cmp_gt_i16_e64 s0, s3, 25
	s_delay_alu instid0(VALU_DEP_1)
	s_and_b32 vcc_lo, exec_lo, s0
	s_cbranch_vccz .LBB536_530
; %bb.524:
	v_cmp_gt_i16_e64 s0, s3, 28
	s_delay_alu instid0(VALU_DEP_1)
	s_and_b32 vcc_lo, exec_lo, s0
	s_cbranch_vccz .LBB536_531
	;; [unrolled: 5-line block ×4, first 2 shown]
; %bb.527:
	v_cmp_eq_u16_e64 s0, s3, 46
	s_mov_b32 s23, 0
	s_delay_alu instid0(VALU_DEP_1)
	s_and_b32 vcc_lo, exec_lo, s0
	s_cbranch_vccz .LBB536_538
; %bb.528:
	global_load_b32 v4, v[0:1], off
	s_mov_b32 s0, -1
	s_mov_b32 s22, 0
	s_branch .LBB536_540
.LBB536_529:
	s_mov_b32 s0, 0
	s_mov_b32 s22, s18
                                        ; implicit-def: $vgpr4
	s_branch .LBB536_605
.LBB536_530:
	s_mov_b32 s0, 0
	s_mov_b32 s22, s18
                                        ; implicit-def: $vgpr4
	s_branch .LBB536_569
.LBB536_531:
	s_mov_b32 s0, 0
	s_mov_b32 s22, s18
                                        ; implicit-def: $vgpr4
	s_branch .LBB536_550
.LBB536_532:
	s_mov_b32 s0, 0
	s_mov_b32 s22, s18
                                        ; implicit-def: $vgpr4
	s_branch .LBB536_545
.LBB536_533:
	s_or_saveexec_b32 s22, s22
                                        ; implicit-def: $sgpr23
	s_delay_alu instid0(SALU_CYCLE_1)
	s_xor_b32 exec_lo, exec_lo, s22
	s_cbranch_execz .LBB536_317
.LBB536_534:
	v_add_f32_e64 v6, 0x46000000, |v7|
	s_and_not1_b32 s21, s21, exec_lo
	s_mov_b32 s23, 0
	s_delay_alu instid0(VALU_DEP_1) | instskip(NEXT) | instid1(VALU_DEP_1)
	v_and_b32_e32 v6, 0xff, v6
	v_cmp_ne_u32_e32 vcc_lo, 0, v6
	s_and_b32 s24, vcc_lo, exec_lo
	s_delay_alu instid0(SALU_CYCLE_1)
	s_or_b32 s21, s21, s24
	s_or_b32 exec_lo, exec_lo, s22
	v_mov_b32_e32 v8, s23
	s_and_saveexec_b32 s22, s21
	s_cbranch_execnz .LBB536_318
	s_branch .LBB536_319
.LBB536_535:
	s_mov_b32 s0, 0
	s_mov_b32 s22, s18
	s_branch .LBB536_539
.LBB536_536:
	s_or_saveexec_b32 s22, s22
                                        ; implicit-def: $sgpr23
	s_delay_alu instid0(SALU_CYCLE_1)
	s_xor_b32 exec_lo, exec_lo, s22
	s_cbranch_execz .LBB536_330
.LBB536_537:
	v_add_f32_e64 v6, 0x42800000, |v7|
	s_and_not1_b32 s21, s21, exec_lo
	s_mov_b32 s23, 0
	s_delay_alu instid0(VALU_DEP_1) | instskip(NEXT) | instid1(VALU_DEP_1)
	v_and_b32_e32 v6, 0xff, v6
	v_cmp_ne_u32_e32 vcc_lo, 0, v6
	s_and_b32 s24, vcc_lo, exec_lo
	s_delay_alu instid0(SALU_CYCLE_1)
	s_or_b32 s21, s21, s24
	s_or_b32 exec_lo, exec_lo, s22
	v_mov_b32_e32 v8, s23
	s_and_saveexec_b32 s22, s21
	s_cbranch_execnz .LBB536_331
	s_branch .LBB536_332
.LBB536_538:
	s_mov_b32 s22, -1
	s_mov_b32 s0, 0
.LBB536_539:
                                        ; implicit-def: $vgpr4
.LBB536_540:
	s_and_b32 vcc_lo, exec_lo, s23
	s_cbranch_vccz .LBB536_544
; %bb.541:
	v_cmp_eq_u16_e64 s22, s3, 44
	s_delay_alu instid0(VALU_DEP_1)
	s_and_b32 vcc_lo, exec_lo, s22
	s_cbranch_vccz .LBB536_543
; %bb.542:
	global_load_u8 v3, v[0:1], off
	s_mov_b32 s22, 0
	s_mov_b32 s0, -1
	s_waitcnt vmcnt(0)
	v_lshlrev_b32_e32 v4, 23, v3
	v_cmp_ne_u32_e32 vcc_lo, 0xff, v3
	s_delay_alu instid0(VALU_DEP_2) | instskip(SKIP_1) | instid1(VALU_DEP_2)
	v_cndmask_b32_e32 v4, 0x7f800001, v4, vcc_lo
	v_cmp_ne_u32_e32 vcc_lo, 0, v3
	v_cndmask_b32_e32 v3, 0x400000, v4, vcc_lo
	s_delay_alu instid0(VALU_DEP_1) | instskip(SKIP_1) | instid1(VALU_DEP_2)
	v_add_nc_u32_e32 v4, 0x7fff, v3
	v_cmp_o_f32_e32 vcc_lo, v3, v3
	v_lshrrev_b32_e32 v4, 16, v4
	s_delay_alu instid0(VALU_DEP_1)
	v_cndmask_b32_e32 v4, 0x7fc0, v4, vcc_lo
	s_branch .LBB536_544
.LBB536_543:
	s_mov_b32 s22, -1
                                        ; implicit-def: $vgpr4
.LBB536_544:
	s_mov_b32 s23, 0
.LBB536_545:
	s_delay_alu instid0(SALU_CYCLE_1)
	s_and_b32 vcc_lo, exec_lo, s23
	s_cbranch_vccz .LBB536_549
; %bb.546:
	v_cmp_eq_u16_e64 s22, s3, 29
	s_delay_alu instid0(VALU_DEP_1)
	s_and_b32 vcc_lo, exec_lo, s22
	s_cbranch_vccz .LBB536_548
; %bb.547:
	global_load_b64 v[3:4], v[0:1], off
	s_mov_b32 s0, -1
	s_mov_b32 s22, 0
	s_mov_b32 s23, 0
	s_waitcnt vmcnt(0)
	v_clz_i32_u32_e32 v5, v4
	s_delay_alu instid0(VALU_DEP_1) | instskip(NEXT) | instid1(VALU_DEP_1)
	v_min_u32_e32 v5, 32, v5
	v_lshlrev_b64 v[3:4], v5, v[3:4]
	s_delay_alu instid0(VALU_DEP_1) | instskip(NEXT) | instid1(VALU_DEP_1)
	v_min_u32_e32 v3, 1, v3
	v_or_b32_e32 v3, v4, v3
	v_sub_nc_u32_e32 v4, 32, v5
	s_delay_alu instid0(VALU_DEP_2) | instskip(NEXT) | instid1(VALU_DEP_1)
	v_cvt_f32_u32_e32 v3, v3
	v_ldexp_f32 v3, v3, v4
	s_delay_alu instid0(VALU_DEP_1) | instskip(NEXT) | instid1(VALU_DEP_1)
	v_bfe_u32 v4, v3, 16, 1
	v_add3_u32 v3, v3, v4, 0x7fff
	s_delay_alu instid0(VALU_DEP_1)
	v_lshrrev_b32_e32 v4, 16, v3
	s_branch .LBB536_550
.LBB536_548:
	s_mov_b32 s22, -1
                                        ; implicit-def: $vgpr4
.LBB536_549:
	s_mov_b32 s23, 0
.LBB536_550:
	s_delay_alu instid0(SALU_CYCLE_1)
	s_and_b32 vcc_lo, exec_lo, s23
	s_cbranch_vccz .LBB536_568
; %bb.551:
	v_cmp_lt_i16_e64 s0, s3, 27
	s_delay_alu instid0(VALU_DEP_1)
	s_and_b32 vcc_lo, exec_lo, s0
	s_cbranch_vccnz .LBB536_554
; %bb.552:
	v_cmp_gt_i16_e64 s0, s3, 27
	s_delay_alu instid0(VALU_DEP_1)
	s_and_b32 vcc_lo, exec_lo, s0
	s_cbranch_vccz .LBB536_555
; %bb.553:
	global_load_b32 v3, v[0:1], off
	s_mov_b32 s0, 0
	s_waitcnt vmcnt(0)
	v_cvt_f32_u32_e32 v3, v3
	s_delay_alu instid0(VALU_DEP_1) | instskip(NEXT) | instid1(VALU_DEP_1)
	v_bfe_u32 v4, v3, 16, 1
	v_add3_u32 v3, v3, v4, 0x7fff
	s_delay_alu instid0(VALU_DEP_1)
	v_lshrrev_b32_e32 v4, 16, v3
	s_branch .LBB536_556
.LBB536_554:
	s_mov_b32 s0, -1
                                        ; implicit-def: $vgpr4
	s_branch .LBB536_559
.LBB536_555:
	s_mov_b32 s0, -1
                                        ; implicit-def: $vgpr4
.LBB536_556:
	s_delay_alu instid0(SALU_CYCLE_1)
	s_and_not1_b32 vcc_lo, exec_lo, s0
	s_cbranch_vccnz .LBB536_558
; %bb.557:
	global_load_u16 v3, v[0:1], off
	s_waitcnt vmcnt(0)
	v_cvt_f32_u32_e32 v3, v3
	s_delay_alu instid0(VALU_DEP_1) | instskip(NEXT) | instid1(VALU_DEP_1)
	v_bfe_u32 v4, v3, 16, 1
	v_add3_u32 v3, v3, v4, 0x7fff
	s_delay_alu instid0(VALU_DEP_1)
	v_lshrrev_b32_e32 v4, 16, v3
.LBB536_558:
	s_mov_b32 s0, 0
.LBB536_559:
	s_delay_alu instid0(SALU_CYCLE_1)
	s_and_not1_b32 vcc_lo, exec_lo, s0
	s_cbranch_vccnz .LBB536_567
; %bb.560:
	global_load_u8 v3, v[0:1], off
	s_mov_b32 s0, 0
	s_mov_b32 s24, exec_lo
                                        ; implicit-def: $sgpr23
	s_waitcnt vmcnt(0)
	v_cmpx_lt_i16_e32 0x7f, v3
	s_xor_b32 s24, exec_lo, s24
	s_cbranch_execz .LBB536_581
; %bb.561:
	s_mov_b32 s0, -1
	s_mov_b32 s25, exec_lo
                                        ; implicit-def: $sgpr23
	v_cmpx_eq_u16_e32 0x80, v3
; %bb.562:
	s_mov_b32 s23, 0x7f800001
	s_xor_b32 s0, exec_lo, -1
; %bb.563:
	s_or_b32 exec_lo, exec_lo, s25
	s_delay_alu instid0(SALU_CYCLE_1)
	s_and_b32 s0, s0, exec_lo
	s_or_saveexec_b32 s24, s24
	v_mov_b32_e32 v4, s23
	s_xor_b32 exec_lo, exec_lo, s24
	s_cbranch_execnz .LBB536_582
.LBB536_564:
	s_or_b32 exec_lo, exec_lo, s24
	s_and_saveexec_b32 s23, s0
	s_cbranch_execz .LBB536_566
.LBB536_565:
	v_and_b32_e32 v4, 0xffff, v3
	v_lshlrev_b32_e32 v3, 24, v3
	s_delay_alu instid0(VALU_DEP_2) | instskip(NEXT) | instid1(VALU_DEP_2)
	v_and_b32_e32 v5, 7, v4
	v_and_b32_e32 v3, 0x80000000, v3
	s_delay_alu instid0(VALU_DEP_2) | instskip(NEXT) | instid1(VALU_DEP_1)
	v_clz_i32_u32_e32 v6, v5
	v_min_u32_e32 v6, 32, v6
	s_delay_alu instid0(VALU_DEP_1) | instskip(SKIP_1) | instid1(VALU_DEP_2)
	v_subrev_nc_u32_e32 v7, 28, v6
	v_sub_nc_u32_e32 v6, 29, v6
	v_lshlrev_b32_e32 v7, v7, v4
	v_bfe_u32 v4, v4, 3, 4
	s_delay_alu instid0(VALU_DEP_2) | instskip(NEXT) | instid1(VALU_DEP_2)
	v_and_b32_e32 v7, 7, v7
	v_cmp_eq_u32_e32 vcc_lo, 0, v4
	s_delay_alu instid0(VALU_DEP_2) | instskip(NEXT) | instid1(VALU_DEP_1)
	v_dual_cndmask_b32 v4, v4, v6 :: v_dual_cndmask_b32 v5, v5, v7
	v_lshl_add_u32 v4, v4, 23, 0x3b800000
	s_delay_alu instid0(VALU_DEP_2) | instskip(NEXT) | instid1(VALU_DEP_1)
	v_lshlrev_b32_e32 v5, 20, v5
	v_or3_b32 v4, v3, v4, v5
.LBB536_566:
	s_or_b32 exec_lo, exec_lo, s23
	s_delay_alu instid0(VALU_DEP_1) | instskip(SKIP_1) | instid1(VALU_DEP_2)
	v_bfe_u32 v3, v4, 16, 1
	v_cmp_o_f32_e32 vcc_lo, v4, v4
	v_add3_u32 v3, v4, v3, 0x7fff
	s_delay_alu instid0(VALU_DEP_1) | instskip(NEXT) | instid1(VALU_DEP_1)
	v_lshrrev_b32_e32 v3, 16, v3
	v_cndmask_b32_e32 v4, 0x7fc0, v3, vcc_lo
.LBB536_567:
	s_mov_b32 s0, -1
.LBB536_568:
	s_mov_b32 s23, 0
.LBB536_569:
	s_delay_alu instid0(SALU_CYCLE_1)
	s_and_b32 vcc_lo, exec_lo, s23
	s_cbranch_vccz .LBB536_604
; %bb.570:
	v_cmp_gt_i16_e64 s23, s3, 22
	s_delay_alu instid0(VALU_DEP_1)
	s_and_b32 vcc_lo, exec_lo, s23
	s_cbranch_vccz .LBB536_580
; %bb.571:
	v_cmp_lt_i16_e64 s0, s3, 24
	s_delay_alu instid0(VALU_DEP_1)
	s_and_b32 vcc_lo, exec_lo, s0
	s_cbranch_vccnz .LBB536_583
; %bb.572:
	v_cmp_gt_i16_e64 s0, s3, 24
	s_delay_alu instid0(VALU_DEP_1)
	s_and_b32 vcc_lo, exec_lo, s0
	s_cbranch_vccz .LBB536_584
; %bb.573:
	global_load_u8 v3, v[0:1], off
	s_mov_b32 s0, 0
	s_mov_b32 s24, exec_lo
                                        ; implicit-def: $sgpr23
	s_waitcnt vmcnt(0)
	v_cmpx_lt_i16_e32 0x7f, v3
	s_xor_b32 s24, exec_lo, s24
	s_cbranch_execz .LBB536_596
; %bb.574:
	s_mov_b32 s0, -1
	s_mov_b32 s25, exec_lo
                                        ; implicit-def: $sgpr23
	v_cmpx_eq_u16_e32 0x80, v3
; %bb.575:
	s_mov_b32 s23, 0x7f800001
	s_xor_b32 s0, exec_lo, -1
; %bb.576:
	s_or_b32 exec_lo, exec_lo, s25
	s_delay_alu instid0(SALU_CYCLE_1)
	s_and_b32 s0, s0, exec_lo
	s_or_saveexec_b32 s24, s24
	v_mov_b32_e32 v4, s23
	s_xor_b32 exec_lo, exec_lo, s24
	s_cbranch_execnz .LBB536_597
.LBB536_577:
	s_or_b32 exec_lo, exec_lo, s24
	s_and_saveexec_b32 s23, s0
	s_cbranch_execz .LBB536_579
.LBB536_578:
	v_and_b32_e32 v4, 0xffff, v3
	v_lshlrev_b32_e32 v3, 24, v3
	s_delay_alu instid0(VALU_DEP_2) | instskip(NEXT) | instid1(VALU_DEP_2)
	v_and_b32_e32 v5, 3, v4
	v_and_b32_e32 v3, 0x80000000, v3
	s_delay_alu instid0(VALU_DEP_2) | instskip(NEXT) | instid1(VALU_DEP_1)
	v_clz_i32_u32_e32 v6, v5
	v_min_u32_e32 v6, 32, v6
	s_delay_alu instid0(VALU_DEP_1) | instskip(SKIP_1) | instid1(VALU_DEP_2)
	v_subrev_nc_u32_e32 v7, 29, v6
	v_sub_nc_u32_e32 v6, 30, v6
	v_lshlrev_b32_e32 v7, v7, v4
	v_bfe_u32 v4, v4, 2, 5
	s_delay_alu instid0(VALU_DEP_2) | instskip(NEXT) | instid1(VALU_DEP_2)
	v_and_b32_e32 v7, 3, v7
	v_cmp_eq_u32_e32 vcc_lo, 0, v4
	s_delay_alu instid0(VALU_DEP_2) | instskip(NEXT) | instid1(VALU_DEP_1)
	v_dual_cndmask_b32 v4, v4, v6 :: v_dual_cndmask_b32 v5, v5, v7
	v_lshl_add_u32 v4, v4, 23, 0x37800000
	s_delay_alu instid0(VALU_DEP_2) | instskip(NEXT) | instid1(VALU_DEP_1)
	v_lshlrev_b32_e32 v5, 21, v5
	v_or3_b32 v4, v3, v4, v5
.LBB536_579:
	s_or_b32 exec_lo, exec_lo, s23
	s_delay_alu instid0(VALU_DEP_1) | instskip(SKIP_2) | instid1(VALU_DEP_2)
	v_bfe_u32 v3, v4, 16, 1
	v_cmp_o_f32_e32 vcc_lo, v4, v4
	s_mov_b32 s0, 0
	v_add3_u32 v3, v4, v3, 0x7fff
	s_delay_alu instid0(VALU_DEP_1) | instskip(NEXT) | instid1(VALU_DEP_1)
	v_lshrrev_b32_e32 v3, 16, v3
	v_cndmask_b32_e32 v4, 0x7fc0, v3, vcc_lo
	s_branch .LBB536_585
.LBB536_580:
	s_mov_b32 s23, -1
                                        ; implicit-def: $vgpr4
	s_branch .LBB536_591
.LBB536_581:
	s_or_saveexec_b32 s24, s24
	v_mov_b32_e32 v4, s23
	s_xor_b32 exec_lo, exec_lo, s24
	s_cbranch_execz .LBB536_564
.LBB536_582:
	v_cmp_ne_u16_e32 vcc_lo, 0, v3
	v_mov_b32_e32 v4, 0
	s_and_not1_b32 s0, s0, exec_lo
	s_and_b32 s23, vcc_lo, exec_lo
	s_delay_alu instid0(SALU_CYCLE_1)
	s_or_b32 s0, s0, s23
	s_or_b32 exec_lo, exec_lo, s24
	s_and_saveexec_b32 s23, s0
	s_cbranch_execnz .LBB536_565
	s_branch .LBB536_566
.LBB536_583:
	s_mov_b32 s0, -1
                                        ; implicit-def: $vgpr4
	s_branch .LBB536_588
.LBB536_584:
	s_mov_b32 s0, -1
                                        ; implicit-def: $vgpr4
.LBB536_585:
	s_delay_alu instid0(SALU_CYCLE_1)
	s_and_b32 vcc_lo, exec_lo, s0
	s_cbranch_vccz .LBB536_587
; %bb.586:
	global_load_u8 v3, v[0:1], off
	s_waitcnt vmcnt(0)
	v_lshlrev_b32_e32 v3, 24, v3
	s_delay_alu instid0(VALU_DEP_1) | instskip(NEXT) | instid1(VALU_DEP_1)
	v_and_b32_e32 v4, 0x7f000000, v3
	v_clz_i32_u32_e32 v5, v4
	v_add_nc_u32_e32 v7, 0x1000000, v4
	v_cmp_ne_u32_e32 vcc_lo, 0, v4
	s_delay_alu instid0(VALU_DEP_3) | instskip(NEXT) | instid1(VALU_DEP_1)
	v_min_u32_e32 v5, 32, v5
	v_sub_nc_u32_e64 v5, v5, 4 clamp
	s_delay_alu instid0(VALU_DEP_1) | instskip(SKIP_1) | instid1(VALU_DEP_2)
	v_lshlrev_b32_e32 v6, v5, v4
	v_lshlrev_b32_e32 v5, 23, v5
	v_lshrrev_b32_e32 v6, 4, v6
	s_delay_alu instid0(VALU_DEP_1) | instskip(SKIP_1) | instid1(VALU_DEP_2)
	v_sub_nc_u32_e32 v5, v6, v5
	v_ashrrev_i32_e32 v6, 8, v7
	v_add_nc_u32_e32 v5, 0x3c000000, v5
	s_delay_alu instid0(VALU_DEP_1) | instskip(NEXT) | instid1(VALU_DEP_1)
	v_and_or_b32 v5, 0x7f800000, v6, v5
	v_cndmask_b32_e32 v4, 0, v5, vcc_lo
	s_delay_alu instid0(VALU_DEP_1) | instskip(SKIP_1) | instid1(VALU_DEP_2)
	v_and_or_b32 v3, 0x80000000, v3, v4
	v_bfe_u32 v4, v4, 16, 1
	v_cmp_o_f32_e32 vcc_lo, v3, v3
	s_delay_alu instid0(VALU_DEP_2) | instskip(NEXT) | instid1(VALU_DEP_1)
	v_add3_u32 v4, v3, v4, 0x7fff
	v_lshrrev_b32_e32 v4, 16, v4
	s_delay_alu instid0(VALU_DEP_1)
	v_cndmask_b32_e32 v4, 0x7fc0, v4, vcc_lo
.LBB536_587:
	s_mov_b32 s0, 0
.LBB536_588:
	s_delay_alu instid0(SALU_CYCLE_1)
	s_and_not1_b32 vcc_lo, exec_lo, s0
	s_cbranch_vccnz .LBB536_590
; %bb.589:
	global_load_u8 v3, v[0:1], off
	s_waitcnt vmcnt(0)
	v_lshlrev_b32_e32 v4, 25, v3
	v_lshlrev_b16 v3, 8, v3
	s_delay_alu instid0(VALU_DEP_2) | instskip(NEXT) | instid1(VALU_DEP_2)
	v_lshrrev_b32_e32 v5, 4, v4
	v_and_or_b32 v6, 0x7f00, v3, 0.5
	v_bfe_i32 v3, v3, 0, 16
	s_delay_alu instid0(VALU_DEP_3) | instskip(NEXT) | instid1(VALU_DEP_1)
	v_or_b32_e32 v5, 0x70000000, v5
	v_dual_add_f32 v6, -0.5, v6 :: v_dual_mul_f32 v5, 0x7800000, v5
	v_cmp_gt_u32_e32 vcc_lo, 0x8000000, v4
	s_delay_alu instid0(VALU_DEP_2) | instskip(NEXT) | instid1(VALU_DEP_1)
	v_cndmask_b32_e32 v4, v5, v6, vcc_lo
	v_and_or_b32 v3, 0x80000000, v3, v4
	v_bfe_u32 v4, v4, 16, 1
	s_delay_alu instid0(VALU_DEP_2) | instskip(NEXT) | instid1(VALU_DEP_2)
	v_cmp_o_f32_e32 vcc_lo, v3, v3
	v_add3_u32 v4, v3, v4, 0x7fff
	s_delay_alu instid0(VALU_DEP_1) | instskip(NEXT) | instid1(VALU_DEP_1)
	v_lshrrev_b32_e32 v4, 16, v4
	v_cndmask_b32_e32 v4, 0x7fc0, v4, vcc_lo
.LBB536_590:
	s_mov_b32 s23, 0
	s_mov_b32 s0, -1
.LBB536_591:
	s_and_not1_b32 vcc_lo, exec_lo, s23
	s_cbranch_vccnz .LBB536_604
; %bb.592:
	v_cmp_gt_i16_e64 s23, s3, 14
	s_delay_alu instid0(VALU_DEP_1)
	s_and_b32 vcc_lo, exec_lo, s23
	s_cbranch_vccz .LBB536_595
; %bb.593:
	v_cmp_eq_u16_e64 s22, s3, 15
	s_delay_alu instid0(VALU_DEP_1)
	s_and_b32 vcc_lo, exec_lo, s22
	s_cbranch_vccz .LBB536_598
; %bb.594:
	global_load_u16 v4, v[0:1], off
	s_mov_b32 s0, -1
	s_mov_b32 s22, 0
	s_branch .LBB536_599
.LBB536_595:
	s_mov_b32 s23, -1
                                        ; implicit-def: $vgpr4
	s_branch .LBB536_600
.LBB536_596:
	s_or_saveexec_b32 s24, s24
	v_mov_b32_e32 v4, s23
	s_xor_b32 exec_lo, exec_lo, s24
	s_cbranch_execz .LBB536_577
.LBB536_597:
	v_cmp_ne_u16_e32 vcc_lo, 0, v3
	v_mov_b32_e32 v4, 0
	s_and_not1_b32 s0, s0, exec_lo
	s_and_b32 s23, vcc_lo, exec_lo
	s_delay_alu instid0(SALU_CYCLE_1)
	s_or_b32 s0, s0, s23
	s_or_b32 exec_lo, exec_lo, s24
	s_and_saveexec_b32 s23, s0
	s_cbranch_execnz .LBB536_578
	s_branch .LBB536_579
.LBB536_598:
	s_mov_b32 s22, -1
                                        ; implicit-def: $vgpr4
.LBB536_599:
	s_mov_b32 s23, 0
.LBB536_600:
	s_delay_alu instid0(SALU_CYCLE_1)
	s_and_b32 vcc_lo, exec_lo, s23
	s_cbranch_vccz .LBB536_604
; %bb.601:
	v_cmp_eq_u16_e64 s22, s3, 11
	s_delay_alu instid0(VALU_DEP_1)
	s_and_b32 vcc_lo, exec_lo, s22
	s_cbranch_vccz .LBB536_603
; %bb.602:
	global_load_u8 v3, v[0:1], off
	s_mov_b32 s22, 0
	s_mov_b32 s0, -1
	s_waitcnt vmcnt(0)
	v_cmp_ne_u16_e32 vcc_lo, 0, v3
	v_cndmask_b32_e64 v3, 0, 1.0, vcc_lo
	s_delay_alu instid0(VALU_DEP_1)
	v_lshrrev_b32_e32 v4, 16, v3
	s_branch .LBB536_604
.LBB536_603:
	s_mov_b32 s22, -1
                                        ; implicit-def: $vgpr4
.LBB536_604:
	s_mov_b32 s23, 0
.LBB536_605:
	s_delay_alu instid0(SALU_CYCLE_1)
	s_and_b32 vcc_lo, exec_lo, s23
	s_cbranch_vccz .LBB536_654
; %bb.606:
	v_cmp_lt_i16_e64 s0, s3, 5
	s_delay_alu instid0(VALU_DEP_1)
	s_and_b32 vcc_lo, exec_lo, s0
	s_cbranch_vccnz .LBB536_611
; %bb.607:
	v_cmp_lt_i16_e64 s0, s3, 8
	s_delay_alu instid0(VALU_DEP_1)
	s_and_b32 vcc_lo, exec_lo, s0
	s_cbranch_vccnz .LBB536_612
	;; [unrolled: 5-line block ×3, first 2 shown]
; %bb.609:
	v_cmp_gt_i16_e64 s0, s3, 9
	s_delay_alu instid0(VALU_DEP_1)
	s_and_b32 vcc_lo, exec_lo, s0
	s_cbranch_vccz .LBB536_614
; %bb.610:
	global_load_b64 v[3:4], v[0:1], off
	s_mov_b32 s0, 0
	s_waitcnt vmcnt(0)
	v_cvt_f32_f64_e32 v3, v[3:4]
	s_delay_alu instid0(VALU_DEP_1) | instskip(SKIP_1) | instid1(VALU_DEP_2)
	v_bfe_u32 v4, v3, 16, 1
	v_cmp_o_f32_e32 vcc_lo, v3, v3
	v_add3_u32 v4, v3, v4, 0x7fff
	s_delay_alu instid0(VALU_DEP_1) | instskip(NEXT) | instid1(VALU_DEP_1)
	v_lshrrev_b32_e32 v4, 16, v4
	v_cndmask_b32_e32 v4, 0x7fc0, v4, vcc_lo
	s_branch .LBB536_615
.LBB536_611:
	s_mov_b32 s0, -1
                                        ; implicit-def: $vgpr4
	s_branch .LBB536_633
.LBB536_612:
	s_mov_b32 s0, -1
                                        ; implicit-def: $vgpr4
	s_branch .LBB536_621
.LBB536_613:
	s_mov_b32 s0, -1
                                        ; implicit-def: $vgpr4
	s_branch .LBB536_618
.LBB536_614:
	s_mov_b32 s0, -1
                                        ; implicit-def: $vgpr4
.LBB536_615:
	s_delay_alu instid0(SALU_CYCLE_1)
	s_and_not1_b32 vcc_lo, exec_lo, s0
	s_cbranch_vccnz .LBB536_617
; %bb.616:
	global_load_b32 v3, v[0:1], off
	s_waitcnt vmcnt(0)
	v_bfe_u32 v4, v3, 16, 1
	v_cmp_o_f32_e32 vcc_lo, v3, v3
	s_delay_alu instid0(VALU_DEP_2) | instskip(NEXT) | instid1(VALU_DEP_1)
	v_add3_u32 v4, v3, v4, 0x7fff
	v_lshrrev_b32_e32 v4, 16, v4
	s_delay_alu instid0(VALU_DEP_1)
	v_cndmask_b32_e32 v4, 0x7fc0, v4, vcc_lo
.LBB536_617:
	s_mov_b32 s0, 0
.LBB536_618:
	s_delay_alu instid0(SALU_CYCLE_1)
	s_and_not1_b32 vcc_lo, exec_lo, s0
	s_cbranch_vccnz .LBB536_620
; %bb.619:
	global_load_b32 v3, v[0:1], off
	s_waitcnt vmcnt(0)
	v_cvt_f32_f16_e32 v4, v3
	v_cmp_o_f16_e32 vcc_lo, v3, v3
	s_delay_alu instid0(VALU_DEP_2) | instskip(NEXT) | instid1(VALU_DEP_1)
	v_bfe_u32 v5, v4, 16, 1
	v_add3_u32 v4, v4, v5, 0x7fff
	s_delay_alu instid0(VALU_DEP_1) | instskip(NEXT) | instid1(VALU_DEP_1)
	v_lshrrev_b32_e32 v4, 16, v4
	v_cndmask_b32_e32 v4, 0x7fc0, v4, vcc_lo
.LBB536_620:
	s_mov_b32 s0, 0
.LBB536_621:
	s_delay_alu instid0(SALU_CYCLE_1)
	s_and_not1_b32 vcc_lo, exec_lo, s0
	s_cbranch_vccnz .LBB536_632
; %bb.622:
	v_cmp_lt_i16_e64 s0, s3, 6
	s_delay_alu instid0(VALU_DEP_1)
	s_and_b32 vcc_lo, exec_lo, s0
	s_cbranch_vccnz .LBB536_625
; %bb.623:
	v_cmp_gt_i16_e64 s0, s3, 6
	s_delay_alu instid0(VALU_DEP_1)
	s_and_b32 vcc_lo, exec_lo, s0
	s_cbranch_vccz .LBB536_626
; %bb.624:
	global_load_b64 v[3:4], v[0:1], off
	s_mov_b32 s0, 0
	s_waitcnt vmcnt(0)
	v_cvt_f32_f64_e32 v3, v[3:4]
	s_delay_alu instid0(VALU_DEP_1) | instskip(SKIP_1) | instid1(VALU_DEP_2)
	v_bfe_u32 v4, v3, 16, 1
	v_cmp_o_f32_e32 vcc_lo, v3, v3
	v_add3_u32 v4, v3, v4, 0x7fff
	s_delay_alu instid0(VALU_DEP_1) | instskip(NEXT) | instid1(VALU_DEP_1)
	v_lshrrev_b32_e32 v4, 16, v4
	v_cndmask_b32_e32 v4, 0x7fc0, v4, vcc_lo
	s_branch .LBB536_627
.LBB536_625:
	s_mov_b32 s0, -1
                                        ; implicit-def: $vgpr4
	s_branch .LBB536_630
.LBB536_626:
	s_mov_b32 s0, -1
                                        ; implicit-def: $vgpr4
.LBB536_627:
	s_delay_alu instid0(SALU_CYCLE_1)
	s_and_not1_b32 vcc_lo, exec_lo, s0
	s_cbranch_vccnz .LBB536_629
; %bb.628:
	global_load_b32 v3, v[0:1], off
	s_waitcnt vmcnt(0)
	v_bfe_u32 v4, v3, 16, 1
	v_cmp_o_f32_e32 vcc_lo, v3, v3
	s_delay_alu instid0(VALU_DEP_2) | instskip(NEXT) | instid1(VALU_DEP_1)
	v_add3_u32 v4, v3, v4, 0x7fff
	v_lshrrev_b32_e32 v4, 16, v4
	s_delay_alu instid0(VALU_DEP_1)
	v_cndmask_b32_e32 v4, 0x7fc0, v4, vcc_lo
.LBB536_629:
	s_mov_b32 s0, 0
.LBB536_630:
	s_delay_alu instid0(SALU_CYCLE_1)
	s_and_not1_b32 vcc_lo, exec_lo, s0
	s_cbranch_vccnz .LBB536_632
; %bb.631:
	global_load_u16 v3, v[0:1], off
	s_waitcnt vmcnt(0)
	v_cvt_f32_f16_e32 v4, v3
	v_cmp_o_f16_e32 vcc_lo, v3, v3
	s_delay_alu instid0(VALU_DEP_2) | instskip(NEXT) | instid1(VALU_DEP_1)
	v_bfe_u32 v5, v4, 16, 1
	v_add3_u32 v4, v4, v5, 0x7fff
	s_delay_alu instid0(VALU_DEP_1) | instskip(NEXT) | instid1(VALU_DEP_1)
	v_lshrrev_b32_e32 v4, 16, v4
	v_cndmask_b32_e32 v4, 0x7fc0, v4, vcc_lo
.LBB536_632:
	s_mov_b32 s0, 0
.LBB536_633:
	s_delay_alu instid0(SALU_CYCLE_1)
	s_and_not1_b32 vcc_lo, exec_lo, s0
	s_cbranch_vccnz .LBB536_653
; %bb.634:
	v_cmp_lt_i16_e64 s0, s3, 2
	s_delay_alu instid0(VALU_DEP_1)
	s_and_b32 vcc_lo, exec_lo, s0
	s_cbranch_vccnz .LBB536_638
; %bb.635:
	v_cmp_lt_i16_e64 s0, s3, 3
	s_delay_alu instid0(VALU_DEP_1)
	s_and_b32 vcc_lo, exec_lo, s0
	s_cbranch_vccnz .LBB536_639
; %bb.636:
	v_cmp_gt_i16_e64 s0, s3, 3
	s_delay_alu instid0(VALU_DEP_1)
	s_and_b32 vcc_lo, exec_lo, s0
	s_cbranch_vccz .LBB536_640
; %bb.637:
	global_load_b64 v[3:4], v[0:1], off
	s_mov_b32 s0, 0
	s_waitcnt vmcnt(0)
	v_xor_b32_e32 v5, v3, v4
	v_cls_i32_e32 v6, v4
	s_delay_alu instid0(VALU_DEP_2) | instskip(NEXT) | instid1(VALU_DEP_2)
	v_ashrrev_i32_e32 v5, 31, v5
	v_add_nc_u32_e32 v6, -1, v6
	s_delay_alu instid0(VALU_DEP_2) | instskip(NEXT) | instid1(VALU_DEP_1)
	v_add_nc_u32_e32 v5, 32, v5
	v_min_u32_e32 v5, v6, v5
	s_delay_alu instid0(VALU_DEP_1) | instskip(NEXT) | instid1(VALU_DEP_1)
	v_lshlrev_b64 v[3:4], v5, v[3:4]
	v_min_u32_e32 v3, 1, v3
	s_delay_alu instid0(VALU_DEP_1) | instskip(SKIP_1) | instid1(VALU_DEP_2)
	v_or_b32_e32 v3, v4, v3
	v_sub_nc_u32_e32 v4, 32, v5
	v_cvt_f32_i32_e32 v3, v3
	s_delay_alu instid0(VALU_DEP_1) | instskip(NEXT) | instid1(VALU_DEP_1)
	v_ldexp_f32 v3, v3, v4
	v_bfe_u32 v4, v3, 16, 1
	s_delay_alu instid0(VALU_DEP_1) | instskip(NEXT) | instid1(VALU_DEP_1)
	v_add3_u32 v3, v3, v4, 0x7fff
	v_lshrrev_b32_e32 v4, 16, v3
	s_branch .LBB536_641
.LBB536_638:
	s_mov_b32 s0, -1
                                        ; implicit-def: $vgpr4
	s_branch .LBB536_647
.LBB536_639:
	s_mov_b32 s0, -1
                                        ; implicit-def: $vgpr4
	s_branch .LBB536_644
.LBB536_640:
	s_mov_b32 s0, -1
                                        ; implicit-def: $vgpr4
.LBB536_641:
	s_delay_alu instid0(SALU_CYCLE_1)
	s_and_not1_b32 vcc_lo, exec_lo, s0
	s_cbranch_vccnz .LBB536_643
; %bb.642:
	global_load_b32 v3, v[0:1], off
	s_waitcnt vmcnt(0)
	v_cvt_f32_i32_e32 v3, v3
	s_delay_alu instid0(VALU_DEP_1) | instskip(NEXT) | instid1(VALU_DEP_1)
	v_bfe_u32 v4, v3, 16, 1
	v_add3_u32 v3, v3, v4, 0x7fff
	s_delay_alu instid0(VALU_DEP_1)
	v_lshrrev_b32_e32 v4, 16, v3
.LBB536_643:
	s_mov_b32 s0, 0
.LBB536_644:
	s_delay_alu instid0(SALU_CYCLE_1)
	s_and_not1_b32 vcc_lo, exec_lo, s0
	s_cbranch_vccnz .LBB536_646
; %bb.645:
	global_load_i16 v3, v[0:1], off
	s_waitcnt vmcnt(0)
	v_cvt_f32_i32_e32 v3, v3
	s_delay_alu instid0(VALU_DEP_1) | instskip(NEXT) | instid1(VALU_DEP_1)
	v_bfe_u32 v4, v3, 16, 1
	v_add3_u32 v3, v3, v4, 0x7fff
	s_delay_alu instid0(VALU_DEP_1)
	v_lshrrev_b32_e32 v4, 16, v3
.LBB536_646:
	s_mov_b32 s0, 0
.LBB536_647:
	s_delay_alu instid0(SALU_CYCLE_1)
	s_and_not1_b32 vcc_lo, exec_lo, s0
	s_cbranch_vccnz .LBB536_653
; %bb.648:
	v_cmp_gt_i16_e64 s0, s3, 0
	s_delay_alu instid0(VALU_DEP_1)
	s_and_b32 vcc_lo, exec_lo, s0
	s_mov_b32 s0, 0
	s_cbranch_vccz .LBB536_650
; %bb.649:
	global_load_i8 v3, v[0:1], off
	s_waitcnt vmcnt(0)
	v_cvt_f32_i32_e32 v3, v3
	s_delay_alu instid0(VALU_DEP_1) | instskip(NEXT) | instid1(VALU_DEP_1)
	v_bfe_u32 v4, v3, 16, 1
	v_add3_u32 v3, v3, v4, 0x7fff
	s_delay_alu instid0(VALU_DEP_1)
	v_lshrrev_b32_e32 v4, 16, v3
	s_branch .LBB536_651
.LBB536_650:
	s_mov_b32 s0, -1
                                        ; implicit-def: $vgpr4
.LBB536_651:
	s_delay_alu instid0(SALU_CYCLE_1)
	s_and_not1_b32 vcc_lo, exec_lo, s0
	s_cbranch_vccnz .LBB536_653
; %bb.652:
	global_load_u8 v0, v[0:1], off
	s_waitcnt vmcnt(0)
	v_cvt_f32_ubyte0_e32 v0, v0
	s_delay_alu instid0(VALU_DEP_1) | instskip(NEXT) | instid1(VALU_DEP_1)
	v_bfe_u32 v1, v0, 16, 1
	v_add3_u32 v0, v0, v1, 0x7fff
	s_delay_alu instid0(VALU_DEP_1)
	v_lshrrev_b32_e32 v4, 16, v0
.LBB536_653:
	s_mov_b32 s0, -1
.LBB536_654:
	s_delay_alu instid0(SALU_CYCLE_1)
	s_and_not1_b32 vcc_lo, exec_lo, s0
	s_cbranch_vccnz .LBB536_666
; %bb.655:
	s_waitcnt vmcnt(0)
	v_dual_mov_b32 v3, s10 :: v_dual_lshlrev_b32 v0, 16, v4
	s_mov_b32 s0, exec_lo
	s_delay_alu instid0(VALU_DEP_1)
	v_cmpx_o_f32_e32 v0, v0
	s_cbranch_execz .LBB536_659
; %bb.656:
	v_mov_b32_e32 v3, s2
	s_mov_b32 s23, exec_lo
	v_cmpx_neq_f32_e32 0x7f800000, v0
; %bb.657:
	v_cmp_eq_f32_e32 vcc_lo, 0xff800000, v0
	v_cndmask_b32_e64 v3, v4, s11, vcc_lo
; %bb.658:
	s_or_b32 exec_lo, exec_lo, s23
.LBB536_659:
	s_delay_alu instid0(SALU_CYCLE_1) | instskip(SKIP_2) | instid1(VALU_DEP_1)
	s_or_b32 exec_lo, exec_lo, s0
	v_mul_lo_u32 v0, v2, s8
	v_and_b32_e64 v4, 0xff, s1
	v_cmp_gt_i16_e32 vcc_lo, 11, v4
	s_delay_alu instid0(VALU_DEP_3) | instskip(SKIP_1) | instid1(VALU_DEP_1)
	v_ashrrev_i32_e32 v1, 31, v0
	v_add_co_u32 v0, s0, s4, v0
	v_add_co_ci_u32_e64 v1, s0, s5, v1, s0
	s_cbranch_vccnz .LBB536_667
; %bb.660:
	v_cmp_lt_i16_e32 vcc_lo, 25, v4
	s_cbranch_vccz .LBB536_668
; %bb.661:
	v_cmp_lt_i16_e32 vcc_lo, 28, v4
	s_cbranch_vccz .LBB536_669
	;; [unrolled: 3-line block ×4, first 2 shown]
; %bb.664:
	v_cmp_eq_u16_e32 vcc_lo, 46, v4
	s_mov_b32 s24, 0
	s_mov_b32 s0, -1
	s_mov_b32 s23, 0
	s_cbranch_vccz .LBB536_672
; %bb.665:
	v_and_b32_e32 v5, 0xffff, v3
	s_mov_b32 s23, -1
	s_mov_b32 s0, 0
	global_store_b32 v[0:1], v5, off
	s_branch .LBB536_672
.LBB536_666:
	s_mov_b32 s23, 0
	s_mov_b32 s0, s19
	s_branch .LBB536_783
.LBB536_667:
	s_mov_b32 s24, -1
	s_mov_b32 s23, 0
	s_mov_b32 s0, s19
	s_branch .LBB536_741
.LBB536_668:
	s_mov_b32 s24, -1
	s_mov_b32 s23, 0
	s_mov_b32 s0, s19
	s_branch .LBB536_699
.LBB536_669:
	s_mov_b32 s24, -1
	s_mov_b32 s23, 0
	s_mov_b32 s0, s19
	s_branch .LBB536_682
.LBB536_670:
	s_mov_b32 s24, -1
	s_mov_b32 s23, 0
	s_mov_b32 s0, s19
	s_branch .LBB536_678
.LBB536_671:
	s_mov_b32 s24, -1
	s_mov_b32 s23, 0
	s_mov_b32 s0, s19
.LBB536_672:
	s_and_b32 vcc_lo, exec_lo, s24
	s_cbranch_vccz .LBB536_677
; %bb.673:
	v_cmp_eq_u16_e32 vcc_lo, 44, v4
	s_mov_b32 s0, -1
	s_cbranch_vccz .LBB536_677
; %bb.674:
	v_and_b32_e32 v5, 0xffff, v3
	v_mov_b32_e32 v6, 0xff
	s_mov_b32 s23, exec_lo
	s_delay_alu instid0(VALU_DEP_2) | instskip(NEXT) | instid1(VALU_DEP_1)
	v_bfe_u32 v7, v5, 7, 8
	v_cmpx_ne_u32_e32 0xff, v7
; %bb.675:
	v_lshlrev_b32_e32 v6, 16, v5
	v_and_b32_e32 v8, 64, v5
	v_lshrrev_b32_e32 v5, 7, v5
	s_delay_alu instid0(VALU_DEP_3) | instskip(NEXT) | instid1(VALU_DEP_3)
	v_and_or_b32 v6, 0x3f0000, v6, v7
	v_cmp_ne_u32_e32 vcc_lo, 0, v8
	s_delay_alu instid0(VALU_DEP_2) | instskip(NEXT) | instid1(VALU_DEP_1)
	v_cmp_ne_u32_e64 s0, 0, v6
	s_and_b32 s0, vcc_lo, s0
	s_delay_alu instid0(SALU_CYCLE_1) | instskip(NEXT) | instid1(VALU_DEP_1)
	v_cndmask_b32_e64 v6, 0, 1, s0
	v_add_nc_u32_e32 v6, v5, v6
; %bb.676:
	s_or_b32 exec_lo, exec_lo, s23
	s_mov_b32 s23, -1
	s_mov_b32 s0, 0
	global_store_b8 v[0:1], v6, off
.LBB536_677:
	s_mov_b32 s24, 0
.LBB536_678:
	s_delay_alu instid0(SALU_CYCLE_1)
	s_and_b32 vcc_lo, exec_lo, s24
	s_cbranch_vccz .LBB536_681
; %bb.679:
	v_cmp_eq_u16_e32 vcc_lo, 29, v4
	s_mov_b32 s0, -1
	s_cbranch_vccz .LBB536_681
; %bb.680:
	v_lshlrev_b32_e32 v5, 16, v3
	s_mov_b32 s23, -1
	s_mov_b32 s0, 0
	s_mov_b32 s24, 0
	s_delay_alu instid0(VALU_DEP_1) | instskip(NEXT) | instid1(VALU_DEP_1)
	v_trunc_f32_e32 v5, v5
	v_mul_f32_e32 v6, 0x2f800000, v5
	s_delay_alu instid0(VALU_DEP_1) | instskip(NEXT) | instid1(VALU_DEP_1)
	v_floor_f32_e32 v6, v6
	v_fmamk_f32 v5, v6, 0xcf800000, v5
	v_cvt_u32_f32_e32 v6, v6
	s_delay_alu instid0(VALU_DEP_2)
	v_cvt_u32_f32_e32 v5, v5
	global_store_b64 v[0:1], v[5:6], off
	s_branch .LBB536_682
.LBB536_681:
	s_mov_b32 s24, 0
.LBB536_682:
	s_delay_alu instid0(SALU_CYCLE_1)
	s_and_b32 vcc_lo, exec_lo, s24
	s_cbranch_vccz .LBB536_698
; %bb.683:
	v_cmp_gt_i16_e32 vcc_lo, 27, v4
	s_mov_b32 s23, -1
	s_cbranch_vccnz .LBB536_689
; %bb.684:
	v_cmp_lt_i16_e32 vcc_lo, 27, v4
	s_cbranch_vccz .LBB536_686
; %bb.685:
	v_lshlrev_b32_e32 v5, 16, v3
	s_mov_b32 s23, 0
	s_delay_alu instid0(VALU_DEP_1)
	v_cvt_u32_f32_e32 v5, v5
	global_store_b32 v[0:1], v5, off
.LBB536_686:
	s_and_not1_b32 vcc_lo, exec_lo, s23
	s_cbranch_vccnz .LBB536_688
; %bb.687:
	v_lshlrev_b32_e32 v5, 16, v3
	s_delay_alu instid0(VALU_DEP_1)
	v_cvt_u32_f32_e32 v5, v5
	global_store_b16 v[0:1], v5, off
.LBB536_688:
	s_mov_b32 s23, 0
.LBB536_689:
	s_delay_alu instid0(SALU_CYCLE_1)
	s_and_not1_b32 vcc_lo, exec_lo, s23
	s_cbranch_vccnz .LBB536_697
; %bb.690:
	v_dual_mov_b32 v8, 0x80 :: v_dual_lshlrev_b32 v7, 16, v3
	s_mov_b32 s23, exec_lo
	s_delay_alu instid0(VALU_DEP_1) | instskip(NEXT) | instid1(VALU_DEP_1)
	v_and_b32_e32 v6, 0x7fffffff, v7
	v_cmpx_gt_u32_e32 0x43800000, v6
	s_cbranch_execz .LBB536_696
; %bb.691:
	v_and_b32_e32 v5, 0xffff, v3
	v_cmp_lt_u32_e32 vcc_lo, 0x3bffffff, v6
	s_mov_b32 s24, 0
                                        ; implicit-def: $vgpr6
	s_and_saveexec_b32 s25, vcc_lo
	s_delay_alu instid0(SALU_CYCLE_1)
	s_xor_b32 s25, exec_lo, s25
	s_cbranch_execz .LBB536_798
; %bb.692:
	v_bfe_u32 v6, v5, 4, 1
	s_mov_b32 s24, exec_lo
	s_delay_alu instid0(VALU_DEP_1) | instskip(NEXT) | instid1(VALU_DEP_1)
	v_add3_u32 v6, v7, v6, 0x487ffff
                                        ; implicit-def: $vgpr7
	v_lshrrev_b32_e32 v6, 20, v6
	s_or_saveexec_b32 s25, s25
                                        ; implicit-def: $sgpr26
	s_delay_alu instid0(SALU_CYCLE_1)
	s_xor_b32 exec_lo, exec_lo, s25
	s_cbranch_execnz .LBB536_799
.LBB536_693:
	s_or_b32 exec_lo, exec_lo, s25
	v_mov_b32_e32 v8, s26
	s_and_saveexec_b32 s25, s24
.LBB536_694:
	v_lshrrev_b32_e32 v5, 8, v5
	s_delay_alu instid0(VALU_DEP_1)
	v_and_or_b32 v8, 0x80, v5, v6
.LBB536_695:
	s_or_b32 exec_lo, exec_lo, s25
.LBB536_696:
	s_delay_alu instid0(SALU_CYCLE_1)
	s_or_b32 exec_lo, exec_lo, s23
	global_store_b8 v[0:1], v8, off
.LBB536_697:
	s_mov_b32 s23, -1
.LBB536_698:
	s_mov_b32 s24, 0
.LBB536_699:
	s_delay_alu instid0(SALU_CYCLE_1)
	s_and_b32 vcc_lo, exec_lo, s24
	s_cbranch_vccz .LBB536_740
; %bb.700:
	v_cmp_lt_i16_e32 vcc_lo, 22, v4
	s_mov_b32 s24, -1
	s_cbranch_vccz .LBB536_732
; %bb.701:
	v_cmp_gt_i16_e32 vcc_lo, 24, v4
	s_mov_b32 s23, -1
	s_cbranch_vccnz .LBB536_721
; %bb.702:
	v_cmp_lt_i16_e32 vcc_lo, 24, v4
	s_cbranch_vccz .LBB536_710
; %bb.703:
	v_dual_mov_b32 v8, 0x80 :: v_dual_lshlrev_b32 v7, 16, v3
	s_mov_b32 s23, exec_lo
	s_delay_alu instid0(VALU_DEP_1) | instskip(NEXT) | instid1(VALU_DEP_1)
	v_and_b32_e32 v6, 0x7fffffff, v7
	v_cmpx_gt_u32_e32 0x47800000, v6
	s_cbranch_execz .LBB536_709
; %bb.704:
	v_and_b32_e32 v5, 0xffff, v3
	v_cmp_lt_u32_e32 vcc_lo, 0x37ffffff, v6
	s_mov_b32 s24, 0
                                        ; implicit-def: $vgpr6
	s_and_saveexec_b32 s25, vcc_lo
	s_delay_alu instid0(SALU_CYCLE_1)
	s_xor_b32 s25, exec_lo, s25
	s_cbranch_execz .LBB536_801
; %bb.705:
	v_bfe_u32 v6, v5, 5, 1
	s_mov_b32 s24, exec_lo
	s_delay_alu instid0(VALU_DEP_1) | instskip(NEXT) | instid1(VALU_DEP_1)
	v_add3_u32 v6, v7, v6, 0x88fffff
                                        ; implicit-def: $vgpr7
	v_lshrrev_b32_e32 v6, 21, v6
	s_or_saveexec_b32 s25, s25
                                        ; implicit-def: $sgpr26
	s_delay_alu instid0(SALU_CYCLE_1)
	s_xor_b32 exec_lo, exec_lo, s25
	s_cbranch_execnz .LBB536_802
.LBB536_706:
	s_or_b32 exec_lo, exec_lo, s25
	v_mov_b32_e32 v8, s26
	s_and_saveexec_b32 s25, s24
.LBB536_707:
	v_lshrrev_b32_e32 v5, 8, v5
	s_delay_alu instid0(VALU_DEP_1)
	v_and_or_b32 v8, 0x80, v5, v6
.LBB536_708:
	s_or_b32 exec_lo, exec_lo, s25
.LBB536_709:
	s_delay_alu instid0(SALU_CYCLE_1)
	s_or_b32 exec_lo, exec_lo, s23
	s_mov_b32 s23, 0
	global_store_b8 v[0:1], v8, off
.LBB536_710:
	s_and_b32 vcc_lo, exec_lo, s23
	s_cbranch_vccz .LBB536_720
; %bb.711:
	v_lshlrev_b32_e32 v7, 16, v3
	v_and_b32_e32 v5, 0xffff, v3
	s_mov_b32 s23, exec_lo
                                        ; implicit-def: $vgpr6
	s_delay_alu instid0(VALU_DEP_2) | instskip(NEXT) | instid1(VALU_DEP_1)
	v_and_b32_e32 v8, 0x7fffffff, v7
	v_cmpx_gt_u32_e32 0x43f00000, v8
	s_xor_b32 s23, exec_lo, s23
	s_cbranch_execz .LBB536_717
; %bb.712:
	s_mov_b32 s24, exec_lo
                                        ; implicit-def: $vgpr6
	v_cmpx_lt_u32_e32 0x3c7fffff, v8
	s_xor_b32 s24, exec_lo, s24
; %bb.713:
	v_bfe_u32 v6, v5, 4, 1
	s_delay_alu instid0(VALU_DEP_1) | instskip(NEXT) | instid1(VALU_DEP_1)
	v_add3_u32 v6, v7, v6, 0x407ffff
	v_and_b32_e32 v7, 0xff00000, v6
	v_lshrrev_b32_e32 v6, 20, v6
	s_delay_alu instid0(VALU_DEP_2) | instskip(NEXT) | instid1(VALU_DEP_2)
	v_cmp_ne_u32_e32 vcc_lo, 0x7f00000, v7
                                        ; implicit-def: $vgpr7
	v_cndmask_b32_e32 v6, 0x7e, v6, vcc_lo
; %bb.714:
	s_and_not1_saveexec_b32 s24, s24
; %bb.715:
	v_add_f32_e64 v6, 0x46800000, |v7|
; %bb.716:
	s_or_b32 exec_lo, exec_lo, s24
                                        ; implicit-def: $vgpr8
.LBB536_717:
	s_and_not1_saveexec_b32 s23, s23
; %bb.718:
	v_mov_b32_e32 v6, 0x7f
	v_cmp_lt_u32_e32 vcc_lo, 0x7f800000, v8
	s_delay_alu instid0(VALU_DEP_2)
	v_cndmask_b32_e32 v6, 0x7e, v6, vcc_lo
; %bb.719:
	s_or_b32 exec_lo, exec_lo, s23
	v_lshrrev_b32_e32 v5, 8, v5
	s_delay_alu instid0(VALU_DEP_1)
	v_and_or_b32 v5, 0x80, v5, v6
	global_store_b8 v[0:1], v5, off
.LBB536_720:
	s_mov_b32 s23, 0
.LBB536_721:
	s_delay_alu instid0(SALU_CYCLE_1)
	s_and_not1_b32 vcc_lo, exec_lo, s23
	s_cbranch_vccnz .LBB536_731
; %bb.722:
	v_lshlrev_b32_e32 v7, 16, v3
	v_and_b32_e32 v5, 0xffff, v3
	s_mov_b32 s23, exec_lo
                                        ; implicit-def: $vgpr6
	s_delay_alu instid0(VALU_DEP_2) | instskip(NEXT) | instid1(VALU_DEP_1)
	v_and_b32_e32 v8, 0x7fffffff, v7
	v_cmpx_gt_u32_e32 0x47800000, v8
	s_xor_b32 s23, exec_lo, s23
	s_cbranch_execz .LBB536_728
; %bb.723:
	s_mov_b32 s24, exec_lo
                                        ; implicit-def: $vgpr6
	v_cmpx_lt_u32_e32 0x387fffff, v8
	s_xor_b32 s24, exec_lo, s24
; %bb.724:
	v_bfe_u32 v6, v5, 5, 1
	s_delay_alu instid0(VALU_DEP_1) | instskip(NEXT) | instid1(VALU_DEP_1)
	v_add3_u32 v6, v7, v6, 0x80fffff
                                        ; implicit-def: $vgpr7
	v_lshrrev_b32_e32 v6, 21, v6
; %bb.725:
	s_and_not1_saveexec_b32 s24, s24
; %bb.726:
	v_add_f32_e64 v6, 0x43000000, |v7|
; %bb.727:
	s_or_b32 exec_lo, exec_lo, s24
                                        ; implicit-def: $vgpr8
.LBB536_728:
	s_and_not1_saveexec_b32 s23, s23
; %bb.729:
	v_mov_b32_e32 v6, 0x7f
	v_cmp_lt_u32_e32 vcc_lo, 0x7f800000, v8
	s_delay_alu instid0(VALU_DEP_2)
	v_cndmask_b32_e32 v6, 0x7c, v6, vcc_lo
; %bb.730:
	s_or_b32 exec_lo, exec_lo, s23
	v_lshrrev_b32_e32 v5, 8, v5
	s_delay_alu instid0(VALU_DEP_1)
	v_and_or_b32 v5, 0x80, v5, v6
	global_store_b8 v[0:1], v5, off
.LBB536_731:
	s_mov_b32 s24, 0
	s_mov_b32 s23, -1
.LBB536_732:
	s_and_not1_b32 vcc_lo, exec_lo, s24
	s_cbranch_vccnz .LBB536_740
; %bb.733:
	v_cmp_lt_i16_e32 vcc_lo, 14, v4
	s_mov_b32 s24, -1
	s_cbranch_vccz .LBB536_737
; %bb.734:
	v_cmp_eq_u16_e32 vcc_lo, 15, v4
	s_mov_b32 s0, -1
	s_cbranch_vccz .LBB536_736
; %bb.735:
	s_mov_b32 s23, -1
	s_mov_b32 s0, 0
	global_store_b16 v[0:1], v3, off
.LBB536_736:
	s_mov_b32 s24, 0
.LBB536_737:
	s_delay_alu instid0(SALU_CYCLE_1)
	s_and_b32 vcc_lo, exec_lo, s24
	s_cbranch_vccz .LBB536_740
; %bb.738:
	v_cmp_eq_u16_e32 vcc_lo, 11, v4
	s_mov_b32 s0, -1
	s_cbranch_vccz .LBB536_740
; %bb.739:
	v_and_b32_e32 v5, 0x7fff, v3
	s_mov_b32 s0, 0
	s_mov_b32 s23, -1
	s_delay_alu instid0(VALU_DEP_1)
	v_cmp_ne_u16_e32 vcc_lo, 0, v5
	v_cndmask_b32_e64 v5, 0, 1, vcc_lo
	global_store_b8 v[0:1], v5, off
.LBB536_740:
	s_mov_b32 s24, 0
.LBB536_741:
	s_delay_alu instid0(SALU_CYCLE_1)
	s_and_b32 vcc_lo, exec_lo, s24
	s_cbranch_vccz .LBB536_780
; %bb.742:
	v_cmp_gt_i16_e32 vcc_lo, 5, v4
	s_mov_b32 s23, -1
	s_cbranch_vccnz .LBB536_763
; %bb.743:
	v_cmp_gt_i16_e32 vcc_lo, 8, v4
	s_cbranch_vccnz .LBB536_753
; %bb.744:
	v_cmp_gt_i16_e32 vcc_lo, 9, v4
	s_cbranch_vccnz .LBB536_750
; %bb.745:
	v_cmp_lt_i16_e32 vcc_lo, 9, v4
	s_cbranch_vccz .LBB536_747
; %bb.746:
	v_mov_b32_e32 v7, 0
	v_lshlrev_b32_e32 v5, 16, v3
	s_mov_b32 s23, 0
	s_delay_alu instid0(VALU_DEP_2) | instskip(NEXT) | instid1(VALU_DEP_2)
	v_mov_b32_e32 v8, v7
	v_cvt_f64_f32_e32 v[5:6], v5
	global_store_b128 v[0:1], v[5:8], off
.LBB536_747:
	s_and_not1_b32 vcc_lo, exec_lo, s23
	s_cbranch_vccnz .LBB536_749
; %bb.748:
	v_dual_mov_b32 v6, 0 :: v_dual_lshlrev_b32 v5, 16, v3
	global_store_b64 v[0:1], v[5:6], off
.LBB536_749:
	s_mov_b32 s23, 0
.LBB536_750:
	s_delay_alu instid0(SALU_CYCLE_1)
	s_and_not1_b32 vcc_lo, exec_lo, s23
	s_cbranch_vccnz .LBB536_752
; %bb.751:
	v_lshlrev_b32_e32 v5, 16, v3
	s_delay_alu instid0(VALU_DEP_1) | instskip(NEXT) | instid1(VALU_DEP_1)
	v_cvt_f16_f32_e32 v5, v5
	v_and_b32_e32 v5, 0xffff, v5
	global_store_b32 v[0:1], v5, off
.LBB536_752:
	s_mov_b32 s23, 0
.LBB536_753:
	s_delay_alu instid0(SALU_CYCLE_1)
	s_and_not1_b32 vcc_lo, exec_lo, s23
	s_cbranch_vccnz .LBB536_762
; %bb.754:
	v_cmp_gt_i16_e32 vcc_lo, 6, v4
	s_mov_b32 s23, -1
	s_cbranch_vccnz .LBB536_760
; %bb.755:
	v_cmp_lt_i16_e32 vcc_lo, 6, v4
	s_cbranch_vccz .LBB536_757
; %bb.756:
	v_lshlrev_b32_e32 v5, 16, v3
	s_mov_b32 s23, 0
	s_delay_alu instid0(VALU_DEP_1)
	v_cvt_f64_f32_e32 v[5:6], v5
	global_store_b64 v[0:1], v[5:6], off
.LBB536_757:
	s_and_not1_b32 vcc_lo, exec_lo, s23
	s_cbranch_vccnz .LBB536_759
; %bb.758:
	v_lshlrev_b32_e32 v5, 16, v3
	global_store_b32 v[0:1], v5, off
.LBB536_759:
	s_mov_b32 s23, 0
.LBB536_760:
	s_delay_alu instid0(SALU_CYCLE_1)
	s_and_not1_b32 vcc_lo, exec_lo, s23
	s_cbranch_vccnz .LBB536_762
; %bb.761:
	v_lshlrev_b32_e32 v5, 16, v3
	s_delay_alu instid0(VALU_DEP_1)
	v_cvt_f16_f32_e32 v5, v5
	global_store_b16 v[0:1], v5, off
.LBB536_762:
	s_mov_b32 s23, 0
.LBB536_763:
	s_delay_alu instid0(SALU_CYCLE_1)
	s_and_not1_b32 vcc_lo, exec_lo, s23
	s_cbranch_vccnz .LBB536_779
; %bb.764:
	v_cmp_gt_i16_e32 vcc_lo, 2, v4
	s_mov_b32 s23, -1
	s_cbranch_vccnz .LBB536_774
; %bb.765:
	v_cmp_gt_i16_e32 vcc_lo, 3, v4
	s_cbranch_vccnz .LBB536_771
; %bb.766:
	v_cmp_lt_i16_e32 vcc_lo, 3, v4
	s_cbranch_vccz .LBB536_768
; %bb.767:
	v_lshlrev_b32_e32 v5, 16, v3
	s_mov_b32 s23, 0
	s_delay_alu instid0(VALU_DEP_1) | instskip(NEXT) | instid1(VALU_DEP_1)
	v_trunc_f32_e32 v5, v5
	v_mul_f32_e64 v6, 0x2f800000, |v5|
	v_ashrrev_i32_e32 v8, 31, v5
	s_delay_alu instid0(VALU_DEP_2) | instskip(NEXT) | instid1(VALU_DEP_1)
	v_floor_f32_e32 v6, v6
	v_fma_f32 v7, 0xcf800000, v6, |v5|
	v_cvt_u32_f32_e32 v6, v6
	s_delay_alu instid0(VALU_DEP_2) | instskip(NEXT) | instid1(VALU_DEP_2)
	v_cvt_u32_f32_e32 v5, v7
	v_xor_b32_e32 v6, v6, v8
	s_delay_alu instid0(VALU_DEP_2) | instskip(NEXT) | instid1(VALU_DEP_1)
	v_xor_b32_e32 v5, v5, v8
	v_sub_co_u32 v5, vcc_lo, v5, v8
	s_delay_alu instid0(VALU_DEP_3)
	v_sub_co_ci_u32_e32 v6, vcc_lo, v6, v8, vcc_lo
	global_store_b64 v[0:1], v[5:6], off
.LBB536_768:
	s_and_not1_b32 vcc_lo, exec_lo, s23
	s_cbranch_vccnz .LBB536_770
; %bb.769:
	v_lshlrev_b32_e32 v5, 16, v3
	s_delay_alu instid0(VALU_DEP_1)
	v_cvt_i32_f32_e32 v5, v5
	global_store_b32 v[0:1], v5, off
.LBB536_770:
	s_mov_b32 s23, 0
.LBB536_771:
	s_delay_alu instid0(SALU_CYCLE_1)
	s_and_not1_b32 vcc_lo, exec_lo, s23
	s_cbranch_vccnz .LBB536_773
; %bb.772:
	v_lshlrev_b32_e32 v5, 16, v3
	s_delay_alu instid0(VALU_DEP_1)
	v_cvt_i32_f32_e32 v5, v5
	global_store_b16 v[0:1], v5, off
.LBB536_773:
	s_mov_b32 s23, 0
.LBB536_774:
	s_delay_alu instid0(SALU_CYCLE_1)
	s_and_not1_b32 vcc_lo, exec_lo, s23
	s_cbranch_vccnz .LBB536_779
; %bb.775:
	v_cmp_lt_i16_e32 vcc_lo, 0, v4
	s_mov_b32 s23, -1
	s_cbranch_vccz .LBB536_777
; %bb.776:
	v_lshlrev_b32_e32 v4, 16, v3
	s_mov_b32 s23, 0
	s_delay_alu instid0(VALU_DEP_1)
	v_cvt_i32_f32_e32 v4, v4
	global_store_b8 v[0:1], v4, off
.LBB536_777:
	s_and_not1_b32 vcc_lo, exec_lo, s23
	s_cbranch_vccnz .LBB536_779
; %bb.778:
	v_lshlrev_b32_e32 v3, 16, v3
	s_delay_alu instid0(VALU_DEP_1) | instskip(NEXT) | instid1(VALU_DEP_1)
	v_trunc_f32_e32 v3, v3
	v_mul_f32_e64 v4, 0x2f800000, |v3|
	s_delay_alu instid0(VALU_DEP_1) | instskip(NEXT) | instid1(VALU_DEP_1)
	v_floor_f32_e32 v4, v4
	v_fma_f32 v4, 0xcf800000, v4, |v3|
	v_ashrrev_i32_e32 v3, 31, v3
	s_delay_alu instid0(VALU_DEP_2) | instskip(NEXT) | instid1(VALU_DEP_1)
	v_cvt_u32_f32_e32 v4, v4
	v_xor_b32_e32 v4, v4, v3
	s_delay_alu instid0(VALU_DEP_1)
	v_sub_nc_u32_e32 v3, v4, v3
	global_store_b8 v[0:1], v3, off
.LBB536_779:
	s_mov_b32 s23, -1
.LBB536_780:
	s_delay_alu instid0(SALU_CYCLE_1)
	s_and_not1_b32 vcc_lo, exec_lo, s23
	s_cbranch_vccnz .LBB536_782
; %bb.781:
	v_add_nc_u32_e32 v2, 0x80, v2
	s_mov_b32 s23, -1
	s_branch .LBB536_784
.LBB536_782:
	s_mov_b32 s23, 0
.LBB536_783:
                                        ; implicit-def: $vgpr2
.LBB536_784:
	s_and_not1_b32 s24, s19, exec_lo
	s_and_b32 s0, s0, exec_lo
	s_and_not1_b32 s25, s18, exec_lo
	s_and_b32 s26, s22, exec_lo
	s_or_b32 s22, s24, s0
	s_or_b32 s0, s25, s26
	s_or_not1_b32 s23, s23, exec_lo
.LBB536_785:
	s_or_b32 exec_lo, exec_lo, s21
	s_mov_b32 s24, 0
	s_mov_b32 s25, 0
	;; [unrolled: 1-line block ×3, first 2 shown]
                                        ; implicit-def: $vgpr0_vgpr1
                                        ; implicit-def: $vgpr5
	s_and_saveexec_b32 s21, s23
	s_cbranch_execz .LBB536_870
; %bb.786:
	v_cmp_gt_i32_e32 vcc_lo, s16, v2
	s_mov_b32 s23, 0
	s_mov_b32 s24, s0
                                        ; implicit-def: $vgpr0_vgpr1
                                        ; implicit-def: $vgpr5
	s_and_saveexec_b32 s16, vcc_lo
	s_cbranch_execz .LBB536_869
; %bb.787:
	v_mul_lo_u32 v0, v2, s9
	v_cmp_lt_i16_e64 s23, s3, 11
	s_delay_alu instid0(VALU_DEP_2) | instskip(SKIP_1) | instid1(VALU_DEP_2)
	v_ashrrev_i32_e32 v1, 31, v0
	v_add_co_u32 v0, vcc_lo, s6, v0
	v_add_co_ci_u32_e32 v1, vcc_lo, s7, v1, vcc_lo
	s_delay_alu instid0(VALU_DEP_4)
	s_and_b32 vcc_lo, exec_lo, s23
	s_cbranch_vccnz .LBB536_794
; %bb.788:
	v_cmp_gt_i16_e64 s23, s3, 25
	s_mov_b32 s24, 0
	s_delay_alu instid0(VALU_DEP_1)
	s_and_b32 vcc_lo, exec_lo, s23
	s_cbranch_vccz .LBB536_795
; %bb.789:
	v_cmp_gt_i16_e64 s23, s3, 28
	s_delay_alu instid0(VALU_DEP_1)
	s_and_b32 vcc_lo, exec_lo, s23
	s_cbranch_vccz .LBB536_796
; %bb.790:
	v_cmp_gt_i16_e64 s23, s3, 43
	;; [unrolled: 5-line block ×3, first 2 shown]
	s_delay_alu instid0(VALU_DEP_1)
	s_and_b32 vcc_lo, exec_lo, s23
	s_cbranch_vccz .LBB536_800
; %bb.792:
	v_cmp_eq_u16_e64 s23, s3, 46
	s_delay_alu instid0(VALU_DEP_1)
	s_and_b32 vcc_lo, exec_lo, s23
	s_cbranch_vccz .LBB536_803
; %bb.793:
	global_load_b32 v5, v[0:1], off
	s_mov_b32 s23, 0
	s_mov_b32 s25, -1
	s_branch .LBB536_805
.LBB536_794:
	s_mov_b32 s27, -1
	s_mov_b32 s24, 0
	s_mov_b32 s23, s0
                                        ; implicit-def: $vgpr5
	s_branch .LBB536_868
.LBB536_795:
	s_mov_b32 s26, -1
	s_mov_b32 s23, s0
                                        ; implicit-def: $vgpr5
	s_branch .LBB536_834
.LBB536_796:
	s_mov_b32 s26, -1
	s_mov_b32 s23, s0
                                        ; implicit-def: $vgpr5
	s_branch .LBB536_815
.LBB536_797:
	s_mov_b32 s26, -1
	s_mov_b32 s23, s0
                                        ; implicit-def: $vgpr5
	s_branch .LBB536_810
.LBB536_798:
	s_or_saveexec_b32 s25, s25
                                        ; implicit-def: $sgpr26
	s_delay_alu instid0(SALU_CYCLE_1)
	s_xor_b32 exec_lo, exec_lo, s25
	s_cbranch_execz .LBB536_693
.LBB536_799:
	v_add_f32_e64 v6, 0x46000000, |v7|
	s_and_not1_b32 s24, s24, exec_lo
	s_mov_b32 s26, 0
	s_delay_alu instid0(VALU_DEP_1) | instskip(NEXT) | instid1(VALU_DEP_1)
	v_and_b32_e32 v6, 0xff, v6
	v_cmp_ne_u32_e32 vcc_lo, 0, v6
	s_and_b32 s27, vcc_lo, exec_lo
	s_delay_alu instid0(SALU_CYCLE_1)
	s_or_b32 s24, s24, s27
	s_or_b32 exec_lo, exec_lo, s25
	v_mov_b32_e32 v8, s26
	s_and_saveexec_b32 s25, s24
	s_cbranch_execnz .LBB536_694
	s_branch .LBB536_695
.LBB536_800:
	s_mov_b32 s26, -1
	s_mov_b32 s23, s0
	s_branch .LBB536_804
.LBB536_801:
	s_or_saveexec_b32 s25, s25
                                        ; implicit-def: $sgpr26
	s_delay_alu instid0(SALU_CYCLE_1)
	s_xor_b32 exec_lo, exec_lo, s25
	s_cbranch_execz .LBB536_706
.LBB536_802:
	v_add_f32_e64 v6, 0x42800000, |v7|
	s_and_not1_b32 s24, s24, exec_lo
	s_mov_b32 s26, 0
	s_delay_alu instid0(VALU_DEP_1) | instskip(NEXT) | instid1(VALU_DEP_1)
	v_and_b32_e32 v6, 0xff, v6
	v_cmp_ne_u32_e32 vcc_lo, 0, v6
	s_and_b32 s27, vcc_lo, exec_lo
	s_delay_alu instid0(SALU_CYCLE_1)
	s_or_b32 s24, s24, s27
	s_or_b32 exec_lo, exec_lo, s25
	v_mov_b32_e32 v8, s26
	s_and_saveexec_b32 s25, s24
	s_cbranch_execnz .LBB536_707
	s_branch .LBB536_708
.LBB536_803:
	s_mov_b32 s23, -1
.LBB536_804:
                                        ; implicit-def: $vgpr5
.LBB536_805:
	s_and_b32 vcc_lo, exec_lo, s26
	s_cbranch_vccz .LBB536_809
; %bb.806:
	v_cmp_eq_u16_e64 s23, s3, 44
	s_delay_alu instid0(VALU_DEP_1)
	s_and_b32 vcc_lo, exec_lo, s23
	s_cbranch_vccz .LBB536_808
; %bb.807:
	global_load_u8 v3, v[0:1], off
	s_mov_b32 s23, 0
	s_mov_b32 s25, -1
	s_waitcnt vmcnt(0)
	v_lshlrev_b32_e32 v4, 23, v3
	v_cmp_ne_u32_e32 vcc_lo, 0xff, v3
	s_delay_alu instid0(VALU_DEP_2) | instskip(SKIP_1) | instid1(VALU_DEP_2)
	v_cndmask_b32_e32 v4, 0x7f800001, v4, vcc_lo
	v_cmp_ne_u32_e32 vcc_lo, 0, v3
	v_cndmask_b32_e32 v3, 0x400000, v4, vcc_lo
	s_delay_alu instid0(VALU_DEP_1) | instskip(SKIP_1) | instid1(VALU_DEP_2)
	v_add_nc_u32_e32 v4, 0x7fff, v3
	v_cmp_o_f32_e32 vcc_lo, v3, v3
	v_lshrrev_b32_e32 v4, 16, v4
	s_delay_alu instid0(VALU_DEP_1)
	v_cndmask_b32_e32 v5, 0x7fc0, v4, vcc_lo
	s_branch .LBB536_809
.LBB536_808:
	s_mov_b32 s23, -1
                                        ; implicit-def: $vgpr5
.LBB536_809:
	s_mov_b32 s26, 0
.LBB536_810:
	s_delay_alu instid0(SALU_CYCLE_1)
	s_and_b32 vcc_lo, exec_lo, s26
	s_cbranch_vccz .LBB536_814
; %bb.811:
	v_cmp_eq_u16_e64 s23, s3, 29
	s_delay_alu instid0(VALU_DEP_1)
	s_and_b32 vcc_lo, exec_lo, s23
	s_cbranch_vccz .LBB536_813
; %bb.812:
	global_load_b64 v[3:4], v[0:1], off
	s_mov_b32 s23, 0
	s_mov_b32 s25, -1
	s_mov_b32 s26, 0
	s_waitcnt vmcnt(0)
	v_clz_i32_u32_e32 v5, v4
	s_delay_alu instid0(VALU_DEP_1) | instskip(NEXT) | instid1(VALU_DEP_1)
	v_min_u32_e32 v5, 32, v5
	v_lshlrev_b64 v[3:4], v5, v[3:4]
	s_delay_alu instid0(VALU_DEP_1) | instskip(NEXT) | instid1(VALU_DEP_1)
	v_min_u32_e32 v3, 1, v3
	v_or_b32_e32 v3, v4, v3
	v_sub_nc_u32_e32 v4, 32, v5
	s_delay_alu instid0(VALU_DEP_2) | instskip(NEXT) | instid1(VALU_DEP_1)
	v_cvt_f32_u32_e32 v3, v3
	v_ldexp_f32 v3, v3, v4
	s_delay_alu instid0(VALU_DEP_1) | instskip(NEXT) | instid1(VALU_DEP_1)
	v_bfe_u32 v4, v3, 16, 1
	v_add3_u32 v3, v3, v4, 0x7fff
	s_delay_alu instid0(VALU_DEP_1)
	v_lshrrev_b32_e32 v5, 16, v3
	s_branch .LBB536_815
.LBB536_813:
	s_mov_b32 s23, -1
                                        ; implicit-def: $vgpr5
.LBB536_814:
	s_mov_b32 s26, 0
.LBB536_815:
	s_delay_alu instid0(SALU_CYCLE_1)
	s_and_b32 vcc_lo, exec_lo, s26
	s_cbranch_vccz .LBB536_833
; %bb.816:
	v_cmp_lt_i16_e64 s25, s3, 27
	s_delay_alu instid0(VALU_DEP_1)
	s_and_b32 vcc_lo, exec_lo, s25
	s_cbranch_vccnz .LBB536_819
; %bb.817:
	v_cmp_gt_i16_e64 s25, s3, 27
	s_delay_alu instid0(VALU_DEP_1)
	s_and_b32 vcc_lo, exec_lo, s25
	s_cbranch_vccz .LBB536_820
; %bb.818:
	global_load_b32 v3, v[0:1], off
	s_mov_b32 s25, 0
	s_waitcnt vmcnt(0)
	v_cvt_f32_u32_e32 v3, v3
	s_delay_alu instid0(VALU_DEP_1) | instskip(NEXT) | instid1(VALU_DEP_1)
	v_bfe_u32 v4, v3, 16, 1
	v_add3_u32 v3, v3, v4, 0x7fff
	s_delay_alu instid0(VALU_DEP_1)
	v_lshrrev_b32_e32 v5, 16, v3
	s_branch .LBB536_821
.LBB536_819:
	s_mov_b32 s25, -1
                                        ; implicit-def: $vgpr5
	s_branch .LBB536_824
.LBB536_820:
	s_mov_b32 s25, -1
                                        ; implicit-def: $vgpr5
.LBB536_821:
	s_delay_alu instid0(SALU_CYCLE_1)
	s_and_not1_b32 vcc_lo, exec_lo, s25
	s_cbranch_vccnz .LBB536_823
; %bb.822:
	global_load_u16 v3, v[0:1], off
	s_waitcnt vmcnt(0)
	v_cvt_f32_u32_e32 v3, v3
	s_delay_alu instid0(VALU_DEP_1) | instskip(NEXT) | instid1(VALU_DEP_1)
	v_bfe_u32 v4, v3, 16, 1
	v_add3_u32 v3, v3, v4, 0x7fff
	s_delay_alu instid0(VALU_DEP_1)
	v_lshrrev_b32_e32 v5, 16, v3
.LBB536_823:
	s_mov_b32 s25, 0
.LBB536_824:
	s_delay_alu instid0(SALU_CYCLE_1)
	s_and_not1_b32 vcc_lo, exec_lo, s25
	s_cbranch_vccnz .LBB536_832
; %bb.825:
	global_load_u8 v3, v[0:1], off
	s_mov_b32 s25, 0
	s_mov_b32 s27, exec_lo
                                        ; implicit-def: $sgpr26
	s_waitcnt vmcnt(0)
	v_cmpx_lt_i16_e32 0x7f, v3
	s_xor_b32 s27, exec_lo, s27
	s_cbranch_execz .LBB536_846
; %bb.826:
	s_mov_b32 s25, -1
	s_mov_b32 s28, exec_lo
                                        ; implicit-def: $sgpr26
	v_cmpx_eq_u16_e32 0x80, v3
; %bb.827:
	s_mov_b32 s26, 0x7f800001
	s_xor_b32 s25, exec_lo, -1
; %bb.828:
	s_or_b32 exec_lo, exec_lo, s28
	s_delay_alu instid0(SALU_CYCLE_1)
	s_and_b32 s25, s25, exec_lo
	s_or_saveexec_b32 s27, s27
	v_mov_b32_e32 v4, s26
	s_xor_b32 exec_lo, exec_lo, s27
	s_cbranch_execnz .LBB536_847
.LBB536_829:
	s_or_b32 exec_lo, exec_lo, s27
	s_and_saveexec_b32 s26, s25
	s_cbranch_execz .LBB536_831
.LBB536_830:
	v_and_b32_e32 v4, 0xffff, v3
	v_lshlrev_b32_e32 v3, 24, v3
	s_delay_alu instid0(VALU_DEP_2) | instskip(NEXT) | instid1(VALU_DEP_2)
	v_and_b32_e32 v5, 7, v4
	v_and_b32_e32 v3, 0x80000000, v3
	s_delay_alu instid0(VALU_DEP_2) | instskip(NEXT) | instid1(VALU_DEP_1)
	v_clz_i32_u32_e32 v6, v5
	v_min_u32_e32 v6, 32, v6
	s_delay_alu instid0(VALU_DEP_1) | instskip(SKIP_1) | instid1(VALU_DEP_2)
	v_subrev_nc_u32_e32 v7, 28, v6
	v_sub_nc_u32_e32 v6, 29, v6
	v_lshlrev_b32_e32 v7, v7, v4
	v_bfe_u32 v4, v4, 3, 4
	s_delay_alu instid0(VALU_DEP_2) | instskip(NEXT) | instid1(VALU_DEP_2)
	v_and_b32_e32 v7, 7, v7
	v_cmp_eq_u32_e32 vcc_lo, 0, v4
	s_delay_alu instid0(VALU_DEP_2) | instskip(NEXT) | instid1(VALU_DEP_1)
	v_dual_cndmask_b32 v4, v4, v6 :: v_dual_cndmask_b32 v5, v5, v7
	v_lshl_add_u32 v4, v4, 23, 0x3b800000
	s_delay_alu instid0(VALU_DEP_2) | instskip(NEXT) | instid1(VALU_DEP_1)
	v_lshlrev_b32_e32 v5, 20, v5
	v_or3_b32 v4, v3, v4, v5
.LBB536_831:
	s_or_b32 exec_lo, exec_lo, s26
	s_delay_alu instid0(VALU_DEP_1) | instskip(SKIP_1) | instid1(VALU_DEP_2)
	v_bfe_u32 v3, v4, 16, 1
	v_cmp_o_f32_e32 vcc_lo, v4, v4
	v_add3_u32 v3, v4, v3, 0x7fff
	s_delay_alu instid0(VALU_DEP_1) | instskip(NEXT) | instid1(VALU_DEP_1)
	v_lshrrev_b32_e32 v3, 16, v3
	v_cndmask_b32_e32 v5, 0x7fc0, v3, vcc_lo
.LBB536_832:
	s_mov_b32 s25, -1
.LBB536_833:
	s_mov_b32 s26, 0
.LBB536_834:
	s_delay_alu instid0(SALU_CYCLE_1)
	s_and_b32 vcc_lo, exec_lo, s26
	s_cbranch_vccz .LBB536_867
; %bb.835:
	v_cmp_gt_i16_e64 s24, s3, 22
	s_delay_alu instid0(VALU_DEP_1)
	s_and_b32 vcc_lo, exec_lo, s24
	s_cbranch_vccz .LBB536_845
; %bb.836:
	v_cmp_lt_i16_e64 s24, s3, 24
	s_delay_alu instid0(VALU_DEP_1)
	s_and_b32 vcc_lo, exec_lo, s24
	s_cbranch_vccnz .LBB536_848
; %bb.837:
	v_cmp_gt_i16_e64 s24, s3, 24
	s_delay_alu instid0(VALU_DEP_1)
	s_and_b32 vcc_lo, exec_lo, s24
	s_cbranch_vccz .LBB536_849
; %bb.838:
	global_load_u8 v3, v[0:1], off
	s_mov_b32 s24, 0
	s_mov_b32 s26, exec_lo
                                        ; implicit-def: $sgpr25
	s_waitcnt vmcnt(0)
	v_cmpx_lt_i16_e32 0x7f, v3
	s_xor_b32 s26, exec_lo, s26
	s_cbranch_execz .LBB536_861
; %bb.839:
	s_mov_b32 s24, -1
	s_mov_b32 s27, exec_lo
                                        ; implicit-def: $sgpr25
	v_cmpx_eq_u16_e32 0x80, v3
; %bb.840:
	s_mov_b32 s25, 0x7f800001
	s_xor_b32 s24, exec_lo, -1
; %bb.841:
	s_or_b32 exec_lo, exec_lo, s27
	s_delay_alu instid0(SALU_CYCLE_1)
	s_and_b32 s24, s24, exec_lo
	s_or_saveexec_b32 s26, s26
	v_mov_b32_e32 v4, s25
	s_xor_b32 exec_lo, exec_lo, s26
	s_cbranch_execnz .LBB536_862
.LBB536_842:
	s_or_b32 exec_lo, exec_lo, s26
	s_and_saveexec_b32 s25, s24
	s_cbranch_execz .LBB536_844
.LBB536_843:
	v_and_b32_e32 v4, 0xffff, v3
	v_lshlrev_b32_e32 v3, 24, v3
	s_delay_alu instid0(VALU_DEP_2) | instskip(NEXT) | instid1(VALU_DEP_2)
	v_and_b32_e32 v5, 3, v4
	v_and_b32_e32 v3, 0x80000000, v3
	s_delay_alu instid0(VALU_DEP_2) | instskip(NEXT) | instid1(VALU_DEP_1)
	v_clz_i32_u32_e32 v6, v5
	v_min_u32_e32 v6, 32, v6
	s_delay_alu instid0(VALU_DEP_1) | instskip(SKIP_1) | instid1(VALU_DEP_2)
	v_subrev_nc_u32_e32 v7, 29, v6
	v_sub_nc_u32_e32 v6, 30, v6
	v_lshlrev_b32_e32 v7, v7, v4
	v_bfe_u32 v4, v4, 2, 5
	s_delay_alu instid0(VALU_DEP_2) | instskip(NEXT) | instid1(VALU_DEP_2)
	v_and_b32_e32 v7, 3, v7
	v_cmp_eq_u32_e32 vcc_lo, 0, v4
	s_delay_alu instid0(VALU_DEP_2) | instskip(NEXT) | instid1(VALU_DEP_1)
	v_dual_cndmask_b32 v4, v4, v6 :: v_dual_cndmask_b32 v5, v5, v7
	v_lshl_add_u32 v4, v4, 23, 0x37800000
	s_delay_alu instid0(VALU_DEP_2) | instskip(NEXT) | instid1(VALU_DEP_1)
	v_lshlrev_b32_e32 v5, 21, v5
	v_or3_b32 v4, v3, v4, v5
.LBB536_844:
	s_or_b32 exec_lo, exec_lo, s25
	s_delay_alu instid0(VALU_DEP_1) | instskip(SKIP_2) | instid1(VALU_DEP_2)
	v_bfe_u32 v3, v4, 16, 1
	v_cmp_o_f32_e32 vcc_lo, v4, v4
	s_mov_b32 s24, 0
	v_add3_u32 v3, v4, v3, 0x7fff
	s_delay_alu instid0(VALU_DEP_1) | instskip(NEXT) | instid1(VALU_DEP_1)
	v_lshrrev_b32_e32 v3, 16, v3
	v_cndmask_b32_e32 v5, 0x7fc0, v3, vcc_lo
	s_branch .LBB536_850
.LBB536_845:
	s_mov_b32 s24, -1
                                        ; implicit-def: $vgpr5
	s_branch .LBB536_856
.LBB536_846:
	s_or_saveexec_b32 s27, s27
	v_mov_b32_e32 v4, s26
	s_xor_b32 exec_lo, exec_lo, s27
	s_cbranch_execz .LBB536_829
.LBB536_847:
	v_cmp_ne_u16_e32 vcc_lo, 0, v3
	v_mov_b32_e32 v4, 0
	s_and_not1_b32 s25, s25, exec_lo
	s_and_b32 s26, vcc_lo, exec_lo
	s_delay_alu instid0(SALU_CYCLE_1)
	s_or_b32 s25, s25, s26
	s_or_b32 exec_lo, exec_lo, s27
	s_and_saveexec_b32 s26, s25
	s_cbranch_execnz .LBB536_830
	s_branch .LBB536_831
.LBB536_848:
	s_mov_b32 s24, -1
                                        ; implicit-def: $vgpr5
	s_branch .LBB536_853
.LBB536_849:
	s_mov_b32 s24, -1
                                        ; implicit-def: $vgpr5
.LBB536_850:
	s_delay_alu instid0(SALU_CYCLE_1)
	s_and_b32 vcc_lo, exec_lo, s24
	s_cbranch_vccz .LBB536_852
; %bb.851:
	global_load_u8 v3, v[0:1], off
	s_waitcnt vmcnt(0)
	v_lshlrev_b32_e32 v3, 24, v3
	s_delay_alu instid0(VALU_DEP_1) | instskip(NEXT) | instid1(VALU_DEP_1)
	v_and_b32_e32 v4, 0x7f000000, v3
	v_clz_i32_u32_e32 v5, v4
	v_add_nc_u32_e32 v7, 0x1000000, v4
	v_cmp_ne_u32_e32 vcc_lo, 0, v4
	s_delay_alu instid0(VALU_DEP_3) | instskip(NEXT) | instid1(VALU_DEP_1)
	v_min_u32_e32 v5, 32, v5
	v_sub_nc_u32_e64 v5, v5, 4 clamp
	s_delay_alu instid0(VALU_DEP_1) | instskip(SKIP_1) | instid1(VALU_DEP_2)
	v_lshlrev_b32_e32 v6, v5, v4
	v_lshlrev_b32_e32 v5, 23, v5
	v_lshrrev_b32_e32 v6, 4, v6
	s_delay_alu instid0(VALU_DEP_1) | instskip(SKIP_1) | instid1(VALU_DEP_2)
	v_sub_nc_u32_e32 v5, v6, v5
	v_ashrrev_i32_e32 v6, 8, v7
	v_add_nc_u32_e32 v5, 0x3c000000, v5
	s_delay_alu instid0(VALU_DEP_1) | instskip(NEXT) | instid1(VALU_DEP_1)
	v_and_or_b32 v5, 0x7f800000, v6, v5
	v_cndmask_b32_e32 v4, 0, v5, vcc_lo
	s_delay_alu instid0(VALU_DEP_1) | instskip(SKIP_1) | instid1(VALU_DEP_2)
	v_and_or_b32 v3, 0x80000000, v3, v4
	v_bfe_u32 v4, v4, 16, 1
	v_cmp_o_f32_e32 vcc_lo, v3, v3
	s_delay_alu instid0(VALU_DEP_2) | instskip(NEXT) | instid1(VALU_DEP_1)
	v_add3_u32 v4, v3, v4, 0x7fff
	v_lshrrev_b32_e32 v4, 16, v4
	s_delay_alu instid0(VALU_DEP_1)
	v_cndmask_b32_e32 v5, 0x7fc0, v4, vcc_lo
.LBB536_852:
	s_mov_b32 s24, 0
.LBB536_853:
	s_delay_alu instid0(SALU_CYCLE_1)
	s_and_not1_b32 vcc_lo, exec_lo, s24
	s_cbranch_vccnz .LBB536_855
; %bb.854:
	global_load_u8 v3, v[0:1], off
	s_waitcnt vmcnt(0)
	v_lshlrev_b32_e32 v4, 25, v3
	v_lshlrev_b16 v3, 8, v3
	s_delay_alu instid0(VALU_DEP_2) | instskip(NEXT) | instid1(VALU_DEP_2)
	v_lshrrev_b32_e32 v5, 4, v4
	v_and_or_b32 v6, 0x7f00, v3, 0.5
	v_bfe_i32 v3, v3, 0, 16
	s_delay_alu instid0(VALU_DEP_3) | instskip(NEXT) | instid1(VALU_DEP_1)
	v_or_b32_e32 v5, 0x70000000, v5
	v_dual_add_f32 v6, -0.5, v6 :: v_dual_mul_f32 v5, 0x7800000, v5
	v_cmp_gt_u32_e32 vcc_lo, 0x8000000, v4
	s_delay_alu instid0(VALU_DEP_2) | instskip(NEXT) | instid1(VALU_DEP_1)
	v_cndmask_b32_e32 v4, v5, v6, vcc_lo
	v_and_or_b32 v3, 0x80000000, v3, v4
	v_bfe_u32 v4, v4, 16, 1
	s_delay_alu instid0(VALU_DEP_2) | instskip(NEXT) | instid1(VALU_DEP_2)
	v_cmp_o_f32_e32 vcc_lo, v3, v3
	v_add3_u32 v4, v3, v4, 0x7fff
	s_delay_alu instid0(VALU_DEP_1) | instskip(NEXT) | instid1(VALU_DEP_1)
	v_lshrrev_b32_e32 v4, 16, v4
	v_cndmask_b32_e32 v5, 0x7fc0, v4, vcc_lo
.LBB536_855:
	s_mov_b32 s24, 0
	s_mov_b32 s25, -1
.LBB536_856:
	s_and_not1_b32 vcc_lo, exec_lo, s24
	s_mov_b32 s24, 0
	s_cbranch_vccnz .LBB536_867
; %bb.857:
	v_cmp_gt_i16_e64 s24, s3, 14
	s_delay_alu instid0(VALU_DEP_1)
	s_and_b32 vcc_lo, exec_lo, s24
	s_cbranch_vccz .LBB536_860
; %bb.858:
	v_cmp_eq_u16_e64 s23, s3, 15
	s_delay_alu instid0(VALU_DEP_1)
	s_and_b32 vcc_lo, exec_lo, s23
	s_cbranch_vccz .LBB536_863
; %bb.859:
	global_load_u16 v5, v[0:1], off
	s_mov_b32 s23, 0
	s_mov_b32 s25, -1
	s_branch .LBB536_864
.LBB536_860:
	s_mov_b32 s24, -1
                                        ; implicit-def: $vgpr5
	s_branch .LBB536_865
.LBB536_861:
	s_or_saveexec_b32 s26, s26
	v_mov_b32_e32 v4, s25
	s_xor_b32 exec_lo, exec_lo, s26
	s_cbranch_execz .LBB536_842
.LBB536_862:
	v_cmp_ne_u16_e32 vcc_lo, 0, v3
	v_mov_b32_e32 v4, 0
	s_and_not1_b32 s24, s24, exec_lo
	s_and_b32 s25, vcc_lo, exec_lo
	s_delay_alu instid0(SALU_CYCLE_1)
	s_or_b32 s24, s24, s25
	s_or_b32 exec_lo, exec_lo, s26
	s_and_saveexec_b32 s25, s24
	s_cbranch_execnz .LBB536_843
	s_branch .LBB536_844
.LBB536_863:
	s_mov_b32 s23, -1
                                        ; implicit-def: $vgpr5
.LBB536_864:
	s_mov_b32 s24, 0
.LBB536_865:
	s_delay_alu instid0(SALU_CYCLE_1)
	s_and_b32 vcc_lo, exec_lo, s24
	s_mov_b32 s24, 0
	s_cbranch_vccz .LBB536_867
; %bb.866:
	v_cmp_ne_u16_e64 s24, s3, 11
	s_and_not1_b32 s23, s23, exec_lo
                                        ; implicit-def: $vgpr5
	s_delay_alu instid0(VALU_DEP_1)
	s_and_b32 s26, s24, exec_lo
	s_mov_b32 s24, -1
	s_or_b32 s23, s23, s26
.LBB536_867:
	s_mov_b32 s27, 0
.LBB536_868:
	s_and_b32 s26, s25, exec_lo
	s_and_b32 s25, s27, exec_lo
	s_and_not1_b32 s27, s0, exec_lo
	s_and_b32 s28, s23, exec_lo
	s_and_b32 s23, s24, exec_lo
	s_or_b32 s24, s27, s28
.LBB536_869:
	s_or_b32 exec_lo, exec_lo, s16
	s_delay_alu instid0(SALU_CYCLE_1)
	s_and_not1_b32 s0, s0, exec_lo
	s_and_b32 s16, s24, exec_lo
	s_and_b32 s26, s26, exec_lo
	;; [unrolled: 1-line block ×4, first 2 shown]
	s_or_b32 s0, s0, s16
.LBB536_870:
	s_or_b32 exec_lo, exec_lo, s21
	s_delay_alu instid0(SALU_CYCLE_1)
	s_and_not1_b32 s16, s19, exec_lo
	s_and_b32 s19, s22, exec_lo
	s_and_b32 s0, s0, exec_lo
	s_or_b32 s19, s16, s19
	s_and_not1_b32 s16, s18, exec_lo
	s_and_b32 s23, s26, exec_lo
	s_and_b32 s22, s25, exec_lo
	;; [unrolled: 1-line block ×3, first 2 shown]
	s_or_b32 s18, s16, s0
.LBB536_871:
	s_or_b32 exec_lo, exec_lo, s20
	s_delay_alu instid0(SALU_CYCLE_1)
	s_and_not1_b32 s0, s14, exec_lo
	s_and_b32 s14, s19, exec_lo
	s_and_not1_b32 s15, s15, exec_lo
	s_and_b32 s16, s18, exec_lo
	s_or_b32 s14, s0, s14
	s_and_b32 s0, s23, exec_lo
	s_and_b32 s19, s22, exec_lo
	;; [unrolled: 1-line block ×3, first 2 shown]
	s_or_b32 s15, s15, s16
.LBB536_872:
	s_or_b32 exec_lo, exec_lo, s17
	s_mov_b32 s16, 0
	s_and_saveexec_b32 s17, s15
	s_cbranch_execnz .LBB536_884
; %bb.873:
	s_or_b32 exec_lo, exec_lo, s17
	s_and_saveexec_b32 s15, s18
	s_delay_alu instid0(SALU_CYCLE_1)
	s_xor_b32 s15, exec_lo, s15
	s_cbranch_execz .LBB536_875
.LBB536_874:
	global_load_u8 v3, v[0:1], off
	s_or_b32 s0, s0, exec_lo
	s_waitcnt vmcnt(0)
	v_cmp_ne_u16_e32 vcc_lo, 0, v3
	v_cndmask_b32_e64 v3, 0, 1.0, vcc_lo
	s_delay_alu instid0(VALU_DEP_1)
	v_lshrrev_b32_e32 v5, 16, v3
.LBB536_875:
	s_or_b32 exec_lo, exec_lo, s15
	s_and_saveexec_b32 s15, s19
	s_cbranch_execz .LBB536_923
; %bb.876:
	v_cmp_lt_i16_e64 s17, s3, 5
	s_delay_alu instid0(VALU_DEP_1)
	s_and_b32 vcc_lo, exec_lo, s17
	s_cbranch_vccnz .LBB536_881
; %bb.877:
	v_cmp_lt_i16_e64 s17, s3, 8
	s_delay_alu instid0(VALU_DEP_1)
	s_and_b32 vcc_lo, exec_lo, s17
	s_cbranch_vccnz .LBB536_882
	;; [unrolled: 5-line block ×3, first 2 shown]
; %bb.879:
	v_cmp_gt_i16_e64 s17, s3, 9
	s_delay_alu instid0(VALU_DEP_1)
	s_and_b32 vcc_lo, exec_lo, s17
	s_cbranch_vccz .LBB536_886
; %bb.880:
	global_load_b64 v[3:4], v[0:1], off
	s_mov_b32 s17, 0
	s_waitcnt vmcnt(0)
	v_cvt_f32_f64_e32 v3, v[3:4]
	s_delay_alu instid0(VALU_DEP_1) | instskip(SKIP_1) | instid1(VALU_DEP_2)
	v_bfe_u32 v4, v3, 16, 1
	v_cmp_o_f32_e32 vcc_lo, v3, v3
	v_add3_u32 v4, v3, v4, 0x7fff
	s_delay_alu instid0(VALU_DEP_1) | instskip(NEXT) | instid1(VALU_DEP_1)
	v_lshrrev_b32_e32 v4, 16, v4
	v_cndmask_b32_e32 v5, 0x7fc0, v4, vcc_lo
	s_branch .LBB536_887
.LBB536_881:
                                        ; implicit-def: $vgpr5
	s_branch .LBB536_904
.LBB536_882:
                                        ; implicit-def: $vgpr5
	s_branch .LBB536_893
.LBB536_883:
	s_mov_b32 s17, -1
                                        ; implicit-def: $vgpr5
	s_branch .LBB536_890
.LBB536_884:
	s_cbranch_execnz .LBB536_936
; %bb.885:
	s_mov_b32 s16, exec_lo
	s_and_not1_b32 s18, s18, exec_lo
                                        ; implicit-def: $vgpr5
	s_or_b32 exec_lo, exec_lo, s17
	s_and_saveexec_b32 s15, s18
	s_delay_alu instid0(SALU_CYCLE_1)
	s_xor_b32 s15, exec_lo, s15
	s_cbranch_execnz .LBB536_874
	s_branch .LBB536_875
.LBB536_886:
	s_mov_b32 s17, -1
                                        ; implicit-def: $vgpr5
.LBB536_887:
	s_delay_alu instid0(SALU_CYCLE_1)
	s_and_not1_b32 vcc_lo, exec_lo, s17
	s_cbranch_vccnz .LBB536_889
; %bb.888:
	global_load_b32 v3, v[0:1], off
	s_waitcnt vmcnt(0)
	v_bfe_u32 v4, v3, 16, 1
	v_cmp_o_f32_e32 vcc_lo, v3, v3
	s_delay_alu instid0(VALU_DEP_2) | instskip(NEXT) | instid1(VALU_DEP_1)
	v_add3_u32 v4, v3, v4, 0x7fff
	v_lshrrev_b32_e32 v4, 16, v4
	s_delay_alu instid0(VALU_DEP_1)
	v_cndmask_b32_e32 v5, 0x7fc0, v4, vcc_lo
.LBB536_889:
	s_mov_b32 s17, 0
.LBB536_890:
	s_delay_alu instid0(SALU_CYCLE_1)
	s_and_not1_b32 vcc_lo, exec_lo, s17
	s_cbranch_vccnz .LBB536_892
; %bb.891:
	global_load_b32 v3, v[0:1], off
	s_waitcnt vmcnt(0)
	v_cvt_f32_f16_e32 v4, v3
	v_cmp_o_f16_e32 vcc_lo, v3, v3
	s_delay_alu instid0(VALU_DEP_2) | instskip(NEXT) | instid1(VALU_DEP_1)
	v_bfe_u32 v5, v4, 16, 1
	v_add3_u32 v4, v4, v5, 0x7fff
	s_delay_alu instid0(VALU_DEP_1) | instskip(NEXT) | instid1(VALU_DEP_1)
	v_lshrrev_b32_e32 v4, 16, v4
	v_cndmask_b32_e32 v5, 0x7fc0, v4, vcc_lo
.LBB536_892:
	s_cbranch_execnz .LBB536_903
.LBB536_893:
	v_cmp_lt_i16_e64 s17, s3, 6
	s_delay_alu instid0(VALU_DEP_1)
	s_and_b32 vcc_lo, exec_lo, s17
	s_cbranch_vccnz .LBB536_896
; %bb.894:
	v_cmp_gt_i16_e64 s17, s3, 6
	s_delay_alu instid0(VALU_DEP_1)
	s_and_b32 vcc_lo, exec_lo, s17
	s_cbranch_vccz .LBB536_897
; %bb.895:
	global_load_b64 v[3:4], v[0:1], off
	s_mov_b32 s17, 0
	s_waitcnt vmcnt(0)
	v_cvt_f32_f64_e32 v3, v[3:4]
	s_delay_alu instid0(VALU_DEP_1) | instskip(SKIP_1) | instid1(VALU_DEP_2)
	v_bfe_u32 v4, v3, 16, 1
	v_cmp_o_f32_e32 vcc_lo, v3, v3
	v_add3_u32 v4, v3, v4, 0x7fff
	s_delay_alu instid0(VALU_DEP_1) | instskip(NEXT) | instid1(VALU_DEP_1)
	v_lshrrev_b32_e32 v4, 16, v4
	v_cndmask_b32_e32 v5, 0x7fc0, v4, vcc_lo
	s_branch .LBB536_898
.LBB536_896:
	s_mov_b32 s17, -1
                                        ; implicit-def: $vgpr5
	s_branch .LBB536_901
.LBB536_897:
	s_mov_b32 s17, -1
                                        ; implicit-def: $vgpr5
.LBB536_898:
	s_delay_alu instid0(SALU_CYCLE_1)
	s_and_not1_b32 vcc_lo, exec_lo, s17
	s_cbranch_vccnz .LBB536_900
; %bb.899:
	global_load_b32 v3, v[0:1], off
	s_waitcnt vmcnt(0)
	v_bfe_u32 v4, v3, 16, 1
	v_cmp_o_f32_e32 vcc_lo, v3, v3
	s_delay_alu instid0(VALU_DEP_2) | instskip(NEXT) | instid1(VALU_DEP_1)
	v_add3_u32 v4, v3, v4, 0x7fff
	v_lshrrev_b32_e32 v4, 16, v4
	s_delay_alu instid0(VALU_DEP_1)
	v_cndmask_b32_e32 v5, 0x7fc0, v4, vcc_lo
.LBB536_900:
	s_mov_b32 s17, 0
.LBB536_901:
	s_delay_alu instid0(SALU_CYCLE_1)
	s_and_not1_b32 vcc_lo, exec_lo, s17
	s_cbranch_vccnz .LBB536_903
; %bb.902:
	global_load_u16 v3, v[0:1], off
	s_waitcnt vmcnt(0)
	v_cvt_f32_f16_e32 v4, v3
	v_cmp_o_f16_e32 vcc_lo, v3, v3
	s_delay_alu instid0(VALU_DEP_2) | instskip(NEXT) | instid1(VALU_DEP_1)
	v_bfe_u32 v5, v4, 16, 1
	v_add3_u32 v4, v4, v5, 0x7fff
	s_delay_alu instid0(VALU_DEP_1) | instskip(NEXT) | instid1(VALU_DEP_1)
	v_lshrrev_b32_e32 v4, 16, v4
	v_cndmask_b32_e32 v5, 0x7fc0, v4, vcc_lo
.LBB536_903:
	s_cbranch_execnz .LBB536_922
.LBB536_904:
	v_cmp_lt_i16_e64 s17, s3, 2
	s_delay_alu instid0(VALU_DEP_1)
	s_and_b32 vcc_lo, exec_lo, s17
	s_cbranch_vccnz .LBB536_908
; %bb.905:
	v_cmp_lt_i16_e64 s17, s3, 3
	s_delay_alu instid0(VALU_DEP_1)
	s_and_b32 vcc_lo, exec_lo, s17
	s_cbranch_vccnz .LBB536_909
; %bb.906:
	v_cmp_gt_i16_e64 s17, s3, 3
	s_delay_alu instid0(VALU_DEP_1)
	s_and_b32 vcc_lo, exec_lo, s17
	s_cbranch_vccz .LBB536_910
; %bb.907:
	global_load_b64 v[3:4], v[0:1], off
	s_mov_b32 s17, 0
	s_waitcnt vmcnt(0)
	v_xor_b32_e32 v5, v3, v4
	v_cls_i32_e32 v6, v4
	s_delay_alu instid0(VALU_DEP_2) | instskip(NEXT) | instid1(VALU_DEP_2)
	v_ashrrev_i32_e32 v5, 31, v5
	v_add_nc_u32_e32 v6, -1, v6
	s_delay_alu instid0(VALU_DEP_2) | instskip(NEXT) | instid1(VALU_DEP_1)
	v_add_nc_u32_e32 v5, 32, v5
	v_min_u32_e32 v5, v6, v5
	s_delay_alu instid0(VALU_DEP_1) | instskip(NEXT) | instid1(VALU_DEP_1)
	v_lshlrev_b64 v[3:4], v5, v[3:4]
	v_min_u32_e32 v3, 1, v3
	s_delay_alu instid0(VALU_DEP_1) | instskip(SKIP_1) | instid1(VALU_DEP_2)
	v_or_b32_e32 v3, v4, v3
	v_sub_nc_u32_e32 v4, 32, v5
	v_cvt_f32_i32_e32 v3, v3
	s_delay_alu instid0(VALU_DEP_1) | instskip(NEXT) | instid1(VALU_DEP_1)
	v_ldexp_f32 v3, v3, v4
	v_bfe_u32 v4, v3, 16, 1
	s_delay_alu instid0(VALU_DEP_1) | instskip(NEXT) | instid1(VALU_DEP_1)
	v_add3_u32 v3, v3, v4, 0x7fff
	v_lshrrev_b32_e32 v5, 16, v3
	s_branch .LBB536_911
.LBB536_908:
                                        ; implicit-def: $vgpr5
	s_branch .LBB536_917
.LBB536_909:
	s_mov_b32 s17, -1
                                        ; implicit-def: $vgpr5
	s_branch .LBB536_914
.LBB536_910:
	s_mov_b32 s17, -1
                                        ; implicit-def: $vgpr5
.LBB536_911:
	s_delay_alu instid0(SALU_CYCLE_1)
	s_and_not1_b32 vcc_lo, exec_lo, s17
	s_cbranch_vccnz .LBB536_913
; %bb.912:
	global_load_b32 v3, v[0:1], off
	s_waitcnt vmcnt(0)
	v_cvt_f32_i32_e32 v3, v3
	s_delay_alu instid0(VALU_DEP_1) | instskip(NEXT) | instid1(VALU_DEP_1)
	v_bfe_u32 v4, v3, 16, 1
	v_add3_u32 v3, v3, v4, 0x7fff
	s_delay_alu instid0(VALU_DEP_1)
	v_lshrrev_b32_e32 v5, 16, v3
.LBB536_913:
	s_mov_b32 s17, 0
.LBB536_914:
	s_delay_alu instid0(SALU_CYCLE_1)
	s_and_not1_b32 vcc_lo, exec_lo, s17
	s_cbranch_vccnz .LBB536_916
; %bb.915:
	global_load_i16 v3, v[0:1], off
	s_waitcnt vmcnt(0)
	v_cvt_f32_i32_e32 v3, v3
	s_delay_alu instid0(VALU_DEP_1) | instskip(NEXT) | instid1(VALU_DEP_1)
	v_bfe_u32 v4, v3, 16, 1
	v_add3_u32 v3, v3, v4, 0x7fff
	s_delay_alu instid0(VALU_DEP_1)
	v_lshrrev_b32_e32 v5, 16, v3
.LBB536_916:
	s_cbranch_execnz .LBB536_922
.LBB536_917:
	v_cmp_gt_i16_e64 s17, s3, 0
	s_delay_alu instid0(VALU_DEP_1)
	s_and_b32 vcc_lo, exec_lo, s17
	s_mov_b32 s17, 0
	s_cbranch_vccz .LBB536_919
; %bb.918:
	global_load_i8 v3, v[0:1], off
	s_waitcnt vmcnt(0)
	v_cvt_f32_i32_e32 v3, v3
	s_delay_alu instid0(VALU_DEP_1) | instskip(NEXT) | instid1(VALU_DEP_1)
	v_bfe_u32 v4, v3, 16, 1
	v_add3_u32 v3, v3, v4, 0x7fff
	s_delay_alu instid0(VALU_DEP_1)
	v_lshrrev_b32_e32 v5, 16, v3
	s_branch .LBB536_920
.LBB536_919:
	s_mov_b32 s17, -1
                                        ; implicit-def: $vgpr5
.LBB536_920:
	s_delay_alu instid0(SALU_CYCLE_1)
	s_and_not1_b32 vcc_lo, exec_lo, s17
	s_cbranch_vccnz .LBB536_922
; %bb.921:
	global_load_u8 v0, v[0:1], off
	s_waitcnt vmcnt(0)
	v_cvt_f32_ubyte0_e32 v0, v0
	s_delay_alu instid0(VALU_DEP_1) | instskip(NEXT) | instid1(VALU_DEP_1)
	v_bfe_u32 v1, v0, 16, 1
	v_add3_u32 v0, v0, v1, 0x7fff
	s_delay_alu instid0(VALU_DEP_1)
	v_lshrrev_b32_e32 v5, 16, v0
.LBB536_922:
	s_or_b32 s0, s0, exec_lo
.LBB536_923:
	s_or_b32 exec_lo, exec_lo, s15
	s_mov_b32 s18, 0
	s_mov_b32 s17, 0
                                        ; implicit-def: $vgpr4
                                        ; implicit-def: $vgpr0_vgpr1
                                        ; implicit-def: $vgpr3
	s_and_saveexec_b32 s15, s0
	s_cbranch_execz .LBB536_1007
; %bb.924:
	s_waitcnt vmcnt(0)
	v_dual_mov_b32 v3, s10 :: v_dual_lshlrev_b32 v0, 16, v5
	s_mov_b32 s0, exec_lo
	s_delay_alu instid0(VALU_DEP_1)
	v_cmpx_o_f32_e32 v0, v0
	s_cbranch_execz .LBB536_928
; %bb.925:
	v_mov_b32_e32 v3, s2
	s_mov_b32 s17, exec_lo
	v_cmpx_neq_f32_e32 0x7f800000, v0
; %bb.926:
	v_cmp_eq_f32_e32 vcc_lo, 0xff800000, v0
	v_cndmask_b32_e64 v3, v5, s11, vcc_lo
; %bb.927:
	s_or_b32 exec_lo, exec_lo, s17
.LBB536_928:
	s_delay_alu instid0(SALU_CYCLE_1) | instskip(SKIP_2) | instid1(VALU_DEP_1)
	s_or_b32 exec_lo, exec_lo, s0
	v_mul_lo_u32 v0, v2, s8
	v_and_b32_e64 v4, 0xff, s1
	v_cmp_gt_i16_e32 vcc_lo, 11, v4
	s_delay_alu instid0(VALU_DEP_3) | instskip(SKIP_1) | instid1(VALU_DEP_1)
	v_ashrrev_i32_e32 v1, 31, v0
	v_add_co_u32 v0, s0, s4, v0
	v_add_co_ci_u32_e64 v1, s0, s5, v1, s0
	s_cbranch_vccnz .LBB536_935
; %bb.929:
	v_cmp_lt_i16_e32 vcc_lo, 25, v4
	s_mov_b32 s17, -1
	s_mov_b32 s0, s14
	s_cbranch_vccz .LBB536_965
; %bb.930:
	v_cmp_lt_i16_e32 vcc_lo, 28, v4
	s_mov_b32 s0, s14
	s_cbranch_vccz .LBB536_949
; %bb.931:
	v_cmp_lt_i16_e32 vcc_lo, 43, v4
	;; [unrolled: 4-line block ×3, first 2 shown]
	s_mov_b32 s0, s14
	s_cbranch_vccz .LBB536_939
; %bb.933:
	v_cmp_eq_u16_e32 vcc_lo, 46, v4
	s_mov_b32 s0, -1
	s_cbranch_vccz .LBB536_938
; %bb.934:
	v_and_b32_e32 v2, 0xffff, v3
	s_mov_b32 s0, 0
	s_mov_b32 s17, 0
	global_store_b32 v[0:1], v2, off
	s_branch .LBB536_939
.LBB536_935:
	s_mov_b32 s17, -1
	s_mov_b32 s0, s14
	s_branch .LBB536_1006
.LBB536_936:
	s_trap 2
	s_sendmsg_rtn_b32 s0, sendmsg(MSG_RTN_GET_DOORBELL)
	s_mov_b32 ttmp2, m0
	s_waitcnt lgkmcnt(0)
	s_and_b32 s0, s0, 0x3ff
	s_delay_alu instid0(SALU_CYCLE_1) | instskip(NEXT) | instid1(SALU_CYCLE_1)
	s_bitset1_b32 s0, 10
	s_mov_b32 m0, s0
	s_sendmsg sendmsg(MSG_INTERRUPT)
	s_mov_b32 m0, ttmp2
.LBB536_937:                            ; =>This Inner Loop Header: Depth=1
	s_sethalt 5
	s_branch .LBB536_937
.LBB536_938:
	s_mov_b32 s17, 0
.LBB536_939:
	s_delay_alu instid0(SALU_CYCLE_1)
	s_and_b32 vcc_lo, exec_lo, s17
	s_cbranch_vccz .LBB536_944
; %bb.940:
	v_cmp_eq_u16_e32 vcc_lo, 44, v4
	s_mov_b32 s0, -1
	s_cbranch_vccz .LBB536_944
; %bb.941:
	v_and_b32_e32 v2, 0xffff, v3
	v_mov_b32_e32 v5, 0xff
	s_mov_b32 s17, exec_lo
	s_delay_alu instid0(VALU_DEP_2) | instskip(NEXT) | instid1(VALU_DEP_1)
	v_bfe_u32 v6, v2, 7, 8
	v_cmpx_ne_u32_e32 0xff, v6
; %bb.942:
	v_lshlrev_b32_e32 v5, 16, v2
	v_and_b32_e32 v7, 64, v2
	v_lshrrev_b32_e32 v2, 7, v2
	s_delay_alu instid0(VALU_DEP_3) | instskip(NEXT) | instid1(VALU_DEP_3)
	v_and_or_b32 v5, 0x3f0000, v5, v6
	v_cmp_ne_u32_e32 vcc_lo, 0, v7
	s_delay_alu instid0(VALU_DEP_2) | instskip(NEXT) | instid1(VALU_DEP_1)
	v_cmp_ne_u32_e64 s0, 0, v5
	s_and_b32 s0, vcc_lo, s0
	s_delay_alu instid0(SALU_CYCLE_1) | instskip(NEXT) | instid1(VALU_DEP_1)
	v_cndmask_b32_e64 v5, 0, 1, s0
	v_add_nc_u32_e32 v5, v2, v5
; %bb.943:
	s_or_b32 exec_lo, exec_lo, s17
	s_mov_b32 s0, 0
	global_store_b8 v[0:1], v5, off
.LBB536_944:
	s_mov_b32 s17, 0
.LBB536_945:
	s_delay_alu instid0(SALU_CYCLE_1)
	s_and_b32 vcc_lo, exec_lo, s17
	s_cbranch_vccz .LBB536_948
; %bb.946:
	v_cmp_eq_u16_e32 vcc_lo, 29, v4
	s_mov_b32 s0, -1
	s_cbranch_vccz .LBB536_948
; %bb.947:
	v_lshlrev_b32_e32 v2, 16, v3
	s_mov_b32 s0, 0
	s_mov_b32 s17, 0
	s_delay_alu instid0(VALU_DEP_1) | instskip(NEXT) | instid1(VALU_DEP_1)
	v_trunc_f32_e32 v2, v2
	v_mul_f32_e32 v5, 0x2f800000, v2
	s_delay_alu instid0(VALU_DEP_1) | instskip(NEXT) | instid1(VALU_DEP_1)
	v_floor_f32_e32 v5, v5
	v_fmamk_f32 v2, v5, 0xcf800000, v2
	v_cvt_u32_f32_e32 v6, v5
	s_delay_alu instid0(VALU_DEP_2)
	v_cvt_u32_f32_e32 v5, v2
	global_store_b64 v[0:1], v[5:6], off
	s_branch .LBB536_949
.LBB536_948:
	s_mov_b32 s17, 0
.LBB536_949:
	s_delay_alu instid0(SALU_CYCLE_1)
	s_and_b32 vcc_lo, exec_lo, s17
	s_cbranch_vccz .LBB536_964
; %bb.950:
	v_cmp_gt_i16_e32 vcc_lo, 27, v4
	s_mov_b32 s17, -1
	s_cbranch_vccnz .LBB536_956
; %bb.951:
	v_cmp_lt_i16_e32 vcc_lo, 27, v4
	s_cbranch_vccz .LBB536_953
; %bb.952:
	v_lshlrev_b32_e32 v2, 16, v3
	s_mov_b32 s17, 0
	s_delay_alu instid0(VALU_DEP_1)
	v_cvt_u32_f32_e32 v2, v2
	global_store_b32 v[0:1], v2, off
.LBB536_953:
	s_and_not1_b32 vcc_lo, exec_lo, s17
	s_cbranch_vccnz .LBB536_955
; %bb.954:
	v_lshlrev_b32_e32 v2, 16, v3
	s_delay_alu instid0(VALU_DEP_1)
	v_cvt_u32_f32_e32 v2, v2
	global_store_b16 v[0:1], v2, off
.LBB536_955:
	s_mov_b32 s17, 0
.LBB536_956:
	s_delay_alu instid0(SALU_CYCLE_1)
	s_and_not1_b32 vcc_lo, exec_lo, s17
	s_cbranch_vccnz .LBB536_964
; %bb.957:
	v_dual_mov_b32 v7, 0x80 :: v_dual_lshlrev_b32 v6, 16, v3
	s_mov_b32 s17, exec_lo
	s_delay_alu instid0(VALU_DEP_1) | instskip(NEXT) | instid1(VALU_DEP_1)
	v_and_b32_e32 v5, 0x7fffffff, v6
	v_cmpx_gt_u32_e32 0x43800000, v5
	s_cbranch_execz .LBB536_963
; %bb.958:
	v_and_b32_e32 v2, 0xffff, v3
	v_cmp_lt_u32_e32 vcc_lo, 0x3bffffff, v5
                                        ; implicit-def: $vgpr5
	s_and_saveexec_b32 s19, vcc_lo
	s_delay_alu instid0(SALU_CYCLE_1)
	s_xor_b32 s19, exec_lo, s19
	s_cbranch_execz .LBB536_1202
; %bb.959:
	v_bfe_u32 v5, v2, 4, 1
	s_mov_b32 s18, exec_lo
	s_delay_alu instid0(VALU_DEP_1) | instskip(NEXT) | instid1(VALU_DEP_1)
	v_add3_u32 v5, v6, v5, 0x487ffff
                                        ; implicit-def: $vgpr6
	v_lshrrev_b32_e32 v5, 20, v5
	s_or_saveexec_b32 s19, s19
                                        ; implicit-def: $sgpr20
	s_delay_alu instid0(SALU_CYCLE_1)
	s_xor_b32 exec_lo, exec_lo, s19
	s_cbranch_execnz .LBB536_1203
.LBB536_960:
	s_or_b32 exec_lo, exec_lo, s19
	v_mov_b32_e32 v7, s20
	s_and_saveexec_b32 s19, s18
.LBB536_961:
	v_lshrrev_b32_e32 v2, 8, v2
	s_delay_alu instid0(VALU_DEP_1)
	v_and_or_b32 v7, 0x80, v2, v5
.LBB536_962:
	s_or_b32 exec_lo, exec_lo, s19
.LBB536_963:
	s_delay_alu instid0(SALU_CYCLE_1)
	s_or_b32 exec_lo, exec_lo, s17
	global_store_b8 v[0:1], v7, off
.LBB536_964:
	s_mov_b32 s17, 0
.LBB536_965:
	s_delay_alu instid0(SALU_CYCLE_1)
	s_and_b32 vcc_lo, exec_lo, s17
	s_mov_b32 s17, 0
	s_cbranch_vccz .LBB536_1005
; %bb.966:
	v_cmp_lt_i16_e32 vcc_lo, 22, v4
	s_mov_b32 s18, -1
	s_cbranch_vccz .LBB536_998
; %bb.967:
	v_cmp_gt_i16_e32 vcc_lo, 24, v4
	s_cbranch_vccnz .LBB536_987
; %bb.968:
	v_cmp_lt_i16_e32 vcc_lo, 24, v4
	s_cbranch_vccz .LBB536_976
; %bb.969:
	v_dual_mov_b32 v7, 0x80 :: v_dual_lshlrev_b32 v6, 16, v3
	s_mov_b32 s18, exec_lo
	s_delay_alu instid0(VALU_DEP_1) | instskip(NEXT) | instid1(VALU_DEP_1)
	v_and_b32_e32 v5, 0x7fffffff, v6
	v_cmpx_gt_u32_e32 0x47800000, v5
	s_cbranch_execz .LBB536_975
; %bb.970:
	v_and_b32_e32 v2, 0xffff, v3
	v_cmp_lt_u32_e32 vcc_lo, 0x37ffffff, v5
	s_mov_b32 s19, 0
                                        ; implicit-def: $vgpr5
	s_and_saveexec_b32 s20, vcc_lo
	s_delay_alu instid0(SALU_CYCLE_1)
	s_xor_b32 s20, exec_lo, s20
	s_cbranch_execz .LBB536_1246
; %bb.971:
	v_bfe_u32 v5, v2, 5, 1
	s_mov_b32 s19, exec_lo
	s_delay_alu instid0(VALU_DEP_1) | instskip(NEXT) | instid1(VALU_DEP_1)
	v_add3_u32 v5, v6, v5, 0x88fffff
                                        ; implicit-def: $vgpr6
	v_lshrrev_b32_e32 v5, 21, v5
	s_or_saveexec_b32 s20, s20
                                        ; implicit-def: $sgpr21
	s_delay_alu instid0(SALU_CYCLE_1)
	s_xor_b32 exec_lo, exec_lo, s20
	s_cbranch_execnz .LBB536_1247
.LBB536_972:
	s_or_b32 exec_lo, exec_lo, s20
	v_mov_b32_e32 v7, s21
	s_and_saveexec_b32 s20, s19
.LBB536_973:
	v_lshrrev_b32_e32 v2, 8, v2
	s_delay_alu instid0(VALU_DEP_1)
	v_and_or_b32 v7, 0x80, v2, v5
.LBB536_974:
	s_or_b32 exec_lo, exec_lo, s20
.LBB536_975:
	s_delay_alu instid0(SALU_CYCLE_1)
	s_or_b32 exec_lo, exec_lo, s18
	s_mov_b32 s18, 0
	global_store_b8 v[0:1], v7, off
.LBB536_976:
	s_and_b32 vcc_lo, exec_lo, s18
	s_cbranch_vccz .LBB536_986
; %bb.977:
	v_lshlrev_b32_e32 v6, 16, v3
	v_and_b32_e32 v2, 0xffff, v3
	s_mov_b32 s18, exec_lo
                                        ; implicit-def: $vgpr5
	s_delay_alu instid0(VALU_DEP_2) | instskip(NEXT) | instid1(VALU_DEP_1)
	v_and_b32_e32 v7, 0x7fffffff, v6
	v_cmpx_gt_u32_e32 0x43f00000, v7
	s_xor_b32 s18, exec_lo, s18
	s_cbranch_execz .LBB536_983
; %bb.978:
	s_mov_b32 s19, exec_lo
                                        ; implicit-def: $vgpr5
	v_cmpx_lt_u32_e32 0x3c7fffff, v7
	s_xor_b32 s19, exec_lo, s19
; %bb.979:
	v_bfe_u32 v5, v2, 4, 1
	s_delay_alu instid0(VALU_DEP_1) | instskip(NEXT) | instid1(VALU_DEP_1)
	v_add3_u32 v5, v6, v5, 0x407ffff
	v_and_b32_e32 v6, 0xff00000, v5
	v_lshrrev_b32_e32 v5, 20, v5
	s_delay_alu instid0(VALU_DEP_2) | instskip(NEXT) | instid1(VALU_DEP_2)
	v_cmp_ne_u32_e32 vcc_lo, 0x7f00000, v6
                                        ; implicit-def: $vgpr6
	v_cndmask_b32_e32 v5, 0x7e, v5, vcc_lo
; %bb.980:
	s_and_not1_saveexec_b32 s19, s19
; %bb.981:
	v_add_f32_e64 v5, 0x46800000, |v6|
; %bb.982:
	s_or_b32 exec_lo, exec_lo, s19
                                        ; implicit-def: $vgpr7
.LBB536_983:
	s_and_not1_saveexec_b32 s18, s18
; %bb.984:
	v_mov_b32_e32 v5, 0x7f
	v_cmp_lt_u32_e32 vcc_lo, 0x7f800000, v7
	s_delay_alu instid0(VALU_DEP_2)
	v_cndmask_b32_e32 v5, 0x7e, v5, vcc_lo
; %bb.985:
	s_or_b32 exec_lo, exec_lo, s18
	v_lshrrev_b32_e32 v2, 8, v2
	s_delay_alu instid0(VALU_DEP_1)
	v_and_or_b32 v2, 0x80, v2, v5
	global_store_b8 v[0:1], v2, off
.LBB536_986:
	s_mov_b32 s18, 0
.LBB536_987:
	s_delay_alu instid0(SALU_CYCLE_1)
	s_and_not1_b32 vcc_lo, exec_lo, s18
	s_cbranch_vccnz .LBB536_997
; %bb.988:
	v_lshlrev_b32_e32 v6, 16, v3
	v_and_b32_e32 v2, 0xffff, v3
	s_mov_b32 s18, exec_lo
                                        ; implicit-def: $vgpr5
	s_delay_alu instid0(VALU_DEP_2) | instskip(NEXT) | instid1(VALU_DEP_1)
	v_and_b32_e32 v7, 0x7fffffff, v6
	v_cmpx_gt_u32_e32 0x47800000, v7
	s_xor_b32 s18, exec_lo, s18
	s_cbranch_execz .LBB536_994
; %bb.989:
	s_mov_b32 s19, exec_lo
                                        ; implicit-def: $vgpr5
	v_cmpx_lt_u32_e32 0x387fffff, v7
	s_xor_b32 s19, exec_lo, s19
; %bb.990:
	v_bfe_u32 v5, v2, 5, 1
	s_delay_alu instid0(VALU_DEP_1) | instskip(NEXT) | instid1(VALU_DEP_1)
	v_add3_u32 v5, v6, v5, 0x80fffff
                                        ; implicit-def: $vgpr6
	v_lshrrev_b32_e32 v5, 21, v5
; %bb.991:
	s_and_not1_saveexec_b32 s19, s19
; %bb.992:
	v_add_f32_e64 v5, 0x43000000, |v6|
; %bb.993:
	s_or_b32 exec_lo, exec_lo, s19
                                        ; implicit-def: $vgpr7
.LBB536_994:
	s_and_not1_saveexec_b32 s18, s18
; %bb.995:
	v_mov_b32_e32 v5, 0x7f
	v_cmp_lt_u32_e32 vcc_lo, 0x7f800000, v7
	s_delay_alu instid0(VALU_DEP_2)
	v_cndmask_b32_e32 v5, 0x7c, v5, vcc_lo
; %bb.996:
	s_or_b32 exec_lo, exec_lo, s18
	v_lshrrev_b32_e32 v2, 8, v2
	s_delay_alu instid0(VALU_DEP_1)
	v_and_or_b32 v2, 0x80, v2, v5
	global_store_b8 v[0:1], v2, off
.LBB536_997:
	s_mov_b32 s18, 0
.LBB536_998:
	s_delay_alu instid0(SALU_CYCLE_1)
	s_and_not1_b32 vcc_lo, exec_lo, s18
	s_mov_b32 s18, 0
	s_cbranch_vccnz .LBB536_1006
; %bb.999:
	v_cmp_lt_i16_e32 vcc_lo, 14, v4
	s_mov_b32 s18, -1
	s_cbranch_vccz .LBB536_1003
; %bb.1000:
	v_cmp_eq_u16_e32 vcc_lo, 15, v4
	s_mov_b32 s0, -1
	s_cbranch_vccz .LBB536_1002
; %bb.1001:
	s_mov_b32 s0, 0
	global_store_b16 v[0:1], v3, off
.LBB536_1002:
	s_mov_b32 s18, 0
.LBB536_1003:
	s_delay_alu instid0(SALU_CYCLE_1)
	s_and_b32 vcc_lo, exec_lo, s18
	s_mov_b32 s18, 0
	s_cbranch_vccz .LBB536_1006
; %bb.1004:
	v_cmp_ne_u16_e32 vcc_lo, 11, v4
	s_and_not1_b32 s0, s0, exec_lo
	s_mov_b32 s18, -1
	s_and_b32 s19, vcc_lo, exec_lo
	s_delay_alu instid0(SALU_CYCLE_1)
	s_or_b32 s0, s0, s19
	s_branch .LBB536_1006
.LBB536_1005:
	s_mov_b32 s18, 0
.LBB536_1006:
	s_and_not1_b32 s14, s14, exec_lo
	s_and_b32 s0, s0, exec_lo
	s_and_b32 s17, s17, exec_lo
	;; [unrolled: 1-line block ×3, first 2 shown]
	s_or_b32 s14, s14, s0
.LBB536_1007:
	s_or_b32 exec_lo, exec_lo, s15
	s_and_saveexec_b32 s0, s14
	s_cbranch_execnz .LBB536_1069
; %bb.1008:
	s_or_b32 exec_lo, exec_lo, s0
	s_and_saveexec_b32 s0, s18
	s_delay_alu instid0(SALU_CYCLE_1)
	s_xor_b32 s0, exec_lo, s0
	s_cbranch_execz .LBB536_1010
.LBB536_1009:
	v_and_b32_e32 v2, 0x7fff, v3
	s_delay_alu instid0(VALU_DEP_1)
	v_cmp_ne_u16_e32 vcc_lo, 0, v2
	v_cndmask_b32_e64 v2, 0, 1, vcc_lo
	global_store_b8 v[0:1], v2, off
.LBB536_1010:
	s_or_b32 exec_lo, exec_lo, s0
	s_and_saveexec_b32 s0, s17
	s_delay_alu instid0(SALU_CYCLE_1)
	s_xor_b32 s0, exec_lo, s0
	s_cbranch_execz .LBB536_1048
; %bb.1011:
	s_waitcnt vmcnt(0)
	v_cmp_gt_i16_e32 vcc_lo, 5, v4
	s_mov_b32 s14, -1
	s_cbranch_vccnz .LBB536_1032
; %bb.1012:
	v_cmp_gt_i16_e32 vcc_lo, 8, v4
	s_cbranch_vccnz .LBB536_1022
; %bb.1013:
	v_cmp_gt_i16_e32 vcc_lo, 9, v4
	s_cbranch_vccnz .LBB536_1019
; %bb.1014:
	v_cmp_lt_i16_e32 vcc_lo, 9, v4
	s_cbranch_vccz .LBB536_1016
; %bb.1015:
	v_dual_mov_b32 v7, 0 :: v_dual_lshlrev_b32 v2, 16, v3
	s_mov_b32 s14, 0
	s_delay_alu instid0(VALU_DEP_1) | instskip(NEXT) | instid1(VALU_DEP_2)
	v_cvt_f64_f32_e32 v[5:6], v2
	v_mov_b32_e32 v8, v7
	global_store_b128 v[0:1], v[5:8], off
.LBB536_1016:
	s_and_not1_b32 vcc_lo, exec_lo, s14
	s_cbranch_vccnz .LBB536_1018
; %bb.1017:
	v_dual_mov_b32 v6, 0 :: v_dual_lshlrev_b32 v5, 16, v3
	global_store_b64 v[0:1], v[5:6], off
.LBB536_1018:
	s_mov_b32 s14, 0
.LBB536_1019:
	s_delay_alu instid0(SALU_CYCLE_1)
	s_and_not1_b32 vcc_lo, exec_lo, s14
	s_cbranch_vccnz .LBB536_1021
; %bb.1020:
	v_lshlrev_b32_e32 v2, 16, v3
	s_delay_alu instid0(VALU_DEP_1) | instskip(NEXT) | instid1(VALU_DEP_1)
	v_cvt_f16_f32_e32 v2, v2
	v_and_b32_e32 v2, 0xffff, v2
	global_store_b32 v[0:1], v2, off
.LBB536_1021:
	s_mov_b32 s14, 0
.LBB536_1022:
	s_delay_alu instid0(SALU_CYCLE_1)
	s_and_not1_b32 vcc_lo, exec_lo, s14
	s_cbranch_vccnz .LBB536_1031
; %bb.1023:
	v_cmp_gt_i16_e32 vcc_lo, 6, v4
	s_mov_b32 s14, -1
	s_cbranch_vccnz .LBB536_1029
; %bb.1024:
	v_cmp_lt_i16_e32 vcc_lo, 6, v4
	s_cbranch_vccz .LBB536_1026
; %bb.1025:
	v_lshlrev_b32_e32 v2, 16, v3
	s_mov_b32 s14, 0
	s_delay_alu instid0(VALU_DEP_1)
	v_cvt_f64_f32_e32 v[5:6], v2
	global_store_b64 v[0:1], v[5:6], off
.LBB536_1026:
	s_and_not1_b32 vcc_lo, exec_lo, s14
	s_cbranch_vccnz .LBB536_1028
; %bb.1027:
	v_lshlrev_b32_e32 v2, 16, v3
	global_store_b32 v[0:1], v2, off
.LBB536_1028:
	s_mov_b32 s14, 0
.LBB536_1029:
	s_delay_alu instid0(SALU_CYCLE_1)
	s_and_not1_b32 vcc_lo, exec_lo, s14
	s_cbranch_vccnz .LBB536_1031
; %bb.1030:
	v_lshlrev_b32_e32 v2, 16, v3
	s_delay_alu instid0(VALU_DEP_1)
	v_cvt_f16_f32_e32 v2, v2
	global_store_b16 v[0:1], v2, off
.LBB536_1031:
	s_mov_b32 s14, 0
.LBB536_1032:
	s_delay_alu instid0(SALU_CYCLE_1)
	s_and_not1_b32 vcc_lo, exec_lo, s14
	s_cbranch_vccnz .LBB536_1048
; %bb.1033:
	v_cmp_gt_i16_e32 vcc_lo, 2, v4
	s_mov_b32 s14, -1
	s_cbranch_vccnz .LBB536_1043
; %bb.1034:
	v_cmp_gt_i16_e32 vcc_lo, 3, v4
	s_cbranch_vccnz .LBB536_1040
; %bb.1035:
	v_cmp_lt_i16_e32 vcc_lo, 3, v4
	s_cbranch_vccz .LBB536_1037
; %bb.1036:
	v_lshlrev_b32_e32 v2, 16, v3
	s_mov_b32 s14, 0
	s_delay_alu instid0(VALU_DEP_1) | instskip(NEXT) | instid1(VALU_DEP_1)
	v_trunc_f32_e32 v2, v2
	v_mul_f32_e64 v5, 0x2f800000, |v2|
	s_delay_alu instid0(VALU_DEP_1) | instskip(NEXT) | instid1(VALU_DEP_1)
	v_floor_f32_e32 v5, v5
	v_fma_f32 v6, 0xcf800000, v5, |v2|
	v_ashrrev_i32_e32 v2, 31, v2
	v_cvt_u32_f32_e32 v5, v5
	s_delay_alu instid0(VALU_DEP_3) | instskip(NEXT) | instid1(VALU_DEP_2)
	v_cvt_u32_f32_e32 v6, v6
	v_xor_b32_e32 v7, v5, v2
	s_delay_alu instid0(VALU_DEP_2) | instskip(NEXT) | instid1(VALU_DEP_1)
	v_xor_b32_e32 v6, v6, v2
	v_sub_co_u32 v5, vcc_lo, v6, v2
	s_delay_alu instid0(VALU_DEP_3)
	v_sub_co_ci_u32_e32 v6, vcc_lo, v7, v2, vcc_lo
	global_store_b64 v[0:1], v[5:6], off
.LBB536_1037:
	s_and_not1_b32 vcc_lo, exec_lo, s14
	s_cbranch_vccnz .LBB536_1039
; %bb.1038:
	v_lshlrev_b32_e32 v2, 16, v3
	s_delay_alu instid0(VALU_DEP_1)
	v_cvt_i32_f32_e32 v2, v2
	global_store_b32 v[0:1], v2, off
.LBB536_1039:
	s_mov_b32 s14, 0
.LBB536_1040:
	s_delay_alu instid0(SALU_CYCLE_1)
	s_and_not1_b32 vcc_lo, exec_lo, s14
	s_cbranch_vccnz .LBB536_1042
; %bb.1041:
	v_lshlrev_b32_e32 v2, 16, v3
	s_delay_alu instid0(VALU_DEP_1)
	v_cvt_i32_f32_e32 v2, v2
	global_store_b16 v[0:1], v2, off
.LBB536_1042:
	s_mov_b32 s14, 0
.LBB536_1043:
	s_delay_alu instid0(SALU_CYCLE_1)
	s_and_not1_b32 vcc_lo, exec_lo, s14
	s_cbranch_vccnz .LBB536_1048
; %bb.1044:
	v_cmp_lt_i16_e32 vcc_lo, 0, v4
	s_mov_b32 s14, -1
	s_cbranch_vccz .LBB536_1046
; %bb.1045:
	v_lshlrev_b32_e32 v2, 16, v3
	s_mov_b32 s14, 0
	s_delay_alu instid0(VALU_DEP_1)
	v_cvt_i32_f32_e32 v2, v2
	global_store_b8 v[0:1], v2, off
.LBB536_1046:
	s_and_not1_b32 vcc_lo, exec_lo, s14
	s_cbranch_vccnz .LBB536_1048
; %bb.1047:
	v_lshlrev_b32_e32 v2, 16, v3
	s_delay_alu instid0(VALU_DEP_1) | instskip(NEXT) | instid1(VALU_DEP_1)
	v_trunc_f32_e32 v2, v2
	v_mul_f32_e64 v3, 0x2f800000, |v2|
	s_delay_alu instid0(VALU_DEP_1) | instskip(NEXT) | instid1(VALU_DEP_1)
	v_floor_f32_e32 v3, v3
	v_fma_f32 v3, 0xcf800000, v3, |v2|
	v_ashrrev_i32_e32 v2, 31, v2
	s_delay_alu instid0(VALU_DEP_2) | instskip(NEXT) | instid1(VALU_DEP_1)
	v_cvt_u32_f32_e32 v3, v3
	v_xor_b32_e32 v3, v3, v2
	s_delay_alu instid0(VALU_DEP_1)
	v_sub_nc_u32_e32 v2, v3, v2
	global_store_b8 v[0:1], v2, off
.LBB536_1048:
	s_or_b32 exec_lo, exec_lo, s0
	s_delay_alu instid0(SALU_CYCLE_1)
	s_and_b32 s14, s16, exec_lo
                                        ; implicit-def: $vgpr2
.LBB536_1049:
	s_or_saveexec_b32 s13, s13
	s_mov_b32 s0, 0
                                        ; implicit-def: $vgpr6
                                        ; implicit-def: $vgpr0_vgpr1
                                        ; implicit-def: $vgpr5
	s_xor_b32 exec_lo, exec_lo, s13
	s_cbranch_execz .LBB536_1675
; %bb.1050:
	s_waitcnt vmcnt(0)
	v_mul_lo_u32 v4, s9, v2
	v_cmp_lt_i16_e64 s0, s3, 11
	s_delay_alu instid0(VALU_DEP_2) | instskip(SKIP_1) | instid1(VALU_DEP_2)
	v_ashrrev_i32_e32 v1, 31, v4
	v_add_co_u32 v0, vcc_lo, s6, v4
	v_add_co_ci_u32_e32 v1, vcc_lo, s7, v1, vcc_lo
	s_delay_alu instid0(VALU_DEP_4)
	s_and_b32 vcc_lo, exec_lo, s0
	s_cbranch_vccnz .LBB536_1057
; %bb.1051:
	v_cmp_gt_i16_e64 s0, s3, 25
	s_mov_b32 s15, 0
	s_delay_alu instid0(VALU_DEP_1)
	s_and_b32 vcc_lo, exec_lo, s0
	s_cbranch_vccz .LBB536_1063
; %bb.1052:
	v_cmp_gt_i16_e64 s0, s3, 28
	s_delay_alu instid0(VALU_DEP_1)
	s_and_b32 vcc_lo, exec_lo, s0
	s_cbranch_vccz .LBB536_1065
; %bb.1053:
	v_cmp_gt_i16_e64 s0, s3, 43
	;; [unrolled: 5-line block ×3, first 2 shown]
	s_delay_alu instid0(VALU_DEP_1)
	s_and_b32 vcc_lo, exec_lo, s0
	s_cbranch_vccz .LBB536_1071
; %bb.1055:
	v_cmp_eq_u16_e64 s0, s3, 46
	s_delay_alu instid0(VALU_DEP_1)
	s_and_b32 vcc_lo, exec_lo, s0
	s_cbranch_vccz .LBB536_1111
; %bb.1056:
	global_load_b32 v5, v[0:1], off
	s_mov_b32 s0, 0
	s_mov_b32 s16, -1
	s_branch .LBB536_1113
.LBB536_1057:
	s_mov_b32 s16, 0
	s_mov_b32 s12, s14
                                        ; implicit-def: $vgpr5
	s_cbranch_execz .LBB536_1176
; %bb.1058:
	v_cmp_lt_i16_e64 s0, s3, 5
	s_delay_alu instid0(VALU_DEP_1)
	s_and_b32 vcc_lo, exec_lo, s0
	s_cbranch_vccnz .LBB536_1064
; %bb.1059:
	v_cmp_lt_i16_e64 s0, s3, 8
	s_delay_alu instid0(VALU_DEP_1)
	s_and_b32 vcc_lo, exec_lo, s0
	s_cbranch_vccnz .LBB536_1066
; %bb.1060:
	v_cmp_lt_i16_e64 s0, s3, 9
	s_delay_alu instid0(VALU_DEP_1)
	s_and_b32 vcc_lo, exec_lo, s0
	s_cbranch_vccnz .LBB536_1068
; %bb.1061:
	v_cmp_gt_i16_e64 s0, s3, 9
	s_delay_alu instid0(VALU_DEP_1)
	s_and_b32 vcc_lo, exec_lo, s0
	s_cbranch_vccz .LBB536_1072
; %bb.1062:
	global_load_b64 v[5:6], v[0:1], off
	s_mov_b32 s0, 0
	s_waitcnt vmcnt(0)
	v_cvt_f32_f64_e32 v3, v[5:6]
	s_delay_alu instid0(VALU_DEP_1) | instskip(SKIP_1) | instid1(VALU_DEP_2)
	v_bfe_u32 v5, v3, 16, 1
	v_cmp_o_f32_e32 vcc_lo, v3, v3
	v_add3_u32 v5, v3, v5, 0x7fff
	s_delay_alu instid0(VALU_DEP_1) | instskip(NEXT) | instid1(VALU_DEP_1)
	v_lshrrev_b32_e32 v5, 16, v5
	v_cndmask_b32_e32 v5, 0x7fc0, v5, vcc_lo
	s_branch .LBB536_1073
.LBB536_1063:
	s_mov_b32 s16, 0
	s_mov_b32 s0, 0
                                        ; implicit-def: $vgpr5
	s_cbranch_execnz .LBB536_1141
	s_branch .LBB536_1172
.LBB536_1064:
                                        ; implicit-def: $vgpr5
	s_branch .LBB536_1090
.LBB536_1065:
	s_mov_b32 s12, -1
	s_mov_b32 s16, 0
	s_mov_b32 s0, 0
                                        ; implicit-def: $vgpr5
	s_branch .LBB536_1122
.LBB536_1066:
                                        ; implicit-def: $vgpr5
	s_branch .LBB536_1079
.LBB536_1067:
	s_mov_b32 s16, 0
	s_mov_b32 s0, 0
                                        ; implicit-def: $vgpr5
	s_cbranch_execnz .LBB536_1118
	s_branch .LBB536_1121
.LBB536_1068:
	s_mov_b32 s0, -1
                                        ; implicit-def: $vgpr5
	s_branch .LBB536_1076
.LBB536_1069:
	s_cbranch_execnz .LBB536_1109
; %bb.1070:
	s_or_b32 s16, s16, exec_lo
	s_and_not1_b32 s18, s18, exec_lo
	s_or_b32 exec_lo, exec_lo, s0
	s_and_saveexec_b32 s0, s18
	s_delay_alu instid0(SALU_CYCLE_1)
	s_xor_b32 s0, exec_lo, s0
	s_cbranch_execnz .LBB536_1009
	s_branch .LBB536_1010
.LBB536_1071:
	s_mov_b32 s12, -1
	s_mov_b32 s16, 0
	s_mov_b32 s0, 0
	s_branch .LBB536_1112
.LBB536_1072:
	s_mov_b32 s0, -1
                                        ; implicit-def: $vgpr5
.LBB536_1073:
	s_delay_alu instid0(SALU_CYCLE_1)
	s_and_not1_b32 vcc_lo, exec_lo, s0
	s_cbranch_vccnz .LBB536_1075
; %bb.1074:
	global_load_b32 v3, v[0:1], off
	s_waitcnt vmcnt(0)
	v_bfe_u32 v5, v3, 16, 1
	v_cmp_o_f32_e32 vcc_lo, v3, v3
	s_delay_alu instid0(VALU_DEP_2) | instskip(NEXT) | instid1(VALU_DEP_1)
	v_add3_u32 v5, v3, v5, 0x7fff
	v_lshrrev_b32_e32 v5, 16, v5
	s_delay_alu instid0(VALU_DEP_1)
	v_cndmask_b32_e32 v5, 0x7fc0, v5, vcc_lo
.LBB536_1075:
	s_mov_b32 s0, 0
.LBB536_1076:
	s_delay_alu instid0(SALU_CYCLE_1)
	s_and_not1_b32 vcc_lo, exec_lo, s0
	s_cbranch_vccnz .LBB536_1078
; %bb.1077:
	global_load_b32 v3, v[0:1], off
	s_waitcnt vmcnt(0)
	v_cvt_f32_f16_e32 v5, v3
	v_cmp_o_f16_e32 vcc_lo, v3, v3
	s_delay_alu instid0(VALU_DEP_2) | instskip(NEXT) | instid1(VALU_DEP_1)
	v_bfe_u32 v6, v5, 16, 1
	v_add3_u32 v5, v5, v6, 0x7fff
	s_delay_alu instid0(VALU_DEP_1) | instskip(NEXT) | instid1(VALU_DEP_1)
	v_lshrrev_b32_e32 v5, 16, v5
	v_cndmask_b32_e32 v5, 0x7fc0, v5, vcc_lo
.LBB536_1078:
	s_cbranch_execnz .LBB536_1089
.LBB536_1079:
	v_cmp_lt_i16_e64 s0, s3, 6
	s_delay_alu instid0(VALU_DEP_1)
	s_and_b32 vcc_lo, exec_lo, s0
	s_cbranch_vccnz .LBB536_1082
; %bb.1080:
	v_cmp_gt_i16_e64 s0, s3, 6
	s_delay_alu instid0(VALU_DEP_1)
	s_and_b32 vcc_lo, exec_lo, s0
	s_cbranch_vccz .LBB536_1083
; %bb.1081:
	global_load_b64 v[5:6], v[0:1], off
	s_mov_b32 s0, 0
	s_waitcnt vmcnt(0)
	v_cvt_f32_f64_e32 v3, v[5:6]
	s_delay_alu instid0(VALU_DEP_1) | instskip(SKIP_1) | instid1(VALU_DEP_2)
	v_bfe_u32 v5, v3, 16, 1
	v_cmp_o_f32_e32 vcc_lo, v3, v3
	v_add3_u32 v5, v3, v5, 0x7fff
	s_delay_alu instid0(VALU_DEP_1) | instskip(NEXT) | instid1(VALU_DEP_1)
	v_lshrrev_b32_e32 v5, 16, v5
	v_cndmask_b32_e32 v5, 0x7fc0, v5, vcc_lo
	s_branch .LBB536_1084
.LBB536_1082:
	s_mov_b32 s0, -1
                                        ; implicit-def: $vgpr5
	s_branch .LBB536_1087
.LBB536_1083:
	s_mov_b32 s0, -1
                                        ; implicit-def: $vgpr5
.LBB536_1084:
	s_delay_alu instid0(SALU_CYCLE_1)
	s_and_not1_b32 vcc_lo, exec_lo, s0
	s_cbranch_vccnz .LBB536_1086
; %bb.1085:
	global_load_b32 v3, v[0:1], off
	s_waitcnt vmcnt(0)
	v_bfe_u32 v5, v3, 16, 1
	v_cmp_o_f32_e32 vcc_lo, v3, v3
	s_delay_alu instid0(VALU_DEP_2) | instskip(NEXT) | instid1(VALU_DEP_1)
	v_add3_u32 v5, v3, v5, 0x7fff
	v_lshrrev_b32_e32 v5, 16, v5
	s_delay_alu instid0(VALU_DEP_1)
	v_cndmask_b32_e32 v5, 0x7fc0, v5, vcc_lo
.LBB536_1086:
	s_mov_b32 s0, 0
.LBB536_1087:
	s_delay_alu instid0(SALU_CYCLE_1)
	s_and_not1_b32 vcc_lo, exec_lo, s0
	s_cbranch_vccnz .LBB536_1089
; %bb.1088:
	global_load_u16 v3, v[0:1], off
	s_waitcnt vmcnt(0)
	v_cvt_f32_f16_e32 v5, v3
	v_cmp_o_f16_e32 vcc_lo, v3, v3
	s_delay_alu instid0(VALU_DEP_2) | instskip(NEXT) | instid1(VALU_DEP_1)
	v_bfe_u32 v6, v5, 16, 1
	v_add3_u32 v5, v5, v6, 0x7fff
	s_delay_alu instid0(VALU_DEP_1) | instskip(NEXT) | instid1(VALU_DEP_1)
	v_lshrrev_b32_e32 v5, 16, v5
	v_cndmask_b32_e32 v5, 0x7fc0, v5, vcc_lo
.LBB536_1089:
	s_cbranch_execnz .LBB536_1108
.LBB536_1090:
	v_cmp_lt_i16_e64 s0, s3, 2
	s_delay_alu instid0(VALU_DEP_1)
	s_and_b32 vcc_lo, exec_lo, s0
	s_cbranch_vccnz .LBB536_1094
; %bb.1091:
	v_cmp_lt_i16_e64 s0, s3, 3
	s_delay_alu instid0(VALU_DEP_1)
	s_and_b32 vcc_lo, exec_lo, s0
	s_cbranch_vccnz .LBB536_1095
; %bb.1092:
	v_cmp_gt_i16_e64 s0, s3, 3
	s_delay_alu instid0(VALU_DEP_1)
	s_and_b32 vcc_lo, exec_lo, s0
	s_cbranch_vccz .LBB536_1096
; %bb.1093:
	global_load_b64 v[5:6], v[0:1], off
	s_mov_b32 s0, 0
	s_waitcnt vmcnt(0)
	v_xor_b32_e32 v3, v5, v6
	v_cls_i32_e32 v7, v6
	s_delay_alu instid0(VALU_DEP_2) | instskip(NEXT) | instid1(VALU_DEP_2)
	v_ashrrev_i32_e32 v3, 31, v3
	v_add_nc_u32_e32 v7, -1, v7
	s_delay_alu instid0(VALU_DEP_2) | instskip(NEXT) | instid1(VALU_DEP_1)
	v_add_nc_u32_e32 v3, 32, v3
	v_min_u32_e32 v3, v7, v3
	s_delay_alu instid0(VALU_DEP_1) | instskip(SKIP_1) | instid1(VALU_DEP_2)
	v_lshlrev_b64 v[5:6], v3, v[5:6]
	v_sub_nc_u32_e32 v3, 32, v3
	v_min_u32_e32 v5, 1, v5
	s_delay_alu instid0(VALU_DEP_1) | instskip(NEXT) | instid1(VALU_DEP_1)
	v_or_b32_e32 v5, v6, v5
	v_cvt_f32_i32_e32 v5, v5
	s_delay_alu instid0(VALU_DEP_1) | instskip(NEXT) | instid1(VALU_DEP_1)
	v_ldexp_f32 v3, v5, v3
	v_bfe_u32 v5, v3, 16, 1
	s_delay_alu instid0(VALU_DEP_1) | instskip(NEXT) | instid1(VALU_DEP_1)
	v_add3_u32 v3, v3, v5, 0x7fff
	v_lshrrev_b32_e32 v5, 16, v3
	s_branch .LBB536_1097
.LBB536_1094:
                                        ; implicit-def: $vgpr5
	s_branch .LBB536_1103
.LBB536_1095:
	s_mov_b32 s0, -1
                                        ; implicit-def: $vgpr5
	s_branch .LBB536_1100
.LBB536_1096:
	s_mov_b32 s0, -1
                                        ; implicit-def: $vgpr5
.LBB536_1097:
	s_delay_alu instid0(SALU_CYCLE_1)
	s_and_not1_b32 vcc_lo, exec_lo, s0
	s_cbranch_vccnz .LBB536_1099
; %bb.1098:
	global_load_b32 v3, v[0:1], off
	s_waitcnt vmcnt(0)
	v_cvt_f32_i32_e32 v3, v3
	s_delay_alu instid0(VALU_DEP_1) | instskip(NEXT) | instid1(VALU_DEP_1)
	v_bfe_u32 v5, v3, 16, 1
	v_add3_u32 v3, v3, v5, 0x7fff
	s_delay_alu instid0(VALU_DEP_1)
	v_lshrrev_b32_e32 v5, 16, v3
.LBB536_1099:
	s_mov_b32 s0, 0
.LBB536_1100:
	s_delay_alu instid0(SALU_CYCLE_1)
	s_and_not1_b32 vcc_lo, exec_lo, s0
	s_cbranch_vccnz .LBB536_1102
; %bb.1101:
	global_load_i16 v3, v[0:1], off
	s_waitcnt vmcnt(0)
	v_cvt_f32_i32_e32 v3, v3
	s_delay_alu instid0(VALU_DEP_1) | instskip(NEXT) | instid1(VALU_DEP_1)
	v_bfe_u32 v5, v3, 16, 1
	v_add3_u32 v3, v3, v5, 0x7fff
	s_delay_alu instid0(VALU_DEP_1)
	v_lshrrev_b32_e32 v5, 16, v3
.LBB536_1102:
	s_cbranch_execnz .LBB536_1108
.LBB536_1103:
	v_cmp_gt_i16_e64 s0, s3, 0
	s_delay_alu instid0(VALU_DEP_1)
	s_and_b32 vcc_lo, exec_lo, s0
	s_mov_b32 s0, 0
	s_cbranch_vccz .LBB536_1105
; %bb.1104:
	global_load_i8 v3, v[0:1], off
	s_waitcnt vmcnt(0)
	v_cvt_f32_i32_e32 v3, v3
	s_delay_alu instid0(VALU_DEP_1) | instskip(NEXT) | instid1(VALU_DEP_1)
	v_bfe_u32 v5, v3, 16, 1
	v_add3_u32 v3, v3, v5, 0x7fff
	s_delay_alu instid0(VALU_DEP_1)
	v_lshrrev_b32_e32 v5, 16, v3
	s_branch .LBB536_1106
.LBB536_1105:
	s_mov_b32 s0, -1
                                        ; implicit-def: $vgpr5
.LBB536_1106:
	s_delay_alu instid0(SALU_CYCLE_1)
	s_and_not1_b32 vcc_lo, exec_lo, s0
	s_cbranch_vccnz .LBB536_1108
; %bb.1107:
	global_load_u8 v0, v[0:1], off
	s_waitcnt vmcnt(0)
	v_cvt_f32_ubyte0_e32 v0, v0
	s_delay_alu instid0(VALU_DEP_1) | instskip(NEXT) | instid1(VALU_DEP_1)
	v_bfe_u32 v1, v0, 16, 1
	v_add3_u32 v0, v0, v1, 0x7fff
	s_delay_alu instid0(VALU_DEP_1)
	v_lshrrev_b32_e32 v5, 16, v0
.LBB536_1108:
	s_branch .LBB536_1177
.LBB536_1109:
	s_trap 2
	s_sendmsg_rtn_b32 s0, sendmsg(MSG_RTN_GET_DOORBELL)
	s_mov_b32 ttmp2, m0
	s_waitcnt lgkmcnt(0)
	s_and_b32 s0, s0, 0x3ff
	s_delay_alu instid0(SALU_CYCLE_1) | instskip(NEXT) | instid1(SALU_CYCLE_1)
	s_bitset1_b32 s0, 10
	s_mov_b32 m0, s0
	s_sendmsg sendmsg(MSG_INTERRUPT)
	s_mov_b32 m0, ttmp2
.LBB536_1110:                           ; =>This Inner Loop Header: Depth=1
	s_sethalt 5
	s_branch .LBB536_1110
.LBB536_1111:
	s_mov_b32 s0, -1
	s_mov_b32 s16, 0
.LBB536_1112:
                                        ; implicit-def: $vgpr5
.LBB536_1113:
	s_and_b32 vcc_lo, exec_lo, s12
	s_cbranch_vccz .LBB536_1116
; %bb.1114:
	v_cmp_eq_u16_e64 s0, s3, 44
	s_delay_alu instid0(VALU_DEP_1)
	s_and_b32 vcc_lo, exec_lo, s0
	s_cbranch_vccz .LBB536_1117
; %bb.1115:
	global_load_u8 v3, v[0:1], off
	s_mov_b32 s0, 0
	s_mov_b32 s16, -1
	s_waitcnt vmcnt(0)
	v_lshlrev_b32_e32 v5, 23, v3
	v_cmp_ne_u32_e32 vcc_lo, 0xff, v3
	s_delay_alu instid0(VALU_DEP_2) | instskip(SKIP_1) | instid1(VALU_DEP_2)
	v_cndmask_b32_e32 v5, 0x7f800001, v5, vcc_lo
	v_cmp_ne_u32_e32 vcc_lo, 0, v3
	v_cndmask_b32_e32 v3, 0x400000, v5, vcc_lo
	s_delay_alu instid0(VALU_DEP_1) | instskip(SKIP_1) | instid1(VALU_DEP_2)
	v_add_nc_u32_e32 v5, 0x7fff, v3
	v_cmp_o_f32_e32 vcc_lo, v3, v3
	v_lshrrev_b32_e32 v5, 16, v5
	s_delay_alu instid0(VALU_DEP_1)
	v_cndmask_b32_e32 v5, 0x7fc0, v5, vcc_lo
.LBB536_1116:
	s_branch .LBB536_1121
.LBB536_1117:
	s_mov_b32 s0, -1
                                        ; implicit-def: $vgpr5
	s_branch .LBB536_1121
.LBB536_1118:
	v_cmp_eq_u16_e64 s0, s3, 29
	s_delay_alu instid0(VALU_DEP_1)
	s_and_b32 vcc_lo, exec_lo, s0
	s_cbranch_vccz .LBB536_1120
; %bb.1119:
	global_load_b64 v[5:6], v[0:1], off
	s_mov_b32 s0, 0
	s_mov_b32 s16, -1
	s_mov_b32 s12, 0
	s_waitcnt vmcnt(0)
	v_clz_i32_u32_e32 v3, v6
	s_delay_alu instid0(VALU_DEP_1) | instskip(NEXT) | instid1(VALU_DEP_1)
	v_min_u32_e32 v3, 32, v3
	v_lshlrev_b64 v[5:6], v3, v[5:6]
	v_sub_nc_u32_e32 v3, 32, v3
	s_delay_alu instid0(VALU_DEP_2) | instskip(NEXT) | instid1(VALU_DEP_1)
	v_min_u32_e32 v5, 1, v5
	v_or_b32_e32 v5, v6, v5
	s_delay_alu instid0(VALU_DEP_1) | instskip(NEXT) | instid1(VALU_DEP_1)
	v_cvt_f32_u32_e32 v5, v5
	v_ldexp_f32 v3, v5, v3
	s_delay_alu instid0(VALU_DEP_1) | instskip(NEXT) | instid1(VALU_DEP_1)
	v_bfe_u32 v5, v3, 16, 1
	v_add3_u32 v3, v3, v5, 0x7fff
	s_delay_alu instid0(VALU_DEP_1)
	v_lshrrev_b32_e32 v5, 16, v3
	s_branch .LBB536_1122
.LBB536_1120:
	s_mov_b32 s0, -1
                                        ; implicit-def: $vgpr5
.LBB536_1121:
	s_mov_b32 s12, 0
.LBB536_1122:
	s_delay_alu instid0(SALU_CYCLE_1)
	s_and_b32 vcc_lo, exec_lo, s12
	s_cbranch_vccz .LBB536_1140
; %bb.1123:
	v_cmp_lt_i16_e64 s12, s3, 27
	s_delay_alu instid0(VALU_DEP_1)
	s_and_b32 vcc_lo, exec_lo, s12
	s_cbranch_vccnz .LBB536_1126
; %bb.1124:
	v_cmp_gt_i16_e64 s12, s3, 27
	s_delay_alu instid0(VALU_DEP_1)
	s_and_b32 vcc_lo, exec_lo, s12
	s_cbranch_vccz .LBB536_1127
; %bb.1125:
	global_load_b32 v3, v[0:1], off
	s_mov_b32 s12, 0
	s_waitcnt vmcnt(0)
	v_cvt_f32_u32_e32 v3, v3
	s_delay_alu instid0(VALU_DEP_1) | instskip(NEXT) | instid1(VALU_DEP_1)
	v_bfe_u32 v5, v3, 16, 1
	v_add3_u32 v3, v3, v5, 0x7fff
	s_delay_alu instid0(VALU_DEP_1)
	v_lshrrev_b32_e32 v5, 16, v3
	s_branch .LBB536_1128
.LBB536_1126:
	s_mov_b32 s12, -1
                                        ; implicit-def: $vgpr5
	s_branch .LBB536_1131
.LBB536_1127:
	s_mov_b32 s12, -1
                                        ; implicit-def: $vgpr5
.LBB536_1128:
	s_delay_alu instid0(SALU_CYCLE_1)
	s_and_not1_b32 vcc_lo, exec_lo, s12
	s_cbranch_vccnz .LBB536_1130
; %bb.1129:
	global_load_u16 v3, v[0:1], off
	s_waitcnt vmcnt(0)
	v_cvt_f32_u32_e32 v3, v3
	s_delay_alu instid0(VALU_DEP_1) | instskip(NEXT) | instid1(VALU_DEP_1)
	v_bfe_u32 v5, v3, 16, 1
	v_add3_u32 v3, v3, v5, 0x7fff
	s_delay_alu instid0(VALU_DEP_1)
	v_lshrrev_b32_e32 v5, 16, v3
.LBB536_1130:
	s_mov_b32 s12, 0
.LBB536_1131:
	s_delay_alu instid0(SALU_CYCLE_1)
	s_and_not1_b32 vcc_lo, exec_lo, s12
	s_cbranch_vccnz .LBB536_1139
; %bb.1132:
	global_load_u8 v3, v[0:1], off
	s_mov_b32 s12, 0
	s_mov_b32 s17, exec_lo
                                        ; implicit-def: $sgpr16
	s_waitcnt vmcnt(0)
	v_cmpx_lt_i16_e32 0x7f, v3
	s_xor_b32 s17, exec_lo, s17
	s_cbranch_execz .LBB536_1152
; %bb.1133:
	s_mov_b32 s12, -1
	s_mov_b32 s18, exec_lo
                                        ; implicit-def: $sgpr16
	v_cmpx_eq_u16_e32 0x80, v3
; %bb.1134:
	s_mov_b32 s16, 0x7f800001
	s_xor_b32 s12, exec_lo, -1
; %bb.1135:
	s_or_b32 exec_lo, exec_lo, s18
	s_delay_alu instid0(SALU_CYCLE_1)
	s_and_b32 s12, s12, exec_lo
	s_or_saveexec_b32 s17, s17
	v_mov_b32_e32 v5, s16
	s_xor_b32 exec_lo, exec_lo, s17
	s_cbranch_execnz .LBB536_1153
.LBB536_1136:
	s_or_b32 exec_lo, exec_lo, s17
	s_and_saveexec_b32 s16, s12
	s_cbranch_execz .LBB536_1138
.LBB536_1137:
	v_and_b32_e32 v5, 0xffff, v3
	v_lshlrev_b32_e32 v3, 24, v3
	s_delay_alu instid0(VALU_DEP_2) | instskip(NEXT) | instid1(VALU_DEP_2)
	v_and_b32_e32 v6, 7, v5
	v_and_b32_e32 v3, 0x80000000, v3
	s_delay_alu instid0(VALU_DEP_2) | instskip(NEXT) | instid1(VALU_DEP_1)
	v_clz_i32_u32_e32 v7, v6
	v_min_u32_e32 v7, 32, v7
	s_delay_alu instid0(VALU_DEP_1) | instskip(SKIP_1) | instid1(VALU_DEP_2)
	v_subrev_nc_u32_e32 v8, 28, v7
	v_sub_nc_u32_e32 v7, 29, v7
	v_lshlrev_b32_e32 v8, v8, v5
	v_bfe_u32 v5, v5, 3, 4
	s_delay_alu instid0(VALU_DEP_2) | instskip(NEXT) | instid1(VALU_DEP_2)
	v_and_b32_e32 v8, 7, v8
	v_cmp_eq_u32_e32 vcc_lo, 0, v5
	s_delay_alu instid0(VALU_DEP_2) | instskip(NEXT) | instid1(VALU_DEP_1)
	v_dual_cndmask_b32 v5, v5, v7 :: v_dual_cndmask_b32 v6, v6, v8
	v_lshl_add_u32 v5, v5, 23, 0x3b800000
	s_delay_alu instid0(VALU_DEP_2) | instskip(NEXT) | instid1(VALU_DEP_1)
	v_lshlrev_b32_e32 v6, 20, v6
	v_or3_b32 v5, v3, v5, v6
.LBB536_1138:
	s_or_b32 exec_lo, exec_lo, s16
	s_delay_alu instid0(VALU_DEP_1) | instskip(SKIP_1) | instid1(VALU_DEP_2)
	v_bfe_u32 v3, v5, 16, 1
	v_cmp_o_f32_e32 vcc_lo, v5, v5
	v_add3_u32 v3, v5, v3, 0x7fff
	s_delay_alu instid0(VALU_DEP_1) | instskip(NEXT) | instid1(VALU_DEP_1)
	v_lshrrev_b32_e32 v3, 16, v3
	v_cndmask_b32_e32 v5, 0x7fc0, v3, vcc_lo
.LBB536_1139:
	s_mov_b32 s16, -1
.LBB536_1140:
	s_branch .LBB536_1172
.LBB536_1141:
	v_cmp_gt_i16_e64 s12, s3, 22
	s_delay_alu instid0(VALU_DEP_1)
	s_and_b32 vcc_lo, exec_lo, s12
	s_cbranch_vccz .LBB536_1151
; %bb.1142:
	v_cmp_lt_i16_e64 s12, s3, 24
	s_delay_alu instid0(VALU_DEP_1)
	s_and_b32 vcc_lo, exec_lo, s12
	s_cbranch_vccnz .LBB536_1154
; %bb.1143:
	v_cmp_gt_i16_e64 s12, s3, 24
	s_delay_alu instid0(VALU_DEP_1)
	s_and_b32 vcc_lo, exec_lo, s12
	s_cbranch_vccz .LBB536_1155
; %bb.1144:
	global_load_u8 v3, v[0:1], off
	s_mov_b32 s12, 0
	s_mov_b32 s16, exec_lo
                                        ; implicit-def: $sgpr15
	s_waitcnt vmcnt(0)
	v_cmpx_lt_i16_e32 0x7f, v3
	s_xor_b32 s16, exec_lo, s16
	s_cbranch_execz .LBB536_1166
; %bb.1145:
	s_mov_b32 s12, -1
	s_mov_b32 s17, exec_lo
                                        ; implicit-def: $sgpr15
	v_cmpx_eq_u16_e32 0x80, v3
; %bb.1146:
	s_mov_b32 s15, 0x7f800001
	s_xor_b32 s12, exec_lo, -1
; %bb.1147:
	s_or_b32 exec_lo, exec_lo, s17
	s_delay_alu instid0(SALU_CYCLE_1)
	s_and_b32 s12, s12, exec_lo
	s_or_saveexec_b32 s16, s16
	v_mov_b32_e32 v5, s15
	s_xor_b32 exec_lo, exec_lo, s16
	s_cbranch_execnz .LBB536_1167
.LBB536_1148:
	s_or_b32 exec_lo, exec_lo, s16
	s_and_saveexec_b32 s15, s12
	s_cbranch_execz .LBB536_1150
.LBB536_1149:
	v_and_b32_e32 v5, 0xffff, v3
	v_lshlrev_b32_e32 v3, 24, v3
	s_delay_alu instid0(VALU_DEP_2) | instskip(NEXT) | instid1(VALU_DEP_2)
	v_and_b32_e32 v6, 3, v5
	v_and_b32_e32 v3, 0x80000000, v3
	s_delay_alu instid0(VALU_DEP_2) | instskip(NEXT) | instid1(VALU_DEP_1)
	v_clz_i32_u32_e32 v7, v6
	v_min_u32_e32 v7, 32, v7
	s_delay_alu instid0(VALU_DEP_1) | instskip(SKIP_1) | instid1(VALU_DEP_2)
	v_subrev_nc_u32_e32 v8, 29, v7
	v_sub_nc_u32_e32 v7, 30, v7
	v_lshlrev_b32_e32 v8, v8, v5
	v_bfe_u32 v5, v5, 2, 5
	s_delay_alu instid0(VALU_DEP_2) | instskip(NEXT) | instid1(VALU_DEP_2)
	v_and_b32_e32 v8, 3, v8
	v_cmp_eq_u32_e32 vcc_lo, 0, v5
	s_delay_alu instid0(VALU_DEP_2) | instskip(NEXT) | instid1(VALU_DEP_1)
	v_dual_cndmask_b32 v5, v5, v7 :: v_dual_cndmask_b32 v6, v6, v8
	v_lshl_add_u32 v5, v5, 23, 0x37800000
	s_delay_alu instid0(VALU_DEP_2) | instskip(NEXT) | instid1(VALU_DEP_1)
	v_lshlrev_b32_e32 v6, 21, v6
	v_or3_b32 v5, v3, v5, v6
.LBB536_1150:
	s_or_b32 exec_lo, exec_lo, s15
	s_delay_alu instid0(VALU_DEP_1) | instskip(SKIP_2) | instid1(VALU_DEP_2)
	v_bfe_u32 v3, v5, 16, 1
	v_cmp_o_f32_e32 vcc_lo, v5, v5
	s_mov_b32 s12, 0
	v_add3_u32 v3, v5, v3, 0x7fff
	s_delay_alu instid0(VALU_DEP_1) | instskip(NEXT) | instid1(VALU_DEP_1)
	v_lshrrev_b32_e32 v3, 16, v3
	v_cndmask_b32_e32 v5, 0x7fc0, v3, vcc_lo
	s_branch .LBB536_1156
.LBB536_1151:
                                        ; implicit-def: $vgpr5
	s_mov_b32 s15, 0
	s_branch .LBB536_1162
.LBB536_1152:
	s_or_saveexec_b32 s17, s17
	v_mov_b32_e32 v5, s16
	s_xor_b32 exec_lo, exec_lo, s17
	s_cbranch_execz .LBB536_1136
.LBB536_1153:
	v_cmp_ne_u16_e32 vcc_lo, 0, v3
	v_mov_b32_e32 v5, 0
	s_and_not1_b32 s12, s12, exec_lo
	s_and_b32 s16, vcc_lo, exec_lo
	s_delay_alu instid0(SALU_CYCLE_1)
	s_or_b32 s12, s12, s16
	s_or_b32 exec_lo, exec_lo, s17
	s_and_saveexec_b32 s16, s12
	s_cbranch_execnz .LBB536_1137
	s_branch .LBB536_1138
.LBB536_1154:
	s_mov_b32 s12, -1
                                        ; implicit-def: $vgpr5
	s_branch .LBB536_1159
.LBB536_1155:
	s_mov_b32 s12, -1
                                        ; implicit-def: $vgpr5
.LBB536_1156:
	s_delay_alu instid0(SALU_CYCLE_1)
	s_and_b32 vcc_lo, exec_lo, s12
	s_cbranch_vccz .LBB536_1158
; %bb.1157:
	global_load_u8 v3, v[0:1], off
	s_waitcnt vmcnt(0)
	v_lshlrev_b32_e32 v3, 24, v3
	s_delay_alu instid0(VALU_DEP_1) | instskip(NEXT) | instid1(VALU_DEP_1)
	v_and_b32_e32 v5, 0x7f000000, v3
	v_clz_i32_u32_e32 v6, v5
	v_cmp_ne_u32_e32 vcc_lo, 0, v5
	v_add_nc_u32_e32 v8, 0x1000000, v5
	s_delay_alu instid0(VALU_DEP_3) | instskip(NEXT) | instid1(VALU_DEP_1)
	v_min_u32_e32 v6, 32, v6
	v_sub_nc_u32_e64 v6, v6, 4 clamp
	s_delay_alu instid0(VALU_DEP_1) | instskip(SKIP_1) | instid1(VALU_DEP_2)
	v_lshlrev_b32_e32 v7, v6, v5
	v_lshlrev_b32_e32 v6, 23, v6
	v_lshrrev_b32_e32 v7, 4, v7
	s_delay_alu instid0(VALU_DEP_1) | instskip(SKIP_1) | instid1(VALU_DEP_2)
	v_sub_nc_u32_e32 v6, v7, v6
	v_ashrrev_i32_e32 v7, 8, v8
	v_add_nc_u32_e32 v6, 0x3c000000, v6
	s_delay_alu instid0(VALU_DEP_1) | instskip(NEXT) | instid1(VALU_DEP_1)
	v_and_or_b32 v6, 0x7f800000, v7, v6
	v_cndmask_b32_e32 v5, 0, v6, vcc_lo
	s_delay_alu instid0(VALU_DEP_1) | instskip(SKIP_1) | instid1(VALU_DEP_2)
	v_and_or_b32 v3, 0x80000000, v3, v5
	v_bfe_u32 v5, v5, 16, 1
	v_cmp_o_f32_e32 vcc_lo, v3, v3
	s_delay_alu instid0(VALU_DEP_2) | instskip(NEXT) | instid1(VALU_DEP_1)
	v_add3_u32 v5, v3, v5, 0x7fff
	v_lshrrev_b32_e32 v5, 16, v5
	s_delay_alu instid0(VALU_DEP_1)
	v_cndmask_b32_e32 v5, 0x7fc0, v5, vcc_lo
.LBB536_1158:
	s_mov_b32 s12, 0
.LBB536_1159:
	s_delay_alu instid0(SALU_CYCLE_1)
	s_and_not1_b32 vcc_lo, exec_lo, s12
	s_cbranch_vccnz .LBB536_1161
; %bb.1160:
	global_load_u8 v3, v[0:1], off
	s_waitcnt vmcnt(0)
	v_lshlrev_b32_e32 v5, 25, v3
	v_lshlrev_b16 v3, 8, v3
	s_delay_alu instid0(VALU_DEP_2) | instskip(NEXT) | instid1(VALU_DEP_2)
	v_lshrrev_b32_e32 v6, 4, v5
	v_and_or_b32 v7, 0x7f00, v3, 0.5
	v_bfe_i32 v3, v3, 0, 16
	s_delay_alu instid0(VALU_DEP_3) | instskip(NEXT) | instid1(VALU_DEP_1)
	v_or_b32_e32 v6, 0x70000000, v6
	v_dual_add_f32 v7, -0.5, v7 :: v_dual_mul_f32 v6, 0x7800000, v6
	v_cmp_gt_u32_e32 vcc_lo, 0x8000000, v5
	s_delay_alu instid0(VALU_DEP_2) | instskip(NEXT) | instid1(VALU_DEP_1)
	v_cndmask_b32_e32 v5, v6, v7, vcc_lo
	v_and_or_b32 v3, 0x80000000, v3, v5
	v_bfe_u32 v5, v5, 16, 1
	s_delay_alu instid0(VALU_DEP_2) | instskip(NEXT) | instid1(VALU_DEP_2)
	v_cmp_o_f32_e32 vcc_lo, v3, v3
	v_add3_u32 v5, v3, v5, 0x7fff
	s_delay_alu instid0(VALU_DEP_1) | instskip(NEXT) | instid1(VALU_DEP_1)
	v_lshrrev_b32_e32 v5, 16, v5
	v_cndmask_b32_e32 v5, 0x7fc0, v5, vcc_lo
.LBB536_1161:
	s_mov_b32 s16, -1
	s_mov_b32 s15, 0
	s_cbranch_execnz .LBB536_1172
.LBB536_1162:
	v_cmp_gt_i16_e64 s12, s3, 14
	s_delay_alu instid0(VALU_DEP_1)
	s_and_b32 vcc_lo, exec_lo, s12
	s_cbranch_vccz .LBB536_1165
; %bb.1163:
	v_cmp_eq_u16_e64 s0, s3, 15
	s_delay_alu instid0(VALU_DEP_1)
	s_and_b32 vcc_lo, exec_lo, s0
	s_cbranch_vccz .LBB536_1168
; %bb.1164:
	global_load_u16 v5, v[0:1], off
	s_mov_b32 s0, 0
	s_mov_b32 s16, -1
	s_branch .LBB536_1169
.LBB536_1165:
	s_mov_b32 s12, -1
                                        ; implicit-def: $vgpr5
	s_branch .LBB536_1170
.LBB536_1166:
	s_or_saveexec_b32 s16, s16
	v_mov_b32_e32 v5, s15
	s_xor_b32 exec_lo, exec_lo, s16
	s_cbranch_execz .LBB536_1148
.LBB536_1167:
	v_cmp_ne_u16_e32 vcc_lo, 0, v3
	v_mov_b32_e32 v5, 0
	s_and_not1_b32 s12, s12, exec_lo
	s_and_b32 s15, vcc_lo, exec_lo
	s_delay_alu instid0(SALU_CYCLE_1)
	s_or_b32 s12, s12, s15
	s_or_b32 exec_lo, exec_lo, s16
	s_and_saveexec_b32 s15, s12
	s_cbranch_execnz .LBB536_1149
	s_branch .LBB536_1150
.LBB536_1168:
	s_mov_b32 s0, -1
                                        ; implicit-def: $vgpr5
.LBB536_1169:
	s_mov_b32 s12, 0
.LBB536_1170:
	s_delay_alu instid0(SALU_CYCLE_1)
	s_and_b32 vcc_lo, exec_lo, s12
	s_cbranch_vccz .LBB536_1172
; %bb.1171:
	v_cmp_ne_u16_e64 s0, s3, 11
	s_mov_b32 s15, -1
                                        ; implicit-def: $vgpr5
.LBB536_1172:
	s_delay_alu instid0(VALU_DEP_1)
	s_and_b32 vcc_lo, exec_lo, s0
	s_mov_b32 s12, s14
	s_cbranch_vccnz .LBB536_1200
; %bb.1173:
	s_and_not1_b32 vcc_lo, exec_lo, s15
	s_cbranch_vccnz .LBB536_1175
.LBB536_1174:
	global_load_u8 v3, v[0:1], off
	s_mov_b32 s16, -1
	s_waitcnt vmcnt(0)
	v_cmp_ne_u16_e32 vcc_lo, 0, v3
	v_cndmask_b32_e64 v3, 0, 1.0, vcc_lo
	s_delay_alu instid0(VALU_DEP_1)
	v_lshrrev_b32_e32 v5, 16, v3
.LBB536_1175:
.LBB536_1176:
	s_and_not1_b32 vcc_lo, exec_lo, s16
	s_cbranch_vccnz .LBB536_1673
.LBB536_1177:
	s_waitcnt vmcnt(0)
	s_delay_alu instid0(VALU_DEP_1) | instskip(SKIP_1) | instid1(VALU_DEP_1)
	v_dual_mov_b32 v3, s10 :: v_dual_lshlrev_b32 v0, 16, v5
	s_mov_b32 s0, exec_lo
	v_cmpx_o_f32_e32 v0, v0
	s_cbranch_execz .LBB536_1181
; %bb.1178:
	v_mov_b32_e32 v3, s2
	s_mov_b32 s15, exec_lo
	v_cmpx_neq_f32_e32 0x7f800000, v0
; %bb.1179:
	v_cmp_eq_f32_e32 vcc_lo, 0xff800000, v0
	v_cndmask_b32_e64 v3, v5, s11, vcc_lo
; %bb.1180:
	s_or_b32 exec_lo, exec_lo, s15
.LBB536_1181:
	s_delay_alu instid0(SALU_CYCLE_1) | instskip(SKIP_3) | instid1(VALU_DEP_1)
	s_or_b32 exec_lo, exec_lo, s0
	s_lshl_b32 s0, s9, 7
	v_cmp_lt_i16_e64 s9, s3, 11
	v_add_nc_u32_e32 v5, s0, v4
	v_ashrrev_i32_e32 v1, 31, v5
	v_add_co_u32 v0, vcc_lo, s6, v5
	s_delay_alu instid0(VALU_DEP_2)
	v_add_co_ci_u32_e32 v1, vcc_lo, s7, v1, vcc_lo
	s_and_b32 vcc_lo, exec_lo, s9
	s_cbranch_vccnz .LBB536_1188
; %bb.1182:
	v_cmp_gt_i16_e64 s9, s3, 25
	s_mov_b32 s15, 0
	s_delay_alu instid0(VALU_DEP_1)
	s_and_b32 vcc_lo, exec_lo, s9
	s_cbranch_vccz .LBB536_1194
; %bb.1183:
	v_cmp_gt_i16_e64 s9, s3, 28
	s_delay_alu instid0(VALU_DEP_1)
	s_and_b32 vcc_lo, exec_lo, s9
	s_cbranch_vccz .LBB536_1196
; %bb.1184:
	v_cmp_gt_i16_e64 s9, s3, 43
	;; [unrolled: 5-line block ×3, first 2 shown]
	s_delay_alu instid0(VALU_DEP_1)
	s_and_b32 vcc_lo, exec_lo, s9
	s_cbranch_vccz .LBB536_1204
; %bb.1186:
	v_cmp_eq_u16_e64 s9, s3, 46
	s_mov_b32 s17, 0
	s_delay_alu instid0(VALU_DEP_1)
	s_and_b32 vcc_lo, exec_lo, s9
	s_cbranch_vccz .LBB536_1248
; %bb.1187:
	global_load_b32 v6, v[0:1], off
	s_mov_b32 s9, 0
	s_mov_b32 s16, -1
	s_branch .LBB536_1250
.LBB536_1188:
	s_mov_b32 s16, 0
                                        ; implicit-def: $vgpr6
	s_cbranch_execz .LBB536_1315
; %bb.1189:
	v_cmp_lt_i16_e64 s9, s3, 5
	s_delay_alu instid0(VALU_DEP_1)
	s_and_b32 vcc_lo, exec_lo, s9
	s_cbranch_vccnz .LBB536_1195
; %bb.1190:
	v_cmp_lt_i16_e64 s9, s3, 8
	s_delay_alu instid0(VALU_DEP_1)
	s_and_b32 vcc_lo, exec_lo, s9
	s_cbranch_vccnz .LBB536_1197
	;; [unrolled: 5-line block ×3, first 2 shown]
; %bb.1192:
	v_cmp_gt_i16_e64 s9, s3, 9
	s_delay_alu instid0(VALU_DEP_1)
	s_and_b32 vcc_lo, exec_lo, s9
	s_cbranch_vccz .LBB536_1205
; %bb.1193:
	global_load_b64 v[6:7], v[0:1], off
	s_mov_b32 s9, 0
	s_waitcnt vmcnt(0)
	v_cvt_f32_f64_e32 v4, v[6:7]
	s_delay_alu instid0(VALU_DEP_1) | instskip(SKIP_1) | instid1(VALU_DEP_2)
	v_bfe_u32 v6, v4, 16, 1
	v_cmp_o_f32_e32 vcc_lo, v4, v4
	v_add3_u32 v6, v4, v6, 0x7fff
	s_delay_alu instid0(VALU_DEP_1) | instskip(NEXT) | instid1(VALU_DEP_1)
	v_lshrrev_b32_e32 v6, 16, v6
	v_cndmask_b32_e32 v6, 0x7fc0, v6, vcc_lo
	s_branch .LBB536_1206
.LBB536_1194:
	s_mov_b32 s16, 0
	s_mov_b32 s9, 0
                                        ; implicit-def: $vgpr6
	s_cbranch_execnz .LBB536_1279
	s_branch .LBB536_1311
.LBB536_1195:
                                        ; implicit-def: $vgpr6
	s_branch .LBB536_1224
.LBB536_1196:
	s_mov_b32 s17, -1
	s_mov_b32 s16, 0
	s_mov_b32 s9, 0
                                        ; implicit-def: $vgpr6
	s_branch .LBB536_1260
.LBB536_1197:
	s_mov_b32 s9, -1
                                        ; implicit-def: $vgpr6
	s_branch .LBB536_1212
.LBB536_1198:
	s_mov_b32 s17, -1
	s_mov_b32 s16, 0
	s_mov_b32 s9, 0
                                        ; implicit-def: $vgpr6
	s_branch .LBB536_1255
.LBB536_1199:
	s_mov_b32 s9, -1
                                        ; implicit-def: $vgpr6
	s_branch .LBB536_1209
.LBB536_1200:
	s_cbranch_execnz .LBB536_1244
; %bb.1201:
	s_or_b32 s12, s14, exec_lo
                                        ; implicit-def: $vgpr5
	s_cbranch_execz .LBB536_1174
	s_branch .LBB536_1175
.LBB536_1202:
	s_or_saveexec_b32 s19, s19
                                        ; implicit-def: $sgpr20
	s_delay_alu instid0(SALU_CYCLE_1)
	s_xor_b32 exec_lo, exec_lo, s19
	s_cbranch_execz .LBB536_960
.LBB536_1203:
	v_add_f32_e64 v5, 0x46000000, |v6|
	s_and_not1_b32 s18, s18, exec_lo
	s_mov_b32 s20, 0
	s_delay_alu instid0(VALU_DEP_1) | instskip(NEXT) | instid1(VALU_DEP_1)
	v_and_b32_e32 v5, 0xff, v5
	v_cmp_ne_u32_e32 vcc_lo, 0, v5
	s_and_b32 s21, vcc_lo, exec_lo
	s_delay_alu instid0(SALU_CYCLE_1)
	s_or_b32 s18, s18, s21
	s_or_b32 exec_lo, exec_lo, s19
	v_mov_b32_e32 v7, s20
	s_and_saveexec_b32 s19, s18
	s_cbranch_execnz .LBB536_961
	s_branch .LBB536_962
.LBB536_1204:
	s_mov_b32 s17, -1
	s_mov_b32 s16, 0
	s_mov_b32 s9, 0
	s_branch .LBB536_1249
.LBB536_1205:
	s_mov_b32 s9, -1
                                        ; implicit-def: $vgpr6
.LBB536_1206:
	s_delay_alu instid0(SALU_CYCLE_1)
	s_and_not1_b32 vcc_lo, exec_lo, s9
	s_cbranch_vccnz .LBB536_1208
; %bb.1207:
	global_load_b32 v4, v[0:1], off
	s_waitcnt vmcnt(0)
	v_bfe_u32 v6, v4, 16, 1
	v_cmp_o_f32_e32 vcc_lo, v4, v4
	s_delay_alu instid0(VALU_DEP_2) | instskip(NEXT) | instid1(VALU_DEP_1)
	v_add3_u32 v6, v4, v6, 0x7fff
	v_lshrrev_b32_e32 v6, 16, v6
	s_delay_alu instid0(VALU_DEP_1)
	v_cndmask_b32_e32 v6, 0x7fc0, v6, vcc_lo
.LBB536_1208:
	s_mov_b32 s9, 0
.LBB536_1209:
	s_delay_alu instid0(SALU_CYCLE_1)
	s_and_not1_b32 vcc_lo, exec_lo, s9
	s_cbranch_vccnz .LBB536_1211
; %bb.1210:
	global_load_b32 v4, v[0:1], off
	s_waitcnt vmcnt(0)
	v_cvt_f32_f16_e32 v6, v4
	v_cmp_o_f16_e32 vcc_lo, v4, v4
	s_delay_alu instid0(VALU_DEP_2) | instskip(NEXT) | instid1(VALU_DEP_1)
	v_bfe_u32 v7, v6, 16, 1
	v_add3_u32 v6, v6, v7, 0x7fff
	s_delay_alu instid0(VALU_DEP_1) | instskip(NEXT) | instid1(VALU_DEP_1)
	v_lshrrev_b32_e32 v6, 16, v6
	v_cndmask_b32_e32 v6, 0x7fc0, v6, vcc_lo
.LBB536_1211:
	s_mov_b32 s9, 0
.LBB536_1212:
	s_delay_alu instid0(SALU_CYCLE_1)
	s_and_not1_b32 vcc_lo, exec_lo, s9
	s_cbranch_vccnz .LBB536_1223
; %bb.1213:
	v_cmp_lt_i16_e64 s9, s3, 6
	s_delay_alu instid0(VALU_DEP_1)
	s_and_b32 vcc_lo, exec_lo, s9
	s_cbranch_vccnz .LBB536_1216
; %bb.1214:
	v_cmp_gt_i16_e64 s9, s3, 6
	s_delay_alu instid0(VALU_DEP_1)
	s_and_b32 vcc_lo, exec_lo, s9
	s_cbranch_vccz .LBB536_1217
; %bb.1215:
	global_load_b64 v[6:7], v[0:1], off
	s_mov_b32 s9, 0
	s_waitcnt vmcnt(0)
	v_cvt_f32_f64_e32 v4, v[6:7]
	s_delay_alu instid0(VALU_DEP_1) | instskip(SKIP_1) | instid1(VALU_DEP_2)
	v_bfe_u32 v6, v4, 16, 1
	v_cmp_o_f32_e32 vcc_lo, v4, v4
	v_add3_u32 v6, v4, v6, 0x7fff
	s_delay_alu instid0(VALU_DEP_1) | instskip(NEXT) | instid1(VALU_DEP_1)
	v_lshrrev_b32_e32 v6, 16, v6
	v_cndmask_b32_e32 v6, 0x7fc0, v6, vcc_lo
	s_branch .LBB536_1218
.LBB536_1216:
	s_mov_b32 s9, -1
                                        ; implicit-def: $vgpr6
	s_branch .LBB536_1221
.LBB536_1217:
	s_mov_b32 s9, -1
                                        ; implicit-def: $vgpr6
.LBB536_1218:
	s_delay_alu instid0(SALU_CYCLE_1)
	s_and_not1_b32 vcc_lo, exec_lo, s9
	s_cbranch_vccnz .LBB536_1220
; %bb.1219:
	global_load_b32 v4, v[0:1], off
	s_waitcnt vmcnt(0)
	v_bfe_u32 v6, v4, 16, 1
	v_cmp_o_f32_e32 vcc_lo, v4, v4
	s_delay_alu instid0(VALU_DEP_2) | instskip(NEXT) | instid1(VALU_DEP_1)
	v_add3_u32 v6, v4, v6, 0x7fff
	v_lshrrev_b32_e32 v6, 16, v6
	s_delay_alu instid0(VALU_DEP_1)
	v_cndmask_b32_e32 v6, 0x7fc0, v6, vcc_lo
.LBB536_1220:
	s_mov_b32 s9, 0
.LBB536_1221:
	s_delay_alu instid0(SALU_CYCLE_1)
	s_and_not1_b32 vcc_lo, exec_lo, s9
	s_cbranch_vccnz .LBB536_1223
; %bb.1222:
	global_load_u16 v4, v[0:1], off
	s_waitcnt vmcnt(0)
	v_cvt_f32_f16_e32 v6, v4
	v_cmp_o_f16_e32 vcc_lo, v4, v4
	s_delay_alu instid0(VALU_DEP_2) | instskip(NEXT) | instid1(VALU_DEP_1)
	v_bfe_u32 v7, v6, 16, 1
	v_add3_u32 v6, v6, v7, 0x7fff
	s_delay_alu instid0(VALU_DEP_1) | instskip(NEXT) | instid1(VALU_DEP_1)
	v_lshrrev_b32_e32 v6, 16, v6
	v_cndmask_b32_e32 v6, 0x7fc0, v6, vcc_lo
.LBB536_1223:
	s_cbranch_execnz .LBB536_1243
.LBB536_1224:
	v_cmp_lt_i16_e64 s9, s3, 2
	s_delay_alu instid0(VALU_DEP_1)
	s_and_b32 vcc_lo, exec_lo, s9
	s_cbranch_vccnz .LBB536_1228
; %bb.1225:
	v_cmp_lt_i16_e64 s9, s3, 3
	s_delay_alu instid0(VALU_DEP_1)
	s_and_b32 vcc_lo, exec_lo, s9
	s_cbranch_vccnz .LBB536_1229
; %bb.1226:
	v_cmp_gt_i16_e64 s9, s3, 3
	s_delay_alu instid0(VALU_DEP_1)
	s_and_b32 vcc_lo, exec_lo, s9
	s_cbranch_vccz .LBB536_1230
; %bb.1227:
	global_load_b64 v[6:7], v[0:1], off
	s_mov_b32 s9, 0
	s_waitcnt vmcnt(0)
	v_xor_b32_e32 v4, v6, v7
	v_cls_i32_e32 v8, v7
	s_delay_alu instid0(VALU_DEP_2) | instskip(NEXT) | instid1(VALU_DEP_2)
	v_ashrrev_i32_e32 v4, 31, v4
	v_add_nc_u32_e32 v8, -1, v8
	s_delay_alu instid0(VALU_DEP_2) | instskip(NEXT) | instid1(VALU_DEP_1)
	v_add_nc_u32_e32 v4, 32, v4
	v_min_u32_e32 v4, v8, v4
	s_delay_alu instid0(VALU_DEP_1) | instskip(SKIP_1) | instid1(VALU_DEP_2)
	v_lshlrev_b64 v[6:7], v4, v[6:7]
	v_sub_nc_u32_e32 v4, 32, v4
	v_min_u32_e32 v6, 1, v6
	s_delay_alu instid0(VALU_DEP_1) | instskip(NEXT) | instid1(VALU_DEP_1)
	v_or_b32_e32 v6, v7, v6
	v_cvt_f32_i32_e32 v6, v6
	s_delay_alu instid0(VALU_DEP_1) | instskip(NEXT) | instid1(VALU_DEP_1)
	v_ldexp_f32 v4, v6, v4
	v_bfe_u32 v6, v4, 16, 1
	s_delay_alu instid0(VALU_DEP_1) | instskip(NEXT) | instid1(VALU_DEP_1)
	v_add3_u32 v4, v4, v6, 0x7fff
	v_lshrrev_b32_e32 v6, 16, v4
	s_branch .LBB536_1231
.LBB536_1228:
	s_mov_b32 s9, -1
                                        ; implicit-def: $vgpr6
	s_branch .LBB536_1237
.LBB536_1229:
	s_mov_b32 s9, -1
                                        ; implicit-def: $vgpr6
	s_branch .LBB536_1234
.LBB536_1230:
	s_mov_b32 s9, -1
                                        ; implicit-def: $vgpr6
.LBB536_1231:
	s_delay_alu instid0(SALU_CYCLE_1)
	s_and_not1_b32 vcc_lo, exec_lo, s9
	s_cbranch_vccnz .LBB536_1233
; %bb.1232:
	global_load_b32 v4, v[0:1], off
	s_waitcnt vmcnt(0)
	v_cvt_f32_i32_e32 v4, v4
	s_delay_alu instid0(VALU_DEP_1) | instskip(NEXT) | instid1(VALU_DEP_1)
	v_bfe_u32 v6, v4, 16, 1
	v_add3_u32 v4, v4, v6, 0x7fff
	s_delay_alu instid0(VALU_DEP_1)
	v_lshrrev_b32_e32 v6, 16, v4
.LBB536_1233:
	s_mov_b32 s9, 0
.LBB536_1234:
	s_delay_alu instid0(SALU_CYCLE_1)
	s_and_not1_b32 vcc_lo, exec_lo, s9
	s_cbranch_vccnz .LBB536_1236
; %bb.1235:
	global_load_i16 v4, v[0:1], off
	s_waitcnt vmcnt(0)
	v_cvt_f32_i32_e32 v4, v4
	s_delay_alu instid0(VALU_DEP_1) | instskip(NEXT) | instid1(VALU_DEP_1)
	v_bfe_u32 v6, v4, 16, 1
	v_add3_u32 v4, v4, v6, 0x7fff
	s_delay_alu instid0(VALU_DEP_1)
	v_lshrrev_b32_e32 v6, 16, v4
.LBB536_1236:
	s_mov_b32 s9, 0
.LBB536_1237:
	s_delay_alu instid0(SALU_CYCLE_1)
	s_and_not1_b32 vcc_lo, exec_lo, s9
	s_cbranch_vccnz .LBB536_1243
; %bb.1238:
	v_cmp_gt_i16_e64 s9, s3, 0
	s_delay_alu instid0(VALU_DEP_1)
	s_and_b32 vcc_lo, exec_lo, s9
	s_mov_b32 s9, 0
	s_cbranch_vccz .LBB536_1240
; %bb.1239:
	global_load_i8 v4, v[0:1], off
	s_waitcnt vmcnt(0)
	v_cvt_f32_i32_e32 v4, v4
	s_delay_alu instid0(VALU_DEP_1) | instskip(NEXT) | instid1(VALU_DEP_1)
	v_bfe_u32 v6, v4, 16, 1
	v_add3_u32 v4, v4, v6, 0x7fff
	s_delay_alu instid0(VALU_DEP_1)
	v_lshrrev_b32_e32 v6, 16, v4
	s_branch .LBB536_1241
.LBB536_1240:
	s_mov_b32 s9, -1
                                        ; implicit-def: $vgpr6
.LBB536_1241:
	s_delay_alu instid0(SALU_CYCLE_1)
	s_and_not1_b32 vcc_lo, exec_lo, s9
	s_cbranch_vccnz .LBB536_1243
; %bb.1242:
	global_load_u8 v0, v[0:1], off
	s_waitcnt vmcnt(0)
	v_cvt_f32_ubyte0_e32 v0, v0
	s_delay_alu instid0(VALU_DEP_1) | instskip(NEXT) | instid1(VALU_DEP_1)
	v_bfe_u32 v1, v0, 16, 1
	v_add3_u32 v0, v0, v1, 0x7fff
	s_delay_alu instid0(VALU_DEP_1)
	v_lshrrev_b32_e32 v6, 16, v0
.LBB536_1243:
	s_branch .LBB536_1316
.LBB536_1244:
	s_trap 2
	s_sendmsg_rtn_b32 s0, sendmsg(MSG_RTN_GET_DOORBELL)
	s_mov_b32 ttmp2, m0
	s_waitcnt lgkmcnt(0)
	s_and_b32 s0, s0, 0x3ff
	s_delay_alu instid0(SALU_CYCLE_1) | instskip(NEXT) | instid1(SALU_CYCLE_1)
	s_bitset1_b32 s0, 10
	s_mov_b32 m0, s0
	s_sendmsg sendmsg(MSG_INTERRUPT)
	s_mov_b32 m0, ttmp2
.LBB536_1245:                           ; =>This Inner Loop Header: Depth=1
	s_sethalt 5
	s_branch .LBB536_1245
.LBB536_1246:
	s_or_saveexec_b32 s20, s20
                                        ; implicit-def: $sgpr21
	s_delay_alu instid0(SALU_CYCLE_1)
	s_xor_b32 exec_lo, exec_lo, s20
	s_cbranch_execz .LBB536_972
.LBB536_1247:
	v_add_f32_e64 v5, 0x42800000, |v6|
	s_and_not1_b32 s19, s19, exec_lo
	s_mov_b32 s21, 0
	s_delay_alu instid0(VALU_DEP_1) | instskip(NEXT) | instid1(VALU_DEP_1)
	v_and_b32_e32 v5, 0xff, v5
	v_cmp_ne_u32_e32 vcc_lo, 0, v5
	s_and_b32 s22, vcc_lo, exec_lo
	s_delay_alu instid0(SALU_CYCLE_1)
	s_or_b32 s19, s19, s22
	s_or_b32 exec_lo, exec_lo, s20
	v_mov_b32_e32 v7, s21
	s_and_saveexec_b32 s20, s19
	s_cbranch_execnz .LBB536_973
	s_branch .LBB536_974
.LBB536_1248:
	s_mov_b32 s9, -1
	s_mov_b32 s16, 0
.LBB536_1249:
                                        ; implicit-def: $vgpr6
.LBB536_1250:
	s_and_b32 vcc_lo, exec_lo, s17
	s_cbranch_vccz .LBB536_1254
; %bb.1251:
	v_cmp_eq_u16_e64 s9, s3, 44
	s_delay_alu instid0(VALU_DEP_1)
	s_and_b32 vcc_lo, exec_lo, s9
	s_cbranch_vccz .LBB536_1253
; %bb.1252:
	global_load_u8 v4, v[0:1], off
	s_mov_b32 s9, 0
	s_mov_b32 s16, -1
	s_waitcnt vmcnt(0)
	v_lshlrev_b32_e32 v6, 23, v4
	v_cmp_ne_u32_e32 vcc_lo, 0xff, v4
	s_delay_alu instid0(VALU_DEP_2) | instskip(SKIP_1) | instid1(VALU_DEP_2)
	v_cndmask_b32_e32 v6, 0x7f800001, v6, vcc_lo
	v_cmp_ne_u32_e32 vcc_lo, 0, v4
	v_cndmask_b32_e32 v4, 0x400000, v6, vcc_lo
	s_delay_alu instid0(VALU_DEP_1) | instskip(SKIP_1) | instid1(VALU_DEP_2)
	v_add_nc_u32_e32 v6, 0x7fff, v4
	v_cmp_o_f32_e32 vcc_lo, v4, v4
	v_lshrrev_b32_e32 v6, 16, v6
	s_delay_alu instid0(VALU_DEP_1)
	v_cndmask_b32_e32 v6, 0x7fc0, v6, vcc_lo
	s_branch .LBB536_1254
.LBB536_1253:
	s_mov_b32 s9, -1
                                        ; implicit-def: $vgpr6
.LBB536_1254:
	s_mov_b32 s17, 0
.LBB536_1255:
	s_delay_alu instid0(SALU_CYCLE_1)
	s_and_b32 vcc_lo, exec_lo, s17
	s_cbranch_vccz .LBB536_1259
; %bb.1256:
	v_cmp_eq_u16_e64 s9, s3, 29
	s_delay_alu instid0(VALU_DEP_1)
	s_and_b32 vcc_lo, exec_lo, s9
	s_cbranch_vccz .LBB536_1258
; %bb.1257:
	global_load_b64 v[6:7], v[0:1], off
	s_mov_b32 s9, 0
	s_mov_b32 s16, -1
	s_mov_b32 s17, 0
	s_waitcnt vmcnt(0)
	v_clz_i32_u32_e32 v4, v7
	s_delay_alu instid0(VALU_DEP_1) | instskip(NEXT) | instid1(VALU_DEP_1)
	v_min_u32_e32 v4, 32, v4
	v_lshlrev_b64 v[6:7], v4, v[6:7]
	v_sub_nc_u32_e32 v4, 32, v4
	s_delay_alu instid0(VALU_DEP_2) | instskip(NEXT) | instid1(VALU_DEP_1)
	v_min_u32_e32 v6, 1, v6
	v_or_b32_e32 v6, v7, v6
	s_delay_alu instid0(VALU_DEP_1) | instskip(NEXT) | instid1(VALU_DEP_1)
	v_cvt_f32_u32_e32 v6, v6
	v_ldexp_f32 v4, v6, v4
	s_delay_alu instid0(VALU_DEP_1) | instskip(NEXT) | instid1(VALU_DEP_1)
	v_bfe_u32 v6, v4, 16, 1
	v_add3_u32 v4, v4, v6, 0x7fff
	s_delay_alu instid0(VALU_DEP_1)
	v_lshrrev_b32_e32 v6, 16, v4
	s_branch .LBB536_1260
.LBB536_1258:
	s_mov_b32 s9, -1
                                        ; implicit-def: $vgpr6
.LBB536_1259:
	s_mov_b32 s17, 0
.LBB536_1260:
	s_delay_alu instid0(SALU_CYCLE_1)
	s_and_b32 vcc_lo, exec_lo, s17
	s_cbranch_vccz .LBB536_1278
; %bb.1261:
	v_cmp_lt_i16_e64 s16, s3, 27
	s_delay_alu instid0(VALU_DEP_1)
	s_and_b32 vcc_lo, exec_lo, s16
	s_cbranch_vccnz .LBB536_1264
; %bb.1262:
	v_cmp_gt_i16_e64 s16, s3, 27
	s_delay_alu instid0(VALU_DEP_1)
	s_and_b32 vcc_lo, exec_lo, s16
	s_cbranch_vccz .LBB536_1265
; %bb.1263:
	global_load_b32 v4, v[0:1], off
	s_mov_b32 s16, 0
	s_waitcnt vmcnt(0)
	v_cvt_f32_u32_e32 v4, v4
	s_delay_alu instid0(VALU_DEP_1) | instskip(NEXT) | instid1(VALU_DEP_1)
	v_bfe_u32 v6, v4, 16, 1
	v_add3_u32 v4, v4, v6, 0x7fff
	s_delay_alu instid0(VALU_DEP_1)
	v_lshrrev_b32_e32 v6, 16, v4
	s_branch .LBB536_1266
.LBB536_1264:
	s_mov_b32 s16, -1
                                        ; implicit-def: $vgpr6
	s_branch .LBB536_1269
.LBB536_1265:
	s_mov_b32 s16, -1
                                        ; implicit-def: $vgpr6
.LBB536_1266:
	s_delay_alu instid0(SALU_CYCLE_1)
	s_and_not1_b32 vcc_lo, exec_lo, s16
	s_cbranch_vccnz .LBB536_1268
; %bb.1267:
	global_load_u16 v4, v[0:1], off
	s_waitcnt vmcnt(0)
	v_cvt_f32_u32_e32 v4, v4
	s_delay_alu instid0(VALU_DEP_1) | instskip(NEXT) | instid1(VALU_DEP_1)
	v_bfe_u32 v6, v4, 16, 1
	v_add3_u32 v4, v4, v6, 0x7fff
	s_delay_alu instid0(VALU_DEP_1)
	v_lshrrev_b32_e32 v6, 16, v4
.LBB536_1268:
	s_mov_b32 s16, 0
.LBB536_1269:
	s_delay_alu instid0(SALU_CYCLE_1)
	s_and_not1_b32 vcc_lo, exec_lo, s16
	s_cbranch_vccnz .LBB536_1277
; %bb.1270:
	global_load_u8 v4, v[0:1], off
	s_mov_b32 s16, 0
	s_mov_b32 s18, exec_lo
                                        ; implicit-def: $sgpr17
	s_waitcnt vmcnt(0)
	v_cmpx_lt_i16_e32 0x7f, v4
	s_xor_b32 s18, exec_lo, s18
	s_cbranch_execz .LBB536_1290
; %bb.1271:
	s_mov_b32 s16, -1
	s_mov_b32 s19, exec_lo
                                        ; implicit-def: $sgpr17
	v_cmpx_eq_u16_e32 0x80, v4
; %bb.1272:
	s_mov_b32 s17, 0x7f800001
	s_xor_b32 s16, exec_lo, -1
; %bb.1273:
	s_or_b32 exec_lo, exec_lo, s19
	s_delay_alu instid0(SALU_CYCLE_1)
	s_and_b32 s16, s16, exec_lo
	s_or_saveexec_b32 s18, s18
	v_mov_b32_e32 v6, s17
	s_xor_b32 exec_lo, exec_lo, s18
	s_cbranch_execnz .LBB536_1291
.LBB536_1274:
	s_or_b32 exec_lo, exec_lo, s18
	s_and_saveexec_b32 s17, s16
	s_cbranch_execz .LBB536_1276
.LBB536_1275:
	v_and_b32_e32 v6, 0xffff, v4
	v_lshlrev_b32_e32 v4, 24, v4
	s_delay_alu instid0(VALU_DEP_2) | instskip(NEXT) | instid1(VALU_DEP_2)
	v_and_b32_e32 v7, 7, v6
	v_and_b32_e32 v4, 0x80000000, v4
	s_delay_alu instid0(VALU_DEP_2) | instskip(NEXT) | instid1(VALU_DEP_1)
	v_clz_i32_u32_e32 v8, v7
	v_min_u32_e32 v8, 32, v8
	s_delay_alu instid0(VALU_DEP_1) | instskip(SKIP_1) | instid1(VALU_DEP_2)
	v_subrev_nc_u32_e32 v9, 28, v8
	v_sub_nc_u32_e32 v8, 29, v8
	v_lshlrev_b32_e32 v9, v9, v6
	v_bfe_u32 v6, v6, 3, 4
	s_delay_alu instid0(VALU_DEP_2) | instskip(NEXT) | instid1(VALU_DEP_2)
	v_and_b32_e32 v9, 7, v9
	v_cmp_eq_u32_e32 vcc_lo, 0, v6
	s_delay_alu instid0(VALU_DEP_2) | instskip(NEXT) | instid1(VALU_DEP_1)
	v_dual_cndmask_b32 v6, v6, v8 :: v_dual_cndmask_b32 v7, v7, v9
	v_lshl_add_u32 v6, v6, 23, 0x3b800000
	s_delay_alu instid0(VALU_DEP_2) | instskip(NEXT) | instid1(VALU_DEP_1)
	v_lshlrev_b32_e32 v7, 20, v7
	v_or3_b32 v6, v4, v6, v7
.LBB536_1276:
	s_or_b32 exec_lo, exec_lo, s17
	s_delay_alu instid0(VALU_DEP_1) | instskip(SKIP_1) | instid1(VALU_DEP_2)
	v_bfe_u32 v4, v6, 16, 1
	v_cmp_o_f32_e32 vcc_lo, v6, v6
	v_add3_u32 v4, v6, v4, 0x7fff
	s_delay_alu instid0(VALU_DEP_1) | instskip(NEXT) | instid1(VALU_DEP_1)
	v_lshrrev_b32_e32 v4, 16, v4
	v_cndmask_b32_e32 v6, 0x7fc0, v4, vcc_lo
.LBB536_1277:
	s_mov_b32 s16, -1
.LBB536_1278:
	s_branch .LBB536_1311
.LBB536_1279:
	v_cmp_gt_i16_e64 s15, s3, 22
	s_delay_alu instid0(VALU_DEP_1)
	s_and_b32 vcc_lo, exec_lo, s15
	s_cbranch_vccz .LBB536_1289
; %bb.1280:
	v_cmp_lt_i16_e64 s15, s3, 24
	s_delay_alu instid0(VALU_DEP_1)
	s_and_b32 vcc_lo, exec_lo, s15
	s_cbranch_vccnz .LBB536_1292
; %bb.1281:
	v_cmp_gt_i16_e64 s15, s3, 24
	s_delay_alu instid0(VALU_DEP_1)
	s_and_b32 vcc_lo, exec_lo, s15
	s_cbranch_vccz .LBB536_1293
; %bb.1282:
	global_load_u8 v4, v[0:1], off
	s_mov_b32 s15, 0
	s_mov_b32 s17, exec_lo
                                        ; implicit-def: $sgpr16
	s_waitcnt vmcnt(0)
	v_cmpx_lt_i16_e32 0x7f, v4
	s_xor_b32 s17, exec_lo, s17
	s_cbranch_execz .LBB536_1305
; %bb.1283:
	s_mov_b32 s15, -1
	s_mov_b32 s18, exec_lo
                                        ; implicit-def: $sgpr16
	v_cmpx_eq_u16_e32 0x80, v4
; %bb.1284:
	s_mov_b32 s16, 0x7f800001
	s_xor_b32 s15, exec_lo, -1
; %bb.1285:
	s_or_b32 exec_lo, exec_lo, s18
	s_delay_alu instid0(SALU_CYCLE_1)
	s_and_b32 s15, s15, exec_lo
	s_or_saveexec_b32 s17, s17
	v_mov_b32_e32 v6, s16
	s_xor_b32 exec_lo, exec_lo, s17
	s_cbranch_execnz .LBB536_1306
.LBB536_1286:
	s_or_b32 exec_lo, exec_lo, s17
	s_and_saveexec_b32 s16, s15
	s_cbranch_execz .LBB536_1288
.LBB536_1287:
	v_and_b32_e32 v6, 0xffff, v4
	v_lshlrev_b32_e32 v4, 24, v4
	s_delay_alu instid0(VALU_DEP_2) | instskip(NEXT) | instid1(VALU_DEP_2)
	v_and_b32_e32 v7, 3, v6
	v_and_b32_e32 v4, 0x80000000, v4
	s_delay_alu instid0(VALU_DEP_2) | instskip(NEXT) | instid1(VALU_DEP_1)
	v_clz_i32_u32_e32 v8, v7
	v_min_u32_e32 v8, 32, v8
	s_delay_alu instid0(VALU_DEP_1) | instskip(SKIP_1) | instid1(VALU_DEP_2)
	v_subrev_nc_u32_e32 v9, 29, v8
	v_sub_nc_u32_e32 v8, 30, v8
	v_lshlrev_b32_e32 v9, v9, v6
	v_bfe_u32 v6, v6, 2, 5
	s_delay_alu instid0(VALU_DEP_2) | instskip(NEXT) | instid1(VALU_DEP_2)
	v_and_b32_e32 v9, 3, v9
	v_cmp_eq_u32_e32 vcc_lo, 0, v6
	s_delay_alu instid0(VALU_DEP_2) | instskip(NEXT) | instid1(VALU_DEP_1)
	v_dual_cndmask_b32 v6, v6, v8 :: v_dual_cndmask_b32 v7, v7, v9
	v_lshl_add_u32 v6, v6, 23, 0x37800000
	s_delay_alu instid0(VALU_DEP_2) | instskip(NEXT) | instid1(VALU_DEP_1)
	v_lshlrev_b32_e32 v7, 21, v7
	v_or3_b32 v6, v4, v6, v7
.LBB536_1288:
	s_or_b32 exec_lo, exec_lo, s16
	s_delay_alu instid0(VALU_DEP_1) | instskip(SKIP_2) | instid1(VALU_DEP_2)
	v_bfe_u32 v4, v6, 16, 1
	v_cmp_o_f32_e32 vcc_lo, v6, v6
	s_mov_b32 s15, 0
	v_add3_u32 v4, v6, v4, 0x7fff
	s_delay_alu instid0(VALU_DEP_1) | instskip(NEXT) | instid1(VALU_DEP_1)
	v_lshrrev_b32_e32 v4, 16, v4
	v_cndmask_b32_e32 v6, 0x7fc0, v4, vcc_lo
	s_branch .LBB536_1294
.LBB536_1289:
	s_mov_b32 s15, -1
                                        ; implicit-def: $vgpr6
	s_branch .LBB536_1300
.LBB536_1290:
	s_or_saveexec_b32 s18, s18
	v_mov_b32_e32 v6, s17
	s_xor_b32 exec_lo, exec_lo, s18
	s_cbranch_execz .LBB536_1274
.LBB536_1291:
	v_cmp_ne_u16_e32 vcc_lo, 0, v4
	v_mov_b32_e32 v6, 0
	s_and_not1_b32 s16, s16, exec_lo
	s_and_b32 s17, vcc_lo, exec_lo
	s_delay_alu instid0(SALU_CYCLE_1)
	s_or_b32 s16, s16, s17
	s_or_b32 exec_lo, exec_lo, s18
	s_and_saveexec_b32 s17, s16
	s_cbranch_execnz .LBB536_1275
	s_branch .LBB536_1276
.LBB536_1292:
	s_mov_b32 s15, -1
                                        ; implicit-def: $vgpr6
	s_branch .LBB536_1297
.LBB536_1293:
	s_mov_b32 s15, -1
                                        ; implicit-def: $vgpr6
.LBB536_1294:
	s_delay_alu instid0(SALU_CYCLE_1)
	s_and_b32 vcc_lo, exec_lo, s15
	s_cbranch_vccz .LBB536_1296
; %bb.1295:
	global_load_u8 v4, v[0:1], off
	s_waitcnt vmcnt(0)
	v_lshlrev_b32_e32 v4, 24, v4
	s_delay_alu instid0(VALU_DEP_1) | instskip(NEXT) | instid1(VALU_DEP_1)
	v_and_b32_e32 v6, 0x7f000000, v4
	v_clz_i32_u32_e32 v7, v6
	v_cmp_ne_u32_e32 vcc_lo, 0, v6
	v_add_nc_u32_e32 v9, 0x1000000, v6
	s_delay_alu instid0(VALU_DEP_3) | instskip(NEXT) | instid1(VALU_DEP_1)
	v_min_u32_e32 v7, 32, v7
	v_sub_nc_u32_e64 v7, v7, 4 clamp
	s_delay_alu instid0(VALU_DEP_1) | instskip(SKIP_1) | instid1(VALU_DEP_2)
	v_lshlrev_b32_e32 v8, v7, v6
	v_lshlrev_b32_e32 v7, 23, v7
	v_lshrrev_b32_e32 v8, 4, v8
	s_delay_alu instid0(VALU_DEP_1) | instskip(SKIP_1) | instid1(VALU_DEP_2)
	v_sub_nc_u32_e32 v7, v8, v7
	v_ashrrev_i32_e32 v8, 8, v9
	v_add_nc_u32_e32 v7, 0x3c000000, v7
	s_delay_alu instid0(VALU_DEP_1) | instskip(NEXT) | instid1(VALU_DEP_1)
	v_and_or_b32 v7, 0x7f800000, v8, v7
	v_cndmask_b32_e32 v6, 0, v7, vcc_lo
	s_delay_alu instid0(VALU_DEP_1) | instskip(SKIP_1) | instid1(VALU_DEP_2)
	v_and_or_b32 v4, 0x80000000, v4, v6
	v_bfe_u32 v6, v6, 16, 1
	v_cmp_o_f32_e32 vcc_lo, v4, v4
	s_delay_alu instid0(VALU_DEP_2) | instskip(NEXT) | instid1(VALU_DEP_1)
	v_add3_u32 v6, v4, v6, 0x7fff
	v_lshrrev_b32_e32 v6, 16, v6
	s_delay_alu instid0(VALU_DEP_1)
	v_cndmask_b32_e32 v6, 0x7fc0, v6, vcc_lo
.LBB536_1296:
	s_mov_b32 s15, 0
.LBB536_1297:
	s_delay_alu instid0(SALU_CYCLE_1)
	s_and_not1_b32 vcc_lo, exec_lo, s15
	s_cbranch_vccnz .LBB536_1299
; %bb.1298:
	global_load_u8 v4, v[0:1], off
	s_waitcnt vmcnt(0)
	v_lshlrev_b32_e32 v6, 25, v4
	v_lshlrev_b16 v4, 8, v4
	s_delay_alu instid0(VALU_DEP_2) | instskip(NEXT) | instid1(VALU_DEP_2)
	v_lshrrev_b32_e32 v7, 4, v6
	v_and_or_b32 v8, 0x7f00, v4, 0.5
	v_bfe_i32 v4, v4, 0, 16
	s_delay_alu instid0(VALU_DEP_3) | instskip(NEXT) | instid1(VALU_DEP_1)
	v_or_b32_e32 v7, 0x70000000, v7
	v_dual_add_f32 v8, -0.5, v8 :: v_dual_mul_f32 v7, 0x7800000, v7
	v_cmp_gt_u32_e32 vcc_lo, 0x8000000, v6
	s_delay_alu instid0(VALU_DEP_2) | instskip(NEXT) | instid1(VALU_DEP_1)
	v_cndmask_b32_e32 v6, v7, v8, vcc_lo
	v_and_or_b32 v4, 0x80000000, v4, v6
	v_bfe_u32 v6, v6, 16, 1
	s_delay_alu instid0(VALU_DEP_2) | instskip(NEXT) | instid1(VALU_DEP_2)
	v_cmp_o_f32_e32 vcc_lo, v4, v4
	v_add3_u32 v6, v4, v6, 0x7fff
	s_delay_alu instid0(VALU_DEP_1) | instskip(NEXT) | instid1(VALU_DEP_1)
	v_lshrrev_b32_e32 v6, 16, v6
	v_cndmask_b32_e32 v6, 0x7fc0, v6, vcc_lo
.LBB536_1299:
	s_mov_b32 s15, 0
	s_mov_b32 s16, -1
.LBB536_1300:
	s_and_not1_b32 vcc_lo, exec_lo, s15
	s_mov_b32 s15, 0
	s_cbranch_vccnz .LBB536_1311
; %bb.1301:
	v_cmp_gt_i16_e64 s15, s3, 14
	s_delay_alu instid0(VALU_DEP_1)
	s_and_b32 vcc_lo, exec_lo, s15
	s_cbranch_vccz .LBB536_1304
; %bb.1302:
	v_cmp_eq_u16_e64 s9, s3, 15
	s_delay_alu instid0(VALU_DEP_1)
	s_and_b32 vcc_lo, exec_lo, s9
	s_cbranch_vccz .LBB536_1307
; %bb.1303:
	global_load_u16 v6, v[0:1], off
	s_mov_b32 s9, 0
	s_mov_b32 s16, -1
	s_branch .LBB536_1308
.LBB536_1304:
	s_mov_b32 s15, -1
                                        ; implicit-def: $vgpr6
	s_branch .LBB536_1309
.LBB536_1305:
	s_or_saveexec_b32 s17, s17
	v_mov_b32_e32 v6, s16
	s_xor_b32 exec_lo, exec_lo, s17
	s_cbranch_execz .LBB536_1286
.LBB536_1306:
	v_cmp_ne_u16_e32 vcc_lo, 0, v4
	v_mov_b32_e32 v6, 0
	s_and_not1_b32 s15, s15, exec_lo
	s_and_b32 s16, vcc_lo, exec_lo
	s_delay_alu instid0(SALU_CYCLE_1)
	s_or_b32 s15, s15, s16
	s_or_b32 exec_lo, exec_lo, s17
	s_and_saveexec_b32 s16, s15
	s_cbranch_execnz .LBB536_1287
	s_branch .LBB536_1288
.LBB536_1307:
	s_mov_b32 s9, -1
                                        ; implicit-def: $vgpr6
.LBB536_1308:
	s_mov_b32 s15, 0
.LBB536_1309:
	s_delay_alu instid0(SALU_CYCLE_1)
	s_and_b32 vcc_lo, exec_lo, s15
	s_mov_b32 s15, 0
	s_cbranch_vccz .LBB536_1311
; %bb.1310:
	v_cmp_ne_u16_e64 s9, s3, 11
	s_mov_b32 s15, -1
                                        ; implicit-def: $vgpr6
.LBB536_1311:
	s_delay_alu instid0(VALU_DEP_1)
	s_and_b32 vcc_lo, exec_lo, s9
	s_cbranch_vccnz .LBB536_1339
; %bb.1312:
	s_and_not1_b32 vcc_lo, exec_lo, s15
	s_cbranch_vccnz .LBB536_1314
.LBB536_1313:
	global_load_u8 v4, v[0:1], off
	s_mov_b32 s16, -1
	s_waitcnt vmcnt(0)
	v_cmp_ne_u16_e32 vcc_lo, 0, v4
	v_cndmask_b32_e64 v4, 0, 1.0, vcc_lo
	s_delay_alu instid0(VALU_DEP_1)
	v_lshrrev_b32_e32 v6, 16, v4
.LBB536_1314:
.LBB536_1315:
	s_and_not1_b32 vcc_lo, exec_lo, s16
	s_cbranch_vccnz .LBB536_1673
.LBB536_1316:
	s_waitcnt vmcnt(0)
	s_delay_alu instid0(VALU_DEP_1) | instskip(SKIP_2) | instid1(VALU_DEP_2)
	v_lshlrev_b32_e32 v0, 16, v6
	v_mov_b32_e32 v4, s10
	s_mov_b32 s9, exec_lo
	v_cmpx_o_f32_e32 v0, v0
	s_cbranch_execz .LBB536_1320
; %bb.1317:
	v_mov_b32_e32 v4, s2
	s_mov_b32 s15, exec_lo
	v_cmpx_neq_f32_e32 0x7f800000, v0
; %bb.1318:
	v_cmp_eq_f32_e32 vcc_lo, 0xff800000, v0
	v_cndmask_b32_e64 v4, v6, s11, vcc_lo
; %bb.1319:
	s_or_b32 exec_lo, exec_lo, s15
.LBB536_1320:
	s_delay_alu instid0(SALU_CYCLE_1) | instskip(SKIP_2) | instid1(VALU_DEP_2)
	s_or_b32 exec_lo, exec_lo, s9
	v_add_nc_u32_e32 v5, s0, v5
	v_cmp_lt_i16_e64 s9, s3, 11
	v_ashrrev_i32_e32 v1, 31, v5
	v_add_co_u32 v0, vcc_lo, s6, v5
	s_delay_alu instid0(VALU_DEP_2) | instskip(NEXT) | instid1(VALU_DEP_4)
	v_add_co_ci_u32_e32 v1, vcc_lo, s7, v1, vcc_lo
	s_and_b32 vcc_lo, exec_lo, s9
	s_cbranch_vccnz .LBB536_1327
; %bb.1321:
	v_cmp_gt_i16_e64 s9, s3, 25
	s_mov_b32 s15, 0
	s_delay_alu instid0(VALU_DEP_1)
	s_and_b32 vcc_lo, exec_lo, s9
	s_cbranch_vccz .LBB536_1333
; %bb.1322:
	v_cmp_gt_i16_e64 s9, s3, 28
	s_delay_alu instid0(VALU_DEP_1)
	s_and_b32 vcc_lo, exec_lo, s9
	s_cbranch_vccz .LBB536_1335
; %bb.1323:
	v_cmp_gt_i16_e64 s9, s3, 43
	;; [unrolled: 5-line block ×3, first 2 shown]
	s_delay_alu instid0(VALU_DEP_1)
	s_and_b32 vcc_lo, exec_lo, s9
	s_cbranch_vccz .LBB536_1341
; %bb.1325:
	v_cmp_eq_u16_e64 s9, s3, 46
	s_mov_b32 s17, 0
	s_delay_alu instid0(VALU_DEP_1)
	s_and_b32 vcc_lo, exec_lo, s9
	s_cbranch_vccz .LBB536_1384
; %bb.1326:
	global_load_b32 v6, v[0:1], off
	s_mov_b32 s9, 0
	s_mov_b32 s16, -1
	s_branch .LBB536_1386
.LBB536_1327:
	s_mov_b32 s16, 0
                                        ; implicit-def: $vgpr6
	s_cbranch_execz .LBB536_1452
; %bb.1328:
	v_cmp_lt_i16_e64 s9, s3, 5
	s_delay_alu instid0(VALU_DEP_1)
	s_and_b32 vcc_lo, exec_lo, s9
	s_cbranch_vccnz .LBB536_1334
; %bb.1329:
	v_cmp_lt_i16_e64 s9, s3, 8
	s_delay_alu instid0(VALU_DEP_1)
	s_and_b32 vcc_lo, exec_lo, s9
	s_cbranch_vccnz .LBB536_1336
	;; [unrolled: 5-line block ×3, first 2 shown]
; %bb.1331:
	v_cmp_gt_i16_e64 s9, s3, 9
	s_delay_alu instid0(VALU_DEP_1)
	s_and_b32 vcc_lo, exec_lo, s9
	s_cbranch_vccz .LBB536_1342
; %bb.1332:
	global_load_b64 v[6:7], v[0:1], off
	s_mov_b32 s9, 0
	s_waitcnt vmcnt(0)
	v_cvt_f32_f64_e32 v6, v[6:7]
	s_delay_alu instid0(VALU_DEP_1) | instskip(SKIP_1) | instid1(VALU_DEP_2)
	v_bfe_u32 v7, v6, 16, 1
	v_cmp_o_f32_e32 vcc_lo, v6, v6
	v_add3_u32 v7, v6, v7, 0x7fff
	s_delay_alu instid0(VALU_DEP_1) | instskip(NEXT) | instid1(VALU_DEP_1)
	v_lshrrev_b32_e32 v7, 16, v7
	v_cndmask_b32_e32 v6, 0x7fc0, v7, vcc_lo
	s_branch .LBB536_1343
.LBB536_1333:
	s_mov_b32 s17, -1
	s_mov_b32 s16, 0
	s_mov_b32 s9, 0
                                        ; implicit-def: $vgpr6
	s_branch .LBB536_1415
.LBB536_1334:
	s_mov_b32 s9, -1
                                        ; implicit-def: $vgpr6
	s_branch .LBB536_1361
.LBB536_1335:
	s_mov_b32 s17, -1
	s_mov_b32 s16, 0
	s_mov_b32 s9, 0
                                        ; implicit-def: $vgpr6
	s_branch .LBB536_1396
.LBB536_1336:
	s_mov_b32 s9, -1
                                        ; implicit-def: $vgpr6
	s_branch .LBB536_1349
.LBB536_1337:
	s_mov_b32 s17, -1
	s_mov_b32 s16, 0
	s_mov_b32 s9, 0
                                        ; implicit-def: $vgpr6
	s_branch .LBB536_1391
.LBB536_1338:
	s_mov_b32 s9, -1
                                        ; implicit-def: $vgpr6
	s_branch .LBB536_1346
.LBB536_1339:
	s_cbranch_execnz .LBB536_1382
; %bb.1340:
	s_or_b32 s12, s12, exec_lo
                                        ; implicit-def: $vgpr6
	s_cbranch_execz .LBB536_1313
	s_branch .LBB536_1314
.LBB536_1341:
	s_mov_b32 s17, -1
	s_mov_b32 s16, 0
	s_mov_b32 s9, 0
	s_branch .LBB536_1385
.LBB536_1342:
	s_mov_b32 s9, -1
                                        ; implicit-def: $vgpr6
.LBB536_1343:
	s_delay_alu instid0(SALU_CYCLE_1)
	s_and_not1_b32 vcc_lo, exec_lo, s9
	s_cbranch_vccnz .LBB536_1345
; %bb.1344:
	global_load_b32 v6, v[0:1], off
	s_waitcnt vmcnt(0)
	v_bfe_u32 v7, v6, 16, 1
	v_cmp_o_f32_e32 vcc_lo, v6, v6
	s_delay_alu instid0(VALU_DEP_2) | instskip(NEXT) | instid1(VALU_DEP_1)
	v_add3_u32 v7, v6, v7, 0x7fff
	v_lshrrev_b32_e32 v7, 16, v7
	s_delay_alu instid0(VALU_DEP_1)
	v_cndmask_b32_e32 v6, 0x7fc0, v7, vcc_lo
.LBB536_1345:
	s_mov_b32 s9, 0
.LBB536_1346:
	s_delay_alu instid0(SALU_CYCLE_1)
	s_and_not1_b32 vcc_lo, exec_lo, s9
	s_cbranch_vccnz .LBB536_1348
; %bb.1347:
	global_load_b32 v6, v[0:1], off
	s_waitcnt vmcnt(0)
	v_cvt_f32_f16_e32 v7, v6
	v_cmp_o_f16_e32 vcc_lo, v6, v6
	s_delay_alu instid0(VALU_DEP_2) | instskip(NEXT) | instid1(VALU_DEP_1)
	v_bfe_u32 v8, v7, 16, 1
	v_add3_u32 v7, v7, v8, 0x7fff
	s_delay_alu instid0(VALU_DEP_1) | instskip(NEXT) | instid1(VALU_DEP_1)
	v_lshrrev_b32_e32 v7, 16, v7
	v_cndmask_b32_e32 v6, 0x7fc0, v7, vcc_lo
.LBB536_1348:
	s_mov_b32 s9, 0
.LBB536_1349:
	s_delay_alu instid0(SALU_CYCLE_1)
	s_and_not1_b32 vcc_lo, exec_lo, s9
	s_cbranch_vccnz .LBB536_1360
; %bb.1350:
	v_cmp_lt_i16_e64 s9, s3, 6
	s_delay_alu instid0(VALU_DEP_1)
	s_and_b32 vcc_lo, exec_lo, s9
	s_cbranch_vccnz .LBB536_1353
; %bb.1351:
	v_cmp_gt_i16_e64 s9, s3, 6
	s_delay_alu instid0(VALU_DEP_1)
	s_and_b32 vcc_lo, exec_lo, s9
	s_cbranch_vccz .LBB536_1354
; %bb.1352:
	global_load_b64 v[6:7], v[0:1], off
	s_mov_b32 s9, 0
	s_waitcnt vmcnt(0)
	v_cvt_f32_f64_e32 v6, v[6:7]
	s_delay_alu instid0(VALU_DEP_1) | instskip(SKIP_1) | instid1(VALU_DEP_2)
	v_bfe_u32 v7, v6, 16, 1
	v_cmp_o_f32_e32 vcc_lo, v6, v6
	v_add3_u32 v7, v6, v7, 0x7fff
	s_delay_alu instid0(VALU_DEP_1) | instskip(NEXT) | instid1(VALU_DEP_1)
	v_lshrrev_b32_e32 v7, 16, v7
	v_cndmask_b32_e32 v6, 0x7fc0, v7, vcc_lo
	s_branch .LBB536_1355
.LBB536_1353:
	s_mov_b32 s9, -1
                                        ; implicit-def: $vgpr6
	s_branch .LBB536_1358
.LBB536_1354:
	s_mov_b32 s9, -1
                                        ; implicit-def: $vgpr6
.LBB536_1355:
	s_delay_alu instid0(SALU_CYCLE_1)
	s_and_not1_b32 vcc_lo, exec_lo, s9
	s_cbranch_vccnz .LBB536_1357
; %bb.1356:
	global_load_b32 v6, v[0:1], off
	s_waitcnt vmcnt(0)
	v_bfe_u32 v7, v6, 16, 1
	v_cmp_o_f32_e32 vcc_lo, v6, v6
	s_delay_alu instid0(VALU_DEP_2) | instskip(NEXT) | instid1(VALU_DEP_1)
	v_add3_u32 v7, v6, v7, 0x7fff
	v_lshrrev_b32_e32 v7, 16, v7
	s_delay_alu instid0(VALU_DEP_1)
	v_cndmask_b32_e32 v6, 0x7fc0, v7, vcc_lo
.LBB536_1357:
	s_mov_b32 s9, 0
.LBB536_1358:
	s_delay_alu instid0(SALU_CYCLE_1)
	s_and_not1_b32 vcc_lo, exec_lo, s9
	s_cbranch_vccnz .LBB536_1360
; %bb.1359:
	global_load_u16 v6, v[0:1], off
	s_waitcnt vmcnt(0)
	v_cvt_f32_f16_e32 v7, v6
	v_cmp_o_f16_e32 vcc_lo, v6, v6
	s_delay_alu instid0(VALU_DEP_2) | instskip(NEXT) | instid1(VALU_DEP_1)
	v_bfe_u32 v8, v7, 16, 1
	v_add3_u32 v7, v7, v8, 0x7fff
	s_delay_alu instid0(VALU_DEP_1) | instskip(NEXT) | instid1(VALU_DEP_1)
	v_lshrrev_b32_e32 v7, 16, v7
	v_cndmask_b32_e32 v6, 0x7fc0, v7, vcc_lo
.LBB536_1360:
	s_mov_b32 s9, 0
.LBB536_1361:
	s_delay_alu instid0(SALU_CYCLE_1)
	s_and_not1_b32 vcc_lo, exec_lo, s9
	s_cbranch_vccnz .LBB536_1381
; %bb.1362:
	v_cmp_lt_i16_e64 s9, s3, 2
	s_delay_alu instid0(VALU_DEP_1)
	s_and_b32 vcc_lo, exec_lo, s9
	s_cbranch_vccnz .LBB536_1366
; %bb.1363:
	v_cmp_lt_i16_e64 s9, s3, 3
	s_delay_alu instid0(VALU_DEP_1)
	s_and_b32 vcc_lo, exec_lo, s9
	s_cbranch_vccnz .LBB536_1367
; %bb.1364:
	v_cmp_gt_i16_e64 s9, s3, 3
	s_delay_alu instid0(VALU_DEP_1)
	s_and_b32 vcc_lo, exec_lo, s9
	s_cbranch_vccz .LBB536_1368
; %bb.1365:
	global_load_b64 v[6:7], v[0:1], off
	s_mov_b32 s9, 0
	s_waitcnt vmcnt(0)
	v_xor_b32_e32 v8, v6, v7
	v_cls_i32_e32 v9, v7
	s_delay_alu instid0(VALU_DEP_2) | instskip(NEXT) | instid1(VALU_DEP_2)
	v_ashrrev_i32_e32 v8, 31, v8
	v_add_nc_u32_e32 v9, -1, v9
	s_delay_alu instid0(VALU_DEP_2) | instskip(NEXT) | instid1(VALU_DEP_1)
	v_add_nc_u32_e32 v8, 32, v8
	v_min_u32_e32 v8, v9, v8
	s_delay_alu instid0(VALU_DEP_1) | instskip(NEXT) | instid1(VALU_DEP_1)
	v_lshlrev_b64 v[6:7], v8, v[6:7]
	v_min_u32_e32 v6, 1, v6
	s_delay_alu instid0(VALU_DEP_1) | instskip(SKIP_1) | instid1(VALU_DEP_2)
	v_or_b32_e32 v6, v7, v6
	v_sub_nc_u32_e32 v7, 32, v8
	v_cvt_f32_i32_e32 v6, v6
	s_delay_alu instid0(VALU_DEP_1) | instskip(NEXT) | instid1(VALU_DEP_1)
	v_ldexp_f32 v6, v6, v7
	v_bfe_u32 v7, v6, 16, 1
	s_delay_alu instid0(VALU_DEP_1) | instskip(NEXT) | instid1(VALU_DEP_1)
	v_add3_u32 v6, v6, v7, 0x7fff
	v_lshrrev_b32_e32 v6, 16, v6
	s_branch .LBB536_1369
.LBB536_1366:
	s_mov_b32 s9, -1
                                        ; implicit-def: $vgpr6
	s_branch .LBB536_1375
.LBB536_1367:
	s_mov_b32 s9, -1
                                        ; implicit-def: $vgpr6
	s_branch .LBB536_1372
.LBB536_1368:
	s_mov_b32 s9, -1
                                        ; implicit-def: $vgpr6
.LBB536_1369:
	s_delay_alu instid0(SALU_CYCLE_1)
	s_and_not1_b32 vcc_lo, exec_lo, s9
	s_cbranch_vccnz .LBB536_1371
; %bb.1370:
	global_load_b32 v6, v[0:1], off
	s_waitcnt vmcnt(0)
	v_cvt_f32_i32_e32 v6, v6
	s_delay_alu instid0(VALU_DEP_1) | instskip(NEXT) | instid1(VALU_DEP_1)
	v_bfe_u32 v7, v6, 16, 1
	v_add3_u32 v6, v6, v7, 0x7fff
	s_delay_alu instid0(VALU_DEP_1)
	v_lshrrev_b32_e32 v6, 16, v6
.LBB536_1371:
	s_mov_b32 s9, 0
.LBB536_1372:
	s_delay_alu instid0(SALU_CYCLE_1)
	s_and_not1_b32 vcc_lo, exec_lo, s9
	s_cbranch_vccnz .LBB536_1374
; %bb.1373:
	global_load_i16 v6, v[0:1], off
	s_waitcnt vmcnt(0)
	v_cvt_f32_i32_e32 v6, v6
	s_delay_alu instid0(VALU_DEP_1) | instskip(NEXT) | instid1(VALU_DEP_1)
	v_bfe_u32 v7, v6, 16, 1
	v_add3_u32 v6, v6, v7, 0x7fff
	s_delay_alu instid0(VALU_DEP_1)
	v_lshrrev_b32_e32 v6, 16, v6
.LBB536_1374:
	s_mov_b32 s9, 0
.LBB536_1375:
	s_delay_alu instid0(SALU_CYCLE_1)
	s_and_not1_b32 vcc_lo, exec_lo, s9
	s_cbranch_vccnz .LBB536_1381
; %bb.1376:
	v_cmp_gt_i16_e64 s9, s3, 0
	s_delay_alu instid0(VALU_DEP_1)
	s_and_b32 vcc_lo, exec_lo, s9
	s_mov_b32 s9, 0
	s_cbranch_vccz .LBB536_1378
; %bb.1377:
	global_load_i8 v6, v[0:1], off
	s_waitcnt vmcnt(0)
	v_cvt_f32_i32_e32 v6, v6
	s_delay_alu instid0(VALU_DEP_1) | instskip(NEXT) | instid1(VALU_DEP_1)
	v_bfe_u32 v7, v6, 16, 1
	v_add3_u32 v6, v6, v7, 0x7fff
	s_delay_alu instid0(VALU_DEP_1)
	v_lshrrev_b32_e32 v6, 16, v6
	s_branch .LBB536_1379
.LBB536_1378:
	s_mov_b32 s9, -1
                                        ; implicit-def: $vgpr6
.LBB536_1379:
	s_delay_alu instid0(SALU_CYCLE_1)
	s_and_not1_b32 vcc_lo, exec_lo, s9
	s_cbranch_vccnz .LBB536_1381
; %bb.1380:
	global_load_u8 v0, v[0:1], off
	s_waitcnt vmcnt(0)
	v_cvt_f32_ubyte0_e32 v0, v0
	s_delay_alu instid0(VALU_DEP_1) | instskip(NEXT) | instid1(VALU_DEP_1)
	v_bfe_u32 v1, v0, 16, 1
	v_add3_u32 v0, v0, v1, 0x7fff
	s_delay_alu instid0(VALU_DEP_1)
	v_lshrrev_b32_e32 v6, 16, v0
.LBB536_1381:
	s_branch .LBB536_1453
.LBB536_1382:
	s_trap 2
	s_sendmsg_rtn_b32 s0, sendmsg(MSG_RTN_GET_DOORBELL)
	s_mov_b32 ttmp2, m0
	s_waitcnt lgkmcnt(0)
	s_and_b32 s0, s0, 0x3ff
	s_delay_alu instid0(SALU_CYCLE_1) | instskip(NEXT) | instid1(SALU_CYCLE_1)
	s_bitset1_b32 s0, 10
	s_mov_b32 m0, s0
	s_sendmsg sendmsg(MSG_INTERRUPT)
	s_mov_b32 m0, ttmp2
.LBB536_1383:                           ; =>This Inner Loop Header: Depth=1
	s_sethalt 5
	s_branch .LBB536_1383
.LBB536_1384:
	s_mov_b32 s9, -1
	s_mov_b32 s16, 0
.LBB536_1385:
                                        ; implicit-def: $vgpr6
.LBB536_1386:
	s_and_b32 vcc_lo, exec_lo, s17
	s_cbranch_vccz .LBB536_1390
; %bb.1387:
	v_cmp_eq_u16_e64 s9, s3, 44
	s_delay_alu instid0(VALU_DEP_1)
	s_and_b32 vcc_lo, exec_lo, s9
	s_cbranch_vccz .LBB536_1389
; %bb.1388:
	global_load_u8 v6, v[0:1], off
	s_mov_b32 s9, 0
	s_mov_b32 s16, -1
	s_waitcnt vmcnt(0)
	v_lshlrev_b32_e32 v7, 23, v6
	v_cmp_ne_u32_e32 vcc_lo, 0xff, v6
	s_delay_alu instid0(VALU_DEP_2) | instskip(SKIP_1) | instid1(VALU_DEP_2)
	v_cndmask_b32_e32 v7, 0x7f800001, v7, vcc_lo
	v_cmp_ne_u32_e32 vcc_lo, 0, v6
	v_cndmask_b32_e32 v6, 0x400000, v7, vcc_lo
	s_delay_alu instid0(VALU_DEP_1) | instskip(SKIP_1) | instid1(VALU_DEP_2)
	v_add_nc_u32_e32 v7, 0x7fff, v6
	v_cmp_o_f32_e32 vcc_lo, v6, v6
	v_lshrrev_b32_e32 v7, 16, v7
	s_delay_alu instid0(VALU_DEP_1)
	v_cndmask_b32_e32 v6, 0x7fc0, v7, vcc_lo
	s_branch .LBB536_1390
.LBB536_1389:
	s_mov_b32 s9, -1
                                        ; implicit-def: $vgpr6
.LBB536_1390:
	s_mov_b32 s17, 0
.LBB536_1391:
	s_delay_alu instid0(SALU_CYCLE_1)
	s_and_b32 vcc_lo, exec_lo, s17
	s_cbranch_vccz .LBB536_1395
; %bb.1392:
	v_cmp_eq_u16_e64 s9, s3, 29
	s_delay_alu instid0(VALU_DEP_1)
	s_and_b32 vcc_lo, exec_lo, s9
	s_cbranch_vccz .LBB536_1394
; %bb.1393:
	global_load_b64 v[6:7], v[0:1], off
	s_mov_b32 s9, 0
	s_mov_b32 s16, -1
	s_mov_b32 s17, 0
	s_waitcnt vmcnt(0)
	v_clz_i32_u32_e32 v8, v7
	s_delay_alu instid0(VALU_DEP_1) | instskip(NEXT) | instid1(VALU_DEP_1)
	v_min_u32_e32 v8, 32, v8
	v_lshlrev_b64 v[6:7], v8, v[6:7]
	s_delay_alu instid0(VALU_DEP_1) | instskip(NEXT) | instid1(VALU_DEP_1)
	v_min_u32_e32 v6, 1, v6
	v_or_b32_e32 v6, v7, v6
	v_sub_nc_u32_e32 v7, 32, v8
	s_delay_alu instid0(VALU_DEP_2) | instskip(NEXT) | instid1(VALU_DEP_1)
	v_cvt_f32_u32_e32 v6, v6
	v_ldexp_f32 v6, v6, v7
	s_delay_alu instid0(VALU_DEP_1) | instskip(NEXT) | instid1(VALU_DEP_1)
	v_bfe_u32 v7, v6, 16, 1
	v_add3_u32 v6, v6, v7, 0x7fff
	s_delay_alu instid0(VALU_DEP_1)
	v_lshrrev_b32_e32 v6, 16, v6
	s_branch .LBB536_1396
.LBB536_1394:
	s_mov_b32 s9, -1
                                        ; implicit-def: $vgpr6
.LBB536_1395:
	s_mov_b32 s17, 0
.LBB536_1396:
	s_delay_alu instid0(SALU_CYCLE_1)
	s_and_b32 vcc_lo, exec_lo, s17
	s_cbranch_vccz .LBB536_1414
; %bb.1397:
	v_cmp_lt_i16_e64 s16, s3, 27
	s_delay_alu instid0(VALU_DEP_1)
	s_and_b32 vcc_lo, exec_lo, s16
	s_cbranch_vccnz .LBB536_1400
; %bb.1398:
	v_cmp_gt_i16_e64 s16, s3, 27
	s_delay_alu instid0(VALU_DEP_1)
	s_and_b32 vcc_lo, exec_lo, s16
	s_cbranch_vccz .LBB536_1401
; %bb.1399:
	global_load_b32 v6, v[0:1], off
	s_mov_b32 s16, 0
	s_waitcnt vmcnt(0)
	v_cvt_f32_u32_e32 v6, v6
	s_delay_alu instid0(VALU_DEP_1) | instskip(NEXT) | instid1(VALU_DEP_1)
	v_bfe_u32 v7, v6, 16, 1
	v_add3_u32 v6, v6, v7, 0x7fff
	s_delay_alu instid0(VALU_DEP_1)
	v_lshrrev_b32_e32 v6, 16, v6
	s_branch .LBB536_1402
.LBB536_1400:
	s_mov_b32 s16, -1
                                        ; implicit-def: $vgpr6
	s_branch .LBB536_1405
.LBB536_1401:
	s_mov_b32 s16, -1
                                        ; implicit-def: $vgpr6
.LBB536_1402:
	s_delay_alu instid0(SALU_CYCLE_1)
	s_and_not1_b32 vcc_lo, exec_lo, s16
	s_cbranch_vccnz .LBB536_1404
; %bb.1403:
	global_load_u16 v6, v[0:1], off
	s_waitcnt vmcnt(0)
	v_cvt_f32_u32_e32 v6, v6
	s_delay_alu instid0(VALU_DEP_1) | instskip(NEXT) | instid1(VALU_DEP_1)
	v_bfe_u32 v7, v6, 16, 1
	v_add3_u32 v6, v6, v7, 0x7fff
	s_delay_alu instid0(VALU_DEP_1)
	v_lshrrev_b32_e32 v6, 16, v6
.LBB536_1404:
	s_mov_b32 s16, 0
.LBB536_1405:
	s_delay_alu instid0(SALU_CYCLE_1)
	s_and_not1_b32 vcc_lo, exec_lo, s16
	s_cbranch_vccnz .LBB536_1413
; %bb.1406:
	global_load_u8 v6, v[0:1], off
	s_mov_b32 s16, 0
	s_mov_b32 s18, exec_lo
                                        ; implicit-def: $sgpr17
	s_waitcnt vmcnt(0)
	v_cmpx_lt_i16_e32 0x7f, v6
	s_xor_b32 s18, exec_lo, s18
	s_cbranch_execz .LBB536_1427
; %bb.1407:
	s_mov_b32 s16, -1
	s_mov_b32 s19, exec_lo
                                        ; implicit-def: $sgpr17
	v_cmpx_eq_u16_e32 0x80, v6
; %bb.1408:
	s_mov_b32 s17, 0x7f800001
	s_xor_b32 s16, exec_lo, -1
; %bb.1409:
	s_or_b32 exec_lo, exec_lo, s19
	s_delay_alu instid0(SALU_CYCLE_1)
	s_and_b32 s16, s16, exec_lo
	s_or_saveexec_b32 s18, s18
	v_mov_b32_e32 v7, s17
	s_xor_b32 exec_lo, exec_lo, s18
	s_cbranch_execnz .LBB536_1428
.LBB536_1410:
	s_or_b32 exec_lo, exec_lo, s18
	s_and_saveexec_b32 s17, s16
	s_cbranch_execz .LBB536_1412
.LBB536_1411:
	v_and_b32_e32 v7, 0xffff, v6
	v_lshlrev_b32_e32 v6, 24, v6
	s_delay_alu instid0(VALU_DEP_2) | instskip(NEXT) | instid1(VALU_DEP_2)
	v_and_b32_e32 v8, 7, v7
	v_and_b32_e32 v6, 0x80000000, v6
	s_delay_alu instid0(VALU_DEP_2) | instskip(NEXT) | instid1(VALU_DEP_1)
	v_clz_i32_u32_e32 v9, v8
	v_min_u32_e32 v9, 32, v9
	s_delay_alu instid0(VALU_DEP_1) | instskip(SKIP_1) | instid1(VALU_DEP_2)
	v_subrev_nc_u32_e32 v10, 28, v9
	v_sub_nc_u32_e32 v9, 29, v9
	v_lshlrev_b32_e32 v10, v10, v7
	v_bfe_u32 v7, v7, 3, 4
	s_delay_alu instid0(VALU_DEP_2) | instskip(NEXT) | instid1(VALU_DEP_2)
	v_and_b32_e32 v10, 7, v10
	v_cmp_eq_u32_e32 vcc_lo, 0, v7
	s_delay_alu instid0(VALU_DEP_2) | instskip(NEXT) | instid1(VALU_DEP_1)
	v_dual_cndmask_b32 v7, v7, v9 :: v_dual_cndmask_b32 v8, v8, v10
	v_lshl_add_u32 v7, v7, 23, 0x3b800000
	s_delay_alu instid0(VALU_DEP_2) | instskip(NEXT) | instid1(VALU_DEP_1)
	v_lshlrev_b32_e32 v8, 20, v8
	v_or3_b32 v7, v6, v7, v8
.LBB536_1412:
	s_or_b32 exec_lo, exec_lo, s17
	s_delay_alu instid0(VALU_DEP_1) | instskip(SKIP_1) | instid1(VALU_DEP_2)
	v_bfe_u32 v6, v7, 16, 1
	v_cmp_o_f32_e32 vcc_lo, v7, v7
	v_add3_u32 v6, v7, v6, 0x7fff
	s_delay_alu instid0(VALU_DEP_1) | instskip(NEXT) | instid1(VALU_DEP_1)
	v_lshrrev_b32_e32 v6, 16, v6
	v_cndmask_b32_e32 v6, 0x7fc0, v6, vcc_lo
.LBB536_1413:
	s_mov_b32 s16, -1
.LBB536_1414:
	s_mov_b32 s17, 0
.LBB536_1415:
	s_delay_alu instid0(SALU_CYCLE_1)
	s_and_b32 vcc_lo, exec_lo, s17
	s_cbranch_vccz .LBB536_1448
; %bb.1416:
	v_cmp_gt_i16_e64 s15, s3, 22
	s_delay_alu instid0(VALU_DEP_1)
	s_and_b32 vcc_lo, exec_lo, s15
	s_cbranch_vccz .LBB536_1426
; %bb.1417:
	v_cmp_lt_i16_e64 s15, s3, 24
	s_delay_alu instid0(VALU_DEP_1)
	s_and_b32 vcc_lo, exec_lo, s15
	s_cbranch_vccnz .LBB536_1429
; %bb.1418:
	v_cmp_gt_i16_e64 s15, s3, 24
	s_delay_alu instid0(VALU_DEP_1)
	s_and_b32 vcc_lo, exec_lo, s15
	s_cbranch_vccz .LBB536_1430
; %bb.1419:
	global_load_u8 v6, v[0:1], off
	s_mov_b32 s15, 0
	s_mov_b32 s17, exec_lo
                                        ; implicit-def: $sgpr16
	s_waitcnt vmcnt(0)
	v_cmpx_lt_i16_e32 0x7f, v6
	s_xor_b32 s17, exec_lo, s17
	s_cbranch_execz .LBB536_1442
; %bb.1420:
	s_mov_b32 s15, -1
	s_mov_b32 s18, exec_lo
                                        ; implicit-def: $sgpr16
	v_cmpx_eq_u16_e32 0x80, v6
; %bb.1421:
	s_mov_b32 s16, 0x7f800001
	s_xor_b32 s15, exec_lo, -1
; %bb.1422:
	s_or_b32 exec_lo, exec_lo, s18
	s_delay_alu instid0(SALU_CYCLE_1)
	s_and_b32 s15, s15, exec_lo
	s_or_saveexec_b32 s17, s17
	v_mov_b32_e32 v7, s16
	s_xor_b32 exec_lo, exec_lo, s17
	s_cbranch_execnz .LBB536_1443
.LBB536_1423:
	s_or_b32 exec_lo, exec_lo, s17
	s_and_saveexec_b32 s16, s15
	s_cbranch_execz .LBB536_1425
.LBB536_1424:
	v_and_b32_e32 v7, 0xffff, v6
	v_lshlrev_b32_e32 v6, 24, v6
	s_delay_alu instid0(VALU_DEP_2) | instskip(NEXT) | instid1(VALU_DEP_2)
	v_and_b32_e32 v8, 3, v7
	v_and_b32_e32 v6, 0x80000000, v6
	s_delay_alu instid0(VALU_DEP_2) | instskip(NEXT) | instid1(VALU_DEP_1)
	v_clz_i32_u32_e32 v9, v8
	v_min_u32_e32 v9, 32, v9
	s_delay_alu instid0(VALU_DEP_1) | instskip(SKIP_1) | instid1(VALU_DEP_2)
	v_subrev_nc_u32_e32 v10, 29, v9
	v_sub_nc_u32_e32 v9, 30, v9
	v_lshlrev_b32_e32 v10, v10, v7
	v_bfe_u32 v7, v7, 2, 5
	s_delay_alu instid0(VALU_DEP_2) | instskip(NEXT) | instid1(VALU_DEP_2)
	v_and_b32_e32 v10, 3, v10
	v_cmp_eq_u32_e32 vcc_lo, 0, v7
	s_delay_alu instid0(VALU_DEP_2) | instskip(NEXT) | instid1(VALU_DEP_1)
	v_dual_cndmask_b32 v7, v7, v9 :: v_dual_cndmask_b32 v8, v8, v10
	v_lshl_add_u32 v7, v7, 23, 0x37800000
	s_delay_alu instid0(VALU_DEP_2) | instskip(NEXT) | instid1(VALU_DEP_1)
	v_lshlrev_b32_e32 v8, 21, v8
	v_or3_b32 v7, v6, v7, v8
.LBB536_1425:
	s_or_b32 exec_lo, exec_lo, s16
	s_delay_alu instid0(VALU_DEP_1) | instskip(SKIP_2) | instid1(VALU_DEP_2)
	v_bfe_u32 v6, v7, 16, 1
	v_cmp_o_f32_e32 vcc_lo, v7, v7
	s_mov_b32 s15, 0
	v_add3_u32 v6, v7, v6, 0x7fff
	s_delay_alu instid0(VALU_DEP_1) | instskip(NEXT) | instid1(VALU_DEP_1)
	v_lshrrev_b32_e32 v6, 16, v6
	v_cndmask_b32_e32 v6, 0x7fc0, v6, vcc_lo
	s_branch .LBB536_1431
.LBB536_1426:
	s_mov_b32 s15, -1
                                        ; implicit-def: $vgpr6
	s_branch .LBB536_1437
.LBB536_1427:
	s_or_saveexec_b32 s18, s18
	v_mov_b32_e32 v7, s17
	s_xor_b32 exec_lo, exec_lo, s18
	s_cbranch_execz .LBB536_1410
.LBB536_1428:
	v_cmp_ne_u16_e32 vcc_lo, 0, v6
	v_mov_b32_e32 v7, 0
	s_and_not1_b32 s16, s16, exec_lo
	s_and_b32 s17, vcc_lo, exec_lo
	s_delay_alu instid0(SALU_CYCLE_1)
	s_or_b32 s16, s16, s17
	s_or_b32 exec_lo, exec_lo, s18
	s_and_saveexec_b32 s17, s16
	s_cbranch_execnz .LBB536_1411
	s_branch .LBB536_1412
.LBB536_1429:
	s_mov_b32 s15, -1
                                        ; implicit-def: $vgpr6
	s_branch .LBB536_1434
.LBB536_1430:
	s_mov_b32 s15, -1
                                        ; implicit-def: $vgpr6
.LBB536_1431:
	s_delay_alu instid0(SALU_CYCLE_1)
	s_and_b32 vcc_lo, exec_lo, s15
	s_cbranch_vccz .LBB536_1433
; %bb.1432:
	global_load_u8 v6, v[0:1], off
	s_waitcnt vmcnt(0)
	v_lshlrev_b32_e32 v6, 24, v6
	s_delay_alu instid0(VALU_DEP_1) | instskip(NEXT) | instid1(VALU_DEP_1)
	v_and_b32_e32 v7, 0x7f000000, v6
	v_clz_i32_u32_e32 v8, v7
	v_add_nc_u32_e32 v10, 0x1000000, v7
	v_cmp_ne_u32_e32 vcc_lo, 0, v7
	s_delay_alu instid0(VALU_DEP_3) | instskip(NEXT) | instid1(VALU_DEP_1)
	v_min_u32_e32 v8, 32, v8
	v_sub_nc_u32_e64 v8, v8, 4 clamp
	s_delay_alu instid0(VALU_DEP_1) | instskip(SKIP_1) | instid1(VALU_DEP_2)
	v_lshlrev_b32_e32 v9, v8, v7
	v_lshlrev_b32_e32 v8, 23, v8
	v_lshrrev_b32_e32 v9, 4, v9
	s_delay_alu instid0(VALU_DEP_1) | instskip(SKIP_1) | instid1(VALU_DEP_2)
	v_sub_nc_u32_e32 v8, v9, v8
	v_ashrrev_i32_e32 v9, 8, v10
	v_add_nc_u32_e32 v8, 0x3c000000, v8
	s_delay_alu instid0(VALU_DEP_1) | instskip(NEXT) | instid1(VALU_DEP_1)
	v_and_or_b32 v8, 0x7f800000, v9, v8
	v_cndmask_b32_e32 v7, 0, v8, vcc_lo
	s_delay_alu instid0(VALU_DEP_1) | instskip(SKIP_1) | instid1(VALU_DEP_2)
	v_and_or_b32 v6, 0x80000000, v6, v7
	v_bfe_u32 v7, v7, 16, 1
	v_cmp_o_f32_e32 vcc_lo, v6, v6
	s_delay_alu instid0(VALU_DEP_2) | instskip(NEXT) | instid1(VALU_DEP_1)
	v_add3_u32 v7, v6, v7, 0x7fff
	v_lshrrev_b32_e32 v7, 16, v7
	s_delay_alu instid0(VALU_DEP_1)
	v_cndmask_b32_e32 v6, 0x7fc0, v7, vcc_lo
.LBB536_1433:
	s_mov_b32 s15, 0
.LBB536_1434:
	s_delay_alu instid0(SALU_CYCLE_1)
	s_and_not1_b32 vcc_lo, exec_lo, s15
	s_cbranch_vccnz .LBB536_1436
; %bb.1435:
	global_load_u8 v6, v[0:1], off
	s_waitcnt vmcnt(0)
	v_lshlrev_b32_e32 v7, 25, v6
	v_lshlrev_b16 v6, 8, v6
	s_delay_alu instid0(VALU_DEP_2) | instskip(NEXT) | instid1(VALU_DEP_2)
	v_lshrrev_b32_e32 v8, 4, v7
	v_and_or_b32 v9, 0x7f00, v6, 0.5
	v_bfe_i32 v6, v6, 0, 16
	s_delay_alu instid0(VALU_DEP_3) | instskip(NEXT) | instid1(VALU_DEP_1)
	v_or_b32_e32 v8, 0x70000000, v8
	v_dual_add_f32 v9, -0.5, v9 :: v_dual_mul_f32 v8, 0x7800000, v8
	v_cmp_gt_u32_e32 vcc_lo, 0x8000000, v7
	s_delay_alu instid0(VALU_DEP_2) | instskip(NEXT) | instid1(VALU_DEP_1)
	v_cndmask_b32_e32 v7, v8, v9, vcc_lo
	v_and_or_b32 v6, 0x80000000, v6, v7
	v_bfe_u32 v7, v7, 16, 1
	s_delay_alu instid0(VALU_DEP_2) | instskip(NEXT) | instid1(VALU_DEP_2)
	v_cmp_o_f32_e32 vcc_lo, v6, v6
	v_add3_u32 v7, v6, v7, 0x7fff
	s_delay_alu instid0(VALU_DEP_1) | instskip(NEXT) | instid1(VALU_DEP_1)
	v_lshrrev_b32_e32 v7, 16, v7
	v_cndmask_b32_e32 v6, 0x7fc0, v7, vcc_lo
.LBB536_1436:
	s_mov_b32 s15, 0
	s_mov_b32 s16, -1
.LBB536_1437:
	s_and_not1_b32 vcc_lo, exec_lo, s15
	s_mov_b32 s15, 0
	s_cbranch_vccnz .LBB536_1448
; %bb.1438:
	v_cmp_gt_i16_e64 s15, s3, 14
	s_delay_alu instid0(VALU_DEP_1)
	s_and_b32 vcc_lo, exec_lo, s15
	s_cbranch_vccz .LBB536_1441
; %bb.1439:
	v_cmp_eq_u16_e64 s9, s3, 15
	s_delay_alu instid0(VALU_DEP_1)
	s_and_b32 vcc_lo, exec_lo, s9
	s_cbranch_vccz .LBB536_1444
; %bb.1440:
	global_load_u16 v6, v[0:1], off
	s_mov_b32 s9, 0
	s_mov_b32 s16, -1
	s_branch .LBB536_1445
.LBB536_1441:
	s_mov_b32 s15, -1
                                        ; implicit-def: $vgpr6
	s_branch .LBB536_1446
.LBB536_1442:
	s_or_saveexec_b32 s17, s17
	v_mov_b32_e32 v7, s16
	s_xor_b32 exec_lo, exec_lo, s17
	s_cbranch_execz .LBB536_1423
.LBB536_1443:
	v_cmp_ne_u16_e32 vcc_lo, 0, v6
	v_mov_b32_e32 v7, 0
	s_and_not1_b32 s15, s15, exec_lo
	s_and_b32 s16, vcc_lo, exec_lo
	s_delay_alu instid0(SALU_CYCLE_1)
	s_or_b32 s15, s15, s16
	s_or_b32 exec_lo, exec_lo, s17
	s_and_saveexec_b32 s16, s15
	s_cbranch_execnz .LBB536_1424
	s_branch .LBB536_1425
.LBB536_1444:
	s_mov_b32 s9, -1
                                        ; implicit-def: $vgpr6
.LBB536_1445:
	s_mov_b32 s15, 0
.LBB536_1446:
	s_delay_alu instid0(SALU_CYCLE_1)
	s_and_b32 vcc_lo, exec_lo, s15
	s_mov_b32 s15, 0
	s_cbranch_vccz .LBB536_1448
; %bb.1447:
	v_cmp_ne_u16_e64 s9, s3, 11
	s_mov_b32 s15, -1
                                        ; implicit-def: $vgpr6
.LBB536_1448:
	s_delay_alu instid0(VALU_DEP_1)
	s_and_b32 vcc_lo, exec_lo, s9
	s_cbranch_vccnz .LBB536_1468
; %bb.1449:
	s_and_not1_b32 vcc_lo, exec_lo, s15
	s_cbranch_vccnz .LBB536_1451
.LBB536_1450:
	global_load_u8 v6, v[0:1], off
	s_mov_b32 s16, -1
	s_waitcnt vmcnt(0)
	v_cmp_ne_u16_e32 vcc_lo, 0, v6
	v_cndmask_b32_e64 v6, 0, 1.0, vcc_lo
	s_delay_alu instid0(VALU_DEP_1)
	v_lshrrev_b32_e32 v6, 16, v6
.LBB536_1451:
.LBB536_1452:
	s_and_not1_b32 vcc_lo, exec_lo, s16
	s_cbranch_vccnz .LBB536_1673
.LBB536_1453:
	s_waitcnt vmcnt(0)
	s_delay_alu instid0(VALU_DEP_1) | instskip(SKIP_1) | instid1(VALU_DEP_1)
	v_dual_mov_b32 v7, s10 :: v_dual_lshlrev_b32 v0, 16, v6
	s_mov_b32 s9, exec_lo
	v_cmpx_o_f32_e32 v0, v0
	s_cbranch_execz .LBB536_1457
; %bb.1454:
	v_mov_b32_e32 v7, s2
	s_mov_b32 s15, exec_lo
	v_cmpx_neq_f32_e32 0x7f800000, v0
; %bb.1455:
	v_cmp_eq_f32_e32 vcc_lo, 0xff800000, v0
	v_cndmask_b32_e64 v7, v6, s11, vcc_lo
; %bb.1456:
	s_or_b32 exec_lo, exec_lo, s15
.LBB536_1457:
	s_delay_alu instid0(SALU_CYCLE_1) | instskip(SKIP_2) | instid1(VALU_DEP_2)
	s_or_b32 exec_lo, exec_lo, s9
	v_add_nc_u32_e32 v0, s0, v5
	v_cmp_lt_i16_e64 s0, s3, 11
	v_ashrrev_i32_e32 v1, 31, v0
	v_add_co_u32 v0, vcc_lo, s6, v0
	s_delay_alu instid0(VALU_DEP_2) | instskip(NEXT) | instid1(VALU_DEP_4)
	v_add_co_ci_u32_e32 v1, vcc_lo, s7, v1, vcc_lo
	s_and_b32 vcc_lo, exec_lo, s0
	s_cbranch_vccnz .LBB536_1464
; %bb.1458:
	v_cmp_gt_i16_e64 s0, s3, 25
	s_mov_b32 s6, 0
	s_delay_alu instid0(VALU_DEP_1)
	s_and_b32 vcc_lo, exec_lo, s0
	s_cbranch_vccz .LBB536_1465
; %bb.1459:
	v_cmp_gt_i16_e64 s0, s3, 28
	s_delay_alu instid0(VALU_DEP_1)
	s_and_b32 vcc_lo, exec_lo, s0
	s_cbranch_vccz .LBB536_1466
; %bb.1460:
	v_cmp_gt_i16_e64 s0, s3, 43
	;; [unrolled: 5-line block ×3, first 2 shown]
	s_delay_alu instid0(VALU_DEP_1)
	s_and_b32 vcc_lo, exec_lo, s0
	s_cbranch_vccz .LBB536_1470
; %bb.1462:
	v_cmp_eq_u16_e64 s0, s3, 46
	s_mov_b32 s9, 0
	s_delay_alu instid0(VALU_DEP_1)
	s_and_b32 vcc_lo, exec_lo, s0
	s_cbranch_vccz .LBB536_1473
; %bb.1463:
	global_load_b32 v6, v[0:1], off
	s_mov_b32 s0, 0
	s_mov_b32 s7, -1
	s_branch .LBB536_1475
.LBB536_1464:
	s_mov_b32 s0, -1
	s_mov_b32 s7, 0
                                        ; implicit-def: $vgpr6
	s_branch .LBB536_1541
.LBB536_1465:
	s_mov_b32 s9, -1
	s_mov_b32 s7, 0
	s_mov_b32 s0, 0
                                        ; implicit-def: $vgpr6
	s_branch .LBB536_1504
.LBB536_1466:
	s_mov_b32 s9, -1
	s_mov_b32 s7, 0
	s_mov_b32 s0, 0
                                        ; implicit-def: $vgpr6
	s_branch .LBB536_1485
.LBB536_1467:
	s_mov_b32 s9, -1
	s_mov_b32 s7, 0
	s_mov_b32 s0, 0
                                        ; implicit-def: $vgpr6
	s_branch .LBB536_1480
.LBB536_1468:
	s_cbranch_execnz .LBB536_1471
; %bb.1469:
	s_or_b32 s12, s12, exec_lo
                                        ; implicit-def: $vgpr6
	s_cbranch_execz .LBB536_1450
	s_branch .LBB536_1451
.LBB536_1470:
	s_mov_b32 s9, -1
	s_mov_b32 s7, 0
	s_mov_b32 s0, 0
	s_branch .LBB536_1474
.LBB536_1471:
	s_trap 2
	s_sendmsg_rtn_b32 s0, sendmsg(MSG_RTN_GET_DOORBELL)
	s_mov_b32 ttmp2, m0
	s_waitcnt lgkmcnt(0)
	s_and_b32 s0, s0, 0x3ff
	s_delay_alu instid0(SALU_CYCLE_1) | instskip(NEXT) | instid1(SALU_CYCLE_1)
	s_bitset1_b32 s0, 10
	s_mov_b32 m0, s0
	s_sendmsg sendmsg(MSG_INTERRUPT)
	s_mov_b32 m0, ttmp2
.LBB536_1472:                           ; =>This Inner Loop Header: Depth=1
	s_sethalt 5
	s_branch .LBB536_1472
.LBB536_1473:
	s_mov_b32 s0, -1
	s_mov_b32 s7, 0
.LBB536_1474:
                                        ; implicit-def: $vgpr6
.LBB536_1475:
	s_and_b32 vcc_lo, exec_lo, s9
	s_cbranch_vccz .LBB536_1479
; %bb.1476:
	v_cmp_eq_u16_e64 s0, s3, 44
	s_delay_alu instid0(VALU_DEP_1)
	s_and_b32 vcc_lo, exec_lo, s0
	s_cbranch_vccz .LBB536_1478
; %bb.1477:
	global_load_u8 v5, v[0:1], off
	s_mov_b32 s0, 0
	s_mov_b32 s7, -1
	s_waitcnt vmcnt(0)
	v_lshlrev_b32_e32 v6, 23, v5
	v_cmp_ne_u32_e32 vcc_lo, 0xff, v5
	s_delay_alu instid0(VALU_DEP_2) | instskip(SKIP_1) | instid1(VALU_DEP_2)
	v_cndmask_b32_e32 v6, 0x7f800001, v6, vcc_lo
	v_cmp_ne_u32_e32 vcc_lo, 0, v5
	v_cndmask_b32_e32 v5, 0x400000, v6, vcc_lo
	s_delay_alu instid0(VALU_DEP_1) | instskip(SKIP_1) | instid1(VALU_DEP_2)
	v_add_nc_u32_e32 v6, 0x7fff, v5
	v_cmp_o_f32_e32 vcc_lo, v5, v5
	v_lshrrev_b32_e32 v6, 16, v6
	s_delay_alu instid0(VALU_DEP_1)
	v_cndmask_b32_e32 v6, 0x7fc0, v6, vcc_lo
	s_branch .LBB536_1479
.LBB536_1478:
	s_mov_b32 s0, -1
                                        ; implicit-def: $vgpr6
.LBB536_1479:
	s_mov_b32 s9, 0
.LBB536_1480:
	s_delay_alu instid0(SALU_CYCLE_1)
	s_and_b32 vcc_lo, exec_lo, s9
	s_cbranch_vccz .LBB536_1484
; %bb.1481:
	v_cmp_eq_u16_e64 s0, s3, 29
	s_delay_alu instid0(VALU_DEP_1)
	s_and_b32 vcc_lo, exec_lo, s0
	s_cbranch_vccz .LBB536_1483
; %bb.1482:
	global_load_b64 v[5:6], v[0:1], off
	s_mov_b32 s0, 0
	s_mov_b32 s7, -1
	s_mov_b32 s9, 0
	s_waitcnt vmcnt(0)
	v_clz_i32_u32_e32 v8, v6
	s_delay_alu instid0(VALU_DEP_1) | instskip(NEXT) | instid1(VALU_DEP_1)
	v_min_u32_e32 v8, 32, v8
	v_lshlrev_b64 v[5:6], v8, v[5:6]
	s_delay_alu instid0(VALU_DEP_1) | instskip(NEXT) | instid1(VALU_DEP_1)
	v_min_u32_e32 v5, 1, v5
	v_or_b32_e32 v5, v6, v5
	v_sub_nc_u32_e32 v6, 32, v8
	s_delay_alu instid0(VALU_DEP_2) | instskip(NEXT) | instid1(VALU_DEP_1)
	v_cvt_f32_u32_e32 v5, v5
	v_ldexp_f32 v5, v5, v6
	s_delay_alu instid0(VALU_DEP_1) | instskip(NEXT) | instid1(VALU_DEP_1)
	v_bfe_u32 v6, v5, 16, 1
	v_add3_u32 v5, v5, v6, 0x7fff
	s_delay_alu instid0(VALU_DEP_1)
	v_lshrrev_b32_e32 v6, 16, v5
	s_branch .LBB536_1485
.LBB536_1483:
	s_mov_b32 s0, -1
                                        ; implicit-def: $vgpr6
.LBB536_1484:
	s_mov_b32 s9, 0
.LBB536_1485:
	s_delay_alu instid0(SALU_CYCLE_1)
	s_and_b32 vcc_lo, exec_lo, s9
	s_cbranch_vccz .LBB536_1503
; %bb.1486:
	v_cmp_lt_i16_e64 s7, s3, 27
	s_delay_alu instid0(VALU_DEP_1)
	s_and_b32 vcc_lo, exec_lo, s7
	s_cbranch_vccnz .LBB536_1489
; %bb.1487:
	v_cmp_gt_i16_e64 s7, s3, 27
	s_delay_alu instid0(VALU_DEP_1)
	s_and_b32 vcc_lo, exec_lo, s7
	s_cbranch_vccz .LBB536_1490
; %bb.1488:
	global_load_b32 v5, v[0:1], off
	s_mov_b32 s7, 0
	s_waitcnt vmcnt(0)
	v_cvt_f32_u32_e32 v5, v5
	s_delay_alu instid0(VALU_DEP_1) | instskip(NEXT) | instid1(VALU_DEP_1)
	v_bfe_u32 v6, v5, 16, 1
	v_add3_u32 v5, v5, v6, 0x7fff
	s_delay_alu instid0(VALU_DEP_1)
	v_lshrrev_b32_e32 v6, 16, v5
	s_branch .LBB536_1491
.LBB536_1489:
	s_mov_b32 s7, -1
                                        ; implicit-def: $vgpr6
	s_branch .LBB536_1494
.LBB536_1490:
	s_mov_b32 s7, -1
                                        ; implicit-def: $vgpr6
.LBB536_1491:
	s_delay_alu instid0(SALU_CYCLE_1)
	s_and_not1_b32 vcc_lo, exec_lo, s7
	s_cbranch_vccnz .LBB536_1493
; %bb.1492:
	global_load_u16 v5, v[0:1], off
	s_waitcnt vmcnt(0)
	v_cvt_f32_u32_e32 v5, v5
	s_delay_alu instid0(VALU_DEP_1) | instskip(NEXT) | instid1(VALU_DEP_1)
	v_bfe_u32 v6, v5, 16, 1
	v_add3_u32 v5, v5, v6, 0x7fff
	s_delay_alu instid0(VALU_DEP_1)
	v_lshrrev_b32_e32 v6, 16, v5
.LBB536_1493:
	s_mov_b32 s7, 0
.LBB536_1494:
	s_delay_alu instid0(SALU_CYCLE_1)
	s_and_not1_b32 vcc_lo, exec_lo, s7
	s_cbranch_vccnz .LBB536_1502
; %bb.1495:
	global_load_u8 v5, v[0:1], off
	s_mov_b32 s7, 0
	s_mov_b32 s15, exec_lo
                                        ; implicit-def: $sgpr9
	s_waitcnt vmcnt(0)
	v_cmpx_lt_i16_e32 0x7f, v5
	s_xor_b32 s15, exec_lo, s15
	s_cbranch_execz .LBB536_1516
; %bb.1496:
	s_mov_b32 s7, -1
	s_mov_b32 s16, exec_lo
                                        ; implicit-def: $sgpr9
	v_cmpx_eq_u16_e32 0x80, v5
; %bb.1497:
	s_mov_b32 s9, 0x7f800001
	s_xor_b32 s7, exec_lo, -1
; %bb.1498:
	s_or_b32 exec_lo, exec_lo, s16
	s_delay_alu instid0(SALU_CYCLE_1)
	s_and_b32 s7, s7, exec_lo
	s_or_saveexec_b32 s15, s15
	v_mov_b32_e32 v6, s9
	s_xor_b32 exec_lo, exec_lo, s15
	s_cbranch_execnz .LBB536_1517
.LBB536_1499:
	s_or_b32 exec_lo, exec_lo, s15
	s_and_saveexec_b32 s9, s7
	s_cbranch_execz .LBB536_1501
.LBB536_1500:
	v_and_b32_e32 v6, 0xffff, v5
	s_delay_alu instid0(VALU_DEP_1) | instskip(NEXT) | instid1(VALU_DEP_1)
	v_and_b32_e32 v8, 7, v6
	v_clz_i32_u32_e32 v9, v8
	s_delay_alu instid0(VALU_DEP_1) | instskip(NEXT) | instid1(VALU_DEP_1)
	v_min_u32_e32 v9, 32, v9
	v_subrev_nc_u32_e32 v10, 28, v9
	v_sub_nc_u32_e32 v9, 29, v9
	s_delay_alu instid0(VALU_DEP_2) | instskip(SKIP_1) | instid1(VALU_DEP_2)
	v_lshlrev_b32_e32 v10, v10, v6
	v_bfe_u32 v6, v6, 3, 4
	v_and_b32_e32 v10, 7, v10
	s_delay_alu instid0(VALU_DEP_2) | instskip(NEXT) | instid1(VALU_DEP_2)
	v_cmp_eq_u32_e32 vcc_lo, 0, v6
	v_dual_cndmask_b32 v8, v8, v10 :: v_dual_lshlrev_b32 v5, 24, v5
	v_cndmask_b32_e32 v6, v6, v9, vcc_lo
	s_delay_alu instid0(VALU_DEP_2) | instskip(NEXT) | instid1(VALU_DEP_3)
	v_and_b32_e32 v5, 0x80000000, v5
	v_lshlrev_b32_e32 v8, 20, v8
	s_delay_alu instid0(VALU_DEP_3) | instskip(NEXT) | instid1(VALU_DEP_1)
	v_lshl_add_u32 v6, v6, 23, 0x3b800000
	v_or3_b32 v6, v5, v6, v8
.LBB536_1501:
	s_or_b32 exec_lo, exec_lo, s9
	s_delay_alu instid0(VALU_DEP_1) | instskip(SKIP_1) | instid1(VALU_DEP_2)
	v_bfe_u32 v5, v6, 16, 1
	v_cmp_o_f32_e32 vcc_lo, v6, v6
	v_add3_u32 v5, v6, v5, 0x7fff
	s_delay_alu instid0(VALU_DEP_1) | instskip(NEXT) | instid1(VALU_DEP_1)
	v_lshrrev_b32_e32 v5, 16, v5
	v_cndmask_b32_e32 v6, 0x7fc0, v5, vcc_lo
.LBB536_1502:
	s_mov_b32 s7, -1
.LBB536_1503:
	s_mov_b32 s9, 0
.LBB536_1504:
	s_delay_alu instid0(SALU_CYCLE_1)
	s_and_b32 vcc_lo, exec_lo, s9
	s_cbranch_vccz .LBB536_1537
; %bb.1505:
	v_cmp_gt_i16_e64 s6, s3, 22
	s_delay_alu instid0(VALU_DEP_1)
	s_and_b32 vcc_lo, exec_lo, s6
	s_cbranch_vccz .LBB536_1515
; %bb.1506:
	v_cmp_lt_i16_e64 s6, s3, 24
	s_delay_alu instid0(VALU_DEP_1)
	s_and_b32 vcc_lo, exec_lo, s6
	s_cbranch_vccnz .LBB536_1518
; %bb.1507:
	v_cmp_gt_i16_e64 s6, s3, 24
	s_delay_alu instid0(VALU_DEP_1)
	s_and_b32 vcc_lo, exec_lo, s6
	s_cbranch_vccz .LBB536_1519
; %bb.1508:
	global_load_u8 v5, v[0:1], off
	s_mov_b32 s6, 0
	s_mov_b32 s9, exec_lo
                                        ; implicit-def: $sgpr7
	s_waitcnt vmcnt(0)
	v_cmpx_lt_i16_e32 0x7f, v5
	s_xor_b32 s9, exec_lo, s9
	s_cbranch_execz .LBB536_1531
; %bb.1509:
	s_mov_b32 s6, -1
	s_mov_b32 s15, exec_lo
                                        ; implicit-def: $sgpr7
	v_cmpx_eq_u16_e32 0x80, v5
; %bb.1510:
	s_mov_b32 s7, 0x7f800001
	s_xor_b32 s6, exec_lo, -1
; %bb.1511:
	s_or_b32 exec_lo, exec_lo, s15
	s_delay_alu instid0(SALU_CYCLE_1)
	s_and_b32 s6, s6, exec_lo
	s_or_saveexec_b32 s9, s9
	v_mov_b32_e32 v6, s7
	s_xor_b32 exec_lo, exec_lo, s9
	s_cbranch_execnz .LBB536_1532
.LBB536_1512:
	s_or_b32 exec_lo, exec_lo, s9
	s_and_saveexec_b32 s7, s6
	s_cbranch_execz .LBB536_1514
.LBB536_1513:
	v_and_b32_e32 v6, 0xffff, v5
	s_delay_alu instid0(VALU_DEP_1) | instskip(NEXT) | instid1(VALU_DEP_1)
	v_and_b32_e32 v8, 3, v6
	v_clz_i32_u32_e32 v9, v8
	s_delay_alu instid0(VALU_DEP_1) | instskip(NEXT) | instid1(VALU_DEP_1)
	v_min_u32_e32 v9, 32, v9
	v_subrev_nc_u32_e32 v10, 29, v9
	v_sub_nc_u32_e32 v9, 30, v9
	s_delay_alu instid0(VALU_DEP_2) | instskip(SKIP_1) | instid1(VALU_DEP_2)
	v_lshlrev_b32_e32 v10, v10, v6
	v_bfe_u32 v6, v6, 2, 5
	v_and_b32_e32 v10, 3, v10
	s_delay_alu instid0(VALU_DEP_2) | instskip(NEXT) | instid1(VALU_DEP_2)
	v_cmp_eq_u32_e32 vcc_lo, 0, v6
	v_dual_cndmask_b32 v8, v8, v10 :: v_dual_lshlrev_b32 v5, 24, v5
	v_cndmask_b32_e32 v6, v6, v9, vcc_lo
	s_delay_alu instid0(VALU_DEP_2) | instskip(NEXT) | instid1(VALU_DEP_3)
	v_and_b32_e32 v5, 0x80000000, v5
	v_lshlrev_b32_e32 v8, 21, v8
	s_delay_alu instid0(VALU_DEP_3) | instskip(NEXT) | instid1(VALU_DEP_1)
	v_lshl_add_u32 v6, v6, 23, 0x37800000
	v_or3_b32 v6, v5, v6, v8
.LBB536_1514:
	s_or_b32 exec_lo, exec_lo, s7
	s_delay_alu instid0(VALU_DEP_1) | instskip(SKIP_2) | instid1(VALU_DEP_2)
	v_bfe_u32 v5, v6, 16, 1
	v_cmp_o_f32_e32 vcc_lo, v6, v6
	s_mov_b32 s6, 0
	v_add3_u32 v5, v6, v5, 0x7fff
	s_delay_alu instid0(VALU_DEP_1) | instskip(NEXT) | instid1(VALU_DEP_1)
	v_lshrrev_b32_e32 v5, 16, v5
	v_cndmask_b32_e32 v6, 0x7fc0, v5, vcc_lo
	s_branch .LBB536_1520
.LBB536_1515:
	s_mov_b32 s6, -1
                                        ; implicit-def: $vgpr6
	s_branch .LBB536_1526
.LBB536_1516:
	s_or_saveexec_b32 s15, s15
	v_mov_b32_e32 v6, s9
	s_xor_b32 exec_lo, exec_lo, s15
	s_cbranch_execz .LBB536_1499
.LBB536_1517:
	v_cmp_ne_u16_e32 vcc_lo, 0, v5
	v_mov_b32_e32 v6, 0
	s_and_not1_b32 s7, s7, exec_lo
	s_and_b32 s9, vcc_lo, exec_lo
	s_delay_alu instid0(SALU_CYCLE_1)
	s_or_b32 s7, s7, s9
	s_or_b32 exec_lo, exec_lo, s15
	s_and_saveexec_b32 s9, s7
	s_cbranch_execnz .LBB536_1500
	s_branch .LBB536_1501
.LBB536_1518:
	s_mov_b32 s6, -1
                                        ; implicit-def: $vgpr6
	s_branch .LBB536_1523
.LBB536_1519:
	s_mov_b32 s6, -1
                                        ; implicit-def: $vgpr6
.LBB536_1520:
	s_delay_alu instid0(SALU_CYCLE_1)
	s_and_b32 vcc_lo, exec_lo, s6
	s_cbranch_vccz .LBB536_1522
; %bb.1521:
	global_load_u8 v5, v[0:1], off
	s_waitcnt vmcnt(0)
	v_lshlrev_b32_e32 v5, 24, v5
	s_delay_alu instid0(VALU_DEP_1) | instskip(NEXT) | instid1(VALU_DEP_1)
	v_and_b32_e32 v6, 0x7f000000, v5
	v_clz_i32_u32_e32 v8, v6
	v_add_nc_u32_e32 v10, 0x1000000, v6
	v_cmp_ne_u32_e32 vcc_lo, 0, v6
	s_delay_alu instid0(VALU_DEP_3) | instskip(NEXT) | instid1(VALU_DEP_1)
	v_min_u32_e32 v8, 32, v8
	v_sub_nc_u32_e64 v8, v8, 4 clamp
	s_delay_alu instid0(VALU_DEP_1) | instskip(SKIP_1) | instid1(VALU_DEP_2)
	v_lshlrev_b32_e32 v9, v8, v6
	v_lshlrev_b32_e32 v8, 23, v8
	v_lshrrev_b32_e32 v9, 4, v9
	s_delay_alu instid0(VALU_DEP_1) | instskip(SKIP_1) | instid1(VALU_DEP_2)
	v_sub_nc_u32_e32 v8, v9, v8
	v_ashrrev_i32_e32 v9, 8, v10
	v_add_nc_u32_e32 v8, 0x3c000000, v8
	s_delay_alu instid0(VALU_DEP_1) | instskip(NEXT) | instid1(VALU_DEP_1)
	v_and_or_b32 v8, 0x7f800000, v9, v8
	v_cndmask_b32_e32 v6, 0, v8, vcc_lo
	s_delay_alu instid0(VALU_DEP_1) | instskip(SKIP_1) | instid1(VALU_DEP_2)
	v_and_or_b32 v5, 0x80000000, v5, v6
	v_bfe_u32 v6, v6, 16, 1
	v_cmp_o_f32_e32 vcc_lo, v5, v5
	s_delay_alu instid0(VALU_DEP_2) | instskip(NEXT) | instid1(VALU_DEP_1)
	v_add3_u32 v6, v5, v6, 0x7fff
	v_lshrrev_b32_e32 v6, 16, v6
	s_delay_alu instid0(VALU_DEP_1)
	v_cndmask_b32_e32 v6, 0x7fc0, v6, vcc_lo
.LBB536_1522:
	s_mov_b32 s6, 0
.LBB536_1523:
	s_delay_alu instid0(SALU_CYCLE_1)
	s_and_not1_b32 vcc_lo, exec_lo, s6
	s_cbranch_vccnz .LBB536_1525
; %bb.1524:
	global_load_u8 v5, v[0:1], off
	s_waitcnt vmcnt(0)
	v_lshlrev_b32_e32 v6, 25, v5
	v_lshlrev_b16 v5, 8, v5
	s_delay_alu instid0(VALU_DEP_2) | instskip(NEXT) | instid1(VALU_DEP_2)
	v_lshrrev_b32_e32 v8, 4, v6
	v_and_or_b32 v9, 0x7f00, v5, 0.5
	v_cmp_gt_u32_e32 vcc_lo, 0x8000000, v6
	v_bfe_i32 v5, v5, 0, 16
	s_delay_alu instid0(VALU_DEP_4) | instskip(NEXT) | instid1(VALU_DEP_1)
	v_or_b32_e32 v8, 0x70000000, v8
	v_dual_add_f32 v9, -0.5, v9 :: v_dual_mul_f32 v8, 0x7800000, v8
	s_delay_alu instid0(VALU_DEP_1) | instskip(NEXT) | instid1(VALU_DEP_1)
	v_cndmask_b32_e32 v6, v8, v9, vcc_lo
	v_and_or_b32 v5, 0x80000000, v5, v6
	v_bfe_u32 v6, v6, 16, 1
	s_delay_alu instid0(VALU_DEP_2) | instskip(NEXT) | instid1(VALU_DEP_2)
	v_cmp_o_f32_e32 vcc_lo, v5, v5
	v_add3_u32 v6, v5, v6, 0x7fff
	s_delay_alu instid0(VALU_DEP_1) | instskip(NEXT) | instid1(VALU_DEP_1)
	v_lshrrev_b32_e32 v6, 16, v6
	v_cndmask_b32_e32 v6, 0x7fc0, v6, vcc_lo
.LBB536_1525:
	s_mov_b32 s6, 0
	s_mov_b32 s7, -1
.LBB536_1526:
	s_and_not1_b32 vcc_lo, exec_lo, s6
	s_mov_b32 s6, 0
	s_cbranch_vccnz .LBB536_1537
; %bb.1527:
	v_cmp_gt_i16_e64 s6, s3, 14
	s_delay_alu instid0(VALU_DEP_1)
	s_and_b32 vcc_lo, exec_lo, s6
	s_cbranch_vccz .LBB536_1530
; %bb.1528:
	v_cmp_eq_u16_e64 s0, s3, 15
	s_delay_alu instid0(VALU_DEP_1)
	s_and_b32 vcc_lo, exec_lo, s0
	s_cbranch_vccz .LBB536_1533
; %bb.1529:
	global_load_u16 v6, v[0:1], off
	s_mov_b32 s0, 0
	s_mov_b32 s7, -1
	s_branch .LBB536_1534
.LBB536_1530:
	s_mov_b32 s6, -1
                                        ; implicit-def: $vgpr6
	s_branch .LBB536_1535
.LBB536_1531:
	s_or_saveexec_b32 s9, s9
	v_mov_b32_e32 v6, s7
	s_xor_b32 exec_lo, exec_lo, s9
	s_cbranch_execz .LBB536_1512
.LBB536_1532:
	v_cmp_ne_u16_e32 vcc_lo, 0, v5
	v_mov_b32_e32 v6, 0
	s_and_not1_b32 s6, s6, exec_lo
	s_and_b32 s7, vcc_lo, exec_lo
	s_delay_alu instid0(SALU_CYCLE_1)
	s_or_b32 s6, s6, s7
	s_or_b32 exec_lo, exec_lo, s9
	s_and_saveexec_b32 s7, s6
	s_cbranch_execnz .LBB536_1513
	s_branch .LBB536_1514
.LBB536_1533:
	s_mov_b32 s0, -1
                                        ; implicit-def: $vgpr6
.LBB536_1534:
	s_mov_b32 s6, 0
.LBB536_1535:
	s_delay_alu instid0(SALU_CYCLE_1)
	s_and_b32 vcc_lo, exec_lo, s6
	s_mov_b32 s6, 0
	s_cbranch_vccz .LBB536_1537
; %bb.1536:
	v_cmp_ne_u16_e64 s0, s3, 11
	s_mov_b32 s6, -1
                                        ; implicit-def: $vgpr6
.LBB536_1537:
	s_delay_alu instid0(VALU_DEP_1)
	s_and_b32 vcc_lo, exec_lo, s0
	s_cbranch_vccnz .LBB536_2075
; %bb.1538:
	s_and_not1_b32 vcc_lo, exec_lo, s6
	s_cbranch_vccnz .LBB536_1540
.LBB536_1539:
	global_load_u8 v5, v[0:1], off
	s_mov_b32 s7, -1
	s_waitcnt vmcnt(0)
	v_cmp_ne_u16_e32 vcc_lo, 0, v5
	v_cndmask_b32_e64 v5, 0, 1.0, vcc_lo
	s_delay_alu instid0(VALU_DEP_1)
	v_lshrrev_b32_e32 v6, 16, v5
.LBB536_1540:
	s_mov_b32 s0, 0
.LBB536_1541:
	s_delay_alu instid0(SALU_CYCLE_1)
	s_and_b32 vcc_lo, exec_lo, s0
	s_cbranch_vccz .LBB536_1590
; %bb.1542:
	v_cmp_lt_i16_e64 s0, s3, 5
	s_delay_alu instid0(VALU_DEP_1)
	s_and_b32 vcc_lo, exec_lo, s0
	s_cbranch_vccnz .LBB536_1547
; %bb.1543:
	v_cmp_lt_i16_e64 s0, s3, 8
	s_delay_alu instid0(VALU_DEP_1)
	s_and_b32 vcc_lo, exec_lo, s0
	s_cbranch_vccnz .LBB536_1548
	;; [unrolled: 5-line block ×3, first 2 shown]
; %bb.1545:
	v_cmp_gt_i16_e64 s0, s3, 9
	s_delay_alu instid0(VALU_DEP_1)
	s_and_b32 vcc_lo, exec_lo, s0
	s_cbranch_vccz .LBB536_1550
; %bb.1546:
	global_load_b64 v[5:6], v[0:1], off
	s_mov_b32 s0, 0
	s_waitcnt vmcnt(0)
	v_cvt_f32_f64_e32 v5, v[5:6]
	s_delay_alu instid0(VALU_DEP_1) | instskip(SKIP_1) | instid1(VALU_DEP_2)
	v_bfe_u32 v6, v5, 16, 1
	v_cmp_o_f32_e32 vcc_lo, v5, v5
	v_add3_u32 v6, v5, v6, 0x7fff
	s_delay_alu instid0(VALU_DEP_1) | instskip(NEXT) | instid1(VALU_DEP_1)
	v_lshrrev_b32_e32 v6, 16, v6
	v_cndmask_b32_e32 v6, 0x7fc0, v6, vcc_lo
	s_branch .LBB536_1551
.LBB536_1547:
	s_mov_b32 s0, -1
                                        ; implicit-def: $vgpr6
	s_branch .LBB536_1569
.LBB536_1548:
	s_mov_b32 s0, -1
                                        ; implicit-def: $vgpr6
	s_branch .LBB536_1557
.LBB536_1549:
	s_mov_b32 s0, -1
                                        ; implicit-def: $vgpr6
	s_branch .LBB536_1554
.LBB536_1550:
	s_mov_b32 s0, -1
                                        ; implicit-def: $vgpr6
.LBB536_1551:
	s_delay_alu instid0(SALU_CYCLE_1)
	s_and_not1_b32 vcc_lo, exec_lo, s0
	s_cbranch_vccnz .LBB536_1553
; %bb.1552:
	global_load_b32 v5, v[0:1], off
	s_waitcnt vmcnt(0)
	v_bfe_u32 v6, v5, 16, 1
	v_cmp_o_f32_e32 vcc_lo, v5, v5
	s_delay_alu instid0(VALU_DEP_2) | instskip(NEXT) | instid1(VALU_DEP_1)
	v_add3_u32 v6, v5, v6, 0x7fff
	v_lshrrev_b32_e32 v6, 16, v6
	s_delay_alu instid0(VALU_DEP_1)
	v_cndmask_b32_e32 v6, 0x7fc0, v6, vcc_lo
.LBB536_1553:
	s_mov_b32 s0, 0
.LBB536_1554:
	s_delay_alu instid0(SALU_CYCLE_1)
	s_and_not1_b32 vcc_lo, exec_lo, s0
	s_cbranch_vccnz .LBB536_1556
; %bb.1555:
	global_load_b32 v5, v[0:1], off
	s_waitcnt vmcnt(0)
	v_cvt_f32_f16_e32 v6, v5
	v_cmp_o_f16_e32 vcc_lo, v5, v5
	s_delay_alu instid0(VALU_DEP_2) | instskip(NEXT) | instid1(VALU_DEP_1)
	v_bfe_u32 v8, v6, 16, 1
	v_add3_u32 v6, v6, v8, 0x7fff
	s_delay_alu instid0(VALU_DEP_1) | instskip(NEXT) | instid1(VALU_DEP_1)
	v_lshrrev_b32_e32 v6, 16, v6
	v_cndmask_b32_e32 v6, 0x7fc0, v6, vcc_lo
.LBB536_1556:
	s_mov_b32 s0, 0
.LBB536_1557:
	s_delay_alu instid0(SALU_CYCLE_1)
	s_and_not1_b32 vcc_lo, exec_lo, s0
	s_cbranch_vccnz .LBB536_1568
; %bb.1558:
	v_cmp_lt_i16_e64 s0, s3, 6
	s_delay_alu instid0(VALU_DEP_1)
	s_and_b32 vcc_lo, exec_lo, s0
	s_cbranch_vccnz .LBB536_1561
; %bb.1559:
	v_cmp_gt_i16_e64 s0, s3, 6
	s_delay_alu instid0(VALU_DEP_1)
	s_and_b32 vcc_lo, exec_lo, s0
	s_cbranch_vccz .LBB536_1562
; %bb.1560:
	global_load_b64 v[5:6], v[0:1], off
	s_mov_b32 s0, 0
	s_waitcnt vmcnt(0)
	v_cvt_f32_f64_e32 v5, v[5:6]
	s_delay_alu instid0(VALU_DEP_1) | instskip(SKIP_1) | instid1(VALU_DEP_2)
	v_bfe_u32 v6, v5, 16, 1
	v_cmp_o_f32_e32 vcc_lo, v5, v5
	v_add3_u32 v6, v5, v6, 0x7fff
	s_delay_alu instid0(VALU_DEP_1) | instskip(NEXT) | instid1(VALU_DEP_1)
	v_lshrrev_b32_e32 v6, 16, v6
	v_cndmask_b32_e32 v6, 0x7fc0, v6, vcc_lo
	s_branch .LBB536_1563
.LBB536_1561:
	s_mov_b32 s0, -1
                                        ; implicit-def: $vgpr6
	s_branch .LBB536_1566
.LBB536_1562:
	s_mov_b32 s0, -1
                                        ; implicit-def: $vgpr6
.LBB536_1563:
	s_delay_alu instid0(SALU_CYCLE_1)
	s_and_not1_b32 vcc_lo, exec_lo, s0
	s_cbranch_vccnz .LBB536_1565
; %bb.1564:
	global_load_b32 v5, v[0:1], off
	s_waitcnt vmcnt(0)
	v_bfe_u32 v6, v5, 16, 1
	v_cmp_o_f32_e32 vcc_lo, v5, v5
	s_delay_alu instid0(VALU_DEP_2) | instskip(NEXT) | instid1(VALU_DEP_1)
	v_add3_u32 v6, v5, v6, 0x7fff
	v_lshrrev_b32_e32 v6, 16, v6
	s_delay_alu instid0(VALU_DEP_1)
	v_cndmask_b32_e32 v6, 0x7fc0, v6, vcc_lo
.LBB536_1565:
	s_mov_b32 s0, 0
.LBB536_1566:
	s_delay_alu instid0(SALU_CYCLE_1)
	s_and_not1_b32 vcc_lo, exec_lo, s0
	s_cbranch_vccnz .LBB536_1568
; %bb.1567:
	global_load_u16 v5, v[0:1], off
	s_waitcnt vmcnt(0)
	v_cvt_f32_f16_e32 v6, v5
	v_cmp_o_f16_e32 vcc_lo, v5, v5
	s_delay_alu instid0(VALU_DEP_2) | instskip(NEXT) | instid1(VALU_DEP_1)
	v_bfe_u32 v8, v6, 16, 1
	v_add3_u32 v6, v6, v8, 0x7fff
	s_delay_alu instid0(VALU_DEP_1) | instskip(NEXT) | instid1(VALU_DEP_1)
	v_lshrrev_b32_e32 v6, 16, v6
	v_cndmask_b32_e32 v6, 0x7fc0, v6, vcc_lo
.LBB536_1568:
	s_mov_b32 s0, 0
.LBB536_1569:
	s_delay_alu instid0(SALU_CYCLE_1)
	s_and_not1_b32 vcc_lo, exec_lo, s0
	s_cbranch_vccnz .LBB536_1589
; %bb.1570:
	v_cmp_lt_i16_e64 s0, s3, 2
	s_delay_alu instid0(VALU_DEP_1)
	s_and_b32 vcc_lo, exec_lo, s0
	s_cbranch_vccnz .LBB536_1574
; %bb.1571:
	v_cmp_lt_i16_e64 s0, s3, 3
	s_delay_alu instid0(VALU_DEP_1)
	s_and_b32 vcc_lo, exec_lo, s0
	s_cbranch_vccnz .LBB536_1575
; %bb.1572:
	v_cmp_gt_i16_e64 s0, s3, 3
	s_delay_alu instid0(VALU_DEP_1)
	s_and_b32 vcc_lo, exec_lo, s0
	s_cbranch_vccz .LBB536_1576
; %bb.1573:
	global_load_b64 v[5:6], v[0:1], off
	s_mov_b32 s0, 0
	s_waitcnt vmcnt(0)
	v_xor_b32_e32 v8, v5, v6
	v_cls_i32_e32 v9, v6
	s_delay_alu instid0(VALU_DEP_2) | instskip(NEXT) | instid1(VALU_DEP_2)
	v_ashrrev_i32_e32 v8, 31, v8
	v_add_nc_u32_e32 v9, -1, v9
	s_delay_alu instid0(VALU_DEP_2) | instskip(NEXT) | instid1(VALU_DEP_1)
	v_add_nc_u32_e32 v8, 32, v8
	v_min_u32_e32 v8, v9, v8
	s_delay_alu instid0(VALU_DEP_1) | instskip(NEXT) | instid1(VALU_DEP_1)
	v_lshlrev_b64 v[5:6], v8, v[5:6]
	v_min_u32_e32 v5, 1, v5
	s_delay_alu instid0(VALU_DEP_1) | instskip(SKIP_1) | instid1(VALU_DEP_2)
	v_or_b32_e32 v5, v6, v5
	v_sub_nc_u32_e32 v6, 32, v8
	v_cvt_f32_i32_e32 v5, v5
	s_delay_alu instid0(VALU_DEP_1) | instskip(NEXT) | instid1(VALU_DEP_1)
	v_ldexp_f32 v5, v5, v6
	v_bfe_u32 v6, v5, 16, 1
	s_delay_alu instid0(VALU_DEP_1) | instskip(NEXT) | instid1(VALU_DEP_1)
	v_add3_u32 v5, v5, v6, 0x7fff
	v_lshrrev_b32_e32 v6, 16, v5
	s_branch .LBB536_1577
.LBB536_1574:
	s_mov_b32 s0, -1
                                        ; implicit-def: $vgpr6
	s_branch .LBB536_1583
.LBB536_1575:
	s_mov_b32 s0, -1
                                        ; implicit-def: $vgpr6
	s_branch .LBB536_1580
.LBB536_1576:
	s_mov_b32 s0, -1
                                        ; implicit-def: $vgpr6
.LBB536_1577:
	s_delay_alu instid0(SALU_CYCLE_1)
	s_and_not1_b32 vcc_lo, exec_lo, s0
	s_cbranch_vccnz .LBB536_1579
; %bb.1578:
	global_load_b32 v5, v[0:1], off
	s_waitcnt vmcnt(0)
	v_cvt_f32_i32_e32 v5, v5
	s_delay_alu instid0(VALU_DEP_1) | instskip(NEXT) | instid1(VALU_DEP_1)
	v_bfe_u32 v6, v5, 16, 1
	v_add3_u32 v5, v5, v6, 0x7fff
	s_delay_alu instid0(VALU_DEP_1)
	v_lshrrev_b32_e32 v6, 16, v5
.LBB536_1579:
	s_mov_b32 s0, 0
.LBB536_1580:
	s_delay_alu instid0(SALU_CYCLE_1)
	s_and_not1_b32 vcc_lo, exec_lo, s0
	s_cbranch_vccnz .LBB536_1582
; %bb.1581:
	global_load_i16 v5, v[0:1], off
	s_waitcnt vmcnt(0)
	v_cvt_f32_i32_e32 v5, v5
	s_delay_alu instid0(VALU_DEP_1) | instskip(NEXT) | instid1(VALU_DEP_1)
	v_bfe_u32 v6, v5, 16, 1
	v_add3_u32 v5, v5, v6, 0x7fff
	s_delay_alu instid0(VALU_DEP_1)
	v_lshrrev_b32_e32 v6, 16, v5
.LBB536_1582:
	s_mov_b32 s0, 0
.LBB536_1583:
	s_delay_alu instid0(SALU_CYCLE_1)
	s_and_not1_b32 vcc_lo, exec_lo, s0
	s_cbranch_vccnz .LBB536_1589
; %bb.1584:
	v_cmp_gt_i16_e64 s0, s3, 0
	s_delay_alu instid0(VALU_DEP_1)
	s_and_b32 vcc_lo, exec_lo, s0
	s_mov_b32 s0, 0
	s_cbranch_vccz .LBB536_1586
; %bb.1585:
	global_load_i8 v5, v[0:1], off
	s_waitcnt vmcnt(0)
	v_cvt_f32_i32_e32 v5, v5
	s_delay_alu instid0(VALU_DEP_1) | instskip(NEXT) | instid1(VALU_DEP_1)
	v_bfe_u32 v6, v5, 16, 1
	v_add3_u32 v5, v5, v6, 0x7fff
	s_delay_alu instid0(VALU_DEP_1)
	v_lshrrev_b32_e32 v6, 16, v5
	s_branch .LBB536_1587
.LBB536_1586:
	s_mov_b32 s0, -1
                                        ; implicit-def: $vgpr6
.LBB536_1587:
	s_delay_alu instid0(SALU_CYCLE_1)
	s_and_not1_b32 vcc_lo, exec_lo, s0
	s_cbranch_vccnz .LBB536_1589
; %bb.1588:
	global_load_u8 v0, v[0:1], off
	s_waitcnt vmcnt(0)
	v_cvt_f32_ubyte0_e32 v0, v0
	s_delay_alu instid0(VALU_DEP_1) | instskip(NEXT) | instid1(VALU_DEP_1)
	v_bfe_u32 v1, v0, 16, 1
	v_add3_u32 v0, v0, v1, 0x7fff
	s_delay_alu instid0(VALU_DEP_1)
	v_lshrrev_b32_e32 v6, 16, v0
.LBB536_1589:
	s_mov_b32 s7, -1
.LBB536_1590:
	s_delay_alu instid0(SALU_CYCLE_1)
	s_and_not1_b32 vcc_lo, exec_lo, s7
	s_cbranch_vccnz .LBB536_1673
; %bb.1591:
	s_waitcnt vmcnt(0)
	v_dual_mov_b32 v5, s10 :: v_dual_lshlrev_b32 v0, 16, v6
	s_mov_b32 s0, exec_lo
	s_delay_alu instid0(VALU_DEP_1)
	v_cmpx_o_f32_e32 v0, v0
	s_cbranch_execz .LBB536_1595
; %bb.1592:
	v_mov_b32_e32 v5, s2
	s_mov_b32 s2, exec_lo
	v_cmpx_neq_f32_e32 0x7f800000, v0
; %bb.1593:
	v_cmp_eq_f32_e32 vcc_lo, 0xff800000, v0
	v_cndmask_b32_e64 v5, v6, s11, vcc_lo
; %bb.1594:
	s_or_b32 exec_lo, exec_lo, s2
.LBB536_1595:
	s_delay_alu instid0(SALU_CYCLE_1) | instskip(SKIP_2) | instid1(VALU_DEP_1)
	s_or_b32 exec_lo, exec_lo, s0
	v_mul_lo_u32 v2, s8, v2
	v_and_b32_e64 v6, 0xff, s1
	v_cmp_gt_i16_e32 vcc_lo, 11, v6
	s_delay_alu instid0(VALU_DEP_3) | instskip(SKIP_1) | instid1(VALU_DEP_1)
	v_ashrrev_i32_e32 v1, 31, v2
	v_add_co_u32 v0, s0, s4, v2
	v_add_co_ci_u32_e64 v1, s0, s5, v1, s0
	s_cbranch_vccnz .LBB536_1718
; %bb.1596:
	v_cmp_lt_i16_e32 vcc_lo, 25, v6
	s_mov_b32 s3, -1
	s_mov_b32 s1, 0
	s_mov_b32 s2, 0
	;; [unrolled: 1-line block ×3, first 2 shown]
	s_cbranch_vccz .LBB536_1629
; %bb.1597:
	v_cmp_lt_i16_e32 vcc_lo, 28, v6
	s_cbranch_vccz .LBB536_1612
; %bb.1598:
	v_cmp_lt_i16_e32 vcc_lo, 43, v6
	;; [unrolled: 3-line block ×3, first 2 shown]
	s_cbranch_vccz .LBB536_1602
; %bb.1600:
	v_cmp_eq_u16_e32 vcc_lo, 46, v6
	s_mov_b32 s0, -1
	s_mov_b32 s3, 0
	s_cbranch_vccz .LBB536_1602
; %bb.1601:
	v_and_b32_e32 v8, 0xffff, v3
	s_mov_b32 s0, 0
	s_mov_b32 s2, -1
	global_store_b32 v[0:1], v8, off
.LBB536_1602:
	s_and_b32 vcc_lo, exec_lo, s3
	s_cbranch_vccz .LBB536_1607
; %bb.1603:
	v_cmp_eq_u16_e32 vcc_lo, 44, v6
	s_mov_b32 s0, -1
	s_cbranch_vccz .LBB536_1607
; %bb.1604:
	v_and_b32_e32 v8, 0xffff, v3
	v_mov_b32_e32 v9, 0xff
	s_mov_b32 s2, exec_lo
	s_delay_alu instid0(VALU_DEP_2) | instskip(NEXT) | instid1(VALU_DEP_1)
	v_bfe_u32 v10, v8, 7, 8
	v_cmpx_ne_u32_e32 0xff, v10
; %bb.1605:
	v_lshlrev_b32_e32 v9, 16, v8
	v_and_b32_e32 v11, 64, v8
	v_lshrrev_b32_e32 v8, 7, v8
	s_delay_alu instid0(VALU_DEP_3) | instskip(NEXT) | instid1(VALU_DEP_3)
	v_and_or_b32 v9, 0x3f0000, v9, v10
	v_cmp_ne_u32_e32 vcc_lo, 0, v11
	s_delay_alu instid0(VALU_DEP_2) | instskip(NEXT) | instid1(VALU_DEP_1)
	v_cmp_ne_u32_e64 s0, 0, v9
	s_and_b32 s0, vcc_lo, s0
	s_delay_alu instid0(SALU_CYCLE_1) | instskip(NEXT) | instid1(VALU_DEP_1)
	v_cndmask_b32_e64 v9, 0, 1, s0
	v_add_nc_u32_e32 v9, v8, v9
; %bb.1606:
	s_or_b32 exec_lo, exec_lo, s2
	s_mov_b32 s0, 0
	s_mov_b32 s2, -1
	global_store_b8 v[0:1], v9, off
.LBB536_1607:
	s_mov_b32 s3, 0
.LBB536_1608:
	s_delay_alu instid0(SALU_CYCLE_1)
	s_and_b32 vcc_lo, exec_lo, s3
	s_cbranch_vccz .LBB536_1611
; %bb.1609:
	v_cmp_eq_u16_e32 vcc_lo, 29, v6
	s_mov_b32 s0, -1
	s_cbranch_vccz .LBB536_1611
; %bb.1610:
	v_lshlrev_b32_e32 v8, 16, v3
	s_mov_b32 s0, 0
	s_mov_b32 s2, -1
	s_delay_alu instid0(VALU_DEP_1) | instskip(NEXT) | instid1(VALU_DEP_1)
	v_trunc_f32_e32 v8, v8
	v_mul_f32_e32 v9, 0x2f800000, v8
	s_delay_alu instid0(VALU_DEP_1) | instskip(NEXT) | instid1(VALU_DEP_1)
	v_floor_f32_e32 v9, v9
	v_fmamk_f32 v8, v9, 0xcf800000, v8
	v_cvt_u32_f32_e32 v9, v9
	s_delay_alu instid0(VALU_DEP_2)
	v_cvt_u32_f32_e32 v8, v8
	global_store_b64 v[0:1], v[8:9], off
.LBB536_1611:
	s_mov_b32 s3, 0
.LBB536_1612:
	s_delay_alu instid0(SALU_CYCLE_1)
	s_and_b32 vcc_lo, exec_lo, s3
	s_cbranch_vccz .LBB536_1628
; %bb.1613:
	v_cmp_gt_i16_e32 vcc_lo, 27, v6
	s_mov_b32 s2, -1
	s_cbranch_vccnz .LBB536_1619
; %bb.1614:
	v_cmp_lt_i16_e32 vcc_lo, 27, v6
	s_cbranch_vccz .LBB536_1616
; %bb.1615:
	v_lshlrev_b32_e32 v8, 16, v3
	s_mov_b32 s2, 0
	s_delay_alu instid0(VALU_DEP_1)
	v_cvt_u32_f32_e32 v8, v8
	global_store_b32 v[0:1], v8, off
.LBB536_1616:
	s_and_not1_b32 vcc_lo, exec_lo, s2
	s_cbranch_vccnz .LBB536_1618
; %bb.1617:
	v_lshlrev_b32_e32 v8, 16, v3
	s_delay_alu instid0(VALU_DEP_1)
	v_cvt_u32_f32_e32 v8, v8
	global_store_b16 v[0:1], v8, off
.LBB536_1618:
	s_mov_b32 s2, 0
.LBB536_1619:
	s_delay_alu instid0(SALU_CYCLE_1)
	s_and_not1_b32 vcc_lo, exec_lo, s2
	s_cbranch_vccnz .LBB536_1627
; %bb.1620:
	v_dual_mov_b32 v11, 0x80 :: v_dual_lshlrev_b32 v10, 16, v3
	s_mov_b32 s2, exec_lo
	s_delay_alu instid0(VALU_DEP_1) | instskip(NEXT) | instid1(VALU_DEP_1)
	v_and_b32_e32 v9, 0x7fffffff, v10
	v_cmpx_gt_u32_e32 0x43800000, v9
	s_cbranch_execz .LBB536_1626
; %bb.1621:
	v_and_b32_e32 v8, 0xffff, v3
	v_cmp_lt_u32_e32 vcc_lo, 0x3bffffff, v9
	s_mov_b32 s3, 0
                                        ; implicit-def: $vgpr9
	s_and_saveexec_b32 s6, vcc_lo
	s_delay_alu instid0(SALU_CYCLE_1)
	s_xor_b32 s6, exec_lo, s6
	s_cbranch_execz .LBB536_2077
; %bb.1622:
	v_bfe_u32 v9, v8, 4, 1
	s_mov_b32 s3, exec_lo
	s_delay_alu instid0(VALU_DEP_1) | instskip(NEXT) | instid1(VALU_DEP_1)
	v_add3_u32 v9, v10, v9, 0x487ffff
                                        ; implicit-def: $vgpr10
	v_lshrrev_b32_e32 v9, 20, v9
	s_or_saveexec_b32 s6, s6
                                        ; implicit-def: $sgpr7
	s_delay_alu instid0(SALU_CYCLE_1)
	s_xor_b32 exec_lo, exec_lo, s6
	s_cbranch_execnz .LBB536_2078
.LBB536_1623:
	s_or_b32 exec_lo, exec_lo, s6
	v_mov_b32_e32 v11, s7
	s_and_saveexec_b32 s6, s3
.LBB536_1624:
	v_lshrrev_b32_e32 v8, 8, v8
	s_delay_alu instid0(VALU_DEP_1)
	v_and_or_b32 v11, 0x80, v8, v9
.LBB536_1625:
	s_or_b32 exec_lo, exec_lo, s6
.LBB536_1626:
	s_delay_alu instid0(SALU_CYCLE_1)
	s_or_b32 exec_lo, exec_lo, s2
	global_store_b8 v[0:1], v11, off
.LBB536_1627:
	s_mov_b32 s2, -1
.LBB536_1628:
	s_mov_b32 s3, 0
.LBB536_1629:
	s_delay_alu instid0(SALU_CYCLE_1)
	s_and_b32 vcc_lo, exec_lo, s3
	s_cbranch_vccz .LBB536_1669
; %bb.1630:
	v_cmp_lt_i16_e32 vcc_lo, 22, v6
	s_mov_b32 s1, -1
	s_cbranch_vccz .LBB536_1662
; %bb.1631:
	v_cmp_gt_i16_e32 vcc_lo, 24, v6
	s_cbranch_vccnz .LBB536_1651
; %bb.1632:
	v_cmp_lt_i16_e32 vcc_lo, 24, v6
	s_cbranch_vccz .LBB536_1640
; %bb.1633:
	v_dual_mov_b32 v11, 0x80 :: v_dual_lshlrev_b32 v10, 16, v3
	s_mov_b32 s1, exec_lo
	s_delay_alu instid0(VALU_DEP_1) | instskip(NEXT) | instid1(VALU_DEP_1)
	v_and_b32_e32 v9, 0x7fffffff, v10
	v_cmpx_gt_u32_e32 0x47800000, v9
	s_cbranch_execz .LBB536_1639
; %bb.1634:
	v_and_b32_e32 v8, 0xffff, v3
	v_cmp_lt_u32_e32 vcc_lo, 0x37ffffff, v9
	s_mov_b32 s2, 0
                                        ; implicit-def: $vgpr9
	s_and_saveexec_b32 s3, vcc_lo
	s_delay_alu instid0(SALU_CYCLE_1)
	s_xor_b32 s3, exec_lo, s3
	s_cbranch_execz .LBB536_2083
; %bb.1635:
	v_bfe_u32 v9, v8, 5, 1
	s_mov_b32 s2, exec_lo
	s_delay_alu instid0(VALU_DEP_1) | instskip(NEXT) | instid1(VALU_DEP_1)
	v_add3_u32 v9, v10, v9, 0x88fffff
                                        ; implicit-def: $vgpr10
	v_lshrrev_b32_e32 v9, 21, v9
	s_or_saveexec_b32 s3, s3
                                        ; implicit-def: $sgpr6
	s_delay_alu instid0(SALU_CYCLE_1)
	s_xor_b32 exec_lo, exec_lo, s3
	s_cbranch_execnz .LBB536_2084
.LBB536_1636:
	s_or_b32 exec_lo, exec_lo, s3
	v_mov_b32_e32 v11, s6
	s_and_saveexec_b32 s3, s2
.LBB536_1637:
	v_lshrrev_b32_e32 v8, 8, v8
	s_delay_alu instid0(VALU_DEP_1)
	v_and_or_b32 v11, 0x80, v8, v9
.LBB536_1638:
	s_or_b32 exec_lo, exec_lo, s3
.LBB536_1639:
	s_delay_alu instid0(SALU_CYCLE_1)
	s_or_b32 exec_lo, exec_lo, s1
	s_mov_b32 s1, 0
	global_store_b8 v[0:1], v11, off
.LBB536_1640:
	s_and_b32 vcc_lo, exec_lo, s1
	s_cbranch_vccz .LBB536_1650
; %bb.1641:
	v_lshlrev_b32_e32 v10, 16, v3
	v_and_b32_e32 v8, 0xffff, v3
	s_mov_b32 s1, exec_lo
                                        ; implicit-def: $vgpr9
	s_delay_alu instid0(VALU_DEP_2) | instskip(NEXT) | instid1(VALU_DEP_1)
	v_and_b32_e32 v11, 0x7fffffff, v10
	v_cmpx_gt_u32_e32 0x43f00000, v11
	s_xor_b32 s1, exec_lo, s1
	s_cbranch_execz .LBB536_1647
; %bb.1642:
	s_mov_b32 s2, exec_lo
                                        ; implicit-def: $vgpr9
	v_cmpx_lt_u32_e32 0x3c7fffff, v11
	s_xor_b32 s2, exec_lo, s2
; %bb.1643:
	v_bfe_u32 v9, v8, 4, 1
	s_delay_alu instid0(VALU_DEP_1) | instskip(NEXT) | instid1(VALU_DEP_1)
	v_add3_u32 v9, v10, v9, 0x407ffff
	v_and_b32_e32 v10, 0xff00000, v9
	v_lshrrev_b32_e32 v9, 20, v9
	s_delay_alu instid0(VALU_DEP_2) | instskip(NEXT) | instid1(VALU_DEP_2)
	v_cmp_ne_u32_e32 vcc_lo, 0x7f00000, v10
                                        ; implicit-def: $vgpr10
	v_cndmask_b32_e32 v9, 0x7e, v9, vcc_lo
; %bb.1644:
	s_and_not1_saveexec_b32 s2, s2
; %bb.1645:
	v_add_f32_e64 v9, 0x46800000, |v10|
; %bb.1646:
	s_or_b32 exec_lo, exec_lo, s2
                                        ; implicit-def: $vgpr11
.LBB536_1647:
	s_and_not1_saveexec_b32 s1, s1
; %bb.1648:
	v_mov_b32_e32 v9, 0x7f
	v_cmp_lt_u32_e32 vcc_lo, 0x7f800000, v11
	s_delay_alu instid0(VALU_DEP_2)
	v_cndmask_b32_e32 v9, 0x7e, v9, vcc_lo
; %bb.1649:
	s_or_b32 exec_lo, exec_lo, s1
	v_lshrrev_b32_e32 v8, 8, v8
	s_delay_alu instid0(VALU_DEP_1)
	v_and_or_b32 v8, 0x80, v8, v9
	global_store_b8 v[0:1], v8, off
.LBB536_1650:
	s_mov_b32 s1, 0
.LBB536_1651:
	s_delay_alu instid0(SALU_CYCLE_1)
	s_and_not1_b32 vcc_lo, exec_lo, s1
	s_cbranch_vccnz .LBB536_1661
; %bb.1652:
	v_lshlrev_b32_e32 v10, 16, v3
	v_and_b32_e32 v8, 0xffff, v3
	s_mov_b32 s1, exec_lo
                                        ; implicit-def: $vgpr9
	s_delay_alu instid0(VALU_DEP_2) | instskip(NEXT) | instid1(VALU_DEP_1)
	v_and_b32_e32 v11, 0x7fffffff, v10
	v_cmpx_gt_u32_e32 0x47800000, v11
	s_xor_b32 s1, exec_lo, s1
	s_cbranch_execz .LBB536_1658
; %bb.1653:
	s_mov_b32 s2, exec_lo
                                        ; implicit-def: $vgpr9
	v_cmpx_lt_u32_e32 0x387fffff, v11
	s_xor_b32 s2, exec_lo, s2
; %bb.1654:
	v_bfe_u32 v9, v8, 5, 1
	s_delay_alu instid0(VALU_DEP_1) | instskip(NEXT) | instid1(VALU_DEP_1)
	v_add3_u32 v9, v10, v9, 0x80fffff
                                        ; implicit-def: $vgpr10
	v_lshrrev_b32_e32 v9, 21, v9
; %bb.1655:
	s_and_not1_saveexec_b32 s2, s2
; %bb.1656:
	v_add_f32_e64 v9, 0x43000000, |v10|
; %bb.1657:
	s_or_b32 exec_lo, exec_lo, s2
                                        ; implicit-def: $vgpr11
.LBB536_1658:
	s_and_not1_saveexec_b32 s1, s1
; %bb.1659:
	v_mov_b32_e32 v9, 0x7f
	v_cmp_lt_u32_e32 vcc_lo, 0x7f800000, v11
	s_delay_alu instid0(VALU_DEP_2)
	v_cndmask_b32_e32 v9, 0x7c, v9, vcc_lo
; %bb.1660:
	s_or_b32 exec_lo, exec_lo, s1
	v_lshrrev_b32_e32 v8, 8, v8
	s_delay_alu instid0(VALU_DEP_1)
	v_and_or_b32 v8, 0x80, v8, v9
	global_store_b8 v[0:1], v8, off
.LBB536_1661:
	s_mov_b32 s1, 0
	s_mov_b32 s2, -1
.LBB536_1662:
	s_and_not1_b32 vcc_lo, exec_lo, s1
	s_mov_b32 s1, 0
	s_cbranch_vccnz .LBB536_1669
; %bb.1663:
	v_cmp_lt_i16_e32 vcc_lo, 14, v6
	s_mov_b32 s1, -1
	s_cbranch_vccz .LBB536_1667
; %bb.1664:
	v_cmp_eq_u16_e32 vcc_lo, 15, v6
	s_mov_b32 s0, -1
	s_cbranch_vccz .LBB536_1666
; %bb.1665:
	s_mov_b32 s0, 0
	s_mov_b32 s2, -1
	global_store_b16 v[0:1], v3, off
.LBB536_1666:
	s_mov_b32 s1, 0
.LBB536_1667:
	s_delay_alu instid0(SALU_CYCLE_1)
	s_and_b32 vcc_lo, exec_lo, s1
	s_mov_b32 s1, 0
	s_cbranch_vccz .LBB536_1669
; %bb.1668:
	v_cmp_ne_u16_e64 s0, 11, v6
	s_mov_b32 s1, -1
.LBB536_1669:
	s_delay_alu instid0(VALU_DEP_1)
	s_and_b32 vcc_lo, exec_lo, s0
	s_cbranch_vccnz .LBB536_2081
; %bb.1670:
	s_and_not1_b32 vcc_lo, exec_lo, s1
	s_cbranch_vccnz .LBB536_1672
.LBB536_1671:
	v_and_b32_e32 v8, 0x7fff, v3
	s_mov_b32 s2, -1
	s_delay_alu instid0(VALU_DEP_1)
	v_cmp_ne_u16_e32 vcc_lo, 0, v8
	v_cndmask_b32_e64 v8, 0, 1, vcc_lo
	global_store_b8 v[0:1], v8, off
.LBB536_1672:
	s_mov_b32 s0, 0
	s_branch .LBB536_1719
.LBB536_1673:
	s_mov_b32 s0, 0
	s_mov_b32 s1, 0
                                        ; implicit-def: $vgpr6
                                        ; implicit-def: $vgpr0_vgpr1
                                        ; implicit-def: $vgpr5
.LBB536_1674:
	s_and_not1_b32 s2, s14, exec_lo
	s_and_b32 s3, s12, exec_lo
	s_and_b32 s0, s0, exec_lo
	;; [unrolled: 1-line block ×3, first 2 shown]
	s_or_b32 s14, s2, s3
.LBB536_1675:
	s_or_b32 exec_lo, exec_lo, s13
	s_and_saveexec_b32 s1, s14
	s_cbranch_execz .LBB536_1678
; %bb.1676:
	; divergent unreachable
	s_or_b32 exec_lo, exec_lo, s1
	s_and_saveexec_b32 s1, s12
	s_delay_alu instid0(SALU_CYCLE_1)
	s_xor_b32 s1, exec_lo, s1
	s_cbranch_execnz .LBB536_1679
.LBB536_1677:
	s_or_b32 exec_lo, exec_lo, s1
	s_and_saveexec_b32 s1, s0
	s_cbranch_execnz .LBB536_1680
	s_branch .LBB536_1717
.LBB536_1678:
	s_or_b32 exec_lo, exec_lo, s1
	s_and_saveexec_b32 s1, s12
	s_delay_alu instid0(SALU_CYCLE_1)
	s_xor_b32 s1, exec_lo, s1
	s_cbranch_execz .LBB536_1677
.LBB536_1679:
	s_waitcnt vmcnt(0)
	v_and_b32_e32 v2, 0x7fff, v5
	s_delay_alu instid0(VALU_DEP_1)
	v_cmp_ne_u16_e32 vcc_lo, 0, v2
	v_cndmask_b32_e64 v2, 0, 1, vcc_lo
	global_store_b8 v[0:1], v2, off
	s_or_b32 exec_lo, exec_lo, s1
	s_and_saveexec_b32 s1, s0
	s_cbranch_execz .LBB536_1717
.LBB536_1680:
	s_waitcnt vmcnt(0)
	v_cmp_gt_i16_e32 vcc_lo, 5, v6
	s_mov_b32 s0, -1
	s_cbranch_vccnz .LBB536_1701
; %bb.1681:
	v_cmp_gt_i16_e32 vcc_lo, 8, v6
	s_cbranch_vccnz .LBB536_1691
; %bb.1682:
	v_cmp_gt_i16_e32 vcc_lo, 9, v6
	s_cbranch_vccnz .LBB536_1688
; %bb.1683:
	v_cmp_lt_i16_e32 vcc_lo, 9, v6
	s_cbranch_vccz .LBB536_1685
; %bb.1684:
	v_dual_mov_b32 v9, 0 :: v_dual_lshlrev_b32 v2, 16, v5
	s_mov_b32 s0, 0
	s_delay_alu instid0(VALU_DEP_1) | instskip(NEXT) | instid1(VALU_DEP_2)
	v_cvt_f64_f32_e32 v[7:8], v2
	v_mov_b32_e32 v10, v9
	global_store_b128 v[0:1], v[7:10], off
.LBB536_1685:
	s_and_not1_b32 vcc_lo, exec_lo, s0
	s_cbranch_vccnz .LBB536_1687
; %bb.1686:
	v_dual_mov_b32 v3, 0 :: v_dual_lshlrev_b32 v2, 16, v5
	global_store_b64 v[0:1], v[2:3], off
.LBB536_1687:
	s_mov_b32 s0, 0
.LBB536_1688:
	s_delay_alu instid0(SALU_CYCLE_1)
	s_and_not1_b32 vcc_lo, exec_lo, s0
	s_cbranch_vccnz .LBB536_1690
; %bb.1689:
	v_lshlrev_b32_e32 v2, 16, v5
	s_delay_alu instid0(VALU_DEP_1) | instskip(NEXT) | instid1(VALU_DEP_1)
	v_cvt_f16_f32_e32 v2, v2
	v_and_b32_e32 v2, 0xffff, v2
	global_store_b32 v[0:1], v2, off
.LBB536_1690:
	s_mov_b32 s0, 0
.LBB536_1691:
	s_delay_alu instid0(SALU_CYCLE_1)
	s_and_not1_b32 vcc_lo, exec_lo, s0
	s_cbranch_vccnz .LBB536_1700
; %bb.1692:
	v_cmp_gt_i16_e32 vcc_lo, 6, v6
	s_mov_b32 s0, -1
	s_cbranch_vccnz .LBB536_1698
; %bb.1693:
	v_cmp_lt_i16_e32 vcc_lo, 6, v6
	s_cbranch_vccz .LBB536_1695
; %bb.1694:
	v_lshlrev_b32_e32 v2, 16, v5
	s_mov_b32 s0, 0
	s_delay_alu instid0(VALU_DEP_1)
	v_cvt_f64_f32_e32 v[2:3], v2
	global_store_b64 v[0:1], v[2:3], off
.LBB536_1695:
	s_and_not1_b32 vcc_lo, exec_lo, s0
	s_cbranch_vccnz .LBB536_1697
; %bb.1696:
	v_lshlrev_b32_e32 v2, 16, v5
	global_store_b32 v[0:1], v2, off
.LBB536_1697:
	s_mov_b32 s0, 0
.LBB536_1698:
	s_delay_alu instid0(SALU_CYCLE_1)
	s_and_not1_b32 vcc_lo, exec_lo, s0
	s_cbranch_vccnz .LBB536_1700
; %bb.1699:
	v_lshlrev_b32_e32 v2, 16, v5
	s_delay_alu instid0(VALU_DEP_1)
	v_cvt_f16_f32_e32 v2, v2
	global_store_b16 v[0:1], v2, off
.LBB536_1700:
	s_mov_b32 s0, 0
.LBB536_1701:
	s_delay_alu instid0(SALU_CYCLE_1)
	s_and_not1_b32 vcc_lo, exec_lo, s0
	s_cbranch_vccnz .LBB536_1717
; %bb.1702:
	v_cmp_gt_i16_e32 vcc_lo, 2, v6
	s_mov_b32 s0, -1
	s_cbranch_vccnz .LBB536_1712
; %bb.1703:
	v_cmp_gt_i16_e32 vcc_lo, 3, v6
	s_cbranch_vccnz .LBB536_1709
; %bb.1704:
	v_cmp_lt_i16_e32 vcc_lo, 3, v6
	s_cbranch_vccz .LBB536_1706
; %bb.1705:
	v_lshlrev_b32_e32 v2, 16, v5
	s_mov_b32 s0, 0
	s_delay_alu instid0(VALU_DEP_1) | instskip(NEXT) | instid1(VALU_DEP_1)
	v_trunc_f32_e32 v2, v2
	v_mul_f32_e64 v3, 0x2f800000, |v2|
	v_ashrrev_i32_e32 v7, 31, v2
	s_delay_alu instid0(VALU_DEP_2) | instskip(NEXT) | instid1(VALU_DEP_1)
	v_floor_f32_e32 v3, v3
	v_fma_f32 v4, 0xcf800000, v3, |v2|
	v_cvt_u32_f32_e32 v3, v3
	s_delay_alu instid0(VALU_DEP_2) | instskip(NEXT) | instid1(VALU_DEP_2)
	v_cvt_u32_f32_e32 v2, v4
	v_xor_b32_e32 v3, v3, v7
	s_delay_alu instid0(VALU_DEP_2) | instskip(NEXT) | instid1(VALU_DEP_1)
	v_xor_b32_e32 v2, v2, v7
	v_sub_co_u32 v2, vcc_lo, v2, v7
	s_delay_alu instid0(VALU_DEP_3)
	v_sub_co_ci_u32_e32 v3, vcc_lo, v3, v7, vcc_lo
	global_store_b64 v[0:1], v[2:3], off
.LBB536_1706:
	s_and_not1_b32 vcc_lo, exec_lo, s0
	s_cbranch_vccnz .LBB536_1708
; %bb.1707:
	v_lshlrev_b32_e32 v2, 16, v5
	s_delay_alu instid0(VALU_DEP_1)
	v_cvt_i32_f32_e32 v2, v2
	global_store_b32 v[0:1], v2, off
.LBB536_1708:
	s_mov_b32 s0, 0
.LBB536_1709:
	s_delay_alu instid0(SALU_CYCLE_1)
	s_and_not1_b32 vcc_lo, exec_lo, s0
	s_cbranch_vccnz .LBB536_1711
; %bb.1710:
	v_lshlrev_b32_e32 v2, 16, v5
	s_delay_alu instid0(VALU_DEP_1)
	v_cvt_i32_f32_e32 v2, v2
	global_store_b16 v[0:1], v2, off
.LBB536_1711:
	s_mov_b32 s0, 0
.LBB536_1712:
	s_delay_alu instid0(SALU_CYCLE_1)
	s_and_not1_b32 vcc_lo, exec_lo, s0
	s_cbranch_vccnz .LBB536_1717
; %bb.1713:
	v_cmp_lt_i16_e32 vcc_lo, 0, v6
	v_lshlrev_b32_e32 v2, 16, v5
	s_mov_b32 s0, -1
	s_cbranch_vccz .LBB536_1715
; %bb.1714:
	s_delay_alu instid0(VALU_DEP_1)
	v_cvt_i32_f32_e32 v3, v2
	s_mov_b32 s0, 0
	global_store_b8 v[0:1], v3, off
.LBB536_1715:
	s_and_not1_b32 vcc_lo, exec_lo, s0
	s_cbranch_vccnz .LBB536_1717
; %bb.1716:
	v_trunc_f32_e32 v2, v2
	s_delay_alu instid0(VALU_DEP_1) | instskip(NEXT) | instid1(VALU_DEP_1)
	v_mul_f32_e64 v3, 0x2f800000, |v2|
	v_floor_f32_e32 v3, v3
	s_delay_alu instid0(VALU_DEP_1) | instskip(SKIP_1) | instid1(VALU_DEP_2)
	v_fma_f32 v3, 0xcf800000, v3, |v2|
	v_ashrrev_i32_e32 v2, 31, v2
	v_cvt_u32_f32_e32 v3, v3
	s_delay_alu instid0(VALU_DEP_1) | instskip(NEXT) | instid1(VALU_DEP_1)
	v_xor_b32_e32 v3, v3, v2
	v_sub_nc_u32_e32 v2, v3, v2
	global_store_b8 v[0:1], v2, off
	s_nop 0
	s_sendmsg sendmsg(MSG_DEALLOC_VGPRS)
	s_endpgm
.LBB536_1717:
	s_nop 0
	s_sendmsg sendmsg(MSG_DEALLOC_VGPRS)
	s_endpgm
.LBB536_1718:
	s_mov_b32 s0, -1
	s_mov_b32 s2, 0
.LBB536_1719:
	s_and_b32 vcc_lo, exec_lo, s0
	s_cbranch_vccz .LBB536_1758
; %bb.1720:
	v_cmp_gt_i16_e32 vcc_lo, 5, v6
	s_mov_b32 s0, -1
	s_cbranch_vccnz .LBB536_1741
; %bb.1721:
	v_cmp_gt_i16_e32 vcc_lo, 8, v6
	s_cbranch_vccnz .LBB536_1731
; %bb.1722:
	v_cmp_gt_i16_e32 vcc_lo, 9, v6
	s_cbranch_vccnz .LBB536_1728
; %bb.1723:
	v_cmp_lt_i16_e32 vcc_lo, 9, v6
	s_cbranch_vccz .LBB536_1725
; %bb.1724:
	v_mov_b32_e32 v10, 0
	v_lshlrev_b32_e32 v8, 16, v3
	s_mov_b32 s0, 0
	s_delay_alu instid0(VALU_DEP_2) | instskip(NEXT) | instid1(VALU_DEP_2)
	v_mov_b32_e32 v11, v10
	v_cvt_f64_f32_e32 v[8:9], v8
	global_store_b128 v[0:1], v[8:11], off
.LBB536_1725:
	s_and_not1_b32 vcc_lo, exec_lo, s0
	s_cbranch_vccnz .LBB536_1727
; %bb.1726:
	v_dual_mov_b32 v9, 0 :: v_dual_lshlrev_b32 v8, 16, v3
	global_store_b64 v[0:1], v[8:9], off
.LBB536_1727:
	s_mov_b32 s0, 0
.LBB536_1728:
	s_delay_alu instid0(SALU_CYCLE_1)
	s_and_not1_b32 vcc_lo, exec_lo, s0
	s_cbranch_vccnz .LBB536_1730
; %bb.1729:
	v_lshlrev_b32_e32 v8, 16, v3
	s_delay_alu instid0(VALU_DEP_1) | instskip(NEXT) | instid1(VALU_DEP_1)
	v_cvt_f16_f32_e32 v8, v8
	v_and_b32_e32 v8, 0xffff, v8
	global_store_b32 v[0:1], v8, off
.LBB536_1730:
	s_mov_b32 s0, 0
.LBB536_1731:
	s_delay_alu instid0(SALU_CYCLE_1)
	s_and_not1_b32 vcc_lo, exec_lo, s0
	s_cbranch_vccnz .LBB536_1740
; %bb.1732:
	v_cmp_gt_i16_e32 vcc_lo, 6, v6
	s_mov_b32 s0, -1
	s_cbranch_vccnz .LBB536_1738
; %bb.1733:
	v_cmp_lt_i16_e32 vcc_lo, 6, v6
	s_cbranch_vccz .LBB536_1735
; %bb.1734:
	v_lshlrev_b32_e32 v8, 16, v3
	s_mov_b32 s0, 0
	s_delay_alu instid0(VALU_DEP_1)
	v_cvt_f64_f32_e32 v[8:9], v8
	global_store_b64 v[0:1], v[8:9], off
.LBB536_1735:
	s_and_not1_b32 vcc_lo, exec_lo, s0
	s_cbranch_vccnz .LBB536_1737
; %bb.1736:
	v_lshlrev_b32_e32 v8, 16, v3
	global_store_b32 v[0:1], v8, off
.LBB536_1737:
	s_mov_b32 s0, 0
.LBB536_1738:
	s_delay_alu instid0(SALU_CYCLE_1)
	s_and_not1_b32 vcc_lo, exec_lo, s0
	s_cbranch_vccnz .LBB536_1740
; %bb.1739:
	v_lshlrev_b32_e32 v8, 16, v3
	s_delay_alu instid0(VALU_DEP_1)
	v_cvt_f16_f32_e32 v8, v8
	global_store_b16 v[0:1], v8, off
.LBB536_1740:
	s_mov_b32 s0, 0
.LBB536_1741:
	s_delay_alu instid0(SALU_CYCLE_1)
	s_and_not1_b32 vcc_lo, exec_lo, s0
	s_cbranch_vccnz .LBB536_1757
; %bb.1742:
	v_cmp_gt_i16_e32 vcc_lo, 2, v6
	s_mov_b32 s0, -1
	s_cbranch_vccnz .LBB536_1752
; %bb.1743:
	v_cmp_gt_i16_e32 vcc_lo, 3, v6
	s_cbranch_vccnz .LBB536_1749
; %bb.1744:
	v_cmp_lt_i16_e32 vcc_lo, 3, v6
	s_cbranch_vccz .LBB536_1746
; %bb.1745:
	v_lshlrev_b32_e32 v8, 16, v3
	s_mov_b32 s0, 0
	s_delay_alu instid0(VALU_DEP_1) | instskip(NEXT) | instid1(VALU_DEP_1)
	v_trunc_f32_e32 v8, v8
	v_mul_f32_e64 v9, 0x2f800000, |v8|
	v_ashrrev_i32_e32 v11, 31, v8
	s_delay_alu instid0(VALU_DEP_2) | instskip(NEXT) | instid1(VALU_DEP_1)
	v_floor_f32_e32 v9, v9
	v_fma_f32 v10, 0xcf800000, v9, |v8|
	v_cvt_u32_f32_e32 v9, v9
	s_delay_alu instid0(VALU_DEP_2) | instskip(NEXT) | instid1(VALU_DEP_2)
	v_cvt_u32_f32_e32 v8, v10
	v_xor_b32_e32 v9, v9, v11
	s_delay_alu instid0(VALU_DEP_2) | instskip(NEXT) | instid1(VALU_DEP_1)
	v_xor_b32_e32 v8, v8, v11
	v_sub_co_u32 v8, vcc_lo, v8, v11
	s_delay_alu instid0(VALU_DEP_3)
	v_sub_co_ci_u32_e32 v9, vcc_lo, v9, v11, vcc_lo
	global_store_b64 v[0:1], v[8:9], off
.LBB536_1746:
	s_and_not1_b32 vcc_lo, exec_lo, s0
	s_cbranch_vccnz .LBB536_1748
; %bb.1747:
	v_lshlrev_b32_e32 v8, 16, v3
	s_delay_alu instid0(VALU_DEP_1)
	v_cvt_i32_f32_e32 v8, v8
	global_store_b32 v[0:1], v8, off
.LBB536_1748:
	s_mov_b32 s0, 0
.LBB536_1749:
	s_delay_alu instid0(SALU_CYCLE_1)
	s_and_not1_b32 vcc_lo, exec_lo, s0
	s_cbranch_vccnz .LBB536_1751
; %bb.1750:
	v_lshlrev_b32_e32 v8, 16, v3
	s_delay_alu instid0(VALU_DEP_1)
	v_cvt_i32_f32_e32 v8, v8
	global_store_b16 v[0:1], v8, off
.LBB536_1751:
	s_mov_b32 s0, 0
.LBB536_1752:
	s_delay_alu instid0(SALU_CYCLE_1)
	s_and_not1_b32 vcc_lo, exec_lo, s0
	s_cbranch_vccnz .LBB536_1757
; %bb.1753:
	v_cmp_lt_i16_e32 vcc_lo, 0, v6
	s_mov_b32 s0, -1
	s_cbranch_vccz .LBB536_1755
; %bb.1754:
	v_lshlrev_b32_e32 v8, 16, v3
	s_mov_b32 s0, 0
	s_delay_alu instid0(VALU_DEP_1)
	v_cvt_i32_f32_e32 v8, v8
	global_store_b8 v[0:1], v8, off
.LBB536_1755:
	s_and_not1_b32 vcc_lo, exec_lo, s0
	s_cbranch_vccnz .LBB536_1757
; %bb.1756:
	v_lshlrev_b32_e32 v3, 16, v3
	s_delay_alu instid0(VALU_DEP_1) | instskip(NEXT) | instid1(VALU_DEP_1)
	v_trunc_f32_e32 v3, v3
	v_mul_f32_e64 v8, 0x2f800000, |v3|
	s_delay_alu instid0(VALU_DEP_1) | instskip(NEXT) | instid1(VALU_DEP_1)
	v_floor_f32_e32 v8, v8
	v_fma_f32 v8, 0xcf800000, v8, |v3|
	v_ashrrev_i32_e32 v3, 31, v3
	s_delay_alu instid0(VALU_DEP_2) | instskip(NEXT) | instid1(VALU_DEP_1)
	v_cvt_u32_f32_e32 v8, v8
	v_xor_b32_e32 v8, v8, v3
	s_delay_alu instid0(VALU_DEP_1)
	v_sub_nc_u32_e32 v3, v8, v3
	global_store_b8 v[0:1], v3, off
.LBB536_1757:
	s_mov_b32 s2, -1
.LBB536_1758:
	s_delay_alu instid0(SALU_CYCLE_1)
	s_and_not1_b32 vcc_lo, exec_lo, s2
	s_cbranch_vccnz .LBB536_2073
; %bb.1759:
	s_lshl_b32 s1, s8, 7
	v_cmp_gt_i16_e32 vcc_lo, 11, v6
	v_add_nc_u32_e32 v2, s1, v2
	s_delay_alu instid0(VALU_DEP_1) | instskip(SKIP_1) | instid1(VALU_DEP_1)
	v_ashrrev_i32_e32 v1, 31, v2
	v_add_co_u32 v0, s0, s4, v2
	v_add_co_ci_u32_e64 v1, s0, s5, v1, s0
	s_cbranch_vccnz .LBB536_1837
; %bb.1760:
	v_cmp_lt_i16_e32 vcc_lo, 25, v6
	s_mov_b32 s6, -1
	s_mov_b32 s2, 0
	s_mov_b32 s3, 0
	;; [unrolled: 1-line block ×3, first 2 shown]
	s_cbranch_vccz .LBB536_1793
; %bb.1761:
	v_cmp_lt_i16_e32 vcc_lo, 28, v6
	s_cbranch_vccz .LBB536_1776
; %bb.1762:
	v_cmp_lt_i16_e32 vcc_lo, 43, v6
	;; [unrolled: 3-line block ×3, first 2 shown]
	s_cbranch_vccz .LBB536_1766
; %bb.1764:
	v_cmp_eq_u16_e32 vcc_lo, 46, v6
	s_mov_b32 s0, -1
	s_mov_b32 s6, 0
	s_cbranch_vccz .LBB536_1766
; %bb.1765:
	v_and_b32_e32 v3, 0xffff, v4
	s_mov_b32 s0, 0
	s_mov_b32 s3, -1
	global_store_b32 v[0:1], v3, off
.LBB536_1766:
	s_and_b32 vcc_lo, exec_lo, s6
	s_cbranch_vccz .LBB536_1771
; %bb.1767:
	v_cmp_eq_u16_e32 vcc_lo, 44, v6
	s_mov_b32 s0, -1
	s_cbranch_vccz .LBB536_1771
; %bb.1768:
	v_and_b32_e32 v3, 0xffff, v4
	v_mov_b32_e32 v8, 0xff
	s_mov_b32 s3, exec_lo
	s_delay_alu instid0(VALU_DEP_2) | instskip(NEXT) | instid1(VALU_DEP_1)
	v_bfe_u32 v9, v3, 7, 8
	v_cmpx_ne_u32_e32 0xff, v9
; %bb.1769:
	v_lshlrev_b32_e32 v8, 16, v3
	v_and_b32_e32 v10, 64, v3
	v_lshrrev_b32_e32 v3, 7, v3
	s_delay_alu instid0(VALU_DEP_3) | instskip(NEXT) | instid1(VALU_DEP_3)
	v_and_or_b32 v8, 0x3f0000, v8, v9
	v_cmp_ne_u32_e32 vcc_lo, 0, v10
	s_delay_alu instid0(VALU_DEP_2) | instskip(NEXT) | instid1(VALU_DEP_1)
	v_cmp_ne_u32_e64 s0, 0, v8
	s_and_b32 s0, vcc_lo, s0
	s_delay_alu instid0(SALU_CYCLE_1) | instskip(NEXT) | instid1(VALU_DEP_1)
	v_cndmask_b32_e64 v8, 0, 1, s0
	v_add_nc_u32_e32 v8, v3, v8
; %bb.1770:
	s_or_b32 exec_lo, exec_lo, s3
	s_mov_b32 s0, 0
	s_mov_b32 s3, -1
	global_store_b8 v[0:1], v8, off
.LBB536_1771:
	s_mov_b32 s6, 0
.LBB536_1772:
	s_delay_alu instid0(SALU_CYCLE_1)
	s_and_b32 vcc_lo, exec_lo, s6
	s_cbranch_vccz .LBB536_1775
; %bb.1773:
	v_cmp_eq_u16_e32 vcc_lo, 29, v6
	s_mov_b32 s0, -1
	s_cbranch_vccz .LBB536_1775
; %bb.1774:
	v_lshlrev_b32_e32 v3, 16, v4
	s_mov_b32 s0, 0
	s_mov_b32 s3, -1
	s_delay_alu instid0(VALU_DEP_1) | instskip(NEXT) | instid1(VALU_DEP_1)
	v_trunc_f32_e32 v3, v3
	v_mul_f32_e32 v8, 0x2f800000, v3
	s_delay_alu instid0(VALU_DEP_1) | instskip(NEXT) | instid1(VALU_DEP_1)
	v_floor_f32_e32 v8, v8
	v_fmamk_f32 v3, v8, 0xcf800000, v3
	v_cvt_u32_f32_e32 v9, v8
	s_delay_alu instid0(VALU_DEP_2)
	v_cvt_u32_f32_e32 v8, v3
	global_store_b64 v[0:1], v[8:9], off
.LBB536_1775:
	s_mov_b32 s6, 0
.LBB536_1776:
	s_delay_alu instid0(SALU_CYCLE_1)
	s_and_b32 vcc_lo, exec_lo, s6
	s_cbranch_vccz .LBB536_1792
; %bb.1777:
	v_cmp_gt_i16_e32 vcc_lo, 27, v6
	s_mov_b32 s3, -1
	s_cbranch_vccnz .LBB536_1783
; %bb.1778:
	v_cmp_lt_i16_e32 vcc_lo, 27, v6
	s_cbranch_vccz .LBB536_1780
; %bb.1779:
	v_lshlrev_b32_e32 v3, 16, v4
	s_mov_b32 s3, 0
	s_delay_alu instid0(VALU_DEP_1)
	v_cvt_u32_f32_e32 v3, v3
	global_store_b32 v[0:1], v3, off
.LBB536_1780:
	s_and_not1_b32 vcc_lo, exec_lo, s3
	s_cbranch_vccnz .LBB536_1782
; %bb.1781:
	v_lshlrev_b32_e32 v3, 16, v4
	s_delay_alu instid0(VALU_DEP_1)
	v_cvt_u32_f32_e32 v3, v3
	global_store_b16 v[0:1], v3, off
.LBB536_1782:
	s_mov_b32 s3, 0
.LBB536_1783:
	s_delay_alu instid0(SALU_CYCLE_1)
	s_and_not1_b32 vcc_lo, exec_lo, s3
	s_cbranch_vccnz .LBB536_1791
; %bb.1784:
	v_dual_mov_b32 v10, 0x80 :: v_dual_lshlrev_b32 v9, 16, v4
	s_mov_b32 s3, exec_lo
	s_delay_alu instid0(VALU_DEP_1) | instskip(NEXT) | instid1(VALU_DEP_1)
	v_and_b32_e32 v8, 0x7fffffff, v9
	v_cmpx_gt_u32_e32 0x43800000, v8
	s_cbranch_execz .LBB536_1790
; %bb.1785:
	v_and_b32_e32 v3, 0xffff, v4
	v_cmp_lt_u32_e32 vcc_lo, 0x3bffffff, v8
	s_mov_b32 s6, 0
                                        ; implicit-def: $vgpr8
	s_and_saveexec_b32 s7, vcc_lo
	s_delay_alu instid0(SALU_CYCLE_1)
	s_xor_b32 s7, exec_lo, s7
	s_cbranch_execz .LBB536_2085
; %bb.1786:
	v_bfe_u32 v8, v3, 4, 1
	s_mov_b32 s6, exec_lo
	s_delay_alu instid0(VALU_DEP_1) | instskip(NEXT) | instid1(VALU_DEP_1)
	v_add3_u32 v8, v9, v8, 0x487ffff
                                        ; implicit-def: $vgpr9
	v_lshrrev_b32_e32 v8, 20, v8
	s_or_saveexec_b32 s7, s7
                                        ; implicit-def: $sgpr8
	s_delay_alu instid0(SALU_CYCLE_1)
	s_xor_b32 exec_lo, exec_lo, s7
	s_cbranch_execnz .LBB536_2086
.LBB536_1787:
	s_or_b32 exec_lo, exec_lo, s7
	v_mov_b32_e32 v10, s8
	s_and_saveexec_b32 s7, s6
.LBB536_1788:
	v_lshrrev_b32_e32 v3, 8, v3
	s_delay_alu instid0(VALU_DEP_1)
	v_and_or_b32 v10, 0x80, v3, v8
.LBB536_1789:
	s_or_b32 exec_lo, exec_lo, s7
.LBB536_1790:
	s_delay_alu instid0(SALU_CYCLE_1)
	s_or_b32 exec_lo, exec_lo, s3
	global_store_b8 v[0:1], v10, off
.LBB536_1791:
	s_mov_b32 s3, -1
.LBB536_1792:
	s_mov_b32 s6, 0
.LBB536_1793:
	s_delay_alu instid0(SALU_CYCLE_1)
	s_and_b32 vcc_lo, exec_lo, s6
	s_cbranch_vccz .LBB536_1833
; %bb.1794:
	v_cmp_lt_i16_e32 vcc_lo, 22, v6
	s_mov_b32 s2, -1
	s_cbranch_vccz .LBB536_1826
; %bb.1795:
	v_cmp_gt_i16_e32 vcc_lo, 24, v6
	s_cbranch_vccnz .LBB536_1815
; %bb.1796:
	v_cmp_lt_i16_e32 vcc_lo, 24, v6
	s_cbranch_vccz .LBB536_1804
; %bb.1797:
	v_dual_mov_b32 v10, 0x80 :: v_dual_lshlrev_b32 v9, 16, v4
	s_mov_b32 s2, exec_lo
	s_delay_alu instid0(VALU_DEP_1) | instskip(NEXT) | instid1(VALU_DEP_1)
	v_and_b32_e32 v8, 0x7fffffff, v9
	v_cmpx_gt_u32_e32 0x47800000, v8
	s_cbranch_execz .LBB536_1803
; %bb.1798:
	v_and_b32_e32 v3, 0xffff, v4
	v_cmp_lt_u32_e32 vcc_lo, 0x37ffffff, v8
	s_mov_b32 s3, 0
                                        ; implicit-def: $vgpr8
	s_and_saveexec_b32 s6, vcc_lo
	s_delay_alu instid0(SALU_CYCLE_1)
	s_xor_b32 s6, exec_lo, s6
	s_cbranch_execz .LBB536_2091
; %bb.1799:
	v_bfe_u32 v8, v3, 5, 1
	s_mov_b32 s3, exec_lo
	s_delay_alu instid0(VALU_DEP_1) | instskip(NEXT) | instid1(VALU_DEP_1)
	v_add3_u32 v8, v9, v8, 0x88fffff
                                        ; implicit-def: $vgpr9
	v_lshrrev_b32_e32 v8, 21, v8
	s_or_saveexec_b32 s6, s6
                                        ; implicit-def: $sgpr7
	s_delay_alu instid0(SALU_CYCLE_1)
	s_xor_b32 exec_lo, exec_lo, s6
	s_cbranch_execnz .LBB536_2092
.LBB536_1800:
	s_or_b32 exec_lo, exec_lo, s6
	v_mov_b32_e32 v10, s7
	s_and_saveexec_b32 s6, s3
.LBB536_1801:
	v_lshrrev_b32_e32 v3, 8, v3
	s_delay_alu instid0(VALU_DEP_1)
	v_and_or_b32 v10, 0x80, v3, v8
.LBB536_1802:
	s_or_b32 exec_lo, exec_lo, s6
.LBB536_1803:
	s_delay_alu instid0(SALU_CYCLE_1)
	s_or_b32 exec_lo, exec_lo, s2
	s_mov_b32 s2, 0
	global_store_b8 v[0:1], v10, off
.LBB536_1804:
	s_and_b32 vcc_lo, exec_lo, s2
	s_cbranch_vccz .LBB536_1814
; %bb.1805:
	v_lshlrev_b32_e32 v9, 16, v4
	v_and_b32_e32 v3, 0xffff, v4
	s_mov_b32 s2, exec_lo
                                        ; implicit-def: $vgpr8
	s_delay_alu instid0(VALU_DEP_2) | instskip(NEXT) | instid1(VALU_DEP_1)
	v_and_b32_e32 v10, 0x7fffffff, v9
	v_cmpx_gt_u32_e32 0x43f00000, v10
	s_xor_b32 s2, exec_lo, s2
	s_cbranch_execz .LBB536_1811
; %bb.1806:
	s_mov_b32 s3, exec_lo
                                        ; implicit-def: $vgpr8
	v_cmpx_lt_u32_e32 0x3c7fffff, v10
	s_xor_b32 s3, exec_lo, s3
; %bb.1807:
	v_bfe_u32 v8, v3, 4, 1
	s_delay_alu instid0(VALU_DEP_1) | instskip(NEXT) | instid1(VALU_DEP_1)
	v_add3_u32 v8, v9, v8, 0x407ffff
	v_and_b32_e32 v9, 0xff00000, v8
	v_lshrrev_b32_e32 v8, 20, v8
	s_delay_alu instid0(VALU_DEP_2) | instskip(NEXT) | instid1(VALU_DEP_2)
	v_cmp_ne_u32_e32 vcc_lo, 0x7f00000, v9
                                        ; implicit-def: $vgpr9
	v_cndmask_b32_e32 v8, 0x7e, v8, vcc_lo
; %bb.1808:
	s_and_not1_saveexec_b32 s3, s3
; %bb.1809:
	v_add_f32_e64 v8, 0x46800000, |v9|
; %bb.1810:
	s_or_b32 exec_lo, exec_lo, s3
                                        ; implicit-def: $vgpr10
.LBB536_1811:
	s_and_not1_saveexec_b32 s2, s2
; %bb.1812:
	v_mov_b32_e32 v8, 0x7f
	v_cmp_lt_u32_e32 vcc_lo, 0x7f800000, v10
	s_delay_alu instid0(VALU_DEP_2)
	v_cndmask_b32_e32 v8, 0x7e, v8, vcc_lo
; %bb.1813:
	s_or_b32 exec_lo, exec_lo, s2
	v_lshrrev_b32_e32 v3, 8, v3
	s_delay_alu instid0(VALU_DEP_1)
	v_and_or_b32 v3, 0x80, v3, v8
	global_store_b8 v[0:1], v3, off
.LBB536_1814:
	s_mov_b32 s2, 0
.LBB536_1815:
	s_delay_alu instid0(SALU_CYCLE_1)
	s_and_not1_b32 vcc_lo, exec_lo, s2
	s_cbranch_vccnz .LBB536_1825
; %bb.1816:
	v_lshlrev_b32_e32 v9, 16, v4
	v_and_b32_e32 v3, 0xffff, v4
	s_mov_b32 s2, exec_lo
                                        ; implicit-def: $vgpr8
	s_delay_alu instid0(VALU_DEP_2) | instskip(NEXT) | instid1(VALU_DEP_1)
	v_and_b32_e32 v10, 0x7fffffff, v9
	v_cmpx_gt_u32_e32 0x47800000, v10
	s_xor_b32 s2, exec_lo, s2
	s_cbranch_execz .LBB536_1822
; %bb.1817:
	s_mov_b32 s3, exec_lo
                                        ; implicit-def: $vgpr8
	v_cmpx_lt_u32_e32 0x387fffff, v10
	s_xor_b32 s3, exec_lo, s3
; %bb.1818:
	v_bfe_u32 v8, v3, 5, 1
	s_delay_alu instid0(VALU_DEP_1) | instskip(NEXT) | instid1(VALU_DEP_1)
	v_add3_u32 v8, v9, v8, 0x80fffff
                                        ; implicit-def: $vgpr9
	v_lshrrev_b32_e32 v8, 21, v8
; %bb.1819:
	s_and_not1_saveexec_b32 s3, s3
; %bb.1820:
	v_add_f32_e64 v8, 0x43000000, |v9|
; %bb.1821:
	s_or_b32 exec_lo, exec_lo, s3
                                        ; implicit-def: $vgpr10
.LBB536_1822:
	s_and_not1_saveexec_b32 s2, s2
; %bb.1823:
	v_mov_b32_e32 v8, 0x7f
	v_cmp_lt_u32_e32 vcc_lo, 0x7f800000, v10
	s_delay_alu instid0(VALU_DEP_2)
	v_cndmask_b32_e32 v8, 0x7c, v8, vcc_lo
; %bb.1824:
	s_or_b32 exec_lo, exec_lo, s2
	v_lshrrev_b32_e32 v3, 8, v3
	s_delay_alu instid0(VALU_DEP_1)
	v_and_or_b32 v3, 0x80, v3, v8
	global_store_b8 v[0:1], v3, off
.LBB536_1825:
	s_mov_b32 s2, 0
	s_mov_b32 s3, -1
.LBB536_1826:
	s_and_not1_b32 vcc_lo, exec_lo, s2
	s_mov_b32 s2, 0
	s_cbranch_vccnz .LBB536_1833
; %bb.1827:
	v_cmp_lt_i16_e32 vcc_lo, 14, v6
	s_mov_b32 s2, -1
	s_cbranch_vccz .LBB536_1831
; %bb.1828:
	v_cmp_eq_u16_e32 vcc_lo, 15, v6
	s_mov_b32 s0, -1
	s_cbranch_vccz .LBB536_1830
; %bb.1829:
	s_mov_b32 s0, 0
	s_mov_b32 s3, -1
	global_store_b16 v[0:1], v4, off
.LBB536_1830:
	s_mov_b32 s2, 0
.LBB536_1831:
	s_delay_alu instid0(SALU_CYCLE_1)
	s_and_b32 vcc_lo, exec_lo, s2
	s_mov_b32 s2, 0
	s_cbranch_vccz .LBB536_1833
; %bb.1832:
	v_cmp_ne_u16_e64 s0, 11, v6
	s_mov_b32 s2, -1
.LBB536_1833:
	s_delay_alu instid0(VALU_DEP_1)
	s_and_b32 vcc_lo, exec_lo, s0
	s_cbranch_vccnz .LBB536_2089
; %bb.1834:
	s_and_not1_b32 vcc_lo, exec_lo, s2
	s_cbranch_vccnz .LBB536_1836
.LBB536_1835:
	v_and_b32_e32 v3, 0x7fff, v4
	s_mov_b32 s3, -1
	s_delay_alu instid0(VALU_DEP_1)
	v_cmp_ne_u16_e32 vcc_lo, 0, v3
	v_cndmask_b32_e64 v3, 0, 1, vcc_lo
	global_store_b8 v[0:1], v3, off
.LBB536_1836:
	s_mov_b32 s0, 0
	s_branch .LBB536_1838
.LBB536_1837:
	s_mov_b32 s0, -1
	s_mov_b32 s3, 0
.LBB536_1838:
	s_and_b32 vcc_lo, exec_lo, s0
	s_cbranch_vccz .LBB536_1877
; %bb.1839:
	v_cmp_gt_i16_e32 vcc_lo, 5, v6
	s_mov_b32 s0, -1
	s_cbranch_vccnz .LBB536_1860
; %bb.1840:
	v_cmp_gt_i16_e32 vcc_lo, 8, v6
	s_cbranch_vccnz .LBB536_1850
; %bb.1841:
	v_cmp_gt_i16_e32 vcc_lo, 9, v6
	s_cbranch_vccnz .LBB536_1847
; %bb.1842:
	v_cmp_lt_i16_e32 vcc_lo, 9, v6
	s_cbranch_vccz .LBB536_1844
; %bb.1843:
	v_dual_mov_b32 v10, 0 :: v_dual_lshlrev_b32 v3, 16, v4
	s_mov_b32 s0, 0
	s_delay_alu instid0(VALU_DEP_1) | instskip(NEXT) | instid1(VALU_DEP_2)
	v_cvt_f64_f32_e32 v[8:9], v3
	v_mov_b32_e32 v11, v10
	global_store_b128 v[0:1], v[8:11], off
.LBB536_1844:
	s_and_not1_b32 vcc_lo, exec_lo, s0
	s_cbranch_vccnz .LBB536_1846
; %bb.1845:
	v_dual_mov_b32 v9, 0 :: v_dual_lshlrev_b32 v8, 16, v4
	global_store_b64 v[0:1], v[8:9], off
.LBB536_1846:
	s_mov_b32 s0, 0
.LBB536_1847:
	s_delay_alu instid0(SALU_CYCLE_1)
	s_and_not1_b32 vcc_lo, exec_lo, s0
	s_cbranch_vccnz .LBB536_1849
; %bb.1848:
	v_lshlrev_b32_e32 v3, 16, v4
	s_delay_alu instid0(VALU_DEP_1) | instskip(NEXT) | instid1(VALU_DEP_1)
	v_cvt_f16_f32_e32 v3, v3
	v_and_b32_e32 v3, 0xffff, v3
	global_store_b32 v[0:1], v3, off
.LBB536_1849:
	s_mov_b32 s0, 0
.LBB536_1850:
	s_delay_alu instid0(SALU_CYCLE_1)
	s_and_not1_b32 vcc_lo, exec_lo, s0
	s_cbranch_vccnz .LBB536_1859
; %bb.1851:
	v_cmp_gt_i16_e32 vcc_lo, 6, v6
	s_mov_b32 s0, -1
	s_cbranch_vccnz .LBB536_1857
; %bb.1852:
	v_cmp_lt_i16_e32 vcc_lo, 6, v6
	s_cbranch_vccz .LBB536_1854
; %bb.1853:
	v_lshlrev_b32_e32 v3, 16, v4
	s_mov_b32 s0, 0
	s_delay_alu instid0(VALU_DEP_1)
	v_cvt_f64_f32_e32 v[8:9], v3
	global_store_b64 v[0:1], v[8:9], off
.LBB536_1854:
	s_and_not1_b32 vcc_lo, exec_lo, s0
	s_cbranch_vccnz .LBB536_1856
; %bb.1855:
	v_lshlrev_b32_e32 v3, 16, v4
	global_store_b32 v[0:1], v3, off
.LBB536_1856:
	s_mov_b32 s0, 0
.LBB536_1857:
	s_delay_alu instid0(SALU_CYCLE_1)
	s_and_not1_b32 vcc_lo, exec_lo, s0
	s_cbranch_vccnz .LBB536_1859
; %bb.1858:
	v_lshlrev_b32_e32 v3, 16, v4
	s_delay_alu instid0(VALU_DEP_1)
	v_cvt_f16_f32_e32 v3, v3
	global_store_b16 v[0:1], v3, off
.LBB536_1859:
	s_mov_b32 s0, 0
.LBB536_1860:
	s_delay_alu instid0(SALU_CYCLE_1)
	s_and_not1_b32 vcc_lo, exec_lo, s0
	s_cbranch_vccnz .LBB536_1876
; %bb.1861:
	v_cmp_gt_i16_e32 vcc_lo, 2, v6
	s_mov_b32 s0, -1
	s_cbranch_vccnz .LBB536_1871
; %bb.1862:
	v_cmp_gt_i16_e32 vcc_lo, 3, v6
	s_cbranch_vccnz .LBB536_1868
; %bb.1863:
	v_cmp_lt_i16_e32 vcc_lo, 3, v6
	s_cbranch_vccz .LBB536_1865
; %bb.1864:
	v_lshlrev_b32_e32 v3, 16, v4
	s_mov_b32 s0, 0
	s_delay_alu instid0(VALU_DEP_1) | instskip(NEXT) | instid1(VALU_DEP_1)
	v_trunc_f32_e32 v3, v3
	v_mul_f32_e64 v8, 0x2f800000, |v3|
	s_delay_alu instid0(VALU_DEP_1) | instskip(NEXT) | instid1(VALU_DEP_1)
	v_floor_f32_e32 v8, v8
	v_fma_f32 v9, 0xcf800000, v8, |v3|
	v_ashrrev_i32_e32 v3, 31, v3
	v_cvt_u32_f32_e32 v8, v8
	s_delay_alu instid0(VALU_DEP_3) | instskip(NEXT) | instid1(VALU_DEP_2)
	v_cvt_u32_f32_e32 v9, v9
	v_xor_b32_e32 v10, v8, v3
	s_delay_alu instid0(VALU_DEP_2) | instskip(NEXT) | instid1(VALU_DEP_1)
	v_xor_b32_e32 v9, v9, v3
	v_sub_co_u32 v8, vcc_lo, v9, v3
	s_delay_alu instid0(VALU_DEP_3)
	v_sub_co_ci_u32_e32 v9, vcc_lo, v10, v3, vcc_lo
	global_store_b64 v[0:1], v[8:9], off
.LBB536_1865:
	s_and_not1_b32 vcc_lo, exec_lo, s0
	s_cbranch_vccnz .LBB536_1867
; %bb.1866:
	v_lshlrev_b32_e32 v3, 16, v4
	s_delay_alu instid0(VALU_DEP_1)
	v_cvt_i32_f32_e32 v3, v3
	global_store_b32 v[0:1], v3, off
.LBB536_1867:
	s_mov_b32 s0, 0
.LBB536_1868:
	s_delay_alu instid0(SALU_CYCLE_1)
	s_and_not1_b32 vcc_lo, exec_lo, s0
	s_cbranch_vccnz .LBB536_1870
; %bb.1869:
	v_lshlrev_b32_e32 v3, 16, v4
	s_delay_alu instid0(VALU_DEP_1)
	v_cvt_i32_f32_e32 v3, v3
	global_store_b16 v[0:1], v3, off
.LBB536_1870:
	s_mov_b32 s0, 0
.LBB536_1871:
	s_delay_alu instid0(SALU_CYCLE_1)
	s_and_not1_b32 vcc_lo, exec_lo, s0
	s_cbranch_vccnz .LBB536_1876
; %bb.1872:
	v_cmp_lt_i16_e32 vcc_lo, 0, v6
	v_lshlrev_b32_e32 v3, 16, v4
	s_mov_b32 s0, -1
	s_cbranch_vccz .LBB536_1874
; %bb.1873:
	s_delay_alu instid0(VALU_DEP_1)
	v_cvt_i32_f32_e32 v4, v3
	s_mov_b32 s0, 0
	global_store_b8 v[0:1], v4, off
.LBB536_1874:
	s_and_not1_b32 vcc_lo, exec_lo, s0
	s_cbranch_vccnz .LBB536_1876
; %bb.1875:
	v_trunc_f32_e32 v3, v3
	s_delay_alu instid0(VALU_DEP_1) | instskip(NEXT) | instid1(VALU_DEP_1)
	v_mul_f32_e64 v4, 0x2f800000, |v3|
	v_floor_f32_e32 v4, v4
	s_delay_alu instid0(VALU_DEP_1) | instskip(SKIP_1) | instid1(VALU_DEP_2)
	v_fma_f32 v4, 0xcf800000, v4, |v3|
	v_ashrrev_i32_e32 v3, 31, v3
	v_cvt_u32_f32_e32 v4, v4
	s_delay_alu instid0(VALU_DEP_1) | instskip(NEXT) | instid1(VALU_DEP_1)
	v_xor_b32_e32 v4, v4, v3
	v_sub_nc_u32_e32 v3, v4, v3
	global_store_b8 v[0:1], v3, off
.LBB536_1876:
	s_mov_b32 s3, -1
.LBB536_1877:
	s_delay_alu instid0(SALU_CYCLE_1)
	s_and_not1_b32 vcc_lo, exec_lo, s3
	s_cbranch_vccnz .LBB536_2073
; %bb.1878:
	v_add_nc_u32_e32 v2, s1, v2
	v_cmp_gt_i16_e32 vcc_lo, 11, v6
	s_delay_alu instid0(VALU_DEP_2) | instskip(SKIP_1) | instid1(VALU_DEP_1)
	v_ashrrev_i32_e32 v1, 31, v2
	v_add_co_u32 v0, s0, s4, v2
	v_add_co_ci_u32_e64 v1, s0, s5, v1, s0
	s_cbranch_vccnz .LBB536_1956
; %bb.1879:
	v_cmp_lt_i16_e32 vcc_lo, 25, v6
	s_mov_b32 s6, -1
	s_mov_b32 s2, 0
	s_mov_b32 s3, 0
	s_mov_b32 s0, 0
	s_cbranch_vccz .LBB536_1912
; %bb.1880:
	v_cmp_lt_i16_e32 vcc_lo, 28, v6
	s_cbranch_vccz .LBB536_1895
; %bb.1881:
	v_cmp_lt_i16_e32 vcc_lo, 43, v6
	;; [unrolled: 3-line block ×3, first 2 shown]
	s_cbranch_vccz .LBB536_1885
; %bb.1883:
	v_cmp_eq_u16_e32 vcc_lo, 46, v6
	s_mov_b32 s0, -1
	s_mov_b32 s6, 0
	s_cbranch_vccz .LBB536_1885
; %bb.1884:
	v_and_b32_e32 v3, 0xffff, v7
	s_mov_b32 s0, 0
	s_mov_b32 s3, -1
	global_store_b32 v[0:1], v3, off
.LBB536_1885:
	s_and_b32 vcc_lo, exec_lo, s6
	s_cbranch_vccz .LBB536_1890
; %bb.1886:
	v_cmp_eq_u16_e32 vcc_lo, 44, v6
	s_mov_b32 s0, -1
	s_cbranch_vccz .LBB536_1890
; %bb.1887:
	v_and_b32_e32 v3, 0xffff, v7
	v_mov_b32_e32 v4, 0xff
	s_mov_b32 s3, exec_lo
	s_delay_alu instid0(VALU_DEP_2) | instskip(NEXT) | instid1(VALU_DEP_1)
	v_bfe_u32 v8, v3, 7, 8
	v_cmpx_ne_u32_e32 0xff, v8
; %bb.1888:
	v_lshlrev_b32_e32 v4, 16, v3
	v_and_b32_e32 v9, 64, v3
	v_lshrrev_b32_e32 v3, 7, v3
	s_delay_alu instid0(VALU_DEP_3) | instskip(NEXT) | instid1(VALU_DEP_3)
	v_and_or_b32 v4, 0x3f0000, v4, v8
	v_cmp_ne_u32_e32 vcc_lo, 0, v9
	s_delay_alu instid0(VALU_DEP_2) | instskip(NEXT) | instid1(VALU_DEP_1)
	v_cmp_ne_u32_e64 s0, 0, v4
	s_and_b32 s0, vcc_lo, s0
	s_delay_alu instid0(SALU_CYCLE_1) | instskip(NEXT) | instid1(VALU_DEP_1)
	v_cndmask_b32_e64 v4, 0, 1, s0
	v_add_nc_u32_e32 v4, v3, v4
; %bb.1889:
	s_or_b32 exec_lo, exec_lo, s3
	s_mov_b32 s0, 0
	s_mov_b32 s3, -1
	global_store_b8 v[0:1], v4, off
.LBB536_1890:
	s_mov_b32 s6, 0
.LBB536_1891:
	s_delay_alu instid0(SALU_CYCLE_1)
	s_and_b32 vcc_lo, exec_lo, s6
	s_cbranch_vccz .LBB536_1894
; %bb.1892:
	v_cmp_eq_u16_e32 vcc_lo, 29, v6
	s_mov_b32 s0, -1
	s_cbranch_vccz .LBB536_1894
; %bb.1893:
	v_lshlrev_b32_e32 v3, 16, v7
	s_mov_b32 s0, 0
	s_mov_b32 s3, -1
	s_delay_alu instid0(VALU_DEP_1) | instskip(NEXT) | instid1(VALU_DEP_1)
	v_trunc_f32_e32 v3, v3
	v_mul_f32_e32 v4, 0x2f800000, v3
	s_delay_alu instid0(VALU_DEP_1) | instskip(NEXT) | instid1(VALU_DEP_1)
	v_floor_f32_e32 v4, v4
	v_fmamk_f32 v3, v4, 0xcf800000, v3
	v_cvt_u32_f32_e32 v4, v4
	s_delay_alu instid0(VALU_DEP_2)
	v_cvt_u32_f32_e32 v3, v3
	global_store_b64 v[0:1], v[3:4], off
.LBB536_1894:
	s_mov_b32 s6, 0
.LBB536_1895:
	s_delay_alu instid0(SALU_CYCLE_1)
	s_and_b32 vcc_lo, exec_lo, s6
	s_cbranch_vccz .LBB536_1911
; %bb.1896:
	v_cmp_gt_i16_e32 vcc_lo, 27, v6
	s_mov_b32 s3, -1
	s_cbranch_vccnz .LBB536_1902
; %bb.1897:
	v_cmp_lt_i16_e32 vcc_lo, 27, v6
	s_cbranch_vccz .LBB536_1899
; %bb.1898:
	v_lshlrev_b32_e32 v3, 16, v7
	s_mov_b32 s3, 0
	s_delay_alu instid0(VALU_DEP_1)
	v_cvt_u32_f32_e32 v3, v3
	global_store_b32 v[0:1], v3, off
.LBB536_1899:
	s_and_not1_b32 vcc_lo, exec_lo, s3
	s_cbranch_vccnz .LBB536_1901
; %bb.1900:
	v_lshlrev_b32_e32 v3, 16, v7
	s_delay_alu instid0(VALU_DEP_1)
	v_cvt_u32_f32_e32 v3, v3
	global_store_b16 v[0:1], v3, off
.LBB536_1901:
	s_mov_b32 s3, 0
.LBB536_1902:
	s_delay_alu instid0(SALU_CYCLE_1)
	s_and_not1_b32 vcc_lo, exec_lo, s3
	s_cbranch_vccnz .LBB536_1910
; %bb.1903:
	v_dual_mov_b32 v9, 0x80 :: v_dual_lshlrev_b32 v8, 16, v7
	s_mov_b32 s3, exec_lo
	s_delay_alu instid0(VALU_DEP_1) | instskip(NEXT) | instid1(VALU_DEP_1)
	v_and_b32_e32 v4, 0x7fffffff, v8
	v_cmpx_gt_u32_e32 0x43800000, v4
	s_cbranch_execz .LBB536_1909
; %bb.1904:
	v_and_b32_e32 v3, 0xffff, v7
	v_cmp_lt_u32_e32 vcc_lo, 0x3bffffff, v4
	s_mov_b32 s6, 0
                                        ; implicit-def: $vgpr4
	s_and_saveexec_b32 s7, vcc_lo
	s_delay_alu instid0(SALU_CYCLE_1)
	s_xor_b32 s7, exec_lo, s7
	s_cbranch_execz .LBB536_2093
; %bb.1905:
	v_bfe_u32 v4, v3, 4, 1
	s_mov_b32 s6, exec_lo
	s_delay_alu instid0(VALU_DEP_1) | instskip(NEXT) | instid1(VALU_DEP_1)
	v_add3_u32 v4, v8, v4, 0x487ffff
                                        ; implicit-def: $vgpr8
	v_lshrrev_b32_e32 v4, 20, v4
	s_or_saveexec_b32 s7, s7
                                        ; implicit-def: $sgpr8
	s_delay_alu instid0(SALU_CYCLE_1)
	s_xor_b32 exec_lo, exec_lo, s7
	s_cbranch_execnz .LBB536_2094
.LBB536_1906:
	s_or_b32 exec_lo, exec_lo, s7
	v_mov_b32_e32 v9, s8
	s_and_saveexec_b32 s7, s6
.LBB536_1907:
	v_lshrrev_b32_e32 v3, 8, v3
	s_delay_alu instid0(VALU_DEP_1)
	v_and_or_b32 v9, 0x80, v3, v4
.LBB536_1908:
	s_or_b32 exec_lo, exec_lo, s7
.LBB536_1909:
	s_delay_alu instid0(SALU_CYCLE_1)
	s_or_b32 exec_lo, exec_lo, s3
	global_store_b8 v[0:1], v9, off
.LBB536_1910:
	s_mov_b32 s3, -1
.LBB536_1911:
	s_mov_b32 s6, 0
.LBB536_1912:
	s_delay_alu instid0(SALU_CYCLE_1)
	s_and_b32 vcc_lo, exec_lo, s6
	s_cbranch_vccz .LBB536_1952
; %bb.1913:
	v_cmp_lt_i16_e32 vcc_lo, 22, v6
	s_mov_b32 s2, -1
	s_cbranch_vccz .LBB536_1945
; %bb.1914:
	v_cmp_gt_i16_e32 vcc_lo, 24, v6
	s_cbranch_vccnz .LBB536_1934
; %bb.1915:
	v_cmp_lt_i16_e32 vcc_lo, 24, v6
	s_cbranch_vccz .LBB536_1923
; %bb.1916:
	v_dual_mov_b32 v9, 0x80 :: v_dual_lshlrev_b32 v8, 16, v7
	s_mov_b32 s2, exec_lo
	s_delay_alu instid0(VALU_DEP_1) | instskip(NEXT) | instid1(VALU_DEP_1)
	v_and_b32_e32 v4, 0x7fffffff, v8
	v_cmpx_gt_u32_e32 0x47800000, v4
	s_cbranch_execz .LBB536_1922
; %bb.1917:
	v_and_b32_e32 v3, 0xffff, v7
	v_cmp_lt_u32_e32 vcc_lo, 0x37ffffff, v4
	s_mov_b32 s3, 0
                                        ; implicit-def: $vgpr4
	s_and_saveexec_b32 s6, vcc_lo
	s_delay_alu instid0(SALU_CYCLE_1)
	s_xor_b32 s6, exec_lo, s6
	s_cbranch_execz .LBB536_2099
; %bb.1918:
	v_bfe_u32 v4, v3, 5, 1
	s_mov_b32 s3, exec_lo
	s_delay_alu instid0(VALU_DEP_1) | instskip(NEXT) | instid1(VALU_DEP_1)
	v_add3_u32 v4, v8, v4, 0x88fffff
                                        ; implicit-def: $vgpr8
	v_lshrrev_b32_e32 v4, 21, v4
	s_or_saveexec_b32 s6, s6
                                        ; implicit-def: $sgpr7
	s_delay_alu instid0(SALU_CYCLE_1)
	s_xor_b32 exec_lo, exec_lo, s6
	s_cbranch_execnz .LBB536_2100
.LBB536_1919:
	s_or_b32 exec_lo, exec_lo, s6
	v_mov_b32_e32 v9, s7
	s_and_saveexec_b32 s6, s3
.LBB536_1920:
	v_lshrrev_b32_e32 v3, 8, v3
	s_delay_alu instid0(VALU_DEP_1)
	v_and_or_b32 v9, 0x80, v3, v4
.LBB536_1921:
	s_or_b32 exec_lo, exec_lo, s6
.LBB536_1922:
	s_delay_alu instid0(SALU_CYCLE_1)
	s_or_b32 exec_lo, exec_lo, s2
	s_mov_b32 s2, 0
	global_store_b8 v[0:1], v9, off
.LBB536_1923:
	s_and_b32 vcc_lo, exec_lo, s2
	s_cbranch_vccz .LBB536_1933
; %bb.1924:
	v_lshlrev_b32_e32 v8, 16, v7
	v_and_b32_e32 v3, 0xffff, v7
	s_mov_b32 s2, exec_lo
                                        ; implicit-def: $vgpr4
	s_delay_alu instid0(VALU_DEP_2) | instskip(NEXT) | instid1(VALU_DEP_1)
	v_and_b32_e32 v9, 0x7fffffff, v8
	v_cmpx_gt_u32_e32 0x43f00000, v9
	s_xor_b32 s2, exec_lo, s2
	s_cbranch_execz .LBB536_1930
; %bb.1925:
	s_mov_b32 s3, exec_lo
                                        ; implicit-def: $vgpr4
	v_cmpx_lt_u32_e32 0x3c7fffff, v9
	s_xor_b32 s3, exec_lo, s3
; %bb.1926:
	v_bfe_u32 v4, v3, 4, 1
	s_delay_alu instid0(VALU_DEP_1) | instskip(NEXT) | instid1(VALU_DEP_1)
	v_add3_u32 v4, v8, v4, 0x407ffff
	v_and_b32_e32 v8, 0xff00000, v4
	v_lshrrev_b32_e32 v4, 20, v4
	s_delay_alu instid0(VALU_DEP_2) | instskip(NEXT) | instid1(VALU_DEP_2)
	v_cmp_ne_u32_e32 vcc_lo, 0x7f00000, v8
                                        ; implicit-def: $vgpr8
	v_cndmask_b32_e32 v4, 0x7e, v4, vcc_lo
; %bb.1927:
	s_and_not1_saveexec_b32 s3, s3
; %bb.1928:
	v_add_f32_e64 v4, 0x46800000, |v8|
; %bb.1929:
	s_or_b32 exec_lo, exec_lo, s3
                                        ; implicit-def: $vgpr9
.LBB536_1930:
	s_and_not1_saveexec_b32 s2, s2
; %bb.1931:
	v_mov_b32_e32 v4, 0x7f
	v_cmp_lt_u32_e32 vcc_lo, 0x7f800000, v9
	s_delay_alu instid0(VALU_DEP_2)
	v_cndmask_b32_e32 v4, 0x7e, v4, vcc_lo
; %bb.1932:
	s_or_b32 exec_lo, exec_lo, s2
	v_lshrrev_b32_e32 v3, 8, v3
	s_delay_alu instid0(VALU_DEP_1)
	v_and_or_b32 v3, 0x80, v3, v4
	global_store_b8 v[0:1], v3, off
.LBB536_1933:
	s_mov_b32 s2, 0
.LBB536_1934:
	s_delay_alu instid0(SALU_CYCLE_1)
	s_and_not1_b32 vcc_lo, exec_lo, s2
	s_cbranch_vccnz .LBB536_1944
; %bb.1935:
	v_lshlrev_b32_e32 v8, 16, v7
	v_and_b32_e32 v3, 0xffff, v7
	s_mov_b32 s2, exec_lo
                                        ; implicit-def: $vgpr4
	s_delay_alu instid0(VALU_DEP_2) | instskip(NEXT) | instid1(VALU_DEP_1)
	v_and_b32_e32 v9, 0x7fffffff, v8
	v_cmpx_gt_u32_e32 0x47800000, v9
	s_xor_b32 s2, exec_lo, s2
	s_cbranch_execz .LBB536_1941
; %bb.1936:
	s_mov_b32 s3, exec_lo
                                        ; implicit-def: $vgpr4
	v_cmpx_lt_u32_e32 0x387fffff, v9
	s_xor_b32 s3, exec_lo, s3
; %bb.1937:
	v_bfe_u32 v4, v3, 5, 1
	s_delay_alu instid0(VALU_DEP_1) | instskip(NEXT) | instid1(VALU_DEP_1)
	v_add3_u32 v4, v8, v4, 0x80fffff
                                        ; implicit-def: $vgpr8
	v_lshrrev_b32_e32 v4, 21, v4
; %bb.1938:
	s_and_not1_saveexec_b32 s3, s3
; %bb.1939:
	v_add_f32_e64 v4, 0x43000000, |v8|
; %bb.1940:
	s_or_b32 exec_lo, exec_lo, s3
                                        ; implicit-def: $vgpr9
.LBB536_1941:
	s_and_not1_saveexec_b32 s2, s2
; %bb.1942:
	v_mov_b32_e32 v4, 0x7f
	v_cmp_lt_u32_e32 vcc_lo, 0x7f800000, v9
	s_delay_alu instid0(VALU_DEP_2)
	v_cndmask_b32_e32 v4, 0x7c, v4, vcc_lo
; %bb.1943:
	s_or_b32 exec_lo, exec_lo, s2
	v_lshrrev_b32_e32 v3, 8, v3
	s_delay_alu instid0(VALU_DEP_1)
	v_and_or_b32 v3, 0x80, v3, v4
	global_store_b8 v[0:1], v3, off
.LBB536_1944:
	s_mov_b32 s2, 0
	s_mov_b32 s3, -1
.LBB536_1945:
	s_and_not1_b32 vcc_lo, exec_lo, s2
	s_mov_b32 s2, 0
	s_cbranch_vccnz .LBB536_1952
; %bb.1946:
	v_cmp_lt_i16_e32 vcc_lo, 14, v6
	s_mov_b32 s2, -1
	s_cbranch_vccz .LBB536_1950
; %bb.1947:
	v_cmp_eq_u16_e32 vcc_lo, 15, v6
	s_mov_b32 s0, -1
	s_cbranch_vccz .LBB536_1949
; %bb.1948:
	s_mov_b32 s0, 0
	s_mov_b32 s3, -1
	global_store_b16 v[0:1], v7, off
.LBB536_1949:
	s_mov_b32 s2, 0
.LBB536_1950:
	s_delay_alu instid0(SALU_CYCLE_1)
	s_and_b32 vcc_lo, exec_lo, s2
	s_mov_b32 s2, 0
	s_cbranch_vccz .LBB536_1952
; %bb.1951:
	v_cmp_ne_u16_e64 s0, 11, v6
	s_mov_b32 s2, -1
.LBB536_1952:
	s_delay_alu instid0(VALU_DEP_1)
	s_and_b32 vcc_lo, exec_lo, s0
	s_cbranch_vccnz .LBB536_2097
; %bb.1953:
	s_and_not1_b32 vcc_lo, exec_lo, s2
	s_cbranch_vccnz .LBB536_1955
.LBB536_1954:
	v_and_b32_e32 v3, 0x7fff, v7
	s_mov_b32 s3, -1
	s_delay_alu instid0(VALU_DEP_1)
	v_cmp_ne_u16_e32 vcc_lo, 0, v3
	v_cndmask_b32_e64 v3, 0, 1, vcc_lo
	global_store_b8 v[0:1], v3, off
.LBB536_1955:
	s_mov_b32 s0, 0
	s_branch .LBB536_1957
.LBB536_1956:
	s_mov_b32 s0, -1
	s_mov_b32 s3, 0
.LBB536_1957:
	s_and_b32 vcc_lo, exec_lo, s0
	s_cbranch_vccz .LBB536_1996
; %bb.1958:
	v_cmp_gt_i16_e32 vcc_lo, 5, v6
	s_mov_b32 s0, -1
	s_cbranch_vccnz .LBB536_1979
; %bb.1959:
	v_cmp_gt_i16_e32 vcc_lo, 8, v6
	s_cbranch_vccnz .LBB536_1969
; %bb.1960:
	v_cmp_gt_i16_e32 vcc_lo, 9, v6
	s_cbranch_vccnz .LBB536_1966
; %bb.1961:
	v_cmp_lt_i16_e32 vcc_lo, 9, v6
	s_cbranch_vccz .LBB536_1963
; %bb.1962:
	v_dual_mov_b32 v10, 0 :: v_dual_lshlrev_b32 v3, 16, v7
	s_mov_b32 s0, 0
	s_delay_alu instid0(VALU_DEP_1) | instskip(NEXT) | instid1(VALU_DEP_2)
	v_cvt_f64_f32_e32 v[8:9], v3
	v_mov_b32_e32 v11, v10
	global_store_b128 v[0:1], v[8:11], off
.LBB536_1963:
	s_and_not1_b32 vcc_lo, exec_lo, s0
	s_cbranch_vccnz .LBB536_1965
; %bb.1964:
	v_dual_mov_b32 v4, 0 :: v_dual_lshlrev_b32 v3, 16, v7
	global_store_b64 v[0:1], v[3:4], off
.LBB536_1965:
	s_mov_b32 s0, 0
.LBB536_1966:
	s_delay_alu instid0(SALU_CYCLE_1)
	s_and_not1_b32 vcc_lo, exec_lo, s0
	s_cbranch_vccnz .LBB536_1968
; %bb.1967:
	v_lshlrev_b32_e32 v3, 16, v7
	s_delay_alu instid0(VALU_DEP_1) | instskip(NEXT) | instid1(VALU_DEP_1)
	v_cvt_f16_f32_e32 v3, v3
	v_and_b32_e32 v3, 0xffff, v3
	global_store_b32 v[0:1], v3, off
.LBB536_1968:
	s_mov_b32 s0, 0
.LBB536_1969:
	s_delay_alu instid0(SALU_CYCLE_1)
	s_and_not1_b32 vcc_lo, exec_lo, s0
	s_cbranch_vccnz .LBB536_1978
; %bb.1970:
	v_cmp_gt_i16_e32 vcc_lo, 6, v6
	s_mov_b32 s0, -1
	s_cbranch_vccnz .LBB536_1976
; %bb.1971:
	v_cmp_lt_i16_e32 vcc_lo, 6, v6
	s_cbranch_vccz .LBB536_1973
; %bb.1972:
	v_lshlrev_b32_e32 v3, 16, v7
	s_mov_b32 s0, 0
	s_delay_alu instid0(VALU_DEP_1)
	v_cvt_f64_f32_e32 v[3:4], v3
	global_store_b64 v[0:1], v[3:4], off
.LBB536_1973:
	s_and_not1_b32 vcc_lo, exec_lo, s0
	s_cbranch_vccnz .LBB536_1975
; %bb.1974:
	v_lshlrev_b32_e32 v3, 16, v7
	global_store_b32 v[0:1], v3, off
.LBB536_1975:
	s_mov_b32 s0, 0
.LBB536_1976:
	s_delay_alu instid0(SALU_CYCLE_1)
	s_and_not1_b32 vcc_lo, exec_lo, s0
	s_cbranch_vccnz .LBB536_1978
; %bb.1977:
	v_lshlrev_b32_e32 v3, 16, v7
	s_delay_alu instid0(VALU_DEP_1)
	v_cvt_f16_f32_e32 v3, v3
	global_store_b16 v[0:1], v3, off
.LBB536_1978:
	s_mov_b32 s0, 0
.LBB536_1979:
	s_delay_alu instid0(SALU_CYCLE_1)
	s_and_not1_b32 vcc_lo, exec_lo, s0
	s_cbranch_vccnz .LBB536_1995
; %bb.1980:
	v_cmp_gt_i16_e32 vcc_lo, 2, v6
	s_mov_b32 s0, -1
	s_cbranch_vccnz .LBB536_1990
; %bb.1981:
	v_cmp_gt_i16_e32 vcc_lo, 3, v6
	s_cbranch_vccnz .LBB536_1987
; %bb.1982:
	v_cmp_lt_i16_e32 vcc_lo, 3, v6
	s_cbranch_vccz .LBB536_1984
; %bb.1983:
	v_lshlrev_b32_e32 v3, 16, v7
	s_mov_b32 s0, 0
	s_delay_alu instid0(VALU_DEP_1) | instskip(NEXT) | instid1(VALU_DEP_1)
	v_trunc_f32_e32 v3, v3
	v_mul_f32_e64 v4, 0x2f800000, |v3|
	v_ashrrev_i32_e32 v9, 31, v3
	s_delay_alu instid0(VALU_DEP_2) | instskip(NEXT) | instid1(VALU_DEP_1)
	v_floor_f32_e32 v4, v4
	v_fma_f32 v8, 0xcf800000, v4, |v3|
	v_cvt_u32_f32_e32 v4, v4
	s_delay_alu instid0(VALU_DEP_2) | instskip(NEXT) | instid1(VALU_DEP_2)
	v_cvt_u32_f32_e32 v3, v8
	v_xor_b32_e32 v4, v4, v9
	s_delay_alu instid0(VALU_DEP_2) | instskip(NEXT) | instid1(VALU_DEP_1)
	v_xor_b32_e32 v3, v3, v9
	v_sub_co_u32 v3, vcc_lo, v3, v9
	s_delay_alu instid0(VALU_DEP_3)
	v_sub_co_ci_u32_e32 v4, vcc_lo, v4, v9, vcc_lo
	global_store_b64 v[0:1], v[3:4], off
.LBB536_1984:
	s_and_not1_b32 vcc_lo, exec_lo, s0
	s_cbranch_vccnz .LBB536_1986
; %bb.1985:
	v_lshlrev_b32_e32 v3, 16, v7
	s_delay_alu instid0(VALU_DEP_1)
	v_cvt_i32_f32_e32 v3, v3
	global_store_b32 v[0:1], v3, off
.LBB536_1986:
	s_mov_b32 s0, 0
.LBB536_1987:
	s_delay_alu instid0(SALU_CYCLE_1)
	s_and_not1_b32 vcc_lo, exec_lo, s0
	s_cbranch_vccnz .LBB536_1989
; %bb.1988:
	v_lshlrev_b32_e32 v3, 16, v7
	s_delay_alu instid0(VALU_DEP_1)
	v_cvt_i32_f32_e32 v3, v3
	global_store_b16 v[0:1], v3, off
.LBB536_1989:
	s_mov_b32 s0, 0
.LBB536_1990:
	s_delay_alu instid0(SALU_CYCLE_1)
	s_and_not1_b32 vcc_lo, exec_lo, s0
	s_cbranch_vccnz .LBB536_1995
; %bb.1991:
	v_cmp_lt_i16_e32 vcc_lo, 0, v6
	v_lshlrev_b32_e32 v3, 16, v7
	s_mov_b32 s0, -1
	s_cbranch_vccz .LBB536_1993
; %bb.1992:
	s_delay_alu instid0(VALU_DEP_1)
	v_cvt_i32_f32_e32 v4, v3
	s_mov_b32 s0, 0
	global_store_b8 v[0:1], v4, off
.LBB536_1993:
	s_and_not1_b32 vcc_lo, exec_lo, s0
	s_cbranch_vccnz .LBB536_1995
; %bb.1994:
	v_trunc_f32_e32 v3, v3
	s_delay_alu instid0(VALU_DEP_1) | instskip(NEXT) | instid1(VALU_DEP_1)
	v_mul_f32_e64 v4, 0x2f800000, |v3|
	v_floor_f32_e32 v4, v4
	s_delay_alu instid0(VALU_DEP_1) | instskip(SKIP_1) | instid1(VALU_DEP_2)
	v_fma_f32 v4, 0xcf800000, v4, |v3|
	v_ashrrev_i32_e32 v3, 31, v3
	v_cvt_u32_f32_e32 v4, v4
	s_delay_alu instid0(VALU_DEP_1) | instskip(NEXT) | instid1(VALU_DEP_1)
	v_xor_b32_e32 v4, v4, v3
	v_sub_nc_u32_e32 v3, v4, v3
	global_store_b8 v[0:1], v3, off
.LBB536_1995:
	s_mov_b32 s3, -1
.LBB536_1996:
	s_delay_alu instid0(SALU_CYCLE_1)
	s_and_not1_b32 vcc_lo, exec_lo, s3
	s_cbranch_vccnz .LBB536_2073
; %bb.1997:
	v_add_nc_u32_e32 v0, s1, v2
	v_cmp_gt_i16_e32 vcc_lo, 11, v6
	s_delay_alu instid0(VALU_DEP_2) | instskip(SKIP_1) | instid1(VALU_DEP_1)
	v_ashrrev_i32_e32 v1, 31, v0
	v_add_co_u32 v0, s0, s4, v0
	v_add_co_ci_u32_e64 v1, s0, s5, v1, s0
	s_cbranch_vccnz .LBB536_2074
; %bb.1998:
	v_cmp_lt_i16_e32 vcc_lo, 25, v6
	s_mov_b32 s2, -1
	s_mov_b32 s1, 0
	s_mov_b32 s0, 0
	s_cbranch_vccz .LBB536_2031
; %bb.1999:
	v_cmp_lt_i16_e32 vcc_lo, 28, v6
	s_cbranch_vccz .LBB536_2015
; %bb.2000:
	v_cmp_lt_i16_e32 vcc_lo, 43, v6
	;; [unrolled: 3-line block ×3, first 2 shown]
	s_cbranch_vccz .LBB536_2005
; %bb.2002:
	v_cmp_eq_u16_e32 vcc_lo, 46, v6
	s_mov_b32 s0, -1
	s_cbranch_vccz .LBB536_2004
; %bb.2003:
	v_and_b32_e32 v2, 0xffff, v5
	s_mov_b32 s0, 0
	global_store_b32 v[0:1], v2, off
.LBB536_2004:
	s_mov_b32 s2, 0
.LBB536_2005:
	s_delay_alu instid0(SALU_CYCLE_1)
	s_and_b32 vcc_lo, exec_lo, s2
	s_cbranch_vccz .LBB536_2010
; %bb.2006:
	v_cmp_eq_u16_e32 vcc_lo, 44, v6
	s_mov_b32 s0, -1
	s_cbranch_vccz .LBB536_2010
; %bb.2007:
	v_and_b32_e32 v2, 0xffff, v5
	v_mov_b32_e32 v3, 0xff
	s_mov_b32 s2, exec_lo
	s_delay_alu instid0(VALU_DEP_2) | instskip(NEXT) | instid1(VALU_DEP_1)
	v_bfe_u32 v4, v2, 7, 8
	v_cmpx_ne_u32_e32 0xff, v4
; %bb.2008:
	v_lshlrev_b32_e32 v3, 16, v2
	v_and_b32_e32 v7, 64, v2
	v_lshrrev_b32_e32 v2, 7, v2
	s_delay_alu instid0(VALU_DEP_3) | instskip(NEXT) | instid1(VALU_DEP_3)
	v_and_or_b32 v3, 0x3f0000, v3, v4
	v_cmp_ne_u32_e32 vcc_lo, 0, v7
	s_delay_alu instid0(VALU_DEP_2) | instskip(NEXT) | instid1(VALU_DEP_1)
	v_cmp_ne_u32_e64 s0, 0, v3
	s_and_b32 s0, vcc_lo, s0
	s_delay_alu instid0(SALU_CYCLE_1) | instskip(NEXT) | instid1(VALU_DEP_1)
	v_cndmask_b32_e64 v3, 0, 1, s0
	v_add_nc_u32_e32 v3, v2, v3
; %bb.2009:
	s_or_b32 exec_lo, exec_lo, s2
	s_mov_b32 s0, 0
	global_store_b8 v[0:1], v3, off
.LBB536_2010:
	s_mov_b32 s2, 0
.LBB536_2011:
	s_delay_alu instid0(SALU_CYCLE_1)
	s_and_b32 vcc_lo, exec_lo, s2
	s_cbranch_vccz .LBB536_2014
; %bb.2012:
	v_cmp_eq_u16_e32 vcc_lo, 29, v6
	s_mov_b32 s0, -1
	s_cbranch_vccz .LBB536_2014
; %bb.2013:
	v_lshlrev_b32_e32 v2, 16, v5
	s_mov_b32 s0, 0
	s_delay_alu instid0(VALU_DEP_1) | instskip(NEXT) | instid1(VALU_DEP_1)
	v_trunc_f32_e32 v2, v2
	v_mul_f32_e32 v3, 0x2f800000, v2
	s_delay_alu instid0(VALU_DEP_1) | instskip(NEXT) | instid1(VALU_DEP_1)
	v_floor_f32_e32 v3, v3
	v_fmamk_f32 v2, v3, 0xcf800000, v2
	v_cvt_u32_f32_e32 v3, v3
	s_delay_alu instid0(VALU_DEP_2)
	v_cvt_u32_f32_e32 v2, v2
	global_store_b64 v[0:1], v[2:3], off
.LBB536_2014:
	s_mov_b32 s2, 0
.LBB536_2015:
	s_delay_alu instid0(SALU_CYCLE_1)
	s_and_b32 vcc_lo, exec_lo, s2
	s_cbranch_vccz .LBB536_2030
; %bb.2016:
	v_cmp_gt_i16_e32 vcc_lo, 27, v6
	s_mov_b32 s2, -1
	s_cbranch_vccnz .LBB536_2022
; %bb.2017:
	v_cmp_lt_i16_e32 vcc_lo, 27, v6
	s_cbranch_vccz .LBB536_2019
; %bb.2018:
	v_lshlrev_b32_e32 v2, 16, v5
	s_mov_b32 s2, 0
	s_delay_alu instid0(VALU_DEP_1)
	v_cvt_u32_f32_e32 v2, v2
	global_store_b32 v[0:1], v2, off
.LBB536_2019:
	s_and_not1_b32 vcc_lo, exec_lo, s2
	s_cbranch_vccnz .LBB536_2021
; %bb.2020:
	v_lshlrev_b32_e32 v2, 16, v5
	s_delay_alu instid0(VALU_DEP_1)
	v_cvt_u32_f32_e32 v2, v2
	global_store_b16 v[0:1], v2, off
.LBB536_2021:
	s_mov_b32 s2, 0
.LBB536_2022:
	s_delay_alu instid0(SALU_CYCLE_1)
	s_and_not1_b32 vcc_lo, exec_lo, s2
	s_cbranch_vccnz .LBB536_2030
; %bb.2023:
	v_dual_mov_b32 v7, 0x80 :: v_dual_lshlrev_b32 v4, 16, v5
	s_mov_b32 s2, exec_lo
	s_delay_alu instid0(VALU_DEP_1) | instskip(NEXT) | instid1(VALU_DEP_1)
	v_and_b32_e32 v3, 0x7fffffff, v4
	v_cmpx_gt_u32_e32 0x43800000, v3
	s_cbranch_execz .LBB536_2029
; %bb.2024:
	v_and_b32_e32 v2, 0xffff, v5
	v_cmp_lt_u32_e32 vcc_lo, 0x3bffffff, v3
	s_mov_b32 s3, 0
                                        ; implicit-def: $vgpr3
	s_and_saveexec_b32 s4, vcc_lo
	s_delay_alu instid0(SALU_CYCLE_1)
	s_xor_b32 s4, exec_lo, s4
	s_cbranch_execz .LBB536_2101
; %bb.2025:
	v_bfe_u32 v3, v2, 4, 1
	s_mov_b32 s3, exec_lo
	s_delay_alu instid0(VALU_DEP_1) | instskip(NEXT) | instid1(VALU_DEP_1)
	v_add3_u32 v3, v4, v3, 0x487ffff
                                        ; implicit-def: $vgpr4
	v_lshrrev_b32_e32 v3, 20, v3
	s_or_saveexec_b32 s4, s4
                                        ; implicit-def: $sgpr5
	s_delay_alu instid0(SALU_CYCLE_1)
	s_xor_b32 exec_lo, exec_lo, s4
	s_cbranch_execnz .LBB536_2102
.LBB536_2026:
	s_or_b32 exec_lo, exec_lo, s4
	v_mov_b32_e32 v7, s5
	s_and_saveexec_b32 s4, s3
.LBB536_2027:
	v_lshrrev_b32_e32 v2, 8, v2
	s_delay_alu instid0(VALU_DEP_1)
	v_and_or_b32 v7, 0x80, v2, v3
.LBB536_2028:
	s_or_b32 exec_lo, exec_lo, s4
.LBB536_2029:
	s_delay_alu instid0(SALU_CYCLE_1)
	s_or_b32 exec_lo, exec_lo, s2
	global_store_b8 v[0:1], v7, off
.LBB536_2030:
	s_mov_b32 s2, 0
.LBB536_2031:
	s_delay_alu instid0(SALU_CYCLE_1)
	s_and_b32 vcc_lo, exec_lo, s2
	s_cbranch_vccz .LBB536_2071
; %bb.2032:
	v_cmp_lt_i16_e32 vcc_lo, 22, v6
	s_mov_b32 s1, -1
	s_cbranch_vccz .LBB536_2064
; %bb.2033:
	v_cmp_gt_i16_e32 vcc_lo, 24, v6
	s_cbranch_vccnz .LBB536_2053
; %bb.2034:
	v_cmp_lt_i16_e32 vcc_lo, 24, v6
	s_cbranch_vccz .LBB536_2042
; %bb.2035:
	v_dual_mov_b32 v7, 0x80 :: v_dual_lshlrev_b32 v4, 16, v5
	s_mov_b32 s1, exec_lo
	s_delay_alu instid0(VALU_DEP_1) | instskip(NEXT) | instid1(VALU_DEP_1)
	v_and_b32_e32 v3, 0x7fffffff, v4
	v_cmpx_gt_u32_e32 0x47800000, v3
	s_cbranch_execz .LBB536_2041
; %bb.2036:
	v_and_b32_e32 v2, 0xffff, v5
	v_cmp_lt_u32_e32 vcc_lo, 0x37ffffff, v3
	s_mov_b32 s2, 0
                                        ; implicit-def: $vgpr3
	s_and_saveexec_b32 s3, vcc_lo
	s_delay_alu instid0(SALU_CYCLE_1)
	s_xor_b32 s3, exec_lo, s3
	s_cbranch_execz .LBB536_2107
; %bb.2037:
	v_bfe_u32 v3, v2, 5, 1
	s_mov_b32 s2, exec_lo
	s_delay_alu instid0(VALU_DEP_1) | instskip(NEXT) | instid1(VALU_DEP_1)
	v_add3_u32 v3, v4, v3, 0x88fffff
                                        ; implicit-def: $vgpr4
	v_lshrrev_b32_e32 v3, 21, v3
	s_or_saveexec_b32 s3, s3
                                        ; implicit-def: $sgpr4
	s_delay_alu instid0(SALU_CYCLE_1)
	s_xor_b32 exec_lo, exec_lo, s3
	s_cbranch_execnz .LBB536_2108
.LBB536_2038:
	s_or_b32 exec_lo, exec_lo, s3
	v_mov_b32_e32 v7, s4
	s_and_saveexec_b32 s3, s2
.LBB536_2039:
	v_lshrrev_b32_e32 v2, 8, v2
	s_delay_alu instid0(VALU_DEP_1)
	v_and_or_b32 v7, 0x80, v2, v3
.LBB536_2040:
	s_or_b32 exec_lo, exec_lo, s3
.LBB536_2041:
	s_delay_alu instid0(SALU_CYCLE_1)
	s_or_b32 exec_lo, exec_lo, s1
	s_mov_b32 s1, 0
	global_store_b8 v[0:1], v7, off
.LBB536_2042:
	s_and_b32 vcc_lo, exec_lo, s1
	s_cbranch_vccz .LBB536_2052
; %bb.2043:
	v_lshlrev_b32_e32 v4, 16, v5
	v_and_b32_e32 v2, 0xffff, v5
	s_mov_b32 s1, exec_lo
                                        ; implicit-def: $vgpr3
	s_delay_alu instid0(VALU_DEP_2) | instskip(NEXT) | instid1(VALU_DEP_1)
	v_and_b32_e32 v7, 0x7fffffff, v4
	v_cmpx_gt_u32_e32 0x43f00000, v7
	s_xor_b32 s1, exec_lo, s1
	s_cbranch_execz .LBB536_2049
; %bb.2044:
	s_mov_b32 s2, exec_lo
                                        ; implicit-def: $vgpr3
	v_cmpx_lt_u32_e32 0x3c7fffff, v7
	s_xor_b32 s2, exec_lo, s2
; %bb.2045:
	v_bfe_u32 v3, v2, 4, 1
	s_delay_alu instid0(VALU_DEP_1) | instskip(NEXT) | instid1(VALU_DEP_1)
	v_add3_u32 v3, v4, v3, 0x407ffff
	v_and_b32_e32 v4, 0xff00000, v3
	v_lshrrev_b32_e32 v3, 20, v3
	s_delay_alu instid0(VALU_DEP_2) | instskip(NEXT) | instid1(VALU_DEP_2)
	v_cmp_ne_u32_e32 vcc_lo, 0x7f00000, v4
                                        ; implicit-def: $vgpr4
	v_cndmask_b32_e32 v3, 0x7e, v3, vcc_lo
; %bb.2046:
	s_and_not1_saveexec_b32 s2, s2
; %bb.2047:
	v_add_f32_e64 v3, 0x46800000, |v4|
; %bb.2048:
	s_or_b32 exec_lo, exec_lo, s2
                                        ; implicit-def: $vgpr7
.LBB536_2049:
	s_and_not1_saveexec_b32 s1, s1
; %bb.2050:
	v_mov_b32_e32 v3, 0x7f
	v_cmp_lt_u32_e32 vcc_lo, 0x7f800000, v7
	s_delay_alu instid0(VALU_DEP_2)
	v_cndmask_b32_e32 v3, 0x7e, v3, vcc_lo
; %bb.2051:
	s_or_b32 exec_lo, exec_lo, s1
	v_lshrrev_b32_e32 v2, 8, v2
	s_delay_alu instid0(VALU_DEP_1)
	v_and_or_b32 v2, 0x80, v2, v3
	global_store_b8 v[0:1], v2, off
.LBB536_2052:
	s_mov_b32 s1, 0
.LBB536_2053:
	s_delay_alu instid0(SALU_CYCLE_1)
	s_and_not1_b32 vcc_lo, exec_lo, s1
	s_cbranch_vccnz .LBB536_2063
; %bb.2054:
	v_lshlrev_b32_e32 v4, 16, v5
	v_and_b32_e32 v2, 0xffff, v5
	s_mov_b32 s1, exec_lo
                                        ; implicit-def: $vgpr3
	s_delay_alu instid0(VALU_DEP_2) | instskip(NEXT) | instid1(VALU_DEP_1)
	v_and_b32_e32 v7, 0x7fffffff, v4
	v_cmpx_gt_u32_e32 0x47800000, v7
	s_xor_b32 s1, exec_lo, s1
	s_cbranch_execz .LBB536_2060
; %bb.2055:
	s_mov_b32 s2, exec_lo
                                        ; implicit-def: $vgpr3
	v_cmpx_lt_u32_e32 0x387fffff, v7
	s_xor_b32 s2, exec_lo, s2
; %bb.2056:
	v_bfe_u32 v3, v2, 5, 1
	s_delay_alu instid0(VALU_DEP_1) | instskip(NEXT) | instid1(VALU_DEP_1)
	v_add3_u32 v3, v4, v3, 0x80fffff
                                        ; implicit-def: $vgpr4
	v_lshrrev_b32_e32 v3, 21, v3
; %bb.2057:
	s_and_not1_saveexec_b32 s2, s2
; %bb.2058:
	v_add_f32_e64 v3, 0x43000000, |v4|
; %bb.2059:
	s_or_b32 exec_lo, exec_lo, s2
                                        ; implicit-def: $vgpr7
.LBB536_2060:
	s_and_not1_saveexec_b32 s1, s1
; %bb.2061:
	v_mov_b32_e32 v3, 0x7f
	v_cmp_lt_u32_e32 vcc_lo, 0x7f800000, v7
	s_delay_alu instid0(VALU_DEP_2)
	v_cndmask_b32_e32 v3, 0x7c, v3, vcc_lo
; %bb.2062:
	s_or_b32 exec_lo, exec_lo, s1
	v_lshrrev_b32_e32 v2, 8, v2
	s_delay_alu instid0(VALU_DEP_1)
	v_and_or_b32 v2, 0x80, v2, v3
	global_store_b8 v[0:1], v2, off
.LBB536_2063:
	s_mov_b32 s1, 0
.LBB536_2064:
	s_delay_alu instid0(SALU_CYCLE_1)
	s_and_not1_b32 vcc_lo, exec_lo, s1
	s_mov_b32 s1, 0
	s_cbranch_vccnz .LBB536_2071
; %bb.2065:
	v_cmp_lt_i16_e32 vcc_lo, 14, v6
	s_mov_b32 s1, -1
	s_cbranch_vccz .LBB536_2069
; %bb.2066:
	v_cmp_eq_u16_e32 vcc_lo, 15, v6
	s_mov_b32 s0, -1
	s_cbranch_vccz .LBB536_2068
; %bb.2067:
	s_mov_b32 s0, 0
	global_store_b16 v[0:1], v5, off
.LBB536_2068:
	s_mov_b32 s1, 0
.LBB536_2069:
	s_delay_alu instid0(SALU_CYCLE_1)
	s_and_b32 vcc_lo, exec_lo, s1
	s_mov_b32 s1, 0
	s_cbranch_vccz .LBB536_2071
; %bb.2070:
	v_cmp_ne_u16_e64 s0, 11, v6
	s_mov_b32 s1, -1
.LBB536_2071:
	s_delay_alu instid0(VALU_DEP_1)
	s_and_b32 vcc_lo, exec_lo, s0
	s_cbranch_vccnz .LBB536_2105
.LBB536_2072:
	s_mov_b32 s0, 0
	s_branch .LBB536_1674
.LBB536_2073:
	s_mov_b32 s0, 0
	s_mov_b32 s1, 0
                                        ; implicit-def: $vgpr6
                                        ; implicit-def: $vgpr0_vgpr1
	s_branch .LBB536_1674
.LBB536_2074:
	s_mov_b32 s1, 0
	s_mov_b32 s0, -1
	s_branch .LBB536_1674
.LBB536_2075:
	s_cbranch_execnz .LBB536_2079
; %bb.2076:
	s_or_b32 s12, s12, exec_lo
                                        ; implicit-def: $vgpr6
	s_cbranch_execz .LBB536_1539
	s_branch .LBB536_1540
.LBB536_2077:
	s_or_saveexec_b32 s6, s6
                                        ; implicit-def: $sgpr7
	s_delay_alu instid0(SALU_CYCLE_1)
	s_xor_b32 exec_lo, exec_lo, s6
	s_cbranch_execz .LBB536_1623
.LBB536_2078:
	v_add_f32_e64 v9, 0x46000000, |v10|
	s_and_not1_b32 s3, s3, exec_lo
	s_mov_b32 s7, 0
	s_delay_alu instid0(VALU_DEP_1) | instskip(NEXT) | instid1(VALU_DEP_1)
	v_and_b32_e32 v9, 0xff, v9
	v_cmp_ne_u32_e32 vcc_lo, 0, v9
	s_and_b32 s9, vcc_lo, exec_lo
	s_delay_alu instid0(SALU_CYCLE_1)
	s_or_b32 s3, s3, s9
	s_or_b32 exec_lo, exec_lo, s6
	v_mov_b32_e32 v11, s7
	s_and_saveexec_b32 s6, s3
	s_cbranch_execnz .LBB536_1624
	s_branch .LBB536_1625
.LBB536_2079:
	s_trap 2
	s_sendmsg_rtn_b32 s0, sendmsg(MSG_RTN_GET_DOORBELL)
	s_mov_b32 ttmp2, m0
	s_waitcnt lgkmcnt(0)
	s_and_b32 s0, s0, 0x3ff
	s_delay_alu instid0(SALU_CYCLE_1) | instskip(NEXT) | instid1(SALU_CYCLE_1)
	s_bitset1_b32 s0, 10
	s_mov_b32 m0, s0
	s_sendmsg sendmsg(MSG_INTERRUPT)
	s_mov_b32 m0, ttmp2
.LBB536_2080:                           ; =>This Inner Loop Header: Depth=1
	s_sethalt 5
	s_branch .LBB536_2080
.LBB536_2081:
	s_cbranch_execnz .LBB536_2087
; %bb.2082:
	s_or_b32 s12, s12, exec_lo
	s_cbranch_execz .LBB536_1671
	s_branch .LBB536_1672
.LBB536_2083:
	s_or_saveexec_b32 s3, s3
                                        ; implicit-def: $sgpr6
	s_delay_alu instid0(SALU_CYCLE_1)
	s_xor_b32 exec_lo, exec_lo, s3
	s_cbranch_execz .LBB536_1636
.LBB536_2084:
	v_add_f32_e64 v9, 0x42800000, |v10|
	s_and_not1_b32 s2, s2, exec_lo
	s_mov_b32 s6, 0
	s_delay_alu instid0(VALU_DEP_1) | instskip(NEXT) | instid1(VALU_DEP_1)
	v_and_b32_e32 v9, 0xff, v9
	v_cmp_ne_u32_e32 vcc_lo, 0, v9
	s_and_b32 s7, vcc_lo, exec_lo
	s_delay_alu instid0(SALU_CYCLE_1)
	s_or_b32 s2, s2, s7
	s_or_b32 exec_lo, exec_lo, s3
	v_mov_b32_e32 v11, s6
	s_and_saveexec_b32 s3, s2
	s_cbranch_execnz .LBB536_1637
	s_branch .LBB536_1638
.LBB536_2085:
	s_or_saveexec_b32 s7, s7
                                        ; implicit-def: $sgpr8
	s_delay_alu instid0(SALU_CYCLE_1)
	s_xor_b32 exec_lo, exec_lo, s7
	s_cbranch_execz .LBB536_1787
.LBB536_2086:
	v_add_f32_e64 v8, 0x46000000, |v9|
	s_and_not1_b32 s6, s6, exec_lo
	s_mov_b32 s8, 0
	s_delay_alu instid0(VALU_DEP_1) | instskip(NEXT) | instid1(VALU_DEP_1)
	v_and_b32_e32 v8, 0xff, v8
	v_cmp_ne_u32_e32 vcc_lo, 0, v8
	s_and_b32 s9, vcc_lo, exec_lo
	s_delay_alu instid0(SALU_CYCLE_1)
	s_or_b32 s6, s6, s9
	s_or_b32 exec_lo, exec_lo, s7
	v_mov_b32_e32 v10, s8
	s_and_saveexec_b32 s7, s6
	s_cbranch_execnz .LBB536_1788
	s_branch .LBB536_1789
.LBB536_2087:
	s_trap 2
	s_sendmsg_rtn_b32 s0, sendmsg(MSG_RTN_GET_DOORBELL)
	s_mov_b32 ttmp2, m0
	s_waitcnt lgkmcnt(0)
	s_and_b32 s0, s0, 0x3ff
	s_delay_alu instid0(SALU_CYCLE_1) | instskip(NEXT) | instid1(SALU_CYCLE_1)
	s_bitset1_b32 s0, 10
	s_mov_b32 m0, s0
	s_sendmsg sendmsg(MSG_INTERRUPT)
	s_mov_b32 m0, ttmp2
.LBB536_2088:                           ; =>This Inner Loop Header: Depth=1
	s_sethalt 5
	s_branch .LBB536_2088
.LBB536_2089:
	s_cbranch_execnz .LBB536_2095
; %bb.2090:
	s_or_b32 s12, s12, exec_lo
	s_cbranch_execz .LBB536_1835
	s_branch .LBB536_1836
.LBB536_2091:
	s_or_saveexec_b32 s6, s6
                                        ; implicit-def: $sgpr7
	s_delay_alu instid0(SALU_CYCLE_1)
	s_xor_b32 exec_lo, exec_lo, s6
	s_cbranch_execz .LBB536_1800
.LBB536_2092:
	v_add_f32_e64 v8, 0x42800000, |v9|
	s_and_not1_b32 s3, s3, exec_lo
	s_mov_b32 s7, 0
	s_delay_alu instid0(VALU_DEP_1) | instskip(NEXT) | instid1(VALU_DEP_1)
	v_and_b32_e32 v8, 0xff, v8
	v_cmp_ne_u32_e32 vcc_lo, 0, v8
	s_and_b32 s8, vcc_lo, exec_lo
	s_delay_alu instid0(SALU_CYCLE_1)
	s_or_b32 s3, s3, s8
	s_or_b32 exec_lo, exec_lo, s6
	v_mov_b32_e32 v10, s7
	s_and_saveexec_b32 s6, s3
	s_cbranch_execnz .LBB536_1801
	s_branch .LBB536_1802
.LBB536_2093:
	s_or_saveexec_b32 s7, s7
                                        ; implicit-def: $sgpr8
	s_delay_alu instid0(SALU_CYCLE_1)
	s_xor_b32 exec_lo, exec_lo, s7
	s_cbranch_execz .LBB536_1906
.LBB536_2094:
	v_add_f32_e64 v4, 0x46000000, |v8|
	s_and_not1_b32 s6, s6, exec_lo
	s_mov_b32 s8, 0
	s_delay_alu instid0(VALU_DEP_1) | instskip(NEXT) | instid1(VALU_DEP_1)
	v_and_b32_e32 v4, 0xff, v4
	v_cmp_ne_u32_e32 vcc_lo, 0, v4
	s_and_b32 s9, vcc_lo, exec_lo
	s_delay_alu instid0(SALU_CYCLE_1)
	s_or_b32 s6, s6, s9
	s_or_b32 exec_lo, exec_lo, s7
	v_mov_b32_e32 v9, s8
	s_and_saveexec_b32 s7, s6
	s_cbranch_execnz .LBB536_1907
	s_branch .LBB536_1908
.LBB536_2095:
	s_trap 2
	s_sendmsg_rtn_b32 s0, sendmsg(MSG_RTN_GET_DOORBELL)
	s_mov_b32 ttmp2, m0
	s_waitcnt lgkmcnt(0)
	s_and_b32 s0, s0, 0x3ff
	s_delay_alu instid0(SALU_CYCLE_1) | instskip(NEXT) | instid1(SALU_CYCLE_1)
	s_bitset1_b32 s0, 10
	s_mov_b32 m0, s0
	s_sendmsg sendmsg(MSG_INTERRUPT)
	s_mov_b32 m0, ttmp2
.LBB536_2096:                           ; =>This Inner Loop Header: Depth=1
	s_sethalt 5
	s_branch .LBB536_2096
.LBB536_2097:
	s_cbranch_execnz .LBB536_2103
; %bb.2098:
	s_or_b32 s12, s12, exec_lo
	s_cbranch_execz .LBB536_1954
	s_branch .LBB536_1955
.LBB536_2099:
	s_or_saveexec_b32 s6, s6
                                        ; implicit-def: $sgpr7
	s_delay_alu instid0(SALU_CYCLE_1)
	s_xor_b32 exec_lo, exec_lo, s6
	s_cbranch_execz .LBB536_1919
.LBB536_2100:
	v_add_f32_e64 v4, 0x42800000, |v8|
	s_and_not1_b32 s3, s3, exec_lo
	s_mov_b32 s7, 0
	s_delay_alu instid0(VALU_DEP_1) | instskip(NEXT) | instid1(VALU_DEP_1)
	v_and_b32_e32 v4, 0xff, v4
	v_cmp_ne_u32_e32 vcc_lo, 0, v4
	s_and_b32 s8, vcc_lo, exec_lo
	s_delay_alu instid0(SALU_CYCLE_1)
	s_or_b32 s3, s3, s8
	s_or_b32 exec_lo, exec_lo, s6
	v_mov_b32_e32 v9, s7
	s_and_saveexec_b32 s6, s3
	s_cbranch_execnz .LBB536_1920
	s_branch .LBB536_1921
.LBB536_2101:
	s_or_saveexec_b32 s4, s4
                                        ; implicit-def: $sgpr5
	s_delay_alu instid0(SALU_CYCLE_1)
	s_xor_b32 exec_lo, exec_lo, s4
	s_cbranch_execz .LBB536_2026
.LBB536_2102:
	v_add_f32_e64 v3, 0x46000000, |v4|
	s_and_not1_b32 s3, s3, exec_lo
	s_mov_b32 s5, 0
	s_delay_alu instid0(VALU_DEP_1) | instskip(NEXT) | instid1(VALU_DEP_1)
	v_and_b32_e32 v3, 0xff, v3
	v_cmp_ne_u32_e32 vcc_lo, 0, v3
	s_and_b32 s6, vcc_lo, exec_lo
	s_delay_alu instid0(SALU_CYCLE_1)
	s_or_b32 s3, s3, s6
	s_or_b32 exec_lo, exec_lo, s4
	v_mov_b32_e32 v7, s5
	s_and_saveexec_b32 s4, s3
	s_cbranch_execnz .LBB536_2027
	s_branch .LBB536_2028
.LBB536_2103:
	s_trap 2
	s_sendmsg_rtn_b32 s0, sendmsg(MSG_RTN_GET_DOORBELL)
	s_mov_b32 ttmp2, m0
	s_waitcnt lgkmcnt(0)
	s_and_b32 s0, s0, 0x3ff
	s_delay_alu instid0(SALU_CYCLE_1) | instskip(NEXT) | instid1(SALU_CYCLE_1)
	s_bitset1_b32 s0, 10
	s_mov_b32 m0, s0
	s_sendmsg sendmsg(MSG_INTERRUPT)
	s_mov_b32 m0, ttmp2
.LBB536_2104:                           ; =>This Inner Loop Header: Depth=1
	s_sethalt 5
	s_branch .LBB536_2104
.LBB536_2105:
	s_cbranch_execnz .LBB536_2109
; %bb.2106:
	s_mov_b32 s1, 0
	s_or_b32 s12, s12, exec_lo
	s_branch .LBB536_2072
.LBB536_2107:
	s_or_saveexec_b32 s3, s3
                                        ; implicit-def: $sgpr4
	s_delay_alu instid0(SALU_CYCLE_1)
	s_xor_b32 exec_lo, exec_lo, s3
	s_cbranch_execz .LBB536_2038
.LBB536_2108:
	v_add_f32_e64 v3, 0x42800000, |v4|
	s_and_not1_b32 s2, s2, exec_lo
	s_mov_b32 s4, 0
	s_delay_alu instid0(VALU_DEP_1) | instskip(NEXT) | instid1(VALU_DEP_1)
	v_and_b32_e32 v3, 0xff, v3
	v_cmp_ne_u32_e32 vcc_lo, 0, v3
	s_and_b32 s5, vcc_lo, exec_lo
	s_delay_alu instid0(SALU_CYCLE_1)
	s_or_b32 s2, s2, s5
	s_or_b32 exec_lo, exec_lo, s3
	v_mov_b32_e32 v7, s4
	s_and_saveexec_b32 s3, s2
	s_cbranch_execnz .LBB536_2039
	s_branch .LBB536_2040
.LBB536_2109:
	s_trap 2
	s_sendmsg_rtn_b32 s0, sendmsg(MSG_RTN_GET_DOORBELL)
	s_mov_b32 ttmp2, m0
	s_waitcnt lgkmcnt(0)
	s_and_b32 s0, s0, 0x3ff
	s_delay_alu instid0(SALU_CYCLE_1) | instskip(NEXT) | instid1(SALU_CYCLE_1)
	s_bitset1_b32 s0, 10
	s_mov_b32 m0, s0
	s_sendmsg sendmsg(MSG_INTERRUPT)
	s_mov_b32 m0, ttmp2
.LBB536_2110:                           ; =>This Inner Loop Header: Depth=1
	s_sethalt 5
	s_branch .LBB536_2110
	.section	.rodata,"a",@progbits
	.p2align	6, 0x0
	.amdhsa_kernel _ZN2at6native32elementwise_kernel_manual_unrollILi128ELi4EZNS0_15gpu_kernel_implIZZZNS0_22nan_to_num_kernel_cudaERNS_18TensorIteratorBaseESt8optionalIdES6_S6_ENKUlvE0_clEvENKUlvE2_clEvEUlN3c108BFloat16EE_EEvS4_RKT_EUlibE_EEviT1_
		.amdhsa_group_segment_fixed_size 0
		.amdhsa_private_segment_fixed_size 0
		.amdhsa_kernarg_size 40
		.amdhsa_user_sgpr_count 15
		.amdhsa_user_sgpr_dispatch_ptr 0
		.amdhsa_user_sgpr_queue_ptr 0
		.amdhsa_user_sgpr_kernarg_segment_ptr 1
		.amdhsa_user_sgpr_dispatch_id 0
		.amdhsa_user_sgpr_private_segment_size 0
		.amdhsa_wavefront_size32 1
		.amdhsa_uses_dynamic_stack 0
		.amdhsa_enable_private_segment 0
		.amdhsa_system_sgpr_workgroup_id_x 1
		.amdhsa_system_sgpr_workgroup_id_y 0
		.amdhsa_system_sgpr_workgroup_id_z 0
		.amdhsa_system_sgpr_workgroup_info 0
		.amdhsa_system_vgpr_workitem_id 0
		.amdhsa_next_free_vgpr 12
		.amdhsa_next_free_sgpr 29
		.amdhsa_reserve_vcc 1
		.amdhsa_float_round_mode_32 0
		.amdhsa_float_round_mode_16_64 0
		.amdhsa_float_denorm_mode_32 3
		.amdhsa_float_denorm_mode_16_64 3
		.amdhsa_dx10_clamp 1
		.amdhsa_ieee_mode 1
		.amdhsa_fp16_overflow 0
		.amdhsa_workgroup_processor_mode 1
		.amdhsa_memory_ordered 1
		.amdhsa_forward_progress 0
		.amdhsa_shared_vgpr_count 0
		.amdhsa_exception_fp_ieee_invalid_op 0
		.amdhsa_exception_fp_denorm_src 0
		.amdhsa_exception_fp_ieee_div_zero 0
		.amdhsa_exception_fp_ieee_overflow 0
		.amdhsa_exception_fp_ieee_underflow 0
		.amdhsa_exception_fp_ieee_inexact 0
		.amdhsa_exception_int_div_zero 0
	.end_amdhsa_kernel
	.section	.text._ZN2at6native32elementwise_kernel_manual_unrollILi128ELi4EZNS0_15gpu_kernel_implIZZZNS0_22nan_to_num_kernel_cudaERNS_18TensorIteratorBaseESt8optionalIdES6_S6_ENKUlvE0_clEvENKUlvE2_clEvEUlN3c108BFloat16EE_EEvS4_RKT_EUlibE_EEviT1_,"axG",@progbits,_ZN2at6native32elementwise_kernel_manual_unrollILi128ELi4EZNS0_15gpu_kernel_implIZZZNS0_22nan_to_num_kernel_cudaERNS_18TensorIteratorBaseESt8optionalIdES6_S6_ENKUlvE0_clEvENKUlvE2_clEvEUlN3c108BFloat16EE_EEvS4_RKT_EUlibE_EEviT1_,comdat
.Lfunc_end536:
	.size	_ZN2at6native32elementwise_kernel_manual_unrollILi128ELi4EZNS0_15gpu_kernel_implIZZZNS0_22nan_to_num_kernel_cudaERNS_18TensorIteratorBaseESt8optionalIdES6_S6_ENKUlvE0_clEvENKUlvE2_clEvEUlN3c108BFloat16EE_EEvS4_RKT_EUlibE_EEviT1_, .Lfunc_end536-_ZN2at6native32elementwise_kernel_manual_unrollILi128ELi4EZNS0_15gpu_kernel_implIZZZNS0_22nan_to_num_kernel_cudaERNS_18TensorIteratorBaseESt8optionalIdES6_S6_ENKUlvE0_clEvENKUlvE2_clEvEUlN3c108BFloat16EE_EEvS4_RKT_EUlibE_EEviT1_
                                        ; -- End function
	.section	.AMDGPU.csdata,"",@progbits
; Kernel info:
; codeLenInByte = 44820
; NumSgprs: 31
; NumVgprs: 12
; ScratchSize: 0
; MemoryBound: 0
; FloatMode: 240
; IeeeMode: 1
; LDSByteSize: 0 bytes/workgroup (compile time only)
; SGPRBlocks: 3
; VGPRBlocks: 1
; NumSGPRsForWavesPerEU: 31
; NumVGPRsForWavesPerEU: 12
; Occupancy: 16
; WaveLimiterHint : 0
; COMPUTE_PGM_RSRC2:SCRATCH_EN: 0
; COMPUTE_PGM_RSRC2:USER_SGPR: 15
; COMPUTE_PGM_RSRC2:TRAP_HANDLER: 0
; COMPUTE_PGM_RSRC2:TGID_X_EN: 1
; COMPUTE_PGM_RSRC2:TGID_Y_EN: 0
; COMPUTE_PGM_RSRC2:TGID_Z_EN: 0
; COMPUTE_PGM_RSRC2:TIDIG_COMP_CNT: 0
	.section	.text._ZN2at6native32elementwise_kernel_manual_unrollILi128ELi4EZNS0_15gpu_kernel_implIZZZNS0_22nan_to_num_kernel_cudaERNS_18TensorIteratorBaseESt8optionalIdES6_S6_ENKUlvE0_clEvENKUlvE2_clEvEUlN3c108BFloat16EE_EEvS4_RKT_EUlibE0_EEviT1_,"axG",@progbits,_ZN2at6native32elementwise_kernel_manual_unrollILi128ELi4EZNS0_15gpu_kernel_implIZZZNS0_22nan_to_num_kernel_cudaERNS_18TensorIteratorBaseESt8optionalIdES6_S6_ENKUlvE0_clEvENKUlvE2_clEvEUlN3c108BFloat16EE_EEvS4_RKT_EUlibE0_EEviT1_,comdat
	.globl	_ZN2at6native32elementwise_kernel_manual_unrollILi128ELi4EZNS0_15gpu_kernel_implIZZZNS0_22nan_to_num_kernel_cudaERNS_18TensorIteratorBaseESt8optionalIdES6_S6_ENKUlvE0_clEvENKUlvE2_clEvEUlN3c108BFloat16EE_EEvS4_RKT_EUlibE0_EEviT1_ ; -- Begin function _ZN2at6native32elementwise_kernel_manual_unrollILi128ELi4EZNS0_15gpu_kernel_implIZZZNS0_22nan_to_num_kernel_cudaERNS_18TensorIteratorBaseESt8optionalIdES6_S6_ENKUlvE0_clEvENKUlvE2_clEvEUlN3c108BFloat16EE_EEvS4_RKT_EUlibE0_EEviT1_
	.p2align	8
	.type	_ZN2at6native32elementwise_kernel_manual_unrollILi128ELi4EZNS0_15gpu_kernel_implIZZZNS0_22nan_to_num_kernel_cudaERNS_18TensorIteratorBaseESt8optionalIdES6_S6_ENKUlvE0_clEvENKUlvE2_clEvEUlN3c108BFloat16EE_EEvS4_RKT_EUlibE0_EEviT1_,@function
_ZN2at6native32elementwise_kernel_manual_unrollILi128ELi4EZNS0_15gpu_kernel_implIZZZNS0_22nan_to_num_kernel_cudaERNS_18TensorIteratorBaseESt8optionalIdES6_S6_ENKUlvE0_clEvENKUlvE2_clEvEUlN3c108BFloat16EE_EEvS4_RKT_EUlibE0_EEviT1_: ; @_ZN2at6native32elementwise_kernel_manual_unrollILi128ELi4EZNS0_15gpu_kernel_implIZZZNS0_22nan_to_num_kernel_cudaERNS_18TensorIteratorBaseESt8optionalIdES6_S6_ENKUlvE0_clEvENKUlvE2_clEvEUlN3c108BFloat16EE_EEvS4_RKT_EUlibE0_EEviT1_
; %bb.0:
	s_clause 0x1
	s_load_b32 s26, s[0:1], 0x8
	s_load_b32 s36, s[0:1], 0x0
	v_lshl_or_b32 v4, s15, 9, v0
	s_or_b32 s16, s0, 8
	s_mov_b32 s3, -1
	s_mov_b32 s28, 0
	s_mov_b32 s17, s1
	v_or_b32_e32 v8, 0x180, v4
	s_mov_b32 s8, 0
	s_mov_b32 s2, exec_lo
	s_waitcnt lgkmcnt(0)
	s_add_i32 s27, s26, -1
	s_delay_alu instid0(SALU_CYCLE_1)
	s_cmp_gt_u32 s27, 1
	s_cselect_b32 s29, -1, 0
	v_cmpx_le_i32_e64 s36, v8
	s_xor_b32 s30, exec_lo, s2
	s_cbranch_execz .LBB537_1092
; %bb.1:
	s_clause 0x5
	s_load_b32 s2, s[0:1], 0x164
	s_load_b128 s[8:11], s[16:17], 0x4
	s_load_b64 s[18:19], s[16:17], 0x158
	s_load_b128 s[4:7], s[16:17], 0x148
	s_load_b64 s[20:21], s[16:17], 0x14
	s_load_b128 s[12:15], s[16:17], 0xc4
	s_cmp_lg_u32 s26, 0
	s_mov_b32 s42, 0
	s_cselect_b32 s38, -1, 0
	s_add_u32 s22, s16, 0xc4
	s_addc_u32 s23, s17, 0
	s_min_u32 s37, s27, 15
	s_cmp_gt_u32 s26, 1
	s_mov_b32 s40, 0
	s_cselect_b32 s35, -1, 0
	s_mov_b32 s39, 0
	s_mov_b32 s41, exec_lo
	s_waitcnt lgkmcnt(0)
	s_lshr_b32 s31, s2, 16
	s_lshr_b32 s34, s2, 24
	s_lshr_b32 s33, s18, 16
	v_cmpx_gt_i32_e64 s36, v4
	s_cbranch_execz .LBB537_267
; %bb.2:
	s_and_not1_b32 vcc_lo, exec_lo, s29
	s_cbranch_vccnz .LBB537_7
; %bb.3:
	v_dual_mov_b32 v0, 0 :: v_dual_mov_b32 v1, 0
	s_and_not1_b32 vcc_lo, exec_lo, s38
	s_cbranch_vccnz .LBB537_12
; %bb.4:
	v_mov_b32_e32 v0, 0
	s_add_i32 s43, s37, 1
	s_cmp_eq_u32 s27, 2
	s_cbranch_scc1 .LBB537_8
; %bb.5:
	v_dual_mov_b32 v1, 0 :: v_dual_mov_b32 v0, 0
	v_mov_b32_e32 v2, v4
	s_and_b32 s40, s43, 28
	s_mov_b32 s44, 0
	s_mov_b64 s[2:3], s[22:23]
	s_mov_b64 s[24:25], s[16:17]
.LBB537_6:                              ; =>This Inner Loop Header: Depth=1
	s_clause 0x1
	s_load_b256 s[48:55], s[24:25], 0x4
	s_load_b128 s[64:67], s[24:25], 0x24
	s_load_b256 s[56:63], s[2:3], 0x0
	s_add_u32 s24, s24, 48
	s_addc_u32 s25, s25, 0
	s_add_i32 s44, s44, 4
	s_add_u32 s2, s2, 32
	s_addc_u32 s3, s3, 0
	s_cmp_lg_u32 s40, s44
	s_waitcnt lgkmcnt(0)
	v_mul_hi_u32 v3, s49, v2
	s_delay_alu instid0(VALU_DEP_1) | instskip(NEXT) | instid1(VALU_DEP_1)
	v_add_nc_u32_e32 v3, v2, v3
	v_lshrrev_b32_e32 v3, s50, v3
	s_delay_alu instid0(VALU_DEP_1) | instskip(SKIP_1) | instid1(VALU_DEP_2)
	v_mul_hi_u32 v5, s52, v3
	v_mul_lo_u32 v7, v3, s48
	v_add_nc_u32_e32 v5, v3, v5
	s_delay_alu instid0(VALU_DEP_2) | instskip(NEXT) | instid1(VALU_DEP_2)
	v_sub_nc_u32_e32 v2, v2, v7
	v_lshrrev_b32_e32 v5, s53, v5
	s_delay_alu instid0(VALU_DEP_2) | instskip(SKIP_1) | instid1(VALU_DEP_3)
	v_mul_lo_u32 v7, v2, s56
	v_mul_lo_u32 v9, v2, s57
	v_mul_hi_u32 v6, s55, v5
	s_delay_alu instid0(VALU_DEP_1) | instskip(NEXT) | instid1(VALU_DEP_1)
	v_add_nc_u32_e32 v6, v5, v6
	v_lshrrev_b32_e32 v6, s64, v6
	s_delay_alu instid0(VALU_DEP_1) | instskip(SKIP_1) | instid1(VALU_DEP_2)
	v_mul_hi_u32 v8, s66, v6
	v_mul_lo_u32 v10, v6, s54
	v_add_nc_u32_e32 v2, v6, v8
	v_mul_lo_u32 v8, v5, s51
	s_delay_alu instid0(VALU_DEP_3) | instskip(NEXT) | instid1(VALU_DEP_3)
	v_sub_nc_u32_e32 v5, v5, v10
	v_lshrrev_b32_e32 v2, s67, v2
	s_delay_alu instid0(VALU_DEP_2) | instskip(SKIP_2) | instid1(VALU_DEP_4)
	v_mul_lo_u32 v10, v5, s60
	v_mul_lo_u32 v5, v5, s61
	v_sub_nc_u32_e32 v3, v3, v8
	v_mul_lo_u32 v11, v2, s65
	s_delay_alu instid0(VALU_DEP_2) | instskip(SKIP_1) | instid1(VALU_DEP_3)
	v_mul_lo_u32 v8, v3, s58
	v_mul_lo_u32 v3, v3, s59
	v_sub_nc_u32_e32 v6, v6, v11
	s_delay_alu instid0(VALU_DEP_3) | instskip(NEXT) | instid1(VALU_DEP_2)
	v_add3_u32 v0, v7, v0, v8
	v_mul_lo_u32 v11, v6, s62
	v_mul_lo_u32 v6, v6, s63
	v_add3_u32 v1, v9, v1, v3
	s_delay_alu instid0(VALU_DEP_3) | instskip(NEXT) | instid1(VALU_DEP_2)
	v_add3_u32 v0, v10, v0, v11
	v_add3_u32 v1, v5, v1, v6
	s_cbranch_scc1 .LBB537_6
	s_branch .LBB537_9
.LBB537_7:
	s_mov_b32 s39, -1
                                        ; implicit-def: $vgpr0
                                        ; implicit-def: $vgpr1
	s_branch .LBB537_12
.LBB537_8:
	v_dual_mov_b32 v2, v4 :: v_dual_mov_b32 v1, 0
.LBB537_9:
	s_and_b32 s43, s43, 3
	s_delay_alu instid0(SALU_CYCLE_1)
	s_cmp_eq_u32 s43, 0
	s_cbranch_scc1 .LBB537_12
; %bb.10:
	s_lshl_b32 s2, s40, 3
	s_mul_i32 s24, s40, 12
	s_add_u32 s2, s2, s16
	s_addc_u32 s3, s17, 0
	s_add_u32 s2, s2, 0xc4
	s_addc_u32 s3, s3, 0
	;; [unrolled: 2-line block ×3, first 2 shown]
	.p2align	6
.LBB537_11:                             ; =>This Inner Loop Header: Depth=1
	s_clause 0x1
	s_load_b64 s[44:45], s[24:25], 0x4
	s_load_b32 s40, s[24:25], 0xc
	s_load_b64 s[46:47], s[2:3], 0x0
	s_add_u32 s24, s24, 12
	s_addc_u32 s25, s25, 0
	s_add_u32 s2, s2, 8
	s_addc_u32 s3, s3, 0
	s_add_i32 s43, s43, -1
	s_delay_alu instid0(SALU_CYCLE_1) | instskip(SKIP_2) | instid1(VALU_DEP_1)
	s_cmp_lg_u32 s43, 0
	s_waitcnt lgkmcnt(0)
	v_mul_hi_u32 v3, s45, v2
	v_add_nc_u32_e32 v3, v2, v3
	s_delay_alu instid0(VALU_DEP_1) | instskip(NEXT) | instid1(VALU_DEP_1)
	v_lshrrev_b32_e32 v3, s40, v3
	v_mul_lo_u32 v5, v3, s44
	s_delay_alu instid0(VALU_DEP_1) | instskip(NEXT) | instid1(VALU_DEP_1)
	v_sub_nc_u32_e32 v2, v2, v5
	v_mad_u64_u32 v[5:6], null, v2, s46, v[0:1]
	v_mad_u64_u32 v[6:7], null, v2, s47, v[1:2]
	v_mov_b32_e32 v2, v3
	s_delay_alu instid0(VALU_DEP_2)
	v_dual_mov_b32 v0, v5 :: v_dual_mov_b32 v1, v6
	s_cbranch_scc1 .LBB537_11
.LBB537_12:
	s_and_not1_b32 vcc_lo, exec_lo, s39
	s_cbranch_vccnz .LBB537_15
; %bb.13:
	v_mul_hi_u32 v0, s9, v4
	s_and_not1_b32 vcc_lo, exec_lo, s35
	s_delay_alu instid0(VALU_DEP_1) | instskip(NEXT) | instid1(VALU_DEP_1)
	v_add_nc_u32_e32 v0, v4, v0
	v_lshrrev_b32_e32 v2, s10, v0
	s_delay_alu instid0(VALU_DEP_1) | instskip(NEXT) | instid1(VALU_DEP_1)
	v_mul_lo_u32 v0, v2, s8
	v_sub_nc_u32_e32 v1, v4, v0
	s_delay_alu instid0(VALU_DEP_1)
	v_mul_lo_u32 v0, v1, s12
	v_mul_lo_u32 v1, v1, s13
	s_cbranch_vccnz .LBB537_15
; %bb.14:
	v_mul_hi_u32 v3, s20, v2
	s_delay_alu instid0(VALU_DEP_1) | instskip(NEXT) | instid1(VALU_DEP_1)
	v_add_nc_u32_e32 v3, v2, v3
	v_lshrrev_b32_e32 v3, s21, v3
	s_delay_alu instid0(VALU_DEP_1) | instskip(NEXT) | instid1(VALU_DEP_1)
	v_mul_lo_u32 v3, v3, s11
	v_sub_nc_u32_e32 v7, v2, v3
	s_delay_alu instid0(VALU_DEP_1) | instskip(NEXT) | instid1(VALU_DEP_1)
	v_mad_u64_u32 v[2:3], null, v7, s14, v[0:1]
	v_mad_u64_u32 v[5:6], null, v7, s15, v[1:2]
	s_delay_alu instid0(VALU_DEP_1)
	v_dual_mov_b32 v0, v2 :: v_dual_mov_b32 v1, v5
.LBB537_15:
	v_cmp_lt_i16_e64 s2, s34, 11
	s_delay_alu instid0(VALU_DEP_2) | instskip(NEXT) | instid1(VALU_DEP_1)
	v_add_co_u32 v1, s3, s6, v1
	v_add_co_ci_u32_e64 v2, null, s7, 0, s3
	s_delay_alu instid0(VALU_DEP_3)
	s_and_b32 vcc_lo, exec_lo, s2
	s_mov_b32 s3, 0
	s_cbranch_vccnz .LBB537_22
; %bb.16:
	v_cmp_gt_i16_e64 s2, s34, 25
	s_delay_alu instid0(VALU_DEP_1)
	s_and_b32 vcc_lo, exec_lo, s2
	s_cbranch_vccz .LBB537_145
; %bb.17:
	v_cmp_gt_i16_e64 s2, s34, 28
	s_delay_alu instid0(VALU_DEP_1)
	s_and_b32 vcc_lo, exec_lo, s2
	s_cbranch_vccz .LBB537_146
; %bb.18:
	v_cmp_gt_i16_e64 s2, s34, 43
	s_delay_alu instid0(VALU_DEP_1)
	s_and_b32 vcc_lo, exec_lo, s2
	s_cbranch_vccz .LBB537_147
; %bb.19:
	v_cmp_gt_i16_e64 s2, s34, 45
	s_delay_alu instid0(VALU_DEP_1)
	s_and_b32 vcc_lo, exec_lo, s2
	s_cbranch_vccz .LBB537_148
; %bb.20:
	v_cmp_eq_u16_e64 s2, s34, 46
	s_mov_b32 s24, 0
	s_delay_alu instid0(VALU_DEP_1)
	s_and_b32 vcc_lo, exec_lo, s2
	s_cbranch_vccz .LBB537_149
; %bb.21:
	global_load_b32 v3, v[1:2], off
	s_mov_b32 s2, -1
	s_branch .LBB537_151
.LBB537_22:
	s_mov_b32 s2, 0
                                        ; implicit-def: $vgpr3
	s_cbranch_execnz .LBB537_217
.LBB537_23:
	s_and_not1_b32 vcc_lo, exec_lo, s2
	s_cbranch_vccnz .LBB537_264
.LBB537_24:
	s_waitcnt vmcnt(0)
	s_delay_alu instid0(VALU_DEP_1) | instskip(SKIP_1) | instid1(VALU_DEP_1)
	v_dual_mov_b32 v2, s18 :: v_dual_lshlrev_b32 v1, 16, v3
	s_mov_b32 s2, exec_lo
	v_cmpx_o_f32_e32 v1, v1
	s_cbranch_execz .LBB537_28
; %bb.25:
	v_mov_b32_e32 v2, s33
	s_mov_b32 s24, exec_lo
	v_cmpx_neq_f32_e32 0x7f800000, v1
; %bb.26:
	v_cmp_eq_f32_e32 vcc_lo, 0xff800000, v1
	v_cndmask_b32_e64 v2, v3, s19, vcc_lo
; %bb.27:
	s_or_b32 exec_lo, exec_lo, s24
.LBB537_28:
	s_delay_alu instid0(SALU_CYCLE_1) | instskip(SKIP_2) | instid1(VALU_DEP_1)
	s_or_b32 exec_lo, exec_lo, s2
	v_and_b32_e64 v3, 0xff, s31
	v_add_co_u32 v0, s24, s4, v0
	v_add_co_ci_u32_e64 v1, null, s5, 0, s24
	s_delay_alu instid0(VALU_DEP_3)
	v_cmp_gt_i16_e32 vcc_lo, 11, v3
	s_mov_b32 s2, 0
	s_mov_b32 s25, -1
	s_mov_b32 s24, 0
	s_cbranch_vccnz .LBB537_105
; %bb.29:
	v_cmp_lt_i16_e32 vcc_lo, 25, v3
	s_cbranch_vccz .LBB537_62
; %bb.30:
	v_cmp_lt_i16_e32 vcc_lo, 28, v3
	s_cbranch_vccz .LBB537_45
; %bb.31:
	v_cmp_lt_i16_e32 vcc_lo, 43, v3
	s_cbranch_vccz .LBB537_41
; %bb.32:
	v_cmp_lt_i16_e32 vcc_lo, 45, v3
	s_cbranch_vccz .LBB537_35
; %bb.33:
	v_cmp_eq_u16_e32 vcc_lo, 46, v3
	s_mov_b32 s25, 0
	s_mov_b32 s2, -1
	s_cbranch_vccz .LBB537_35
; %bb.34:
	v_and_b32_e32 v5, 0xffff, v2
	s_mov_b32 s24, -1
	s_mov_b32 s2, 0
	global_store_b32 v[0:1], v5, off
.LBB537_35:
	s_and_b32 vcc_lo, exec_lo, s25
	s_cbranch_vccz .LBB537_40
; %bb.36:
	v_cmp_eq_u16_e32 vcc_lo, 44, v3
	s_mov_b32 s2, -1
	s_cbranch_vccz .LBB537_40
; %bb.37:
	v_and_b32_e32 v5, 0xffff, v2
	v_mov_b32_e32 v6, 0xff
	s_mov_b32 s24, exec_lo
	s_delay_alu instid0(VALU_DEP_2) | instskip(NEXT) | instid1(VALU_DEP_1)
	v_bfe_u32 v7, v5, 7, 8
	v_cmpx_ne_u32_e32 0xff, v7
; %bb.38:
	v_lshlrev_b32_e32 v6, 16, v5
	v_and_b32_e32 v8, 64, v5
	v_lshrrev_b32_e32 v5, 7, v5
	s_delay_alu instid0(VALU_DEP_3) | instskip(NEXT) | instid1(VALU_DEP_3)
	v_and_or_b32 v6, 0x3f0000, v6, v7
	v_cmp_ne_u32_e32 vcc_lo, 0, v8
	s_delay_alu instid0(VALU_DEP_2) | instskip(NEXT) | instid1(VALU_DEP_1)
	v_cmp_ne_u32_e64 s2, 0, v6
	s_and_b32 s2, vcc_lo, s2
	s_delay_alu instid0(SALU_CYCLE_1) | instskip(NEXT) | instid1(VALU_DEP_1)
	v_cndmask_b32_e64 v6, 0, 1, s2
	v_add_nc_u32_e32 v6, v5, v6
; %bb.39:
	s_or_b32 exec_lo, exec_lo, s24
	s_mov_b32 s24, -1
	s_mov_b32 s2, 0
	global_store_b8 v[0:1], v6, off
.LBB537_40:
	s_mov_b32 s25, 0
.LBB537_41:
	s_delay_alu instid0(SALU_CYCLE_1)
	s_and_b32 vcc_lo, exec_lo, s25
	s_cbranch_vccz .LBB537_44
; %bb.42:
	v_cmp_eq_u16_e32 vcc_lo, 29, v3
	s_mov_b32 s2, -1
	s_cbranch_vccz .LBB537_44
; %bb.43:
	v_lshlrev_b32_e32 v5, 16, v2
	s_mov_b32 s24, -1
	s_mov_b32 s2, 0
	s_delay_alu instid0(VALU_DEP_1) | instskip(NEXT) | instid1(VALU_DEP_1)
	v_trunc_f32_e32 v5, v5
	v_mul_f32_e32 v6, 0x2f800000, v5
	s_delay_alu instid0(VALU_DEP_1) | instskip(NEXT) | instid1(VALU_DEP_1)
	v_floor_f32_e32 v6, v6
	v_fmamk_f32 v5, v6, 0xcf800000, v5
	v_cvt_u32_f32_e32 v6, v6
	s_delay_alu instid0(VALU_DEP_2)
	v_cvt_u32_f32_e32 v5, v5
	global_store_b64 v[0:1], v[5:6], off
.LBB537_44:
	s_mov_b32 s25, 0
.LBB537_45:
	s_delay_alu instid0(SALU_CYCLE_1)
	s_and_b32 vcc_lo, exec_lo, s25
	s_cbranch_vccz .LBB537_61
; %bb.46:
	v_cmp_gt_i16_e32 vcc_lo, 27, v3
	s_mov_b32 s24, -1
	s_cbranch_vccnz .LBB537_52
; %bb.47:
	v_cmp_lt_i16_e32 vcc_lo, 27, v3
	s_cbranch_vccz .LBB537_49
; %bb.48:
	v_lshlrev_b32_e32 v5, 16, v2
	s_mov_b32 s24, 0
	s_delay_alu instid0(VALU_DEP_1)
	v_cvt_u32_f32_e32 v5, v5
	global_store_b32 v[0:1], v5, off
.LBB537_49:
	s_and_not1_b32 vcc_lo, exec_lo, s24
	s_cbranch_vccnz .LBB537_51
; %bb.50:
	v_lshlrev_b32_e32 v5, 16, v2
	s_delay_alu instid0(VALU_DEP_1)
	v_cvt_u32_f32_e32 v5, v5
	global_store_b16 v[0:1], v5, off
.LBB537_51:
	s_mov_b32 s24, 0
.LBB537_52:
	s_delay_alu instid0(SALU_CYCLE_1)
	s_and_not1_b32 vcc_lo, exec_lo, s24
	s_cbranch_vccnz .LBB537_60
; %bb.53:
	v_dual_mov_b32 v8, 0x80 :: v_dual_lshlrev_b32 v7, 16, v2
	s_mov_b32 s24, exec_lo
	s_delay_alu instid0(VALU_DEP_1) | instskip(NEXT) | instid1(VALU_DEP_1)
	v_and_b32_e32 v6, 0x7fffffff, v7
	v_cmpx_gt_u32_e32 0x43800000, v6
	s_cbranch_execz .LBB537_59
; %bb.54:
	v_and_b32_e32 v5, 0xffff, v2
	v_cmp_lt_u32_e32 vcc_lo, 0x3bffffff, v6
	s_mov_b32 s25, 0
                                        ; implicit-def: $vgpr6
	s_and_saveexec_b32 s39, vcc_lo
	s_delay_alu instid0(SALU_CYCLE_1)
	s_xor_b32 s39, exec_lo, s39
	s_cbranch_execz .LBB537_154
; %bb.55:
	v_bfe_u32 v6, v5, 4, 1
	s_mov_b32 s25, exec_lo
	s_delay_alu instid0(VALU_DEP_1) | instskip(NEXT) | instid1(VALU_DEP_1)
	v_add3_u32 v6, v7, v6, 0x487ffff
                                        ; implicit-def: $vgpr7
	v_lshrrev_b32_e32 v6, 20, v6
	s_or_saveexec_b32 s39, s39
                                        ; implicit-def: $sgpr40
	s_delay_alu instid0(SALU_CYCLE_1)
	s_xor_b32 exec_lo, exec_lo, s39
	s_cbranch_execnz .LBB537_155
.LBB537_56:
	s_or_b32 exec_lo, exec_lo, s39
	v_mov_b32_e32 v8, s40
	s_and_saveexec_b32 s39, s25
.LBB537_57:
	v_lshrrev_b32_e32 v5, 8, v5
	s_delay_alu instid0(VALU_DEP_1)
	v_and_or_b32 v8, 0x80, v5, v6
.LBB537_58:
	s_or_b32 exec_lo, exec_lo, s39
.LBB537_59:
	s_delay_alu instid0(SALU_CYCLE_1)
	s_or_b32 exec_lo, exec_lo, s24
	global_store_b8 v[0:1], v8, off
.LBB537_60:
	s_mov_b32 s24, -1
.LBB537_61:
	s_mov_b32 s25, 0
.LBB537_62:
	s_delay_alu instid0(SALU_CYCLE_1)
	s_and_b32 vcc_lo, exec_lo, s25
	s_cbranch_vccz .LBB537_103
; %bb.63:
	v_cmp_lt_i16_e32 vcc_lo, 22, v3
	s_mov_b32 s25, -1
	s_cbranch_vccz .LBB537_95
; %bb.64:
	v_cmp_gt_i16_e32 vcc_lo, 24, v3
	s_mov_b32 s24, -1
	s_cbranch_vccnz .LBB537_84
; %bb.65:
	v_cmp_lt_i16_e32 vcc_lo, 24, v3
	s_cbranch_vccz .LBB537_73
; %bb.66:
	v_dual_mov_b32 v8, 0x80 :: v_dual_lshlrev_b32 v7, 16, v2
	s_mov_b32 s24, exec_lo
	s_delay_alu instid0(VALU_DEP_1) | instskip(NEXT) | instid1(VALU_DEP_1)
	v_and_b32_e32 v6, 0x7fffffff, v7
	v_cmpx_gt_u32_e32 0x47800000, v6
	s_cbranch_execz .LBB537_72
; %bb.67:
	v_and_b32_e32 v5, 0xffff, v2
	v_cmp_lt_u32_e32 vcc_lo, 0x37ffffff, v6
	s_mov_b32 s25, 0
                                        ; implicit-def: $vgpr6
	s_and_saveexec_b32 s39, vcc_lo
	s_delay_alu instid0(SALU_CYCLE_1)
	s_xor_b32 s39, exec_lo, s39
	s_cbranch_execz .LBB537_349
; %bb.68:
	v_bfe_u32 v6, v5, 5, 1
	s_mov_b32 s25, exec_lo
	s_delay_alu instid0(VALU_DEP_1) | instskip(NEXT) | instid1(VALU_DEP_1)
	v_add3_u32 v6, v7, v6, 0x88fffff
                                        ; implicit-def: $vgpr7
	v_lshrrev_b32_e32 v6, 21, v6
	s_or_saveexec_b32 s39, s39
                                        ; implicit-def: $sgpr40
	s_delay_alu instid0(SALU_CYCLE_1)
	s_xor_b32 exec_lo, exec_lo, s39
	s_cbranch_execnz .LBB537_350
.LBB537_69:
	s_or_b32 exec_lo, exec_lo, s39
	v_mov_b32_e32 v8, s40
	s_and_saveexec_b32 s39, s25
.LBB537_70:
	v_lshrrev_b32_e32 v5, 8, v5
	s_delay_alu instid0(VALU_DEP_1)
	v_and_or_b32 v8, 0x80, v5, v6
.LBB537_71:
	s_or_b32 exec_lo, exec_lo, s39
.LBB537_72:
	s_delay_alu instid0(SALU_CYCLE_1)
	s_or_b32 exec_lo, exec_lo, s24
	s_mov_b32 s24, 0
	global_store_b8 v[0:1], v8, off
.LBB537_73:
	s_and_b32 vcc_lo, exec_lo, s24
	s_cbranch_vccz .LBB537_83
; %bb.74:
	v_lshlrev_b32_e32 v7, 16, v2
	v_and_b32_e32 v5, 0xffff, v2
	s_mov_b32 s24, exec_lo
                                        ; implicit-def: $vgpr6
	s_delay_alu instid0(VALU_DEP_2) | instskip(NEXT) | instid1(VALU_DEP_1)
	v_and_b32_e32 v8, 0x7fffffff, v7
	v_cmpx_gt_u32_e32 0x43f00000, v8
	s_xor_b32 s24, exec_lo, s24
	s_cbranch_execz .LBB537_80
; %bb.75:
	s_mov_b32 s25, exec_lo
                                        ; implicit-def: $vgpr6
	v_cmpx_lt_u32_e32 0x3c7fffff, v8
	s_xor_b32 s25, exec_lo, s25
; %bb.76:
	v_bfe_u32 v6, v5, 4, 1
	s_delay_alu instid0(VALU_DEP_1) | instskip(NEXT) | instid1(VALU_DEP_1)
	v_add3_u32 v6, v7, v6, 0x407ffff
	v_and_b32_e32 v7, 0xff00000, v6
	v_lshrrev_b32_e32 v6, 20, v6
	s_delay_alu instid0(VALU_DEP_2) | instskip(NEXT) | instid1(VALU_DEP_2)
	v_cmp_ne_u32_e32 vcc_lo, 0x7f00000, v7
                                        ; implicit-def: $vgpr7
	v_cndmask_b32_e32 v6, 0x7e, v6, vcc_lo
; %bb.77:
	s_and_not1_saveexec_b32 s25, s25
; %bb.78:
	v_add_f32_e64 v6, 0x46800000, |v7|
; %bb.79:
	s_or_b32 exec_lo, exec_lo, s25
                                        ; implicit-def: $vgpr8
.LBB537_80:
	s_and_not1_saveexec_b32 s24, s24
; %bb.81:
	v_mov_b32_e32 v6, 0x7f
	v_cmp_lt_u32_e32 vcc_lo, 0x7f800000, v8
	s_delay_alu instid0(VALU_DEP_2)
	v_cndmask_b32_e32 v6, 0x7e, v6, vcc_lo
; %bb.82:
	s_or_b32 exec_lo, exec_lo, s24
	v_lshrrev_b32_e32 v5, 8, v5
	s_delay_alu instid0(VALU_DEP_1)
	v_and_or_b32 v5, 0x80, v5, v6
	global_store_b8 v[0:1], v5, off
.LBB537_83:
	s_mov_b32 s24, 0
.LBB537_84:
	s_delay_alu instid0(SALU_CYCLE_1)
	s_and_not1_b32 vcc_lo, exec_lo, s24
	s_cbranch_vccnz .LBB537_94
; %bb.85:
	v_lshlrev_b32_e32 v7, 16, v2
	v_and_b32_e32 v5, 0xffff, v2
	s_mov_b32 s24, exec_lo
                                        ; implicit-def: $vgpr6
	s_delay_alu instid0(VALU_DEP_2) | instskip(NEXT) | instid1(VALU_DEP_1)
	v_and_b32_e32 v8, 0x7fffffff, v7
	v_cmpx_gt_u32_e32 0x47800000, v8
	s_xor_b32 s24, exec_lo, s24
	s_cbranch_execz .LBB537_91
; %bb.86:
	s_mov_b32 s25, exec_lo
                                        ; implicit-def: $vgpr6
	v_cmpx_lt_u32_e32 0x387fffff, v8
	s_xor_b32 s25, exec_lo, s25
; %bb.87:
	v_bfe_u32 v6, v5, 5, 1
	s_delay_alu instid0(VALU_DEP_1) | instskip(NEXT) | instid1(VALU_DEP_1)
	v_add3_u32 v6, v7, v6, 0x80fffff
                                        ; implicit-def: $vgpr7
	v_lshrrev_b32_e32 v6, 21, v6
; %bb.88:
	s_and_not1_saveexec_b32 s25, s25
; %bb.89:
	v_add_f32_e64 v6, 0x43000000, |v7|
; %bb.90:
	s_or_b32 exec_lo, exec_lo, s25
                                        ; implicit-def: $vgpr8
.LBB537_91:
	s_and_not1_saveexec_b32 s24, s24
; %bb.92:
	v_mov_b32_e32 v6, 0x7f
	v_cmp_lt_u32_e32 vcc_lo, 0x7f800000, v8
	s_delay_alu instid0(VALU_DEP_2)
	v_cndmask_b32_e32 v6, 0x7c, v6, vcc_lo
; %bb.93:
	s_or_b32 exec_lo, exec_lo, s24
	v_lshrrev_b32_e32 v5, 8, v5
	s_delay_alu instid0(VALU_DEP_1)
	v_and_or_b32 v5, 0x80, v5, v6
	global_store_b8 v[0:1], v5, off
.LBB537_94:
	s_mov_b32 s25, 0
	s_mov_b32 s24, -1
.LBB537_95:
	s_and_not1_b32 vcc_lo, exec_lo, s25
	s_cbranch_vccnz .LBB537_103
; %bb.96:
	v_cmp_lt_i16_e32 vcc_lo, 14, v3
	s_mov_b32 s25, -1
	s_cbranch_vccz .LBB537_100
; %bb.97:
	v_cmp_eq_u16_e32 vcc_lo, 15, v3
	s_mov_b32 s2, -1
	s_cbranch_vccz .LBB537_99
; %bb.98:
	s_mov_b32 s24, -1
	s_mov_b32 s2, 0
	global_store_b16 v[0:1], v2, off
.LBB537_99:
	s_mov_b32 s25, 0
.LBB537_100:
	s_delay_alu instid0(SALU_CYCLE_1)
	s_and_b32 vcc_lo, exec_lo, s25
	s_cbranch_vccz .LBB537_103
; %bb.101:
	v_cmp_eq_u16_e32 vcc_lo, 11, v3
	s_mov_b32 s2, -1
	s_cbranch_vccz .LBB537_103
; %bb.102:
	v_and_b32_e32 v5, 0x7fff, v2
	s_mov_b32 s2, 0
	s_mov_b32 s24, -1
	s_delay_alu instid0(VALU_DEP_1)
	v_cmp_ne_u16_e32 vcc_lo, 0, v5
	v_cndmask_b32_e64 v5, 0, 1, vcc_lo
	global_store_b8 v[0:1], v5, off
.LBB537_103:
.LBB537_104:
	s_and_not1_b32 vcc_lo, exec_lo, s24
	s_cbranch_vccz .LBB537_144
	s_branch .LBB537_265
.LBB537_105:
	s_and_b32 vcc_lo, exec_lo, s25
	s_cbranch_vccz .LBB537_104
; %bb.106:
	v_cmp_gt_i16_e32 vcc_lo, 5, v3
	s_mov_b32 s24, -1
	s_cbranch_vccnz .LBB537_127
; %bb.107:
	v_cmp_gt_i16_e32 vcc_lo, 8, v3
	s_cbranch_vccnz .LBB537_117
; %bb.108:
	v_cmp_gt_i16_e32 vcc_lo, 9, v3
	s_cbranch_vccnz .LBB537_114
; %bb.109:
	v_cmp_lt_i16_e32 vcc_lo, 9, v3
	s_cbranch_vccz .LBB537_111
; %bb.110:
	v_mov_b32_e32 v7, 0
	v_lshlrev_b32_e32 v5, 16, v2
	s_mov_b32 s24, 0
	s_delay_alu instid0(VALU_DEP_2) | instskip(NEXT) | instid1(VALU_DEP_2)
	v_mov_b32_e32 v8, v7
	v_cvt_f64_f32_e32 v[5:6], v5
	global_store_b128 v[0:1], v[5:8], off
.LBB537_111:
	s_and_not1_b32 vcc_lo, exec_lo, s24
	s_cbranch_vccnz .LBB537_113
; %bb.112:
	v_dual_mov_b32 v6, 0 :: v_dual_lshlrev_b32 v5, 16, v2
	global_store_b64 v[0:1], v[5:6], off
.LBB537_113:
	s_mov_b32 s24, 0
.LBB537_114:
	s_delay_alu instid0(SALU_CYCLE_1)
	s_and_not1_b32 vcc_lo, exec_lo, s24
	s_cbranch_vccnz .LBB537_116
; %bb.115:
	v_lshlrev_b32_e32 v5, 16, v2
	s_delay_alu instid0(VALU_DEP_1) | instskip(NEXT) | instid1(VALU_DEP_1)
	v_cvt_f16_f32_e32 v5, v5
	v_and_b32_e32 v5, 0xffff, v5
	global_store_b32 v[0:1], v5, off
.LBB537_116:
	s_mov_b32 s24, 0
.LBB537_117:
	s_delay_alu instid0(SALU_CYCLE_1)
	s_and_not1_b32 vcc_lo, exec_lo, s24
	s_cbranch_vccnz .LBB537_126
; %bb.118:
	v_cmp_gt_i16_e32 vcc_lo, 6, v3
	s_mov_b32 s24, -1
	s_cbranch_vccnz .LBB537_124
; %bb.119:
	v_cmp_lt_i16_e32 vcc_lo, 6, v3
	s_cbranch_vccz .LBB537_121
; %bb.120:
	v_lshlrev_b32_e32 v5, 16, v2
	s_mov_b32 s24, 0
	s_delay_alu instid0(VALU_DEP_1)
	v_cvt_f64_f32_e32 v[5:6], v5
	global_store_b64 v[0:1], v[5:6], off
.LBB537_121:
	s_and_not1_b32 vcc_lo, exec_lo, s24
	s_cbranch_vccnz .LBB537_123
; %bb.122:
	v_lshlrev_b32_e32 v5, 16, v2
	global_store_b32 v[0:1], v5, off
.LBB537_123:
	s_mov_b32 s24, 0
.LBB537_124:
	s_delay_alu instid0(SALU_CYCLE_1)
	s_and_not1_b32 vcc_lo, exec_lo, s24
	s_cbranch_vccnz .LBB537_126
; %bb.125:
	v_lshlrev_b32_e32 v5, 16, v2
	s_delay_alu instid0(VALU_DEP_1)
	v_cvt_f16_f32_e32 v5, v5
	global_store_b16 v[0:1], v5, off
.LBB537_126:
	s_mov_b32 s24, 0
.LBB537_127:
	s_delay_alu instid0(SALU_CYCLE_1)
	s_and_not1_b32 vcc_lo, exec_lo, s24
	s_cbranch_vccnz .LBB537_143
; %bb.128:
	v_cmp_gt_i16_e32 vcc_lo, 2, v3
	s_mov_b32 s24, -1
	s_cbranch_vccnz .LBB537_138
; %bb.129:
	v_cmp_gt_i16_e32 vcc_lo, 3, v3
	s_cbranch_vccnz .LBB537_135
; %bb.130:
	v_cmp_lt_i16_e32 vcc_lo, 3, v3
	s_cbranch_vccz .LBB537_132
; %bb.131:
	v_lshlrev_b32_e32 v5, 16, v2
	s_mov_b32 s24, 0
	s_delay_alu instid0(VALU_DEP_1) | instskip(NEXT) | instid1(VALU_DEP_1)
	v_trunc_f32_e32 v5, v5
	v_mul_f32_e64 v6, 0x2f800000, |v5|
	v_ashrrev_i32_e32 v8, 31, v5
	s_delay_alu instid0(VALU_DEP_2) | instskip(NEXT) | instid1(VALU_DEP_1)
	v_floor_f32_e32 v6, v6
	v_fma_f32 v7, 0xcf800000, v6, |v5|
	v_cvt_u32_f32_e32 v6, v6
	s_delay_alu instid0(VALU_DEP_2) | instskip(NEXT) | instid1(VALU_DEP_2)
	v_cvt_u32_f32_e32 v5, v7
	v_xor_b32_e32 v6, v6, v8
	s_delay_alu instid0(VALU_DEP_2) | instskip(NEXT) | instid1(VALU_DEP_1)
	v_xor_b32_e32 v5, v5, v8
	v_sub_co_u32 v5, vcc_lo, v5, v8
	s_delay_alu instid0(VALU_DEP_3)
	v_sub_co_ci_u32_e32 v6, vcc_lo, v6, v8, vcc_lo
	global_store_b64 v[0:1], v[5:6], off
.LBB537_132:
	s_and_not1_b32 vcc_lo, exec_lo, s24
	s_cbranch_vccnz .LBB537_134
; %bb.133:
	v_lshlrev_b32_e32 v5, 16, v2
	s_delay_alu instid0(VALU_DEP_1)
	v_cvt_i32_f32_e32 v5, v5
	global_store_b32 v[0:1], v5, off
.LBB537_134:
	s_mov_b32 s24, 0
.LBB537_135:
	s_delay_alu instid0(SALU_CYCLE_1)
	s_and_not1_b32 vcc_lo, exec_lo, s24
	s_cbranch_vccnz .LBB537_137
; %bb.136:
	v_lshlrev_b32_e32 v5, 16, v2
	s_delay_alu instid0(VALU_DEP_1)
	v_cvt_i32_f32_e32 v5, v5
	global_store_b16 v[0:1], v5, off
.LBB537_137:
	s_mov_b32 s24, 0
.LBB537_138:
	s_delay_alu instid0(SALU_CYCLE_1)
	s_and_not1_b32 vcc_lo, exec_lo, s24
	s_cbranch_vccnz .LBB537_143
; %bb.139:
	v_cmp_lt_i16_e32 vcc_lo, 0, v3
	v_lshlrev_b32_e32 v2, 16, v2
	s_mov_b32 s24, -1
	s_cbranch_vccz .LBB537_141
; %bb.140:
	s_delay_alu instid0(VALU_DEP_1)
	v_cvt_i32_f32_e32 v3, v2
	s_mov_b32 s24, 0
	global_store_b8 v[0:1], v3, off
.LBB537_141:
	s_and_not1_b32 vcc_lo, exec_lo, s24
	s_cbranch_vccnz .LBB537_143
; %bb.142:
	v_trunc_f32_e32 v2, v2
	s_delay_alu instid0(VALU_DEP_1) | instskip(NEXT) | instid1(VALU_DEP_1)
	v_mul_f32_e64 v3, 0x2f800000, |v2|
	v_floor_f32_e32 v3, v3
	s_delay_alu instid0(VALU_DEP_1) | instskip(SKIP_1) | instid1(VALU_DEP_2)
	v_fma_f32 v3, 0xcf800000, v3, |v2|
	v_ashrrev_i32_e32 v2, 31, v2
	v_cvt_u32_f32_e32 v3, v3
	s_delay_alu instid0(VALU_DEP_1) | instskip(NEXT) | instid1(VALU_DEP_1)
	v_xor_b32_e32 v3, v3, v2
	v_sub_nc_u32_e32 v2, v3, v2
	global_store_b8 v[0:1], v2, off
.LBB537_143:
.LBB537_144:
	v_add_nc_u32_e32 v4, 0x80, v4
	s_mov_b32 s24, -1
	s_branch .LBB537_266
.LBB537_145:
	s_mov_b32 s2, 0
                                        ; implicit-def: $vgpr3
	s_cbranch_execnz .LBB537_182
	s_branch .LBB537_216
.LBB537_146:
	s_mov_b32 s24, -1
	s_mov_b32 s2, 0
                                        ; implicit-def: $vgpr3
	s_branch .LBB537_163
.LBB537_147:
	s_mov_b32 s24, -1
	s_mov_b32 s2, 0
                                        ; implicit-def: $vgpr3
	s_branch .LBB537_158
.LBB537_148:
	s_mov_b32 s24, -1
	s_branch .LBB537_150
.LBB537_149:
	s_mov_b32 s3, -1
.LBB537_150:
	s_mov_b32 s2, 0
                                        ; implicit-def: $vgpr3
.LBB537_151:
	s_and_b32 vcc_lo, exec_lo, s24
	s_cbranch_vccz .LBB537_157
; %bb.152:
	v_cmp_eq_u16_e64 s3, s34, 44
	s_delay_alu instid0(VALU_DEP_1)
	s_and_b32 vcc_lo, exec_lo, s3
	s_cbranch_vccz .LBB537_156
; %bb.153:
	global_load_u8 v3, v[1:2], off
	s_mov_b32 s3, 0
	s_mov_b32 s2, -1
	s_waitcnt vmcnt(0)
	v_lshlrev_b32_e32 v5, 23, v3
	v_cmp_ne_u32_e32 vcc_lo, 0xff, v3
	s_delay_alu instid0(VALU_DEP_2) | instskip(SKIP_1) | instid1(VALU_DEP_2)
	v_cndmask_b32_e32 v5, 0x7f800001, v5, vcc_lo
	v_cmp_ne_u32_e32 vcc_lo, 0, v3
	v_cndmask_b32_e32 v3, 0x400000, v5, vcc_lo
	s_delay_alu instid0(VALU_DEP_1) | instskip(SKIP_1) | instid1(VALU_DEP_2)
	v_add_nc_u32_e32 v5, 0x7fff, v3
	v_cmp_o_f32_e32 vcc_lo, v3, v3
	v_lshrrev_b32_e32 v5, 16, v5
	s_delay_alu instid0(VALU_DEP_1)
	v_cndmask_b32_e32 v3, 0x7fc0, v5, vcc_lo
	s_branch .LBB537_157
.LBB537_154:
	s_or_saveexec_b32 s39, s39
                                        ; implicit-def: $sgpr40
	s_delay_alu instid0(SALU_CYCLE_1)
	s_xor_b32 exec_lo, exec_lo, s39
	s_cbranch_execz .LBB537_56
.LBB537_155:
	v_add_f32_e64 v6, 0x46000000, |v7|
	s_and_not1_b32 s25, s25, exec_lo
	s_mov_b32 s40, 0
	s_delay_alu instid0(VALU_DEP_1) | instskip(NEXT) | instid1(VALU_DEP_1)
	v_and_b32_e32 v6, 0xff, v6
	v_cmp_ne_u32_e32 vcc_lo, 0, v6
	s_and_b32 s43, vcc_lo, exec_lo
	s_delay_alu instid0(SALU_CYCLE_1)
	s_or_b32 s25, s25, s43
	s_or_b32 exec_lo, exec_lo, s39
	v_mov_b32_e32 v8, s40
	s_and_saveexec_b32 s39, s25
	s_cbranch_execnz .LBB537_57
	s_branch .LBB537_58
.LBB537_156:
	s_mov_b32 s3, -1
                                        ; implicit-def: $vgpr3
.LBB537_157:
	s_mov_b32 s24, 0
.LBB537_158:
	s_delay_alu instid0(SALU_CYCLE_1)
	s_and_b32 vcc_lo, exec_lo, s24
	s_cbranch_vccz .LBB537_162
; %bb.159:
	v_cmp_eq_u16_e64 s3, s34, 29
	s_delay_alu instid0(VALU_DEP_1)
	s_and_b32 vcc_lo, exec_lo, s3
	s_cbranch_vccz .LBB537_161
; %bb.160:
	global_load_b64 v[5:6], v[1:2], off
	s_mov_b32 s2, -1
	s_mov_b32 s3, 0
	s_mov_b32 s24, 0
	s_waitcnt vmcnt(0)
	v_clz_i32_u32_e32 v3, v6
	s_delay_alu instid0(VALU_DEP_1) | instskip(NEXT) | instid1(VALU_DEP_1)
	v_min_u32_e32 v3, 32, v3
	v_lshlrev_b64 v[5:6], v3, v[5:6]
	v_sub_nc_u32_e32 v3, 32, v3
	s_delay_alu instid0(VALU_DEP_2) | instskip(NEXT) | instid1(VALU_DEP_1)
	v_min_u32_e32 v5, 1, v5
	v_or_b32_e32 v5, v6, v5
	s_delay_alu instid0(VALU_DEP_1) | instskip(NEXT) | instid1(VALU_DEP_1)
	v_cvt_f32_u32_e32 v5, v5
	v_ldexp_f32 v3, v5, v3
	s_delay_alu instid0(VALU_DEP_1) | instskip(NEXT) | instid1(VALU_DEP_1)
	v_bfe_u32 v5, v3, 16, 1
	v_add3_u32 v3, v3, v5, 0x7fff
	s_delay_alu instid0(VALU_DEP_1)
	v_lshrrev_b32_e32 v3, 16, v3
	s_branch .LBB537_163
.LBB537_161:
	s_mov_b32 s3, -1
                                        ; implicit-def: $vgpr3
.LBB537_162:
	s_mov_b32 s24, 0
.LBB537_163:
	s_delay_alu instid0(SALU_CYCLE_1)
	s_and_b32 vcc_lo, exec_lo, s24
	s_cbranch_vccz .LBB537_181
; %bb.164:
	v_cmp_lt_i16_e64 s2, s34, 27
	s_delay_alu instid0(VALU_DEP_1)
	s_and_b32 vcc_lo, exec_lo, s2
	s_cbranch_vccnz .LBB537_167
; %bb.165:
	v_cmp_gt_i16_e64 s2, s34, 27
	s_delay_alu instid0(VALU_DEP_1)
	s_and_b32 vcc_lo, exec_lo, s2
	s_cbranch_vccz .LBB537_168
; %bb.166:
	global_load_b32 v3, v[1:2], off
	s_mov_b32 s2, 0
	s_waitcnt vmcnt(0)
	v_cvt_f32_u32_e32 v3, v3
	s_delay_alu instid0(VALU_DEP_1) | instskip(NEXT) | instid1(VALU_DEP_1)
	v_bfe_u32 v5, v3, 16, 1
	v_add3_u32 v3, v3, v5, 0x7fff
	s_delay_alu instid0(VALU_DEP_1)
	v_lshrrev_b32_e32 v3, 16, v3
	s_branch .LBB537_169
.LBB537_167:
	s_mov_b32 s2, -1
                                        ; implicit-def: $vgpr3
	s_branch .LBB537_172
.LBB537_168:
	s_mov_b32 s2, -1
                                        ; implicit-def: $vgpr3
.LBB537_169:
	s_delay_alu instid0(SALU_CYCLE_1)
	s_and_not1_b32 vcc_lo, exec_lo, s2
	s_cbranch_vccnz .LBB537_171
; %bb.170:
	global_load_u16 v3, v[1:2], off
	s_waitcnt vmcnt(0)
	v_cvt_f32_u32_e32 v3, v3
	s_delay_alu instid0(VALU_DEP_1) | instskip(NEXT) | instid1(VALU_DEP_1)
	v_bfe_u32 v5, v3, 16, 1
	v_add3_u32 v3, v3, v5, 0x7fff
	s_delay_alu instid0(VALU_DEP_1)
	v_lshrrev_b32_e32 v3, 16, v3
.LBB537_171:
	s_mov_b32 s2, 0
.LBB537_172:
	s_delay_alu instid0(SALU_CYCLE_1)
	s_and_not1_b32 vcc_lo, exec_lo, s2
	s_cbranch_vccnz .LBB537_180
; %bb.173:
	global_load_u8 v3, v[1:2], off
	s_mov_b32 s2, 0
	s_mov_b32 s25, exec_lo
                                        ; implicit-def: $sgpr24
	s_waitcnt vmcnt(0)
	v_cmpx_lt_i16_e32 0x7f, v3
	s_xor_b32 s25, exec_lo, s25
	s_cbranch_execz .LBB537_193
; %bb.174:
	s_mov_b32 s2, -1
	s_mov_b32 s39, exec_lo
                                        ; implicit-def: $sgpr24
	v_cmpx_eq_u16_e32 0x80, v3
; %bb.175:
	s_mov_b32 s24, 0x7f800001
	s_xor_b32 s2, exec_lo, -1
; %bb.176:
	s_or_b32 exec_lo, exec_lo, s39
	s_delay_alu instid0(SALU_CYCLE_1)
	s_and_b32 s2, s2, exec_lo
	s_or_saveexec_b32 s25, s25
	v_mov_b32_e32 v5, s24
	s_xor_b32 exec_lo, exec_lo, s25
	s_cbranch_execnz .LBB537_194
.LBB537_177:
	s_or_b32 exec_lo, exec_lo, s25
	s_and_saveexec_b32 s24, s2
	s_cbranch_execz .LBB537_179
.LBB537_178:
	v_and_b32_e32 v5, 0xffff, v3
	v_lshlrev_b32_e32 v3, 24, v3
	s_delay_alu instid0(VALU_DEP_2) | instskip(NEXT) | instid1(VALU_DEP_2)
	v_and_b32_e32 v6, 7, v5
	v_and_b32_e32 v3, 0x80000000, v3
	s_delay_alu instid0(VALU_DEP_2) | instskip(NEXT) | instid1(VALU_DEP_1)
	v_clz_i32_u32_e32 v7, v6
	v_min_u32_e32 v7, 32, v7
	s_delay_alu instid0(VALU_DEP_1) | instskip(SKIP_1) | instid1(VALU_DEP_2)
	v_subrev_nc_u32_e32 v8, 28, v7
	v_sub_nc_u32_e32 v7, 29, v7
	v_lshlrev_b32_e32 v8, v8, v5
	v_bfe_u32 v5, v5, 3, 4
	s_delay_alu instid0(VALU_DEP_2) | instskip(NEXT) | instid1(VALU_DEP_2)
	v_and_b32_e32 v8, 7, v8
	v_cmp_eq_u32_e32 vcc_lo, 0, v5
	s_delay_alu instid0(VALU_DEP_2) | instskip(NEXT) | instid1(VALU_DEP_1)
	v_dual_cndmask_b32 v5, v5, v7 :: v_dual_cndmask_b32 v6, v6, v8
	v_lshl_add_u32 v5, v5, 23, 0x3b800000
	s_delay_alu instid0(VALU_DEP_2) | instskip(NEXT) | instid1(VALU_DEP_1)
	v_lshlrev_b32_e32 v6, 20, v6
	v_or3_b32 v5, v3, v5, v6
.LBB537_179:
	s_or_b32 exec_lo, exec_lo, s24
	s_delay_alu instid0(VALU_DEP_1) | instskip(SKIP_1) | instid1(VALU_DEP_2)
	v_bfe_u32 v3, v5, 16, 1
	v_cmp_o_f32_e32 vcc_lo, v5, v5
	v_add3_u32 v3, v5, v3, 0x7fff
	s_delay_alu instid0(VALU_DEP_1) | instskip(NEXT) | instid1(VALU_DEP_1)
	v_lshrrev_b32_e32 v3, 16, v3
	v_cndmask_b32_e32 v3, 0x7fc0, v3, vcc_lo
.LBB537_180:
	s_mov_b32 s2, -1
.LBB537_181:
	s_branch .LBB537_216
.LBB537_182:
	v_cmp_gt_i16_e64 s24, s34, 22
	s_delay_alu instid0(VALU_DEP_1)
	s_and_b32 vcc_lo, exec_lo, s24
	s_cbranch_vccz .LBB537_192
; %bb.183:
	v_cmp_lt_i16_e64 s2, s34, 24
	s_delay_alu instid0(VALU_DEP_1)
	s_and_b32 vcc_lo, exec_lo, s2
	s_cbranch_vccnz .LBB537_195
; %bb.184:
	v_cmp_gt_i16_e64 s2, s34, 24
	s_delay_alu instid0(VALU_DEP_1)
	s_and_b32 vcc_lo, exec_lo, s2
	s_cbranch_vccz .LBB537_196
; %bb.185:
	global_load_u8 v3, v[1:2], off
	s_mov_b32 s2, 0
	s_mov_b32 s25, exec_lo
                                        ; implicit-def: $sgpr24
	s_waitcnt vmcnt(0)
	v_cmpx_lt_i16_e32 0x7f, v3
	s_xor_b32 s25, exec_lo, s25
	s_cbranch_execz .LBB537_208
; %bb.186:
	s_mov_b32 s2, -1
	s_mov_b32 s39, exec_lo
                                        ; implicit-def: $sgpr24
	v_cmpx_eq_u16_e32 0x80, v3
; %bb.187:
	s_mov_b32 s24, 0x7f800001
	s_xor_b32 s2, exec_lo, -1
; %bb.188:
	s_or_b32 exec_lo, exec_lo, s39
	s_delay_alu instid0(SALU_CYCLE_1)
	s_and_b32 s2, s2, exec_lo
	s_or_saveexec_b32 s25, s25
	v_mov_b32_e32 v5, s24
	s_xor_b32 exec_lo, exec_lo, s25
	s_cbranch_execnz .LBB537_209
.LBB537_189:
	s_or_b32 exec_lo, exec_lo, s25
	s_and_saveexec_b32 s24, s2
	s_cbranch_execz .LBB537_191
.LBB537_190:
	v_and_b32_e32 v5, 0xffff, v3
	v_lshlrev_b32_e32 v3, 24, v3
	s_delay_alu instid0(VALU_DEP_2) | instskip(NEXT) | instid1(VALU_DEP_2)
	v_and_b32_e32 v6, 3, v5
	v_and_b32_e32 v3, 0x80000000, v3
	s_delay_alu instid0(VALU_DEP_2) | instskip(NEXT) | instid1(VALU_DEP_1)
	v_clz_i32_u32_e32 v7, v6
	v_min_u32_e32 v7, 32, v7
	s_delay_alu instid0(VALU_DEP_1) | instskip(SKIP_1) | instid1(VALU_DEP_2)
	v_subrev_nc_u32_e32 v8, 29, v7
	v_sub_nc_u32_e32 v7, 30, v7
	v_lshlrev_b32_e32 v8, v8, v5
	v_bfe_u32 v5, v5, 2, 5
	s_delay_alu instid0(VALU_DEP_2) | instskip(NEXT) | instid1(VALU_DEP_2)
	v_and_b32_e32 v8, 3, v8
	v_cmp_eq_u32_e32 vcc_lo, 0, v5
	s_delay_alu instid0(VALU_DEP_2) | instskip(NEXT) | instid1(VALU_DEP_1)
	v_dual_cndmask_b32 v5, v5, v7 :: v_dual_cndmask_b32 v6, v6, v8
	v_lshl_add_u32 v5, v5, 23, 0x37800000
	s_delay_alu instid0(VALU_DEP_2) | instskip(NEXT) | instid1(VALU_DEP_1)
	v_lshlrev_b32_e32 v6, 21, v6
	v_or3_b32 v5, v3, v5, v6
.LBB537_191:
	s_or_b32 exec_lo, exec_lo, s24
	s_delay_alu instid0(VALU_DEP_1) | instskip(SKIP_2) | instid1(VALU_DEP_2)
	v_bfe_u32 v3, v5, 16, 1
	v_cmp_o_f32_e32 vcc_lo, v5, v5
	s_mov_b32 s2, 0
	v_add3_u32 v3, v5, v3, 0x7fff
	s_delay_alu instid0(VALU_DEP_1) | instskip(NEXT) | instid1(VALU_DEP_1)
	v_lshrrev_b32_e32 v3, 16, v3
	v_cndmask_b32_e32 v3, 0x7fc0, v3, vcc_lo
	s_branch .LBB537_197
.LBB537_192:
	s_mov_b32 s24, -1
                                        ; implicit-def: $vgpr3
	s_branch .LBB537_203
.LBB537_193:
	s_or_saveexec_b32 s25, s25
	v_mov_b32_e32 v5, s24
	s_xor_b32 exec_lo, exec_lo, s25
	s_cbranch_execz .LBB537_177
.LBB537_194:
	v_cmp_ne_u16_e32 vcc_lo, 0, v3
	v_mov_b32_e32 v5, 0
	s_and_not1_b32 s2, s2, exec_lo
	s_and_b32 s24, vcc_lo, exec_lo
	s_delay_alu instid0(SALU_CYCLE_1)
	s_or_b32 s2, s2, s24
	s_or_b32 exec_lo, exec_lo, s25
	s_and_saveexec_b32 s24, s2
	s_cbranch_execnz .LBB537_178
	s_branch .LBB537_179
.LBB537_195:
	s_mov_b32 s2, -1
                                        ; implicit-def: $vgpr3
	s_branch .LBB537_200
.LBB537_196:
	s_mov_b32 s2, -1
                                        ; implicit-def: $vgpr3
.LBB537_197:
	s_delay_alu instid0(SALU_CYCLE_1)
	s_and_b32 vcc_lo, exec_lo, s2
	s_cbranch_vccz .LBB537_199
; %bb.198:
	global_load_u8 v3, v[1:2], off
	s_waitcnt vmcnt(0)
	v_lshlrev_b32_e32 v3, 24, v3
	s_delay_alu instid0(VALU_DEP_1) | instskip(NEXT) | instid1(VALU_DEP_1)
	v_and_b32_e32 v5, 0x7f000000, v3
	v_clz_i32_u32_e32 v6, v5
	v_cmp_ne_u32_e32 vcc_lo, 0, v5
	v_add_nc_u32_e32 v8, 0x1000000, v5
	s_delay_alu instid0(VALU_DEP_3) | instskip(NEXT) | instid1(VALU_DEP_1)
	v_min_u32_e32 v6, 32, v6
	v_sub_nc_u32_e64 v6, v6, 4 clamp
	s_delay_alu instid0(VALU_DEP_1) | instskip(SKIP_1) | instid1(VALU_DEP_2)
	v_lshlrev_b32_e32 v7, v6, v5
	v_lshlrev_b32_e32 v6, 23, v6
	v_lshrrev_b32_e32 v7, 4, v7
	s_delay_alu instid0(VALU_DEP_1) | instskip(SKIP_1) | instid1(VALU_DEP_2)
	v_sub_nc_u32_e32 v6, v7, v6
	v_ashrrev_i32_e32 v7, 8, v8
	v_add_nc_u32_e32 v6, 0x3c000000, v6
	s_delay_alu instid0(VALU_DEP_1) | instskip(NEXT) | instid1(VALU_DEP_1)
	v_and_or_b32 v6, 0x7f800000, v7, v6
	v_cndmask_b32_e32 v5, 0, v6, vcc_lo
	s_delay_alu instid0(VALU_DEP_1) | instskip(SKIP_1) | instid1(VALU_DEP_2)
	v_and_or_b32 v3, 0x80000000, v3, v5
	v_bfe_u32 v5, v5, 16, 1
	v_cmp_o_f32_e32 vcc_lo, v3, v3
	s_delay_alu instid0(VALU_DEP_2) | instskip(NEXT) | instid1(VALU_DEP_1)
	v_add3_u32 v5, v3, v5, 0x7fff
	v_lshrrev_b32_e32 v5, 16, v5
	s_delay_alu instid0(VALU_DEP_1)
	v_cndmask_b32_e32 v3, 0x7fc0, v5, vcc_lo
.LBB537_199:
	s_mov_b32 s2, 0
.LBB537_200:
	s_delay_alu instid0(SALU_CYCLE_1)
	s_and_not1_b32 vcc_lo, exec_lo, s2
	s_cbranch_vccnz .LBB537_202
; %bb.201:
	global_load_u8 v3, v[1:2], off
	s_waitcnt vmcnt(0)
	v_lshlrev_b32_e32 v5, 25, v3
	v_lshlrev_b16 v3, 8, v3
	s_delay_alu instid0(VALU_DEP_2) | instskip(NEXT) | instid1(VALU_DEP_2)
	v_lshrrev_b32_e32 v6, 4, v5
	v_and_or_b32 v7, 0x7f00, v3, 0.5
	v_bfe_i32 v3, v3, 0, 16
	s_delay_alu instid0(VALU_DEP_3) | instskip(NEXT) | instid1(VALU_DEP_1)
	v_or_b32_e32 v6, 0x70000000, v6
	v_dual_add_f32 v7, -0.5, v7 :: v_dual_mul_f32 v6, 0x7800000, v6
	v_cmp_gt_u32_e32 vcc_lo, 0x8000000, v5
	s_delay_alu instid0(VALU_DEP_2) | instskip(NEXT) | instid1(VALU_DEP_1)
	v_cndmask_b32_e32 v5, v6, v7, vcc_lo
	v_and_or_b32 v3, 0x80000000, v3, v5
	v_bfe_u32 v5, v5, 16, 1
	s_delay_alu instid0(VALU_DEP_2) | instskip(NEXT) | instid1(VALU_DEP_2)
	v_cmp_o_f32_e32 vcc_lo, v3, v3
	v_add3_u32 v5, v3, v5, 0x7fff
	s_delay_alu instid0(VALU_DEP_1) | instskip(NEXT) | instid1(VALU_DEP_1)
	v_lshrrev_b32_e32 v5, 16, v5
	v_cndmask_b32_e32 v3, 0x7fc0, v5, vcc_lo
.LBB537_202:
	s_mov_b32 s24, 0
	s_mov_b32 s2, -1
.LBB537_203:
	s_and_not1_b32 vcc_lo, exec_lo, s24
	s_cbranch_vccnz .LBB537_216
; %bb.204:
	v_cmp_gt_i16_e64 s24, s34, 14
	s_delay_alu instid0(VALU_DEP_1)
	s_and_b32 vcc_lo, exec_lo, s24
	s_cbranch_vccz .LBB537_207
; %bb.205:
	v_cmp_eq_u16_e64 s3, s34, 15
	s_delay_alu instid0(VALU_DEP_1)
	s_and_b32 vcc_lo, exec_lo, s3
	s_cbranch_vccz .LBB537_210
; %bb.206:
	global_load_u16 v3, v[1:2], off
	s_mov_b32 s2, -1
	s_mov_b32 s3, 0
	s_branch .LBB537_211
.LBB537_207:
	s_mov_b32 s24, -1
                                        ; implicit-def: $vgpr3
	s_branch .LBB537_212
.LBB537_208:
	s_or_saveexec_b32 s25, s25
	v_mov_b32_e32 v5, s24
	s_xor_b32 exec_lo, exec_lo, s25
	s_cbranch_execz .LBB537_189
.LBB537_209:
	v_cmp_ne_u16_e32 vcc_lo, 0, v3
	v_mov_b32_e32 v5, 0
	s_and_not1_b32 s2, s2, exec_lo
	s_and_b32 s24, vcc_lo, exec_lo
	s_delay_alu instid0(SALU_CYCLE_1)
	s_or_b32 s2, s2, s24
	s_or_b32 exec_lo, exec_lo, s25
	s_and_saveexec_b32 s24, s2
	s_cbranch_execnz .LBB537_190
	s_branch .LBB537_191
.LBB537_210:
	s_mov_b32 s3, -1
                                        ; implicit-def: $vgpr3
.LBB537_211:
	s_mov_b32 s24, 0
.LBB537_212:
	s_delay_alu instid0(SALU_CYCLE_1)
	s_and_b32 vcc_lo, exec_lo, s24
	s_cbranch_vccz .LBB537_216
; %bb.213:
	v_cmp_eq_u16_e64 s3, s34, 11
	s_delay_alu instid0(VALU_DEP_1)
	s_and_b32 vcc_lo, exec_lo, s3
	s_cbranch_vccz .LBB537_215
; %bb.214:
	global_load_u8 v3, v[1:2], off
	s_mov_b32 s3, 0
	s_mov_b32 s2, -1
	s_waitcnt vmcnt(0)
	v_cmp_ne_u16_e32 vcc_lo, 0, v3
	v_cndmask_b32_e64 v3, 0, 1.0, vcc_lo
	s_delay_alu instid0(VALU_DEP_1)
	v_lshrrev_b32_e32 v3, 16, v3
	s_branch .LBB537_216
.LBB537_215:
	s_mov_b32 s3, -1
                                        ; implicit-def: $vgpr3
.LBB537_216:
	s_branch .LBB537_23
.LBB537_217:
	v_cmp_lt_i16_e64 s2, s34, 5
	s_delay_alu instid0(VALU_DEP_1)
	s_and_b32 vcc_lo, exec_lo, s2
	s_cbranch_vccnz .LBB537_222
; %bb.218:
	v_cmp_lt_i16_e64 s2, s34, 8
	s_delay_alu instid0(VALU_DEP_1)
	s_and_b32 vcc_lo, exec_lo, s2
	s_cbranch_vccnz .LBB537_223
; %bb.219:
	v_cmp_lt_i16_e64 s2, s34, 9
	s_delay_alu instid0(VALU_DEP_1)
	s_and_b32 vcc_lo, exec_lo, s2
	s_cbranch_vccnz .LBB537_224
; %bb.220:
	v_cmp_gt_i16_e64 s2, s34, 9
	s_delay_alu instid0(VALU_DEP_1)
	s_and_b32 vcc_lo, exec_lo, s2
	s_cbranch_vccz .LBB537_225
; %bb.221:
	global_load_b64 v[5:6], v[1:2], off
	s_mov_b32 s2, 0
	s_waitcnt vmcnt(0)
	v_cvt_f32_f64_e32 v3, v[5:6]
	s_delay_alu instid0(VALU_DEP_1) | instskip(SKIP_1) | instid1(VALU_DEP_2)
	v_bfe_u32 v5, v3, 16, 1
	v_cmp_o_f32_e32 vcc_lo, v3, v3
	v_add3_u32 v5, v3, v5, 0x7fff
	s_delay_alu instid0(VALU_DEP_1) | instskip(NEXT) | instid1(VALU_DEP_1)
	v_lshrrev_b32_e32 v5, 16, v5
	v_cndmask_b32_e32 v3, 0x7fc0, v5, vcc_lo
	s_branch .LBB537_226
.LBB537_222:
                                        ; implicit-def: $vgpr3
	s_branch .LBB537_244
.LBB537_223:
	s_mov_b32 s2, -1
                                        ; implicit-def: $vgpr3
	s_branch .LBB537_232
.LBB537_224:
	s_mov_b32 s2, -1
                                        ; implicit-def: $vgpr3
	s_branch .LBB537_229
.LBB537_225:
	s_mov_b32 s2, -1
                                        ; implicit-def: $vgpr3
.LBB537_226:
	s_delay_alu instid0(SALU_CYCLE_1)
	s_and_not1_b32 vcc_lo, exec_lo, s2
	s_cbranch_vccnz .LBB537_228
; %bb.227:
	global_load_b32 v3, v[1:2], off
	s_waitcnt vmcnt(0)
	v_bfe_u32 v5, v3, 16, 1
	v_cmp_o_f32_e32 vcc_lo, v3, v3
	s_delay_alu instid0(VALU_DEP_2) | instskip(NEXT) | instid1(VALU_DEP_1)
	v_add3_u32 v5, v3, v5, 0x7fff
	v_lshrrev_b32_e32 v5, 16, v5
	s_delay_alu instid0(VALU_DEP_1)
	v_cndmask_b32_e32 v3, 0x7fc0, v5, vcc_lo
.LBB537_228:
	s_mov_b32 s2, 0
.LBB537_229:
	s_delay_alu instid0(SALU_CYCLE_1)
	s_and_not1_b32 vcc_lo, exec_lo, s2
	s_cbranch_vccnz .LBB537_231
; %bb.230:
	global_load_b32 v3, v[1:2], off
	s_waitcnt vmcnt(0)
	v_cvt_f32_f16_e32 v5, v3
	v_cmp_o_f16_e32 vcc_lo, v3, v3
	s_delay_alu instid0(VALU_DEP_2) | instskip(NEXT) | instid1(VALU_DEP_1)
	v_bfe_u32 v6, v5, 16, 1
	v_add3_u32 v5, v5, v6, 0x7fff
	s_delay_alu instid0(VALU_DEP_1) | instskip(NEXT) | instid1(VALU_DEP_1)
	v_lshrrev_b32_e32 v5, 16, v5
	v_cndmask_b32_e32 v3, 0x7fc0, v5, vcc_lo
.LBB537_231:
	s_mov_b32 s2, 0
.LBB537_232:
	s_delay_alu instid0(SALU_CYCLE_1)
	s_and_not1_b32 vcc_lo, exec_lo, s2
	s_cbranch_vccnz .LBB537_243
; %bb.233:
	v_cmp_lt_i16_e64 s2, s34, 6
	s_delay_alu instid0(VALU_DEP_1)
	s_and_b32 vcc_lo, exec_lo, s2
	s_cbranch_vccnz .LBB537_236
; %bb.234:
	v_cmp_gt_i16_e64 s2, s34, 6
	s_delay_alu instid0(VALU_DEP_1)
	s_and_b32 vcc_lo, exec_lo, s2
	s_cbranch_vccz .LBB537_237
; %bb.235:
	global_load_b64 v[5:6], v[1:2], off
	s_mov_b32 s2, 0
	s_waitcnt vmcnt(0)
	v_cvt_f32_f64_e32 v3, v[5:6]
	s_delay_alu instid0(VALU_DEP_1) | instskip(SKIP_1) | instid1(VALU_DEP_2)
	v_bfe_u32 v5, v3, 16, 1
	v_cmp_o_f32_e32 vcc_lo, v3, v3
	v_add3_u32 v5, v3, v5, 0x7fff
	s_delay_alu instid0(VALU_DEP_1) | instskip(NEXT) | instid1(VALU_DEP_1)
	v_lshrrev_b32_e32 v5, 16, v5
	v_cndmask_b32_e32 v3, 0x7fc0, v5, vcc_lo
	s_branch .LBB537_238
.LBB537_236:
	s_mov_b32 s2, -1
                                        ; implicit-def: $vgpr3
	s_branch .LBB537_241
.LBB537_237:
	s_mov_b32 s2, -1
                                        ; implicit-def: $vgpr3
.LBB537_238:
	s_delay_alu instid0(SALU_CYCLE_1)
	s_and_not1_b32 vcc_lo, exec_lo, s2
	s_cbranch_vccnz .LBB537_240
; %bb.239:
	global_load_b32 v3, v[1:2], off
	s_waitcnt vmcnt(0)
	v_bfe_u32 v5, v3, 16, 1
	v_cmp_o_f32_e32 vcc_lo, v3, v3
	s_delay_alu instid0(VALU_DEP_2) | instskip(NEXT) | instid1(VALU_DEP_1)
	v_add3_u32 v5, v3, v5, 0x7fff
	v_lshrrev_b32_e32 v5, 16, v5
	s_delay_alu instid0(VALU_DEP_1)
	v_cndmask_b32_e32 v3, 0x7fc0, v5, vcc_lo
.LBB537_240:
	s_mov_b32 s2, 0
.LBB537_241:
	s_delay_alu instid0(SALU_CYCLE_1)
	s_and_not1_b32 vcc_lo, exec_lo, s2
	s_cbranch_vccnz .LBB537_243
; %bb.242:
	global_load_u16 v3, v[1:2], off
	s_waitcnt vmcnt(0)
	v_cvt_f32_f16_e32 v5, v3
	v_cmp_o_f16_e32 vcc_lo, v3, v3
	s_delay_alu instid0(VALU_DEP_2) | instskip(NEXT) | instid1(VALU_DEP_1)
	v_bfe_u32 v6, v5, 16, 1
	v_add3_u32 v5, v5, v6, 0x7fff
	s_delay_alu instid0(VALU_DEP_1) | instskip(NEXT) | instid1(VALU_DEP_1)
	v_lshrrev_b32_e32 v5, 16, v5
	v_cndmask_b32_e32 v3, 0x7fc0, v5, vcc_lo
.LBB537_243:
	s_cbranch_execnz .LBB537_263
.LBB537_244:
	v_cmp_lt_i16_e64 s2, s34, 2
	s_delay_alu instid0(VALU_DEP_1)
	s_and_b32 vcc_lo, exec_lo, s2
	s_cbranch_vccnz .LBB537_248
; %bb.245:
	v_cmp_lt_i16_e64 s2, s34, 3
	s_delay_alu instid0(VALU_DEP_1)
	s_and_b32 vcc_lo, exec_lo, s2
	s_cbranch_vccnz .LBB537_249
; %bb.246:
	v_cmp_gt_i16_e64 s2, s34, 3
	s_delay_alu instid0(VALU_DEP_1)
	s_and_b32 vcc_lo, exec_lo, s2
	s_cbranch_vccz .LBB537_250
; %bb.247:
	global_load_b64 v[5:6], v[1:2], off
	s_mov_b32 s2, 0
	s_waitcnt vmcnt(0)
	v_xor_b32_e32 v3, v5, v6
	v_cls_i32_e32 v7, v6
	s_delay_alu instid0(VALU_DEP_2) | instskip(NEXT) | instid1(VALU_DEP_2)
	v_ashrrev_i32_e32 v3, 31, v3
	v_add_nc_u32_e32 v7, -1, v7
	s_delay_alu instid0(VALU_DEP_2) | instskip(NEXT) | instid1(VALU_DEP_1)
	v_add_nc_u32_e32 v3, 32, v3
	v_min_u32_e32 v3, v7, v3
	s_delay_alu instid0(VALU_DEP_1) | instskip(SKIP_1) | instid1(VALU_DEP_2)
	v_lshlrev_b64 v[5:6], v3, v[5:6]
	v_sub_nc_u32_e32 v3, 32, v3
	v_min_u32_e32 v5, 1, v5
	s_delay_alu instid0(VALU_DEP_1) | instskip(NEXT) | instid1(VALU_DEP_1)
	v_or_b32_e32 v5, v6, v5
	v_cvt_f32_i32_e32 v5, v5
	s_delay_alu instid0(VALU_DEP_1) | instskip(NEXT) | instid1(VALU_DEP_1)
	v_ldexp_f32 v3, v5, v3
	v_bfe_u32 v5, v3, 16, 1
	s_delay_alu instid0(VALU_DEP_1) | instskip(NEXT) | instid1(VALU_DEP_1)
	v_add3_u32 v3, v3, v5, 0x7fff
	v_lshrrev_b32_e32 v3, 16, v3
	s_branch .LBB537_251
.LBB537_248:
	s_mov_b32 s2, -1
                                        ; implicit-def: $vgpr3
	s_branch .LBB537_257
.LBB537_249:
	s_mov_b32 s2, -1
                                        ; implicit-def: $vgpr3
	s_branch .LBB537_254
.LBB537_250:
	s_mov_b32 s2, -1
                                        ; implicit-def: $vgpr3
.LBB537_251:
	s_delay_alu instid0(SALU_CYCLE_1)
	s_and_not1_b32 vcc_lo, exec_lo, s2
	s_cbranch_vccnz .LBB537_253
; %bb.252:
	global_load_b32 v3, v[1:2], off
	s_waitcnt vmcnt(0)
	v_cvt_f32_i32_e32 v3, v3
	s_delay_alu instid0(VALU_DEP_1) | instskip(NEXT) | instid1(VALU_DEP_1)
	v_bfe_u32 v5, v3, 16, 1
	v_add3_u32 v3, v3, v5, 0x7fff
	s_delay_alu instid0(VALU_DEP_1)
	v_lshrrev_b32_e32 v3, 16, v3
.LBB537_253:
	s_mov_b32 s2, 0
.LBB537_254:
	s_delay_alu instid0(SALU_CYCLE_1)
	s_and_not1_b32 vcc_lo, exec_lo, s2
	s_cbranch_vccnz .LBB537_256
; %bb.255:
	global_load_i16 v3, v[1:2], off
	s_waitcnt vmcnt(0)
	v_cvt_f32_i32_e32 v3, v3
	s_delay_alu instid0(VALU_DEP_1) | instskip(NEXT) | instid1(VALU_DEP_1)
	v_bfe_u32 v5, v3, 16, 1
	v_add3_u32 v3, v3, v5, 0x7fff
	s_delay_alu instid0(VALU_DEP_1)
	v_lshrrev_b32_e32 v3, 16, v3
.LBB537_256:
	s_mov_b32 s2, 0
.LBB537_257:
	s_delay_alu instid0(SALU_CYCLE_1)
	s_and_not1_b32 vcc_lo, exec_lo, s2
	s_cbranch_vccnz .LBB537_263
; %bb.258:
	v_cmp_gt_i16_e64 s2, s34, 0
	s_delay_alu instid0(VALU_DEP_1)
	s_and_b32 vcc_lo, exec_lo, s2
	s_mov_b32 s2, 0
	s_cbranch_vccz .LBB537_260
; %bb.259:
	global_load_i8 v3, v[1:2], off
	s_waitcnt vmcnt(0)
	v_cvt_f32_i32_e32 v3, v3
	s_delay_alu instid0(VALU_DEP_1) | instskip(NEXT) | instid1(VALU_DEP_1)
	v_bfe_u32 v5, v3, 16, 1
	v_add3_u32 v3, v3, v5, 0x7fff
	s_delay_alu instid0(VALU_DEP_1)
	v_lshrrev_b32_e32 v3, 16, v3
	s_branch .LBB537_261
.LBB537_260:
	s_mov_b32 s2, -1
                                        ; implicit-def: $vgpr3
.LBB537_261:
	s_delay_alu instid0(SALU_CYCLE_1)
	s_and_not1_b32 vcc_lo, exec_lo, s2
	s_cbranch_vccnz .LBB537_263
; %bb.262:
	global_load_u8 v1, v[1:2], off
	s_waitcnt vmcnt(0)
	v_cvt_f32_ubyte0_e32 v1, v1
	s_delay_alu instid0(VALU_DEP_1) | instskip(NEXT) | instid1(VALU_DEP_1)
	v_bfe_u32 v2, v1, 16, 1
	v_add3_u32 v1, v1, v2, 0x7fff
	s_delay_alu instid0(VALU_DEP_1)
	v_lshrrev_b32_e32 v3, 16, v1
.LBB537_263:
	s_branch .LBB537_24
.LBB537_264:
	s_mov_b32 s2, 0
.LBB537_265:
	s_mov_b32 s24, 0
                                        ; implicit-def: $vgpr4
.LBB537_266:
	s_and_b32 s39, s2, exec_lo
	s_and_b32 s40, s3, exec_lo
	s_or_not1_b32 s3, s24, exec_lo
.LBB537_267:
	s_or_b32 exec_lo, exec_lo, s41
	s_mov_b32 s24, 0
	s_mov_b32 s2, 0
                                        ; implicit-def: $vgpr1_vgpr2
                                        ; implicit-def: $vgpr0
                                        ; implicit-def: $vgpr5
	s_and_saveexec_b32 s41, s3
	s_cbranch_execz .LBB537_918
; %bb.268:
	s_mov_b32 s2, -1
	s_mov_b32 s42, s40
	s_mov_b32 s43, s39
	s_mov_b32 s44, exec_lo
	v_cmpx_gt_i32_e64 s36, v4
	s_cbranch_execz .LBB537_541
; %bb.269:
	s_and_not1_b32 vcc_lo, exec_lo, s29
	s_cbranch_vccnz .LBB537_274
; %bb.270:
	v_dual_mov_b32 v0, 0 :: v_dual_mov_b32 v1, 0
	s_and_not1_b32 vcc_lo, exec_lo, s38
	s_mov_b32 s42, 0
	s_cbranch_vccnz .LBB537_279
; %bb.271:
	v_mov_b32_e32 v0, 0
	s_add_i32 s45, s37, 1
	s_cmp_eq_u32 s27, 2
	s_mov_b32 s43, 0
	s_cbranch_scc1 .LBB537_275
; %bb.272:
	v_dual_mov_b32 v1, 0 :: v_dual_mov_b32 v0, 0
	v_mov_b32_e32 v2, v4
	s_and_b32 s43, s45, 28
	s_mov_b32 s46, 0
	s_mov_b64 s[2:3], s[22:23]
	s_mov_b64 s[24:25], s[16:17]
.LBB537_273:                            ; =>This Inner Loop Header: Depth=1
	s_clause 0x1
	s_load_b256 s[48:55], s[24:25], 0x4
	s_load_b128 s[64:67], s[24:25], 0x24
	s_load_b256 s[56:63], s[2:3], 0x0
	s_add_u32 s24, s24, 48
	s_addc_u32 s25, s25, 0
	s_add_i32 s46, s46, 4
	s_add_u32 s2, s2, 32
	s_addc_u32 s3, s3, 0
	s_cmp_eq_u32 s43, s46
	s_waitcnt vmcnt(0) lgkmcnt(0)
	v_mul_hi_u32 v3, s49, v2
	s_delay_alu instid0(VALU_DEP_1) | instskip(NEXT) | instid1(VALU_DEP_1)
	v_add_nc_u32_e32 v3, v2, v3
	v_lshrrev_b32_e32 v3, s50, v3
	s_delay_alu instid0(VALU_DEP_1) | instskip(SKIP_1) | instid1(VALU_DEP_2)
	v_mul_hi_u32 v5, s52, v3
	v_mul_lo_u32 v7, v3, s48
	v_add_nc_u32_e32 v5, v3, v5
	s_delay_alu instid0(VALU_DEP_2) | instskip(NEXT) | instid1(VALU_DEP_2)
	v_sub_nc_u32_e32 v2, v2, v7
	v_lshrrev_b32_e32 v5, s53, v5
	s_delay_alu instid0(VALU_DEP_2) | instskip(SKIP_1) | instid1(VALU_DEP_3)
	v_mul_lo_u32 v7, v2, s56
	v_mul_lo_u32 v9, v2, s57
	v_mul_hi_u32 v6, s55, v5
	s_delay_alu instid0(VALU_DEP_1) | instskip(NEXT) | instid1(VALU_DEP_1)
	v_add_nc_u32_e32 v6, v5, v6
	v_lshrrev_b32_e32 v6, s64, v6
	s_delay_alu instid0(VALU_DEP_1) | instskip(SKIP_1) | instid1(VALU_DEP_2)
	v_mul_hi_u32 v8, s66, v6
	v_mul_lo_u32 v10, v6, s54
	v_add_nc_u32_e32 v2, v6, v8
	v_mul_lo_u32 v8, v5, s51
	s_delay_alu instid0(VALU_DEP_3) | instskip(NEXT) | instid1(VALU_DEP_3)
	v_sub_nc_u32_e32 v5, v5, v10
	v_lshrrev_b32_e32 v2, s67, v2
	s_delay_alu instid0(VALU_DEP_2) | instskip(SKIP_2) | instid1(VALU_DEP_4)
	v_mul_lo_u32 v10, v5, s60
	v_mul_lo_u32 v5, v5, s61
	v_sub_nc_u32_e32 v3, v3, v8
	v_mul_lo_u32 v11, v2, s65
	s_delay_alu instid0(VALU_DEP_2) | instskip(SKIP_1) | instid1(VALU_DEP_3)
	v_mul_lo_u32 v8, v3, s58
	v_mul_lo_u32 v3, v3, s59
	v_sub_nc_u32_e32 v6, v6, v11
	s_delay_alu instid0(VALU_DEP_3) | instskip(NEXT) | instid1(VALU_DEP_2)
	v_add3_u32 v0, v7, v0, v8
	v_mul_lo_u32 v11, v6, s62
	v_mul_lo_u32 v6, v6, s63
	v_add3_u32 v1, v9, v1, v3
	s_delay_alu instid0(VALU_DEP_3) | instskip(NEXT) | instid1(VALU_DEP_2)
	v_add3_u32 v0, v10, v0, v11
	v_add3_u32 v1, v5, v1, v6
	s_cbranch_scc0 .LBB537_273
	s_branch .LBB537_276
.LBB537_274:
	s_mov_b32 s42, -1
                                        ; implicit-def: $vgpr0
                                        ; implicit-def: $vgpr1
	s_branch .LBB537_279
.LBB537_275:
	v_dual_mov_b32 v2, v4 :: v_dual_mov_b32 v1, 0
.LBB537_276:
	s_and_b32 s45, s45, 3
	s_delay_alu instid0(SALU_CYCLE_1)
	s_cmp_eq_u32 s45, 0
	s_cbranch_scc1 .LBB537_279
; %bb.277:
	s_lshl_b32 s2, s43, 3
	s_mul_i32 s24, s43, 12
	s_add_u32 s2, s2, s16
	s_addc_u32 s3, s17, 0
	s_add_u32 s2, s2, 0xc4
	s_addc_u32 s3, s3, 0
	;; [unrolled: 2-line block ×3, first 2 shown]
	.p2align	6
.LBB537_278:                            ; =>This Inner Loop Header: Depth=1
	s_clause 0x1
	s_load_b64 s[46:47], s[24:25], 0x4
	s_load_b32 s43, s[24:25], 0xc
	s_load_b64 s[48:49], s[2:3], 0x0
	s_add_u32 s24, s24, 12
	s_addc_u32 s25, s25, 0
	s_add_u32 s2, s2, 8
	s_addc_u32 s3, s3, 0
	s_add_i32 s45, s45, -1
	s_delay_alu instid0(SALU_CYCLE_1) | instskip(SKIP_2) | instid1(VALU_DEP_1)
	s_cmp_lg_u32 s45, 0
	s_waitcnt vmcnt(0) lgkmcnt(0)
	v_mul_hi_u32 v3, s47, v2
	v_add_nc_u32_e32 v3, v2, v3
	s_delay_alu instid0(VALU_DEP_1) | instskip(NEXT) | instid1(VALU_DEP_1)
	v_lshrrev_b32_e32 v3, s43, v3
	v_mul_lo_u32 v5, v3, s46
	s_delay_alu instid0(VALU_DEP_1) | instskip(NEXT) | instid1(VALU_DEP_1)
	v_sub_nc_u32_e32 v2, v2, v5
	v_mad_u64_u32 v[5:6], null, v2, s48, v[0:1]
	v_mad_u64_u32 v[6:7], null, v2, s49, v[1:2]
	v_mov_b32_e32 v2, v3
	s_delay_alu instid0(VALU_DEP_2)
	v_dual_mov_b32 v0, v5 :: v_dual_mov_b32 v1, v6
	s_cbranch_scc1 .LBB537_278
.LBB537_279:
	s_and_not1_b32 vcc_lo, exec_lo, s42
	s_cbranch_vccnz .LBB537_282
; %bb.280:
	v_mul_hi_u32 v0, s9, v4
	s_and_not1_b32 vcc_lo, exec_lo, s35
	s_delay_alu instid0(VALU_DEP_1) | instskip(NEXT) | instid1(VALU_DEP_1)
	v_add_nc_u32_e32 v0, v4, v0
	v_lshrrev_b32_e32 v2, s10, v0
	s_delay_alu instid0(VALU_DEP_1) | instskip(NEXT) | instid1(VALU_DEP_1)
	v_mul_lo_u32 v0, v2, s8
	v_sub_nc_u32_e32 v1, v4, v0
	s_delay_alu instid0(VALU_DEP_1)
	v_mul_lo_u32 v0, v1, s12
	v_mul_lo_u32 v1, v1, s13
	s_cbranch_vccnz .LBB537_282
; %bb.281:
	s_waitcnt vmcnt(0)
	v_mul_hi_u32 v3, s20, v2
	s_delay_alu instid0(VALU_DEP_1) | instskip(NEXT) | instid1(VALU_DEP_1)
	v_add_nc_u32_e32 v3, v2, v3
	v_lshrrev_b32_e32 v3, s21, v3
	s_delay_alu instid0(VALU_DEP_1) | instskip(NEXT) | instid1(VALU_DEP_1)
	v_mul_lo_u32 v3, v3, s11
	v_sub_nc_u32_e32 v7, v2, v3
	s_delay_alu instid0(VALU_DEP_1) | instskip(NEXT) | instid1(VALU_DEP_1)
	v_mad_u64_u32 v[2:3], null, v7, s14, v[0:1]
	v_mad_u64_u32 v[5:6], null, v7, s15, v[1:2]
	s_delay_alu instid0(VALU_DEP_1)
	v_dual_mov_b32 v0, v2 :: v_dual_mov_b32 v1, v5
.LBB537_282:
	v_cmp_lt_i16_e64 s2, s34, 11
	s_delay_alu instid0(VALU_DEP_2) | instskip(NEXT) | instid1(VALU_DEP_1)
	v_add_co_u32 v1, s3, s6, v1
	v_add_co_ci_u32_e64 v2, null, s7, 0, s3
	s_delay_alu instid0(VALU_DEP_3)
	s_and_b32 vcc_lo, exec_lo, s2
	s_mov_b32 s2, 0
	s_cbranch_vccnz .LBB537_289
; %bb.283:
	v_cmp_gt_i16_e64 s2, s34, 25
	s_delay_alu instid0(VALU_DEP_1)
	s_and_b32 vcc_lo, exec_lo, s2
	s_cbranch_vccz .LBB537_342
; %bb.284:
	v_cmp_gt_i16_e64 s2, s34, 28
	s_delay_alu instid0(VALU_DEP_1)
	s_and_b32 vcc_lo, exec_lo, s2
	s_cbranch_vccz .LBB537_343
	;; [unrolled: 5-line block ×4, first 2 shown]
; %bb.287:
	v_cmp_eq_u16_e64 s2, s34, 46
	s_mov_b32 s24, 0
	s_delay_alu instid0(VALU_DEP_1)
	s_and_b32 vcc_lo, exec_lo, s2
	s_cbranch_vccz .LBB537_351
; %bb.288:
	global_load_b32 v3, v[1:2], off
	s_mov_b32 s2, -1
	s_mov_b32 s3, 0
	s_branch .LBB537_353
.LBB537_289:
	s_mov_b32 s3, s40
                                        ; implicit-def: $vgpr3
	s_cbranch_execnz .LBB537_490
.LBB537_290:
	s_and_not1_b32 vcc_lo, exec_lo, s2
	s_cbranch_vccnz .LBB537_538
.LBB537_291:
	s_waitcnt vmcnt(0)
	s_delay_alu instid0(VALU_DEP_1) | instskip(SKIP_1) | instid1(VALU_DEP_1)
	v_dual_mov_b32 v2, s18 :: v_dual_lshlrev_b32 v1, 16, v3
	s_mov_b32 s2, exec_lo
	v_cmpx_o_f32_e32 v1, v1
	s_cbranch_execz .LBB537_295
; %bb.292:
	v_mov_b32_e32 v2, s33
	s_mov_b32 s24, exec_lo
	v_cmpx_neq_f32_e32 0x7f800000, v1
; %bb.293:
	v_cmp_eq_f32_e32 vcc_lo, 0xff800000, v1
	v_cndmask_b32_e64 v2, v3, s19, vcc_lo
; %bb.294:
	s_or_b32 exec_lo, exec_lo, s24
.LBB537_295:
	s_delay_alu instid0(SALU_CYCLE_1) | instskip(SKIP_2) | instid1(VALU_DEP_1)
	s_or_b32 exec_lo, exec_lo, s2
	v_and_b32_e64 v3, 0xff, s31
	v_add_co_u32 v0, s2, s4, v0
	v_add_co_ci_u32_e64 v1, null, s5, 0, s2
	s_delay_alu instid0(VALU_DEP_3)
	v_cmp_gt_i16_e32 vcc_lo, 11, v3
	s_mov_b32 s24, 0
	s_mov_b32 s25, -1
	s_mov_b32 s2, s39
	s_cbranch_vccnz .LBB537_302
; %bb.296:
	v_cmp_lt_i16_e32 vcc_lo, 25, v3
	s_cbranch_vccz .LBB537_344
; %bb.297:
	v_cmp_lt_i16_e32 vcc_lo, 28, v3
	s_cbranch_vccz .LBB537_346
	;; [unrolled: 3-line block ×4, first 2 shown]
; %bb.300:
	v_cmp_eq_u16_e32 vcc_lo, 46, v3
	s_mov_b32 s25, 0
	s_mov_b32 s2, -1
	s_cbranch_vccz .LBB537_357
; %bb.301:
	v_and_b32_e32 v5, 0xffff, v2
	s_mov_b32 s24, -1
	s_mov_b32 s2, 0
	global_store_b32 v[0:1], v5, off
	s_branch .LBB537_357
.LBB537_302:
	s_and_b32 vcc_lo, exec_lo, s25
	s_cbranch_vccz .LBB537_426
; %bb.303:
	v_cmp_gt_i16_e32 vcc_lo, 5, v3
	s_mov_b32 s24, -1
	s_cbranch_vccnz .LBB537_324
; %bb.304:
	v_cmp_gt_i16_e32 vcc_lo, 8, v3
	s_cbranch_vccnz .LBB537_314
; %bb.305:
	v_cmp_gt_i16_e32 vcc_lo, 9, v3
	s_cbranch_vccnz .LBB537_311
; %bb.306:
	v_cmp_lt_i16_e32 vcc_lo, 9, v3
	s_cbranch_vccz .LBB537_308
; %bb.307:
	v_mov_b32_e32 v7, 0
	v_lshlrev_b32_e32 v5, 16, v2
	s_mov_b32 s24, 0
	s_delay_alu instid0(VALU_DEP_2) | instskip(NEXT) | instid1(VALU_DEP_2)
	v_mov_b32_e32 v8, v7
	v_cvt_f64_f32_e32 v[5:6], v5
	global_store_b128 v[0:1], v[5:8], off
.LBB537_308:
	s_and_not1_b32 vcc_lo, exec_lo, s24
	s_cbranch_vccnz .LBB537_310
; %bb.309:
	v_dual_mov_b32 v6, 0 :: v_dual_lshlrev_b32 v5, 16, v2
	global_store_b64 v[0:1], v[5:6], off
.LBB537_310:
	s_mov_b32 s24, 0
.LBB537_311:
	s_delay_alu instid0(SALU_CYCLE_1)
	s_and_not1_b32 vcc_lo, exec_lo, s24
	s_cbranch_vccnz .LBB537_313
; %bb.312:
	v_lshlrev_b32_e32 v5, 16, v2
	s_delay_alu instid0(VALU_DEP_1) | instskip(NEXT) | instid1(VALU_DEP_1)
	v_cvt_f16_f32_e32 v5, v5
	v_and_b32_e32 v5, 0xffff, v5
	global_store_b32 v[0:1], v5, off
.LBB537_313:
	s_mov_b32 s24, 0
.LBB537_314:
	s_delay_alu instid0(SALU_CYCLE_1)
	s_and_not1_b32 vcc_lo, exec_lo, s24
	s_cbranch_vccnz .LBB537_323
; %bb.315:
	v_cmp_gt_i16_e32 vcc_lo, 6, v3
	s_mov_b32 s24, -1
	s_cbranch_vccnz .LBB537_321
; %bb.316:
	v_cmp_lt_i16_e32 vcc_lo, 6, v3
	s_cbranch_vccz .LBB537_318
; %bb.317:
	v_lshlrev_b32_e32 v5, 16, v2
	s_mov_b32 s24, 0
	s_delay_alu instid0(VALU_DEP_1)
	v_cvt_f64_f32_e32 v[5:6], v5
	global_store_b64 v[0:1], v[5:6], off
.LBB537_318:
	s_and_not1_b32 vcc_lo, exec_lo, s24
	s_cbranch_vccnz .LBB537_320
; %bb.319:
	v_lshlrev_b32_e32 v5, 16, v2
	global_store_b32 v[0:1], v5, off
.LBB537_320:
	s_mov_b32 s24, 0
.LBB537_321:
	s_delay_alu instid0(SALU_CYCLE_1)
	s_and_not1_b32 vcc_lo, exec_lo, s24
	s_cbranch_vccnz .LBB537_323
; %bb.322:
	v_lshlrev_b32_e32 v5, 16, v2
	s_delay_alu instid0(VALU_DEP_1)
	v_cvt_f16_f32_e32 v5, v5
	global_store_b16 v[0:1], v5, off
.LBB537_323:
	s_mov_b32 s24, 0
.LBB537_324:
	s_delay_alu instid0(SALU_CYCLE_1)
	s_and_not1_b32 vcc_lo, exec_lo, s24
	s_cbranch_vccnz .LBB537_340
; %bb.325:
	v_cmp_gt_i16_e32 vcc_lo, 2, v3
	s_mov_b32 s24, -1
	s_cbranch_vccnz .LBB537_335
; %bb.326:
	v_cmp_gt_i16_e32 vcc_lo, 3, v3
	s_cbranch_vccnz .LBB537_332
; %bb.327:
	v_cmp_lt_i16_e32 vcc_lo, 3, v3
	s_cbranch_vccz .LBB537_329
; %bb.328:
	v_lshlrev_b32_e32 v5, 16, v2
	s_mov_b32 s24, 0
	s_delay_alu instid0(VALU_DEP_1) | instskip(NEXT) | instid1(VALU_DEP_1)
	v_trunc_f32_e32 v5, v5
	v_mul_f32_e64 v6, 0x2f800000, |v5|
	v_ashrrev_i32_e32 v8, 31, v5
	s_delay_alu instid0(VALU_DEP_2) | instskip(NEXT) | instid1(VALU_DEP_1)
	v_floor_f32_e32 v6, v6
	v_fma_f32 v7, 0xcf800000, v6, |v5|
	v_cvt_u32_f32_e32 v6, v6
	s_delay_alu instid0(VALU_DEP_2) | instskip(NEXT) | instid1(VALU_DEP_2)
	v_cvt_u32_f32_e32 v5, v7
	v_xor_b32_e32 v6, v6, v8
	s_delay_alu instid0(VALU_DEP_2) | instskip(NEXT) | instid1(VALU_DEP_1)
	v_xor_b32_e32 v5, v5, v8
	v_sub_co_u32 v5, vcc_lo, v5, v8
	s_delay_alu instid0(VALU_DEP_3)
	v_sub_co_ci_u32_e32 v6, vcc_lo, v6, v8, vcc_lo
	global_store_b64 v[0:1], v[5:6], off
.LBB537_329:
	s_and_not1_b32 vcc_lo, exec_lo, s24
	s_cbranch_vccnz .LBB537_331
; %bb.330:
	v_lshlrev_b32_e32 v5, 16, v2
	s_delay_alu instid0(VALU_DEP_1)
	v_cvt_i32_f32_e32 v5, v5
	global_store_b32 v[0:1], v5, off
.LBB537_331:
	s_mov_b32 s24, 0
.LBB537_332:
	s_delay_alu instid0(SALU_CYCLE_1)
	s_and_not1_b32 vcc_lo, exec_lo, s24
	s_cbranch_vccnz .LBB537_334
; %bb.333:
	v_lshlrev_b32_e32 v5, 16, v2
	s_delay_alu instid0(VALU_DEP_1)
	v_cvt_i32_f32_e32 v5, v5
	global_store_b16 v[0:1], v5, off
.LBB537_334:
	s_mov_b32 s24, 0
.LBB537_335:
	s_delay_alu instid0(SALU_CYCLE_1)
	s_and_not1_b32 vcc_lo, exec_lo, s24
	s_cbranch_vccnz .LBB537_340
; %bb.336:
	v_cmp_lt_i16_e32 vcc_lo, 0, v3
	s_mov_b32 s24, -1
	s_cbranch_vccz .LBB537_338
; %bb.337:
	v_lshlrev_b32_e32 v3, 16, v2
	s_mov_b32 s24, 0
	s_delay_alu instid0(VALU_DEP_1)
	v_cvt_i32_f32_e32 v3, v3
	global_store_b8 v[0:1], v3, off
.LBB537_338:
	s_and_not1_b32 vcc_lo, exec_lo, s24
	s_cbranch_vccnz .LBB537_340
; %bb.339:
	v_lshlrev_b32_e32 v2, 16, v2
	s_delay_alu instid0(VALU_DEP_1) | instskip(NEXT) | instid1(VALU_DEP_1)
	v_trunc_f32_e32 v2, v2
	v_mul_f32_e64 v3, 0x2f800000, |v2|
	s_delay_alu instid0(VALU_DEP_1) | instskip(NEXT) | instid1(VALU_DEP_1)
	v_floor_f32_e32 v3, v3
	v_fma_f32 v3, 0xcf800000, v3, |v2|
	v_ashrrev_i32_e32 v2, 31, v2
	s_delay_alu instid0(VALU_DEP_2) | instskip(NEXT) | instid1(VALU_DEP_1)
	v_cvt_u32_f32_e32 v3, v3
	v_xor_b32_e32 v3, v3, v2
	s_delay_alu instid0(VALU_DEP_1)
	v_sub_nc_u32_e32 v2, v3, v2
	global_store_b8 v[0:1], v2, off
.LBB537_340:
	s_branch .LBB537_427
.LBB537_341:
	s_mov_b32 s24, 0
	s_branch .LBB537_539
.LBB537_342:
	s_mov_b32 s24, -1
	s_mov_b32 s2, 0
	s_mov_b32 s3, s40
                                        ; implicit-def: $vgpr3
	s_branch .LBB537_454
.LBB537_343:
	s_mov_b32 s24, -1
	s_mov_b32 s2, 0
	s_mov_b32 s3, s40
                                        ; implicit-def: $vgpr3
	s_branch .LBB537_435
.LBB537_344:
	s_mov_b32 s2, s39
	s_branch .LBB537_384
.LBB537_345:
	s_mov_b32 s24, -1
	s_mov_b32 s2, 0
	s_mov_b32 s3, s40
                                        ; implicit-def: $vgpr3
	s_branch .LBB537_430
.LBB537_346:
	s_mov_b32 s2, s39
	s_branch .LBB537_367
.LBB537_347:
	s_mov_b32 s24, -1
	s_mov_b32 s2, 0
	s_mov_b32 s3, s40
	s_branch .LBB537_352
.LBB537_348:
	s_mov_b32 s2, s39
	s_branch .LBB537_363
.LBB537_349:
	s_or_saveexec_b32 s39, s39
                                        ; implicit-def: $sgpr40
	s_delay_alu instid0(SALU_CYCLE_1)
	s_xor_b32 exec_lo, exec_lo, s39
	s_cbranch_execz .LBB537_69
.LBB537_350:
	v_add_f32_e64 v6, 0x42800000, |v7|
	s_and_not1_b32 s25, s25, exec_lo
	s_mov_b32 s40, 0
	s_delay_alu instid0(VALU_DEP_1) | instskip(NEXT) | instid1(VALU_DEP_1)
	v_and_b32_e32 v6, 0xff, v6
	v_cmp_ne_u32_e32 vcc_lo, 0, v6
	s_and_b32 s43, vcc_lo, exec_lo
	s_delay_alu instid0(SALU_CYCLE_1)
	s_or_b32 s25, s25, s43
	s_or_b32 exec_lo, exec_lo, s39
	v_mov_b32_e32 v8, s40
	s_and_saveexec_b32 s39, s25
	s_cbranch_execnz .LBB537_70
	s_branch .LBB537_71
.LBB537_351:
	s_mov_b32 s3, -1
	s_mov_b32 s2, 0
.LBB537_352:
                                        ; implicit-def: $vgpr3
.LBB537_353:
	s_and_b32 vcc_lo, exec_lo, s24
	s_cbranch_vccz .LBB537_429
; %bb.354:
	v_cmp_eq_u16_e64 s3, s34, 44
	s_delay_alu instid0(VALU_DEP_1)
	s_and_b32 vcc_lo, exec_lo, s3
	s_cbranch_vccz .LBB537_428
; %bb.355:
	global_load_u8 v3, v[1:2], off
	s_mov_b32 s3, 0
	s_mov_b32 s2, -1
	s_waitcnt vmcnt(0)
	v_lshlrev_b32_e32 v5, 23, v3
	v_cmp_ne_u32_e32 vcc_lo, 0xff, v3
	s_delay_alu instid0(VALU_DEP_2) | instskip(SKIP_1) | instid1(VALU_DEP_2)
	v_cndmask_b32_e32 v5, 0x7f800001, v5, vcc_lo
	v_cmp_ne_u32_e32 vcc_lo, 0, v3
	v_cndmask_b32_e32 v3, 0x400000, v5, vcc_lo
	s_delay_alu instid0(VALU_DEP_1) | instskip(SKIP_1) | instid1(VALU_DEP_2)
	v_add_nc_u32_e32 v5, 0x7fff, v3
	v_cmp_o_f32_e32 vcc_lo, v3, v3
	v_lshrrev_b32_e32 v5, 16, v5
	s_delay_alu instid0(VALU_DEP_1)
	v_cndmask_b32_e32 v3, 0x7fc0, v5, vcc_lo
	s_branch .LBB537_429
.LBB537_356:
	s_mov_b32 s2, s39
.LBB537_357:
	s_and_b32 vcc_lo, exec_lo, s25
	s_cbranch_vccz .LBB537_362
; %bb.358:
	v_cmp_eq_u16_e32 vcc_lo, 44, v3
	s_mov_b32 s2, -1
	s_cbranch_vccz .LBB537_362
; %bb.359:
	v_and_b32_e32 v5, 0xffff, v2
	v_mov_b32_e32 v6, 0xff
	s_mov_b32 s24, exec_lo
	s_delay_alu instid0(VALU_DEP_2) | instskip(NEXT) | instid1(VALU_DEP_1)
	v_bfe_u32 v7, v5, 7, 8
	v_cmpx_ne_u32_e32 0xff, v7
; %bb.360:
	v_lshlrev_b32_e32 v6, 16, v5
	v_and_b32_e32 v8, 64, v5
	v_lshrrev_b32_e32 v5, 7, v5
	s_delay_alu instid0(VALU_DEP_3) | instskip(NEXT) | instid1(VALU_DEP_3)
	v_and_or_b32 v6, 0x3f0000, v6, v7
	v_cmp_ne_u32_e32 vcc_lo, 0, v8
	s_delay_alu instid0(VALU_DEP_2) | instskip(NEXT) | instid1(VALU_DEP_1)
	v_cmp_ne_u32_e64 s2, 0, v6
	s_and_b32 s2, vcc_lo, s2
	s_delay_alu instid0(SALU_CYCLE_1) | instskip(NEXT) | instid1(VALU_DEP_1)
	v_cndmask_b32_e64 v6, 0, 1, s2
	v_add_nc_u32_e32 v6, v5, v6
; %bb.361:
	s_or_b32 exec_lo, exec_lo, s24
	s_mov_b32 s24, -1
	s_mov_b32 s2, 0
	global_store_b8 v[0:1], v6, off
.LBB537_362:
	s_mov_b32 s25, 0
.LBB537_363:
	s_delay_alu instid0(SALU_CYCLE_1)
	s_and_b32 vcc_lo, exec_lo, s25
	s_cbranch_vccz .LBB537_366
; %bb.364:
	v_cmp_eq_u16_e32 vcc_lo, 29, v3
	s_mov_b32 s2, -1
	s_cbranch_vccz .LBB537_366
; %bb.365:
	v_lshlrev_b32_e32 v5, 16, v2
	s_mov_b32 s24, -1
	s_mov_b32 s2, 0
	s_mov_b32 s25, 0
	s_delay_alu instid0(VALU_DEP_1) | instskip(NEXT) | instid1(VALU_DEP_1)
	v_trunc_f32_e32 v5, v5
	v_mul_f32_e32 v6, 0x2f800000, v5
	s_delay_alu instid0(VALU_DEP_1) | instskip(NEXT) | instid1(VALU_DEP_1)
	v_floor_f32_e32 v6, v6
	v_fmamk_f32 v5, v6, 0xcf800000, v5
	v_cvt_u32_f32_e32 v6, v6
	s_delay_alu instid0(VALU_DEP_2)
	v_cvt_u32_f32_e32 v5, v5
	global_store_b64 v[0:1], v[5:6], off
	s_branch .LBB537_367
.LBB537_366:
	s_mov_b32 s25, 0
.LBB537_367:
	s_delay_alu instid0(SALU_CYCLE_1)
	s_and_b32 vcc_lo, exec_lo, s25
	s_cbranch_vccz .LBB537_383
; %bb.368:
	v_cmp_gt_i16_e32 vcc_lo, 27, v3
	s_mov_b32 s24, -1
	s_cbranch_vccnz .LBB537_374
; %bb.369:
	v_cmp_lt_i16_e32 vcc_lo, 27, v3
	s_cbranch_vccz .LBB537_371
; %bb.370:
	v_lshlrev_b32_e32 v5, 16, v2
	s_mov_b32 s24, 0
	s_delay_alu instid0(VALU_DEP_1)
	v_cvt_u32_f32_e32 v5, v5
	global_store_b32 v[0:1], v5, off
.LBB537_371:
	s_and_not1_b32 vcc_lo, exec_lo, s24
	s_cbranch_vccnz .LBB537_373
; %bb.372:
	v_lshlrev_b32_e32 v5, 16, v2
	s_delay_alu instid0(VALU_DEP_1)
	v_cvt_u32_f32_e32 v5, v5
	global_store_b16 v[0:1], v5, off
.LBB537_373:
	s_mov_b32 s24, 0
.LBB537_374:
	s_delay_alu instid0(SALU_CYCLE_1)
	s_and_not1_b32 vcc_lo, exec_lo, s24
	s_cbranch_vccnz .LBB537_382
; %bb.375:
	v_dual_mov_b32 v8, 0x80 :: v_dual_lshlrev_b32 v7, 16, v2
	s_mov_b32 s24, exec_lo
	s_delay_alu instid0(VALU_DEP_1) | instskip(NEXT) | instid1(VALU_DEP_1)
	v_and_b32_e32 v6, 0x7fffffff, v7
	v_cmpx_gt_u32_e32 0x43800000, v6
	s_cbranch_execz .LBB537_381
; %bb.376:
	v_and_b32_e32 v5, 0xffff, v2
	v_cmp_lt_u32_e32 vcc_lo, 0x3bffffff, v6
	s_mov_b32 s25, 0
                                        ; implicit-def: $vgpr6
	s_and_saveexec_b32 s42, vcc_lo
	s_delay_alu instid0(SALU_CYCLE_1)
	s_xor_b32 s42, exec_lo, s42
	s_cbranch_execz .LBB537_567
; %bb.377:
	v_bfe_u32 v6, v5, 4, 1
	s_mov_b32 s25, exec_lo
	s_delay_alu instid0(VALU_DEP_1) | instskip(NEXT) | instid1(VALU_DEP_1)
	v_add3_u32 v6, v7, v6, 0x487ffff
                                        ; implicit-def: $vgpr7
	v_lshrrev_b32_e32 v6, 20, v6
	s_or_saveexec_b32 s42, s42
                                        ; implicit-def: $sgpr43
	s_delay_alu instid0(SALU_CYCLE_1)
	s_xor_b32 exec_lo, exec_lo, s42
	s_cbranch_execnz .LBB537_568
.LBB537_378:
	s_or_b32 exec_lo, exec_lo, s42
	v_mov_b32_e32 v8, s43
	s_and_saveexec_b32 s42, s25
.LBB537_379:
	v_lshrrev_b32_e32 v5, 8, v5
	s_delay_alu instid0(VALU_DEP_1)
	v_and_or_b32 v8, 0x80, v5, v6
.LBB537_380:
	s_or_b32 exec_lo, exec_lo, s42
.LBB537_381:
	s_delay_alu instid0(SALU_CYCLE_1)
	s_or_b32 exec_lo, exec_lo, s24
	global_store_b8 v[0:1], v8, off
.LBB537_382:
	s_mov_b32 s24, -1
.LBB537_383:
	s_mov_b32 s25, 0
.LBB537_384:
	s_delay_alu instid0(SALU_CYCLE_1)
	s_and_b32 vcc_lo, exec_lo, s25
	s_cbranch_vccz .LBB537_425
; %bb.385:
	v_cmp_lt_i16_e32 vcc_lo, 22, v3
	s_mov_b32 s25, -1
	s_cbranch_vccz .LBB537_417
; %bb.386:
	v_cmp_gt_i16_e32 vcc_lo, 24, v3
	s_mov_b32 s24, -1
	s_cbranch_vccnz .LBB537_406
; %bb.387:
	v_cmp_lt_i16_e32 vcc_lo, 24, v3
	s_cbranch_vccz .LBB537_395
; %bb.388:
	v_dual_mov_b32 v8, 0x80 :: v_dual_lshlrev_b32 v7, 16, v2
	s_mov_b32 s24, exec_lo
	s_delay_alu instid0(VALU_DEP_1) | instskip(NEXT) | instid1(VALU_DEP_1)
	v_and_b32_e32 v6, 0x7fffffff, v7
	v_cmpx_gt_u32_e32 0x47800000, v6
	s_cbranch_execz .LBB537_394
; %bb.389:
	v_and_b32_e32 v5, 0xffff, v2
	v_cmp_lt_u32_e32 vcc_lo, 0x37ffffff, v6
	s_mov_b32 s25, 0
                                        ; implicit-def: $vgpr6
	s_and_saveexec_b32 s42, vcc_lo
	s_delay_alu instid0(SALU_CYCLE_1)
	s_xor_b32 s42, exec_lo, s42
	s_cbranch_execz .LBB537_570
; %bb.390:
	v_bfe_u32 v6, v5, 5, 1
	s_mov_b32 s25, exec_lo
	s_delay_alu instid0(VALU_DEP_1) | instskip(NEXT) | instid1(VALU_DEP_1)
	v_add3_u32 v6, v7, v6, 0x88fffff
                                        ; implicit-def: $vgpr7
	v_lshrrev_b32_e32 v6, 21, v6
	s_or_saveexec_b32 s42, s42
                                        ; implicit-def: $sgpr43
	s_delay_alu instid0(SALU_CYCLE_1)
	s_xor_b32 exec_lo, exec_lo, s42
	s_cbranch_execnz .LBB537_571
.LBB537_391:
	s_or_b32 exec_lo, exec_lo, s42
	v_mov_b32_e32 v8, s43
	s_and_saveexec_b32 s42, s25
.LBB537_392:
	v_lshrrev_b32_e32 v5, 8, v5
	s_delay_alu instid0(VALU_DEP_1)
	v_and_or_b32 v8, 0x80, v5, v6
.LBB537_393:
	s_or_b32 exec_lo, exec_lo, s42
.LBB537_394:
	s_delay_alu instid0(SALU_CYCLE_1)
	s_or_b32 exec_lo, exec_lo, s24
	s_mov_b32 s24, 0
	global_store_b8 v[0:1], v8, off
.LBB537_395:
	s_and_b32 vcc_lo, exec_lo, s24
	s_cbranch_vccz .LBB537_405
; %bb.396:
	v_lshlrev_b32_e32 v7, 16, v2
	v_and_b32_e32 v5, 0xffff, v2
	s_mov_b32 s24, exec_lo
                                        ; implicit-def: $vgpr6
	s_delay_alu instid0(VALU_DEP_2) | instskip(NEXT) | instid1(VALU_DEP_1)
	v_and_b32_e32 v8, 0x7fffffff, v7
	v_cmpx_gt_u32_e32 0x43f00000, v8
	s_xor_b32 s24, exec_lo, s24
	s_cbranch_execz .LBB537_402
; %bb.397:
	s_mov_b32 s25, exec_lo
                                        ; implicit-def: $vgpr6
	v_cmpx_lt_u32_e32 0x3c7fffff, v8
	s_xor_b32 s25, exec_lo, s25
; %bb.398:
	v_bfe_u32 v6, v5, 4, 1
	s_delay_alu instid0(VALU_DEP_1) | instskip(NEXT) | instid1(VALU_DEP_1)
	v_add3_u32 v6, v7, v6, 0x407ffff
	v_and_b32_e32 v7, 0xff00000, v6
	v_lshrrev_b32_e32 v6, 20, v6
	s_delay_alu instid0(VALU_DEP_2) | instskip(NEXT) | instid1(VALU_DEP_2)
	v_cmp_ne_u32_e32 vcc_lo, 0x7f00000, v7
                                        ; implicit-def: $vgpr7
	v_cndmask_b32_e32 v6, 0x7e, v6, vcc_lo
; %bb.399:
	s_and_not1_saveexec_b32 s25, s25
; %bb.400:
	v_add_f32_e64 v6, 0x46800000, |v7|
; %bb.401:
	s_or_b32 exec_lo, exec_lo, s25
                                        ; implicit-def: $vgpr8
.LBB537_402:
	s_and_not1_saveexec_b32 s24, s24
; %bb.403:
	v_mov_b32_e32 v6, 0x7f
	v_cmp_lt_u32_e32 vcc_lo, 0x7f800000, v8
	s_delay_alu instid0(VALU_DEP_2)
	v_cndmask_b32_e32 v6, 0x7e, v6, vcc_lo
; %bb.404:
	s_or_b32 exec_lo, exec_lo, s24
	v_lshrrev_b32_e32 v5, 8, v5
	s_delay_alu instid0(VALU_DEP_1)
	v_and_or_b32 v5, 0x80, v5, v6
	global_store_b8 v[0:1], v5, off
.LBB537_405:
	s_mov_b32 s24, 0
.LBB537_406:
	s_delay_alu instid0(SALU_CYCLE_1)
	s_and_not1_b32 vcc_lo, exec_lo, s24
	s_cbranch_vccnz .LBB537_416
; %bb.407:
	v_lshlrev_b32_e32 v7, 16, v2
	v_and_b32_e32 v5, 0xffff, v2
	s_mov_b32 s24, exec_lo
                                        ; implicit-def: $vgpr6
	s_delay_alu instid0(VALU_DEP_2) | instskip(NEXT) | instid1(VALU_DEP_1)
	v_and_b32_e32 v8, 0x7fffffff, v7
	v_cmpx_gt_u32_e32 0x47800000, v8
	s_xor_b32 s24, exec_lo, s24
	s_cbranch_execz .LBB537_413
; %bb.408:
	s_mov_b32 s25, exec_lo
                                        ; implicit-def: $vgpr6
	v_cmpx_lt_u32_e32 0x387fffff, v8
	s_xor_b32 s25, exec_lo, s25
; %bb.409:
	v_bfe_u32 v6, v5, 5, 1
	s_delay_alu instid0(VALU_DEP_1) | instskip(NEXT) | instid1(VALU_DEP_1)
	v_add3_u32 v6, v7, v6, 0x80fffff
                                        ; implicit-def: $vgpr7
	v_lshrrev_b32_e32 v6, 21, v6
; %bb.410:
	s_and_not1_saveexec_b32 s25, s25
; %bb.411:
	v_add_f32_e64 v6, 0x43000000, |v7|
; %bb.412:
	s_or_b32 exec_lo, exec_lo, s25
                                        ; implicit-def: $vgpr8
.LBB537_413:
	s_and_not1_saveexec_b32 s24, s24
; %bb.414:
	v_mov_b32_e32 v6, 0x7f
	v_cmp_lt_u32_e32 vcc_lo, 0x7f800000, v8
	s_delay_alu instid0(VALU_DEP_2)
	v_cndmask_b32_e32 v6, 0x7c, v6, vcc_lo
; %bb.415:
	s_or_b32 exec_lo, exec_lo, s24
	v_lshrrev_b32_e32 v5, 8, v5
	s_delay_alu instid0(VALU_DEP_1)
	v_and_or_b32 v5, 0x80, v5, v6
	global_store_b8 v[0:1], v5, off
.LBB537_416:
	s_mov_b32 s25, 0
	s_mov_b32 s24, -1
.LBB537_417:
	s_and_not1_b32 vcc_lo, exec_lo, s25
	s_cbranch_vccnz .LBB537_425
; %bb.418:
	v_cmp_lt_i16_e32 vcc_lo, 14, v3
	s_mov_b32 s25, -1
	s_cbranch_vccz .LBB537_422
; %bb.419:
	v_cmp_eq_u16_e32 vcc_lo, 15, v3
	s_mov_b32 s2, -1
	s_cbranch_vccz .LBB537_421
; %bb.420:
	s_mov_b32 s24, -1
	s_mov_b32 s2, 0
	global_store_b16 v[0:1], v2, off
.LBB537_421:
	s_mov_b32 s25, 0
.LBB537_422:
	s_delay_alu instid0(SALU_CYCLE_1)
	s_and_b32 vcc_lo, exec_lo, s25
	s_cbranch_vccz .LBB537_425
; %bb.423:
	v_cmp_eq_u16_e32 vcc_lo, 11, v3
	s_mov_b32 s2, -1
	s_cbranch_vccz .LBB537_425
; %bb.424:
	v_and_b32_e32 v5, 0x7fff, v2
	s_mov_b32 s2, 0
	s_mov_b32 s24, -1
	s_delay_alu instid0(VALU_DEP_1)
	v_cmp_ne_u16_e32 vcc_lo, 0, v5
	v_cndmask_b32_e64 v5, 0, 1, vcc_lo
	global_store_b8 v[0:1], v5, off
.LBB537_425:
.LBB537_426:
	s_and_not1_b32 vcc_lo, exec_lo, s24
	s_cbranch_vccnz .LBB537_341
.LBB537_427:
	v_add_nc_u32_e32 v4, 0x80, v4
	s_mov_b32 s24, -1
	s_branch .LBB537_540
.LBB537_428:
	s_mov_b32 s3, -1
                                        ; implicit-def: $vgpr3
.LBB537_429:
	s_mov_b32 s24, 0
.LBB537_430:
	s_delay_alu instid0(SALU_CYCLE_1)
	s_and_b32 vcc_lo, exec_lo, s24
	s_cbranch_vccz .LBB537_434
; %bb.431:
	v_cmp_eq_u16_e64 s3, s34, 29
	s_delay_alu instid0(VALU_DEP_1)
	s_and_b32 vcc_lo, exec_lo, s3
	s_cbranch_vccz .LBB537_433
; %bb.432:
	global_load_b64 v[5:6], v[1:2], off
	s_mov_b32 s2, -1
	s_mov_b32 s3, 0
	s_mov_b32 s24, 0
	s_waitcnt vmcnt(0)
	v_clz_i32_u32_e32 v3, v6
	s_delay_alu instid0(VALU_DEP_1) | instskip(NEXT) | instid1(VALU_DEP_1)
	v_min_u32_e32 v3, 32, v3
	v_lshlrev_b64 v[5:6], v3, v[5:6]
	v_sub_nc_u32_e32 v3, 32, v3
	s_delay_alu instid0(VALU_DEP_2) | instskip(NEXT) | instid1(VALU_DEP_1)
	v_min_u32_e32 v5, 1, v5
	v_or_b32_e32 v5, v6, v5
	s_delay_alu instid0(VALU_DEP_1) | instskip(NEXT) | instid1(VALU_DEP_1)
	v_cvt_f32_u32_e32 v5, v5
	v_ldexp_f32 v3, v5, v3
	s_delay_alu instid0(VALU_DEP_1) | instskip(NEXT) | instid1(VALU_DEP_1)
	v_bfe_u32 v5, v3, 16, 1
	v_add3_u32 v3, v3, v5, 0x7fff
	s_delay_alu instid0(VALU_DEP_1)
	v_lshrrev_b32_e32 v3, 16, v3
	s_branch .LBB537_435
.LBB537_433:
	s_mov_b32 s3, -1
                                        ; implicit-def: $vgpr3
.LBB537_434:
	s_mov_b32 s24, 0
.LBB537_435:
	s_delay_alu instid0(SALU_CYCLE_1)
	s_and_b32 vcc_lo, exec_lo, s24
	s_cbranch_vccz .LBB537_453
; %bb.436:
	v_cmp_lt_i16_e64 s2, s34, 27
	s_delay_alu instid0(VALU_DEP_1)
	s_and_b32 vcc_lo, exec_lo, s2
	s_cbranch_vccnz .LBB537_439
; %bb.437:
	v_cmp_gt_i16_e64 s2, s34, 27
	s_delay_alu instid0(VALU_DEP_1)
	s_and_b32 vcc_lo, exec_lo, s2
	s_cbranch_vccz .LBB537_440
; %bb.438:
	global_load_b32 v3, v[1:2], off
	s_mov_b32 s2, 0
	s_waitcnt vmcnt(0)
	v_cvt_f32_u32_e32 v3, v3
	s_delay_alu instid0(VALU_DEP_1) | instskip(NEXT) | instid1(VALU_DEP_1)
	v_bfe_u32 v5, v3, 16, 1
	v_add3_u32 v3, v3, v5, 0x7fff
	s_delay_alu instid0(VALU_DEP_1)
	v_lshrrev_b32_e32 v3, 16, v3
	s_branch .LBB537_441
.LBB537_439:
	s_mov_b32 s2, -1
                                        ; implicit-def: $vgpr3
	s_branch .LBB537_444
.LBB537_440:
	s_mov_b32 s2, -1
                                        ; implicit-def: $vgpr3
.LBB537_441:
	s_delay_alu instid0(SALU_CYCLE_1)
	s_and_not1_b32 vcc_lo, exec_lo, s2
	s_cbranch_vccnz .LBB537_443
; %bb.442:
	global_load_u16 v3, v[1:2], off
	s_waitcnt vmcnt(0)
	v_cvt_f32_u32_e32 v3, v3
	s_delay_alu instid0(VALU_DEP_1) | instskip(NEXT) | instid1(VALU_DEP_1)
	v_bfe_u32 v5, v3, 16, 1
	v_add3_u32 v3, v3, v5, 0x7fff
	s_delay_alu instid0(VALU_DEP_1)
	v_lshrrev_b32_e32 v3, 16, v3
.LBB537_443:
	s_mov_b32 s2, 0
.LBB537_444:
	s_delay_alu instid0(SALU_CYCLE_1)
	s_and_not1_b32 vcc_lo, exec_lo, s2
	s_cbranch_vccnz .LBB537_452
; %bb.445:
	global_load_u8 v3, v[1:2], off
	s_mov_b32 s2, 0
	s_mov_b32 s25, exec_lo
                                        ; implicit-def: $sgpr24
	s_waitcnt vmcnt(0)
	v_cmpx_lt_i16_e32 0x7f, v3
	s_xor_b32 s25, exec_lo, s25
	s_cbranch_execz .LBB537_466
; %bb.446:
	s_mov_b32 s2, -1
	s_mov_b32 s42, exec_lo
                                        ; implicit-def: $sgpr24
	v_cmpx_eq_u16_e32 0x80, v3
; %bb.447:
	s_mov_b32 s24, 0x7f800001
	s_xor_b32 s2, exec_lo, -1
; %bb.448:
	s_or_b32 exec_lo, exec_lo, s42
	s_delay_alu instid0(SALU_CYCLE_1)
	s_and_b32 s2, s2, exec_lo
	s_or_saveexec_b32 s25, s25
	v_mov_b32_e32 v5, s24
	s_xor_b32 exec_lo, exec_lo, s25
	s_cbranch_execnz .LBB537_467
.LBB537_449:
	s_or_b32 exec_lo, exec_lo, s25
	s_and_saveexec_b32 s24, s2
	s_cbranch_execz .LBB537_451
.LBB537_450:
	v_and_b32_e32 v5, 0xffff, v3
	v_lshlrev_b32_e32 v3, 24, v3
	s_delay_alu instid0(VALU_DEP_2) | instskip(NEXT) | instid1(VALU_DEP_2)
	v_and_b32_e32 v6, 7, v5
	v_and_b32_e32 v3, 0x80000000, v3
	s_delay_alu instid0(VALU_DEP_2) | instskip(NEXT) | instid1(VALU_DEP_1)
	v_clz_i32_u32_e32 v7, v6
	v_min_u32_e32 v7, 32, v7
	s_delay_alu instid0(VALU_DEP_1) | instskip(SKIP_1) | instid1(VALU_DEP_2)
	v_subrev_nc_u32_e32 v8, 28, v7
	v_sub_nc_u32_e32 v7, 29, v7
	v_lshlrev_b32_e32 v8, v8, v5
	v_bfe_u32 v5, v5, 3, 4
	s_delay_alu instid0(VALU_DEP_2) | instskip(NEXT) | instid1(VALU_DEP_2)
	v_and_b32_e32 v8, 7, v8
	v_cmp_eq_u32_e32 vcc_lo, 0, v5
	s_delay_alu instid0(VALU_DEP_2) | instskip(NEXT) | instid1(VALU_DEP_1)
	v_dual_cndmask_b32 v5, v5, v7 :: v_dual_cndmask_b32 v6, v6, v8
	v_lshl_add_u32 v5, v5, 23, 0x3b800000
	s_delay_alu instid0(VALU_DEP_2) | instskip(NEXT) | instid1(VALU_DEP_1)
	v_lshlrev_b32_e32 v6, 20, v6
	v_or3_b32 v5, v3, v5, v6
.LBB537_451:
	s_or_b32 exec_lo, exec_lo, s24
	s_delay_alu instid0(VALU_DEP_1) | instskip(SKIP_1) | instid1(VALU_DEP_2)
	v_bfe_u32 v3, v5, 16, 1
	v_cmp_o_f32_e32 vcc_lo, v5, v5
	v_add3_u32 v3, v5, v3, 0x7fff
	s_delay_alu instid0(VALU_DEP_1) | instskip(NEXT) | instid1(VALU_DEP_1)
	v_lshrrev_b32_e32 v3, 16, v3
	v_cndmask_b32_e32 v3, 0x7fc0, v3, vcc_lo
.LBB537_452:
	s_mov_b32 s2, -1
.LBB537_453:
	s_mov_b32 s24, 0
.LBB537_454:
	s_delay_alu instid0(SALU_CYCLE_1)
	s_and_b32 vcc_lo, exec_lo, s24
	s_cbranch_vccz .LBB537_489
; %bb.455:
	v_cmp_gt_i16_e64 s24, s34, 22
	s_delay_alu instid0(VALU_DEP_1)
	s_and_b32 vcc_lo, exec_lo, s24
	s_cbranch_vccz .LBB537_465
; %bb.456:
	v_cmp_lt_i16_e64 s2, s34, 24
	s_delay_alu instid0(VALU_DEP_1)
	s_and_b32 vcc_lo, exec_lo, s2
	s_cbranch_vccnz .LBB537_468
; %bb.457:
	v_cmp_gt_i16_e64 s2, s34, 24
	s_delay_alu instid0(VALU_DEP_1)
	s_and_b32 vcc_lo, exec_lo, s2
	s_cbranch_vccz .LBB537_469
; %bb.458:
	global_load_u8 v3, v[1:2], off
	s_mov_b32 s2, 0
	s_mov_b32 s25, exec_lo
                                        ; implicit-def: $sgpr24
	s_waitcnt vmcnt(0)
	v_cmpx_lt_i16_e32 0x7f, v3
	s_xor_b32 s25, exec_lo, s25
	s_cbranch_execz .LBB537_481
; %bb.459:
	s_mov_b32 s2, -1
	s_mov_b32 s42, exec_lo
                                        ; implicit-def: $sgpr24
	v_cmpx_eq_u16_e32 0x80, v3
; %bb.460:
	s_mov_b32 s24, 0x7f800001
	s_xor_b32 s2, exec_lo, -1
; %bb.461:
	s_or_b32 exec_lo, exec_lo, s42
	s_delay_alu instid0(SALU_CYCLE_1)
	s_and_b32 s2, s2, exec_lo
	s_or_saveexec_b32 s25, s25
	v_mov_b32_e32 v5, s24
	s_xor_b32 exec_lo, exec_lo, s25
	s_cbranch_execnz .LBB537_482
.LBB537_462:
	s_or_b32 exec_lo, exec_lo, s25
	s_and_saveexec_b32 s24, s2
	s_cbranch_execz .LBB537_464
.LBB537_463:
	v_and_b32_e32 v5, 0xffff, v3
	v_lshlrev_b32_e32 v3, 24, v3
	s_delay_alu instid0(VALU_DEP_2) | instskip(NEXT) | instid1(VALU_DEP_2)
	v_and_b32_e32 v6, 3, v5
	v_and_b32_e32 v3, 0x80000000, v3
	s_delay_alu instid0(VALU_DEP_2) | instskip(NEXT) | instid1(VALU_DEP_1)
	v_clz_i32_u32_e32 v7, v6
	v_min_u32_e32 v7, 32, v7
	s_delay_alu instid0(VALU_DEP_1) | instskip(SKIP_1) | instid1(VALU_DEP_2)
	v_subrev_nc_u32_e32 v8, 29, v7
	v_sub_nc_u32_e32 v7, 30, v7
	v_lshlrev_b32_e32 v8, v8, v5
	v_bfe_u32 v5, v5, 2, 5
	s_delay_alu instid0(VALU_DEP_2) | instskip(NEXT) | instid1(VALU_DEP_2)
	v_and_b32_e32 v8, 3, v8
	v_cmp_eq_u32_e32 vcc_lo, 0, v5
	s_delay_alu instid0(VALU_DEP_2) | instskip(NEXT) | instid1(VALU_DEP_1)
	v_dual_cndmask_b32 v5, v5, v7 :: v_dual_cndmask_b32 v6, v6, v8
	v_lshl_add_u32 v5, v5, 23, 0x37800000
	s_delay_alu instid0(VALU_DEP_2) | instskip(NEXT) | instid1(VALU_DEP_1)
	v_lshlrev_b32_e32 v6, 21, v6
	v_or3_b32 v5, v3, v5, v6
.LBB537_464:
	s_or_b32 exec_lo, exec_lo, s24
	s_delay_alu instid0(VALU_DEP_1) | instskip(SKIP_2) | instid1(VALU_DEP_2)
	v_bfe_u32 v3, v5, 16, 1
	v_cmp_o_f32_e32 vcc_lo, v5, v5
	s_mov_b32 s2, 0
	v_add3_u32 v3, v5, v3, 0x7fff
	s_delay_alu instid0(VALU_DEP_1) | instskip(NEXT) | instid1(VALU_DEP_1)
	v_lshrrev_b32_e32 v3, 16, v3
	v_cndmask_b32_e32 v3, 0x7fc0, v3, vcc_lo
	s_branch .LBB537_470
.LBB537_465:
	s_mov_b32 s24, -1
                                        ; implicit-def: $vgpr3
	s_branch .LBB537_476
.LBB537_466:
	s_or_saveexec_b32 s25, s25
	v_mov_b32_e32 v5, s24
	s_xor_b32 exec_lo, exec_lo, s25
	s_cbranch_execz .LBB537_449
.LBB537_467:
	v_cmp_ne_u16_e32 vcc_lo, 0, v3
	v_mov_b32_e32 v5, 0
	s_and_not1_b32 s2, s2, exec_lo
	s_and_b32 s24, vcc_lo, exec_lo
	s_delay_alu instid0(SALU_CYCLE_1)
	s_or_b32 s2, s2, s24
	s_or_b32 exec_lo, exec_lo, s25
	s_and_saveexec_b32 s24, s2
	s_cbranch_execnz .LBB537_450
	s_branch .LBB537_451
.LBB537_468:
	s_mov_b32 s2, -1
                                        ; implicit-def: $vgpr3
	s_branch .LBB537_473
.LBB537_469:
	s_mov_b32 s2, -1
                                        ; implicit-def: $vgpr3
.LBB537_470:
	s_delay_alu instid0(SALU_CYCLE_1)
	s_and_b32 vcc_lo, exec_lo, s2
	s_cbranch_vccz .LBB537_472
; %bb.471:
	global_load_u8 v3, v[1:2], off
	s_waitcnt vmcnt(0)
	v_lshlrev_b32_e32 v3, 24, v3
	s_delay_alu instid0(VALU_DEP_1) | instskip(NEXT) | instid1(VALU_DEP_1)
	v_and_b32_e32 v5, 0x7f000000, v3
	v_clz_i32_u32_e32 v6, v5
	v_cmp_ne_u32_e32 vcc_lo, 0, v5
	v_add_nc_u32_e32 v8, 0x1000000, v5
	s_delay_alu instid0(VALU_DEP_3) | instskip(NEXT) | instid1(VALU_DEP_1)
	v_min_u32_e32 v6, 32, v6
	v_sub_nc_u32_e64 v6, v6, 4 clamp
	s_delay_alu instid0(VALU_DEP_1) | instskip(SKIP_1) | instid1(VALU_DEP_2)
	v_lshlrev_b32_e32 v7, v6, v5
	v_lshlrev_b32_e32 v6, 23, v6
	v_lshrrev_b32_e32 v7, 4, v7
	s_delay_alu instid0(VALU_DEP_1) | instskip(SKIP_1) | instid1(VALU_DEP_2)
	v_sub_nc_u32_e32 v6, v7, v6
	v_ashrrev_i32_e32 v7, 8, v8
	v_add_nc_u32_e32 v6, 0x3c000000, v6
	s_delay_alu instid0(VALU_DEP_1) | instskip(NEXT) | instid1(VALU_DEP_1)
	v_and_or_b32 v6, 0x7f800000, v7, v6
	v_cndmask_b32_e32 v5, 0, v6, vcc_lo
	s_delay_alu instid0(VALU_DEP_1) | instskip(SKIP_1) | instid1(VALU_DEP_2)
	v_and_or_b32 v3, 0x80000000, v3, v5
	v_bfe_u32 v5, v5, 16, 1
	v_cmp_o_f32_e32 vcc_lo, v3, v3
	s_delay_alu instid0(VALU_DEP_2) | instskip(NEXT) | instid1(VALU_DEP_1)
	v_add3_u32 v5, v3, v5, 0x7fff
	v_lshrrev_b32_e32 v5, 16, v5
	s_delay_alu instid0(VALU_DEP_1)
	v_cndmask_b32_e32 v3, 0x7fc0, v5, vcc_lo
.LBB537_472:
	s_mov_b32 s2, 0
.LBB537_473:
	s_delay_alu instid0(SALU_CYCLE_1)
	s_and_not1_b32 vcc_lo, exec_lo, s2
	s_cbranch_vccnz .LBB537_475
; %bb.474:
	global_load_u8 v3, v[1:2], off
	s_waitcnt vmcnt(0)
	v_lshlrev_b32_e32 v5, 25, v3
	v_lshlrev_b16 v3, 8, v3
	s_delay_alu instid0(VALU_DEP_2) | instskip(NEXT) | instid1(VALU_DEP_2)
	v_lshrrev_b32_e32 v6, 4, v5
	v_and_or_b32 v7, 0x7f00, v3, 0.5
	v_bfe_i32 v3, v3, 0, 16
	s_delay_alu instid0(VALU_DEP_3) | instskip(NEXT) | instid1(VALU_DEP_1)
	v_or_b32_e32 v6, 0x70000000, v6
	v_dual_add_f32 v7, -0.5, v7 :: v_dual_mul_f32 v6, 0x7800000, v6
	v_cmp_gt_u32_e32 vcc_lo, 0x8000000, v5
	s_delay_alu instid0(VALU_DEP_2) | instskip(NEXT) | instid1(VALU_DEP_1)
	v_cndmask_b32_e32 v5, v6, v7, vcc_lo
	v_and_or_b32 v3, 0x80000000, v3, v5
	v_bfe_u32 v5, v5, 16, 1
	s_delay_alu instid0(VALU_DEP_2) | instskip(NEXT) | instid1(VALU_DEP_2)
	v_cmp_o_f32_e32 vcc_lo, v3, v3
	v_add3_u32 v5, v3, v5, 0x7fff
	s_delay_alu instid0(VALU_DEP_1) | instskip(NEXT) | instid1(VALU_DEP_1)
	v_lshrrev_b32_e32 v5, 16, v5
	v_cndmask_b32_e32 v3, 0x7fc0, v5, vcc_lo
.LBB537_475:
	s_mov_b32 s24, 0
	s_mov_b32 s2, -1
.LBB537_476:
	s_and_not1_b32 vcc_lo, exec_lo, s24
	s_cbranch_vccnz .LBB537_489
; %bb.477:
	v_cmp_gt_i16_e64 s24, s34, 14
	s_delay_alu instid0(VALU_DEP_1)
	s_and_b32 vcc_lo, exec_lo, s24
	s_cbranch_vccz .LBB537_480
; %bb.478:
	v_cmp_eq_u16_e64 s3, s34, 15
	s_delay_alu instid0(VALU_DEP_1)
	s_and_b32 vcc_lo, exec_lo, s3
	s_cbranch_vccz .LBB537_483
; %bb.479:
	global_load_u16 v3, v[1:2], off
	s_mov_b32 s2, -1
	s_mov_b32 s3, 0
	s_branch .LBB537_484
.LBB537_480:
	s_mov_b32 s24, -1
                                        ; implicit-def: $vgpr3
	s_branch .LBB537_485
.LBB537_481:
	s_or_saveexec_b32 s25, s25
	v_mov_b32_e32 v5, s24
	s_xor_b32 exec_lo, exec_lo, s25
	s_cbranch_execz .LBB537_462
.LBB537_482:
	v_cmp_ne_u16_e32 vcc_lo, 0, v3
	v_mov_b32_e32 v5, 0
	s_and_not1_b32 s2, s2, exec_lo
	s_and_b32 s24, vcc_lo, exec_lo
	s_delay_alu instid0(SALU_CYCLE_1)
	s_or_b32 s2, s2, s24
	s_or_b32 exec_lo, exec_lo, s25
	s_and_saveexec_b32 s24, s2
	s_cbranch_execnz .LBB537_463
	s_branch .LBB537_464
.LBB537_483:
	s_mov_b32 s3, -1
                                        ; implicit-def: $vgpr3
.LBB537_484:
	s_mov_b32 s24, 0
.LBB537_485:
	s_delay_alu instid0(SALU_CYCLE_1)
	s_and_b32 vcc_lo, exec_lo, s24
	s_cbranch_vccz .LBB537_489
; %bb.486:
	v_cmp_eq_u16_e64 s3, s34, 11
	s_delay_alu instid0(VALU_DEP_1)
	s_and_b32 vcc_lo, exec_lo, s3
	s_cbranch_vccz .LBB537_488
; %bb.487:
	global_load_u8 v3, v[1:2], off
	s_mov_b32 s3, 0
	s_mov_b32 s2, -1
	s_waitcnt vmcnt(0)
	v_cmp_ne_u16_e32 vcc_lo, 0, v3
	v_cndmask_b32_e64 v3, 0, 1.0, vcc_lo
	s_delay_alu instid0(VALU_DEP_1)
	v_lshrrev_b32_e32 v3, 16, v3
	s_branch .LBB537_489
.LBB537_488:
	s_mov_b32 s3, -1
                                        ; implicit-def: $vgpr3
.LBB537_489:
	s_branch .LBB537_290
.LBB537_490:
	v_cmp_lt_i16_e64 s2, s34, 5
	s_delay_alu instid0(VALU_DEP_1)
	s_and_b32 vcc_lo, exec_lo, s2
	s_cbranch_vccnz .LBB537_495
; %bb.491:
	v_cmp_lt_i16_e64 s2, s34, 8
	s_delay_alu instid0(VALU_DEP_1)
	s_and_b32 vcc_lo, exec_lo, s2
	s_cbranch_vccnz .LBB537_496
; %bb.492:
	;; [unrolled: 5-line block ×3, first 2 shown]
	v_cmp_gt_i16_e64 s2, s34, 9
	s_delay_alu instid0(VALU_DEP_1)
	s_and_b32 vcc_lo, exec_lo, s2
	s_cbranch_vccz .LBB537_498
; %bb.494:
	global_load_b64 v[5:6], v[1:2], off
	s_mov_b32 s2, 0
	s_waitcnt vmcnt(0)
	v_cvt_f32_f64_e32 v3, v[5:6]
	s_delay_alu instid0(VALU_DEP_1) | instskip(SKIP_1) | instid1(VALU_DEP_2)
	v_bfe_u32 v5, v3, 16, 1
	v_cmp_o_f32_e32 vcc_lo, v3, v3
	v_add3_u32 v5, v3, v5, 0x7fff
	s_delay_alu instid0(VALU_DEP_1) | instskip(NEXT) | instid1(VALU_DEP_1)
	v_lshrrev_b32_e32 v5, 16, v5
	v_cndmask_b32_e32 v3, 0x7fc0, v5, vcc_lo
	s_branch .LBB537_499
.LBB537_495:
	s_mov_b32 s2, -1
                                        ; implicit-def: $vgpr3
	s_branch .LBB537_517
.LBB537_496:
	s_mov_b32 s2, -1
                                        ; implicit-def: $vgpr3
	s_branch .LBB537_505
.LBB537_497:
	s_mov_b32 s2, -1
                                        ; implicit-def: $vgpr3
	s_branch .LBB537_502
.LBB537_498:
	s_mov_b32 s2, -1
                                        ; implicit-def: $vgpr3
.LBB537_499:
	s_delay_alu instid0(SALU_CYCLE_1)
	s_and_not1_b32 vcc_lo, exec_lo, s2
	s_cbranch_vccnz .LBB537_501
; %bb.500:
	global_load_b32 v3, v[1:2], off
	s_waitcnt vmcnt(0)
	v_bfe_u32 v5, v3, 16, 1
	v_cmp_o_f32_e32 vcc_lo, v3, v3
	s_delay_alu instid0(VALU_DEP_2) | instskip(NEXT) | instid1(VALU_DEP_1)
	v_add3_u32 v5, v3, v5, 0x7fff
	v_lshrrev_b32_e32 v5, 16, v5
	s_delay_alu instid0(VALU_DEP_1)
	v_cndmask_b32_e32 v3, 0x7fc0, v5, vcc_lo
.LBB537_501:
	s_mov_b32 s2, 0
.LBB537_502:
	s_delay_alu instid0(SALU_CYCLE_1)
	s_and_not1_b32 vcc_lo, exec_lo, s2
	s_cbranch_vccnz .LBB537_504
; %bb.503:
	global_load_b32 v3, v[1:2], off
	s_waitcnt vmcnt(0)
	v_cvt_f32_f16_e32 v5, v3
	v_cmp_o_f16_e32 vcc_lo, v3, v3
	s_delay_alu instid0(VALU_DEP_2) | instskip(NEXT) | instid1(VALU_DEP_1)
	v_bfe_u32 v6, v5, 16, 1
	v_add3_u32 v5, v5, v6, 0x7fff
	s_delay_alu instid0(VALU_DEP_1) | instskip(NEXT) | instid1(VALU_DEP_1)
	v_lshrrev_b32_e32 v5, 16, v5
	v_cndmask_b32_e32 v3, 0x7fc0, v5, vcc_lo
.LBB537_504:
	s_mov_b32 s2, 0
.LBB537_505:
	s_delay_alu instid0(SALU_CYCLE_1)
	s_and_not1_b32 vcc_lo, exec_lo, s2
	s_cbranch_vccnz .LBB537_516
; %bb.506:
	v_cmp_lt_i16_e64 s2, s34, 6
	s_delay_alu instid0(VALU_DEP_1)
	s_and_b32 vcc_lo, exec_lo, s2
	s_cbranch_vccnz .LBB537_509
; %bb.507:
	v_cmp_gt_i16_e64 s2, s34, 6
	s_delay_alu instid0(VALU_DEP_1)
	s_and_b32 vcc_lo, exec_lo, s2
	s_cbranch_vccz .LBB537_510
; %bb.508:
	global_load_b64 v[5:6], v[1:2], off
	s_mov_b32 s2, 0
	s_waitcnt vmcnt(0)
	v_cvt_f32_f64_e32 v3, v[5:6]
	s_delay_alu instid0(VALU_DEP_1) | instskip(SKIP_1) | instid1(VALU_DEP_2)
	v_bfe_u32 v5, v3, 16, 1
	v_cmp_o_f32_e32 vcc_lo, v3, v3
	v_add3_u32 v5, v3, v5, 0x7fff
	s_delay_alu instid0(VALU_DEP_1) | instskip(NEXT) | instid1(VALU_DEP_1)
	v_lshrrev_b32_e32 v5, 16, v5
	v_cndmask_b32_e32 v3, 0x7fc0, v5, vcc_lo
	s_branch .LBB537_511
.LBB537_509:
	s_mov_b32 s2, -1
                                        ; implicit-def: $vgpr3
	s_branch .LBB537_514
.LBB537_510:
	s_mov_b32 s2, -1
                                        ; implicit-def: $vgpr3
.LBB537_511:
	s_delay_alu instid0(SALU_CYCLE_1)
	s_and_not1_b32 vcc_lo, exec_lo, s2
	s_cbranch_vccnz .LBB537_513
; %bb.512:
	global_load_b32 v3, v[1:2], off
	s_waitcnt vmcnt(0)
	v_bfe_u32 v5, v3, 16, 1
	v_cmp_o_f32_e32 vcc_lo, v3, v3
	s_delay_alu instid0(VALU_DEP_2) | instskip(NEXT) | instid1(VALU_DEP_1)
	v_add3_u32 v5, v3, v5, 0x7fff
	v_lshrrev_b32_e32 v5, 16, v5
	s_delay_alu instid0(VALU_DEP_1)
	v_cndmask_b32_e32 v3, 0x7fc0, v5, vcc_lo
.LBB537_513:
	s_mov_b32 s2, 0
.LBB537_514:
	s_delay_alu instid0(SALU_CYCLE_1)
	s_and_not1_b32 vcc_lo, exec_lo, s2
	s_cbranch_vccnz .LBB537_516
; %bb.515:
	global_load_u16 v3, v[1:2], off
	s_waitcnt vmcnt(0)
	v_cvt_f32_f16_e32 v5, v3
	v_cmp_o_f16_e32 vcc_lo, v3, v3
	s_delay_alu instid0(VALU_DEP_2) | instskip(NEXT) | instid1(VALU_DEP_1)
	v_bfe_u32 v6, v5, 16, 1
	v_add3_u32 v5, v5, v6, 0x7fff
	s_delay_alu instid0(VALU_DEP_1) | instskip(NEXT) | instid1(VALU_DEP_1)
	v_lshrrev_b32_e32 v5, 16, v5
	v_cndmask_b32_e32 v3, 0x7fc0, v5, vcc_lo
.LBB537_516:
	s_mov_b32 s2, 0
.LBB537_517:
	s_delay_alu instid0(SALU_CYCLE_1)
	s_and_not1_b32 vcc_lo, exec_lo, s2
	s_cbranch_vccnz .LBB537_537
; %bb.518:
	v_cmp_lt_i16_e64 s2, s34, 2
	s_delay_alu instid0(VALU_DEP_1)
	s_and_b32 vcc_lo, exec_lo, s2
	s_cbranch_vccnz .LBB537_522
; %bb.519:
	v_cmp_lt_i16_e64 s2, s34, 3
	s_delay_alu instid0(VALU_DEP_1)
	s_and_b32 vcc_lo, exec_lo, s2
	s_cbranch_vccnz .LBB537_523
; %bb.520:
	v_cmp_gt_i16_e64 s2, s34, 3
	s_delay_alu instid0(VALU_DEP_1)
	s_and_b32 vcc_lo, exec_lo, s2
	s_cbranch_vccz .LBB537_524
; %bb.521:
	global_load_b64 v[5:6], v[1:2], off
	s_mov_b32 s2, 0
	s_waitcnt vmcnt(0)
	v_xor_b32_e32 v3, v5, v6
	v_cls_i32_e32 v7, v6
	s_delay_alu instid0(VALU_DEP_2) | instskip(NEXT) | instid1(VALU_DEP_2)
	v_ashrrev_i32_e32 v3, 31, v3
	v_add_nc_u32_e32 v7, -1, v7
	s_delay_alu instid0(VALU_DEP_2) | instskip(NEXT) | instid1(VALU_DEP_1)
	v_add_nc_u32_e32 v3, 32, v3
	v_min_u32_e32 v3, v7, v3
	s_delay_alu instid0(VALU_DEP_1) | instskip(SKIP_1) | instid1(VALU_DEP_2)
	v_lshlrev_b64 v[5:6], v3, v[5:6]
	v_sub_nc_u32_e32 v3, 32, v3
	v_min_u32_e32 v5, 1, v5
	s_delay_alu instid0(VALU_DEP_1) | instskip(NEXT) | instid1(VALU_DEP_1)
	v_or_b32_e32 v5, v6, v5
	v_cvt_f32_i32_e32 v5, v5
	s_delay_alu instid0(VALU_DEP_1) | instskip(NEXT) | instid1(VALU_DEP_1)
	v_ldexp_f32 v3, v5, v3
	v_bfe_u32 v5, v3, 16, 1
	s_delay_alu instid0(VALU_DEP_1) | instskip(NEXT) | instid1(VALU_DEP_1)
	v_add3_u32 v3, v3, v5, 0x7fff
	v_lshrrev_b32_e32 v3, 16, v3
	s_branch .LBB537_525
.LBB537_522:
	s_mov_b32 s2, -1
                                        ; implicit-def: $vgpr3
	s_branch .LBB537_531
.LBB537_523:
	s_mov_b32 s2, -1
                                        ; implicit-def: $vgpr3
	s_branch .LBB537_528
.LBB537_524:
	s_mov_b32 s2, -1
                                        ; implicit-def: $vgpr3
.LBB537_525:
	s_delay_alu instid0(SALU_CYCLE_1)
	s_and_not1_b32 vcc_lo, exec_lo, s2
	s_cbranch_vccnz .LBB537_527
; %bb.526:
	global_load_b32 v3, v[1:2], off
	s_waitcnt vmcnt(0)
	v_cvt_f32_i32_e32 v3, v3
	s_delay_alu instid0(VALU_DEP_1) | instskip(NEXT) | instid1(VALU_DEP_1)
	v_bfe_u32 v5, v3, 16, 1
	v_add3_u32 v3, v3, v5, 0x7fff
	s_delay_alu instid0(VALU_DEP_1)
	v_lshrrev_b32_e32 v3, 16, v3
.LBB537_527:
	s_mov_b32 s2, 0
.LBB537_528:
	s_delay_alu instid0(SALU_CYCLE_1)
	s_and_not1_b32 vcc_lo, exec_lo, s2
	s_cbranch_vccnz .LBB537_530
; %bb.529:
	global_load_i16 v3, v[1:2], off
	s_waitcnt vmcnt(0)
	v_cvt_f32_i32_e32 v3, v3
	s_delay_alu instid0(VALU_DEP_1) | instskip(NEXT) | instid1(VALU_DEP_1)
	v_bfe_u32 v5, v3, 16, 1
	v_add3_u32 v3, v3, v5, 0x7fff
	s_delay_alu instid0(VALU_DEP_1)
	v_lshrrev_b32_e32 v3, 16, v3
.LBB537_530:
	s_mov_b32 s2, 0
.LBB537_531:
	s_delay_alu instid0(SALU_CYCLE_1)
	s_and_not1_b32 vcc_lo, exec_lo, s2
	s_cbranch_vccnz .LBB537_537
; %bb.532:
	v_cmp_gt_i16_e64 s2, s34, 0
	s_delay_alu instid0(VALU_DEP_1)
	s_and_b32 vcc_lo, exec_lo, s2
	s_mov_b32 s2, 0
	s_cbranch_vccz .LBB537_534
; %bb.533:
	global_load_i8 v3, v[1:2], off
	s_waitcnt vmcnt(0)
	v_cvt_f32_i32_e32 v3, v3
	s_delay_alu instid0(VALU_DEP_1) | instskip(NEXT) | instid1(VALU_DEP_1)
	v_bfe_u32 v5, v3, 16, 1
	v_add3_u32 v3, v3, v5, 0x7fff
	s_delay_alu instid0(VALU_DEP_1)
	v_lshrrev_b32_e32 v3, 16, v3
	s_branch .LBB537_535
.LBB537_534:
	s_mov_b32 s2, -1
                                        ; implicit-def: $vgpr3
.LBB537_535:
	s_delay_alu instid0(SALU_CYCLE_1)
	s_and_not1_b32 vcc_lo, exec_lo, s2
	s_cbranch_vccnz .LBB537_537
; %bb.536:
	global_load_u8 v1, v[1:2], off
	s_waitcnt vmcnt(0)
	v_cvt_f32_ubyte0_e32 v1, v1
	s_delay_alu instid0(VALU_DEP_1) | instskip(NEXT) | instid1(VALU_DEP_1)
	v_bfe_u32 v2, v1, 16, 1
	v_add3_u32 v1, v1, v2, 0x7fff
	s_delay_alu instid0(VALU_DEP_1)
	v_lshrrev_b32_e32 v3, 16, v1
.LBB537_537:
	s_branch .LBB537_291
.LBB537_538:
	s_mov_b32 s24, 0
	s_mov_b32 s2, s39
.LBB537_539:
                                        ; implicit-def: $vgpr4
.LBB537_540:
	s_and_not1_b32 s25, s39, exec_lo
	s_and_b32 s2, s2, exec_lo
	s_and_not1_b32 s42, s40, exec_lo
	s_and_b32 s3, s3, exec_lo
	s_or_b32 s43, s25, s2
	s_or_b32 s42, s42, s3
	s_or_not1_b32 s2, s24, exec_lo
.LBB537_541:
	s_or_b32 exec_lo, exec_lo, s44
	s_mov_b32 s3, 0
	s_mov_b32 s25, 0
	;; [unrolled: 1-line block ×3, first 2 shown]
                                        ; implicit-def: $vgpr1_vgpr2
                                        ; implicit-def: $vgpr0
                                        ; implicit-def: $vgpr5
	s_and_saveexec_b32 s44, s2
	s_cbranch_execz .LBB537_917
; %bb.542:
	s_mov_b32 s47, -1
	s_mov_b32 s24, s42
	s_mov_b32 s25, s43
	s_mov_b32 s45, exec_lo
	v_cmpx_gt_i32_e64 s36, v4
	s_cbranch_execz .LBB537_818
; %bb.543:
	s_and_not1_b32 vcc_lo, exec_lo, s29
	s_cbranch_vccnz .LBB537_548
; %bb.544:
	v_dual_mov_b32 v0, 0 :: v_dual_mov_b32 v1, 0
	s_and_not1_b32 vcc_lo, exec_lo, s38
	s_mov_b32 s46, 0
	s_cbranch_vccnz .LBB537_553
; %bb.545:
	v_mov_b32_e32 v0, 0
	s_add_i32 s48, s37, 1
	s_cmp_eq_u32 s27, 2
	s_mov_b32 s47, 0
	s_cbranch_scc1 .LBB537_549
; %bb.546:
	v_dual_mov_b32 v1, 0 :: v_dual_mov_b32 v0, 0
	v_mov_b32_e32 v2, v4
	s_and_b32 s47, s48, 28
	s_mov_b32 s49, 0
	s_mov_b64 s[2:3], s[22:23]
	s_mov_b64 s[24:25], s[16:17]
.LBB537_547:                            ; =>This Inner Loop Header: Depth=1
	s_clause 0x1
	s_load_b256 s[52:59], s[24:25], 0x4
	s_load_b128 s[68:71], s[24:25], 0x24
	s_load_b256 s[60:67], s[2:3], 0x0
	s_add_u32 s24, s24, 48
	s_addc_u32 s25, s25, 0
	s_add_i32 s49, s49, 4
	s_add_u32 s2, s2, 32
	s_addc_u32 s3, s3, 0
	s_cmp_eq_u32 s47, s49
	s_waitcnt vmcnt(0) lgkmcnt(0)
	v_mul_hi_u32 v3, s53, v2
	s_delay_alu instid0(VALU_DEP_1) | instskip(NEXT) | instid1(VALU_DEP_1)
	v_add_nc_u32_e32 v3, v2, v3
	v_lshrrev_b32_e32 v3, s54, v3
	s_delay_alu instid0(VALU_DEP_1) | instskip(SKIP_1) | instid1(VALU_DEP_2)
	v_mul_hi_u32 v5, s56, v3
	v_mul_lo_u32 v7, v3, s52
	v_add_nc_u32_e32 v5, v3, v5
	s_delay_alu instid0(VALU_DEP_2) | instskip(NEXT) | instid1(VALU_DEP_2)
	v_sub_nc_u32_e32 v2, v2, v7
	v_lshrrev_b32_e32 v5, s57, v5
	s_delay_alu instid0(VALU_DEP_2) | instskip(SKIP_1) | instid1(VALU_DEP_3)
	v_mul_lo_u32 v7, v2, s60
	v_mul_lo_u32 v9, v2, s61
	v_mul_hi_u32 v6, s59, v5
	s_delay_alu instid0(VALU_DEP_1) | instskip(NEXT) | instid1(VALU_DEP_1)
	v_add_nc_u32_e32 v6, v5, v6
	v_lshrrev_b32_e32 v6, s68, v6
	s_delay_alu instid0(VALU_DEP_1) | instskip(SKIP_1) | instid1(VALU_DEP_2)
	v_mul_hi_u32 v8, s70, v6
	v_mul_lo_u32 v10, v6, s58
	v_add_nc_u32_e32 v2, v6, v8
	v_mul_lo_u32 v8, v5, s55
	s_delay_alu instid0(VALU_DEP_3) | instskip(NEXT) | instid1(VALU_DEP_3)
	v_sub_nc_u32_e32 v5, v5, v10
	v_lshrrev_b32_e32 v2, s71, v2
	s_delay_alu instid0(VALU_DEP_2) | instskip(SKIP_2) | instid1(VALU_DEP_4)
	v_mul_lo_u32 v10, v5, s64
	v_mul_lo_u32 v5, v5, s65
	v_sub_nc_u32_e32 v3, v3, v8
	v_mul_lo_u32 v11, v2, s69
	s_delay_alu instid0(VALU_DEP_2) | instskip(SKIP_1) | instid1(VALU_DEP_3)
	v_mul_lo_u32 v8, v3, s62
	v_mul_lo_u32 v3, v3, s63
	v_sub_nc_u32_e32 v6, v6, v11
	s_delay_alu instid0(VALU_DEP_3) | instskip(NEXT) | instid1(VALU_DEP_2)
	v_add3_u32 v0, v7, v0, v8
	v_mul_lo_u32 v11, v6, s66
	v_mul_lo_u32 v6, v6, s67
	v_add3_u32 v1, v9, v1, v3
	s_delay_alu instid0(VALU_DEP_3) | instskip(NEXT) | instid1(VALU_DEP_2)
	v_add3_u32 v0, v10, v0, v11
	v_add3_u32 v1, v5, v1, v6
	s_cbranch_scc0 .LBB537_547
	s_branch .LBB537_550
.LBB537_548:
	s_mov_b32 s46, -1
                                        ; implicit-def: $vgpr0
                                        ; implicit-def: $vgpr1
	s_branch .LBB537_553
.LBB537_549:
	v_dual_mov_b32 v2, v4 :: v_dual_mov_b32 v1, 0
.LBB537_550:
	s_and_b32 s48, s48, 3
	s_delay_alu instid0(SALU_CYCLE_1)
	s_cmp_eq_u32 s48, 0
	s_cbranch_scc1 .LBB537_553
; %bb.551:
	s_lshl_b32 s2, s47, 3
	s_mul_i32 s24, s47, 12
	s_add_u32 s2, s2, s16
	s_addc_u32 s3, s17, 0
	s_add_u32 s2, s2, 0xc4
	s_addc_u32 s3, s3, 0
	s_add_u32 s24, s16, s24
	s_addc_u32 s25, s17, 0
	.p2align	6
.LBB537_552:                            ; =>This Inner Loop Header: Depth=1
	s_clause 0x1
	s_load_b64 s[50:51], s[24:25], 0x4
	s_load_b32 s47, s[24:25], 0xc
	s_load_b64 s[52:53], s[2:3], 0x0
	s_add_u32 s24, s24, 12
	s_addc_u32 s25, s25, 0
	s_add_u32 s2, s2, 8
	s_addc_u32 s3, s3, 0
	s_add_i32 s48, s48, -1
	s_delay_alu instid0(SALU_CYCLE_1) | instskip(SKIP_2) | instid1(VALU_DEP_1)
	s_cmp_lg_u32 s48, 0
	s_waitcnt vmcnt(0) lgkmcnt(0)
	v_mul_hi_u32 v3, s51, v2
	v_add_nc_u32_e32 v3, v2, v3
	s_delay_alu instid0(VALU_DEP_1) | instskip(NEXT) | instid1(VALU_DEP_1)
	v_lshrrev_b32_e32 v3, s47, v3
	v_mul_lo_u32 v5, v3, s50
	s_delay_alu instid0(VALU_DEP_1) | instskip(NEXT) | instid1(VALU_DEP_1)
	v_sub_nc_u32_e32 v2, v2, v5
	v_mad_u64_u32 v[5:6], null, v2, s52, v[0:1]
	v_mad_u64_u32 v[6:7], null, v2, s53, v[1:2]
	v_mov_b32_e32 v2, v3
	s_delay_alu instid0(VALU_DEP_2)
	v_dual_mov_b32 v0, v5 :: v_dual_mov_b32 v1, v6
	s_cbranch_scc1 .LBB537_552
.LBB537_553:
	s_and_not1_b32 vcc_lo, exec_lo, s46
	s_cbranch_vccnz .LBB537_556
; %bb.554:
	v_mul_hi_u32 v0, s9, v4
	s_and_not1_b32 vcc_lo, exec_lo, s35
	s_delay_alu instid0(VALU_DEP_1) | instskip(NEXT) | instid1(VALU_DEP_1)
	v_add_nc_u32_e32 v0, v4, v0
	v_lshrrev_b32_e32 v2, s10, v0
	s_delay_alu instid0(VALU_DEP_1) | instskip(NEXT) | instid1(VALU_DEP_1)
	v_mul_lo_u32 v0, v2, s8
	v_sub_nc_u32_e32 v1, v4, v0
	s_delay_alu instid0(VALU_DEP_1)
	v_mul_lo_u32 v0, v1, s12
	v_mul_lo_u32 v1, v1, s13
	s_cbranch_vccnz .LBB537_556
; %bb.555:
	s_waitcnt vmcnt(0)
	v_mul_hi_u32 v3, s20, v2
	s_delay_alu instid0(VALU_DEP_1) | instskip(NEXT) | instid1(VALU_DEP_1)
	v_add_nc_u32_e32 v3, v2, v3
	v_lshrrev_b32_e32 v3, s21, v3
	s_delay_alu instid0(VALU_DEP_1) | instskip(NEXT) | instid1(VALU_DEP_1)
	v_mul_lo_u32 v3, v3, s11
	v_sub_nc_u32_e32 v7, v2, v3
	s_delay_alu instid0(VALU_DEP_1) | instskip(NEXT) | instid1(VALU_DEP_1)
	v_mad_u64_u32 v[2:3], null, v7, s14, v[0:1]
	v_mad_u64_u32 v[5:6], null, v7, s15, v[1:2]
	s_delay_alu instid0(VALU_DEP_1)
	v_dual_mov_b32 v0, v2 :: v_dual_mov_b32 v1, v5
.LBB537_556:
	v_cmp_lt_i16_e64 s2, s34, 11
	s_delay_alu instid0(VALU_DEP_2) | instskip(NEXT) | instid1(VALU_DEP_1)
	v_add_co_u32 v1, s3, s6, v1
	v_add_co_ci_u32_e64 v2, null, s7, 0, s3
	s_delay_alu instid0(VALU_DEP_3)
	s_and_b32 vcc_lo, exec_lo, s2
	s_mov_b32 s2, 0
	s_cbranch_vccnz .LBB537_563
; %bb.557:
	v_cmp_gt_i16_e64 s2, s34, 25
	s_delay_alu instid0(VALU_DEP_1)
	s_and_b32 vcc_lo, exec_lo, s2
	s_cbranch_vccz .LBB537_564
; %bb.558:
	v_cmp_gt_i16_e64 s2, s34, 28
	s_delay_alu instid0(VALU_DEP_1)
	s_and_b32 vcc_lo, exec_lo, s2
	s_cbranch_vccz .LBB537_565
	;; [unrolled: 5-line block ×4, first 2 shown]
; %bb.561:
	v_cmp_eq_u16_e64 s2, s34, 46
	s_mov_b32 s24, 0
	s_delay_alu instid0(VALU_DEP_1)
	s_and_b32 vcc_lo, exec_lo, s2
	s_cbranch_vccz .LBB537_572
; %bb.562:
	global_load_b32 v3, v[1:2], off
	s_mov_b32 s2, -1
	s_mov_b32 s3, 0
	s_branch .LBB537_574
.LBB537_563:
	s_mov_b32 s24, -1
	s_mov_b32 s3, s42
                                        ; implicit-def: $vgpr3
	s_branch .LBB537_639
.LBB537_564:
	s_mov_b32 s24, -1
	s_mov_b32 s2, 0
	s_mov_b32 s3, s42
                                        ; implicit-def: $vgpr3
	s_branch .LBB537_603
.LBB537_565:
	s_mov_b32 s24, -1
	s_mov_b32 s2, 0
	s_mov_b32 s3, s42
                                        ; implicit-def: $vgpr3
	s_branch .LBB537_584
.LBB537_566:
	s_mov_b32 s24, -1
	s_mov_b32 s2, 0
	s_mov_b32 s3, s42
                                        ; implicit-def: $vgpr3
	s_branch .LBB537_579
.LBB537_567:
	s_or_saveexec_b32 s42, s42
                                        ; implicit-def: $sgpr43
	s_delay_alu instid0(SALU_CYCLE_1)
	s_xor_b32 exec_lo, exec_lo, s42
	s_cbranch_execz .LBB537_378
.LBB537_568:
	v_add_f32_e64 v6, 0x46000000, |v7|
	s_and_not1_b32 s25, s25, exec_lo
	s_mov_b32 s43, 0
	s_delay_alu instid0(VALU_DEP_1) | instskip(NEXT) | instid1(VALU_DEP_1)
	v_and_b32_e32 v6, 0xff, v6
	v_cmp_ne_u32_e32 vcc_lo, 0, v6
	s_and_b32 s45, vcc_lo, exec_lo
	s_delay_alu instid0(SALU_CYCLE_1)
	s_or_b32 s25, s25, s45
	s_or_b32 exec_lo, exec_lo, s42
	v_mov_b32_e32 v8, s43
	s_and_saveexec_b32 s42, s25
	s_cbranch_execnz .LBB537_379
	s_branch .LBB537_380
.LBB537_569:
	s_mov_b32 s24, -1
	s_mov_b32 s2, 0
	s_mov_b32 s3, s42
	s_branch .LBB537_573
.LBB537_570:
	s_or_saveexec_b32 s42, s42
                                        ; implicit-def: $sgpr43
	s_delay_alu instid0(SALU_CYCLE_1)
	s_xor_b32 exec_lo, exec_lo, s42
	s_cbranch_execz .LBB537_391
.LBB537_571:
	v_add_f32_e64 v6, 0x42800000, |v7|
	s_and_not1_b32 s25, s25, exec_lo
	s_mov_b32 s43, 0
	s_delay_alu instid0(VALU_DEP_1) | instskip(NEXT) | instid1(VALU_DEP_1)
	v_and_b32_e32 v6, 0xff, v6
	v_cmp_ne_u32_e32 vcc_lo, 0, v6
	s_and_b32 s45, vcc_lo, exec_lo
	s_delay_alu instid0(SALU_CYCLE_1)
	s_or_b32 s25, s25, s45
	s_or_b32 exec_lo, exec_lo, s42
	v_mov_b32_e32 v8, s43
	s_and_saveexec_b32 s42, s25
	s_cbranch_execnz .LBB537_392
	s_branch .LBB537_393
.LBB537_572:
	s_mov_b32 s3, -1
	s_mov_b32 s2, 0
.LBB537_573:
                                        ; implicit-def: $vgpr3
.LBB537_574:
	s_and_b32 vcc_lo, exec_lo, s24
	s_cbranch_vccz .LBB537_578
; %bb.575:
	v_cmp_eq_u16_e64 s3, s34, 44
	s_delay_alu instid0(VALU_DEP_1)
	s_and_b32 vcc_lo, exec_lo, s3
	s_cbranch_vccz .LBB537_577
; %bb.576:
	global_load_u8 v3, v[1:2], off
	s_mov_b32 s3, 0
	s_mov_b32 s2, -1
	s_waitcnt vmcnt(0)
	v_lshlrev_b32_e32 v5, 23, v3
	v_cmp_ne_u32_e32 vcc_lo, 0xff, v3
	s_delay_alu instid0(VALU_DEP_2) | instskip(SKIP_1) | instid1(VALU_DEP_2)
	v_cndmask_b32_e32 v5, 0x7f800001, v5, vcc_lo
	v_cmp_ne_u32_e32 vcc_lo, 0, v3
	v_cndmask_b32_e32 v3, 0x400000, v5, vcc_lo
	s_delay_alu instid0(VALU_DEP_1) | instskip(SKIP_1) | instid1(VALU_DEP_2)
	v_add_nc_u32_e32 v5, 0x7fff, v3
	v_cmp_o_f32_e32 vcc_lo, v3, v3
	v_lshrrev_b32_e32 v5, 16, v5
	s_delay_alu instid0(VALU_DEP_1)
	v_cndmask_b32_e32 v3, 0x7fc0, v5, vcc_lo
	s_branch .LBB537_578
.LBB537_577:
	s_mov_b32 s3, -1
                                        ; implicit-def: $vgpr3
.LBB537_578:
	s_mov_b32 s24, 0
.LBB537_579:
	s_delay_alu instid0(SALU_CYCLE_1)
	s_and_b32 vcc_lo, exec_lo, s24
	s_cbranch_vccz .LBB537_583
; %bb.580:
	v_cmp_eq_u16_e64 s3, s34, 29
	s_delay_alu instid0(VALU_DEP_1)
	s_and_b32 vcc_lo, exec_lo, s3
	s_cbranch_vccz .LBB537_582
; %bb.581:
	global_load_b64 v[5:6], v[1:2], off
	s_mov_b32 s2, -1
	s_mov_b32 s3, 0
	s_mov_b32 s24, 0
	s_waitcnt vmcnt(0)
	v_clz_i32_u32_e32 v3, v6
	s_delay_alu instid0(VALU_DEP_1) | instskip(NEXT) | instid1(VALU_DEP_1)
	v_min_u32_e32 v3, 32, v3
	v_lshlrev_b64 v[5:6], v3, v[5:6]
	v_sub_nc_u32_e32 v3, 32, v3
	s_delay_alu instid0(VALU_DEP_2) | instskip(NEXT) | instid1(VALU_DEP_1)
	v_min_u32_e32 v5, 1, v5
	v_or_b32_e32 v5, v6, v5
	s_delay_alu instid0(VALU_DEP_1) | instskip(NEXT) | instid1(VALU_DEP_1)
	v_cvt_f32_u32_e32 v5, v5
	v_ldexp_f32 v3, v5, v3
	s_delay_alu instid0(VALU_DEP_1) | instskip(NEXT) | instid1(VALU_DEP_1)
	v_bfe_u32 v5, v3, 16, 1
	v_add3_u32 v3, v3, v5, 0x7fff
	s_delay_alu instid0(VALU_DEP_1)
	v_lshrrev_b32_e32 v3, 16, v3
	s_branch .LBB537_584
.LBB537_582:
	s_mov_b32 s3, -1
                                        ; implicit-def: $vgpr3
.LBB537_583:
	s_mov_b32 s24, 0
.LBB537_584:
	s_delay_alu instid0(SALU_CYCLE_1)
	s_and_b32 vcc_lo, exec_lo, s24
	s_cbranch_vccz .LBB537_602
; %bb.585:
	v_cmp_lt_i16_e64 s2, s34, 27
	s_delay_alu instid0(VALU_DEP_1)
	s_and_b32 vcc_lo, exec_lo, s2
	s_cbranch_vccnz .LBB537_588
; %bb.586:
	v_cmp_gt_i16_e64 s2, s34, 27
	s_delay_alu instid0(VALU_DEP_1)
	s_and_b32 vcc_lo, exec_lo, s2
	s_cbranch_vccz .LBB537_589
; %bb.587:
	global_load_b32 v3, v[1:2], off
	s_mov_b32 s2, 0
	s_waitcnt vmcnt(0)
	v_cvt_f32_u32_e32 v3, v3
	s_delay_alu instid0(VALU_DEP_1) | instskip(NEXT) | instid1(VALU_DEP_1)
	v_bfe_u32 v5, v3, 16, 1
	v_add3_u32 v3, v3, v5, 0x7fff
	s_delay_alu instid0(VALU_DEP_1)
	v_lshrrev_b32_e32 v3, 16, v3
	s_branch .LBB537_590
.LBB537_588:
	s_mov_b32 s2, -1
                                        ; implicit-def: $vgpr3
	s_branch .LBB537_593
.LBB537_589:
	s_mov_b32 s2, -1
                                        ; implicit-def: $vgpr3
.LBB537_590:
	s_delay_alu instid0(SALU_CYCLE_1)
	s_and_not1_b32 vcc_lo, exec_lo, s2
	s_cbranch_vccnz .LBB537_592
; %bb.591:
	global_load_u16 v3, v[1:2], off
	s_waitcnt vmcnt(0)
	v_cvt_f32_u32_e32 v3, v3
	s_delay_alu instid0(VALU_DEP_1) | instskip(NEXT) | instid1(VALU_DEP_1)
	v_bfe_u32 v5, v3, 16, 1
	v_add3_u32 v3, v3, v5, 0x7fff
	s_delay_alu instid0(VALU_DEP_1)
	v_lshrrev_b32_e32 v3, 16, v3
.LBB537_592:
	s_mov_b32 s2, 0
.LBB537_593:
	s_delay_alu instid0(SALU_CYCLE_1)
	s_and_not1_b32 vcc_lo, exec_lo, s2
	s_cbranch_vccnz .LBB537_601
; %bb.594:
	global_load_u8 v3, v[1:2], off
	s_mov_b32 s2, 0
	s_mov_b32 s25, exec_lo
                                        ; implicit-def: $sgpr24
	s_waitcnt vmcnt(0)
	v_cmpx_lt_i16_e32 0x7f, v3
	s_xor_b32 s25, exec_lo, s25
	s_cbranch_execz .LBB537_615
; %bb.595:
	s_mov_b32 s2, -1
	s_mov_b32 s46, exec_lo
                                        ; implicit-def: $sgpr24
	v_cmpx_eq_u16_e32 0x80, v3
; %bb.596:
	s_mov_b32 s24, 0x7f800001
	s_xor_b32 s2, exec_lo, -1
; %bb.597:
	s_or_b32 exec_lo, exec_lo, s46
	s_delay_alu instid0(SALU_CYCLE_1)
	s_and_b32 s2, s2, exec_lo
	s_or_saveexec_b32 s25, s25
	v_mov_b32_e32 v5, s24
	s_xor_b32 exec_lo, exec_lo, s25
	s_cbranch_execnz .LBB537_616
.LBB537_598:
	s_or_b32 exec_lo, exec_lo, s25
	s_and_saveexec_b32 s24, s2
	s_cbranch_execz .LBB537_600
.LBB537_599:
	v_and_b32_e32 v5, 0xffff, v3
	v_lshlrev_b32_e32 v3, 24, v3
	s_delay_alu instid0(VALU_DEP_2) | instskip(NEXT) | instid1(VALU_DEP_2)
	v_and_b32_e32 v6, 7, v5
	v_and_b32_e32 v3, 0x80000000, v3
	s_delay_alu instid0(VALU_DEP_2) | instskip(NEXT) | instid1(VALU_DEP_1)
	v_clz_i32_u32_e32 v7, v6
	v_min_u32_e32 v7, 32, v7
	s_delay_alu instid0(VALU_DEP_1) | instskip(SKIP_1) | instid1(VALU_DEP_2)
	v_subrev_nc_u32_e32 v8, 28, v7
	v_sub_nc_u32_e32 v7, 29, v7
	v_lshlrev_b32_e32 v8, v8, v5
	v_bfe_u32 v5, v5, 3, 4
	s_delay_alu instid0(VALU_DEP_2) | instskip(NEXT) | instid1(VALU_DEP_2)
	v_and_b32_e32 v8, 7, v8
	v_cmp_eq_u32_e32 vcc_lo, 0, v5
	s_delay_alu instid0(VALU_DEP_2) | instskip(NEXT) | instid1(VALU_DEP_1)
	v_dual_cndmask_b32 v5, v5, v7 :: v_dual_cndmask_b32 v6, v6, v8
	v_lshl_add_u32 v5, v5, 23, 0x3b800000
	s_delay_alu instid0(VALU_DEP_2) | instskip(NEXT) | instid1(VALU_DEP_1)
	v_lshlrev_b32_e32 v6, 20, v6
	v_or3_b32 v5, v3, v5, v6
.LBB537_600:
	s_or_b32 exec_lo, exec_lo, s24
	s_delay_alu instid0(VALU_DEP_1) | instskip(SKIP_1) | instid1(VALU_DEP_2)
	v_bfe_u32 v3, v5, 16, 1
	v_cmp_o_f32_e32 vcc_lo, v5, v5
	v_add3_u32 v3, v5, v3, 0x7fff
	s_delay_alu instid0(VALU_DEP_1) | instskip(NEXT) | instid1(VALU_DEP_1)
	v_lshrrev_b32_e32 v3, 16, v3
	v_cndmask_b32_e32 v3, 0x7fc0, v3, vcc_lo
.LBB537_601:
	s_mov_b32 s2, -1
.LBB537_602:
	s_mov_b32 s24, 0
.LBB537_603:
	s_delay_alu instid0(SALU_CYCLE_1)
	s_and_b32 vcc_lo, exec_lo, s24
	s_cbranch_vccz .LBB537_638
; %bb.604:
	v_cmp_gt_i16_e64 s24, s34, 22
	s_delay_alu instid0(VALU_DEP_1)
	s_and_b32 vcc_lo, exec_lo, s24
	s_cbranch_vccz .LBB537_614
; %bb.605:
	v_cmp_lt_i16_e64 s2, s34, 24
	s_delay_alu instid0(VALU_DEP_1)
	s_and_b32 vcc_lo, exec_lo, s2
	s_cbranch_vccnz .LBB537_617
; %bb.606:
	v_cmp_gt_i16_e64 s2, s34, 24
	s_delay_alu instid0(VALU_DEP_1)
	s_and_b32 vcc_lo, exec_lo, s2
	s_cbranch_vccz .LBB537_618
; %bb.607:
	global_load_u8 v3, v[1:2], off
	s_mov_b32 s2, 0
	s_mov_b32 s25, exec_lo
                                        ; implicit-def: $sgpr24
	s_waitcnt vmcnt(0)
	v_cmpx_lt_i16_e32 0x7f, v3
	s_xor_b32 s25, exec_lo, s25
	s_cbranch_execz .LBB537_630
; %bb.608:
	s_mov_b32 s2, -1
	s_mov_b32 s46, exec_lo
                                        ; implicit-def: $sgpr24
	v_cmpx_eq_u16_e32 0x80, v3
; %bb.609:
	s_mov_b32 s24, 0x7f800001
	s_xor_b32 s2, exec_lo, -1
; %bb.610:
	s_or_b32 exec_lo, exec_lo, s46
	s_delay_alu instid0(SALU_CYCLE_1)
	s_and_b32 s2, s2, exec_lo
	s_or_saveexec_b32 s25, s25
	v_mov_b32_e32 v5, s24
	s_xor_b32 exec_lo, exec_lo, s25
	s_cbranch_execnz .LBB537_631
.LBB537_611:
	s_or_b32 exec_lo, exec_lo, s25
	s_and_saveexec_b32 s24, s2
	s_cbranch_execz .LBB537_613
.LBB537_612:
	v_and_b32_e32 v5, 0xffff, v3
	v_lshlrev_b32_e32 v3, 24, v3
	s_delay_alu instid0(VALU_DEP_2) | instskip(NEXT) | instid1(VALU_DEP_2)
	v_and_b32_e32 v6, 3, v5
	v_and_b32_e32 v3, 0x80000000, v3
	s_delay_alu instid0(VALU_DEP_2) | instskip(NEXT) | instid1(VALU_DEP_1)
	v_clz_i32_u32_e32 v7, v6
	v_min_u32_e32 v7, 32, v7
	s_delay_alu instid0(VALU_DEP_1) | instskip(SKIP_1) | instid1(VALU_DEP_2)
	v_subrev_nc_u32_e32 v8, 29, v7
	v_sub_nc_u32_e32 v7, 30, v7
	v_lshlrev_b32_e32 v8, v8, v5
	v_bfe_u32 v5, v5, 2, 5
	s_delay_alu instid0(VALU_DEP_2) | instskip(NEXT) | instid1(VALU_DEP_2)
	v_and_b32_e32 v8, 3, v8
	v_cmp_eq_u32_e32 vcc_lo, 0, v5
	s_delay_alu instid0(VALU_DEP_2) | instskip(NEXT) | instid1(VALU_DEP_1)
	v_dual_cndmask_b32 v5, v5, v7 :: v_dual_cndmask_b32 v6, v6, v8
	v_lshl_add_u32 v5, v5, 23, 0x37800000
	s_delay_alu instid0(VALU_DEP_2) | instskip(NEXT) | instid1(VALU_DEP_1)
	v_lshlrev_b32_e32 v6, 21, v6
	v_or3_b32 v5, v3, v5, v6
.LBB537_613:
	s_or_b32 exec_lo, exec_lo, s24
	s_delay_alu instid0(VALU_DEP_1) | instskip(SKIP_2) | instid1(VALU_DEP_2)
	v_bfe_u32 v3, v5, 16, 1
	v_cmp_o_f32_e32 vcc_lo, v5, v5
	s_mov_b32 s2, 0
	v_add3_u32 v3, v5, v3, 0x7fff
	s_delay_alu instid0(VALU_DEP_1) | instskip(NEXT) | instid1(VALU_DEP_1)
	v_lshrrev_b32_e32 v3, 16, v3
	v_cndmask_b32_e32 v3, 0x7fc0, v3, vcc_lo
	s_branch .LBB537_619
.LBB537_614:
	s_mov_b32 s24, -1
                                        ; implicit-def: $vgpr3
	s_branch .LBB537_625
.LBB537_615:
	s_or_saveexec_b32 s25, s25
	v_mov_b32_e32 v5, s24
	s_xor_b32 exec_lo, exec_lo, s25
	s_cbranch_execz .LBB537_598
.LBB537_616:
	v_cmp_ne_u16_e32 vcc_lo, 0, v3
	v_mov_b32_e32 v5, 0
	s_and_not1_b32 s2, s2, exec_lo
	s_and_b32 s24, vcc_lo, exec_lo
	s_delay_alu instid0(SALU_CYCLE_1)
	s_or_b32 s2, s2, s24
	s_or_b32 exec_lo, exec_lo, s25
	s_and_saveexec_b32 s24, s2
	s_cbranch_execnz .LBB537_599
	s_branch .LBB537_600
.LBB537_617:
	s_mov_b32 s2, -1
                                        ; implicit-def: $vgpr3
	s_branch .LBB537_622
.LBB537_618:
	s_mov_b32 s2, -1
                                        ; implicit-def: $vgpr3
.LBB537_619:
	s_delay_alu instid0(SALU_CYCLE_1)
	s_and_b32 vcc_lo, exec_lo, s2
	s_cbranch_vccz .LBB537_621
; %bb.620:
	global_load_u8 v3, v[1:2], off
	s_waitcnt vmcnt(0)
	v_lshlrev_b32_e32 v3, 24, v3
	s_delay_alu instid0(VALU_DEP_1) | instskip(NEXT) | instid1(VALU_DEP_1)
	v_and_b32_e32 v5, 0x7f000000, v3
	v_clz_i32_u32_e32 v6, v5
	v_cmp_ne_u32_e32 vcc_lo, 0, v5
	v_add_nc_u32_e32 v8, 0x1000000, v5
	s_delay_alu instid0(VALU_DEP_3) | instskip(NEXT) | instid1(VALU_DEP_1)
	v_min_u32_e32 v6, 32, v6
	v_sub_nc_u32_e64 v6, v6, 4 clamp
	s_delay_alu instid0(VALU_DEP_1) | instskip(SKIP_1) | instid1(VALU_DEP_2)
	v_lshlrev_b32_e32 v7, v6, v5
	v_lshlrev_b32_e32 v6, 23, v6
	v_lshrrev_b32_e32 v7, 4, v7
	s_delay_alu instid0(VALU_DEP_1) | instskip(SKIP_1) | instid1(VALU_DEP_2)
	v_sub_nc_u32_e32 v6, v7, v6
	v_ashrrev_i32_e32 v7, 8, v8
	v_add_nc_u32_e32 v6, 0x3c000000, v6
	s_delay_alu instid0(VALU_DEP_1) | instskip(NEXT) | instid1(VALU_DEP_1)
	v_and_or_b32 v6, 0x7f800000, v7, v6
	v_cndmask_b32_e32 v5, 0, v6, vcc_lo
	s_delay_alu instid0(VALU_DEP_1) | instskip(SKIP_1) | instid1(VALU_DEP_2)
	v_and_or_b32 v3, 0x80000000, v3, v5
	v_bfe_u32 v5, v5, 16, 1
	v_cmp_o_f32_e32 vcc_lo, v3, v3
	s_delay_alu instid0(VALU_DEP_2) | instskip(NEXT) | instid1(VALU_DEP_1)
	v_add3_u32 v5, v3, v5, 0x7fff
	v_lshrrev_b32_e32 v5, 16, v5
	s_delay_alu instid0(VALU_DEP_1)
	v_cndmask_b32_e32 v3, 0x7fc0, v5, vcc_lo
.LBB537_621:
	s_mov_b32 s2, 0
.LBB537_622:
	s_delay_alu instid0(SALU_CYCLE_1)
	s_and_not1_b32 vcc_lo, exec_lo, s2
	s_cbranch_vccnz .LBB537_624
; %bb.623:
	global_load_u8 v3, v[1:2], off
	s_waitcnt vmcnt(0)
	v_lshlrev_b32_e32 v5, 25, v3
	v_lshlrev_b16 v3, 8, v3
	s_delay_alu instid0(VALU_DEP_2) | instskip(NEXT) | instid1(VALU_DEP_2)
	v_lshrrev_b32_e32 v6, 4, v5
	v_and_or_b32 v7, 0x7f00, v3, 0.5
	v_bfe_i32 v3, v3, 0, 16
	s_delay_alu instid0(VALU_DEP_3) | instskip(NEXT) | instid1(VALU_DEP_1)
	v_or_b32_e32 v6, 0x70000000, v6
	v_dual_add_f32 v7, -0.5, v7 :: v_dual_mul_f32 v6, 0x7800000, v6
	v_cmp_gt_u32_e32 vcc_lo, 0x8000000, v5
	s_delay_alu instid0(VALU_DEP_2) | instskip(NEXT) | instid1(VALU_DEP_1)
	v_cndmask_b32_e32 v5, v6, v7, vcc_lo
	v_and_or_b32 v3, 0x80000000, v3, v5
	v_bfe_u32 v5, v5, 16, 1
	s_delay_alu instid0(VALU_DEP_2) | instskip(NEXT) | instid1(VALU_DEP_2)
	v_cmp_o_f32_e32 vcc_lo, v3, v3
	v_add3_u32 v5, v3, v5, 0x7fff
	s_delay_alu instid0(VALU_DEP_1) | instskip(NEXT) | instid1(VALU_DEP_1)
	v_lshrrev_b32_e32 v5, 16, v5
	v_cndmask_b32_e32 v3, 0x7fc0, v5, vcc_lo
.LBB537_624:
	s_mov_b32 s24, 0
	s_mov_b32 s2, -1
.LBB537_625:
	s_and_not1_b32 vcc_lo, exec_lo, s24
	s_cbranch_vccnz .LBB537_638
; %bb.626:
	v_cmp_gt_i16_e64 s24, s34, 14
	s_delay_alu instid0(VALU_DEP_1)
	s_and_b32 vcc_lo, exec_lo, s24
	s_cbranch_vccz .LBB537_629
; %bb.627:
	v_cmp_eq_u16_e64 s3, s34, 15
	s_delay_alu instid0(VALU_DEP_1)
	s_and_b32 vcc_lo, exec_lo, s3
	s_cbranch_vccz .LBB537_632
; %bb.628:
	global_load_u16 v3, v[1:2], off
	s_mov_b32 s2, -1
	s_mov_b32 s3, 0
	s_branch .LBB537_633
.LBB537_629:
	s_mov_b32 s24, -1
                                        ; implicit-def: $vgpr3
	s_branch .LBB537_634
.LBB537_630:
	s_or_saveexec_b32 s25, s25
	v_mov_b32_e32 v5, s24
	s_xor_b32 exec_lo, exec_lo, s25
	s_cbranch_execz .LBB537_611
.LBB537_631:
	v_cmp_ne_u16_e32 vcc_lo, 0, v3
	v_mov_b32_e32 v5, 0
	s_and_not1_b32 s2, s2, exec_lo
	s_and_b32 s24, vcc_lo, exec_lo
	s_delay_alu instid0(SALU_CYCLE_1)
	s_or_b32 s2, s2, s24
	s_or_b32 exec_lo, exec_lo, s25
	s_and_saveexec_b32 s24, s2
	s_cbranch_execnz .LBB537_612
	s_branch .LBB537_613
.LBB537_632:
	s_mov_b32 s3, -1
                                        ; implicit-def: $vgpr3
.LBB537_633:
	s_mov_b32 s24, 0
.LBB537_634:
	s_delay_alu instid0(SALU_CYCLE_1)
	s_and_b32 vcc_lo, exec_lo, s24
	s_cbranch_vccz .LBB537_638
; %bb.635:
	v_cmp_eq_u16_e64 s3, s34, 11
	s_delay_alu instid0(VALU_DEP_1)
	s_and_b32 vcc_lo, exec_lo, s3
	s_cbranch_vccz .LBB537_637
; %bb.636:
	global_load_u8 v3, v[1:2], off
	s_mov_b32 s3, 0
	s_mov_b32 s2, -1
	s_waitcnt vmcnt(0)
	v_cmp_ne_u16_e32 vcc_lo, 0, v3
	v_cndmask_b32_e64 v3, 0, 1.0, vcc_lo
	s_delay_alu instid0(VALU_DEP_1)
	v_lshrrev_b32_e32 v3, 16, v3
	s_branch .LBB537_638
.LBB537_637:
	s_mov_b32 s3, -1
                                        ; implicit-def: $vgpr3
.LBB537_638:
	s_mov_b32 s24, 0
.LBB537_639:
	s_delay_alu instid0(SALU_CYCLE_1)
	s_and_b32 vcc_lo, exec_lo, s24
	s_cbranch_vccz .LBB537_688
; %bb.640:
	v_cmp_lt_i16_e64 s2, s34, 5
	s_delay_alu instid0(VALU_DEP_1)
	s_and_b32 vcc_lo, exec_lo, s2
	s_cbranch_vccnz .LBB537_645
; %bb.641:
	v_cmp_lt_i16_e64 s2, s34, 8
	s_delay_alu instid0(VALU_DEP_1)
	s_and_b32 vcc_lo, exec_lo, s2
	s_cbranch_vccnz .LBB537_646
	;; [unrolled: 5-line block ×3, first 2 shown]
; %bb.643:
	v_cmp_gt_i16_e64 s2, s34, 9
	s_delay_alu instid0(VALU_DEP_1)
	s_and_b32 vcc_lo, exec_lo, s2
	s_cbranch_vccz .LBB537_648
; %bb.644:
	global_load_b64 v[5:6], v[1:2], off
	s_mov_b32 s2, 0
	s_waitcnt vmcnt(0)
	v_cvt_f32_f64_e32 v3, v[5:6]
	s_delay_alu instid0(VALU_DEP_1) | instskip(SKIP_1) | instid1(VALU_DEP_2)
	v_bfe_u32 v5, v3, 16, 1
	v_cmp_o_f32_e32 vcc_lo, v3, v3
	v_add3_u32 v5, v3, v5, 0x7fff
	s_delay_alu instid0(VALU_DEP_1) | instskip(NEXT) | instid1(VALU_DEP_1)
	v_lshrrev_b32_e32 v5, 16, v5
	v_cndmask_b32_e32 v3, 0x7fc0, v5, vcc_lo
	s_branch .LBB537_649
.LBB537_645:
	s_mov_b32 s2, -1
                                        ; implicit-def: $vgpr3
	s_branch .LBB537_667
.LBB537_646:
	s_mov_b32 s2, -1
                                        ; implicit-def: $vgpr3
	s_branch .LBB537_655
.LBB537_647:
	s_mov_b32 s2, -1
                                        ; implicit-def: $vgpr3
	s_branch .LBB537_652
.LBB537_648:
	s_mov_b32 s2, -1
                                        ; implicit-def: $vgpr3
.LBB537_649:
	s_delay_alu instid0(SALU_CYCLE_1)
	s_and_not1_b32 vcc_lo, exec_lo, s2
	s_cbranch_vccnz .LBB537_651
; %bb.650:
	global_load_b32 v3, v[1:2], off
	s_waitcnt vmcnt(0)
	v_bfe_u32 v5, v3, 16, 1
	v_cmp_o_f32_e32 vcc_lo, v3, v3
	s_delay_alu instid0(VALU_DEP_2) | instskip(NEXT) | instid1(VALU_DEP_1)
	v_add3_u32 v5, v3, v5, 0x7fff
	v_lshrrev_b32_e32 v5, 16, v5
	s_delay_alu instid0(VALU_DEP_1)
	v_cndmask_b32_e32 v3, 0x7fc0, v5, vcc_lo
.LBB537_651:
	s_mov_b32 s2, 0
.LBB537_652:
	s_delay_alu instid0(SALU_CYCLE_1)
	s_and_not1_b32 vcc_lo, exec_lo, s2
	s_cbranch_vccnz .LBB537_654
; %bb.653:
	global_load_b32 v3, v[1:2], off
	s_waitcnt vmcnt(0)
	v_cvt_f32_f16_e32 v5, v3
	v_cmp_o_f16_e32 vcc_lo, v3, v3
	s_delay_alu instid0(VALU_DEP_2) | instskip(NEXT) | instid1(VALU_DEP_1)
	v_bfe_u32 v6, v5, 16, 1
	v_add3_u32 v5, v5, v6, 0x7fff
	s_delay_alu instid0(VALU_DEP_1) | instskip(NEXT) | instid1(VALU_DEP_1)
	v_lshrrev_b32_e32 v5, 16, v5
	v_cndmask_b32_e32 v3, 0x7fc0, v5, vcc_lo
.LBB537_654:
	s_mov_b32 s2, 0
.LBB537_655:
	s_delay_alu instid0(SALU_CYCLE_1)
	s_and_not1_b32 vcc_lo, exec_lo, s2
	s_cbranch_vccnz .LBB537_666
; %bb.656:
	v_cmp_lt_i16_e64 s2, s34, 6
	s_delay_alu instid0(VALU_DEP_1)
	s_and_b32 vcc_lo, exec_lo, s2
	s_cbranch_vccnz .LBB537_659
; %bb.657:
	v_cmp_gt_i16_e64 s2, s34, 6
	s_delay_alu instid0(VALU_DEP_1)
	s_and_b32 vcc_lo, exec_lo, s2
	s_cbranch_vccz .LBB537_660
; %bb.658:
	global_load_b64 v[5:6], v[1:2], off
	s_mov_b32 s2, 0
	s_waitcnt vmcnt(0)
	v_cvt_f32_f64_e32 v3, v[5:6]
	s_delay_alu instid0(VALU_DEP_1) | instskip(SKIP_1) | instid1(VALU_DEP_2)
	v_bfe_u32 v5, v3, 16, 1
	v_cmp_o_f32_e32 vcc_lo, v3, v3
	v_add3_u32 v5, v3, v5, 0x7fff
	s_delay_alu instid0(VALU_DEP_1) | instskip(NEXT) | instid1(VALU_DEP_1)
	v_lshrrev_b32_e32 v5, 16, v5
	v_cndmask_b32_e32 v3, 0x7fc0, v5, vcc_lo
	s_branch .LBB537_661
.LBB537_659:
	s_mov_b32 s2, -1
                                        ; implicit-def: $vgpr3
	s_branch .LBB537_664
.LBB537_660:
	s_mov_b32 s2, -1
                                        ; implicit-def: $vgpr3
.LBB537_661:
	s_delay_alu instid0(SALU_CYCLE_1)
	s_and_not1_b32 vcc_lo, exec_lo, s2
	s_cbranch_vccnz .LBB537_663
; %bb.662:
	global_load_b32 v3, v[1:2], off
	s_waitcnt vmcnt(0)
	v_bfe_u32 v5, v3, 16, 1
	v_cmp_o_f32_e32 vcc_lo, v3, v3
	s_delay_alu instid0(VALU_DEP_2) | instskip(NEXT) | instid1(VALU_DEP_1)
	v_add3_u32 v5, v3, v5, 0x7fff
	v_lshrrev_b32_e32 v5, 16, v5
	s_delay_alu instid0(VALU_DEP_1)
	v_cndmask_b32_e32 v3, 0x7fc0, v5, vcc_lo
.LBB537_663:
	s_mov_b32 s2, 0
.LBB537_664:
	s_delay_alu instid0(SALU_CYCLE_1)
	s_and_not1_b32 vcc_lo, exec_lo, s2
	s_cbranch_vccnz .LBB537_666
; %bb.665:
	global_load_u16 v3, v[1:2], off
	s_waitcnt vmcnt(0)
	v_cvt_f32_f16_e32 v5, v3
	v_cmp_o_f16_e32 vcc_lo, v3, v3
	s_delay_alu instid0(VALU_DEP_2) | instskip(NEXT) | instid1(VALU_DEP_1)
	v_bfe_u32 v6, v5, 16, 1
	v_add3_u32 v5, v5, v6, 0x7fff
	s_delay_alu instid0(VALU_DEP_1) | instskip(NEXT) | instid1(VALU_DEP_1)
	v_lshrrev_b32_e32 v5, 16, v5
	v_cndmask_b32_e32 v3, 0x7fc0, v5, vcc_lo
.LBB537_666:
	s_mov_b32 s2, 0
.LBB537_667:
	s_delay_alu instid0(SALU_CYCLE_1)
	s_and_not1_b32 vcc_lo, exec_lo, s2
	s_cbranch_vccnz .LBB537_687
; %bb.668:
	v_cmp_lt_i16_e64 s2, s34, 2
	s_delay_alu instid0(VALU_DEP_1)
	s_and_b32 vcc_lo, exec_lo, s2
	s_cbranch_vccnz .LBB537_672
; %bb.669:
	v_cmp_lt_i16_e64 s2, s34, 3
	s_delay_alu instid0(VALU_DEP_1)
	s_and_b32 vcc_lo, exec_lo, s2
	s_cbranch_vccnz .LBB537_673
; %bb.670:
	v_cmp_gt_i16_e64 s2, s34, 3
	s_delay_alu instid0(VALU_DEP_1)
	s_and_b32 vcc_lo, exec_lo, s2
	s_cbranch_vccz .LBB537_674
; %bb.671:
	global_load_b64 v[5:6], v[1:2], off
	s_mov_b32 s2, 0
	s_waitcnt vmcnt(0)
	v_xor_b32_e32 v3, v5, v6
	v_cls_i32_e32 v7, v6
	s_delay_alu instid0(VALU_DEP_2) | instskip(NEXT) | instid1(VALU_DEP_2)
	v_ashrrev_i32_e32 v3, 31, v3
	v_add_nc_u32_e32 v7, -1, v7
	s_delay_alu instid0(VALU_DEP_2) | instskip(NEXT) | instid1(VALU_DEP_1)
	v_add_nc_u32_e32 v3, 32, v3
	v_min_u32_e32 v3, v7, v3
	s_delay_alu instid0(VALU_DEP_1) | instskip(SKIP_1) | instid1(VALU_DEP_2)
	v_lshlrev_b64 v[5:6], v3, v[5:6]
	v_sub_nc_u32_e32 v3, 32, v3
	v_min_u32_e32 v5, 1, v5
	s_delay_alu instid0(VALU_DEP_1) | instskip(NEXT) | instid1(VALU_DEP_1)
	v_or_b32_e32 v5, v6, v5
	v_cvt_f32_i32_e32 v5, v5
	s_delay_alu instid0(VALU_DEP_1) | instskip(NEXT) | instid1(VALU_DEP_1)
	v_ldexp_f32 v3, v5, v3
	v_bfe_u32 v5, v3, 16, 1
	s_delay_alu instid0(VALU_DEP_1) | instskip(NEXT) | instid1(VALU_DEP_1)
	v_add3_u32 v3, v3, v5, 0x7fff
	v_lshrrev_b32_e32 v3, 16, v3
	s_branch .LBB537_675
.LBB537_672:
	s_mov_b32 s2, -1
                                        ; implicit-def: $vgpr3
	s_branch .LBB537_681
.LBB537_673:
	s_mov_b32 s2, -1
                                        ; implicit-def: $vgpr3
	s_branch .LBB537_678
.LBB537_674:
	s_mov_b32 s2, -1
                                        ; implicit-def: $vgpr3
.LBB537_675:
	s_delay_alu instid0(SALU_CYCLE_1)
	s_and_not1_b32 vcc_lo, exec_lo, s2
	s_cbranch_vccnz .LBB537_677
; %bb.676:
	global_load_b32 v3, v[1:2], off
	s_waitcnt vmcnt(0)
	v_cvt_f32_i32_e32 v3, v3
	s_delay_alu instid0(VALU_DEP_1) | instskip(NEXT) | instid1(VALU_DEP_1)
	v_bfe_u32 v5, v3, 16, 1
	v_add3_u32 v3, v3, v5, 0x7fff
	s_delay_alu instid0(VALU_DEP_1)
	v_lshrrev_b32_e32 v3, 16, v3
.LBB537_677:
	s_mov_b32 s2, 0
.LBB537_678:
	s_delay_alu instid0(SALU_CYCLE_1)
	s_and_not1_b32 vcc_lo, exec_lo, s2
	s_cbranch_vccnz .LBB537_680
; %bb.679:
	global_load_i16 v3, v[1:2], off
	s_waitcnt vmcnt(0)
	v_cvt_f32_i32_e32 v3, v3
	s_delay_alu instid0(VALU_DEP_1) | instskip(NEXT) | instid1(VALU_DEP_1)
	v_bfe_u32 v5, v3, 16, 1
	v_add3_u32 v3, v3, v5, 0x7fff
	s_delay_alu instid0(VALU_DEP_1)
	v_lshrrev_b32_e32 v3, 16, v3
.LBB537_680:
	s_mov_b32 s2, 0
.LBB537_681:
	s_delay_alu instid0(SALU_CYCLE_1)
	s_and_not1_b32 vcc_lo, exec_lo, s2
	s_cbranch_vccnz .LBB537_687
; %bb.682:
	v_cmp_gt_i16_e64 s2, s34, 0
	s_delay_alu instid0(VALU_DEP_1)
	s_and_b32 vcc_lo, exec_lo, s2
	s_mov_b32 s2, 0
	s_cbranch_vccz .LBB537_684
; %bb.683:
	global_load_i8 v3, v[1:2], off
	s_waitcnt vmcnt(0)
	v_cvt_f32_i32_e32 v3, v3
	s_delay_alu instid0(VALU_DEP_1) | instskip(NEXT) | instid1(VALU_DEP_1)
	v_bfe_u32 v5, v3, 16, 1
	v_add3_u32 v3, v3, v5, 0x7fff
	s_delay_alu instid0(VALU_DEP_1)
	v_lshrrev_b32_e32 v3, 16, v3
	s_branch .LBB537_685
.LBB537_684:
	s_mov_b32 s2, -1
                                        ; implicit-def: $vgpr3
.LBB537_685:
	s_delay_alu instid0(SALU_CYCLE_1)
	s_and_not1_b32 vcc_lo, exec_lo, s2
	s_cbranch_vccnz .LBB537_687
; %bb.686:
	global_load_u8 v1, v[1:2], off
	s_waitcnt vmcnt(0)
	v_cvt_f32_ubyte0_e32 v1, v1
	s_delay_alu instid0(VALU_DEP_1) | instskip(NEXT) | instid1(VALU_DEP_1)
	v_bfe_u32 v2, v1, 16, 1
	v_add3_u32 v1, v1, v2, 0x7fff
	s_delay_alu instid0(VALU_DEP_1)
	v_lshrrev_b32_e32 v3, 16, v1
.LBB537_687:
	s_mov_b32 s2, -1
.LBB537_688:
	s_delay_alu instid0(SALU_CYCLE_1)
	s_and_not1_b32 vcc_lo, exec_lo, s2
	s_cbranch_vccnz .LBB537_700
; %bb.689:
	s_waitcnt vmcnt(0)
	v_dual_mov_b32 v2, s18 :: v_dual_lshlrev_b32 v1, 16, v3
	s_mov_b32 s2, exec_lo
	s_delay_alu instid0(VALU_DEP_1)
	v_cmpx_o_f32_e32 v1, v1
	s_cbranch_execz .LBB537_693
; %bb.690:
	v_mov_b32_e32 v2, s33
	s_mov_b32 s24, exec_lo
	v_cmpx_neq_f32_e32 0x7f800000, v1
; %bb.691:
	v_cmp_eq_f32_e32 vcc_lo, 0xff800000, v1
	v_cndmask_b32_e64 v2, v3, s19, vcc_lo
; %bb.692:
	s_or_b32 exec_lo, exec_lo, s24
.LBB537_693:
	s_delay_alu instid0(SALU_CYCLE_1) | instskip(SKIP_2) | instid1(VALU_DEP_1)
	s_or_b32 exec_lo, exec_lo, s2
	v_and_b32_e64 v3, 0xff, s31
	v_add_co_u32 v0, s2, s4, v0
	v_add_co_ci_u32_e64 v1, null, s5, 0, s2
	s_delay_alu instid0(VALU_DEP_3)
	v_cmp_gt_i16_e32 vcc_lo, 11, v3
	s_mov_b32 s24, 0
	s_mov_b32 s25, -1
	s_mov_b32 s2, s43
	s_cbranch_vccnz .LBB537_701
; %bb.694:
	v_cmp_lt_i16_e32 vcc_lo, 25, v3
	s_cbranch_vccz .LBB537_742
; %bb.695:
	v_cmp_lt_i16_e32 vcc_lo, 28, v3
	s_cbranch_vccz .LBB537_743
	;; [unrolled: 3-line block ×4, first 2 shown]
; %bb.698:
	v_cmp_eq_u16_e32 vcc_lo, 46, v3
	s_mov_b32 s25, 0
	s_mov_b32 s2, -1
	s_cbranch_vccz .LBB537_746
; %bb.699:
	v_and_b32_e32 v5, 0xffff, v2
	s_mov_b32 s24, -1
	s_mov_b32 s2, 0
	global_store_b32 v[0:1], v5, off
	s_branch .LBB537_746
.LBB537_700:
	s_mov_b32 s46, 0
	s_mov_b32 s2, s43
	s_branch .LBB537_741
.LBB537_701:
	s_and_b32 vcc_lo, exec_lo, s25
	s_cbranch_vccz .LBB537_815
; %bb.702:
	v_cmp_gt_i16_e32 vcc_lo, 5, v3
	s_mov_b32 s24, -1
	s_cbranch_vccnz .LBB537_723
; %bb.703:
	v_cmp_gt_i16_e32 vcc_lo, 8, v3
	s_cbranch_vccnz .LBB537_713
; %bb.704:
	v_cmp_gt_i16_e32 vcc_lo, 9, v3
	s_cbranch_vccnz .LBB537_710
; %bb.705:
	v_cmp_lt_i16_e32 vcc_lo, 9, v3
	s_cbranch_vccz .LBB537_707
; %bb.706:
	v_mov_b32_e32 v7, 0
	v_lshlrev_b32_e32 v5, 16, v2
	s_mov_b32 s24, 0
	s_delay_alu instid0(VALU_DEP_2) | instskip(NEXT) | instid1(VALU_DEP_2)
	v_mov_b32_e32 v8, v7
	v_cvt_f64_f32_e32 v[5:6], v5
	global_store_b128 v[0:1], v[5:8], off
.LBB537_707:
	s_and_not1_b32 vcc_lo, exec_lo, s24
	s_cbranch_vccnz .LBB537_709
; %bb.708:
	v_dual_mov_b32 v6, 0 :: v_dual_lshlrev_b32 v5, 16, v2
	global_store_b64 v[0:1], v[5:6], off
.LBB537_709:
	s_mov_b32 s24, 0
.LBB537_710:
	s_delay_alu instid0(SALU_CYCLE_1)
	s_and_not1_b32 vcc_lo, exec_lo, s24
	s_cbranch_vccnz .LBB537_712
; %bb.711:
	v_lshlrev_b32_e32 v5, 16, v2
	s_delay_alu instid0(VALU_DEP_1) | instskip(NEXT) | instid1(VALU_DEP_1)
	v_cvt_f16_f32_e32 v5, v5
	v_and_b32_e32 v5, 0xffff, v5
	global_store_b32 v[0:1], v5, off
.LBB537_712:
	s_mov_b32 s24, 0
.LBB537_713:
	s_delay_alu instid0(SALU_CYCLE_1)
	s_and_not1_b32 vcc_lo, exec_lo, s24
	s_cbranch_vccnz .LBB537_722
; %bb.714:
	v_cmp_gt_i16_e32 vcc_lo, 6, v3
	s_mov_b32 s24, -1
	s_cbranch_vccnz .LBB537_720
; %bb.715:
	v_cmp_lt_i16_e32 vcc_lo, 6, v3
	s_cbranch_vccz .LBB537_717
; %bb.716:
	v_lshlrev_b32_e32 v5, 16, v2
	s_mov_b32 s24, 0
	s_delay_alu instid0(VALU_DEP_1)
	v_cvt_f64_f32_e32 v[5:6], v5
	global_store_b64 v[0:1], v[5:6], off
.LBB537_717:
	s_and_not1_b32 vcc_lo, exec_lo, s24
	s_cbranch_vccnz .LBB537_719
; %bb.718:
	v_lshlrev_b32_e32 v5, 16, v2
	global_store_b32 v[0:1], v5, off
.LBB537_719:
	s_mov_b32 s24, 0
.LBB537_720:
	s_delay_alu instid0(SALU_CYCLE_1)
	s_and_not1_b32 vcc_lo, exec_lo, s24
	s_cbranch_vccnz .LBB537_722
; %bb.721:
	v_lshlrev_b32_e32 v5, 16, v2
	s_delay_alu instid0(VALU_DEP_1)
	v_cvt_f16_f32_e32 v5, v5
	global_store_b16 v[0:1], v5, off
.LBB537_722:
	s_mov_b32 s24, 0
.LBB537_723:
	s_delay_alu instid0(SALU_CYCLE_1)
	s_and_not1_b32 vcc_lo, exec_lo, s24
	s_cbranch_vccnz .LBB537_739
; %bb.724:
	v_cmp_gt_i16_e32 vcc_lo, 2, v3
	s_mov_b32 s24, -1
	s_cbranch_vccnz .LBB537_734
; %bb.725:
	v_cmp_gt_i16_e32 vcc_lo, 3, v3
	s_cbranch_vccnz .LBB537_731
; %bb.726:
	v_cmp_lt_i16_e32 vcc_lo, 3, v3
	s_cbranch_vccz .LBB537_728
; %bb.727:
	v_lshlrev_b32_e32 v5, 16, v2
	s_mov_b32 s24, 0
	s_delay_alu instid0(VALU_DEP_1) | instskip(NEXT) | instid1(VALU_DEP_1)
	v_trunc_f32_e32 v5, v5
	v_mul_f32_e64 v6, 0x2f800000, |v5|
	v_ashrrev_i32_e32 v8, 31, v5
	s_delay_alu instid0(VALU_DEP_2) | instskip(NEXT) | instid1(VALU_DEP_1)
	v_floor_f32_e32 v6, v6
	v_fma_f32 v7, 0xcf800000, v6, |v5|
	v_cvt_u32_f32_e32 v6, v6
	s_delay_alu instid0(VALU_DEP_2) | instskip(NEXT) | instid1(VALU_DEP_2)
	v_cvt_u32_f32_e32 v5, v7
	v_xor_b32_e32 v6, v6, v8
	s_delay_alu instid0(VALU_DEP_2) | instskip(NEXT) | instid1(VALU_DEP_1)
	v_xor_b32_e32 v5, v5, v8
	v_sub_co_u32 v5, vcc_lo, v5, v8
	s_delay_alu instid0(VALU_DEP_3)
	v_sub_co_ci_u32_e32 v6, vcc_lo, v6, v8, vcc_lo
	global_store_b64 v[0:1], v[5:6], off
.LBB537_728:
	s_and_not1_b32 vcc_lo, exec_lo, s24
	s_cbranch_vccnz .LBB537_730
; %bb.729:
	v_lshlrev_b32_e32 v5, 16, v2
	s_delay_alu instid0(VALU_DEP_1)
	v_cvt_i32_f32_e32 v5, v5
	global_store_b32 v[0:1], v5, off
.LBB537_730:
	s_mov_b32 s24, 0
.LBB537_731:
	s_delay_alu instid0(SALU_CYCLE_1)
	s_and_not1_b32 vcc_lo, exec_lo, s24
	s_cbranch_vccnz .LBB537_733
; %bb.732:
	v_lshlrev_b32_e32 v5, 16, v2
	s_delay_alu instid0(VALU_DEP_1)
	v_cvt_i32_f32_e32 v5, v5
	global_store_b16 v[0:1], v5, off
.LBB537_733:
	s_mov_b32 s24, 0
.LBB537_734:
	s_delay_alu instid0(SALU_CYCLE_1)
	s_and_not1_b32 vcc_lo, exec_lo, s24
	s_cbranch_vccnz .LBB537_739
; %bb.735:
	v_cmp_lt_i16_e32 vcc_lo, 0, v3
	s_mov_b32 s24, -1
	s_cbranch_vccz .LBB537_737
; %bb.736:
	v_lshlrev_b32_e32 v3, 16, v2
	s_mov_b32 s24, 0
	s_delay_alu instid0(VALU_DEP_1)
	v_cvt_i32_f32_e32 v3, v3
	global_store_b8 v[0:1], v3, off
.LBB537_737:
	s_and_not1_b32 vcc_lo, exec_lo, s24
	s_cbranch_vccnz .LBB537_739
; %bb.738:
	v_lshlrev_b32_e32 v2, 16, v2
	s_delay_alu instid0(VALU_DEP_1) | instskip(NEXT) | instid1(VALU_DEP_1)
	v_trunc_f32_e32 v2, v2
	v_mul_f32_e64 v3, 0x2f800000, |v2|
	s_delay_alu instid0(VALU_DEP_1) | instskip(NEXT) | instid1(VALU_DEP_1)
	v_floor_f32_e32 v3, v3
	v_fma_f32 v3, 0xcf800000, v3, |v2|
	v_ashrrev_i32_e32 v2, 31, v2
	s_delay_alu instid0(VALU_DEP_2) | instskip(NEXT) | instid1(VALU_DEP_1)
	v_cvt_u32_f32_e32 v3, v3
	v_xor_b32_e32 v3, v3, v2
	s_delay_alu instid0(VALU_DEP_1)
	v_sub_nc_u32_e32 v2, v3, v2
	global_store_b8 v[0:1], v2, off
.LBB537_739:
	s_branch .LBB537_816
.LBB537_740:
	s_mov_b32 s46, 0
.LBB537_741:
                                        ; implicit-def: $vgpr4
	s_branch .LBB537_817
.LBB537_742:
	s_mov_b32 s2, s43
	s_branch .LBB537_773
.LBB537_743:
	s_mov_b32 s2, s43
	s_branch .LBB537_756
.LBB537_744:
	s_mov_b32 s2, s43
	s_branch .LBB537_752
.LBB537_745:
	s_mov_b32 s2, s43
.LBB537_746:
	s_and_b32 vcc_lo, exec_lo, s25
	s_cbranch_vccz .LBB537_751
; %bb.747:
	v_cmp_eq_u16_e32 vcc_lo, 44, v3
	s_mov_b32 s2, -1
	s_cbranch_vccz .LBB537_751
; %bb.748:
	v_and_b32_e32 v5, 0xffff, v2
	v_mov_b32_e32 v6, 0xff
	s_mov_b32 s24, exec_lo
	s_delay_alu instid0(VALU_DEP_2) | instskip(NEXT) | instid1(VALU_DEP_1)
	v_bfe_u32 v7, v5, 7, 8
	v_cmpx_ne_u32_e32 0xff, v7
; %bb.749:
	v_lshlrev_b32_e32 v6, 16, v5
	v_and_b32_e32 v8, 64, v5
	v_lshrrev_b32_e32 v5, 7, v5
	s_delay_alu instid0(VALU_DEP_3) | instskip(NEXT) | instid1(VALU_DEP_3)
	v_and_or_b32 v6, 0x3f0000, v6, v7
	v_cmp_ne_u32_e32 vcc_lo, 0, v8
	s_delay_alu instid0(VALU_DEP_2) | instskip(NEXT) | instid1(VALU_DEP_1)
	v_cmp_ne_u32_e64 s2, 0, v6
	s_and_b32 s2, vcc_lo, s2
	s_delay_alu instid0(SALU_CYCLE_1) | instskip(NEXT) | instid1(VALU_DEP_1)
	v_cndmask_b32_e64 v6, 0, 1, s2
	v_add_nc_u32_e32 v6, v5, v6
; %bb.750:
	s_or_b32 exec_lo, exec_lo, s24
	s_mov_b32 s24, -1
	s_mov_b32 s2, 0
	global_store_b8 v[0:1], v6, off
.LBB537_751:
	s_mov_b32 s25, 0
.LBB537_752:
	s_delay_alu instid0(SALU_CYCLE_1)
	s_and_b32 vcc_lo, exec_lo, s25
	s_cbranch_vccz .LBB537_755
; %bb.753:
	v_cmp_eq_u16_e32 vcc_lo, 29, v3
	s_mov_b32 s2, -1
	s_cbranch_vccz .LBB537_755
; %bb.754:
	v_lshlrev_b32_e32 v5, 16, v2
	s_mov_b32 s24, -1
	s_mov_b32 s2, 0
	s_mov_b32 s25, 0
	s_delay_alu instid0(VALU_DEP_1) | instskip(NEXT) | instid1(VALU_DEP_1)
	v_trunc_f32_e32 v5, v5
	v_mul_f32_e32 v6, 0x2f800000, v5
	s_delay_alu instid0(VALU_DEP_1) | instskip(NEXT) | instid1(VALU_DEP_1)
	v_floor_f32_e32 v6, v6
	v_fmamk_f32 v5, v6, 0xcf800000, v5
	v_cvt_u32_f32_e32 v6, v6
	s_delay_alu instid0(VALU_DEP_2)
	v_cvt_u32_f32_e32 v5, v5
	global_store_b64 v[0:1], v[5:6], off
	s_branch .LBB537_756
.LBB537_755:
	s_mov_b32 s25, 0
.LBB537_756:
	s_delay_alu instid0(SALU_CYCLE_1)
	s_and_b32 vcc_lo, exec_lo, s25
	s_cbranch_vccz .LBB537_772
; %bb.757:
	v_cmp_gt_i16_e32 vcc_lo, 27, v3
	s_mov_b32 s24, -1
	s_cbranch_vccnz .LBB537_763
; %bb.758:
	v_cmp_lt_i16_e32 vcc_lo, 27, v3
	s_cbranch_vccz .LBB537_760
; %bb.759:
	v_lshlrev_b32_e32 v5, 16, v2
	s_mov_b32 s24, 0
	s_delay_alu instid0(VALU_DEP_1)
	v_cvt_u32_f32_e32 v5, v5
	global_store_b32 v[0:1], v5, off
.LBB537_760:
	s_and_not1_b32 vcc_lo, exec_lo, s24
	s_cbranch_vccnz .LBB537_762
; %bb.761:
	v_lshlrev_b32_e32 v5, 16, v2
	s_delay_alu instid0(VALU_DEP_1)
	v_cvt_u32_f32_e32 v5, v5
	global_store_b16 v[0:1], v5, off
.LBB537_762:
	s_mov_b32 s24, 0
.LBB537_763:
	s_delay_alu instid0(SALU_CYCLE_1)
	s_and_not1_b32 vcc_lo, exec_lo, s24
	s_cbranch_vccnz .LBB537_771
; %bb.764:
	v_dual_mov_b32 v8, 0x80 :: v_dual_lshlrev_b32 v7, 16, v2
	s_mov_b32 s24, exec_lo
	s_delay_alu instid0(VALU_DEP_1) | instskip(NEXT) | instid1(VALU_DEP_1)
	v_and_b32_e32 v6, 0x7fffffff, v7
	v_cmpx_gt_u32_e32 0x43800000, v6
	s_cbranch_execz .LBB537_770
; %bb.765:
	v_and_b32_e32 v5, 0xffff, v2
	v_cmp_lt_u32_e32 vcc_lo, 0x3bffffff, v6
	s_mov_b32 s25, 0
                                        ; implicit-def: $vgpr6
	s_and_saveexec_b32 s46, vcc_lo
	s_delay_alu instid0(SALU_CYCLE_1)
	s_xor_b32 s46, exec_lo, s46
	s_cbranch_execz .LBB537_844
; %bb.766:
	v_bfe_u32 v6, v5, 4, 1
	s_mov_b32 s25, exec_lo
	s_delay_alu instid0(VALU_DEP_1) | instskip(NEXT) | instid1(VALU_DEP_1)
	v_add3_u32 v6, v7, v6, 0x487ffff
                                        ; implicit-def: $vgpr7
	v_lshrrev_b32_e32 v6, 20, v6
	s_or_saveexec_b32 s46, s46
                                        ; implicit-def: $sgpr47
	s_delay_alu instid0(SALU_CYCLE_1)
	s_xor_b32 exec_lo, exec_lo, s46
	s_cbranch_execnz .LBB537_845
.LBB537_767:
	s_or_b32 exec_lo, exec_lo, s46
	v_mov_b32_e32 v8, s47
	s_and_saveexec_b32 s46, s25
.LBB537_768:
	v_lshrrev_b32_e32 v5, 8, v5
	s_delay_alu instid0(VALU_DEP_1)
	v_and_or_b32 v8, 0x80, v5, v6
.LBB537_769:
	s_or_b32 exec_lo, exec_lo, s46
.LBB537_770:
	s_delay_alu instid0(SALU_CYCLE_1)
	s_or_b32 exec_lo, exec_lo, s24
	global_store_b8 v[0:1], v8, off
.LBB537_771:
	s_mov_b32 s24, -1
.LBB537_772:
	s_mov_b32 s25, 0
.LBB537_773:
	s_delay_alu instid0(SALU_CYCLE_1)
	s_and_b32 vcc_lo, exec_lo, s25
	s_cbranch_vccz .LBB537_814
; %bb.774:
	v_cmp_lt_i16_e32 vcc_lo, 22, v3
	s_mov_b32 s25, -1
	s_cbranch_vccz .LBB537_806
; %bb.775:
	v_cmp_gt_i16_e32 vcc_lo, 24, v3
	s_mov_b32 s24, -1
	s_cbranch_vccnz .LBB537_795
; %bb.776:
	v_cmp_lt_i16_e32 vcc_lo, 24, v3
	s_cbranch_vccz .LBB537_784
; %bb.777:
	v_dual_mov_b32 v8, 0x80 :: v_dual_lshlrev_b32 v7, 16, v2
	s_mov_b32 s24, exec_lo
	s_delay_alu instid0(VALU_DEP_1) | instskip(NEXT) | instid1(VALU_DEP_1)
	v_and_b32_e32 v6, 0x7fffffff, v7
	v_cmpx_gt_u32_e32 0x47800000, v6
	s_cbranch_execz .LBB537_783
; %bb.778:
	v_and_b32_e32 v5, 0xffff, v2
	v_cmp_lt_u32_e32 vcc_lo, 0x37ffffff, v6
	s_mov_b32 s25, 0
                                        ; implicit-def: $vgpr6
	s_and_saveexec_b32 s46, vcc_lo
	s_delay_alu instid0(SALU_CYCLE_1)
	s_xor_b32 s46, exec_lo, s46
	s_cbranch_execz .LBB537_847
; %bb.779:
	v_bfe_u32 v6, v5, 5, 1
	s_mov_b32 s25, exec_lo
	s_delay_alu instid0(VALU_DEP_1) | instskip(NEXT) | instid1(VALU_DEP_1)
	v_add3_u32 v6, v7, v6, 0x88fffff
                                        ; implicit-def: $vgpr7
	v_lshrrev_b32_e32 v6, 21, v6
	s_or_saveexec_b32 s46, s46
                                        ; implicit-def: $sgpr47
	s_delay_alu instid0(SALU_CYCLE_1)
	s_xor_b32 exec_lo, exec_lo, s46
	s_cbranch_execnz .LBB537_848
.LBB537_780:
	s_or_b32 exec_lo, exec_lo, s46
	v_mov_b32_e32 v8, s47
	s_and_saveexec_b32 s46, s25
.LBB537_781:
	v_lshrrev_b32_e32 v5, 8, v5
	s_delay_alu instid0(VALU_DEP_1)
	v_and_or_b32 v8, 0x80, v5, v6
.LBB537_782:
	s_or_b32 exec_lo, exec_lo, s46
.LBB537_783:
	s_delay_alu instid0(SALU_CYCLE_1)
	s_or_b32 exec_lo, exec_lo, s24
	s_mov_b32 s24, 0
	global_store_b8 v[0:1], v8, off
.LBB537_784:
	s_and_b32 vcc_lo, exec_lo, s24
	s_cbranch_vccz .LBB537_794
; %bb.785:
	v_lshlrev_b32_e32 v7, 16, v2
	v_and_b32_e32 v5, 0xffff, v2
	s_mov_b32 s24, exec_lo
                                        ; implicit-def: $vgpr6
	s_delay_alu instid0(VALU_DEP_2) | instskip(NEXT) | instid1(VALU_DEP_1)
	v_and_b32_e32 v8, 0x7fffffff, v7
	v_cmpx_gt_u32_e32 0x43f00000, v8
	s_xor_b32 s24, exec_lo, s24
	s_cbranch_execz .LBB537_791
; %bb.786:
	s_mov_b32 s25, exec_lo
                                        ; implicit-def: $vgpr6
	v_cmpx_lt_u32_e32 0x3c7fffff, v8
	s_xor_b32 s25, exec_lo, s25
; %bb.787:
	v_bfe_u32 v6, v5, 4, 1
	s_delay_alu instid0(VALU_DEP_1) | instskip(NEXT) | instid1(VALU_DEP_1)
	v_add3_u32 v6, v7, v6, 0x407ffff
	v_and_b32_e32 v7, 0xff00000, v6
	v_lshrrev_b32_e32 v6, 20, v6
	s_delay_alu instid0(VALU_DEP_2) | instskip(NEXT) | instid1(VALU_DEP_2)
	v_cmp_ne_u32_e32 vcc_lo, 0x7f00000, v7
                                        ; implicit-def: $vgpr7
	v_cndmask_b32_e32 v6, 0x7e, v6, vcc_lo
; %bb.788:
	s_and_not1_saveexec_b32 s25, s25
; %bb.789:
	v_add_f32_e64 v6, 0x46800000, |v7|
; %bb.790:
	s_or_b32 exec_lo, exec_lo, s25
                                        ; implicit-def: $vgpr8
.LBB537_791:
	s_and_not1_saveexec_b32 s24, s24
; %bb.792:
	v_mov_b32_e32 v6, 0x7f
	v_cmp_lt_u32_e32 vcc_lo, 0x7f800000, v8
	s_delay_alu instid0(VALU_DEP_2)
	v_cndmask_b32_e32 v6, 0x7e, v6, vcc_lo
; %bb.793:
	s_or_b32 exec_lo, exec_lo, s24
	v_lshrrev_b32_e32 v5, 8, v5
	s_delay_alu instid0(VALU_DEP_1)
	v_and_or_b32 v5, 0x80, v5, v6
	global_store_b8 v[0:1], v5, off
.LBB537_794:
	s_mov_b32 s24, 0
.LBB537_795:
	s_delay_alu instid0(SALU_CYCLE_1)
	s_and_not1_b32 vcc_lo, exec_lo, s24
	s_cbranch_vccnz .LBB537_805
; %bb.796:
	v_lshlrev_b32_e32 v7, 16, v2
	v_and_b32_e32 v5, 0xffff, v2
	s_mov_b32 s24, exec_lo
                                        ; implicit-def: $vgpr6
	s_delay_alu instid0(VALU_DEP_2) | instskip(NEXT) | instid1(VALU_DEP_1)
	v_and_b32_e32 v8, 0x7fffffff, v7
	v_cmpx_gt_u32_e32 0x47800000, v8
	s_xor_b32 s24, exec_lo, s24
	s_cbranch_execz .LBB537_802
; %bb.797:
	s_mov_b32 s25, exec_lo
                                        ; implicit-def: $vgpr6
	v_cmpx_lt_u32_e32 0x387fffff, v8
	s_xor_b32 s25, exec_lo, s25
; %bb.798:
	v_bfe_u32 v6, v5, 5, 1
	s_delay_alu instid0(VALU_DEP_1) | instskip(NEXT) | instid1(VALU_DEP_1)
	v_add3_u32 v6, v7, v6, 0x80fffff
                                        ; implicit-def: $vgpr7
	v_lshrrev_b32_e32 v6, 21, v6
; %bb.799:
	s_and_not1_saveexec_b32 s25, s25
; %bb.800:
	v_add_f32_e64 v6, 0x43000000, |v7|
; %bb.801:
	s_or_b32 exec_lo, exec_lo, s25
                                        ; implicit-def: $vgpr8
.LBB537_802:
	s_and_not1_saveexec_b32 s24, s24
; %bb.803:
	v_mov_b32_e32 v6, 0x7f
	v_cmp_lt_u32_e32 vcc_lo, 0x7f800000, v8
	s_delay_alu instid0(VALU_DEP_2)
	v_cndmask_b32_e32 v6, 0x7c, v6, vcc_lo
; %bb.804:
	s_or_b32 exec_lo, exec_lo, s24
	v_lshrrev_b32_e32 v5, 8, v5
	s_delay_alu instid0(VALU_DEP_1)
	v_and_or_b32 v5, 0x80, v5, v6
	global_store_b8 v[0:1], v5, off
.LBB537_805:
	s_mov_b32 s25, 0
	s_mov_b32 s24, -1
.LBB537_806:
	s_and_not1_b32 vcc_lo, exec_lo, s25
	s_cbranch_vccnz .LBB537_814
; %bb.807:
	v_cmp_lt_i16_e32 vcc_lo, 14, v3
	s_mov_b32 s25, -1
	s_cbranch_vccz .LBB537_811
; %bb.808:
	v_cmp_eq_u16_e32 vcc_lo, 15, v3
	s_mov_b32 s2, -1
	s_cbranch_vccz .LBB537_810
; %bb.809:
	s_mov_b32 s24, -1
	s_mov_b32 s2, 0
	global_store_b16 v[0:1], v2, off
.LBB537_810:
	s_mov_b32 s25, 0
.LBB537_811:
	s_delay_alu instid0(SALU_CYCLE_1)
	s_and_b32 vcc_lo, exec_lo, s25
	s_cbranch_vccz .LBB537_814
; %bb.812:
	v_cmp_eq_u16_e32 vcc_lo, 11, v3
	s_mov_b32 s2, -1
	s_cbranch_vccz .LBB537_814
; %bb.813:
	v_and_b32_e32 v5, 0x7fff, v2
	s_mov_b32 s2, 0
	s_mov_b32 s24, -1
	s_delay_alu instid0(VALU_DEP_1)
	v_cmp_ne_u16_e32 vcc_lo, 0, v5
	v_cndmask_b32_e64 v5, 0, 1, vcc_lo
	global_store_b8 v[0:1], v5, off
.LBB537_814:
.LBB537_815:
	s_and_not1_b32 vcc_lo, exec_lo, s24
	s_cbranch_vccnz .LBB537_740
.LBB537_816:
	v_add_nc_u32_e32 v4, 0x80, v4
	s_mov_b32 s46, -1
.LBB537_817:
	s_and_not1_b32 s24, s43, exec_lo
	s_and_b32 s2, s2, exec_lo
	s_and_not1_b32 s47, s42, exec_lo
	s_and_b32 s3, s3, exec_lo
	s_or_b32 s25, s24, s2
	s_or_b32 s24, s47, s3
	s_or_not1_b32 s47, s46, exec_lo
.LBB537_818:
	s_or_b32 exec_lo, exec_lo, s45
	s_mov_b32 s2, 0
	s_mov_b32 s3, 0
	;; [unrolled: 1-line block ×3, first 2 shown]
                                        ; implicit-def: $vgpr1_vgpr2
                                        ; implicit-def: $vgpr0
                                        ; implicit-def: $vgpr5
	s_and_saveexec_b32 s45, s47
	s_cbranch_execz .LBB537_916
; %bb.819:
	v_cmp_gt_i32_e32 vcc_lo, s36, v4
	s_mov_b32 s48, s24
	s_mov_b32 s47, 0
                                        ; implicit-def: $vgpr1_vgpr2
                                        ; implicit-def: $vgpr0
                                        ; implicit-def: $vgpr5
	s_and_saveexec_b32 s36, vcc_lo
	s_cbranch_execz .LBB537_915
; %bb.820:
	s_and_not1_b32 vcc_lo, exec_lo, s29
	s_cbranch_vccnz .LBB537_825
; %bb.821:
	v_dual_mov_b32 v0, 0 :: v_dual_mov_b32 v1, 0
	s_and_not1_b32 vcc_lo, exec_lo, s38
	s_mov_b32 s38, 0
	s_cbranch_vccnz .LBB537_830
; %bb.822:
	v_mov_b32_e32 v0, 0
	s_add_i32 s46, s37, 1
	s_cmp_eq_u32 s27, 2
	s_mov_b32 s37, 0
	s_cbranch_scc1 .LBB537_826
; %bb.823:
	v_dual_mov_b32 v1, 0 :: v_dual_mov_b32 v0, 0
	v_mov_b32_e32 v2, v4
	s_and_b32 s37, s46, 28
	s_mov_b64 s[2:3], s[16:17]
.LBB537_824:                            ; =>This Inner Loop Header: Depth=1
	s_clause 0x1
	s_load_b256 s[48:55], s[2:3], 0x4
	s_load_b128 s[64:67], s[2:3], 0x24
	s_load_b256 s[56:63], s[22:23], 0x0
	s_add_u32 s2, s2, 48
	s_addc_u32 s3, s3, 0
	s_add_i32 s47, s47, 4
	s_add_u32 s22, s22, 32
	s_addc_u32 s23, s23, 0
	s_cmp_eq_u32 s37, s47
	s_waitcnt vmcnt(0) lgkmcnt(0)
	v_mul_hi_u32 v3, s49, v2
	s_delay_alu instid0(VALU_DEP_1) | instskip(NEXT) | instid1(VALU_DEP_1)
	v_add_nc_u32_e32 v3, v2, v3
	v_lshrrev_b32_e32 v3, s50, v3
	s_delay_alu instid0(VALU_DEP_1) | instskip(SKIP_1) | instid1(VALU_DEP_2)
	v_mul_hi_u32 v5, s52, v3
	v_mul_lo_u32 v7, v3, s48
	v_add_nc_u32_e32 v5, v3, v5
	s_delay_alu instid0(VALU_DEP_2) | instskip(NEXT) | instid1(VALU_DEP_2)
	v_sub_nc_u32_e32 v2, v2, v7
	v_lshrrev_b32_e32 v5, s53, v5
	s_delay_alu instid0(VALU_DEP_2) | instskip(SKIP_1) | instid1(VALU_DEP_3)
	v_mul_lo_u32 v7, v2, s56
	v_mul_lo_u32 v9, v2, s57
	v_mul_hi_u32 v6, s55, v5
	s_delay_alu instid0(VALU_DEP_1) | instskip(NEXT) | instid1(VALU_DEP_1)
	v_add_nc_u32_e32 v6, v5, v6
	v_lshrrev_b32_e32 v6, s64, v6
	s_delay_alu instid0(VALU_DEP_1) | instskip(SKIP_1) | instid1(VALU_DEP_2)
	v_mul_hi_u32 v8, s66, v6
	v_mul_lo_u32 v10, v6, s54
	v_add_nc_u32_e32 v2, v6, v8
	v_mul_lo_u32 v8, v5, s51
	s_delay_alu instid0(VALU_DEP_3) | instskip(NEXT) | instid1(VALU_DEP_3)
	v_sub_nc_u32_e32 v5, v5, v10
	v_lshrrev_b32_e32 v2, s67, v2
	s_delay_alu instid0(VALU_DEP_2) | instskip(SKIP_2) | instid1(VALU_DEP_4)
	v_mul_lo_u32 v10, v5, s60
	v_mul_lo_u32 v5, v5, s61
	v_sub_nc_u32_e32 v3, v3, v8
	v_mul_lo_u32 v11, v2, s65
	s_delay_alu instid0(VALU_DEP_2) | instskip(SKIP_1) | instid1(VALU_DEP_3)
	v_mul_lo_u32 v8, v3, s58
	v_mul_lo_u32 v3, v3, s59
	v_sub_nc_u32_e32 v6, v6, v11
	s_delay_alu instid0(VALU_DEP_3) | instskip(NEXT) | instid1(VALU_DEP_2)
	v_add3_u32 v0, v7, v0, v8
	v_mul_lo_u32 v11, v6, s62
	v_mul_lo_u32 v6, v6, s63
	v_add3_u32 v1, v9, v1, v3
	s_delay_alu instid0(VALU_DEP_3) | instskip(NEXT) | instid1(VALU_DEP_2)
	v_add3_u32 v0, v10, v0, v11
	v_add3_u32 v1, v5, v1, v6
	s_cbranch_scc0 .LBB537_824
	s_branch .LBB537_827
.LBB537_825:
	s_mov_b32 s38, -1
                                        ; implicit-def: $vgpr0
                                        ; implicit-def: $vgpr1
	s_branch .LBB537_830
.LBB537_826:
	v_dual_mov_b32 v2, v4 :: v_dual_mov_b32 v1, 0
.LBB537_827:
	s_and_b32 s46, s46, 3
	s_delay_alu instid0(SALU_CYCLE_1)
	s_cmp_eq_u32 s46, 0
	s_cbranch_scc1 .LBB537_830
; %bb.828:
	s_lshl_b32 s2, s37, 3
	s_mul_i32 s22, s37, 12
	s_add_u32 s2, s2, s16
	s_addc_u32 s3, s17, 0
	s_add_u32 s2, s2, 0xc4
	s_addc_u32 s3, s3, 0
	s_add_u32 s22, s16, s22
	s_addc_u32 s23, s17, 0
.LBB537_829:                            ; =>This Inner Loop Header: Depth=1
	s_clause 0x1
	s_load_b64 s[48:49], s[22:23], 0x4
	s_load_b32 s37, s[22:23], 0xc
	s_load_b64 s[50:51], s[2:3], 0x0
	s_add_u32 s22, s22, 12
	s_addc_u32 s23, s23, 0
	s_add_u32 s2, s2, 8
	s_addc_u32 s3, s3, 0
	s_add_i32 s46, s46, -1
	s_delay_alu instid0(SALU_CYCLE_1) | instskip(SKIP_2) | instid1(VALU_DEP_1)
	s_cmp_lg_u32 s46, 0
	s_waitcnt vmcnt(0) lgkmcnt(0)
	v_mul_hi_u32 v3, s49, v2
	v_add_nc_u32_e32 v3, v2, v3
	s_delay_alu instid0(VALU_DEP_1) | instskip(NEXT) | instid1(VALU_DEP_1)
	v_lshrrev_b32_e32 v3, s37, v3
	v_mul_lo_u32 v5, v3, s48
	s_delay_alu instid0(VALU_DEP_1) | instskip(NEXT) | instid1(VALU_DEP_1)
	v_sub_nc_u32_e32 v2, v2, v5
	v_mad_u64_u32 v[5:6], null, v2, s50, v[0:1]
	v_mad_u64_u32 v[6:7], null, v2, s51, v[1:2]
	v_mov_b32_e32 v2, v3
	s_delay_alu instid0(VALU_DEP_2)
	v_dual_mov_b32 v0, v5 :: v_dual_mov_b32 v1, v6
	s_cbranch_scc1 .LBB537_829
.LBB537_830:
	s_and_not1_b32 vcc_lo, exec_lo, s38
	s_cbranch_vccnz .LBB537_833
; %bb.831:
	v_mul_hi_u32 v0, s9, v4
	s_and_not1_b32 vcc_lo, exec_lo, s35
	s_delay_alu instid0(VALU_DEP_1) | instskip(NEXT) | instid1(VALU_DEP_1)
	v_add_nc_u32_e32 v0, v4, v0
	v_lshrrev_b32_e32 v2, s10, v0
	s_delay_alu instid0(VALU_DEP_1) | instskip(NEXT) | instid1(VALU_DEP_1)
	v_mul_lo_u32 v0, v2, s8
	v_sub_nc_u32_e32 v1, v4, v0
	s_delay_alu instid0(VALU_DEP_1)
	v_mul_lo_u32 v0, v1, s12
	v_mul_lo_u32 v1, v1, s13
	s_cbranch_vccnz .LBB537_833
; %bb.832:
	s_waitcnt vmcnt(0)
	v_mul_hi_u32 v3, s20, v2
	s_delay_alu instid0(VALU_DEP_1) | instskip(NEXT) | instid1(VALU_DEP_1)
	v_add_nc_u32_e32 v3, v2, v3
	v_lshrrev_b32_e32 v3, s21, v3
	s_delay_alu instid0(VALU_DEP_1) | instskip(NEXT) | instid1(VALU_DEP_1)
	v_mul_lo_u32 v3, v3, s11
	v_sub_nc_u32_e32 v5, v2, v3
	s_delay_alu instid0(VALU_DEP_1) | instskip(NEXT) | instid1(VALU_DEP_1)
	v_mad_u64_u32 v[2:3], null, v5, s14, v[0:1]
	v_mad_u64_u32 v[3:4], null, v5, s15, v[1:2]
	s_delay_alu instid0(VALU_DEP_1)
	v_dual_mov_b32 v0, v2 :: v_dual_mov_b32 v1, v3
.LBB537_833:
	v_cmp_lt_i16_e64 s2, s34, 11
	s_delay_alu instid0(VALU_DEP_2) | instskip(NEXT) | instid1(VALU_DEP_1)
	v_add_co_u32 v1, s3, s6, v1
	v_add_co_ci_u32_e64 v2, null, s7, 0, s3
	s_delay_alu instid0(VALU_DEP_3)
	s_and_b32 vcc_lo, exec_lo, s2
	s_mov_b32 s6, 0
	s_cbranch_vccnz .LBB537_840
; %bb.834:
	v_cmp_gt_i16_e64 s2, s34, 25
	s_mov_b32 s3, 0
	s_delay_alu instid0(VALU_DEP_1)
	s_and_b32 vcc_lo, exec_lo, s2
	s_cbranch_vccz .LBB537_841
; %bb.835:
	v_cmp_gt_i16_e64 s2, s34, 28
	s_delay_alu instid0(VALU_DEP_1)
	s_and_b32 vcc_lo, exec_lo, s2
	s_cbranch_vccz .LBB537_842
; %bb.836:
	v_cmp_gt_i16_e64 s2, s34, 43
	;; [unrolled: 5-line block ×3, first 2 shown]
	s_delay_alu instid0(VALU_DEP_1)
	s_and_b32 vcc_lo, exec_lo, s2
	s_cbranch_vccz .LBB537_846
; %bb.838:
	v_cmp_eq_u16_e64 s2, s34, 46
	s_mov_b32 s7, 0
	s_delay_alu instid0(VALU_DEP_1)
	s_and_b32 vcc_lo, exec_lo, s2
	s_cbranch_vccz .LBB537_849
; %bb.839:
	global_load_b32 v5, v[1:2], off
	s_mov_b32 s2, 0
	s_mov_b32 s6, -1
	s_branch .LBB537_851
.LBB537_840:
	s_mov_b32 s7, -1
	s_mov_b32 s3, 0
	s_mov_b32 s2, s24
                                        ; implicit-def: $vgpr5
	s_branch .LBB537_914
.LBB537_841:
	s_mov_b32 s7, -1
	s_mov_b32 s2, s24
                                        ; implicit-def: $vgpr5
	s_branch .LBB537_880
.LBB537_842:
	s_mov_b32 s7, -1
	s_mov_b32 s2, s24
                                        ; implicit-def: $vgpr5
	s_branch .LBB537_861
.LBB537_843:
	s_mov_b32 s7, -1
	s_mov_b32 s2, s24
                                        ; implicit-def: $vgpr5
	s_branch .LBB537_856
.LBB537_844:
	s_or_saveexec_b32 s46, s46
                                        ; implicit-def: $sgpr47
	s_delay_alu instid0(SALU_CYCLE_1)
	s_xor_b32 exec_lo, exec_lo, s46
	s_cbranch_execz .LBB537_767
.LBB537_845:
	v_add_f32_e64 v6, 0x46000000, |v7|
	s_and_not1_b32 s25, s25, exec_lo
	s_mov_b32 s47, 0
	s_delay_alu instid0(VALU_DEP_1) | instskip(NEXT) | instid1(VALU_DEP_1)
	v_and_b32_e32 v6, 0xff, v6
	v_cmp_ne_u32_e32 vcc_lo, 0, v6
	s_and_b32 s48, vcc_lo, exec_lo
	s_delay_alu instid0(SALU_CYCLE_1)
	s_or_b32 s25, s25, s48
	s_or_b32 exec_lo, exec_lo, s46
	v_mov_b32_e32 v8, s47
	s_and_saveexec_b32 s46, s25
	s_cbranch_execnz .LBB537_768
	s_branch .LBB537_769
.LBB537_846:
	s_mov_b32 s7, -1
	s_mov_b32 s2, s24
	s_branch .LBB537_850
.LBB537_847:
	s_or_saveexec_b32 s46, s46
                                        ; implicit-def: $sgpr47
	s_delay_alu instid0(SALU_CYCLE_1)
	s_xor_b32 exec_lo, exec_lo, s46
	s_cbranch_execz .LBB537_780
.LBB537_848:
	v_add_f32_e64 v6, 0x42800000, |v7|
	s_and_not1_b32 s25, s25, exec_lo
	s_mov_b32 s47, 0
	s_delay_alu instid0(VALU_DEP_1) | instskip(NEXT) | instid1(VALU_DEP_1)
	v_and_b32_e32 v6, 0xff, v6
	v_cmp_ne_u32_e32 vcc_lo, 0, v6
	s_and_b32 s48, vcc_lo, exec_lo
	s_delay_alu instid0(SALU_CYCLE_1)
	s_or_b32 s25, s25, s48
	s_or_b32 exec_lo, exec_lo, s46
	v_mov_b32_e32 v8, s47
	s_and_saveexec_b32 s46, s25
	s_cbranch_execnz .LBB537_781
	s_branch .LBB537_782
.LBB537_849:
	s_mov_b32 s2, -1
.LBB537_850:
                                        ; implicit-def: $vgpr5
.LBB537_851:
	s_and_b32 vcc_lo, exec_lo, s7
	s_cbranch_vccz .LBB537_855
; %bb.852:
	v_cmp_eq_u16_e64 s2, s34, 44
	s_delay_alu instid0(VALU_DEP_1)
	s_and_b32 vcc_lo, exec_lo, s2
	s_cbranch_vccz .LBB537_854
; %bb.853:
	global_load_u8 v3, v[1:2], off
	s_mov_b32 s2, 0
	s_mov_b32 s6, -1
	s_waitcnt vmcnt(0)
	v_lshlrev_b32_e32 v4, 23, v3
	v_cmp_ne_u32_e32 vcc_lo, 0xff, v3
	s_delay_alu instid0(VALU_DEP_2) | instskip(SKIP_1) | instid1(VALU_DEP_2)
	v_cndmask_b32_e32 v4, 0x7f800001, v4, vcc_lo
	v_cmp_ne_u32_e32 vcc_lo, 0, v3
	v_cndmask_b32_e32 v3, 0x400000, v4, vcc_lo
	s_delay_alu instid0(VALU_DEP_1) | instskip(SKIP_1) | instid1(VALU_DEP_2)
	v_add_nc_u32_e32 v4, 0x7fff, v3
	v_cmp_o_f32_e32 vcc_lo, v3, v3
	v_lshrrev_b32_e32 v4, 16, v4
	s_delay_alu instid0(VALU_DEP_1)
	v_cndmask_b32_e32 v5, 0x7fc0, v4, vcc_lo
	s_branch .LBB537_855
.LBB537_854:
	s_mov_b32 s2, -1
                                        ; implicit-def: $vgpr5
.LBB537_855:
	s_mov_b32 s7, 0
.LBB537_856:
	s_delay_alu instid0(SALU_CYCLE_1)
	s_and_b32 vcc_lo, exec_lo, s7
	s_cbranch_vccz .LBB537_860
; %bb.857:
	v_cmp_eq_u16_e64 s2, s34, 29
	s_delay_alu instid0(VALU_DEP_1)
	s_and_b32 vcc_lo, exec_lo, s2
	s_cbranch_vccz .LBB537_859
; %bb.858:
	global_load_b64 v[3:4], v[1:2], off
	s_mov_b32 s2, 0
	s_mov_b32 s6, -1
	s_mov_b32 s7, 0
	s_waitcnt vmcnt(0)
	v_clz_i32_u32_e32 v5, v4
	s_delay_alu instid0(VALU_DEP_1) | instskip(NEXT) | instid1(VALU_DEP_1)
	v_min_u32_e32 v5, 32, v5
	v_lshlrev_b64 v[3:4], v5, v[3:4]
	s_delay_alu instid0(VALU_DEP_1) | instskip(NEXT) | instid1(VALU_DEP_1)
	v_min_u32_e32 v3, 1, v3
	v_or_b32_e32 v3, v4, v3
	v_sub_nc_u32_e32 v4, 32, v5
	s_delay_alu instid0(VALU_DEP_2) | instskip(NEXT) | instid1(VALU_DEP_1)
	v_cvt_f32_u32_e32 v3, v3
	v_ldexp_f32 v3, v3, v4
	s_delay_alu instid0(VALU_DEP_1) | instskip(NEXT) | instid1(VALU_DEP_1)
	v_bfe_u32 v4, v3, 16, 1
	v_add3_u32 v3, v3, v4, 0x7fff
	s_delay_alu instid0(VALU_DEP_1)
	v_lshrrev_b32_e32 v5, 16, v3
	s_branch .LBB537_861
.LBB537_859:
	s_mov_b32 s2, -1
                                        ; implicit-def: $vgpr5
.LBB537_860:
	s_mov_b32 s7, 0
.LBB537_861:
	s_delay_alu instid0(SALU_CYCLE_1)
	s_and_b32 vcc_lo, exec_lo, s7
	s_cbranch_vccz .LBB537_879
; %bb.862:
	v_cmp_lt_i16_e64 s6, s34, 27
	s_delay_alu instid0(VALU_DEP_1)
	s_and_b32 vcc_lo, exec_lo, s6
	s_cbranch_vccnz .LBB537_865
; %bb.863:
	v_cmp_gt_i16_e64 s6, s34, 27
	s_delay_alu instid0(VALU_DEP_1)
	s_and_b32 vcc_lo, exec_lo, s6
	s_cbranch_vccz .LBB537_866
; %bb.864:
	global_load_b32 v3, v[1:2], off
	s_mov_b32 s6, 0
	s_waitcnt vmcnt(0)
	v_cvt_f32_u32_e32 v3, v3
	s_delay_alu instid0(VALU_DEP_1) | instskip(NEXT) | instid1(VALU_DEP_1)
	v_bfe_u32 v4, v3, 16, 1
	v_add3_u32 v3, v3, v4, 0x7fff
	s_delay_alu instid0(VALU_DEP_1)
	v_lshrrev_b32_e32 v5, 16, v3
	s_branch .LBB537_867
.LBB537_865:
	s_mov_b32 s6, -1
                                        ; implicit-def: $vgpr5
	s_branch .LBB537_870
.LBB537_866:
	s_mov_b32 s6, -1
                                        ; implicit-def: $vgpr5
.LBB537_867:
	s_delay_alu instid0(SALU_CYCLE_1)
	s_and_not1_b32 vcc_lo, exec_lo, s6
	s_cbranch_vccnz .LBB537_869
; %bb.868:
	global_load_u16 v3, v[1:2], off
	s_waitcnt vmcnt(0)
	v_cvt_f32_u32_e32 v3, v3
	s_delay_alu instid0(VALU_DEP_1) | instskip(NEXT) | instid1(VALU_DEP_1)
	v_bfe_u32 v4, v3, 16, 1
	v_add3_u32 v3, v3, v4, 0x7fff
	s_delay_alu instid0(VALU_DEP_1)
	v_lshrrev_b32_e32 v5, 16, v3
.LBB537_869:
	s_mov_b32 s6, 0
.LBB537_870:
	s_delay_alu instid0(SALU_CYCLE_1)
	s_and_not1_b32 vcc_lo, exec_lo, s6
	s_cbranch_vccnz .LBB537_878
; %bb.871:
	global_load_u8 v3, v[1:2], off
	s_mov_b32 s6, 0
	s_mov_b32 s8, exec_lo
                                        ; implicit-def: $sgpr7
	s_waitcnt vmcnt(0)
	v_cmpx_lt_i16_e32 0x7f, v3
	s_xor_b32 s8, exec_lo, s8
	s_cbranch_execz .LBB537_892
; %bb.872:
	s_mov_b32 s6, -1
	s_mov_b32 s9, exec_lo
                                        ; implicit-def: $sgpr7
	v_cmpx_eq_u16_e32 0x80, v3
; %bb.873:
	s_mov_b32 s7, 0x7f800001
	s_xor_b32 s6, exec_lo, -1
; %bb.874:
	s_or_b32 exec_lo, exec_lo, s9
	s_delay_alu instid0(SALU_CYCLE_1)
	s_and_b32 s6, s6, exec_lo
	s_or_saveexec_b32 s8, s8
	v_mov_b32_e32 v4, s7
	s_xor_b32 exec_lo, exec_lo, s8
	s_cbranch_execnz .LBB537_893
.LBB537_875:
	s_or_b32 exec_lo, exec_lo, s8
	s_and_saveexec_b32 s7, s6
	s_cbranch_execz .LBB537_877
.LBB537_876:
	v_and_b32_e32 v4, 0xffff, v3
	v_lshlrev_b32_e32 v3, 24, v3
	s_delay_alu instid0(VALU_DEP_2) | instskip(NEXT) | instid1(VALU_DEP_2)
	v_and_b32_e32 v5, 7, v4
	v_and_b32_e32 v3, 0x80000000, v3
	s_delay_alu instid0(VALU_DEP_2) | instskip(NEXT) | instid1(VALU_DEP_1)
	v_clz_i32_u32_e32 v6, v5
	v_min_u32_e32 v6, 32, v6
	s_delay_alu instid0(VALU_DEP_1) | instskip(SKIP_1) | instid1(VALU_DEP_2)
	v_subrev_nc_u32_e32 v7, 28, v6
	v_sub_nc_u32_e32 v6, 29, v6
	v_lshlrev_b32_e32 v7, v7, v4
	v_bfe_u32 v4, v4, 3, 4
	s_delay_alu instid0(VALU_DEP_2) | instskip(NEXT) | instid1(VALU_DEP_2)
	v_and_b32_e32 v7, 7, v7
	v_cmp_eq_u32_e32 vcc_lo, 0, v4
	s_delay_alu instid0(VALU_DEP_2) | instskip(NEXT) | instid1(VALU_DEP_1)
	v_dual_cndmask_b32 v4, v4, v6 :: v_dual_cndmask_b32 v5, v5, v7
	v_lshl_add_u32 v4, v4, 23, 0x3b800000
	s_delay_alu instid0(VALU_DEP_2) | instskip(NEXT) | instid1(VALU_DEP_1)
	v_lshlrev_b32_e32 v5, 20, v5
	v_or3_b32 v4, v3, v4, v5
.LBB537_877:
	s_or_b32 exec_lo, exec_lo, s7
	s_delay_alu instid0(VALU_DEP_1) | instskip(SKIP_1) | instid1(VALU_DEP_2)
	v_bfe_u32 v3, v4, 16, 1
	v_cmp_o_f32_e32 vcc_lo, v4, v4
	v_add3_u32 v3, v4, v3, 0x7fff
	s_delay_alu instid0(VALU_DEP_1) | instskip(NEXT) | instid1(VALU_DEP_1)
	v_lshrrev_b32_e32 v3, 16, v3
	v_cndmask_b32_e32 v5, 0x7fc0, v3, vcc_lo
.LBB537_878:
	s_mov_b32 s6, -1
.LBB537_879:
	s_mov_b32 s7, 0
.LBB537_880:
	s_delay_alu instid0(SALU_CYCLE_1)
	s_and_b32 vcc_lo, exec_lo, s7
	s_cbranch_vccz .LBB537_913
; %bb.881:
	v_cmp_gt_i16_e64 s3, s34, 22
	s_delay_alu instid0(VALU_DEP_1)
	s_and_b32 vcc_lo, exec_lo, s3
	s_cbranch_vccz .LBB537_891
; %bb.882:
	v_cmp_lt_i16_e64 s3, s34, 24
	s_delay_alu instid0(VALU_DEP_1)
	s_and_b32 vcc_lo, exec_lo, s3
	s_cbranch_vccnz .LBB537_894
; %bb.883:
	v_cmp_gt_i16_e64 s3, s34, 24
	s_delay_alu instid0(VALU_DEP_1)
	s_and_b32 vcc_lo, exec_lo, s3
	s_cbranch_vccz .LBB537_895
; %bb.884:
	global_load_u8 v3, v[1:2], off
	s_mov_b32 s3, 0
	s_mov_b32 s7, exec_lo
                                        ; implicit-def: $sgpr6
	s_waitcnt vmcnt(0)
	v_cmpx_lt_i16_e32 0x7f, v3
	s_xor_b32 s7, exec_lo, s7
	s_cbranch_execz .LBB537_907
; %bb.885:
	s_mov_b32 s3, -1
	s_mov_b32 s8, exec_lo
                                        ; implicit-def: $sgpr6
	v_cmpx_eq_u16_e32 0x80, v3
; %bb.886:
	s_mov_b32 s6, 0x7f800001
	s_xor_b32 s3, exec_lo, -1
; %bb.887:
	s_or_b32 exec_lo, exec_lo, s8
	s_delay_alu instid0(SALU_CYCLE_1)
	s_and_b32 s3, s3, exec_lo
	s_or_saveexec_b32 s7, s7
	v_mov_b32_e32 v4, s6
	s_xor_b32 exec_lo, exec_lo, s7
	s_cbranch_execnz .LBB537_908
.LBB537_888:
	s_or_b32 exec_lo, exec_lo, s7
	s_and_saveexec_b32 s6, s3
	s_cbranch_execz .LBB537_890
.LBB537_889:
	v_and_b32_e32 v4, 0xffff, v3
	v_lshlrev_b32_e32 v3, 24, v3
	s_delay_alu instid0(VALU_DEP_2) | instskip(NEXT) | instid1(VALU_DEP_2)
	v_and_b32_e32 v5, 3, v4
	v_and_b32_e32 v3, 0x80000000, v3
	s_delay_alu instid0(VALU_DEP_2) | instskip(NEXT) | instid1(VALU_DEP_1)
	v_clz_i32_u32_e32 v6, v5
	v_min_u32_e32 v6, 32, v6
	s_delay_alu instid0(VALU_DEP_1) | instskip(SKIP_1) | instid1(VALU_DEP_2)
	v_subrev_nc_u32_e32 v7, 29, v6
	v_sub_nc_u32_e32 v6, 30, v6
	v_lshlrev_b32_e32 v7, v7, v4
	v_bfe_u32 v4, v4, 2, 5
	s_delay_alu instid0(VALU_DEP_2) | instskip(NEXT) | instid1(VALU_DEP_2)
	v_and_b32_e32 v7, 3, v7
	v_cmp_eq_u32_e32 vcc_lo, 0, v4
	s_delay_alu instid0(VALU_DEP_2) | instskip(NEXT) | instid1(VALU_DEP_1)
	v_dual_cndmask_b32 v4, v4, v6 :: v_dual_cndmask_b32 v5, v5, v7
	v_lshl_add_u32 v4, v4, 23, 0x37800000
	s_delay_alu instid0(VALU_DEP_2) | instskip(NEXT) | instid1(VALU_DEP_1)
	v_lshlrev_b32_e32 v5, 21, v5
	v_or3_b32 v4, v3, v4, v5
.LBB537_890:
	s_or_b32 exec_lo, exec_lo, s6
	s_delay_alu instid0(VALU_DEP_1) | instskip(SKIP_2) | instid1(VALU_DEP_2)
	v_bfe_u32 v3, v4, 16, 1
	v_cmp_o_f32_e32 vcc_lo, v4, v4
	s_mov_b32 s3, 0
	v_add3_u32 v3, v4, v3, 0x7fff
	s_delay_alu instid0(VALU_DEP_1) | instskip(NEXT) | instid1(VALU_DEP_1)
	v_lshrrev_b32_e32 v3, 16, v3
	v_cndmask_b32_e32 v5, 0x7fc0, v3, vcc_lo
	s_branch .LBB537_896
.LBB537_891:
	s_mov_b32 s3, -1
                                        ; implicit-def: $vgpr5
	s_branch .LBB537_902
.LBB537_892:
	s_or_saveexec_b32 s8, s8
	v_mov_b32_e32 v4, s7
	s_xor_b32 exec_lo, exec_lo, s8
	s_cbranch_execz .LBB537_875
.LBB537_893:
	v_cmp_ne_u16_e32 vcc_lo, 0, v3
	v_mov_b32_e32 v4, 0
	s_and_not1_b32 s6, s6, exec_lo
	s_and_b32 s7, vcc_lo, exec_lo
	s_delay_alu instid0(SALU_CYCLE_1)
	s_or_b32 s6, s6, s7
	s_or_b32 exec_lo, exec_lo, s8
	s_and_saveexec_b32 s7, s6
	s_cbranch_execnz .LBB537_876
	s_branch .LBB537_877
.LBB537_894:
	s_mov_b32 s3, -1
                                        ; implicit-def: $vgpr5
	s_branch .LBB537_899
.LBB537_895:
	s_mov_b32 s3, -1
                                        ; implicit-def: $vgpr5
.LBB537_896:
	s_delay_alu instid0(SALU_CYCLE_1)
	s_and_b32 vcc_lo, exec_lo, s3
	s_cbranch_vccz .LBB537_898
; %bb.897:
	global_load_u8 v3, v[1:2], off
	s_waitcnt vmcnt(0)
	v_lshlrev_b32_e32 v3, 24, v3
	s_delay_alu instid0(VALU_DEP_1) | instskip(NEXT) | instid1(VALU_DEP_1)
	v_and_b32_e32 v4, 0x7f000000, v3
	v_clz_i32_u32_e32 v5, v4
	v_add_nc_u32_e32 v7, 0x1000000, v4
	v_cmp_ne_u32_e32 vcc_lo, 0, v4
	s_delay_alu instid0(VALU_DEP_3) | instskip(NEXT) | instid1(VALU_DEP_1)
	v_min_u32_e32 v5, 32, v5
	v_sub_nc_u32_e64 v5, v5, 4 clamp
	s_delay_alu instid0(VALU_DEP_1) | instskip(SKIP_1) | instid1(VALU_DEP_2)
	v_lshlrev_b32_e32 v6, v5, v4
	v_lshlrev_b32_e32 v5, 23, v5
	v_lshrrev_b32_e32 v6, 4, v6
	s_delay_alu instid0(VALU_DEP_1) | instskip(SKIP_1) | instid1(VALU_DEP_2)
	v_sub_nc_u32_e32 v5, v6, v5
	v_ashrrev_i32_e32 v6, 8, v7
	v_add_nc_u32_e32 v5, 0x3c000000, v5
	s_delay_alu instid0(VALU_DEP_1) | instskip(NEXT) | instid1(VALU_DEP_1)
	v_and_or_b32 v5, 0x7f800000, v6, v5
	v_cndmask_b32_e32 v4, 0, v5, vcc_lo
	s_delay_alu instid0(VALU_DEP_1) | instskip(SKIP_1) | instid1(VALU_DEP_2)
	v_and_or_b32 v3, 0x80000000, v3, v4
	v_bfe_u32 v4, v4, 16, 1
	v_cmp_o_f32_e32 vcc_lo, v3, v3
	s_delay_alu instid0(VALU_DEP_2) | instskip(NEXT) | instid1(VALU_DEP_1)
	v_add3_u32 v4, v3, v4, 0x7fff
	v_lshrrev_b32_e32 v4, 16, v4
	s_delay_alu instid0(VALU_DEP_1)
	v_cndmask_b32_e32 v5, 0x7fc0, v4, vcc_lo
.LBB537_898:
	s_mov_b32 s3, 0
.LBB537_899:
	s_delay_alu instid0(SALU_CYCLE_1)
	s_and_not1_b32 vcc_lo, exec_lo, s3
	s_cbranch_vccnz .LBB537_901
; %bb.900:
	global_load_u8 v3, v[1:2], off
	s_waitcnt vmcnt(0)
	v_lshlrev_b32_e32 v4, 25, v3
	v_lshlrev_b16 v3, 8, v3
	s_delay_alu instid0(VALU_DEP_2) | instskip(NEXT) | instid1(VALU_DEP_2)
	v_lshrrev_b32_e32 v5, 4, v4
	v_and_or_b32 v6, 0x7f00, v3, 0.5
	v_bfe_i32 v3, v3, 0, 16
	s_delay_alu instid0(VALU_DEP_3) | instskip(NEXT) | instid1(VALU_DEP_1)
	v_or_b32_e32 v5, 0x70000000, v5
	v_dual_add_f32 v6, -0.5, v6 :: v_dual_mul_f32 v5, 0x7800000, v5
	v_cmp_gt_u32_e32 vcc_lo, 0x8000000, v4
	s_delay_alu instid0(VALU_DEP_2) | instskip(NEXT) | instid1(VALU_DEP_1)
	v_cndmask_b32_e32 v4, v5, v6, vcc_lo
	v_and_or_b32 v3, 0x80000000, v3, v4
	v_bfe_u32 v4, v4, 16, 1
	s_delay_alu instid0(VALU_DEP_2) | instskip(NEXT) | instid1(VALU_DEP_2)
	v_cmp_o_f32_e32 vcc_lo, v3, v3
	v_add3_u32 v4, v3, v4, 0x7fff
	s_delay_alu instid0(VALU_DEP_1) | instskip(NEXT) | instid1(VALU_DEP_1)
	v_lshrrev_b32_e32 v4, 16, v4
	v_cndmask_b32_e32 v5, 0x7fc0, v4, vcc_lo
.LBB537_901:
	s_mov_b32 s3, 0
	s_mov_b32 s6, -1
.LBB537_902:
	s_and_not1_b32 vcc_lo, exec_lo, s3
	s_mov_b32 s3, 0
	s_cbranch_vccnz .LBB537_913
; %bb.903:
	v_cmp_gt_i16_e64 s3, s34, 14
	s_delay_alu instid0(VALU_DEP_1)
	s_and_b32 vcc_lo, exec_lo, s3
	s_cbranch_vccz .LBB537_906
; %bb.904:
	v_cmp_eq_u16_e64 s2, s34, 15
	s_delay_alu instid0(VALU_DEP_1)
	s_and_b32 vcc_lo, exec_lo, s2
	s_cbranch_vccz .LBB537_909
; %bb.905:
	global_load_u16 v5, v[1:2], off
	s_mov_b32 s2, 0
	s_mov_b32 s6, -1
	s_branch .LBB537_910
.LBB537_906:
	s_mov_b32 s3, -1
                                        ; implicit-def: $vgpr5
	s_branch .LBB537_911
.LBB537_907:
	s_or_saveexec_b32 s7, s7
	v_mov_b32_e32 v4, s6
	s_xor_b32 exec_lo, exec_lo, s7
	s_cbranch_execz .LBB537_888
.LBB537_908:
	v_cmp_ne_u16_e32 vcc_lo, 0, v3
	v_mov_b32_e32 v4, 0
	s_and_not1_b32 s3, s3, exec_lo
	s_and_b32 s6, vcc_lo, exec_lo
	s_delay_alu instid0(SALU_CYCLE_1)
	s_or_b32 s3, s3, s6
	s_or_b32 exec_lo, exec_lo, s7
	s_and_saveexec_b32 s6, s3
	s_cbranch_execnz .LBB537_889
	s_branch .LBB537_890
.LBB537_909:
	s_mov_b32 s2, -1
                                        ; implicit-def: $vgpr5
.LBB537_910:
	s_mov_b32 s3, 0
.LBB537_911:
	s_delay_alu instid0(SALU_CYCLE_1)
	s_and_b32 vcc_lo, exec_lo, s3
	s_mov_b32 s3, 0
	s_cbranch_vccz .LBB537_913
; %bb.912:
	v_cmp_ne_u16_e64 s3, s34, 11
	s_and_not1_b32 s2, s2, exec_lo
                                        ; implicit-def: $vgpr5
	s_delay_alu instid0(VALU_DEP_1)
	s_and_b32 s7, s3, exec_lo
	s_mov_b32 s3, -1
	s_or_b32 s2, s2, s7
.LBB537_913:
	s_mov_b32 s7, 0
.LBB537_914:
	s_and_b32 s46, s6, exec_lo
	s_and_b32 s47, s7, exec_lo
	s_and_not1_b32 s6, s24, exec_lo
	s_and_b32 s7, s2, exec_lo
	s_and_b32 s2, s3, exec_lo
	s_or_b32 s48, s6, s7
.LBB537_915:
	s_or_b32 exec_lo, exec_lo, s36
	s_delay_alu instid0(SALU_CYCLE_1)
	s_and_not1_b32 s6, s24, exec_lo
	s_and_b32 s7, s48, exec_lo
	s_and_b32 s46, s46, exec_lo
	;; [unrolled: 1-line block ×4, first 2 shown]
	s_or_b32 s24, s6, s7
.LBB537_916:
	s_or_b32 exec_lo, exec_lo, s45
	s_delay_alu instid0(SALU_CYCLE_1)
	s_and_not1_b32 s6, s43, exec_lo
	s_and_b32 s7, s25, exec_lo
	s_and_b32 s45, s46, exec_lo
	s_or_b32 s43, s6, s7
	s_and_not1_b32 s6, s42, exec_lo
	s_and_b32 s7, s24, exec_lo
	s_and_b32 s25, s3, exec_lo
	;; [unrolled: 1-line block ×3, first 2 shown]
	s_or_b32 s42, s6, s7
.LBB537_917:
	s_or_b32 exec_lo, exec_lo, s44
	s_delay_alu instid0(SALU_CYCLE_1)
	s_and_not1_b32 s2, s39, exec_lo
	s_and_b32 s6, s43, exec_lo
	s_and_b32 s7, s42, exec_lo
	s_or_b32 s39, s2, s6
	s_and_not1_b32 s6, s40, exec_lo
	s_and_b32 s2, s45, exec_lo
	s_and_b32 s24, s25, exec_lo
	;; [unrolled: 1-line block ×3, first 2 shown]
	s_or_b32 s40, s6, s7
.LBB537_918:
	s_or_b32 exec_lo, exec_lo, s41
	s_mov_b32 s3, 0
	s_and_saveexec_b32 s6, s40
	s_cbranch_execnz .LBB537_930
; %bb.919:
	s_or_b32 exec_lo, exec_lo, s6
	s_and_saveexec_b32 s6, s42
	s_delay_alu instid0(SALU_CYCLE_1)
	s_xor_b32 s6, exec_lo, s6
	s_cbranch_execz .LBB537_921
.LBB537_920:
	global_load_u8 v3, v[1:2], off
	s_or_b32 s2, s2, exec_lo
	s_waitcnt vmcnt(0)
	v_cmp_ne_u16_e32 vcc_lo, 0, v3
	v_cndmask_b32_e64 v3, 0, 1.0, vcc_lo
	s_delay_alu instid0(VALU_DEP_1)
	v_lshrrev_b32_e32 v5, 16, v3
.LBB537_921:
	s_or_b32 exec_lo, exec_lo, s6
	s_and_saveexec_b32 s6, s24
	s_cbranch_execz .LBB537_969
; %bb.922:
	v_cmp_lt_i16_e64 s7, s34, 5
	s_delay_alu instid0(VALU_DEP_1)
	s_and_b32 vcc_lo, exec_lo, s7
	s_cbranch_vccnz .LBB537_927
; %bb.923:
	v_cmp_lt_i16_e64 s7, s34, 8
	s_delay_alu instid0(VALU_DEP_1)
	s_and_b32 vcc_lo, exec_lo, s7
	s_cbranch_vccnz .LBB537_928
	;; [unrolled: 5-line block ×3, first 2 shown]
; %bb.925:
	v_cmp_gt_i16_e64 s7, s34, 9
	s_delay_alu instid0(VALU_DEP_1)
	s_and_b32 vcc_lo, exec_lo, s7
	s_cbranch_vccz .LBB537_932
; %bb.926:
	global_load_b64 v[3:4], v[1:2], off
	s_mov_b32 s7, 0
	s_waitcnt vmcnt(0)
	v_cvt_f32_f64_e32 v3, v[3:4]
	s_delay_alu instid0(VALU_DEP_1) | instskip(SKIP_1) | instid1(VALU_DEP_2)
	v_bfe_u32 v4, v3, 16, 1
	v_cmp_o_f32_e32 vcc_lo, v3, v3
	v_add3_u32 v4, v3, v4, 0x7fff
	s_delay_alu instid0(VALU_DEP_1) | instskip(NEXT) | instid1(VALU_DEP_1)
	v_lshrrev_b32_e32 v4, 16, v4
	v_cndmask_b32_e32 v5, 0x7fc0, v4, vcc_lo
	s_branch .LBB537_933
.LBB537_927:
                                        ; implicit-def: $vgpr5
	s_branch .LBB537_950
.LBB537_928:
                                        ; implicit-def: $vgpr5
	s_branch .LBB537_939
.LBB537_929:
	s_mov_b32 s7, -1
                                        ; implicit-def: $vgpr5
	s_branch .LBB537_936
.LBB537_930:
	s_cbranch_execnz .LBB537_1204
; %bb.931:
	s_mov_b32 s3, exec_lo
	s_and_not1_b32 s42, s42, exec_lo
                                        ; implicit-def: $vgpr5
	s_or_b32 exec_lo, exec_lo, s6
	s_and_saveexec_b32 s6, s42
	s_delay_alu instid0(SALU_CYCLE_1)
	s_xor_b32 s6, exec_lo, s6
	s_cbranch_execnz .LBB537_920
	s_branch .LBB537_921
.LBB537_932:
	s_mov_b32 s7, -1
                                        ; implicit-def: $vgpr5
.LBB537_933:
	s_delay_alu instid0(SALU_CYCLE_1)
	s_and_not1_b32 vcc_lo, exec_lo, s7
	s_cbranch_vccnz .LBB537_935
; %bb.934:
	global_load_b32 v3, v[1:2], off
	s_waitcnt vmcnt(0)
	v_bfe_u32 v4, v3, 16, 1
	v_cmp_o_f32_e32 vcc_lo, v3, v3
	s_delay_alu instid0(VALU_DEP_2) | instskip(NEXT) | instid1(VALU_DEP_1)
	v_add3_u32 v4, v3, v4, 0x7fff
	v_lshrrev_b32_e32 v4, 16, v4
	s_delay_alu instid0(VALU_DEP_1)
	v_cndmask_b32_e32 v5, 0x7fc0, v4, vcc_lo
.LBB537_935:
	s_mov_b32 s7, 0
.LBB537_936:
	s_delay_alu instid0(SALU_CYCLE_1)
	s_and_not1_b32 vcc_lo, exec_lo, s7
	s_cbranch_vccnz .LBB537_938
; %bb.937:
	global_load_b32 v3, v[1:2], off
	s_waitcnt vmcnt(0)
	v_cvt_f32_f16_e32 v4, v3
	v_cmp_o_f16_e32 vcc_lo, v3, v3
	s_delay_alu instid0(VALU_DEP_2) | instskip(NEXT) | instid1(VALU_DEP_1)
	v_bfe_u32 v5, v4, 16, 1
	v_add3_u32 v4, v4, v5, 0x7fff
	s_delay_alu instid0(VALU_DEP_1) | instskip(NEXT) | instid1(VALU_DEP_1)
	v_lshrrev_b32_e32 v4, 16, v4
	v_cndmask_b32_e32 v5, 0x7fc0, v4, vcc_lo
.LBB537_938:
	s_cbranch_execnz .LBB537_949
.LBB537_939:
	v_cmp_lt_i16_e64 s7, s34, 6
	s_delay_alu instid0(VALU_DEP_1)
	s_and_b32 vcc_lo, exec_lo, s7
	s_cbranch_vccnz .LBB537_942
; %bb.940:
	v_cmp_gt_i16_e64 s7, s34, 6
	s_delay_alu instid0(VALU_DEP_1)
	s_and_b32 vcc_lo, exec_lo, s7
	s_cbranch_vccz .LBB537_943
; %bb.941:
	global_load_b64 v[3:4], v[1:2], off
	s_mov_b32 s7, 0
	s_waitcnt vmcnt(0)
	v_cvt_f32_f64_e32 v3, v[3:4]
	s_delay_alu instid0(VALU_DEP_1) | instskip(SKIP_1) | instid1(VALU_DEP_2)
	v_bfe_u32 v4, v3, 16, 1
	v_cmp_o_f32_e32 vcc_lo, v3, v3
	v_add3_u32 v4, v3, v4, 0x7fff
	s_delay_alu instid0(VALU_DEP_1) | instskip(NEXT) | instid1(VALU_DEP_1)
	v_lshrrev_b32_e32 v4, 16, v4
	v_cndmask_b32_e32 v5, 0x7fc0, v4, vcc_lo
	s_branch .LBB537_944
.LBB537_942:
	s_mov_b32 s7, -1
                                        ; implicit-def: $vgpr5
	s_branch .LBB537_947
.LBB537_943:
	s_mov_b32 s7, -1
                                        ; implicit-def: $vgpr5
.LBB537_944:
	s_delay_alu instid0(SALU_CYCLE_1)
	s_and_not1_b32 vcc_lo, exec_lo, s7
	s_cbranch_vccnz .LBB537_946
; %bb.945:
	global_load_b32 v3, v[1:2], off
	s_waitcnt vmcnt(0)
	v_bfe_u32 v4, v3, 16, 1
	v_cmp_o_f32_e32 vcc_lo, v3, v3
	s_delay_alu instid0(VALU_DEP_2) | instskip(NEXT) | instid1(VALU_DEP_1)
	v_add3_u32 v4, v3, v4, 0x7fff
	v_lshrrev_b32_e32 v4, 16, v4
	s_delay_alu instid0(VALU_DEP_1)
	v_cndmask_b32_e32 v5, 0x7fc0, v4, vcc_lo
.LBB537_946:
	s_mov_b32 s7, 0
.LBB537_947:
	s_delay_alu instid0(SALU_CYCLE_1)
	s_and_not1_b32 vcc_lo, exec_lo, s7
	s_cbranch_vccnz .LBB537_949
; %bb.948:
	global_load_u16 v3, v[1:2], off
	s_waitcnt vmcnt(0)
	v_cvt_f32_f16_e32 v4, v3
	v_cmp_o_f16_e32 vcc_lo, v3, v3
	s_delay_alu instid0(VALU_DEP_2) | instskip(NEXT) | instid1(VALU_DEP_1)
	v_bfe_u32 v5, v4, 16, 1
	v_add3_u32 v4, v4, v5, 0x7fff
	s_delay_alu instid0(VALU_DEP_1) | instskip(NEXT) | instid1(VALU_DEP_1)
	v_lshrrev_b32_e32 v4, 16, v4
	v_cndmask_b32_e32 v5, 0x7fc0, v4, vcc_lo
.LBB537_949:
	s_cbranch_execnz .LBB537_968
.LBB537_950:
	v_cmp_lt_i16_e64 s7, s34, 2
	s_delay_alu instid0(VALU_DEP_1)
	s_and_b32 vcc_lo, exec_lo, s7
	s_cbranch_vccnz .LBB537_954
; %bb.951:
	v_cmp_lt_i16_e64 s7, s34, 3
	s_delay_alu instid0(VALU_DEP_1)
	s_and_b32 vcc_lo, exec_lo, s7
	s_cbranch_vccnz .LBB537_955
; %bb.952:
	v_cmp_gt_i16_e64 s7, s34, 3
	s_delay_alu instid0(VALU_DEP_1)
	s_and_b32 vcc_lo, exec_lo, s7
	s_cbranch_vccz .LBB537_956
; %bb.953:
	global_load_b64 v[3:4], v[1:2], off
	s_mov_b32 s7, 0
	s_waitcnt vmcnt(0)
	v_xor_b32_e32 v5, v3, v4
	v_cls_i32_e32 v6, v4
	s_delay_alu instid0(VALU_DEP_2) | instskip(NEXT) | instid1(VALU_DEP_2)
	v_ashrrev_i32_e32 v5, 31, v5
	v_add_nc_u32_e32 v6, -1, v6
	s_delay_alu instid0(VALU_DEP_2) | instskip(NEXT) | instid1(VALU_DEP_1)
	v_add_nc_u32_e32 v5, 32, v5
	v_min_u32_e32 v5, v6, v5
	s_delay_alu instid0(VALU_DEP_1) | instskip(NEXT) | instid1(VALU_DEP_1)
	v_lshlrev_b64 v[3:4], v5, v[3:4]
	v_min_u32_e32 v3, 1, v3
	s_delay_alu instid0(VALU_DEP_1) | instskip(SKIP_1) | instid1(VALU_DEP_2)
	v_or_b32_e32 v3, v4, v3
	v_sub_nc_u32_e32 v4, 32, v5
	v_cvt_f32_i32_e32 v3, v3
	s_delay_alu instid0(VALU_DEP_1) | instskip(NEXT) | instid1(VALU_DEP_1)
	v_ldexp_f32 v3, v3, v4
	v_bfe_u32 v4, v3, 16, 1
	s_delay_alu instid0(VALU_DEP_1) | instskip(NEXT) | instid1(VALU_DEP_1)
	v_add3_u32 v3, v3, v4, 0x7fff
	v_lshrrev_b32_e32 v5, 16, v3
	s_branch .LBB537_957
.LBB537_954:
                                        ; implicit-def: $vgpr5
	s_branch .LBB537_963
.LBB537_955:
	s_mov_b32 s7, -1
                                        ; implicit-def: $vgpr5
	s_branch .LBB537_960
.LBB537_956:
	s_mov_b32 s7, -1
                                        ; implicit-def: $vgpr5
.LBB537_957:
	s_delay_alu instid0(SALU_CYCLE_1)
	s_and_not1_b32 vcc_lo, exec_lo, s7
	s_cbranch_vccnz .LBB537_959
; %bb.958:
	global_load_b32 v3, v[1:2], off
	s_waitcnt vmcnt(0)
	v_cvt_f32_i32_e32 v3, v3
	s_delay_alu instid0(VALU_DEP_1) | instskip(NEXT) | instid1(VALU_DEP_1)
	v_bfe_u32 v4, v3, 16, 1
	v_add3_u32 v3, v3, v4, 0x7fff
	s_delay_alu instid0(VALU_DEP_1)
	v_lshrrev_b32_e32 v5, 16, v3
.LBB537_959:
	s_mov_b32 s7, 0
.LBB537_960:
	s_delay_alu instid0(SALU_CYCLE_1)
	s_and_not1_b32 vcc_lo, exec_lo, s7
	s_cbranch_vccnz .LBB537_962
; %bb.961:
	global_load_i16 v3, v[1:2], off
	s_waitcnt vmcnt(0)
	v_cvt_f32_i32_e32 v3, v3
	s_delay_alu instid0(VALU_DEP_1) | instskip(NEXT) | instid1(VALU_DEP_1)
	v_bfe_u32 v4, v3, 16, 1
	v_add3_u32 v3, v3, v4, 0x7fff
	s_delay_alu instid0(VALU_DEP_1)
	v_lshrrev_b32_e32 v5, 16, v3
.LBB537_962:
	s_cbranch_execnz .LBB537_968
.LBB537_963:
	v_cmp_gt_i16_e64 s7, s34, 0
	s_delay_alu instid0(VALU_DEP_1)
	s_and_b32 vcc_lo, exec_lo, s7
	s_mov_b32 s7, 0
	s_cbranch_vccz .LBB537_965
; %bb.964:
	global_load_i8 v3, v[1:2], off
	s_waitcnt vmcnt(0)
	v_cvt_f32_i32_e32 v3, v3
	s_delay_alu instid0(VALU_DEP_1) | instskip(NEXT) | instid1(VALU_DEP_1)
	v_bfe_u32 v4, v3, 16, 1
	v_add3_u32 v3, v3, v4, 0x7fff
	s_delay_alu instid0(VALU_DEP_1)
	v_lshrrev_b32_e32 v5, 16, v3
	s_branch .LBB537_966
.LBB537_965:
	s_mov_b32 s7, -1
                                        ; implicit-def: $vgpr5
.LBB537_966:
	s_delay_alu instid0(SALU_CYCLE_1)
	s_and_not1_b32 vcc_lo, exec_lo, s7
	s_cbranch_vccnz .LBB537_968
; %bb.967:
	global_load_u8 v1, v[1:2], off
	s_waitcnt vmcnt(0)
	v_cvt_f32_ubyte0_e32 v1, v1
	s_delay_alu instid0(VALU_DEP_1) | instskip(NEXT) | instid1(VALU_DEP_1)
	v_bfe_u32 v2, v1, 16, 1
	v_add3_u32 v1, v1, v2, 0x7fff
	s_delay_alu instid0(VALU_DEP_1)
	v_lshrrev_b32_e32 v5, 16, v1
.LBB537_968:
	s_or_b32 s2, s2, exec_lo
.LBB537_969:
	s_or_b32 exec_lo, exec_lo, s6
	s_mov_b32 s8, 0
	s_mov_b32 s7, 0
                                        ; implicit-def: $vgpr4
                                        ; implicit-def: $vgpr1_vgpr2
                                        ; implicit-def: $vgpr3
	s_and_saveexec_b32 s6, s2
	s_cbranch_execz .LBB537_1050
; %bb.970:
	s_waitcnt vmcnt(0)
	v_lshlrev_b32_e32 v1, 16, v5
	v_mov_b32_e32 v3, s18
	s_mov_b32 s2, exec_lo
	s_delay_alu instid0(VALU_DEP_2)
	v_cmpx_o_f32_e32 v1, v1
	s_cbranch_execz .LBB537_974
; %bb.971:
	v_mov_b32_e32 v3, s33
	s_mov_b32 s7, exec_lo
	v_cmpx_neq_f32_e32 0x7f800000, v1
; %bb.972:
	v_cmp_eq_f32_e32 vcc_lo, 0xff800000, v1
	v_cndmask_b32_e64 v3, v5, s19, vcc_lo
; %bb.973:
	s_or_b32 exec_lo, exec_lo, s7
.LBB537_974:
	s_delay_alu instid0(SALU_CYCLE_1) | instskip(SKIP_2) | instid1(VALU_DEP_1)
	s_or_b32 exec_lo, exec_lo, s2
	v_and_b32_e64 v4, 0xff, s31
	v_add_co_u32 v1, s2, s4, v0
	v_add_co_ci_u32_e64 v2, null, s5, 0, s2
	s_delay_alu instid0(VALU_DEP_3)
	v_cmp_gt_i16_e32 vcc_lo, 11, v4
	s_mov_b32 s4, -1
	s_mov_b32 s2, s39
	s_cbranch_vccnz .LBB537_1049
; %bb.975:
	v_cmp_lt_i16_e32 vcc_lo, 25, v4
	s_mov_b32 s2, s39
	s_cbranch_vccz .LBB537_1008
; %bb.976:
	v_cmp_lt_i16_e32 vcc_lo, 28, v4
	s_mov_b32 s2, s39
	s_cbranch_vccz .LBB537_992
	;; [unrolled: 4-line block ×4, first 2 shown]
; %bb.979:
	v_cmp_eq_u16_e32 vcc_lo, 46, v4
	s_mov_b32 s2, -1
	s_cbranch_vccz .LBB537_981
; %bb.980:
	v_and_b32_e32 v0, 0xffff, v3
	s_mov_b32 s2, 0
	global_store_b32 v[1:2], v0, off
.LBB537_981:
	s_mov_b32 s4, 0
.LBB537_982:
	s_delay_alu instid0(SALU_CYCLE_1)
	s_and_b32 vcc_lo, exec_lo, s4
	s_cbranch_vccz .LBB537_987
; %bb.983:
	v_cmp_eq_u16_e32 vcc_lo, 44, v4
	s_mov_b32 s2, -1
	s_cbranch_vccz .LBB537_987
; %bb.984:
	v_and_b32_e32 v0, 0xffff, v3
	v_mov_b32_e32 v5, 0xff
	s_mov_b32 s4, exec_lo
	s_delay_alu instid0(VALU_DEP_2) | instskip(NEXT) | instid1(VALU_DEP_1)
	v_bfe_u32 v6, v0, 7, 8
	v_cmpx_ne_u32_e32 0xff, v6
; %bb.985:
	v_lshlrev_b32_e32 v5, 16, v0
	v_and_b32_e32 v7, 64, v0
	v_lshrrev_b32_e32 v0, 7, v0
	s_delay_alu instid0(VALU_DEP_3) | instskip(NEXT) | instid1(VALU_DEP_3)
	v_and_or_b32 v5, 0x3f0000, v5, v6
	v_cmp_ne_u32_e32 vcc_lo, 0, v7
	s_delay_alu instid0(VALU_DEP_2) | instskip(NEXT) | instid1(VALU_DEP_1)
	v_cmp_ne_u32_e64 s2, 0, v5
	s_and_b32 s2, vcc_lo, s2
	s_delay_alu instid0(SALU_CYCLE_1) | instskip(NEXT) | instid1(VALU_DEP_1)
	v_cndmask_b32_e64 v5, 0, 1, s2
	v_add_nc_u32_e32 v5, v0, v5
; %bb.986:
	s_or_b32 exec_lo, exec_lo, s4
	s_mov_b32 s2, 0
	global_store_b8 v[1:2], v5, off
.LBB537_987:
	s_mov_b32 s4, 0
.LBB537_988:
	s_delay_alu instid0(SALU_CYCLE_1)
	s_and_b32 vcc_lo, exec_lo, s4
	s_cbranch_vccz .LBB537_991
; %bb.989:
	v_cmp_eq_u16_e32 vcc_lo, 29, v4
	s_mov_b32 s2, -1
	s_cbranch_vccz .LBB537_991
; %bb.990:
	v_lshlrev_b32_e32 v0, 16, v3
	s_mov_b32 s2, 0
	s_delay_alu instid0(VALU_DEP_1) | instskip(NEXT) | instid1(VALU_DEP_1)
	v_trunc_f32_e32 v0, v0
	v_mul_f32_e32 v5, 0x2f800000, v0
	s_delay_alu instid0(VALU_DEP_1) | instskip(NEXT) | instid1(VALU_DEP_1)
	v_floor_f32_e32 v5, v5
	v_fmamk_f32 v0, v5, 0xcf800000, v0
	v_cvt_u32_f32_e32 v6, v5
	s_delay_alu instid0(VALU_DEP_2)
	v_cvt_u32_f32_e32 v5, v0
	global_store_b64 v[1:2], v[5:6], off
.LBB537_991:
	s_mov_b32 s4, 0
.LBB537_992:
	s_delay_alu instid0(SALU_CYCLE_1)
	s_and_b32 vcc_lo, exec_lo, s4
	s_cbranch_vccz .LBB537_1007
; %bb.993:
	v_cmp_gt_i16_e32 vcc_lo, 27, v4
	s_mov_b32 s4, -1
	s_cbranch_vccnz .LBB537_999
; %bb.994:
	v_cmp_lt_i16_e32 vcc_lo, 27, v4
	s_cbranch_vccz .LBB537_996
; %bb.995:
	v_lshlrev_b32_e32 v0, 16, v3
	s_mov_b32 s4, 0
	s_delay_alu instid0(VALU_DEP_1)
	v_cvt_u32_f32_e32 v0, v0
	global_store_b32 v[1:2], v0, off
.LBB537_996:
	s_and_not1_b32 vcc_lo, exec_lo, s4
	s_cbranch_vccnz .LBB537_998
; %bb.997:
	v_lshlrev_b32_e32 v0, 16, v3
	s_delay_alu instid0(VALU_DEP_1)
	v_cvt_u32_f32_e32 v0, v0
	global_store_b16 v[1:2], v0, off
.LBB537_998:
	s_mov_b32 s4, 0
.LBB537_999:
	s_delay_alu instid0(SALU_CYCLE_1)
	s_and_not1_b32 vcc_lo, exec_lo, s4
	s_cbranch_vccnz .LBB537_1007
; %bb.1000:
	v_dual_mov_b32 v7, 0x80 :: v_dual_lshlrev_b32 v6, 16, v3
	s_mov_b32 s4, exec_lo
	s_delay_alu instid0(VALU_DEP_1) | instskip(NEXT) | instid1(VALU_DEP_1)
	v_and_b32_e32 v5, 0x7fffffff, v6
	v_cmpx_gt_u32_e32 0x43800000, v5
	s_cbranch_execz .LBB537_1006
; %bb.1001:
	v_and_b32_e32 v0, 0xffff, v3
	v_cmp_lt_u32_e32 vcc_lo, 0x3bffffff, v5
	s_mov_b32 s5, 0
                                        ; implicit-def: $vgpr5
	s_and_saveexec_b32 s7, vcc_lo
	s_delay_alu instid0(SALU_CYCLE_1)
	s_xor_b32 s7, exec_lo, s7
	s_cbranch_execz .LBB537_1299
; %bb.1002:
	v_bfe_u32 v5, v0, 4, 1
	s_mov_b32 s5, exec_lo
	s_delay_alu instid0(VALU_DEP_1) | instskip(NEXT) | instid1(VALU_DEP_1)
	v_add3_u32 v5, v6, v5, 0x487ffff
                                        ; implicit-def: $vgpr6
	v_lshrrev_b32_e32 v5, 20, v5
	s_or_saveexec_b32 s7, s7
                                        ; implicit-def: $sgpr8
	s_delay_alu instid0(SALU_CYCLE_1)
	s_xor_b32 exec_lo, exec_lo, s7
	s_cbranch_execnz .LBB537_1300
.LBB537_1003:
	s_or_b32 exec_lo, exec_lo, s7
	v_mov_b32_e32 v7, s8
	s_and_saveexec_b32 s7, s5
.LBB537_1004:
	v_lshrrev_b32_e32 v0, 8, v0
	s_delay_alu instid0(VALU_DEP_1)
	v_and_or_b32 v7, 0x80, v0, v5
.LBB537_1005:
	s_or_b32 exec_lo, exec_lo, s7
.LBB537_1006:
	s_delay_alu instid0(SALU_CYCLE_1)
	s_or_b32 exec_lo, exec_lo, s4
	global_store_b8 v[1:2], v7, off
.LBB537_1007:
	s_mov_b32 s4, 0
.LBB537_1008:
	s_delay_alu instid0(SALU_CYCLE_1)
	s_and_b32 vcc_lo, exec_lo, s4
	s_mov_b32 s4, 0
	s_cbranch_vccz .LBB537_1048
; %bb.1009:
	v_cmp_lt_i16_e32 vcc_lo, 22, v4
	s_mov_b32 s5, -1
	s_cbranch_vccz .LBB537_1041
; %bb.1010:
	v_cmp_gt_i16_e32 vcc_lo, 24, v4
	s_cbranch_vccnz .LBB537_1030
; %bb.1011:
	v_cmp_lt_i16_e32 vcc_lo, 24, v4
	s_cbranch_vccz .LBB537_1019
; %bb.1012:
	v_dual_mov_b32 v7, 0x80 :: v_dual_lshlrev_b32 v6, 16, v3
	s_mov_b32 s5, exec_lo
	s_delay_alu instid0(VALU_DEP_1) | instskip(NEXT) | instid1(VALU_DEP_1)
	v_and_b32_e32 v5, 0x7fffffff, v6
	v_cmpx_gt_u32_e32 0x47800000, v5
	s_cbranch_execz .LBB537_1018
; %bb.1013:
	v_and_b32_e32 v0, 0xffff, v3
	v_cmp_lt_u32_e32 vcc_lo, 0x37ffffff, v5
	s_mov_b32 s7, 0
                                        ; implicit-def: $vgpr5
	s_and_saveexec_b32 s8, vcc_lo
	s_delay_alu instid0(SALU_CYCLE_1)
	s_xor_b32 s8, exec_lo, s8
	s_cbranch_execz .LBB537_1343
; %bb.1014:
	v_bfe_u32 v5, v0, 5, 1
	s_mov_b32 s7, exec_lo
	s_delay_alu instid0(VALU_DEP_1) | instskip(NEXT) | instid1(VALU_DEP_1)
	v_add3_u32 v5, v6, v5, 0x88fffff
                                        ; implicit-def: $vgpr6
	v_lshrrev_b32_e32 v5, 21, v5
	s_or_saveexec_b32 s8, s8
                                        ; implicit-def: $sgpr9
	s_delay_alu instid0(SALU_CYCLE_1)
	s_xor_b32 exec_lo, exec_lo, s8
	s_cbranch_execnz .LBB537_1344
.LBB537_1015:
	s_or_b32 exec_lo, exec_lo, s8
	v_mov_b32_e32 v7, s9
	s_and_saveexec_b32 s8, s7
.LBB537_1016:
	v_lshrrev_b32_e32 v0, 8, v0
	s_delay_alu instid0(VALU_DEP_1)
	v_and_or_b32 v7, 0x80, v0, v5
.LBB537_1017:
	s_or_b32 exec_lo, exec_lo, s8
.LBB537_1018:
	s_delay_alu instid0(SALU_CYCLE_1)
	s_or_b32 exec_lo, exec_lo, s5
	s_mov_b32 s5, 0
	global_store_b8 v[1:2], v7, off
.LBB537_1019:
	s_and_b32 vcc_lo, exec_lo, s5
	s_cbranch_vccz .LBB537_1029
; %bb.1020:
	v_lshlrev_b32_e32 v6, 16, v3
	v_and_b32_e32 v0, 0xffff, v3
	s_mov_b32 s5, exec_lo
                                        ; implicit-def: $vgpr5
	s_delay_alu instid0(VALU_DEP_2) | instskip(NEXT) | instid1(VALU_DEP_1)
	v_and_b32_e32 v7, 0x7fffffff, v6
	v_cmpx_gt_u32_e32 0x43f00000, v7
	s_xor_b32 s5, exec_lo, s5
	s_cbranch_execz .LBB537_1026
; %bb.1021:
	s_mov_b32 s7, exec_lo
                                        ; implicit-def: $vgpr5
	v_cmpx_lt_u32_e32 0x3c7fffff, v7
	s_xor_b32 s7, exec_lo, s7
; %bb.1022:
	v_bfe_u32 v5, v0, 4, 1
	s_delay_alu instid0(VALU_DEP_1) | instskip(NEXT) | instid1(VALU_DEP_1)
	v_add3_u32 v5, v6, v5, 0x407ffff
	v_and_b32_e32 v6, 0xff00000, v5
	v_lshrrev_b32_e32 v5, 20, v5
	s_delay_alu instid0(VALU_DEP_2) | instskip(NEXT) | instid1(VALU_DEP_2)
	v_cmp_ne_u32_e32 vcc_lo, 0x7f00000, v6
                                        ; implicit-def: $vgpr6
	v_cndmask_b32_e32 v5, 0x7e, v5, vcc_lo
; %bb.1023:
	s_and_not1_saveexec_b32 s7, s7
; %bb.1024:
	v_add_f32_e64 v5, 0x46800000, |v6|
; %bb.1025:
	s_or_b32 exec_lo, exec_lo, s7
                                        ; implicit-def: $vgpr7
.LBB537_1026:
	s_and_not1_saveexec_b32 s5, s5
; %bb.1027:
	v_mov_b32_e32 v5, 0x7f
	v_cmp_lt_u32_e32 vcc_lo, 0x7f800000, v7
	s_delay_alu instid0(VALU_DEP_2)
	v_cndmask_b32_e32 v5, 0x7e, v5, vcc_lo
; %bb.1028:
	s_or_b32 exec_lo, exec_lo, s5
	v_lshrrev_b32_e32 v0, 8, v0
	s_delay_alu instid0(VALU_DEP_1)
	v_and_or_b32 v0, 0x80, v0, v5
	global_store_b8 v[1:2], v0, off
.LBB537_1029:
	s_mov_b32 s5, 0
.LBB537_1030:
	s_delay_alu instid0(SALU_CYCLE_1)
	s_and_not1_b32 vcc_lo, exec_lo, s5
	s_cbranch_vccnz .LBB537_1040
; %bb.1031:
	v_lshlrev_b32_e32 v6, 16, v3
	v_and_b32_e32 v0, 0xffff, v3
	s_mov_b32 s5, exec_lo
                                        ; implicit-def: $vgpr5
	s_delay_alu instid0(VALU_DEP_2) | instskip(NEXT) | instid1(VALU_DEP_1)
	v_and_b32_e32 v7, 0x7fffffff, v6
	v_cmpx_gt_u32_e32 0x47800000, v7
	s_xor_b32 s5, exec_lo, s5
	s_cbranch_execz .LBB537_1037
; %bb.1032:
	s_mov_b32 s7, exec_lo
                                        ; implicit-def: $vgpr5
	v_cmpx_lt_u32_e32 0x387fffff, v7
	s_xor_b32 s7, exec_lo, s7
; %bb.1033:
	v_bfe_u32 v5, v0, 5, 1
	s_delay_alu instid0(VALU_DEP_1) | instskip(NEXT) | instid1(VALU_DEP_1)
	v_add3_u32 v5, v6, v5, 0x80fffff
                                        ; implicit-def: $vgpr6
	v_lshrrev_b32_e32 v5, 21, v5
; %bb.1034:
	s_and_not1_saveexec_b32 s7, s7
; %bb.1035:
	v_add_f32_e64 v5, 0x43000000, |v6|
; %bb.1036:
	s_or_b32 exec_lo, exec_lo, s7
                                        ; implicit-def: $vgpr7
.LBB537_1037:
	s_and_not1_saveexec_b32 s5, s5
; %bb.1038:
	v_mov_b32_e32 v5, 0x7f
	v_cmp_lt_u32_e32 vcc_lo, 0x7f800000, v7
	s_delay_alu instid0(VALU_DEP_2)
	v_cndmask_b32_e32 v5, 0x7c, v5, vcc_lo
; %bb.1039:
	s_or_b32 exec_lo, exec_lo, s5
	v_lshrrev_b32_e32 v0, 8, v0
	s_delay_alu instid0(VALU_DEP_1)
	v_and_or_b32 v0, 0x80, v0, v5
	global_store_b8 v[1:2], v0, off
.LBB537_1040:
	s_mov_b32 s5, 0
.LBB537_1041:
	s_delay_alu instid0(SALU_CYCLE_1)
	s_and_not1_b32 vcc_lo, exec_lo, s5
	s_mov_b32 s8, 0
	s_cbranch_vccnz .LBB537_1049
; %bb.1042:
	v_cmp_lt_i16_e32 vcc_lo, 14, v4
	s_mov_b32 s5, -1
	s_cbranch_vccz .LBB537_1046
; %bb.1043:
	v_cmp_eq_u16_e32 vcc_lo, 15, v4
	s_mov_b32 s2, -1
	s_cbranch_vccz .LBB537_1045
; %bb.1044:
	s_mov_b32 s2, 0
	global_store_b16 v[1:2], v3, off
.LBB537_1045:
	s_mov_b32 s5, 0
.LBB537_1046:
	s_delay_alu instid0(SALU_CYCLE_1)
	s_and_b32 vcc_lo, exec_lo, s5
	s_cbranch_vccz .LBB537_1049
; %bb.1047:
	v_cmp_ne_u16_e32 vcc_lo, 11, v4
	s_and_not1_b32 s2, s2, exec_lo
	s_mov_b32 s8, -1
	s_and_b32 s5, vcc_lo, exec_lo
	s_delay_alu instid0(SALU_CYCLE_1)
	s_or_b32 s2, s2, s5
	s_branch .LBB537_1049
.LBB537_1048:
	s_mov_b32 s8, 0
.LBB537_1049:
	s_and_b32 s7, s4, exec_lo
	s_and_not1_b32 s4, s39, exec_lo
	s_and_b32 s2, s2, exec_lo
	s_and_b32 s8, s8, exec_lo
	s_or_b32 s39, s4, s2
.LBB537_1050:
	s_or_b32 exec_lo, exec_lo, s6
	s_and_saveexec_b32 s2, s39
	s_cbranch_execnz .LBB537_1164
; %bb.1051:
	s_or_b32 exec_lo, exec_lo, s2
	s_and_saveexec_b32 s2, s8
	s_delay_alu instid0(SALU_CYCLE_1)
	s_xor_b32 s2, exec_lo, s2
	s_cbranch_execz .LBB537_1053
.LBB537_1052:
	s_waitcnt vmcnt(0)
	v_and_b32_e32 v0, 0x7fff, v3
	s_delay_alu instid0(VALU_DEP_1)
	v_cmp_ne_u16_e32 vcc_lo, 0, v0
	v_cndmask_b32_e64 v0, 0, 1, vcc_lo
	global_store_b8 v[1:2], v0, off
.LBB537_1053:
	s_or_b32 exec_lo, exec_lo, s2
	s_and_saveexec_b32 s2, s7
	s_delay_alu instid0(SALU_CYCLE_1)
	s_xor_b32 s2, exec_lo, s2
	s_cbranch_execz .LBB537_1091
; %bb.1054:
	v_cmp_gt_i16_e32 vcc_lo, 5, v4
	s_mov_b32 s4, -1
	s_cbranch_vccnz .LBB537_1075
; %bb.1055:
	v_cmp_gt_i16_e32 vcc_lo, 8, v4
	s_cbranch_vccnz .LBB537_1065
; %bb.1056:
	v_cmp_gt_i16_e32 vcc_lo, 9, v4
	s_cbranch_vccnz .LBB537_1062
; %bb.1057:
	v_cmp_lt_i16_e32 vcc_lo, 9, v4
	s_cbranch_vccz .LBB537_1059
; %bb.1058:
	s_waitcnt vmcnt(0)
	v_dual_mov_b32 v7, 0 :: v_dual_lshlrev_b32 v0, 16, v3
	s_mov_b32 s4, 0
	s_delay_alu instid0(VALU_DEP_1) | instskip(NEXT) | instid1(VALU_DEP_2)
	v_cvt_f64_f32_e32 v[5:6], v0
	v_mov_b32_e32 v8, v7
	global_store_b128 v[1:2], v[5:8], off
.LBB537_1059:
	s_and_not1_b32 vcc_lo, exec_lo, s4
	s_cbranch_vccnz .LBB537_1061
; %bb.1060:
	s_waitcnt vmcnt(0)
	v_dual_mov_b32 v6, 0 :: v_dual_lshlrev_b32 v5, 16, v3
	global_store_b64 v[1:2], v[5:6], off
.LBB537_1061:
	s_mov_b32 s4, 0
.LBB537_1062:
	s_delay_alu instid0(SALU_CYCLE_1)
	s_and_not1_b32 vcc_lo, exec_lo, s4
	s_cbranch_vccnz .LBB537_1064
; %bb.1063:
	s_waitcnt vmcnt(0)
	v_lshlrev_b32_e32 v0, 16, v3
	s_delay_alu instid0(VALU_DEP_1) | instskip(NEXT) | instid1(VALU_DEP_1)
	v_cvt_f16_f32_e32 v0, v0
	v_and_b32_e32 v0, 0xffff, v0
	global_store_b32 v[1:2], v0, off
.LBB537_1064:
	s_mov_b32 s4, 0
.LBB537_1065:
	s_delay_alu instid0(SALU_CYCLE_1)
	s_and_not1_b32 vcc_lo, exec_lo, s4
	s_cbranch_vccnz .LBB537_1074
; %bb.1066:
	v_cmp_gt_i16_e32 vcc_lo, 6, v4
	s_mov_b32 s4, -1
	s_cbranch_vccnz .LBB537_1072
; %bb.1067:
	v_cmp_lt_i16_e32 vcc_lo, 6, v4
	s_cbranch_vccz .LBB537_1069
; %bb.1068:
	s_waitcnt vmcnt(0)
	v_lshlrev_b32_e32 v0, 16, v3
	s_mov_b32 s4, 0
	s_delay_alu instid0(VALU_DEP_1)
	v_cvt_f64_f32_e32 v[5:6], v0
	global_store_b64 v[1:2], v[5:6], off
.LBB537_1069:
	s_and_not1_b32 vcc_lo, exec_lo, s4
	s_cbranch_vccnz .LBB537_1071
; %bb.1070:
	s_waitcnt vmcnt(0)
	v_lshlrev_b32_e32 v0, 16, v3
	global_store_b32 v[1:2], v0, off
.LBB537_1071:
	s_mov_b32 s4, 0
.LBB537_1072:
	s_delay_alu instid0(SALU_CYCLE_1)
	s_and_not1_b32 vcc_lo, exec_lo, s4
	s_cbranch_vccnz .LBB537_1074
; %bb.1073:
	s_waitcnt vmcnt(0)
	v_lshlrev_b32_e32 v0, 16, v3
	s_delay_alu instid0(VALU_DEP_1)
	v_cvt_f16_f32_e32 v0, v0
	global_store_b16 v[1:2], v0, off
.LBB537_1074:
	s_mov_b32 s4, 0
.LBB537_1075:
	s_delay_alu instid0(SALU_CYCLE_1)
	s_and_not1_b32 vcc_lo, exec_lo, s4
	s_cbranch_vccnz .LBB537_1091
; %bb.1076:
	v_cmp_gt_i16_e32 vcc_lo, 2, v4
	s_mov_b32 s4, -1
	s_cbranch_vccnz .LBB537_1086
; %bb.1077:
	v_cmp_gt_i16_e32 vcc_lo, 3, v4
	s_cbranch_vccnz .LBB537_1083
; %bb.1078:
	v_cmp_lt_i16_e32 vcc_lo, 3, v4
	s_cbranch_vccz .LBB537_1080
; %bb.1079:
	s_waitcnt vmcnt(0)
	v_lshlrev_b32_e32 v0, 16, v3
	s_mov_b32 s4, 0
	s_delay_alu instid0(VALU_DEP_1) | instskip(NEXT) | instid1(VALU_DEP_1)
	v_trunc_f32_e32 v0, v0
	v_mul_f32_e64 v5, 0x2f800000, |v0|
	s_delay_alu instid0(VALU_DEP_1) | instskip(NEXT) | instid1(VALU_DEP_1)
	v_floor_f32_e32 v5, v5
	v_fma_f32 v6, 0xcf800000, v5, |v0|
	v_ashrrev_i32_e32 v0, 31, v0
	v_cvt_u32_f32_e32 v5, v5
	s_delay_alu instid0(VALU_DEP_3) | instskip(NEXT) | instid1(VALU_DEP_2)
	v_cvt_u32_f32_e32 v6, v6
	v_xor_b32_e32 v7, v5, v0
	s_delay_alu instid0(VALU_DEP_2) | instskip(NEXT) | instid1(VALU_DEP_1)
	v_xor_b32_e32 v6, v6, v0
	v_sub_co_u32 v5, vcc_lo, v6, v0
	s_delay_alu instid0(VALU_DEP_3)
	v_sub_co_ci_u32_e32 v6, vcc_lo, v7, v0, vcc_lo
	global_store_b64 v[1:2], v[5:6], off
.LBB537_1080:
	s_and_not1_b32 vcc_lo, exec_lo, s4
	s_cbranch_vccnz .LBB537_1082
; %bb.1081:
	s_waitcnt vmcnt(0)
	v_lshlrev_b32_e32 v0, 16, v3
	s_delay_alu instid0(VALU_DEP_1)
	v_cvt_i32_f32_e32 v0, v0
	global_store_b32 v[1:2], v0, off
.LBB537_1082:
	s_mov_b32 s4, 0
.LBB537_1083:
	s_delay_alu instid0(SALU_CYCLE_1)
	s_and_not1_b32 vcc_lo, exec_lo, s4
	s_cbranch_vccnz .LBB537_1085
; %bb.1084:
	s_waitcnt vmcnt(0)
	v_lshlrev_b32_e32 v0, 16, v3
	s_delay_alu instid0(VALU_DEP_1)
	v_cvt_i32_f32_e32 v0, v0
	global_store_b16 v[1:2], v0, off
.LBB537_1085:
	s_mov_b32 s4, 0
.LBB537_1086:
	s_delay_alu instid0(SALU_CYCLE_1)
	s_and_not1_b32 vcc_lo, exec_lo, s4
	s_cbranch_vccnz .LBB537_1091
; %bb.1087:
	v_cmp_lt_i16_e32 vcc_lo, 0, v4
	s_mov_b32 s4, -1
	s_cbranch_vccz .LBB537_1089
; %bb.1088:
	s_waitcnt vmcnt(0)
	v_lshlrev_b32_e32 v0, 16, v3
	s_mov_b32 s4, 0
	s_delay_alu instid0(VALU_DEP_1)
	v_cvt_i32_f32_e32 v0, v0
	global_store_b8 v[1:2], v0, off
.LBB537_1089:
	s_and_not1_b32 vcc_lo, exec_lo, s4
	s_cbranch_vccnz .LBB537_1091
; %bb.1090:
	s_waitcnt vmcnt(0)
	v_lshlrev_b32_e32 v0, 16, v3
	s_delay_alu instid0(VALU_DEP_1) | instskip(NEXT) | instid1(VALU_DEP_1)
	v_trunc_f32_e32 v0, v0
	v_mul_f32_e64 v3, 0x2f800000, |v0|
	s_delay_alu instid0(VALU_DEP_1) | instskip(NEXT) | instid1(VALU_DEP_1)
	v_floor_f32_e32 v3, v3
	v_fma_f32 v3, 0xcf800000, v3, |v0|
	v_ashrrev_i32_e32 v0, 31, v0
	s_delay_alu instid0(VALU_DEP_2) | instskip(NEXT) | instid1(VALU_DEP_1)
	v_cvt_u32_f32_e32 v3, v3
	v_xor_b32_e32 v3, v3, v0
	s_delay_alu instid0(VALU_DEP_1)
	v_sub_nc_u32_e32 v0, v3, v0
	global_store_b8 v[1:2], v0, off
.LBB537_1091:
	s_or_b32 exec_lo, exec_lo, s2
	s_delay_alu instid0(SALU_CYCLE_1)
	s_and_b32 s8, s3, exec_lo
                                        ; implicit-def: $vgpr8
                                        ; implicit-def: $vgpr4
.LBB537_1092:
	s_or_saveexec_b32 s9, s30
	s_mov_b32 s3, 0
                                        ; implicit-def: $vgpr0_vgpr1
                                        ; implicit-def: $vgpr9
                                        ; implicit-def: $vgpr5
	s_xor_b32 exec_lo, exec_lo, s9
	s_cbranch_execz .LBB537_2124
; %bb.1093:
	v_cndmask_b32_e64 v0, 0, 1, s29
	s_and_not1_b32 vcc_lo, exec_lo, s29
	s_cbranch_vccnz .LBB537_1099
; %bb.1094:
	s_waitcnt vmcnt(0)
	v_mov_b32_e32 v3, 0
	v_mov_b32_e32 v7, 0
	s_cmp_lg_u32 s26, 0
	s_mov_b32 s6, 0
	s_cbranch_scc0 .LBB537_1103
; %bb.1095:
	s_min_u32 s7, s27, 15
	v_mov_b32_e32 v3, 0
	s_add_i32 s7, s7, 1
	s_cmp_eq_u32 s27, 2
	s_mov_b32 s10, 0
	s_cbranch_scc1 .LBB537_1100
; %bb.1096:
	v_mov_b32_e32 v7, 0
	v_mov_b32_e32 v3, 0
	;; [unrolled: 1-line block ×3, first 2 shown]
	s_add_u32 s2, s16, 0xc4
	s_addc_u32 s3, s17, 0
	s_and_b32 s10, s7, 28
	s_mov_b32 s11, 0
	s_mov_b64 s[4:5], s[16:17]
.LBB537_1097:                           ; =>This Inner Loop Header: Depth=1
	s_clause 0x1
	s_load_b256 s[36:43], s[4:5], 0x4
	s_load_b128 s[12:15], s[4:5], 0x24
	s_load_b256 s[44:51], s[2:3], 0x0
	s_add_u32 s4, s4, 48
	s_addc_u32 s5, s5, 0
	s_add_i32 s11, s11, 4
	s_add_u32 s2, s2, 32
	s_addc_u32 s3, s3, 0
	s_cmp_lg_u32 s10, s11
	s_waitcnt lgkmcnt(0)
	v_mul_hi_u32 v2, s37, v1
	s_delay_alu instid0(VALU_DEP_1) | instskip(NEXT) | instid1(VALU_DEP_1)
	v_add_nc_u32_e32 v2, v1, v2
	v_lshrrev_b32_e32 v2, s38, v2
	s_delay_alu instid0(VALU_DEP_1) | instskip(SKIP_1) | instid1(VALU_DEP_2)
	v_mul_hi_u32 v5, s40, v2
	v_mul_lo_u32 v9, v2, s36
	v_add_nc_u32_e32 v5, v2, v5
	s_delay_alu instid0(VALU_DEP_2) | instskip(NEXT) | instid1(VALU_DEP_2)
	v_sub_nc_u32_e32 v1, v1, v9
	v_lshrrev_b32_e32 v5, s41, v5
	s_delay_alu instid0(VALU_DEP_2) | instskip(SKIP_1) | instid1(VALU_DEP_3)
	v_mul_lo_u32 v9, v1, s44
	v_mul_lo_u32 v11, v1, s45
	v_mul_hi_u32 v6, s43, v5
	s_delay_alu instid0(VALU_DEP_1) | instskip(NEXT) | instid1(VALU_DEP_1)
	v_add_nc_u32_e32 v6, v5, v6
	v_lshrrev_b32_e32 v6, s12, v6
	s_delay_alu instid0(VALU_DEP_1) | instskip(SKIP_1) | instid1(VALU_DEP_2)
	v_mul_hi_u32 v10, s14, v6
	v_mul_lo_u32 v12, v6, s42
	v_add_nc_u32_e32 v1, v6, v10
	v_mul_lo_u32 v10, v5, s39
	s_delay_alu instid0(VALU_DEP_3) | instskip(NEXT) | instid1(VALU_DEP_3)
	v_sub_nc_u32_e32 v5, v5, v12
	v_lshrrev_b32_e32 v1, s15, v1
	s_delay_alu instid0(VALU_DEP_2) | instskip(SKIP_2) | instid1(VALU_DEP_4)
	v_mul_lo_u32 v12, v5, s48
	v_mul_lo_u32 v5, v5, s49
	v_sub_nc_u32_e32 v2, v2, v10
	v_mul_lo_u32 v13, v1, s13
	s_delay_alu instid0(VALU_DEP_2) | instskip(SKIP_1) | instid1(VALU_DEP_3)
	v_mul_lo_u32 v10, v2, s46
	v_mul_lo_u32 v2, v2, s47
	v_sub_nc_u32_e32 v6, v6, v13
	s_delay_alu instid0(VALU_DEP_3) | instskip(NEXT) | instid1(VALU_DEP_2)
	v_add3_u32 v3, v9, v3, v10
	v_mul_lo_u32 v13, v6, s50
	v_mul_lo_u32 v6, v6, s51
	v_add3_u32 v2, v11, v7, v2
	s_delay_alu instid0(VALU_DEP_3) | instskip(NEXT) | instid1(VALU_DEP_2)
	v_add3_u32 v3, v12, v3, v13
	v_add3_u32 v7, v5, v2, v6
	s_cbranch_scc1 .LBB537_1097
; %bb.1098:
	s_and_b32 s7, s7, 3
	s_delay_alu instid0(SALU_CYCLE_1)
	s_cmp_eq_u32 s7, 0
	s_cbranch_scc0 .LBB537_1101
	s_branch .LBB537_1103
.LBB537_1099:
	s_mov_b32 s6, -1
                                        ; implicit-def: $vgpr3
                                        ; implicit-def: $vgpr7
	s_branch .LBB537_1103
.LBB537_1100:
	v_mov_b32_e32 v1, v4
	v_mov_b32_e32 v7, 0
	s_and_b32 s7, s7, 3
	s_delay_alu instid0(SALU_CYCLE_1)
	s_cmp_eq_u32 s7, 0
	s_cbranch_scc1 .LBB537_1103
.LBB537_1101:
	s_lshl_b32 s2, s10, 3
	s_mul_i32 s4, s10, 12
	s_add_u32 s2, s2, s16
	s_addc_u32 s3, 0, s17
	s_add_u32 s2, s2, 0xc4
	s_addc_u32 s3, s3, 0
	;; [unrolled: 2-line block ×3, first 2 shown]
	.p2align	6
.LBB537_1102:                           ; =>This Inner Loop Header: Depth=1
	s_clause 0x1
	s_load_b64 s[10:11], s[4:5], 0x4
	s_load_b32 s14, s[4:5], 0xc
	s_load_b64 s[12:13], s[2:3], 0x0
	s_add_u32 s4, s4, 12
	s_addc_u32 s5, s5, 0
	s_add_u32 s2, s2, 8
	s_addc_u32 s3, s3, 0
	s_add_i32 s7, s7, -1
	s_delay_alu instid0(SALU_CYCLE_1) | instskip(SKIP_2) | instid1(VALU_DEP_1)
	s_cmp_lg_u32 s7, 0
	s_waitcnt lgkmcnt(0)
	v_mul_hi_u32 v2, s11, v1
	v_add_nc_u32_e32 v2, v1, v2
	s_delay_alu instid0(VALU_DEP_1) | instskip(NEXT) | instid1(VALU_DEP_1)
	v_lshrrev_b32_e32 v9, s14, v2
	v_mul_lo_u32 v2, v9, s10
	s_delay_alu instid0(VALU_DEP_1) | instskip(NEXT) | instid1(VALU_DEP_1)
	v_sub_nc_u32_e32 v1, v1, v2
	v_mad_u64_u32 v[5:6], null, v1, s12, v[3:4]
	v_mad_u64_u32 v[2:3], null, v1, s13, v[7:8]
	v_mov_b32_e32 v1, v9
	s_delay_alu instid0(VALU_DEP_3) | instskip(NEXT) | instid1(VALU_DEP_3)
	v_mov_b32_e32 v3, v5
	v_mov_b32_e32 v7, v2
	s_cbranch_scc1 .LBB537_1102
.LBB537_1103:
	s_and_not1_b32 vcc_lo, exec_lo, s6
	s_cbranch_vccnz .LBB537_1106
; %bb.1104:
	s_clause 0x1
	s_load_b128 s[4:7], s[16:17], 0x4
	s_load_b64 s[2:3], s[16:17], 0xc4
	s_cmp_lt_u32 s26, 2
	s_waitcnt lgkmcnt(0)
	v_mul_hi_u32 v1, s5, v4
	s_delay_alu instid0(VALU_DEP_1) | instskip(NEXT) | instid1(VALU_DEP_1)
	v_add_nc_u32_e32 v1, v4, v1
	v_lshrrev_b32_e32 v1, s6, v1
	s_delay_alu instid0(VALU_DEP_1) | instskip(NEXT) | instid1(VALU_DEP_1)
	v_mul_lo_u32 v2, v1, s4
	v_sub_nc_u32_e32 v2, v4, v2
	s_waitcnt vmcnt(0)
	s_delay_alu instid0(VALU_DEP_1)
	v_mul_lo_u32 v3, v2, s2
	v_mul_lo_u32 v7, v2, s3
	s_cbranch_scc1 .LBB537_1106
; %bb.1105:
	s_clause 0x1
	s_load_b128 s[4:7], s[16:17], 0x10
	s_load_b64 s[2:3], s[16:17], 0xcc
	s_waitcnt lgkmcnt(0)
	v_mul_hi_u32 v2, s5, v1
	s_delay_alu instid0(VALU_DEP_1) | instskip(NEXT) | instid1(VALU_DEP_1)
	v_add_nc_u32_e32 v2, v1, v2
	v_lshrrev_b32_e32 v2, s6, v2
	s_delay_alu instid0(VALU_DEP_1) | instskip(NEXT) | instid1(VALU_DEP_1)
	v_mul_lo_u32 v2, v2, s4
	v_sub_nc_u32_e32 v5, v1, v2
	s_delay_alu instid0(VALU_DEP_1) | instskip(SKIP_1) | instid1(VALU_DEP_2)
	v_mad_u64_u32 v[1:2], null, v5, s2, v[3:4]
	v_mad_u64_u32 v[2:3], null, v5, s3, v[7:8]
	v_mov_b32_e32 v3, v1
	s_delay_alu instid0(VALU_DEP_2)
	v_mov_b32_e32 v7, v2
.LBB537_1106:
	v_cmp_ne_u32_e32 vcc_lo, 1, v0
	v_add_nc_u32_e32 v1, 0x80, v4
	s_cbranch_vccnz .LBB537_1112
; %bb.1107:
	v_mov_b32_e32 v2, 0
	v_mov_b32_e32 v6, 0
	s_cmp_lg_u32 s26, 0
	s_mov_b32 s6, 0
	s_cbranch_scc0 .LBB537_1116
; %bb.1108:
	s_min_u32 s7, s27, 15
	v_mov_b32_e32 v2, 0
	s_add_i32 s7, s7, 1
	s_cmp_eq_u32 s27, 2
	s_mov_b32 s10, 0
	s_cbranch_scc1 .LBB537_1113
; %bb.1109:
	s_waitcnt vmcnt(0)
	v_dual_mov_b32 v6, 0 :: v_dual_mov_b32 v5, v1
	v_mov_b32_e32 v2, 0
	s_add_u32 s2, s16, 0xc4
	s_addc_u32 s3, s17, 0
	s_and_b32 s10, s7, 28
	s_mov_b32 s11, 0
	s_mov_b64 s[4:5], s[16:17]
.LBB537_1110:                           ; =>This Inner Loop Header: Depth=1
	s_clause 0x1
	s_load_b256 s[36:43], s[4:5], 0x4
	s_load_b128 s[12:15], s[4:5], 0x24
	s_load_b256 s[44:51], s[2:3], 0x0
	s_add_u32 s4, s4, 48
	s_addc_u32 s5, s5, 0
	s_add_i32 s11, s11, 4
	s_add_u32 s2, s2, 32
	s_addc_u32 s3, s3, 0
	s_cmp_lg_u32 s10, s11
	s_waitcnt lgkmcnt(0)
	v_mul_hi_u32 v9, s37, v5
	s_delay_alu instid0(VALU_DEP_1) | instskip(NEXT) | instid1(VALU_DEP_1)
	v_add_nc_u32_e32 v9, v5, v9
	v_lshrrev_b32_e32 v9, s38, v9
	s_delay_alu instid0(VALU_DEP_1) | instskip(SKIP_1) | instid1(VALU_DEP_2)
	v_mul_hi_u32 v10, s40, v9
	v_mul_lo_u32 v12, v9, s36
	v_add_nc_u32_e32 v10, v9, v10
	s_delay_alu instid0(VALU_DEP_2) | instskip(NEXT) | instid1(VALU_DEP_2)
	v_sub_nc_u32_e32 v5, v5, v12
	v_lshrrev_b32_e32 v10, s41, v10
	s_delay_alu instid0(VALU_DEP_2) | instskip(SKIP_1) | instid1(VALU_DEP_3)
	v_mul_lo_u32 v12, v5, s44
	v_mul_lo_u32 v14, v5, s45
	v_mul_hi_u32 v11, s43, v10
	s_delay_alu instid0(VALU_DEP_1) | instskip(NEXT) | instid1(VALU_DEP_1)
	v_add_nc_u32_e32 v11, v10, v11
	v_lshrrev_b32_e32 v11, s12, v11
	s_delay_alu instid0(VALU_DEP_1) | instskip(SKIP_1) | instid1(VALU_DEP_2)
	v_mul_hi_u32 v13, s14, v11
	v_mul_lo_u32 v15, v11, s42
	v_add_nc_u32_e32 v5, v11, v13
	v_mul_lo_u32 v13, v10, s39
	s_delay_alu instid0(VALU_DEP_3) | instskip(NEXT) | instid1(VALU_DEP_3)
	v_sub_nc_u32_e32 v10, v10, v15
	v_lshrrev_b32_e32 v5, s15, v5
	s_delay_alu instid0(VALU_DEP_2) | instskip(SKIP_2) | instid1(VALU_DEP_4)
	v_mul_lo_u32 v15, v10, s48
	v_mul_lo_u32 v10, v10, s49
	v_sub_nc_u32_e32 v9, v9, v13
	v_mul_lo_u32 v16, v5, s13
	s_delay_alu instid0(VALU_DEP_2) | instskip(SKIP_1) | instid1(VALU_DEP_3)
	v_mul_lo_u32 v13, v9, s46
	v_mul_lo_u32 v9, v9, s47
	v_sub_nc_u32_e32 v11, v11, v16
	s_delay_alu instid0(VALU_DEP_3) | instskip(NEXT) | instid1(VALU_DEP_2)
	v_add3_u32 v2, v12, v2, v13
	v_mul_lo_u32 v16, v11, s50
	v_mul_lo_u32 v11, v11, s51
	v_add3_u32 v6, v14, v6, v9
	s_delay_alu instid0(VALU_DEP_3) | instskip(NEXT) | instid1(VALU_DEP_2)
	v_add3_u32 v2, v15, v2, v16
	v_add3_u32 v6, v10, v6, v11
	s_cbranch_scc1 .LBB537_1110
; %bb.1111:
	s_and_b32 s7, s7, 3
	s_delay_alu instid0(SALU_CYCLE_1)
	s_cmp_eq_u32 s7, 0
	s_cbranch_scc0 .LBB537_1114
	s_branch .LBB537_1116
.LBB537_1112:
	s_mov_b32 s6, -1
                                        ; implicit-def: $vgpr2
                                        ; implicit-def: $vgpr6
	s_branch .LBB537_1116
.LBB537_1113:
	s_waitcnt vmcnt(0)
	v_dual_mov_b32 v5, v1 :: v_dual_mov_b32 v6, 0
	s_and_b32 s7, s7, 3
	s_delay_alu instid0(SALU_CYCLE_1)
	s_cmp_eq_u32 s7, 0
	s_cbranch_scc1 .LBB537_1116
.LBB537_1114:
	s_lshl_b32 s2, s10, 3
	s_mul_i32 s4, s10, 12
	s_add_u32 s2, s2, s16
	s_addc_u32 s3, 0, s17
	s_add_u32 s2, s2, 0xc4
	s_addc_u32 s3, s3, 0
	;; [unrolled: 2-line block ×3, first 2 shown]
	.p2align	6
.LBB537_1115:                           ; =>This Inner Loop Header: Depth=1
	s_clause 0x1
	s_load_b64 s[10:11], s[4:5], 0x4
	s_load_b32 s14, s[4:5], 0xc
	s_load_b64 s[12:13], s[2:3], 0x0
	s_add_u32 s4, s4, 12
	s_addc_u32 s5, s5, 0
	s_add_u32 s2, s2, 8
	s_addc_u32 s3, s3, 0
	s_add_i32 s7, s7, -1
	s_delay_alu instid0(SALU_CYCLE_1) | instskip(SKIP_2) | instid1(VALU_DEP_1)
	s_cmp_lg_u32 s7, 0
	s_waitcnt lgkmcnt(0)
	v_mul_hi_u32 v9, s11, v5
	v_add_nc_u32_e32 v9, v5, v9
	s_delay_alu instid0(VALU_DEP_1) | instskip(NEXT) | instid1(VALU_DEP_1)
	v_lshrrev_b32_e32 v12, s14, v9
	v_mul_lo_u32 v9, v12, s10
	s_delay_alu instid0(VALU_DEP_1) | instskip(NEXT) | instid1(VALU_DEP_1)
	v_sub_nc_u32_e32 v5, v5, v9
	v_mad_u64_u32 v[9:10], null, v5, s12, v[2:3]
	v_mad_u64_u32 v[10:11], null, v5, s13, v[6:7]
	s_delay_alu instid0(VALU_DEP_2) | instskip(NEXT) | instid1(VALU_DEP_2)
	v_dual_mov_b32 v5, v12 :: v_dual_mov_b32 v2, v9
	v_mov_b32_e32 v6, v10
	s_cbranch_scc1 .LBB537_1115
.LBB537_1116:
	s_and_not1_b32 vcc_lo, exec_lo, s6
	s_cbranch_vccnz .LBB537_1119
; %bb.1117:
	s_clause 0x1
	s_load_b128 s[4:7], s[16:17], 0x4
	s_load_b64 s[2:3], s[16:17], 0xc4
	s_cmp_lt_u32 s26, 2
	s_waitcnt lgkmcnt(0)
	v_mul_hi_u32 v2, s5, v1
	s_delay_alu instid0(VALU_DEP_1) | instskip(SKIP_1) | instid1(VALU_DEP_1)
	v_add_nc_u32_e32 v2, v1, v2
	s_waitcnt vmcnt(0)
	v_lshrrev_b32_e32 v5, s6, v2
	s_delay_alu instid0(VALU_DEP_1) | instskip(NEXT) | instid1(VALU_DEP_1)
	v_mul_lo_u32 v2, v5, s4
	v_sub_nc_u32_e32 v1, v1, v2
	s_delay_alu instid0(VALU_DEP_1)
	v_mul_lo_u32 v2, v1, s2
	v_mul_lo_u32 v6, v1, s3
	s_cbranch_scc1 .LBB537_1119
; %bb.1118:
	s_clause 0x1
	s_load_b128 s[4:7], s[16:17], 0x10
	s_load_b64 s[2:3], s[16:17], 0xcc
	s_waitcnt lgkmcnt(0)
	v_mul_hi_u32 v1, s5, v5
	s_delay_alu instid0(VALU_DEP_1) | instskip(NEXT) | instid1(VALU_DEP_1)
	v_add_nc_u32_e32 v1, v5, v1
	v_lshrrev_b32_e32 v1, s6, v1
	s_delay_alu instid0(VALU_DEP_1) | instskip(NEXT) | instid1(VALU_DEP_1)
	v_mul_lo_u32 v1, v1, s4
	v_sub_nc_u32_e32 v5, v5, v1
	s_delay_alu instid0(VALU_DEP_1) | instskip(SKIP_1) | instid1(VALU_DEP_2)
	v_mad_u64_u32 v[9:10], null, v5, s2, v[2:3]
	v_mad_u64_u32 v[1:2], null, v5, s3, v[6:7]
	v_mov_b32_e32 v2, v9
	s_delay_alu instid0(VALU_DEP_2)
	v_mov_b32_e32 v6, v1
.LBB537_1119:
	v_cmp_ne_u32_e32 vcc_lo, 1, v0
	v_add_nc_u32_e32 v4, 0x100, v4
	s_cbranch_vccnz .LBB537_1125
; %bb.1120:
	v_mov_b32_e32 v1, 0
	s_waitcnt vmcnt(0)
	v_mov_b32_e32 v5, 0
	s_cmp_lg_u32 s26, 0
	s_mov_b32 s6, 0
	s_cbranch_scc0 .LBB537_1129
; %bb.1121:
	s_min_u32 s7, s27, 15
	v_mov_b32_e32 v1, 0
	s_add_i32 s7, s7, 1
	s_cmp_eq_u32 s27, 2
	s_mov_b32 s10, 0
	s_cbranch_scc1 .LBB537_1126
; %bb.1122:
	v_mov_b32_e32 v5, 0
	v_mov_b32_e32 v1, 0
	;; [unrolled: 1-line block ×3, first 2 shown]
	s_add_u32 s2, s16, 0xc4
	s_addc_u32 s3, s17, 0
	s_and_b32 s10, s7, 28
	s_mov_b32 s11, 0
	s_mov_b64 s[4:5], s[16:17]
.LBB537_1123:                           ; =>This Inner Loop Header: Depth=1
	s_clause 0x1
	s_load_b256 s[36:43], s[4:5], 0x4
	s_load_b128 s[12:15], s[4:5], 0x24
	s_load_b256 s[44:51], s[2:3], 0x0
	s_add_u32 s4, s4, 48
	s_addc_u32 s5, s5, 0
	s_add_i32 s11, s11, 4
	s_add_u32 s2, s2, 32
	s_addc_u32 s3, s3, 0
	s_cmp_lg_u32 s10, s11
	s_waitcnt lgkmcnt(0)
	v_mul_hi_u32 v10, s37, v9
	s_delay_alu instid0(VALU_DEP_1) | instskip(NEXT) | instid1(VALU_DEP_1)
	v_add_nc_u32_e32 v10, v9, v10
	v_lshrrev_b32_e32 v10, s38, v10
	s_delay_alu instid0(VALU_DEP_1) | instskip(SKIP_1) | instid1(VALU_DEP_2)
	v_mul_hi_u32 v11, s40, v10
	v_mul_lo_u32 v13, v10, s36
	v_add_nc_u32_e32 v11, v10, v11
	s_delay_alu instid0(VALU_DEP_2) | instskip(NEXT) | instid1(VALU_DEP_2)
	v_sub_nc_u32_e32 v9, v9, v13
	v_lshrrev_b32_e32 v11, s41, v11
	s_delay_alu instid0(VALU_DEP_2) | instskip(SKIP_1) | instid1(VALU_DEP_3)
	v_mul_lo_u32 v13, v9, s44
	v_mul_lo_u32 v15, v9, s45
	v_mul_hi_u32 v12, s43, v11
	s_delay_alu instid0(VALU_DEP_1) | instskip(NEXT) | instid1(VALU_DEP_1)
	v_add_nc_u32_e32 v12, v11, v12
	v_lshrrev_b32_e32 v12, s12, v12
	s_delay_alu instid0(VALU_DEP_1) | instskip(SKIP_1) | instid1(VALU_DEP_2)
	v_mul_hi_u32 v14, s14, v12
	v_mul_lo_u32 v16, v12, s42
	v_add_nc_u32_e32 v9, v12, v14
	v_mul_lo_u32 v14, v11, s39
	s_delay_alu instid0(VALU_DEP_3) | instskip(NEXT) | instid1(VALU_DEP_3)
	v_sub_nc_u32_e32 v11, v11, v16
	v_lshrrev_b32_e32 v9, s15, v9
	s_delay_alu instid0(VALU_DEP_2) | instskip(SKIP_2) | instid1(VALU_DEP_4)
	v_mul_lo_u32 v16, v11, s48
	v_mul_lo_u32 v11, v11, s49
	v_sub_nc_u32_e32 v10, v10, v14
	v_mul_lo_u32 v17, v9, s13
	s_delay_alu instid0(VALU_DEP_2) | instskip(SKIP_1) | instid1(VALU_DEP_3)
	v_mul_lo_u32 v14, v10, s46
	v_mul_lo_u32 v10, v10, s47
	v_sub_nc_u32_e32 v12, v12, v17
	s_delay_alu instid0(VALU_DEP_3) | instskip(NEXT) | instid1(VALU_DEP_2)
	v_add3_u32 v1, v13, v1, v14
	v_mul_lo_u32 v17, v12, s50
	v_mul_lo_u32 v12, v12, s51
	v_add3_u32 v5, v15, v5, v10
	s_delay_alu instid0(VALU_DEP_3) | instskip(NEXT) | instid1(VALU_DEP_2)
	v_add3_u32 v1, v16, v1, v17
	v_add3_u32 v5, v11, v5, v12
	s_cbranch_scc1 .LBB537_1123
; %bb.1124:
	s_and_b32 s7, s7, 3
	s_delay_alu instid0(SALU_CYCLE_1)
	s_cmp_eq_u32 s7, 0
	s_cbranch_scc0 .LBB537_1127
	s_branch .LBB537_1129
.LBB537_1125:
	s_mov_b32 s6, -1
                                        ; implicit-def: $vgpr1
                                        ; implicit-def: $vgpr5
	s_branch .LBB537_1129
.LBB537_1126:
	v_mov_b32_e32 v9, v4
	v_mov_b32_e32 v5, 0
	s_and_b32 s7, s7, 3
	s_delay_alu instid0(SALU_CYCLE_1)
	s_cmp_eq_u32 s7, 0
	s_cbranch_scc1 .LBB537_1129
.LBB537_1127:
	s_lshl_b32 s2, s10, 3
	s_mul_i32 s4, s10, 12
	s_add_u32 s2, s2, s16
	s_addc_u32 s3, 0, s17
	s_add_u32 s2, s2, 0xc4
	s_addc_u32 s3, s3, 0
	;; [unrolled: 2-line block ×3, first 2 shown]
	.p2align	6
.LBB537_1128:                           ; =>This Inner Loop Header: Depth=1
	s_clause 0x1
	s_load_b64 s[10:11], s[4:5], 0x4
	s_load_b32 s14, s[4:5], 0xc
	s_load_b64 s[12:13], s[2:3], 0x0
	s_add_u32 s4, s4, 12
	s_addc_u32 s5, s5, 0
	s_add_u32 s2, s2, 8
	s_addc_u32 s3, s3, 0
	s_add_i32 s7, s7, -1
	s_delay_alu instid0(SALU_CYCLE_1) | instskip(SKIP_2) | instid1(VALU_DEP_1)
	s_cmp_lg_u32 s7, 0
	s_waitcnt lgkmcnt(0)
	v_mul_hi_u32 v10, s11, v9
	v_add_nc_u32_e32 v10, v9, v10
	s_delay_alu instid0(VALU_DEP_1) | instskip(NEXT) | instid1(VALU_DEP_1)
	v_lshrrev_b32_e32 v13, s14, v10
	v_mul_lo_u32 v10, v13, s10
	s_delay_alu instid0(VALU_DEP_1) | instskip(NEXT) | instid1(VALU_DEP_1)
	v_sub_nc_u32_e32 v9, v9, v10
	v_mad_u64_u32 v[10:11], null, v9, s12, v[1:2]
	v_mad_u64_u32 v[11:12], null, v9, s13, v[5:6]
	v_mov_b32_e32 v9, v13
	s_delay_alu instid0(VALU_DEP_3) | instskip(NEXT) | instid1(VALU_DEP_3)
	v_mov_b32_e32 v1, v10
	v_mov_b32_e32 v5, v11
	s_cbranch_scc1 .LBB537_1128
.LBB537_1129:
	s_and_not1_b32 vcc_lo, exec_lo, s6
	s_cbranch_vccnz .LBB537_1132
; %bb.1130:
	s_clause 0x1
	s_load_b128 s[4:7], s[16:17], 0x4
	s_load_b64 s[2:3], s[16:17], 0xc4
	s_cmp_lt_u32 s26, 2
	s_waitcnt lgkmcnt(0)
	v_mul_hi_u32 v1, s5, v4
	s_delay_alu instid0(VALU_DEP_1) | instskip(NEXT) | instid1(VALU_DEP_1)
	v_add_nc_u32_e32 v1, v4, v1
	v_lshrrev_b32_e32 v9, s6, v1
	s_delay_alu instid0(VALU_DEP_1) | instskip(NEXT) | instid1(VALU_DEP_1)
	v_mul_lo_u32 v1, v9, s4
	v_sub_nc_u32_e32 v4, v4, v1
	s_delay_alu instid0(VALU_DEP_1)
	v_mul_lo_u32 v1, v4, s2
	s_waitcnt vmcnt(0)
	v_mul_lo_u32 v5, v4, s3
	s_cbranch_scc1 .LBB537_1132
; %bb.1131:
	s_clause 0x1
	s_load_b128 s[4:7], s[16:17], 0x10
	s_load_b64 s[2:3], s[16:17], 0xcc
	s_waitcnt lgkmcnt(0)
	v_mul_hi_u32 v4, s5, v9
	s_delay_alu instid0(VALU_DEP_1) | instskip(NEXT) | instid1(VALU_DEP_1)
	v_add_nc_u32_e32 v4, v9, v4
	v_lshrrev_b32_e32 v4, s6, v4
	s_delay_alu instid0(VALU_DEP_1) | instskip(NEXT) | instid1(VALU_DEP_1)
	v_mul_lo_u32 v4, v4, s4
	v_sub_nc_u32_e32 v4, v9, v4
	s_delay_alu instid0(VALU_DEP_1) | instskip(SKIP_1) | instid1(VALU_DEP_2)
	v_mad_u64_u32 v[9:10], null, v4, s2, v[1:2]
	v_mad_u64_u32 v[10:11], null, v4, s3, v[5:6]
	v_mov_b32_e32 v1, v9
	s_delay_alu instid0(VALU_DEP_2)
	v_mov_b32_e32 v5, v10
.LBB537_1132:
	v_cmp_ne_u32_e32 vcc_lo, 1, v0
	s_cbranch_vccnz .LBB537_1138
; %bb.1133:
	v_mov_b32_e32 v0, 0
	v_mov_b32_e32 v4, 0
	s_cmp_lg_u32 s26, 0
	s_mov_b32 s6, 0
	s_cbranch_scc0 .LBB537_1142
; %bb.1134:
	s_min_u32 s7, s27, 15
	v_mov_b32_e32 v0, 0
	s_add_i32 s7, s7, 1
	s_cmp_eq_u32 s27, 2
	s_mov_b32 s10, 0
	s_cbranch_scc1 .LBB537_1139
; %bb.1135:
	v_dual_mov_b32 v4, 0 :: v_dual_mov_b32 v9, v8
	v_mov_b32_e32 v0, 0
	s_add_u32 s2, s16, 0xc4
	s_addc_u32 s3, s17, 0
	s_and_b32 s10, s7, 28
	s_mov_b32 s11, 0
	s_mov_b64 s[4:5], s[16:17]
.LBB537_1136:                           ; =>This Inner Loop Header: Depth=1
	s_clause 0x1
	s_load_b256 s[36:43], s[4:5], 0x4
	s_load_b128 s[12:15], s[4:5], 0x24
	s_load_b256 s[44:51], s[2:3], 0x0
	s_add_u32 s4, s4, 48
	s_addc_u32 s5, s5, 0
	s_add_i32 s11, s11, 4
	s_add_u32 s2, s2, 32
	s_addc_u32 s3, s3, 0
	s_cmp_lg_u32 s10, s11
	s_waitcnt lgkmcnt(0)
	v_mul_hi_u32 v10, s37, v9
	s_delay_alu instid0(VALU_DEP_1) | instskip(NEXT) | instid1(VALU_DEP_1)
	v_add_nc_u32_e32 v10, v9, v10
	v_lshrrev_b32_e32 v10, s38, v10
	s_delay_alu instid0(VALU_DEP_1) | instskip(SKIP_1) | instid1(VALU_DEP_2)
	v_mul_hi_u32 v11, s40, v10
	v_mul_lo_u32 v13, v10, s36
	v_add_nc_u32_e32 v11, v10, v11
	s_delay_alu instid0(VALU_DEP_2) | instskip(NEXT) | instid1(VALU_DEP_2)
	v_sub_nc_u32_e32 v9, v9, v13
	v_lshrrev_b32_e32 v11, s41, v11
	s_delay_alu instid0(VALU_DEP_2) | instskip(SKIP_1) | instid1(VALU_DEP_3)
	v_mul_lo_u32 v13, v9, s44
	v_mul_lo_u32 v15, v9, s45
	v_mul_hi_u32 v12, s43, v11
	s_delay_alu instid0(VALU_DEP_1) | instskip(NEXT) | instid1(VALU_DEP_1)
	v_add_nc_u32_e32 v12, v11, v12
	v_lshrrev_b32_e32 v12, s12, v12
	s_delay_alu instid0(VALU_DEP_1) | instskip(SKIP_1) | instid1(VALU_DEP_2)
	v_mul_hi_u32 v14, s14, v12
	v_mul_lo_u32 v16, v12, s42
	v_add_nc_u32_e32 v9, v12, v14
	v_mul_lo_u32 v14, v11, s39
	s_delay_alu instid0(VALU_DEP_3) | instskip(NEXT) | instid1(VALU_DEP_3)
	v_sub_nc_u32_e32 v11, v11, v16
	v_lshrrev_b32_e32 v9, s15, v9
	s_delay_alu instid0(VALU_DEP_2) | instskip(SKIP_2) | instid1(VALU_DEP_4)
	v_mul_lo_u32 v16, v11, s48
	v_mul_lo_u32 v11, v11, s49
	v_sub_nc_u32_e32 v10, v10, v14
	v_mul_lo_u32 v17, v9, s13
	s_delay_alu instid0(VALU_DEP_2) | instskip(SKIP_1) | instid1(VALU_DEP_3)
	v_mul_lo_u32 v14, v10, s46
	v_mul_lo_u32 v10, v10, s47
	v_sub_nc_u32_e32 v12, v12, v17
	s_delay_alu instid0(VALU_DEP_3) | instskip(NEXT) | instid1(VALU_DEP_2)
	v_add3_u32 v0, v13, v0, v14
	v_mul_lo_u32 v17, v12, s50
	v_mul_lo_u32 v12, v12, s51
	v_add3_u32 v4, v15, v4, v10
	s_delay_alu instid0(VALU_DEP_3) | instskip(NEXT) | instid1(VALU_DEP_2)
	v_add3_u32 v0, v16, v0, v17
	v_add3_u32 v4, v11, v4, v12
	s_cbranch_scc1 .LBB537_1136
; %bb.1137:
	s_and_b32 s7, s7, 3
	s_delay_alu instid0(SALU_CYCLE_1)
	s_cmp_eq_u32 s7, 0
	s_cbranch_scc0 .LBB537_1140
	s_branch .LBB537_1142
.LBB537_1138:
	s_mov_b32 s6, -1
                                        ; implicit-def: $vgpr0
                                        ; implicit-def: $vgpr4
	s_branch .LBB537_1142
.LBB537_1139:
	v_dual_mov_b32 v9, v8 :: v_dual_mov_b32 v4, 0
	s_and_b32 s7, s7, 3
	s_delay_alu instid0(SALU_CYCLE_1)
	s_cmp_eq_u32 s7, 0
	s_cbranch_scc1 .LBB537_1142
.LBB537_1140:
	s_lshl_b32 s2, s10, 3
	s_mul_i32 s4, s10, 12
	s_add_u32 s2, s2, s16
	s_addc_u32 s3, 0, s17
	s_add_u32 s2, s2, 0xc4
	s_addc_u32 s3, s3, 0
	;; [unrolled: 2-line block ×3, first 2 shown]
	.p2align	6
.LBB537_1141:                           ; =>This Inner Loop Header: Depth=1
	s_clause 0x1
	s_load_b64 s[10:11], s[4:5], 0x4
	s_load_b32 s14, s[4:5], 0xc
	s_load_b64 s[12:13], s[2:3], 0x0
	s_add_u32 s4, s4, 12
	s_addc_u32 s5, s5, 0
	s_add_u32 s2, s2, 8
	s_addc_u32 s3, s3, 0
	s_add_i32 s7, s7, -1
	s_delay_alu instid0(SALU_CYCLE_1) | instskip(SKIP_2) | instid1(VALU_DEP_1)
	s_cmp_lg_u32 s7, 0
	s_waitcnt lgkmcnt(0)
	v_mul_hi_u32 v10, s11, v9
	v_add_nc_u32_e32 v10, v9, v10
	s_delay_alu instid0(VALU_DEP_1) | instskip(NEXT) | instid1(VALU_DEP_1)
	v_lshrrev_b32_e32 v13, s14, v10
	v_mul_lo_u32 v10, v13, s10
	s_delay_alu instid0(VALU_DEP_1) | instskip(NEXT) | instid1(VALU_DEP_1)
	v_sub_nc_u32_e32 v9, v9, v10
	v_mad_u64_u32 v[10:11], null, v9, s12, v[0:1]
	s_waitcnt vmcnt(0)
	v_mad_u64_u32 v[11:12], null, v9, s13, v[4:5]
	s_delay_alu instid0(VALU_DEP_2) | instskip(NEXT) | instid1(VALU_DEP_2)
	v_dual_mov_b32 v9, v13 :: v_dual_mov_b32 v0, v10
	v_mov_b32_e32 v4, v11
	s_cbranch_scc1 .LBB537_1141
.LBB537_1142:
	s_and_not1_b32 vcc_lo, exec_lo, s6
	s_cbranch_vccnz .LBB537_1145
; %bb.1143:
	s_clause 0x1
	s_load_b128 s[4:7], s[16:17], 0x4
	s_load_b64 s[2:3], s[16:17], 0xc4
	s_cmp_lt_u32 s26, 2
	s_waitcnt lgkmcnt(0)
	v_mul_hi_u32 v0, s5, v8
	s_delay_alu instid0(VALU_DEP_1) | instskip(NEXT) | instid1(VALU_DEP_1)
	v_add_nc_u32_e32 v0, v8, v0
	v_lshrrev_b32_e32 v9, s6, v0
	s_delay_alu instid0(VALU_DEP_1) | instskip(NEXT) | instid1(VALU_DEP_1)
	v_mul_lo_u32 v0, v9, s4
	v_sub_nc_u32_e32 v4, v8, v0
	s_delay_alu instid0(VALU_DEP_1)
	v_mul_lo_u32 v0, v4, s2
	v_mul_lo_u32 v4, v4, s3
	s_cbranch_scc1 .LBB537_1145
; %bb.1144:
	s_clause 0x1
	s_load_b128 s[4:7], s[16:17], 0x10
	s_load_b64 s[2:3], s[16:17], 0xcc
	s_waitcnt lgkmcnt(0)
	v_mul_hi_u32 v8, s5, v9
	s_delay_alu instid0(VALU_DEP_1) | instskip(NEXT) | instid1(VALU_DEP_1)
	v_add_nc_u32_e32 v8, v9, v8
	v_lshrrev_b32_e32 v8, s6, v8
	s_delay_alu instid0(VALU_DEP_1) | instskip(NEXT) | instid1(VALU_DEP_1)
	v_mul_lo_u32 v8, v8, s4
	v_sub_nc_u32_e32 v11, v9, v8
	s_delay_alu instid0(VALU_DEP_1) | instskip(SKIP_2) | instid1(VALU_DEP_2)
	v_mad_u64_u32 v[8:9], null, v11, s2, v[0:1]
	s_waitcnt vmcnt(0)
	v_mad_u64_u32 v[9:10], null, v11, s3, v[4:5]
	v_mov_b32_e32 v0, v8
	s_delay_alu instid0(VALU_DEP_2)
	v_mov_b32_e32 v4, v9
.LBB537_1145:
	s_clause 0x1
	s_load_b32 s3, s[0:1], 0x164
	s_load_b128 s[4:7], s[16:17], 0x148
	s_mov_b32 s12, 0
	s_waitcnt lgkmcnt(0)
	s_lshr_b32 s10, s3, 24
	v_add_co_u32 v7, s11, s6, v7
	v_cmp_lt_i16_e64 s2, s10, 11
	v_add_co_ci_u32_e64 v8, null, s7, 0, s11
	s_delay_alu instid0(VALU_DEP_2)
	s_and_b32 vcc_lo, exec_lo, s2
	s_cbranch_vccnz .LBB537_1152
; %bb.1146:
	v_cmp_gt_i16_e64 s2, s10, 25
	s_mov_b32 s11, 0
	s_delay_alu instid0(VALU_DEP_1)
	s_and_b32 vcc_lo, exec_lo, s2
	s_cbranch_vccz .LBB537_1158
; %bb.1147:
	v_cmp_gt_i16_e64 s2, s10, 28
	s_delay_alu instid0(VALU_DEP_1)
	s_and_b32 vcc_lo, exec_lo, s2
	s_cbranch_vccz .LBB537_1160
; %bb.1148:
	v_cmp_gt_i16_e64 s2, s10, 43
	;; [unrolled: 5-line block ×3, first 2 shown]
	s_delay_alu instid0(VALU_DEP_1)
	s_and_b32 vcc_lo, exec_lo, s2
	s_cbranch_vccz .LBB537_1166
; %bb.1150:
	v_cmp_eq_u16_e64 s2, s10, 46
	s_mov_b32 s13, 0
	s_delay_alu instid0(VALU_DEP_1)
	s_and_b32 vcc_lo, exec_lo, s2
	s_cbranch_vccz .LBB537_1208
; %bb.1151:
	global_load_b32 v9, v[7:8], off
	s_mov_b32 s2, 0
	s_mov_b32 s12, -1
	s_branch .LBB537_1210
.LBB537_1152:
	s_mov_b32 s2, s8
                                        ; implicit-def: $vgpr9
	s_cbranch_execz .LBB537_1273
; %bb.1153:
	v_cmp_lt_i16_e64 s11, s10, 5
	s_delay_alu instid0(VALU_DEP_1)
	s_and_b32 vcc_lo, exec_lo, s11
	s_cbranch_vccnz .LBB537_1159
; %bb.1154:
	v_cmp_lt_i16_e64 s11, s10, 8
	s_delay_alu instid0(VALU_DEP_1)
	s_and_b32 vcc_lo, exec_lo, s11
	s_cbranch_vccnz .LBB537_1161
	;; [unrolled: 5-line block ×3, first 2 shown]
; %bb.1156:
	v_cmp_gt_i16_e64 s11, s10, 9
	s_delay_alu instid0(VALU_DEP_1)
	s_and_b32 vcc_lo, exec_lo, s11
	s_cbranch_vccz .LBB537_1167
; %bb.1157:
	global_load_b64 v[9:10], v[7:8], off
	s_mov_b32 s11, 0
	s_waitcnt vmcnt(0)
	v_cvt_f32_f64_e32 v9, v[9:10]
	s_delay_alu instid0(VALU_DEP_1) | instskip(SKIP_1) | instid1(VALU_DEP_2)
	v_bfe_u32 v10, v9, 16, 1
	v_cmp_o_f32_e32 vcc_lo, v9, v9
	v_add3_u32 v10, v9, v10, 0x7fff
	s_delay_alu instid0(VALU_DEP_1) | instskip(NEXT) | instid1(VALU_DEP_1)
	v_lshrrev_b32_e32 v10, 16, v10
	v_cndmask_b32_e32 v9, 0x7fc0, v10, vcc_lo
	s_branch .LBB537_1168
.LBB537_1158:
	s_mov_b32 s2, 0
                                        ; implicit-def: $vgpr9
	s_cbranch_execnz .LBB537_1238
	s_branch .LBB537_1269
.LBB537_1159:
                                        ; implicit-def: $vgpr9
	s_branch .LBB537_1185
.LBB537_1160:
	s_mov_b32 s13, -1
	s_mov_b32 s2, 0
                                        ; implicit-def: $vgpr9
	s_branch .LBB537_1219
.LBB537_1161:
                                        ; implicit-def: $vgpr9
	s_branch .LBB537_1174
.LBB537_1162:
	s_mov_b32 s2, 0
                                        ; implicit-def: $vgpr9
	s_cbranch_execnz .LBB537_1215
	s_branch .LBB537_1218
.LBB537_1163:
	s_mov_b32 s11, -1
                                        ; implicit-def: $vgpr9
	s_branch .LBB537_1171
.LBB537_1164:
	s_cbranch_execnz .LBB537_1206
; %bb.1165:
	s_or_b32 s3, s3, exec_lo
	s_and_not1_b32 s8, s8, exec_lo
	s_or_b32 exec_lo, exec_lo, s2
	s_and_saveexec_b32 s2, s8
	s_delay_alu instid0(SALU_CYCLE_1)
	s_xor_b32 s2, exec_lo, s2
	s_cbranch_execnz .LBB537_1052
	s_branch .LBB537_1053
.LBB537_1166:
	s_mov_b32 s13, -1
	s_mov_b32 s2, 0
	s_branch .LBB537_1209
.LBB537_1167:
	s_mov_b32 s11, -1
                                        ; implicit-def: $vgpr9
.LBB537_1168:
	s_delay_alu instid0(SALU_CYCLE_1)
	s_and_not1_b32 vcc_lo, exec_lo, s11
	s_cbranch_vccnz .LBB537_1170
; %bb.1169:
	global_load_b32 v9, v[7:8], off
	s_waitcnt vmcnt(0)
	v_bfe_u32 v10, v9, 16, 1
	v_cmp_o_f32_e32 vcc_lo, v9, v9
	s_delay_alu instid0(VALU_DEP_2) | instskip(NEXT) | instid1(VALU_DEP_1)
	v_add3_u32 v10, v9, v10, 0x7fff
	v_lshrrev_b32_e32 v10, 16, v10
	s_delay_alu instid0(VALU_DEP_1)
	v_cndmask_b32_e32 v9, 0x7fc0, v10, vcc_lo
.LBB537_1170:
	s_mov_b32 s11, 0
.LBB537_1171:
	s_delay_alu instid0(SALU_CYCLE_1)
	s_and_not1_b32 vcc_lo, exec_lo, s11
	s_cbranch_vccnz .LBB537_1173
; %bb.1172:
	global_load_b32 v9, v[7:8], off
	s_waitcnt vmcnt(0)
	v_cvt_f32_f16_e32 v10, v9
	v_cmp_o_f16_e32 vcc_lo, v9, v9
	s_delay_alu instid0(VALU_DEP_2) | instskip(NEXT) | instid1(VALU_DEP_1)
	v_bfe_u32 v11, v10, 16, 1
	v_add3_u32 v10, v10, v11, 0x7fff
	s_delay_alu instid0(VALU_DEP_1) | instskip(NEXT) | instid1(VALU_DEP_1)
	v_lshrrev_b32_e32 v10, 16, v10
	v_cndmask_b32_e32 v9, 0x7fc0, v10, vcc_lo
.LBB537_1173:
	s_cbranch_execnz .LBB537_1184
.LBB537_1174:
	v_cmp_lt_i16_e64 s11, s10, 6
	s_delay_alu instid0(VALU_DEP_1)
	s_and_b32 vcc_lo, exec_lo, s11
	s_cbranch_vccnz .LBB537_1177
; %bb.1175:
	v_cmp_gt_i16_e64 s11, s10, 6
	s_delay_alu instid0(VALU_DEP_1)
	s_and_b32 vcc_lo, exec_lo, s11
	s_cbranch_vccz .LBB537_1178
; %bb.1176:
	global_load_b64 v[9:10], v[7:8], off
	s_mov_b32 s11, 0
	s_waitcnt vmcnt(0)
	v_cvt_f32_f64_e32 v9, v[9:10]
	s_delay_alu instid0(VALU_DEP_1) | instskip(SKIP_1) | instid1(VALU_DEP_2)
	v_bfe_u32 v10, v9, 16, 1
	v_cmp_o_f32_e32 vcc_lo, v9, v9
	v_add3_u32 v10, v9, v10, 0x7fff
	s_delay_alu instid0(VALU_DEP_1) | instskip(NEXT) | instid1(VALU_DEP_1)
	v_lshrrev_b32_e32 v10, 16, v10
	v_cndmask_b32_e32 v9, 0x7fc0, v10, vcc_lo
	s_branch .LBB537_1179
.LBB537_1177:
	s_mov_b32 s11, -1
                                        ; implicit-def: $vgpr9
	s_branch .LBB537_1182
.LBB537_1178:
	s_mov_b32 s11, -1
                                        ; implicit-def: $vgpr9
.LBB537_1179:
	s_delay_alu instid0(SALU_CYCLE_1)
	s_and_not1_b32 vcc_lo, exec_lo, s11
	s_cbranch_vccnz .LBB537_1181
; %bb.1180:
	global_load_b32 v9, v[7:8], off
	s_waitcnt vmcnt(0)
	v_bfe_u32 v10, v9, 16, 1
	v_cmp_o_f32_e32 vcc_lo, v9, v9
	s_delay_alu instid0(VALU_DEP_2) | instskip(NEXT) | instid1(VALU_DEP_1)
	v_add3_u32 v10, v9, v10, 0x7fff
	v_lshrrev_b32_e32 v10, 16, v10
	s_delay_alu instid0(VALU_DEP_1)
	v_cndmask_b32_e32 v9, 0x7fc0, v10, vcc_lo
.LBB537_1181:
	s_mov_b32 s11, 0
.LBB537_1182:
	s_delay_alu instid0(SALU_CYCLE_1)
	s_and_not1_b32 vcc_lo, exec_lo, s11
	s_cbranch_vccnz .LBB537_1184
; %bb.1183:
	global_load_u16 v9, v[7:8], off
	s_waitcnt vmcnt(0)
	v_cvt_f32_f16_e32 v10, v9
	v_cmp_o_f16_e32 vcc_lo, v9, v9
	s_delay_alu instid0(VALU_DEP_2) | instskip(NEXT) | instid1(VALU_DEP_1)
	v_bfe_u32 v11, v10, 16, 1
	v_add3_u32 v10, v10, v11, 0x7fff
	s_delay_alu instid0(VALU_DEP_1) | instskip(NEXT) | instid1(VALU_DEP_1)
	v_lshrrev_b32_e32 v10, 16, v10
	v_cndmask_b32_e32 v9, 0x7fc0, v10, vcc_lo
.LBB537_1184:
	s_cbranch_execnz .LBB537_1203
.LBB537_1185:
	v_cmp_lt_i16_e64 s11, s10, 2
	s_delay_alu instid0(VALU_DEP_1)
	s_and_b32 vcc_lo, exec_lo, s11
	s_cbranch_vccnz .LBB537_1189
; %bb.1186:
	v_cmp_lt_i16_e64 s11, s10, 3
	s_delay_alu instid0(VALU_DEP_1)
	s_and_b32 vcc_lo, exec_lo, s11
	s_cbranch_vccnz .LBB537_1190
; %bb.1187:
	v_cmp_gt_i16_e64 s11, s10, 3
	s_delay_alu instid0(VALU_DEP_1)
	s_and_b32 vcc_lo, exec_lo, s11
	s_cbranch_vccz .LBB537_1191
; %bb.1188:
	global_load_b64 v[9:10], v[7:8], off
	s_mov_b32 s11, 0
	s_waitcnt vmcnt(0)
	v_xor_b32_e32 v11, v9, v10
	v_cls_i32_e32 v12, v10
	s_delay_alu instid0(VALU_DEP_2) | instskip(NEXT) | instid1(VALU_DEP_2)
	v_ashrrev_i32_e32 v11, 31, v11
	v_add_nc_u32_e32 v12, -1, v12
	s_delay_alu instid0(VALU_DEP_2) | instskip(NEXT) | instid1(VALU_DEP_1)
	v_add_nc_u32_e32 v11, 32, v11
	v_min_u32_e32 v11, v12, v11
	s_delay_alu instid0(VALU_DEP_1) | instskip(NEXT) | instid1(VALU_DEP_1)
	v_lshlrev_b64 v[9:10], v11, v[9:10]
	v_min_u32_e32 v9, 1, v9
	s_delay_alu instid0(VALU_DEP_1) | instskip(SKIP_1) | instid1(VALU_DEP_2)
	v_or_b32_e32 v9, v10, v9
	v_sub_nc_u32_e32 v10, 32, v11
	v_cvt_f32_i32_e32 v9, v9
	s_delay_alu instid0(VALU_DEP_1) | instskip(NEXT) | instid1(VALU_DEP_1)
	v_ldexp_f32 v9, v9, v10
	v_bfe_u32 v10, v9, 16, 1
	s_delay_alu instid0(VALU_DEP_1) | instskip(NEXT) | instid1(VALU_DEP_1)
	v_add3_u32 v9, v9, v10, 0x7fff
	v_lshrrev_b32_e32 v9, 16, v9
	s_branch .LBB537_1192
.LBB537_1189:
                                        ; implicit-def: $vgpr9
	s_branch .LBB537_1198
.LBB537_1190:
	s_mov_b32 s11, -1
                                        ; implicit-def: $vgpr9
	s_branch .LBB537_1195
.LBB537_1191:
	s_mov_b32 s11, -1
                                        ; implicit-def: $vgpr9
.LBB537_1192:
	s_delay_alu instid0(SALU_CYCLE_1)
	s_and_not1_b32 vcc_lo, exec_lo, s11
	s_cbranch_vccnz .LBB537_1194
; %bb.1193:
	global_load_b32 v9, v[7:8], off
	s_waitcnt vmcnt(0)
	v_cvt_f32_i32_e32 v9, v9
	s_delay_alu instid0(VALU_DEP_1) | instskip(NEXT) | instid1(VALU_DEP_1)
	v_bfe_u32 v10, v9, 16, 1
	v_add3_u32 v9, v9, v10, 0x7fff
	s_delay_alu instid0(VALU_DEP_1)
	v_lshrrev_b32_e32 v9, 16, v9
.LBB537_1194:
	s_mov_b32 s11, 0
.LBB537_1195:
	s_delay_alu instid0(SALU_CYCLE_1)
	s_and_not1_b32 vcc_lo, exec_lo, s11
	s_cbranch_vccnz .LBB537_1197
; %bb.1196:
	global_load_i16 v9, v[7:8], off
	s_waitcnt vmcnt(0)
	v_cvt_f32_i32_e32 v9, v9
	s_delay_alu instid0(VALU_DEP_1) | instskip(NEXT) | instid1(VALU_DEP_1)
	v_bfe_u32 v10, v9, 16, 1
	v_add3_u32 v9, v9, v10, 0x7fff
	s_delay_alu instid0(VALU_DEP_1)
	v_lshrrev_b32_e32 v9, 16, v9
.LBB537_1197:
	s_cbranch_execnz .LBB537_1203
.LBB537_1198:
	v_cmp_gt_i16_e64 s11, s10, 0
	s_delay_alu instid0(VALU_DEP_1)
	s_and_b32 vcc_lo, exec_lo, s11
	s_mov_b32 s11, 0
	s_cbranch_vccz .LBB537_1200
; %bb.1199:
	global_load_i8 v9, v[7:8], off
	s_waitcnt vmcnt(0)
	v_cvt_f32_i32_e32 v9, v9
	s_delay_alu instid0(VALU_DEP_1) | instskip(NEXT) | instid1(VALU_DEP_1)
	v_bfe_u32 v10, v9, 16, 1
	v_add3_u32 v9, v9, v10, 0x7fff
	s_delay_alu instid0(VALU_DEP_1)
	v_lshrrev_b32_e32 v9, 16, v9
	s_branch .LBB537_1201
.LBB537_1200:
	s_mov_b32 s11, -1
                                        ; implicit-def: $vgpr9
.LBB537_1201:
	s_delay_alu instid0(SALU_CYCLE_1)
	s_and_not1_b32 vcc_lo, exec_lo, s11
	s_cbranch_vccnz .LBB537_1203
; %bb.1202:
	global_load_u8 v7, v[7:8], off
	s_waitcnt vmcnt(0)
	v_cvt_f32_ubyte0_e32 v7, v7
	s_delay_alu instid0(VALU_DEP_1) | instskip(NEXT) | instid1(VALU_DEP_1)
	v_bfe_u32 v8, v7, 16, 1
	v_add3_u32 v7, v7, v8, 0x7fff
	s_delay_alu instid0(VALU_DEP_1)
	v_lshrrev_b32_e32 v9, 16, v7
.LBB537_1203:
	s_branch .LBB537_1274
.LBB537_1204:
	s_trap 2
	s_sendmsg_rtn_b32 s0, sendmsg(MSG_RTN_GET_DOORBELL)
	s_mov_b32 ttmp2, m0
	s_waitcnt lgkmcnt(0)
	s_and_b32 s0, s0, 0x3ff
	s_delay_alu instid0(SALU_CYCLE_1) | instskip(NEXT) | instid1(SALU_CYCLE_1)
	s_bitset1_b32 s0, 10
	s_mov_b32 m0, s0
	s_sendmsg sendmsg(MSG_INTERRUPT)
	s_mov_b32 m0, ttmp2
.LBB537_1205:                           ; =>This Inner Loop Header: Depth=1
	s_sethalt 5
	s_branch .LBB537_1205
.LBB537_1206:
	s_trap 2
	s_sendmsg_rtn_b32 s0, sendmsg(MSG_RTN_GET_DOORBELL)
	s_mov_b32 ttmp2, m0
	s_waitcnt lgkmcnt(0)
	s_and_b32 s0, s0, 0x3ff
	s_delay_alu instid0(SALU_CYCLE_1) | instskip(NEXT) | instid1(SALU_CYCLE_1)
	s_bitset1_b32 s0, 10
	s_mov_b32 m0, s0
	s_sendmsg sendmsg(MSG_INTERRUPT)
	s_mov_b32 m0, ttmp2
.LBB537_1207:                           ; =>This Inner Loop Header: Depth=1
	s_sethalt 5
	s_branch .LBB537_1207
.LBB537_1208:
	s_mov_b32 s2, -1
.LBB537_1209:
                                        ; implicit-def: $vgpr9
.LBB537_1210:
	s_and_b32 vcc_lo, exec_lo, s13
	s_cbranch_vccz .LBB537_1213
; %bb.1211:
	v_cmp_eq_u16_e64 s2, s10, 44
	s_delay_alu instid0(VALU_DEP_1)
	s_and_b32 vcc_lo, exec_lo, s2
	s_cbranch_vccz .LBB537_1214
; %bb.1212:
	global_load_u8 v9, v[7:8], off
	s_mov_b32 s2, 0
	s_mov_b32 s12, -1
	s_waitcnt vmcnt(0)
	v_lshlrev_b32_e32 v10, 23, v9
	v_cmp_ne_u32_e32 vcc_lo, 0xff, v9
	s_delay_alu instid0(VALU_DEP_2) | instskip(SKIP_1) | instid1(VALU_DEP_2)
	v_cndmask_b32_e32 v10, 0x7f800001, v10, vcc_lo
	v_cmp_ne_u32_e32 vcc_lo, 0, v9
	v_cndmask_b32_e32 v9, 0x400000, v10, vcc_lo
	s_delay_alu instid0(VALU_DEP_1) | instskip(SKIP_1) | instid1(VALU_DEP_2)
	v_add_nc_u32_e32 v10, 0x7fff, v9
	v_cmp_o_f32_e32 vcc_lo, v9, v9
	v_lshrrev_b32_e32 v10, 16, v10
	s_delay_alu instid0(VALU_DEP_1)
	v_cndmask_b32_e32 v9, 0x7fc0, v10, vcc_lo
.LBB537_1213:
	s_branch .LBB537_1218
.LBB537_1214:
	s_mov_b32 s2, -1
                                        ; implicit-def: $vgpr9
	s_branch .LBB537_1218
.LBB537_1215:
	v_cmp_eq_u16_e64 s2, s10, 29
	s_delay_alu instid0(VALU_DEP_1)
	s_and_b32 vcc_lo, exec_lo, s2
	s_cbranch_vccz .LBB537_1217
; %bb.1216:
	global_load_b64 v[9:10], v[7:8], off
	s_mov_b32 s2, 0
	s_mov_b32 s12, -1
	s_mov_b32 s13, 0
	s_waitcnt vmcnt(0)
	v_clz_i32_u32_e32 v11, v10
	s_delay_alu instid0(VALU_DEP_1) | instskip(NEXT) | instid1(VALU_DEP_1)
	v_min_u32_e32 v11, 32, v11
	v_lshlrev_b64 v[9:10], v11, v[9:10]
	s_delay_alu instid0(VALU_DEP_1) | instskip(NEXT) | instid1(VALU_DEP_1)
	v_min_u32_e32 v9, 1, v9
	v_or_b32_e32 v9, v10, v9
	v_sub_nc_u32_e32 v10, 32, v11
	s_delay_alu instid0(VALU_DEP_2) | instskip(NEXT) | instid1(VALU_DEP_1)
	v_cvt_f32_u32_e32 v9, v9
	v_ldexp_f32 v9, v9, v10
	s_delay_alu instid0(VALU_DEP_1) | instskip(NEXT) | instid1(VALU_DEP_1)
	v_bfe_u32 v10, v9, 16, 1
	v_add3_u32 v9, v9, v10, 0x7fff
	s_delay_alu instid0(VALU_DEP_1)
	v_lshrrev_b32_e32 v9, 16, v9
	s_branch .LBB537_1219
.LBB537_1217:
	s_mov_b32 s2, -1
                                        ; implicit-def: $vgpr9
.LBB537_1218:
	s_mov_b32 s13, 0
.LBB537_1219:
	s_delay_alu instid0(SALU_CYCLE_1)
	s_and_b32 vcc_lo, exec_lo, s13
	s_cbranch_vccz .LBB537_1237
; %bb.1220:
	v_cmp_lt_i16_e64 s12, s10, 27
	s_delay_alu instid0(VALU_DEP_1)
	s_and_b32 vcc_lo, exec_lo, s12
	s_cbranch_vccnz .LBB537_1223
; %bb.1221:
	v_cmp_gt_i16_e64 s12, s10, 27
	s_delay_alu instid0(VALU_DEP_1)
	s_and_b32 vcc_lo, exec_lo, s12
	s_cbranch_vccz .LBB537_1224
; %bb.1222:
	global_load_b32 v9, v[7:8], off
	s_mov_b32 s12, 0
	s_waitcnt vmcnt(0)
	v_cvt_f32_u32_e32 v9, v9
	s_delay_alu instid0(VALU_DEP_1) | instskip(NEXT) | instid1(VALU_DEP_1)
	v_bfe_u32 v10, v9, 16, 1
	v_add3_u32 v9, v9, v10, 0x7fff
	s_delay_alu instid0(VALU_DEP_1)
	v_lshrrev_b32_e32 v9, 16, v9
	s_branch .LBB537_1225
.LBB537_1223:
	s_mov_b32 s12, -1
                                        ; implicit-def: $vgpr9
	s_branch .LBB537_1228
.LBB537_1224:
	s_mov_b32 s12, -1
                                        ; implicit-def: $vgpr9
.LBB537_1225:
	s_delay_alu instid0(SALU_CYCLE_1)
	s_and_not1_b32 vcc_lo, exec_lo, s12
	s_cbranch_vccnz .LBB537_1227
; %bb.1226:
	global_load_u16 v9, v[7:8], off
	s_waitcnt vmcnt(0)
	v_cvt_f32_u32_e32 v9, v9
	s_delay_alu instid0(VALU_DEP_1) | instskip(NEXT) | instid1(VALU_DEP_1)
	v_bfe_u32 v10, v9, 16, 1
	v_add3_u32 v9, v9, v10, 0x7fff
	s_delay_alu instid0(VALU_DEP_1)
	v_lshrrev_b32_e32 v9, 16, v9
.LBB537_1227:
	s_mov_b32 s12, 0
.LBB537_1228:
	s_delay_alu instid0(SALU_CYCLE_1)
	s_and_not1_b32 vcc_lo, exec_lo, s12
	s_cbranch_vccnz .LBB537_1236
; %bb.1229:
	global_load_u8 v9, v[7:8], off
	s_mov_b32 s12, 0
	s_mov_b32 s14, exec_lo
                                        ; implicit-def: $sgpr13
	s_waitcnt vmcnt(0)
	v_cmpx_lt_i16_e32 0x7f, v9
	s_xor_b32 s14, exec_lo, s14
	s_cbranch_execz .LBB537_1249
; %bb.1230:
	s_mov_b32 s12, -1
	s_mov_b32 s15, exec_lo
                                        ; implicit-def: $sgpr13
	v_cmpx_eq_u16_e32 0x80, v9
; %bb.1231:
	s_mov_b32 s13, 0x7f800001
	s_xor_b32 s12, exec_lo, -1
; %bb.1232:
	s_or_b32 exec_lo, exec_lo, s15
	s_delay_alu instid0(SALU_CYCLE_1)
	s_and_b32 s12, s12, exec_lo
	s_or_saveexec_b32 s14, s14
	v_mov_b32_e32 v10, s13
	s_xor_b32 exec_lo, exec_lo, s14
	s_cbranch_execnz .LBB537_1250
.LBB537_1233:
	s_or_b32 exec_lo, exec_lo, s14
	s_and_saveexec_b32 s13, s12
	s_cbranch_execz .LBB537_1235
.LBB537_1234:
	v_and_b32_e32 v10, 0xffff, v9
	v_lshlrev_b32_e32 v9, 24, v9
	s_delay_alu instid0(VALU_DEP_2) | instskip(NEXT) | instid1(VALU_DEP_2)
	v_and_b32_e32 v11, 7, v10
	v_and_b32_e32 v9, 0x80000000, v9
	s_delay_alu instid0(VALU_DEP_2) | instskip(NEXT) | instid1(VALU_DEP_1)
	v_clz_i32_u32_e32 v12, v11
	v_min_u32_e32 v12, 32, v12
	s_delay_alu instid0(VALU_DEP_1) | instskip(SKIP_1) | instid1(VALU_DEP_2)
	v_subrev_nc_u32_e32 v13, 28, v12
	v_sub_nc_u32_e32 v12, 29, v12
	v_lshlrev_b32_e32 v13, v13, v10
	v_bfe_u32 v10, v10, 3, 4
	s_delay_alu instid0(VALU_DEP_2) | instskip(NEXT) | instid1(VALU_DEP_2)
	v_and_b32_e32 v13, 7, v13
	v_cmp_eq_u32_e32 vcc_lo, 0, v10
	s_delay_alu instid0(VALU_DEP_2) | instskip(NEXT) | instid1(VALU_DEP_1)
	v_dual_cndmask_b32 v10, v10, v12 :: v_dual_cndmask_b32 v11, v11, v13
	v_lshl_add_u32 v10, v10, 23, 0x3b800000
	s_delay_alu instid0(VALU_DEP_2) | instskip(NEXT) | instid1(VALU_DEP_1)
	v_lshlrev_b32_e32 v11, 20, v11
	v_or3_b32 v10, v9, v10, v11
.LBB537_1235:
	s_or_b32 exec_lo, exec_lo, s13
	s_delay_alu instid0(VALU_DEP_1) | instskip(SKIP_1) | instid1(VALU_DEP_2)
	v_bfe_u32 v9, v10, 16, 1
	v_cmp_o_f32_e32 vcc_lo, v10, v10
	v_add3_u32 v9, v10, v9, 0x7fff
	s_delay_alu instid0(VALU_DEP_1) | instskip(NEXT) | instid1(VALU_DEP_1)
	v_lshrrev_b32_e32 v9, 16, v9
	v_cndmask_b32_e32 v9, 0x7fc0, v9, vcc_lo
.LBB537_1236:
	s_mov_b32 s12, -1
.LBB537_1237:
	s_branch .LBB537_1269
.LBB537_1238:
	v_cmp_gt_i16_e64 s11, s10, 22
	s_delay_alu instid0(VALU_DEP_1)
	s_and_b32 vcc_lo, exec_lo, s11
	s_cbranch_vccz .LBB537_1248
; %bb.1239:
	v_cmp_lt_i16_e64 s11, s10, 24
	s_delay_alu instid0(VALU_DEP_1)
	s_and_b32 vcc_lo, exec_lo, s11
	s_cbranch_vccnz .LBB537_1251
; %bb.1240:
	v_cmp_gt_i16_e64 s11, s10, 24
	s_delay_alu instid0(VALU_DEP_1)
	s_and_b32 vcc_lo, exec_lo, s11
	s_cbranch_vccz .LBB537_1252
; %bb.1241:
	global_load_u8 v9, v[7:8], off
	s_mov_b32 s11, 0
	s_mov_b32 s13, exec_lo
                                        ; implicit-def: $sgpr12
	s_waitcnt vmcnt(0)
	v_cmpx_lt_i16_e32 0x7f, v9
	s_xor_b32 s13, exec_lo, s13
	s_cbranch_execz .LBB537_1263
; %bb.1242:
	s_mov_b32 s11, -1
	s_mov_b32 s14, exec_lo
                                        ; implicit-def: $sgpr12
	v_cmpx_eq_u16_e32 0x80, v9
; %bb.1243:
	s_mov_b32 s12, 0x7f800001
	s_xor_b32 s11, exec_lo, -1
; %bb.1244:
	s_or_b32 exec_lo, exec_lo, s14
	s_delay_alu instid0(SALU_CYCLE_1)
	s_and_b32 s11, s11, exec_lo
	s_or_saveexec_b32 s13, s13
	v_mov_b32_e32 v10, s12
	s_xor_b32 exec_lo, exec_lo, s13
	s_cbranch_execnz .LBB537_1264
.LBB537_1245:
	s_or_b32 exec_lo, exec_lo, s13
	s_and_saveexec_b32 s12, s11
	s_cbranch_execz .LBB537_1247
.LBB537_1246:
	v_and_b32_e32 v10, 0xffff, v9
	v_lshlrev_b32_e32 v9, 24, v9
	s_delay_alu instid0(VALU_DEP_2) | instskip(NEXT) | instid1(VALU_DEP_2)
	v_and_b32_e32 v11, 3, v10
	v_and_b32_e32 v9, 0x80000000, v9
	s_delay_alu instid0(VALU_DEP_2) | instskip(NEXT) | instid1(VALU_DEP_1)
	v_clz_i32_u32_e32 v12, v11
	v_min_u32_e32 v12, 32, v12
	s_delay_alu instid0(VALU_DEP_1) | instskip(SKIP_1) | instid1(VALU_DEP_2)
	v_subrev_nc_u32_e32 v13, 29, v12
	v_sub_nc_u32_e32 v12, 30, v12
	v_lshlrev_b32_e32 v13, v13, v10
	v_bfe_u32 v10, v10, 2, 5
	s_delay_alu instid0(VALU_DEP_2) | instskip(NEXT) | instid1(VALU_DEP_2)
	v_and_b32_e32 v13, 3, v13
	v_cmp_eq_u32_e32 vcc_lo, 0, v10
	s_delay_alu instid0(VALU_DEP_2) | instskip(NEXT) | instid1(VALU_DEP_1)
	v_dual_cndmask_b32 v10, v10, v12 :: v_dual_cndmask_b32 v11, v11, v13
	v_lshl_add_u32 v10, v10, 23, 0x37800000
	s_delay_alu instid0(VALU_DEP_2) | instskip(NEXT) | instid1(VALU_DEP_1)
	v_lshlrev_b32_e32 v11, 21, v11
	v_or3_b32 v10, v9, v10, v11
.LBB537_1247:
	s_or_b32 exec_lo, exec_lo, s12
	s_delay_alu instid0(VALU_DEP_1) | instskip(SKIP_2) | instid1(VALU_DEP_2)
	v_bfe_u32 v9, v10, 16, 1
	v_cmp_o_f32_e32 vcc_lo, v10, v10
	s_mov_b32 s11, 0
	v_add3_u32 v9, v10, v9, 0x7fff
	s_delay_alu instid0(VALU_DEP_1) | instskip(NEXT) | instid1(VALU_DEP_1)
	v_lshrrev_b32_e32 v9, 16, v9
	v_cndmask_b32_e32 v9, 0x7fc0, v9, vcc_lo
	s_branch .LBB537_1253
.LBB537_1248:
                                        ; implicit-def: $vgpr9
	s_mov_b32 s11, 0
	s_branch .LBB537_1259
.LBB537_1249:
	s_or_saveexec_b32 s14, s14
	v_mov_b32_e32 v10, s13
	s_xor_b32 exec_lo, exec_lo, s14
	s_cbranch_execz .LBB537_1233
.LBB537_1250:
	v_cmp_ne_u16_e32 vcc_lo, 0, v9
	v_mov_b32_e32 v10, 0
	s_and_not1_b32 s12, s12, exec_lo
	s_and_b32 s13, vcc_lo, exec_lo
	s_delay_alu instid0(SALU_CYCLE_1)
	s_or_b32 s12, s12, s13
	s_or_b32 exec_lo, exec_lo, s14
	s_and_saveexec_b32 s13, s12
	s_cbranch_execnz .LBB537_1234
	s_branch .LBB537_1235
.LBB537_1251:
	s_mov_b32 s11, -1
                                        ; implicit-def: $vgpr9
	s_branch .LBB537_1256
.LBB537_1252:
	s_mov_b32 s11, -1
                                        ; implicit-def: $vgpr9
.LBB537_1253:
	s_delay_alu instid0(SALU_CYCLE_1)
	s_and_b32 vcc_lo, exec_lo, s11
	s_cbranch_vccz .LBB537_1255
; %bb.1254:
	global_load_u8 v9, v[7:8], off
	s_waitcnt vmcnt(0)
	v_lshlrev_b32_e32 v9, 24, v9
	s_delay_alu instid0(VALU_DEP_1) | instskip(NEXT) | instid1(VALU_DEP_1)
	v_and_b32_e32 v10, 0x7f000000, v9
	v_clz_i32_u32_e32 v11, v10
	v_add_nc_u32_e32 v13, 0x1000000, v10
	v_cmp_ne_u32_e32 vcc_lo, 0, v10
	s_delay_alu instid0(VALU_DEP_3) | instskip(NEXT) | instid1(VALU_DEP_1)
	v_min_u32_e32 v11, 32, v11
	v_sub_nc_u32_e64 v11, v11, 4 clamp
	s_delay_alu instid0(VALU_DEP_1) | instskip(SKIP_1) | instid1(VALU_DEP_2)
	v_lshlrev_b32_e32 v12, v11, v10
	v_lshlrev_b32_e32 v11, 23, v11
	v_lshrrev_b32_e32 v12, 4, v12
	s_delay_alu instid0(VALU_DEP_1) | instskip(SKIP_1) | instid1(VALU_DEP_2)
	v_sub_nc_u32_e32 v11, v12, v11
	v_ashrrev_i32_e32 v12, 8, v13
	v_add_nc_u32_e32 v11, 0x3c000000, v11
	s_delay_alu instid0(VALU_DEP_1) | instskip(NEXT) | instid1(VALU_DEP_1)
	v_and_or_b32 v11, 0x7f800000, v12, v11
	v_cndmask_b32_e32 v10, 0, v11, vcc_lo
	s_delay_alu instid0(VALU_DEP_1) | instskip(SKIP_1) | instid1(VALU_DEP_2)
	v_and_or_b32 v9, 0x80000000, v9, v10
	v_bfe_u32 v10, v10, 16, 1
	v_cmp_o_f32_e32 vcc_lo, v9, v9
	s_delay_alu instid0(VALU_DEP_2) | instskip(NEXT) | instid1(VALU_DEP_1)
	v_add3_u32 v10, v9, v10, 0x7fff
	v_lshrrev_b32_e32 v10, 16, v10
	s_delay_alu instid0(VALU_DEP_1)
	v_cndmask_b32_e32 v9, 0x7fc0, v10, vcc_lo
.LBB537_1255:
	s_mov_b32 s11, 0
.LBB537_1256:
	s_delay_alu instid0(SALU_CYCLE_1)
	s_and_not1_b32 vcc_lo, exec_lo, s11
	s_cbranch_vccnz .LBB537_1258
; %bb.1257:
	global_load_u8 v9, v[7:8], off
	s_waitcnt vmcnt(0)
	v_lshlrev_b32_e32 v10, 25, v9
	v_lshlrev_b16 v9, 8, v9
	s_delay_alu instid0(VALU_DEP_2) | instskip(NEXT) | instid1(VALU_DEP_2)
	v_lshrrev_b32_e32 v11, 4, v10
	v_and_or_b32 v12, 0x7f00, v9, 0.5
	v_bfe_i32 v9, v9, 0, 16
	s_delay_alu instid0(VALU_DEP_3) | instskip(NEXT) | instid1(VALU_DEP_1)
	v_or_b32_e32 v11, 0x70000000, v11
	v_dual_add_f32 v12, -0.5, v12 :: v_dual_mul_f32 v11, 0x7800000, v11
	v_cmp_gt_u32_e32 vcc_lo, 0x8000000, v10
	s_delay_alu instid0(VALU_DEP_2) | instskip(NEXT) | instid1(VALU_DEP_1)
	v_cndmask_b32_e32 v10, v11, v12, vcc_lo
	v_and_or_b32 v9, 0x80000000, v9, v10
	v_bfe_u32 v10, v10, 16, 1
	s_delay_alu instid0(VALU_DEP_2) | instskip(NEXT) | instid1(VALU_DEP_2)
	v_cmp_o_f32_e32 vcc_lo, v9, v9
	v_add3_u32 v10, v9, v10, 0x7fff
	s_delay_alu instid0(VALU_DEP_1) | instskip(NEXT) | instid1(VALU_DEP_1)
	v_lshrrev_b32_e32 v10, 16, v10
	v_cndmask_b32_e32 v9, 0x7fc0, v10, vcc_lo
.LBB537_1258:
	s_mov_b32 s12, -1
	s_mov_b32 s11, 0
	s_cbranch_execnz .LBB537_1269
.LBB537_1259:
	v_cmp_gt_i16_e64 s11, s10, 14
	s_delay_alu instid0(VALU_DEP_1)
	s_and_b32 vcc_lo, exec_lo, s11
	s_cbranch_vccz .LBB537_1262
; %bb.1260:
	v_cmp_eq_u16_e64 s2, s10, 15
	s_delay_alu instid0(VALU_DEP_1)
	s_and_b32 vcc_lo, exec_lo, s2
	s_cbranch_vccz .LBB537_1265
; %bb.1261:
	global_load_u16 v9, v[7:8], off
	s_mov_b32 s2, 0
	s_mov_b32 s12, -1
	s_branch .LBB537_1266
.LBB537_1262:
	s_mov_b32 s11, -1
                                        ; implicit-def: $vgpr9
	s_branch .LBB537_1267
.LBB537_1263:
	s_or_saveexec_b32 s13, s13
	v_mov_b32_e32 v10, s12
	s_xor_b32 exec_lo, exec_lo, s13
	s_cbranch_execz .LBB537_1245
.LBB537_1264:
	v_cmp_ne_u16_e32 vcc_lo, 0, v9
	v_mov_b32_e32 v10, 0
	s_and_not1_b32 s11, s11, exec_lo
	s_and_b32 s12, vcc_lo, exec_lo
	s_delay_alu instid0(SALU_CYCLE_1)
	s_or_b32 s11, s11, s12
	s_or_b32 exec_lo, exec_lo, s13
	s_and_saveexec_b32 s12, s11
	s_cbranch_execnz .LBB537_1246
	s_branch .LBB537_1247
.LBB537_1265:
	s_mov_b32 s2, -1
                                        ; implicit-def: $vgpr9
.LBB537_1266:
	s_mov_b32 s11, 0
.LBB537_1267:
	s_delay_alu instid0(SALU_CYCLE_1)
	s_and_b32 vcc_lo, exec_lo, s11
	s_mov_b32 s11, 0
	s_cbranch_vccz .LBB537_1269
; %bb.1268:
	v_cmp_ne_u16_e64 s2, s10, 11
	s_mov_b32 s11, -1
                                        ; implicit-def: $vgpr9
.LBB537_1269:
	s_delay_alu instid0(VALU_DEP_1)
	s_and_b32 vcc_lo, exec_lo, s2
	s_mov_b32 s2, s8
	s_cbranch_vccnz .LBB537_1297
; %bb.1270:
	s_and_not1_b32 vcc_lo, exec_lo, s11
	s_cbranch_vccnz .LBB537_1272
.LBB537_1271:
	global_load_u8 v9, v[7:8], off
	s_mov_b32 s12, -1
	s_waitcnt vmcnt(0)
	v_cmp_ne_u16_e32 vcc_lo, 0, v9
	v_cndmask_b32_e64 v9, 0, 1.0, vcc_lo
	s_delay_alu instid0(VALU_DEP_1)
	v_lshrrev_b32_e32 v9, 16, v9
.LBB537_1272:
.LBB537_1273:
	s_and_not1_b32 vcc_lo, exec_lo, s12
	s_cbranch_vccnz .LBB537_2122
.LBB537_1274:
	s_load_b32 s11, s[16:17], 0x158
	s_waitcnt vmcnt(0)
	s_delay_alu instid0(VALU_DEP_1) | instskip(SKIP_3) | instid1(VALU_DEP_2)
	v_lshlrev_b32_e32 v7, 16, v9
	s_mov_b32 s12, exec_lo
	s_waitcnt lgkmcnt(0)
	v_mov_b32_e32 v8, s11
	v_cmpx_o_f32_e32 v7, v7
	s_cbranch_execz .LBB537_1278
; %bb.1275:
	s_load_b32 s13, s[0:1], 0x160
	s_waitcnt lgkmcnt(0)
	s_lshr_b32 s13, s13, 16
	s_delay_alu instid0(SALU_CYCLE_1)
	v_mov_b32_e32 v8, s13
	s_mov_b32 s13, exec_lo
	v_cmpx_neq_f32_e32 0x7f800000, v7
	s_cbranch_execz .LBB537_1277
; %bb.1276:
	s_load_b32 s14, s[16:17], 0x15c
	v_cmp_eq_f32_e32 vcc_lo, 0xff800000, v7
	s_waitcnt lgkmcnt(0)
	v_cndmask_b32_e64 v8, v9, s14, vcc_lo
.LBB537_1277:
	s_or_b32 exec_lo, exec_lo, s13
.LBB537_1278:
	s_delay_alu instid0(SALU_CYCLE_1) | instskip(SKIP_2) | instid1(VALU_DEP_1)
	s_or_b32 exec_lo, exec_lo, s12
	v_cmp_lt_i16_e64 s12, s10, 11
	v_add_co_u32 v6, s13, s6, v6
	v_add_co_ci_u32_e64 v7, null, s7, 0, s13
	s_delay_alu instid0(VALU_DEP_3)
	s_and_b32 vcc_lo, exec_lo, s12
	s_mov_b32 s14, 0
	s_cbranch_vccnz .LBB537_1285
; %bb.1279:
	v_cmp_gt_i16_e64 s12, s10, 25
	s_mov_b32 s13, 0
	s_delay_alu instid0(VALU_DEP_1)
	s_and_b32 vcc_lo, exec_lo, s12
	s_cbranch_vccz .LBB537_1291
; %bb.1280:
	v_cmp_gt_i16_e64 s12, s10, 28
	s_delay_alu instid0(VALU_DEP_1)
	s_and_b32 vcc_lo, exec_lo, s12
	s_cbranch_vccz .LBB537_1293
; %bb.1281:
	v_cmp_gt_i16_e64 s12, s10, 43
	s_delay_alu instid0(VALU_DEP_1)
	s_and_b32 vcc_lo, exec_lo, s12
	s_cbranch_vccz .LBB537_1295
; %bb.1282:
	v_cmp_gt_i16_e64 s12, s10, 45
	s_delay_alu instid0(VALU_DEP_1)
	s_and_b32 vcc_lo, exec_lo, s12
	s_cbranch_vccz .LBB537_1301
; %bb.1283:
	v_cmp_eq_u16_e64 s12, s10, 46
	s_mov_b32 s15, 0
	s_delay_alu instid0(VALU_DEP_1)
	s_and_b32 vcc_lo, exec_lo, s12
	s_cbranch_vccz .LBB537_1345
; %bb.1284:
	global_load_b32 v9, v[6:7], off
	s_mov_b32 s12, 0
	s_mov_b32 s14, -1
	s_branch .LBB537_1347
.LBB537_1285:
                                        ; implicit-def: $vgpr9
	s_cbranch_execz .LBB537_1412
; %bb.1286:
	v_cmp_lt_i16_e64 s12, s10, 5
	s_delay_alu instid0(VALU_DEP_1)
	s_and_b32 vcc_lo, exec_lo, s12
	s_cbranch_vccnz .LBB537_1292
; %bb.1287:
	v_cmp_lt_i16_e64 s12, s10, 8
	s_delay_alu instid0(VALU_DEP_1)
	s_and_b32 vcc_lo, exec_lo, s12
	s_cbranch_vccnz .LBB537_1294
; %bb.1288:
	v_cmp_lt_i16_e64 s12, s10, 9
	s_delay_alu instid0(VALU_DEP_1)
	s_and_b32 vcc_lo, exec_lo, s12
	s_cbranch_vccnz .LBB537_1296
; %bb.1289:
	v_cmp_gt_i16_e64 s12, s10, 9
	s_delay_alu instid0(VALU_DEP_1)
	s_and_b32 vcc_lo, exec_lo, s12
	s_cbranch_vccz .LBB537_1302
; %bb.1290:
	global_load_b64 v[9:10], v[6:7], off
	s_mov_b32 s12, 0
	s_waitcnt vmcnt(0)
	v_cvt_f32_f64_e32 v9, v[9:10]
	s_delay_alu instid0(VALU_DEP_1) | instskip(SKIP_1) | instid1(VALU_DEP_2)
	v_bfe_u32 v10, v9, 16, 1
	v_cmp_o_f32_e32 vcc_lo, v9, v9
	v_add3_u32 v10, v9, v10, 0x7fff
	s_delay_alu instid0(VALU_DEP_1) | instskip(NEXT) | instid1(VALU_DEP_1)
	v_lshrrev_b32_e32 v10, 16, v10
	v_cndmask_b32_e32 v9, 0x7fc0, v10, vcc_lo
	s_branch .LBB537_1303
.LBB537_1291:
	s_mov_b32 s12, 0
                                        ; implicit-def: $vgpr9
	s_cbranch_execnz .LBB537_1376
	s_branch .LBB537_1408
.LBB537_1292:
                                        ; implicit-def: $vgpr9
	s_branch .LBB537_1321
.LBB537_1293:
	s_mov_b32 s15, -1
	s_mov_b32 s12, 0
                                        ; implicit-def: $vgpr9
	s_branch .LBB537_1357
.LBB537_1294:
	s_mov_b32 s12, -1
                                        ; implicit-def: $vgpr9
	s_branch .LBB537_1309
.LBB537_1295:
	s_mov_b32 s15, -1
	s_mov_b32 s12, 0
                                        ; implicit-def: $vgpr9
	s_branch .LBB537_1352
.LBB537_1296:
	s_mov_b32 s12, -1
                                        ; implicit-def: $vgpr9
	s_branch .LBB537_1306
.LBB537_1297:
	s_cbranch_execnz .LBB537_1341
; %bb.1298:
	s_or_b32 s2, s8, exec_lo
                                        ; implicit-def: $vgpr9
	s_cbranch_execz .LBB537_1271
	s_branch .LBB537_1272
.LBB537_1299:
	s_or_saveexec_b32 s7, s7
                                        ; implicit-def: $sgpr8
	s_delay_alu instid0(SALU_CYCLE_1)
	s_xor_b32 exec_lo, exec_lo, s7
	s_cbranch_execz .LBB537_1003
.LBB537_1300:
	v_add_f32_e64 v5, 0x46000000, |v6|
	s_and_not1_b32 s5, s5, exec_lo
	s_mov_b32 s8, 0
	s_delay_alu instid0(VALU_DEP_1) | instskip(NEXT) | instid1(VALU_DEP_1)
	v_and_b32_e32 v5, 0xff, v5
	v_cmp_ne_u32_e32 vcc_lo, 0, v5
	s_and_b32 s9, vcc_lo, exec_lo
	s_delay_alu instid0(SALU_CYCLE_1)
	s_or_b32 s5, s5, s9
	s_or_b32 exec_lo, exec_lo, s7
	v_mov_b32_e32 v7, s8
	s_and_saveexec_b32 s7, s5
	s_cbranch_execnz .LBB537_1004
	s_branch .LBB537_1005
.LBB537_1301:
	s_mov_b32 s15, -1
	s_mov_b32 s12, 0
	s_branch .LBB537_1346
.LBB537_1302:
	s_mov_b32 s12, -1
                                        ; implicit-def: $vgpr9
.LBB537_1303:
	s_delay_alu instid0(SALU_CYCLE_1)
	s_and_not1_b32 vcc_lo, exec_lo, s12
	s_cbranch_vccnz .LBB537_1305
; %bb.1304:
	global_load_b32 v9, v[6:7], off
	s_waitcnt vmcnt(0)
	v_bfe_u32 v10, v9, 16, 1
	v_cmp_o_f32_e32 vcc_lo, v9, v9
	s_delay_alu instid0(VALU_DEP_2) | instskip(NEXT) | instid1(VALU_DEP_1)
	v_add3_u32 v10, v9, v10, 0x7fff
	v_lshrrev_b32_e32 v10, 16, v10
	s_delay_alu instid0(VALU_DEP_1)
	v_cndmask_b32_e32 v9, 0x7fc0, v10, vcc_lo
.LBB537_1305:
	s_mov_b32 s12, 0
.LBB537_1306:
	s_delay_alu instid0(SALU_CYCLE_1)
	s_and_not1_b32 vcc_lo, exec_lo, s12
	s_cbranch_vccnz .LBB537_1308
; %bb.1307:
	global_load_b32 v9, v[6:7], off
	s_waitcnt vmcnt(0)
	v_cvt_f32_f16_e32 v10, v9
	v_cmp_o_f16_e32 vcc_lo, v9, v9
	s_delay_alu instid0(VALU_DEP_2) | instskip(NEXT) | instid1(VALU_DEP_1)
	v_bfe_u32 v11, v10, 16, 1
	v_add3_u32 v10, v10, v11, 0x7fff
	s_delay_alu instid0(VALU_DEP_1) | instskip(NEXT) | instid1(VALU_DEP_1)
	v_lshrrev_b32_e32 v10, 16, v10
	v_cndmask_b32_e32 v9, 0x7fc0, v10, vcc_lo
.LBB537_1308:
	s_mov_b32 s12, 0
.LBB537_1309:
	s_delay_alu instid0(SALU_CYCLE_1)
	s_and_not1_b32 vcc_lo, exec_lo, s12
	s_cbranch_vccnz .LBB537_1320
; %bb.1310:
	v_cmp_lt_i16_e64 s12, s10, 6
	s_delay_alu instid0(VALU_DEP_1)
	s_and_b32 vcc_lo, exec_lo, s12
	s_cbranch_vccnz .LBB537_1313
; %bb.1311:
	v_cmp_gt_i16_e64 s12, s10, 6
	s_delay_alu instid0(VALU_DEP_1)
	s_and_b32 vcc_lo, exec_lo, s12
	s_cbranch_vccz .LBB537_1314
; %bb.1312:
	global_load_b64 v[9:10], v[6:7], off
	s_mov_b32 s12, 0
	s_waitcnt vmcnt(0)
	v_cvt_f32_f64_e32 v9, v[9:10]
	s_delay_alu instid0(VALU_DEP_1) | instskip(SKIP_1) | instid1(VALU_DEP_2)
	v_bfe_u32 v10, v9, 16, 1
	v_cmp_o_f32_e32 vcc_lo, v9, v9
	v_add3_u32 v10, v9, v10, 0x7fff
	s_delay_alu instid0(VALU_DEP_1) | instskip(NEXT) | instid1(VALU_DEP_1)
	v_lshrrev_b32_e32 v10, 16, v10
	v_cndmask_b32_e32 v9, 0x7fc0, v10, vcc_lo
	s_branch .LBB537_1315
.LBB537_1313:
	s_mov_b32 s12, -1
                                        ; implicit-def: $vgpr9
	s_branch .LBB537_1318
.LBB537_1314:
	s_mov_b32 s12, -1
                                        ; implicit-def: $vgpr9
.LBB537_1315:
	s_delay_alu instid0(SALU_CYCLE_1)
	s_and_not1_b32 vcc_lo, exec_lo, s12
	s_cbranch_vccnz .LBB537_1317
; %bb.1316:
	global_load_b32 v9, v[6:7], off
	s_waitcnt vmcnt(0)
	v_bfe_u32 v10, v9, 16, 1
	v_cmp_o_f32_e32 vcc_lo, v9, v9
	s_delay_alu instid0(VALU_DEP_2) | instskip(NEXT) | instid1(VALU_DEP_1)
	v_add3_u32 v10, v9, v10, 0x7fff
	v_lshrrev_b32_e32 v10, 16, v10
	s_delay_alu instid0(VALU_DEP_1)
	v_cndmask_b32_e32 v9, 0x7fc0, v10, vcc_lo
.LBB537_1317:
	s_mov_b32 s12, 0
.LBB537_1318:
	s_delay_alu instid0(SALU_CYCLE_1)
	s_and_not1_b32 vcc_lo, exec_lo, s12
	s_cbranch_vccnz .LBB537_1320
; %bb.1319:
	global_load_u16 v9, v[6:7], off
	s_waitcnt vmcnt(0)
	v_cvt_f32_f16_e32 v10, v9
	v_cmp_o_f16_e32 vcc_lo, v9, v9
	s_delay_alu instid0(VALU_DEP_2) | instskip(NEXT) | instid1(VALU_DEP_1)
	v_bfe_u32 v11, v10, 16, 1
	v_add3_u32 v10, v10, v11, 0x7fff
	s_delay_alu instid0(VALU_DEP_1) | instskip(NEXT) | instid1(VALU_DEP_1)
	v_lshrrev_b32_e32 v10, 16, v10
	v_cndmask_b32_e32 v9, 0x7fc0, v10, vcc_lo
.LBB537_1320:
	s_cbranch_execnz .LBB537_1340
.LBB537_1321:
	v_cmp_lt_i16_e64 s12, s10, 2
	s_delay_alu instid0(VALU_DEP_1)
	s_and_b32 vcc_lo, exec_lo, s12
	s_cbranch_vccnz .LBB537_1325
; %bb.1322:
	v_cmp_lt_i16_e64 s12, s10, 3
	s_delay_alu instid0(VALU_DEP_1)
	s_and_b32 vcc_lo, exec_lo, s12
	s_cbranch_vccnz .LBB537_1326
; %bb.1323:
	v_cmp_gt_i16_e64 s12, s10, 3
	s_delay_alu instid0(VALU_DEP_1)
	s_and_b32 vcc_lo, exec_lo, s12
	s_cbranch_vccz .LBB537_1327
; %bb.1324:
	global_load_b64 v[9:10], v[6:7], off
	s_mov_b32 s12, 0
	s_waitcnt vmcnt(0)
	v_xor_b32_e32 v11, v9, v10
	v_cls_i32_e32 v12, v10
	s_delay_alu instid0(VALU_DEP_2) | instskip(NEXT) | instid1(VALU_DEP_2)
	v_ashrrev_i32_e32 v11, 31, v11
	v_add_nc_u32_e32 v12, -1, v12
	s_delay_alu instid0(VALU_DEP_2) | instskip(NEXT) | instid1(VALU_DEP_1)
	v_add_nc_u32_e32 v11, 32, v11
	v_min_u32_e32 v11, v12, v11
	s_delay_alu instid0(VALU_DEP_1) | instskip(NEXT) | instid1(VALU_DEP_1)
	v_lshlrev_b64 v[9:10], v11, v[9:10]
	v_min_u32_e32 v9, 1, v9
	s_delay_alu instid0(VALU_DEP_1) | instskip(SKIP_1) | instid1(VALU_DEP_2)
	v_or_b32_e32 v9, v10, v9
	v_sub_nc_u32_e32 v10, 32, v11
	v_cvt_f32_i32_e32 v9, v9
	s_delay_alu instid0(VALU_DEP_1) | instskip(NEXT) | instid1(VALU_DEP_1)
	v_ldexp_f32 v9, v9, v10
	v_bfe_u32 v10, v9, 16, 1
	s_delay_alu instid0(VALU_DEP_1) | instskip(NEXT) | instid1(VALU_DEP_1)
	v_add3_u32 v9, v9, v10, 0x7fff
	v_lshrrev_b32_e32 v9, 16, v9
	s_branch .LBB537_1328
.LBB537_1325:
	s_mov_b32 s12, -1
                                        ; implicit-def: $vgpr9
	s_branch .LBB537_1334
.LBB537_1326:
	s_mov_b32 s12, -1
                                        ; implicit-def: $vgpr9
	s_branch .LBB537_1331
.LBB537_1327:
	s_mov_b32 s12, -1
                                        ; implicit-def: $vgpr9
.LBB537_1328:
	s_delay_alu instid0(SALU_CYCLE_1)
	s_and_not1_b32 vcc_lo, exec_lo, s12
	s_cbranch_vccnz .LBB537_1330
; %bb.1329:
	global_load_b32 v9, v[6:7], off
	s_waitcnt vmcnt(0)
	v_cvt_f32_i32_e32 v9, v9
	s_delay_alu instid0(VALU_DEP_1) | instskip(NEXT) | instid1(VALU_DEP_1)
	v_bfe_u32 v10, v9, 16, 1
	v_add3_u32 v9, v9, v10, 0x7fff
	s_delay_alu instid0(VALU_DEP_1)
	v_lshrrev_b32_e32 v9, 16, v9
.LBB537_1330:
	s_mov_b32 s12, 0
.LBB537_1331:
	s_delay_alu instid0(SALU_CYCLE_1)
	s_and_not1_b32 vcc_lo, exec_lo, s12
	s_cbranch_vccnz .LBB537_1333
; %bb.1332:
	global_load_i16 v9, v[6:7], off
	s_waitcnt vmcnt(0)
	v_cvt_f32_i32_e32 v9, v9
	s_delay_alu instid0(VALU_DEP_1) | instskip(NEXT) | instid1(VALU_DEP_1)
	v_bfe_u32 v10, v9, 16, 1
	v_add3_u32 v9, v9, v10, 0x7fff
	s_delay_alu instid0(VALU_DEP_1)
	v_lshrrev_b32_e32 v9, 16, v9
.LBB537_1333:
	s_mov_b32 s12, 0
.LBB537_1334:
	s_delay_alu instid0(SALU_CYCLE_1)
	s_and_not1_b32 vcc_lo, exec_lo, s12
	s_cbranch_vccnz .LBB537_1340
; %bb.1335:
	v_cmp_gt_i16_e64 s12, s10, 0
	s_delay_alu instid0(VALU_DEP_1)
	s_and_b32 vcc_lo, exec_lo, s12
	s_mov_b32 s12, 0
	s_cbranch_vccz .LBB537_1337
; %bb.1336:
	global_load_i8 v9, v[6:7], off
	s_waitcnt vmcnt(0)
	v_cvt_f32_i32_e32 v9, v9
	s_delay_alu instid0(VALU_DEP_1) | instskip(NEXT) | instid1(VALU_DEP_1)
	v_bfe_u32 v10, v9, 16, 1
	v_add3_u32 v9, v9, v10, 0x7fff
	s_delay_alu instid0(VALU_DEP_1)
	v_lshrrev_b32_e32 v9, 16, v9
	s_branch .LBB537_1338
.LBB537_1337:
	s_mov_b32 s12, -1
                                        ; implicit-def: $vgpr9
.LBB537_1338:
	s_delay_alu instid0(SALU_CYCLE_1)
	s_and_not1_b32 vcc_lo, exec_lo, s12
	s_cbranch_vccnz .LBB537_1340
; %bb.1339:
	global_load_u8 v6, v[6:7], off
	s_waitcnt vmcnt(0)
	v_cvt_f32_ubyte0_e32 v6, v6
	s_delay_alu instid0(VALU_DEP_1) | instskip(NEXT) | instid1(VALU_DEP_1)
	v_bfe_u32 v7, v6, 16, 1
	v_add3_u32 v6, v6, v7, 0x7fff
	s_delay_alu instid0(VALU_DEP_1)
	v_lshrrev_b32_e32 v9, 16, v6
.LBB537_1340:
	s_branch .LBB537_1413
.LBB537_1341:
	s_trap 2
	s_sendmsg_rtn_b32 s0, sendmsg(MSG_RTN_GET_DOORBELL)
	s_mov_b32 ttmp2, m0
	s_waitcnt lgkmcnt(0)
	s_and_b32 s0, s0, 0x3ff
	s_delay_alu instid0(SALU_CYCLE_1) | instskip(NEXT) | instid1(SALU_CYCLE_1)
	s_bitset1_b32 s0, 10
	s_mov_b32 m0, s0
	s_sendmsg sendmsg(MSG_INTERRUPT)
	s_mov_b32 m0, ttmp2
.LBB537_1342:                           ; =>This Inner Loop Header: Depth=1
	s_sethalt 5
	s_branch .LBB537_1342
.LBB537_1343:
	s_or_saveexec_b32 s8, s8
                                        ; implicit-def: $sgpr9
	s_delay_alu instid0(SALU_CYCLE_1)
	s_xor_b32 exec_lo, exec_lo, s8
	s_cbranch_execz .LBB537_1015
.LBB537_1344:
	v_add_f32_e64 v5, 0x42800000, |v6|
	s_and_not1_b32 s7, s7, exec_lo
	s_mov_b32 s9, 0
	s_delay_alu instid0(VALU_DEP_1) | instskip(NEXT) | instid1(VALU_DEP_1)
	v_and_b32_e32 v5, 0xff, v5
	v_cmp_ne_u32_e32 vcc_lo, 0, v5
	s_and_b32 s10, vcc_lo, exec_lo
	s_delay_alu instid0(SALU_CYCLE_1)
	s_or_b32 s7, s7, s10
	s_or_b32 exec_lo, exec_lo, s8
	v_mov_b32_e32 v7, s9
	s_and_saveexec_b32 s8, s7
	s_cbranch_execnz .LBB537_1016
	s_branch .LBB537_1017
.LBB537_1345:
	s_mov_b32 s12, -1
.LBB537_1346:
                                        ; implicit-def: $vgpr9
.LBB537_1347:
	s_and_b32 vcc_lo, exec_lo, s15
	s_cbranch_vccz .LBB537_1351
; %bb.1348:
	v_cmp_eq_u16_e64 s12, s10, 44
	s_delay_alu instid0(VALU_DEP_1)
	s_and_b32 vcc_lo, exec_lo, s12
	s_cbranch_vccz .LBB537_1350
; %bb.1349:
	global_load_u8 v9, v[6:7], off
	s_mov_b32 s12, 0
	s_mov_b32 s14, -1
	s_waitcnt vmcnt(0)
	v_lshlrev_b32_e32 v10, 23, v9
	v_cmp_ne_u32_e32 vcc_lo, 0xff, v9
	s_delay_alu instid0(VALU_DEP_2) | instskip(SKIP_1) | instid1(VALU_DEP_2)
	v_cndmask_b32_e32 v10, 0x7f800001, v10, vcc_lo
	v_cmp_ne_u32_e32 vcc_lo, 0, v9
	v_cndmask_b32_e32 v9, 0x400000, v10, vcc_lo
	s_delay_alu instid0(VALU_DEP_1) | instskip(SKIP_1) | instid1(VALU_DEP_2)
	v_add_nc_u32_e32 v10, 0x7fff, v9
	v_cmp_o_f32_e32 vcc_lo, v9, v9
	v_lshrrev_b32_e32 v10, 16, v10
	s_delay_alu instid0(VALU_DEP_1)
	v_cndmask_b32_e32 v9, 0x7fc0, v10, vcc_lo
	s_branch .LBB537_1351
.LBB537_1350:
	s_mov_b32 s12, -1
                                        ; implicit-def: $vgpr9
.LBB537_1351:
	s_mov_b32 s15, 0
.LBB537_1352:
	s_delay_alu instid0(SALU_CYCLE_1)
	s_and_b32 vcc_lo, exec_lo, s15
	s_cbranch_vccz .LBB537_1356
; %bb.1353:
	v_cmp_eq_u16_e64 s12, s10, 29
	s_delay_alu instid0(VALU_DEP_1)
	s_and_b32 vcc_lo, exec_lo, s12
	s_cbranch_vccz .LBB537_1355
; %bb.1354:
	global_load_b64 v[9:10], v[6:7], off
	s_mov_b32 s12, 0
	s_mov_b32 s14, -1
	s_mov_b32 s15, 0
	s_waitcnt vmcnt(0)
	v_clz_i32_u32_e32 v11, v10
	s_delay_alu instid0(VALU_DEP_1) | instskip(NEXT) | instid1(VALU_DEP_1)
	v_min_u32_e32 v11, 32, v11
	v_lshlrev_b64 v[9:10], v11, v[9:10]
	s_delay_alu instid0(VALU_DEP_1) | instskip(NEXT) | instid1(VALU_DEP_1)
	v_min_u32_e32 v9, 1, v9
	v_or_b32_e32 v9, v10, v9
	v_sub_nc_u32_e32 v10, 32, v11
	s_delay_alu instid0(VALU_DEP_2) | instskip(NEXT) | instid1(VALU_DEP_1)
	v_cvt_f32_u32_e32 v9, v9
	v_ldexp_f32 v9, v9, v10
	s_delay_alu instid0(VALU_DEP_1) | instskip(NEXT) | instid1(VALU_DEP_1)
	v_bfe_u32 v10, v9, 16, 1
	v_add3_u32 v9, v9, v10, 0x7fff
	s_delay_alu instid0(VALU_DEP_1)
	v_lshrrev_b32_e32 v9, 16, v9
	s_branch .LBB537_1357
.LBB537_1355:
	s_mov_b32 s12, -1
                                        ; implicit-def: $vgpr9
.LBB537_1356:
	s_mov_b32 s15, 0
.LBB537_1357:
	s_delay_alu instid0(SALU_CYCLE_1)
	s_and_b32 vcc_lo, exec_lo, s15
	s_cbranch_vccz .LBB537_1375
; %bb.1358:
	v_cmp_lt_i16_e64 s14, s10, 27
	s_delay_alu instid0(VALU_DEP_1)
	s_and_b32 vcc_lo, exec_lo, s14
	s_cbranch_vccnz .LBB537_1361
; %bb.1359:
	v_cmp_gt_i16_e64 s14, s10, 27
	s_delay_alu instid0(VALU_DEP_1)
	s_and_b32 vcc_lo, exec_lo, s14
	s_cbranch_vccz .LBB537_1362
; %bb.1360:
	global_load_b32 v9, v[6:7], off
	s_mov_b32 s14, 0
	s_waitcnt vmcnt(0)
	v_cvt_f32_u32_e32 v9, v9
	s_delay_alu instid0(VALU_DEP_1) | instskip(NEXT) | instid1(VALU_DEP_1)
	v_bfe_u32 v10, v9, 16, 1
	v_add3_u32 v9, v9, v10, 0x7fff
	s_delay_alu instid0(VALU_DEP_1)
	v_lshrrev_b32_e32 v9, 16, v9
	s_branch .LBB537_1363
.LBB537_1361:
	s_mov_b32 s14, -1
                                        ; implicit-def: $vgpr9
	s_branch .LBB537_1366
.LBB537_1362:
	s_mov_b32 s14, -1
                                        ; implicit-def: $vgpr9
.LBB537_1363:
	s_delay_alu instid0(SALU_CYCLE_1)
	s_and_not1_b32 vcc_lo, exec_lo, s14
	s_cbranch_vccnz .LBB537_1365
; %bb.1364:
	global_load_u16 v9, v[6:7], off
	s_waitcnt vmcnt(0)
	v_cvt_f32_u32_e32 v9, v9
	s_delay_alu instid0(VALU_DEP_1) | instskip(NEXT) | instid1(VALU_DEP_1)
	v_bfe_u32 v10, v9, 16, 1
	v_add3_u32 v9, v9, v10, 0x7fff
	s_delay_alu instid0(VALU_DEP_1)
	v_lshrrev_b32_e32 v9, 16, v9
.LBB537_1365:
	s_mov_b32 s14, 0
.LBB537_1366:
	s_delay_alu instid0(SALU_CYCLE_1)
	s_and_not1_b32 vcc_lo, exec_lo, s14
	s_cbranch_vccnz .LBB537_1374
; %bb.1367:
	global_load_u8 v9, v[6:7], off
	s_mov_b32 s14, 0
	s_mov_b32 s18, exec_lo
                                        ; implicit-def: $sgpr15
	s_waitcnt vmcnt(0)
	v_cmpx_lt_i16_e32 0x7f, v9
	s_xor_b32 s18, exec_lo, s18
	s_cbranch_execz .LBB537_1387
; %bb.1368:
	s_mov_b32 s14, -1
	s_mov_b32 s19, exec_lo
                                        ; implicit-def: $sgpr15
	v_cmpx_eq_u16_e32 0x80, v9
; %bb.1369:
	s_mov_b32 s15, 0x7f800001
	s_xor_b32 s14, exec_lo, -1
; %bb.1370:
	s_or_b32 exec_lo, exec_lo, s19
	s_delay_alu instid0(SALU_CYCLE_1)
	s_and_b32 s14, s14, exec_lo
	s_or_saveexec_b32 s18, s18
	v_mov_b32_e32 v10, s15
	s_xor_b32 exec_lo, exec_lo, s18
	s_cbranch_execnz .LBB537_1388
.LBB537_1371:
	s_or_b32 exec_lo, exec_lo, s18
	s_and_saveexec_b32 s15, s14
	s_cbranch_execz .LBB537_1373
.LBB537_1372:
	v_and_b32_e32 v10, 0xffff, v9
	v_lshlrev_b32_e32 v9, 24, v9
	s_delay_alu instid0(VALU_DEP_2) | instskip(NEXT) | instid1(VALU_DEP_2)
	v_and_b32_e32 v11, 7, v10
	v_and_b32_e32 v9, 0x80000000, v9
	s_delay_alu instid0(VALU_DEP_2) | instskip(NEXT) | instid1(VALU_DEP_1)
	v_clz_i32_u32_e32 v12, v11
	v_min_u32_e32 v12, 32, v12
	s_delay_alu instid0(VALU_DEP_1) | instskip(SKIP_1) | instid1(VALU_DEP_2)
	v_subrev_nc_u32_e32 v13, 28, v12
	v_sub_nc_u32_e32 v12, 29, v12
	v_lshlrev_b32_e32 v13, v13, v10
	v_bfe_u32 v10, v10, 3, 4
	s_delay_alu instid0(VALU_DEP_2) | instskip(NEXT) | instid1(VALU_DEP_2)
	v_and_b32_e32 v13, 7, v13
	v_cmp_eq_u32_e32 vcc_lo, 0, v10
	s_delay_alu instid0(VALU_DEP_2) | instskip(NEXT) | instid1(VALU_DEP_1)
	v_dual_cndmask_b32 v10, v10, v12 :: v_dual_cndmask_b32 v11, v11, v13
	v_lshl_add_u32 v10, v10, 23, 0x3b800000
	s_delay_alu instid0(VALU_DEP_2) | instskip(NEXT) | instid1(VALU_DEP_1)
	v_lshlrev_b32_e32 v11, 20, v11
	v_or3_b32 v10, v9, v10, v11
.LBB537_1373:
	s_or_b32 exec_lo, exec_lo, s15
	s_delay_alu instid0(VALU_DEP_1) | instskip(SKIP_1) | instid1(VALU_DEP_2)
	v_bfe_u32 v9, v10, 16, 1
	v_cmp_o_f32_e32 vcc_lo, v10, v10
	v_add3_u32 v9, v10, v9, 0x7fff
	s_delay_alu instid0(VALU_DEP_1) | instskip(NEXT) | instid1(VALU_DEP_1)
	v_lshrrev_b32_e32 v9, 16, v9
	v_cndmask_b32_e32 v9, 0x7fc0, v9, vcc_lo
.LBB537_1374:
	s_mov_b32 s14, -1
.LBB537_1375:
	s_branch .LBB537_1408
.LBB537_1376:
	v_cmp_gt_i16_e64 s13, s10, 22
	s_delay_alu instid0(VALU_DEP_1)
	s_and_b32 vcc_lo, exec_lo, s13
	s_cbranch_vccz .LBB537_1386
; %bb.1377:
	v_cmp_lt_i16_e64 s13, s10, 24
	s_delay_alu instid0(VALU_DEP_1)
	s_and_b32 vcc_lo, exec_lo, s13
	s_cbranch_vccnz .LBB537_1389
; %bb.1378:
	v_cmp_gt_i16_e64 s13, s10, 24
	s_delay_alu instid0(VALU_DEP_1)
	s_and_b32 vcc_lo, exec_lo, s13
	s_cbranch_vccz .LBB537_1390
; %bb.1379:
	global_load_u8 v9, v[6:7], off
	s_mov_b32 s13, 0
	s_mov_b32 s15, exec_lo
                                        ; implicit-def: $sgpr14
	s_waitcnt vmcnt(0)
	v_cmpx_lt_i16_e32 0x7f, v9
	s_xor_b32 s15, exec_lo, s15
	s_cbranch_execz .LBB537_1402
; %bb.1380:
	s_mov_b32 s13, -1
	s_mov_b32 s18, exec_lo
                                        ; implicit-def: $sgpr14
	v_cmpx_eq_u16_e32 0x80, v9
; %bb.1381:
	s_mov_b32 s14, 0x7f800001
	s_xor_b32 s13, exec_lo, -1
; %bb.1382:
	s_or_b32 exec_lo, exec_lo, s18
	s_delay_alu instid0(SALU_CYCLE_1)
	s_and_b32 s13, s13, exec_lo
	s_or_saveexec_b32 s15, s15
	v_mov_b32_e32 v10, s14
	s_xor_b32 exec_lo, exec_lo, s15
	s_cbranch_execnz .LBB537_1403
.LBB537_1383:
	s_or_b32 exec_lo, exec_lo, s15
	s_and_saveexec_b32 s14, s13
	s_cbranch_execz .LBB537_1385
.LBB537_1384:
	v_and_b32_e32 v10, 0xffff, v9
	v_lshlrev_b32_e32 v9, 24, v9
	s_delay_alu instid0(VALU_DEP_2) | instskip(NEXT) | instid1(VALU_DEP_2)
	v_and_b32_e32 v11, 3, v10
	v_and_b32_e32 v9, 0x80000000, v9
	s_delay_alu instid0(VALU_DEP_2) | instskip(NEXT) | instid1(VALU_DEP_1)
	v_clz_i32_u32_e32 v12, v11
	v_min_u32_e32 v12, 32, v12
	s_delay_alu instid0(VALU_DEP_1) | instskip(SKIP_1) | instid1(VALU_DEP_2)
	v_subrev_nc_u32_e32 v13, 29, v12
	v_sub_nc_u32_e32 v12, 30, v12
	v_lshlrev_b32_e32 v13, v13, v10
	v_bfe_u32 v10, v10, 2, 5
	s_delay_alu instid0(VALU_DEP_2) | instskip(NEXT) | instid1(VALU_DEP_2)
	v_and_b32_e32 v13, 3, v13
	v_cmp_eq_u32_e32 vcc_lo, 0, v10
	s_delay_alu instid0(VALU_DEP_2) | instskip(NEXT) | instid1(VALU_DEP_1)
	v_dual_cndmask_b32 v10, v10, v12 :: v_dual_cndmask_b32 v11, v11, v13
	v_lshl_add_u32 v10, v10, 23, 0x37800000
	s_delay_alu instid0(VALU_DEP_2) | instskip(NEXT) | instid1(VALU_DEP_1)
	v_lshlrev_b32_e32 v11, 21, v11
	v_or3_b32 v10, v9, v10, v11
.LBB537_1385:
	s_or_b32 exec_lo, exec_lo, s14
	s_delay_alu instid0(VALU_DEP_1) | instskip(SKIP_2) | instid1(VALU_DEP_2)
	v_bfe_u32 v9, v10, 16, 1
	v_cmp_o_f32_e32 vcc_lo, v10, v10
	s_mov_b32 s13, 0
	v_add3_u32 v9, v10, v9, 0x7fff
	s_delay_alu instid0(VALU_DEP_1) | instskip(NEXT) | instid1(VALU_DEP_1)
	v_lshrrev_b32_e32 v9, 16, v9
	v_cndmask_b32_e32 v9, 0x7fc0, v9, vcc_lo
	s_branch .LBB537_1391
.LBB537_1386:
	s_mov_b32 s13, -1
                                        ; implicit-def: $vgpr9
	s_branch .LBB537_1397
.LBB537_1387:
	s_or_saveexec_b32 s18, s18
	v_mov_b32_e32 v10, s15
	s_xor_b32 exec_lo, exec_lo, s18
	s_cbranch_execz .LBB537_1371
.LBB537_1388:
	v_cmp_ne_u16_e32 vcc_lo, 0, v9
	v_mov_b32_e32 v10, 0
	s_and_not1_b32 s14, s14, exec_lo
	s_and_b32 s15, vcc_lo, exec_lo
	s_delay_alu instid0(SALU_CYCLE_1)
	s_or_b32 s14, s14, s15
	s_or_b32 exec_lo, exec_lo, s18
	s_and_saveexec_b32 s15, s14
	s_cbranch_execnz .LBB537_1372
	s_branch .LBB537_1373
.LBB537_1389:
	s_mov_b32 s13, -1
                                        ; implicit-def: $vgpr9
	s_branch .LBB537_1394
.LBB537_1390:
	s_mov_b32 s13, -1
                                        ; implicit-def: $vgpr9
.LBB537_1391:
	s_delay_alu instid0(SALU_CYCLE_1)
	s_and_b32 vcc_lo, exec_lo, s13
	s_cbranch_vccz .LBB537_1393
; %bb.1392:
	global_load_u8 v9, v[6:7], off
	s_waitcnt vmcnt(0)
	v_lshlrev_b32_e32 v9, 24, v9
	s_delay_alu instid0(VALU_DEP_1) | instskip(NEXT) | instid1(VALU_DEP_1)
	v_and_b32_e32 v10, 0x7f000000, v9
	v_clz_i32_u32_e32 v11, v10
	v_add_nc_u32_e32 v13, 0x1000000, v10
	v_cmp_ne_u32_e32 vcc_lo, 0, v10
	s_delay_alu instid0(VALU_DEP_3) | instskip(NEXT) | instid1(VALU_DEP_1)
	v_min_u32_e32 v11, 32, v11
	v_sub_nc_u32_e64 v11, v11, 4 clamp
	s_delay_alu instid0(VALU_DEP_1) | instskip(SKIP_1) | instid1(VALU_DEP_2)
	v_lshlrev_b32_e32 v12, v11, v10
	v_lshlrev_b32_e32 v11, 23, v11
	v_lshrrev_b32_e32 v12, 4, v12
	s_delay_alu instid0(VALU_DEP_1) | instskip(SKIP_1) | instid1(VALU_DEP_2)
	v_sub_nc_u32_e32 v11, v12, v11
	v_ashrrev_i32_e32 v12, 8, v13
	v_add_nc_u32_e32 v11, 0x3c000000, v11
	s_delay_alu instid0(VALU_DEP_1) | instskip(NEXT) | instid1(VALU_DEP_1)
	v_and_or_b32 v11, 0x7f800000, v12, v11
	v_cndmask_b32_e32 v10, 0, v11, vcc_lo
	s_delay_alu instid0(VALU_DEP_1) | instskip(SKIP_1) | instid1(VALU_DEP_2)
	v_and_or_b32 v9, 0x80000000, v9, v10
	v_bfe_u32 v10, v10, 16, 1
	v_cmp_o_f32_e32 vcc_lo, v9, v9
	s_delay_alu instid0(VALU_DEP_2) | instskip(NEXT) | instid1(VALU_DEP_1)
	v_add3_u32 v10, v9, v10, 0x7fff
	v_lshrrev_b32_e32 v10, 16, v10
	s_delay_alu instid0(VALU_DEP_1)
	v_cndmask_b32_e32 v9, 0x7fc0, v10, vcc_lo
.LBB537_1393:
	s_mov_b32 s13, 0
.LBB537_1394:
	s_delay_alu instid0(SALU_CYCLE_1)
	s_and_not1_b32 vcc_lo, exec_lo, s13
	s_cbranch_vccnz .LBB537_1396
; %bb.1395:
	global_load_u8 v9, v[6:7], off
	s_waitcnt vmcnt(0)
	v_lshlrev_b32_e32 v10, 25, v9
	v_lshlrev_b16 v9, 8, v9
	s_delay_alu instid0(VALU_DEP_2) | instskip(NEXT) | instid1(VALU_DEP_2)
	v_lshrrev_b32_e32 v11, 4, v10
	v_and_or_b32 v12, 0x7f00, v9, 0.5
	v_bfe_i32 v9, v9, 0, 16
	s_delay_alu instid0(VALU_DEP_3) | instskip(NEXT) | instid1(VALU_DEP_1)
	v_or_b32_e32 v11, 0x70000000, v11
	v_dual_add_f32 v12, -0.5, v12 :: v_dual_mul_f32 v11, 0x7800000, v11
	v_cmp_gt_u32_e32 vcc_lo, 0x8000000, v10
	s_delay_alu instid0(VALU_DEP_2) | instskip(NEXT) | instid1(VALU_DEP_1)
	v_cndmask_b32_e32 v10, v11, v12, vcc_lo
	v_and_or_b32 v9, 0x80000000, v9, v10
	v_bfe_u32 v10, v10, 16, 1
	s_delay_alu instid0(VALU_DEP_2) | instskip(NEXT) | instid1(VALU_DEP_2)
	v_cmp_o_f32_e32 vcc_lo, v9, v9
	v_add3_u32 v10, v9, v10, 0x7fff
	s_delay_alu instid0(VALU_DEP_1) | instskip(NEXT) | instid1(VALU_DEP_1)
	v_lshrrev_b32_e32 v10, 16, v10
	v_cndmask_b32_e32 v9, 0x7fc0, v10, vcc_lo
.LBB537_1396:
	s_mov_b32 s13, 0
	s_mov_b32 s14, -1
.LBB537_1397:
	s_and_not1_b32 vcc_lo, exec_lo, s13
	s_mov_b32 s13, 0
	s_cbranch_vccnz .LBB537_1408
; %bb.1398:
	v_cmp_gt_i16_e64 s13, s10, 14
	s_delay_alu instid0(VALU_DEP_1)
	s_and_b32 vcc_lo, exec_lo, s13
	s_cbranch_vccz .LBB537_1401
; %bb.1399:
	v_cmp_eq_u16_e64 s12, s10, 15
	s_delay_alu instid0(VALU_DEP_1)
	s_and_b32 vcc_lo, exec_lo, s12
	s_cbranch_vccz .LBB537_1404
; %bb.1400:
	global_load_u16 v9, v[6:7], off
	s_mov_b32 s12, 0
	s_mov_b32 s14, -1
	s_branch .LBB537_1405
.LBB537_1401:
	s_mov_b32 s13, -1
                                        ; implicit-def: $vgpr9
	s_branch .LBB537_1406
.LBB537_1402:
	s_or_saveexec_b32 s15, s15
	v_mov_b32_e32 v10, s14
	s_xor_b32 exec_lo, exec_lo, s15
	s_cbranch_execz .LBB537_1383
.LBB537_1403:
	v_cmp_ne_u16_e32 vcc_lo, 0, v9
	v_mov_b32_e32 v10, 0
	s_and_not1_b32 s13, s13, exec_lo
	s_and_b32 s14, vcc_lo, exec_lo
	s_delay_alu instid0(SALU_CYCLE_1)
	s_or_b32 s13, s13, s14
	s_or_b32 exec_lo, exec_lo, s15
	s_and_saveexec_b32 s14, s13
	s_cbranch_execnz .LBB537_1384
	s_branch .LBB537_1385
.LBB537_1404:
	s_mov_b32 s12, -1
                                        ; implicit-def: $vgpr9
.LBB537_1405:
	s_mov_b32 s13, 0
.LBB537_1406:
	s_delay_alu instid0(SALU_CYCLE_1)
	s_and_b32 vcc_lo, exec_lo, s13
	s_mov_b32 s13, 0
	s_cbranch_vccz .LBB537_1408
; %bb.1407:
	v_cmp_ne_u16_e64 s12, s10, 11
	s_mov_b32 s13, -1
                                        ; implicit-def: $vgpr9
.LBB537_1408:
	s_delay_alu instid0(VALU_DEP_1)
	s_and_b32 vcc_lo, exec_lo, s12
	s_cbranch_vccnz .LBB537_1436
; %bb.1409:
	s_and_not1_b32 vcc_lo, exec_lo, s13
	s_cbranch_vccnz .LBB537_1411
.LBB537_1410:
	global_load_u8 v9, v[6:7], off
	s_mov_b32 s14, -1
	s_waitcnt vmcnt(0)
	v_cmp_ne_u16_e32 vcc_lo, 0, v9
	v_cndmask_b32_e64 v9, 0, 1.0, vcc_lo
	s_delay_alu instid0(VALU_DEP_1)
	v_lshrrev_b32_e32 v9, 16, v9
.LBB537_1411:
.LBB537_1412:
	s_and_not1_b32 vcc_lo, exec_lo, s14
	s_cbranch_vccnz .LBB537_2122
.LBB537_1413:
	s_waitcnt vmcnt(0)
	s_delay_alu instid0(VALU_DEP_1) | instskip(SKIP_1) | instid1(VALU_DEP_1)
	v_dual_mov_b32 v7, s11 :: v_dual_lshlrev_b32 v6, 16, v9
	s_mov_b32 s12, exec_lo
	v_cmpx_o_f32_e32 v6, v6
	s_cbranch_execz .LBB537_1417
; %bb.1414:
	s_load_b32 s13, s[0:1], 0x160
	s_waitcnt lgkmcnt(0)
	s_lshr_b32 s13, s13, 16
	s_delay_alu instid0(SALU_CYCLE_1)
	v_mov_b32_e32 v7, s13
	s_mov_b32 s13, exec_lo
	v_cmpx_neq_f32_e32 0x7f800000, v6
	s_cbranch_execz .LBB537_1416
; %bb.1415:
	s_load_b32 s14, s[16:17], 0x15c
	v_cmp_eq_f32_e32 vcc_lo, 0xff800000, v6
	s_waitcnt lgkmcnt(0)
	v_cndmask_b32_e64 v7, v9, s14, vcc_lo
.LBB537_1416:
	s_or_b32 exec_lo, exec_lo, s13
.LBB537_1417:
	s_delay_alu instid0(SALU_CYCLE_1) | instskip(SKIP_2) | instid1(VALU_DEP_1)
	s_or_b32 exec_lo, exec_lo, s12
	v_cmp_lt_i16_e64 s12, s10, 11
	v_add_co_u32 v5, s13, s6, v5
	v_add_co_ci_u32_e64 v6, null, s7, 0, s13
	s_delay_alu instid0(VALU_DEP_3)
	s_and_b32 vcc_lo, exec_lo, s12
	s_mov_b32 s14, 0
	s_cbranch_vccnz .LBB537_1424
; %bb.1418:
	v_cmp_gt_i16_e64 s12, s10, 25
	s_mov_b32 s13, 0
	s_delay_alu instid0(VALU_DEP_1)
	s_and_b32 vcc_lo, exec_lo, s12
	s_cbranch_vccz .LBB537_1430
; %bb.1419:
	v_cmp_gt_i16_e64 s12, s10, 28
	s_delay_alu instid0(VALU_DEP_1)
	s_and_b32 vcc_lo, exec_lo, s12
	s_cbranch_vccz .LBB537_1432
; %bb.1420:
	v_cmp_gt_i16_e64 s12, s10, 43
	;; [unrolled: 5-line block ×3, first 2 shown]
	s_delay_alu instid0(VALU_DEP_1)
	s_and_b32 vcc_lo, exec_lo, s12
	s_cbranch_vccz .LBB537_1438
; %bb.1422:
	v_cmp_eq_u16_e64 s12, s10, 46
	s_mov_b32 s15, 0
	s_delay_alu instid0(VALU_DEP_1)
	s_and_b32 vcc_lo, exec_lo, s12
	s_cbranch_vccz .LBB537_1481
; %bb.1423:
	global_load_b32 v9, v[5:6], off
	s_mov_b32 s12, 0
	s_mov_b32 s14, -1
	s_branch .LBB537_1483
.LBB537_1424:
                                        ; implicit-def: $vgpr9
	s_cbranch_execz .LBB537_1549
; %bb.1425:
	v_cmp_lt_i16_e64 s12, s10, 5
	s_delay_alu instid0(VALU_DEP_1)
	s_and_b32 vcc_lo, exec_lo, s12
	s_cbranch_vccnz .LBB537_1431
; %bb.1426:
	v_cmp_lt_i16_e64 s12, s10, 8
	s_delay_alu instid0(VALU_DEP_1)
	s_and_b32 vcc_lo, exec_lo, s12
	s_cbranch_vccnz .LBB537_1433
	;; [unrolled: 5-line block ×3, first 2 shown]
; %bb.1428:
	v_cmp_gt_i16_e64 s12, s10, 9
	s_delay_alu instid0(VALU_DEP_1)
	s_and_b32 vcc_lo, exec_lo, s12
	s_cbranch_vccz .LBB537_1439
; %bb.1429:
	global_load_b64 v[9:10], v[5:6], off
	s_mov_b32 s12, 0
	s_waitcnt vmcnt(0)
	v_cvt_f32_f64_e32 v9, v[9:10]
	s_delay_alu instid0(VALU_DEP_1) | instskip(SKIP_1) | instid1(VALU_DEP_2)
	v_bfe_u32 v10, v9, 16, 1
	v_cmp_o_f32_e32 vcc_lo, v9, v9
	v_add3_u32 v10, v9, v10, 0x7fff
	s_delay_alu instid0(VALU_DEP_1) | instskip(NEXT) | instid1(VALU_DEP_1)
	v_lshrrev_b32_e32 v10, 16, v10
	v_cndmask_b32_e32 v9, 0x7fc0, v10, vcc_lo
	s_branch .LBB537_1440
.LBB537_1430:
	s_mov_b32 s15, -1
	s_mov_b32 s12, 0
                                        ; implicit-def: $vgpr9
	s_branch .LBB537_1512
.LBB537_1431:
	s_mov_b32 s12, -1
                                        ; implicit-def: $vgpr9
	s_branch .LBB537_1458
.LBB537_1432:
	s_mov_b32 s15, -1
	s_mov_b32 s12, 0
                                        ; implicit-def: $vgpr9
	s_branch .LBB537_1493
.LBB537_1433:
	s_mov_b32 s12, -1
                                        ; implicit-def: $vgpr9
	s_branch .LBB537_1446
.LBB537_1434:
	s_mov_b32 s15, -1
	s_mov_b32 s12, 0
                                        ; implicit-def: $vgpr9
	s_branch .LBB537_1488
.LBB537_1435:
	s_mov_b32 s12, -1
                                        ; implicit-def: $vgpr9
	s_branch .LBB537_1443
.LBB537_1436:
	s_cbranch_execnz .LBB537_1479
; %bb.1437:
	s_or_b32 s2, s2, exec_lo
                                        ; implicit-def: $vgpr9
	s_cbranch_execz .LBB537_1410
	s_branch .LBB537_1411
.LBB537_1438:
	s_mov_b32 s15, -1
	s_mov_b32 s12, 0
	s_branch .LBB537_1482
.LBB537_1439:
	s_mov_b32 s12, -1
                                        ; implicit-def: $vgpr9
.LBB537_1440:
	s_delay_alu instid0(SALU_CYCLE_1)
	s_and_not1_b32 vcc_lo, exec_lo, s12
	s_cbranch_vccnz .LBB537_1442
; %bb.1441:
	global_load_b32 v9, v[5:6], off
	s_waitcnt vmcnt(0)
	v_bfe_u32 v10, v9, 16, 1
	v_cmp_o_f32_e32 vcc_lo, v9, v9
	s_delay_alu instid0(VALU_DEP_2) | instskip(NEXT) | instid1(VALU_DEP_1)
	v_add3_u32 v10, v9, v10, 0x7fff
	v_lshrrev_b32_e32 v10, 16, v10
	s_delay_alu instid0(VALU_DEP_1)
	v_cndmask_b32_e32 v9, 0x7fc0, v10, vcc_lo
.LBB537_1442:
	s_mov_b32 s12, 0
.LBB537_1443:
	s_delay_alu instid0(SALU_CYCLE_1)
	s_and_not1_b32 vcc_lo, exec_lo, s12
	s_cbranch_vccnz .LBB537_1445
; %bb.1444:
	global_load_b32 v9, v[5:6], off
	s_waitcnt vmcnt(0)
	v_cvt_f32_f16_e32 v10, v9
	v_cmp_o_f16_e32 vcc_lo, v9, v9
	s_delay_alu instid0(VALU_DEP_2) | instskip(NEXT) | instid1(VALU_DEP_1)
	v_bfe_u32 v11, v10, 16, 1
	v_add3_u32 v10, v10, v11, 0x7fff
	s_delay_alu instid0(VALU_DEP_1) | instskip(NEXT) | instid1(VALU_DEP_1)
	v_lshrrev_b32_e32 v10, 16, v10
	v_cndmask_b32_e32 v9, 0x7fc0, v10, vcc_lo
.LBB537_1445:
	s_mov_b32 s12, 0
.LBB537_1446:
	s_delay_alu instid0(SALU_CYCLE_1)
	s_and_not1_b32 vcc_lo, exec_lo, s12
	s_cbranch_vccnz .LBB537_1457
; %bb.1447:
	v_cmp_lt_i16_e64 s12, s10, 6
	s_delay_alu instid0(VALU_DEP_1)
	s_and_b32 vcc_lo, exec_lo, s12
	s_cbranch_vccnz .LBB537_1450
; %bb.1448:
	v_cmp_gt_i16_e64 s12, s10, 6
	s_delay_alu instid0(VALU_DEP_1)
	s_and_b32 vcc_lo, exec_lo, s12
	s_cbranch_vccz .LBB537_1451
; %bb.1449:
	global_load_b64 v[9:10], v[5:6], off
	s_mov_b32 s12, 0
	s_waitcnt vmcnt(0)
	v_cvt_f32_f64_e32 v9, v[9:10]
	s_delay_alu instid0(VALU_DEP_1) | instskip(SKIP_1) | instid1(VALU_DEP_2)
	v_bfe_u32 v10, v9, 16, 1
	v_cmp_o_f32_e32 vcc_lo, v9, v9
	v_add3_u32 v10, v9, v10, 0x7fff
	s_delay_alu instid0(VALU_DEP_1) | instskip(NEXT) | instid1(VALU_DEP_1)
	v_lshrrev_b32_e32 v10, 16, v10
	v_cndmask_b32_e32 v9, 0x7fc0, v10, vcc_lo
	s_branch .LBB537_1452
.LBB537_1450:
	s_mov_b32 s12, -1
                                        ; implicit-def: $vgpr9
	s_branch .LBB537_1455
.LBB537_1451:
	s_mov_b32 s12, -1
                                        ; implicit-def: $vgpr9
.LBB537_1452:
	s_delay_alu instid0(SALU_CYCLE_1)
	s_and_not1_b32 vcc_lo, exec_lo, s12
	s_cbranch_vccnz .LBB537_1454
; %bb.1453:
	global_load_b32 v9, v[5:6], off
	s_waitcnt vmcnt(0)
	v_bfe_u32 v10, v9, 16, 1
	v_cmp_o_f32_e32 vcc_lo, v9, v9
	s_delay_alu instid0(VALU_DEP_2) | instskip(NEXT) | instid1(VALU_DEP_1)
	v_add3_u32 v10, v9, v10, 0x7fff
	v_lshrrev_b32_e32 v10, 16, v10
	s_delay_alu instid0(VALU_DEP_1)
	v_cndmask_b32_e32 v9, 0x7fc0, v10, vcc_lo
.LBB537_1454:
	s_mov_b32 s12, 0
.LBB537_1455:
	s_delay_alu instid0(SALU_CYCLE_1)
	s_and_not1_b32 vcc_lo, exec_lo, s12
	s_cbranch_vccnz .LBB537_1457
; %bb.1456:
	global_load_u16 v9, v[5:6], off
	s_waitcnt vmcnt(0)
	v_cvt_f32_f16_e32 v10, v9
	v_cmp_o_f16_e32 vcc_lo, v9, v9
	s_delay_alu instid0(VALU_DEP_2) | instskip(NEXT) | instid1(VALU_DEP_1)
	v_bfe_u32 v11, v10, 16, 1
	v_add3_u32 v10, v10, v11, 0x7fff
	s_delay_alu instid0(VALU_DEP_1) | instskip(NEXT) | instid1(VALU_DEP_1)
	v_lshrrev_b32_e32 v10, 16, v10
	v_cndmask_b32_e32 v9, 0x7fc0, v10, vcc_lo
.LBB537_1457:
	s_mov_b32 s12, 0
.LBB537_1458:
	s_delay_alu instid0(SALU_CYCLE_1)
	s_and_not1_b32 vcc_lo, exec_lo, s12
	s_cbranch_vccnz .LBB537_1478
; %bb.1459:
	v_cmp_lt_i16_e64 s12, s10, 2
	s_delay_alu instid0(VALU_DEP_1)
	s_and_b32 vcc_lo, exec_lo, s12
	s_cbranch_vccnz .LBB537_1463
; %bb.1460:
	v_cmp_lt_i16_e64 s12, s10, 3
	s_delay_alu instid0(VALU_DEP_1)
	s_and_b32 vcc_lo, exec_lo, s12
	s_cbranch_vccnz .LBB537_1464
; %bb.1461:
	v_cmp_gt_i16_e64 s12, s10, 3
	s_delay_alu instid0(VALU_DEP_1)
	s_and_b32 vcc_lo, exec_lo, s12
	s_cbranch_vccz .LBB537_1465
; %bb.1462:
	global_load_b64 v[9:10], v[5:6], off
	s_mov_b32 s12, 0
	s_waitcnt vmcnt(0)
	v_xor_b32_e32 v11, v9, v10
	v_cls_i32_e32 v12, v10
	s_delay_alu instid0(VALU_DEP_2) | instskip(NEXT) | instid1(VALU_DEP_2)
	v_ashrrev_i32_e32 v11, 31, v11
	v_add_nc_u32_e32 v12, -1, v12
	s_delay_alu instid0(VALU_DEP_2) | instskip(NEXT) | instid1(VALU_DEP_1)
	v_add_nc_u32_e32 v11, 32, v11
	v_min_u32_e32 v11, v12, v11
	s_delay_alu instid0(VALU_DEP_1) | instskip(NEXT) | instid1(VALU_DEP_1)
	v_lshlrev_b64 v[9:10], v11, v[9:10]
	v_min_u32_e32 v9, 1, v9
	s_delay_alu instid0(VALU_DEP_1) | instskip(SKIP_1) | instid1(VALU_DEP_2)
	v_or_b32_e32 v9, v10, v9
	v_sub_nc_u32_e32 v10, 32, v11
	v_cvt_f32_i32_e32 v9, v9
	s_delay_alu instid0(VALU_DEP_1) | instskip(NEXT) | instid1(VALU_DEP_1)
	v_ldexp_f32 v9, v9, v10
	v_bfe_u32 v10, v9, 16, 1
	s_delay_alu instid0(VALU_DEP_1) | instskip(NEXT) | instid1(VALU_DEP_1)
	v_add3_u32 v9, v9, v10, 0x7fff
	v_lshrrev_b32_e32 v9, 16, v9
	s_branch .LBB537_1466
.LBB537_1463:
	s_mov_b32 s12, -1
                                        ; implicit-def: $vgpr9
	s_branch .LBB537_1472
.LBB537_1464:
	s_mov_b32 s12, -1
                                        ; implicit-def: $vgpr9
	s_branch .LBB537_1469
.LBB537_1465:
	s_mov_b32 s12, -1
                                        ; implicit-def: $vgpr9
.LBB537_1466:
	s_delay_alu instid0(SALU_CYCLE_1)
	s_and_not1_b32 vcc_lo, exec_lo, s12
	s_cbranch_vccnz .LBB537_1468
; %bb.1467:
	global_load_b32 v9, v[5:6], off
	s_waitcnt vmcnt(0)
	v_cvt_f32_i32_e32 v9, v9
	s_delay_alu instid0(VALU_DEP_1) | instskip(NEXT) | instid1(VALU_DEP_1)
	v_bfe_u32 v10, v9, 16, 1
	v_add3_u32 v9, v9, v10, 0x7fff
	s_delay_alu instid0(VALU_DEP_1)
	v_lshrrev_b32_e32 v9, 16, v9
.LBB537_1468:
	s_mov_b32 s12, 0
.LBB537_1469:
	s_delay_alu instid0(SALU_CYCLE_1)
	s_and_not1_b32 vcc_lo, exec_lo, s12
	s_cbranch_vccnz .LBB537_1471
; %bb.1470:
	global_load_i16 v9, v[5:6], off
	s_waitcnt vmcnt(0)
	v_cvt_f32_i32_e32 v9, v9
	s_delay_alu instid0(VALU_DEP_1) | instskip(NEXT) | instid1(VALU_DEP_1)
	v_bfe_u32 v10, v9, 16, 1
	v_add3_u32 v9, v9, v10, 0x7fff
	s_delay_alu instid0(VALU_DEP_1)
	v_lshrrev_b32_e32 v9, 16, v9
.LBB537_1471:
	s_mov_b32 s12, 0
.LBB537_1472:
	s_delay_alu instid0(SALU_CYCLE_1)
	s_and_not1_b32 vcc_lo, exec_lo, s12
	s_cbranch_vccnz .LBB537_1478
; %bb.1473:
	v_cmp_gt_i16_e64 s12, s10, 0
	s_delay_alu instid0(VALU_DEP_1)
	s_and_b32 vcc_lo, exec_lo, s12
	s_mov_b32 s12, 0
	s_cbranch_vccz .LBB537_1475
; %bb.1474:
	global_load_i8 v9, v[5:6], off
	s_waitcnt vmcnt(0)
	v_cvt_f32_i32_e32 v9, v9
	s_delay_alu instid0(VALU_DEP_1) | instskip(NEXT) | instid1(VALU_DEP_1)
	v_bfe_u32 v10, v9, 16, 1
	v_add3_u32 v9, v9, v10, 0x7fff
	s_delay_alu instid0(VALU_DEP_1)
	v_lshrrev_b32_e32 v9, 16, v9
	s_branch .LBB537_1476
.LBB537_1475:
	s_mov_b32 s12, -1
                                        ; implicit-def: $vgpr9
.LBB537_1476:
	s_delay_alu instid0(SALU_CYCLE_1)
	s_and_not1_b32 vcc_lo, exec_lo, s12
	s_cbranch_vccnz .LBB537_1478
; %bb.1477:
	global_load_u8 v5, v[5:6], off
	s_waitcnt vmcnt(0)
	v_cvt_f32_ubyte0_e32 v5, v5
	s_delay_alu instid0(VALU_DEP_1) | instskip(NEXT) | instid1(VALU_DEP_1)
	v_bfe_u32 v6, v5, 16, 1
	v_add3_u32 v5, v5, v6, 0x7fff
	s_delay_alu instid0(VALU_DEP_1)
	v_lshrrev_b32_e32 v9, 16, v5
.LBB537_1478:
	s_branch .LBB537_1550
.LBB537_1479:
	s_trap 2
	s_sendmsg_rtn_b32 s0, sendmsg(MSG_RTN_GET_DOORBELL)
	s_mov_b32 ttmp2, m0
	s_waitcnt lgkmcnt(0)
	s_and_b32 s0, s0, 0x3ff
	s_delay_alu instid0(SALU_CYCLE_1) | instskip(NEXT) | instid1(SALU_CYCLE_1)
	s_bitset1_b32 s0, 10
	s_mov_b32 m0, s0
	s_sendmsg sendmsg(MSG_INTERRUPT)
	s_mov_b32 m0, ttmp2
.LBB537_1480:                           ; =>This Inner Loop Header: Depth=1
	s_sethalt 5
	s_branch .LBB537_1480
.LBB537_1481:
	s_mov_b32 s12, -1
.LBB537_1482:
                                        ; implicit-def: $vgpr9
.LBB537_1483:
	s_and_b32 vcc_lo, exec_lo, s15
	s_cbranch_vccz .LBB537_1487
; %bb.1484:
	v_cmp_eq_u16_e64 s12, s10, 44
	s_delay_alu instid0(VALU_DEP_1)
	s_and_b32 vcc_lo, exec_lo, s12
	s_cbranch_vccz .LBB537_1486
; %bb.1485:
	global_load_u8 v9, v[5:6], off
	s_mov_b32 s12, 0
	s_mov_b32 s14, -1
	s_waitcnt vmcnt(0)
	v_lshlrev_b32_e32 v10, 23, v9
	v_cmp_ne_u32_e32 vcc_lo, 0xff, v9
	s_delay_alu instid0(VALU_DEP_2) | instskip(SKIP_1) | instid1(VALU_DEP_2)
	v_cndmask_b32_e32 v10, 0x7f800001, v10, vcc_lo
	v_cmp_ne_u32_e32 vcc_lo, 0, v9
	v_cndmask_b32_e32 v9, 0x400000, v10, vcc_lo
	s_delay_alu instid0(VALU_DEP_1) | instskip(SKIP_1) | instid1(VALU_DEP_2)
	v_add_nc_u32_e32 v10, 0x7fff, v9
	v_cmp_o_f32_e32 vcc_lo, v9, v9
	v_lshrrev_b32_e32 v10, 16, v10
	s_delay_alu instid0(VALU_DEP_1)
	v_cndmask_b32_e32 v9, 0x7fc0, v10, vcc_lo
	s_branch .LBB537_1487
.LBB537_1486:
	s_mov_b32 s12, -1
                                        ; implicit-def: $vgpr9
.LBB537_1487:
	s_mov_b32 s15, 0
.LBB537_1488:
	s_delay_alu instid0(SALU_CYCLE_1)
	s_and_b32 vcc_lo, exec_lo, s15
	s_cbranch_vccz .LBB537_1492
; %bb.1489:
	v_cmp_eq_u16_e64 s12, s10, 29
	s_delay_alu instid0(VALU_DEP_1)
	s_and_b32 vcc_lo, exec_lo, s12
	s_cbranch_vccz .LBB537_1491
; %bb.1490:
	global_load_b64 v[9:10], v[5:6], off
	s_mov_b32 s12, 0
	s_mov_b32 s14, -1
	s_mov_b32 s15, 0
	s_waitcnt vmcnt(0)
	v_clz_i32_u32_e32 v11, v10
	s_delay_alu instid0(VALU_DEP_1) | instskip(NEXT) | instid1(VALU_DEP_1)
	v_min_u32_e32 v11, 32, v11
	v_lshlrev_b64 v[9:10], v11, v[9:10]
	s_delay_alu instid0(VALU_DEP_1) | instskip(NEXT) | instid1(VALU_DEP_1)
	v_min_u32_e32 v9, 1, v9
	v_or_b32_e32 v9, v10, v9
	v_sub_nc_u32_e32 v10, 32, v11
	s_delay_alu instid0(VALU_DEP_2) | instskip(NEXT) | instid1(VALU_DEP_1)
	v_cvt_f32_u32_e32 v9, v9
	v_ldexp_f32 v9, v9, v10
	s_delay_alu instid0(VALU_DEP_1) | instskip(NEXT) | instid1(VALU_DEP_1)
	v_bfe_u32 v10, v9, 16, 1
	v_add3_u32 v9, v9, v10, 0x7fff
	s_delay_alu instid0(VALU_DEP_1)
	v_lshrrev_b32_e32 v9, 16, v9
	s_branch .LBB537_1493
.LBB537_1491:
	s_mov_b32 s12, -1
                                        ; implicit-def: $vgpr9
.LBB537_1492:
	s_mov_b32 s15, 0
.LBB537_1493:
	s_delay_alu instid0(SALU_CYCLE_1)
	s_and_b32 vcc_lo, exec_lo, s15
	s_cbranch_vccz .LBB537_1511
; %bb.1494:
	v_cmp_lt_i16_e64 s14, s10, 27
	s_delay_alu instid0(VALU_DEP_1)
	s_and_b32 vcc_lo, exec_lo, s14
	s_cbranch_vccnz .LBB537_1497
; %bb.1495:
	v_cmp_gt_i16_e64 s14, s10, 27
	s_delay_alu instid0(VALU_DEP_1)
	s_and_b32 vcc_lo, exec_lo, s14
	s_cbranch_vccz .LBB537_1498
; %bb.1496:
	global_load_b32 v9, v[5:6], off
	s_mov_b32 s14, 0
	s_waitcnt vmcnt(0)
	v_cvt_f32_u32_e32 v9, v9
	s_delay_alu instid0(VALU_DEP_1) | instskip(NEXT) | instid1(VALU_DEP_1)
	v_bfe_u32 v10, v9, 16, 1
	v_add3_u32 v9, v9, v10, 0x7fff
	s_delay_alu instid0(VALU_DEP_1)
	v_lshrrev_b32_e32 v9, 16, v9
	s_branch .LBB537_1499
.LBB537_1497:
	s_mov_b32 s14, -1
                                        ; implicit-def: $vgpr9
	s_branch .LBB537_1502
.LBB537_1498:
	s_mov_b32 s14, -1
                                        ; implicit-def: $vgpr9
.LBB537_1499:
	s_delay_alu instid0(SALU_CYCLE_1)
	s_and_not1_b32 vcc_lo, exec_lo, s14
	s_cbranch_vccnz .LBB537_1501
; %bb.1500:
	global_load_u16 v9, v[5:6], off
	s_waitcnt vmcnt(0)
	v_cvt_f32_u32_e32 v9, v9
	s_delay_alu instid0(VALU_DEP_1) | instskip(NEXT) | instid1(VALU_DEP_1)
	v_bfe_u32 v10, v9, 16, 1
	v_add3_u32 v9, v9, v10, 0x7fff
	s_delay_alu instid0(VALU_DEP_1)
	v_lshrrev_b32_e32 v9, 16, v9
.LBB537_1501:
	s_mov_b32 s14, 0
.LBB537_1502:
	s_delay_alu instid0(SALU_CYCLE_1)
	s_and_not1_b32 vcc_lo, exec_lo, s14
	s_cbranch_vccnz .LBB537_1510
; %bb.1503:
	global_load_u8 v9, v[5:6], off
	s_mov_b32 s14, 0
	s_mov_b32 s18, exec_lo
                                        ; implicit-def: $sgpr15
	s_waitcnt vmcnt(0)
	v_cmpx_lt_i16_e32 0x7f, v9
	s_xor_b32 s18, exec_lo, s18
	s_cbranch_execz .LBB537_1524
; %bb.1504:
	s_mov_b32 s14, -1
	s_mov_b32 s19, exec_lo
                                        ; implicit-def: $sgpr15
	v_cmpx_eq_u16_e32 0x80, v9
; %bb.1505:
	s_mov_b32 s15, 0x7f800001
	s_xor_b32 s14, exec_lo, -1
; %bb.1506:
	s_or_b32 exec_lo, exec_lo, s19
	s_delay_alu instid0(SALU_CYCLE_1)
	s_and_b32 s14, s14, exec_lo
	s_or_saveexec_b32 s18, s18
	v_mov_b32_e32 v10, s15
	s_xor_b32 exec_lo, exec_lo, s18
	s_cbranch_execnz .LBB537_1525
.LBB537_1507:
	s_or_b32 exec_lo, exec_lo, s18
	s_and_saveexec_b32 s15, s14
	s_cbranch_execz .LBB537_1509
.LBB537_1508:
	v_and_b32_e32 v10, 0xffff, v9
	v_lshlrev_b32_e32 v9, 24, v9
	s_delay_alu instid0(VALU_DEP_2) | instskip(NEXT) | instid1(VALU_DEP_2)
	v_and_b32_e32 v11, 7, v10
	v_and_b32_e32 v9, 0x80000000, v9
	s_delay_alu instid0(VALU_DEP_2) | instskip(NEXT) | instid1(VALU_DEP_1)
	v_clz_i32_u32_e32 v12, v11
	v_min_u32_e32 v12, 32, v12
	s_delay_alu instid0(VALU_DEP_1) | instskip(SKIP_1) | instid1(VALU_DEP_2)
	v_subrev_nc_u32_e32 v13, 28, v12
	v_sub_nc_u32_e32 v12, 29, v12
	v_lshlrev_b32_e32 v13, v13, v10
	v_bfe_u32 v10, v10, 3, 4
	s_delay_alu instid0(VALU_DEP_2) | instskip(NEXT) | instid1(VALU_DEP_2)
	v_and_b32_e32 v13, 7, v13
	v_cmp_eq_u32_e32 vcc_lo, 0, v10
	s_delay_alu instid0(VALU_DEP_2) | instskip(NEXT) | instid1(VALU_DEP_1)
	v_dual_cndmask_b32 v10, v10, v12 :: v_dual_cndmask_b32 v11, v11, v13
	v_lshl_add_u32 v10, v10, 23, 0x3b800000
	s_delay_alu instid0(VALU_DEP_2) | instskip(NEXT) | instid1(VALU_DEP_1)
	v_lshlrev_b32_e32 v11, 20, v11
	v_or3_b32 v10, v9, v10, v11
.LBB537_1509:
	s_or_b32 exec_lo, exec_lo, s15
	s_delay_alu instid0(VALU_DEP_1) | instskip(SKIP_1) | instid1(VALU_DEP_2)
	v_bfe_u32 v9, v10, 16, 1
	v_cmp_o_f32_e32 vcc_lo, v10, v10
	v_add3_u32 v9, v10, v9, 0x7fff
	s_delay_alu instid0(VALU_DEP_1) | instskip(NEXT) | instid1(VALU_DEP_1)
	v_lshrrev_b32_e32 v9, 16, v9
	v_cndmask_b32_e32 v9, 0x7fc0, v9, vcc_lo
.LBB537_1510:
	s_mov_b32 s14, -1
.LBB537_1511:
	s_mov_b32 s15, 0
.LBB537_1512:
	s_delay_alu instid0(SALU_CYCLE_1)
	s_and_b32 vcc_lo, exec_lo, s15
	s_cbranch_vccz .LBB537_1545
; %bb.1513:
	v_cmp_gt_i16_e64 s13, s10, 22
	s_delay_alu instid0(VALU_DEP_1)
	s_and_b32 vcc_lo, exec_lo, s13
	s_cbranch_vccz .LBB537_1523
; %bb.1514:
	v_cmp_lt_i16_e64 s13, s10, 24
	s_delay_alu instid0(VALU_DEP_1)
	s_and_b32 vcc_lo, exec_lo, s13
	s_cbranch_vccnz .LBB537_1526
; %bb.1515:
	v_cmp_gt_i16_e64 s13, s10, 24
	s_delay_alu instid0(VALU_DEP_1)
	s_and_b32 vcc_lo, exec_lo, s13
	s_cbranch_vccz .LBB537_1527
; %bb.1516:
	global_load_u8 v9, v[5:6], off
	s_mov_b32 s13, 0
	s_mov_b32 s15, exec_lo
                                        ; implicit-def: $sgpr14
	s_waitcnt vmcnt(0)
	v_cmpx_lt_i16_e32 0x7f, v9
	s_xor_b32 s15, exec_lo, s15
	s_cbranch_execz .LBB537_1539
; %bb.1517:
	s_mov_b32 s13, -1
	s_mov_b32 s18, exec_lo
                                        ; implicit-def: $sgpr14
	v_cmpx_eq_u16_e32 0x80, v9
; %bb.1518:
	s_mov_b32 s14, 0x7f800001
	s_xor_b32 s13, exec_lo, -1
; %bb.1519:
	s_or_b32 exec_lo, exec_lo, s18
	s_delay_alu instid0(SALU_CYCLE_1)
	s_and_b32 s13, s13, exec_lo
	s_or_saveexec_b32 s15, s15
	v_mov_b32_e32 v10, s14
	s_xor_b32 exec_lo, exec_lo, s15
	s_cbranch_execnz .LBB537_1540
.LBB537_1520:
	s_or_b32 exec_lo, exec_lo, s15
	s_and_saveexec_b32 s14, s13
	s_cbranch_execz .LBB537_1522
.LBB537_1521:
	v_and_b32_e32 v10, 0xffff, v9
	v_lshlrev_b32_e32 v9, 24, v9
	s_delay_alu instid0(VALU_DEP_2) | instskip(NEXT) | instid1(VALU_DEP_2)
	v_and_b32_e32 v11, 3, v10
	v_and_b32_e32 v9, 0x80000000, v9
	s_delay_alu instid0(VALU_DEP_2) | instskip(NEXT) | instid1(VALU_DEP_1)
	v_clz_i32_u32_e32 v12, v11
	v_min_u32_e32 v12, 32, v12
	s_delay_alu instid0(VALU_DEP_1) | instskip(SKIP_1) | instid1(VALU_DEP_2)
	v_subrev_nc_u32_e32 v13, 29, v12
	v_sub_nc_u32_e32 v12, 30, v12
	v_lshlrev_b32_e32 v13, v13, v10
	v_bfe_u32 v10, v10, 2, 5
	s_delay_alu instid0(VALU_DEP_2) | instskip(NEXT) | instid1(VALU_DEP_2)
	v_and_b32_e32 v13, 3, v13
	v_cmp_eq_u32_e32 vcc_lo, 0, v10
	s_delay_alu instid0(VALU_DEP_2) | instskip(NEXT) | instid1(VALU_DEP_1)
	v_dual_cndmask_b32 v10, v10, v12 :: v_dual_cndmask_b32 v11, v11, v13
	v_lshl_add_u32 v10, v10, 23, 0x37800000
	s_delay_alu instid0(VALU_DEP_2) | instskip(NEXT) | instid1(VALU_DEP_1)
	v_lshlrev_b32_e32 v11, 21, v11
	v_or3_b32 v10, v9, v10, v11
.LBB537_1522:
	s_or_b32 exec_lo, exec_lo, s14
	s_delay_alu instid0(VALU_DEP_1) | instskip(SKIP_2) | instid1(VALU_DEP_2)
	v_bfe_u32 v9, v10, 16, 1
	v_cmp_o_f32_e32 vcc_lo, v10, v10
	s_mov_b32 s13, 0
	v_add3_u32 v9, v10, v9, 0x7fff
	s_delay_alu instid0(VALU_DEP_1) | instskip(NEXT) | instid1(VALU_DEP_1)
	v_lshrrev_b32_e32 v9, 16, v9
	v_cndmask_b32_e32 v9, 0x7fc0, v9, vcc_lo
	s_branch .LBB537_1528
.LBB537_1523:
	s_mov_b32 s13, -1
                                        ; implicit-def: $vgpr9
	s_branch .LBB537_1534
.LBB537_1524:
	s_or_saveexec_b32 s18, s18
	v_mov_b32_e32 v10, s15
	s_xor_b32 exec_lo, exec_lo, s18
	s_cbranch_execz .LBB537_1507
.LBB537_1525:
	v_cmp_ne_u16_e32 vcc_lo, 0, v9
	v_mov_b32_e32 v10, 0
	s_and_not1_b32 s14, s14, exec_lo
	s_and_b32 s15, vcc_lo, exec_lo
	s_delay_alu instid0(SALU_CYCLE_1)
	s_or_b32 s14, s14, s15
	s_or_b32 exec_lo, exec_lo, s18
	s_and_saveexec_b32 s15, s14
	s_cbranch_execnz .LBB537_1508
	s_branch .LBB537_1509
.LBB537_1526:
	s_mov_b32 s13, -1
                                        ; implicit-def: $vgpr9
	s_branch .LBB537_1531
.LBB537_1527:
	s_mov_b32 s13, -1
                                        ; implicit-def: $vgpr9
.LBB537_1528:
	s_delay_alu instid0(SALU_CYCLE_1)
	s_and_b32 vcc_lo, exec_lo, s13
	s_cbranch_vccz .LBB537_1530
; %bb.1529:
	global_load_u8 v9, v[5:6], off
	s_waitcnt vmcnt(0)
	v_lshlrev_b32_e32 v9, 24, v9
	s_delay_alu instid0(VALU_DEP_1) | instskip(NEXT) | instid1(VALU_DEP_1)
	v_and_b32_e32 v10, 0x7f000000, v9
	v_clz_i32_u32_e32 v11, v10
	v_add_nc_u32_e32 v13, 0x1000000, v10
	v_cmp_ne_u32_e32 vcc_lo, 0, v10
	s_delay_alu instid0(VALU_DEP_3) | instskip(NEXT) | instid1(VALU_DEP_1)
	v_min_u32_e32 v11, 32, v11
	v_sub_nc_u32_e64 v11, v11, 4 clamp
	s_delay_alu instid0(VALU_DEP_1) | instskip(SKIP_1) | instid1(VALU_DEP_2)
	v_lshlrev_b32_e32 v12, v11, v10
	v_lshlrev_b32_e32 v11, 23, v11
	v_lshrrev_b32_e32 v12, 4, v12
	s_delay_alu instid0(VALU_DEP_1) | instskip(SKIP_1) | instid1(VALU_DEP_2)
	v_sub_nc_u32_e32 v11, v12, v11
	v_ashrrev_i32_e32 v12, 8, v13
	v_add_nc_u32_e32 v11, 0x3c000000, v11
	s_delay_alu instid0(VALU_DEP_1) | instskip(NEXT) | instid1(VALU_DEP_1)
	v_and_or_b32 v11, 0x7f800000, v12, v11
	v_cndmask_b32_e32 v10, 0, v11, vcc_lo
	s_delay_alu instid0(VALU_DEP_1) | instskip(SKIP_1) | instid1(VALU_DEP_2)
	v_and_or_b32 v9, 0x80000000, v9, v10
	v_bfe_u32 v10, v10, 16, 1
	v_cmp_o_f32_e32 vcc_lo, v9, v9
	s_delay_alu instid0(VALU_DEP_2) | instskip(NEXT) | instid1(VALU_DEP_1)
	v_add3_u32 v10, v9, v10, 0x7fff
	v_lshrrev_b32_e32 v10, 16, v10
	s_delay_alu instid0(VALU_DEP_1)
	v_cndmask_b32_e32 v9, 0x7fc0, v10, vcc_lo
.LBB537_1530:
	s_mov_b32 s13, 0
.LBB537_1531:
	s_delay_alu instid0(SALU_CYCLE_1)
	s_and_not1_b32 vcc_lo, exec_lo, s13
	s_cbranch_vccnz .LBB537_1533
; %bb.1532:
	global_load_u8 v9, v[5:6], off
	s_waitcnt vmcnt(0)
	v_lshlrev_b32_e32 v10, 25, v9
	v_lshlrev_b16 v9, 8, v9
	s_delay_alu instid0(VALU_DEP_2) | instskip(NEXT) | instid1(VALU_DEP_2)
	v_lshrrev_b32_e32 v11, 4, v10
	v_and_or_b32 v12, 0x7f00, v9, 0.5
	v_bfe_i32 v9, v9, 0, 16
	s_delay_alu instid0(VALU_DEP_3) | instskip(NEXT) | instid1(VALU_DEP_1)
	v_or_b32_e32 v11, 0x70000000, v11
	v_dual_add_f32 v12, -0.5, v12 :: v_dual_mul_f32 v11, 0x7800000, v11
	v_cmp_gt_u32_e32 vcc_lo, 0x8000000, v10
	s_delay_alu instid0(VALU_DEP_2) | instskip(NEXT) | instid1(VALU_DEP_1)
	v_cndmask_b32_e32 v10, v11, v12, vcc_lo
	v_and_or_b32 v9, 0x80000000, v9, v10
	v_bfe_u32 v10, v10, 16, 1
	s_delay_alu instid0(VALU_DEP_2) | instskip(NEXT) | instid1(VALU_DEP_2)
	v_cmp_o_f32_e32 vcc_lo, v9, v9
	v_add3_u32 v10, v9, v10, 0x7fff
	s_delay_alu instid0(VALU_DEP_1) | instskip(NEXT) | instid1(VALU_DEP_1)
	v_lshrrev_b32_e32 v10, 16, v10
	v_cndmask_b32_e32 v9, 0x7fc0, v10, vcc_lo
.LBB537_1533:
	s_mov_b32 s13, 0
	s_mov_b32 s14, -1
.LBB537_1534:
	s_and_not1_b32 vcc_lo, exec_lo, s13
	s_mov_b32 s13, 0
	s_cbranch_vccnz .LBB537_1545
; %bb.1535:
	v_cmp_gt_i16_e64 s13, s10, 14
	s_delay_alu instid0(VALU_DEP_1)
	s_and_b32 vcc_lo, exec_lo, s13
	s_cbranch_vccz .LBB537_1538
; %bb.1536:
	v_cmp_eq_u16_e64 s12, s10, 15
	s_delay_alu instid0(VALU_DEP_1)
	s_and_b32 vcc_lo, exec_lo, s12
	s_cbranch_vccz .LBB537_1541
; %bb.1537:
	global_load_u16 v9, v[5:6], off
	s_mov_b32 s12, 0
	s_mov_b32 s14, -1
	s_branch .LBB537_1542
.LBB537_1538:
	s_mov_b32 s13, -1
                                        ; implicit-def: $vgpr9
	s_branch .LBB537_1543
.LBB537_1539:
	s_or_saveexec_b32 s15, s15
	v_mov_b32_e32 v10, s14
	s_xor_b32 exec_lo, exec_lo, s15
	s_cbranch_execz .LBB537_1520
.LBB537_1540:
	v_cmp_ne_u16_e32 vcc_lo, 0, v9
	v_mov_b32_e32 v10, 0
	s_and_not1_b32 s13, s13, exec_lo
	s_and_b32 s14, vcc_lo, exec_lo
	s_delay_alu instid0(SALU_CYCLE_1)
	s_or_b32 s13, s13, s14
	s_or_b32 exec_lo, exec_lo, s15
	s_and_saveexec_b32 s14, s13
	s_cbranch_execnz .LBB537_1521
	s_branch .LBB537_1522
.LBB537_1541:
	s_mov_b32 s12, -1
                                        ; implicit-def: $vgpr9
.LBB537_1542:
	s_mov_b32 s13, 0
.LBB537_1543:
	s_delay_alu instid0(SALU_CYCLE_1)
	s_and_b32 vcc_lo, exec_lo, s13
	s_mov_b32 s13, 0
	s_cbranch_vccz .LBB537_1545
; %bb.1544:
	v_cmp_ne_u16_e64 s12, s10, 11
	s_mov_b32 s13, -1
                                        ; implicit-def: $vgpr9
.LBB537_1545:
	s_delay_alu instid0(VALU_DEP_1)
	s_and_b32 vcc_lo, exec_lo, s12
	s_cbranch_vccnz .LBB537_1565
; %bb.1546:
	s_and_not1_b32 vcc_lo, exec_lo, s13
	s_cbranch_vccnz .LBB537_1548
.LBB537_1547:
	global_load_u8 v9, v[5:6], off
	s_mov_b32 s14, -1
	s_waitcnt vmcnt(0)
	v_cmp_ne_u16_e32 vcc_lo, 0, v9
	v_cndmask_b32_e64 v9, 0, 1.0, vcc_lo
	s_delay_alu instid0(VALU_DEP_1)
	v_lshrrev_b32_e32 v9, 16, v9
.LBB537_1548:
.LBB537_1549:
	s_and_not1_b32 vcc_lo, exec_lo, s14
	s_cbranch_vccnz .LBB537_2122
.LBB537_1550:
	s_waitcnt vmcnt(0)
	s_delay_alu instid0(VALU_DEP_1) | instskip(SKIP_1) | instid1(VALU_DEP_1)
	v_dual_mov_b32 v6, s11 :: v_dual_lshlrev_b32 v5, 16, v9
	s_mov_b32 s12, exec_lo
	v_cmpx_o_f32_e32 v5, v5
	s_cbranch_execz .LBB537_1554
; %bb.1551:
	s_load_b32 s13, s[0:1], 0x160
	s_waitcnt lgkmcnt(0)
	s_lshr_b32 s13, s13, 16
	s_delay_alu instid0(SALU_CYCLE_1)
	v_mov_b32_e32 v6, s13
	s_mov_b32 s13, exec_lo
	v_cmpx_neq_f32_e32 0x7f800000, v5
	s_cbranch_execz .LBB537_1553
; %bb.1552:
	s_load_b32 s14, s[16:17], 0x15c
	v_cmp_eq_f32_e32 vcc_lo, 0xff800000, v5
	s_waitcnt lgkmcnt(0)
	v_cndmask_b32_e64 v6, v9, s14, vcc_lo
.LBB537_1553:
	s_or_b32 exec_lo, exec_lo, s13
.LBB537_1554:
	s_delay_alu instid0(SALU_CYCLE_1) | instskip(SKIP_2) | instid1(VALU_DEP_1)
	s_or_b32 exec_lo, exec_lo, s12
	v_cmp_lt_i16_e64 s12, s10, 11
	v_add_co_u32 v4, s6, s6, v4
	v_add_co_ci_u32_e64 v5, null, s7, 0, s6
	s_delay_alu instid0(VALU_DEP_3)
	s_and_b32 vcc_lo, exec_lo, s12
	s_mov_b32 s12, 0
	s_cbranch_vccnz .LBB537_1561
; %bb.1555:
	v_cmp_gt_i16_e64 s6, s10, 25
	s_mov_b32 s7, 0
	s_delay_alu instid0(VALU_DEP_1)
	s_and_b32 vcc_lo, exec_lo, s6
	s_cbranch_vccz .LBB537_1562
; %bb.1556:
	v_cmp_gt_i16_e64 s6, s10, 28
	s_delay_alu instid0(VALU_DEP_1)
	s_and_b32 vcc_lo, exec_lo, s6
	s_cbranch_vccz .LBB537_1563
; %bb.1557:
	v_cmp_gt_i16_e64 s6, s10, 43
	;; [unrolled: 5-line block ×3, first 2 shown]
	s_delay_alu instid0(VALU_DEP_1)
	s_and_b32 vcc_lo, exec_lo, s6
	s_cbranch_vccz .LBB537_1567
; %bb.1559:
	v_cmp_eq_u16_e64 s6, s10, 46
	s_mov_b32 s13, 0
	s_delay_alu instid0(VALU_DEP_1)
	s_and_b32 vcc_lo, exec_lo, s6
	s_cbranch_vccz .LBB537_1570
; %bb.1560:
	global_load_b32 v9, v[4:5], off
	s_mov_b32 s6, 0
	s_mov_b32 s12, -1
	s_branch .LBB537_1572
.LBB537_1561:
	s_mov_b32 s6, -1
                                        ; implicit-def: $vgpr9
	s_branch .LBB537_1638
.LBB537_1562:
	s_mov_b32 s13, -1
	s_mov_b32 s6, 0
                                        ; implicit-def: $vgpr9
	s_branch .LBB537_1601
.LBB537_1563:
	s_mov_b32 s13, -1
	s_mov_b32 s6, 0
                                        ; implicit-def: $vgpr9
	s_branch .LBB537_1582
.LBB537_1564:
	s_mov_b32 s13, -1
	s_mov_b32 s6, 0
                                        ; implicit-def: $vgpr9
	s_branch .LBB537_1577
.LBB537_1565:
	s_cbranch_execnz .LBB537_1568
; %bb.1566:
	s_or_b32 s2, s2, exec_lo
                                        ; implicit-def: $vgpr9
	s_cbranch_execz .LBB537_1547
	s_branch .LBB537_1548
.LBB537_1567:
	s_mov_b32 s13, -1
	s_mov_b32 s6, 0
	s_branch .LBB537_1571
.LBB537_1568:
	s_trap 2
	s_sendmsg_rtn_b32 s0, sendmsg(MSG_RTN_GET_DOORBELL)
	s_mov_b32 ttmp2, m0
	s_waitcnt lgkmcnt(0)
	s_and_b32 s0, s0, 0x3ff
	s_delay_alu instid0(SALU_CYCLE_1) | instskip(NEXT) | instid1(SALU_CYCLE_1)
	s_bitset1_b32 s0, 10
	s_mov_b32 m0, s0
	s_sendmsg sendmsg(MSG_INTERRUPT)
	s_mov_b32 m0, ttmp2
.LBB537_1569:                           ; =>This Inner Loop Header: Depth=1
	s_sethalt 5
	s_branch .LBB537_1569
.LBB537_1570:
	s_mov_b32 s6, -1
.LBB537_1571:
                                        ; implicit-def: $vgpr9
.LBB537_1572:
	s_and_b32 vcc_lo, exec_lo, s13
	s_cbranch_vccz .LBB537_1576
; %bb.1573:
	v_cmp_eq_u16_e64 s6, s10, 44
	s_delay_alu instid0(VALU_DEP_1)
	s_and_b32 vcc_lo, exec_lo, s6
	s_cbranch_vccz .LBB537_1575
; %bb.1574:
	global_load_u8 v9, v[4:5], off
	s_mov_b32 s6, 0
	s_mov_b32 s12, -1
	s_waitcnt vmcnt(0)
	v_lshlrev_b32_e32 v10, 23, v9
	v_cmp_ne_u32_e32 vcc_lo, 0xff, v9
	s_delay_alu instid0(VALU_DEP_2) | instskip(SKIP_1) | instid1(VALU_DEP_2)
	v_cndmask_b32_e32 v10, 0x7f800001, v10, vcc_lo
	v_cmp_ne_u32_e32 vcc_lo, 0, v9
	v_cndmask_b32_e32 v9, 0x400000, v10, vcc_lo
	s_delay_alu instid0(VALU_DEP_1) | instskip(SKIP_1) | instid1(VALU_DEP_2)
	v_add_nc_u32_e32 v10, 0x7fff, v9
	v_cmp_o_f32_e32 vcc_lo, v9, v9
	v_lshrrev_b32_e32 v10, 16, v10
	s_delay_alu instid0(VALU_DEP_1)
	v_cndmask_b32_e32 v9, 0x7fc0, v10, vcc_lo
	s_branch .LBB537_1576
.LBB537_1575:
	s_mov_b32 s6, -1
                                        ; implicit-def: $vgpr9
.LBB537_1576:
	s_mov_b32 s13, 0
.LBB537_1577:
	s_delay_alu instid0(SALU_CYCLE_1)
	s_and_b32 vcc_lo, exec_lo, s13
	s_cbranch_vccz .LBB537_1581
; %bb.1578:
	v_cmp_eq_u16_e64 s6, s10, 29
	s_delay_alu instid0(VALU_DEP_1)
	s_and_b32 vcc_lo, exec_lo, s6
	s_cbranch_vccz .LBB537_1580
; %bb.1579:
	global_load_b64 v[9:10], v[4:5], off
	s_mov_b32 s6, 0
	s_mov_b32 s12, -1
	s_mov_b32 s13, 0
	s_waitcnt vmcnt(0)
	v_clz_i32_u32_e32 v11, v10
	s_delay_alu instid0(VALU_DEP_1) | instskip(NEXT) | instid1(VALU_DEP_1)
	v_min_u32_e32 v11, 32, v11
	v_lshlrev_b64 v[9:10], v11, v[9:10]
	s_delay_alu instid0(VALU_DEP_1) | instskip(NEXT) | instid1(VALU_DEP_1)
	v_min_u32_e32 v9, 1, v9
	v_or_b32_e32 v9, v10, v9
	v_sub_nc_u32_e32 v10, 32, v11
	s_delay_alu instid0(VALU_DEP_2) | instskip(NEXT) | instid1(VALU_DEP_1)
	v_cvt_f32_u32_e32 v9, v9
	v_ldexp_f32 v9, v9, v10
	s_delay_alu instid0(VALU_DEP_1) | instskip(NEXT) | instid1(VALU_DEP_1)
	v_bfe_u32 v10, v9, 16, 1
	v_add3_u32 v9, v9, v10, 0x7fff
	s_delay_alu instid0(VALU_DEP_1)
	v_lshrrev_b32_e32 v9, 16, v9
	s_branch .LBB537_1582
.LBB537_1580:
	s_mov_b32 s6, -1
                                        ; implicit-def: $vgpr9
.LBB537_1581:
	s_mov_b32 s13, 0
.LBB537_1582:
	s_delay_alu instid0(SALU_CYCLE_1)
	s_and_b32 vcc_lo, exec_lo, s13
	s_cbranch_vccz .LBB537_1600
; %bb.1583:
	v_cmp_lt_i16_e64 s12, s10, 27
	s_delay_alu instid0(VALU_DEP_1)
	s_and_b32 vcc_lo, exec_lo, s12
	s_cbranch_vccnz .LBB537_1586
; %bb.1584:
	v_cmp_gt_i16_e64 s12, s10, 27
	s_delay_alu instid0(VALU_DEP_1)
	s_and_b32 vcc_lo, exec_lo, s12
	s_cbranch_vccz .LBB537_1587
; %bb.1585:
	global_load_b32 v9, v[4:5], off
	s_mov_b32 s12, 0
	s_waitcnt vmcnt(0)
	v_cvt_f32_u32_e32 v9, v9
	s_delay_alu instid0(VALU_DEP_1) | instskip(NEXT) | instid1(VALU_DEP_1)
	v_bfe_u32 v10, v9, 16, 1
	v_add3_u32 v9, v9, v10, 0x7fff
	s_delay_alu instid0(VALU_DEP_1)
	v_lshrrev_b32_e32 v9, 16, v9
	s_branch .LBB537_1588
.LBB537_1586:
	s_mov_b32 s12, -1
                                        ; implicit-def: $vgpr9
	s_branch .LBB537_1591
.LBB537_1587:
	s_mov_b32 s12, -1
                                        ; implicit-def: $vgpr9
.LBB537_1588:
	s_delay_alu instid0(SALU_CYCLE_1)
	s_and_not1_b32 vcc_lo, exec_lo, s12
	s_cbranch_vccnz .LBB537_1590
; %bb.1589:
	global_load_u16 v9, v[4:5], off
	s_waitcnt vmcnt(0)
	v_cvt_f32_u32_e32 v9, v9
	s_delay_alu instid0(VALU_DEP_1) | instskip(NEXT) | instid1(VALU_DEP_1)
	v_bfe_u32 v10, v9, 16, 1
	v_add3_u32 v9, v9, v10, 0x7fff
	s_delay_alu instid0(VALU_DEP_1)
	v_lshrrev_b32_e32 v9, 16, v9
.LBB537_1590:
	s_mov_b32 s12, 0
.LBB537_1591:
	s_delay_alu instid0(SALU_CYCLE_1)
	s_and_not1_b32 vcc_lo, exec_lo, s12
	s_cbranch_vccnz .LBB537_1599
; %bb.1592:
	global_load_u8 v9, v[4:5], off
	s_mov_b32 s12, 0
	s_mov_b32 s14, exec_lo
                                        ; implicit-def: $sgpr13
	s_waitcnt vmcnt(0)
	v_cmpx_lt_i16_e32 0x7f, v9
	s_xor_b32 s14, exec_lo, s14
	s_cbranch_execz .LBB537_1613
; %bb.1593:
	s_mov_b32 s12, -1
	s_mov_b32 s15, exec_lo
                                        ; implicit-def: $sgpr13
	v_cmpx_eq_u16_e32 0x80, v9
; %bb.1594:
	s_mov_b32 s13, 0x7f800001
	s_xor_b32 s12, exec_lo, -1
; %bb.1595:
	s_or_b32 exec_lo, exec_lo, s15
	s_delay_alu instid0(SALU_CYCLE_1)
	s_and_b32 s12, s12, exec_lo
	s_or_saveexec_b32 s14, s14
	v_mov_b32_e32 v10, s13
	s_xor_b32 exec_lo, exec_lo, s14
	s_cbranch_execnz .LBB537_1614
.LBB537_1596:
	s_or_b32 exec_lo, exec_lo, s14
	s_and_saveexec_b32 s13, s12
	s_cbranch_execz .LBB537_1598
.LBB537_1597:
	v_and_b32_e32 v10, 0xffff, v9
	v_lshlrev_b32_e32 v9, 24, v9
	s_delay_alu instid0(VALU_DEP_2) | instskip(NEXT) | instid1(VALU_DEP_2)
	v_and_b32_e32 v11, 7, v10
	v_and_b32_e32 v9, 0x80000000, v9
	s_delay_alu instid0(VALU_DEP_2) | instskip(NEXT) | instid1(VALU_DEP_1)
	v_clz_i32_u32_e32 v12, v11
	v_min_u32_e32 v12, 32, v12
	s_delay_alu instid0(VALU_DEP_1) | instskip(SKIP_1) | instid1(VALU_DEP_2)
	v_subrev_nc_u32_e32 v13, 28, v12
	v_sub_nc_u32_e32 v12, 29, v12
	v_lshlrev_b32_e32 v13, v13, v10
	v_bfe_u32 v10, v10, 3, 4
	s_delay_alu instid0(VALU_DEP_2) | instskip(NEXT) | instid1(VALU_DEP_2)
	v_and_b32_e32 v13, 7, v13
	v_cmp_eq_u32_e32 vcc_lo, 0, v10
	s_delay_alu instid0(VALU_DEP_2) | instskip(NEXT) | instid1(VALU_DEP_1)
	v_dual_cndmask_b32 v10, v10, v12 :: v_dual_cndmask_b32 v11, v11, v13
	v_lshl_add_u32 v10, v10, 23, 0x3b800000
	s_delay_alu instid0(VALU_DEP_2) | instskip(NEXT) | instid1(VALU_DEP_1)
	v_lshlrev_b32_e32 v11, 20, v11
	v_or3_b32 v10, v9, v10, v11
.LBB537_1598:
	s_or_b32 exec_lo, exec_lo, s13
	s_delay_alu instid0(VALU_DEP_1) | instskip(SKIP_1) | instid1(VALU_DEP_2)
	v_bfe_u32 v9, v10, 16, 1
	v_cmp_o_f32_e32 vcc_lo, v10, v10
	v_add3_u32 v9, v10, v9, 0x7fff
	s_delay_alu instid0(VALU_DEP_1) | instskip(NEXT) | instid1(VALU_DEP_1)
	v_lshrrev_b32_e32 v9, 16, v9
	v_cndmask_b32_e32 v9, 0x7fc0, v9, vcc_lo
.LBB537_1599:
	s_mov_b32 s12, -1
.LBB537_1600:
	s_mov_b32 s13, 0
.LBB537_1601:
	s_delay_alu instid0(SALU_CYCLE_1)
	s_and_b32 vcc_lo, exec_lo, s13
	s_cbranch_vccz .LBB537_1634
; %bb.1602:
	v_cmp_gt_i16_e64 s7, s10, 22
	s_delay_alu instid0(VALU_DEP_1)
	s_and_b32 vcc_lo, exec_lo, s7
	s_cbranch_vccz .LBB537_1612
; %bb.1603:
	v_cmp_lt_i16_e64 s7, s10, 24
	s_delay_alu instid0(VALU_DEP_1)
	s_and_b32 vcc_lo, exec_lo, s7
	s_cbranch_vccnz .LBB537_1615
; %bb.1604:
	v_cmp_gt_i16_e64 s7, s10, 24
	s_delay_alu instid0(VALU_DEP_1)
	s_and_b32 vcc_lo, exec_lo, s7
	s_cbranch_vccz .LBB537_1616
; %bb.1605:
	global_load_u8 v9, v[4:5], off
	s_mov_b32 s7, 0
	s_mov_b32 s13, exec_lo
                                        ; implicit-def: $sgpr12
	s_waitcnt vmcnt(0)
	v_cmpx_lt_i16_e32 0x7f, v9
	s_xor_b32 s13, exec_lo, s13
	s_cbranch_execz .LBB537_1628
; %bb.1606:
	s_mov_b32 s7, -1
	s_mov_b32 s14, exec_lo
                                        ; implicit-def: $sgpr12
	v_cmpx_eq_u16_e32 0x80, v9
; %bb.1607:
	s_mov_b32 s12, 0x7f800001
	s_xor_b32 s7, exec_lo, -1
; %bb.1608:
	s_or_b32 exec_lo, exec_lo, s14
	s_delay_alu instid0(SALU_CYCLE_1)
	s_and_b32 s7, s7, exec_lo
	s_or_saveexec_b32 s13, s13
	v_mov_b32_e32 v10, s12
	s_xor_b32 exec_lo, exec_lo, s13
	s_cbranch_execnz .LBB537_1629
.LBB537_1609:
	s_or_b32 exec_lo, exec_lo, s13
	s_and_saveexec_b32 s12, s7
	s_cbranch_execz .LBB537_1611
.LBB537_1610:
	v_and_b32_e32 v10, 0xffff, v9
	v_lshlrev_b32_e32 v9, 24, v9
	s_delay_alu instid0(VALU_DEP_2) | instskip(NEXT) | instid1(VALU_DEP_2)
	v_and_b32_e32 v11, 3, v10
	v_and_b32_e32 v9, 0x80000000, v9
	s_delay_alu instid0(VALU_DEP_2) | instskip(NEXT) | instid1(VALU_DEP_1)
	v_clz_i32_u32_e32 v12, v11
	v_min_u32_e32 v12, 32, v12
	s_delay_alu instid0(VALU_DEP_1) | instskip(SKIP_1) | instid1(VALU_DEP_2)
	v_subrev_nc_u32_e32 v13, 29, v12
	v_sub_nc_u32_e32 v12, 30, v12
	v_lshlrev_b32_e32 v13, v13, v10
	v_bfe_u32 v10, v10, 2, 5
	s_delay_alu instid0(VALU_DEP_2) | instskip(NEXT) | instid1(VALU_DEP_2)
	v_and_b32_e32 v13, 3, v13
	v_cmp_eq_u32_e32 vcc_lo, 0, v10
	s_delay_alu instid0(VALU_DEP_2) | instskip(NEXT) | instid1(VALU_DEP_1)
	v_dual_cndmask_b32 v10, v10, v12 :: v_dual_cndmask_b32 v11, v11, v13
	v_lshl_add_u32 v10, v10, 23, 0x37800000
	s_delay_alu instid0(VALU_DEP_2) | instskip(NEXT) | instid1(VALU_DEP_1)
	v_lshlrev_b32_e32 v11, 21, v11
	v_or3_b32 v10, v9, v10, v11
.LBB537_1611:
	s_or_b32 exec_lo, exec_lo, s12
	s_delay_alu instid0(VALU_DEP_1) | instskip(SKIP_2) | instid1(VALU_DEP_2)
	v_bfe_u32 v9, v10, 16, 1
	v_cmp_o_f32_e32 vcc_lo, v10, v10
	s_mov_b32 s7, 0
	v_add3_u32 v9, v10, v9, 0x7fff
	s_delay_alu instid0(VALU_DEP_1) | instskip(NEXT) | instid1(VALU_DEP_1)
	v_lshrrev_b32_e32 v9, 16, v9
	v_cndmask_b32_e32 v9, 0x7fc0, v9, vcc_lo
	s_branch .LBB537_1617
.LBB537_1612:
	s_mov_b32 s7, -1
                                        ; implicit-def: $vgpr9
	s_branch .LBB537_1623
.LBB537_1613:
	s_or_saveexec_b32 s14, s14
	v_mov_b32_e32 v10, s13
	s_xor_b32 exec_lo, exec_lo, s14
	s_cbranch_execz .LBB537_1596
.LBB537_1614:
	v_cmp_ne_u16_e32 vcc_lo, 0, v9
	v_mov_b32_e32 v10, 0
	s_and_not1_b32 s12, s12, exec_lo
	s_and_b32 s13, vcc_lo, exec_lo
	s_delay_alu instid0(SALU_CYCLE_1)
	s_or_b32 s12, s12, s13
	s_or_b32 exec_lo, exec_lo, s14
	s_and_saveexec_b32 s13, s12
	s_cbranch_execnz .LBB537_1597
	s_branch .LBB537_1598
.LBB537_1615:
	s_mov_b32 s7, -1
                                        ; implicit-def: $vgpr9
	s_branch .LBB537_1620
.LBB537_1616:
	s_mov_b32 s7, -1
                                        ; implicit-def: $vgpr9
.LBB537_1617:
	s_delay_alu instid0(SALU_CYCLE_1)
	s_and_b32 vcc_lo, exec_lo, s7
	s_cbranch_vccz .LBB537_1619
; %bb.1618:
	global_load_u8 v9, v[4:5], off
	s_waitcnt vmcnt(0)
	v_lshlrev_b32_e32 v9, 24, v9
	s_delay_alu instid0(VALU_DEP_1) | instskip(NEXT) | instid1(VALU_DEP_1)
	v_and_b32_e32 v10, 0x7f000000, v9
	v_clz_i32_u32_e32 v11, v10
	v_add_nc_u32_e32 v13, 0x1000000, v10
	v_cmp_ne_u32_e32 vcc_lo, 0, v10
	s_delay_alu instid0(VALU_DEP_3) | instskip(NEXT) | instid1(VALU_DEP_1)
	v_min_u32_e32 v11, 32, v11
	v_sub_nc_u32_e64 v11, v11, 4 clamp
	s_delay_alu instid0(VALU_DEP_1) | instskip(SKIP_1) | instid1(VALU_DEP_2)
	v_lshlrev_b32_e32 v12, v11, v10
	v_lshlrev_b32_e32 v11, 23, v11
	v_lshrrev_b32_e32 v12, 4, v12
	s_delay_alu instid0(VALU_DEP_1) | instskip(SKIP_1) | instid1(VALU_DEP_2)
	v_sub_nc_u32_e32 v11, v12, v11
	v_ashrrev_i32_e32 v12, 8, v13
	v_add_nc_u32_e32 v11, 0x3c000000, v11
	s_delay_alu instid0(VALU_DEP_1) | instskip(NEXT) | instid1(VALU_DEP_1)
	v_and_or_b32 v11, 0x7f800000, v12, v11
	v_cndmask_b32_e32 v10, 0, v11, vcc_lo
	s_delay_alu instid0(VALU_DEP_1) | instskip(SKIP_1) | instid1(VALU_DEP_2)
	v_and_or_b32 v9, 0x80000000, v9, v10
	v_bfe_u32 v10, v10, 16, 1
	v_cmp_o_f32_e32 vcc_lo, v9, v9
	s_delay_alu instid0(VALU_DEP_2) | instskip(NEXT) | instid1(VALU_DEP_1)
	v_add3_u32 v10, v9, v10, 0x7fff
	v_lshrrev_b32_e32 v10, 16, v10
	s_delay_alu instid0(VALU_DEP_1)
	v_cndmask_b32_e32 v9, 0x7fc0, v10, vcc_lo
.LBB537_1619:
	s_mov_b32 s7, 0
.LBB537_1620:
	s_delay_alu instid0(SALU_CYCLE_1)
	s_and_not1_b32 vcc_lo, exec_lo, s7
	s_cbranch_vccnz .LBB537_1622
; %bb.1621:
	global_load_u8 v9, v[4:5], off
	s_waitcnt vmcnt(0)
	v_lshlrev_b32_e32 v10, 25, v9
	v_lshlrev_b16 v9, 8, v9
	s_delay_alu instid0(VALU_DEP_2) | instskip(NEXT) | instid1(VALU_DEP_2)
	v_lshrrev_b32_e32 v11, 4, v10
	v_and_or_b32 v12, 0x7f00, v9, 0.5
	v_bfe_i32 v9, v9, 0, 16
	s_delay_alu instid0(VALU_DEP_3) | instskip(NEXT) | instid1(VALU_DEP_1)
	v_or_b32_e32 v11, 0x70000000, v11
	v_dual_add_f32 v12, -0.5, v12 :: v_dual_mul_f32 v11, 0x7800000, v11
	v_cmp_gt_u32_e32 vcc_lo, 0x8000000, v10
	s_delay_alu instid0(VALU_DEP_2) | instskip(NEXT) | instid1(VALU_DEP_1)
	v_cndmask_b32_e32 v10, v11, v12, vcc_lo
	v_and_or_b32 v9, 0x80000000, v9, v10
	v_bfe_u32 v10, v10, 16, 1
	s_delay_alu instid0(VALU_DEP_2) | instskip(NEXT) | instid1(VALU_DEP_2)
	v_cmp_o_f32_e32 vcc_lo, v9, v9
	v_add3_u32 v10, v9, v10, 0x7fff
	s_delay_alu instid0(VALU_DEP_1) | instskip(NEXT) | instid1(VALU_DEP_1)
	v_lshrrev_b32_e32 v10, 16, v10
	v_cndmask_b32_e32 v9, 0x7fc0, v10, vcc_lo
.LBB537_1622:
	s_mov_b32 s7, 0
	s_mov_b32 s12, -1
.LBB537_1623:
	s_and_not1_b32 vcc_lo, exec_lo, s7
	s_mov_b32 s7, 0
	s_cbranch_vccnz .LBB537_1634
; %bb.1624:
	v_cmp_gt_i16_e64 s7, s10, 14
	s_delay_alu instid0(VALU_DEP_1)
	s_and_b32 vcc_lo, exec_lo, s7
	s_cbranch_vccz .LBB537_1627
; %bb.1625:
	v_cmp_eq_u16_e64 s6, s10, 15
	s_delay_alu instid0(VALU_DEP_1)
	s_and_b32 vcc_lo, exec_lo, s6
	s_cbranch_vccz .LBB537_1630
; %bb.1626:
	global_load_u16 v9, v[4:5], off
	s_mov_b32 s6, 0
	s_mov_b32 s12, -1
	s_branch .LBB537_1631
.LBB537_1627:
	s_mov_b32 s7, -1
                                        ; implicit-def: $vgpr9
	s_branch .LBB537_1632
.LBB537_1628:
	s_or_saveexec_b32 s13, s13
	v_mov_b32_e32 v10, s12
	s_xor_b32 exec_lo, exec_lo, s13
	s_cbranch_execz .LBB537_1609
.LBB537_1629:
	v_cmp_ne_u16_e32 vcc_lo, 0, v9
	v_mov_b32_e32 v10, 0
	s_and_not1_b32 s7, s7, exec_lo
	s_and_b32 s12, vcc_lo, exec_lo
	s_delay_alu instid0(SALU_CYCLE_1)
	s_or_b32 s7, s7, s12
	s_or_b32 exec_lo, exec_lo, s13
	s_and_saveexec_b32 s12, s7
	s_cbranch_execnz .LBB537_1610
	s_branch .LBB537_1611
.LBB537_1630:
	s_mov_b32 s6, -1
                                        ; implicit-def: $vgpr9
.LBB537_1631:
	s_mov_b32 s7, 0
.LBB537_1632:
	s_delay_alu instid0(SALU_CYCLE_1)
	s_and_b32 vcc_lo, exec_lo, s7
	s_mov_b32 s7, 0
	s_cbranch_vccz .LBB537_1634
; %bb.1633:
	v_cmp_ne_u16_e64 s6, s10, 11
	s_mov_b32 s7, -1
                                        ; implicit-def: $vgpr9
.LBB537_1634:
	s_delay_alu instid0(VALU_DEP_1)
	s_and_b32 vcc_lo, exec_lo, s6
	s_cbranch_vccnz .LBB537_2168
; %bb.1635:
	s_and_not1_b32 vcc_lo, exec_lo, s7
	s_cbranch_vccnz .LBB537_1637
.LBB537_1636:
	global_load_u8 v9, v[4:5], off
	s_mov_b32 s12, -1
	s_waitcnt vmcnt(0)
	v_cmp_ne_u16_e32 vcc_lo, 0, v9
	v_cndmask_b32_e64 v9, 0, 1.0, vcc_lo
	s_delay_alu instid0(VALU_DEP_1)
	v_lshrrev_b32_e32 v9, 16, v9
.LBB537_1637:
	s_mov_b32 s6, 0
.LBB537_1638:
	s_delay_alu instid0(SALU_CYCLE_1)
	s_and_b32 vcc_lo, exec_lo, s6
	s_cbranch_vccz .LBB537_1687
; %bb.1639:
	v_cmp_lt_i16_e64 s6, s10, 5
	s_delay_alu instid0(VALU_DEP_1)
	s_and_b32 vcc_lo, exec_lo, s6
	s_cbranch_vccnz .LBB537_1644
; %bb.1640:
	v_cmp_lt_i16_e64 s6, s10, 8
	s_delay_alu instid0(VALU_DEP_1)
	s_and_b32 vcc_lo, exec_lo, s6
	s_cbranch_vccnz .LBB537_1645
	;; [unrolled: 5-line block ×3, first 2 shown]
; %bb.1642:
	v_cmp_gt_i16_e64 s6, s10, 9
	s_delay_alu instid0(VALU_DEP_1)
	s_and_b32 vcc_lo, exec_lo, s6
	s_cbranch_vccz .LBB537_1647
; %bb.1643:
	global_load_b64 v[9:10], v[4:5], off
	s_mov_b32 s6, 0
	s_waitcnt vmcnt(0)
	v_cvt_f32_f64_e32 v9, v[9:10]
	s_delay_alu instid0(VALU_DEP_1) | instskip(SKIP_1) | instid1(VALU_DEP_2)
	v_bfe_u32 v10, v9, 16, 1
	v_cmp_o_f32_e32 vcc_lo, v9, v9
	v_add3_u32 v10, v9, v10, 0x7fff
	s_delay_alu instid0(VALU_DEP_1) | instskip(NEXT) | instid1(VALU_DEP_1)
	v_lshrrev_b32_e32 v10, 16, v10
	v_cndmask_b32_e32 v9, 0x7fc0, v10, vcc_lo
	s_branch .LBB537_1648
.LBB537_1644:
	s_mov_b32 s6, -1
                                        ; implicit-def: $vgpr9
	s_branch .LBB537_1666
.LBB537_1645:
	s_mov_b32 s6, -1
                                        ; implicit-def: $vgpr9
	s_branch .LBB537_1654
.LBB537_1646:
	s_mov_b32 s6, -1
                                        ; implicit-def: $vgpr9
	s_branch .LBB537_1651
.LBB537_1647:
	s_mov_b32 s6, -1
                                        ; implicit-def: $vgpr9
.LBB537_1648:
	s_delay_alu instid0(SALU_CYCLE_1)
	s_and_not1_b32 vcc_lo, exec_lo, s6
	s_cbranch_vccnz .LBB537_1650
; %bb.1649:
	global_load_b32 v9, v[4:5], off
	s_waitcnt vmcnt(0)
	v_bfe_u32 v10, v9, 16, 1
	v_cmp_o_f32_e32 vcc_lo, v9, v9
	s_delay_alu instid0(VALU_DEP_2) | instskip(NEXT) | instid1(VALU_DEP_1)
	v_add3_u32 v10, v9, v10, 0x7fff
	v_lshrrev_b32_e32 v10, 16, v10
	s_delay_alu instid0(VALU_DEP_1)
	v_cndmask_b32_e32 v9, 0x7fc0, v10, vcc_lo
.LBB537_1650:
	s_mov_b32 s6, 0
.LBB537_1651:
	s_delay_alu instid0(SALU_CYCLE_1)
	s_and_not1_b32 vcc_lo, exec_lo, s6
	s_cbranch_vccnz .LBB537_1653
; %bb.1652:
	global_load_b32 v9, v[4:5], off
	s_waitcnt vmcnt(0)
	v_cvt_f32_f16_e32 v10, v9
	v_cmp_o_f16_e32 vcc_lo, v9, v9
	s_delay_alu instid0(VALU_DEP_2) | instskip(NEXT) | instid1(VALU_DEP_1)
	v_bfe_u32 v11, v10, 16, 1
	v_add3_u32 v10, v10, v11, 0x7fff
	s_delay_alu instid0(VALU_DEP_1) | instskip(NEXT) | instid1(VALU_DEP_1)
	v_lshrrev_b32_e32 v10, 16, v10
	v_cndmask_b32_e32 v9, 0x7fc0, v10, vcc_lo
.LBB537_1653:
	s_mov_b32 s6, 0
.LBB537_1654:
	s_delay_alu instid0(SALU_CYCLE_1)
	s_and_not1_b32 vcc_lo, exec_lo, s6
	s_cbranch_vccnz .LBB537_1665
; %bb.1655:
	v_cmp_lt_i16_e64 s6, s10, 6
	s_delay_alu instid0(VALU_DEP_1)
	s_and_b32 vcc_lo, exec_lo, s6
	s_cbranch_vccnz .LBB537_1658
; %bb.1656:
	v_cmp_gt_i16_e64 s6, s10, 6
	s_delay_alu instid0(VALU_DEP_1)
	s_and_b32 vcc_lo, exec_lo, s6
	s_cbranch_vccz .LBB537_1659
; %bb.1657:
	global_load_b64 v[9:10], v[4:5], off
	s_mov_b32 s6, 0
	s_waitcnt vmcnt(0)
	v_cvt_f32_f64_e32 v9, v[9:10]
	s_delay_alu instid0(VALU_DEP_1) | instskip(SKIP_1) | instid1(VALU_DEP_2)
	v_bfe_u32 v10, v9, 16, 1
	v_cmp_o_f32_e32 vcc_lo, v9, v9
	v_add3_u32 v10, v9, v10, 0x7fff
	s_delay_alu instid0(VALU_DEP_1) | instskip(NEXT) | instid1(VALU_DEP_1)
	v_lshrrev_b32_e32 v10, 16, v10
	v_cndmask_b32_e32 v9, 0x7fc0, v10, vcc_lo
	s_branch .LBB537_1660
.LBB537_1658:
	s_mov_b32 s6, -1
                                        ; implicit-def: $vgpr9
	s_branch .LBB537_1663
.LBB537_1659:
	s_mov_b32 s6, -1
                                        ; implicit-def: $vgpr9
.LBB537_1660:
	s_delay_alu instid0(SALU_CYCLE_1)
	s_and_not1_b32 vcc_lo, exec_lo, s6
	s_cbranch_vccnz .LBB537_1662
; %bb.1661:
	global_load_b32 v9, v[4:5], off
	s_waitcnt vmcnt(0)
	v_bfe_u32 v10, v9, 16, 1
	v_cmp_o_f32_e32 vcc_lo, v9, v9
	s_delay_alu instid0(VALU_DEP_2) | instskip(NEXT) | instid1(VALU_DEP_1)
	v_add3_u32 v10, v9, v10, 0x7fff
	v_lshrrev_b32_e32 v10, 16, v10
	s_delay_alu instid0(VALU_DEP_1)
	v_cndmask_b32_e32 v9, 0x7fc0, v10, vcc_lo
.LBB537_1662:
	s_mov_b32 s6, 0
.LBB537_1663:
	s_delay_alu instid0(SALU_CYCLE_1)
	s_and_not1_b32 vcc_lo, exec_lo, s6
	s_cbranch_vccnz .LBB537_1665
; %bb.1664:
	global_load_u16 v9, v[4:5], off
	s_waitcnt vmcnt(0)
	v_cvt_f32_f16_e32 v10, v9
	v_cmp_o_f16_e32 vcc_lo, v9, v9
	s_delay_alu instid0(VALU_DEP_2) | instskip(NEXT) | instid1(VALU_DEP_1)
	v_bfe_u32 v11, v10, 16, 1
	v_add3_u32 v10, v10, v11, 0x7fff
	s_delay_alu instid0(VALU_DEP_1) | instskip(NEXT) | instid1(VALU_DEP_1)
	v_lshrrev_b32_e32 v10, 16, v10
	v_cndmask_b32_e32 v9, 0x7fc0, v10, vcc_lo
.LBB537_1665:
	s_mov_b32 s6, 0
.LBB537_1666:
	s_delay_alu instid0(SALU_CYCLE_1)
	s_and_not1_b32 vcc_lo, exec_lo, s6
	s_cbranch_vccnz .LBB537_1686
; %bb.1667:
	v_cmp_lt_i16_e64 s6, s10, 2
	s_delay_alu instid0(VALU_DEP_1)
	s_and_b32 vcc_lo, exec_lo, s6
	s_cbranch_vccnz .LBB537_1671
; %bb.1668:
	v_cmp_lt_i16_e64 s6, s10, 3
	s_delay_alu instid0(VALU_DEP_1)
	s_and_b32 vcc_lo, exec_lo, s6
	s_cbranch_vccnz .LBB537_1672
; %bb.1669:
	v_cmp_gt_i16_e64 s6, s10, 3
	s_delay_alu instid0(VALU_DEP_1)
	s_and_b32 vcc_lo, exec_lo, s6
	s_cbranch_vccz .LBB537_1673
; %bb.1670:
	global_load_b64 v[9:10], v[4:5], off
	s_mov_b32 s6, 0
	s_waitcnt vmcnt(0)
	v_xor_b32_e32 v11, v9, v10
	v_cls_i32_e32 v12, v10
	s_delay_alu instid0(VALU_DEP_2) | instskip(NEXT) | instid1(VALU_DEP_2)
	v_ashrrev_i32_e32 v11, 31, v11
	v_add_nc_u32_e32 v12, -1, v12
	s_delay_alu instid0(VALU_DEP_2) | instskip(NEXT) | instid1(VALU_DEP_1)
	v_add_nc_u32_e32 v11, 32, v11
	v_min_u32_e32 v11, v12, v11
	s_delay_alu instid0(VALU_DEP_1) | instskip(NEXT) | instid1(VALU_DEP_1)
	v_lshlrev_b64 v[9:10], v11, v[9:10]
	v_min_u32_e32 v9, 1, v9
	s_delay_alu instid0(VALU_DEP_1) | instskip(SKIP_1) | instid1(VALU_DEP_2)
	v_or_b32_e32 v9, v10, v9
	v_sub_nc_u32_e32 v10, 32, v11
	v_cvt_f32_i32_e32 v9, v9
	s_delay_alu instid0(VALU_DEP_1) | instskip(NEXT) | instid1(VALU_DEP_1)
	v_ldexp_f32 v9, v9, v10
	v_bfe_u32 v10, v9, 16, 1
	s_delay_alu instid0(VALU_DEP_1) | instskip(NEXT) | instid1(VALU_DEP_1)
	v_add3_u32 v9, v9, v10, 0x7fff
	v_lshrrev_b32_e32 v9, 16, v9
	s_branch .LBB537_1674
.LBB537_1671:
	s_mov_b32 s6, -1
                                        ; implicit-def: $vgpr9
	s_branch .LBB537_1680
.LBB537_1672:
	s_mov_b32 s6, -1
                                        ; implicit-def: $vgpr9
	s_branch .LBB537_1677
.LBB537_1673:
	s_mov_b32 s6, -1
                                        ; implicit-def: $vgpr9
.LBB537_1674:
	s_delay_alu instid0(SALU_CYCLE_1)
	s_and_not1_b32 vcc_lo, exec_lo, s6
	s_cbranch_vccnz .LBB537_1676
; %bb.1675:
	global_load_b32 v9, v[4:5], off
	s_waitcnt vmcnt(0)
	v_cvt_f32_i32_e32 v9, v9
	s_delay_alu instid0(VALU_DEP_1) | instskip(NEXT) | instid1(VALU_DEP_1)
	v_bfe_u32 v10, v9, 16, 1
	v_add3_u32 v9, v9, v10, 0x7fff
	s_delay_alu instid0(VALU_DEP_1)
	v_lshrrev_b32_e32 v9, 16, v9
.LBB537_1676:
	s_mov_b32 s6, 0
.LBB537_1677:
	s_delay_alu instid0(SALU_CYCLE_1)
	s_and_not1_b32 vcc_lo, exec_lo, s6
	s_cbranch_vccnz .LBB537_1679
; %bb.1678:
	global_load_i16 v9, v[4:5], off
	s_waitcnt vmcnt(0)
	v_cvt_f32_i32_e32 v9, v9
	s_delay_alu instid0(VALU_DEP_1) | instskip(NEXT) | instid1(VALU_DEP_1)
	v_bfe_u32 v10, v9, 16, 1
	v_add3_u32 v9, v9, v10, 0x7fff
	s_delay_alu instid0(VALU_DEP_1)
	v_lshrrev_b32_e32 v9, 16, v9
.LBB537_1679:
	s_mov_b32 s6, 0
.LBB537_1680:
	s_delay_alu instid0(SALU_CYCLE_1)
	s_and_not1_b32 vcc_lo, exec_lo, s6
	s_cbranch_vccnz .LBB537_1686
; %bb.1681:
	v_cmp_gt_i16_e64 s6, s10, 0
	s_delay_alu instid0(VALU_DEP_1)
	s_and_b32 vcc_lo, exec_lo, s6
	s_mov_b32 s6, 0
	s_cbranch_vccz .LBB537_1683
; %bb.1682:
	global_load_i8 v9, v[4:5], off
	s_waitcnt vmcnt(0)
	v_cvt_f32_i32_e32 v9, v9
	s_delay_alu instid0(VALU_DEP_1) | instskip(NEXT) | instid1(VALU_DEP_1)
	v_bfe_u32 v10, v9, 16, 1
	v_add3_u32 v9, v9, v10, 0x7fff
	s_delay_alu instid0(VALU_DEP_1)
	v_lshrrev_b32_e32 v9, 16, v9
	s_branch .LBB537_1684
.LBB537_1683:
	s_mov_b32 s6, -1
                                        ; implicit-def: $vgpr9
.LBB537_1684:
	s_delay_alu instid0(SALU_CYCLE_1)
	s_and_not1_b32 vcc_lo, exec_lo, s6
	s_cbranch_vccnz .LBB537_1686
; %bb.1685:
	global_load_u8 v4, v[4:5], off
	s_waitcnt vmcnt(0)
	v_cvt_f32_ubyte0_e32 v4, v4
	s_delay_alu instid0(VALU_DEP_1) | instskip(NEXT) | instid1(VALU_DEP_1)
	v_bfe_u32 v5, v4, 16, 1
	v_add3_u32 v4, v4, v5, 0x7fff
	s_delay_alu instid0(VALU_DEP_1)
	v_lshrrev_b32_e32 v9, 16, v4
.LBB537_1686:
	s_mov_b32 s12, -1
.LBB537_1687:
	s_delay_alu instid0(SALU_CYCLE_1)
	s_and_not1_b32 vcc_lo, exec_lo, s12
	s_cbranch_vccnz .LBB537_2122
; %bb.1688:
	s_waitcnt vmcnt(0)
	v_dual_mov_b32 v5, s11 :: v_dual_lshlrev_b32 v4, 16, v9
	s_mov_b32 s6, exec_lo
	s_delay_alu instid0(VALU_DEP_1)
	v_cmpx_o_f32_e32 v4, v4
	s_cbranch_execz .LBB537_1692
; %bb.1689:
	s_load_b32 s0, s[0:1], 0x160
	s_waitcnt lgkmcnt(0)
	s_lshr_b32 s0, s0, 16
	s_delay_alu instid0(SALU_CYCLE_1)
	v_mov_b32_e32 v5, s0
	s_mov_b32 s0, exec_lo
	v_cmpx_neq_f32_e32 0x7f800000, v4
	s_cbranch_execz .LBB537_1691
; %bb.1690:
	s_load_b32 s1, s[16:17], 0x15c
	v_cmp_eq_f32_e32 vcc_lo, 0xff800000, v4
	s_waitcnt lgkmcnt(0)
	v_cndmask_b32_e64 v5, v9, s1, vcc_lo
.LBB537_1691:
	s_or_b32 exec_lo, exec_lo, s0
.LBB537_1692:
	s_delay_alu instid0(SALU_CYCLE_1) | instskip(SKIP_4) | instid1(VALU_DEP_1)
	s_or_b32 exec_lo, exec_lo, s6
	s_lshr_b32 s0, s3, 16
	s_mov_b32 s3, 0
	v_and_b32_e64 v9, 0xff, s0
	v_add_co_u32 v3, s0, s4, v3
	v_add_co_ci_u32_e64 v4, null, s5, 0, s0
	s_delay_alu instid0(VALU_DEP_3)
	v_cmp_gt_i16_e32 vcc_lo, 11, v9
	s_mov_b32 s0, -1
	s_cbranch_vccnz .LBB537_1770
; %bb.1693:
	v_cmp_lt_i16_e32 vcc_lo, 25, v9
	s_mov_b32 s6, -1
	s_mov_b32 s1, 0
	s_mov_b32 s0, 0
	s_cbranch_vccz .LBB537_1726
; %bb.1694:
	v_cmp_lt_i16_e32 vcc_lo, 28, v9
	s_cbranch_vccz .LBB537_1709
; %bb.1695:
	v_cmp_lt_i16_e32 vcc_lo, 43, v9
	;; [unrolled: 3-line block ×3, first 2 shown]
	s_cbranch_vccz .LBB537_1699
; %bb.1697:
	v_cmp_eq_u16_e32 vcc_lo, 46, v9
	s_mov_b32 s0, -1
	s_mov_b32 s6, 0
	s_cbranch_vccz .LBB537_1699
; %bb.1698:
	v_and_b32_e32 v10, 0xffff, v8
	s_mov_b32 s0, 0
	s_mov_b32 s3, -1
	global_store_b32 v[3:4], v10, off
.LBB537_1699:
	s_and_b32 vcc_lo, exec_lo, s6
	s_cbranch_vccz .LBB537_1704
; %bb.1700:
	v_cmp_eq_u16_e32 vcc_lo, 44, v9
	s_mov_b32 s0, -1
	s_cbranch_vccz .LBB537_1704
; %bb.1701:
	v_and_b32_e32 v10, 0xffff, v8
	v_mov_b32_e32 v11, 0xff
	s_mov_b32 s3, exec_lo
	s_delay_alu instid0(VALU_DEP_2) | instskip(NEXT) | instid1(VALU_DEP_1)
	v_bfe_u32 v12, v10, 7, 8
	v_cmpx_ne_u32_e32 0xff, v12
; %bb.1702:
	v_lshlrev_b32_e32 v11, 16, v10
	v_and_b32_e32 v13, 64, v10
	v_lshrrev_b32_e32 v10, 7, v10
	s_delay_alu instid0(VALU_DEP_3) | instskip(NEXT) | instid1(VALU_DEP_3)
	v_and_or_b32 v11, 0x3f0000, v11, v12
	v_cmp_ne_u32_e32 vcc_lo, 0, v13
	s_delay_alu instid0(VALU_DEP_2) | instskip(NEXT) | instid1(VALU_DEP_1)
	v_cmp_ne_u32_e64 s0, 0, v11
	s_and_b32 s0, vcc_lo, s0
	s_delay_alu instid0(SALU_CYCLE_1) | instskip(NEXT) | instid1(VALU_DEP_1)
	v_cndmask_b32_e64 v11, 0, 1, s0
	v_add_nc_u32_e32 v11, v10, v11
; %bb.1703:
	s_or_b32 exec_lo, exec_lo, s3
	s_mov_b32 s0, 0
	s_mov_b32 s3, -1
	global_store_b8 v[3:4], v11, off
.LBB537_1704:
	s_mov_b32 s6, 0
.LBB537_1705:
	s_delay_alu instid0(SALU_CYCLE_1)
	s_and_b32 vcc_lo, exec_lo, s6
	s_cbranch_vccz .LBB537_1708
; %bb.1706:
	v_cmp_eq_u16_e32 vcc_lo, 29, v9
	s_mov_b32 s0, -1
	s_cbranch_vccz .LBB537_1708
; %bb.1707:
	v_lshlrev_b32_e32 v10, 16, v8
	s_mov_b32 s0, 0
	s_mov_b32 s3, -1
	s_delay_alu instid0(VALU_DEP_1) | instskip(NEXT) | instid1(VALU_DEP_1)
	v_trunc_f32_e32 v10, v10
	v_mul_f32_e32 v11, 0x2f800000, v10
	s_delay_alu instid0(VALU_DEP_1) | instskip(NEXT) | instid1(VALU_DEP_1)
	v_floor_f32_e32 v11, v11
	v_fmamk_f32 v10, v11, 0xcf800000, v10
	v_cvt_u32_f32_e32 v11, v11
	s_delay_alu instid0(VALU_DEP_2)
	v_cvt_u32_f32_e32 v10, v10
	global_store_b64 v[3:4], v[10:11], off
.LBB537_1708:
	s_mov_b32 s6, 0
.LBB537_1709:
	s_delay_alu instid0(SALU_CYCLE_1)
	s_and_b32 vcc_lo, exec_lo, s6
	s_cbranch_vccz .LBB537_1725
; %bb.1710:
	v_cmp_gt_i16_e32 vcc_lo, 27, v9
	s_mov_b32 s3, -1
	s_cbranch_vccnz .LBB537_1716
; %bb.1711:
	v_cmp_lt_i16_e32 vcc_lo, 27, v9
	s_cbranch_vccz .LBB537_1713
; %bb.1712:
	v_lshlrev_b32_e32 v10, 16, v8
	s_mov_b32 s3, 0
	s_delay_alu instid0(VALU_DEP_1)
	v_cvt_u32_f32_e32 v10, v10
	global_store_b32 v[3:4], v10, off
.LBB537_1713:
	s_and_not1_b32 vcc_lo, exec_lo, s3
	s_cbranch_vccnz .LBB537_1715
; %bb.1714:
	v_lshlrev_b32_e32 v10, 16, v8
	s_delay_alu instid0(VALU_DEP_1)
	v_cvt_u32_f32_e32 v10, v10
	global_store_b16 v[3:4], v10, off
.LBB537_1715:
	s_mov_b32 s3, 0
.LBB537_1716:
	s_delay_alu instid0(SALU_CYCLE_1)
	s_and_not1_b32 vcc_lo, exec_lo, s3
	s_cbranch_vccnz .LBB537_1724
; %bb.1717:
	v_dual_mov_b32 v13, 0x80 :: v_dual_lshlrev_b32 v12, 16, v8
	s_mov_b32 s3, exec_lo
	s_delay_alu instid0(VALU_DEP_1) | instskip(NEXT) | instid1(VALU_DEP_1)
	v_and_b32_e32 v11, 0x7fffffff, v12
	v_cmpx_gt_u32_e32 0x43800000, v11
	s_cbranch_execz .LBB537_1723
; %bb.1718:
	v_and_b32_e32 v10, 0xffff, v8
	v_cmp_lt_u32_e32 vcc_lo, 0x3bffffff, v11
	s_mov_b32 s6, 0
                                        ; implicit-def: $vgpr11
	s_and_saveexec_b32 s7, vcc_lo
	s_delay_alu instid0(SALU_CYCLE_1)
	s_xor_b32 s7, exec_lo, s7
	s_cbranch_execz .LBB537_2170
; %bb.1719:
	v_bfe_u32 v11, v10, 4, 1
	s_mov_b32 s6, exec_lo
	s_delay_alu instid0(VALU_DEP_1) | instskip(NEXT) | instid1(VALU_DEP_1)
	v_add3_u32 v11, v12, v11, 0x487ffff
                                        ; implicit-def: $vgpr12
	v_lshrrev_b32_e32 v11, 20, v11
	s_or_saveexec_b32 s7, s7
                                        ; implicit-def: $sgpr10
	s_delay_alu instid0(SALU_CYCLE_1)
	s_xor_b32 exec_lo, exec_lo, s7
	s_cbranch_execnz .LBB537_2171
.LBB537_1720:
	s_or_b32 exec_lo, exec_lo, s7
	v_mov_b32_e32 v13, s10
	s_and_saveexec_b32 s7, s6
.LBB537_1721:
	v_lshrrev_b32_e32 v10, 8, v10
	s_delay_alu instid0(VALU_DEP_1)
	v_and_or_b32 v13, 0x80, v10, v11
.LBB537_1722:
	s_or_b32 exec_lo, exec_lo, s7
.LBB537_1723:
	s_delay_alu instid0(SALU_CYCLE_1)
	s_or_b32 exec_lo, exec_lo, s3
	global_store_b8 v[3:4], v13, off
.LBB537_1724:
	s_mov_b32 s3, -1
.LBB537_1725:
	s_mov_b32 s6, 0
.LBB537_1726:
	s_delay_alu instid0(SALU_CYCLE_1)
	s_and_b32 vcc_lo, exec_lo, s6
	s_cbranch_vccz .LBB537_1766
; %bb.1727:
	v_cmp_lt_i16_e32 vcc_lo, 22, v9
	s_mov_b32 s1, -1
	s_cbranch_vccz .LBB537_1759
; %bb.1728:
	v_cmp_gt_i16_e32 vcc_lo, 24, v9
	s_cbranch_vccnz .LBB537_1748
; %bb.1729:
	v_cmp_lt_i16_e32 vcc_lo, 24, v9
	s_cbranch_vccz .LBB537_1737
; %bb.1730:
	v_dual_mov_b32 v13, 0x80 :: v_dual_lshlrev_b32 v12, 16, v8
	s_mov_b32 s1, exec_lo
	s_delay_alu instid0(VALU_DEP_1) | instskip(NEXT) | instid1(VALU_DEP_1)
	v_and_b32_e32 v11, 0x7fffffff, v12
	v_cmpx_gt_u32_e32 0x47800000, v11
	s_cbranch_execz .LBB537_1736
; %bb.1731:
	v_and_b32_e32 v10, 0xffff, v8
	v_cmp_lt_u32_e32 vcc_lo, 0x37ffffff, v11
	s_mov_b32 s3, 0
                                        ; implicit-def: $vgpr11
	s_and_saveexec_b32 s6, vcc_lo
	s_delay_alu instid0(SALU_CYCLE_1)
	s_xor_b32 s6, exec_lo, s6
	s_cbranch_execz .LBB537_2176
; %bb.1732:
	v_bfe_u32 v11, v10, 5, 1
	s_mov_b32 s3, exec_lo
	s_delay_alu instid0(VALU_DEP_1) | instskip(NEXT) | instid1(VALU_DEP_1)
	v_add3_u32 v11, v12, v11, 0x88fffff
                                        ; implicit-def: $vgpr12
	v_lshrrev_b32_e32 v11, 21, v11
	s_or_saveexec_b32 s6, s6
                                        ; implicit-def: $sgpr7
	s_delay_alu instid0(SALU_CYCLE_1)
	s_xor_b32 exec_lo, exec_lo, s6
	s_cbranch_execnz .LBB537_2177
.LBB537_1733:
	s_or_b32 exec_lo, exec_lo, s6
	v_mov_b32_e32 v13, s7
	s_and_saveexec_b32 s6, s3
.LBB537_1734:
	v_lshrrev_b32_e32 v10, 8, v10
	s_delay_alu instid0(VALU_DEP_1)
	v_and_or_b32 v13, 0x80, v10, v11
.LBB537_1735:
	s_or_b32 exec_lo, exec_lo, s6
.LBB537_1736:
	s_delay_alu instid0(SALU_CYCLE_1)
	s_or_b32 exec_lo, exec_lo, s1
	s_mov_b32 s1, 0
	global_store_b8 v[3:4], v13, off
.LBB537_1737:
	s_and_b32 vcc_lo, exec_lo, s1
	s_cbranch_vccz .LBB537_1747
; %bb.1738:
	v_lshlrev_b32_e32 v12, 16, v8
	v_and_b32_e32 v10, 0xffff, v8
	s_mov_b32 s1, exec_lo
                                        ; implicit-def: $vgpr11
	s_delay_alu instid0(VALU_DEP_2) | instskip(NEXT) | instid1(VALU_DEP_1)
	v_and_b32_e32 v13, 0x7fffffff, v12
	v_cmpx_gt_u32_e32 0x43f00000, v13
	s_xor_b32 s1, exec_lo, s1
	s_cbranch_execz .LBB537_1744
; %bb.1739:
	s_mov_b32 s3, exec_lo
                                        ; implicit-def: $vgpr11
	v_cmpx_lt_u32_e32 0x3c7fffff, v13
	s_xor_b32 s3, exec_lo, s3
; %bb.1740:
	v_bfe_u32 v11, v10, 4, 1
	s_delay_alu instid0(VALU_DEP_1) | instskip(NEXT) | instid1(VALU_DEP_1)
	v_add3_u32 v11, v12, v11, 0x407ffff
	v_and_b32_e32 v12, 0xff00000, v11
	v_lshrrev_b32_e32 v11, 20, v11
	s_delay_alu instid0(VALU_DEP_2) | instskip(NEXT) | instid1(VALU_DEP_2)
	v_cmp_ne_u32_e32 vcc_lo, 0x7f00000, v12
                                        ; implicit-def: $vgpr12
	v_cndmask_b32_e32 v11, 0x7e, v11, vcc_lo
; %bb.1741:
	s_and_not1_saveexec_b32 s3, s3
; %bb.1742:
	v_add_f32_e64 v11, 0x46800000, |v12|
; %bb.1743:
	s_or_b32 exec_lo, exec_lo, s3
                                        ; implicit-def: $vgpr13
.LBB537_1744:
	s_and_not1_saveexec_b32 s1, s1
; %bb.1745:
	v_mov_b32_e32 v11, 0x7f
	v_cmp_lt_u32_e32 vcc_lo, 0x7f800000, v13
	s_delay_alu instid0(VALU_DEP_2)
	v_cndmask_b32_e32 v11, 0x7e, v11, vcc_lo
; %bb.1746:
	s_or_b32 exec_lo, exec_lo, s1
	v_lshrrev_b32_e32 v10, 8, v10
	s_delay_alu instid0(VALU_DEP_1)
	v_and_or_b32 v10, 0x80, v10, v11
	global_store_b8 v[3:4], v10, off
.LBB537_1747:
	s_mov_b32 s1, 0
.LBB537_1748:
	s_delay_alu instid0(SALU_CYCLE_1)
	s_and_not1_b32 vcc_lo, exec_lo, s1
	s_cbranch_vccnz .LBB537_1758
; %bb.1749:
	v_lshlrev_b32_e32 v12, 16, v8
	v_and_b32_e32 v10, 0xffff, v8
	s_mov_b32 s1, exec_lo
                                        ; implicit-def: $vgpr11
	s_delay_alu instid0(VALU_DEP_2) | instskip(NEXT) | instid1(VALU_DEP_1)
	v_and_b32_e32 v13, 0x7fffffff, v12
	v_cmpx_gt_u32_e32 0x47800000, v13
	s_xor_b32 s1, exec_lo, s1
	s_cbranch_execz .LBB537_1755
; %bb.1750:
	s_mov_b32 s3, exec_lo
                                        ; implicit-def: $vgpr11
	v_cmpx_lt_u32_e32 0x387fffff, v13
	s_xor_b32 s3, exec_lo, s3
; %bb.1751:
	v_bfe_u32 v11, v10, 5, 1
	s_delay_alu instid0(VALU_DEP_1) | instskip(NEXT) | instid1(VALU_DEP_1)
	v_add3_u32 v11, v12, v11, 0x80fffff
                                        ; implicit-def: $vgpr12
	v_lshrrev_b32_e32 v11, 21, v11
; %bb.1752:
	s_and_not1_saveexec_b32 s3, s3
; %bb.1753:
	v_add_f32_e64 v11, 0x43000000, |v12|
; %bb.1754:
	s_or_b32 exec_lo, exec_lo, s3
                                        ; implicit-def: $vgpr13
.LBB537_1755:
	s_and_not1_saveexec_b32 s1, s1
; %bb.1756:
	v_mov_b32_e32 v11, 0x7f
	v_cmp_lt_u32_e32 vcc_lo, 0x7f800000, v13
	s_delay_alu instid0(VALU_DEP_2)
	v_cndmask_b32_e32 v11, 0x7c, v11, vcc_lo
; %bb.1757:
	s_or_b32 exec_lo, exec_lo, s1
	v_lshrrev_b32_e32 v10, 8, v10
	s_delay_alu instid0(VALU_DEP_1)
	v_and_or_b32 v10, 0x80, v10, v11
	global_store_b8 v[3:4], v10, off
.LBB537_1758:
	s_mov_b32 s1, 0
	s_mov_b32 s3, -1
.LBB537_1759:
	s_and_not1_b32 vcc_lo, exec_lo, s1
	s_mov_b32 s1, 0
	s_cbranch_vccnz .LBB537_1766
; %bb.1760:
	v_cmp_lt_i16_e32 vcc_lo, 14, v9
	s_mov_b32 s1, -1
	s_cbranch_vccz .LBB537_1764
; %bb.1761:
	v_cmp_eq_u16_e32 vcc_lo, 15, v9
	s_mov_b32 s0, -1
	s_cbranch_vccz .LBB537_1763
; %bb.1762:
	s_mov_b32 s0, 0
	s_mov_b32 s3, -1
	global_store_b16 v[3:4], v8, off
.LBB537_1763:
	s_mov_b32 s1, 0
.LBB537_1764:
	s_delay_alu instid0(SALU_CYCLE_1)
	s_and_b32 vcc_lo, exec_lo, s1
	s_mov_b32 s1, 0
	s_cbranch_vccz .LBB537_1766
; %bb.1765:
	v_cmp_ne_u16_e64 s0, 11, v9
	s_mov_b32 s1, -1
.LBB537_1766:
	s_delay_alu instid0(VALU_DEP_1)
	s_and_b32 vcc_lo, exec_lo, s0
	s_cbranch_vccnz .LBB537_2174
; %bb.1767:
	s_and_not1_b32 vcc_lo, exec_lo, s1
	s_cbranch_vccnz .LBB537_1769
.LBB537_1768:
	v_and_b32_e32 v10, 0x7fff, v8
	s_mov_b32 s3, -1
	s_delay_alu instid0(VALU_DEP_1)
	v_cmp_ne_u16_e32 vcc_lo, 0, v10
	v_cndmask_b32_e64 v10, 0, 1, vcc_lo
	global_store_b8 v[3:4], v10, off
.LBB537_1769:
	s_mov_b32 s0, 0
.LBB537_1770:
	s_delay_alu instid0(SALU_CYCLE_1)
	s_and_b32 vcc_lo, exec_lo, s0
	s_cbranch_vccz .LBB537_1809
; %bb.1771:
	v_cmp_gt_i16_e32 vcc_lo, 5, v9
	s_mov_b32 s0, -1
	s_cbranch_vccnz .LBB537_1792
; %bb.1772:
	v_cmp_gt_i16_e32 vcc_lo, 8, v9
	s_cbranch_vccnz .LBB537_1782
; %bb.1773:
	v_cmp_gt_i16_e32 vcc_lo, 9, v9
	s_cbranch_vccnz .LBB537_1779
; %bb.1774:
	v_cmp_lt_i16_e32 vcc_lo, 9, v9
	s_cbranch_vccz .LBB537_1776
; %bb.1775:
	v_mov_b32_e32 v12, 0
	v_lshlrev_b32_e32 v10, 16, v8
	s_mov_b32 s0, 0
	s_delay_alu instid0(VALU_DEP_2) | instskip(NEXT) | instid1(VALU_DEP_2)
	v_mov_b32_e32 v13, v12
	v_cvt_f64_f32_e32 v[10:11], v10
	global_store_b128 v[3:4], v[10:13], off
.LBB537_1776:
	s_and_not1_b32 vcc_lo, exec_lo, s0
	s_cbranch_vccnz .LBB537_1778
; %bb.1777:
	v_dual_mov_b32 v11, 0 :: v_dual_lshlrev_b32 v10, 16, v8
	global_store_b64 v[3:4], v[10:11], off
.LBB537_1778:
	s_mov_b32 s0, 0
.LBB537_1779:
	s_delay_alu instid0(SALU_CYCLE_1)
	s_and_not1_b32 vcc_lo, exec_lo, s0
	s_cbranch_vccnz .LBB537_1781
; %bb.1780:
	v_lshlrev_b32_e32 v10, 16, v8
	s_delay_alu instid0(VALU_DEP_1) | instskip(NEXT) | instid1(VALU_DEP_1)
	v_cvt_f16_f32_e32 v10, v10
	v_and_b32_e32 v10, 0xffff, v10
	global_store_b32 v[3:4], v10, off
.LBB537_1781:
	s_mov_b32 s0, 0
.LBB537_1782:
	s_delay_alu instid0(SALU_CYCLE_1)
	s_and_not1_b32 vcc_lo, exec_lo, s0
	s_cbranch_vccnz .LBB537_1791
; %bb.1783:
	v_cmp_gt_i16_e32 vcc_lo, 6, v9
	s_mov_b32 s0, -1
	s_cbranch_vccnz .LBB537_1789
; %bb.1784:
	v_cmp_lt_i16_e32 vcc_lo, 6, v9
	s_cbranch_vccz .LBB537_1786
; %bb.1785:
	v_lshlrev_b32_e32 v10, 16, v8
	s_mov_b32 s0, 0
	s_delay_alu instid0(VALU_DEP_1)
	v_cvt_f64_f32_e32 v[10:11], v10
	global_store_b64 v[3:4], v[10:11], off
.LBB537_1786:
	s_and_not1_b32 vcc_lo, exec_lo, s0
	s_cbranch_vccnz .LBB537_1788
; %bb.1787:
	v_lshlrev_b32_e32 v10, 16, v8
	global_store_b32 v[3:4], v10, off
.LBB537_1788:
	s_mov_b32 s0, 0
.LBB537_1789:
	s_delay_alu instid0(SALU_CYCLE_1)
	s_and_not1_b32 vcc_lo, exec_lo, s0
	s_cbranch_vccnz .LBB537_1791
; %bb.1790:
	v_lshlrev_b32_e32 v10, 16, v8
	s_delay_alu instid0(VALU_DEP_1)
	v_cvt_f16_f32_e32 v10, v10
	global_store_b16 v[3:4], v10, off
.LBB537_1791:
	s_mov_b32 s0, 0
.LBB537_1792:
	s_delay_alu instid0(SALU_CYCLE_1)
	s_and_not1_b32 vcc_lo, exec_lo, s0
	s_cbranch_vccnz .LBB537_1808
; %bb.1793:
	v_cmp_gt_i16_e32 vcc_lo, 2, v9
	s_mov_b32 s0, -1
	s_cbranch_vccnz .LBB537_1803
; %bb.1794:
	v_cmp_gt_i16_e32 vcc_lo, 3, v9
	s_cbranch_vccnz .LBB537_1800
; %bb.1795:
	v_cmp_lt_i16_e32 vcc_lo, 3, v9
	s_cbranch_vccz .LBB537_1797
; %bb.1796:
	v_lshlrev_b32_e32 v10, 16, v8
	s_mov_b32 s0, 0
	s_delay_alu instid0(VALU_DEP_1) | instskip(NEXT) | instid1(VALU_DEP_1)
	v_trunc_f32_e32 v10, v10
	v_mul_f32_e64 v11, 0x2f800000, |v10|
	v_ashrrev_i32_e32 v13, 31, v10
	s_delay_alu instid0(VALU_DEP_2) | instskip(NEXT) | instid1(VALU_DEP_1)
	v_floor_f32_e32 v11, v11
	v_fma_f32 v12, 0xcf800000, v11, |v10|
	v_cvt_u32_f32_e32 v11, v11
	s_delay_alu instid0(VALU_DEP_2) | instskip(NEXT) | instid1(VALU_DEP_2)
	v_cvt_u32_f32_e32 v10, v12
	v_xor_b32_e32 v11, v11, v13
	s_delay_alu instid0(VALU_DEP_2) | instskip(NEXT) | instid1(VALU_DEP_1)
	v_xor_b32_e32 v10, v10, v13
	v_sub_co_u32 v10, vcc_lo, v10, v13
	s_delay_alu instid0(VALU_DEP_3)
	v_sub_co_ci_u32_e32 v11, vcc_lo, v11, v13, vcc_lo
	global_store_b64 v[3:4], v[10:11], off
.LBB537_1797:
	s_and_not1_b32 vcc_lo, exec_lo, s0
	s_cbranch_vccnz .LBB537_1799
; %bb.1798:
	v_lshlrev_b32_e32 v10, 16, v8
	s_delay_alu instid0(VALU_DEP_1)
	v_cvt_i32_f32_e32 v10, v10
	global_store_b32 v[3:4], v10, off
.LBB537_1799:
	s_mov_b32 s0, 0
.LBB537_1800:
	s_delay_alu instid0(SALU_CYCLE_1)
	s_and_not1_b32 vcc_lo, exec_lo, s0
	s_cbranch_vccnz .LBB537_1802
; %bb.1801:
	v_lshlrev_b32_e32 v10, 16, v8
	s_delay_alu instid0(VALU_DEP_1)
	v_cvt_i32_f32_e32 v10, v10
	global_store_b16 v[3:4], v10, off
.LBB537_1802:
	s_mov_b32 s0, 0
.LBB537_1803:
	s_delay_alu instid0(SALU_CYCLE_1)
	s_and_not1_b32 vcc_lo, exec_lo, s0
	s_cbranch_vccnz .LBB537_1808
; %bb.1804:
	v_cmp_lt_i16_e32 vcc_lo, 0, v9
	s_mov_b32 s0, -1
	s_cbranch_vccz .LBB537_1806
; %bb.1805:
	v_lshlrev_b32_e32 v10, 16, v8
	s_mov_b32 s0, 0
	s_delay_alu instid0(VALU_DEP_1)
	v_cvt_i32_f32_e32 v10, v10
	global_store_b8 v[3:4], v10, off
.LBB537_1806:
	s_and_not1_b32 vcc_lo, exec_lo, s0
	s_cbranch_vccnz .LBB537_1808
; %bb.1807:
	v_lshlrev_b32_e32 v8, 16, v8
	s_delay_alu instid0(VALU_DEP_1) | instskip(NEXT) | instid1(VALU_DEP_1)
	v_trunc_f32_e32 v8, v8
	v_mul_f32_e64 v10, 0x2f800000, |v8|
	s_delay_alu instid0(VALU_DEP_1) | instskip(NEXT) | instid1(VALU_DEP_1)
	v_floor_f32_e32 v10, v10
	v_fma_f32 v10, 0xcf800000, v10, |v8|
	v_ashrrev_i32_e32 v8, 31, v8
	s_delay_alu instid0(VALU_DEP_2) | instskip(NEXT) | instid1(VALU_DEP_1)
	v_cvt_u32_f32_e32 v10, v10
	v_xor_b32_e32 v10, v10, v8
	s_delay_alu instid0(VALU_DEP_1)
	v_sub_nc_u32_e32 v8, v10, v8
	global_store_b8 v[3:4], v8, off
.LBB537_1808:
	s_mov_b32 s3, -1
.LBB537_1809:
	s_delay_alu instid0(SALU_CYCLE_1)
	s_and_not1_b32 vcc_lo, exec_lo, s3
	s_cbranch_vccnz .LBB537_2167
; %bb.1810:
	v_cmp_gt_i16_e32 vcc_lo, 11, v9
	v_add_co_u32 v2, s0, s4, v2
	s_delay_alu instid0(VALU_DEP_1)
	v_add_co_ci_u32_e64 v3, null, s5, 0, s0
	s_mov_b32 s3, 0
	s_mov_b32 s0, -1
	s_cbranch_vccnz .LBB537_1888
; %bb.1811:
	v_cmp_lt_i16_e32 vcc_lo, 25, v9
	s_mov_b32 s6, -1
	s_mov_b32 s1, 0
	s_mov_b32 s0, 0
	s_cbranch_vccz .LBB537_1844
; %bb.1812:
	v_cmp_lt_i16_e32 vcc_lo, 28, v9
	s_cbranch_vccz .LBB537_1827
; %bb.1813:
	v_cmp_lt_i16_e32 vcc_lo, 43, v9
	;; [unrolled: 3-line block ×3, first 2 shown]
	s_cbranch_vccz .LBB537_1817
; %bb.1815:
	v_cmp_eq_u16_e32 vcc_lo, 46, v9
	s_mov_b32 s0, -1
	s_mov_b32 s6, 0
	s_cbranch_vccz .LBB537_1817
; %bb.1816:
	v_and_b32_e32 v4, 0xffff, v7
	s_mov_b32 s0, 0
	s_mov_b32 s3, -1
	global_store_b32 v[2:3], v4, off
.LBB537_1817:
	s_and_b32 vcc_lo, exec_lo, s6
	s_cbranch_vccz .LBB537_1822
; %bb.1818:
	v_cmp_eq_u16_e32 vcc_lo, 44, v9
	s_mov_b32 s0, -1
	s_cbranch_vccz .LBB537_1822
; %bb.1819:
	v_and_b32_e32 v4, 0xffff, v7
	v_mov_b32_e32 v8, 0xff
	s_mov_b32 s3, exec_lo
	s_delay_alu instid0(VALU_DEP_2) | instskip(NEXT) | instid1(VALU_DEP_1)
	v_bfe_u32 v10, v4, 7, 8
	v_cmpx_ne_u32_e32 0xff, v10
; %bb.1820:
	v_lshlrev_b32_e32 v8, 16, v4
	v_and_b32_e32 v11, 64, v4
	v_lshrrev_b32_e32 v4, 7, v4
	s_delay_alu instid0(VALU_DEP_3) | instskip(NEXT) | instid1(VALU_DEP_3)
	v_and_or_b32 v8, 0x3f0000, v8, v10
	v_cmp_ne_u32_e32 vcc_lo, 0, v11
	s_delay_alu instid0(VALU_DEP_2) | instskip(NEXT) | instid1(VALU_DEP_1)
	v_cmp_ne_u32_e64 s0, 0, v8
	s_and_b32 s0, vcc_lo, s0
	s_delay_alu instid0(SALU_CYCLE_1) | instskip(NEXT) | instid1(VALU_DEP_1)
	v_cndmask_b32_e64 v8, 0, 1, s0
	v_add_nc_u32_e32 v8, v4, v8
; %bb.1821:
	s_or_b32 exec_lo, exec_lo, s3
	s_mov_b32 s0, 0
	s_mov_b32 s3, -1
	global_store_b8 v[2:3], v8, off
.LBB537_1822:
	s_mov_b32 s6, 0
.LBB537_1823:
	s_delay_alu instid0(SALU_CYCLE_1)
	s_and_b32 vcc_lo, exec_lo, s6
	s_cbranch_vccz .LBB537_1826
; %bb.1824:
	v_cmp_eq_u16_e32 vcc_lo, 29, v9
	s_mov_b32 s0, -1
	s_cbranch_vccz .LBB537_1826
; %bb.1825:
	v_lshlrev_b32_e32 v4, 16, v7
	s_mov_b32 s0, 0
	s_mov_b32 s3, -1
	s_delay_alu instid0(VALU_DEP_1) | instskip(NEXT) | instid1(VALU_DEP_1)
	v_trunc_f32_e32 v4, v4
	v_mul_f32_e32 v8, 0x2f800000, v4
	s_delay_alu instid0(VALU_DEP_1) | instskip(NEXT) | instid1(VALU_DEP_1)
	v_floor_f32_e32 v8, v8
	v_fmamk_f32 v4, v8, 0xcf800000, v4
	v_cvt_u32_f32_e32 v11, v8
	s_delay_alu instid0(VALU_DEP_2)
	v_cvt_u32_f32_e32 v10, v4
	global_store_b64 v[2:3], v[10:11], off
.LBB537_1826:
	s_mov_b32 s6, 0
.LBB537_1827:
	s_delay_alu instid0(SALU_CYCLE_1)
	s_and_b32 vcc_lo, exec_lo, s6
	s_cbranch_vccz .LBB537_1843
; %bb.1828:
	v_cmp_gt_i16_e32 vcc_lo, 27, v9
	s_mov_b32 s3, -1
	s_cbranch_vccnz .LBB537_1834
; %bb.1829:
	v_cmp_lt_i16_e32 vcc_lo, 27, v9
	s_cbranch_vccz .LBB537_1831
; %bb.1830:
	v_lshlrev_b32_e32 v4, 16, v7
	s_mov_b32 s3, 0
	s_delay_alu instid0(VALU_DEP_1)
	v_cvt_u32_f32_e32 v4, v4
	global_store_b32 v[2:3], v4, off
.LBB537_1831:
	s_and_not1_b32 vcc_lo, exec_lo, s3
	s_cbranch_vccnz .LBB537_1833
; %bb.1832:
	v_lshlrev_b32_e32 v4, 16, v7
	s_delay_alu instid0(VALU_DEP_1)
	v_cvt_u32_f32_e32 v4, v4
	global_store_b16 v[2:3], v4, off
.LBB537_1833:
	s_mov_b32 s3, 0
.LBB537_1834:
	s_delay_alu instid0(SALU_CYCLE_1)
	s_and_not1_b32 vcc_lo, exec_lo, s3
	s_cbranch_vccnz .LBB537_1842
; %bb.1835:
	v_dual_mov_b32 v11, 0x80 :: v_dual_lshlrev_b32 v10, 16, v7
	s_mov_b32 s3, exec_lo
	s_delay_alu instid0(VALU_DEP_1) | instskip(NEXT) | instid1(VALU_DEP_1)
	v_and_b32_e32 v8, 0x7fffffff, v10
	v_cmpx_gt_u32_e32 0x43800000, v8
	s_cbranch_execz .LBB537_1841
; %bb.1836:
	v_and_b32_e32 v4, 0xffff, v7
	v_cmp_lt_u32_e32 vcc_lo, 0x3bffffff, v8
	s_mov_b32 s6, 0
                                        ; implicit-def: $vgpr8
	s_and_saveexec_b32 s7, vcc_lo
	s_delay_alu instid0(SALU_CYCLE_1)
	s_xor_b32 s7, exec_lo, s7
	s_cbranch_execz .LBB537_2178
; %bb.1837:
	v_bfe_u32 v8, v4, 4, 1
	s_mov_b32 s6, exec_lo
	s_delay_alu instid0(VALU_DEP_1) | instskip(NEXT) | instid1(VALU_DEP_1)
	v_add3_u32 v8, v10, v8, 0x487ffff
                                        ; implicit-def: $vgpr10
	v_lshrrev_b32_e32 v8, 20, v8
	s_or_saveexec_b32 s7, s7
                                        ; implicit-def: $sgpr10
	s_delay_alu instid0(SALU_CYCLE_1)
	s_xor_b32 exec_lo, exec_lo, s7
	s_cbranch_execnz .LBB537_2179
.LBB537_1838:
	s_or_b32 exec_lo, exec_lo, s7
	v_mov_b32_e32 v11, s10
	s_and_saveexec_b32 s7, s6
.LBB537_1839:
	v_lshrrev_b32_e32 v4, 8, v4
	s_delay_alu instid0(VALU_DEP_1)
	v_and_or_b32 v11, 0x80, v4, v8
.LBB537_1840:
	s_or_b32 exec_lo, exec_lo, s7
.LBB537_1841:
	s_delay_alu instid0(SALU_CYCLE_1)
	s_or_b32 exec_lo, exec_lo, s3
	global_store_b8 v[2:3], v11, off
.LBB537_1842:
	s_mov_b32 s3, -1
.LBB537_1843:
	s_mov_b32 s6, 0
.LBB537_1844:
	s_delay_alu instid0(SALU_CYCLE_1)
	s_and_b32 vcc_lo, exec_lo, s6
	s_cbranch_vccz .LBB537_1884
; %bb.1845:
	v_cmp_lt_i16_e32 vcc_lo, 22, v9
	s_mov_b32 s1, -1
	s_cbranch_vccz .LBB537_1877
; %bb.1846:
	v_cmp_gt_i16_e32 vcc_lo, 24, v9
	s_cbranch_vccnz .LBB537_1866
; %bb.1847:
	v_cmp_lt_i16_e32 vcc_lo, 24, v9
	s_cbranch_vccz .LBB537_1855
; %bb.1848:
	v_dual_mov_b32 v11, 0x80 :: v_dual_lshlrev_b32 v10, 16, v7
	s_mov_b32 s1, exec_lo
	s_delay_alu instid0(VALU_DEP_1) | instskip(NEXT) | instid1(VALU_DEP_1)
	v_and_b32_e32 v8, 0x7fffffff, v10
	v_cmpx_gt_u32_e32 0x47800000, v8
	s_cbranch_execz .LBB537_1854
; %bb.1849:
	v_and_b32_e32 v4, 0xffff, v7
	v_cmp_lt_u32_e32 vcc_lo, 0x37ffffff, v8
	s_mov_b32 s3, 0
                                        ; implicit-def: $vgpr8
	s_and_saveexec_b32 s6, vcc_lo
	s_delay_alu instid0(SALU_CYCLE_1)
	s_xor_b32 s6, exec_lo, s6
	s_cbranch_execz .LBB537_2184
; %bb.1850:
	v_bfe_u32 v8, v4, 5, 1
	s_mov_b32 s3, exec_lo
	s_delay_alu instid0(VALU_DEP_1) | instskip(NEXT) | instid1(VALU_DEP_1)
	v_add3_u32 v8, v10, v8, 0x88fffff
                                        ; implicit-def: $vgpr10
	v_lshrrev_b32_e32 v8, 21, v8
	s_or_saveexec_b32 s6, s6
                                        ; implicit-def: $sgpr7
	s_delay_alu instid0(SALU_CYCLE_1)
	s_xor_b32 exec_lo, exec_lo, s6
	s_cbranch_execnz .LBB537_2185
.LBB537_1851:
	s_or_b32 exec_lo, exec_lo, s6
	v_mov_b32_e32 v11, s7
	s_and_saveexec_b32 s6, s3
.LBB537_1852:
	v_lshrrev_b32_e32 v4, 8, v4
	s_delay_alu instid0(VALU_DEP_1)
	v_and_or_b32 v11, 0x80, v4, v8
.LBB537_1853:
	s_or_b32 exec_lo, exec_lo, s6
.LBB537_1854:
	s_delay_alu instid0(SALU_CYCLE_1)
	s_or_b32 exec_lo, exec_lo, s1
	s_mov_b32 s1, 0
	global_store_b8 v[2:3], v11, off
.LBB537_1855:
	s_and_b32 vcc_lo, exec_lo, s1
	s_cbranch_vccz .LBB537_1865
; %bb.1856:
	v_lshlrev_b32_e32 v10, 16, v7
	v_and_b32_e32 v4, 0xffff, v7
	s_mov_b32 s1, exec_lo
                                        ; implicit-def: $vgpr8
	s_delay_alu instid0(VALU_DEP_2) | instskip(NEXT) | instid1(VALU_DEP_1)
	v_and_b32_e32 v11, 0x7fffffff, v10
	v_cmpx_gt_u32_e32 0x43f00000, v11
	s_xor_b32 s1, exec_lo, s1
	s_cbranch_execz .LBB537_1862
; %bb.1857:
	s_mov_b32 s3, exec_lo
                                        ; implicit-def: $vgpr8
	v_cmpx_lt_u32_e32 0x3c7fffff, v11
	s_xor_b32 s3, exec_lo, s3
; %bb.1858:
	v_bfe_u32 v8, v4, 4, 1
	s_delay_alu instid0(VALU_DEP_1) | instskip(NEXT) | instid1(VALU_DEP_1)
	v_add3_u32 v8, v10, v8, 0x407ffff
	v_and_b32_e32 v10, 0xff00000, v8
	v_lshrrev_b32_e32 v8, 20, v8
	s_delay_alu instid0(VALU_DEP_2) | instskip(NEXT) | instid1(VALU_DEP_2)
	v_cmp_ne_u32_e32 vcc_lo, 0x7f00000, v10
                                        ; implicit-def: $vgpr10
	v_cndmask_b32_e32 v8, 0x7e, v8, vcc_lo
; %bb.1859:
	s_and_not1_saveexec_b32 s3, s3
; %bb.1860:
	v_add_f32_e64 v8, 0x46800000, |v10|
; %bb.1861:
	s_or_b32 exec_lo, exec_lo, s3
                                        ; implicit-def: $vgpr11
.LBB537_1862:
	s_and_not1_saveexec_b32 s1, s1
; %bb.1863:
	v_mov_b32_e32 v8, 0x7f
	v_cmp_lt_u32_e32 vcc_lo, 0x7f800000, v11
	s_delay_alu instid0(VALU_DEP_2)
	v_cndmask_b32_e32 v8, 0x7e, v8, vcc_lo
; %bb.1864:
	s_or_b32 exec_lo, exec_lo, s1
	v_lshrrev_b32_e32 v4, 8, v4
	s_delay_alu instid0(VALU_DEP_1)
	v_and_or_b32 v4, 0x80, v4, v8
	global_store_b8 v[2:3], v4, off
.LBB537_1865:
	s_mov_b32 s1, 0
.LBB537_1866:
	s_delay_alu instid0(SALU_CYCLE_1)
	s_and_not1_b32 vcc_lo, exec_lo, s1
	s_cbranch_vccnz .LBB537_1876
; %bb.1867:
	v_lshlrev_b32_e32 v10, 16, v7
	v_and_b32_e32 v4, 0xffff, v7
	s_mov_b32 s1, exec_lo
                                        ; implicit-def: $vgpr8
	s_delay_alu instid0(VALU_DEP_2) | instskip(NEXT) | instid1(VALU_DEP_1)
	v_and_b32_e32 v11, 0x7fffffff, v10
	v_cmpx_gt_u32_e32 0x47800000, v11
	s_xor_b32 s1, exec_lo, s1
	s_cbranch_execz .LBB537_1873
; %bb.1868:
	s_mov_b32 s3, exec_lo
                                        ; implicit-def: $vgpr8
	v_cmpx_lt_u32_e32 0x387fffff, v11
	s_xor_b32 s3, exec_lo, s3
; %bb.1869:
	v_bfe_u32 v8, v4, 5, 1
	s_delay_alu instid0(VALU_DEP_1) | instskip(NEXT) | instid1(VALU_DEP_1)
	v_add3_u32 v8, v10, v8, 0x80fffff
                                        ; implicit-def: $vgpr10
	v_lshrrev_b32_e32 v8, 21, v8
; %bb.1870:
	s_and_not1_saveexec_b32 s3, s3
; %bb.1871:
	v_add_f32_e64 v8, 0x43000000, |v10|
; %bb.1872:
	s_or_b32 exec_lo, exec_lo, s3
                                        ; implicit-def: $vgpr11
.LBB537_1873:
	s_and_not1_saveexec_b32 s1, s1
; %bb.1874:
	v_mov_b32_e32 v8, 0x7f
	v_cmp_lt_u32_e32 vcc_lo, 0x7f800000, v11
	s_delay_alu instid0(VALU_DEP_2)
	v_cndmask_b32_e32 v8, 0x7c, v8, vcc_lo
; %bb.1875:
	s_or_b32 exec_lo, exec_lo, s1
	v_lshrrev_b32_e32 v4, 8, v4
	s_delay_alu instid0(VALU_DEP_1)
	v_and_or_b32 v4, 0x80, v4, v8
	global_store_b8 v[2:3], v4, off
.LBB537_1876:
	s_mov_b32 s1, 0
	s_mov_b32 s3, -1
.LBB537_1877:
	s_and_not1_b32 vcc_lo, exec_lo, s1
	s_mov_b32 s1, 0
	s_cbranch_vccnz .LBB537_1884
; %bb.1878:
	v_cmp_lt_i16_e32 vcc_lo, 14, v9
	s_mov_b32 s1, -1
	s_cbranch_vccz .LBB537_1882
; %bb.1879:
	v_cmp_eq_u16_e32 vcc_lo, 15, v9
	s_mov_b32 s0, -1
	s_cbranch_vccz .LBB537_1881
; %bb.1880:
	s_mov_b32 s0, 0
	s_mov_b32 s3, -1
	global_store_b16 v[2:3], v7, off
.LBB537_1881:
	s_mov_b32 s1, 0
.LBB537_1882:
	s_delay_alu instid0(SALU_CYCLE_1)
	s_and_b32 vcc_lo, exec_lo, s1
	s_mov_b32 s1, 0
	s_cbranch_vccz .LBB537_1884
; %bb.1883:
	v_cmp_ne_u16_e64 s0, 11, v9
	s_mov_b32 s1, -1
.LBB537_1884:
	s_delay_alu instid0(VALU_DEP_1)
	s_and_b32 vcc_lo, exec_lo, s0
	s_cbranch_vccnz .LBB537_2182
; %bb.1885:
	s_and_not1_b32 vcc_lo, exec_lo, s1
	s_cbranch_vccnz .LBB537_1887
.LBB537_1886:
	v_and_b32_e32 v4, 0x7fff, v7
	s_mov_b32 s3, -1
	s_delay_alu instid0(VALU_DEP_1)
	v_cmp_ne_u16_e32 vcc_lo, 0, v4
	v_cndmask_b32_e64 v4, 0, 1, vcc_lo
	global_store_b8 v[2:3], v4, off
.LBB537_1887:
	s_mov_b32 s0, 0
.LBB537_1888:
	s_delay_alu instid0(SALU_CYCLE_1)
	s_and_b32 vcc_lo, exec_lo, s0
	s_cbranch_vccz .LBB537_1927
; %bb.1889:
	v_cmp_gt_i16_e32 vcc_lo, 5, v9
	s_mov_b32 s0, -1
	s_cbranch_vccnz .LBB537_1910
; %bb.1890:
	v_cmp_gt_i16_e32 vcc_lo, 8, v9
	s_cbranch_vccnz .LBB537_1900
; %bb.1891:
	v_cmp_gt_i16_e32 vcc_lo, 9, v9
	s_cbranch_vccnz .LBB537_1897
; %bb.1892:
	v_cmp_lt_i16_e32 vcc_lo, 9, v9
	s_cbranch_vccz .LBB537_1894
; %bb.1893:
	v_mov_b32_e32 v12, 0
	v_lshlrev_b32_e32 v4, 16, v7
	s_mov_b32 s0, 0
	s_delay_alu instid0(VALU_DEP_2) | instskip(NEXT) | instid1(VALU_DEP_2)
	v_mov_b32_e32 v13, v12
	v_cvt_f64_f32_e32 v[10:11], v4
	global_store_b128 v[2:3], v[10:13], off
.LBB537_1894:
	s_and_not1_b32 vcc_lo, exec_lo, s0
	s_cbranch_vccnz .LBB537_1896
; %bb.1895:
	v_dual_mov_b32 v11, 0 :: v_dual_lshlrev_b32 v10, 16, v7
	global_store_b64 v[2:3], v[10:11], off
.LBB537_1896:
	s_mov_b32 s0, 0
.LBB537_1897:
	s_delay_alu instid0(SALU_CYCLE_1)
	s_and_not1_b32 vcc_lo, exec_lo, s0
	s_cbranch_vccnz .LBB537_1899
; %bb.1898:
	v_lshlrev_b32_e32 v4, 16, v7
	s_delay_alu instid0(VALU_DEP_1) | instskip(NEXT) | instid1(VALU_DEP_1)
	v_cvt_f16_f32_e32 v4, v4
	v_and_b32_e32 v4, 0xffff, v4
	global_store_b32 v[2:3], v4, off
.LBB537_1899:
	s_mov_b32 s0, 0
.LBB537_1900:
	s_delay_alu instid0(SALU_CYCLE_1)
	s_and_not1_b32 vcc_lo, exec_lo, s0
	s_cbranch_vccnz .LBB537_1909
; %bb.1901:
	v_cmp_gt_i16_e32 vcc_lo, 6, v9
	s_mov_b32 s0, -1
	s_cbranch_vccnz .LBB537_1907
; %bb.1902:
	v_cmp_lt_i16_e32 vcc_lo, 6, v9
	s_cbranch_vccz .LBB537_1904
; %bb.1903:
	v_lshlrev_b32_e32 v4, 16, v7
	s_mov_b32 s0, 0
	s_delay_alu instid0(VALU_DEP_1)
	v_cvt_f64_f32_e32 v[10:11], v4
	global_store_b64 v[2:3], v[10:11], off
.LBB537_1904:
	s_and_not1_b32 vcc_lo, exec_lo, s0
	s_cbranch_vccnz .LBB537_1906
; %bb.1905:
	v_lshlrev_b32_e32 v4, 16, v7
	global_store_b32 v[2:3], v4, off
.LBB537_1906:
	s_mov_b32 s0, 0
.LBB537_1907:
	s_delay_alu instid0(SALU_CYCLE_1)
	s_and_not1_b32 vcc_lo, exec_lo, s0
	s_cbranch_vccnz .LBB537_1909
; %bb.1908:
	v_lshlrev_b32_e32 v4, 16, v7
	s_delay_alu instid0(VALU_DEP_1)
	v_cvt_f16_f32_e32 v4, v4
	global_store_b16 v[2:3], v4, off
.LBB537_1909:
	s_mov_b32 s0, 0
.LBB537_1910:
	s_delay_alu instid0(SALU_CYCLE_1)
	s_and_not1_b32 vcc_lo, exec_lo, s0
	s_cbranch_vccnz .LBB537_1926
; %bb.1911:
	v_cmp_gt_i16_e32 vcc_lo, 2, v9
	s_mov_b32 s0, -1
	s_cbranch_vccnz .LBB537_1921
; %bb.1912:
	v_cmp_gt_i16_e32 vcc_lo, 3, v9
	s_cbranch_vccnz .LBB537_1918
; %bb.1913:
	v_cmp_lt_i16_e32 vcc_lo, 3, v9
	s_cbranch_vccz .LBB537_1915
; %bb.1914:
	v_lshlrev_b32_e32 v4, 16, v7
	s_mov_b32 s0, 0
	s_delay_alu instid0(VALU_DEP_1) | instskip(NEXT) | instid1(VALU_DEP_1)
	v_trunc_f32_e32 v4, v4
	v_mul_f32_e64 v8, 0x2f800000, |v4|
	s_delay_alu instid0(VALU_DEP_1) | instskip(NEXT) | instid1(VALU_DEP_1)
	v_floor_f32_e32 v8, v8
	v_fma_f32 v10, 0xcf800000, v8, |v4|
	v_ashrrev_i32_e32 v4, 31, v4
	v_cvt_u32_f32_e32 v8, v8
	s_delay_alu instid0(VALU_DEP_3) | instskip(NEXT) | instid1(VALU_DEP_2)
	v_cvt_u32_f32_e32 v10, v10
	v_xor_b32_e32 v8, v8, v4
	s_delay_alu instid0(VALU_DEP_2) | instskip(NEXT) | instid1(VALU_DEP_1)
	v_xor_b32_e32 v10, v10, v4
	v_sub_co_u32 v10, vcc_lo, v10, v4
	s_delay_alu instid0(VALU_DEP_3)
	v_sub_co_ci_u32_e32 v11, vcc_lo, v8, v4, vcc_lo
	global_store_b64 v[2:3], v[10:11], off
.LBB537_1915:
	s_and_not1_b32 vcc_lo, exec_lo, s0
	s_cbranch_vccnz .LBB537_1917
; %bb.1916:
	v_lshlrev_b32_e32 v4, 16, v7
	s_delay_alu instid0(VALU_DEP_1)
	v_cvt_i32_f32_e32 v4, v4
	global_store_b32 v[2:3], v4, off
.LBB537_1917:
	s_mov_b32 s0, 0
.LBB537_1918:
	s_delay_alu instid0(SALU_CYCLE_1)
	s_and_not1_b32 vcc_lo, exec_lo, s0
	s_cbranch_vccnz .LBB537_1920
; %bb.1919:
	v_lshlrev_b32_e32 v4, 16, v7
	s_delay_alu instid0(VALU_DEP_1)
	v_cvt_i32_f32_e32 v4, v4
	global_store_b16 v[2:3], v4, off
.LBB537_1920:
	s_mov_b32 s0, 0
.LBB537_1921:
	s_delay_alu instid0(SALU_CYCLE_1)
	s_and_not1_b32 vcc_lo, exec_lo, s0
	s_cbranch_vccnz .LBB537_1926
; %bb.1922:
	v_cmp_lt_i16_e32 vcc_lo, 0, v9
	v_lshlrev_b32_e32 v4, 16, v7
	s_mov_b32 s0, -1
	s_cbranch_vccz .LBB537_1924
; %bb.1923:
	s_delay_alu instid0(VALU_DEP_1)
	v_cvt_i32_f32_e32 v7, v4
	s_mov_b32 s0, 0
	global_store_b8 v[2:3], v7, off
.LBB537_1924:
	s_and_not1_b32 vcc_lo, exec_lo, s0
	s_cbranch_vccnz .LBB537_1926
; %bb.1925:
	v_trunc_f32_e32 v4, v4
	s_delay_alu instid0(VALU_DEP_1) | instskip(NEXT) | instid1(VALU_DEP_1)
	v_mul_f32_e64 v7, 0x2f800000, |v4|
	v_floor_f32_e32 v7, v7
	s_delay_alu instid0(VALU_DEP_1) | instskip(SKIP_1) | instid1(VALU_DEP_2)
	v_fma_f32 v7, 0xcf800000, v7, |v4|
	v_ashrrev_i32_e32 v4, 31, v4
	v_cvt_u32_f32_e32 v7, v7
	s_delay_alu instid0(VALU_DEP_1) | instskip(NEXT) | instid1(VALU_DEP_1)
	v_xor_b32_e32 v7, v7, v4
	v_sub_nc_u32_e32 v4, v7, v4
	global_store_b8 v[2:3], v4, off
.LBB537_1926:
	s_mov_b32 s3, -1
.LBB537_1927:
	s_delay_alu instid0(SALU_CYCLE_1)
	s_and_not1_b32 vcc_lo, exec_lo, s3
	s_cbranch_vccnz .LBB537_2167
; %bb.1928:
	v_cmp_gt_i16_e32 vcc_lo, 11, v9
	v_add_co_u32 v1, s0, s4, v1
	s_delay_alu instid0(VALU_DEP_1)
	v_add_co_ci_u32_e64 v2, null, s5, 0, s0
	s_mov_b32 s3, 0
	s_mov_b32 s0, -1
	s_cbranch_vccnz .LBB537_2006
; %bb.1929:
	v_cmp_lt_i16_e32 vcc_lo, 25, v9
	s_mov_b32 s6, -1
	s_mov_b32 s1, 0
	s_mov_b32 s0, 0
	s_cbranch_vccz .LBB537_1962
; %bb.1930:
	v_cmp_lt_i16_e32 vcc_lo, 28, v9
	s_cbranch_vccz .LBB537_1945
; %bb.1931:
	v_cmp_lt_i16_e32 vcc_lo, 43, v9
	;; [unrolled: 3-line block ×3, first 2 shown]
	s_cbranch_vccz .LBB537_1935
; %bb.1933:
	v_cmp_eq_u16_e32 vcc_lo, 46, v9
	s_mov_b32 s0, -1
	s_mov_b32 s6, 0
	s_cbranch_vccz .LBB537_1935
; %bb.1934:
	v_and_b32_e32 v3, 0xffff, v6
	s_mov_b32 s0, 0
	s_mov_b32 s3, -1
	global_store_b32 v[1:2], v3, off
.LBB537_1935:
	s_and_b32 vcc_lo, exec_lo, s6
	s_cbranch_vccz .LBB537_1940
; %bb.1936:
	v_cmp_eq_u16_e32 vcc_lo, 44, v9
	s_mov_b32 s0, -1
	s_cbranch_vccz .LBB537_1940
; %bb.1937:
	v_and_b32_e32 v3, 0xffff, v6
	v_mov_b32_e32 v4, 0xff
	s_mov_b32 s3, exec_lo
	s_delay_alu instid0(VALU_DEP_2) | instskip(NEXT) | instid1(VALU_DEP_1)
	v_bfe_u32 v7, v3, 7, 8
	v_cmpx_ne_u32_e32 0xff, v7
; %bb.1938:
	v_lshlrev_b32_e32 v4, 16, v3
	v_and_b32_e32 v8, 64, v3
	v_lshrrev_b32_e32 v3, 7, v3
	s_delay_alu instid0(VALU_DEP_3) | instskip(NEXT) | instid1(VALU_DEP_3)
	v_and_or_b32 v4, 0x3f0000, v4, v7
	v_cmp_ne_u32_e32 vcc_lo, 0, v8
	s_delay_alu instid0(VALU_DEP_2) | instskip(NEXT) | instid1(VALU_DEP_1)
	v_cmp_ne_u32_e64 s0, 0, v4
	s_and_b32 s0, vcc_lo, s0
	s_delay_alu instid0(SALU_CYCLE_1) | instskip(NEXT) | instid1(VALU_DEP_1)
	v_cndmask_b32_e64 v4, 0, 1, s0
	v_add_nc_u32_e32 v4, v3, v4
; %bb.1939:
	s_or_b32 exec_lo, exec_lo, s3
	s_mov_b32 s0, 0
	s_mov_b32 s3, -1
	global_store_b8 v[1:2], v4, off
.LBB537_1940:
	s_mov_b32 s6, 0
.LBB537_1941:
	s_delay_alu instid0(SALU_CYCLE_1)
	s_and_b32 vcc_lo, exec_lo, s6
	s_cbranch_vccz .LBB537_1944
; %bb.1942:
	v_cmp_eq_u16_e32 vcc_lo, 29, v9
	s_mov_b32 s0, -1
	s_cbranch_vccz .LBB537_1944
; %bb.1943:
	v_lshlrev_b32_e32 v3, 16, v6
	s_mov_b32 s0, 0
	s_mov_b32 s3, -1
	s_delay_alu instid0(VALU_DEP_1) | instskip(NEXT) | instid1(VALU_DEP_1)
	v_trunc_f32_e32 v3, v3
	v_mul_f32_e32 v4, 0x2f800000, v3
	s_delay_alu instid0(VALU_DEP_1) | instskip(NEXT) | instid1(VALU_DEP_1)
	v_floor_f32_e32 v4, v4
	v_fmamk_f32 v3, v4, 0xcf800000, v3
	v_cvt_u32_f32_e32 v4, v4
	s_delay_alu instid0(VALU_DEP_2)
	v_cvt_u32_f32_e32 v3, v3
	global_store_b64 v[1:2], v[3:4], off
.LBB537_1944:
	s_mov_b32 s6, 0
.LBB537_1945:
	s_delay_alu instid0(SALU_CYCLE_1)
	s_and_b32 vcc_lo, exec_lo, s6
	s_cbranch_vccz .LBB537_1961
; %bb.1946:
	v_cmp_gt_i16_e32 vcc_lo, 27, v9
	s_mov_b32 s3, -1
	s_cbranch_vccnz .LBB537_1952
; %bb.1947:
	v_cmp_lt_i16_e32 vcc_lo, 27, v9
	s_cbranch_vccz .LBB537_1949
; %bb.1948:
	v_lshlrev_b32_e32 v3, 16, v6
	s_mov_b32 s3, 0
	s_delay_alu instid0(VALU_DEP_1)
	v_cvt_u32_f32_e32 v3, v3
	global_store_b32 v[1:2], v3, off
.LBB537_1949:
	s_and_not1_b32 vcc_lo, exec_lo, s3
	s_cbranch_vccnz .LBB537_1951
; %bb.1950:
	v_lshlrev_b32_e32 v3, 16, v6
	s_delay_alu instid0(VALU_DEP_1)
	v_cvt_u32_f32_e32 v3, v3
	global_store_b16 v[1:2], v3, off
.LBB537_1951:
	s_mov_b32 s3, 0
.LBB537_1952:
	s_delay_alu instid0(SALU_CYCLE_1)
	s_and_not1_b32 vcc_lo, exec_lo, s3
	s_cbranch_vccnz .LBB537_1960
; %bb.1953:
	v_dual_mov_b32 v8, 0x80 :: v_dual_lshlrev_b32 v7, 16, v6
	s_mov_b32 s3, exec_lo
	s_delay_alu instid0(VALU_DEP_1) | instskip(NEXT) | instid1(VALU_DEP_1)
	v_and_b32_e32 v4, 0x7fffffff, v7
	v_cmpx_gt_u32_e32 0x43800000, v4
	s_cbranch_execz .LBB537_1959
; %bb.1954:
	v_and_b32_e32 v3, 0xffff, v6
	v_cmp_lt_u32_e32 vcc_lo, 0x3bffffff, v4
	s_mov_b32 s6, 0
                                        ; implicit-def: $vgpr4
	s_and_saveexec_b32 s7, vcc_lo
	s_delay_alu instid0(SALU_CYCLE_1)
	s_xor_b32 s7, exec_lo, s7
	s_cbranch_execz .LBB537_2186
; %bb.1955:
	v_bfe_u32 v4, v3, 4, 1
	s_mov_b32 s6, exec_lo
	s_delay_alu instid0(VALU_DEP_1) | instskip(NEXT) | instid1(VALU_DEP_1)
	v_add3_u32 v4, v7, v4, 0x487ffff
                                        ; implicit-def: $vgpr7
	v_lshrrev_b32_e32 v4, 20, v4
	s_or_saveexec_b32 s7, s7
                                        ; implicit-def: $sgpr10
	s_delay_alu instid0(SALU_CYCLE_1)
	s_xor_b32 exec_lo, exec_lo, s7
	s_cbranch_execnz .LBB537_2187
.LBB537_1956:
	s_or_b32 exec_lo, exec_lo, s7
	v_mov_b32_e32 v8, s10
	s_and_saveexec_b32 s7, s6
.LBB537_1957:
	v_lshrrev_b32_e32 v3, 8, v3
	s_delay_alu instid0(VALU_DEP_1)
	v_and_or_b32 v8, 0x80, v3, v4
.LBB537_1958:
	s_or_b32 exec_lo, exec_lo, s7
.LBB537_1959:
	s_delay_alu instid0(SALU_CYCLE_1)
	s_or_b32 exec_lo, exec_lo, s3
	global_store_b8 v[1:2], v8, off
.LBB537_1960:
	s_mov_b32 s3, -1
.LBB537_1961:
	s_mov_b32 s6, 0
.LBB537_1962:
	s_delay_alu instid0(SALU_CYCLE_1)
	s_and_b32 vcc_lo, exec_lo, s6
	s_cbranch_vccz .LBB537_2002
; %bb.1963:
	v_cmp_lt_i16_e32 vcc_lo, 22, v9
	s_mov_b32 s1, -1
	s_cbranch_vccz .LBB537_1995
; %bb.1964:
	v_cmp_gt_i16_e32 vcc_lo, 24, v9
	s_cbranch_vccnz .LBB537_1984
; %bb.1965:
	v_cmp_lt_i16_e32 vcc_lo, 24, v9
	s_cbranch_vccz .LBB537_1973
; %bb.1966:
	v_dual_mov_b32 v8, 0x80 :: v_dual_lshlrev_b32 v7, 16, v6
	s_mov_b32 s1, exec_lo
	s_delay_alu instid0(VALU_DEP_1) | instskip(NEXT) | instid1(VALU_DEP_1)
	v_and_b32_e32 v4, 0x7fffffff, v7
	v_cmpx_gt_u32_e32 0x47800000, v4
	s_cbranch_execz .LBB537_1972
; %bb.1967:
	v_and_b32_e32 v3, 0xffff, v6
	v_cmp_lt_u32_e32 vcc_lo, 0x37ffffff, v4
	s_mov_b32 s3, 0
                                        ; implicit-def: $vgpr4
	s_and_saveexec_b32 s6, vcc_lo
	s_delay_alu instid0(SALU_CYCLE_1)
	s_xor_b32 s6, exec_lo, s6
	s_cbranch_execz .LBB537_2192
; %bb.1968:
	v_bfe_u32 v4, v3, 5, 1
	s_mov_b32 s3, exec_lo
	s_delay_alu instid0(VALU_DEP_1) | instskip(NEXT) | instid1(VALU_DEP_1)
	v_add3_u32 v4, v7, v4, 0x88fffff
                                        ; implicit-def: $vgpr7
	v_lshrrev_b32_e32 v4, 21, v4
	s_or_saveexec_b32 s6, s6
                                        ; implicit-def: $sgpr7
	s_delay_alu instid0(SALU_CYCLE_1)
	s_xor_b32 exec_lo, exec_lo, s6
	s_cbranch_execnz .LBB537_2193
.LBB537_1969:
	s_or_b32 exec_lo, exec_lo, s6
	v_mov_b32_e32 v8, s7
	s_and_saveexec_b32 s6, s3
.LBB537_1970:
	v_lshrrev_b32_e32 v3, 8, v3
	s_delay_alu instid0(VALU_DEP_1)
	v_and_or_b32 v8, 0x80, v3, v4
.LBB537_1971:
	s_or_b32 exec_lo, exec_lo, s6
.LBB537_1972:
	s_delay_alu instid0(SALU_CYCLE_1)
	s_or_b32 exec_lo, exec_lo, s1
	s_mov_b32 s1, 0
	global_store_b8 v[1:2], v8, off
.LBB537_1973:
	s_and_b32 vcc_lo, exec_lo, s1
	s_cbranch_vccz .LBB537_1983
; %bb.1974:
	v_lshlrev_b32_e32 v7, 16, v6
	v_and_b32_e32 v3, 0xffff, v6
	s_mov_b32 s1, exec_lo
                                        ; implicit-def: $vgpr4
	s_delay_alu instid0(VALU_DEP_2) | instskip(NEXT) | instid1(VALU_DEP_1)
	v_and_b32_e32 v8, 0x7fffffff, v7
	v_cmpx_gt_u32_e32 0x43f00000, v8
	s_xor_b32 s1, exec_lo, s1
	s_cbranch_execz .LBB537_1980
; %bb.1975:
	s_mov_b32 s3, exec_lo
                                        ; implicit-def: $vgpr4
	v_cmpx_lt_u32_e32 0x3c7fffff, v8
	s_xor_b32 s3, exec_lo, s3
; %bb.1976:
	v_bfe_u32 v4, v3, 4, 1
	s_delay_alu instid0(VALU_DEP_1) | instskip(NEXT) | instid1(VALU_DEP_1)
	v_add3_u32 v4, v7, v4, 0x407ffff
	v_and_b32_e32 v7, 0xff00000, v4
	v_lshrrev_b32_e32 v4, 20, v4
	s_delay_alu instid0(VALU_DEP_2) | instskip(NEXT) | instid1(VALU_DEP_2)
	v_cmp_ne_u32_e32 vcc_lo, 0x7f00000, v7
                                        ; implicit-def: $vgpr7
	v_cndmask_b32_e32 v4, 0x7e, v4, vcc_lo
; %bb.1977:
	s_and_not1_saveexec_b32 s3, s3
; %bb.1978:
	v_add_f32_e64 v4, 0x46800000, |v7|
; %bb.1979:
	s_or_b32 exec_lo, exec_lo, s3
                                        ; implicit-def: $vgpr8
.LBB537_1980:
	s_and_not1_saveexec_b32 s1, s1
; %bb.1981:
	v_mov_b32_e32 v4, 0x7f
	v_cmp_lt_u32_e32 vcc_lo, 0x7f800000, v8
	s_delay_alu instid0(VALU_DEP_2)
	v_cndmask_b32_e32 v4, 0x7e, v4, vcc_lo
; %bb.1982:
	s_or_b32 exec_lo, exec_lo, s1
	v_lshrrev_b32_e32 v3, 8, v3
	s_delay_alu instid0(VALU_DEP_1)
	v_and_or_b32 v3, 0x80, v3, v4
	global_store_b8 v[1:2], v3, off
.LBB537_1983:
	s_mov_b32 s1, 0
.LBB537_1984:
	s_delay_alu instid0(SALU_CYCLE_1)
	s_and_not1_b32 vcc_lo, exec_lo, s1
	s_cbranch_vccnz .LBB537_1994
; %bb.1985:
	v_lshlrev_b32_e32 v7, 16, v6
	v_and_b32_e32 v3, 0xffff, v6
	s_mov_b32 s1, exec_lo
                                        ; implicit-def: $vgpr4
	s_delay_alu instid0(VALU_DEP_2) | instskip(NEXT) | instid1(VALU_DEP_1)
	v_and_b32_e32 v8, 0x7fffffff, v7
	v_cmpx_gt_u32_e32 0x47800000, v8
	s_xor_b32 s1, exec_lo, s1
	s_cbranch_execz .LBB537_1991
; %bb.1986:
	s_mov_b32 s3, exec_lo
                                        ; implicit-def: $vgpr4
	v_cmpx_lt_u32_e32 0x387fffff, v8
	s_xor_b32 s3, exec_lo, s3
; %bb.1987:
	v_bfe_u32 v4, v3, 5, 1
	s_delay_alu instid0(VALU_DEP_1) | instskip(NEXT) | instid1(VALU_DEP_1)
	v_add3_u32 v4, v7, v4, 0x80fffff
                                        ; implicit-def: $vgpr7
	v_lshrrev_b32_e32 v4, 21, v4
; %bb.1988:
	s_and_not1_saveexec_b32 s3, s3
; %bb.1989:
	v_add_f32_e64 v4, 0x43000000, |v7|
; %bb.1990:
	s_or_b32 exec_lo, exec_lo, s3
                                        ; implicit-def: $vgpr8
.LBB537_1991:
	s_and_not1_saveexec_b32 s1, s1
; %bb.1992:
	v_mov_b32_e32 v4, 0x7f
	v_cmp_lt_u32_e32 vcc_lo, 0x7f800000, v8
	s_delay_alu instid0(VALU_DEP_2)
	v_cndmask_b32_e32 v4, 0x7c, v4, vcc_lo
; %bb.1993:
	s_or_b32 exec_lo, exec_lo, s1
	v_lshrrev_b32_e32 v3, 8, v3
	s_delay_alu instid0(VALU_DEP_1)
	v_and_or_b32 v3, 0x80, v3, v4
	global_store_b8 v[1:2], v3, off
.LBB537_1994:
	s_mov_b32 s1, 0
	s_mov_b32 s3, -1
.LBB537_1995:
	s_and_not1_b32 vcc_lo, exec_lo, s1
	s_mov_b32 s1, 0
	s_cbranch_vccnz .LBB537_2002
; %bb.1996:
	v_cmp_lt_i16_e32 vcc_lo, 14, v9
	s_mov_b32 s1, -1
	s_cbranch_vccz .LBB537_2000
; %bb.1997:
	v_cmp_eq_u16_e32 vcc_lo, 15, v9
	s_mov_b32 s0, -1
	s_cbranch_vccz .LBB537_1999
; %bb.1998:
	s_mov_b32 s0, 0
	s_mov_b32 s3, -1
	global_store_b16 v[1:2], v6, off
.LBB537_1999:
	s_mov_b32 s1, 0
.LBB537_2000:
	s_delay_alu instid0(SALU_CYCLE_1)
	s_and_b32 vcc_lo, exec_lo, s1
	s_mov_b32 s1, 0
	s_cbranch_vccz .LBB537_2002
; %bb.2001:
	v_cmp_ne_u16_e64 s0, 11, v9
	s_mov_b32 s1, -1
.LBB537_2002:
	s_delay_alu instid0(VALU_DEP_1)
	s_and_b32 vcc_lo, exec_lo, s0
	s_cbranch_vccnz .LBB537_2190
; %bb.2003:
	s_and_not1_b32 vcc_lo, exec_lo, s1
	s_cbranch_vccnz .LBB537_2005
.LBB537_2004:
	v_and_b32_e32 v3, 0x7fff, v6
	s_mov_b32 s3, -1
	s_delay_alu instid0(VALU_DEP_1)
	v_cmp_ne_u16_e32 vcc_lo, 0, v3
	v_cndmask_b32_e64 v3, 0, 1, vcc_lo
	global_store_b8 v[1:2], v3, off
.LBB537_2005:
	s_mov_b32 s0, 0
.LBB537_2006:
	s_delay_alu instid0(SALU_CYCLE_1)
	s_and_b32 vcc_lo, exec_lo, s0
	s_cbranch_vccz .LBB537_2045
; %bb.2007:
	v_cmp_gt_i16_e32 vcc_lo, 5, v9
	s_mov_b32 s0, -1
	s_cbranch_vccnz .LBB537_2028
; %bb.2008:
	v_cmp_gt_i16_e32 vcc_lo, 8, v9
	s_cbranch_vccnz .LBB537_2018
; %bb.2009:
	v_cmp_gt_i16_e32 vcc_lo, 9, v9
	s_cbranch_vccnz .LBB537_2015
; %bb.2010:
	v_cmp_lt_i16_e32 vcc_lo, 9, v9
	s_cbranch_vccz .LBB537_2012
; %bb.2011:
	v_dual_mov_b32 v12, 0 :: v_dual_lshlrev_b32 v3, 16, v6
	s_mov_b32 s0, 0
	s_delay_alu instid0(VALU_DEP_1) | instskip(NEXT) | instid1(VALU_DEP_2)
	v_cvt_f64_f32_e32 v[10:11], v3
	v_mov_b32_e32 v13, v12
	global_store_b128 v[1:2], v[10:13], off
.LBB537_2012:
	s_and_not1_b32 vcc_lo, exec_lo, s0
	s_cbranch_vccnz .LBB537_2014
; %bb.2013:
	v_dual_mov_b32 v4, 0 :: v_dual_lshlrev_b32 v3, 16, v6
	global_store_b64 v[1:2], v[3:4], off
.LBB537_2014:
	s_mov_b32 s0, 0
.LBB537_2015:
	s_delay_alu instid0(SALU_CYCLE_1)
	s_and_not1_b32 vcc_lo, exec_lo, s0
	s_cbranch_vccnz .LBB537_2017
; %bb.2016:
	v_lshlrev_b32_e32 v3, 16, v6
	s_delay_alu instid0(VALU_DEP_1) | instskip(NEXT) | instid1(VALU_DEP_1)
	v_cvt_f16_f32_e32 v3, v3
	v_and_b32_e32 v3, 0xffff, v3
	global_store_b32 v[1:2], v3, off
.LBB537_2017:
	s_mov_b32 s0, 0
.LBB537_2018:
	s_delay_alu instid0(SALU_CYCLE_1)
	s_and_not1_b32 vcc_lo, exec_lo, s0
	s_cbranch_vccnz .LBB537_2027
; %bb.2019:
	v_cmp_gt_i16_e32 vcc_lo, 6, v9
	s_mov_b32 s0, -1
	s_cbranch_vccnz .LBB537_2025
; %bb.2020:
	v_cmp_lt_i16_e32 vcc_lo, 6, v9
	s_cbranch_vccz .LBB537_2022
; %bb.2021:
	v_lshlrev_b32_e32 v3, 16, v6
	s_mov_b32 s0, 0
	s_delay_alu instid0(VALU_DEP_1)
	v_cvt_f64_f32_e32 v[3:4], v3
	global_store_b64 v[1:2], v[3:4], off
.LBB537_2022:
	s_and_not1_b32 vcc_lo, exec_lo, s0
	s_cbranch_vccnz .LBB537_2024
; %bb.2023:
	v_lshlrev_b32_e32 v3, 16, v6
	global_store_b32 v[1:2], v3, off
.LBB537_2024:
	s_mov_b32 s0, 0
.LBB537_2025:
	s_delay_alu instid0(SALU_CYCLE_1)
	s_and_not1_b32 vcc_lo, exec_lo, s0
	s_cbranch_vccnz .LBB537_2027
; %bb.2026:
	v_lshlrev_b32_e32 v3, 16, v6
	s_delay_alu instid0(VALU_DEP_1)
	v_cvt_f16_f32_e32 v3, v3
	global_store_b16 v[1:2], v3, off
.LBB537_2027:
	s_mov_b32 s0, 0
.LBB537_2028:
	s_delay_alu instid0(SALU_CYCLE_1)
	s_and_not1_b32 vcc_lo, exec_lo, s0
	s_cbranch_vccnz .LBB537_2044
; %bb.2029:
	v_cmp_gt_i16_e32 vcc_lo, 2, v9
	s_mov_b32 s0, -1
	s_cbranch_vccnz .LBB537_2039
; %bb.2030:
	v_cmp_gt_i16_e32 vcc_lo, 3, v9
	s_cbranch_vccnz .LBB537_2036
; %bb.2031:
	v_cmp_lt_i16_e32 vcc_lo, 3, v9
	s_cbranch_vccz .LBB537_2033
; %bb.2032:
	v_lshlrev_b32_e32 v3, 16, v6
	s_mov_b32 s0, 0
	s_delay_alu instid0(VALU_DEP_1) | instskip(NEXT) | instid1(VALU_DEP_1)
	v_trunc_f32_e32 v3, v3
	v_mul_f32_e64 v4, 0x2f800000, |v3|
	v_ashrrev_i32_e32 v8, 31, v3
	s_delay_alu instid0(VALU_DEP_2) | instskip(NEXT) | instid1(VALU_DEP_1)
	v_floor_f32_e32 v4, v4
	v_fma_f32 v7, 0xcf800000, v4, |v3|
	v_cvt_u32_f32_e32 v4, v4
	s_delay_alu instid0(VALU_DEP_2) | instskip(NEXT) | instid1(VALU_DEP_2)
	v_cvt_u32_f32_e32 v3, v7
	v_xor_b32_e32 v4, v4, v8
	s_delay_alu instid0(VALU_DEP_2) | instskip(NEXT) | instid1(VALU_DEP_1)
	v_xor_b32_e32 v3, v3, v8
	v_sub_co_u32 v3, vcc_lo, v3, v8
	s_delay_alu instid0(VALU_DEP_3)
	v_sub_co_ci_u32_e32 v4, vcc_lo, v4, v8, vcc_lo
	global_store_b64 v[1:2], v[3:4], off
.LBB537_2033:
	s_and_not1_b32 vcc_lo, exec_lo, s0
	s_cbranch_vccnz .LBB537_2035
; %bb.2034:
	v_lshlrev_b32_e32 v3, 16, v6
	s_delay_alu instid0(VALU_DEP_1)
	v_cvt_i32_f32_e32 v3, v3
	global_store_b32 v[1:2], v3, off
.LBB537_2035:
	s_mov_b32 s0, 0
.LBB537_2036:
	s_delay_alu instid0(SALU_CYCLE_1)
	s_and_not1_b32 vcc_lo, exec_lo, s0
	s_cbranch_vccnz .LBB537_2038
; %bb.2037:
	v_lshlrev_b32_e32 v3, 16, v6
	s_delay_alu instid0(VALU_DEP_1)
	v_cvt_i32_f32_e32 v3, v3
	global_store_b16 v[1:2], v3, off
.LBB537_2038:
	s_mov_b32 s0, 0
.LBB537_2039:
	s_delay_alu instid0(SALU_CYCLE_1)
	s_and_not1_b32 vcc_lo, exec_lo, s0
	s_cbranch_vccnz .LBB537_2044
; %bb.2040:
	v_cmp_lt_i16_e32 vcc_lo, 0, v9
	v_lshlrev_b32_e32 v3, 16, v6
	s_mov_b32 s0, -1
	s_cbranch_vccz .LBB537_2042
; %bb.2041:
	s_delay_alu instid0(VALU_DEP_1)
	v_cvt_i32_f32_e32 v4, v3
	s_mov_b32 s0, 0
	global_store_b8 v[1:2], v4, off
.LBB537_2042:
	s_and_not1_b32 vcc_lo, exec_lo, s0
	s_cbranch_vccnz .LBB537_2044
; %bb.2043:
	v_trunc_f32_e32 v3, v3
	s_delay_alu instid0(VALU_DEP_1) | instskip(NEXT) | instid1(VALU_DEP_1)
	v_mul_f32_e64 v4, 0x2f800000, |v3|
	v_floor_f32_e32 v4, v4
	s_delay_alu instid0(VALU_DEP_1) | instskip(SKIP_1) | instid1(VALU_DEP_2)
	v_fma_f32 v4, 0xcf800000, v4, |v3|
	v_ashrrev_i32_e32 v3, 31, v3
	v_cvt_u32_f32_e32 v4, v4
	s_delay_alu instid0(VALU_DEP_1) | instskip(NEXT) | instid1(VALU_DEP_1)
	v_xor_b32_e32 v4, v4, v3
	v_sub_nc_u32_e32 v3, v4, v3
	global_store_b8 v[1:2], v3, off
.LBB537_2044:
	s_mov_b32 s3, -1
.LBB537_2045:
	s_delay_alu instid0(SALU_CYCLE_1)
	s_and_not1_b32 vcc_lo, exec_lo, s3
	s_cbranch_vccnz .LBB537_2167
; %bb.2046:
	v_cmp_gt_i16_e32 vcc_lo, 11, v9
	v_add_co_u32 v0, s0, s4, v0
	s_delay_alu instid0(VALU_DEP_1)
	v_add_co_ci_u32_e64 v1, null, s5, 0, s0
	s_mov_b32 s1, 0
	s_mov_b32 s0, -1
	s_cbranch_vccnz .LBB537_2123
; %bb.2047:
	v_cmp_lt_i16_e32 vcc_lo, 25, v9
	s_mov_b32 s3, -1
	s_mov_b32 s0, 0
	s_cbranch_vccz .LBB537_2080
; %bb.2048:
	v_cmp_lt_i16_e32 vcc_lo, 28, v9
	s_cbranch_vccz .LBB537_2064
; %bb.2049:
	v_cmp_lt_i16_e32 vcc_lo, 43, v9
	;; [unrolled: 3-line block ×3, first 2 shown]
	s_cbranch_vccz .LBB537_2054
; %bb.2051:
	v_cmp_eq_u16_e32 vcc_lo, 46, v9
	s_mov_b32 s0, -1
	s_cbranch_vccz .LBB537_2053
; %bb.2052:
	v_and_b32_e32 v2, 0xffff, v5
	s_mov_b32 s0, 0
	global_store_b32 v[0:1], v2, off
.LBB537_2053:
	s_mov_b32 s3, 0
.LBB537_2054:
	s_delay_alu instid0(SALU_CYCLE_1)
	s_and_b32 vcc_lo, exec_lo, s3
	s_cbranch_vccz .LBB537_2059
; %bb.2055:
	v_cmp_eq_u16_e32 vcc_lo, 44, v9
	s_mov_b32 s0, -1
	s_cbranch_vccz .LBB537_2059
; %bb.2056:
	v_and_b32_e32 v2, 0xffff, v5
	v_mov_b32_e32 v3, 0xff
	s_mov_b32 s3, exec_lo
	s_delay_alu instid0(VALU_DEP_2) | instskip(NEXT) | instid1(VALU_DEP_1)
	v_bfe_u32 v4, v2, 7, 8
	v_cmpx_ne_u32_e32 0xff, v4
; %bb.2057:
	v_lshlrev_b32_e32 v3, 16, v2
	v_and_b32_e32 v6, 64, v2
	v_lshrrev_b32_e32 v2, 7, v2
	s_delay_alu instid0(VALU_DEP_3) | instskip(NEXT) | instid1(VALU_DEP_3)
	v_and_or_b32 v3, 0x3f0000, v3, v4
	v_cmp_ne_u32_e32 vcc_lo, 0, v6
	s_delay_alu instid0(VALU_DEP_2) | instskip(NEXT) | instid1(VALU_DEP_1)
	v_cmp_ne_u32_e64 s0, 0, v3
	s_and_b32 s0, vcc_lo, s0
	s_delay_alu instid0(SALU_CYCLE_1) | instskip(NEXT) | instid1(VALU_DEP_1)
	v_cndmask_b32_e64 v3, 0, 1, s0
	v_add_nc_u32_e32 v3, v2, v3
; %bb.2058:
	s_or_b32 exec_lo, exec_lo, s3
	s_mov_b32 s0, 0
	global_store_b8 v[0:1], v3, off
.LBB537_2059:
	s_mov_b32 s3, 0
.LBB537_2060:
	s_delay_alu instid0(SALU_CYCLE_1)
	s_and_b32 vcc_lo, exec_lo, s3
	s_cbranch_vccz .LBB537_2063
; %bb.2061:
	v_cmp_eq_u16_e32 vcc_lo, 29, v9
	s_mov_b32 s0, -1
	s_cbranch_vccz .LBB537_2063
; %bb.2062:
	v_lshlrev_b32_e32 v2, 16, v5
	s_mov_b32 s0, 0
	s_delay_alu instid0(VALU_DEP_1) | instskip(NEXT) | instid1(VALU_DEP_1)
	v_trunc_f32_e32 v2, v2
	v_mul_f32_e32 v3, 0x2f800000, v2
	s_delay_alu instid0(VALU_DEP_1) | instskip(NEXT) | instid1(VALU_DEP_1)
	v_floor_f32_e32 v3, v3
	v_fmamk_f32 v2, v3, 0xcf800000, v2
	v_cvt_u32_f32_e32 v3, v3
	s_delay_alu instid0(VALU_DEP_2)
	v_cvt_u32_f32_e32 v2, v2
	global_store_b64 v[0:1], v[2:3], off
.LBB537_2063:
	s_mov_b32 s3, 0
.LBB537_2064:
	s_delay_alu instid0(SALU_CYCLE_1)
	s_and_b32 vcc_lo, exec_lo, s3
	s_cbranch_vccz .LBB537_2079
; %bb.2065:
	v_cmp_gt_i16_e32 vcc_lo, 27, v9
	s_mov_b32 s3, -1
	s_cbranch_vccnz .LBB537_2071
; %bb.2066:
	v_cmp_lt_i16_e32 vcc_lo, 27, v9
	s_cbranch_vccz .LBB537_2068
; %bb.2067:
	v_lshlrev_b32_e32 v2, 16, v5
	s_mov_b32 s3, 0
	s_delay_alu instid0(VALU_DEP_1)
	v_cvt_u32_f32_e32 v2, v2
	global_store_b32 v[0:1], v2, off
.LBB537_2068:
	s_and_not1_b32 vcc_lo, exec_lo, s3
	s_cbranch_vccnz .LBB537_2070
; %bb.2069:
	v_lshlrev_b32_e32 v2, 16, v5
	s_delay_alu instid0(VALU_DEP_1)
	v_cvt_u32_f32_e32 v2, v2
	global_store_b16 v[0:1], v2, off
.LBB537_2070:
	s_mov_b32 s3, 0
.LBB537_2071:
	s_delay_alu instid0(SALU_CYCLE_1)
	s_and_not1_b32 vcc_lo, exec_lo, s3
	s_cbranch_vccnz .LBB537_2079
; %bb.2072:
	v_lshlrev_b32_e32 v4, 16, v5
	v_mov_b32_e32 v6, 0x80
	s_mov_b32 s3, exec_lo
	s_delay_alu instid0(VALU_DEP_2) | instskip(NEXT) | instid1(VALU_DEP_1)
	v_and_b32_e32 v3, 0x7fffffff, v4
	v_cmpx_gt_u32_e32 0x43800000, v3
	s_cbranch_execz .LBB537_2078
; %bb.2073:
	v_and_b32_e32 v2, 0xffff, v5
	v_cmp_lt_u32_e32 vcc_lo, 0x3bffffff, v3
	s_mov_b32 s4, 0
                                        ; implicit-def: $vgpr3
	s_and_saveexec_b32 s5, vcc_lo
	s_delay_alu instid0(SALU_CYCLE_1)
	s_xor_b32 s5, exec_lo, s5
	s_cbranch_execz .LBB537_2194
; %bb.2074:
	v_bfe_u32 v3, v2, 4, 1
	s_mov_b32 s4, exec_lo
	s_delay_alu instid0(VALU_DEP_1) | instskip(NEXT) | instid1(VALU_DEP_1)
	v_add3_u32 v3, v4, v3, 0x487ffff
                                        ; implicit-def: $vgpr4
	v_lshrrev_b32_e32 v3, 20, v3
	s_or_saveexec_b32 s5, s5
                                        ; implicit-def: $sgpr6
	s_delay_alu instid0(SALU_CYCLE_1)
	s_xor_b32 exec_lo, exec_lo, s5
	s_cbranch_execnz .LBB537_2195
.LBB537_2075:
	s_or_b32 exec_lo, exec_lo, s5
	v_mov_b32_e32 v6, s6
	s_and_saveexec_b32 s5, s4
.LBB537_2076:
	v_lshrrev_b32_e32 v2, 8, v2
	s_delay_alu instid0(VALU_DEP_1)
	v_and_or_b32 v6, 0x80, v2, v3
.LBB537_2077:
	s_or_b32 exec_lo, exec_lo, s5
.LBB537_2078:
	s_delay_alu instid0(SALU_CYCLE_1)
	s_or_b32 exec_lo, exec_lo, s3
	global_store_b8 v[0:1], v6, off
.LBB537_2079:
	s_mov_b32 s3, 0
.LBB537_2080:
	s_delay_alu instid0(SALU_CYCLE_1)
	s_and_b32 vcc_lo, exec_lo, s3
	s_cbranch_vccz .LBB537_2120
; %bb.2081:
	v_cmp_lt_i16_e32 vcc_lo, 22, v9
	s_mov_b32 s1, -1
	s_cbranch_vccz .LBB537_2113
; %bb.2082:
	v_cmp_gt_i16_e32 vcc_lo, 24, v9
	s_cbranch_vccnz .LBB537_2102
; %bb.2083:
	v_cmp_lt_i16_e32 vcc_lo, 24, v9
	s_cbranch_vccz .LBB537_2091
; %bb.2084:
	v_lshlrev_b32_e32 v4, 16, v5
	v_mov_b32_e32 v6, 0x80
	s_mov_b32 s1, exec_lo
	s_delay_alu instid0(VALU_DEP_2) | instskip(NEXT) | instid1(VALU_DEP_1)
	v_and_b32_e32 v3, 0x7fffffff, v4
	v_cmpx_gt_u32_e32 0x47800000, v3
	s_cbranch_execz .LBB537_2090
; %bb.2085:
	v_and_b32_e32 v2, 0xffff, v5
	v_cmp_lt_u32_e32 vcc_lo, 0x37ffffff, v3
	s_mov_b32 s3, 0
                                        ; implicit-def: $vgpr3
	s_and_saveexec_b32 s4, vcc_lo
	s_delay_alu instid0(SALU_CYCLE_1)
	s_xor_b32 s4, exec_lo, s4
	s_cbranch_execz .LBB537_2200
; %bb.2086:
	v_bfe_u32 v3, v2, 5, 1
	s_mov_b32 s3, exec_lo
	s_delay_alu instid0(VALU_DEP_1) | instskip(NEXT) | instid1(VALU_DEP_1)
	v_add3_u32 v3, v4, v3, 0x88fffff
                                        ; implicit-def: $vgpr4
	v_lshrrev_b32_e32 v3, 21, v3
	s_or_saveexec_b32 s4, s4
                                        ; implicit-def: $sgpr5
	s_delay_alu instid0(SALU_CYCLE_1)
	s_xor_b32 exec_lo, exec_lo, s4
	s_cbranch_execnz .LBB537_2201
.LBB537_2087:
	s_or_b32 exec_lo, exec_lo, s4
	v_mov_b32_e32 v6, s5
	s_and_saveexec_b32 s4, s3
.LBB537_2088:
	v_lshrrev_b32_e32 v2, 8, v2
	s_delay_alu instid0(VALU_DEP_1)
	v_and_or_b32 v6, 0x80, v2, v3
.LBB537_2089:
	s_or_b32 exec_lo, exec_lo, s4
.LBB537_2090:
	s_delay_alu instid0(SALU_CYCLE_1)
	s_or_b32 exec_lo, exec_lo, s1
	s_mov_b32 s1, 0
	global_store_b8 v[0:1], v6, off
.LBB537_2091:
	s_and_b32 vcc_lo, exec_lo, s1
	s_cbranch_vccz .LBB537_2101
; %bb.2092:
	v_lshlrev_b32_e32 v4, 16, v5
	v_and_b32_e32 v2, 0xffff, v5
	s_mov_b32 s1, exec_lo
                                        ; implicit-def: $vgpr3
	s_delay_alu instid0(VALU_DEP_2) | instskip(NEXT) | instid1(VALU_DEP_1)
	v_and_b32_e32 v6, 0x7fffffff, v4
	v_cmpx_gt_u32_e32 0x43f00000, v6
	s_xor_b32 s1, exec_lo, s1
	s_cbranch_execz .LBB537_2098
; %bb.2093:
	s_mov_b32 s3, exec_lo
                                        ; implicit-def: $vgpr3
	v_cmpx_lt_u32_e32 0x3c7fffff, v6
	s_xor_b32 s3, exec_lo, s3
; %bb.2094:
	v_bfe_u32 v3, v2, 4, 1
	s_delay_alu instid0(VALU_DEP_1) | instskip(NEXT) | instid1(VALU_DEP_1)
	v_add3_u32 v3, v4, v3, 0x407ffff
	v_and_b32_e32 v4, 0xff00000, v3
	v_lshrrev_b32_e32 v3, 20, v3
	s_delay_alu instid0(VALU_DEP_2) | instskip(NEXT) | instid1(VALU_DEP_2)
	v_cmp_ne_u32_e32 vcc_lo, 0x7f00000, v4
                                        ; implicit-def: $vgpr4
	v_cndmask_b32_e32 v3, 0x7e, v3, vcc_lo
; %bb.2095:
	s_and_not1_saveexec_b32 s3, s3
; %bb.2096:
	v_add_f32_e64 v3, 0x46800000, |v4|
; %bb.2097:
	s_or_b32 exec_lo, exec_lo, s3
                                        ; implicit-def: $vgpr6
.LBB537_2098:
	s_and_not1_saveexec_b32 s1, s1
; %bb.2099:
	v_mov_b32_e32 v3, 0x7f
	v_cmp_lt_u32_e32 vcc_lo, 0x7f800000, v6
	s_delay_alu instid0(VALU_DEP_2)
	v_cndmask_b32_e32 v3, 0x7e, v3, vcc_lo
; %bb.2100:
	s_or_b32 exec_lo, exec_lo, s1
	v_lshrrev_b32_e32 v2, 8, v2
	s_delay_alu instid0(VALU_DEP_1)
	v_and_or_b32 v2, 0x80, v2, v3
	global_store_b8 v[0:1], v2, off
.LBB537_2101:
	s_mov_b32 s1, 0
.LBB537_2102:
	s_delay_alu instid0(SALU_CYCLE_1)
	s_and_not1_b32 vcc_lo, exec_lo, s1
	s_cbranch_vccnz .LBB537_2112
; %bb.2103:
	v_lshlrev_b32_e32 v4, 16, v5
	v_and_b32_e32 v2, 0xffff, v5
	s_mov_b32 s1, exec_lo
                                        ; implicit-def: $vgpr3
	s_delay_alu instid0(VALU_DEP_2) | instskip(NEXT) | instid1(VALU_DEP_1)
	v_and_b32_e32 v6, 0x7fffffff, v4
	v_cmpx_gt_u32_e32 0x47800000, v6
	s_xor_b32 s1, exec_lo, s1
	s_cbranch_execz .LBB537_2109
; %bb.2104:
	s_mov_b32 s3, exec_lo
                                        ; implicit-def: $vgpr3
	v_cmpx_lt_u32_e32 0x387fffff, v6
	s_xor_b32 s3, exec_lo, s3
; %bb.2105:
	v_bfe_u32 v3, v2, 5, 1
	s_delay_alu instid0(VALU_DEP_1) | instskip(NEXT) | instid1(VALU_DEP_1)
	v_add3_u32 v3, v4, v3, 0x80fffff
                                        ; implicit-def: $vgpr4
	v_lshrrev_b32_e32 v3, 21, v3
; %bb.2106:
	s_and_not1_saveexec_b32 s3, s3
; %bb.2107:
	v_add_f32_e64 v3, 0x43000000, |v4|
; %bb.2108:
	s_or_b32 exec_lo, exec_lo, s3
                                        ; implicit-def: $vgpr6
.LBB537_2109:
	s_and_not1_saveexec_b32 s1, s1
; %bb.2110:
	v_mov_b32_e32 v3, 0x7f
	v_cmp_lt_u32_e32 vcc_lo, 0x7f800000, v6
	s_delay_alu instid0(VALU_DEP_2)
	v_cndmask_b32_e32 v3, 0x7c, v3, vcc_lo
; %bb.2111:
	s_or_b32 exec_lo, exec_lo, s1
	v_lshrrev_b32_e32 v2, 8, v2
	s_delay_alu instid0(VALU_DEP_1)
	v_and_or_b32 v2, 0x80, v2, v3
	global_store_b8 v[0:1], v2, off
.LBB537_2112:
	s_mov_b32 s1, 0
.LBB537_2113:
	s_delay_alu instid0(SALU_CYCLE_1)
	s_and_not1_b32 vcc_lo, exec_lo, s1
	s_mov_b32 s1, 0
	s_cbranch_vccnz .LBB537_2120
; %bb.2114:
	v_cmp_lt_i16_e32 vcc_lo, 14, v9
	s_mov_b32 s1, -1
	s_cbranch_vccz .LBB537_2118
; %bb.2115:
	v_cmp_eq_u16_e32 vcc_lo, 15, v9
	s_mov_b32 s0, -1
	s_cbranch_vccz .LBB537_2117
; %bb.2116:
	s_mov_b32 s0, 0
	global_store_b16 v[0:1], v5, off
.LBB537_2117:
	s_mov_b32 s1, 0
.LBB537_2118:
	s_delay_alu instid0(SALU_CYCLE_1)
	s_and_b32 vcc_lo, exec_lo, s1
	s_mov_b32 s1, 0
	s_cbranch_vccz .LBB537_2120
; %bb.2119:
	v_cmp_ne_u16_e64 s0, 11, v9
	s_mov_b32 s1, -1
.LBB537_2120:
	s_delay_alu instid0(VALU_DEP_1)
	s_and_b32 vcc_lo, exec_lo, s0
	s_cbranch_vccnz .LBB537_2198
.LBB537_2121:
	s_mov_b32 s0, 0
	s_branch .LBB537_2123
.LBB537_2122:
	s_mov_b32 s0, 0
	s_mov_b32 s1, 0
                                        ; implicit-def: $vgpr0_vgpr1
                                        ; implicit-def: $vgpr9
                                        ; implicit-def: $vgpr5
.LBB537_2123:
	s_and_b32 s3, s0, exec_lo
	s_and_not1_b32 s0, s8, exec_lo
	s_and_b32 s2, s2, exec_lo
	s_and_b32 s28, s1, exec_lo
	s_or_b32 s8, s0, s2
.LBB537_2124:
	s_or_b32 exec_lo, exec_lo, s9
	s_and_saveexec_b32 s0, s8
	s_cbranch_execz .LBB537_2127
; %bb.2125:
	; divergent unreachable
	s_or_b32 exec_lo, exec_lo, s0
	s_and_saveexec_b32 s0, s28
	s_delay_alu instid0(SALU_CYCLE_1)
	s_xor_b32 s0, exec_lo, s0
	s_cbranch_execnz .LBB537_2128
.LBB537_2126:
	s_or_b32 exec_lo, exec_lo, s0
	s_and_saveexec_b32 s0, s3
	s_cbranch_execnz .LBB537_2129
	s_branch .LBB537_2166
.LBB537_2127:
	s_or_b32 exec_lo, exec_lo, s0
	s_and_saveexec_b32 s0, s28
	s_delay_alu instid0(SALU_CYCLE_1)
	s_xor_b32 s0, exec_lo, s0
	s_cbranch_execz .LBB537_2126
.LBB537_2128:
	s_waitcnt vmcnt(0)
	v_and_b32_e32 v2, 0x7fff, v5
	s_delay_alu instid0(VALU_DEP_1)
	v_cmp_ne_u16_e32 vcc_lo, 0, v2
	v_cndmask_b32_e64 v2, 0, 1, vcc_lo
	global_store_b8 v[0:1], v2, off
	s_or_b32 exec_lo, exec_lo, s0
	s_and_saveexec_b32 s0, s3
	s_cbranch_execz .LBB537_2166
.LBB537_2129:
	s_waitcnt vmcnt(0)
	v_cmp_gt_i16_e32 vcc_lo, 5, v9
	s_mov_b32 s0, -1
	s_cbranch_vccnz .LBB537_2150
; %bb.2130:
	v_cmp_gt_i16_e32 vcc_lo, 8, v9
	s_cbranch_vccnz .LBB537_2140
; %bb.2131:
	v_cmp_gt_i16_e32 vcc_lo, 9, v9
	s_cbranch_vccnz .LBB537_2137
; %bb.2132:
	v_cmp_lt_i16_e32 vcc_lo, 9, v9
	s_cbranch_vccz .LBB537_2134
; %bb.2133:
	v_mov_b32_e32 v12, 0
	v_lshlrev_b32_e32 v2, 16, v5
	s_mov_b32 s0, 0
	s_delay_alu instid0(VALU_DEP_2) | instskip(NEXT) | instid1(VALU_DEP_2)
	v_mov_b32_e32 v13, v12
	v_cvt_f64_f32_e32 v[10:11], v2
	global_store_b128 v[0:1], v[10:13], off
.LBB537_2134:
	s_and_not1_b32 vcc_lo, exec_lo, s0
	s_cbranch_vccnz .LBB537_2136
; %bb.2135:
	v_dual_mov_b32 v3, 0 :: v_dual_lshlrev_b32 v2, 16, v5
	global_store_b64 v[0:1], v[2:3], off
.LBB537_2136:
	s_mov_b32 s0, 0
.LBB537_2137:
	s_delay_alu instid0(SALU_CYCLE_1)
	s_and_not1_b32 vcc_lo, exec_lo, s0
	s_cbranch_vccnz .LBB537_2139
; %bb.2138:
	v_lshlrev_b32_e32 v2, 16, v5
	s_delay_alu instid0(VALU_DEP_1) | instskip(NEXT) | instid1(VALU_DEP_1)
	v_cvt_f16_f32_e32 v2, v2
	v_and_b32_e32 v2, 0xffff, v2
	global_store_b32 v[0:1], v2, off
.LBB537_2139:
	s_mov_b32 s0, 0
.LBB537_2140:
	s_delay_alu instid0(SALU_CYCLE_1)
	s_and_not1_b32 vcc_lo, exec_lo, s0
	s_cbranch_vccnz .LBB537_2149
; %bb.2141:
	v_cmp_gt_i16_e32 vcc_lo, 6, v9
	s_mov_b32 s0, -1
	s_cbranch_vccnz .LBB537_2147
; %bb.2142:
	v_cmp_lt_i16_e32 vcc_lo, 6, v9
	s_cbranch_vccz .LBB537_2144
; %bb.2143:
	v_lshlrev_b32_e32 v2, 16, v5
	s_mov_b32 s0, 0
	s_delay_alu instid0(VALU_DEP_1)
	v_cvt_f64_f32_e32 v[2:3], v2
	global_store_b64 v[0:1], v[2:3], off
.LBB537_2144:
	s_and_not1_b32 vcc_lo, exec_lo, s0
	s_cbranch_vccnz .LBB537_2146
; %bb.2145:
	v_lshlrev_b32_e32 v2, 16, v5
	global_store_b32 v[0:1], v2, off
.LBB537_2146:
	s_mov_b32 s0, 0
.LBB537_2147:
	s_delay_alu instid0(SALU_CYCLE_1)
	s_and_not1_b32 vcc_lo, exec_lo, s0
	s_cbranch_vccnz .LBB537_2149
; %bb.2148:
	v_lshlrev_b32_e32 v2, 16, v5
	s_delay_alu instid0(VALU_DEP_1)
	v_cvt_f16_f32_e32 v2, v2
	global_store_b16 v[0:1], v2, off
.LBB537_2149:
	s_mov_b32 s0, 0
.LBB537_2150:
	s_delay_alu instid0(SALU_CYCLE_1)
	s_and_not1_b32 vcc_lo, exec_lo, s0
	s_cbranch_vccnz .LBB537_2166
; %bb.2151:
	v_cmp_gt_i16_e32 vcc_lo, 2, v9
	s_mov_b32 s0, -1
	s_cbranch_vccnz .LBB537_2161
; %bb.2152:
	v_cmp_gt_i16_e32 vcc_lo, 3, v9
	s_cbranch_vccnz .LBB537_2158
; %bb.2153:
	v_cmp_lt_i16_e32 vcc_lo, 3, v9
	s_cbranch_vccz .LBB537_2155
; %bb.2154:
	v_lshlrev_b32_e32 v2, 16, v5
	s_mov_b32 s0, 0
	s_delay_alu instid0(VALU_DEP_1) | instskip(NEXT) | instid1(VALU_DEP_1)
	v_trunc_f32_e32 v2, v2
	v_mul_f32_e64 v3, 0x2f800000, |v2|
	v_ashrrev_i32_e32 v6, 31, v2
	s_delay_alu instid0(VALU_DEP_2) | instskip(NEXT) | instid1(VALU_DEP_1)
	v_floor_f32_e32 v3, v3
	v_fma_f32 v4, 0xcf800000, v3, |v2|
	v_cvt_u32_f32_e32 v3, v3
	s_delay_alu instid0(VALU_DEP_2) | instskip(NEXT) | instid1(VALU_DEP_2)
	v_cvt_u32_f32_e32 v2, v4
	v_xor_b32_e32 v3, v3, v6
	s_delay_alu instid0(VALU_DEP_2) | instskip(NEXT) | instid1(VALU_DEP_1)
	v_xor_b32_e32 v2, v2, v6
	v_sub_co_u32 v2, vcc_lo, v2, v6
	s_delay_alu instid0(VALU_DEP_3)
	v_sub_co_ci_u32_e32 v3, vcc_lo, v3, v6, vcc_lo
	global_store_b64 v[0:1], v[2:3], off
.LBB537_2155:
	s_and_not1_b32 vcc_lo, exec_lo, s0
	s_cbranch_vccnz .LBB537_2157
; %bb.2156:
	v_lshlrev_b32_e32 v2, 16, v5
	s_delay_alu instid0(VALU_DEP_1)
	v_cvt_i32_f32_e32 v2, v2
	global_store_b32 v[0:1], v2, off
.LBB537_2157:
	s_mov_b32 s0, 0
.LBB537_2158:
	s_delay_alu instid0(SALU_CYCLE_1)
	s_and_not1_b32 vcc_lo, exec_lo, s0
	s_cbranch_vccnz .LBB537_2160
; %bb.2159:
	v_lshlrev_b32_e32 v2, 16, v5
	s_delay_alu instid0(VALU_DEP_1)
	v_cvt_i32_f32_e32 v2, v2
	global_store_b16 v[0:1], v2, off
.LBB537_2160:
	s_mov_b32 s0, 0
.LBB537_2161:
	s_delay_alu instid0(SALU_CYCLE_1)
	s_and_not1_b32 vcc_lo, exec_lo, s0
	s_cbranch_vccnz .LBB537_2166
; %bb.2162:
	v_cmp_lt_i16_e32 vcc_lo, 0, v9
	v_lshlrev_b32_e32 v2, 16, v5
	s_mov_b32 s0, -1
	s_cbranch_vccz .LBB537_2164
; %bb.2163:
	s_delay_alu instid0(VALU_DEP_1)
	v_cvt_i32_f32_e32 v3, v2
	s_mov_b32 s0, 0
	global_store_b8 v[0:1], v3, off
.LBB537_2164:
	s_and_not1_b32 vcc_lo, exec_lo, s0
	s_cbranch_vccnz .LBB537_2166
; %bb.2165:
	v_trunc_f32_e32 v2, v2
	s_delay_alu instid0(VALU_DEP_1) | instskip(NEXT) | instid1(VALU_DEP_1)
	v_mul_f32_e64 v3, 0x2f800000, |v2|
	v_floor_f32_e32 v3, v3
	s_delay_alu instid0(VALU_DEP_1) | instskip(SKIP_1) | instid1(VALU_DEP_2)
	v_fma_f32 v3, 0xcf800000, v3, |v2|
	v_ashrrev_i32_e32 v2, 31, v2
	v_cvt_u32_f32_e32 v3, v3
	s_delay_alu instid0(VALU_DEP_1) | instskip(NEXT) | instid1(VALU_DEP_1)
	v_xor_b32_e32 v3, v3, v2
	v_sub_nc_u32_e32 v2, v3, v2
	global_store_b8 v[0:1], v2, off
	s_nop 0
	s_sendmsg sendmsg(MSG_DEALLOC_VGPRS)
	s_endpgm
.LBB537_2166:
	s_nop 0
	s_sendmsg sendmsg(MSG_DEALLOC_VGPRS)
	s_endpgm
.LBB537_2167:
	s_mov_b32 s0, 0
	s_mov_b32 s1, 0
                                        ; implicit-def: $vgpr0_vgpr1
                                        ; implicit-def: $vgpr9
	s_branch .LBB537_2123
.LBB537_2168:
	s_cbranch_execnz .LBB537_2172
; %bb.2169:
	s_or_b32 s2, s2, exec_lo
                                        ; implicit-def: $vgpr9
	s_cbranch_execz .LBB537_1636
	s_branch .LBB537_1637
.LBB537_2170:
	s_or_saveexec_b32 s7, s7
                                        ; implicit-def: $sgpr10
	s_delay_alu instid0(SALU_CYCLE_1)
	s_xor_b32 exec_lo, exec_lo, s7
	s_cbranch_execz .LBB537_1720
.LBB537_2171:
	v_add_f32_e64 v11, 0x46000000, |v12|
	s_and_not1_b32 s6, s6, exec_lo
	s_mov_b32 s10, 0
	s_delay_alu instid0(VALU_DEP_1) | instskip(NEXT) | instid1(VALU_DEP_1)
	v_and_b32_e32 v11, 0xff, v11
	v_cmp_ne_u32_e32 vcc_lo, 0, v11
	s_and_b32 s11, vcc_lo, exec_lo
	s_delay_alu instid0(SALU_CYCLE_1)
	s_or_b32 s6, s6, s11
	s_or_b32 exec_lo, exec_lo, s7
	v_mov_b32_e32 v13, s10
	s_and_saveexec_b32 s7, s6
	s_cbranch_execnz .LBB537_1721
	s_branch .LBB537_1722
.LBB537_2172:
	s_trap 2
	s_sendmsg_rtn_b32 s0, sendmsg(MSG_RTN_GET_DOORBELL)
	s_mov_b32 ttmp2, m0
	s_waitcnt lgkmcnt(0)
	s_and_b32 s0, s0, 0x3ff
	s_delay_alu instid0(SALU_CYCLE_1) | instskip(NEXT) | instid1(SALU_CYCLE_1)
	s_bitset1_b32 s0, 10
	s_mov_b32 m0, s0
	s_sendmsg sendmsg(MSG_INTERRUPT)
	s_mov_b32 m0, ttmp2
.LBB537_2173:                           ; =>This Inner Loop Header: Depth=1
	s_sethalt 5
	s_branch .LBB537_2173
.LBB537_2174:
	s_cbranch_execnz .LBB537_2180
; %bb.2175:
	s_or_b32 s2, s2, exec_lo
	s_cbranch_execz .LBB537_1768
	s_branch .LBB537_1769
.LBB537_2176:
	s_or_saveexec_b32 s6, s6
                                        ; implicit-def: $sgpr7
	s_delay_alu instid0(SALU_CYCLE_1)
	s_xor_b32 exec_lo, exec_lo, s6
	s_cbranch_execz .LBB537_1733
.LBB537_2177:
	v_add_f32_e64 v11, 0x42800000, |v12|
	s_and_not1_b32 s3, s3, exec_lo
	s_mov_b32 s7, 0
	s_delay_alu instid0(VALU_DEP_1) | instskip(NEXT) | instid1(VALU_DEP_1)
	v_and_b32_e32 v11, 0xff, v11
	v_cmp_ne_u32_e32 vcc_lo, 0, v11
	s_and_b32 s10, vcc_lo, exec_lo
	s_delay_alu instid0(SALU_CYCLE_1)
	s_or_b32 s3, s3, s10
	s_or_b32 exec_lo, exec_lo, s6
	v_mov_b32_e32 v13, s7
	s_and_saveexec_b32 s6, s3
	s_cbranch_execnz .LBB537_1734
	s_branch .LBB537_1735
.LBB537_2178:
	s_or_saveexec_b32 s7, s7
                                        ; implicit-def: $sgpr10
	s_delay_alu instid0(SALU_CYCLE_1)
	s_xor_b32 exec_lo, exec_lo, s7
	s_cbranch_execz .LBB537_1838
.LBB537_2179:
	v_add_f32_e64 v8, 0x46000000, |v10|
	s_and_not1_b32 s6, s6, exec_lo
	s_mov_b32 s10, 0
	s_delay_alu instid0(VALU_DEP_1) | instskip(NEXT) | instid1(VALU_DEP_1)
	v_and_b32_e32 v8, 0xff, v8
	v_cmp_ne_u32_e32 vcc_lo, 0, v8
	s_and_b32 s11, vcc_lo, exec_lo
	s_delay_alu instid0(SALU_CYCLE_1)
	s_or_b32 s6, s6, s11
	s_or_b32 exec_lo, exec_lo, s7
	v_mov_b32_e32 v11, s10
	s_and_saveexec_b32 s7, s6
	s_cbranch_execnz .LBB537_1839
	s_branch .LBB537_1840
.LBB537_2180:
	s_trap 2
	s_sendmsg_rtn_b32 s0, sendmsg(MSG_RTN_GET_DOORBELL)
	s_mov_b32 ttmp2, m0
	s_waitcnt lgkmcnt(0)
	s_and_b32 s0, s0, 0x3ff
	s_delay_alu instid0(SALU_CYCLE_1) | instskip(NEXT) | instid1(SALU_CYCLE_1)
	s_bitset1_b32 s0, 10
	s_mov_b32 m0, s0
	s_sendmsg sendmsg(MSG_INTERRUPT)
	s_mov_b32 m0, ttmp2
.LBB537_2181:                           ; =>This Inner Loop Header: Depth=1
	s_sethalt 5
	s_branch .LBB537_2181
.LBB537_2182:
	s_cbranch_execnz .LBB537_2188
; %bb.2183:
	s_or_b32 s2, s2, exec_lo
	s_cbranch_execz .LBB537_1886
	s_branch .LBB537_1887
.LBB537_2184:
	s_or_saveexec_b32 s6, s6
                                        ; implicit-def: $sgpr7
	s_delay_alu instid0(SALU_CYCLE_1)
	s_xor_b32 exec_lo, exec_lo, s6
	s_cbranch_execz .LBB537_1851
.LBB537_2185:
	v_add_f32_e64 v8, 0x42800000, |v10|
	s_and_not1_b32 s3, s3, exec_lo
	s_mov_b32 s7, 0
	s_delay_alu instid0(VALU_DEP_1) | instskip(NEXT) | instid1(VALU_DEP_1)
	v_and_b32_e32 v8, 0xff, v8
	v_cmp_ne_u32_e32 vcc_lo, 0, v8
	s_and_b32 s10, vcc_lo, exec_lo
	s_delay_alu instid0(SALU_CYCLE_1)
	s_or_b32 s3, s3, s10
	s_or_b32 exec_lo, exec_lo, s6
	v_mov_b32_e32 v11, s7
	s_and_saveexec_b32 s6, s3
	s_cbranch_execnz .LBB537_1852
	s_branch .LBB537_1853
.LBB537_2186:
	s_or_saveexec_b32 s7, s7
                                        ; implicit-def: $sgpr10
	s_delay_alu instid0(SALU_CYCLE_1)
	s_xor_b32 exec_lo, exec_lo, s7
	s_cbranch_execz .LBB537_1956
.LBB537_2187:
	v_add_f32_e64 v4, 0x46000000, |v7|
	s_and_not1_b32 s6, s6, exec_lo
	s_mov_b32 s10, 0
	s_delay_alu instid0(VALU_DEP_1) | instskip(NEXT) | instid1(VALU_DEP_1)
	v_and_b32_e32 v4, 0xff, v4
	v_cmp_ne_u32_e32 vcc_lo, 0, v4
	s_and_b32 s11, vcc_lo, exec_lo
	s_delay_alu instid0(SALU_CYCLE_1)
	s_or_b32 s6, s6, s11
	s_or_b32 exec_lo, exec_lo, s7
	v_mov_b32_e32 v8, s10
	s_and_saveexec_b32 s7, s6
	s_cbranch_execnz .LBB537_1957
	s_branch .LBB537_1958
.LBB537_2188:
	s_trap 2
	s_sendmsg_rtn_b32 s0, sendmsg(MSG_RTN_GET_DOORBELL)
	s_mov_b32 ttmp2, m0
	s_waitcnt lgkmcnt(0)
	s_and_b32 s0, s0, 0x3ff
	s_delay_alu instid0(SALU_CYCLE_1) | instskip(NEXT) | instid1(SALU_CYCLE_1)
	s_bitset1_b32 s0, 10
	s_mov_b32 m0, s0
	s_sendmsg sendmsg(MSG_INTERRUPT)
	s_mov_b32 m0, ttmp2
.LBB537_2189:                           ; =>This Inner Loop Header: Depth=1
	s_sethalt 5
	s_branch .LBB537_2189
.LBB537_2190:
	s_cbranch_execnz .LBB537_2196
; %bb.2191:
	s_or_b32 s2, s2, exec_lo
	s_cbranch_execz .LBB537_2004
	s_branch .LBB537_2005
.LBB537_2192:
	s_or_saveexec_b32 s6, s6
                                        ; implicit-def: $sgpr7
	s_delay_alu instid0(SALU_CYCLE_1)
	s_xor_b32 exec_lo, exec_lo, s6
	s_cbranch_execz .LBB537_1969
.LBB537_2193:
	v_add_f32_e64 v4, 0x42800000, |v7|
	s_and_not1_b32 s3, s3, exec_lo
	s_mov_b32 s7, 0
	s_delay_alu instid0(VALU_DEP_1) | instskip(NEXT) | instid1(VALU_DEP_1)
	v_and_b32_e32 v4, 0xff, v4
	v_cmp_ne_u32_e32 vcc_lo, 0, v4
	s_and_b32 s10, vcc_lo, exec_lo
	s_delay_alu instid0(SALU_CYCLE_1)
	s_or_b32 s3, s3, s10
	s_or_b32 exec_lo, exec_lo, s6
	v_mov_b32_e32 v8, s7
	s_and_saveexec_b32 s6, s3
	s_cbranch_execnz .LBB537_1970
	s_branch .LBB537_1971
.LBB537_2194:
	s_or_saveexec_b32 s5, s5
                                        ; implicit-def: $sgpr6
	s_delay_alu instid0(SALU_CYCLE_1)
	s_xor_b32 exec_lo, exec_lo, s5
	s_cbranch_execz .LBB537_2075
.LBB537_2195:
	v_add_f32_e64 v3, 0x46000000, |v4|
	s_and_not1_b32 s4, s4, exec_lo
	s_mov_b32 s6, 0
	s_delay_alu instid0(VALU_DEP_1) | instskip(NEXT) | instid1(VALU_DEP_1)
	v_and_b32_e32 v3, 0xff, v3
	v_cmp_ne_u32_e32 vcc_lo, 0, v3
	s_and_b32 s7, vcc_lo, exec_lo
	s_delay_alu instid0(SALU_CYCLE_1)
	s_or_b32 s4, s4, s7
	s_or_b32 exec_lo, exec_lo, s5
	v_mov_b32_e32 v6, s6
	s_and_saveexec_b32 s5, s4
	s_cbranch_execnz .LBB537_2076
	s_branch .LBB537_2077
.LBB537_2196:
	s_trap 2
	s_sendmsg_rtn_b32 s0, sendmsg(MSG_RTN_GET_DOORBELL)
	s_mov_b32 ttmp2, m0
	s_waitcnt lgkmcnt(0)
	s_and_b32 s0, s0, 0x3ff
	s_delay_alu instid0(SALU_CYCLE_1) | instskip(NEXT) | instid1(SALU_CYCLE_1)
	s_bitset1_b32 s0, 10
	s_mov_b32 m0, s0
	s_sendmsg sendmsg(MSG_INTERRUPT)
	s_mov_b32 m0, ttmp2
.LBB537_2197:                           ; =>This Inner Loop Header: Depth=1
	s_sethalt 5
	s_branch .LBB537_2197
.LBB537_2198:
	s_cbranch_execnz .LBB537_2202
; %bb.2199:
	s_mov_b32 s1, 0
	s_or_b32 s2, s2, exec_lo
	s_branch .LBB537_2121
.LBB537_2200:
	s_or_saveexec_b32 s4, s4
                                        ; implicit-def: $sgpr5
	s_delay_alu instid0(SALU_CYCLE_1)
	s_xor_b32 exec_lo, exec_lo, s4
	s_cbranch_execz .LBB537_2087
.LBB537_2201:
	v_add_f32_e64 v3, 0x42800000, |v4|
	s_and_not1_b32 s3, s3, exec_lo
	s_mov_b32 s5, 0
	s_delay_alu instid0(VALU_DEP_1) | instskip(NEXT) | instid1(VALU_DEP_1)
	v_and_b32_e32 v3, 0xff, v3
	v_cmp_ne_u32_e32 vcc_lo, 0, v3
	s_and_b32 s6, vcc_lo, exec_lo
	s_delay_alu instid0(SALU_CYCLE_1)
	s_or_b32 s3, s3, s6
	s_or_b32 exec_lo, exec_lo, s4
	v_mov_b32_e32 v6, s5
	s_and_saveexec_b32 s4, s3
	s_cbranch_execnz .LBB537_2088
	s_branch .LBB537_2089
.LBB537_2202:
	s_trap 2
	s_sendmsg_rtn_b32 s0, sendmsg(MSG_RTN_GET_DOORBELL)
	s_mov_b32 ttmp2, m0
	s_waitcnt lgkmcnt(0)
	s_and_b32 s0, s0, 0x3ff
	s_delay_alu instid0(SALU_CYCLE_1) | instskip(NEXT) | instid1(SALU_CYCLE_1)
	s_bitset1_b32 s0, 10
	s_mov_b32 m0, s0
	s_sendmsg sendmsg(MSG_INTERRUPT)
	s_mov_b32 m0, ttmp2
.LBB537_2203:                           ; =>This Inner Loop Header: Depth=1
	s_sethalt 5
	s_branch .LBB537_2203
	.section	.rodata,"a",@progbits
	.p2align	6, 0x0
	.amdhsa_kernel _ZN2at6native32elementwise_kernel_manual_unrollILi128ELi4EZNS0_15gpu_kernel_implIZZZNS0_22nan_to_num_kernel_cudaERNS_18TensorIteratorBaseESt8optionalIdES6_S6_ENKUlvE0_clEvENKUlvE2_clEvEUlN3c108BFloat16EE_EEvS4_RKT_EUlibE0_EEviT1_
		.amdhsa_group_segment_fixed_size 0
		.amdhsa_private_segment_fixed_size 0
		.amdhsa_kernarg_size 360
		.amdhsa_user_sgpr_count 15
		.amdhsa_user_sgpr_dispatch_ptr 0
		.amdhsa_user_sgpr_queue_ptr 0
		.amdhsa_user_sgpr_kernarg_segment_ptr 1
		.amdhsa_user_sgpr_dispatch_id 0
		.amdhsa_user_sgpr_private_segment_size 0
		.amdhsa_wavefront_size32 1
		.amdhsa_uses_dynamic_stack 0
		.amdhsa_enable_private_segment 0
		.amdhsa_system_sgpr_workgroup_id_x 1
		.amdhsa_system_sgpr_workgroup_id_y 0
		.amdhsa_system_sgpr_workgroup_id_z 0
		.amdhsa_system_sgpr_workgroup_info 0
		.amdhsa_system_vgpr_workitem_id 0
		.amdhsa_next_free_vgpr 18
		.amdhsa_next_free_sgpr 72
		.amdhsa_reserve_vcc 1
		.amdhsa_float_round_mode_32 0
		.amdhsa_float_round_mode_16_64 0
		.amdhsa_float_denorm_mode_32 3
		.amdhsa_float_denorm_mode_16_64 3
		.amdhsa_dx10_clamp 1
		.amdhsa_ieee_mode 1
		.amdhsa_fp16_overflow 0
		.amdhsa_workgroup_processor_mode 1
		.amdhsa_memory_ordered 1
		.amdhsa_forward_progress 0
		.amdhsa_shared_vgpr_count 0
		.amdhsa_exception_fp_ieee_invalid_op 0
		.amdhsa_exception_fp_denorm_src 0
		.amdhsa_exception_fp_ieee_div_zero 0
		.amdhsa_exception_fp_ieee_overflow 0
		.amdhsa_exception_fp_ieee_underflow 0
		.amdhsa_exception_fp_ieee_inexact 0
		.amdhsa_exception_int_div_zero 0
	.end_amdhsa_kernel
	.section	.text._ZN2at6native32elementwise_kernel_manual_unrollILi128ELi4EZNS0_15gpu_kernel_implIZZZNS0_22nan_to_num_kernel_cudaERNS_18TensorIteratorBaseESt8optionalIdES6_S6_ENKUlvE0_clEvENKUlvE2_clEvEUlN3c108BFloat16EE_EEvS4_RKT_EUlibE0_EEviT1_,"axG",@progbits,_ZN2at6native32elementwise_kernel_manual_unrollILi128ELi4EZNS0_15gpu_kernel_implIZZZNS0_22nan_to_num_kernel_cudaERNS_18TensorIteratorBaseESt8optionalIdES6_S6_ENKUlvE0_clEvENKUlvE2_clEvEUlN3c108BFloat16EE_EEvS4_RKT_EUlibE0_EEviT1_,comdat
.Lfunc_end537:
	.size	_ZN2at6native32elementwise_kernel_manual_unrollILi128ELi4EZNS0_15gpu_kernel_implIZZZNS0_22nan_to_num_kernel_cudaERNS_18TensorIteratorBaseESt8optionalIdES6_S6_ENKUlvE0_clEvENKUlvE2_clEvEUlN3c108BFloat16EE_EEvS4_RKT_EUlibE0_EEviT1_, .Lfunc_end537-_ZN2at6native32elementwise_kernel_manual_unrollILi128ELi4EZNS0_15gpu_kernel_implIZZZNS0_22nan_to_num_kernel_cudaERNS_18TensorIteratorBaseESt8optionalIdES6_S6_ENKUlvE0_clEvENKUlvE2_clEvEUlN3c108BFloat16EE_EEvS4_RKT_EUlibE0_EEviT1_
                                        ; -- End function
	.section	.AMDGPU.csdata,"",@progbits
; Kernel info:
; codeLenInByte = 50964
; NumSgprs: 74
; NumVgprs: 18
; ScratchSize: 0
; MemoryBound: 0
; FloatMode: 240
; IeeeMode: 1
; LDSByteSize: 0 bytes/workgroup (compile time only)
; SGPRBlocks: 9
; VGPRBlocks: 2
; NumSGPRsForWavesPerEU: 74
; NumVGPRsForWavesPerEU: 18
; Occupancy: 16
; WaveLimiterHint : 1
; COMPUTE_PGM_RSRC2:SCRATCH_EN: 0
; COMPUTE_PGM_RSRC2:USER_SGPR: 15
; COMPUTE_PGM_RSRC2:TRAP_HANDLER: 0
; COMPUTE_PGM_RSRC2:TGID_X_EN: 1
; COMPUTE_PGM_RSRC2:TGID_Y_EN: 0
; COMPUTE_PGM_RSRC2:TGID_Z_EN: 0
; COMPUTE_PGM_RSRC2:TIDIG_COMP_CNT: 0
	.section	.text._ZN2at6native12_GLOBAL__N_145unrolled_elementwise_kernel_for_multi_outputsILi2EZZZNS0_17frexp_kernel_cudaERNS_18TensorIteratorBaseEENKUlvE_clEvENKUlvE_clEvEUldE_St5arrayIPcLm3EE23TrivialOffsetCalculatorILi1EjESB_ILi2EjEEEviT0_T1_T2_T3_,"axG",@progbits,_ZN2at6native12_GLOBAL__N_145unrolled_elementwise_kernel_for_multi_outputsILi2EZZZNS0_17frexp_kernel_cudaERNS_18TensorIteratorBaseEENKUlvE_clEvENKUlvE_clEvEUldE_St5arrayIPcLm3EE23TrivialOffsetCalculatorILi1EjESB_ILi2EjEEEviT0_T1_T2_T3_,comdat
	.globl	_ZN2at6native12_GLOBAL__N_145unrolled_elementwise_kernel_for_multi_outputsILi2EZZZNS0_17frexp_kernel_cudaERNS_18TensorIteratorBaseEENKUlvE_clEvENKUlvE_clEvEUldE_St5arrayIPcLm3EE23TrivialOffsetCalculatorILi1EjESB_ILi2EjEEEviT0_T1_T2_T3_ ; -- Begin function _ZN2at6native12_GLOBAL__N_145unrolled_elementwise_kernel_for_multi_outputsILi2EZZZNS0_17frexp_kernel_cudaERNS_18TensorIteratorBaseEENKUlvE_clEvENKUlvE_clEvEUldE_St5arrayIPcLm3EE23TrivialOffsetCalculatorILi1EjESB_ILi2EjEEEviT0_T1_T2_T3_
	.p2align	8
	.type	_ZN2at6native12_GLOBAL__N_145unrolled_elementwise_kernel_for_multi_outputsILi2EZZZNS0_17frexp_kernel_cudaERNS_18TensorIteratorBaseEENKUlvE_clEvENKUlvE_clEvEUldE_St5arrayIPcLm3EE23TrivialOffsetCalculatorILi1EjESB_ILi2EjEEEviT0_T1_T2_T3_,@function
_ZN2at6native12_GLOBAL__N_145unrolled_elementwise_kernel_for_multi_outputsILi2EZZZNS0_17frexp_kernel_cudaERNS_18TensorIteratorBaseEENKUlvE_clEvENKUlvE_clEvEUldE_St5arrayIPcLm3EE23TrivialOffsetCalculatorILi1EjESB_ILi2EjEEEviT0_T1_T2_T3_: ; @_ZN2at6native12_GLOBAL__N_145unrolled_elementwise_kernel_for_multi_outputsILi2EZZZNS0_17frexp_kernel_cudaERNS_18TensorIteratorBaseEENKUlvE_clEvENKUlvE_clEvEUldE_St5arrayIPcLm3EE23TrivialOffsetCalculatorILi1EjESB_ILi2EjEEEviT0_T1_T2_T3_
; %bb.0:
	s_load_b64 s[8:9], s[0:1], 0x4
	s_load_b32 s0, s[2:3], 0x0
	v_dual_mov_b32 v1, 0 :: v_dual_and_b32 v2, 0x3ff, v0
	s_clause 0x1
	s_load_b128 s[4:7], s[2:3], 0x8
	s_load_b64 s[2:3], s[2:3], 0x18
	v_bfe_u32 v4, v0, 10, 10
	v_bfe_u32 v0, v0, 20, 10
	s_waitcnt lgkmcnt(0)
	s_lshr_b32 s1, s8, 16
	s_mov_b32 s8, 0
	s_mul_i32 s1, s1, s9
	s_mov_b32 s10, s8
	v_mul_lo_u32 v3, s1, v2
	s_lshl_b32 s1, s15, 10
	s_mov_b32 s11, s8
	s_sub_i32 s12, s0, s1
	s_delay_alu instid0(SALU_CYCLE_1) | instskip(NEXT) | instid1(VALU_DEP_2)
	v_cmp_gt_i32_e32 vcc_lo, s12, v2
	v_mad_u32_u24 v3, v4, s9, v3
	s_mov_b32 s9, s8
	s_delay_alu instid0(SALU_CYCLE_1) | instskip(SKIP_1) | instid1(VALU_DEP_3)
	v_dual_mov_b32 v4, s8 :: v_dual_mov_b32 v5, s9
	v_dual_mov_b32 v8, s8 :: v_dual_mov_b32 v9, s9
	v_add_lshl_u32 v3, v3, v0, 6
	v_dual_mov_b32 v6, s10 :: v_dual_mov_b32 v7, s11
	ds_store_b64 v3, v[8:9]
	ds_store_b32 v3, v1 offset:8
	ds_store_b64 v3, v[8:9] offset:16
	ds_store_b32 v3, v1 offset:24
	ds_store_b64 v3, v[8:9] offset:32
	;; [unrolled: 2-line block ×3, first 2 shown]
	ds_store_b32 v3, v1 offset:56
	s_clause 0x1
	scratch_store_b128 off, v[4:7], off
	scratch_store_b128 off, v[4:7], off offset:16
	s_and_saveexec_b32 s9, vcc_lo
	s_cbranch_execz .LBB538_4
; %bb.1:
	v_dual_mov_b32 v4, 0 :: v_dual_mov_b32 v5, v2
	s_mov_b32 s10, 0
	.p2align	6
.LBB538_2:                              ; =>This Inner Loop Header: Depth=1
	s_delay_alu instid0(VALU_DEP_1)
	v_add_nc_u32_e32 v0, s1, v5
	v_add_nc_u32_e32 v5, 0x100, v5
	s_add_i32 s11, s10, 1
	s_cmp_gt_u32 s10, 2
	s_cselect_b32 s10, -1, 0
	v_lshlrev_b64 v[6:7], 3, v[0:1]
	s_delay_alu instid0(VALU_DEP_1) | instskip(NEXT) | instid1(VALU_DEP_1)
	v_add_co_u32 v6, s0, s2, v6
	v_add_co_ci_u32_e64 v7, s0, s3, v7, s0
	v_cmp_le_i32_e64 s0, s12, v5
	global_load_b64 v[6:7], v[6:7], off
	s_or_b32 s0, s10, s0
	s_mov_b32 s10, s11
	s_and_b32 s0, exec_lo, s0
	s_delay_alu instid0(SALU_CYCLE_1)
	s_or_b32 s8, s0, s8
	s_waitcnt vmcnt(0)
	scratch_store_b64 v4, v[6:7], off
	v_add_nc_u32_e32 v4, 8, v4
	s_and_not1_b32 exec_lo, exec_lo, s8
	s_cbranch_execnz .LBB538_2
; %bb.3:
	s_or_b32 exec_lo, exec_lo, s8
	scratch_load_b64 v[0:1], off, off
	s_waitcnt vmcnt(0)
	v_frexp_mant_f64_e32 v[4:5], v[0:1]
	v_frexp_exp_i32_f64_e32 v0, v[0:1]
	ds_store_b64 v3, v[4:5]
	ds_store_b32 v3, v0 offset:8
.LBB538_4:
	s_or_b32 exec_lo, exec_lo, s9
	v_or_b32_e32 v0, 0x100, v2
	s_mov_b32 s2, exec_lo
	s_delay_alu instid0(VALU_DEP_1)
	v_cmpx_gt_i32_e64 s12, v0
	s_cbranch_execz .LBB538_6
; %bb.5:
	scratch_load_b64 v[0:1], off, off offset:8
	s_waitcnt vmcnt(0)
	v_frexp_mant_f64_e32 v[4:5], v[0:1]
	v_frexp_exp_i32_f64_e32 v0, v[0:1]
	ds_store_b64 v3, v[4:5] offset:16
	ds_store_b32 v3, v0 offset:24
.LBB538_6:
	s_or_b32 exec_lo, exec_lo, s2
	v_or_b32_e32 v0, 0x200, v2
	s_mov_b32 s2, exec_lo
	s_delay_alu instid0(VALU_DEP_1)
	v_cmpx_gt_i32_e64 s12, v0
	s_cbranch_execz .LBB538_8
; %bb.7:
	scratch_load_b64 v[0:1], off, off offset:16
	s_waitcnt vmcnt(0)
	v_frexp_mant_f64_e32 v[4:5], v[0:1]
	v_frexp_exp_i32_f64_e32 v0, v[0:1]
	ds_store_b64 v3, v[4:5] offset:32
	ds_store_b32 v3, v0 offset:40
.LBB538_8:
	;; [unrolled: 14-line block ×3, first 2 shown]
	s_or_b32 exec_lo, exec_lo, s2
	s_and_saveexec_b32 s0, vcc_lo
	s_delay_alu instid0(SALU_CYCLE_1)
	s_xor_b32 s0, exec_lo, s0
	s_cbranch_execz .LBB538_13
; %bb.11:
	v_mov_b32_e32 v1, 0
	s_mov_b32 s0, 0
	s_mov_b32 s2, 0
	.p2align	6
.LBB538_12:                             ; =>This Inner Loop Header: Depth=1
	v_add_nc_u32_e32 v0, s1, v2
	ds_load_b64 v[4:5], v3
	ds_load_b32 v10, v3 offset:8
	v_add_nc_u32_e32 v2, 0x100, v2
	s_add_i32 s3, s2, 1
	s_cmp_gt_u32 s2, 2
	v_lshlrev_b64 v[6:7], 3, v[0:1]
	v_lshlrev_b64 v[8:9], 2, v[0:1]
	v_cmp_le_i32_e32 vcc_lo, s12, v2
	s_cselect_b32 s2, -1, 0
	v_add_nc_u32_e32 v3, 16, v3
	s_or_b32 s2, s2, vcc_lo
	v_add_co_u32 v6, vcc_lo, s4, v6
	v_add_co_ci_u32_e32 v7, vcc_lo, s5, v7, vcc_lo
	v_add_co_u32 v8, vcc_lo, s6, v8
	v_add_co_ci_u32_e32 v9, vcc_lo, s7, v9, vcc_lo
	s_and_b32 s8, exec_lo, s2
	s_mov_b32 s2, s3
	s_or_b32 s0, s8, s0
	s_waitcnt lgkmcnt(1)
	global_store_b64 v[6:7], v[4:5], off
	s_waitcnt lgkmcnt(0)
	global_store_b32 v[8:9], v10, off
	s_and_not1_b32 exec_lo, exec_lo, s0
	s_cbranch_execnz .LBB538_12
.LBB538_13:
	s_endpgm
	.section	.rodata,"a",@progbits
	.p2align	6, 0x0
	.amdhsa_kernel _ZN2at6native12_GLOBAL__N_145unrolled_elementwise_kernel_for_multi_outputsILi2EZZZNS0_17frexp_kernel_cudaERNS_18TensorIteratorBaseEENKUlvE_clEvENKUlvE_clEvEUldE_St5arrayIPcLm3EE23TrivialOffsetCalculatorILi1EjESB_ILi2EjEEEviT0_T1_T2_T3_
		.amdhsa_group_segment_fixed_size 16384
		.amdhsa_private_segment_fixed_size 48
		.amdhsa_kernarg_size 36
		.amdhsa_user_sgpr_count 15
		.amdhsa_user_sgpr_dispatch_ptr 1
		.amdhsa_user_sgpr_queue_ptr 0
		.amdhsa_user_sgpr_kernarg_segment_ptr 1
		.amdhsa_user_sgpr_dispatch_id 0
		.amdhsa_user_sgpr_private_segment_size 0
		.amdhsa_wavefront_size32 1
		.amdhsa_uses_dynamic_stack 0
		.amdhsa_enable_private_segment 1
		.amdhsa_system_sgpr_workgroup_id_x 1
		.amdhsa_system_sgpr_workgroup_id_y 0
		.amdhsa_system_sgpr_workgroup_id_z 0
		.amdhsa_system_sgpr_workgroup_info 0
		.amdhsa_system_vgpr_workitem_id 2
		.amdhsa_next_free_vgpr 11
		.amdhsa_next_free_sgpr 16
		.amdhsa_reserve_vcc 1
		.amdhsa_float_round_mode_32 0
		.amdhsa_float_round_mode_16_64 0
		.amdhsa_float_denorm_mode_32 3
		.amdhsa_float_denorm_mode_16_64 3
		.amdhsa_dx10_clamp 1
		.amdhsa_ieee_mode 1
		.amdhsa_fp16_overflow 0
		.amdhsa_workgroup_processor_mode 1
		.amdhsa_memory_ordered 1
		.amdhsa_forward_progress 0
		.amdhsa_shared_vgpr_count 0
		.amdhsa_exception_fp_ieee_invalid_op 0
		.amdhsa_exception_fp_denorm_src 0
		.amdhsa_exception_fp_ieee_div_zero 0
		.amdhsa_exception_fp_ieee_overflow 0
		.amdhsa_exception_fp_ieee_underflow 0
		.amdhsa_exception_fp_ieee_inexact 0
		.amdhsa_exception_int_div_zero 0
	.end_amdhsa_kernel
	.section	.text._ZN2at6native12_GLOBAL__N_145unrolled_elementwise_kernel_for_multi_outputsILi2EZZZNS0_17frexp_kernel_cudaERNS_18TensorIteratorBaseEENKUlvE_clEvENKUlvE_clEvEUldE_St5arrayIPcLm3EE23TrivialOffsetCalculatorILi1EjESB_ILi2EjEEEviT0_T1_T2_T3_,"axG",@progbits,_ZN2at6native12_GLOBAL__N_145unrolled_elementwise_kernel_for_multi_outputsILi2EZZZNS0_17frexp_kernel_cudaERNS_18TensorIteratorBaseEENKUlvE_clEvENKUlvE_clEvEUldE_St5arrayIPcLm3EE23TrivialOffsetCalculatorILi1EjESB_ILi2EjEEEviT0_T1_T2_T3_,comdat
.Lfunc_end538:
	.size	_ZN2at6native12_GLOBAL__N_145unrolled_elementwise_kernel_for_multi_outputsILi2EZZZNS0_17frexp_kernel_cudaERNS_18TensorIteratorBaseEENKUlvE_clEvENKUlvE_clEvEUldE_St5arrayIPcLm3EE23TrivialOffsetCalculatorILi1EjESB_ILi2EjEEEviT0_T1_T2_T3_, .Lfunc_end538-_ZN2at6native12_GLOBAL__N_145unrolled_elementwise_kernel_for_multi_outputsILi2EZZZNS0_17frexp_kernel_cudaERNS_18TensorIteratorBaseEENKUlvE_clEvENKUlvE_clEvEUldE_St5arrayIPcLm3EE23TrivialOffsetCalculatorILi1EjESB_ILi2EjEEEviT0_T1_T2_T3_
                                        ; -- End function
	.section	.AMDGPU.csdata,"",@progbits
; Kernel info:
; codeLenInByte = 796
; NumSgprs: 18
; NumVgprs: 11
; ScratchSize: 48
; MemoryBound: 0
; FloatMode: 240
; IeeeMode: 1
; LDSByteSize: 16384 bytes/workgroup (compile time only)
; SGPRBlocks: 2
; VGPRBlocks: 1
; NumSGPRsForWavesPerEU: 18
; NumVGPRsForWavesPerEU: 11
; Occupancy: 16
; WaveLimiterHint : 0
; COMPUTE_PGM_RSRC2:SCRATCH_EN: 1
; COMPUTE_PGM_RSRC2:USER_SGPR: 15
; COMPUTE_PGM_RSRC2:TRAP_HANDLER: 0
; COMPUTE_PGM_RSRC2:TGID_X_EN: 1
; COMPUTE_PGM_RSRC2:TGID_Y_EN: 0
; COMPUTE_PGM_RSRC2:TGID_Z_EN: 0
; COMPUTE_PGM_RSRC2:TIDIG_COMP_CNT: 2
	.section	.text._ZN2at6native12_GLOBAL__N_145unrolled_elementwise_kernel_for_multi_outputsILi2EZZZNS0_17frexp_kernel_cudaERNS_18TensorIteratorBaseEENKUlvE_clEvENKUlvE_clEvEUldE_St5arrayIPcLm3EE16OffsetCalculatorILi1EjLb0EESB_ILi2EjLb0EEEEviT0_T1_T2_T3_,"axG",@progbits,_ZN2at6native12_GLOBAL__N_145unrolled_elementwise_kernel_for_multi_outputsILi2EZZZNS0_17frexp_kernel_cudaERNS_18TensorIteratorBaseEENKUlvE_clEvENKUlvE_clEvEUldE_St5arrayIPcLm3EE16OffsetCalculatorILi1EjLb0EESB_ILi2EjLb0EEEEviT0_T1_T2_T3_,comdat
	.globl	_ZN2at6native12_GLOBAL__N_145unrolled_elementwise_kernel_for_multi_outputsILi2EZZZNS0_17frexp_kernel_cudaERNS_18TensorIteratorBaseEENKUlvE_clEvENKUlvE_clEvEUldE_St5arrayIPcLm3EE16OffsetCalculatorILi1EjLb0EESB_ILi2EjLb0EEEEviT0_T1_T2_T3_ ; -- Begin function _ZN2at6native12_GLOBAL__N_145unrolled_elementwise_kernel_for_multi_outputsILi2EZZZNS0_17frexp_kernel_cudaERNS_18TensorIteratorBaseEENKUlvE_clEvENKUlvE_clEvEUldE_St5arrayIPcLm3EE16OffsetCalculatorILi1EjLb0EESB_ILi2EjLb0EEEEviT0_T1_T2_T3_
	.p2align	8
	.type	_ZN2at6native12_GLOBAL__N_145unrolled_elementwise_kernel_for_multi_outputsILi2EZZZNS0_17frexp_kernel_cudaERNS_18TensorIteratorBaseEENKUlvE_clEvENKUlvE_clEvEUldE_St5arrayIPcLm3EE16OffsetCalculatorILi1EjLb0EESB_ILi2EjLb0EEEEviT0_T1_T2_T3_,@function
_ZN2at6native12_GLOBAL__N_145unrolled_elementwise_kernel_for_multi_outputsILi2EZZZNS0_17frexp_kernel_cudaERNS_18TensorIteratorBaseEENKUlvE_clEvENKUlvE_clEvEUldE_St5arrayIPcLm3EE16OffsetCalculatorILi1EjLb0EESB_ILi2EjLb0EEEEviT0_T1_T2_T3_: ; @_ZN2at6native12_GLOBAL__N_145unrolled_elementwise_kernel_for_multi_outputsILi2EZZZNS0_17frexp_kernel_cudaERNS_18TensorIteratorBaseEENKUlvE_clEvENKUlvE_clEvEUldE_St5arrayIPcLm3EE16OffsetCalculatorILi1EjLb0EESB_ILi2EjLb0EEEEviT0_T1_T2_T3_
; %bb.0:
	s_load_b64 s[0:1], s[0:1], 0x4
	s_clause 0x8
	s_load_b32 s20, s[2:3], 0x0
	s_load_b256 s[4:11], s[2:3], 0x164
	s_load_b256 s[36:43], s[2:3], 0x184
	;; [unrolled: 1-line block ×4, first 2 shown]
	s_load_b128 s[44:47], s[2:3], 0x8
	s_load_b256 s[68:75], s[2:3], 0x1e4
	s_load_b64 s[34:35], s[2:3], 0x18
	s_load_b256 s[24:31], s[2:3], 0x204
	v_and_b32_e32 v15, 0x3ff, v0
	v_bfe_u32 v12, v0, 10, 10
	v_bfe_u32 v13, v0, 20, 10
	s_lshl_b32 s33, s15, 10
	s_clause 0x1
	s_load_b256 s[76:83], s[2:3], 0x224
	s_load_b256 s[12:19], s[2:3], 0x244
	s_waitcnt lgkmcnt(0)
	s_lshr_b32 s0, s0, 16
	s_sub_i32 s48, s20, s33
	v_dual_mov_b32 v0, s8 :: v_dual_mov_b32 v3, s11
	v_dual_mov_b32 v4, s36 :: v_dual_mov_b32 v7, s39
	;; [unrolled: 1-line block ×10, first 2 shown]
	v_mov_b32_e32 v28, s64
	s_mul_i32 s0, s0, s1
	v_dual_mov_b32 v31, s67 :: v_dual_mov_b32 v32, s68
	v_dual_mov_b32 v35, s71 :: v_dual_mov_b32 v36, s72
	;; [unrolled: 1-line block ×3, first 2 shown]
	s_clause 0x3
	scratch_store_b128 off, v[0:3], off offset:368
	scratch_store_b128 off, v[4:7], off offset:384
	;; [unrolled: 1-line block ×4, first 2 shown]
	v_mul_lo_u32 v14, s0, v15
	v_dual_mov_b32 v39, s75 :: v_dual_mov_b32 v42, s26
	v_dual_mov_b32 v41, s25 :: v_dual_mov_b32 v0, s28
	s_clause 0x2
	s_load_b32 s0, s[2:3], 0x264
	s_load_b256 s[36:43], s[2:3], 0x124
	s_load_b256 s[20:27], s[2:3], 0x144
	v_dual_mov_b32 v21, s57 :: v_dual_mov_b32 v22, s58
	s_load_b256 s[52:59], s[2:3], 0x40
	v_dual_mov_b32 v25, s61 :: v_dual_mov_b32 v26, s62
	v_dual_mov_b32 v29, s65 :: v_dual_mov_b32 v30, s66
	;; [unrolled: 1-line block ×8, first 2 shown]
	v_mad_u32_u24 v12, v12, s1, v14
	s_clause 0x5
	scratch_store_b128 off, v[20:23], off offset:432
	scratch_store_b128 off, v[24:27], off offset:448
	;; [unrolled: 1-line block ×6, first 2 shown]
	v_dual_mov_b32 v9, s81 :: v_dual_mov_b32 v10, s82
	v_dual_mov_b32 v11, s83 :: v_dual_mov_b32 v20, s15
	;; [unrolled: 1-line block ×3, first 2 shown]
	v_mov_b32_e32 v17, s12
	s_clause 0x3
	scratch_store_b128 off, v[0:3], off offset:528
	scratch_store_b128 off, v[4:7], off offset:544
	;; [unrolled: 1-line block ×4, first 2 shown]
	v_dual_mov_b32 v0, s16 :: v_dual_mov_b32 v1, s17
	v_dual_mov_b32 v2, s18 :: v_dual_mov_b32 v3, s19
	s_waitcnt lgkmcnt(0)
	v_dual_mov_b32 v8, s20 :: v_dual_mov_b32 v9, s21
	v_add_lshl_u32 v16, v12, v13, 6
	v_mov_b32_e32 v12, s0
	v_dual_mov_b32 v10, s22 :: v_dual_mov_b32 v11, s23
	s_clause 0x1
	s_load_b256 s[16:23], s[2:3], 0x60
	s_load_b256 s[60:67], s[2:3], 0x80
	v_dual_mov_b32 v4, s40 :: v_dual_mov_b32 v5, s41
	v_dual_mov_b32 v6, s42 :: v_dual_mov_b32 v7, s43
	s_clause 0x1
	scratch_store_b128 off, v[0:3], off offset:592
	scratch_store_b32 off, v12, off offset:608
	v_dual_mov_b32 v0, s36 :: v_dual_mov_b32 v1, s37
	v_dual_mov_b32 v2, s38 :: v_dual_mov_b32 v3, s39
	s_load_b256 s[36:43], s[2:3], 0xa0
	s_clause 0x1
	scratch_store_b128 off, v[4:7], off offset:304
	scratch_store_b128 off, v[8:11], off offset:320
	v_dual_mov_b32 v4, s24 :: v_dual_mov_b32 v5, s25
	v_dual_mov_b32 v6, s26 :: v_dual_mov_b32 v7, s27
	v_dual_mov_b32 v17, s52 :: v_dual_mov_b32 v18, s53
	s_load_b256 s[24:31], s[2:3], 0xc0
	v_dual_mov_b32 v21, s56 :: v_dual_mov_b32 v22, s57
	v_dual_mov_b32 v19, s54 :: v_dual_mov_b32 v20, s55
	;; [unrolled: 1-line block ×3, first 2 shown]
	s_load_b256 s[52:59], s[2:3], 0xe0
	v_dual_mov_b32 v11, s7 :: v_dual_mov_b32 v10, s6
	v_dual_mov_b32 v9, s5 :: v_dual_mov_b32 v8, s4
	s_clause 0x2
	s_load_b256 s[8:15], s[2:3], 0x20
	s_load_b256 s[68:75], s[2:3], 0x100
	s_load_b32 s0, s[2:3], 0x120
	s_clause 0x1
	scratch_store_b128 off, v[4:7], off offset:336
	scratch_store_b128 off, v[8:11], off offset:352
	s_waitcnt lgkmcnt(0)
	v_dual_mov_b32 v8, s16 :: v_dual_mov_b32 v9, s17
	s_clause 0x1
	scratch_store_b128 off, v[17:20], off offset:60
	scratch_store_b128 off, v[21:24], off offset:76
	v_dual_mov_b32 v10, s18 :: v_dual_mov_b32 v11, s19
	v_dual_mov_b32 v17, s20 :: v_dual_mov_b32 v18, s21
	;; [unrolled: 1-line block ×6, first 2 shown]
	s_clause 0x1
	scratch_store_b128 off, v[8:11], off offset:92
	scratch_store_b128 off, v[17:20], off offset:108
	v_dual_mov_b32 v8, s36 :: v_dual_mov_b32 v9, s37
	v_dual_mov_b32 v27, s66 :: v_dual_mov_b32 v28, s67
	;; [unrolled: 1-line block ×5, first 2 shown]
	s_clause 0x1
	scratch_store_b128 off, v[21:24], off offset:124
	scratch_store_b128 off, v[25:28], off offset:140
	v_dual_mov_b32 v21, s24 :: v_dual_mov_b32 v22, s25
	v_dual_mov_b32 v23, s26 :: v_dual_mov_b32 v24, s27
	;; [unrolled: 1-line block ×3, first 2 shown]
	s_clause 0x1
	scratch_store_b128 off, v[8:11], off offset:156
	scratch_store_b128 off, v[17:20], off offset:172
	v_dual_mov_b32 v8, s52 :: v_dual_mov_b32 v9, s53
	v_dual_mov_b32 v27, s30 :: v_dual_mov_b32 v28, s31
	;; [unrolled: 1-line block ×6, first 2 shown]
	s_clause 0x1
	scratch_store_b128 off, v[21:24], off offset:188
	scratch_store_b128 off, v[25:28], off offset:204
	v_dual_mov_b32 v21, s68 :: v_dual_mov_b32 v22, s69
	v_dual_mov_b32 v6, s14 :: v_dual_mov_b32 v7, s15
	;; [unrolled: 1-line block ×4, first 2 shown]
	s_clause 0x1
	scratch_store_b128 off, v[8:11], off offset:220
	scratch_store_b128 off, v[17:20], off offset:236
	v_dual_mov_b32 v8, s8 :: v_dual_mov_b32 v11, s11
	v_dual_mov_b32 v27, s74 :: v_dual_mov_b32 v28, s75
	;; [unrolled: 1-line block ×3, first 2 shown]
	v_mov_b32_e32 v10, s10
	s_mov_b32 s8, 0
	s_clause 0x1
	scratch_store_b128 off, v[21:24], off offset:252
	scratch_store_b128 off, v[25:28], off offset:268
	s_mov_b32 s9, s8
	s_mov_b32 s10, s8
	;; [unrolled: 1-line block ×3, first 2 shown]
	s_clause 0x3
	scratch_store_b128 off, v[0:3], off offset:288
	scratch_store_b32 off, v12, off offset:284
	scratch_store_b128 off, v[4:7], off offset:44
	scratch_store_b128 off, v[8:11], off offset:28
	v_mov_b32_e32 v4, s8
	v_dual_mov_b32 v0, s8 :: v_dual_mov_b32 v1, s9
	v_dual_mov_b32 v5, s9 :: v_dual_mov_b32 v8, 0
	;; [unrolled: 1-line block ×3, first 2 shown]
	v_cmp_gt_i32_e32 vcc_lo, s48, v15
	ds_store_b64 v16, v[4:5]
	ds_store_b32 v16, v8 offset:8
	ds_store_b64 v16, v[4:5] offset:16
	ds_store_b32 v16, v8 offset:24
	ds_store_b64 v16, v[4:5] offset:32
	;; [unrolled: 2-line block ×3, first 2 shown]
	ds_store_b32 v16, v8 offset:56
	s_clause 0x1
	scratch_store_b128 off, v[0:3], off offset:624
	scratch_store_b128 off, v[0:3], off offset:640
	s_and_saveexec_b32 s6, vcc_lo
	s_cbranch_execz .LBB539_20
; %bb.1:
	s_clause 0x2
	scratch_load_b128 v[0:3], off, off offset:28
	scratch_load_b64 v[9:10], off, off offset:224
	scratch_load_b96 v[4:6], off, off offset:44
	s_mov_b32 s7, 0
	s_waitcnt vmcnt(2)
	v_add_nc_u32_e32 v7, -1, v0
	v_cmp_ne_u32_e64 s0, 0, v0
	v_cmp_lt_u32_e64 s1, 1, v0
	s_delay_alu instid0(VALU_DEP_3) | instskip(NEXT) | instid1(VALU_DEP_1)
	v_min_u32_e32 v12, 15, v7
	v_dual_mov_b32 v11, 0 :: v_dual_add_nc_u32 v14, 1, v12
	s_delay_alu instid0(VALU_DEP_1) | instskip(NEXT) | instid1(VALU_DEP_2)
	v_add_nc_u32_e32 v12, 0xe0, v11
	v_and_b32_e32 v13, 3, v14
	v_and_b32_e32 v0, 28, v14
	v_mov_b32_e32 v14, v15
	v_cmp_lt_u32_e64 s2, 1, v7
	v_cmp_ne_u32_e64 s3, 2, v7
	v_cmp_ne_u32_e64 s4, 0, v13
	s_branch .LBB539_4
.LBB539_2:                              ;   in Loop: Header=BB539_4 Depth=1
	s_or_b32 exec_lo, exec_lo, s9
.LBB539_3:                              ;   in Loop: Header=BB539_4 Depth=1
	s_delay_alu instid0(SALU_CYCLE_1) | instskip(NEXT) | instid1(VALU_DEP_1)
	s_or_b32 exec_lo, exec_lo, s5
	v_lshlrev_b64 v[17:18], 3, v[7:8]
	v_add_nc_u32_e32 v14, 0x100, v14
	s_add_i32 s10, s7, 1
	s_delay_alu instid0(VALU_DEP_2) | instskip(NEXT) | instid1(VALU_DEP_1)
	v_add_co_u32 v17, s5, s34, v17
	v_add_co_ci_u32_e64 v18, s5, s35, v18, s5
	s_lshl_b32 s5, s7, 3
	s_delay_alu instid0(SALU_CYCLE_1)
	s_add_i32 s9, s5, 0x270
	global_load_b64 v[17:18], v[17:18], off
	v_cmp_le_i32_e64 s5, s48, v14
	s_cmp_gt_u32 s7, 2
	s_cselect_b32 s7, -1, 0
	s_delay_alu instid0(VALU_DEP_1) | instid1(SALU_CYCLE_1)
	s_or_b32 s5, s7, s5
	s_mov_b32 s7, s10
	s_and_b32 s5, exec_lo, s5
	s_delay_alu instid0(SALU_CYCLE_1)
	s_or_b32 s8, s5, s8
	s_waitcnt vmcnt(0)
	scratch_store_b64 off, v[17:18], s9
	s_and_not1_b32 exec_lo, exec_lo, s8
	s_cbranch_execz .LBB539_19
.LBB539_4:                              ; =>This Loop Header: Depth=1
                                        ;     Child Loop BB539_8 Depth 2
                                        ;     Child Loop BB539_12 Depth 2
	v_add_nc_u32_e32 v17, s33, v14
	s_and_saveexec_b32 s5, s2
	s_delay_alu instid0(SALU_CYCLE_1)
	s_xor_b32 s9, exec_lo, s5
	s_cbranch_execz .LBB539_16
; %bb.5:                                ;   in Loop: Header=BB539_4 Depth=1
	v_mov_b32_e32 v7, 0
	s_and_saveexec_b32 s10, s0
	s_cbranch_execz .LBB539_15
; %bb.6:                                ;   in Loop: Header=BB539_4 Depth=1
	v_mov_b32_e32 v7, 0
	v_mov_b32_e32 v19, 0
	s_mov_b32 s12, 0
	s_and_saveexec_b32 s11, s3
	s_cbranch_execz .LBB539_10
; %bb.7:                                ;   in Loop: Header=BB539_4 Depth=1
	v_mov_b32_e32 v7, 0
	s_mov_b32 s13, 0
	s_mov_b32 s14, 0
	;; [unrolled: 1-line block ×3, first 2 shown]
.LBB539_8:                              ;   Parent Loop BB539_4 Depth=1
                                        ; =>  This Inner Loop Header: Depth=2
	v_readfirstlane_b32 s5, v11
	v_add_nc_u32_e64 v26, s14, 0
	s_add_i32 s15, s15, 4
	s_add_i32 s14, s14, 16
	s_delay_alu instid0(VALU_DEP_2) | instskip(NEXT) | instid1(VALU_DEP_1)
	s_add_i32 s5, s5, s13
	v_add_nc_u32_e32 v30, 0xe0, v26
	s_add_i32 s16, s5, 32
	s_add_i32 s13, s13, 48
	scratch_load_b128 v[18:21], off, s16
	s_add_i32 s16, s5, 48
	s_add_i32 s5, s5, 64
	s_clause 0x2
	scratch_load_b128 v[22:25], off, s16
	scratch_load_b128 v[26:29], off, s5
	scratch_load_b128 v[30:33], v30, off
	v_cmp_eq_u32_e64 s5, s15, v0
	s_delay_alu instid0(VALU_DEP_1) | instskip(SKIP_2) | instid1(VALU_DEP_1)
	s_or_b32 s12, s5, s12
	s_waitcnt vmcnt(3)
	v_mul_hi_u32 v19, v19, v17
	v_add_nc_u32_e32 v19, v17, v19
	s_delay_alu instid0(VALU_DEP_1) | instskip(SKIP_1) | instid1(VALU_DEP_1)
	v_lshrrev_b32_e32 v19, v20, v19
	s_waitcnt vmcnt(2)
	v_mul_hi_u32 v20, v22, v19
	v_mul_lo_u32 v18, v19, v18
	s_delay_alu instid0(VALU_DEP_2) | instskip(NEXT) | instid1(VALU_DEP_2)
	v_add_nc_u32_e32 v20, v19, v20
	v_sub_nc_u32_e32 v18, v17, v18
	s_delay_alu instid0(VALU_DEP_2) | instskip(SKIP_1) | instid1(VALU_DEP_2)
	v_lshrrev_b32_e32 v20, v23, v20
	s_waitcnt vmcnt(0)
	v_mul_lo_u32 v18, v18, v30
	s_delay_alu instid0(VALU_DEP_2) | instskip(SKIP_1) | instid1(VALU_DEP_2)
	v_mul_hi_u32 v22, v25, v20
	v_mul_lo_u32 v21, v20, v21
	v_add_nc_u32_e32 v22, v20, v22
	s_delay_alu instid0(VALU_DEP_2) | instskip(NEXT) | instid1(VALU_DEP_2)
	v_sub_nc_u32_e32 v19, v19, v21
	v_lshrrev_b32_e32 v22, v26, v22
	s_delay_alu instid0(VALU_DEP_2) | instskip(NEXT) | instid1(VALU_DEP_2)
	v_mul_lo_u32 v19, v19, v31
	v_mul_hi_u32 v23, v28, v22
	s_delay_alu instid0(VALU_DEP_2) | instskip(NEXT) | instid1(VALU_DEP_2)
	v_add3_u32 v7, v18, v7, v19
	v_add_nc_u32_e32 v23, v22, v23
	s_delay_alu instid0(VALU_DEP_1) | instskip(SKIP_1) | instid1(VALU_DEP_2)
	v_lshrrev_b32_e32 v17, v29, v23
	v_mul_lo_u32 v23, v22, v24
	v_mul_lo_u32 v24, v17, v27
	s_delay_alu instid0(VALU_DEP_2) | instskip(NEXT) | instid1(VALU_DEP_2)
	v_sub_nc_u32_e32 v20, v20, v23
	v_sub_nc_u32_e32 v21, v22, v24
	s_delay_alu instid0(VALU_DEP_2) | instskip(NEXT) | instid1(VALU_DEP_2)
	v_mul_lo_u32 v20, v20, v32
	v_mul_lo_u32 v21, v21, v33
	s_delay_alu instid0(VALU_DEP_1)
	v_add3_u32 v7, v20, v7, v21
	s_and_not1_b32 exec_lo, exec_lo, s12
	s_cbranch_execnz .LBB539_8
; %bb.9:                                ;   in Loop: Header=BB539_4 Depth=1
	s_or_b32 exec_lo, exec_lo, s12
	v_mov_b32_e32 v19, v0
.LBB539_10:                             ;   in Loop: Header=BB539_4 Depth=1
	s_or_b32 exec_lo, exec_lo, s11
	s_and_saveexec_b32 s11, s4
	s_cbranch_execz .LBB539_14
; %bb.11:                               ;   in Loop: Header=BB539_4 Depth=1
	s_delay_alu instid0(VALU_DEP_1)
	v_lshl_add_u32 v18, v19, 2, v12
	v_mad_u32_u24 v19, v19, 12, 0
	v_mov_b32_e32 v20, v13
	s_mov_b32 s12, 0
	.p2align	6
.LBB539_12:                             ;   Parent Loop BB539_4 Depth=1
                                        ; =>  This Inner Loop Header: Depth=2
	s_delay_alu instid0(VALU_DEP_2)
	v_add_nc_u32_e32 v21, 32, v19
	v_add_nc_u32_e32 v19, 12, v19
	scratch_load_b96 v[21:23], v21, off
	scratch_load_b32 v24, v18, off
	v_add_nc_u32_e32 v18, 4, v18
	s_waitcnt vmcnt(1)
	v_mul_hi_u32 v22, v22, v17
	s_delay_alu instid0(VALU_DEP_1) | instskip(NEXT) | instid1(VALU_DEP_1)
	v_add_nc_u32_e32 v22, v17, v22
	v_lshrrev_b32_e32 v23, v23, v22
	s_delay_alu instid0(VALU_DEP_1) | instskip(NEXT) | instid1(VALU_DEP_1)
	v_mul_lo_u32 v21, v23, v21
	v_sub_nc_u32_e32 v17, v17, v21
	s_waitcnt vmcnt(0)
	s_delay_alu instid0(VALU_DEP_1) | instskip(SKIP_1) | instid1(VALU_DEP_2)
	v_mad_u64_u32 v[21:22], null, v17, v24, v[7:8]
	v_dual_mov_b32 v17, v23 :: v_dual_add_nc_u32 v20, -1, v20
	v_mov_b32_e32 v7, v21
	s_delay_alu instid0(VALU_DEP_2) | instskip(NEXT) | instid1(VALU_DEP_1)
	v_cmp_eq_u32_e64 s5, 0, v20
	s_or_b32 s12, s5, s12
	s_delay_alu instid0(SALU_CYCLE_1)
	s_and_not1_b32 exec_lo, exec_lo, s12
	s_cbranch_execnz .LBB539_12
; %bb.13:                               ;   in Loop: Header=BB539_4 Depth=1
	s_or_b32 exec_lo, exec_lo, s12
.LBB539_14:                             ;   in Loop: Header=BB539_4 Depth=1
	s_delay_alu instid0(SALU_CYCLE_1)
	s_or_b32 exec_lo, exec_lo, s11
.LBB539_15:                             ;   in Loop: Header=BB539_4 Depth=1
	s_delay_alu instid0(SALU_CYCLE_1)
	s_or_b32 exec_lo, exec_lo, s10
                                        ; implicit-def: $vgpr17
.LBB539_16:                             ;   in Loop: Header=BB539_4 Depth=1
	s_and_not1_saveexec_b32 s5, s9
	s_cbranch_execz .LBB539_3
; %bb.17:                               ;   in Loop: Header=BB539_4 Depth=1
	v_mul_hi_u32 v7, v17, v2
	s_delay_alu instid0(VALU_DEP_1) | instskip(NEXT) | instid1(VALU_DEP_1)
	v_add_nc_u32_e32 v7, v17, v7
	v_lshrrev_b32_e32 v18, v3, v7
	s_delay_alu instid0(VALU_DEP_1) | instskip(NEXT) | instid1(VALU_DEP_1)
	v_mul_lo_u32 v7, v18, v1
	v_sub_nc_u32_e32 v7, v17, v7
	s_waitcnt vmcnt(1)
	s_delay_alu instid0(VALU_DEP_1)
	v_mul_lo_u32 v7, v7, v9
	s_and_saveexec_b32 s9, s1
	s_cbranch_execz .LBB539_2
; %bb.18:                               ;   in Loop: Header=BB539_4 Depth=1
	s_waitcnt vmcnt(0)
	v_mul_hi_u32 v17, v18, v5
	s_delay_alu instid0(VALU_DEP_1) | instskip(NEXT) | instid1(VALU_DEP_1)
	v_add_nc_u32_e32 v17, v18, v17
	v_lshrrev_b32_e32 v17, v6, v17
	s_delay_alu instid0(VALU_DEP_1) | instskip(NEXT) | instid1(VALU_DEP_1)
	v_mul_lo_u32 v17, v17, v4
	v_sub_nc_u32_e32 v19, v18, v17
	s_delay_alu instid0(VALU_DEP_1) | instskip(NEXT) | instid1(VALU_DEP_1)
	v_mad_u64_u32 v[17:18], null, v19, v10, v[7:8]
	v_mov_b32_e32 v7, v17
	s_branch .LBB539_2
.LBB539_19:
	s_or_b32 exec_lo, exec_lo, s8
	scratch_load_b64 v[0:1], off, off offset:624
	s_waitcnt vmcnt(0)
	v_frexp_mant_f64_e32 v[2:3], v[0:1]
	v_frexp_exp_i32_f64_e32 v0, v[0:1]
	ds_store_b64 v16, v[2:3]
	ds_store_b32 v16, v0 offset:8
.LBB539_20:
	s_or_b32 exec_lo, exec_lo, s6
	v_or_b32_e32 v0, 0x100, v15
	s_mov_b32 s1, exec_lo
	s_delay_alu instid0(VALU_DEP_1)
	v_cmpx_gt_i32_e64 s48, v0
	s_cbranch_execz .LBB539_22
; %bb.21:
	scratch_load_b64 v[0:1], off, off offset:632
	s_waitcnt vmcnt(0)
	v_frexp_mant_f64_e32 v[2:3], v[0:1]
	v_frexp_exp_i32_f64_e32 v0, v[0:1]
	ds_store_b64 v16, v[2:3] offset:16
	ds_store_b32 v16, v0 offset:24
.LBB539_22:
	s_or_b32 exec_lo, exec_lo, s1
	v_or_b32_e32 v0, 0x200, v15
	s_mov_b32 s1, exec_lo
	s_delay_alu instid0(VALU_DEP_1)
	v_cmpx_gt_i32_e64 s48, v0
	s_cbranch_execz .LBB539_24
; %bb.23:
	scratch_load_b64 v[0:1], off, off offset:640
	s_waitcnt vmcnt(0)
	v_frexp_mant_f64_e32 v[2:3], v[0:1]
	v_frexp_exp_i32_f64_e32 v0, v[0:1]
	ds_store_b64 v16, v[2:3] offset:32
	ds_store_b32 v16, v0 offset:40
.LBB539_24:
	;; [unrolled: 14-line block ×3, first 2 shown]
	s_or_b32 exec_lo, exec_lo, s1
	s_and_saveexec_b32 s0, vcc_lo
	s_delay_alu instid0(SALU_CYCLE_1)
	s_xor_b32 s0, exec_lo, s0
	s_cbranch_execz .LBB539_45
; %bb.27:
	s_clause 0x2
	scratch_load_b128 v[0:3], off, off offset:288
	scratch_load_b128 v[4:7], off, off offset:484
	scratch_load_b96 v[8:10], off, off offset:304
	s_mov_b32 s6, 0
	s_movk_i32 s7, 0x124
	s_movk_i32 s8, 0x1e4
	s_mov_b32 s5, 0
	s_waitcnt vmcnt(2)
	v_dual_mov_b32 v18, 0 :: v_dual_add_nc_u32 v11, -1, v0
	v_cmp_ne_u32_e32 vcc_lo, 0, v0
	v_cmp_lt_u32_e64 s0, 1, v0
	s_delay_alu instid0(VALU_DEP_3) | instskip(NEXT) | instid1(VALU_DEP_1)
	v_min_u32_e32 v12, 15, v11
	v_dual_mov_b32 v12, 0 :: v_dual_add_nc_u32 v13, 1, v12
	v_cmp_lt_u32_e64 s1, 1, v11
	v_cmp_ne_u32_e64 s2, 2, v11
	s_delay_alu instid0(VALU_DEP_3) | instskip(SKIP_1) | instid1(VALU_DEP_2)
	v_and_b32_e32 v17, 3, v13
	v_and_b32_e32 v0, 28, v13
	v_cmp_ne_u32_e64 s3, 0, v17
	s_branch .LBB539_30
.LBB539_28:                             ;   in Loop: Header=BB539_30 Depth=1
	s_or_b32 exec_lo, exec_lo, s9
.LBB539_29:                             ;   in Loop: Header=BB539_30 Depth=1
	s_delay_alu instid0(SALU_CYCLE_1) | instskip(SKIP_1) | instid1(VALU_DEP_3)
	s_or_b32 exec_lo, exec_lo, s4
	v_lshl_add_u32 v23, s5, 4, v16
	v_lshlrev_b64 v[19:20], 3, v[11:12]
	v_dual_mov_b32 v14, v12 :: v_dual_add_nc_u32 v15, 0x100, v15
	s_add_i32 s9, s5, 1
	ds_load_b64 v[21:22], v23
	ds_load_b32 v11, v23 offset:8
	s_cmp_gt_u32 s5, 2
	v_lshlrev_b64 v[13:14], 2, v[13:14]
	v_cmp_le_i32_e64 s4, s48, v15
	v_add_co_u32 v19, s5, s44, v19
	s_cselect_b32 s10, -1, 0
	v_add_co_ci_u32_e64 v20, s5, s45, v20, s5
	s_delay_alu instid0(VALU_DEP_3) | instskip(SKIP_1) | instid1(VALU_DEP_1)
	s_or_b32 s5, s10, s4
	v_add_co_u32 v13, s4, s46, v13
	v_add_co_ci_u32_e64 v14, s4, s47, v14, s4
	s_and_b32 s4, exec_lo, s5
	s_mov_b32 s5, s9
	s_or_b32 s6, s4, s6
	s_waitcnt lgkmcnt(1)
	global_store_b64 v[19:20], v[21:22], off
	s_waitcnt lgkmcnt(0)
	global_store_b32 v[13:14], v11, off
	s_and_not1_b32 exec_lo, exec_lo, s6
	s_cbranch_execz .LBB539_45
.LBB539_30:                             ; =>This Loop Header: Depth=1
                                        ;     Child Loop BB539_34 Depth 2
                                        ;     Child Loop BB539_38 Depth 2
	v_add_nc_u32_e32 v14, s33, v15
                                        ; implicit-def: $vgpr13
	s_and_saveexec_b32 s4, s1
	s_delay_alu instid0(SALU_CYCLE_1)
	s_xor_b32 s9, exec_lo, s4
	s_cbranch_execz .LBB539_42
; %bb.31:                               ;   in Loop: Header=BB539_30 Depth=1
	v_mov_b32_e32 v11, 0
	v_mov_b32_e32 v13, 0
	s_and_saveexec_b32 s10, vcc_lo
	s_cbranch_execz .LBB539_41
; %bb.32:                               ;   in Loop: Header=BB539_30 Depth=1
	v_dual_mov_b32 v20, 0 :: v_dual_mov_b32 v11, 0
	v_mov_b32_e32 v13, 0
	s_mov_b32 s12, 0
	s_and_saveexec_b32 s11, s2
	s_cbranch_execz .LBB539_36
; %bb.33:                               ;   in Loop: Header=BB539_30 Depth=1
	v_mov_b32_e32 v13, 0
	s_mov_b32 s13, 0
	s_mov_b32 s14, 0
	;; [unrolled: 1-line block ×3, first 2 shown]
	s_delay_alu instid0(VALU_DEP_1)
	v_mov_b32_e32 v11, v13
.LBB539_34:                             ;   Parent Loop BB539_30 Depth=1
                                        ; =>  This Inner Loop Header: Depth=2
	v_readfirstlane_b32 s4, v18
	v_add_nc_u32_e64 v35, s14, 0
	s_add_i32 s15, s15, 4
	s_add_i32 s14, s14, 32
	s_delay_alu instid0(VALU_DEP_2) | instskip(NEXT) | instid1(VALU_DEP_1)
	s_add_i32 s4, s4, s13
	v_add_nc_u32_e32 v31, 0x1e4, v35
	s_add_i32 s16, s4, 0x124
	v_add_nc_u32_e32 v35, 0x1f4, v35
	scratch_load_b128 v[19:22], off, s16
	s_add_i32 s16, s4, 0x134
	s_addk_i32 s4, 0x144
	s_clause 0x3
	scratch_load_b128 v[23:26], off, s16
	scratch_load_b128 v[27:30], off, s4
	scratch_load_b128 v[31:34], v31, off
	scratch_load_b128 v[35:38], v35, off
	v_cmp_eq_u32_e64 s4, s15, v0
	s_add_i32 s13, s13, 48
	s_delay_alu instid0(VALU_DEP_1) | instskip(SKIP_2) | instid1(VALU_DEP_1)
	s_or_b32 s12, s4, s12
	s_waitcnt vmcnt(4)
	v_mul_hi_u32 v20, v20, v14
	v_add_nc_u32_e32 v20, v14, v20
	s_delay_alu instid0(VALU_DEP_1) | instskip(SKIP_1) | instid1(VALU_DEP_1)
	v_lshrrev_b32_e32 v20, v21, v20
	s_waitcnt vmcnt(3)
	v_mul_hi_u32 v21, v23, v20
	v_mul_lo_u32 v19, v20, v19
	s_delay_alu instid0(VALU_DEP_2) | instskip(NEXT) | instid1(VALU_DEP_2)
	v_add_nc_u32_e32 v21, v20, v21
	v_sub_nc_u32_e32 v14, v14, v19
	s_delay_alu instid0(VALU_DEP_2) | instskip(SKIP_1) | instid1(VALU_DEP_2)
	v_lshrrev_b32_e32 v21, v24, v21
	s_waitcnt vmcnt(1)
	v_mul_lo_u32 v19, v14, v31
	s_delay_alu instid0(VALU_DEP_2) | instskip(SKIP_2) | instid1(VALU_DEP_3)
	v_mul_hi_u32 v23, v26, v21
	v_mul_lo_u32 v26, v14, v32
	v_mul_lo_u32 v22, v21, v22
	v_add_nc_u32_e32 v23, v21, v23
	s_delay_alu instid0(VALU_DEP_2) | instskip(NEXT) | instid1(VALU_DEP_2)
	v_sub_nc_u32_e32 v20, v20, v22
	v_lshrrev_b32_e32 v23, v27, v23
	s_delay_alu instid0(VALU_DEP_2) | instskip(SKIP_1) | instid1(VALU_DEP_3)
	v_mul_lo_u32 v22, v20, v33
	v_mul_lo_u32 v20, v20, v34
	v_mul_hi_u32 v24, v29, v23
	s_delay_alu instid0(VALU_DEP_3) | instskip(NEXT) | instid1(VALU_DEP_3)
	v_add3_u32 v11, v19, v11, v22
	v_add3_u32 v13, v26, v13, v20
	s_delay_alu instid0(VALU_DEP_3) | instskip(SKIP_1) | instid1(VALU_DEP_2)
	v_add_nc_u32_e32 v14, v23, v24
	v_mul_lo_u32 v24, v23, v25
	v_lshrrev_b32_e32 v14, v30, v14
	s_delay_alu instid0(VALU_DEP_2) | instskip(NEXT) | instid1(VALU_DEP_2)
	v_sub_nc_u32_e32 v21, v21, v24
	v_mul_lo_u32 v25, v14, v28
	s_waitcnt vmcnt(0)
	s_delay_alu instid0(VALU_DEP_2) | instskip(SKIP_1) | instid1(VALU_DEP_3)
	v_mul_lo_u32 v24, v21, v35
	v_mul_lo_u32 v21, v21, v36
	v_sub_nc_u32_e32 v23, v23, v25
	s_delay_alu instid0(VALU_DEP_1) | instskip(SKIP_1) | instid1(VALU_DEP_2)
	v_mul_lo_u32 v25, v23, v37
	v_mul_lo_u32 v23, v23, v38
	v_add3_u32 v11, v24, v11, v25
	s_delay_alu instid0(VALU_DEP_2)
	v_add3_u32 v13, v21, v13, v23
	s_and_not1_b32 exec_lo, exec_lo, s12
	s_cbranch_execnz .LBB539_34
; %bb.35:                               ;   in Loop: Header=BB539_30 Depth=1
	s_or_b32 exec_lo, exec_lo, s12
	v_mov_b32_e32 v20, v0
.LBB539_36:                             ;   in Loop: Header=BB539_30 Depth=1
	s_or_b32 exec_lo, exec_lo, s11
	s_and_saveexec_b32 s11, s3
	s_cbranch_execz .LBB539_40
; %bb.37:                               ;   in Loop: Header=BB539_30 Depth=1
	s_delay_alu instid0(VALU_DEP_1)
	v_lshlrev_b32_e32 v19, 3, v20
	v_mul_u32_u24_e32 v20, 12, v20
	v_mov_b32_e32 v21, v17
	s_mov_b32 s12, 0
	.p2align	6
.LBB539_38:                             ;   Parent Loop BB539_30 Depth=1
                                        ; =>  This Inner Loop Header: Depth=2
	s_delay_alu instid0(VALU_DEP_2) | instskip(SKIP_1) | instid1(VALU_DEP_3)
	v_add3_u32 v22, 0, v20, s7
	v_add3_u32 v25, 0, v19, s8
	v_add_nc_u32_e32 v21, -1, v21
	v_add_nc_u32_e32 v19, 8, v19
	s_clause 0x1
	scratch_load_b96 v[22:24], v22, off
	scratch_load_b64 v[25:26], v25, off
	v_cmp_eq_u32_e64 s4, 0, v21
	s_delay_alu instid0(VALU_DEP_1) | instskip(SKIP_2) | instid1(VALU_DEP_1)
	s_or_b32 s12, s4, s12
	s_waitcnt vmcnt(1)
	v_mul_hi_u32 v23, v23, v14
	v_add_nc_u32_e32 v23, v14, v23
	s_delay_alu instid0(VALU_DEP_1) | instskip(NEXT) | instid1(VALU_DEP_1)
	v_lshrrev_b32_e32 v27, v24, v23
	v_mul_lo_u32 v22, v27, v22
	s_delay_alu instid0(VALU_DEP_1) | instskip(SKIP_1) | instid1(VALU_DEP_1)
	v_sub_nc_u32_e32 v14, v14, v22
	s_waitcnt vmcnt(0)
	v_mad_u64_u32 v[22:23], null, v14, v25, v[11:12]
	v_mad_u64_u32 v[23:24], null, v14, v26, v[13:14]
	v_mov_b32_e32 v14, v27
	s_delay_alu instid0(VALU_DEP_3) | instskip(NEXT) | instid1(VALU_DEP_3)
	v_dual_mov_b32 v11, v22 :: v_dual_add_nc_u32 v20, 12, v20
	v_mov_b32_e32 v13, v23
	s_and_not1_b32 exec_lo, exec_lo, s12
	s_cbranch_execnz .LBB539_38
; %bb.39:                               ;   in Loop: Header=BB539_30 Depth=1
	s_or_b32 exec_lo, exec_lo, s12
.LBB539_40:                             ;   in Loop: Header=BB539_30 Depth=1
	s_delay_alu instid0(SALU_CYCLE_1)
	s_or_b32 exec_lo, exec_lo, s11
.LBB539_41:                             ;   in Loop: Header=BB539_30 Depth=1
	s_delay_alu instid0(SALU_CYCLE_1)
	s_or_b32 exec_lo, exec_lo, s10
                                        ; implicit-def: $vgpr14
.LBB539_42:                             ;   in Loop: Header=BB539_30 Depth=1
	s_and_not1_saveexec_b32 s4, s9
	s_cbranch_execz .LBB539_29
; %bb.43:                               ;   in Loop: Header=BB539_30 Depth=1
	v_mul_hi_u32 v11, v14, v2
	s_delay_alu instid0(VALU_DEP_1) | instskip(NEXT) | instid1(VALU_DEP_1)
	v_add_nc_u32_e32 v11, v14, v11
	v_lshrrev_b32_e32 v19, v3, v11
	s_delay_alu instid0(VALU_DEP_1) | instskip(NEXT) | instid1(VALU_DEP_1)
	v_mul_lo_u32 v11, v19, v1
	v_sub_nc_u32_e32 v13, v14, v11
	s_waitcnt vmcnt(1)
	s_delay_alu instid0(VALU_DEP_1)
	v_mul_lo_u32 v11, v13, v4
	v_mul_lo_u32 v13, v13, v5
	s_and_saveexec_b32 s9, s0
	s_cbranch_execz .LBB539_28
; %bb.44:                               ;   in Loop: Header=BB539_30 Depth=1
	s_waitcnt vmcnt(0)
	v_mul_hi_u32 v14, v19, v9
	s_delay_alu instid0(VALU_DEP_1) | instskip(NEXT) | instid1(VALU_DEP_1)
	v_add_nc_u32_e32 v14, v19, v14
	v_lshrrev_b32_e32 v14, v10, v14
	s_delay_alu instid0(VALU_DEP_1) | instskip(NEXT) | instid1(VALU_DEP_1)
	v_mul_lo_u32 v14, v14, v8
	v_sub_nc_u32_e32 v14, v19, v14
	s_delay_alu instid0(VALU_DEP_1) | instskip(SKIP_1) | instid1(VALU_DEP_2)
	v_mad_u64_u32 v[19:20], null, v14, v6, v[11:12]
	v_mad_u64_u32 v[20:21], null, v14, v7, v[13:14]
	v_mov_b32_e32 v11, v19
	s_delay_alu instid0(VALU_DEP_2)
	v_mov_b32_e32 v13, v20
	s_branch .LBB539_28
.LBB539_45:
	s_endpgm
	.section	.rodata,"a",@progbits
	.p2align	6, 0x0
	.amdhsa_kernel _ZN2at6native12_GLOBAL__N_145unrolled_elementwise_kernel_for_multi_outputsILi2EZZZNS0_17frexp_kernel_cudaERNS_18TensorIteratorBaseEENKUlvE_clEvENKUlvE_clEvEUldE_St5arrayIPcLm3EE16OffsetCalculatorILi1EjLb0EESB_ILi2EjLb0EEEEviT0_T1_T2_T3_
		.amdhsa_group_segment_fixed_size 16384
		.amdhsa_private_segment_fixed_size 672
		.amdhsa_kernarg_size 616
		.amdhsa_user_sgpr_count 15
		.amdhsa_user_sgpr_dispatch_ptr 1
		.amdhsa_user_sgpr_queue_ptr 0
		.amdhsa_user_sgpr_kernarg_segment_ptr 1
		.amdhsa_user_sgpr_dispatch_id 0
		.amdhsa_user_sgpr_private_segment_size 0
		.amdhsa_wavefront_size32 1
		.amdhsa_uses_dynamic_stack 0
		.amdhsa_enable_private_segment 1
		.amdhsa_system_sgpr_workgroup_id_x 1
		.amdhsa_system_sgpr_workgroup_id_y 0
		.amdhsa_system_sgpr_workgroup_id_z 0
		.amdhsa_system_sgpr_workgroup_info 0
		.amdhsa_system_vgpr_workitem_id 2
		.amdhsa_next_free_vgpr 44
		.amdhsa_next_free_sgpr 84
		.amdhsa_reserve_vcc 1
		.amdhsa_float_round_mode_32 0
		.amdhsa_float_round_mode_16_64 0
		.amdhsa_float_denorm_mode_32 3
		.amdhsa_float_denorm_mode_16_64 3
		.amdhsa_dx10_clamp 1
		.amdhsa_ieee_mode 1
		.amdhsa_fp16_overflow 0
		.amdhsa_workgroup_processor_mode 1
		.amdhsa_memory_ordered 1
		.amdhsa_forward_progress 0
		.amdhsa_shared_vgpr_count 0
		.amdhsa_exception_fp_ieee_invalid_op 0
		.amdhsa_exception_fp_denorm_src 0
		.amdhsa_exception_fp_ieee_div_zero 0
		.amdhsa_exception_fp_ieee_overflow 0
		.amdhsa_exception_fp_ieee_underflow 0
		.amdhsa_exception_fp_ieee_inexact 0
		.amdhsa_exception_int_div_zero 0
	.end_amdhsa_kernel
	.section	.text._ZN2at6native12_GLOBAL__N_145unrolled_elementwise_kernel_for_multi_outputsILi2EZZZNS0_17frexp_kernel_cudaERNS_18TensorIteratorBaseEENKUlvE_clEvENKUlvE_clEvEUldE_St5arrayIPcLm3EE16OffsetCalculatorILi1EjLb0EESB_ILi2EjLb0EEEEviT0_T1_T2_T3_,"axG",@progbits,_ZN2at6native12_GLOBAL__N_145unrolled_elementwise_kernel_for_multi_outputsILi2EZZZNS0_17frexp_kernel_cudaERNS_18TensorIteratorBaseEENKUlvE_clEvENKUlvE_clEvEUldE_St5arrayIPcLm3EE16OffsetCalculatorILi1EjLb0EESB_ILi2EjLb0EEEEviT0_T1_T2_T3_,comdat
.Lfunc_end539:
	.size	_ZN2at6native12_GLOBAL__N_145unrolled_elementwise_kernel_for_multi_outputsILi2EZZZNS0_17frexp_kernel_cudaERNS_18TensorIteratorBaseEENKUlvE_clEvENKUlvE_clEvEUldE_St5arrayIPcLm3EE16OffsetCalculatorILi1EjLb0EESB_ILi2EjLb0EEEEviT0_T1_T2_T3_, .Lfunc_end539-_ZN2at6native12_GLOBAL__N_145unrolled_elementwise_kernel_for_multi_outputsILi2EZZZNS0_17frexp_kernel_cudaERNS_18TensorIteratorBaseEENKUlvE_clEvENKUlvE_clEvEUldE_St5arrayIPcLm3EE16OffsetCalculatorILi1EjLb0EESB_ILi2EjLb0EEEEviT0_T1_T2_T3_
                                        ; -- End function
	.section	.AMDGPU.csdata,"",@progbits
; Kernel info:
; codeLenInByte = 3768
; NumSgprs: 86
; NumVgprs: 44
; ScratchSize: 672
; MemoryBound: 0
; FloatMode: 240
; IeeeMode: 1
; LDSByteSize: 16384 bytes/workgroup (compile time only)
; SGPRBlocks: 10
; VGPRBlocks: 5
; NumSGPRsForWavesPerEU: 86
; NumVGPRsForWavesPerEU: 44
; Occupancy: 16
; WaveLimiterHint : 1
; COMPUTE_PGM_RSRC2:SCRATCH_EN: 1
; COMPUTE_PGM_RSRC2:USER_SGPR: 15
; COMPUTE_PGM_RSRC2:TRAP_HANDLER: 0
; COMPUTE_PGM_RSRC2:TGID_X_EN: 1
; COMPUTE_PGM_RSRC2:TGID_Y_EN: 0
; COMPUTE_PGM_RSRC2:TGID_Z_EN: 0
; COMPUTE_PGM_RSRC2:TIDIG_COMP_CNT: 2
	.section	.text._ZN2at6native12_GLOBAL__N_145unrolled_elementwise_kernel_for_multi_outputsILi2EZZZNS0_17frexp_kernel_cudaERNS_18TensorIteratorBaseEENKUlvE_clEvENKUlvE0_clEvEUlfE_St5arrayIPcLm3EE23TrivialOffsetCalculatorILi1EjESB_ILi2EjEEEviT0_T1_T2_T3_,"axG",@progbits,_ZN2at6native12_GLOBAL__N_145unrolled_elementwise_kernel_for_multi_outputsILi2EZZZNS0_17frexp_kernel_cudaERNS_18TensorIteratorBaseEENKUlvE_clEvENKUlvE0_clEvEUlfE_St5arrayIPcLm3EE23TrivialOffsetCalculatorILi1EjESB_ILi2EjEEEviT0_T1_T2_T3_,comdat
	.globl	_ZN2at6native12_GLOBAL__N_145unrolled_elementwise_kernel_for_multi_outputsILi2EZZZNS0_17frexp_kernel_cudaERNS_18TensorIteratorBaseEENKUlvE_clEvENKUlvE0_clEvEUlfE_St5arrayIPcLm3EE23TrivialOffsetCalculatorILi1EjESB_ILi2EjEEEviT0_T1_T2_T3_ ; -- Begin function _ZN2at6native12_GLOBAL__N_145unrolled_elementwise_kernel_for_multi_outputsILi2EZZZNS0_17frexp_kernel_cudaERNS_18TensorIteratorBaseEENKUlvE_clEvENKUlvE0_clEvEUlfE_St5arrayIPcLm3EE23TrivialOffsetCalculatorILi1EjESB_ILi2EjEEEviT0_T1_T2_T3_
	.p2align	8
	.type	_ZN2at6native12_GLOBAL__N_145unrolled_elementwise_kernel_for_multi_outputsILi2EZZZNS0_17frexp_kernel_cudaERNS_18TensorIteratorBaseEENKUlvE_clEvENKUlvE0_clEvEUlfE_St5arrayIPcLm3EE23TrivialOffsetCalculatorILi1EjESB_ILi2EjEEEviT0_T1_T2_T3_,@function
_ZN2at6native12_GLOBAL__N_145unrolled_elementwise_kernel_for_multi_outputsILi2EZZZNS0_17frexp_kernel_cudaERNS_18TensorIteratorBaseEENKUlvE_clEvENKUlvE0_clEvEUlfE_St5arrayIPcLm3EE23TrivialOffsetCalculatorILi1EjESB_ILi2EjEEEviT0_T1_T2_T3_: ; @_ZN2at6native12_GLOBAL__N_145unrolled_elementwise_kernel_for_multi_outputsILi2EZZZNS0_17frexp_kernel_cudaERNS_18TensorIteratorBaseEENKUlvE_clEvENKUlvE0_clEvEUlfE_St5arrayIPcLm3EE23TrivialOffsetCalculatorILi1EjESB_ILi2EjEEEviT0_T1_T2_T3_
; %bb.0:
	s_load_b64 s[0:1], s[0:1], 0x4
	s_mov_b32 s8, 0
	s_clause 0x1
	s_load_b32 s12, s[2:3], 0x0
	s_load_b128 s[4:7], s[2:3], 0x8
	s_mov_b32 s9, s8
	s_mov_b32 s10, s8
	s_mov_b32 s11, s8
	v_dual_mov_b32 v5, s8 :: v_dual_and_b32 v2, 0x3ff, v0
	v_bfe_u32 v1, v0, 10, 10
	v_bfe_u32 v0, v0, 20, 10
	s_load_b64 s[2:3], s[2:3], 0x18
	v_dual_mov_b32 v7, s10 :: v_dual_mov_b32 v8, s11
	v_mov_b32_e32 v6, s9
	s_waitcnt lgkmcnt(0)
	s_lshr_b32 s0, s0, 16
	v_mul_u32_u24_e32 v1, s1, v1
	s_mul_i32 s0, s0, s1
	s_lshl_b32 s1, s15, 10
	v_mul_lo_u32 v3, s0, v2
	s_sub_i32 s9, s12, s1
	s_delay_alu instid0(SALU_CYCLE_1) | instskip(NEXT) | instid1(VALU_DEP_2)
	v_cmp_gt_i32_e32 vcc_lo, s9, v2
	v_add3_u32 v0, v3, v1, v0
	s_delay_alu instid0(VALU_DEP_1)
	v_lshlrev_b32_e32 v1, 5, v0
	v_lshlrev_b32_e32 v4, 4, v0
	ds_store_b128 v1, v[5:8] offset:4096
	ds_store_b128 v1, v[5:8] offset:4112
	ds_store_b128 v4, v[5:8]
	v_add_nc_u32_e32 v3, 0x1000, v1
	s_and_saveexec_b32 s10, vcc_lo
	s_cbranch_execz .LBB540_4
; %bb.1:
	v_dual_mov_b32 v1, 0 :: v_dual_mov_b32 v6, v2
	v_mov_b32_e32 v5, v4
	s_mov_b32 s11, 0
	.p2align	6
.LBB540_2:                              ; =>This Inner Loop Header: Depth=1
	s_delay_alu instid0(VALU_DEP_2)
	v_add_nc_u32_e32 v0, s1, v6
	v_add_nc_u32_e32 v6, 0x100, v6
	s_add_i32 s12, s11, 1
	s_cmp_gt_u32 s11, 2
	s_cselect_b32 s11, -1, 0
	v_lshlrev_b64 v[7:8], 2, v[0:1]
	s_delay_alu instid0(VALU_DEP_1) | instskip(NEXT) | instid1(VALU_DEP_1)
	v_add_co_u32 v7, s0, s2, v7
	v_add_co_ci_u32_e64 v8, s0, s3, v8, s0
	v_cmp_le_i32_e64 s0, s9, v6
	global_load_b32 v0, v[7:8], off
	s_or_b32 s0, s11, s0
	s_mov_b32 s11, s12
	s_and_b32 s0, exec_lo, s0
	s_delay_alu instid0(SALU_CYCLE_1)
	s_or_b32 s8, s0, s8
	s_waitcnt vmcnt(0)
	ds_store_b32 v5, v0
	v_add_nc_u32_e32 v5, 4, v5
	s_and_not1_b32 exec_lo, exec_lo, s8
	s_cbranch_execnz .LBB540_2
; %bb.3:
	s_or_b32 exec_lo, exec_lo, s8
	ds_load_b32 v0, v4
	s_waitcnt lgkmcnt(0)
	v_frexp_exp_i32_f32_e32 v1, v0
	v_frexp_mant_f32_e32 v0, v0
	ds_store_b64 v3, v[0:1]
.LBB540_4:
	s_or_b32 exec_lo, exec_lo, s10
	v_or_b32_e32 v0, 0x100, v2
	s_mov_b32 s2, exec_lo
	s_delay_alu instid0(VALU_DEP_1)
	v_cmpx_gt_i32_e64 s9, v0
	s_cbranch_execz .LBB540_6
; %bb.5:
	ds_load_b32 v0, v4 offset:4
	s_waitcnt lgkmcnt(0)
	v_frexp_exp_i32_f32_e32 v1, v0
	v_frexp_mant_f32_e32 v0, v0
	ds_store_b64 v3, v[0:1] offset:8
.LBB540_6:
	s_or_b32 exec_lo, exec_lo, s2
	v_or_b32_e32 v0, 0x200, v2
	s_mov_b32 s2, exec_lo
	s_delay_alu instid0(VALU_DEP_1)
	v_cmpx_gt_i32_e64 s9, v0
	s_cbranch_execz .LBB540_8
; %bb.7:
	ds_load_b32 v0, v4 offset:8
	s_waitcnt lgkmcnt(0)
	v_frexp_exp_i32_f32_e32 v1, v0
	v_frexp_mant_f32_e32 v0, v0
	ds_store_b64 v3, v[0:1] offset:16
.LBB540_8:
	;; [unrolled: 13-line block ×3, first 2 shown]
	s_or_b32 exec_lo, exec_lo, s2
	s_and_saveexec_b32 s0, vcc_lo
	s_delay_alu instid0(SALU_CYCLE_1)
	s_xor_b32 s0, exec_lo, s0
	s_cbranch_execz .LBB540_13
; %bb.11:
	v_mov_b32_e32 v1, 0
	s_mov_b32 s0, 0
	s_mov_b32 s2, 0
	.p2align	6
.LBB540_12:                             ; =>This Inner Loop Header: Depth=1
	v_add_nc_u32_e32 v0, s1, v2
	ds_load_b64 v[4:5], v3
	v_add_nc_u32_e32 v2, 0x100, v2
	s_add_i32 s3, s2, 1
	s_cmp_gt_u32 s2, 2
	v_lshlrev_b64 v[6:7], 2, v[0:1]
	s_cselect_b32 s2, -1, 0
	v_cmp_le_i32_e32 vcc_lo, s9, v2
	v_add_nc_u32_e32 v3, 8, v3
	s_or_b32 s2, s2, vcc_lo
	s_delay_alu instid0(VALU_DEP_3)
	v_add_co_u32 v8, vcc_lo, s4, v6
	v_add_co_ci_u32_e32 v9, vcc_lo, s5, v7, vcc_lo
	v_add_co_u32 v6, vcc_lo, s6, v6
	v_add_co_ci_u32_e32 v7, vcc_lo, s7, v7, vcc_lo
	s_and_b32 s8, exec_lo, s2
	s_mov_b32 s2, s3
	s_or_b32 s0, s8, s0
	s_waitcnt lgkmcnt(0)
	global_store_b32 v[8:9], v4, off
	global_store_b32 v[6:7], v5, off
	s_and_not1_b32 exec_lo, exec_lo, s0
	s_cbranch_execnz .LBB540_12
.LBB540_13:
	s_nop 0
	s_sendmsg sendmsg(MSG_DEALLOC_VGPRS)
	s_endpgm
	.section	.rodata,"a",@progbits
	.p2align	6, 0x0
	.amdhsa_kernel _ZN2at6native12_GLOBAL__N_145unrolled_elementwise_kernel_for_multi_outputsILi2EZZZNS0_17frexp_kernel_cudaERNS_18TensorIteratorBaseEENKUlvE_clEvENKUlvE0_clEvEUlfE_St5arrayIPcLm3EE23TrivialOffsetCalculatorILi1EjESB_ILi2EjEEEviT0_T1_T2_T3_
		.amdhsa_group_segment_fixed_size 12288
		.amdhsa_private_segment_fixed_size 0
		.amdhsa_kernarg_size 36
		.amdhsa_user_sgpr_count 15
		.amdhsa_user_sgpr_dispatch_ptr 1
		.amdhsa_user_sgpr_queue_ptr 0
		.amdhsa_user_sgpr_kernarg_segment_ptr 1
		.amdhsa_user_sgpr_dispatch_id 0
		.amdhsa_user_sgpr_private_segment_size 0
		.amdhsa_wavefront_size32 1
		.amdhsa_uses_dynamic_stack 0
		.amdhsa_enable_private_segment 0
		.amdhsa_system_sgpr_workgroup_id_x 1
		.amdhsa_system_sgpr_workgroup_id_y 0
		.amdhsa_system_sgpr_workgroup_id_z 0
		.amdhsa_system_sgpr_workgroup_info 0
		.amdhsa_system_vgpr_workitem_id 2
		.amdhsa_next_free_vgpr 10
		.amdhsa_next_free_sgpr 16
		.amdhsa_reserve_vcc 1
		.amdhsa_float_round_mode_32 0
		.amdhsa_float_round_mode_16_64 0
		.amdhsa_float_denorm_mode_32 3
		.amdhsa_float_denorm_mode_16_64 3
		.amdhsa_dx10_clamp 1
		.amdhsa_ieee_mode 1
		.amdhsa_fp16_overflow 0
		.amdhsa_workgroup_processor_mode 1
		.amdhsa_memory_ordered 1
		.amdhsa_forward_progress 0
		.amdhsa_shared_vgpr_count 0
		.amdhsa_exception_fp_ieee_invalid_op 0
		.amdhsa_exception_fp_denorm_src 0
		.amdhsa_exception_fp_ieee_div_zero 0
		.amdhsa_exception_fp_ieee_overflow 0
		.amdhsa_exception_fp_ieee_underflow 0
		.amdhsa_exception_fp_ieee_inexact 0
		.amdhsa_exception_int_div_zero 0
	.end_amdhsa_kernel
	.section	.text._ZN2at6native12_GLOBAL__N_145unrolled_elementwise_kernel_for_multi_outputsILi2EZZZNS0_17frexp_kernel_cudaERNS_18TensorIteratorBaseEENKUlvE_clEvENKUlvE0_clEvEUlfE_St5arrayIPcLm3EE23TrivialOffsetCalculatorILi1EjESB_ILi2EjEEEviT0_T1_T2_T3_,"axG",@progbits,_ZN2at6native12_GLOBAL__N_145unrolled_elementwise_kernel_for_multi_outputsILi2EZZZNS0_17frexp_kernel_cudaERNS_18TensorIteratorBaseEENKUlvE_clEvENKUlvE0_clEvEUlfE_St5arrayIPcLm3EE23TrivialOffsetCalculatorILi1EjESB_ILi2EjEEEviT0_T1_T2_T3_,comdat
.Lfunc_end540:
	.size	_ZN2at6native12_GLOBAL__N_145unrolled_elementwise_kernel_for_multi_outputsILi2EZZZNS0_17frexp_kernel_cudaERNS_18TensorIteratorBaseEENKUlvE_clEvENKUlvE0_clEvEUlfE_St5arrayIPcLm3EE23TrivialOffsetCalculatorILi1EjESB_ILi2EjEEEviT0_T1_T2_T3_, .Lfunc_end540-_ZN2at6native12_GLOBAL__N_145unrolled_elementwise_kernel_for_multi_outputsILi2EZZZNS0_17frexp_kernel_cudaERNS_18TensorIteratorBaseEENKUlvE_clEvENKUlvE0_clEvEUlfE_St5arrayIPcLm3EE23TrivialOffsetCalculatorILi1EjESB_ILi2EjEEEviT0_T1_T2_T3_
                                        ; -- End function
	.section	.AMDGPU.csdata,"",@progbits
; Kernel info:
; codeLenInByte = 700
; NumSgprs: 18
; NumVgprs: 10
; ScratchSize: 0
; MemoryBound: 0
; FloatMode: 240
; IeeeMode: 1
; LDSByteSize: 12288 bytes/workgroup (compile time only)
; SGPRBlocks: 2
; VGPRBlocks: 1
; NumSGPRsForWavesPerEU: 18
; NumVGPRsForWavesPerEU: 10
; Occupancy: 16
; WaveLimiterHint : 0
; COMPUTE_PGM_RSRC2:SCRATCH_EN: 0
; COMPUTE_PGM_RSRC2:USER_SGPR: 15
; COMPUTE_PGM_RSRC2:TRAP_HANDLER: 0
; COMPUTE_PGM_RSRC2:TGID_X_EN: 1
; COMPUTE_PGM_RSRC2:TGID_Y_EN: 0
; COMPUTE_PGM_RSRC2:TGID_Z_EN: 0
; COMPUTE_PGM_RSRC2:TIDIG_COMP_CNT: 2
	.section	.text._ZN2at6native12_GLOBAL__N_145unrolled_elementwise_kernel_for_multi_outputsILi2EZZZNS0_17frexp_kernel_cudaERNS_18TensorIteratorBaseEENKUlvE_clEvENKUlvE0_clEvEUlfE_St5arrayIPcLm3EE16OffsetCalculatorILi1EjLb0EESB_ILi2EjLb0EEEEviT0_T1_T2_T3_,"axG",@progbits,_ZN2at6native12_GLOBAL__N_145unrolled_elementwise_kernel_for_multi_outputsILi2EZZZNS0_17frexp_kernel_cudaERNS_18TensorIteratorBaseEENKUlvE_clEvENKUlvE0_clEvEUlfE_St5arrayIPcLm3EE16OffsetCalculatorILi1EjLb0EESB_ILi2EjLb0EEEEviT0_T1_T2_T3_,comdat
	.globl	_ZN2at6native12_GLOBAL__N_145unrolled_elementwise_kernel_for_multi_outputsILi2EZZZNS0_17frexp_kernel_cudaERNS_18TensorIteratorBaseEENKUlvE_clEvENKUlvE0_clEvEUlfE_St5arrayIPcLm3EE16OffsetCalculatorILi1EjLb0EESB_ILi2EjLb0EEEEviT0_T1_T2_T3_ ; -- Begin function _ZN2at6native12_GLOBAL__N_145unrolled_elementwise_kernel_for_multi_outputsILi2EZZZNS0_17frexp_kernel_cudaERNS_18TensorIteratorBaseEENKUlvE_clEvENKUlvE0_clEvEUlfE_St5arrayIPcLm3EE16OffsetCalculatorILi1EjLb0EESB_ILi2EjLb0EEEEviT0_T1_T2_T3_
	.p2align	8
	.type	_ZN2at6native12_GLOBAL__N_145unrolled_elementwise_kernel_for_multi_outputsILi2EZZZNS0_17frexp_kernel_cudaERNS_18TensorIteratorBaseEENKUlvE_clEvENKUlvE0_clEvEUlfE_St5arrayIPcLm3EE16OffsetCalculatorILi1EjLb0EESB_ILi2EjLb0EEEEviT0_T1_T2_T3_,@function
_ZN2at6native12_GLOBAL__N_145unrolled_elementwise_kernel_for_multi_outputsILi2EZZZNS0_17frexp_kernel_cudaERNS_18TensorIteratorBaseEENKUlvE_clEvENKUlvE0_clEvEUlfE_St5arrayIPcLm3EE16OffsetCalculatorILi1EjLb0EESB_ILi2EjLb0EEEEviT0_T1_T2_T3_: ; @_ZN2at6native12_GLOBAL__N_145unrolled_elementwise_kernel_for_multi_outputsILi2EZZZNS0_17frexp_kernel_cudaERNS_18TensorIteratorBaseEENKUlvE_clEvENKUlvE0_clEvEUlfE_St5arrayIPcLm3EE16OffsetCalculatorILi1EjLb0EESB_ILi2EjLb0EEEEviT0_T1_T2_T3_
; %bb.0:
	s_load_b64 s[0:1], s[0:1], 0x4
	s_clause 0x6
	s_load_b32 s52, s[2:3], 0x0
	s_load_b256 s[4:11], s[2:3], 0x164
	s_load_b256 s[20:27], s[2:3], 0x184
	s_load_b128 s[28:31], s[2:3], 0x8
	s_load_b256 s[44:51], s[2:3], 0x1a4
	s_load_b64 s[34:35], s[2:3], 0x18
	s_load_b256 s[56:63], s[2:3], 0x1c4
	v_bfe_u32 v1, v0, 10, 10
	v_and_b32_e32 v15, 0x3ff, v0
	s_lshl_b32 s33, s15, 10
	s_clause 0x3
	s_load_b256 s[64:71], s[2:3], 0x1e4
	s_load_b256 s[72:79], s[2:3], 0x204
	;; [unrolled: 1-line block ×4, first 2 shown]
	v_bfe_u32 v12, v0, 20, 10
	s_load_b32 s53, s[2:3], 0x264
	s_waitcnt lgkmcnt(0)
	s_lshr_b32 s0, s0, 16
	v_mul_u32_u24_e32 v13, s1, v1
	v_mov_b32_e32 v0, s8
	s_mul_i32 s0, s0, s1
	v_dual_mov_b32 v3, s11 :: v_dual_mov_b32 v4, s20
	v_mul_lo_u32 v14, s0, v15
	v_dual_mov_b32 v7, s23 :: v_dual_mov_b32 v8, s24
	v_dual_mov_b32 v11, s27 :: v_dual_mov_b32 v16, s44
	;; [unrolled: 1-line block ×4, first 2 shown]
	v_add3_u32 v12, v14, v13, v12
	v_dual_mov_b32 v5, s21 :: v_dual_mov_b32 v6, s22
	v_dual_mov_b32 v9, s25 :: v_dual_mov_b32 v10, s26
	;; [unrolled: 1-line block ×8, first 2 shown]
	v_lshlrev_b32_e32 v13, 5, v12
	s_load_b256 s[20:27], s[2:3], 0x124
	v_dual_mov_b32 v25, s57 :: v_dual_mov_b32 v26, s58
	v_dual_mov_b32 v33, s65 :: v_dual_mov_b32 v34, s66
	;; [unrolled: 1-line block ×3, first 2 shown]
	s_load_b256 s[44:51], s[2:3], 0x144
	v_dual_mov_b32 v37, s69 :: v_dual_mov_b32 v38, s70
	s_clause 0x1
	scratch_store_b128 off, v[0:3], off offset:368
	scratch_store_b128 off, v[4:7], off offset:384
	v_dual_mov_b32 v0, s72 :: v_dual_mov_b32 v39, s71
	s_clause 0x3
	scratch_store_b128 off, v[8:11], off offset:400
	scratch_store_b128 off, v[16:19], off offset:416
	;; [unrolled: 1-line block ×4, first 2 shown]
	v_add_nc_u32_e32 v16, 0x1000, v13
	v_dual_mov_b32 v2, s74 :: v_dual_lshlrev_b32 v11, 4, v12
	v_dual_mov_b32 v1, s73 :: v_dual_mov_b32 v4, s76
	v_dual_mov_b32 v3, s75 :: v_dual_mov_b32 v6, s78
	v_mov_b32_e32 v5, s77
	v_mov_b32_e32 v7, s79
	v_dual_mov_b32 v17, s36 :: v_dual_mov_b32 v18, s37
	v_dual_mov_b32 v19, s38 :: v_dual_mov_b32 v20, s39
	s_clause 0x5
	scratch_store_b128 off, v[28:31], off offset:464
	scratch_store_b128 off, v[32:35], off offset:480
	;; [unrolled: 1-line block ×6, first 2 shown]
	v_mov_b32_e32 v0, s40
	v_dual_mov_b32 v2, s42 :: v_dual_mov_b32 v1, s41
	v_dual_mov_b32 v4, s12 :: v_dual_mov_b32 v3, s43
	v_mov_b32_e32 v6, s14
	s_load_b256 s[36:43], s[2:3], 0x40
	v_dual_mov_b32 v5, s13 :: v_dual_mov_b32 v20, s19
	v_dual_mov_b32 v7, s15 :: v_dual_mov_b32 v18, s17
	;; [unrolled: 1-line block ×3, first 2 shown]
	v_mov_b32_e32 v17, s16
	s_load_b256 s[8:15], s[2:3], 0x20
	s_clause 0x3
	scratch_store_b128 off, v[0:3], off offset:560
	scratch_store_b128 off, v[4:7], off offset:576
	;; [unrolled: 1-line block ×3, first 2 shown]
	scratch_store_b32 off, v8, off offset:608
	s_waitcnt lgkmcnt(0)
	v_mov_b32_e32 v0, s24
	s_load_b256 s[56:63], s[2:3], 0x60
	v_dual_mov_b32 v1, s25 :: v_dual_mov_b32 v2, s26
	v_dual_mov_b32 v3, s27 :: v_dual_mov_b32 v4, s44
	s_load_b256 s[64:71], s[2:3], 0x80
	v_dual_mov_b32 v5, s45 :: v_dual_mov_b32 v6, s46
	v_mov_b32_e32 v7, s47
	v_dual_mov_b32 v17, s48 :: v_dual_mov_b32 v20, s51
	v_dual_mov_b32 v18, s49 :: v_dual_mov_b32 v19, s50
	v_mov_b32_e32 v24, s7
	s_load_b256 s[72:79], s[2:3], 0xa0
	v_dual_mov_b32 v23, s6 :: v_dual_mov_b32 v22, s5
	v_dual_mov_b32 v21, s4 :: v_dual_mov_b32 v28, s23
	;; [unrolled: 1-line block ×3, first 2 shown]
	v_mov_b32_e32 v25, s20
	s_clause 0x3
	scratch_store_b128 off, v[0:3], off offset:304
	scratch_store_b128 off, v[4:7], off offset:320
	;; [unrolled: 1-line block ×4, first 2 shown]
	v_mov_b32_e32 v0, s36
	s_load_b256 s[16:23], s[2:3], 0xc0
	v_dual_mov_b32 v3, s39 :: v_dual_mov_b32 v4, s40
	v_dual_mov_b32 v1, s37 :: v_dual_mov_b32 v2, s38
	;; [unrolled: 1-line block ×4, first 2 shown]
	s_clause 0x2
	s_load_b256 s[36:43], s[2:3], 0xe0
	s_load_b256 s[44:51], s[2:3], 0x100
	s_load_b32 s0, s[2:3], 0x120
	v_mov_b32_e32 v17, s12
	s_clause 0x1
	scratch_store_b128 off, v[0:3], off offset:60
	scratch_store_b128 off, v[4:7], off offset:76
	s_waitcnt lgkmcnt(0)
	v_dual_mov_b32 v0, s56 :: v_dual_mov_b32 v1, s57
	v_dual_mov_b32 v2, s58 :: v_dual_mov_b32 v3, s59
	;; [unrolled: 1-line block ×12, first 2 shown]
	s_clause 0x5
	scratch_store_b128 off, v[0:3], off offset:92
	scratch_store_b128 off, v[4:7], off offset:108
	;; [unrolled: 1-line block ×6, first 2 shown]
	v_dual_mov_b32 v0, s16 :: v_dual_mov_b32 v1, s17
	v_dual_mov_b32 v2, s18 :: v_dual_mov_b32 v3, s19
	;; [unrolled: 1-line block ×8, first 2 shown]
	s_mov_b32 s12, 0
	v_dual_mov_b32 v30, s41 :: v_dual_mov_b32 v31, s42
	v_dual_mov_b32 v33, s44 :: v_dual_mov_b32 v36, s47
	s_sub_i32 s52, s52, s33
	v_dual_mov_b32 v34, s45 :: v_dual_mov_b32 v35, s46
	v_dual_mov_b32 v37, s48 :: v_dual_mov_b32 v40, s51
	s_mov_b32 s13, s12
	s_mov_b32 s14, s12
	;; [unrolled: 1-line block ×3, first 2 shown]
	v_dual_mov_b32 v38, s49 :: v_dual_mov_b32 v39, s50
	v_mov_b32_e32 v8, s0
	s_clause 0x5
	scratch_store_b128 off, v[0:3], off offset:188
	scratch_store_b128 off, v[4:7], off offset:204
	scratch_store_b128 off, v[21:24], off offset:220
	scratch_store_b128 off, v[29:32], off offset:236
	scratch_store_b128 off, v[33:36], off offset:252
	scratch_store_b128 off, v[37:40], off offset:268
	v_dual_mov_b32 v4, s12 :: v_dual_mov_b32 v5, s13
	v_dual_mov_b32 v0, s8 :: v_dual_mov_b32 v1, s9
	;; [unrolled: 1-line block ×3, first 2 shown]
	v_cmp_gt_i32_e32 vcc_lo, s52, v15
	v_dual_mov_b32 v2, s10 :: v_dual_mov_b32 v3, s11
	s_clause 0x3
	scratch_store_b128 off, v[25:28], off offset:288
	scratch_store_b32 off, v8, off offset:284
	scratch_store_b128 off, v[17:20], off offset:44
	scratch_store_b128 off, v[0:3], off offset:28
	ds_store_b128 v13, v[4:7] offset:4096
	ds_store_b128 v13, v[4:7] offset:4112
	ds_store_b128 v11, v[4:7]
	s_and_saveexec_b32 s6, vcc_lo
	s_cbranch_execz .LBB541_20
; %bb.1:
	s_clause 0x2
	scratch_load_b128 v[0:3], off, off offset:28
	scratch_load_b64 v[7:8], off, off offset:224
	scratch_load_b96 v[4:6], off, off offset:44
	s_mov_b32 s7, 0
	v_mov_b32_e32 v12, 0
	s_delay_alu instid0(VALU_DEP_1) | instskip(SKIP_4) | instid1(VALU_DEP_3)
	v_add_nc_u32_e32 v13, 0xe0, v12
	s_waitcnt vmcnt(2)
	v_add_nc_u32_e32 v9, -1, v0
	v_cmp_ne_u32_e64 s0, 0, v0
	v_cmp_lt_u32_e64 s1, 1, v0
	v_min_u32_e32 v10, 15, v9
	v_cmp_lt_u32_e64 s2, 1, v9
	v_cmp_ne_u32_e64 s3, 2, v9
	s_delay_alu instid0(VALU_DEP_3) | instskip(NEXT) | instid1(VALU_DEP_1)
	v_dual_mov_b32 v10, 0 :: v_dual_add_nc_u32 v17, 1, v10
	v_and_b32_e32 v14, 3, v17
	v_dual_mov_b32 v17, v15 :: v_dual_and_b32 v0, 28, v17
	s_delay_alu instid0(VALU_DEP_2)
	v_cmp_ne_u32_e64 s4, 0, v14
	s_branch .LBB541_4
.LBB541_2:                              ;   in Loop: Header=BB541_4 Depth=1
	s_or_b32 exec_lo, exec_lo, s8
.LBB541_3:                              ;   in Loop: Header=BB541_4 Depth=1
	s_delay_alu instid0(SALU_CYCLE_1) | instskip(NEXT) | instid1(VALU_DEP_1)
	s_or_b32 exec_lo, exec_lo, s5
	v_lshlrev_b64 v[18:19], 2, v[9:10]
	v_add_nc_u32_e32 v17, 0x100, v17
	s_add_i32 s8, s7, 1
	s_cmp_gt_u32 s7, 2
	s_cselect_b32 s9, -1, 0
	s_delay_alu instid0(VALU_DEP_2) | instskip(NEXT) | instid1(VALU_DEP_1)
	v_add_co_u32 v18, s5, s34, v18
	v_add_co_ci_u32_e64 v19, s5, s35, v19, s5
	v_cmp_le_i32_e64 s5, s52, v17
	global_load_b32 v9, v[18:19], off
	v_lshl_add_u32 v18, s7, 2, v11
	s_or_b32 s5, s9, s5
	s_mov_b32 s7, s8
	s_and_b32 s5, exec_lo, s5
	s_delay_alu instid0(SALU_CYCLE_1)
	s_or_b32 s12, s5, s12
	s_waitcnt vmcnt(0)
	ds_store_b32 v18, v9
	s_and_not1_b32 exec_lo, exec_lo, s12
	s_cbranch_execz .LBB541_19
.LBB541_4:                              ; =>This Loop Header: Depth=1
                                        ;     Child Loop BB541_8 Depth 2
                                        ;     Child Loop BB541_12 Depth 2
	s_delay_alu instid0(VALU_DEP_2) | instskip(SKIP_1) | instid1(SALU_CYCLE_1)
	v_add_nc_u32_e32 v18, s33, v17
	s_and_saveexec_b32 s5, s2
	s_xor_b32 s8, exec_lo, s5
	s_cbranch_execz .LBB541_16
; %bb.5:                                ;   in Loop: Header=BB541_4 Depth=1
	v_mov_b32_e32 v9, 0
	s_and_saveexec_b32 s9, s0
	s_cbranch_execz .LBB541_15
; %bb.6:                                ;   in Loop: Header=BB541_4 Depth=1
	v_dual_mov_b32 v9, 0 :: v_dual_mov_b32 v20, 0
	s_mov_b32 s11, 0
	s_and_saveexec_b32 s10, s3
	s_cbranch_execz .LBB541_10
; %bb.7:                                ;   in Loop: Header=BB541_4 Depth=1
	v_mov_b32_e32 v9, 0
	s_mov_b32 s13, 0
	s_mov_b32 s14, 0
	;; [unrolled: 1-line block ×3, first 2 shown]
.LBB541_8:                              ;   Parent Loop BB541_4 Depth=1
                                        ; =>  This Inner Loop Header: Depth=2
	v_readfirstlane_b32 s5, v12
	v_add_nc_u32_e64 v27, s14, 0
	s_add_i32 s15, s15, 4
	s_add_i32 s14, s14, 16
	s_delay_alu instid0(VALU_DEP_2) | instskip(NEXT) | instid1(VALU_DEP_1)
	s_add_i32 s5, s5, s13
	v_add_nc_u32_e32 v31, 0xe0, v27
	s_add_i32 s16, s5, 32
	s_add_i32 s13, s13, 48
	scratch_load_b128 v[19:22], off, s16
	s_add_i32 s16, s5, 48
	s_add_i32 s5, s5, 64
	s_clause 0x2
	scratch_load_b128 v[23:26], off, s16
	scratch_load_b128 v[27:30], off, s5
	scratch_load_b128 v[31:34], v31, off
	v_cmp_eq_u32_e64 s5, s15, v0
	s_delay_alu instid0(VALU_DEP_1) | instskip(SKIP_2) | instid1(VALU_DEP_1)
	s_or_b32 s11, s5, s11
	s_waitcnt vmcnt(3)
	v_mul_hi_u32 v20, v20, v18
	v_add_nc_u32_e32 v20, v18, v20
	s_delay_alu instid0(VALU_DEP_1) | instskip(SKIP_1) | instid1(VALU_DEP_1)
	v_lshrrev_b32_e32 v20, v21, v20
	s_waitcnt vmcnt(2)
	v_mul_hi_u32 v21, v23, v20
	v_mul_lo_u32 v19, v20, v19
	s_delay_alu instid0(VALU_DEP_2) | instskip(NEXT) | instid1(VALU_DEP_2)
	v_add_nc_u32_e32 v21, v20, v21
	v_sub_nc_u32_e32 v19, v18, v19
	s_delay_alu instid0(VALU_DEP_2) | instskip(SKIP_1) | instid1(VALU_DEP_2)
	v_lshrrev_b32_e32 v21, v24, v21
	s_waitcnt vmcnt(0)
	v_mul_lo_u32 v19, v19, v31
	s_delay_alu instid0(VALU_DEP_2) | instskip(SKIP_1) | instid1(VALU_DEP_2)
	v_mul_hi_u32 v23, v26, v21
	v_mul_lo_u32 v22, v21, v22
	v_add_nc_u32_e32 v23, v21, v23
	s_delay_alu instid0(VALU_DEP_2) | instskip(NEXT) | instid1(VALU_DEP_2)
	v_sub_nc_u32_e32 v20, v20, v22
	v_lshrrev_b32_e32 v23, v27, v23
	s_delay_alu instid0(VALU_DEP_2) | instskip(NEXT) | instid1(VALU_DEP_2)
	v_mul_lo_u32 v20, v20, v32
	v_mul_hi_u32 v24, v29, v23
	s_delay_alu instid0(VALU_DEP_2) | instskip(NEXT) | instid1(VALU_DEP_2)
	v_add3_u32 v9, v19, v9, v20
	v_add_nc_u32_e32 v24, v23, v24
	s_delay_alu instid0(VALU_DEP_1) | instskip(SKIP_1) | instid1(VALU_DEP_2)
	v_lshrrev_b32_e32 v18, v30, v24
	v_mul_lo_u32 v24, v23, v25
	v_mul_lo_u32 v25, v18, v28
	s_delay_alu instid0(VALU_DEP_2) | instskip(NEXT) | instid1(VALU_DEP_2)
	v_sub_nc_u32_e32 v21, v21, v24
	v_sub_nc_u32_e32 v22, v23, v25
	s_delay_alu instid0(VALU_DEP_2) | instskip(NEXT) | instid1(VALU_DEP_2)
	v_mul_lo_u32 v21, v21, v33
	v_mul_lo_u32 v22, v22, v34
	s_delay_alu instid0(VALU_DEP_1)
	v_add3_u32 v9, v21, v9, v22
	s_and_not1_b32 exec_lo, exec_lo, s11
	s_cbranch_execnz .LBB541_8
; %bb.9:                                ;   in Loop: Header=BB541_4 Depth=1
	s_or_b32 exec_lo, exec_lo, s11
	v_mov_b32_e32 v20, v0
.LBB541_10:                             ;   in Loop: Header=BB541_4 Depth=1
	s_or_b32 exec_lo, exec_lo, s10
	s_and_saveexec_b32 s10, s4
	s_cbranch_execz .LBB541_14
; %bb.11:                               ;   in Loop: Header=BB541_4 Depth=1
	s_delay_alu instid0(VALU_DEP_1)
	v_lshl_add_u32 v19, v20, 2, v13
	v_mad_u32_u24 v20, v20, 12, 0
	v_mov_b32_e32 v21, v14
	s_mov_b32 s11, 0
	.p2align	6
.LBB541_12:                             ;   Parent Loop BB541_4 Depth=1
                                        ; =>  This Inner Loop Header: Depth=2
	s_delay_alu instid0(VALU_DEP_1) | instskip(NEXT) | instid1(VALU_DEP_2)
	v_add_nc_u32_e32 v22, 32, v20
	v_add_nc_u32_e32 v21, -1, v21
	scratch_load_b96 v[22:24], v22, off
	scratch_load_b32 v25, v19, off
	v_cmp_eq_u32_e64 s5, 0, v21
	v_add_nc_u32_e32 v19, 4, v19
	s_delay_alu instid0(VALU_DEP_2) | instskip(SKIP_2) | instid1(VALU_DEP_1)
	s_or_b32 s11, s5, s11
	s_waitcnt vmcnt(1)
	v_mul_hi_u32 v23, v23, v18
	v_add_nc_u32_e32 v23, v18, v23
	s_delay_alu instid0(VALU_DEP_1) | instskip(NEXT) | instid1(VALU_DEP_1)
	v_lshrrev_b32_e32 v24, v24, v23
	v_mul_lo_u32 v22, v24, v22
	s_delay_alu instid0(VALU_DEP_1) | instskip(SKIP_1) | instid1(VALU_DEP_1)
	v_sub_nc_u32_e32 v18, v18, v22
	s_waitcnt vmcnt(0)
	v_mad_u64_u32 v[22:23], null, v18, v25, v[9:10]
	v_mov_b32_e32 v18, v24
	s_delay_alu instid0(VALU_DEP_2)
	v_dual_mov_b32 v9, v22 :: v_dual_add_nc_u32 v20, 12, v20
	s_and_not1_b32 exec_lo, exec_lo, s11
	s_cbranch_execnz .LBB541_12
; %bb.13:                               ;   in Loop: Header=BB541_4 Depth=1
	s_or_b32 exec_lo, exec_lo, s11
.LBB541_14:                             ;   in Loop: Header=BB541_4 Depth=1
	s_delay_alu instid0(SALU_CYCLE_1)
	s_or_b32 exec_lo, exec_lo, s10
.LBB541_15:                             ;   in Loop: Header=BB541_4 Depth=1
	s_delay_alu instid0(SALU_CYCLE_1)
	s_or_b32 exec_lo, exec_lo, s9
                                        ; implicit-def: $vgpr18
.LBB541_16:                             ;   in Loop: Header=BB541_4 Depth=1
	s_and_not1_saveexec_b32 s5, s8
	s_cbranch_execz .LBB541_3
; %bb.17:                               ;   in Loop: Header=BB541_4 Depth=1
	v_mul_hi_u32 v9, v18, v2
	s_delay_alu instid0(VALU_DEP_1) | instskip(NEXT) | instid1(VALU_DEP_1)
	v_add_nc_u32_e32 v9, v18, v9
	v_lshrrev_b32_e32 v19, v3, v9
	s_delay_alu instid0(VALU_DEP_1) | instskip(NEXT) | instid1(VALU_DEP_1)
	v_mul_lo_u32 v9, v19, v1
	v_sub_nc_u32_e32 v9, v18, v9
	s_waitcnt vmcnt(1)
	s_delay_alu instid0(VALU_DEP_1)
	v_mul_lo_u32 v9, v9, v7
	s_and_saveexec_b32 s8, s1
	s_cbranch_execz .LBB541_2
; %bb.18:                               ;   in Loop: Header=BB541_4 Depth=1
	s_waitcnt vmcnt(0)
	v_mul_hi_u32 v18, v19, v5
	s_delay_alu instid0(VALU_DEP_1) | instskip(NEXT) | instid1(VALU_DEP_1)
	v_add_nc_u32_e32 v18, v19, v18
	v_lshrrev_b32_e32 v18, v6, v18
	s_delay_alu instid0(VALU_DEP_1) | instskip(NEXT) | instid1(VALU_DEP_1)
	v_mul_lo_u32 v18, v18, v4
	v_sub_nc_u32_e32 v20, v19, v18
	s_delay_alu instid0(VALU_DEP_1) | instskip(NEXT) | instid1(VALU_DEP_1)
	v_mad_u64_u32 v[18:19], null, v20, v8, v[9:10]
	v_mov_b32_e32 v9, v18
	s_branch .LBB541_2
.LBB541_19:
	s_or_b32 exec_lo, exec_lo, s12
	ds_load_b32 v0, v11
	s_waitcnt lgkmcnt(0)
	v_frexp_exp_i32_f32_e32 v1, v0
	v_frexp_mant_f32_e32 v0, v0
	ds_store_b64 v16, v[0:1]
.LBB541_20:
	s_or_b32 exec_lo, exec_lo, s6
	v_or_b32_e32 v0, 0x100, v15
	s_mov_b32 s1, exec_lo
	s_delay_alu instid0(VALU_DEP_1)
	v_cmpx_gt_i32_e64 s52, v0
	s_cbranch_execz .LBB541_22
; %bb.21:
	ds_load_b32 v0, v11 offset:4
	s_waitcnt lgkmcnt(0)
	v_frexp_exp_i32_f32_e32 v1, v0
	v_frexp_mant_f32_e32 v0, v0
	ds_store_b64 v16, v[0:1] offset:8
.LBB541_22:
	s_or_b32 exec_lo, exec_lo, s1
	v_or_b32_e32 v0, 0x200, v15
	s_mov_b32 s1, exec_lo
	s_delay_alu instid0(VALU_DEP_1)
	v_cmpx_gt_i32_e64 s52, v0
	s_cbranch_execz .LBB541_24
; %bb.23:
	ds_load_b32 v0, v11 offset:8
	s_waitcnt lgkmcnt(0)
	v_frexp_exp_i32_f32_e32 v1, v0
	v_frexp_mant_f32_e32 v0, v0
	ds_store_b64 v16, v[0:1] offset:16
.LBB541_24:
	;; [unrolled: 13-line block ×3, first 2 shown]
	s_or_b32 exec_lo, exec_lo, s1
	s_and_saveexec_b32 s0, vcc_lo
	s_delay_alu instid0(SALU_CYCLE_1)
	s_xor_b32 s0, exec_lo, s0
	s_cbranch_execz .LBB541_45
; %bb.27:
	s_clause 0x2
	scratch_load_b128 v[0:3], off, off offset:288
	scratch_load_b128 v[4:7], off, off offset:484
	scratch_load_b96 v[8:10], off, off offset:304
	s_mov_b32 s6, 0
	s_movk_i32 s7, 0x124
	s_movk_i32 s8, 0x1e4
	s_mov_b32 s5, 0
	s_waitcnt vmcnt(2)
	v_dual_mov_b32 v18, 0 :: v_dual_add_nc_u32 v11, -1, v0
	v_cmp_ne_u32_e32 vcc_lo, 0, v0
	v_cmp_lt_u32_e64 s0, 1, v0
	s_delay_alu instid0(VALU_DEP_3) | instskip(NEXT) | instid1(VALU_DEP_1)
	v_min_u32_e32 v12, 15, v11
	v_dual_mov_b32 v12, 0 :: v_dual_add_nc_u32 v13, 1, v12
	v_cmp_lt_u32_e64 s1, 1, v11
	v_cmp_ne_u32_e64 s2, 2, v11
	s_delay_alu instid0(VALU_DEP_3) | instskip(SKIP_1) | instid1(VALU_DEP_2)
	v_and_b32_e32 v17, 3, v13
	v_and_b32_e32 v0, 28, v13
	v_cmp_ne_u32_e64 s3, 0, v17
	s_branch .LBB541_30
.LBB541_28:                             ;   in Loop: Header=BB541_30 Depth=1
	s_or_b32 exec_lo, exec_lo, s9
.LBB541_29:                             ;   in Loop: Header=BB541_30 Depth=1
	s_delay_alu instid0(SALU_CYCLE_1)
	s_or_b32 exec_lo, exec_lo, s4
	v_lshl_add_u32 v21, s5, 3, v16
	v_dual_mov_b32 v14, v12 :: v_dual_add_nc_u32 v15, 0x100, v15
	v_lshlrev_b64 v[19:20], 2, v[11:12]
	s_add_i32 s9, s5, 1
	ds_load_b64 v[21:22], v21
	v_lshlrev_b64 v[13:14], 2, v[13:14]
	v_cmp_le_i32_e64 s4, s52, v15
	s_cmp_gt_u32 s5, 2
	v_add_co_u32 v19, s5, s28, v19
	s_cselect_b32 s10, -1, 0
	v_add_co_ci_u32_e64 v20, s5, s29, v20, s5
	s_or_b32 s5, s10, s4
	v_add_co_u32 v13, s4, s30, v13
	s_delay_alu instid0(VALU_DEP_1)
	v_add_co_ci_u32_e64 v14, s4, s31, v14, s4
	s_and_b32 s4, exec_lo, s5
	s_mov_b32 s5, s9
	s_or_b32 s6, s4, s6
	s_waitcnt lgkmcnt(0)
	global_store_b32 v[19:20], v21, off
	global_store_b32 v[13:14], v22, off
	s_and_not1_b32 exec_lo, exec_lo, s6
	s_cbranch_execz .LBB541_45
.LBB541_30:                             ; =>This Loop Header: Depth=1
                                        ;     Child Loop BB541_34 Depth 2
                                        ;     Child Loop BB541_38 Depth 2
	v_add_nc_u32_e32 v14, s33, v15
                                        ; implicit-def: $vgpr13
	s_and_saveexec_b32 s4, s1
	s_delay_alu instid0(SALU_CYCLE_1)
	s_xor_b32 s9, exec_lo, s4
	s_cbranch_execz .LBB541_42
; %bb.31:                               ;   in Loop: Header=BB541_30 Depth=1
	v_mov_b32_e32 v11, 0
	v_mov_b32_e32 v13, 0
	s_and_saveexec_b32 s10, vcc_lo
	s_cbranch_execz .LBB541_41
; %bb.32:                               ;   in Loop: Header=BB541_30 Depth=1
	v_dual_mov_b32 v20, 0 :: v_dual_mov_b32 v11, 0
	v_mov_b32_e32 v13, 0
	s_mov_b32 s12, 0
	s_and_saveexec_b32 s11, s2
	s_cbranch_execz .LBB541_36
; %bb.33:                               ;   in Loop: Header=BB541_30 Depth=1
	v_mov_b32_e32 v13, 0
	s_mov_b32 s13, 0
	s_mov_b32 s14, 0
	;; [unrolled: 1-line block ×3, first 2 shown]
	s_delay_alu instid0(VALU_DEP_1)
	v_mov_b32_e32 v11, v13
.LBB541_34:                             ;   Parent Loop BB541_30 Depth=1
                                        ; =>  This Inner Loop Header: Depth=2
	v_readfirstlane_b32 s4, v18
	v_add_nc_u32_e64 v35, s14, 0
	s_add_i32 s15, s15, 4
	s_add_i32 s14, s14, 32
	s_delay_alu instid0(VALU_DEP_2) | instskip(NEXT) | instid1(VALU_DEP_1)
	s_add_i32 s4, s4, s13
	v_add_nc_u32_e32 v31, 0x1e4, v35
	s_add_i32 s16, s4, 0x124
	v_add_nc_u32_e32 v35, 0x1f4, v35
	scratch_load_b128 v[19:22], off, s16
	s_add_i32 s16, s4, 0x134
	s_addk_i32 s4, 0x144
	s_clause 0x3
	scratch_load_b128 v[23:26], off, s16
	scratch_load_b128 v[27:30], off, s4
	scratch_load_b128 v[31:34], v31, off
	scratch_load_b128 v[35:38], v35, off
	v_cmp_eq_u32_e64 s4, s15, v0
	s_add_i32 s13, s13, 48
	s_delay_alu instid0(VALU_DEP_1) | instskip(SKIP_2) | instid1(VALU_DEP_1)
	s_or_b32 s12, s4, s12
	s_waitcnt vmcnt(4)
	v_mul_hi_u32 v20, v20, v14
	v_add_nc_u32_e32 v20, v14, v20
	s_delay_alu instid0(VALU_DEP_1) | instskip(SKIP_1) | instid1(VALU_DEP_1)
	v_lshrrev_b32_e32 v20, v21, v20
	s_waitcnt vmcnt(3)
	v_mul_hi_u32 v21, v23, v20
	v_mul_lo_u32 v19, v20, v19
	s_delay_alu instid0(VALU_DEP_2) | instskip(NEXT) | instid1(VALU_DEP_2)
	v_add_nc_u32_e32 v21, v20, v21
	v_sub_nc_u32_e32 v14, v14, v19
	s_delay_alu instid0(VALU_DEP_2) | instskip(SKIP_1) | instid1(VALU_DEP_2)
	v_lshrrev_b32_e32 v21, v24, v21
	s_waitcnt vmcnt(1)
	v_mul_lo_u32 v19, v14, v31
	s_delay_alu instid0(VALU_DEP_2) | instskip(SKIP_2) | instid1(VALU_DEP_3)
	v_mul_hi_u32 v23, v26, v21
	v_mul_lo_u32 v26, v14, v32
	v_mul_lo_u32 v22, v21, v22
	v_add_nc_u32_e32 v23, v21, v23
	s_delay_alu instid0(VALU_DEP_2) | instskip(NEXT) | instid1(VALU_DEP_2)
	v_sub_nc_u32_e32 v20, v20, v22
	v_lshrrev_b32_e32 v23, v27, v23
	s_delay_alu instid0(VALU_DEP_2) | instskip(SKIP_1) | instid1(VALU_DEP_3)
	v_mul_lo_u32 v22, v20, v33
	v_mul_lo_u32 v20, v20, v34
	v_mul_hi_u32 v24, v29, v23
	s_delay_alu instid0(VALU_DEP_3) | instskip(NEXT) | instid1(VALU_DEP_3)
	v_add3_u32 v11, v19, v11, v22
	v_add3_u32 v13, v26, v13, v20
	s_delay_alu instid0(VALU_DEP_3) | instskip(SKIP_1) | instid1(VALU_DEP_2)
	v_add_nc_u32_e32 v14, v23, v24
	v_mul_lo_u32 v24, v23, v25
	v_lshrrev_b32_e32 v14, v30, v14
	s_delay_alu instid0(VALU_DEP_2) | instskip(NEXT) | instid1(VALU_DEP_2)
	v_sub_nc_u32_e32 v21, v21, v24
	v_mul_lo_u32 v25, v14, v28
	s_waitcnt vmcnt(0)
	s_delay_alu instid0(VALU_DEP_2) | instskip(SKIP_1) | instid1(VALU_DEP_3)
	v_mul_lo_u32 v24, v21, v35
	v_mul_lo_u32 v21, v21, v36
	v_sub_nc_u32_e32 v23, v23, v25
	s_delay_alu instid0(VALU_DEP_1) | instskip(SKIP_1) | instid1(VALU_DEP_2)
	v_mul_lo_u32 v25, v23, v37
	v_mul_lo_u32 v23, v23, v38
	v_add3_u32 v11, v24, v11, v25
	s_delay_alu instid0(VALU_DEP_2)
	v_add3_u32 v13, v21, v13, v23
	s_and_not1_b32 exec_lo, exec_lo, s12
	s_cbranch_execnz .LBB541_34
; %bb.35:                               ;   in Loop: Header=BB541_30 Depth=1
	s_or_b32 exec_lo, exec_lo, s12
	v_mov_b32_e32 v20, v0
.LBB541_36:                             ;   in Loop: Header=BB541_30 Depth=1
	s_or_b32 exec_lo, exec_lo, s11
	s_and_saveexec_b32 s11, s3
	s_cbranch_execz .LBB541_40
; %bb.37:                               ;   in Loop: Header=BB541_30 Depth=1
	s_delay_alu instid0(VALU_DEP_1)
	v_lshlrev_b32_e32 v19, 3, v20
	v_mul_u32_u24_e32 v20, 12, v20
	v_mov_b32_e32 v21, v17
	s_mov_b32 s12, 0
	.p2align	6
.LBB541_38:                             ;   Parent Loop BB541_30 Depth=1
                                        ; =>  This Inner Loop Header: Depth=2
	s_delay_alu instid0(VALU_DEP_2) | instskip(SKIP_1) | instid1(VALU_DEP_3)
	v_add3_u32 v22, 0, v20, s7
	v_add3_u32 v25, 0, v19, s8
	v_add_nc_u32_e32 v21, -1, v21
	v_add_nc_u32_e32 v19, 8, v19
	s_clause 0x1
	scratch_load_b96 v[22:24], v22, off
	scratch_load_b64 v[25:26], v25, off
	v_cmp_eq_u32_e64 s4, 0, v21
	s_delay_alu instid0(VALU_DEP_1) | instskip(SKIP_2) | instid1(VALU_DEP_1)
	s_or_b32 s12, s4, s12
	s_waitcnt vmcnt(1)
	v_mul_hi_u32 v23, v23, v14
	v_add_nc_u32_e32 v23, v14, v23
	s_delay_alu instid0(VALU_DEP_1) | instskip(NEXT) | instid1(VALU_DEP_1)
	v_lshrrev_b32_e32 v27, v24, v23
	v_mul_lo_u32 v22, v27, v22
	s_delay_alu instid0(VALU_DEP_1) | instskip(SKIP_1) | instid1(VALU_DEP_1)
	v_sub_nc_u32_e32 v14, v14, v22
	s_waitcnt vmcnt(0)
	v_mad_u64_u32 v[22:23], null, v14, v25, v[11:12]
	v_mad_u64_u32 v[23:24], null, v14, v26, v[13:14]
	v_mov_b32_e32 v14, v27
	s_delay_alu instid0(VALU_DEP_3) | instskip(NEXT) | instid1(VALU_DEP_3)
	v_dual_mov_b32 v11, v22 :: v_dual_add_nc_u32 v20, 12, v20
	v_mov_b32_e32 v13, v23
	s_and_not1_b32 exec_lo, exec_lo, s12
	s_cbranch_execnz .LBB541_38
; %bb.39:                               ;   in Loop: Header=BB541_30 Depth=1
	s_or_b32 exec_lo, exec_lo, s12
.LBB541_40:                             ;   in Loop: Header=BB541_30 Depth=1
	s_delay_alu instid0(SALU_CYCLE_1)
	s_or_b32 exec_lo, exec_lo, s11
.LBB541_41:                             ;   in Loop: Header=BB541_30 Depth=1
	s_delay_alu instid0(SALU_CYCLE_1)
	s_or_b32 exec_lo, exec_lo, s10
                                        ; implicit-def: $vgpr14
.LBB541_42:                             ;   in Loop: Header=BB541_30 Depth=1
	s_and_not1_saveexec_b32 s4, s9
	s_cbranch_execz .LBB541_29
; %bb.43:                               ;   in Loop: Header=BB541_30 Depth=1
	v_mul_hi_u32 v11, v14, v2
	s_delay_alu instid0(VALU_DEP_1) | instskip(NEXT) | instid1(VALU_DEP_1)
	v_add_nc_u32_e32 v11, v14, v11
	v_lshrrev_b32_e32 v19, v3, v11
	s_delay_alu instid0(VALU_DEP_1) | instskip(NEXT) | instid1(VALU_DEP_1)
	v_mul_lo_u32 v11, v19, v1
	v_sub_nc_u32_e32 v13, v14, v11
	s_waitcnt vmcnt(1)
	s_delay_alu instid0(VALU_DEP_1)
	v_mul_lo_u32 v11, v13, v4
	v_mul_lo_u32 v13, v13, v5
	s_and_saveexec_b32 s9, s0
	s_cbranch_execz .LBB541_28
; %bb.44:                               ;   in Loop: Header=BB541_30 Depth=1
	s_waitcnt vmcnt(0)
	v_mul_hi_u32 v14, v19, v9
	s_delay_alu instid0(VALU_DEP_1) | instskip(NEXT) | instid1(VALU_DEP_1)
	v_add_nc_u32_e32 v14, v19, v14
	v_lshrrev_b32_e32 v14, v10, v14
	s_delay_alu instid0(VALU_DEP_1) | instskip(NEXT) | instid1(VALU_DEP_1)
	v_mul_lo_u32 v14, v14, v8
	v_sub_nc_u32_e32 v14, v19, v14
	s_delay_alu instid0(VALU_DEP_1) | instskip(SKIP_1) | instid1(VALU_DEP_2)
	v_mad_u64_u32 v[19:20], null, v14, v6, v[11:12]
	v_mad_u64_u32 v[20:21], null, v14, v7, v[13:14]
	v_mov_b32_e32 v11, v19
	s_delay_alu instid0(VALU_DEP_2)
	v_mov_b32_e32 v13, v20
	s_branch .LBB541_28
.LBB541_45:
	s_endpgm
	.section	.rodata,"a",@progbits
	.p2align	6, 0x0
	.amdhsa_kernel _ZN2at6native12_GLOBAL__N_145unrolled_elementwise_kernel_for_multi_outputsILi2EZZZNS0_17frexp_kernel_cudaERNS_18TensorIteratorBaseEENKUlvE_clEvENKUlvE0_clEvEUlfE_St5arrayIPcLm3EE16OffsetCalculatorILi1EjLb0EESB_ILi2EjLb0EEEEviT0_T1_T2_T3_
		.amdhsa_group_segment_fixed_size 12288
		.amdhsa_private_segment_fixed_size 624
		.amdhsa_kernarg_size 616
		.amdhsa_user_sgpr_count 15
		.amdhsa_user_sgpr_dispatch_ptr 1
		.amdhsa_user_sgpr_queue_ptr 0
		.amdhsa_user_sgpr_kernarg_segment_ptr 1
		.amdhsa_user_sgpr_dispatch_id 0
		.amdhsa_user_sgpr_private_segment_size 0
		.amdhsa_wavefront_size32 1
		.amdhsa_uses_dynamic_stack 0
		.amdhsa_enable_private_segment 1
		.amdhsa_system_sgpr_workgroup_id_x 1
		.amdhsa_system_sgpr_workgroup_id_y 0
		.amdhsa_system_sgpr_workgroup_id_z 0
		.amdhsa_system_sgpr_workgroup_info 0
		.amdhsa_system_vgpr_workitem_id 2
		.amdhsa_next_free_vgpr 41
		.amdhsa_next_free_sgpr 80
		.amdhsa_reserve_vcc 1
		.amdhsa_float_round_mode_32 0
		.amdhsa_float_round_mode_16_64 0
		.amdhsa_float_denorm_mode_32 3
		.amdhsa_float_denorm_mode_16_64 3
		.amdhsa_dx10_clamp 1
		.amdhsa_ieee_mode 1
		.amdhsa_fp16_overflow 0
		.amdhsa_workgroup_processor_mode 1
		.amdhsa_memory_ordered 1
		.amdhsa_forward_progress 0
		.amdhsa_shared_vgpr_count 0
		.amdhsa_exception_fp_ieee_invalid_op 0
		.amdhsa_exception_fp_denorm_src 0
		.amdhsa_exception_fp_ieee_div_zero 0
		.amdhsa_exception_fp_ieee_overflow 0
		.amdhsa_exception_fp_ieee_underflow 0
		.amdhsa_exception_fp_ieee_inexact 0
		.amdhsa_exception_int_div_zero 0
	.end_amdhsa_kernel
	.section	.text._ZN2at6native12_GLOBAL__N_145unrolled_elementwise_kernel_for_multi_outputsILi2EZZZNS0_17frexp_kernel_cudaERNS_18TensorIteratorBaseEENKUlvE_clEvENKUlvE0_clEvEUlfE_St5arrayIPcLm3EE16OffsetCalculatorILi1EjLb0EESB_ILi2EjLb0EEEEviT0_T1_T2_T3_,"axG",@progbits,_ZN2at6native12_GLOBAL__N_145unrolled_elementwise_kernel_for_multi_outputsILi2EZZZNS0_17frexp_kernel_cudaERNS_18TensorIteratorBaseEENKUlvE_clEvENKUlvE0_clEvEUlfE_St5arrayIPcLm3EE16OffsetCalculatorILi1EjLb0EESB_ILi2EjLb0EEEEviT0_T1_T2_T3_,comdat
.Lfunc_end541:
	.size	_ZN2at6native12_GLOBAL__N_145unrolled_elementwise_kernel_for_multi_outputsILi2EZZZNS0_17frexp_kernel_cudaERNS_18TensorIteratorBaseEENKUlvE_clEvENKUlvE0_clEvEUlfE_St5arrayIPcLm3EE16OffsetCalculatorILi1EjLb0EESB_ILi2EjLb0EEEEviT0_T1_T2_T3_, .Lfunc_end541-_ZN2at6native12_GLOBAL__N_145unrolled_elementwise_kernel_for_multi_outputsILi2EZZZNS0_17frexp_kernel_cudaERNS_18TensorIteratorBaseEENKUlvE_clEvENKUlvE0_clEvEUlfE_St5arrayIPcLm3EE16OffsetCalculatorILi1EjLb0EESB_ILi2EjLb0EEEEviT0_T1_T2_T3_
                                        ; -- End function
	.section	.AMDGPU.csdata,"",@progbits
; Kernel info:
; codeLenInByte = 3628
; NumSgprs: 82
; NumVgprs: 41
; ScratchSize: 624
; MemoryBound: 0
; FloatMode: 240
; IeeeMode: 1
; LDSByteSize: 12288 bytes/workgroup (compile time only)
; SGPRBlocks: 10
; VGPRBlocks: 5
; NumSGPRsForWavesPerEU: 82
; NumVGPRsForWavesPerEU: 41
; Occupancy: 16
; WaveLimiterHint : 1
; COMPUTE_PGM_RSRC2:SCRATCH_EN: 1
; COMPUTE_PGM_RSRC2:USER_SGPR: 15
; COMPUTE_PGM_RSRC2:TRAP_HANDLER: 0
; COMPUTE_PGM_RSRC2:TGID_X_EN: 1
; COMPUTE_PGM_RSRC2:TGID_Y_EN: 0
; COMPUTE_PGM_RSRC2:TGID_Z_EN: 0
; COMPUTE_PGM_RSRC2:TIDIG_COMP_CNT: 2
	.section	.text._ZN2at6native12_GLOBAL__N_145unrolled_elementwise_kernel_for_multi_outputsILi2EZZZNS0_17frexp_kernel_cudaERNS_18TensorIteratorBaseEENKUlvE_clEvENKUlvE1_clEvEUlN3c104HalfEE_St5arrayIPcLm3EE23TrivialOffsetCalculatorILi1EjESD_ILi2EjEEEviT0_T1_T2_T3_,"axG",@progbits,_ZN2at6native12_GLOBAL__N_145unrolled_elementwise_kernel_for_multi_outputsILi2EZZZNS0_17frexp_kernel_cudaERNS_18TensorIteratorBaseEENKUlvE_clEvENKUlvE1_clEvEUlN3c104HalfEE_St5arrayIPcLm3EE23TrivialOffsetCalculatorILi1EjESD_ILi2EjEEEviT0_T1_T2_T3_,comdat
	.globl	_ZN2at6native12_GLOBAL__N_145unrolled_elementwise_kernel_for_multi_outputsILi2EZZZNS0_17frexp_kernel_cudaERNS_18TensorIteratorBaseEENKUlvE_clEvENKUlvE1_clEvEUlN3c104HalfEE_St5arrayIPcLm3EE23TrivialOffsetCalculatorILi1EjESD_ILi2EjEEEviT0_T1_T2_T3_ ; -- Begin function _ZN2at6native12_GLOBAL__N_145unrolled_elementwise_kernel_for_multi_outputsILi2EZZZNS0_17frexp_kernel_cudaERNS_18TensorIteratorBaseEENKUlvE_clEvENKUlvE1_clEvEUlN3c104HalfEE_St5arrayIPcLm3EE23TrivialOffsetCalculatorILi1EjESD_ILi2EjEEEviT0_T1_T2_T3_
	.p2align	8
	.type	_ZN2at6native12_GLOBAL__N_145unrolled_elementwise_kernel_for_multi_outputsILi2EZZZNS0_17frexp_kernel_cudaERNS_18TensorIteratorBaseEENKUlvE_clEvENKUlvE1_clEvEUlN3c104HalfEE_St5arrayIPcLm3EE23TrivialOffsetCalculatorILi1EjESD_ILi2EjEEEviT0_T1_T2_T3_,@function
_ZN2at6native12_GLOBAL__N_145unrolled_elementwise_kernel_for_multi_outputsILi2EZZZNS0_17frexp_kernel_cudaERNS_18TensorIteratorBaseEENKUlvE_clEvENKUlvE1_clEvEUlN3c104HalfEE_St5arrayIPcLm3EE23TrivialOffsetCalculatorILi1EjESD_ILi2EjEEEviT0_T1_T2_T3_: ; @_ZN2at6native12_GLOBAL__N_145unrolled_elementwise_kernel_for_multi_outputsILi2EZZZNS0_17frexp_kernel_cudaERNS_18TensorIteratorBaseEENKUlvE_clEvENKUlvE1_clEvEUlN3c104HalfEE_St5arrayIPcLm3EE23TrivialOffsetCalculatorILi1EjESD_ILi2EjEEEviT0_T1_T2_T3_
; %bb.0:
	s_load_b64 s[0:1], s[0:1], 0x4
	s_load_b32 s8, s[2:3], 0x0
	v_and_b32_e32 v2, 0x3ff, v0
	v_bfe_u32 v1, v0, 10, 10
	v_bfe_u32 v0, v0, 20, 10
	s_clause 0x1
	s_load_b128 s[4:7], s[2:3], 0x8
	s_load_b64 s[2:3], s[2:3], 0x18
	s_mov_b32 s9, 0
	s_waitcnt lgkmcnt(0)
	s_lshr_b32 s0, s0, 16
	v_mul_u32_u24_e32 v1, s1, v1
	s_mul_i32 s0, s0, s1
	s_lshl_b32 s1, s15, 10
	v_mul_lo_u32 v3, s0, v2
	s_sub_i32 s8, s8, s1
	s_delay_alu instid0(VALU_DEP_1) | instskip(SKIP_2) | instid1(VALU_DEP_3)
	v_add3_u32 v0, v3, v1, v0
	v_mov_b32_e32 v1, 0
	v_cmp_gt_i32_e32 vcc_lo, s8, v2
	v_lshlrev_b32_e32 v5, 5, v0
	v_lshlrev_b32_e32 v4, 3, v0
	s_delay_alu instid0(VALU_DEP_2)
	v_add_nc_u32_e32 v3, 0x800, v5
	v_add_nc_u32_e32 v0, 0x800, v5
	ds_store_b16 v5, v1 offset:2048
	ds_store_b16 v5, v1 offset:2056
	;; [unrolled: 1-line block ×4, first 2 shown]
	ds_store_2addr_b32 v0, v1, v1 offset0:1 offset1:3
	ds_store_2addr_b32 v0, v1, v1 offset0:5 offset1:7
	ds_store_2addr_b32 v4, v1, v1 offset1:1
	s_and_saveexec_b32 s10, vcc_lo
	s_cbranch_execz .LBB542_4
; %bb.1:
	v_dual_mov_b32 v5, v4 :: v_dual_mov_b32 v6, v2
	s_mov_b32 s11, 0
	.p2align	6
.LBB542_2:                              ; =>This Inner Loop Header: Depth=1
	s_delay_alu instid0(VALU_DEP_1)
	v_add_nc_u32_e32 v0, s1, v6
	v_add_nc_u32_e32 v6, 0x100, v6
	s_add_i32 s12, s11, 1
	s_cmp_gt_u32 s11, 2
	s_cselect_b32 s11, -1, 0
	v_lshlrev_b64 v[7:8], 1, v[0:1]
	s_delay_alu instid0(VALU_DEP_1) | instskip(NEXT) | instid1(VALU_DEP_1)
	v_add_co_u32 v7, s0, s2, v7
	v_add_co_ci_u32_e64 v8, s0, s3, v8, s0
	v_cmp_le_i32_e64 s0, s8, v6
	global_load_u16 v0, v[7:8], off
	s_or_b32 s0, s11, s0
	s_mov_b32 s11, s12
	s_and_b32 s0, exec_lo, s0
	s_delay_alu instid0(SALU_CYCLE_1)
	s_or_b32 s9, s0, s9
	s_waitcnt vmcnt(0)
	ds_store_b16 v5, v0
	v_add_nc_u32_e32 v5, 2, v5
	s_and_not1_b32 exec_lo, exec_lo, s9
	s_cbranch_execnz .LBB542_2
; %bb.3:
	s_or_b32 exec_lo, exec_lo, s9
	ds_load_u16 v0, v4
	s_waitcnt lgkmcnt(0)
	v_cvt_f32_f16_e32 v0, v0
	s_delay_alu instid0(VALU_DEP_1) | instskip(SKIP_1) | instid1(VALU_DEP_2)
	v_frexp_mant_f32_e32 v1, v0
	v_frexp_exp_i32_f32_e32 v0, v0
	v_cvt_f16_f32_e32 v1, v1
	ds_store_b16 v3, v1
	ds_store_b32 v3, v0 offset:4
.LBB542_4:
	s_or_b32 exec_lo, exec_lo, s10
	v_or_b32_e32 v0, 0x100, v2
	s_mov_b32 s2, exec_lo
	s_delay_alu instid0(VALU_DEP_1)
	v_cmpx_gt_i32_e64 s8, v0
	s_cbranch_execz .LBB542_6
; %bb.5:
	ds_load_u16 v0, v4 offset:2
	s_waitcnt lgkmcnt(0)
	v_cvt_f32_f16_e32 v0, v0
	s_delay_alu instid0(VALU_DEP_1) | instskip(SKIP_1) | instid1(VALU_DEP_2)
	v_frexp_mant_f32_e32 v1, v0
	v_frexp_exp_i32_f32_e32 v0, v0
	v_cvt_f16_f32_e32 v1, v1
	ds_store_b16 v3, v1 offset:8
	ds_store_b32 v3, v0 offset:12
.LBB542_6:
	s_or_b32 exec_lo, exec_lo, s2
	v_or_b32_e32 v0, 0x200, v2
	s_mov_b32 s2, exec_lo
	s_delay_alu instid0(VALU_DEP_1)
	v_cmpx_gt_i32_e64 s8, v0
	s_cbranch_execz .LBB542_8
; %bb.7:
	ds_load_u16 v0, v4 offset:4
	s_waitcnt lgkmcnt(0)
	v_cvt_f32_f16_e32 v0, v0
	s_delay_alu instid0(VALU_DEP_1) | instskip(SKIP_1) | instid1(VALU_DEP_2)
	v_frexp_mant_f32_e32 v1, v0
	v_frexp_exp_i32_f32_e32 v0, v0
	v_cvt_f16_f32_e32 v1, v1
	ds_store_b16 v3, v1 offset:16
	ds_store_b32 v3, v0 offset:20
.LBB542_8:
	;; [unrolled: 17-line block ×3, first 2 shown]
	s_or_b32 exec_lo, exec_lo, s2
	s_and_saveexec_b32 s0, vcc_lo
	s_delay_alu instid0(SALU_CYCLE_1)
	s_xor_b32 s0, exec_lo, s0
	s_cbranch_execz .LBB542_13
; %bb.11:
	v_mov_b32_e32 v1, 0
	s_mov_b32 s0, 0
	s_mov_b32 s2, 0
	.p2align	6
.LBB542_12:                             ; =>This Inner Loop Header: Depth=1
	v_add_nc_u32_e32 v0, s1, v2
	ds_load_b64 v[4:5], v3
	v_add_nc_u32_e32 v2, 0x100, v2
	s_add_i32 s3, s2, 1
	s_cmp_gt_u32 s2, 2
	v_lshlrev_b64 v[6:7], 1, v[0:1]
	v_lshlrev_b64 v[8:9], 2, v[0:1]
	v_cmp_le_i32_e32 vcc_lo, s8, v2
	s_cselect_b32 s2, -1, 0
	v_add_nc_u32_e32 v3, 8, v3
	s_or_b32 s2, s2, vcc_lo
	v_add_co_u32 v6, vcc_lo, s4, v6
	v_add_co_ci_u32_e32 v7, vcc_lo, s5, v7, vcc_lo
	v_add_co_u32 v8, vcc_lo, s6, v8
	v_add_co_ci_u32_e32 v9, vcc_lo, s7, v9, vcc_lo
	s_and_b32 s9, exec_lo, s2
	s_mov_b32 s2, s3
	s_or_b32 s0, s9, s0
	s_waitcnt lgkmcnt(0)
	global_store_b16 v[6:7], v4, off
	global_store_b32 v[8:9], v5, off
	s_and_not1_b32 exec_lo, exec_lo, s0
	s_cbranch_execnz .LBB542_12
.LBB542_13:
	s_nop 0
	s_sendmsg sendmsg(MSG_DEALLOC_VGPRS)
	s_endpgm
	.section	.rodata,"a",@progbits
	.p2align	6, 0x0
	.amdhsa_kernel _ZN2at6native12_GLOBAL__N_145unrolled_elementwise_kernel_for_multi_outputsILi2EZZZNS0_17frexp_kernel_cudaERNS_18TensorIteratorBaseEENKUlvE_clEvENKUlvE1_clEvEUlN3c104HalfEE_St5arrayIPcLm3EE23TrivialOffsetCalculatorILi1EjESD_ILi2EjEEEviT0_T1_T2_T3_
		.amdhsa_group_segment_fixed_size 10240
		.amdhsa_private_segment_fixed_size 0
		.amdhsa_kernarg_size 36
		.amdhsa_user_sgpr_count 15
		.amdhsa_user_sgpr_dispatch_ptr 1
		.amdhsa_user_sgpr_queue_ptr 0
		.amdhsa_user_sgpr_kernarg_segment_ptr 1
		.amdhsa_user_sgpr_dispatch_id 0
		.amdhsa_user_sgpr_private_segment_size 0
		.amdhsa_wavefront_size32 1
		.amdhsa_uses_dynamic_stack 0
		.amdhsa_enable_private_segment 0
		.amdhsa_system_sgpr_workgroup_id_x 1
		.amdhsa_system_sgpr_workgroup_id_y 0
		.amdhsa_system_sgpr_workgroup_id_z 0
		.amdhsa_system_sgpr_workgroup_info 0
		.amdhsa_system_vgpr_workitem_id 2
		.amdhsa_next_free_vgpr 10
		.amdhsa_next_free_sgpr 16
		.amdhsa_reserve_vcc 1
		.amdhsa_float_round_mode_32 0
		.amdhsa_float_round_mode_16_64 0
		.amdhsa_float_denorm_mode_32 3
		.amdhsa_float_denorm_mode_16_64 3
		.amdhsa_dx10_clamp 1
		.amdhsa_ieee_mode 1
		.amdhsa_fp16_overflow 0
		.amdhsa_workgroup_processor_mode 1
		.amdhsa_memory_ordered 1
		.amdhsa_forward_progress 0
		.amdhsa_shared_vgpr_count 0
		.amdhsa_exception_fp_ieee_invalid_op 0
		.amdhsa_exception_fp_denorm_src 0
		.amdhsa_exception_fp_ieee_div_zero 0
		.amdhsa_exception_fp_ieee_overflow 0
		.amdhsa_exception_fp_ieee_underflow 0
		.amdhsa_exception_fp_ieee_inexact 0
		.amdhsa_exception_int_div_zero 0
	.end_amdhsa_kernel
	.section	.text._ZN2at6native12_GLOBAL__N_145unrolled_elementwise_kernel_for_multi_outputsILi2EZZZNS0_17frexp_kernel_cudaERNS_18TensorIteratorBaseEENKUlvE_clEvENKUlvE1_clEvEUlN3c104HalfEE_St5arrayIPcLm3EE23TrivialOffsetCalculatorILi1EjESD_ILi2EjEEEviT0_T1_T2_T3_,"axG",@progbits,_ZN2at6native12_GLOBAL__N_145unrolled_elementwise_kernel_for_multi_outputsILi2EZZZNS0_17frexp_kernel_cudaERNS_18TensorIteratorBaseEENKUlvE_clEvENKUlvE1_clEvEUlN3c104HalfEE_St5arrayIPcLm3EE23TrivialOffsetCalculatorILi1EjESD_ILi2EjEEEviT0_T1_T2_T3_,comdat
.Lfunc_end542:
	.size	_ZN2at6native12_GLOBAL__N_145unrolled_elementwise_kernel_for_multi_outputsILi2EZZZNS0_17frexp_kernel_cudaERNS_18TensorIteratorBaseEENKUlvE_clEvENKUlvE1_clEvEUlN3c104HalfEE_St5arrayIPcLm3EE23TrivialOffsetCalculatorILi1EjESD_ILi2EjEEEviT0_T1_T2_T3_, .Lfunc_end542-_ZN2at6native12_GLOBAL__N_145unrolled_elementwise_kernel_for_multi_outputsILi2EZZZNS0_17frexp_kernel_cudaERNS_18TensorIteratorBaseEENKUlvE_clEvENKUlvE1_clEvEUlN3c104HalfEE_St5arrayIPcLm3EE23TrivialOffsetCalculatorILi1EjESD_ILi2EjEEEviT0_T1_T2_T3_
                                        ; -- End function
	.section	.AMDGPU.csdata,"",@progbits
; Kernel info:
; codeLenInByte = 796
; NumSgprs: 18
; NumVgprs: 10
; ScratchSize: 0
; MemoryBound: 0
; FloatMode: 240
; IeeeMode: 1
; LDSByteSize: 10240 bytes/workgroup (compile time only)
; SGPRBlocks: 2
; VGPRBlocks: 1
; NumSGPRsForWavesPerEU: 18
; NumVGPRsForWavesPerEU: 10
; Occupancy: 16
; WaveLimiterHint : 0
; COMPUTE_PGM_RSRC2:SCRATCH_EN: 0
; COMPUTE_PGM_RSRC2:USER_SGPR: 15
; COMPUTE_PGM_RSRC2:TRAP_HANDLER: 0
; COMPUTE_PGM_RSRC2:TGID_X_EN: 1
; COMPUTE_PGM_RSRC2:TGID_Y_EN: 0
; COMPUTE_PGM_RSRC2:TGID_Z_EN: 0
; COMPUTE_PGM_RSRC2:TIDIG_COMP_CNT: 2
	.section	.text._ZN2at6native12_GLOBAL__N_145unrolled_elementwise_kernel_for_multi_outputsILi2EZZZNS0_17frexp_kernel_cudaERNS_18TensorIteratorBaseEENKUlvE_clEvENKUlvE1_clEvEUlN3c104HalfEE_St5arrayIPcLm3EE16OffsetCalculatorILi1EjLb0EESD_ILi2EjLb0EEEEviT0_T1_T2_T3_,"axG",@progbits,_ZN2at6native12_GLOBAL__N_145unrolled_elementwise_kernel_for_multi_outputsILi2EZZZNS0_17frexp_kernel_cudaERNS_18TensorIteratorBaseEENKUlvE_clEvENKUlvE1_clEvEUlN3c104HalfEE_St5arrayIPcLm3EE16OffsetCalculatorILi1EjLb0EESD_ILi2EjLb0EEEEviT0_T1_T2_T3_,comdat
	.globl	_ZN2at6native12_GLOBAL__N_145unrolled_elementwise_kernel_for_multi_outputsILi2EZZZNS0_17frexp_kernel_cudaERNS_18TensorIteratorBaseEENKUlvE_clEvENKUlvE1_clEvEUlN3c104HalfEE_St5arrayIPcLm3EE16OffsetCalculatorILi1EjLb0EESD_ILi2EjLb0EEEEviT0_T1_T2_T3_ ; -- Begin function _ZN2at6native12_GLOBAL__N_145unrolled_elementwise_kernel_for_multi_outputsILi2EZZZNS0_17frexp_kernel_cudaERNS_18TensorIteratorBaseEENKUlvE_clEvENKUlvE1_clEvEUlN3c104HalfEE_St5arrayIPcLm3EE16OffsetCalculatorILi1EjLb0EESD_ILi2EjLb0EEEEviT0_T1_T2_T3_
	.p2align	8
	.type	_ZN2at6native12_GLOBAL__N_145unrolled_elementwise_kernel_for_multi_outputsILi2EZZZNS0_17frexp_kernel_cudaERNS_18TensorIteratorBaseEENKUlvE_clEvENKUlvE1_clEvEUlN3c104HalfEE_St5arrayIPcLm3EE16OffsetCalculatorILi1EjLb0EESD_ILi2EjLb0EEEEviT0_T1_T2_T3_,@function
_ZN2at6native12_GLOBAL__N_145unrolled_elementwise_kernel_for_multi_outputsILi2EZZZNS0_17frexp_kernel_cudaERNS_18TensorIteratorBaseEENKUlvE_clEvENKUlvE1_clEvEUlN3c104HalfEE_St5arrayIPcLm3EE16OffsetCalculatorILi1EjLb0EESD_ILi2EjLb0EEEEviT0_T1_T2_T3_: ; @_ZN2at6native12_GLOBAL__N_145unrolled_elementwise_kernel_for_multi_outputsILi2EZZZNS0_17frexp_kernel_cudaERNS_18TensorIteratorBaseEENKUlvE_clEvENKUlvE1_clEvEUlN3c104HalfEE_St5arrayIPcLm3EE16OffsetCalculatorILi1EjLb0EESD_ILi2EjLb0EEEEviT0_T1_T2_T3_
; %bb.0:
	s_load_b64 s[0:1], s[0:1], 0x4
	s_clause 0x6
	s_load_b32 s52, s[2:3], 0x0
	s_load_b256 s[4:11], s[2:3], 0x164
	s_load_b256 s[20:27], s[2:3], 0x184
	s_load_b128 s[28:31], s[2:3], 0x8
	s_load_b256 s[44:51], s[2:3], 0x1a4
	s_load_b64 s[34:35], s[2:3], 0x18
	s_load_b256 s[56:63], s[2:3], 0x1c4
	v_bfe_u32 v1, v0, 10, 10
	v_and_b32_e32 v15, 0x3ff, v0
	s_lshl_b32 s33, s15, 10
	s_clause 0x3
	s_load_b256 s[64:71], s[2:3], 0x1e4
	s_load_b256 s[72:79], s[2:3], 0x204
	;; [unrolled: 1-line block ×4, first 2 shown]
	v_bfe_u32 v12, v0, 20, 10
	s_load_b32 s53, s[2:3], 0x264
	s_waitcnt lgkmcnt(0)
	s_lshr_b32 s0, s0, 16
	v_mul_u32_u24_e32 v13, s1, v1
	v_mov_b32_e32 v0, s8
	s_mul_i32 s0, s0, s1
	v_dual_mov_b32 v3, s11 :: v_dual_mov_b32 v4, s20
	v_mul_lo_u32 v14, s0, v15
	v_dual_mov_b32 v7, s23 :: v_dual_mov_b32 v8, s24
	v_dual_mov_b32 v11, s27 :: v_dual_mov_b32 v16, s44
	;; [unrolled: 1-line block ×4, first 2 shown]
	v_add3_u32 v12, v14, v13, v12
	v_dual_mov_b32 v5, s21 :: v_dual_mov_b32 v6, s22
	v_dual_mov_b32 v9, s25 :: v_dual_mov_b32 v10, s26
	;; [unrolled: 1-line block ×8, first 2 shown]
	v_lshlrev_b32_e32 v13, 5, v12
	s_load_b256 s[20:27], s[2:3], 0x124
	v_dual_mov_b32 v25, s57 :: v_dual_mov_b32 v26, s58
	v_dual_mov_b32 v33, s65 :: v_dual_mov_b32 v34, s66
	;; [unrolled: 1-line block ×3, first 2 shown]
	s_load_b256 s[44:51], s[2:3], 0x144
	v_dual_mov_b32 v37, s69 :: v_dual_mov_b32 v38, s70
	s_clause 0x1
	scratch_store_b128 off, v[0:3], off offset:368
	scratch_store_b128 off, v[4:7], off offset:384
	v_dual_mov_b32 v0, s72 :: v_dual_mov_b32 v39, s71
	s_clause 0x3
	scratch_store_b128 off, v[8:11], off offset:400
	scratch_store_b128 off, v[16:19], off offset:416
	;; [unrolled: 1-line block ×4, first 2 shown]
	v_add_nc_u32_e32 v16, 0x800, v13
	v_dual_mov_b32 v2, s74 :: v_dual_lshlrev_b32 v11, 3, v12
	v_dual_mov_b32 v1, s73 :: v_dual_mov_b32 v4, s76
	v_dual_mov_b32 v3, s75 :: v_dual_mov_b32 v6, s78
	v_mov_b32_e32 v5, s77
	v_mov_b32_e32 v7, s79
	v_dual_mov_b32 v17, s36 :: v_dual_mov_b32 v18, s37
	v_dual_mov_b32 v19, s38 :: v_dual_mov_b32 v20, s39
	s_clause 0x5
	scratch_store_b128 off, v[28:31], off offset:464
	scratch_store_b128 off, v[32:35], off offset:480
	;; [unrolled: 1-line block ×6, first 2 shown]
	v_mov_b32_e32 v0, s40
	v_dual_mov_b32 v2, s42 :: v_dual_mov_b32 v1, s41
	v_dual_mov_b32 v4, s12 :: v_dual_mov_b32 v3, s43
	v_mov_b32_e32 v6, s14
	s_load_b256 s[36:43], s[2:3], 0x40
	v_dual_mov_b32 v5, s13 :: v_dual_mov_b32 v20, s19
	v_dual_mov_b32 v7, s15 :: v_dual_mov_b32 v18, s17
	;; [unrolled: 1-line block ×3, first 2 shown]
	v_mov_b32_e32 v17, s16
	s_load_b256 s[8:15], s[2:3], 0x20
	s_clause 0x3
	scratch_store_b128 off, v[0:3], off offset:560
	scratch_store_b128 off, v[4:7], off offset:576
	;; [unrolled: 1-line block ×3, first 2 shown]
	scratch_store_b32 off, v8, off offset:608
	s_waitcnt lgkmcnt(0)
	v_mov_b32_e32 v0, s24
	s_load_b256 s[56:63], s[2:3], 0x60
	v_dual_mov_b32 v1, s25 :: v_dual_mov_b32 v2, s26
	v_dual_mov_b32 v3, s27 :: v_dual_mov_b32 v4, s44
	s_load_b256 s[64:71], s[2:3], 0x80
	v_dual_mov_b32 v5, s45 :: v_dual_mov_b32 v6, s46
	v_mov_b32_e32 v7, s47
	v_dual_mov_b32 v17, s48 :: v_dual_mov_b32 v20, s51
	v_dual_mov_b32 v18, s49 :: v_dual_mov_b32 v19, s50
	v_mov_b32_e32 v24, s7
	s_load_b256 s[72:79], s[2:3], 0xa0
	v_dual_mov_b32 v23, s6 :: v_dual_mov_b32 v22, s5
	v_dual_mov_b32 v21, s4 :: v_dual_mov_b32 v28, s23
	;; [unrolled: 1-line block ×3, first 2 shown]
	v_mov_b32_e32 v25, s20
	s_clause 0x3
	scratch_store_b128 off, v[0:3], off offset:304
	scratch_store_b128 off, v[4:7], off offset:320
	;; [unrolled: 1-line block ×4, first 2 shown]
	v_mov_b32_e32 v0, s36
	s_load_b256 s[16:23], s[2:3], 0xc0
	v_dual_mov_b32 v3, s39 :: v_dual_mov_b32 v4, s40
	v_dual_mov_b32 v1, s37 :: v_dual_mov_b32 v2, s38
	;; [unrolled: 1-line block ×4, first 2 shown]
	s_clause 0x2
	s_load_b256 s[36:43], s[2:3], 0xe0
	s_load_b256 s[44:51], s[2:3], 0x100
	s_load_b32 s0, s[2:3], 0x120
	v_mov_b32_e32 v17, s12
	s_clause 0x1
	scratch_store_b128 off, v[0:3], off offset:60
	scratch_store_b128 off, v[4:7], off offset:76
	s_waitcnt lgkmcnt(0)
	v_dual_mov_b32 v0, s56 :: v_dual_mov_b32 v1, s57
	v_dual_mov_b32 v2, s58 :: v_dual_mov_b32 v3, s59
	;; [unrolled: 1-line block ×12, first 2 shown]
	s_clause 0x5
	scratch_store_b128 off, v[0:3], off offset:92
	scratch_store_b128 off, v[4:7], off offset:108
	;; [unrolled: 1-line block ×6, first 2 shown]
	v_dual_mov_b32 v0, s16 :: v_dual_mov_b32 v1, s17
	v_dual_mov_b32 v2, s18 :: v_dual_mov_b32 v3, s19
	;; [unrolled: 1-line block ×7, first 2 shown]
	s_sub_i32 s52, s52, s33
	v_dual_mov_b32 v30, s41 :: v_dual_mov_b32 v31, s42
	v_dual_mov_b32 v33, s44 :: v_dual_mov_b32 v36, s47
	;; [unrolled: 1-line block ×5, first 2 shown]
	s_clause 0x5
	scratch_store_b128 off, v[0:3], off offset:188
	scratch_store_b128 off, v[4:7], off offset:204
	;; [unrolled: 1-line block ×6, first 2 shown]
	v_mov_b32_e32 v4, s0
	v_dual_mov_b32 v8, 0 :: v_dual_add_nc_u32 v5, 0x800, v13
	v_cmp_gt_i32_e32 vcc_lo, s52, v15
	v_dual_mov_b32 v19, s14 :: v_dual_mov_b32 v18, s13
	v_dual_mov_b32 v0, s8 :: v_dual_mov_b32 v1, s9
	;; [unrolled: 1-line block ×3, first 2 shown]
	s_mov_b32 s6, 0
	s_clause 0x3
	scratch_store_b128 off, v[25:28], off offset:288
	scratch_store_b32 off, v4, off offset:284
	scratch_store_b128 off, v[17:20], off offset:44
	scratch_store_b128 off, v[0:3], off offset:28
	ds_store_2addr_b32 v5, v8, v8 offset0:1 offset1:3
	ds_store_b16 v13, v8 offset:2048
	ds_store_b16 v13, v8 offset:2056
	;; [unrolled: 1-line block ×4, first 2 shown]
	ds_store_2addr_b32 v5, v8, v8 offset0:5 offset1:7
	ds_store_2addr_b32 v11, v8, v8 offset1:1
	s_and_saveexec_b32 s7, vcc_lo
	s_cbranch_execz .LBB543_20
; %bb.1:
	s_clause 0x2
	scratch_load_b128 v[0:3], off, off offset:28
	scratch_load_b64 v[9:10], off, off offset:224
	scratch_load_b96 v[4:6], off, off offset:44
	s_mov_b32 s8, 0
	s_waitcnt vmcnt(2)
	v_dual_mov_b32 v12, 0 :: v_dual_add_nc_u32 v7, -1, v0
	v_cmp_ne_u32_e64 s0, 0, v0
	v_cmp_lt_u32_e64 s1, 1, v0
	s_delay_alu instid0(VALU_DEP_3) | instskip(SKIP_2) | instid1(VALU_DEP_3)
	v_min_u32_e32 v13, 15, v7
	v_cmp_lt_u32_e64 s2, 1, v7
	v_cmp_ne_u32_e64 s3, 2, v7
	v_add_nc_u32_e32 v17, 1, v13
	v_add_nc_u32_e32 v13, 0xe0, v12
	s_delay_alu instid0(VALU_DEP_2) | instskip(SKIP_1) | instid1(VALU_DEP_2)
	v_and_b32_e32 v14, 3, v17
	v_dual_mov_b32 v17, v15 :: v_dual_and_b32 v0, 28, v17
	v_cmp_ne_u32_e64 s4, 0, v14
	s_branch .LBB543_4
.LBB543_2:                              ;   in Loop: Header=BB543_4 Depth=1
	s_or_b32 exec_lo, exec_lo, s9
.LBB543_3:                              ;   in Loop: Header=BB543_4 Depth=1
	s_delay_alu instid0(SALU_CYCLE_1) | instskip(NEXT) | instid1(VALU_DEP_1)
	s_or_b32 exec_lo, exec_lo, s5
	v_lshlrev_b64 v[18:19], 1, v[7:8]
	v_add_nc_u32_e32 v17, 0x100, v17
	s_add_i32 s9, s8, 1
	s_cmp_gt_u32 s8, 2
	s_cselect_b32 s10, -1, 0
	s_delay_alu instid0(VALU_DEP_2) | instskip(NEXT) | instid1(VALU_DEP_1)
	v_add_co_u32 v18, s5, s34, v18
	v_add_co_ci_u32_e64 v19, s5, s35, v19, s5
	v_cmp_le_i32_e64 s5, s52, v17
	global_load_u16 v7, v[18:19], off
	v_lshl_add_u32 v18, s8, 1, v11
	s_or_b32 s5, s10, s5
	s_mov_b32 s8, s9
	s_and_b32 s5, exec_lo, s5
	s_delay_alu instid0(SALU_CYCLE_1)
	s_or_b32 s6, s5, s6
	s_waitcnt vmcnt(0)
	ds_store_b16 v18, v7
	s_and_not1_b32 exec_lo, exec_lo, s6
	s_cbranch_execz .LBB543_19
.LBB543_4:                              ; =>This Loop Header: Depth=1
                                        ;     Child Loop BB543_8 Depth 2
                                        ;     Child Loop BB543_12 Depth 2
	s_delay_alu instid0(VALU_DEP_2) | instskip(SKIP_1) | instid1(SALU_CYCLE_1)
	v_add_nc_u32_e32 v18, s33, v17
	s_and_saveexec_b32 s5, s2
	s_xor_b32 s9, exec_lo, s5
	s_cbranch_execz .LBB543_16
; %bb.5:                                ;   in Loop: Header=BB543_4 Depth=1
	v_mov_b32_e32 v7, 0
	s_and_saveexec_b32 s10, s0
	s_cbranch_execz .LBB543_15
; %bb.6:                                ;   in Loop: Header=BB543_4 Depth=1
	v_dual_mov_b32 v7, 0 :: v_dual_mov_b32 v20, 0
	s_mov_b32 s12, 0
	s_and_saveexec_b32 s11, s3
	s_cbranch_execz .LBB543_10
; %bb.7:                                ;   in Loop: Header=BB543_4 Depth=1
	v_mov_b32_e32 v7, 0
	s_mov_b32 s13, 0
	s_mov_b32 s14, 0
	;; [unrolled: 1-line block ×3, first 2 shown]
.LBB543_8:                              ;   Parent Loop BB543_4 Depth=1
                                        ; =>  This Inner Loop Header: Depth=2
	v_readfirstlane_b32 s5, v12
	v_add_nc_u32_e64 v27, s14, 0
	s_add_i32 s15, s15, 4
	s_add_i32 s14, s14, 16
	s_delay_alu instid0(VALU_DEP_2) | instskip(NEXT) | instid1(VALU_DEP_1)
	s_add_i32 s5, s5, s13
	v_add_nc_u32_e32 v31, 0xe0, v27
	s_add_i32 s16, s5, 32
	s_add_i32 s13, s13, 48
	scratch_load_b128 v[19:22], off, s16
	s_add_i32 s16, s5, 48
	s_add_i32 s5, s5, 64
	s_clause 0x2
	scratch_load_b128 v[23:26], off, s16
	scratch_load_b128 v[27:30], off, s5
	scratch_load_b128 v[31:34], v31, off
	v_cmp_eq_u32_e64 s5, s15, v0
	s_delay_alu instid0(VALU_DEP_1) | instskip(SKIP_2) | instid1(VALU_DEP_1)
	s_or_b32 s12, s5, s12
	s_waitcnt vmcnt(3)
	v_mul_hi_u32 v20, v20, v18
	v_add_nc_u32_e32 v20, v18, v20
	s_delay_alu instid0(VALU_DEP_1) | instskip(SKIP_1) | instid1(VALU_DEP_1)
	v_lshrrev_b32_e32 v20, v21, v20
	s_waitcnt vmcnt(2)
	v_mul_hi_u32 v21, v23, v20
	v_mul_lo_u32 v19, v20, v19
	s_delay_alu instid0(VALU_DEP_2) | instskip(NEXT) | instid1(VALU_DEP_2)
	v_add_nc_u32_e32 v21, v20, v21
	v_sub_nc_u32_e32 v19, v18, v19
	s_delay_alu instid0(VALU_DEP_2) | instskip(SKIP_1) | instid1(VALU_DEP_2)
	v_lshrrev_b32_e32 v21, v24, v21
	s_waitcnt vmcnt(0)
	v_mul_lo_u32 v19, v19, v31
	s_delay_alu instid0(VALU_DEP_2) | instskip(SKIP_1) | instid1(VALU_DEP_2)
	v_mul_hi_u32 v23, v26, v21
	v_mul_lo_u32 v22, v21, v22
	v_add_nc_u32_e32 v23, v21, v23
	s_delay_alu instid0(VALU_DEP_2) | instskip(NEXT) | instid1(VALU_DEP_2)
	v_sub_nc_u32_e32 v20, v20, v22
	v_lshrrev_b32_e32 v23, v27, v23
	s_delay_alu instid0(VALU_DEP_2) | instskip(NEXT) | instid1(VALU_DEP_2)
	v_mul_lo_u32 v20, v20, v32
	v_mul_hi_u32 v24, v29, v23
	s_delay_alu instid0(VALU_DEP_2) | instskip(NEXT) | instid1(VALU_DEP_2)
	v_add3_u32 v7, v19, v7, v20
	v_add_nc_u32_e32 v24, v23, v24
	s_delay_alu instid0(VALU_DEP_1) | instskip(SKIP_1) | instid1(VALU_DEP_2)
	v_lshrrev_b32_e32 v18, v30, v24
	v_mul_lo_u32 v24, v23, v25
	v_mul_lo_u32 v25, v18, v28
	s_delay_alu instid0(VALU_DEP_2) | instskip(NEXT) | instid1(VALU_DEP_2)
	v_sub_nc_u32_e32 v21, v21, v24
	v_sub_nc_u32_e32 v22, v23, v25
	s_delay_alu instid0(VALU_DEP_2) | instskip(NEXT) | instid1(VALU_DEP_2)
	v_mul_lo_u32 v21, v21, v33
	v_mul_lo_u32 v22, v22, v34
	s_delay_alu instid0(VALU_DEP_1)
	v_add3_u32 v7, v21, v7, v22
	s_and_not1_b32 exec_lo, exec_lo, s12
	s_cbranch_execnz .LBB543_8
; %bb.9:                                ;   in Loop: Header=BB543_4 Depth=1
	s_or_b32 exec_lo, exec_lo, s12
	v_mov_b32_e32 v20, v0
.LBB543_10:                             ;   in Loop: Header=BB543_4 Depth=1
	s_or_b32 exec_lo, exec_lo, s11
	s_and_saveexec_b32 s11, s4
	s_cbranch_execz .LBB543_14
; %bb.11:                               ;   in Loop: Header=BB543_4 Depth=1
	s_delay_alu instid0(VALU_DEP_1)
	v_lshl_add_u32 v19, v20, 2, v13
	v_mad_u32_u24 v20, v20, 12, 0
	v_mov_b32_e32 v21, v14
	s_mov_b32 s12, 0
	.p2align	6
.LBB543_12:                             ;   Parent Loop BB543_4 Depth=1
                                        ; =>  This Inner Loop Header: Depth=2
	s_delay_alu instid0(VALU_DEP_1) | instskip(NEXT) | instid1(VALU_DEP_2)
	v_add_nc_u32_e32 v22, 32, v20
	v_add_nc_u32_e32 v21, -1, v21
	scratch_load_b96 v[22:24], v22, off
	scratch_load_b32 v25, v19, off
	v_cmp_eq_u32_e64 s5, 0, v21
	v_add_nc_u32_e32 v19, 4, v19
	s_delay_alu instid0(VALU_DEP_2) | instskip(SKIP_2) | instid1(VALU_DEP_1)
	s_or_b32 s12, s5, s12
	s_waitcnt vmcnt(1)
	v_mul_hi_u32 v23, v23, v18
	v_add_nc_u32_e32 v23, v18, v23
	s_delay_alu instid0(VALU_DEP_1) | instskip(NEXT) | instid1(VALU_DEP_1)
	v_lshrrev_b32_e32 v24, v24, v23
	v_mul_lo_u32 v22, v24, v22
	s_delay_alu instid0(VALU_DEP_1) | instskip(SKIP_1) | instid1(VALU_DEP_1)
	v_sub_nc_u32_e32 v18, v18, v22
	s_waitcnt vmcnt(0)
	v_mad_u64_u32 v[22:23], null, v18, v25, v[7:8]
	v_mov_b32_e32 v18, v24
	s_delay_alu instid0(VALU_DEP_2)
	v_dual_mov_b32 v7, v22 :: v_dual_add_nc_u32 v20, 12, v20
	s_and_not1_b32 exec_lo, exec_lo, s12
	s_cbranch_execnz .LBB543_12
; %bb.13:                               ;   in Loop: Header=BB543_4 Depth=1
	s_or_b32 exec_lo, exec_lo, s12
.LBB543_14:                             ;   in Loop: Header=BB543_4 Depth=1
	s_delay_alu instid0(SALU_CYCLE_1)
	s_or_b32 exec_lo, exec_lo, s11
.LBB543_15:                             ;   in Loop: Header=BB543_4 Depth=1
	s_delay_alu instid0(SALU_CYCLE_1)
	s_or_b32 exec_lo, exec_lo, s10
                                        ; implicit-def: $vgpr18
.LBB543_16:                             ;   in Loop: Header=BB543_4 Depth=1
	s_and_not1_saveexec_b32 s5, s9
	s_cbranch_execz .LBB543_3
; %bb.17:                               ;   in Loop: Header=BB543_4 Depth=1
	v_mul_hi_u32 v7, v18, v2
	s_delay_alu instid0(VALU_DEP_1) | instskip(NEXT) | instid1(VALU_DEP_1)
	v_add_nc_u32_e32 v7, v18, v7
	v_lshrrev_b32_e32 v19, v3, v7
	s_delay_alu instid0(VALU_DEP_1) | instskip(NEXT) | instid1(VALU_DEP_1)
	v_mul_lo_u32 v7, v19, v1
	v_sub_nc_u32_e32 v7, v18, v7
	s_waitcnt vmcnt(1)
	s_delay_alu instid0(VALU_DEP_1)
	v_mul_lo_u32 v7, v7, v9
	s_and_saveexec_b32 s9, s1
	s_cbranch_execz .LBB543_2
; %bb.18:                               ;   in Loop: Header=BB543_4 Depth=1
	s_waitcnt vmcnt(0)
	v_mul_hi_u32 v18, v19, v5
	s_delay_alu instid0(VALU_DEP_1) | instskip(NEXT) | instid1(VALU_DEP_1)
	v_add_nc_u32_e32 v18, v19, v18
	v_lshrrev_b32_e32 v18, v6, v18
	s_delay_alu instid0(VALU_DEP_1) | instskip(NEXT) | instid1(VALU_DEP_1)
	v_mul_lo_u32 v18, v18, v4
	v_sub_nc_u32_e32 v20, v19, v18
	s_delay_alu instid0(VALU_DEP_1) | instskip(NEXT) | instid1(VALU_DEP_1)
	v_mad_u64_u32 v[18:19], null, v20, v10, v[7:8]
	v_mov_b32_e32 v7, v18
	s_branch .LBB543_2
.LBB543_19:
	s_or_b32 exec_lo, exec_lo, s6
	ds_load_u16 v0, v11
	s_waitcnt lgkmcnt(0)
	v_cvt_f32_f16_e32 v0, v0
	s_delay_alu instid0(VALU_DEP_1) | instskip(SKIP_1) | instid1(VALU_DEP_2)
	v_frexp_mant_f32_e32 v1, v0
	v_frexp_exp_i32_f32_e32 v0, v0
	v_cvt_f16_f32_e32 v1, v1
	ds_store_b16 v16, v1
	ds_store_b32 v16, v0 offset:4
.LBB543_20:
	s_or_b32 exec_lo, exec_lo, s7
	v_or_b32_e32 v0, 0x100, v15
	s_mov_b32 s1, exec_lo
	s_delay_alu instid0(VALU_DEP_1)
	v_cmpx_gt_i32_e64 s52, v0
	s_cbranch_execz .LBB543_22
; %bb.21:
	ds_load_u16 v0, v11 offset:2
	s_waitcnt lgkmcnt(0)
	v_cvt_f32_f16_e32 v0, v0
	s_delay_alu instid0(VALU_DEP_1) | instskip(SKIP_1) | instid1(VALU_DEP_2)
	v_frexp_mant_f32_e32 v1, v0
	v_frexp_exp_i32_f32_e32 v0, v0
	v_cvt_f16_f32_e32 v1, v1
	ds_store_b16 v16, v1 offset:8
	ds_store_b32 v16, v0 offset:12
.LBB543_22:
	s_or_b32 exec_lo, exec_lo, s1
	v_or_b32_e32 v0, 0x200, v15
	s_mov_b32 s1, exec_lo
	s_delay_alu instid0(VALU_DEP_1)
	v_cmpx_gt_i32_e64 s52, v0
	s_cbranch_execz .LBB543_24
; %bb.23:
	ds_load_u16 v0, v11 offset:4
	s_waitcnt lgkmcnt(0)
	v_cvt_f32_f16_e32 v0, v0
	s_delay_alu instid0(VALU_DEP_1) | instskip(SKIP_1) | instid1(VALU_DEP_2)
	v_frexp_mant_f32_e32 v1, v0
	v_frexp_exp_i32_f32_e32 v0, v0
	v_cvt_f16_f32_e32 v1, v1
	ds_store_b16 v16, v1 offset:16
	ds_store_b32 v16, v0 offset:20
.LBB543_24:
	;; [unrolled: 17-line block ×3, first 2 shown]
	s_or_b32 exec_lo, exec_lo, s1
	s_and_saveexec_b32 s0, vcc_lo
	s_delay_alu instid0(SALU_CYCLE_1)
	s_xor_b32 s0, exec_lo, s0
	s_cbranch_execz .LBB543_45
; %bb.27:
	s_clause 0x2
	scratch_load_b128 v[0:3], off, off offset:288
	scratch_load_b128 v[4:7], off, off offset:484
	scratch_load_b96 v[8:10], off, off offset:304
	s_mov_b32 s6, 0
	s_movk_i32 s7, 0x124
	s_movk_i32 s8, 0x1e4
	s_mov_b32 s5, 0
	s_waitcnt vmcnt(2)
	v_dual_mov_b32 v18, 0 :: v_dual_add_nc_u32 v11, -1, v0
	v_cmp_ne_u32_e32 vcc_lo, 0, v0
	v_cmp_lt_u32_e64 s0, 1, v0
	s_delay_alu instid0(VALU_DEP_3) | instskip(NEXT) | instid1(VALU_DEP_1)
	v_min_u32_e32 v12, 15, v11
	v_dual_mov_b32 v12, 0 :: v_dual_add_nc_u32 v13, 1, v12
	v_cmp_lt_u32_e64 s1, 1, v11
	v_cmp_ne_u32_e64 s2, 2, v11
	s_delay_alu instid0(VALU_DEP_3) | instskip(SKIP_1) | instid1(VALU_DEP_2)
	v_and_b32_e32 v17, 3, v13
	v_and_b32_e32 v0, 28, v13
	v_cmp_ne_u32_e64 s3, 0, v17
	s_branch .LBB543_30
.LBB543_28:                             ;   in Loop: Header=BB543_30 Depth=1
	s_or_b32 exec_lo, exec_lo, s9
.LBB543_29:                             ;   in Loop: Header=BB543_30 Depth=1
	s_delay_alu instid0(SALU_CYCLE_1)
	s_or_b32 exec_lo, exec_lo, s4
	v_lshl_add_u32 v21, s5, 3, v16
	v_dual_mov_b32 v14, v12 :: v_dual_add_nc_u32 v15, 0x100, v15
	v_lshlrev_b64 v[19:20], 1, v[11:12]
	s_add_i32 s9, s5, 1
	ds_load_b64 v[21:22], v21
	v_lshlrev_b64 v[13:14], 2, v[13:14]
	v_cmp_le_i32_e64 s4, s52, v15
	s_cmp_gt_u32 s5, 2
	v_add_co_u32 v19, s5, s28, v19
	s_cselect_b32 s10, -1, 0
	v_add_co_ci_u32_e64 v20, s5, s29, v20, s5
	s_or_b32 s5, s10, s4
	v_add_co_u32 v13, s4, s30, v13
	s_delay_alu instid0(VALU_DEP_1)
	v_add_co_ci_u32_e64 v14, s4, s31, v14, s4
	s_and_b32 s4, exec_lo, s5
	s_mov_b32 s5, s9
	s_or_b32 s6, s4, s6
	s_waitcnt lgkmcnt(0)
	global_store_b16 v[19:20], v21, off
	global_store_b32 v[13:14], v22, off
	s_and_not1_b32 exec_lo, exec_lo, s6
	s_cbranch_execz .LBB543_45
.LBB543_30:                             ; =>This Loop Header: Depth=1
                                        ;     Child Loop BB543_34 Depth 2
                                        ;     Child Loop BB543_38 Depth 2
	v_add_nc_u32_e32 v14, s33, v15
                                        ; implicit-def: $vgpr13
	s_and_saveexec_b32 s4, s1
	s_delay_alu instid0(SALU_CYCLE_1)
	s_xor_b32 s9, exec_lo, s4
	s_cbranch_execz .LBB543_42
; %bb.31:                               ;   in Loop: Header=BB543_30 Depth=1
	v_mov_b32_e32 v11, 0
	v_mov_b32_e32 v13, 0
	s_and_saveexec_b32 s10, vcc_lo
	s_cbranch_execz .LBB543_41
; %bb.32:                               ;   in Loop: Header=BB543_30 Depth=1
	v_dual_mov_b32 v20, 0 :: v_dual_mov_b32 v11, 0
	v_mov_b32_e32 v13, 0
	s_mov_b32 s12, 0
	s_and_saveexec_b32 s11, s2
	s_cbranch_execz .LBB543_36
; %bb.33:                               ;   in Loop: Header=BB543_30 Depth=1
	v_mov_b32_e32 v13, 0
	s_mov_b32 s13, 0
	s_mov_b32 s14, 0
	;; [unrolled: 1-line block ×3, first 2 shown]
	s_delay_alu instid0(VALU_DEP_1)
	v_mov_b32_e32 v11, v13
.LBB543_34:                             ;   Parent Loop BB543_30 Depth=1
                                        ; =>  This Inner Loop Header: Depth=2
	v_readfirstlane_b32 s4, v18
	v_add_nc_u32_e64 v35, s14, 0
	s_add_i32 s15, s15, 4
	s_add_i32 s14, s14, 32
	s_delay_alu instid0(VALU_DEP_2) | instskip(NEXT) | instid1(VALU_DEP_1)
	s_add_i32 s4, s4, s13
	v_add_nc_u32_e32 v31, 0x1e4, v35
	s_add_i32 s16, s4, 0x124
	v_add_nc_u32_e32 v35, 0x1f4, v35
	scratch_load_b128 v[19:22], off, s16
	s_add_i32 s16, s4, 0x134
	s_addk_i32 s4, 0x144
	s_clause 0x3
	scratch_load_b128 v[23:26], off, s16
	scratch_load_b128 v[27:30], off, s4
	scratch_load_b128 v[31:34], v31, off
	scratch_load_b128 v[35:38], v35, off
	v_cmp_eq_u32_e64 s4, s15, v0
	s_add_i32 s13, s13, 48
	s_delay_alu instid0(VALU_DEP_1) | instskip(SKIP_2) | instid1(VALU_DEP_1)
	s_or_b32 s12, s4, s12
	s_waitcnt vmcnt(4)
	v_mul_hi_u32 v20, v20, v14
	v_add_nc_u32_e32 v20, v14, v20
	s_delay_alu instid0(VALU_DEP_1) | instskip(SKIP_1) | instid1(VALU_DEP_1)
	v_lshrrev_b32_e32 v20, v21, v20
	s_waitcnt vmcnt(3)
	v_mul_hi_u32 v21, v23, v20
	v_mul_lo_u32 v19, v20, v19
	s_delay_alu instid0(VALU_DEP_2) | instskip(NEXT) | instid1(VALU_DEP_2)
	v_add_nc_u32_e32 v21, v20, v21
	v_sub_nc_u32_e32 v14, v14, v19
	s_delay_alu instid0(VALU_DEP_2) | instskip(SKIP_1) | instid1(VALU_DEP_2)
	v_lshrrev_b32_e32 v21, v24, v21
	s_waitcnt vmcnt(1)
	v_mul_lo_u32 v19, v14, v31
	s_delay_alu instid0(VALU_DEP_2) | instskip(SKIP_2) | instid1(VALU_DEP_3)
	v_mul_hi_u32 v23, v26, v21
	v_mul_lo_u32 v26, v14, v32
	v_mul_lo_u32 v22, v21, v22
	v_add_nc_u32_e32 v23, v21, v23
	s_delay_alu instid0(VALU_DEP_2) | instskip(NEXT) | instid1(VALU_DEP_2)
	v_sub_nc_u32_e32 v20, v20, v22
	v_lshrrev_b32_e32 v23, v27, v23
	s_delay_alu instid0(VALU_DEP_2) | instskip(SKIP_1) | instid1(VALU_DEP_3)
	v_mul_lo_u32 v22, v20, v33
	v_mul_lo_u32 v20, v20, v34
	v_mul_hi_u32 v24, v29, v23
	s_delay_alu instid0(VALU_DEP_3) | instskip(NEXT) | instid1(VALU_DEP_3)
	v_add3_u32 v11, v19, v11, v22
	v_add3_u32 v13, v26, v13, v20
	s_delay_alu instid0(VALU_DEP_3) | instskip(SKIP_1) | instid1(VALU_DEP_2)
	v_add_nc_u32_e32 v14, v23, v24
	v_mul_lo_u32 v24, v23, v25
	v_lshrrev_b32_e32 v14, v30, v14
	s_delay_alu instid0(VALU_DEP_2) | instskip(NEXT) | instid1(VALU_DEP_2)
	v_sub_nc_u32_e32 v21, v21, v24
	v_mul_lo_u32 v25, v14, v28
	s_waitcnt vmcnt(0)
	s_delay_alu instid0(VALU_DEP_2) | instskip(SKIP_1) | instid1(VALU_DEP_3)
	v_mul_lo_u32 v24, v21, v35
	v_mul_lo_u32 v21, v21, v36
	v_sub_nc_u32_e32 v23, v23, v25
	s_delay_alu instid0(VALU_DEP_1) | instskip(SKIP_1) | instid1(VALU_DEP_2)
	v_mul_lo_u32 v25, v23, v37
	v_mul_lo_u32 v23, v23, v38
	v_add3_u32 v11, v24, v11, v25
	s_delay_alu instid0(VALU_DEP_2)
	v_add3_u32 v13, v21, v13, v23
	s_and_not1_b32 exec_lo, exec_lo, s12
	s_cbranch_execnz .LBB543_34
; %bb.35:                               ;   in Loop: Header=BB543_30 Depth=1
	s_or_b32 exec_lo, exec_lo, s12
	v_mov_b32_e32 v20, v0
.LBB543_36:                             ;   in Loop: Header=BB543_30 Depth=1
	s_or_b32 exec_lo, exec_lo, s11
	s_and_saveexec_b32 s11, s3
	s_cbranch_execz .LBB543_40
; %bb.37:                               ;   in Loop: Header=BB543_30 Depth=1
	s_delay_alu instid0(VALU_DEP_1)
	v_lshlrev_b32_e32 v19, 3, v20
	v_mul_u32_u24_e32 v20, 12, v20
	v_mov_b32_e32 v21, v17
	s_mov_b32 s12, 0
	.p2align	6
.LBB543_38:                             ;   Parent Loop BB543_30 Depth=1
                                        ; =>  This Inner Loop Header: Depth=2
	s_delay_alu instid0(VALU_DEP_2) | instskip(SKIP_1) | instid1(VALU_DEP_3)
	v_add3_u32 v22, 0, v20, s7
	v_add3_u32 v25, 0, v19, s8
	v_add_nc_u32_e32 v21, -1, v21
	v_add_nc_u32_e32 v19, 8, v19
	s_clause 0x1
	scratch_load_b96 v[22:24], v22, off
	scratch_load_b64 v[25:26], v25, off
	v_cmp_eq_u32_e64 s4, 0, v21
	s_delay_alu instid0(VALU_DEP_1) | instskip(SKIP_2) | instid1(VALU_DEP_1)
	s_or_b32 s12, s4, s12
	s_waitcnt vmcnt(1)
	v_mul_hi_u32 v23, v23, v14
	v_add_nc_u32_e32 v23, v14, v23
	s_delay_alu instid0(VALU_DEP_1) | instskip(NEXT) | instid1(VALU_DEP_1)
	v_lshrrev_b32_e32 v27, v24, v23
	v_mul_lo_u32 v22, v27, v22
	s_delay_alu instid0(VALU_DEP_1) | instskip(SKIP_1) | instid1(VALU_DEP_1)
	v_sub_nc_u32_e32 v14, v14, v22
	s_waitcnt vmcnt(0)
	v_mad_u64_u32 v[22:23], null, v14, v25, v[11:12]
	v_mad_u64_u32 v[23:24], null, v14, v26, v[13:14]
	v_mov_b32_e32 v14, v27
	s_delay_alu instid0(VALU_DEP_3) | instskip(NEXT) | instid1(VALU_DEP_3)
	v_dual_mov_b32 v11, v22 :: v_dual_add_nc_u32 v20, 12, v20
	v_mov_b32_e32 v13, v23
	s_and_not1_b32 exec_lo, exec_lo, s12
	s_cbranch_execnz .LBB543_38
; %bb.39:                               ;   in Loop: Header=BB543_30 Depth=1
	s_or_b32 exec_lo, exec_lo, s12
.LBB543_40:                             ;   in Loop: Header=BB543_30 Depth=1
	s_delay_alu instid0(SALU_CYCLE_1)
	s_or_b32 exec_lo, exec_lo, s11
.LBB543_41:                             ;   in Loop: Header=BB543_30 Depth=1
	s_delay_alu instid0(SALU_CYCLE_1)
	s_or_b32 exec_lo, exec_lo, s10
                                        ; implicit-def: $vgpr14
.LBB543_42:                             ;   in Loop: Header=BB543_30 Depth=1
	s_and_not1_saveexec_b32 s4, s9
	s_cbranch_execz .LBB543_29
; %bb.43:                               ;   in Loop: Header=BB543_30 Depth=1
	v_mul_hi_u32 v11, v14, v2
	s_delay_alu instid0(VALU_DEP_1) | instskip(NEXT) | instid1(VALU_DEP_1)
	v_add_nc_u32_e32 v11, v14, v11
	v_lshrrev_b32_e32 v19, v3, v11
	s_delay_alu instid0(VALU_DEP_1) | instskip(NEXT) | instid1(VALU_DEP_1)
	v_mul_lo_u32 v11, v19, v1
	v_sub_nc_u32_e32 v13, v14, v11
	s_waitcnt vmcnt(1)
	s_delay_alu instid0(VALU_DEP_1)
	v_mul_lo_u32 v11, v13, v4
	v_mul_lo_u32 v13, v13, v5
	s_and_saveexec_b32 s9, s0
	s_cbranch_execz .LBB543_28
; %bb.44:                               ;   in Loop: Header=BB543_30 Depth=1
	s_waitcnt vmcnt(0)
	v_mul_hi_u32 v14, v19, v9
	s_delay_alu instid0(VALU_DEP_1) | instskip(NEXT) | instid1(VALU_DEP_1)
	v_add_nc_u32_e32 v14, v19, v14
	v_lshrrev_b32_e32 v14, v10, v14
	s_delay_alu instid0(VALU_DEP_1) | instskip(NEXT) | instid1(VALU_DEP_1)
	v_mul_lo_u32 v14, v14, v8
	v_sub_nc_u32_e32 v14, v19, v14
	s_delay_alu instid0(VALU_DEP_1) | instskip(SKIP_1) | instid1(VALU_DEP_2)
	v_mad_u64_u32 v[19:20], null, v14, v6, v[11:12]
	v_mad_u64_u32 v[20:21], null, v14, v7, v[13:14]
	v_mov_b32_e32 v11, v19
	s_delay_alu instid0(VALU_DEP_2)
	v_mov_b32_e32 v13, v20
	s_branch .LBB543_28
.LBB543_45:
	s_endpgm
	.section	.rodata,"a",@progbits
	.p2align	6, 0x0
	.amdhsa_kernel _ZN2at6native12_GLOBAL__N_145unrolled_elementwise_kernel_for_multi_outputsILi2EZZZNS0_17frexp_kernel_cudaERNS_18TensorIteratorBaseEENKUlvE_clEvENKUlvE1_clEvEUlN3c104HalfEE_St5arrayIPcLm3EE16OffsetCalculatorILi1EjLb0EESD_ILi2EjLb0EEEEviT0_T1_T2_T3_
		.amdhsa_group_segment_fixed_size 10240
		.amdhsa_private_segment_fixed_size 624
		.amdhsa_kernarg_size 616
		.amdhsa_user_sgpr_count 15
		.amdhsa_user_sgpr_dispatch_ptr 1
		.amdhsa_user_sgpr_queue_ptr 0
		.amdhsa_user_sgpr_kernarg_segment_ptr 1
		.amdhsa_user_sgpr_dispatch_id 0
		.amdhsa_user_sgpr_private_segment_size 0
		.amdhsa_wavefront_size32 1
		.amdhsa_uses_dynamic_stack 0
		.amdhsa_enable_private_segment 1
		.amdhsa_system_sgpr_workgroup_id_x 1
		.amdhsa_system_sgpr_workgroup_id_y 0
		.amdhsa_system_sgpr_workgroup_id_z 0
		.amdhsa_system_sgpr_workgroup_info 0
		.amdhsa_system_vgpr_workitem_id 2
		.amdhsa_next_free_vgpr 41
		.amdhsa_next_free_sgpr 80
		.amdhsa_reserve_vcc 1
		.amdhsa_float_round_mode_32 0
		.amdhsa_float_round_mode_16_64 0
		.amdhsa_float_denorm_mode_32 3
		.amdhsa_float_denorm_mode_16_64 3
		.amdhsa_dx10_clamp 1
		.amdhsa_ieee_mode 1
		.amdhsa_fp16_overflow 0
		.amdhsa_workgroup_processor_mode 1
		.amdhsa_memory_ordered 1
		.amdhsa_forward_progress 0
		.amdhsa_shared_vgpr_count 0
		.amdhsa_exception_fp_ieee_invalid_op 0
		.amdhsa_exception_fp_denorm_src 0
		.amdhsa_exception_fp_ieee_div_zero 0
		.amdhsa_exception_fp_ieee_overflow 0
		.amdhsa_exception_fp_ieee_underflow 0
		.amdhsa_exception_fp_ieee_inexact 0
		.amdhsa_exception_int_div_zero 0
	.end_amdhsa_kernel
	.section	.text._ZN2at6native12_GLOBAL__N_145unrolled_elementwise_kernel_for_multi_outputsILi2EZZZNS0_17frexp_kernel_cudaERNS_18TensorIteratorBaseEENKUlvE_clEvENKUlvE1_clEvEUlN3c104HalfEE_St5arrayIPcLm3EE16OffsetCalculatorILi1EjLb0EESD_ILi2EjLb0EEEEviT0_T1_T2_T3_,"axG",@progbits,_ZN2at6native12_GLOBAL__N_145unrolled_elementwise_kernel_for_multi_outputsILi2EZZZNS0_17frexp_kernel_cudaERNS_18TensorIteratorBaseEENKUlvE_clEvENKUlvE1_clEvEUlN3c104HalfEE_St5arrayIPcLm3EE16OffsetCalculatorILi1EjLb0EESD_ILi2EjLb0EEEEviT0_T1_T2_T3_,comdat
.Lfunc_end543:
	.size	_ZN2at6native12_GLOBAL__N_145unrolled_elementwise_kernel_for_multi_outputsILi2EZZZNS0_17frexp_kernel_cudaERNS_18TensorIteratorBaseEENKUlvE_clEvENKUlvE1_clEvEUlN3c104HalfEE_St5arrayIPcLm3EE16OffsetCalculatorILi1EjLb0EESD_ILi2EjLb0EEEEviT0_T1_T2_T3_, .Lfunc_end543-_ZN2at6native12_GLOBAL__N_145unrolled_elementwise_kernel_for_multi_outputsILi2EZZZNS0_17frexp_kernel_cudaERNS_18TensorIteratorBaseEENKUlvE_clEvENKUlvE1_clEvEUlN3c104HalfEE_St5arrayIPcLm3EE16OffsetCalculatorILi1EjLb0EESD_ILi2EjLb0EEEEviT0_T1_T2_T3_
                                        ; -- End function
	.section	.AMDGPU.csdata,"",@progbits
; Kernel info:
; codeLenInByte = 3716
; NumSgprs: 82
; NumVgprs: 41
; ScratchSize: 624
; MemoryBound: 0
; FloatMode: 240
; IeeeMode: 1
; LDSByteSize: 10240 bytes/workgroup (compile time only)
; SGPRBlocks: 10
; VGPRBlocks: 5
; NumSGPRsForWavesPerEU: 82
; NumVGPRsForWavesPerEU: 41
; Occupancy: 16
; WaveLimiterHint : 1
; COMPUTE_PGM_RSRC2:SCRATCH_EN: 1
; COMPUTE_PGM_RSRC2:USER_SGPR: 15
; COMPUTE_PGM_RSRC2:TRAP_HANDLER: 0
; COMPUTE_PGM_RSRC2:TGID_X_EN: 1
; COMPUTE_PGM_RSRC2:TGID_Y_EN: 0
; COMPUTE_PGM_RSRC2:TGID_Z_EN: 0
; COMPUTE_PGM_RSRC2:TIDIG_COMP_CNT: 2
	.section	.text._ZN2at6native12_GLOBAL__N_145unrolled_elementwise_kernel_for_multi_outputsILi2EZZZNS0_17frexp_kernel_cudaERNS_18TensorIteratorBaseEENKUlvE_clEvENKUlvE2_clEvEUlN3c108BFloat16EE_St5arrayIPcLm3EE23TrivialOffsetCalculatorILi1EjESD_ILi2EjEEEviT0_T1_T2_T3_,"axG",@progbits,_ZN2at6native12_GLOBAL__N_145unrolled_elementwise_kernel_for_multi_outputsILi2EZZZNS0_17frexp_kernel_cudaERNS_18TensorIteratorBaseEENKUlvE_clEvENKUlvE2_clEvEUlN3c108BFloat16EE_St5arrayIPcLm3EE23TrivialOffsetCalculatorILi1EjESD_ILi2EjEEEviT0_T1_T2_T3_,comdat
	.globl	_ZN2at6native12_GLOBAL__N_145unrolled_elementwise_kernel_for_multi_outputsILi2EZZZNS0_17frexp_kernel_cudaERNS_18TensorIteratorBaseEENKUlvE_clEvENKUlvE2_clEvEUlN3c108BFloat16EE_St5arrayIPcLm3EE23TrivialOffsetCalculatorILi1EjESD_ILi2EjEEEviT0_T1_T2_T3_ ; -- Begin function _ZN2at6native12_GLOBAL__N_145unrolled_elementwise_kernel_for_multi_outputsILi2EZZZNS0_17frexp_kernel_cudaERNS_18TensorIteratorBaseEENKUlvE_clEvENKUlvE2_clEvEUlN3c108BFloat16EE_St5arrayIPcLm3EE23TrivialOffsetCalculatorILi1EjESD_ILi2EjEEEviT0_T1_T2_T3_
	.p2align	8
	.type	_ZN2at6native12_GLOBAL__N_145unrolled_elementwise_kernel_for_multi_outputsILi2EZZZNS0_17frexp_kernel_cudaERNS_18TensorIteratorBaseEENKUlvE_clEvENKUlvE2_clEvEUlN3c108BFloat16EE_St5arrayIPcLm3EE23TrivialOffsetCalculatorILi1EjESD_ILi2EjEEEviT0_T1_T2_T3_,@function
_ZN2at6native12_GLOBAL__N_145unrolled_elementwise_kernel_for_multi_outputsILi2EZZZNS0_17frexp_kernel_cudaERNS_18TensorIteratorBaseEENKUlvE_clEvENKUlvE2_clEvEUlN3c108BFloat16EE_St5arrayIPcLm3EE23TrivialOffsetCalculatorILi1EjESD_ILi2EjEEEviT0_T1_T2_T3_: ; @_ZN2at6native12_GLOBAL__N_145unrolled_elementwise_kernel_for_multi_outputsILi2EZZZNS0_17frexp_kernel_cudaERNS_18TensorIteratorBaseEENKUlvE_clEvENKUlvE2_clEvEUlN3c108BFloat16EE_St5arrayIPcLm3EE23TrivialOffsetCalculatorILi1EjESD_ILi2EjEEEviT0_T1_T2_T3_
; %bb.0:
	s_load_b64 s[0:1], s[0:1], 0x4
	s_load_b32 s8, s[2:3], 0x0
	v_and_b32_e32 v2, 0x3ff, v0
	v_bfe_u32 v1, v0, 10, 10
	v_bfe_u32 v0, v0, 20, 10
	s_clause 0x1
	s_load_b128 s[4:7], s[2:3], 0x8
	s_load_b64 s[2:3], s[2:3], 0x18
	s_mov_b32 s9, 0
	s_waitcnt lgkmcnt(0)
	s_lshr_b32 s0, s0, 16
	v_mul_u32_u24_e32 v1, s1, v1
	s_mul_i32 s0, s0, s1
	s_lshl_b32 s1, s15, 10
	v_mul_lo_u32 v3, s0, v2
	s_sub_i32 s8, s8, s1
	s_delay_alu instid0(VALU_DEP_1) | instskip(SKIP_2) | instid1(VALU_DEP_3)
	v_add3_u32 v0, v3, v1, v0
	v_mov_b32_e32 v1, 0
	v_cmp_gt_i32_e32 vcc_lo, s8, v2
	v_lshlrev_b32_e32 v5, 5, v0
	v_lshlrev_b32_e32 v4, 3, v0
	s_delay_alu instid0(VALU_DEP_2)
	v_add_nc_u32_e32 v3, 0x800, v5
	v_add_nc_u32_e32 v0, 0x800, v5
	ds_store_b16 v5, v1 offset:2048
	ds_store_b16 v5, v1 offset:2056
	;; [unrolled: 1-line block ×4, first 2 shown]
	ds_store_2addr_b32 v0, v1, v1 offset0:1 offset1:3
	ds_store_2addr_b32 v0, v1, v1 offset0:5 offset1:7
	ds_store_2addr_b32 v4, v1, v1 offset1:1
	s_and_saveexec_b32 s10, vcc_lo
	s_cbranch_execz .LBB544_4
; %bb.1:
	v_dual_mov_b32 v5, v4 :: v_dual_mov_b32 v6, v2
	s_mov_b32 s11, 0
	.p2align	6
.LBB544_2:                              ; =>This Inner Loop Header: Depth=1
	s_delay_alu instid0(VALU_DEP_1)
	v_add_nc_u32_e32 v0, s1, v6
	v_add_nc_u32_e32 v6, 0x100, v6
	s_add_i32 s12, s11, 1
	s_cmp_gt_u32 s11, 2
	s_cselect_b32 s11, -1, 0
	v_lshlrev_b64 v[7:8], 1, v[0:1]
	s_delay_alu instid0(VALU_DEP_1) | instskip(NEXT) | instid1(VALU_DEP_1)
	v_add_co_u32 v7, s0, s2, v7
	v_add_co_ci_u32_e64 v8, s0, s3, v8, s0
	v_cmp_le_i32_e64 s0, s8, v6
	global_load_u16 v0, v[7:8], off
	s_or_b32 s0, s11, s0
	s_mov_b32 s11, s12
	s_and_b32 s0, exec_lo, s0
	s_delay_alu instid0(SALU_CYCLE_1)
	s_or_b32 s9, s0, s9
	s_waitcnt vmcnt(0)
	ds_store_b16 v5, v0
	v_add_nc_u32_e32 v5, 2, v5
	s_and_not1_b32 exec_lo, exec_lo, s9
	s_cbranch_execnz .LBB544_2
; %bb.3:
	s_or_b32 exec_lo, exec_lo, s9
	ds_load_u16 v0, v4
	s_waitcnt lgkmcnt(0)
	v_lshlrev_b32_e32 v0, 16, v0
	s_delay_alu instid0(VALU_DEP_1) | instskip(SKIP_1) | instid1(VALU_DEP_2)
	v_frexp_mant_f32_e32 v1, v0
	v_frexp_exp_i32_f32_e32 v0, v0
	v_bfe_u32 v5, v1, 16, 1
	v_cmp_o_f32_e64 s0, v1, v1
	s_delay_alu instid0(VALU_DEP_2) | instskip(NEXT) | instid1(VALU_DEP_1)
	v_add3_u32 v5, v1, v5, 0x7fff
	v_lshrrev_b32_e32 v5, 16, v5
	s_delay_alu instid0(VALU_DEP_1)
	v_cndmask_b32_e64 v1, 0x7fc0, v5, s0
	ds_store_b16 v3, v1
	ds_store_b32 v3, v0 offset:4
.LBB544_4:
	s_or_b32 exec_lo, exec_lo, s10
	v_or_b32_e32 v0, 0x100, v2
	s_mov_b32 s2, exec_lo
	s_delay_alu instid0(VALU_DEP_1)
	v_cmpx_gt_i32_e64 s8, v0
	s_cbranch_execz .LBB544_6
; %bb.5:
	ds_load_u16 v0, v4 offset:2
	s_waitcnt lgkmcnt(0)
	v_lshlrev_b32_e32 v0, 16, v0
	s_delay_alu instid0(VALU_DEP_1) | instskip(SKIP_1) | instid1(VALU_DEP_2)
	v_frexp_mant_f32_e32 v1, v0
	v_frexp_exp_i32_f32_e32 v0, v0
	v_bfe_u32 v5, v1, 16, 1
	v_cmp_o_f32_e64 s0, v1, v1
	s_delay_alu instid0(VALU_DEP_2) | instskip(NEXT) | instid1(VALU_DEP_1)
	v_add3_u32 v5, v1, v5, 0x7fff
	v_lshrrev_b32_e32 v5, 16, v5
	s_delay_alu instid0(VALU_DEP_1)
	v_cndmask_b32_e64 v1, 0x7fc0, v5, s0
	ds_store_b16 v3, v1 offset:8
	ds_store_b32 v3, v0 offset:12
.LBB544_6:
	s_or_b32 exec_lo, exec_lo, s2
	v_or_b32_e32 v0, 0x200, v2
	s_mov_b32 s2, exec_lo
	s_delay_alu instid0(VALU_DEP_1)
	v_cmpx_gt_i32_e64 s8, v0
	s_cbranch_execz .LBB544_8
; %bb.7:
	ds_load_u16 v0, v4 offset:4
	s_waitcnt lgkmcnt(0)
	v_lshlrev_b32_e32 v0, 16, v0
	s_delay_alu instid0(VALU_DEP_1) | instskip(SKIP_1) | instid1(VALU_DEP_2)
	v_frexp_mant_f32_e32 v1, v0
	v_frexp_exp_i32_f32_e32 v0, v0
	v_bfe_u32 v5, v1, 16, 1
	v_cmp_o_f32_e64 s0, v1, v1
	s_delay_alu instid0(VALU_DEP_2) | instskip(NEXT) | instid1(VALU_DEP_1)
	v_add3_u32 v5, v1, v5, 0x7fff
	v_lshrrev_b32_e32 v5, 16, v5
	s_delay_alu instid0(VALU_DEP_1)
	v_cndmask_b32_e64 v1, 0x7fc0, v5, s0
	ds_store_b16 v3, v1 offset:16
	ds_store_b32 v3, v0 offset:20
.LBB544_8:
	;; [unrolled: 23-line block ×3, first 2 shown]
	s_or_b32 exec_lo, exec_lo, s2
	s_and_saveexec_b32 s0, vcc_lo
	s_delay_alu instid0(SALU_CYCLE_1)
	s_xor_b32 s0, exec_lo, s0
	s_cbranch_execz .LBB544_13
; %bb.11:
	v_mov_b32_e32 v1, 0
	s_mov_b32 s0, 0
	s_mov_b32 s2, 0
	.p2align	6
.LBB544_12:                             ; =>This Inner Loop Header: Depth=1
	v_add_nc_u32_e32 v0, s1, v2
	ds_load_b64 v[4:5], v3
	v_add_nc_u32_e32 v2, 0x100, v2
	s_add_i32 s3, s2, 1
	s_cmp_gt_u32 s2, 2
	v_lshlrev_b64 v[6:7], 1, v[0:1]
	v_lshlrev_b64 v[8:9], 2, v[0:1]
	v_cmp_le_i32_e32 vcc_lo, s8, v2
	s_cselect_b32 s2, -1, 0
	v_add_nc_u32_e32 v3, 8, v3
	s_or_b32 s2, s2, vcc_lo
	v_add_co_u32 v6, vcc_lo, s4, v6
	v_add_co_ci_u32_e32 v7, vcc_lo, s5, v7, vcc_lo
	v_add_co_u32 v8, vcc_lo, s6, v8
	v_add_co_ci_u32_e32 v9, vcc_lo, s7, v9, vcc_lo
	s_and_b32 s9, exec_lo, s2
	s_mov_b32 s2, s3
	s_or_b32 s0, s9, s0
	s_waitcnt lgkmcnt(0)
	global_store_b16 v[6:7], v4, off
	global_store_b32 v[8:9], v5, off
	s_and_not1_b32 exec_lo, exec_lo, s0
	s_cbranch_execnz .LBB544_12
.LBB544_13:
	s_nop 0
	s_sendmsg sendmsg(MSG_DEALLOC_VGPRS)
	s_endpgm
	.section	.rodata,"a",@progbits
	.p2align	6, 0x0
	.amdhsa_kernel _ZN2at6native12_GLOBAL__N_145unrolled_elementwise_kernel_for_multi_outputsILi2EZZZNS0_17frexp_kernel_cudaERNS_18TensorIteratorBaseEENKUlvE_clEvENKUlvE2_clEvEUlN3c108BFloat16EE_St5arrayIPcLm3EE23TrivialOffsetCalculatorILi1EjESD_ILi2EjEEEviT0_T1_T2_T3_
		.amdhsa_group_segment_fixed_size 10240
		.amdhsa_private_segment_fixed_size 0
		.amdhsa_kernarg_size 36
		.amdhsa_user_sgpr_count 15
		.amdhsa_user_sgpr_dispatch_ptr 1
		.amdhsa_user_sgpr_queue_ptr 0
		.amdhsa_user_sgpr_kernarg_segment_ptr 1
		.amdhsa_user_sgpr_dispatch_id 0
		.amdhsa_user_sgpr_private_segment_size 0
		.amdhsa_wavefront_size32 1
		.amdhsa_uses_dynamic_stack 0
		.amdhsa_enable_private_segment 0
		.amdhsa_system_sgpr_workgroup_id_x 1
		.amdhsa_system_sgpr_workgroup_id_y 0
		.amdhsa_system_sgpr_workgroup_id_z 0
		.amdhsa_system_sgpr_workgroup_info 0
		.amdhsa_system_vgpr_workitem_id 2
		.amdhsa_next_free_vgpr 10
		.amdhsa_next_free_sgpr 16
		.amdhsa_reserve_vcc 1
		.amdhsa_float_round_mode_32 0
		.amdhsa_float_round_mode_16_64 0
		.amdhsa_float_denorm_mode_32 3
		.amdhsa_float_denorm_mode_16_64 3
		.amdhsa_dx10_clamp 1
		.amdhsa_ieee_mode 1
		.amdhsa_fp16_overflow 0
		.amdhsa_workgroup_processor_mode 1
		.amdhsa_memory_ordered 1
		.amdhsa_forward_progress 0
		.amdhsa_shared_vgpr_count 0
		.amdhsa_exception_fp_ieee_invalid_op 0
		.amdhsa_exception_fp_denorm_src 0
		.amdhsa_exception_fp_ieee_div_zero 0
		.amdhsa_exception_fp_ieee_overflow 0
		.amdhsa_exception_fp_ieee_underflow 0
		.amdhsa_exception_fp_ieee_inexact 0
		.amdhsa_exception_int_div_zero 0
	.end_amdhsa_kernel
	.section	.text._ZN2at6native12_GLOBAL__N_145unrolled_elementwise_kernel_for_multi_outputsILi2EZZZNS0_17frexp_kernel_cudaERNS_18TensorIteratorBaseEENKUlvE_clEvENKUlvE2_clEvEUlN3c108BFloat16EE_St5arrayIPcLm3EE23TrivialOffsetCalculatorILi1EjESD_ILi2EjEEEviT0_T1_T2_T3_,"axG",@progbits,_ZN2at6native12_GLOBAL__N_145unrolled_elementwise_kernel_for_multi_outputsILi2EZZZNS0_17frexp_kernel_cudaERNS_18TensorIteratorBaseEENKUlvE_clEvENKUlvE2_clEvEUlN3c108BFloat16EE_St5arrayIPcLm3EE23TrivialOffsetCalculatorILi1EjESD_ILi2EjEEEviT0_T1_T2_T3_,comdat
.Lfunc_end544:
	.size	_ZN2at6native12_GLOBAL__N_145unrolled_elementwise_kernel_for_multi_outputsILi2EZZZNS0_17frexp_kernel_cudaERNS_18TensorIteratorBaseEENKUlvE_clEvENKUlvE2_clEvEUlN3c108BFloat16EE_St5arrayIPcLm3EE23TrivialOffsetCalculatorILi1EjESD_ILi2EjEEEviT0_T1_T2_T3_, .Lfunc_end544-_ZN2at6native12_GLOBAL__N_145unrolled_elementwise_kernel_for_multi_outputsILi2EZZZNS0_17frexp_kernel_cudaERNS_18TensorIteratorBaseEENKUlvE_clEvENKUlvE2_clEvEUlN3c108BFloat16EE_St5arrayIPcLm3EE23TrivialOffsetCalculatorILi1EjESD_ILi2EjEEEviT0_T1_T2_T3_
                                        ; -- End function
	.section	.AMDGPU.csdata,"",@progbits
; Kernel info:
; codeLenInByte = 988
; NumSgprs: 18
; NumVgprs: 10
; ScratchSize: 0
; MemoryBound: 0
; FloatMode: 240
; IeeeMode: 1
; LDSByteSize: 10240 bytes/workgroup (compile time only)
; SGPRBlocks: 2
; VGPRBlocks: 1
; NumSGPRsForWavesPerEU: 18
; NumVGPRsForWavesPerEU: 10
; Occupancy: 16
; WaveLimiterHint : 0
; COMPUTE_PGM_RSRC2:SCRATCH_EN: 0
; COMPUTE_PGM_RSRC2:USER_SGPR: 15
; COMPUTE_PGM_RSRC2:TRAP_HANDLER: 0
; COMPUTE_PGM_RSRC2:TGID_X_EN: 1
; COMPUTE_PGM_RSRC2:TGID_Y_EN: 0
; COMPUTE_PGM_RSRC2:TGID_Z_EN: 0
; COMPUTE_PGM_RSRC2:TIDIG_COMP_CNT: 2
	.section	.text._ZN2at6native12_GLOBAL__N_145unrolled_elementwise_kernel_for_multi_outputsILi2EZZZNS0_17frexp_kernel_cudaERNS_18TensorIteratorBaseEENKUlvE_clEvENKUlvE2_clEvEUlN3c108BFloat16EE_St5arrayIPcLm3EE16OffsetCalculatorILi1EjLb0EESD_ILi2EjLb0EEEEviT0_T1_T2_T3_,"axG",@progbits,_ZN2at6native12_GLOBAL__N_145unrolled_elementwise_kernel_for_multi_outputsILi2EZZZNS0_17frexp_kernel_cudaERNS_18TensorIteratorBaseEENKUlvE_clEvENKUlvE2_clEvEUlN3c108BFloat16EE_St5arrayIPcLm3EE16OffsetCalculatorILi1EjLb0EESD_ILi2EjLb0EEEEviT0_T1_T2_T3_,comdat
	.globl	_ZN2at6native12_GLOBAL__N_145unrolled_elementwise_kernel_for_multi_outputsILi2EZZZNS0_17frexp_kernel_cudaERNS_18TensorIteratorBaseEENKUlvE_clEvENKUlvE2_clEvEUlN3c108BFloat16EE_St5arrayIPcLm3EE16OffsetCalculatorILi1EjLb0EESD_ILi2EjLb0EEEEviT0_T1_T2_T3_ ; -- Begin function _ZN2at6native12_GLOBAL__N_145unrolled_elementwise_kernel_for_multi_outputsILi2EZZZNS0_17frexp_kernel_cudaERNS_18TensorIteratorBaseEENKUlvE_clEvENKUlvE2_clEvEUlN3c108BFloat16EE_St5arrayIPcLm3EE16OffsetCalculatorILi1EjLb0EESD_ILi2EjLb0EEEEviT0_T1_T2_T3_
	.p2align	8
	.type	_ZN2at6native12_GLOBAL__N_145unrolled_elementwise_kernel_for_multi_outputsILi2EZZZNS0_17frexp_kernel_cudaERNS_18TensorIteratorBaseEENKUlvE_clEvENKUlvE2_clEvEUlN3c108BFloat16EE_St5arrayIPcLm3EE16OffsetCalculatorILi1EjLb0EESD_ILi2EjLb0EEEEviT0_T1_T2_T3_,@function
_ZN2at6native12_GLOBAL__N_145unrolled_elementwise_kernel_for_multi_outputsILi2EZZZNS0_17frexp_kernel_cudaERNS_18TensorIteratorBaseEENKUlvE_clEvENKUlvE2_clEvEUlN3c108BFloat16EE_St5arrayIPcLm3EE16OffsetCalculatorILi1EjLb0EESD_ILi2EjLb0EEEEviT0_T1_T2_T3_: ; @_ZN2at6native12_GLOBAL__N_145unrolled_elementwise_kernel_for_multi_outputsILi2EZZZNS0_17frexp_kernel_cudaERNS_18TensorIteratorBaseEENKUlvE_clEvENKUlvE2_clEvEUlN3c108BFloat16EE_St5arrayIPcLm3EE16OffsetCalculatorILi1EjLb0EESD_ILi2EjLb0EEEEviT0_T1_T2_T3_
; %bb.0:
	s_load_b64 s[0:1], s[0:1], 0x4
	s_clause 0x6
	s_load_b32 s52, s[2:3], 0x0
	s_load_b256 s[4:11], s[2:3], 0x164
	s_load_b256 s[20:27], s[2:3], 0x184
	s_load_b128 s[28:31], s[2:3], 0x8
	s_load_b256 s[44:51], s[2:3], 0x1a4
	s_load_b64 s[34:35], s[2:3], 0x18
	s_load_b256 s[56:63], s[2:3], 0x1c4
	v_bfe_u32 v1, v0, 10, 10
	v_and_b32_e32 v15, 0x3ff, v0
	s_lshl_b32 s33, s15, 10
	s_clause 0x3
	s_load_b256 s[64:71], s[2:3], 0x1e4
	s_load_b256 s[72:79], s[2:3], 0x204
	;; [unrolled: 1-line block ×4, first 2 shown]
	v_bfe_u32 v12, v0, 20, 10
	s_load_b32 s53, s[2:3], 0x264
	s_waitcnt lgkmcnt(0)
	s_lshr_b32 s0, s0, 16
	v_mul_u32_u24_e32 v13, s1, v1
	v_mov_b32_e32 v0, s8
	s_mul_i32 s0, s0, s1
	v_dual_mov_b32 v3, s11 :: v_dual_mov_b32 v4, s20
	v_mul_lo_u32 v14, s0, v15
	v_dual_mov_b32 v7, s23 :: v_dual_mov_b32 v8, s24
	v_dual_mov_b32 v11, s27 :: v_dual_mov_b32 v16, s44
	;; [unrolled: 1-line block ×4, first 2 shown]
	v_add3_u32 v12, v14, v13, v12
	v_dual_mov_b32 v5, s21 :: v_dual_mov_b32 v6, s22
	v_dual_mov_b32 v9, s25 :: v_dual_mov_b32 v10, s26
	;; [unrolled: 1-line block ×8, first 2 shown]
	v_lshlrev_b32_e32 v13, 5, v12
	s_load_b256 s[20:27], s[2:3], 0x124
	v_dual_mov_b32 v25, s57 :: v_dual_mov_b32 v26, s58
	v_dual_mov_b32 v33, s65 :: v_dual_mov_b32 v34, s66
	;; [unrolled: 1-line block ×3, first 2 shown]
	s_load_b256 s[44:51], s[2:3], 0x144
	v_dual_mov_b32 v37, s69 :: v_dual_mov_b32 v38, s70
	s_clause 0x1
	scratch_store_b128 off, v[0:3], off offset:368
	scratch_store_b128 off, v[4:7], off offset:384
	v_dual_mov_b32 v0, s72 :: v_dual_mov_b32 v39, s71
	s_clause 0x3
	scratch_store_b128 off, v[8:11], off offset:400
	scratch_store_b128 off, v[16:19], off offset:416
	;; [unrolled: 1-line block ×4, first 2 shown]
	v_add_nc_u32_e32 v16, 0x800, v13
	v_dual_mov_b32 v2, s74 :: v_dual_lshlrev_b32 v11, 3, v12
	v_dual_mov_b32 v1, s73 :: v_dual_mov_b32 v4, s76
	v_dual_mov_b32 v3, s75 :: v_dual_mov_b32 v6, s78
	v_mov_b32_e32 v5, s77
	v_mov_b32_e32 v7, s79
	v_dual_mov_b32 v17, s36 :: v_dual_mov_b32 v18, s37
	v_dual_mov_b32 v19, s38 :: v_dual_mov_b32 v20, s39
	s_clause 0x5
	scratch_store_b128 off, v[28:31], off offset:464
	scratch_store_b128 off, v[32:35], off offset:480
	;; [unrolled: 1-line block ×6, first 2 shown]
	v_mov_b32_e32 v0, s40
	v_dual_mov_b32 v2, s42 :: v_dual_mov_b32 v1, s41
	v_dual_mov_b32 v4, s12 :: v_dual_mov_b32 v3, s43
	v_mov_b32_e32 v6, s14
	s_load_b256 s[36:43], s[2:3], 0x40
	v_dual_mov_b32 v5, s13 :: v_dual_mov_b32 v20, s19
	v_dual_mov_b32 v7, s15 :: v_dual_mov_b32 v18, s17
	;; [unrolled: 1-line block ×3, first 2 shown]
	v_mov_b32_e32 v17, s16
	s_load_b256 s[8:15], s[2:3], 0x20
	s_clause 0x3
	scratch_store_b128 off, v[0:3], off offset:560
	scratch_store_b128 off, v[4:7], off offset:576
	;; [unrolled: 1-line block ×3, first 2 shown]
	scratch_store_b32 off, v8, off offset:608
	s_waitcnt lgkmcnt(0)
	v_mov_b32_e32 v0, s24
	s_load_b256 s[56:63], s[2:3], 0x60
	v_dual_mov_b32 v1, s25 :: v_dual_mov_b32 v2, s26
	v_dual_mov_b32 v3, s27 :: v_dual_mov_b32 v4, s44
	s_load_b256 s[64:71], s[2:3], 0x80
	v_dual_mov_b32 v5, s45 :: v_dual_mov_b32 v6, s46
	v_mov_b32_e32 v7, s47
	v_dual_mov_b32 v17, s48 :: v_dual_mov_b32 v20, s51
	v_dual_mov_b32 v18, s49 :: v_dual_mov_b32 v19, s50
	v_mov_b32_e32 v24, s7
	s_load_b256 s[72:79], s[2:3], 0xa0
	v_dual_mov_b32 v23, s6 :: v_dual_mov_b32 v22, s5
	v_dual_mov_b32 v21, s4 :: v_dual_mov_b32 v28, s23
	v_dual_mov_b32 v27, s22 :: v_dual_mov_b32 v26, s21
	v_mov_b32_e32 v25, s20
	s_clause 0x3
	scratch_store_b128 off, v[0:3], off offset:304
	scratch_store_b128 off, v[4:7], off offset:320
	;; [unrolled: 1-line block ×4, first 2 shown]
	v_mov_b32_e32 v0, s36
	s_load_b256 s[16:23], s[2:3], 0xc0
	v_dual_mov_b32 v3, s39 :: v_dual_mov_b32 v4, s40
	v_dual_mov_b32 v1, s37 :: v_dual_mov_b32 v2, s38
	;; [unrolled: 1-line block ×4, first 2 shown]
	s_clause 0x2
	s_load_b256 s[36:43], s[2:3], 0xe0
	s_load_b256 s[44:51], s[2:3], 0x100
	s_load_b32 s0, s[2:3], 0x120
	v_mov_b32_e32 v17, s12
	s_clause 0x1
	scratch_store_b128 off, v[0:3], off offset:60
	scratch_store_b128 off, v[4:7], off offset:76
	s_waitcnt lgkmcnt(0)
	v_dual_mov_b32 v0, s56 :: v_dual_mov_b32 v1, s57
	v_dual_mov_b32 v2, s58 :: v_dual_mov_b32 v3, s59
	;; [unrolled: 1-line block ×12, first 2 shown]
	s_clause 0x5
	scratch_store_b128 off, v[0:3], off offset:92
	scratch_store_b128 off, v[4:7], off offset:108
	;; [unrolled: 1-line block ×6, first 2 shown]
	v_dual_mov_b32 v0, s16 :: v_dual_mov_b32 v1, s17
	v_dual_mov_b32 v2, s18 :: v_dual_mov_b32 v3, s19
	;; [unrolled: 1-line block ×7, first 2 shown]
	s_sub_i32 s52, s52, s33
	v_dual_mov_b32 v30, s41 :: v_dual_mov_b32 v31, s42
	v_dual_mov_b32 v33, s44 :: v_dual_mov_b32 v36, s47
	;; [unrolled: 1-line block ×5, first 2 shown]
	s_clause 0x5
	scratch_store_b128 off, v[0:3], off offset:188
	scratch_store_b128 off, v[4:7], off offset:204
	scratch_store_b128 off, v[21:24], off offset:220
	scratch_store_b128 off, v[29:32], off offset:236
	scratch_store_b128 off, v[33:36], off offset:252
	scratch_store_b128 off, v[37:40], off offset:268
	v_mov_b32_e32 v4, s0
	v_dual_mov_b32 v8, 0 :: v_dual_add_nc_u32 v5, 0x800, v13
	v_cmp_gt_i32_e32 vcc_lo, s52, v15
	v_dual_mov_b32 v19, s14 :: v_dual_mov_b32 v18, s13
	v_dual_mov_b32 v0, s8 :: v_dual_mov_b32 v1, s9
	;; [unrolled: 1-line block ×3, first 2 shown]
	s_mov_b32 s7, 0
	s_clause 0x3
	scratch_store_b128 off, v[25:28], off offset:288
	scratch_store_b32 off, v4, off offset:284
	scratch_store_b128 off, v[17:20], off offset:44
	scratch_store_b128 off, v[0:3], off offset:28
	ds_store_2addr_b32 v5, v8, v8 offset0:1 offset1:3
	ds_store_b16 v13, v8 offset:2048
	ds_store_b16 v13, v8 offset:2056
	;; [unrolled: 1-line block ×4, first 2 shown]
	ds_store_2addr_b32 v5, v8, v8 offset0:5 offset1:7
	ds_store_2addr_b32 v11, v8, v8 offset1:1
	s_and_saveexec_b32 s6, vcc_lo
	s_cbranch_execz .LBB545_20
; %bb.1:
	s_clause 0x2
	scratch_load_b128 v[0:3], off, off offset:28
	scratch_load_b64 v[9:10], off, off offset:224
	scratch_load_b96 v[4:6], off, off offset:44
	s_mov_b32 s8, 0
	s_waitcnt vmcnt(2)
	v_dual_mov_b32 v12, 0 :: v_dual_add_nc_u32 v7, -1, v0
	v_cmp_ne_u32_e64 s0, 0, v0
	v_cmp_lt_u32_e64 s1, 1, v0
	s_delay_alu instid0(VALU_DEP_3) | instskip(SKIP_2) | instid1(VALU_DEP_3)
	v_min_u32_e32 v13, 15, v7
	v_cmp_lt_u32_e64 s2, 1, v7
	v_cmp_ne_u32_e64 s3, 2, v7
	v_add_nc_u32_e32 v17, 1, v13
	v_add_nc_u32_e32 v13, 0xe0, v12
	s_delay_alu instid0(VALU_DEP_2) | instskip(SKIP_1) | instid1(VALU_DEP_2)
	v_and_b32_e32 v14, 3, v17
	v_dual_mov_b32 v17, v15 :: v_dual_and_b32 v0, 28, v17
	v_cmp_ne_u32_e64 s4, 0, v14
	s_branch .LBB545_4
.LBB545_2:                              ;   in Loop: Header=BB545_4 Depth=1
	s_or_b32 exec_lo, exec_lo, s9
.LBB545_3:                              ;   in Loop: Header=BB545_4 Depth=1
	s_delay_alu instid0(SALU_CYCLE_1) | instskip(NEXT) | instid1(VALU_DEP_1)
	s_or_b32 exec_lo, exec_lo, s5
	v_lshlrev_b64 v[18:19], 1, v[7:8]
	v_add_nc_u32_e32 v17, 0x100, v17
	s_add_i32 s9, s8, 1
	s_cmp_gt_u32 s8, 2
	s_cselect_b32 s10, -1, 0
	s_delay_alu instid0(VALU_DEP_2) | instskip(NEXT) | instid1(VALU_DEP_1)
	v_add_co_u32 v18, s5, s34, v18
	v_add_co_ci_u32_e64 v19, s5, s35, v19, s5
	v_cmp_le_i32_e64 s5, s52, v17
	global_load_u16 v7, v[18:19], off
	v_lshl_add_u32 v18, s8, 1, v11
	s_or_b32 s5, s10, s5
	s_mov_b32 s8, s9
	s_and_b32 s5, exec_lo, s5
	s_delay_alu instid0(SALU_CYCLE_1)
	s_or_b32 s7, s5, s7
	s_waitcnt vmcnt(0)
	ds_store_b16 v18, v7
	s_and_not1_b32 exec_lo, exec_lo, s7
	s_cbranch_execz .LBB545_19
.LBB545_4:                              ; =>This Loop Header: Depth=1
                                        ;     Child Loop BB545_8 Depth 2
                                        ;     Child Loop BB545_12 Depth 2
	s_delay_alu instid0(VALU_DEP_2) | instskip(SKIP_1) | instid1(SALU_CYCLE_1)
	v_add_nc_u32_e32 v18, s33, v17
	s_and_saveexec_b32 s5, s2
	s_xor_b32 s9, exec_lo, s5
	s_cbranch_execz .LBB545_16
; %bb.5:                                ;   in Loop: Header=BB545_4 Depth=1
	v_mov_b32_e32 v7, 0
	s_and_saveexec_b32 s10, s0
	s_cbranch_execz .LBB545_15
; %bb.6:                                ;   in Loop: Header=BB545_4 Depth=1
	v_dual_mov_b32 v7, 0 :: v_dual_mov_b32 v20, 0
	s_mov_b32 s12, 0
	s_and_saveexec_b32 s11, s3
	s_cbranch_execz .LBB545_10
; %bb.7:                                ;   in Loop: Header=BB545_4 Depth=1
	v_mov_b32_e32 v7, 0
	s_mov_b32 s13, 0
	s_mov_b32 s14, 0
	;; [unrolled: 1-line block ×3, first 2 shown]
.LBB545_8:                              ;   Parent Loop BB545_4 Depth=1
                                        ; =>  This Inner Loop Header: Depth=2
	v_readfirstlane_b32 s5, v12
	v_add_nc_u32_e64 v27, s14, 0
	s_add_i32 s15, s15, 4
	s_add_i32 s14, s14, 16
	s_delay_alu instid0(VALU_DEP_2) | instskip(NEXT) | instid1(VALU_DEP_1)
	s_add_i32 s5, s5, s13
	v_add_nc_u32_e32 v31, 0xe0, v27
	s_add_i32 s16, s5, 32
	s_add_i32 s13, s13, 48
	scratch_load_b128 v[19:22], off, s16
	s_add_i32 s16, s5, 48
	s_add_i32 s5, s5, 64
	s_clause 0x2
	scratch_load_b128 v[23:26], off, s16
	scratch_load_b128 v[27:30], off, s5
	scratch_load_b128 v[31:34], v31, off
	v_cmp_eq_u32_e64 s5, s15, v0
	s_delay_alu instid0(VALU_DEP_1) | instskip(SKIP_2) | instid1(VALU_DEP_1)
	s_or_b32 s12, s5, s12
	s_waitcnt vmcnt(3)
	v_mul_hi_u32 v20, v20, v18
	v_add_nc_u32_e32 v20, v18, v20
	s_delay_alu instid0(VALU_DEP_1) | instskip(SKIP_1) | instid1(VALU_DEP_1)
	v_lshrrev_b32_e32 v20, v21, v20
	s_waitcnt vmcnt(2)
	v_mul_hi_u32 v21, v23, v20
	v_mul_lo_u32 v19, v20, v19
	s_delay_alu instid0(VALU_DEP_2) | instskip(NEXT) | instid1(VALU_DEP_2)
	v_add_nc_u32_e32 v21, v20, v21
	v_sub_nc_u32_e32 v19, v18, v19
	s_delay_alu instid0(VALU_DEP_2) | instskip(SKIP_1) | instid1(VALU_DEP_2)
	v_lshrrev_b32_e32 v21, v24, v21
	s_waitcnt vmcnt(0)
	v_mul_lo_u32 v19, v19, v31
	s_delay_alu instid0(VALU_DEP_2) | instskip(SKIP_1) | instid1(VALU_DEP_2)
	v_mul_hi_u32 v23, v26, v21
	v_mul_lo_u32 v22, v21, v22
	v_add_nc_u32_e32 v23, v21, v23
	s_delay_alu instid0(VALU_DEP_2) | instskip(NEXT) | instid1(VALU_DEP_2)
	v_sub_nc_u32_e32 v20, v20, v22
	v_lshrrev_b32_e32 v23, v27, v23
	s_delay_alu instid0(VALU_DEP_2) | instskip(NEXT) | instid1(VALU_DEP_2)
	v_mul_lo_u32 v20, v20, v32
	v_mul_hi_u32 v24, v29, v23
	s_delay_alu instid0(VALU_DEP_2) | instskip(NEXT) | instid1(VALU_DEP_2)
	v_add3_u32 v7, v19, v7, v20
	v_add_nc_u32_e32 v24, v23, v24
	s_delay_alu instid0(VALU_DEP_1) | instskip(SKIP_1) | instid1(VALU_DEP_2)
	v_lshrrev_b32_e32 v18, v30, v24
	v_mul_lo_u32 v24, v23, v25
	v_mul_lo_u32 v25, v18, v28
	s_delay_alu instid0(VALU_DEP_2) | instskip(NEXT) | instid1(VALU_DEP_2)
	v_sub_nc_u32_e32 v21, v21, v24
	v_sub_nc_u32_e32 v22, v23, v25
	s_delay_alu instid0(VALU_DEP_2) | instskip(NEXT) | instid1(VALU_DEP_2)
	v_mul_lo_u32 v21, v21, v33
	v_mul_lo_u32 v22, v22, v34
	s_delay_alu instid0(VALU_DEP_1)
	v_add3_u32 v7, v21, v7, v22
	s_and_not1_b32 exec_lo, exec_lo, s12
	s_cbranch_execnz .LBB545_8
; %bb.9:                                ;   in Loop: Header=BB545_4 Depth=1
	s_or_b32 exec_lo, exec_lo, s12
	v_mov_b32_e32 v20, v0
.LBB545_10:                             ;   in Loop: Header=BB545_4 Depth=1
	s_or_b32 exec_lo, exec_lo, s11
	s_and_saveexec_b32 s11, s4
	s_cbranch_execz .LBB545_14
; %bb.11:                               ;   in Loop: Header=BB545_4 Depth=1
	s_delay_alu instid0(VALU_DEP_1)
	v_lshl_add_u32 v19, v20, 2, v13
	v_mad_u32_u24 v20, v20, 12, 0
	v_mov_b32_e32 v21, v14
	s_mov_b32 s12, 0
	.p2align	6
.LBB545_12:                             ;   Parent Loop BB545_4 Depth=1
                                        ; =>  This Inner Loop Header: Depth=2
	s_delay_alu instid0(VALU_DEP_1) | instskip(NEXT) | instid1(VALU_DEP_2)
	v_add_nc_u32_e32 v22, 32, v20
	v_add_nc_u32_e32 v21, -1, v21
	scratch_load_b96 v[22:24], v22, off
	scratch_load_b32 v25, v19, off
	v_cmp_eq_u32_e64 s5, 0, v21
	v_add_nc_u32_e32 v19, 4, v19
	s_delay_alu instid0(VALU_DEP_2) | instskip(SKIP_2) | instid1(VALU_DEP_1)
	s_or_b32 s12, s5, s12
	s_waitcnt vmcnt(1)
	v_mul_hi_u32 v23, v23, v18
	v_add_nc_u32_e32 v23, v18, v23
	s_delay_alu instid0(VALU_DEP_1) | instskip(NEXT) | instid1(VALU_DEP_1)
	v_lshrrev_b32_e32 v24, v24, v23
	v_mul_lo_u32 v22, v24, v22
	s_delay_alu instid0(VALU_DEP_1) | instskip(SKIP_1) | instid1(VALU_DEP_1)
	v_sub_nc_u32_e32 v18, v18, v22
	s_waitcnt vmcnt(0)
	v_mad_u64_u32 v[22:23], null, v18, v25, v[7:8]
	v_mov_b32_e32 v18, v24
	s_delay_alu instid0(VALU_DEP_2)
	v_dual_mov_b32 v7, v22 :: v_dual_add_nc_u32 v20, 12, v20
	s_and_not1_b32 exec_lo, exec_lo, s12
	s_cbranch_execnz .LBB545_12
; %bb.13:                               ;   in Loop: Header=BB545_4 Depth=1
	s_or_b32 exec_lo, exec_lo, s12
.LBB545_14:                             ;   in Loop: Header=BB545_4 Depth=1
	s_delay_alu instid0(SALU_CYCLE_1)
	s_or_b32 exec_lo, exec_lo, s11
.LBB545_15:                             ;   in Loop: Header=BB545_4 Depth=1
	s_delay_alu instid0(SALU_CYCLE_1)
	s_or_b32 exec_lo, exec_lo, s10
                                        ; implicit-def: $vgpr18
.LBB545_16:                             ;   in Loop: Header=BB545_4 Depth=1
	s_and_not1_saveexec_b32 s5, s9
	s_cbranch_execz .LBB545_3
; %bb.17:                               ;   in Loop: Header=BB545_4 Depth=1
	v_mul_hi_u32 v7, v18, v2
	s_delay_alu instid0(VALU_DEP_1) | instskip(NEXT) | instid1(VALU_DEP_1)
	v_add_nc_u32_e32 v7, v18, v7
	v_lshrrev_b32_e32 v19, v3, v7
	s_delay_alu instid0(VALU_DEP_1) | instskip(NEXT) | instid1(VALU_DEP_1)
	v_mul_lo_u32 v7, v19, v1
	v_sub_nc_u32_e32 v7, v18, v7
	s_waitcnt vmcnt(1)
	s_delay_alu instid0(VALU_DEP_1)
	v_mul_lo_u32 v7, v7, v9
	s_and_saveexec_b32 s9, s1
	s_cbranch_execz .LBB545_2
; %bb.18:                               ;   in Loop: Header=BB545_4 Depth=1
	s_waitcnt vmcnt(0)
	v_mul_hi_u32 v18, v19, v5
	s_delay_alu instid0(VALU_DEP_1) | instskip(NEXT) | instid1(VALU_DEP_1)
	v_add_nc_u32_e32 v18, v19, v18
	v_lshrrev_b32_e32 v18, v6, v18
	s_delay_alu instid0(VALU_DEP_1) | instskip(NEXT) | instid1(VALU_DEP_1)
	v_mul_lo_u32 v18, v18, v4
	v_sub_nc_u32_e32 v20, v19, v18
	s_delay_alu instid0(VALU_DEP_1) | instskip(NEXT) | instid1(VALU_DEP_1)
	v_mad_u64_u32 v[18:19], null, v20, v10, v[7:8]
	v_mov_b32_e32 v7, v18
	s_branch .LBB545_2
.LBB545_19:
	s_or_b32 exec_lo, exec_lo, s7
	ds_load_u16 v0, v11
	s_waitcnt lgkmcnt(0)
	v_lshlrev_b32_e32 v0, 16, v0
	s_delay_alu instid0(VALU_DEP_1) | instskip(SKIP_1) | instid1(VALU_DEP_2)
	v_frexp_mant_f32_e32 v1, v0
	v_frexp_exp_i32_f32_e32 v0, v0
	v_bfe_u32 v2, v1, 16, 1
	v_cmp_o_f32_e64 s0, v1, v1
	s_delay_alu instid0(VALU_DEP_2) | instskip(NEXT) | instid1(VALU_DEP_1)
	v_add3_u32 v2, v1, v2, 0x7fff
	v_lshrrev_b32_e32 v2, 16, v2
	s_delay_alu instid0(VALU_DEP_1)
	v_cndmask_b32_e64 v1, 0x7fc0, v2, s0
	ds_store_b16 v16, v1
	ds_store_b32 v16, v0 offset:4
.LBB545_20:
	s_or_b32 exec_lo, exec_lo, s6
	v_or_b32_e32 v0, 0x100, v15
	s_mov_b32 s1, exec_lo
	s_delay_alu instid0(VALU_DEP_1)
	v_cmpx_gt_i32_e64 s52, v0
	s_cbranch_execz .LBB545_22
; %bb.21:
	ds_load_u16 v0, v11 offset:2
	s_waitcnt lgkmcnt(0)
	v_lshlrev_b32_e32 v0, 16, v0
	s_delay_alu instid0(VALU_DEP_1) | instskip(SKIP_1) | instid1(VALU_DEP_2)
	v_frexp_mant_f32_e32 v1, v0
	v_frexp_exp_i32_f32_e32 v0, v0
	v_bfe_u32 v2, v1, 16, 1
	v_cmp_o_f32_e64 s0, v1, v1
	s_delay_alu instid0(VALU_DEP_2) | instskip(NEXT) | instid1(VALU_DEP_1)
	v_add3_u32 v2, v1, v2, 0x7fff
	v_lshrrev_b32_e32 v2, 16, v2
	s_delay_alu instid0(VALU_DEP_1)
	v_cndmask_b32_e64 v1, 0x7fc0, v2, s0
	ds_store_b16 v16, v1 offset:8
	ds_store_b32 v16, v0 offset:12
.LBB545_22:
	s_or_b32 exec_lo, exec_lo, s1
	v_or_b32_e32 v0, 0x200, v15
	s_mov_b32 s1, exec_lo
	s_delay_alu instid0(VALU_DEP_1)
	v_cmpx_gt_i32_e64 s52, v0
	s_cbranch_execz .LBB545_24
; %bb.23:
	ds_load_u16 v0, v11 offset:4
	s_waitcnt lgkmcnt(0)
	v_lshlrev_b32_e32 v0, 16, v0
	s_delay_alu instid0(VALU_DEP_1) | instskip(SKIP_1) | instid1(VALU_DEP_2)
	v_frexp_mant_f32_e32 v1, v0
	v_frexp_exp_i32_f32_e32 v0, v0
	v_bfe_u32 v2, v1, 16, 1
	v_cmp_o_f32_e64 s0, v1, v1
	s_delay_alu instid0(VALU_DEP_2) | instskip(NEXT) | instid1(VALU_DEP_1)
	v_add3_u32 v2, v1, v2, 0x7fff
	v_lshrrev_b32_e32 v2, 16, v2
	s_delay_alu instid0(VALU_DEP_1)
	v_cndmask_b32_e64 v1, 0x7fc0, v2, s0
	ds_store_b16 v16, v1 offset:16
	ds_store_b32 v16, v0 offset:20
.LBB545_24:
	;; [unrolled: 23-line block ×3, first 2 shown]
	s_or_b32 exec_lo, exec_lo, s1
	s_and_saveexec_b32 s0, vcc_lo
	s_delay_alu instid0(SALU_CYCLE_1)
	s_xor_b32 s0, exec_lo, s0
	s_cbranch_execz .LBB545_45
; %bb.27:
	s_clause 0x2
	scratch_load_b128 v[0:3], off, off offset:288
	scratch_load_b128 v[4:7], off, off offset:484
	scratch_load_b96 v[8:10], off, off offset:304
	s_mov_b32 s6, 0
	s_movk_i32 s7, 0x124
	s_movk_i32 s8, 0x1e4
	s_mov_b32 s5, 0
	s_waitcnt vmcnt(2)
	v_dual_mov_b32 v18, 0 :: v_dual_add_nc_u32 v11, -1, v0
	v_cmp_ne_u32_e32 vcc_lo, 0, v0
	v_cmp_lt_u32_e64 s0, 1, v0
	s_delay_alu instid0(VALU_DEP_3) | instskip(NEXT) | instid1(VALU_DEP_1)
	v_min_u32_e32 v12, 15, v11
	v_dual_mov_b32 v12, 0 :: v_dual_add_nc_u32 v13, 1, v12
	v_cmp_lt_u32_e64 s1, 1, v11
	v_cmp_ne_u32_e64 s2, 2, v11
	s_delay_alu instid0(VALU_DEP_3) | instskip(SKIP_1) | instid1(VALU_DEP_2)
	v_and_b32_e32 v17, 3, v13
	v_and_b32_e32 v0, 28, v13
	v_cmp_ne_u32_e64 s3, 0, v17
	s_branch .LBB545_30
.LBB545_28:                             ;   in Loop: Header=BB545_30 Depth=1
	s_or_b32 exec_lo, exec_lo, s9
.LBB545_29:                             ;   in Loop: Header=BB545_30 Depth=1
	s_delay_alu instid0(SALU_CYCLE_1)
	s_or_b32 exec_lo, exec_lo, s4
	v_lshl_add_u32 v21, s5, 3, v16
	v_dual_mov_b32 v14, v12 :: v_dual_add_nc_u32 v15, 0x100, v15
	v_lshlrev_b64 v[19:20], 1, v[11:12]
	s_add_i32 s9, s5, 1
	ds_load_b64 v[21:22], v21
	v_lshlrev_b64 v[13:14], 2, v[13:14]
	v_cmp_le_i32_e64 s4, s52, v15
	s_cmp_gt_u32 s5, 2
	v_add_co_u32 v19, s5, s28, v19
	s_cselect_b32 s10, -1, 0
	v_add_co_ci_u32_e64 v20, s5, s29, v20, s5
	s_or_b32 s5, s10, s4
	v_add_co_u32 v13, s4, s30, v13
	s_delay_alu instid0(VALU_DEP_1)
	v_add_co_ci_u32_e64 v14, s4, s31, v14, s4
	s_and_b32 s4, exec_lo, s5
	s_mov_b32 s5, s9
	s_or_b32 s6, s4, s6
	s_waitcnt lgkmcnt(0)
	global_store_b16 v[19:20], v21, off
	global_store_b32 v[13:14], v22, off
	s_and_not1_b32 exec_lo, exec_lo, s6
	s_cbranch_execz .LBB545_45
.LBB545_30:                             ; =>This Loop Header: Depth=1
                                        ;     Child Loop BB545_34 Depth 2
                                        ;     Child Loop BB545_38 Depth 2
	v_add_nc_u32_e32 v14, s33, v15
                                        ; implicit-def: $vgpr13
	s_and_saveexec_b32 s4, s1
	s_delay_alu instid0(SALU_CYCLE_1)
	s_xor_b32 s9, exec_lo, s4
	s_cbranch_execz .LBB545_42
; %bb.31:                               ;   in Loop: Header=BB545_30 Depth=1
	v_mov_b32_e32 v11, 0
	v_mov_b32_e32 v13, 0
	s_and_saveexec_b32 s10, vcc_lo
	s_cbranch_execz .LBB545_41
; %bb.32:                               ;   in Loop: Header=BB545_30 Depth=1
	v_dual_mov_b32 v20, 0 :: v_dual_mov_b32 v11, 0
	v_mov_b32_e32 v13, 0
	s_mov_b32 s12, 0
	s_and_saveexec_b32 s11, s2
	s_cbranch_execz .LBB545_36
; %bb.33:                               ;   in Loop: Header=BB545_30 Depth=1
	v_mov_b32_e32 v13, 0
	s_mov_b32 s13, 0
	s_mov_b32 s14, 0
	;; [unrolled: 1-line block ×3, first 2 shown]
	s_delay_alu instid0(VALU_DEP_1)
	v_mov_b32_e32 v11, v13
.LBB545_34:                             ;   Parent Loop BB545_30 Depth=1
                                        ; =>  This Inner Loop Header: Depth=2
	v_readfirstlane_b32 s4, v18
	v_add_nc_u32_e64 v35, s14, 0
	s_add_i32 s15, s15, 4
	s_add_i32 s14, s14, 32
	s_delay_alu instid0(VALU_DEP_2) | instskip(NEXT) | instid1(VALU_DEP_1)
	s_add_i32 s4, s4, s13
	v_add_nc_u32_e32 v31, 0x1e4, v35
	s_add_i32 s16, s4, 0x124
	v_add_nc_u32_e32 v35, 0x1f4, v35
	scratch_load_b128 v[19:22], off, s16
	s_add_i32 s16, s4, 0x134
	s_addk_i32 s4, 0x144
	s_clause 0x3
	scratch_load_b128 v[23:26], off, s16
	scratch_load_b128 v[27:30], off, s4
	scratch_load_b128 v[31:34], v31, off
	scratch_load_b128 v[35:38], v35, off
	v_cmp_eq_u32_e64 s4, s15, v0
	s_add_i32 s13, s13, 48
	s_delay_alu instid0(VALU_DEP_1) | instskip(SKIP_2) | instid1(VALU_DEP_1)
	s_or_b32 s12, s4, s12
	s_waitcnt vmcnt(4)
	v_mul_hi_u32 v20, v20, v14
	v_add_nc_u32_e32 v20, v14, v20
	s_delay_alu instid0(VALU_DEP_1) | instskip(SKIP_1) | instid1(VALU_DEP_1)
	v_lshrrev_b32_e32 v20, v21, v20
	s_waitcnt vmcnt(3)
	v_mul_hi_u32 v21, v23, v20
	v_mul_lo_u32 v19, v20, v19
	s_delay_alu instid0(VALU_DEP_2) | instskip(NEXT) | instid1(VALU_DEP_2)
	v_add_nc_u32_e32 v21, v20, v21
	v_sub_nc_u32_e32 v14, v14, v19
	s_delay_alu instid0(VALU_DEP_2) | instskip(SKIP_1) | instid1(VALU_DEP_2)
	v_lshrrev_b32_e32 v21, v24, v21
	s_waitcnt vmcnt(1)
	v_mul_lo_u32 v19, v14, v31
	s_delay_alu instid0(VALU_DEP_2) | instskip(SKIP_2) | instid1(VALU_DEP_3)
	v_mul_hi_u32 v23, v26, v21
	v_mul_lo_u32 v26, v14, v32
	v_mul_lo_u32 v22, v21, v22
	v_add_nc_u32_e32 v23, v21, v23
	s_delay_alu instid0(VALU_DEP_2) | instskip(NEXT) | instid1(VALU_DEP_2)
	v_sub_nc_u32_e32 v20, v20, v22
	v_lshrrev_b32_e32 v23, v27, v23
	s_delay_alu instid0(VALU_DEP_2) | instskip(SKIP_1) | instid1(VALU_DEP_3)
	v_mul_lo_u32 v22, v20, v33
	v_mul_lo_u32 v20, v20, v34
	v_mul_hi_u32 v24, v29, v23
	s_delay_alu instid0(VALU_DEP_3) | instskip(NEXT) | instid1(VALU_DEP_3)
	v_add3_u32 v11, v19, v11, v22
	v_add3_u32 v13, v26, v13, v20
	s_delay_alu instid0(VALU_DEP_3) | instskip(SKIP_1) | instid1(VALU_DEP_2)
	v_add_nc_u32_e32 v14, v23, v24
	v_mul_lo_u32 v24, v23, v25
	v_lshrrev_b32_e32 v14, v30, v14
	s_delay_alu instid0(VALU_DEP_2) | instskip(NEXT) | instid1(VALU_DEP_2)
	v_sub_nc_u32_e32 v21, v21, v24
	v_mul_lo_u32 v25, v14, v28
	s_waitcnt vmcnt(0)
	s_delay_alu instid0(VALU_DEP_2) | instskip(SKIP_1) | instid1(VALU_DEP_3)
	v_mul_lo_u32 v24, v21, v35
	v_mul_lo_u32 v21, v21, v36
	v_sub_nc_u32_e32 v23, v23, v25
	s_delay_alu instid0(VALU_DEP_1) | instskip(SKIP_1) | instid1(VALU_DEP_2)
	v_mul_lo_u32 v25, v23, v37
	v_mul_lo_u32 v23, v23, v38
	v_add3_u32 v11, v24, v11, v25
	s_delay_alu instid0(VALU_DEP_2)
	v_add3_u32 v13, v21, v13, v23
	s_and_not1_b32 exec_lo, exec_lo, s12
	s_cbranch_execnz .LBB545_34
; %bb.35:                               ;   in Loop: Header=BB545_30 Depth=1
	s_or_b32 exec_lo, exec_lo, s12
	v_mov_b32_e32 v20, v0
.LBB545_36:                             ;   in Loop: Header=BB545_30 Depth=1
	s_or_b32 exec_lo, exec_lo, s11
	s_and_saveexec_b32 s11, s3
	s_cbranch_execz .LBB545_40
; %bb.37:                               ;   in Loop: Header=BB545_30 Depth=1
	s_delay_alu instid0(VALU_DEP_1)
	v_lshlrev_b32_e32 v19, 3, v20
	v_mul_u32_u24_e32 v20, 12, v20
	v_mov_b32_e32 v21, v17
	s_mov_b32 s12, 0
	.p2align	6
.LBB545_38:                             ;   Parent Loop BB545_30 Depth=1
                                        ; =>  This Inner Loop Header: Depth=2
	s_delay_alu instid0(VALU_DEP_2) | instskip(SKIP_1) | instid1(VALU_DEP_3)
	v_add3_u32 v22, 0, v20, s7
	v_add3_u32 v25, 0, v19, s8
	v_add_nc_u32_e32 v21, -1, v21
	v_add_nc_u32_e32 v19, 8, v19
	s_clause 0x1
	scratch_load_b96 v[22:24], v22, off
	scratch_load_b64 v[25:26], v25, off
	v_cmp_eq_u32_e64 s4, 0, v21
	s_delay_alu instid0(VALU_DEP_1) | instskip(SKIP_2) | instid1(VALU_DEP_1)
	s_or_b32 s12, s4, s12
	s_waitcnt vmcnt(1)
	v_mul_hi_u32 v23, v23, v14
	v_add_nc_u32_e32 v23, v14, v23
	s_delay_alu instid0(VALU_DEP_1) | instskip(NEXT) | instid1(VALU_DEP_1)
	v_lshrrev_b32_e32 v27, v24, v23
	v_mul_lo_u32 v22, v27, v22
	s_delay_alu instid0(VALU_DEP_1) | instskip(SKIP_1) | instid1(VALU_DEP_1)
	v_sub_nc_u32_e32 v14, v14, v22
	s_waitcnt vmcnt(0)
	v_mad_u64_u32 v[22:23], null, v14, v25, v[11:12]
	v_mad_u64_u32 v[23:24], null, v14, v26, v[13:14]
	v_mov_b32_e32 v14, v27
	s_delay_alu instid0(VALU_DEP_3) | instskip(NEXT) | instid1(VALU_DEP_3)
	v_dual_mov_b32 v11, v22 :: v_dual_add_nc_u32 v20, 12, v20
	v_mov_b32_e32 v13, v23
	s_and_not1_b32 exec_lo, exec_lo, s12
	s_cbranch_execnz .LBB545_38
; %bb.39:                               ;   in Loop: Header=BB545_30 Depth=1
	s_or_b32 exec_lo, exec_lo, s12
.LBB545_40:                             ;   in Loop: Header=BB545_30 Depth=1
	s_delay_alu instid0(SALU_CYCLE_1)
	s_or_b32 exec_lo, exec_lo, s11
.LBB545_41:                             ;   in Loop: Header=BB545_30 Depth=1
	s_delay_alu instid0(SALU_CYCLE_1)
	s_or_b32 exec_lo, exec_lo, s10
                                        ; implicit-def: $vgpr14
.LBB545_42:                             ;   in Loop: Header=BB545_30 Depth=1
	s_and_not1_saveexec_b32 s4, s9
	s_cbranch_execz .LBB545_29
; %bb.43:                               ;   in Loop: Header=BB545_30 Depth=1
	v_mul_hi_u32 v11, v14, v2
	s_delay_alu instid0(VALU_DEP_1) | instskip(NEXT) | instid1(VALU_DEP_1)
	v_add_nc_u32_e32 v11, v14, v11
	v_lshrrev_b32_e32 v19, v3, v11
	s_delay_alu instid0(VALU_DEP_1) | instskip(NEXT) | instid1(VALU_DEP_1)
	v_mul_lo_u32 v11, v19, v1
	v_sub_nc_u32_e32 v13, v14, v11
	s_waitcnt vmcnt(1)
	s_delay_alu instid0(VALU_DEP_1)
	v_mul_lo_u32 v11, v13, v4
	v_mul_lo_u32 v13, v13, v5
	s_and_saveexec_b32 s9, s0
	s_cbranch_execz .LBB545_28
; %bb.44:                               ;   in Loop: Header=BB545_30 Depth=1
	s_waitcnt vmcnt(0)
	v_mul_hi_u32 v14, v19, v9
	s_delay_alu instid0(VALU_DEP_1) | instskip(NEXT) | instid1(VALU_DEP_1)
	v_add_nc_u32_e32 v14, v19, v14
	v_lshrrev_b32_e32 v14, v10, v14
	s_delay_alu instid0(VALU_DEP_1) | instskip(NEXT) | instid1(VALU_DEP_1)
	v_mul_lo_u32 v14, v14, v8
	v_sub_nc_u32_e32 v14, v19, v14
	s_delay_alu instid0(VALU_DEP_1) | instskip(SKIP_1) | instid1(VALU_DEP_2)
	v_mad_u64_u32 v[19:20], null, v14, v6, v[11:12]
	v_mad_u64_u32 v[20:21], null, v14, v7, v[13:14]
	v_mov_b32_e32 v11, v19
	s_delay_alu instid0(VALU_DEP_2)
	v_mov_b32_e32 v13, v20
	s_branch .LBB545_28
.LBB545_45:
	s_endpgm
	.section	.rodata,"a",@progbits
	.p2align	6, 0x0
	.amdhsa_kernel _ZN2at6native12_GLOBAL__N_145unrolled_elementwise_kernel_for_multi_outputsILi2EZZZNS0_17frexp_kernel_cudaERNS_18TensorIteratorBaseEENKUlvE_clEvENKUlvE2_clEvEUlN3c108BFloat16EE_St5arrayIPcLm3EE16OffsetCalculatorILi1EjLb0EESD_ILi2EjLb0EEEEviT0_T1_T2_T3_
		.amdhsa_group_segment_fixed_size 10240
		.amdhsa_private_segment_fixed_size 624
		.amdhsa_kernarg_size 616
		.amdhsa_user_sgpr_count 15
		.amdhsa_user_sgpr_dispatch_ptr 1
		.amdhsa_user_sgpr_queue_ptr 0
		.amdhsa_user_sgpr_kernarg_segment_ptr 1
		.amdhsa_user_sgpr_dispatch_id 0
		.amdhsa_user_sgpr_private_segment_size 0
		.amdhsa_wavefront_size32 1
		.amdhsa_uses_dynamic_stack 0
		.amdhsa_enable_private_segment 1
		.amdhsa_system_sgpr_workgroup_id_x 1
		.amdhsa_system_sgpr_workgroup_id_y 0
		.amdhsa_system_sgpr_workgroup_id_z 0
		.amdhsa_system_sgpr_workgroup_info 0
		.amdhsa_system_vgpr_workitem_id 2
		.amdhsa_next_free_vgpr 41
		.amdhsa_next_free_sgpr 80
		.amdhsa_reserve_vcc 1
		.amdhsa_float_round_mode_32 0
		.amdhsa_float_round_mode_16_64 0
		.amdhsa_float_denorm_mode_32 3
		.amdhsa_float_denorm_mode_16_64 3
		.amdhsa_dx10_clamp 1
		.amdhsa_ieee_mode 1
		.amdhsa_fp16_overflow 0
		.amdhsa_workgroup_processor_mode 1
		.amdhsa_memory_ordered 1
		.amdhsa_forward_progress 0
		.amdhsa_shared_vgpr_count 0
		.amdhsa_exception_fp_ieee_invalid_op 0
		.amdhsa_exception_fp_denorm_src 0
		.amdhsa_exception_fp_ieee_div_zero 0
		.amdhsa_exception_fp_ieee_overflow 0
		.amdhsa_exception_fp_ieee_underflow 0
		.amdhsa_exception_fp_ieee_inexact 0
		.amdhsa_exception_int_div_zero 0
	.end_amdhsa_kernel
	.section	.text._ZN2at6native12_GLOBAL__N_145unrolled_elementwise_kernel_for_multi_outputsILi2EZZZNS0_17frexp_kernel_cudaERNS_18TensorIteratorBaseEENKUlvE_clEvENKUlvE2_clEvEUlN3c108BFloat16EE_St5arrayIPcLm3EE16OffsetCalculatorILi1EjLb0EESD_ILi2EjLb0EEEEviT0_T1_T2_T3_,"axG",@progbits,_ZN2at6native12_GLOBAL__N_145unrolled_elementwise_kernel_for_multi_outputsILi2EZZZNS0_17frexp_kernel_cudaERNS_18TensorIteratorBaseEENKUlvE_clEvENKUlvE2_clEvEUlN3c108BFloat16EE_St5arrayIPcLm3EE16OffsetCalculatorILi1EjLb0EESD_ILi2EjLb0EEEEviT0_T1_T2_T3_,comdat
.Lfunc_end545:
	.size	_ZN2at6native12_GLOBAL__N_145unrolled_elementwise_kernel_for_multi_outputsILi2EZZZNS0_17frexp_kernel_cudaERNS_18TensorIteratorBaseEENKUlvE_clEvENKUlvE2_clEvEUlN3c108BFloat16EE_St5arrayIPcLm3EE16OffsetCalculatorILi1EjLb0EESD_ILi2EjLb0EEEEviT0_T1_T2_T3_, .Lfunc_end545-_ZN2at6native12_GLOBAL__N_145unrolled_elementwise_kernel_for_multi_outputsILi2EZZZNS0_17frexp_kernel_cudaERNS_18TensorIteratorBaseEENKUlvE_clEvENKUlvE2_clEvEUlN3c108BFloat16EE_St5arrayIPcLm3EE16OffsetCalculatorILi1EjLb0EESD_ILi2EjLb0EEEEviT0_T1_T2_T3_
                                        ; -- End function
	.section	.AMDGPU.csdata,"",@progbits
; Kernel info:
; codeLenInByte = 3908
; NumSgprs: 82
; NumVgprs: 41
; ScratchSize: 624
; MemoryBound: 0
; FloatMode: 240
; IeeeMode: 1
; LDSByteSize: 10240 bytes/workgroup (compile time only)
; SGPRBlocks: 10
; VGPRBlocks: 5
; NumSGPRsForWavesPerEU: 82
; NumVGPRsForWavesPerEU: 41
; Occupancy: 16
; WaveLimiterHint : 1
; COMPUTE_PGM_RSRC2:SCRATCH_EN: 1
; COMPUTE_PGM_RSRC2:USER_SGPR: 15
; COMPUTE_PGM_RSRC2:TRAP_HANDLER: 0
; COMPUTE_PGM_RSRC2:TGID_X_EN: 1
; COMPUTE_PGM_RSRC2:TGID_Y_EN: 0
; COMPUTE_PGM_RSRC2:TGID_Z_EN: 0
; COMPUTE_PGM_RSRC2:TIDIG_COMP_CNT: 2
	.text
	.p2alignl 7, 3214868480
	.fill 96, 4, 3214868480
	.type	__hip_cuid_71efef259ce808c,@object ; @__hip_cuid_71efef259ce808c
	.section	.bss,"aw",@nobits
	.globl	__hip_cuid_71efef259ce808c
__hip_cuid_71efef259ce808c:
	.byte	0                               ; 0x0
	.size	__hip_cuid_71efef259ce808c, 1

	.ident	"AMD clang version 19.0.0git (https://github.com/RadeonOpenCompute/llvm-project roc-6.4.0 25133 c7fe45cf4b819c5991fe208aaa96edf142730f1d)"
	.section	".note.GNU-stack","",@progbits
	.addrsig
	.addrsig_sym __hip_cuid_71efef259ce808c
	.amdgpu_metadata
---
amdhsa.kernels:
  - .args:
      - .offset:         0
        .size:           4
        .value_kind:     by_value
      - .offset:         4
        .size:           1
        .value_kind:     by_value
      - .offset:         8
        .size:           16
        .value_kind:     by_value
    .group_segment_fixed_size: 0
    .kernarg_segment_align: 8
    .kernarg_segment_size: 24
    .language:       OpenCL C
    .language_version:
      - 2
      - 0
    .max_flat_workgroup_size: 256
    .name:           _ZN2at6native29vectorized_elementwise_kernelILi16EZNS0_23bitwise_not_kernel_cudaERNS_18TensorIteratorBaseEEUlbE_St5arrayIPcLm2EEEEviT0_T1_
    .private_segment_fixed_size: 0
    .sgpr_count:     26
    .sgpr_spill_count: 0
    .symbol:         _ZN2at6native29vectorized_elementwise_kernelILi16EZNS0_23bitwise_not_kernel_cudaERNS_18TensorIteratorBaseEEUlbE_St5arrayIPcLm2EEEEviT0_T1_.kd
    .uniform_work_group_size: 1
    .uses_dynamic_stack: false
    .vgpr_count:     18
    .vgpr_spill_count: 0
    .wavefront_size: 32
    .workgroup_processor_mode: 1
  - .args:
      - .offset:         0
        .size:           4
        .value_kind:     by_value
      - .offset:         4
        .size:           1
        .value_kind:     by_value
      - .offset:         8
        .size:           16
        .value_kind:     by_value
    .group_segment_fixed_size: 0
    .kernarg_segment_align: 8
    .kernarg_segment_size: 24
    .language:       OpenCL C
    .language_version:
      - 2
      - 0
    .max_flat_workgroup_size: 256
    .name:           _ZN2at6native29vectorized_elementwise_kernelILi8EZNS0_23bitwise_not_kernel_cudaERNS_18TensorIteratorBaseEEUlbE_St5arrayIPcLm2EEEEviT0_T1_
    .private_segment_fixed_size: 0
    .sgpr_count:     26
    .sgpr_spill_count: 0
    .symbol:         _ZN2at6native29vectorized_elementwise_kernelILi8EZNS0_23bitwise_not_kernel_cudaERNS_18TensorIteratorBaseEEUlbE_St5arrayIPcLm2EEEEviT0_T1_.kd
    .uniform_work_group_size: 1
    .uses_dynamic_stack: false
    .vgpr_count:     18
    .vgpr_spill_count: 0
    .wavefront_size: 32
    .workgroup_processor_mode: 1
  - .args:
      - .offset:         0
        .size:           4
        .value_kind:     by_value
      - .offset:         4
        .size:           1
        .value_kind:     by_value
      - .offset:         8
        .size:           16
        .value_kind:     by_value
    .group_segment_fixed_size: 0
    .kernarg_segment_align: 8
    .kernarg_segment_size: 24
    .language:       OpenCL C
    .language_version:
      - 2
      - 0
    .max_flat_workgroup_size: 256
    .name:           _ZN2at6native29vectorized_elementwise_kernelILi4EZNS0_23bitwise_not_kernel_cudaERNS_18TensorIteratorBaseEEUlbE_St5arrayIPcLm2EEEEviT0_T1_
    .private_segment_fixed_size: 0
    .sgpr_count:     26
    .sgpr_spill_count: 0
    .symbol:         _ZN2at6native29vectorized_elementwise_kernelILi4EZNS0_23bitwise_not_kernel_cudaERNS_18TensorIteratorBaseEEUlbE_St5arrayIPcLm2EEEEviT0_T1_.kd
    .uniform_work_group_size: 1
    .uses_dynamic_stack: false
    .vgpr_count:     18
    .vgpr_spill_count: 0
    .wavefront_size: 32
    .workgroup_processor_mode: 1
  - .args:
      - .offset:         0
        .size:           4
        .value_kind:     by_value
      - .offset:         4
        .size:           1
        .value_kind:     by_value
      - .offset:         8
        .size:           16
        .value_kind:     by_value
    .group_segment_fixed_size: 0
    .kernarg_segment_align: 8
    .kernarg_segment_size: 24
    .language:       OpenCL C
    .language_version:
      - 2
      - 0
    .max_flat_workgroup_size: 256
    .name:           _ZN2at6native29vectorized_elementwise_kernelILi2EZNS0_23bitwise_not_kernel_cudaERNS_18TensorIteratorBaseEEUlbE_St5arrayIPcLm2EEEEviT0_T1_
    .private_segment_fixed_size: 0
    .sgpr_count:     26
    .sgpr_spill_count: 0
    .symbol:         _ZN2at6native29vectorized_elementwise_kernelILi2EZNS0_23bitwise_not_kernel_cudaERNS_18TensorIteratorBaseEEUlbE_St5arrayIPcLm2EEEEviT0_T1_.kd
    .uniform_work_group_size: 1
    .uses_dynamic_stack: false
    .vgpr_count:     18
    .vgpr_spill_count: 0
    .wavefront_size: 32
    .workgroup_processor_mode: 1
  - .args:
      - .offset:         0
        .size:           4
        .value_kind:     by_value
      - .offset:         4
        .size:           1
        .value_kind:     by_value
      - .offset:         8
        .size:           16
        .value_kind:     by_value
      - .offset:         24
        .size:           1
        .value_kind:     by_value
      - .offset:         25
        .size:           1
        .value_kind:     by_value
      - .offset:         26
        .size:           1
        .value_kind:     by_value
      - .offset:         27
        .size:           1
        .value_kind:     by_value
    .group_segment_fixed_size: 0
    .kernarg_segment_align: 8
    .kernarg_segment_size: 28
    .language:       OpenCL C
    .language_version:
      - 2
      - 0
    .max_flat_workgroup_size: 256
    .name:           _ZN2at6native27unrolled_elementwise_kernelIZNS0_23bitwise_not_kernel_cudaERNS_18TensorIteratorBaseEEUlbE_St5arrayIPcLm2EELi4E23TrivialOffsetCalculatorILi1EjES9_NS0_6memory15LoadWithoutCastENSA_16StoreWithoutCastEEEviT_T0_T2_T3_T4_T5_
    .private_segment_fixed_size: 0
    .sgpr_count:     18
    .sgpr_spill_count: 0
    .symbol:         _ZN2at6native27unrolled_elementwise_kernelIZNS0_23bitwise_not_kernel_cudaERNS_18TensorIteratorBaseEEUlbE_St5arrayIPcLm2EELi4E23TrivialOffsetCalculatorILi1EjES9_NS0_6memory15LoadWithoutCastENSA_16StoreWithoutCastEEEviT_T0_T2_T3_T4_T5_.kd
    .uniform_work_group_size: 1
    .uses_dynamic_stack: false
    .vgpr_count:     6
    .vgpr_spill_count: 0
    .wavefront_size: 32
    .workgroup_processor_mode: 1
  - .args:
      - .offset:         0
        .size:           4
        .value_kind:     by_value
      - .offset:         8
        .size:           352
        .value_kind:     by_value
    .group_segment_fixed_size: 0
    .kernarg_segment_align: 8
    .kernarg_segment_size: 360
    .language:       OpenCL C
    .language_version:
      - 2
      - 0
    .max_flat_workgroup_size: 128
    .name:           _ZN2at6native32elementwise_kernel_manual_unrollILi128ELi8EZNS0_22gpu_kernel_impl_nocastIZNS0_23bitwise_not_kernel_cudaERNS_18TensorIteratorBaseEEUlbE_EEvS4_RKT_EUlibE_EEviT1_
    .private_segment_fixed_size: 0
    .sgpr_count:     58
    .sgpr_spill_count: 0
    .symbol:         _ZN2at6native32elementwise_kernel_manual_unrollILi128ELi8EZNS0_22gpu_kernel_impl_nocastIZNS0_23bitwise_not_kernel_cudaERNS_18TensorIteratorBaseEEUlbE_EEvS4_RKT_EUlibE_EEviT1_.kd
    .uniform_work_group_size: 1
    .uses_dynamic_stack: false
    .vgpr_count:     26
    .vgpr_spill_count: 0
    .wavefront_size: 32
    .workgroup_processor_mode: 1
  - .args:
      - .offset:         0
        .size:           4
        .value_kind:     by_value
      - .offset:         8
        .size:           32
        .value_kind:     by_value
    .group_segment_fixed_size: 0
    .kernarg_segment_align: 8
    .kernarg_segment_size: 40
    .language:       OpenCL C
    .language_version:
      - 2
      - 0
    .max_flat_workgroup_size: 128
    .name:           _ZN2at6native32elementwise_kernel_manual_unrollILi128ELi4EZNS0_15gpu_kernel_implIZNS0_23bitwise_not_kernel_cudaERNS_18TensorIteratorBaseEEUlbE_EEvS4_RKT_EUlibE_EEviT1_
    .private_segment_fixed_size: 0
    .sgpr_count:     27
    .sgpr_spill_count: 0
    .symbol:         _ZN2at6native32elementwise_kernel_manual_unrollILi128ELi4EZNS0_15gpu_kernel_implIZNS0_23bitwise_not_kernel_cudaERNS_18TensorIteratorBaseEEUlbE_EEvS4_RKT_EUlibE_EEviT1_.kd
    .uniform_work_group_size: 1
    .uses_dynamic_stack: false
    .vgpr_count:     10
    .vgpr_spill_count: 0
    .wavefront_size: 32
    .workgroup_processor_mode: 1
  - .args:
      - .offset:         0
        .size:           4
        .value_kind:     by_value
      - .offset:         8
        .size:           352
        .value_kind:     by_value
    .group_segment_fixed_size: 0
    .kernarg_segment_align: 8
    .kernarg_segment_size: 360
    .language:       OpenCL C
    .language_version:
      - 2
      - 0
    .max_flat_workgroup_size: 128
    .name:           _ZN2at6native32elementwise_kernel_manual_unrollILi128ELi4EZNS0_15gpu_kernel_implIZNS0_23bitwise_not_kernel_cudaERNS_18TensorIteratorBaseEEUlbE_EEvS4_RKT_EUlibE0_EEviT1_
    .private_segment_fixed_size: 0
    .sgpr_count:     70
    .sgpr_spill_count: 0
    .symbol:         _ZN2at6native32elementwise_kernel_manual_unrollILi128ELi4EZNS0_15gpu_kernel_implIZNS0_23bitwise_not_kernel_cudaERNS_18TensorIteratorBaseEEUlbE_EEvS4_RKT_EUlibE0_EEviT1_.kd
    .uniform_work_group_size: 1
    .uses_dynamic_stack: false
    .vgpr_count:     18
    .vgpr_spill_count: 0
    .wavefront_size: 32
    .workgroup_processor_mode: 1
  - .args:
      - .offset:         0
        .size:           4
        .value_kind:     by_value
      - .offset:         4
        .size:           1
        .value_kind:     by_value
      - .offset:         8
        .size:           16
        .value_kind:     by_value
    .group_segment_fixed_size: 0
    .kernarg_segment_align: 8
    .kernarg_segment_size: 24
    .language:       OpenCL C
    .language_version:
      - 2
      - 0
    .max_flat_workgroup_size: 256
    .name:           _ZN2at6native29vectorized_elementwise_kernelILi16EZZZNS0_23bitwise_not_kernel_cudaERNS_18TensorIteratorBaseEENKUlvE_clEvENKUlvE_clEvEUlhE_St5arrayIPcLm2EEEEviT0_T1_
    .private_segment_fixed_size: 0
    .sgpr_count:     18
    .sgpr_spill_count: 0
    .symbol:         _ZN2at6native29vectorized_elementwise_kernelILi16EZZZNS0_23bitwise_not_kernel_cudaERNS_18TensorIteratorBaseEENKUlvE_clEvENKUlvE_clEvEUlhE_St5arrayIPcLm2EEEEviT0_T1_.kd
    .uniform_work_group_size: 1
    .uses_dynamic_stack: false
    .vgpr_count:     22
    .vgpr_spill_count: 0
    .wavefront_size: 32
    .workgroup_processor_mode: 1
  - .args:
      - .offset:         0
        .size:           4
        .value_kind:     by_value
      - .offset:         4
        .size:           1
        .value_kind:     by_value
      - .offset:         8
        .size:           16
        .value_kind:     by_value
    .group_segment_fixed_size: 0
    .kernarg_segment_align: 8
    .kernarg_segment_size: 24
    .language:       OpenCL C
    .language_version:
      - 2
      - 0
    .max_flat_workgroup_size: 256
    .name:           _ZN2at6native29vectorized_elementwise_kernelILi8EZZZNS0_23bitwise_not_kernel_cudaERNS_18TensorIteratorBaseEENKUlvE_clEvENKUlvE_clEvEUlhE_St5arrayIPcLm2EEEEviT0_T1_
    .private_segment_fixed_size: 0
    .sgpr_count:     18
    .sgpr_spill_count: 0
    .symbol:         _ZN2at6native29vectorized_elementwise_kernelILi8EZZZNS0_23bitwise_not_kernel_cudaERNS_18TensorIteratorBaseEENKUlvE_clEvENKUlvE_clEvEUlhE_St5arrayIPcLm2EEEEviT0_T1_.kd
    .uniform_work_group_size: 1
    .uses_dynamic_stack: false
    .vgpr_count:     22
    .vgpr_spill_count: 0
    .wavefront_size: 32
    .workgroup_processor_mode: 1
  - .args:
      - .offset:         0
        .size:           4
        .value_kind:     by_value
      - .offset:         4
        .size:           1
        .value_kind:     by_value
      - .offset:         8
        .size:           16
        .value_kind:     by_value
    .group_segment_fixed_size: 0
    .kernarg_segment_align: 8
    .kernarg_segment_size: 24
    .language:       OpenCL C
    .language_version:
      - 2
      - 0
    .max_flat_workgroup_size: 256
    .name:           _ZN2at6native29vectorized_elementwise_kernelILi4EZZZNS0_23bitwise_not_kernel_cudaERNS_18TensorIteratorBaseEENKUlvE_clEvENKUlvE_clEvEUlhE_St5arrayIPcLm2EEEEviT0_T1_
    .private_segment_fixed_size: 0
    .sgpr_count:     18
    .sgpr_spill_count: 0
    .symbol:         _ZN2at6native29vectorized_elementwise_kernelILi4EZZZNS0_23bitwise_not_kernel_cudaERNS_18TensorIteratorBaseEENKUlvE_clEvENKUlvE_clEvEUlhE_St5arrayIPcLm2EEEEviT0_T1_.kd
    .uniform_work_group_size: 1
    .uses_dynamic_stack: false
    .vgpr_count:     22
    .vgpr_spill_count: 0
    .wavefront_size: 32
    .workgroup_processor_mode: 1
  - .args:
      - .offset:         0
        .size:           4
        .value_kind:     by_value
      - .offset:         4
        .size:           1
        .value_kind:     by_value
      - .offset:         8
        .size:           16
        .value_kind:     by_value
    .group_segment_fixed_size: 0
    .kernarg_segment_align: 8
    .kernarg_segment_size: 24
    .language:       OpenCL C
    .language_version:
      - 2
      - 0
    .max_flat_workgroup_size: 256
    .name:           _ZN2at6native29vectorized_elementwise_kernelILi2EZZZNS0_23bitwise_not_kernel_cudaERNS_18TensorIteratorBaseEENKUlvE_clEvENKUlvE_clEvEUlhE_St5arrayIPcLm2EEEEviT0_T1_
    .private_segment_fixed_size: 0
    .sgpr_count:     18
    .sgpr_spill_count: 0
    .symbol:         _ZN2at6native29vectorized_elementwise_kernelILi2EZZZNS0_23bitwise_not_kernel_cudaERNS_18TensorIteratorBaseEENKUlvE_clEvENKUlvE_clEvEUlhE_St5arrayIPcLm2EEEEviT0_T1_.kd
    .uniform_work_group_size: 1
    .uses_dynamic_stack: false
    .vgpr_count:     22
    .vgpr_spill_count: 0
    .wavefront_size: 32
    .workgroup_processor_mode: 1
  - .args:
      - .offset:         0
        .size:           4
        .value_kind:     by_value
      - .offset:         4
        .size:           1
        .value_kind:     by_value
      - .offset:         8
        .size:           16
        .value_kind:     by_value
      - .offset:         24
        .size:           1
        .value_kind:     by_value
      - .offset:         25
        .size:           1
        .value_kind:     by_value
      - .offset:         26
        .size:           1
        .value_kind:     by_value
      - .offset:         27
        .size:           1
        .value_kind:     by_value
    .group_segment_fixed_size: 0
    .kernarg_segment_align: 8
    .kernarg_segment_size: 28
    .language:       OpenCL C
    .language_version:
      - 2
      - 0
    .max_flat_workgroup_size: 256
    .name:           _ZN2at6native27unrolled_elementwise_kernelIZZZNS0_23bitwise_not_kernel_cudaERNS_18TensorIteratorBaseEENKUlvE_clEvENKUlvE_clEvEUlhE_St5arrayIPcLm2EELi4E23TrivialOffsetCalculatorILi1EjESB_NS0_6memory15LoadWithoutCastENSC_16StoreWithoutCastEEEviT_T0_T2_T3_T4_T5_
    .private_segment_fixed_size: 0
    .sgpr_count:     18
    .sgpr_spill_count: 0
    .symbol:         _ZN2at6native27unrolled_elementwise_kernelIZZZNS0_23bitwise_not_kernel_cudaERNS_18TensorIteratorBaseEENKUlvE_clEvENKUlvE_clEvEUlhE_St5arrayIPcLm2EELi4E23TrivialOffsetCalculatorILi1EjESB_NS0_6memory15LoadWithoutCastENSC_16StoreWithoutCastEEEviT_T0_T2_T3_T4_T5_.kd
    .uniform_work_group_size: 1
    .uses_dynamic_stack: false
    .vgpr_count:     8
    .vgpr_spill_count: 0
    .wavefront_size: 32
    .workgroup_processor_mode: 1
  - .args:
      - .offset:         0
        .size:           4
        .value_kind:     by_value
      - .offset:         8
        .size:           352
        .value_kind:     by_value
    .group_segment_fixed_size: 0
    .kernarg_segment_align: 8
    .kernarg_segment_size: 360
    .language:       OpenCL C
    .language_version:
      - 2
      - 0
    .max_flat_workgroup_size: 128
    .name:           _ZN2at6native32elementwise_kernel_manual_unrollILi128ELi8EZNS0_22gpu_kernel_impl_nocastIZZZNS0_23bitwise_not_kernel_cudaERNS_18TensorIteratorBaseEENKUlvE_clEvENKUlvE_clEvEUlhE_EEvS4_RKT_EUlibE_EEviT1_
    .private_segment_fixed_size: 0
    .sgpr_count:     58
    .sgpr_spill_count: 0
    .symbol:         _ZN2at6native32elementwise_kernel_manual_unrollILi128ELi8EZNS0_22gpu_kernel_impl_nocastIZZZNS0_23bitwise_not_kernel_cudaERNS_18TensorIteratorBaseEENKUlvE_clEvENKUlvE_clEvEUlhE_EEvS4_RKT_EUlibE_EEviT1_.kd
    .uniform_work_group_size: 1
    .uses_dynamic_stack: false
    .vgpr_count:     26
    .vgpr_spill_count: 0
    .wavefront_size: 32
    .workgroup_processor_mode: 1
  - .args:
      - .offset:         0
        .size:           4
        .value_kind:     by_value
      - .offset:         8
        .size:           32
        .value_kind:     by_value
    .group_segment_fixed_size: 0
    .kernarg_segment_align: 8
    .kernarg_segment_size: 40
    .language:       OpenCL C
    .language_version:
      - 2
      - 0
    .max_flat_workgroup_size: 128
    .name:           _ZN2at6native32elementwise_kernel_manual_unrollILi128ELi4EZNS0_15gpu_kernel_implIZZZNS0_23bitwise_not_kernel_cudaERNS_18TensorIteratorBaseEENKUlvE_clEvENKUlvE_clEvEUlhE_EEvS4_RKT_EUlibE_EEviT1_
    .private_segment_fixed_size: 0
    .sgpr_count:     26
    .sgpr_spill_count: 0
    .symbol:         _ZN2at6native32elementwise_kernel_manual_unrollILi128ELi4EZNS0_15gpu_kernel_implIZZZNS0_23bitwise_not_kernel_cudaERNS_18TensorIteratorBaseEENKUlvE_clEvENKUlvE_clEvEUlhE_EEvS4_RKT_EUlibE_EEviT1_.kd
    .uniform_work_group_size: 1
    .uses_dynamic_stack: false
    .vgpr_count:     15
    .vgpr_spill_count: 0
    .wavefront_size: 32
    .workgroup_processor_mode: 1
  - .args:
      - .offset:         0
        .size:           4
        .value_kind:     by_value
      - .offset:         8
        .size:           352
        .value_kind:     by_value
    .group_segment_fixed_size: 0
    .kernarg_segment_align: 8
    .kernarg_segment_size: 360
    .language:       OpenCL C
    .language_version:
      - 2
      - 0
    .max_flat_workgroup_size: 128
    .name:           _ZN2at6native32elementwise_kernel_manual_unrollILi128ELi4EZNS0_15gpu_kernel_implIZZZNS0_23bitwise_not_kernel_cudaERNS_18TensorIteratorBaseEENKUlvE_clEvENKUlvE_clEvEUlhE_EEvS4_RKT_EUlibE0_EEviT1_
    .private_segment_fixed_size: 0
    .sgpr_count:     70
    .sgpr_spill_count: 0
    .symbol:         _ZN2at6native32elementwise_kernel_manual_unrollILi128ELi4EZNS0_15gpu_kernel_implIZZZNS0_23bitwise_not_kernel_cudaERNS_18TensorIteratorBaseEENKUlvE_clEvENKUlvE_clEvEUlhE_EEvS4_RKT_EUlibE0_EEviT1_.kd
    .uniform_work_group_size: 1
    .uses_dynamic_stack: false
    .vgpr_count:     18
    .vgpr_spill_count: 0
    .wavefront_size: 32
    .workgroup_processor_mode: 1
  - .args:
      - .offset:         0
        .size:           4
        .value_kind:     by_value
      - .offset:         4
        .size:           1
        .value_kind:     by_value
      - .offset:         8
        .size:           16
        .value_kind:     by_value
    .group_segment_fixed_size: 0
    .kernarg_segment_align: 8
    .kernarg_segment_size: 24
    .language:       OpenCL C
    .language_version:
      - 2
      - 0
    .max_flat_workgroup_size: 256
    .name:           _ZN2at6native29vectorized_elementwise_kernelILi16EZZZNS0_23bitwise_not_kernel_cudaERNS_18TensorIteratorBaseEENKUlvE_clEvENKUlvE0_clEvEUlaE_St5arrayIPcLm2EEEEviT0_T1_
    .private_segment_fixed_size: 0
    .sgpr_count:     18
    .sgpr_spill_count: 0
    .symbol:         _ZN2at6native29vectorized_elementwise_kernelILi16EZZZNS0_23bitwise_not_kernel_cudaERNS_18TensorIteratorBaseEENKUlvE_clEvENKUlvE0_clEvEUlaE_St5arrayIPcLm2EEEEviT0_T1_.kd
    .uniform_work_group_size: 1
    .uses_dynamic_stack: false
    .vgpr_count:     22
    .vgpr_spill_count: 0
    .wavefront_size: 32
    .workgroup_processor_mode: 1
  - .args:
      - .offset:         0
        .size:           4
        .value_kind:     by_value
      - .offset:         4
        .size:           1
        .value_kind:     by_value
      - .offset:         8
        .size:           16
        .value_kind:     by_value
    .group_segment_fixed_size: 0
    .kernarg_segment_align: 8
    .kernarg_segment_size: 24
    .language:       OpenCL C
    .language_version:
      - 2
      - 0
    .max_flat_workgroup_size: 256
    .name:           _ZN2at6native29vectorized_elementwise_kernelILi8EZZZNS0_23bitwise_not_kernel_cudaERNS_18TensorIteratorBaseEENKUlvE_clEvENKUlvE0_clEvEUlaE_St5arrayIPcLm2EEEEviT0_T1_
    .private_segment_fixed_size: 0
    .sgpr_count:     18
    .sgpr_spill_count: 0
    .symbol:         _ZN2at6native29vectorized_elementwise_kernelILi8EZZZNS0_23bitwise_not_kernel_cudaERNS_18TensorIteratorBaseEENKUlvE_clEvENKUlvE0_clEvEUlaE_St5arrayIPcLm2EEEEviT0_T1_.kd
    .uniform_work_group_size: 1
    .uses_dynamic_stack: false
    .vgpr_count:     22
    .vgpr_spill_count: 0
    .wavefront_size: 32
    .workgroup_processor_mode: 1
  - .args:
      - .offset:         0
        .size:           4
        .value_kind:     by_value
      - .offset:         4
        .size:           1
        .value_kind:     by_value
      - .offset:         8
        .size:           16
        .value_kind:     by_value
    .group_segment_fixed_size: 0
    .kernarg_segment_align: 8
    .kernarg_segment_size: 24
    .language:       OpenCL C
    .language_version:
      - 2
      - 0
    .max_flat_workgroup_size: 256
    .name:           _ZN2at6native29vectorized_elementwise_kernelILi4EZZZNS0_23bitwise_not_kernel_cudaERNS_18TensorIteratorBaseEENKUlvE_clEvENKUlvE0_clEvEUlaE_St5arrayIPcLm2EEEEviT0_T1_
    .private_segment_fixed_size: 0
    .sgpr_count:     18
    .sgpr_spill_count: 0
    .symbol:         _ZN2at6native29vectorized_elementwise_kernelILi4EZZZNS0_23bitwise_not_kernel_cudaERNS_18TensorIteratorBaseEENKUlvE_clEvENKUlvE0_clEvEUlaE_St5arrayIPcLm2EEEEviT0_T1_.kd
    .uniform_work_group_size: 1
    .uses_dynamic_stack: false
    .vgpr_count:     22
    .vgpr_spill_count: 0
    .wavefront_size: 32
    .workgroup_processor_mode: 1
  - .args:
      - .offset:         0
        .size:           4
        .value_kind:     by_value
      - .offset:         4
        .size:           1
        .value_kind:     by_value
      - .offset:         8
        .size:           16
        .value_kind:     by_value
    .group_segment_fixed_size: 0
    .kernarg_segment_align: 8
    .kernarg_segment_size: 24
    .language:       OpenCL C
    .language_version:
      - 2
      - 0
    .max_flat_workgroup_size: 256
    .name:           _ZN2at6native29vectorized_elementwise_kernelILi2EZZZNS0_23bitwise_not_kernel_cudaERNS_18TensorIteratorBaseEENKUlvE_clEvENKUlvE0_clEvEUlaE_St5arrayIPcLm2EEEEviT0_T1_
    .private_segment_fixed_size: 0
    .sgpr_count:     18
    .sgpr_spill_count: 0
    .symbol:         _ZN2at6native29vectorized_elementwise_kernelILi2EZZZNS0_23bitwise_not_kernel_cudaERNS_18TensorIteratorBaseEENKUlvE_clEvENKUlvE0_clEvEUlaE_St5arrayIPcLm2EEEEviT0_T1_.kd
    .uniform_work_group_size: 1
    .uses_dynamic_stack: false
    .vgpr_count:     22
    .vgpr_spill_count: 0
    .wavefront_size: 32
    .workgroup_processor_mode: 1
  - .args:
      - .offset:         0
        .size:           4
        .value_kind:     by_value
      - .offset:         4
        .size:           1
        .value_kind:     by_value
      - .offset:         8
        .size:           16
        .value_kind:     by_value
      - .offset:         24
        .size:           1
        .value_kind:     by_value
      - .offset:         25
        .size:           1
        .value_kind:     by_value
      - .offset:         26
        .size:           1
        .value_kind:     by_value
      - .offset:         27
        .size:           1
        .value_kind:     by_value
    .group_segment_fixed_size: 0
    .kernarg_segment_align: 8
    .kernarg_segment_size: 28
    .language:       OpenCL C
    .language_version:
      - 2
      - 0
    .max_flat_workgroup_size: 256
    .name:           _ZN2at6native27unrolled_elementwise_kernelIZZZNS0_23bitwise_not_kernel_cudaERNS_18TensorIteratorBaseEENKUlvE_clEvENKUlvE0_clEvEUlaE_St5arrayIPcLm2EELi4E23TrivialOffsetCalculatorILi1EjESB_NS0_6memory15LoadWithoutCastENSC_16StoreWithoutCastEEEviT_T0_T2_T3_T4_T5_
    .private_segment_fixed_size: 0
    .sgpr_count:     18
    .sgpr_spill_count: 0
    .symbol:         _ZN2at6native27unrolled_elementwise_kernelIZZZNS0_23bitwise_not_kernel_cudaERNS_18TensorIteratorBaseEENKUlvE_clEvENKUlvE0_clEvEUlaE_St5arrayIPcLm2EELi4E23TrivialOffsetCalculatorILi1EjESB_NS0_6memory15LoadWithoutCastENSC_16StoreWithoutCastEEEviT_T0_T2_T3_T4_T5_.kd
    .uniform_work_group_size: 1
    .uses_dynamic_stack: false
    .vgpr_count:     8
    .vgpr_spill_count: 0
    .wavefront_size: 32
    .workgroup_processor_mode: 1
  - .args:
      - .offset:         0
        .size:           4
        .value_kind:     by_value
      - .offset:         8
        .size:           352
        .value_kind:     by_value
    .group_segment_fixed_size: 0
    .kernarg_segment_align: 8
    .kernarg_segment_size: 360
    .language:       OpenCL C
    .language_version:
      - 2
      - 0
    .max_flat_workgroup_size: 128
    .name:           _ZN2at6native32elementwise_kernel_manual_unrollILi128ELi8EZNS0_22gpu_kernel_impl_nocastIZZZNS0_23bitwise_not_kernel_cudaERNS_18TensorIteratorBaseEENKUlvE_clEvENKUlvE0_clEvEUlaE_EEvS4_RKT_EUlibE_EEviT1_
    .private_segment_fixed_size: 0
    .sgpr_count:     58
    .sgpr_spill_count: 0
    .symbol:         _ZN2at6native32elementwise_kernel_manual_unrollILi128ELi8EZNS0_22gpu_kernel_impl_nocastIZZZNS0_23bitwise_not_kernel_cudaERNS_18TensorIteratorBaseEENKUlvE_clEvENKUlvE0_clEvEUlaE_EEvS4_RKT_EUlibE_EEviT1_.kd
    .uniform_work_group_size: 1
    .uses_dynamic_stack: false
    .vgpr_count:     26
    .vgpr_spill_count: 0
    .wavefront_size: 32
    .workgroup_processor_mode: 1
  - .args:
      - .offset:         0
        .size:           4
        .value_kind:     by_value
      - .offset:         8
        .size:           32
        .value_kind:     by_value
    .group_segment_fixed_size: 0
    .kernarg_segment_align: 8
    .kernarg_segment_size: 40
    .language:       OpenCL C
    .language_version:
      - 2
      - 0
    .max_flat_workgroup_size: 128
    .name:           _ZN2at6native32elementwise_kernel_manual_unrollILi128ELi4EZNS0_15gpu_kernel_implIZZZNS0_23bitwise_not_kernel_cudaERNS_18TensorIteratorBaseEENKUlvE_clEvENKUlvE0_clEvEUlaE_EEvS4_RKT_EUlibE_EEviT1_
    .private_segment_fixed_size: 0
    .sgpr_count:     26
    .sgpr_spill_count: 0
    .symbol:         _ZN2at6native32elementwise_kernel_manual_unrollILi128ELi4EZNS0_15gpu_kernel_implIZZZNS0_23bitwise_not_kernel_cudaERNS_18TensorIteratorBaseEENKUlvE_clEvENKUlvE0_clEvEUlaE_EEvS4_RKT_EUlibE_EEviT1_.kd
    .uniform_work_group_size: 1
    .uses_dynamic_stack: false
    .vgpr_count:     17
    .vgpr_spill_count: 0
    .wavefront_size: 32
    .workgroup_processor_mode: 1
  - .args:
      - .offset:         0
        .size:           4
        .value_kind:     by_value
      - .offset:         8
        .size:           352
        .value_kind:     by_value
    .group_segment_fixed_size: 0
    .kernarg_segment_align: 8
    .kernarg_segment_size: 360
    .language:       OpenCL C
    .language_version:
      - 2
      - 0
    .max_flat_workgroup_size: 128
    .name:           _ZN2at6native32elementwise_kernel_manual_unrollILi128ELi4EZNS0_15gpu_kernel_implIZZZNS0_23bitwise_not_kernel_cudaERNS_18TensorIteratorBaseEENKUlvE_clEvENKUlvE0_clEvEUlaE_EEvS4_RKT_EUlibE0_EEviT1_
    .private_segment_fixed_size: 0
    .sgpr_count:     70
    .sgpr_spill_count: 0
    .symbol:         _ZN2at6native32elementwise_kernel_manual_unrollILi128ELi4EZNS0_15gpu_kernel_implIZZZNS0_23bitwise_not_kernel_cudaERNS_18TensorIteratorBaseEENKUlvE_clEvENKUlvE0_clEvEUlaE_EEvS4_RKT_EUlibE0_EEviT1_.kd
    .uniform_work_group_size: 1
    .uses_dynamic_stack: false
    .vgpr_count:     18
    .vgpr_spill_count: 0
    .wavefront_size: 32
    .workgroup_processor_mode: 1
  - .args:
      - .offset:         0
        .size:           4
        .value_kind:     by_value
      - .offset:         4
        .size:           1
        .value_kind:     by_value
      - .offset:         8
        .size:           16
        .value_kind:     by_value
    .group_segment_fixed_size: 0
    .kernarg_segment_align: 8
    .kernarg_segment_size: 24
    .language:       OpenCL C
    .language_version:
      - 2
      - 0
    .max_flat_workgroup_size: 256
    .name:           _ZN2at6native29vectorized_elementwise_kernelILi16EZZZNS0_23bitwise_not_kernel_cudaERNS_18TensorIteratorBaseEENKUlvE_clEvENKUlvE1_clEvEUliE_St5arrayIPcLm2EEEEviT0_T1_
    .private_segment_fixed_size: 0
    .sgpr_count:     18
    .sgpr_spill_count: 0
    .symbol:         _ZN2at6native29vectorized_elementwise_kernelILi16EZZZNS0_23bitwise_not_kernel_cudaERNS_18TensorIteratorBaseEENKUlvE_clEvENKUlvE1_clEvEUliE_St5arrayIPcLm2EEEEviT0_T1_.kd
    .uniform_work_group_size: 1
    .uses_dynamic_stack: false
    .vgpr_count:     10
    .vgpr_spill_count: 0
    .wavefront_size: 32
    .workgroup_processor_mode: 1
  - .args:
      - .offset:         0
        .size:           4
        .value_kind:     by_value
      - .offset:         4
        .size:           1
        .value_kind:     by_value
      - .offset:         8
        .size:           16
        .value_kind:     by_value
    .group_segment_fixed_size: 0
    .kernarg_segment_align: 8
    .kernarg_segment_size: 24
    .language:       OpenCL C
    .language_version:
      - 2
      - 0
    .max_flat_workgroup_size: 256
    .name:           _ZN2at6native29vectorized_elementwise_kernelILi8EZZZNS0_23bitwise_not_kernel_cudaERNS_18TensorIteratorBaseEENKUlvE_clEvENKUlvE1_clEvEUliE_St5arrayIPcLm2EEEEviT0_T1_
    .private_segment_fixed_size: 0
    .sgpr_count:     18
    .sgpr_spill_count: 0
    .symbol:         _ZN2at6native29vectorized_elementwise_kernelILi8EZZZNS0_23bitwise_not_kernel_cudaERNS_18TensorIteratorBaseEENKUlvE_clEvENKUlvE1_clEvEUliE_St5arrayIPcLm2EEEEviT0_T1_.kd
    .uniform_work_group_size: 1
    .uses_dynamic_stack: false
    .vgpr_count:     10
    .vgpr_spill_count: 0
    .wavefront_size: 32
    .workgroup_processor_mode: 1
  - .args:
      - .offset:         0
        .size:           4
        .value_kind:     by_value
      - .offset:         4
        .size:           1
        .value_kind:     by_value
      - .offset:         8
        .size:           16
        .value_kind:     by_value
    .group_segment_fixed_size: 0
    .kernarg_segment_align: 8
    .kernarg_segment_size: 24
    .language:       OpenCL C
    .language_version:
      - 2
      - 0
    .max_flat_workgroup_size: 256
    .name:           _ZN2at6native29vectorized_elementwise_kernelILi4EZZZNS0_23bitwise_not_kernel_cudaERNS_18TensorIteratorBaseEENKUlvE_clEvENKUlvE1_clEvEUliE_St5arrayIPcLm2EEEEviT0_T1_
    .private_segment_fixed_size: 0
    .sgpr_count:     18
    .sgpr_spill_count: 0
    .symbol:         _ZN2at6native29vectorized_elementwise_kernelILi4EZZZNS0_23bitwise_not_kernel_cudaERNS_18TensorIteratorBaseEENKUlvE_clEvENKUlvE1_clEvEUliE_St5arrayIPcLm2EEEEviT0_T1_.kd
    .uniform_work_group_size: 1
    .uses_dynamic_stack: false
    .vgpr_count:     10
    .vgpr_spill_count: 0
    .wavefront_size: 32
    .workgroup_processor_mode: 1
  - .args:
      - .offset:         0
        .size:           4
        .value_kind:     by_value
      - .offset:         4
        .size:           1
        .value_kind:     by_value
      - .offset:         8
        .size:           16
        .value_kind:     by_value
    .group_segment_fixed_size: 0
    .kernarg_segment_align: 8
    .kernarg_segment_size: 24
    .language:       OpenCL C
    .language_version:
      - 2
      - 0
    .max_flat_workgroup_size: 256
    .name:           _ZN2at6native29vectorized_elementwise_kernelILi2EZZZNS0_23bitwise_not_kernel_cudaERNS_18TensorIteratorBaseEENKUlvE_clEvENKUlvE1_clEvEUliE_St5arrayIPcLm2EEEEviT0_T1_
    .private_segment_fixed_size: 0
    .sgpr_count:     18
    .sgpr_spill_count: 0
    .symbol:         _ZN2at6native29vectorized_elementwise_kernelILi2EZZZNS0_23bitwise_not_kernel_cudaERNS_18TensorIteratorBaseEENKUlvE_clEvENKUlvE1_clEvEUliE_St5arrayIPcLm2EEEEviT0_T1_.kd
    .uniform_work_group_size: 1
    .uses_dynamic_stack: false
    .vgpr_count:     10
    .vgpr_spill_count: 0
    .wavefront_size: 32
    .workgroup_processor_mode: 1
  - .args:
      - .offset:         0
        .size:           4
        .value_kind:     by_value
      - .offset:         4
        .size:           1
        .value_kind:     by_value
      - .offset:         8
        .size:           16
        .value_kind:     by_value
      - .offset:         24
        .size:           1
        .value_kind:     by_value
      - .offset:         25
        .size:           1
        .value_kind:     by_value
      - .offset:         26
        .size:           1
        .value_kind:     by_value
      - .offset:         27
        .size:           1
        .value_kind:     by_value
    .group_segment_fixed_size: 0
    .kernarg_segment_align: 8
    .kernarg_segment_size: 28
    .language:       OpenCL C
    .language_version:
      - 2
      - 0
    .max_flat_workgroup_size: 256
    .name:           _ZN2at6native27unrolled_elementwise_kernelIZZZNS0_23bitwise_not_kernel_cudaERNS_18TensorIteratorBaseEENKUlvE_clEvENKUlvE1_clEvEUliE_St5arrayIPcLm2EELi4E23TrivialOffsetCalculatorILi1EjESB_NS0_6memory15LoadWithoutCastENSC_16StoreWithoutCastEEEviT_T0_T2_T3_T4_T5_
    .private_segment_fixed_size: 0
    .sgpr_count:     18
    .sgpr_spill_count: 0
    .symbol:         _ZN2at6native27unrolled_elementwise_kernelIZZZNS0_23bitwise_not_kernel_cudaERNS_18TensorIteratorBaseEENKUlvE_clEvENKUlvE1_clEvEUliE_St5arrayIPcLm2EELi4E23TrivialOffsetCalculatorILi1EjESB_NS0_6memory15LoadWithoutCastENSC_16StoreWithoutCastEEEviT_T0_T2_T3_T4_T5_.kd
    .uniform_work_group_size: 1
    .uses_dynamic_stack: false
    .vgpr_count:     10
    .vgpr_spill_count: 0
    .wavefront_size: 32
    .workgroup_processor_mode: 1
  - .args:
      - .offset:         0
        .size:           4
        .value_kind:     by_value
      - .offset:         8
        .size:           352
        .value_kind:     by_value
    .group_segment_fixed_size: 0
    .kernarg_segment_align: 8
    .kernarg_segment_size: 360
    .language:       OpenCL C
    .language_version:
      - 2
      - 0
    .max_flat_workgroup_size: 128
    .name:           _ZN2at6native32elementwise_kernel_manual_unrollILi128ELi4EZNS0_22gpu_kernel_impl_nocastIZZZNS0_23bitwise_not_kernel_cudaERNS_18TensorIteratorBaseEENKUlvE_clEvENKUlvE1_clEvEUliE_EEvS4_RKT_EUlibE_EEviT1_
    .private_segment_fixed_size: 0
    .sgpr_count:     58
    .sgpr_spill_count: 0
    .symbol:         _ZN2at6native32elementwise_kernel_manual_unrollILi128ELi4EZNS0_22gpu_kernel_impl_nocastIZZZNS0_23bitwise_not_kernel_cudaERNS_18TensorIteratorBaseEENKUlvE_clEvENKUlvE1_clEvEUliE_EEvS4_RKT_EUlibE_EEviT1_.kd
    .uniform_work_group_size: 1
    .uses_dynamic_stack: false
    .vgpr_count:     18
    .vgpr_spill_count: 0
    .wavefront_size: 32
    .workgroup_processor_mode: 1
  - .args:
      - .offset:         0
        .size:           4
        .value_kind:     by_value
      - .offset:         8
        .size:           32
        .value_kind:     by_value
    .group_segment_fixed_size: 0
    .kernarg_segment_align: 8
    .kernarg_segment_size: 40
    .language:       OpenCL C
    .language_version:
      - 2
      - 0
    .max_flat_workgroup_size: 128
    .name:           _ZN2at6native32elementwise_kernel_manual_unrollILi128ELi4EZNS0_15gpu_kernel_implIZZZNS0_23bitwise_not_kernel_cudaERNS_18TensorIteratorBaseEENKUlvE_clEvENKUlvE1_clEvEUliE_EEvS4_RKT_EUlibE_EEviT1_
    .private_segment_fixed_size: 0
    .sgpr_count:     26
    .sgpr_spill_count: 0
    .symbol:         _ZN2at6native32elementwise_kernel_manual_unrollILi128ELi4EZNS0_15gpu_kernel_implIZZZNS0_23bitwise_not_kernel_cudaERNS_18TensorIteratorBaseEENKUlvE_clEvENKUlvE1_clEvEUliE_EEvS4_RKT_EUlibE_EEviT1_.kd
    .uniform_work_group_size: 1
    .uses_dynamic_stack: false
    .vgpr_count:     16
    .vgpr_spill_count: 0
    .wavefront_size: 32
    .workgroup_processor_mode: 1
  - .args:
      - .offset:         0
        .size:           4
        .value_kind:     by_value
      - .offset:         8
        .size:           352
        .value_kind:     by_value
    .group_segment_fixed_size: 0
    .kernarg_segment_align: 8
    .kernarg_segment_size: 360
    .language:       OpenCL C
    .language_version:
      - 2
      - 0
    .max_flat_workgroup_size: 128
    .name:           _ZN2at6native32elementwise_kernel_manual_unrollILi128ELi4EZNS0_15gpu_kernel_implIZZZNS0_23bitwise_not_kernel_cudaERNS_18TensorIteratorBaseEENKUlvE_clEvENKUlvE1_clEvEUliE_EEvS4_RKT_EUlibE0_EEviT1_
    .private_segment_fixed_size: 0
    .sgpr_count:     70
    .sgpr_spill_count: 0
    .symbol:         _ZN2at6native32elementwise_kernel_manual_unrollILi128ELi4EZNS0_15gpu_kernel_implIZZZNS0_23bitwise_not_kernel_cudaERNS_18TensorIteratorBaseEENKUlvE_clEvENKUlvE1_clEvEUliE_EEvS4_RKT_EUlibE0_EEviT1_.kd
    .uniform_work_group_size: 1
    .uses_dynamic_stack: false
    .vgpr_count:     18
    .vgpr_spill_count: 0
    .wavefront_size: 32
    .workgroup_processor_mode: 1
  - .args:
      - .offset:         0
        .size:           4
        .value_kind:     by_value
      - .offset:         4
        .size:           1
        .value_kind:     by_value
      - .offset:         8
        .size:           16
        .value_kind:     by_value
    .group_segment_fixed_size: 0
    .kernarg_segment_align: 8
    .kernarg_segment_size: 24
    .language:       OpenCL C
    .language_version:
      - 2
      - 0
    .max_flat_workgroup_size: 256
    .name:           _ZN2at6native29vectorized_elementwise_kernelILi16EZZZNS0_23bitwise_not_kernel_cudaERNS_18TensorIteratorBaseEENKUlvE_clEvENKUlvE2_clEvEUllE_St5arrayIPcLm2EEEEviT0_T1_
    .private_segment_fixed_size: 0
    .sgpr_count:     18
    .sgpr_spill_count: 0
    .symbol:         _ZN2at6native29vectorized_elementwise_kernelILi16EZZZNS0_23bitwise_not_kernel_cudaERNS_18TensorIteratorBaseEENKUlvE_clEvENKUlvE2_clEvEUllE_St5arrayIPcLm2EEEEviT0_T1_.kd
    .uniform_work_group_size: 1
    .uses_dynamic_stack: false
    .vgpr_count:     12
    .vgpr_spill_count: 0
    .wavefront_size: 32
    .workgroup_processor_mode: 1
  - .args:
      - .offset:         0
        .size:           4
        .value_kind:     by_value
      - .offset:         4
        .size:           1
        .value_kind:     by_value
      - .offset:         8
        .size:           16
        .value_kind:     by_value
    .group_segment_fixed_size: 0
    .kernarg_segment_align: 8
    .kernarg_segment_size: 24
    .language:       OpenCL C
    .language_version:
      - 2
      - 0
    .max_flat_workgroup_size: 256
    .name:           _ZN2at6native29vectorized_elementwise_kernelILi8EZZZNS0_23bitwise_not_kernel_cudaERNS_18TensorIteratorBaseEENKUlvE_clEvENKUlvE2_clEvEUllE_St5arrayIPcLm2EEEEviT0_T1_
    .private_segment_fixed_size: 0
    .sgpr_count:     18
    .sgpr_spill_count: 0
    .symbol:         _ZN2at6native29vectorized_elementwise_kernelILi8EZZZNS0_23bitwise_not_kernel_cudaERNS_18TensorIteratorBaseEENKUlvE_clEvENKUlvE2_clEvEUllE_St5arrayIPcLm2EEEEviT0_T1_.kd
    .uniform_work_group_size: 1
    .uses_dynamic_stack: false
    .vgpr_count:     12
    .vgpr_spill_count: 0
    .wavefront_size: 32
    .workgroup_processor_mode: 1
  - .args:
      - .offset:         0
        .size:           4
        .value_kind:     by_value
      - .offset:         4
        .size:           1
        .value_kind:     by_value
      - .offset:         8
        .size:           16
        .value_kind:     by_value
    .group_segment_fixed_size: 0
    .kernarg_segment_align: 8
    .kernarg_segment_size: 24
    .language:       OpenCL C
    .language_version:
      - 2
      - 0
    .max_flat_workgroup_size: 256
    .name:           _ZN2at6native29vectorized_elementwise_kernelILi4EZZZNS0_23bitwise_not_kernel_cudaERNS_18TensorIteratorBaseEENKUlvE_clEvENKUlvE2_clEvEUllE_St5arrayIPcLm2EEEEviT0_T1_
    .private_segment_fixed_size: 0
    .sgpr_count:     18
    .sgpr_spill_count: 0
    .symbol:         _ZN2at6native29vectorized_elementwise_kernelILi4EZZZNS0_23bitwise_not_kernel_cudaERNS_18TensorIteratorBaseEENKUlvE_clEvENKUlvE2_clEvEUllE_St5arrayIPcLm2EEEEviT0_T1_.kd
    .uniform_work_group_size: 1
    .uses_dynamic_stack: false
    .vgpr_count:     12
    .vgpr_spill_count: 0
    .wavefront_size: 32
    .workgroup_processor_mode: 1
  - .args:
      - .offset:         0
        .size:           4
        .value_kind:     by_value
      - .offset:         4
        .size:           1
        .value_kind:     by_value
      - .offset:         8
        .size:           16
        .value_kind:     by_value
    .group_segment_fixed_size: 0
    .kernarg_segment_align: 8
    .kernarg_segment_size: 24
    .language:       OpenCL C
    .language_version:
      - 2
      - 0
    .max_flat_workgroup_size: 256
    .name:           _ZN2at6native29vectorized_elementwise_kernelILi2EZZZNS0_23bitwise_not_kernel_cudaERNS_18TensorIteratorBaseEENKUlvE_clEvENKUlvE2_clEvEUllE_St5arrayIPcLm2EEEEviT0_T1_
    .private_segment_fixed_size: 0
    .sgpr_count:     18
    .sgpr_spill_count: 0
    .symbol:         _ZN2at6native29vectorized_elementwise_kernelILi2EZZZNS0_23bitwise_not_kernel_cudaERNS_18TensorIteratorBaseEENKUlvE_clEvENKUlvE2_clEvEUllE_St5arrayIPcLm2EEEEviT0_T1_.kd
    .uniform_work_group_size: 1
    .uses_dynamic_stack: false
    .vgpr_count:     12
    .vgpr_spill_count: 0
    .wavefront_size: 32
    .workgroup_processor_mode: 1
  - .args:
      - .offset:         0
        .size:           4
        .value_kind:     by_value
      - .offset:         4
        .size:           1
        .value_kind:     by_value
      - .offset:         8
        .size:           16
        .value_kind:     by_value
      - .offset:         24
        .size:           1
        .value_kind:     by_value
      - .offset:         25
        .size:           1
        .value_kind:     by_value
      - .offset:         26
        .size:           1
        .value_kind:     by_value
      - .offset:         27
        .size:           1
        .value_kind:     by_value
    .group_segment_fixed_size: 0
    .kernarg_segment_align: 8
    .kernarg_segment_size: 28
    .language:       OpenCL C
    .language_version:
      - 2
      - 0
    .max_flat_workgroup_size: 256
    .name:           _ZN2at6native27unrolled_elementwise_kernelIZZZNS0_23bitwise_not_kernel_cudaERNS_18TensorIteratorBaseEENKUlvE_clEvENKUlvE2_clEvEUllE_St5arrayIPcLm2EELi4E23TrivialOffsetCalculatorILi1EjESB_NS0_6memory15LoadWithoutCastENSC_16StoreWithoutCastEEEviT_T0_T2_T3_T4_T5_
    .private_segment_fixed_size: 0
    .sgpr_count:     18
    .sgpr_spill_count: 0
    .symbol:         _ZN2at6native27unrolled_elementwise_kernelIZZZNS0_23bitwise_not_kernel_cudaERNS_18TensorIteratorBaseEENKUlvE_clEvENKUlvE2_clEvEUllE_St5arrayIPcLm2EELi4E23TrivialOffsetCalculatorILi1EjESB_NS0_6memory15LoadWithoutCastENSC_16StoreWithoutCastEEEviT_T0_T2_T3_T4_T5_.kd
    .uniform_work_group_size: 1
    .uses_dynamic_stack: false
    .vgpr_count:     12
    .vgpr_spill_count: 0
    .wavefront_size: 32
    .workgroup_processor_mode: 1
  - .args:
      - .offset:         0
        .size:           4
        .value_kind:     by_value
      - .offset:         8
        .size:           352
        .value_kind:     by_value
    .group_segment_fixed_size: 0
    .kernarg_segment_align: 8
    .kernarg_segment_size: 360
    .language:       OpenCL C
    .language_version:
      - 2
      - 0
    .max_flat_workgroup_size: 128
    .name:           _ZN2at6native32elementwise_kernel_manual_unrollILi128ELi4EZNS0_22gpu_kernel_impl_nocastIZZZNS0_23bitwise_not_kernel_cudaERNS_18TensorIteratorBaseEENKUlvE_clEvENKUlvE2_clEvEUllE_EEvS4_RKT_EUlibE_EEviT1_
    .private_segment_fixed_size: 0
    .sgpr_count:     58
    .sgpr_spill_count: 0
    .symbol:         _ZN2at6native32elementwise_kernel_manual_unrollILi128ELi4EZNS0_22gpu_kernel_impl_nocastIZZZNS0_23bitwise_not_kernel_cudaERNS_18TensorIteratorBaseEENKUlvE_clEvENKUlvE2_clEvEUllE_EEvS4_RKT_EUlibE_EEviT1_.kd
    .uniform_work_group_size: 1
    .uses_dynamic_stack: false
    .vgpr_count:     18
    .vgpr_spill_count: 0
    .wavefront_size: 32
    .workgroup_processor_mode: 1
  - .args:
      - .offset:         0
        .size:           4
        .value_kind:     by_value
      - .offset:         8
        .size:           32
        .value_kind:     by_value
    .group_segment_fixed_size: 0
    .kernarg_segment_align: 8
    .kernarg_segment_size: 40
    .language:       OpenCL C
    .language_version:
      - 2
      - 0
    .max_flat_workgroup_size: 128
    .name:           _ZN2at6native32elementwise_kernel_manual_unrollILi128ELi4EZNS0_15gpu_kernel_implIZZZNS0_23bitwise_not_kernel_cudaERNS_18TensorIteratorBaseEENKUlvE_clEvENKUlvE2_clEvEUllE_EEvS4_RKT_EUlibE_EEviT1_
    .private_segment_fixed_size: 0
    .sgpr_count:     26
    .sgpr_spill_count: 0
    .symbol:         _ZN2at6native32elementwise_kernel_manual_unrollILi128ELi4EZNS0_15gpu_kernel_implIZZZNS0_23bitwise_not_kernel_cudaERNS_18TensorIteratorBaseEENKUlvE_clEvENKUlvE2_clEvEUllE_EEvS4_RKT_EUlibE_EEviT1_.kd
    .uniform_work_group_size: 1
    .uses_dynamic_stack: false
    .vgpr_count:     18
    .vgpr_spill_count: 0
    .wavefront_size: 32
    .workgroup_processor_mode: 1
  - .args:
      - .offset:         0
        .size:           4
        .value_kind:     by_value
      - .offset:         8
        .size:           352
        .value_kind:     by_value
    .group_segment_fixed_size: 0
    .kernarg_segment_align: 8
    .kernarg_segment_size: 360
    .language:       OpenCL C
    .language_version:
      - 2
      - 0
    .max_flat_workgroup_size: 128
    .name:           _ZN2at6native32elementwise_kernel_manual_unrollILi128ELi4EZNS0_15gpu_kernel_implIZZZNS0_23bitwise_not_kernel_cudaERNS_18TensorIteratorBaseEENKUlvE_clEvENKUlvE2_clEvEUllE_EEvS4_RKT_EUlibE0_EEviT1_
    .private_segment_fixed_size: 0
    .sgpr_count:     70
    .sgpr_spill_count: 0
    .symbol:         _ZN2at6native32elementwise_kernel_manual_unrollILi128ELi4EZNS0_15gpu_kernel_implIZZZNS0_23bitwise_not_kernel_cudaERNS_18TensorIteratorBaseEENKUlvE_clEvENKUlvE2_clEvEUllE_EEvS4_RKT_EUlibE0_EEviT1_.kd
    .uniform_work_group_size: 1
    .uses_dynamic_stack: false
    .vgpr_count:     21
    .vgpr_spill_count: 0
    .wavefront_size: 32
    .workgroup_processor_mode: 1
  - .args:
      - .offset:         0
        .size:           4
        .value_kind:     by_value
      - .offset:         4
        .size:           1
        .value_kind:     by_value
      - .offset:         8
        .size:           16
        .value_kind:     by_value
    .group_segment_fixed_size: 0
    .kernarg_segment_align: 8
    .kernarg_segment_size: 24
    .language:       OpenCL C
    .language_version:
      - 2
      - 0
    .max_flat_workgroup_size: 256
    .name:           _ZN2at6native29vectorized_elementwise_kernelILi16EZZZNS0_23bitwise_not_kernel_cudaERNS_18TensorIteratorBaseEENKUlvE_clEvENKUlvE3_clEvEUlsE_St5arrayIPcLm2EEEEviT0_T1_
    .private_segment_fixed_size: 0
    .sgpr_count:     18
    .sgpr_spill_count: 0
    .symbol:         _ZN2at6native29vectorized_elementwise_kernelILi16EZZZNS0_23bitwise_not_kernel_cudaERNS_18TensorIteratorBaseEENKUlvE_clEvENKUlvE3_clEvEUlsE_St5arrayIPcLm2EEEEviT0_T1_.kd
    .uniform_work_group_size: 1
    .uses_dynamic_stack: false
    .vgpr_count:     14
    .vgpr_spill_count: 0
    .wavefront_size: 32
    .workgroup_processor_mode: 1
  - .args:
      - .offset:         0
        .size:           4
        .value_kind:     by_value
      - .offset:         4
        .size:           1
        .value_kind:     by_value
      - .offset:         8
        .size:           16
        .value_kind:     by_value
    .group_segment_fixed_size: 0
    .kernarg_segment_align: 8
    .kernarg_segment_size: 24
    .language:       OpenCL C
    .language_version:
      - 2
      - 0
    .max_flat_workgroup_size: 256
    .name:           _ZN2at6native29vectorized_elementwise_kernelILi8EZZZNS0_23bitwise_not_kernel_cudaERNS_18TensorIteratorBaseEENKUlvE_clEvENKUlvE3_clEvEUlsE_St5arrayIPcLm2EEEEviT0_T1_
    .private_segment_fixed_size: 0
    .sgpr_count:     18
    .sgpr_spill_count: 0
    .symbol:         _ZN2at6native29vectorized_elementwise_kernelILi8EZZZNS0_23bitwise_not_kernel_cudaERNS_18TensorIteratorBaseEENKUlvE_clEvENKUlvE3_clEvEUlsE_St5arrayIPcLm2EEEEviT0_T1_.kd
    .uniform_work_group_size: 1
    .uses_dynamic_stack: false
    .vgpr_count:     14
    .vgpr_spill_count: 0
    .wavefront_size: 32
    .workgroup_processor_mode: 1
  - .args:
      - .offset:         0
        .size:           4
        .value_kind:     by_value
      - .offset:         4
        .size:           1
        .value_kind:     by_value
      - .offset:         8
        .size:           16
        .value_kind:     by_value
    .group_segment_fixed_size: 0
    .kernarg_segment_align: 8
    .kernarg_segment_size: 24
    .language:       OpenCL C
    .language_version:
      - 2
      - 0
    .max_flat_workgroup_size: 256
    .name:           _ZN2at6native29vectorized_elementwise_kernelILi4EZZZNS0_23bitwise_not_kernel_cudaERNS_18TensorIteratorBaseEENKUlvE_clEvENKUlvE3_clEvEUlsE_St5arrayIPcLm2EEEEviT0_T1_
    .private_segment_fixed_size: 0
    .sgpr_count:     18
    .sgpr_spill_count: 0
    .symbol:         _ZN2at6native29vectorized_elementwise_kernelILi4EZZZNS0_23bitwise_not_kernel_cudaERNS_18TensorIteratorBaseEENKUlvE_clEvENKUlvE3_clEvEUlsE_St5arrayIPcLm2EEEEviT0_T1_.kd
    .uniform_work_group_size: 1
    .uses_dynamic_stack: false
    .vgpr_count:     14
    .vgpr_spill_count: 0
    .wavefront_size: 32
    .workgroup_processor_mode: 1
  - .args:
      - .offset:         0
        .size:           4
        .value_kind:     by_value
      - .offset:         4
        .size:           1
        .value_kind:     by_value
      - .offset:         8
        .size:           16
        .value_kind:     by_value
    .group_segment_fixed_size: 0
    .kernarg_segment_align: 8
    .kernarg_segment_size: 24
    .language:       OpenCL C
    .language_version:
      - 2
      - 0
    .max_flat_workgroup_size: 256
    .name:           _ZN2at6native29vectorized_elementwise_kernelILi2EZZZNS0_23bitwise_not_kernel_cudaERNS_18TensorIteratorBaseEENKUlvE_clEvENKUlvE3_clEvEUlsE_St5arrayIPcLm2EEEEviT0_T1_
    .private_segment_fixed_size: 0
    .sgpr_count:     18
    .sgpr_spill_count: 0
    .symbol:         _ZN2at6native29vectorized_elementwise_kernelILi2EZZZNS0_23bitwise_not_kernel_cudaERNS_18TensorIteratorBaseEENKUlvE_clEvENKUlvE3_clEvEUlsE_St5arrayIPcLm2EEEEviT0_T1_.kd
    .uniform_work_group_size: 1
    .uses_dynamic_stack: false
    .vgpr_count:     14
    .vgpr_spill_count: 0
    .wavefront_size: 32
    .workgroup_processor_mode: 1
  - .args:
      - .offset:         0
        .size:           4
        .value_kind:     by_value
      - .offset:         4
        .size:           1
        .value_kind:     by_value
      - .offset:         8
        .size:           16
        .value_kind:     by_value
      - .offset:         24
        .size:           1
        .value_kind:     by_value
      - .offset:         25
        .size:           1
        .value_kind:     by_value
      - .offset:         26
        .size:           1
        .value_kind:     by_value
      - .offset:         27
        .size:           1
        .value_kind:     by_value
    .group_segment_fixed_size: 0
    .kernarg_segment_align: 8
    .kernarg_segment_size: 28
    .language:       OpenCL C
    .language_version:
      - 2
      - 0
    .max_flat_workgroup_size: 256
    .name:           _ZN2at6native27unrolled_elementwise_kernelIZZZNS0_23bitwise_not_kernel_cudaERNS_18TensorIteratorBaseEENKUlvE_clEvENKUlvE3_clEvEUlsE_St5arrayIPcLm2EELi4E23TrivialOffsetCalculatorILi1EjESB_NS0_6memory15LoadWithoutCastENSC_16StoreWithoutCastEEEviT_T0_T2_T3_T4_T5_
    .private_segment_fixed_size: 0
    .sgpr_count:     18
    .sgpr_spill_count: 0
    .symbol:         _ZN2at6native27unrolled_elementwise_kernelIZZZNS0_23bitwise_not_kernel_cudaERNS_18TensorIteratorBaseEENKUlvE_clEvENKUlvE3_clEvEUlsE_St5arrayIPcLm2EELi4E23TrivialOffsetCalculatorILi1EjESB_NS0_6memory15LoadWithoutCastENSC_16StoreWithoutCastEEEviT_T0_T2_T3_T4_T5_.kd
    .uniform_work_group_size: 1
    .uses_dynamic_stack: false
    .vgpr_count:     10
    .vgpr_spill_count: 0
    .wavefront_size: 32
    .workgroup_processor_mode: 1
  - .args:
      - .offset:         0
        .size:           4
        .value_kind:     by_value
      - .offset:         8
        .size:           352
        .value_kind:     by_value
    .group_segment_fixed_size: 0
    .kernarg_segment_align: 8
    .kernarg_segment_size: 360
    .language:       OpenCL C
    .language_version:
      - 2
      - 0
    .max_flat_workgroup_size: 128
    .name:           _ZN2at6native32elementwise_kernel_manual_unrollILi128ELi8EZNS0_22gpu_kernel_impl_nocastIZZZNS0_23bitwise_not_kernel_cudaERNS_18TensorIteratorBaseEENKUlvE_clEvENKUlvE3_clEvEUlsE_EEvS4_RKT_EUlibE_EEviT1_
    .private_segment_fixed_size: 0
    .sgpr_count:     58
    .sgpr_spill_count: 0
    .symbol:         _ZN2at6native32elementwise_kernel_manual_unrollILi128ELi8EZNS0_22gpu_kernel_impl_nocastIZZZNS0_23bitwise_not_kernel_cudaERNS_18TensorIteratorBaseEENKUlvE_clEvENKUlvE3_clEvEUlsE_EEvS4_RKT_EUlibE_EEviT1_.kd
    .uniform_work_group_size: 1
    .uses_dynamic_stack: false
    .vgpr_count:     26
    .vgpr_spill_count: 0
    .wavefront_size: 32
    .workgroup_processor_mode: 1
  - .args:
      - .offset:         0
        .size:           4
        .value_kind:     by_value
      - .offset:         8
        .size:           32
        .value_kind:     by_value
    .group_segment_fixed_size: 0
    .kernarg_segment_align: 8
    .kernarg_segment_size: 40
    .language:       OpenCL C
    .language_version:
      - 2
      - 0
    .max_flat_workgroup_size: 128
    .name:           _ZN2at6native32elementwise_kernel_manual_unrollILi128ELi4EZNS0_15gpu_kernel_implIZZZNS0_23bitwise_not_kernel_cudaERNS_18TensorIteratorBaseEENKUlvE_clEvENKUlvE3_clEvEUlsE_EEvS4_RKT_EUlibE_EEviT1_
    .private_segment_fixed_size: 0
    .sgpr_count:     26
    .sgpr_spill_count: 0
    .symbol:         _ZN2at6native32elementwise_kernel_manual_unrollILi128ELi4EZNS0_15gpu_kernel_implIZZZNS0_23bitwise_not_kernel_cudaERNS_18TensorIteratorBaseEENKUlvE_clEvENKUlvE3_clEvEUlsE_EEvS4_RKT_EUlibE_EEviT1_.kd
    .uniform_work_group_size: 1
    .uses_dynamic_stack: false
    .vgpr_count:     17
    .vgpr_spill_count: 0
    .wavefront_size: 32
    .workgroup_processor_mode: 1
  - .args:
      - .offset:         0
        .size:           4
        .value_kind:     by_value
      - .offset:         8
        .size:           352
        .value_kind:     by_value
    .group_segment_fixed_size: 0
    .kernarg_segment_align: 8
    .kernarg_segment_size: 360
    .language:       OpenCL C
    .language_version:
      - 2
      - 0
    .max_flat_workgroup_size: 128
    .name:           _ZN2at6native32elementwise_kernel_manual_unrollILi128ELi4EZNS0_15gpu_kernel_implIZZZNS0_23bitwise_not_kernel_cudaERNS_18TensorIteratorBaseEENKUlvE_clEvENKUlvE3_clEvEUlsE_EEvS4_RKT_EUlibE0_EEviT1_
    .private_segment_fixed_size: 0
    .sgpr_count:     70
    .sgpr_spill_count: 0
    .symbol:         _ZN2at6native32elementwise_kernel_manual_unrollILi128ELi4EZNS0_15gpu_kernel_implIZZZNS0_23bitwise_not_kernel_cudaERNS_18TensorIteratorBaseEENKUlvE_clEvENKUlvE3_clEvEUlsE_EEvS4_RKT_EUlibE0_EEviT1_.kd
    .uniform_work_group_size: 1
    .uses_dynamic_stack: false
    .vgpr_count:     18
    .vgpr_spill_count: 0
    .wavefront_size: 32
    .workgroup_processor_mode: 1
  - .args:
      - .offset:         0
        .size:           4
        .value_kind:     by_value
      - .offset:         4
        .size:           1
        .value_kind:     by_value
      - .offset:         8
        .size:           16
        .value_kind:     by_value
    .group_segment_fixed_size: 0
    .kernarg_segment_align: 8
    .kernarg_segment_size: 24
    .language:       OpenCL C
    .language_version:
      - 2
      - 0
    .max_flat_workgroup_size: 256
    .name:           _ZN2at6native29vectorized_elementwise_kernelILi16EZZZNS0_15exp_kernel_cudaERNS_18TensorIteratorBaseEENKUlvE_clEvENKUlvE_clEvEUlN3c107complexIdEEE_St5arrayIPcLm2EEEEviT0_T1_
    .private_segment_fixed_size: 0
    .sgpr_count:     35
    .sgpr_spill_count: 0
    .symbol:         _ZN2at6native29vectorized_elementwise_kernelILi16EZZZNS0_15exp_kernel_cudaERNS_18TensorIteratorBaseEENKUlvE_clEvENKUlvE_clEvEUlN3c107complexIdEEE_St5arrayIPcLm2EEEEviT0_T1_.kd
    .uniform_work_group_size: 1
    .uses_dynamic_stack: false
    .vgpr_count:     80
    .vgpr_spill_count: 0
    .wavefront_size: 32
    .workgroup_processor_mode: 1
  - .args:
      - .offset:         0
        .size:           4
        .value_kind:     by_value
      - .offset:         4
        .size:           1
        .value_kind:     by_value
      - .offset:         8
        .size:           16
        .value_kind:     by_value
    .group_segment_fixed_size: 0
    .kernarg_segment_align: 8
    .kernarg_segment_size: 24
    .language:       OpenCL C
    .language_version:
      - 2
      - 0
    .max_flat_workgroup_size: 256
    .name:           _ZN2at6native29vectorized_elementwise_kernelILi8EZZZNS0_15exp_kernel_cudaERNS_18TensorIteratorBaseEENKUlvE_clEvENKUlvE_clEvEUlN3c107complexIdEEE_St5arrayIPcLm2EEEEviT0_T1_
    .private_segment_fixed_size: 0
    .sgpr_count:     35
    .sgpr_spill_count: 0
    .symbol:         _ZN2at6native29vectorized_elementwise_kernelILi8EZZZNS0_15exp_kernel_cudaERNS_18TensorIteratorBaseEENKUlvE_clEvENKUlvE_clEvEUlN3c107complexIdEEE_St5arrayIPcLm2EEEEviT0_T1_.kd
    .uniform_work_group_size: 1
    .uses_dynamic_stack: false
    .vgpr_count:     80
    .vgpr_spill_count: 0
    .wavefront_size: 32
    .workgroup_processor_mode: 1
  - .args:
      - .offset:         0
        .size:           4
        .value_kind:     by_value
      - .offset:         4
        .size:           1
        .value_kind:     by_value
      - .offset:         8
        .size:           16
        .value_kind:     by_value
    .group_segment_fixed_size: 0
    .kernarg_segment_align: 8
    .kernarg_segment_size: 24
    .language:       OpenCL C
    .language_version:
      - 2
      - 0
    .max_flat_workgroup_size: 256
    .name:           _ZN2at6native29vectorized_elementwise_kernelILi4EZZZNS0_15exp_kernel_cudaERNS_18TensorIteratorBaseEENKUlvE_clEvENKUlvE_clEvEUlN3c107complexIdEEE_St5arrayIPcLm2EEEEviT0_T1_
    .private_segment_fixed_size: 0
    .sgpr_count:     35
    .sgpr_spill_count: 0
    .symbol:         _ZN2at6native29vectorized_elementwise_kernelILi4EZZZNS0_15exp_kernel_cudaERNS_18TensorIteratorBaseEENKUlvE_clEvENKUlvE_clEvEUlN3c107complexIdEEE_St5arrayIPcLm2EEEEviT0_T1_.kd
    .uniform_work_group_size: 1
    .uses_dynamic_stack: false
    .vgpr_count:     80
    .vgpr_spill_count: 0
    .wavefront_size: 32
    .workgroup_processor_mode: 1
  - .args:
      - .offset:         0
        .size:           4
        .value_kind:     by_value
      - .offset:         4
        .size:           1
        .value_kind:     by_value
      - .offset:         8
        .size:           16
        .value_kind:     by_value
    .group_segment_fixed_size: 0
    .kernarg_segment_align: 8
    .kernarg_segment_size: 24
    .language:       OpenCL C
    .language_version:
      - 2
      - 0
    .max_flat_workgroup_size: 256
    .name:           _ZN2at6native29vectorized_elementwise_kernelILi2EZZZNS0_15exp_kernel_cudaERNS_18TensorIteratorBaseEENKUlvE_clEvENKUlvE_clEvEUlN3c107complexIdEEE_St5arrayIPcLm2EEEEviT0_T1_
    .private_segment_fixed_size: 0
    .sgpr_count:     35
    .sgpr_spill_count: 0
    .symbol:         _ZN2at6native29vectorized_elementwise_kernelILi2EZZZNS0_15exp_kernel_cudaERNS_18TensorIteratorBaseEENKUlvE_clEvENKUlvE_clEvEUlN3c107complexIdEEE_St5arrayIPcLm2EEEEviT0_T1_.kd
    .uniform_work_group_size: 1
    .uses_dynamic_stack: false
    .vgpr_count:     80
    .vgpr_spill_count: 0
    .wavefront_size: 32
    .workgroup_processor_mode: 1
  - .args:
      - .offset:         0
        .size:           4
        .value_kind:     by_value
      - .offset:         4
        .size:           1
        .value_kind:     by_value
      - .offset:         8
        .size:           16
        .value_kind:     by_value
      - .offset:         24
        .size:           1
        .value_kind:     by_value
      - .offset:         25
        .size:           1
        .value_kind:     by_value
      - .offset:         26
        .size:           1
        .value_kind:     by_value
      - .offset:         27
        .size:           1
        .value_kind:     by_value
    .group_segment_fixed_size: 0
    .kernarg_segment_align: 8
    .kernarg_segment_size: 28
    .language:       OpenCL C
    .language_version:
      - 2
      - 0
    .max_flat_workgroup_size: 256
    .name:           _ZN2at6native27unrolled_elementwise_kernelIZZZNS0_15exp_kernel_cudaERNS_18TensorIteratorBaseEENKUlvE_clEvENKUlvE_clEvEUlN3c107complexIdEEE_St5arrayIPcLm2EELi4E23TrivialOffsetCalculatorILi1EjESE_NS0_6memory15LoadWithoutCastENSF_16StoreWithoutCastEEEviT_T0_T2_T3_T4_T5_
    .private_segment_fixed_size: 0
    .sgpr_count:     35
    .sgpr_spill_count: 0
    .symbol:         _ZN2at6native27unrolled_elementwise_kernelIZZZNS0_15exp_kernel_cudaERNS_18TensorIteratorBaseEENKUlvE_clEvENKUlvE_clEvEUlN3c107complexIdEEE_St5arrayIPcLm2EELi4E23TrivialOffsetCalculatorILi1EjESE_NS0_6memory15LoadWithoutCastENSF_16StoreWithoutCastEEEviT_T0_T2_T3_T4_T5_.kd
    .uniform_work_group_size: 1
    .uses_dynamic_stack: false
    .vgpr_count:     80
    .vgpr_spill_count: 0
    .wavefront_size: 32
    .workgroup_processor_mode: 1
  - .args:
      - .offset:         0
        .size:           4
        .value_kind:     by_value
      - .offset:         8
        .size:           352
        .value_kind:     by_value
    .group_segment_fixed_size: 0
    .kernarg_segment_align: 8
    .kernarg_segment_size: 360
    .language:       OpenCL C
    .language_version:
      - 2
      - 0
    .max_flat_workgroup_size: 128
    .name:           _ZN2at6native32elementwise_kernel_manual_unrollILi128ELi4EZNS0_22gpu_kernel_impl_nocastIZZZNS0_15exp_kernel_cudaERNS_18TensorIteratorBaseEENKUlvE_clEvENKUlvE_clEvEUlN3c107complexIdEEE_EEvS4_RKT_EUlibE_EEviT1_
    .private_segment_fixed_size: 0
    .sgpr_count:     62
    .sgpr_spill_count: 0
    .symbol:         _ZN2at6native32elementwise_kernel_manual_unrollILi128ELi4EZNS0_22gpu_kernel_impl_nocastIZZZNS0_15exp_kernel_cudaERNS_18TensorIteratorBaseEENKUlvE_clEvENKUlvE_clEvEUlN3c107complexIdEEE_EEvS4_RKT_EUlibE_EEviT1_.kd
    .uniform_work_group_size: 1
    .uses_dynamic_stack: false
    .vgpr_count:     72
    .vgpr_spill_count: 0
    .wavefront_size: 32
    .workgroup_processor_mode: 1
  - .args:
      - .offset:         0
        .size:           4
        .value_kind:     by_value
      - .offset:         8
        .size:           32
        .value_kind:     by_value
    .group_segment_fixed_size: 0
    .kernarg_segment_align: 8
    .kernarg_segment_size: 40
    .language:       OpenCL C
    .language_version:
      - 2
      - 0
    .max_flat_workgroup_size: 128
    .name:           _ZN2at6native32elementwise_kernel_manual_unrollILi128ELi4EZNS0_15gpu_kernel_implIZZZNS0_15exp_kernel_cudaERNS_18TensorIteratorBaseEENKUlvE_clEvENKUlvE_clEvEUlN3c107complexIdEEE_EEvS4_RKT_EUlibE_EEviT1_
    .private_segment_fixed_size: 0
    .sgpr_count:     36
    .sgpr_spill_count: 0
    .symbol:         _ZN2at6native32elementwise_kernel_manual_unrollILi128ELi4EZNS0_15gpu_kernel_implIZZZNS0_15exp_kernel_cudaERNS_18TensorIteratorBaseEENKUlvE_clEvENKUlvE_clEvEUlN3c107complexIdEEE_EEvS4_RKT_EUlibE_EEviT1_.kd
    .uniform_work_group_size: 1
    .uses_dynamic_stack: false
    .vgpr_count:     68
    .vgpr_spill_count: 0
    .wavefront_size: 32
    .workgroup_processor_mode: 1
  - .args:
      - .offset:         0
        .size:           4
        .value_kind:     by_value
      - .offset:         8
        .size:           352
        .value_kind:     by_value
    .group_segment_fixed_size: 0
    .kernarg_segment_align: 8
    .kernarg_segment_size: 360
    .language:       OpenCL C
    .language_version:
      - 2
      - 0
    .max_flat_workgroup_size: 128
    .name:           _ZN2at6native32elementwise_kernel_manual_unrollILi128ELi4EZNS0_15gpu_kernel_implIZZZNS0_15exp_kernel_cudaERNS_18TensorIteratorBaseEENKUlvE_clEvENKUlvE_clEvEUlN3c107complexIdEEE_EEvS4_RKT_EUlibE0_EEviT1_
    .private_segment_fixed_size: 0
    .sgpr_count:     74
    .sgpr_spill_count: 0
    .symbol:         _ZN2at6native32elementwise_kernel_manual_unrollILi128ELi4EZNS0_15gpu_kernel_implIZZZNS0_15exp_kernel_cudaERNS_18TensorIteratorBaseEENKUlvE_clEvENKUlvE_clEvEUlN3c107complexIdEEE_EEvS4_RKT_EUlibE0_EEviT1_.kd
    .uniform_work_group_size: 1
    .uses_dynamic_stack: false
    .vgpr_count:     70
    .vgpr_spill_count: 0
    .wavefront_size: 32
    .workgroup_processor_mode: 1
  - .args:
      - .offset:         0
        .size:           4
        .value_kind:     by_value
      - .offset:         4
        .size:           1
        .value_kind:     by_value
      - .offset:         8
        .size:           16
        .value_kind:     by_value
    .group_segment_fixed_size: 0
    .kernarg_segment_align: 8
    .kernarg_segment_size: 24
    .language:       OpenCL C
    .language_version:
      - 2
      - 0
    .max_flat_workgroup_size: 256
    .name:           _ZN2at6native29vectorized_elementwise_kernelILi16EZZZNS0_15exp_kernel_cudaERNS_18TensorIteratorBaseEENKUlvE_clEvENKUlvE0_clEvEUlN3c107complexIfEEE_St5arrayIPcLm2EEEEviT0_T1_
    .private_segment_fixed_size: 0
    .sgpr_count:     35
    .sgpr_spill_count: 0
    .symbol:         _ZN2at6native29vectorized_elementwise_kernelILi16EZZZNS0_15exp_kernel_cudaERNS_18TensorIteratorBaseEENKUlvE_clEvENKUlvE0_clEvEUlN3c107complexIfEEE_St5arrayIPcLm2EEEEviT0_T1_.kd
    .uniform_work_group_size: 1
    .uses_dynamic_stack: false
    .vgpr_count:     33
    .vgpr_spill_count: 0
    .wavefront_size: 32
    .workgroup_processor_mode: 1
  - .args:
      - .offset:         0
        .size:           4
        .value_kind:     by_value
      - .offset:         4
        .size:           1
        .value_kind:     by_value
      - .offset:         8
        .size:           16
        .value_kind:     by_value
    .group_segment_fixed_size: 0
    .kernarg_segment_align: 8
    .kernarg_segment_size: 24
    .language:       OpenCL C
    .language_version:
      - 2
      - 0
    .max_flat_workgroup_size: 256
    .name:           _ZN2at6native29vectorized_elementwise_kernelILi8EZZZNS0_15exp_kernel_cudaERNS_18TensorIteratorBaseEENKUlvE_clEvENKUlvE0_clEvEUlN3c107complexIfEEE_St5arrayIPcLm2EEEEviT0_T1_
    .private_segment_fixed_size: 0
    .sgpr_count:     35
    .sgpr_spill_count: 0
    .symbol:         _ZN2at6native29vectorized_elementwise_kernelILi8EZZZNS0_15exp_kernel_cudaERNS_18TensorIteratorBaseEENKUlvE_clEvENKUlvE0_clEvEUlN3c107complexIfEEE_St5arrayIPcLm2EEEEviT0_T1_.kd
    .uniform_work_group_size: 1
    .uses_dynamic_stack: false
    .vgpr_count:     33
    .vgpr_spill_count: 0
    .wavefront_size: 32
    .workgroup_processor_mode: 1
  - .args:
      - .offset:         0
        .size:           4
        .value_kind:     by_value
      - .offset:         4
        .size:           1
        .value_kind:     by_value
      - .offset:         8
        .size:           16
        .value_kind:     by_value
    .group_segment_fixed_size: 0
    .kernarg_segment_align: 8
    .kernarg_segment_size: 24
    .language:       OpenCL C
    .language_version:
      - 2
      - 0
    .max_flat_workgroup_size: 256
    .name:           _ZN2at6native29vectorized_elementwise_kernelILi4EZZZNS0_15exp_kernel_cudaERNS_18TensorIteratorBaseEENKUlvE_clEvENKUlvE0_clEvEUlN3c107complexIfEEE_St5arrayIPcLm2EEEEviT0_T1_
    .private_segment_fixed_size: 0
    .sgpr_count:     35
    .sgpr_spill_count: 0
    .symbol:         _ZN2at6native29vectorized_elementwise_kernelILi4EZZZNS0_15exp_kernel_cudaERNS_18TensorIteratorBaseEENKUlvE_clEvENKUlvE0_clEvEUlN3c107complexIfEEE_St5arrayIPcLm2EEEEviT0_T1_.kd
    .uniform_work_group_size: 1
    .uses_dynamic_stack: false
    .vgpr_count:     33
    .vgpr_spill_count: 0
    .wavefront_size: 32
    .workgroup_processor_mode: 1
  - .args:
      - .offset:         0
        .size:           4
        .value_kind:     by_value
      - .offset:         4
        .size:           1
        .value_kind:     by_value
      - .offset:         8
        .size:           16
        .value_kind:     by_value
    .group_segment_fixed_size: 0
    .kernarg_segment_align: 8
    .kernarg_segment_size: 24
    .language:       OpenCL C
    .language_version:
      - 2
      - 0
    .max_flat_workgroup_size: 256
    .name:           _ZN2at6native29vectorized_elementwise_kernelILi2EZZZNS0_15exp_kernel_cudaERNS_18TensorIteratorBaseEENKUlvE_clEvENKUlvE0_clEvEUlN3c107complexIfEEE_St5arrayIPcLm2EEEEviT0_T1_
    .private_segment_fixed_size: 0
    .sgpr_count:     35
    .sgpr_spill_count: 0
    .symbol:         _ZN2at6native29vectorized_elementwise_kernelILi2EZZZNS0_15exp_kernel_cudaERNS_18TensorIteratorBaseEENKUlvE_clEvENKUlvE0_clEvEUlN3c107complexIfEEE_St5arrayIPcLm2EEEEviT0_T1_.kd
    .uniform_work_group_size: 1
    .uses_dynamic_stack: false
    .vgpr_count:     33
    .vgpr_spill_count: 0
    .wavefront_size: 32
    .workgroup_processor_mode: 1
  - .args:
      - .offset:         0
        .size:           4
        .value_kind:     by_value
      - .offset:         4
        .size:           1
        .value_kind:     by_value
      - .offset:         8
        .size:           16
        .value_kind:     by_value
      - .offset:         24
        .size:           1
        .value_kind:     by_value
      - .offset:         25
        .size:           1
        .value_kind:     by_value
      - .offset:         26
        .size:           1
        .value_kind:     by_value
      - .offset:         27
        .size:           1
        .value_kind:     by_value
    .group_segment_fixed_size: 0
    .kernarg_segment_align: 8
    .kernarg_segment_size: 28
    .language:       OpenCL C
    .language_version:
      - 2
      - 0
    .max_flat_workgroup_size: 256
    .name:           _ZN2at6native27unrolled_elementwise_kernelIZZZNS0_15exp_kernel_cudaERNS_18TensorIteratorBaseEENKUlvE_clEvENKUlvE0_clEvEUlN3c107complexIfEEE_St5arrayIPcLm2EELi4E23TrivialOffsetCalculatorILi1EjESE_NS0_6memory15LoadWithoutCastENSF_16StoreWithoutCastEEEviT_T0_T2_T3_T4_T5_
    .private_segment_fixed_size: 0
    .sgpr_count:     35
    .sgpr_spill_count: 0
    .symbol:         _ZN2at6native27unrolled_elementwise_kernelIZZZNS0_15exp_kernel_cudaERNS_18TensorIteratorBaseEENKUlvE_clEvENKUlvE0_clEvEUlN3c107complexIfEEE_St5arrayIPcLm2EELi4E23TrivialOffsetCalculatorILi1EjESE_NS0_6memory15LoadWithoutCastENSF_16StoreWithoutCastEEEviT_T0_T2_T3_T4_T5_.kd
    .uniform_work_group_size: 1
    .uses_dynamic_stack: false
    .vgpr_count:     33
    .vgpr_spill_count: 0
    .wavefront_size: 32
    .workgroup_processor_mode: 1
  - .args:
      - .offset:         0
        .size:           4
        .value_kind:     by_value
      - .offset:         8
        .size:           352
        .value_kind:     by_value
    .group_segment_fixed_size: 0
    .kernarg_segment_align: 8
    .kernarg_segment_size: 360
    .language:       OpenCL C
    .language_version:
      - 2
      - 0
    .max_flat_workgroup_size: 128
    .name:           _ZN2at6native32elementwise_kernel_manual_unrollILi128ELi4EZNS0_22gpu_kernel_impl_nocastIZZZNS0_15exp_kernel_cudaERNS_18TensorIteratorBaseEENKUlvE_clEvENKUlvE0_clEvEUlN3c107complexIfEEE_EEvS4_RKT_EUlibE_EEviT1_
    .private_segment_fixed_size: 0
    .sgpr_count:     62
    .sgpr_spill_count: 0
    .symbol:         _ZN2at6native32elementwise_kernel_manual_unrollILi128ELi4EZNS0_22gpu_kernel_impl_nocastIZZZNS0_15exp_kernel_cudaERNS_18TensorIteratorBaseEENKUlvE_clEvENKUlvE0_clEvEUlN3c107complexIfEEE_EEvS4_RKT_EUlibE_EEviT1_.kd
    .uniform_work_group_size: 1
    .uses_dynamic_stack: false
    .vgpr_count:     30
    .vgpr_spill_count: 0
    .wavefront_size: 32
    .workgroup_processor_mode: 1
  - .args:
      - .offset:         0
        .size:           4
        .value_kind:     by_value
      - .offset:         8
        .size:           32
        .value_kind:     by_value
    .group_segment_fixed_size: 0
    .kernarg_segment_align: 8
    .kernarg_segment_size: 40
    .language:       OpenCL C
    .language_version:
      - 2
      - 0
    .max_flat_workgroup_size: 128
    .name:           _ZN2at6native32elementwise_kernel_manual_unrollILi128ELi4EZNS0_15gpu_kernel_implIZZZNS0_15exp_kernel_cudaERNS_18TensorIteratorBaseEENKUlvE_clEvENKUlvE0_clEvEUlN3c107complexIfEEE_EEvS4_RKT_EUlibE_EEviT1_
    .private_segment_fixed_size: 0
    .sgpr_count:     35
    .sgpr_spill_count: 0
    .symbol:         _ZN2at6native32elementwise_kernel_manual_unrollILi128ELi4EZNS0_15gpu_kernel_implIZZZNS0_15exp_kernel_cudaERNS_18TensorIteratorBaseEENKUlvE_clEvENKUlvE0_clEvEUlN3c107complexIfEEE_EEvS4_RKT_EUlibE_EEviT1_.kd
    .uniform_work_group_size: 1
    .uses_dynamic_stack: false
    .vgpr_count:     27
    .vgpr_spill_count: 0
    .wavefront_size: 32
    .workgroup_processor_mode: 1
  - .args:
      - .offset:         0
        .size:           4
        .value_kind:     by_value
      - .offset:         8
        .size:           352
        .value_kind:     by_value
    .group_segment_fixed_size: 0
    .kernarg_segment_align: 8
    .kernarg_segment_size: 360
    .language:       OpenCL C
    .language_version:
      - 2
      - 0
    .max_flat_workgroup_size: 128
    .name:           _ZN2at6native32elementwise_kernel_manual_unrollILi128ELi4EZNS0_15gpu_kernel_implIZZZNS0_15exp_kernel_cudaERNS_18TensorIteratorBaseEENKUlvE_clEvENKUlvE0_clEvEUlN3c107complexIfEEE_EEvS4_RKT_EUlibE0_EEviT1_
    .private_segment_fixed_size: 0
    .sgpr_count:     70
    .sgpr_spill_count: 0
    .symbol:         _ZN2at6native32elementwise_kernel_manual_unrollILi128ELi4EZNS0_15gpu_kernel_implIZZZNS0_15exp_kernel_cudaERNS_18TensorIteratorBaseEENKUlvE_clEvENKUlvE0_clEvEUlN3c107complexIfEEE_EEvS4_RKT_EUlibE0_EEviT1_.kd
    .uniform_work_group_size: 1
    .uses_dynamic_stack: false
    .vgpr_count:     28
    .vgpr_spill_count: 0
    .wavefront_size: 32
    .workgroup_processor_mode: 1
  - .args:
      - .offset:         0
        .size:           4
        .value_kind:     by_value
      - .offset:         4
        .size:           1
        .value_kind:     by_value
      - .offset:         8
        .size:           16
        .value_kind:     by_value
    .group_segment_fixed_size: 0
    .kernarg_segment_align: 8
    .kernarg_segment_size: 24
    .language:       OpenCL C
    .language_version:
      - 2
      - 0
    .max_flat_workgroup_size: 256
    .name:           _ZN2at6native29vectorized_elementwise_kernelILi16EZZZNS0_15exp_kernel_cudaERNS_18TensorIteratorBaseEENKUlvE_clEvENKUlvE1_clEvEUlN3c107complexINS6_4HalfEEEE_St5arrayIPcLm2EEEEviT0_T1_
    .private_segment_fixed_size: 0
    .sgpr_count:     35
    .sgpr_spill_count: 0
    .symbol:         _ZN2at6native29vectorized_elementwise_kernelILi16EZZZNS0_15exp_kernel_cudaERNS_18TensorIteratorBaseEENKUlvE_clEvENKUlvE1_clEvEUlN3c107complexINS6_4HalfEEEE_St5arrayIPcLm2EEEEviT0_T1_.kd
    .uniform_work_group_size: 1
    .uses_dynamic_stack: false
    .vgpr_count:     25
    .vgpr_spill_count: 0
    .wavefront_size: 32
    .workgroup_processor_mode: 1
  - .args:
      - .offset:         0
        .size:           4
        .value_kind:     by_value
      - .offset:         4
        .size:           1
        .value_kind:     by_value
      - .offset:         8
        .size:           16
        .value_kind:     by_value
    .group_segment_fixed_size: 0
    .kernarg_segment_align: 8
    .kernarg_segment_size: 24
    .language:       OpenCL C
    .language_version:
      - 2
      - 0
    .max_flat_workgroup_size: 256
    .name:           _ZN2at6native29vectorized_elementwise_kernelILi8EZZZNS0_15exp_kernel_cudaERNS_18TensorIteratorBaseEENKUlvE_clEvENKUlvE1_clEvEUlN3c107complexINS6_4HalfEEEE_St5arrayIPcLm2EEEEviT0_T1_
    .private_segment_fixed_size: 0
    .sgpr_count:     35
    .sgpr_spill_count: 0
    .symbol:         _ZN2at6native29vectorized_elementwise_kernelILi8EZZZNS0_15exp_kernel_cudaERNS_18TensorIteratorBaseEENKUlvE_clEvENKUlvE1_clEvEUlN3c107complexINS6_4HalfEEEE_St5arrayIPcLm2EEEEviT0_T1_.kd
    .uniform_work_group_size: 1
    .uses_dynamic_stack: false
    .vgpr_count:     25
    .vgpr_spill_count: 0
    .wavefront_size: 32
    .workgroup_processor_mode: 1
  - .args:
      - .offset:         0
        .size:           4
        .value_kind:     by_value
      - .offset:         4
        .size:           1
        .value_kind:     by_value
      - .offset:         8
        .size:           16
        .value_kind:     by_value
    .group_segment_fixed_size: 0
    .kernarg_segment_align: 8
    .kernarg_segment_size: 24
    .language:       OpenCL C
    .language_version:
      - 2
      - 0
    .max_flat_workgroup_size: 256
    .name:           _ZN2at6native29vectorized_elementwise_kernelILi4EZZZNS0_15exp_kernel_cudaERNS_18TensorIteratorBaseEENKUlvE_clEvENKUlvE1_clEvEUlN3c107complexINS6_4HalfEEEE_St5arrayIPcLm2EEEEviT0_T1_
    .private_segment_fixed_size: 0
    .sgpr_count:     35
    .sgpr_spill_count: 0
    .symbol:         _ZN2at6native29vectorized_elementwise_kernelILi4EZZZNS0_15exp_kernel_cudaERNS_18TensorIteratorBaseEENKUlvE_clEvENKUlvE1_clEvEUlN3c107complexINS6_4HalfEEEE_St5arrayIPcLm2EEEEviT0_T1_.kd
    .uniform_work_group_size: 1
    .uses_dynamic_stack: false
    .vgpr_count:     25
    .vgpr_spill_count: 0
    .wavefront_size: 32
    .workgroup_processor_mode: 1
  - .args:
      - .offset:         0
        .size:           4
        .value_kind:     by_value
      - .offset:         4
        .size:           1
        .value_kind:     by_value
      - .offset:         8
        .size:           16
        .value_kind:     by_value
    .group_segment_fixed_size: 0
    .kernarg_segment_align: 8
    .kernarg_segment_size: 24
    .language:       OpenCL C
    .language_version:
      - 2
      - 0
    .max_flat_workgroup_size: 256
    .name:           _ZN2at6native29vectorized_elementwise_kernelILi2EZZZNS0_15exp_kernel_cudaERNS_18TensorIteratorBaseEENKUlvE_clEvENKUlvE1_clEvEUlN3c107complexINS6_4HalfEEEE_St5arrayIPcLm2EEEEviT0_T1_
    .private_segment_fixed_size: 0
    .sgpr_count:     35
    .sgpr_spill_count: 0
    .symbol:         _ZN2at6native29vectorized_elementwise_kernelILi2EZZZNS0_15exp_kernel_cudaERNS_18TensorIteratorBaseEENKUlvE_clEvENKUlvE1_clEvEUlN3c107complexINS6_4HalfEEEE_St5arrayIPcLm2EEEEviT0_T1_.kd
    .uniform_work_group_size: 1
    .uses_dynamic_stack: false
    .vgpr_count:     25
    .vgpr_spill_count: 0
    .wavefront_size: 32
    .workgroup_processor_mode: 1
  - .args:
      - .offset:         0
        .size:           4
        .value_kind:     by_value
      - .offset:         4
        .size:           1
        .value_kind:     by_value
      - .offset:         8
        .size:           16
        .value_kind:     by_value
      - .offset:         24
        .size:           1
        .value_kind:     by_value
      - .offset:         25
        .size:           1
        .value_kind:     by_value
      - .offset:         26
        .size:           1
        .value_kind:     by_value
      - .offset:         27
        .size:           1
        .value_kind:     by_value
    .group_segment_fixed_size: 0
    .kernarg_segment_align: 8
    .kernarg_segment_size: 28
    .language:       OpenCL C
    .language_version:
      - 2
      - 0
    .max_flat_workgroup_size: 256
    .name:           _ZN2at6native27unrolled_elementwise_kernelIZZZNS0_15exp_kernel_cudaERNS_18TensorIteratorBaseEENKUlvE_clEvENKUlvE1_clEvEUlN3c107complexINS6_4HalfEEEE_St5arrayIPcLm2EELi4E23TrivialOffsetCalculatorILi1EjESF_NS0_6memory15LoadWithoutCastENSG_16StoreWithoutCastEEEviT_T0_T2_T3_T4_T5_
    .private_segment_fixed_size: 0
    .sgpr_count:     35
    .sgpr_spill_count: 0
    .symbol:         _ZN2at6native27unrolled_elementwise_kernelIZZZNS0_15exp_kernel_cudaERNS_18TensorIteratorBaseEENKUlvE_clEvENKUlvE1_clEvEUlN3c107complexINS6_4HalfEEEE_St5arrayIPcLm2EELi4E23TrivialOffsetCalculatorILi1EjESF_NS0_6memory15LoadWithoutCastENSG_16StoreWithoutCastEEEviT_T0_T2_T3_T4_T5_.kd
    .uniform_work_group_size: 1
    .uses_dynamic_stack: false
    .vgpr_count:     25
    .vgpr_spill_count: 0
    .wavefront_size: 32
    .workgroup_processor_mode: 1
  - .args:
      - .offset:         0
        .size:           4
        .value_kind:     by_value
      - .offset:         8
        .size:           352
        .value_kind:     by_value
    .group_segment_fixed_size: 0
    .kernarg_segment_align: 8
    .kernarg_segment_size: 360
    .language:       OpenCL C
    .language_version:
      - 2
      - 0
    .max_flat_workgroup_size: 128
    .name:           _ZN2at6native32elementwise_kernel_manual_unrollILi128ELi4EZNS0_22gpu_kernel_impl_nocastIZZZNS0_15exp_kernel_cudaERNS_18TensorIteratorBaseEENKUlvE_clEvENKUlvE1_clEvEUlN3c107complexINS7_4HalfEEEE_EEvS4_RKT_EUlibE_EEviT1_
    .private_segment_fixed_size: 0
    .sgpr_count:     62
    .sgpr_spill_count: 0
    .symbol:         _ZN2at6native32elementwise_kernel_manual_unrollILi128ELi4EZNS0_22gpu_kernel_impl_nocastIZZZNS0_15exp_kernel_cudaERNS_18TensorIteratorBaseEENKUlvE_clEvENKUlvE1_clEvEUlN3c107complexINS7_4HalfEEEE_EEvS4_RKT_EUlibE_EEviT1_.kd
    .uniform_work_group_size: 1
    .uses_dynamic_stack: false
    .vgpr_count:     25
    .vgpr_spill_count: 0
    .wavefront_size: 32
    .workgroup_processor_mode: 1
  - .args:
      - .offset:         0
        .size:           4
        .value_kind:     by_value
      - .offset:         8
        .size:           32
        .value_kind:     by_value
    .group_segment_fixed_size: 0
    .kernarg_segment_align: 8
    .kernarg_segment_size: 40
    .language:       OpenCL C
    .language_version:
      - 2
      - 0
    .max_flat_workgroup_size: 128
    .name:           _ZN2at6native32elementwise_kernel_manual_unrollILi128ELi4EZNS0_15gpu_kernel_implIZZZNS0_15exp_kernel_cudaERNS_18TensorIteratorBaseEENKUlvE_clEvENKUlvE1_clEvEUlN3c107complexINS7_4HalfEEEE_EEvS4_RKT_EUlibE_EEviT1_
    .private_segment_fixed_size: 0
    .sgpr_count:     35
    .sgpr_spill_count: 0
    .symbol:         _ZN2at6native32elementwise_kernel_manual_unrollILi128ELi4EZNS0_15gpu_kernel_implIZZZNS0_15exp_kernel_cudaERNS_18TensorIteratorBaseEENKUlvE_clEvENKUlvE1_clEvEUlN3c107complexINS7_4HalfEEEE_EEvS4_RKT_EUlibE_EEviT1_.kd
    .uniform_work_group_size: 1
    .uses_dynamic_stack: false
    .vgpr_count:     27
    .vgpr_spill_count: 0
    .wavefront_size: 32
    .workgroup_processor_mode: 1
  - .args:
      - .offset:         0
        .size:           4
        .value_kind:     by_value
      - .offset:         8
        .size:           352
        .value_kind:     by_value
    .group_segment_fixed_size: 0
    .kernarg_segment_align: 8
    .kernarg_segment_size: 360
    .language:       OpenCL C
    .language_version:
      - 2
      - 0
    .max_flat_workgroup_size: 128
    .name:           _ZN2at6native32elementwise_kernel_manual_unrollILi128ELi4EZNS0_15gpu_kernel_implIZZZNS0_15exp_kernel_cudaERNS_18TensorIteratorBaseEENKUlvE_clEvENKUlvE1_clEvEUlN3c107complexINS7_4HalfEEEE_EEvS4_RKT_EUlibE0_EEviT1_
    .private_segment_fixed_size: 0
    .sgpr_count:     70
    .sgpr_spill_count: 0
    .symbol:         _ZN2at6native32elementwise_kernel_manual_unrollILi128ELi4EZNS0_15gpu_kernel_implIZZZNS0_15exp_kernel_cudaERNS_18TensorIteratorBaseEENKUlvE_clEvENKUlvE1_clEvEUlN3c107complexINS7_4HalfEEEE_EEvS4_RKT_EUlibE0_EEviT1_.kd
    .uniform_work_group_size: 1
    .uses_dynamic_stack: false
    .vgpr_count:     28
    .vgpr_spill_count: 0
    .wavefront_size: 32
    .workgroup_processor_mode: 1
  - .args:
      - .offset:         0
        .size:           4
        .value_kind:     by_value
      - .offset:         4
        .size:           1
        .value_kind:     by_value
      - .offset:         8
        .size:           16
        .value_kind:     by_value
    .group_segment_fixed_size: 0
    .kernarg_segment_align: 8
    .kernarg_segment_size: 24
    .language:       OpenCL C
    .language_version:
      - 2
      - 0
    .max_flat_workgroup_size: 256
    .name:           _ZN2at6native29vectorized_elementwise_kernelILi16EZZZNS0_15exp_kernel_cudaERNS_18TensorIteratorBaseEENKUlvE0_clEvENKUlvE_clEvEUldE_St5arrayIPcLm2EEEEviT0_T1_
    .private_segment_fixed_size: 0
    .sgpr_count:     18
    .sgpr_spill_count: 0
    .symbol:         _ZN2at6native29vectorized_elementwise_kernelILi16EZZZNS0_15exp_kernel_cudaERNS_18TensorIteratorBaseEENKUlvE0_clEvENKUlvE_clEvEUldE_St5arrayIPcLm2EEEEviT0_T1_.kd
    .uniform_work_group_size: 1
    .uses_dynamic_stack: false
    .vgpr_count:     35
    .vgpr_spill_count: 0
    .wavefront_size: 32
    .workgroup_processor_mode: 1
  - .args:
      - .offset:         0
        .size:           4
        .value_kind:     by_value
      - .offset:         4
        .size:           1
        .value_kind:     by_value
      - .offset:         8
        .size:           16
        .value_kind:     by_value
    .group_segment_fixed_size: 0
    .kernarg_segment_align: 8
    .kernarg_segment_size: 24
    .language:       OpenCL C
    .language_version:
      - 2
      - 0
    .max_flat_workgroup_size: 256
    .name:           _ZN2at6native29vectorized_elementwise_kernelILi8EZZZNS0_15exp_kernel_cudaERNS_18TensorIteratorBaseEENKUlvE0_clEvENKUlvE_clEvEUldE_St5arrayIPcLm2EEEEviT0_T1_
    .private_segment_fixed_size: 0
    .sgpr_count:     18
    .sgpr_spill_count: 0
    .symbol:         _ZN2at6native29vectorized_elementwise_kernelILi8EZZZNS0_15exp_kernel_cudaERNS_18TensorIteratorBaseEENKUlvE0_clEvENKUlvE_clEvEUldE_St5arrayIPcLm2EEEEviT0_T1_.kd
    .uniform_work_group_size: 1
    .uses_dynamic_stack: false
    .vgpr_count:     35
    .vgpr_spill_count: 0
    .wavefront_size: 32
    .workgroup_processor_mode: 1
  - .args:
      - .offset:         0
        .size:           4
        .value_kind:     by_value
      - .offset:         4
        .size:           1
        .value_kind:     by_value
      - .offset:         8
        .size:           16
        .value_kind:     by_value
    .group_segment_fixed_size: 0
    .kernarg_segment_align: 8
    .kernarg_segment_size: 24
    .language:       OpenCL C
    .language_version:
      - 2
      - 0
    .max_flat_workgroup_size: 256
    .name:           _ZN2at6native29vectorized_elementwise_kernelILi4EZZZNS0_15exp_kernel_cudaERNS_18TensorIteratorBaseEENKUlvE0_clEvENKUlvE_clEvEUldE_St5arrayIPcLm2EEEEviT0_T1_
    .private_segment_fixed_size: 0
    .sgpr_count:     18
    .sgpr_spill_count: 0
    .symbol:         _ZN2at6native29vectorized_elementwise_kernelILi4EZZZNS0_15exp_kernel_cudaERNS_18TensorIteratorBaseEENKUlvE0_clEvENKUlvE_clEvEUldE_St5arrayIPcLm2EEEEviT0_T1_.kd
    .uniform_work_group_size: 1
    .uses_dynamic_stack: false
    .vgpr_count:     35
    .vgpr_spill_count: 0
    .wavefront_size: 32
    .workgroup_processor_mode: 1
  - .args:
      - .offset:         0
        .size:           4
        .value_kind:     by_value
      - .offset:         4
        .size:           1
        .value_kind:     by_value
      - .offset:         8
        .size:           16
        .value_kind:     by_value
    .group_segment_fixed_size: 0
    .kernarg_segment_align: 8
    .kernarg_segment_size: 24
    .language:       OpenCL C
    .language_version:
      - 2
      - 0
    .max_flat_workgroup_size: 256
    .name:           _ZN2at6native29vectorized_elementwise_kernelILi2EZZZNS0_15exp_kernel_cudaERNS_18TensorIteratorBaseEENKUlvE0_clEvENKUlvE_clEvEUldE_St5arrayIPcLm2EEEEviT0_T1_
    .private_segment_fixed_size: 0
    .sgpr_count:     18
    .sgpr_spill_count: 0
    .symbol:         _ZN2at6native29vectorized_elementwise_kernelILi2EZZZNS0_15exp_kernel_cudaERNS_18TensorIteratorBaseEENKUlvE0_clEvENKUlvE_clEvEUldE_St5arrayIPcLm2EEEEviT0_T1_.kd
    .uniform_work_group_size: 1
    .uses_dynamic_stack: false
    .vgpr_count:     35
    .vgpr_spill_count: 0
    .wavefront_size: 32
    .workgroup_processor_mode: 1
  - .args:
      - .offset:         0
        .size:           4
        .value_kind:     by_value
      - .offset:         4
        .size:           1
        .value_kind:     by_value
      - .offset:         8
        .size:           16
        .value_kind:     by_value
      - .offset:         24
        .size:           1
        .value_kind:     by_value
      - .offset:         25
        .size:           1
        .value_kind:     by_value
      - .offset:         26
        .size:           1
        .value_kind:     by_value
      - .offset:         27
        .size:           1
        .value_kind:     by_value
    .group_segment_fixed_size: 0
    .kernarg_segment_align: 8
    .kernarg_segment_size: 28
    .language:       OpenCL C
    .language_version:
      - 2
      - 0
    .max_flat_workgroup_size: 256
    .name:           _ZN2at6native27unrolled_elementwise_kernelIZZZNS0_15exp_kernel_cudaERNS_18TensorIteratorBaseEENKUlvE0_clEvENKUlvE_clEvEUldE_St5arrayIPcLm2EELi4E23TrivialOffsetCalculatorILi1EjESB_NS0_6memory15LoadWithoutCastENSC_16StoreWithoutCastEEEviT_T0_T2_T3_T4_T5_
    .private_segment_fixed_size: 0
    .sgpr_count:     18
    .sgpr_spill_count: 0
    .symbol:         _ZN2at6native27unrolled_elementwise_kernelIZZZNS0_15exp_kernel_cudaERNS_18TensorIteratorBaseEENKUlvE0_clEvENKUlvE_clEvEUldE_St5arrayIPcLm2EELi4E23TrivialOffsetCalculatorILi1EjESB_NS0_6memory15LoadWithoutCastENSC_16StoreWithoutCastEEEviT_T0_T2_T3_T4_T5_.kd
    .uniform_work_group_size: 1
    .uses_dynamic_stack: false
    .vgpr_count:     22
    .vgpr_spill_count: 0
    .wavefront_size: 32
    .workgroup_processor_mode: 1
  - .args:
      - .offset:         0
        .size:           4
        .value_kind:     by_value
      - .offset:         8
        .size:           352
        .value_kind:     by_value
    .group_segment_fixed_size: 0
    .kernarg_segment_align: 8
    .kernarg_segment_size: 360
    .language:       OpenCL C
    .language_version:
      - 2
      - 0
    .max_flat_workgroup_size: 128
    .name:           _ZN2at6native32elementwise_kernel_manual_unrollILi128ELi4EZNS0_22gpu_kernel_impl_nocastIZZZNS0_15exp_kernel_cudaERNS_18TensorIteratorBaseEENKUlvE0_clEvENKUlvE_clEvEUldE_EEvS4_RKT_EUlibE_EEviT1_
    .private_segment_fixed_size: 0
    .sgpr_count:     58
    .sgpr_spill_count: 0
    .symbol:         _ZN2at6native32elementwise_kernel_manual_unrollILi128ELi4EZNS0_22gpu_kernel_impl_nocastIZZZNS0_15exp_kernel_cudaERNS_18TensorIteratorBaseEENKUlvE0_clEvENKUlvE_clEvEUldE_EEvS4_RKT_EUlibE_EEviT1_.kd
    .uniform_work_group_size: 1
    .uses_dynamic_stack: false
    .vgpr_count:     40
    .vgpr_spill_count: 0
    .wavefront_size: 32
    .workgroup_processor_mode: 1
  - .args:
      - .offset:         0
        .size:           4
        .value_kind:     by_value
      - .offset:         8
        .size:           32
        .value_kind:     by_value
    .group_segment_fixed_size: 0
    .kernarg_segment_align: 8
    .kernarg_segment_size: 40
    .language:       OpenCL C
    .language_version:
      - 2
      - 0
    .max_flat_workgroup_size: 128
    .name:           _ZN2at6native32elementwise_kernel_manual_unrollILi128ELi4EZNS0_15gpu_kernel_implIZZZNS0_15exp_kernel_cudaERNS_18TensorIteratorBaseEENKUlvE0_clEvENKUlvE_clEvEUldE_EEvS4_RKT_EUlibE_EEviT1_
    .private_segment_fixed_size: 0
    .sgpr_count:     27
    .sgpr_spill_count: 0
    .symbol:         _ZN2at6native32elementwise_kernel_manual_unrollILi128ELi4EZNS0_15gpu_kernel_implIZZZNS0_15exp_kernel_cudaERNS_18TensorIteratorBaseEENKUlvE0_clEvENKUlvE_clEvEUldE_EEvS4_RKT_EUlibE_EEviT1_.kd
    .uniform_work_group_size: 1
    .uses_dynamic_stack: false
    .vgpr_count:     17
    .vgpr_spill_count: 0
    .wavefront_size: 32
    .workgroup_processor_mode: 1
  - .args:
      - .offset:         0
        .size:           4
        .value_kind:     by_value
      - .offset:         8
        .size:           352
        .value_kind:     by_value
    .group_segment_fixed_size: 0
    .kernarg_segment_align: 8
    .kernarg_segment_size: 360
    .language:       OpenCL C
    .language_version:
      - 2
      - 0
    .max_flat_workgroup_size: 128
    .name:           _ZN2at6native32elementwise_kernel_manual_unrollILi128ELi4EZNS0_15gpu_kernel_implIZZZNS0_15exp_kernel_cudaERNS_18TensorIteratorBaseEENKUlvE0_clEvENKUlvE_clEvEUldE_EEvS4_RKT_EUlibE0_EEviT1_
    .private_segment_fixed_size: 0
    .sgpr_count:     70
    .sgpr_spill_count: 0
    .symbol:         _ZN2at6native32elementwise_kernel_manual_unrollILi128ELi4EZNS0_15gpu_kernel_implIZZZNS0_15exp_kernel_cudaERNS_18TensorIteratorBaseEENKUlvE0_clEvENKUlvE_clEvEUldE_EEvS4_RKT_EUlibE0_EEviT1_.kd
    .uniform_work_group_size: 1
    .uses_dynamic_stack: false
    .vgpr_count:     19
    .vgpr_spill_count: 0
    .wavefront_size: 32
    .workgroup_processor_mode: 1
  - .args:
      - .offset:         0
        .size:           4
        .value_kind:     by_value
      - .offset:         4
        .size:           1
        .value_kind:     by_value
      - .offset:         8
        .size:           16
        .value_kind:     by_value
    .group_segment_fixed_size: 0
    .kernarg_segment_align: 8
    .kernarg_segment_size: 24
    .language:       OpenCL C
    .language_version:
      - 2
      - 0
    .max_flat_workgroup_size: 256
    .name:           _ZN2at6native29vectorized_elementwise_kernelILi16EZZZNS0_15exp_kernel_cudaERNS_18TensorIteratorBaseEENKUlvE0_clEvENKUlvE0_clEvEUlfE_St5arrayIPcLm2EEEEviT0_T1_
    .private_segment_fixed_size: 0
    .sgpr_count:     18
    .sgpr_spill_count: 0
    .symbol:         _ZN2at6native29vectorized_elementwise_kernelILi16EZZZNS0_15exp_kernel_cudaERNS_18TensorIteratorBaseEENKUlvE0_clEvENKUlvE0_clEvEUlfE_St5arrayIPcLm2EEEEviT0_T1_.kd
    .uniform_work_group_size: 1
    .uses_dynamic_stack: false
    .vgpr_count:     19
    .vgpr_spill_count: 0
    .wavefront_size: 32
    .workgroup_processor_mode: 1
  - .args:
      - .offset:         0
        .size:           4
        .value_kind:     by_value
      - .offset:         4
        .size:           1
        .value_kind:     by_value
      - .offset:         8
        .size:           16
        .value_kind:     by_value
    .group_segment_fixed_size: 0
    .kernarg_segment_align: 8
    .kernarg_segment_size: 24
    .language:       OpenCL C
    .language_version:
      - 2
      - 0
    .max_flat_workgroup_size: 256
    .name:           _ZN2at6native29vectorized_elementwise_kernelILi8EZZZNS0_15exp_kernel_cudaERNS_18TensorIteratorBaseEENKUlvE0_clEvENKUlvE0_clEvEUlfE_St5arrayIPcLm2EEEEviT0_T1_
    .private_segment_fixed_size: 0
    .sgpr_count:     18
    .sgpr_spill_count: 0
    .symbol:         _ZN2at6native29vectorized_elementwise_kernelILi8EZZZNS0_15exp_kernel_cudaERNS_18TensorIteratorBaseEENKUlvE0_clEvENKUlvE0_clEvEUlfE_St5arrayIPcLm2EEEEviT0_T1_.kd
    .uniform_work_group_size: 1
    .uses_dynamic_stack: false
    .vgpr_count:     19
    .vgpr_spill_count: 0
    .wavefront_size: 32
    .workgroup_processor_mode: 1
  - .args:
      - .offset:         0
        .size:           4
        .value_kind:     by_value
      - .offset:         4
        .size:           1
        .value_kind:     by_value
      - .offset:         8
        .size:           16
        .value_kind:     by_value
    .group_segment_fixed_size: 0
    .kernarg_segment_align: 8
    .kernarg_segment_size: 24
    .language:       OpenCL C
    .language_version:
      - 2
      - 0
    .max_flat_workgroup_size: 256
    .name:           _ZN2at6native29vectorized_elementwise_kernelILi4EZZZNS0_15exp_kernel_cudaERNS_18TensorIteratorBaseEENKUlvE0_clEvENKUlvE0_clEvEUlfE_St5arrayIPcLm2EEEEviT0_T1_
    .private_segment_fixed_size: 0
    .sgpr_count:     18
    .sgpr_spill_count: 0
    .symbol:         _ZN2at6native29vectorized_elementwise_kernelILi4EZZZNS0_15exp_kernel_cudaERNS_18TensorIteratorBaseEENKUlvE0_clEvENKUlvE0_clEvEUlfE_St5arrayIPcLm2EEEEviT0_T1_.kd
    .uniform_work_group_size: 1
    .uses_dynamic_stack: false
    .vgpr_count:     19
    .vgpr_spill_count: 0
    .wavefront_size: 32
    .workgroup_processor_mode: 1
  - .args:
      - .offset:         0
        .size:           4
        .value_kind:     by_value
      - .offset:         4
        .size:           1
        .value_kind:     by_value
      - .offset:         8
        .size:           16
        .value_kind:     by_value
    .group_segment_fixed_size: 0
    .kernarg_segment_align: 8
    .kernarg_segment_size: 24
    .language:       OpenCL C
    .language_version:
      - 2
      - 0
    .max_flat_workgroup_size: 256
    .name:           _ZN2at6native29vectorized_elementwise_kernelILi2EZZZNS0_15exp_kernel_cudaERNS_18TensorIteratorBaseEENKUlvE0_clEvENKUlvE0_clEvEUlfE_St5arrayIPcLm2EEEEviT0_T1_
    .private_segment_fixed_size: 0
    .sgpr_count:     18
    .sgpr_spill_count: 0
    .symbol:         _ZN2at6native29vectorized_elementwise_kernelILi2EZZZNS0_15exp_kernel_cudaERNS_18TensorIteratorBaseEENKUlvE0_clEvENKUlvE0_clEvEUlfE_St5arrayIPcLm2EEEEviT0_T1_.kd
    .uniform_work_group_size: 1
    .uses_dynamic_stack: false
    .vgpr_count:     19
    .vgpr_spill_count: 0
    .wavefront_size: 32
    .workgroup_processor_mode: 1
  - .args:
      - .offset:         0
        .size:           4
        .value_kind:     by_value
      - .offset:         4
        .size:           1
        .value_kind:     by_value
      - .offset:         8
        .size:           16
        .value_kind:     by_value
      - .offset:         24
        .size:           1
        .value_kind:     by_value
      - .offset:         25
        .size:           1
        .value_kind:     by_value
      - .offset:         26
        .size:           1
        .value_kind:     by_value
      - .offset:         27
        .size:           1
        .value_kind:     by_value
    .group_segment_fixed_size: 0
    .kernarg_segment_align: 8
    .kernarg_segment_size: 28
    .language:       OpenCL C
    .language_version:
      - 2
      - 0
    .max_flat_workgroup_size: 256
    .name:           _ZN2at6native27unrolled_elementwise_kernelIZZZNS0_15exp_kernel_cudaERNS_18TensorIteratorBaseEENKUlvE0_clEvENKUlvE0_clEvEUlfE_St5arrayIPcLm2EELi4E23TrivialOffsetCalculatorILi1EjESB_NS0_6memory15LoadWithoutCastENSC_16StoreWithoutCastEEEviT_T0_T2_T3_T4_T5_
    .private_segment_fixed_size: 0
    .sgpr_count:     18
    .sgpr_spill_count: 0
    .symbol:         _ZN2at6native27unrolled_elementwise_kernelIZZZNS0_15exp_kernel_cudaERNS_18TensorIteratorBaseEENKUlvE0_clEvENKUlvE0_clEvEUlfE_St5arrayIPcLm2EELi4E23TrivialOffsetCalculatorILi1EjESB_NS0_6memory15LoadWithoutCastENSC_16StoreWithoutCastEEEviT_T0_T2_T3_T4_T5_.kd
    .uniform_work_group_size: 1
    .uses_dynamic_stack: false
    .vgpr_count:     19
    .vgpr_spill_count: 0
    .wavefront_size: 32
    .workgroup_processor_mode: 1
  - .args:
      - .offset:         0
        .size:           4
        .value_kind:     by_value
      - .offset:         8
        .size:           352
        .value_kind:     by_value
    .group_segment_fixed_size: 0
    .kernarg_segment_align: 8
    .kernarg_segment_size: 360
    .language:       OpenCL C
    .language_version:
      - 2
      - 0
    .max_flat_workgroup_size: 128
    .name:           _ZN2at6native32elementwise_kernel_manual_unrollILi128ELi4EZNS0_22gpu_kernel_impl_nocastIZZZNS0_15exp_kernel_cudaERNS_18TensorIteratorBaseEENKUlvE0_clEvENKUlvE0_clEvEUlfE_EEvS4_RKT_EUlibE_EEviT1_
    .private_segment_fixed_size: 0
    .sgpr_count:     58
    .sgpr_spill_count: 0
    .symbol:         _ZN2at6native32elementwise_kernel_manual_unrollILi128ELi4EZNS0_22gpu_kernel_impl_nocastIZZZNS0_15exp_kernel_cudaERNS_18TensorIteratorBaseEENKUlvE0_clEvENKUlvE0_clEvEUlfE_EEvS4_RKT_EUlibE_EEviT1_.kd
    .uniform_work_group_size: 1
    .uses_dynamic_stack: false
    .vgpr_count:     20
    .vgpr_spill_count: 0
    .wavefront_size: 32
    .workgroup_processor_mode: 1
  - .args:
      - .offset:         0
        .size:           4
        .value_kind:     by_value
      - .offset:         8
        .size:           32
        .value_kind:     by_value
    .group_segment_fixed_size: 0
    .kernarg_segment_align: 8
    .kernarg_segment_size: 40
    .language:       OpenCL C
    .language_version:
      - 2
      - 0
    .max_flat_workgroup_size: 128
    .name:           _ZN2at6native32elementwise_kernel_manual_unrollILi128ELi4EZNS0_15gpu_kernel_implIZZZNS0_15exp_kernel_cudaERNS_18TensorIteratorBaseEENKUlvE0_clEvENKUlvE0_clEvEUlfE_EEvS4_RKT_EUlibE_EEviT1_
    .private_segment_fixed_size: 0
    .sgpr_count:     26
    .sgpr_spill_count: 0
    .symbol:         _ZN2at6native32elementwise_kernel_manual_unrollILi128ELi4EZNS0_15gpu_kernel_implIZZZNS0_15exp_kernel_cudaERNS_18TensorIteratorBaseEENKUlvE0_clEvENKUlvE0_clEvEUlfE_EEvS4_RKT_EUlibE_EEviT1_.kd
    .uniform_work_group_size: 1
    .uses_dynamic_stack: false
    .vgpr_count:     15
    .vgpr_spill_count: 0
    .wavefront_size: 32
    .workgroup_processor_mode: 1
  - .args:
      - .offset:         0
        .size:           4
        .value_kind:     by_value
      - .offset:         8
        .size:           352
        .value_kind:     by_value
    .group_segment_fixed_size: 0
    .kernarg_segment_align: 8
    .kernarg_segment_size: 360
    .language:       OpenCL C
    .language_version:
      - 2
      - 0
    .max_flat_workgroup_size: 128
    .name:           _ZN2at6native32elementwise_kernel_manual_unrollILi128ELi4EZNS0_15gpu_kernel_implIZZZNS0_15exp_kernel_cudaERNS_18TensorIteratorBaseEENKUlvE0_clEvENKUlvE0_clEvEUlfE_EEvS4_RKT_EUlibE0_EEviT1_
    .private_segment_fixed_size: 0
    .sgpr_count:     70
    .sgpr_spill_count: 0
    .symbol:         _ZN2at6native32elementwise_kernel_manual_unrollILi128ELi4EZNS0_15gpu_kernel_implIZZZNS0_15exp_kernel_cudaERNS_18TensorIteratorBaseEENKUlvE0_clEvENKUlvE0_clEvEUlfE_EEvS4_RKT_EUlibE0_EEviT1_.kd
    .uniform_work_group_size: 1
    .uses_dynamic_stack: false
    .vgpr_count:     18
    .vgpr_spill_count: 0
    .wavefront_size: 32
    .workgroup_processor_mode: 1
  - .args:
      - .offset:         0
        .size:           4
        .value_kind:     by_value
      - .offset:         4
        .size:           1
        .value_kind:     by_value
      - .offset:         8
        .size:           16
        .value_kind:     by_value
    .group_segment_fixed_size: 0
    .kernarg_segment_align: 8
    .kernarg_segment_size: 24
    .language:       OpenCL C
    .language_version:
      - 2
      - 0
    .max_flat_workgroup_size: 256
    .name:           _ZN2at6native29vectorized_elementwise_kernelILi16EZZZNS0_15exp_kernel_cudaERNS_18TensorIteratorBaseEENKUlvE0_clEvENKUlvE1_clEvEUlN3c104HalfEE_St5arrayIPcLm2EEEEviT0_T1_
    .private_segment_fixed_size: 0
    .sgpr_count:     18
    .sgpr_spill_count: 0
    .symbol:         _ZN2at6native29vectorized_elementwise_kernelILi16EZZZNS0_15exp_kernel_cudaERNS_18TensorIteratorBaseEENKUlvE0_clEvENKUlvE1_clEvEUlN3c104HalfEE_St5arrayIPcLm2EEEEviT0_T1_.kd
    .uniform_work_group_size: 1
    .uses_dynamic_stack: false
    .vgpr_count:     38
    .vgpr_spill_count: 0
    .wavefront_size: 32
    .workgroup_processor_mode: 1
  - .args:
      - .offset:         0
        .size:           4
        .value_kind:     by_value
      - .offset:         4
        .size:           1
        .value_kind:     by_value
      - .offset:         8
        .size:           16
        .value_kind:     by_value
    .group_segment_fixed_size: 0
    .kernarg_segment_align: 8
    .kernarg_segment_size: 24
    .language:       OpenCL C
    .language_version:
      - 2
      - 0
    .max_flat_workgroup_size: 256
    .name:           _ZN2at6native29vectorized_elementwise_kernelILi8EZZZNS0_15exp_kernel_cudaERNS_18TensorIteratorBaseEENKUlvE0_clEvENKUlvE1_clEvEUlN3c104HalfEE_St5arrayIPcLm2EEEEviT0_T1_
    .private_segment_fixed_size: 0
    .sgpr_count:     18
    .sgpr_spill_count: 0
    .symbol:         _ZN2at6native29vectorized_elementwise_kernelILi8EZZZNS0_15exp_kernel_cudaERNS_18TensorIteratorBaseEENKUlvE0_clEvENKUlvE1_clEvEUlN3c104HalfEE_St5arrayIPcLm2EEEEviT0_T1_.kd
    .uniform_work_group_size: 1
    .uses_dynamic_stack: false
    .vgpr_count:     38
    .vgpr_spill_count: 0
    .wavefront_size: 32
    .workgroup_processor_mode: 1
  - .args:
      - .offset:         0
        .size:           4
        .value_kind:     by_value
      - .offset:         4
        .size:           1
        .value_kind:     by_value
      - .offset:         8
        .size:           16
        .value_kind:     by_value
    .group_segment_fixed_size: 0
    .kernarg_segment_align: 8
    .kernarg_segment_size: 24
    .language:       OpenCL C
    .language_version:
      - 2
      - 0
    .max_flat_workgroup_size: 256
    .name:           _ZN2at6native29vectorized_elementwise_kernelILi4EZZZNS0_15exp_kernel_cudaERNS_18TensorIteratorBaseEENKUlvE0_clEvENKUlvE1_clEvEUlN3c104HalfEE_St5arrayIPcLm2EEEEviT0_T1_
    .private_segment_fixed_size: 0
    .sgpr_count:     18
    .sgpr_spill_count: 0
    .symbol:         _ZN2at6native29vectorized_elementwise_kernelILi4EZZZNS0_15exp_kernel_cudaERNS_18TensorIteratorBaseEENKUlvE0_clEvENKUlvE1_clEvEUlN3c104HalfEE_St5arrayIPcLm2EEEEviT0_T1_.kd
    .uniform_work_group_size: 1
    .uses_dynamic_stack: false
    .vgpr_count:     38
    .vgpr_spill_count: 0
    .wavefront_size: 32
    .workgroup_processor_mode: 1
  - .args:
      - .offset:         0
        .size:           4
        .value_kind:     by_value
      - .offset:         4
        .size:           1
        .value_kind:     by_value
      - .offset:         8
        .size:           16
        .value_kind:     by_value
    .group_segment_fixed_size: 0
    .kernarg_segment_align: 8
    .kernarg_segment_size: 24
    .language:       OpenCL C
    .language_version:
      - 2
      - 0
    .max_flat_workgroup_size: 256
    .name:           _ZN2at6native29vectorized_elementwise_kernelILi2EZZZNS0_15exp_kernel_cudaERNS_18TensorIteratorBaseEENKUlvE0_clEvENKUlvE1_clEvEUlN3c104HalfEE_St5arrayIPcLm2EEEEviT0_T1_
    .private_segment_fixed_size: 0
    .sgpr_count:     18
    .sgpr_spill_count: 0
    .symbol:         _ZN2at6native29vectorized_elementwise_kernelILi2EZZZNS0_15exp_kernel_cudaERNS_18TensorIteratorBaseEENKUlvE0_clEvENKUlvE1_clEvEUlN3c104HalfEE_St5arrayIPcLm2EEEEviT0_T1_.kd
    .uniform_work_group_size: 1
    .uses_dynamic_stack: false
    .vgpr_count:     38
    .vgpr_spill_count: 0
    .wavefront_size: 32
    .workgroup_processor_mode: 1
  - .args:
      - .offset:         0
        .size:           4
        .value_kind:     by_value
      - .offset:         4
        .size:           1
        .value_kind:     by_value
      - .offset:         8
        .size:           16
        .value_kind:     by_value
      - .offset:         24
        .size:           1
        .value_kind:     by_value
      - .offset:         25
        .size:           1
        .value_kind:     by_value
      - .offset:         26
        .size:           1
        .value_kind:     by_value
      - .offset:         27
        .size:           1
        .value_kind:     by_value
    .group_segment_fixed_size: 0
    .kernarg_segment_align: 8
    .kernarg_segment_size: 28
    .language:       OpenCL C
    .language_version:
      - 2
      - 0
    .max_flat_workgroup_size: 256
    .name:           _ZN2at6native27unrolled_elementwise_kernelIZZZNS0_15exp_kernel_cudaERNS_18TensorIteratorBaseEENKUlvE0_clEvENKUlvE1_clEvEUlN3c104HalfEE_St5arrayIPcLm2EELi4E23TrivialOffsetCalculatorILi1EjESD_NS0_6memory15LoadWithoutCastENSE_16StoreWithoutCastEEEviT_T0_T2_T3_T4_T5_
    .private_segment_fixed_size: 0
    .sgpr_count:     18
    .sgpr_spill_count: 0
    .symbol:         _ZN2at6native27unrolled_elementwise_kernelIZZZNS0_15exp_kernel_cudaERNS_18TensorIteratorBaseEENKUlvE0_clEvENKUlvE1_clEvEUlN3c104HalfEE_St5arrayIPcLm2EELi4E23TrivialOffsetCalculatorILi1EjESD_NS0_6memory15LoadWithoutCastENSE_16StoreWithoutCastEEEviT_T0_T2_T3_T4_T5_.kd
    .uniform_work_group_size: 1
    .uses_dynamic_stack: false
    .vgpr_count:     10
    .vgpr_spill_count: 0
    .wavefront_size: 32
    .workgroup_processor_mode: 1
  - .args:
      - .offset:         0
        .size:           4
        .value_kind:     by_value
      - .offset:         8
        .size:           352
        .value_kind:     by_value
    .group_segment_fixed_size: 0
    .kernarg_segment_align: 8
    .kernarg_segment_size: 360
    .language:       OpenCL C
    .language_version:
      - 2
      - 0
    .max_flat_workgroup_size: 128
    .name:           _ZN2at6native32elementwise_kernel_manual_unrollILi128ELi8EZNS0_22gpu_kernel_impl_nocastIZZZNS0_15exp_kernel_cudaERNS_18TensorIteratorBaseEENKUlvE0_clEvENKUlvE1_clEvEUlN3c104HalfEE_EEvS4_RKT_EUlibE_EEviT1_
    .private_segment_fixed_size: 0
    .sgpr_count:     58
    .sgpr_spill_count: 0
    .symbol:         _ZN2at6native32elementwise_kernel_manual_unrollILi128ELi8EZNS0_22gpu_kernel_impl_nocastIZZZNS0_15exp_kernel_cudaERNS_18TensorIteratorBaseEENKUlvE0_clEvENKUlvE1_clEvEUlN3c104HalfEE_EEvS4_RKT_EUlibE_EEviT1_.kd
    .uniform_work_group_size: 1
    .uses_dynamic_stack: false
    .vgpr_count:     48
    .vgpr_spill_count: 0
    .wavefront_size: 32
    .workgroup_processor_mode: 1
  - .args:
      - .offset:         0
        .size:           4
        .value_kind:     by_value
      - .offset:         8
        .size:           32
        .value_kind:     by_value
    .group_segment_fixed_size: 0
    .kernarg_segment_align: 8
    .kernarg_segment_size: 40
    .language:       OpenCL C
    .language_version:
      - 2
      - 0
    .max_flat_workgroup_size: 128
    .name:           _ZN2at6native32elementwise_kernel_manual_unrollILi128ELi4EZNS0_15gpu_kernel_implIZZZNS0_15exp_kernel_cudaERNS_18TensorIteratorBaseEENKUlvE0_clEvENKUlvE1_clEvEUlN3c104HalfEE_EEvS4_RKT_EUlibE_EEviT1_
    .private_segment_fixed_size: 0
    .sgpr_count:     26
    .sgpr_spill_count: 0
    .symbol:         _ZN2at6native32elementwise_kernel_manual_unrollILi128ELi4EZNS0_15gpu_kernel_implIZZZNS0_15exp_kernel_cudaERNS_18TensorIteratorBaseEENKUlvE0_clEvENKUlvE1_clEvEUlN3c104HalfEE_EEvS4_RKT_EUlibE_EEviT1_.kd
    .uniform_work_group_size: 1
    .uses_dynamic_stack: false
    .vgpr_count:     13
    .vgpr_spill_count: 0
    .wavefront_size: 32
    .workgroup_processor_mode: 1
  - .args:
      - .offset:         0
        .size:           4
        .value_kind:     by_value
      - .offset:         8
        .size:           352
        .value_kind:     by_value
    .group_segment_fixed_size: 0
    .kernarg_segment_align: 8
    .kernarg_segment_size: 360
    .language:       OpenCL C
    .language_version:
      - 2
      - 0
    .max_flat_workgroup_size: 128
    .name:           _ZN2at6native32elementwise_kernel_manual_unrollILi128ELi4EZNS0_15gpu_kernel_implIZZZNS0_15exp_kernel_cudaERNS_18TensorIteratorBaseEENKUlvE0_clEvENKUlvE1_clEvEUlN3c104HalfEE_EEvS4_RKT_EUlibE0_EEviT1_
    .private_segment_fixed_size: 0
    .sgpr_count:     70
    .sgpr_spill_count: 0
    .symbol:         _ZN2at6native32elementwise_kernel_manual_unrollILi128ELi4EZNS0_15gpu_kernel_implIZZZNS0_15exp_kernel_cudaERNS_18TensorIteratorBaseEENKUlvE0_clEvENKUlvE1_clEvEUlN3c104HalfEE_EEvS4_RKT_EUlibE0_EEviT1_.kd
    .uniform_work_group_size: 1
    .uses_dynamic_stack: false
    .vgpr_count:     18
    .vgpr_spill_count: 0
    .wavefront_size: 32
    .workgroup_processor_mode: 1
  - .args:
      - .offset:         0
        .size:           4
        .value_kind:     by_value
      - .offset:         4
        .size:           1
        .value_kind:     by_value
      - .offset:         8
        .size:           16
        .value_kind:     by_value
    .group_segment_fixed_size: 0
    .kernarg_segment_align: 8
    .kernarg_segment_size: 24
    .language:       OpenCL C
    .language_version:
      - 2
      - 0
    .max_flat_workgroup_size: 256
    .name:           _ZN2at6native29vectorized_elementwise_kernelILi16EZZZNS0_15exp_kernel_cudaERNS_18TensorIteratorBaseEENKUlvE0_clEvENKUlvE2_clEvEUlN3c108BFloat16EE_St5arrayIPcLm2EEEEviT0_T1_
    .private_segment_fixed_size: 0
    .sgpr_count:     18
    .sgpr_spill_count: 0
    .symbol:         _ZN2at6native29vectorized_elementwise_kernelILi16EZZZNS0_15exp_kernel_cudaERNS_18TensorIteratorBaseEENKUlvE0_clEvENKUlvE2_clEvEUlN3c108BFloat16EE_St5arrayIPcLm2EEEEviT0_T1_.kd
    .uniform_work_group_size: 1
    .uses_dynamic_stack: false
    .vgpr_count:     34
    .vgpr_spill_count: 0
    .wavefront_size: 32
    .workgroup_processor_mode: 1
  - .args:
      - .offset:         0
        .size:           4
        .value_kind:     by_value
      - .offset:         4
        .size:           1
        .value_kind:     by_value
      - .offset:         8
        .size:           16
        .value_kind:     by_value
    .group_segment_fixed_size: 0
    .kernarg_segment_align: 8
    .kernarg_segment_size: 24
    .language:       OpenCL C
    .language_version:
      - 2
      - 0
    .max_flat_workgroup_size: 256
    .name:           _ZN2at6native29vectorized_elementwise_kernelILi8EZZZNS0_15exp_kernel_cudaERNS_18TensorIteratorBaseEENKUlvE0_clEvENKUlvE2_clEvEUlN3c108BFloat16EE_St5arrayIPcLm2EEEEviT0_T1_
    .private_segment_fixed_size: 0
    .sgpr_count:     18
    .sgpr_spill_count: 0
    .symbol:         _ZN2at6native29vectorized_elementwise_kernelILi8EZZZNS0_15exp_kernel_cudaERNS_18TensorIteratorBaseEENKUlvE0_clEvENKUlvE2_clEvEUlN3c108BFloat16EE_St5arrayIPcLm2EEEEviT0_T1_.kd
    .uniform_work_group_size: 1
    .uses_dynamic_stack: false
    .vgpr_count:     34
    .vgpr_spill_count: 0
    .wavefront_size: 32
    .workgroup_processor_mode: 1
  - .args:
      - .offset:         0
        .size:           4
        .value_kind:     by_value
      - .offset:         4
        .size:           1
        .value_kind:     by_value
      - .offset:         8
        .size:           16
        .value_kind:     by_value
    .group_segment_fixed_size: 0
    .kernarg_segment_align: 8
    .kernarg_segment_size: 24
    .language:       OpenCL C
    .language_version:
      - 2
      - 0
    .max_flat_workgroup_size: 256
    .name:           _ZN2at6native29vectorized_elementwise_kernelILi4EZZZNS0_15exp_kernel_cudaERNS_18TensorIteratorBaseEENKUlvE0_clEvENKUlvE2_clEvEUlN3c108BFloat16EE_St5arrayIPcLm2EEEEviT0_T1_
    .private_segment_fixed_size: 0
    .sgpr_count:     18
    .sgpr_spill_count: 0
    .symbol:         _ZN2at6native29vectorized_elementwise_kernelILi4EZZZNS0_15exp_kernel_cudaERNS_18TensorIteratorBaseEENKUlvE0_clEvENKUlvE2_clEvEUlN3c108BFloat16EE_St5arrayIPcLm2EEEEviT0_T1_.kd
    .uniform_work_group_size: 1
    .uses_dynamic_stack: false
    .vgpr_count:     34
    .vgpr_spill_count: 0
    .wavefront_size: 32
    .workgroup_processor_mode: 1
  - .args:
      - .offset:         0
        .size:           4
        .value_kind:     by_value
      - .offset:         4
        .size:           1
        .value_kind:     by_value
      - .offset:         8
        .size:           16
        .value_kind:     by_value
    .group_segment_fixed_size: 0
    .kernarg_segment_align: 8
    .kernarg_segment_size: 24
    .language:       OpenCL C
    .language_version:
      - 2
      - 0
    .max_flat_workgroup_size: 256
    .name:           _ZN2at6native29vectorized_elementwise_kernelILi2EZZZNS0_15exp_kernel_cudaERNS_18TensorIteratorBaseEENKUlvE0_clEvENKUlvE2_clEvEUlN3c108BFloat16EE_St5arrayIPcLm2EEEEviT0_T1_
    .private_segment_fixed_size: 0
    .sgpr_count:     18
    .sgpr_spill_count: 0
    .symbol:         _ZN2at6native29vectorized_elementwise_kernelILi2EZZZNS0_15exp_kernel_cudaERNS_18TensorIteratorBaseEENKUlvE0_clEvENKUlvE2_clEvEUlN3c108BFloat16EE_St5arrayIPcLm2EEEEviT0_T1_.kd
    .uniform_work_group_size: 1
    .uses_dynamic_stack: false
    .vgpr_count:     34
    .vgpr_spill_count: 0
    .wavefront_size: 32
    .workgroup_processor_mode: 1
  - .args:
      - .offset:         0
        .size:           4
        .value_kind:     by_value
      - .offset:         4
        .size:           1
        .value_kind:     by_value
      - .offset:         8
        .size:           16
        .value_kind:     by_value
      - .offset:         24
        .size:           1
        .value_kind:     by_value
      - .offset:         25
        .size:           1
        .value_kind:     by_value
      - .offset:         26
        .size:           1
        .value_kind:     by_value
      - .offset:         27
        .size:           1
        .value_kind:     by_value
    .group_segment_fixed_size: 0
    .kernarg_segment_align: 8
    .kernarg_segment_size: 28
    .language:       OpenCL C
    .language_version:
      - 2
      - 0
    .max_flat_workgroup_size: 256
    .name:           _ZN2at6native27unrolled_elementwise_kernelIZZZNS0_15exp_kernel_cudaERNS_18TensorIteratorBaseEENKUlvE0_clEvENKUlvE2_clEvEUlN3c108BFloat16EE_St5arrayIPcLm2EELi4E23TrivialOffsetCalculatorILi1EjESD_NS0_6memory15LoadWithoutCastENSE_16StoreWithoutCastEEEviT_T0_T2_T3_T4_T5_
    .private_segment_fixed_size: 0
    .sgpr_count:     18
    .sgpr_spill_count: 0
    .symbol:         _ZN2at6native27unrolled_elementwise_kernelIZZZNS0_15exp_kernel_cudaERNS_18TensorIteratorBaseEENKUlvE0_clEvENKUlvE2_clEvEUlN3c108BFloat16EE_St5arrayIPcLm2EELi4E23TrivialOffsetCalculatorILi1EjESD_NS0_6memory15LoadWithoutCastENSE_16StoreWithoutCastEEEviT_T0_T2_T3_T4_T5_.kd
    .uniform_work_group_size: 1
    .uses_dynamic_stack: false
    .vgpr_count:     10
    .vgpr_spill_count: 0
    .wavefront_size: 32
    .workgroup_processor_mode: 1
  - .args:
      - .offset:         0
        .size:           4
        .value_kind:     by_value
      - .offset:         8
        .size:           352
        .value_kind:     by_value
    .group_segment_fixed_size: 0
    .kernarg_segment_align: 8
    .kernarg_segment_size: 360
    .language:       OpenCL C
    .language_version:
      - 2
      - 0
    .max_flat_workgroup_size: 128
    .name:           _ZN2at6native32elementwise_kernel_manual_unrollILi128ELi8EZNS0_22gpu_kernel_impl_nocastIZZZNS0_15exp_kernel_cudaERNS_18TensorIteratorBaseEENKUlvE0_clEvENKUlvE2_clEvEUlN3c108BFloat16EE_EEvS4_RKT_EUlibE_EEviT1_
    .private_segment_fixed_size: 0
    .sgpr_count:     58
    .sgpr_spill_count: 0
    .symbol:         _ZN2at6native32elementwise_kernel_manual_unrollILi128ELi8EZNS0_22gpu_kernel_impl_nocastIZZZNS0_15exp_kernel_cudaERNS_18TensorIteratorBaseEENKUlvE0_clEvENKUlvE2_clEvEUlN3c108BFloat16EE_EEvS4_RKT_EUlibE_EEviT1_.kd
    .uniform_work_group_size: 1
    .uses_dynamic_stack: false
    .vgpr_count:     40
    .vgpr_spill_count: 0
    .wavefront_size: 32
    .workgroup_processor_mode: 1
  - .args:
      - .offset:         0
        .size:           4
        .value_kind:     by_value
      - .offset:         8
        .size:           32
        .value_kind:     by_value
    .group_segment_fixed_size: 0
    .kernarg_segment_align: 8
    .kernarg_segment_size: 40
    .language:       OpenCL C
    .language_version:
      - 2
      - 0
    .max_flat_workgroup_size: 128
    .name:           _ZN2at6native32elementwise_kernel_manual_unrollILi128ELi4EZNS0_15gpu_kernel_implIZZZNS0_15exp_kernel_cudaERNS_18TensorIteratorBaseEENKUlvE0_clEvENKUlvE2_clEvEUlN3c108BFloat16EE_EEvS4_RKT_EUlibE_EEviT1_
    .private_segment_fixed_size: 0
    .sgpr_count:     26
    .sgpr_spill_count: 0
    .symbol:         _ZN2at6native32elementwise_kernel_manual_unrollILi128ELi4EZNS0_15gpu_kernel_implIZZZNS0_15exp_kernel_cudaERNS_18TensorIteratorBaseEENKUlvE0_clEvENKUlvE2_clEvEUlN3c108BFloat16EE_EEvS4_RKT_EUlibE_EEviT1_.kd
    .uniform_work_group_size: 1
    .uses_dynamic_stack: false
    .vgpr_count:     13
    .vgpr_spill_count: 0
    .wavefront_size: 32
    .workgroup_processor_mode: 1
  - .args:
      - .offset:         0
        .size:           4
        .value_kind:     by_value
      - .offset:         8
        .size:           352
        .value_kind:     by_value
    .group_segment_fixed_size: 0
    .kernarg_segment_align: 8
    .kernarg_segment_size: 360
    .language:       OpenCL C
    .language_version:
      - 2
      - 0
    .max_flat_workgroup_size: 128
    .name:           _ZN2at6native32elementwise_kernel_manual_unrollILi128ELi4EZNS0_15gpu_kernel_implIZZZNS0_15exp_kernel_cudaERNS_18TensorIteratorBaseEENKUlvE0_clEvENKUlvE2_clEvEUlN3c108BFloat16EE_EEvS4_RKT_EUlibE0_EEviT1_
    .private_segment_fixed_size: 0
    .sgpr_count:     70
    .sgpr_spill_count: 0
    .symbol:         _ZN2at6native32elementwise_kernel_manual_unrollILi128ELi4EZNS0_15gpu_kernel_implIZZZNS0_15exp_kernel_cudaERNS_18TensorIteratorBaseEENKUlvE0_clEvENKUlvE2_clEvEUlN3c108BFloat16EE_EEvS4_RKT_EUlibE0_EEviT1_.kd
    .uniform_work_group_size: 1
    .uses_dynamic_stack: false
    .vgpr_count:     18
    .vgpr_spill_count: 0
    .wavefront_size: 32
    .workgroup_processor_mode: 1
  - .args:
      - .offset:         0
        .size:           4
        .value_kind:     by_value
      - .offset:         4
        .size:           1
        .value_kind:     by_value
      - .offset:         8
        .size:           16
        .value_kind:     by_value
    .group_segment_fixed_size: 0
    .kernarg_segment_align: 8
    .kernarg_segment_size: 24
    .language:       OpenCL C
    .language_version:
      - 2
      - 0
    .max_flat_workgroup_size: 256
    .name:           _ZN2at6native29vectorized_elementwise_kernelILi16EZZZNS0_17expm1_kernel_cudaERNS_18TensorIteratorBaseEENKUlvE_clEvENKUlvE_clEvEUldE_St5arrayIPcLm2EEEEviT0_T1_
    .private_segment_fixed_size: 0
    .sgpr_count:     24
    .sgpr_spill_count: 0
    .symbol:         _ZN2at6native29vectorized_elementwise_kernelILi16EZZZNS0_17expm1_kernel_cudaERNS_18TensorIteratorBaseEENKUlvE_clEvENKUlvE_clEvEUldE_St5arrayIPcLm2EEEEviT0_T1_.kd
    .uniform_work_group_size: 1
    .uses_dynamic_stack: false
    .vgpr_count:     42
    .vgpr_spill_count: 0
    .wavefront_size: 32
    .workgroup_processor_mode: 1
  - .args:
      - .offset:         0
        .size:           4
        .value_kind:     by_value
      - .offset:         4
        .size:           1
        .value_kind:     by_value
      - .offset:         8
        .size:           16
        .value_kind:     by_value
    .group_segment_fixed_size: 0
    .kernarg_segment_align: 8
    .kernarg_segment_size: 24
    .language:       OpenCL C
    .language_version:
      - 2
      - 0
    .max_flat_workgroup_size: 256
    .name:           _ZN2at6native29vectorized_elementwise_kernelILi8EZZZNS0_17expm1_kernel_cudaERNS_18TensorIteratorBaseEENKUlvE_clEvENKUlvE_clEvEUldE_St5arrayIPcLm2EEEEviT0_T1_
    .private_segment_fixed_size: 0
    .sgpr_count:     24
    .sgpr_spill_count: 0
    .symbol:         _ZN2at6native29vectorized_elementwise_kernelILi8EZZZNS0_17expm1_kernel_cudaERNS_18TensorIteratorBaseEENKUlvE_clEvENKUlvE_clEvEUldE_St5arrayIPcLm2EEEEviT0_T1_.kd
    .uniform_work_group_size: 1
    .uses_dynamic_stack: false
    .vgpr_count:     42
    .vgpr_spill_count: 0
    .wavefront_size: 32
    .workgroup_processor_mode: 1
  - .args:
      - .offset:         0
        .size:           4
        .value_kind:     by_value
      - .offset:         4
        .size:           1
        .value_kind:     by_value
      - .offset:         8
        .size:           16
        .value_kind:     by_value
    .group_segment_fixed_size: 0
    .kernarg_segment_align: 8
    .kernarg_segment_size: 24
    .language:       OpenCL C
    .language_version:
      - 2
      - 0
    .max_flat_workgroup_size: 256
    .name:           _ZN2at6native29vectorized_elementwise_kernelILi4EZZZNS0_17expm1_kernel_cudaERNS_18TensorIteratorBaseEENKUlvE_clEvENKUlvE_clEvEUldE_St5arrayIPcLm2EEEEviT0_T1_
    .private_segment_fixed_size: 0
    .sgpr_count:     24
    .sgpr_spill_count: 0
    .symbol:         _ZN2at6native29vectorized_elementwise_kernelILi4EZZZNS0_17expm1_kernel_cudaERNS_18TensorIteratorBaseEENKUlvE_clEvENKUlvE_clEvEUldE_St5arrayIPcLm2EEEEviT0_T1_.kd
    .uniform_work_group_size: 1
    .uses_dynamic_stack: false
    .vgpr_count:     42
    .vgpr_spill_count: 0
    .wavefront_size: 32
    .workgroup_processor_mode: 1
  - .args:
      - .offset:         0
        .size:           4
        .value_kind:     by_value
      - .offset:         4
        .size:           1
        .value_kind:     by_value
      - .offset:         8
        .size:           16
        .value_kind:     by_value
    .group_segment_fixed_size: 0
    .kernarg_segment_align: 8
    .kernarg_segment_size: 24
    .language:       OpenCL C
    .language_version:
      - 2
      - 0
    .max_flat_workgroup_size: 256
    .name:           _ZN2at6native29vectorized_elementwise_kernelILi2EZZZNS0_17expm1_kernel_cudaERNS_18TensorIteratorBaseEENKUlvE_clEvENKUlvE_clEvEUldE_St5arrayIPcLm2EEEEviT0_T1_
    .private_segment_fixed_size: 0
    .sgpr_count:     24
    .sgpr_spill_count: 0
    .symbol:         _ZN2at6native29vectorized_elementwise_kernelILi2EZZZNS0_17expm1_kernel_cudaERNS_18TensorIteratorBaseEENKUlvE_clEvENKUlvE_clEvEUldE_St5arrayIPcLm2EEEEviT0_T1_.kd
    .uniform_work_group_size: 1
    .uses_dynamic_stack: false
    .vgpr_count:     38
    .vgpr_spill_count: 0
    .wavefront_size: 32
    .workgroup_processor_mode: 1
  - .args:
      - .offset:         0
        .size:           4
        .value_kind:     by_value
      - .offset:         4
        .size:           1
        .value_kind:     by_value
      - .offset:         8
        .size:           16
        .value_kind:     by_value
      - .offset:         24
        .size:           1
        .value_kind:     by_value
      - .offset:         25
        .size:           1
        .value_kind:     by_value
      - .offset:         26
        .size:           1
        .value_kind:     by_value
      - .offset:         27
        .size:           1
        .value_kind:     by_value
    .group_segment_fixed_size: 0
    .kernarg_segment_align: 8
    .kernarg_segment_size: 28
    .language:       OpenCL C
    .language_version:
      - 2
      - 0
    .max_flat_workgroup_size: 256
    .name:           _ZN2at6native27unrolled_elementwise_kernelIZZZNS0_17expm1_kernel_cudaERNS_18TensorIteratorBaseEENKUlvE_clEvENKUlvE_clEvEUldE_St5arrayIPcLm2EELi4E23TrivialOffsetCalculatorILi1EjESB_NS0_6memory15LoadWithoutCastENSC_16StoreWithoutCastEEEviT_T0_T2_T3_T4_T5_
    .private_segment_fixed_size: 0
    .sgpr_count:     18
    .sgpr_spill_count: 0
    .symbol:         _ZN2at6native27unrolled_elementwise_kernelIZZZNS0_17expm1_kernel_cudaERNS_18TensorIteratorBaseEENKUlvE_clEvENKUlvE_clEvEUldE_St5arrayIPcLm2EELi4E23TrivialOffsetCalculatorILi1EjESB_NS0_6memory15LoadWithoutCastENSC_16StoreWithoutCastEEEviT_T0_T2_T3_T4_T5_.kd
    .uniform_work_group_size: 1
    .uses_dynamic_stack: false
    .vgpr_count:     23
    .vgpr_spill_count: 0
    .wavefront_size: 32
    .workgroup_processor_mode: 1
  - .args:
      - .offset:         0
        .size:           4
        .value_kind:     by_value
      - .offset:         8
        .size:           352
        .value_kind:     by_value
    .group_segment_fixed_size: 0
    .kernarg_segment_align: 8
    .kernarg_segment_size: 360
    .language:       OpenCL C
    .language_version:
      - 2
      - 0
    .max_flat_workgroup_size: 128
    .name:           _ZN2at6native32elementwise_kernel_manual_unrollILi128ELi4EZNS0_22gpu_kernel_impl_nocastIZZZNS0_17expm1_kernel_cudaERNS_18TensorIteratorBaseEENKUlvE_clEvENKUlvE_clEvEUldE_EEvS4_RKT_EUlibE_EEviT1_
    .private_segment_fixed_size: 0
    .sgpr_count:     58
    .sgpr_spill_count: 0
    .symbol:         _ZN2at6native32elementwise_kernel_manual_unrollILi128ELi4EZNS0_22gpu_kernel_impl_nocastIZZZNS0_17expm1_kernel_cudaERNS_18TensorIteratorBaseEENKUlvE_clEvENKUlvE_clEvEUldE_EEvS4_RKT_EUlibE_EEviT1_.kd
    .uniform_work_group_size: 1
    .uses_dynamic_stack: false
    .vgpr_count:     46
    .vgpr_spill_count: 0
    .wavefront_size: 32
    .workgroup_processor_mode: 1
  - .args:
      - .offset:         0
        .size:           4
        .value_kind:     by_value
      - .offset:         8
        .size:           32
        .value_kind:     by_value
    .group_segment_fixed_size: 0
    .kernarg_segment_align: 8
    .kernarg_segment_size: 40
    .language:       OpenCL C
    .language_version:
      - 2
      - 0
    .max_flat_workgroup_size: 128
    .name:           _ZN2at6native32elementwise_kernel_manual_unrollILi128ELi4EZNS0_15gpu_kernel_implIZZZNS0_17expm1_kernel_cudaERNS_18TensorIteratorBaseEENKUlvE_clEvENKUlvE_clEvEUldE_EEvS4_RKT_EUlibE_EEviT1_
    .private_segment_fixed_size: 0
    .sgpr_count:     27
    .sgpr_spill_count: 0
    .symbol:         _ZN2at6native32elementwise_kernel_manual_unrollILi128ELi4EZNS0_15gpu_kernel_implIZZZNS0_17expm1_kernel_cudaERNS_18TensorIteratorBaseEENKUlvE_clEvENKUlvE_clEvEUldE_EEvS4_RKT_EUlibE_EEviT1_.kd
    .uniform_work_group_size: 1
    .uses_dynamic_stack: false
    .vgpr_count:     18
    .vgpr_spill_count: 0
    .wavefront_size: 32
    .workgroup_processor_mode: 1
  - .args:
      - .offset:         0
        .size:           4
        .value_kind:     by_value
      - .offset:         8
        .size:           352
        .value_kind:     by_value
    .group_segment_fixed_size: 0
    .kernarg_segment_align: 8
    .kernarg_segment_size: 360
    .language:       OpenCL C
    .language_version:
      - 2
      - 0
    .max_flat_workgroup_size: 128
    .name:           _ZN2at6native32elementwise_kernel_manual_unrollILi128ELi4EZNS0_15gpu_kernel_implIZZZNS0_17expm1_kernel_cudaERNS_18TensorIteratorBaseEENKUlvE_clEvENKUlvE_clEvEUldE_EEvS4_RKT_EUlibE0_EEviT1_
    .private_segment_fixed_size: 0
    .sgpr_count:     70
    .sgpr_spill_count: 0
    .symbol:         _ZN2at6native32elementwise_kernel_manual_unrollILi128ELi4EZNS0_15gpu_kernel_implIZZZNS0_17expm1_kernel_cudaERNS_18TensorIteratorBaseEENKUlvE_clEvENKUlvE_clEvEUldE_EEvS4_RKT_EUlibE0_EEviT1_.kd
    .uniform_work_group_size: 1
    .uses_dynamic_stack: false
    .vgpr_count:     21
    .vgpr_spill_count: 0
    .wavefront_size: 32
    .workgroup_processor_mode: 1
  - .args:
      - .offset:         0
        .size:           4
        .value_kind:     by_value
      - .offset:         4
        .size:           1
        .value_kind:     by_value
      - .offset:         8
        .size:           16
        .value_kind:     by_value
    .group_segment_fixed_size: 0
    .kernarg_segment_align: 8
    .kernarg_segment_size: 24
    .language:       OpenCL C
    .language_version:
      - 2
      - 0
    .max_flat_workgroup_size: 256
    .name:           _ZN2at6native29vectorized_elementwise_kernelILi16EZZZNS0_17expm1_kernel_cudaERNS_18TensorIteratorBaseEENKUlvE_clEvENKUlvE0_clEvEUlfE_St5arrayIPcLm2EEEEviT0_T1_
    .private_segment_fixed_size: 0
    .sgpr_count:     18
    .sgpr_spill_count: 0
    .symbol:         _ZN2at6native29vectorized_elementwise_kernelILi16EZZZNS0_17expm1_kernel_cudaERNS_18TensorIteratorBaseEENKUlvE_clEvENKUlvE0_clEvEUlfE_St5arrayIPcLm2EEEEviT0_T1_.kd
    .uniform_work_group_size: 1
    .uses_dynamic_stack: false
    .vgpr_count:     22
    .vgpr_spill_count: 0
    .wavefront_size: 32
    .workgroup_processor_mode: 1
  - .args:
      - .offset:         0
        .size:           4
        .value_kind:     by_value
      - .offset:         4
        .size:           1
        .value_kind:     by_value
      - .offset:         8
        .size:           16
        .value_kind:     by_value
    .group_segment_fixed_size: 0
    .kernarg_segment_align: 8
    .kernarg_segment_size: 24
    .language:       OpenCL C
    .language_version:
      - 2
      - 0
    .max_flat_workgroup_size: 256
    .name:           _ZN2at6native29vectorized_elementwise_kernelILi8EZZZNS0_17expm1_kernel_cudaERNS_18TensorIteratorBaseEENKUlvE_clEvENKUlvE0_clEvEUlfE_St5arrayIPcLm2EEEEviT0_T1_
    .private_segment_fixed_size: 0
    .sgpr_count:     18
    .sgpr_spill_count: 0
    .symbol:         _ZN2at6native29vectorized_elementwise_kernelILi8EZZZNS0_17expm1_kernel_cudaERNS_18TensorIteratorBaseEENKUlvE_clEvENKUlvE0_clEvEUlfE_St5arrayIPcLm2EEEEviT0_T1_.kd
    .uniform_work_group_size: 1
    .uses_dynamic_stack: false
    .vgpr_count:     22
    .vgpr_spill_count: 0
    .wavefront_size: 32
    .workgroup_processor_mode: 1
  - .args:
      - .offset:         0
        .size:           4
        .value_kind:     by_value
      - .offset:         4
        .size:           1
        .value_kind:     by_value
      - .offset:         8
        .size:           16
        .value_kind:     by_value
    .group_segment_fixed_size: 0
    .kernarg_segment_align: 8
    .kernarg_segment_size: 24
    .language:       OpenCL C
    .language_version:
      - 2
      - 0
    .max_flat_workgroup_size: 256
    .name:           _ZN2at6native29vectorized_elementwise_kernelILi4EZZZNS0_17expm1_kernel_cudaERNS_18TensorIteratorBaseEENKUlvE_clEvENKUlvE0_clEvEUlfE_St5arrayIPcLm2EEEEviT0_T1_
    .private_segment_fixed_size: 0
    .sgpr_count:     18
    .sgpr_spill_count: 0
    .symbol:         _ZN2at6native29vectorized_elementwise_kernelILi4EZZZNS0_17expm1_kernel_cudaERNS_18TensorIteratorBaseEENKUlvE_clEvENKUlvE0_clEvEUlfE_St5arrayIPcLm2EEEEviT0_T1_.kd
    .uniform_work_group_size: 1
    .uses_dynamic_stack: false
    .vgpr_count:     22
    .vgpr_spill_count: 0
    .wavefront_size: 32
    .workgroup_processor_mode: 1
  - .args:
      - .offset:         0
        .size:           4
        .value_kind:     by_value
      - .offset:         4
        .size:           1
        .value_kind:     by_value
      - .offset:         8
        .size:           16
        .value_kind:     by_value
    .group_segment_fixed_size: 0
    .kernarg_segment_align: 8
    .kernarg_segment_size: 24
    .language:       OpenCL C
    .language_version:
      - 2
      - 0
    .max_flat_workgroup_size: 256
    .name:           _ZN2at6native29vectorized_elementwise_kernelILi2EZZZNS0_17expm1_kernel_cudaERNS_18TensorIteratorBaseEENKUlvE_clEvENKUlvE0_clEvEUlfE_St5arrayIPcLm2EEEEviT0_T1_
    .private_segment_fixed_size: 0
    .sgpr_count:     18
    .sgpr_spill_count: 0
    .symbol:         _ZN2at6native29vectorized_elementwise_kernelILi2EZZZNS0_17expm1_kernel_cudaERNS_18TensorIteratorBaseEENKUlvE_clEvENKUlvE0_clEvEUlfE_St5arrayIPcLm2EEEEviT0_T1_.kd
    .uniform_work_group_size: 1
    .uses_dynamic_stack: false
    .vgpr_count:     22
    .vgpr_spill_count: 0
    .wavefront_size: 32
    .workgroup_processor_mode: 1
  - .args:
      - .offset:         0
        .size:           4
        .value_kind:     by_value
      - .offset:         4
        .size:           1
        .value_kind:     by_value
      - .offset:         8
        .size:           16
        .value_kind:     by_value
      - .offset:         24
        .size:           1
        .value_kind:     by_value
      - .offset:         25
        .size:           1
        .value_kind:     by_value
      - .offset:         26
        .size:           1
        .value_kind:     by_value
      - .offset:         27
        .size:           1
        .value_kind:     by_value
    .group_segment_fixed_size: 0
    .kernarg_segment_align: 8
    .kernarg_segment_size: 28
    .language:       OpenCL C
    .language_version:
      - 2
      - 0
    .max_flat_workgroup_size: 256
    .name:           _ZN2at6native27unrolled_elementwise_kernelIZZZNS0_17expm1_kernel_cudaERNS_18TensorIteratorBaseEENKUlvE_clEvENKUlvE0_clEvEUlfE_St5arrayIPcLm2EELi4E23TrivialOffsetCalculatorILi1EjESB_NS0_6memory15LoadWithoutCastENSC_16StoreWithoutCastEEEviT_T0_T2_T3_T4_T5_
    .private_segment_fixed_size: 0
    .sgpr_count:     18
    .sgpr_spill_count: 0
    .symbol:         _ZN2at6native27unrolled_elementwise_kernelIZZZNS0_17expm1_kernel_cudaERNS_18TensorIteratorBaseEENKUlvE_clEvENKUlvE0_clEvEUlfE_St5arrayIPcLm2EELi4E23TrivialOffsetCalculatorILi1EjESB_NS0_6memory15LoadWithoutCastENSC_16StoreWithoutCastEEEviT_T0_T2_T3_T4_T5_.kd
    .uniform_work_group_size: 1
    .uses_dynamic_stack: false
    .vgpr_count:     13
    .vgpr_spill_count: 0
    .wavefront_size: 32
    .workgroup_processor_mode: 1
  - .args:
      - .offset:         0
        .size:           4
        .value_kind:     by_value
      - .offset:         8
        .size:           352
        .value_kind:     by_value
    .group_segment_fixed_size: 0
    .kernarg_segment_align: 8
    .kernarg_segment_size: 360
    .language:       OpenCL C
    .language_version:
      - 2
      - 0
    .max_flat_workgroup_size: 128
    .name:           _ZN2at6native32elementwise_kernel_manual_unrollILi128ELi4EZNS0_22gpu_kernel_impl_nocastIZZZNS0_17expm1_kernel_cudaERNS_18TensorIteratorBaseEENKUlvE_clEvENKUlvE0_clEvEUlfE_EEvS4_RKT_EUlibE_EEviT1_
    .private_segment_fixed_size: 0
    .sgpr_count:     58
    .sgpr_spill_count: 0
    .symbol:         _ZN2at6native32elementwise_kernel_manual_unrollILi128ELi4EZNS0_22gpu_kernel_impl_nocastIZZZNS0_17expm1_kernel_cudaERNS_18TensorIteratorBaseEENKUlvE_clEvENKUlvE0_clEvEUlfE_EEvS4_RKT_EUlibE_EEviT1_.kd
    .uniform_work_group_size: 1
    .uses_dynamic_stack: false
    .vgpr_count:     24
    .vgpr_spill_count: 0
    .wavefront_size: 32
    .workgroup_processor_mode: 1
  - .args:
      - .offset:         0
        .size:           4
        .value_kind:     by_value
      - .offset:         8
        .size:           32
        .value_kind:     by_value
    .group_segment_fixed_size: 0
    .kernarg_segment_align: 8
    .kernarg_segment_size: 40
    .language:       OpenCL C
    .language_version:
      - 2
      - 0
    .max_flat_workgroup_size: 128
    .name:           _ZN2at6native32elementwise_kernel_manual_unrollILi128ELi4EZNS0_15gpu_kernel_implIZZZNS0_17expm1_kernel_cudaERNS_18TensorIteratorBaseEENKUlvE_clEvENKUlvE0_clEvEUlfE_EEvS4_RKT_EUlibE_EEviT1_
    .private_segment_fixed_size: 0
    .sgpr_count:     27
    .sgpr_spill_count: 0
    .symbol:         _ZN2at6native32elementwise_kernel_manual_unrollILi128ELi4EZNS0_15gpu_kernel_implIZZZNS0_17expm1_kernel_cudaERNS_18TensorIteratorBaseEENKUlvE_clEvENKUlvE0_clEvEUlfE_EEvS4_RKT_EUlibE_EEviT1_.kd
    .uniform_work_group_size: 1
    .uses_dynamic_stack: false
    .vgpr_count:     15
    .vgpr_spill_count: 0
    .wavefront_size: 32
    .workgroup_processor_mode: 1
  - .args:
      - .offset:         0
        .size:           4
        .value_kind:     by_value
      - .offset:         8
        .size:           352
        .value_kind:     by_value
    .group_segment_fixed_size: 0
    .kernarg_segment_align: 8
    .kernarg_segment_size: 360
    .language:       OpenCL C
    .language_version:
      - 2
      - 0
    .max_flat_workgroup_size: 128
    .name:           _ZN2at6native32elementwise_kernel_manual_unrollILi128ELi4EZNS0_15gpu_kernel_implIZZZNS0_17expm1_kernel_cudaERNS_18TensorIteratorBaseEENKUlvE_clEvENKUlvE0_clEvEUlfE_EEvS4_RKT_EUlibE0_EEviT1_
    .private_segment_fixed_size: 0
    .sgpr_count:     70
    .sgpr_spill_count: 0
    .symbol:         _ZN2at6native32elementwise_kernel_manual_unrollILi128ELi4EZNS0_15gpu_kernel_implIZZZNS0_17expm1_kernel_cudaERNS_18TensorIteratorBaseEENKUlvE_clEvENKUlvE0_clEvEUlfE_EEvS4_RKT_EUlibE0_EEviT1_.kd
    .uniform_work_group_size: 1
    .uses_dynamic_stack: false
    .vgpr_count:     18
    .vgpr_spill_count: 0
    .wavefront_size: 32
    .workgroup_processor_mode: 1
  - .args:
      - .offset:         0
        .size:           4
        .value_kind:     by_value
      - .offset:         4
        .size:           1
        .value_kind:     by_value
      - .offset:         8
        .size:           16
        .value_kind:     by_value
    .group_segment_fixed_size: 0
    .kernarg_segment_align: 8
    .kernarg_segment_size: 24
    .language:       OpenCL C
    .language_version:
      - 2
      - 0
    .max_flat_workgroup_size: 256
    .name:           _ZN2at6native29vectorized_elementwise_kernelILi16EZZZNS0_17expm1_kernel_cudaERNS_18TensorIteratorBaseEENKUlvE_clEvENKUlvE1_clEvEUlN3c107complexIdEEE_St5arrayIPcLm2EEEEviT0_T1_
    .private_segment_fixed_size: 12
    .sgpr_count:     86
    .sgpr_spill_count: 0
    .symbol:         _ZN2at6native29vectorized_elementwise_kernelILi16EZZZNS0_17expm1_kernel_cudaERNS_18TensorIteratorBaseEENKUlvE_clEvENKUlvE1_clEvEUlN3c107complexIdEEE_St5arrayIPcLm2EEEEviT0_T1_.kd
    .uniform_work_group_size: 1
    .uses_dynamic_stack: false
    .vgpr_count:     198
    .vgpr_spill_count: 0
    .wavefront_size: 32
    .workgroup_processor_mode: 1
  - .args:
      - .offset:         0
        .size:           4
        .value_kind:     by_value
      - .offset:         4
        .size:           1
        .value_kind:     by_value
      - .offset:         8
        .size:           16
        .value_kind:     by_value
    .group_segment_fixed_size: 0
    .kernarg_segment_align: 8
    .kernarg_segment_size: 24
    .language:       OpenCL C
    .language_version:
      - 2
      - 0
    .max_flat_workgroup_size: 256
    .name:           _ZN2at6native29vectorized_elementwise_kernelILi8EZZZNS0_17expm1_kernel_cudaERNS_18TensorIteratorBaseEENKUlvE_clEvENKUlvE1_clEvEUlN3c107complexIdEEE_St5arrayIPcLm2EEEEviT0_T1_
    .private_segment_fixed_size: 12
    .sgpr_count:     86
    .sgpr_spill_count: 0
    .symbol:         _ZN2at6native29vectorized_elementwise_kernelILi8EZZZNS0_17expm1_kernel_cudaERNS_18TensorIteratorBaseEENKUlvE_clEvENKUlvE1_clEvEUlN3c107complexIdEEE_St5arrayIPcLm2EEEEviT0_T1_.kd
    .uniform_work_group_size: 1
    .uses_dynamic_stack: false
    .vgpr_count:     198
    .vgpr_spill_count: 0
    .wavefront_size: 32
    .workgroup_processor_mode: 1
  - .args:
      - .offset:         0
        .size:           4
        .value_kind:     by_value
      - .offset:         4
        .size:           1
        .value_kind:     by_value
      - .offset:         8
        .size:           16
        .value_kind:     by_value
    .group_segment_fixed_size: 0
    .kernarg_segment_align: 8
    .kernarg_segment_size: 24
    .language:       OpenCL C
    .language_version:
      - 2
      - 0
    .max_flat_workgroup_size: 256
    .name:           _ZN2at6native29vectorized_elementwise_kernelILi4EZZZNS0_17expm1_kernel_cudaERNS_18TensorIteratorBaseEENKUlvE_clEvENKUlvE1_clEvEUlN3c107complexIdEEE_St5arrayIPcLm2EEEEviT0_T1_
    .private_segment_fixed_size: 12
    .sgpr_count:     86
    .sgpr_spill_count: 0
    .symbol:         _ZN2at6native29vectorized_elementwise_kernelILi4EZZZNS0_17expm1_kernel_cudaERNS_18TensorIteratorBaseEENKUlvE_clEvENKUlvE1_clEvEUlN3c107complexIdEEE_St5arrayIPcLm2EEEEviT0_T1_.kd
    .uniform_work_group_size: 1
    .uses_dynamic_stack: false
    .vgpr_count:     198
    .vgpr_spill_count: 0
    .wavefront_size: 32
    .workgroup_processor_mode: 1
  - .args:
      - .offset:         0
        .size:           4
        .value_kind:     by_value
      - .offset:         4
        .size:           1
        .value_kind:     by_value
      - .offset:         8
        .size:           16
        .value_kind:     by_value
    .group_segment_fixed_size: 0
    .kernarg_segment_align: 8
    .kernarg_segment_size: 24
    .language:       OpenCL C
    .language_version:
      - 2
      - 0
    .max_flat_workgroup_size: 256
    .name:           _ZN2at6native29vectorized_elementwise_kernelILi2EZZZNS0_17expm1_kernel_cudaERNS_18TensorIteratorBaseEENKUlvE_clEvENKUlvE1_clEvEUlN3c107complexIdEEE_St5arrayIPcLm2EEEEviT0_T1_
    .private_segment_fixed_size: 0
    .sgpr_count:     40
    .sgpr_spill_count: 0
    .symbol:         _ZN2at6native29vectorized_elementwise_kernelILi2EZZZNS0_17expm1_kernel_cudaERNS_18TensorIteratorBaseEENKUlvE_clEvENKUlvE1_clEvEUlN3c107complexIdEEE_St5arrayIPcLm2EEEEviT0_T1_.kd
    .uniform_work_group_size: 1
    .uses_dynamic_stack: false
    .vgpr_count:     170
    .vgpr_spill_count: 0
    .wavefront_size: 32
    .workgroup_processor_mode: 1
  - .args:
      - .offset:         0
        .size:           4
        .value_kind:     by_value
      - .offset:         4
        .size:           1
        .value_kind:     by_value
      - .offset:         8
        .size:           16
        .value_kind:     by_value
      - .offset:         24
        .size:           1
        .value_kind:     by_value
      - .offset:         25
        .size:           1
        .value_kind:     by_value
      - .offset:         26
        .size:           1
        .value_kind:     by_value
      - .offset:         27
        .size:           1
        .value_kind:     by_value
    .group_segment_fixed_size: 0
    .kernarg_segment_align: 8
    .kernarg_segment_size: 28
    .language:       OpenCL C
    .language_version:
      - 2
      - 0
    .max_flat_workgroup_size: 256
    .name:           _ZN2at6native27unrolled_elementwise_kernelIZZZNS0_17expm1_kernel_cudaERNS_18TensorIteratorBaseEENKUlvE_clEvENKUlvE1_clEvEUlN3c107complexIdEEE_St5arrayIPcLm2EELi4E23TrivialOffsetCalculatorILi1EjESE_NS0_6memory15LoadWithoutCastENSF_16StoreWithoutCastEEEviT_T0_T2_T3_T4_T5_
    .private_segment_fixed_size: 0
    .sgpr_count:     35
    .sgpr_spill_count: 0
    .symbol:         _ZN2at6native27unrolled_elementwise_kernelIZZZNS0_17expm1_kernel_cudaERNS_18TensorIteratorBaseEENKUlvE_clEvENKUlvE1_clEvEUlN3c107complexIdEEE_St5arrayIPcLm2EELi4E23TrivialOffsetCalculatorILi1EjESE_NS0_6memory15LoadWithoutCastENSF_16StoreWithoutCastEEEviT_T0_T2_T3_T4_T5_.kd
    .uniform_work_group_size: 1
    .uses_dynamic_stack: false
    .vgpr_count:     147
    .vgpr_spill_count: 0
    .wavefront_size: 32
    .workgroup_processor_mode: 1
  - .args:
      - .offset:         0
        .size:           4
        .value_kind:     by_value
      - .offset:         8
        .size:           352
        .value_kind:     by_value
    .group_segment_fixed_size: 0
    .kernarg_segment_align: 8
    .kernarg_segment_size: 360
    .language:       OpenCL C
    .language_version:
      - 2
      - 0
    .max_flat_workgroup_size: 128
    .name:           _ZN2at6native32elementwise_kernel_manual_unrollILi128ELi4EZNS0_22gpu_kernel_impl_nocastIZZZNS0_17expm1_kernel_cudaERNS_18TensorIteratorBaseEENKUlvE_clEvENKUlvE1_clEvEUlN3c107complexIdEEE_EEvS4_RKT_EUlibE_EEviT1_
    .private_segment_fixed_size: 0
    .sgpr_count:     58
    .sgpr_spill_count: 0
    .symbol:         _ZN2at6native32elementwise_kernel_manual_unrollILi128ELi4EZNS0_22gpu_kernel_impl_nocastIZZZNS0_17expm1_kernel_cudaERNS_18TensorIteratorBaseEENKUlvE_clEvENKUlvE1_clEvEUlN3c107complexIdEEE_EEvS4_RKT_EUlibE_EEviT1_.kd
    .uniform_work_group_size: 1
    .uses_dynamic_stack: false
    .vgpr_count:     166
    .vgpr_spill_count: 0
    .wavefront_size: 32
    .workgroup_processor_mode: 1
  - .args:
      - .offset:         0
        .size:           4
        .value_kind:     by_value
      - .offset:         8
        .size:           32
        .value_kind:     by_value
    .group_segment_fixed_size: 0
    .kernarg_segment_align: 8
    .kernarg_segment_size: 40
    .language:       OpenCL C
    .language_version:
      - 2
      - 0
    .max_flat_workgroup_size: 128
    .name:           _ZN2at6native32elementwise_kernel_manual_unrollILi128ELi4EZNS0_15gpu_kernel_implIZZZNS0_17expm1_kernel_cudaERNS_18TensorIteratorBaseEENKUlvE_clEvENKUlvE1_clEvEUlN3c107complexIdEEE_EEvS4_RKT_EUlibE_EEviT1_
    .private_segment_fixed_size: 0
    .sgpr_count:     44
    .sgpr_spill_count: 0
    .symbol:         _ZN2at6native32elementwise_kernel_manual_unrollILi128ELi4EZNS0_15gpu_kernel_implIZZZNS0_17expm1_kernel_cudaERNS_18TensorIteratorBaseEENKUlvE_clEvENKUlvE1_clEvEUlN3c107complexIdEEE_EEvS4_RKT_EUlibE_EEviT1_.kd
    .uniform_work_group_size: 1
    .uses_dynamic_stack: false
    .vgpr_count:     113
    .vgpr_spill_count: 0
    .wavefront_size: 32
    .workgroup_processor_mode: 1
  - .args:
      - .offset:         0
        .size:           4
        .value_kind:     by_value
      - .offset:         8
        .size:           352
        .value_kind:     by_value
    .group_segment_fixed_size: 0
    .kernarg_segment_align: 8
    .kernarg_segment_size: 360
    .language:       OpenCL C
    .language_version:
      - 2
      - 0
    .max_flat_workgroup_size: 128
    .name:           _ZN2at6native32elementwise_kernel_manual_unrollILi128ELi4EZNS0_15gpu_kernel_implIZZZNS0_17expm1_kernel_cudaERNS_18TensorIteratorBaseEENKUlvE_clEvENKUlvE1_clEvEUlN3c107complexIdEEE_EEvS4_RKT_EUlibE0_EEviT1_
    .private_segment_fixed_size: 0
    .sgpr_count:     70
    .sgpr_spill_count: 0
    .symbol:         _ZN2at6native32elementwise_kernel_manual_unrollILi128ELi4EZNS0_15gpu_kernel_implIZZZNS0_17expm1_kernel_cudaERNS_18TensorIteratorBaseEENKUlvE_clEvENKUlvE1_clEvEUlN3c107complexIdEEE_EEvS4_RKT_EUlibE0_EEviT1_.kd
    .uniform_work_group_size: 1
    .uses_dynamic_stack: false
    .vgpr_count:     113
    .vgpr_spill_count: 0
    .wavefront_size: 32
    .workgroup_processor_mode: 1
  - .args:
      - .offset:         0
        .size:           4
        .value_kind:     by_value
      - .offset:         4
        .size:           1
        .value_kind:     by_value
      - .offset:         8
        .size:           16
        .value_kind:     by_value
    .group_segment_fixed_size: 0
    .kernarg_segment_align: 8
    .kernarg_segment_size: 24
    .language:       OpenCL C
    .language_version:
      - 2
      - 0
    .max_flat_workgroup_size: 256
    .name:           _ZN2at6native29vectorized_elementwise_kernelILi16EZZZNS0_17expm1_kernel_cudaERNS_18TensorIteratorBaseEENKUlvE_clEvENKUlvE2_clEvEUlN3c107complexIfEEE_St5arrayIPcLm2EEEEviT0_T1_
    .private_segment_fixed_size: 0
    .sgpr_count:     35
    .sgpr_spill_count: 0
    .symbol:         _ZN2at6native29vectorized_elementwise_kernelILi16EZZZNS0_17expm1_kernel_cudaERNS_18TensorIteratorBaseEENKUlvE_clEvENKUlvE2_clEvEUlN3c107complexIfEEE_St5arrayIPcLm2EEEEviT0_T1_.kd
    .uniform_work_group_size: 1
    .uses_dynamic_stack: false
    .vgpr_count:     88
    .vgpr_spill_count: 0
    .wavefront_size: 32
    .workgroup_processor_mode: 1
  - .args:
      - .offset:         0
        .size:           4
        .value_kind:     by_value
      - .offset:         4
        .size:           1
        .value_kind:     by_value
      - .offset:         8
        .size:           16
        .value_kind:     by_value
    .group_segment_fixed_size: 0
    .kernarg_segment_align: 8
    .kernarg_segment_size: 24
    .language:       OpenCL C
    .language_version:
      - 2
      - 0
    .max_flat_workgroup_size: 256
    .name:           _ZN2at6native29vectorized_elementwise_kernelILi8EZZZNS0_17expm1_kernel_cudaERNS_18TensorIteratorBaseEENKUlvE_clEvENKUlvE2_clEvEUlN3c107complexIfEEE_St5arrayIPcLm2EEEEviT0_T1_
    .private_segment_fixed_size: 0
    .sgpr_count:     35
    .sgpr_spill_count: 0
    .symbol:         _ZN2at6native29vectorized_elementwise_kernelILi8EZZZNS0_17expm1_kernel_cudaERNS_18TensorIteratorBaseEENKUlvE_clEvENKUlvE2_clEvEUlN3c107complexIfEEE_St5arrayIPcLm2EEEEviT0_T1_.kd
    .uniform_work_group_size: 1
    .uses_dynamic_stack: false
    .vgpr_count:     88
    .vgpr_spill_count: 0
    .wavefront_size: 32
    .workgroup_processor_mode: 1
  - .args:
      - .offset:         0
        .size:           4
        .value_kind:     by_value
      - .offset:         4
        .size:           1
        .value_kind:     by_value
      - .offset:         8
        .size:           16
        .value_kind:     by_value
    .group_segment_fixed_size: 0
    .kernarg_segment_align: 8
    .kernarg_segment_size: 24
    .language:       OpenCL C
    .language_version:
      - 2
      - 0
    .max_flat_workgroup_size: 256
    .name:           _ZN2at6native29vectorized_elementwise_kernelILi4EZZZNS0_17expm1_kernel_cudaERNS_18TensorIteratorBaseEENKUlvE_clEvENKUlvE2_clEvEUlN3c107complexIfEEE_St5arrayIPcLm2EEEEviT0_T1_
    .private_segment_fixed_size: 0
    .sgpr_count:     35
    .sgpr_spill_count: 0
    .symbol:         _ZN2at6native29vectorized_elementwise_kernelILi4EZZZNS0_17expm1_kernel_cudaERNS_18TensorIteratorBaseEENKUlvE_clEvENKUlvE2_clEvEUlN3c107complexIfEEE_St5arrayIPcLm2EEEEviT0_T1_.kd
    .uniform_work_group_size: 1
    .uses_dynamic_stack: false
    .vgpr_count:     88
    .vgpr_spill_count: 0
    .wavefront_size: 32
    .workgroup_processor_mode: 1
  - .args:
      - .offset:         0
        .size:           4
        .value_kind:     by_value
      - .offset:         4
        .size:           1
        .value_kind:     by_value
      - .offset:         8
        .size:           16
        .value_kind:     by_value
    .group_segment_fixed_size: 0
    .kernarg_segment_align: 8
    .kernarg_segment_size: 24
    .language:       OpenCL C
    .language_version:
      - 2
      - 0
    .max_flat_workgroup_size: 256
    .name:           _ZN2at6native29vectorized_elementwise_kernelILi2EZZZNS0_17expm1_kernel_cudaERNS_18TensorIteratorBaseEENKUlvE_clEvENKUlvE2_clEvEUlN3c107complexIfEEE_St5arrayIPcLm2EEEEviT0_T1_
    .private_segment_fixed_size: 0
    .sgpr_count:     35
    .sgpr_spill_count: 0
    .symbol:         _ZN2at6native29vectorized_elementwise_kernelILi2EZZZNS0_17expm1_kernel_cudaERNS_18TensorIteratorBaseEENKUlvE_clEvENKUlvE2_clEvEUlN3c107complexIfEEE_St5arrayIPcLm2EEEEviT0_T1_.kd
    .uniform_work_group_size: 1
    .uses_dynamic_stack: false
    .vgpr_count:     64
    .vgpr_spill_count: 0
    .wavefront_size: 32
    .workgroup_processor_mode: 1
  - .args:
      - .offset:         0
        .size:           4
        .value_kind:     by_value
      - .offset:         4
        .size:           1
        .value_kind:     by_value
      - .offset:         8
        .size:           16
        .value_kind:     by_value
      - .offset:         24
        .size:           1
        .value_kind:     by_value
      - .offset:         25
        .size:           1
        .value_kind:     by_value
      - .offset:         26
        .size:           1
        .value_kind:     by_value
      - .offset:         27
        .size:           1
        .value_kind:     by_value
    .group_segment_fixed_size: 0
    .kernarg_segment_align: 8
    .kernarg_segment_size: 28
    .language:       OpenCL C
    .language_version:
      - 2
      - 0
    .max_flat_workgroup_size: 256
    .name:           _ZN2at6native27unrolled_elementwise_kernelIZZZNS0_17expm1_kernel_cudaERNS_18TensorIteratorBaseEENKUlvE_clEvENKUlvE2_clEvEUlN3c107complexIfEEE_St5arrayIPcLm2EELi4E23TrivialOffsetCalculatorILi1EjESE_NS0_6memory15LoadWithoutCastENSF_16StoreWithoutCastEEEviT_T0_T2_T3_T4_T5_
    .private_segment_fixed_size: 0
    .sgpr_count:     35
    .sgpr_spill_count: 0
    .symbol:         _ZN2at6native27unrolled_elementwise_kernelIZZZNS0_17expm1_kernel_cudaERNS_18TensorIteratorBaseEENKUlvE_clEvENKUlvE2_clEvEUlN3c107complexIfEEE_St5arrayIPcLm2EELi4E23TrivialOffsetCalculatorILi1EjESE_NS0_6memory15LoadWithoutCastENSF_16StoreWithoutCastEEEviT_T0_T2_T3_T4_T5_.kd
    .uniform_work_group_size: 1
    .uses_dynamic_stack: false
    .vgpr_count:     40
    .vgpr_spill_count: 0
    .wavefront_size: 32
    .workgroup_processor_mode: 1
  - .args:
      - .offset:         0
        .size:           4
        .value_kind:     by_value
      - .offset:         8
        .size:           352
        .value_kind:     by_value
    .group_segment_fixed_size: 0
    .kernarg_segment_align: 8
    .kernarg_segment_size: 360
    .language:       OpenCL C
    .language_version:
      - 2
      - 0
    .max_flat_workgroup_size: 128
    .name:           _ZN2at6native32elementwise_kernel_manual_unrollILi128ELi4EZNS0_22gpu_kernel_impl_nocastIZZZNS0_17expm1_kernel_cudaERNS_18TensorIteratorBaseEENKUlvE_clEvENKUlvE2_clEvEUlN3c107complexIfEEE_EEvS4_RKT_EUlibE_EEviT1_
    .private_segment_fixed_size: 0
    .sgpr_count:     58
    .sgpr_spill_count: 0
    .symbol:         _ZN2at6native32elementwise_kernel_manual_unrollILi128ELi4EZNS0_22gpu_kernel_impl_nocastIZZZNS0_17expm1_kernel_cudaERNS_18TensorIteratorBaseEENKUlvE_clEvENKUlvE2_clEvEUlN3c107complexIfEEE_EEvS4_RKT_EUlibE_EEviT1_.kd
    .uniform_work_group_size: 1
    .uses_dynamic_stack: false
    .vgpr_count:     68
    .vgpr_spill_count: 0
    .wavefront_size: 32
    .workgroup_processor_mode: 1
  - .args:
      - .offset:         0
        .size:           4
        .value_kind:     by_value
      - .offset:         8
        .size:           32
        .value_kind:     by_value
    .group_segment_fixed_size: 0
    .kernarg_segment_align: 8
    .kernarg_segment_size: 40
    .language:       OpenCL C
    .language_version:
      - 2
      - 0
    .max_flat_workgroup_size: 128
    .name:           _ZN2at6native32elementwise_kernel_manual_unrollILi128ELi4EZNS0_15gpu_kernel_implIZZZNS0_17expm1_kernel_cudaERNS_18TensorIteratorBaseEENKUlvE_clEvENKUlvE2_clEvEUlN3c107complexIfEEE_EEvS4_RKT_EUlibE_EEviT1_
    .private_segment_fixed_size: 0
    .sgpr_count:     35
    .sgpr_spill_count: 0
    .symbol:         _ZN2at6native32elementwise_kernel_manual_unrollILi128ELi4EZNS0_15gpu_kernel_implIZZZNS0_17expm1_kernel_cudaERNS_18TensorIteratorBaseEENKUlvE_clEvENKUlvE2_clEvEUlN3c107complexIfEEE_EEvS4_RKT_EUlibE_EEviT1_.kd
    .uniform_work_group_size: 1
    .uses_dynamic_stack: false
    .vgpr_count:     38
    .vgpr_spill_count: 0
    .wavefront_size: 32
    .workgroup_processor_mode: 1
  - .args:
      - .offset:         0
        .size:           4
        .value_kind:     by_value
      - .offset:         8
        .size:           352
        .value_kind:     by_value
    .group_segment_fixed_size: 0
    .kernarg_segment_align: 8
    .kernarg_segment_size: 360
    .language:       OpenCL C
    .language_version:
      - 2
      - 0
    .max_flat_workgroup_size: 128
    .name:           _ZN2at6native32elementwise_kernel_manual_unrollILi128ELi4EZNS0_15gpu_kernel_implIZZZNS0_17expm1_kernel_cudaERNS_18TensorIteratorBaseEENKUlvE_clEvENKUlvE2_clEvEUlN3c107complexIfEEE_EEvS4_RKT_EUlibE0_EEviT1_
    .private_segment_fixed_size: 0
    .sgpr_count:     70
    .sgpr_spill_count: 0
    .symbol:         _ZN2at6native32elementwise_kernel_manual_unrollILi128ELi4EZNS0_15gpu_kernel_implIZZZNS0_17expm1_kernel_cudaERNS_18TensorIteratorBaseEENKUlvE_clEvENKUlvE2_clEvEUlN3c107complexIfEEE_EEvS4_RKT_EUlibE0_EEviT1_.kd
    .uniform_work_group_size: 1
    .uses_dynamic_stack: false
    .vgpr_count:     40
    .vgpr_spill_count: 0
    .wavefront_size: 32
    .workgroup_processor_mode: 1
  - .args:
      - .offset:         0
        .size:           4
        .value_kind:     by_value
      - .offset:         4
        .size:           1
        .value_kind:     by_value
      - .offset:         8
        .size:           16
        .value_kind:     by_value
    .group_segment_fixed_size: 0
    .kernarg_segment_align: 8
    .kernarg_segment_size: 24
    .language:       OpenCL C
    .language_version:
      - 2
      - 0
    .max_flat_workgroup_size: 256
    .name:           _ZN2at6native29vectorized_elementwise_kernelILi16EZZZNS0_17expm1_kernel_cudaERNS_18TensorIteratorBaseEENKUlvE_clEvENKUlvE3_clEvEUlN3c108BFloat16EE_St5arrayIPcLm2EEEEviT0_T1_
    .private_segment_fixed_size: 0
    .sgpr_count:     18
    .sgpr_spill_count: 0
    .symbol:         _ZN2at6native29vectorized_elementwise_kernelILi16EZZZNS0_17expm1_kernel_cudaERNS_18TensorIteratorBaseEENKUlvE_clEvENKUlvE3_clEvEUlN3c108BFloat16EE_St5arrayIPcLm2EEEEviT0_T1_.kd
    .uniform_work_group_size: 1
    .uses_dynamic_stack: false
    .vgpr_count:     42
    .vgpr_spill_count: 0
    .wavefront_size: 32
    .workgroup_processor_mode: 1
  - .args:
      - .offset:         0
        .size:           4
        .value_kind:     by_value
      - .offset:         4
        .size:           1
        .value_kind:     by_value
      - .offset:         8
        .size:           16
        .value_kind:     by_value
    .group_segment_fixed_size: 0
    .kernarg_segment_align: 8
    .kernarg_segment_size: 24
    .language:       OpenCL C
    .language_version:
      - 2
      - 0
    .max_flat_workgroup_size: 256
    .name:           _ZN2at6native29vectorized_elementwise_kernelILi8EZZZNS0_17expm1_kernel_cudaERNS_18TensorIteratorBaseEENKUlvE_clEvENKUlvE3_clEvEUlN3c108BFloat16EE_St5arrayIPcLm2EEEEviT0_T1_
    .private_segment_fixed_size: 0
    .sgpr_count:     18
    .sgpr_spill_count: 0
    .symbol:         _ZN2at6native29vectorized_elementwise_kernelILi8EZZZNS0_17expm1_kernel_cudaERNS_18TensorIteratorBaseEENKUlvE_clEvENKUlvE3_clEvEUlN3c108BFloat16EE_St5arrayIPcLm2EEEEviT0_T1_.kd
    .uniform_work_group_size: 1
    .uses_dynamic_stack: false
    .vgpr_count:     42
    .vgpr_spill_count: 0
    .wavefront_size: 32
    .workgroup_processor_mode: 1
  - .args:
      - .offset:         0
        .size:           4
        .value_kind:     by_value
      - .offset:         4
        .size:           1
        .value_kind:     by_value
      - .offset:         8
        .size:           16
        .value_kind:     by_value
    .group_segment_fixed_size: 0
    .kernarg_segment_align: 8
    .kernarg_segment_size: 24
    .language:       OpenCL C
    .language_version:
      - 2
      - 0
    .max_flat_workgroup_size: 256
    .name:           _ZN2at6native29vectorized_elementwise_kernelILi4EZZZNS0_17expm1_kernel_cudaERNS_18TensorIteratorBaseEENKUlvE_clEvENKUlvE3_clEvEUlN3c108BFloat16EE_St5arrayIPcLm2EEEEviT0_T1_
    .private_segment_fixed_size: 0
    .sgpr_count:     18
    .sgpr_spill_count: 0
    .symbol:         _ZN2at6native29vectorized_elementwise_kernelILi4EZZZNS0_17expm1_kernel_cudaERNS_18TensorIteratorBaseEENKUlvE_clEvENKUlvE3_clEvEUlN3c108BFloat16EE_St5arrayIPcLm2EEEEviT0_T1_.kd
    .uniform_work_group_size: 1
    .uses_dynamic_stack: false
    .vgpr_count:     42
    .vgpr_spill_count: 0
    .wavefront_size: 32
    .workgroup_processor_mode: 1
  - .args:
      - .offset:         0
        .size:           4
        .value_kind:     by_value
      - .offset:         4
        .size:           1
        .value_kind:     by_value
      - .offset:         8
        .size:           16
        .value_kind:     by_value
    .group_segment_fixed_size: 0
    .kernarg_segment_align: 8
    .kernarg_segment_size: 24
    .language:       OpenCL C
    .language_version:
      - 2
      - 0
    .max_flat_workgroup_size: 256
    .name:           _ZN2at6native29vectorized_elementwise_kernelILi2EZZZNS0_17expm1_kernel_cudaERNS_18TensorIteratorBaseEENKUlvE_clEvENKUlvE3_clEvEUlN3c108BFloat16EE_St5arrayIPcLm2EEEEviT0_T1_
    .private_segment_fixed_size: 0
    .sgpr_count:     19
    .sgpr_spill_count: 0
    .symbol:         _ZN2at6native29vectorized_elementwise_kernelILi2EZZZNS0_17expm1_kernel_cudaERNS_18TensorIteratorBaseEENKUlvE_clEvENKUlvE3_clEvEUlN3c108BFloat16EE_St5arrayIPcLm2EEEEviT0_T1_.kd
    .uniform_work_group_size: 1
    .uses_dynamic_stack: false
    .vgpr_count:     42
    .vgpr_spill_count: 0
    .wavefront_size: 32
    .workgroup_processor_mode: 1
  - .args:
      - .offset:         0
        .size:           4
        .value_kind:     by_value
      - .offset:         4
        .size:           1
        .value_kind:     by_value
      - .offset:         8
        .size:           16
        .value_kind:     by_value
      - .offset:         24
        .size:           1
        .value_kind:     by_value
      - .offset:         25
        .size:           1
        .value_kind:     by_value
      - .offset:         26
        .size:           1
        .value_kind:     by_value
      - .offset:         27
        .size:           1
        .value_kind:     by_value
    .group_segment_fixed_size: 0
    .kernarg_segment_align: 8
    .kernarg_segment_size: 28
    .language:       OpenCL C
    .language_version:
      - 2
      - 0
    .max_flat_workgroup_size: 256
    .name:           _ZN2at6native27unrolled_elementwise_kernelIZZZNS0_17expm1_kernel_cudaERNS_18TensorIteratorBaseEENKUlvE_clEvENKUlvE3_clEvEUlN3c108BFloat16EE_St5arrayIPcLm2EELi4E23TrivialOffsetCalculatorILi1EjESD_NS0_6memory15LoadWithoutCastENSE_16StoreWithoutCastEEEviT_T0_T2_T3_T4_T5_
    .private_segment_fixed_size: 0
    .sgpr_count:     18
    .sgpr_spill_count: 0
    .symbol:         _ZN2at6native27unrolled_elementwise_kernelIZZZNS0_17expm1_kernel_cudaERNS_18TensorIteratorBaseEENKUlvE_clEvENKUlvE3_clEvEUlN3c108BFloat16EE_St5arrayIPcLm2EELi4E23TrivialOffsetCalculatorILi1EjESD_NS0_6memory15LoadWithoutCastENSE_16StoreWithoutCastEEEviT_T0_T2_T3_T4_T5_.kd
    .uniform_work_group_size: 1
    .uses_dynamic_stack: false
    .vgpr_count:     11
    .vgpr_spill_count: 0
    .wavefront_size: 32
    .workgroup_processor_mode: 1
  - .args:
      - .offset:         0
        .size:           4
        .value_kind:     by_value
      - .offset:         8
        .size:           352
        .value_kind:     by_value
    .group_segment_fixed_size: 0
    .kernarg_segment_align: 8
    .kernarg_segment_size: 360
    .language:       OpenCL C
    .language_version:
      - 2
      - 0
    .max_flat_workgroup_size: 128
    .name:           _ZN2at6native32elementwise_kernel_manual_unrollILi128ELi8EZNS0_22gpu_kernel_impl_nocastIZZZNS0_17expm1_kernel_cudaERNS_18TensorIteratorBaseEENKUlvE_clEvENKUlvE3_clEvEUlN3c108BFloat16EE_EEvS4_RKT_EUlibE_EEviT1_
    .private_segment_fixed_size: 0
    .sgpr_count:     58
    .sgpr_spill_count: 0
    .symbol:         _ZN2at6native32elementwise_kernel_manual_unrollILi128ELi8EZNS0_22gpu_kernel_impl_nocastIZZZNS0_17expm1_kernel_cudaERNS_18TensorIteratorBaseEENKUlvE_clEvENKUlvE3_clEvEUlN3c108BFloat16EE_EEvS4_RKT_EUlibE_EEviT1_.kd
    .uniform_work_group_size: 1
    .uses_dynamic_stack: false
    .vgpr_count:     48
    .vgpr_spill_count: 0
    .wavefront_size: 32
    .workgroup_processor_mode: 1
  - .args:
      - .offset:         0
        .size:           4
        .value_kind:     by_value
      - .offset:         8
        .size:           32
        .value_kind:     by_value
    .group_segment_fixed_size: 0
    .kernarg_segment_align: 8
    .kernarg_segment_size: 40
    .language:       OpenCL C
    .language_version:
      - 2
      - 0
    .max_flat_workgroup_size: 128
    .name:           _ZN2at6native32elementwise_kernel_manual_unrollILi128ELi4EZNS0_15gpu_kernel_implIZZZNS0_17expm1_kernel_cudaERNS_18TensorIteratorBaseEENKUlvE_clEvENKUlvE3_clEvEUlN3c108BFloat16EE_EEvS4_RKT_EUlibE_EEviT1_
    .private_segment_fixed_size: 0
    .sgpr_count:     26
    .sgpr_spill_count: 0
    .symbol:         _ZN2at6native32elementwise_kernel_manual_unrollILi128ELi4EZNS0_15gpu_kernel_implIZZZNS0_17expm1_kernel_cudaERNS_18TensorIteratorBaseEENKUlvE_clEvENKUlvE3_clEvEUlN3c108BFloat16EE_EEvS4_RKT_EUlibE_EEviT1_.kd
    .uniform_work_group_size: 1
    .uses_dynamic_stack: false
    .vgpr_count:     13
    .vgpr_spill_count: 0
    .wavefront_size: 32
    .workgroup_processor_mode: 1
  - .args:
      - .offset:         0
        .size:           4
        .value_kind:     by_value
      - .offset:         8
        .size:           352
        .value_kind:     by_value
    .group_segment_fixed_size: 0
    .kernarg_segment_align: 8
    .kernarg_segment_size: 360
    .language:       OpenCL C
    .language_version:
      - 2
      - 0
    .max_flat_workgroup_size: 128
    .name:           _ZN2at6native32elementwise_kernel_manual_unrollILi128ELi4EZNS0_15gpu_kernel_implIZZZNS0_17expm1_kernel_cudaERNS_18TensorIteratorBaseEENKUlvE_clEvENKUlvE3_clEvEUlN3c108BFloat16EE_EEvS4_RKT_EUlibE0_EEviT1_
    .private_segment_fixed_size: 0
    .sgpr_count:     70
    .sgpr_spill_count: 0
    .symbol:         _ZN2at6native32elementwise_kernel_manual_unrollILi128ELi4EZNS0_15gpu_kernel_implIZZZNS0_17expm1_kernel_cudaERNS_18TensorIteratorBaseEENKUlvE_clEvENKUlvE3_clEvEUlN3c108BFloat16EE_EEvS4_RKT_EUlibE0_EEviT1_.kd
    .uniform_work_group_size: 1
    .uses_dynamic_stack: false
    .vgpr_count:     18
    .vgpr_spill_count: 0
    .wavefront_size: 32
    .workgroup_processor_mode: 1
  - .args:
      - .offset:         0
        .size:           4
        .value_kind:     by_value
      - .offset:         4
        .size:           1
        .value_kind:     by_value
      - .offset:         8
        .size:           16
        .value_kind:     by_value
    .group_segment_fixed_size: 0
    .kernarg_segment_align: 8
    .kernarg_segment_size: 24
    .language:       OpenCL C
    .language_version:
      - 2
      - 0
    .max_flat_workgroup_size: 256
    .name:           _ZN2at6native29vectorized_elementwise_kernelILi16EZZZNS0_17expm1_kernel_cudaERNS_18TensorIteratorBaseEENKUlvE_clEvENKUlvE4_clEvEUlN3c104HalfEE_St5arrayIPcLm2EEEEviT0_T1_
    .private_segment_fixed_size: 0
    .sgpr_count:     18
    .sgpr_spill_count: 0
    .symbol:         _ZN2at6native29vectorized_elementwise_kernelILi16EZZZNS0_17expm1_kernel_cudaERNS_18TensorIteratorBaseEENKUlvE_clEvENKUlvE4_clEvEUlN3c104HalfEE_St5arrayIPcLm2EEEEviT0_T1_.kd
    .uniform_work_group_size: 1
    .uses_dynamic_stack: false
    .vgpr_count:     50
    .vgpr_spill_count: 0
    .wavefront_size: 32
    .workgroup_processor_mode: 1
  - .args:
      - .offset:         0
        .size:           4
        .value_kind:     by_value
      - .offset:         4
        .size:           1
        .value_kind:     by_value
      - .offset:         8
        .size:           16
        .value_kind:     by_value
    .group_segment_fixed_size: 0
    .kernarg_segment_align: 8
    .kernarg_segment_size: 24
    .language:       OpenCL C
    .language_version:
      - 2
      - 0
    .max_flat_workgroup_size: 256
    .name:           _ZN2at6native29vectorized_elementwise_kernelILi8EZZZNS0_17expm1_kernel_cudaERNS_18TensorIteratorBaseEENKUlvE_clEvENKUlvE4_clEvEUlN3c104HalfEE_St5arrayIPcLm2EEEEviT0_T1_
    .private_segment_fixed_size: 0
    .sgpr_count:     18
    .sgpr_spill_count: 0
    .symbol:         _ZN2at6native29vectorized_elementwise_kernelILi8EZZZNS0_17expm1_kernel_cudaERNS_18TensorIteratorBaseEENKUlvE_clEvENKUlvE4_clEvEUlN3c104HalfEE_St5arrayIPcLm2EEEEviT0_T1_.kd
    .uniform_work_group_size: 1
    .uses_dynamic_stack: false
    .vgpr_count:     50
    .vgpr_spill_count: 0
    .wavefront_size: 32
    .workgroup_processor_mode: 1
  - .args:
      - .offset:         0
        .size:           4
        .value_kind:     by_value
      - .offset:         4
        .size:           1
        .value_kind:     by_value
      - .offset:         8
        .size:           16
        .value_kind:     by_value
    .group_segment_fixed_size: 0
    .kernarg_segment_align: 8
    .kernarg_segment_size: 24
    .language:       OpenCL C
    .language_version:
      - 2
      - 0
    .max_flat_workgroup_size: 256
    .name:           _ZN2at6native29vectorized_elementwise_kernelILi4EZZZNS0_17expm1_kernel_cudaERNS_18TensorIteratorBaseEENKUlvE_clEvENKUlvE4_clEvEUlN3c104HalfEE_St5arrayIPcLm2EEEEviT0_T1_
    .private_segment_fixed_size: 0
    .sgpr_count:     18
    .sgpr_spill_count: 0
    .symbol:         _ZN2at6native29vectorized_elementwise_kernelILi4EZZZNS0_17expm1_kernel_cudaERNS_18TensorIteratorBaseEENKUlvE_clEvENKUlvE4_clEvEUlN3c104HalfEE_St5arrayIPcLm2EEEEviT0_T1_.kd
    .uniform_work_group_size: 1
    .uses_dynamic_stack: false
    .vgpr_count:     50
    .vgpr_spill_count: 0
    .wavefront_size: 32
    .workgroup_processor_mode: 1
  - .args:
      - .offset:         0
        .size:           4
        .value_kind:     by_value
      - .offset:         4
        .size:           1
        .value_kind:     by_value
      - .offset:         8
        .size:           16
        .value_kind:     by_value
    .group_segment_fixed_size: 0
    .kernarg_segment_align: 8
    .kernarg_segment_size: 24
    .language:       OpenCL C
    .language_version:
      - 2
      - 0
    .max_flat_workgroup_size: 256
    .name:           _ZN2at6native29vectorized_elementwise_kernelILi2EZZZNS0_17expm1_kernel_cudaERNS_18TensorIteratorBaseEENKUlvE_clEvENKUlvE4_clEvEUlN3c104HalfEE_St5arrayIPcLm2EEEEviT0_T1_
    .private_segment_fixed_size: 0
    .sgpr_count:     19
    .sgpr_spill_count: 0
    .symbol:         _ZN2at6native29vectorized_elementwise_kernelILi2EZZZNS0_17expm1_kernel_cudaERNS_18TensorIteratorBaseEENKUlvE_clEvENKUlvE4_clEvEUlN3c104HalfEE_St5arrayIPcLm2EEEEviT0_T1_.kd
    .uniform_work_group_size: 1
    .uses_dynamic_stack: false
    .vgpr_count:     50
    .vgpr_spill_count: 0
    .wavefront_size: 32
    .workgroup_processor_mode: 1
  - .args:
      - .offset:         0
        .size:           4
        .value_kind:     by_value
      - .offset:         4
        .size:           1
        .value_kind:     by_value
      - .offset:         8
        .size:           16
        .value_kind:     by_value
      - .offset:         24
        .size:           1
        .value_kind:     by_value
      - .offset:         25
        .size:           1
        .value_kind:     by_value
      - .offset:         26
        .size:           1
        .value_kind:     by_value
      - .offset:         27
        .size:           1
        .value_kind:     by_value
    .group_segment_fixed_size: 0
    .kernarg_segment_align: 8
    .kernarg_segment_size: 28
    .language:       OpenCL C
    .language_version:
      - 2
      - 0
    .max_flat_workgroup_size: 256
    .name:           _ZN2at6native27unrolled_elementwise_kernelIZZZNS0_17expm1_kernel_cudaERNS_18TensorIteratorBaseEENKUlvE_clEvENKUlvE4_clEvEUlN3c104HalfEE_St5arrayIPcLm2EELi4E23TrivialOffsetCalculatorILi1EjESD_NS0_6memory15LoadWithoutCastENSE_16StoreWithoutCastEEEviT_T0_T2_T3_T4_T5_
    .private_segment_fixed_size: 0
    .sgpr_count:     18
    .sgpr_spill_count: 0
    .symbol:         _ZN2at6native27unrolled_elementwise_kernelIZZZNS0_17expm1_kernel_cudaERNS_18TensorIteratorBaseEENKUlvE_clEvENKUlvE4_clEvEUlN3c104HalfEE_St5arrayIPcLm2EELi4E23TrivialOffsetCalculatorILi1EjESD_NS0_6memory15LoadWithoutCastENSE_16StoreWithoutCastEEEviT_T0_T2_T3_T4_T5_.kd
    .uniform_work_group_size: 1
    .uses_dynamic_stack: false
    .vgpr_count:     12
    .vgpr_spill_count: 0
    .wavefront_size: 32
    .workgroup_processor_mode: 1
  - .args:
      - .offset:         0
        .size:           4
        .value_kind:     by_value
      - .offset:         8
        .size:           352
        .value_kind:     by_value
    .group_segment_fixed_size: 0
    .kernarg_segment_align: 8
    .kernarg_segment_size: 360
    .language:       OpenCL C
    .language_version:
      - 2
      - 0
    .max_flat_workgroup_size: 128
    .name:           _ZN2at6native32elementwise_kernel_manual_unrollILi128ELi8EZNS0_22gpu_kernel_impl_nocastIZZZNS0_17expm1_kernel_cudaERNS_18TensorIteratorBaseEENKUlvE_clEvENKUlvE4_clEvEUlN3c104HalfEE_EEvS4_RKT_EUlibE_EEviT1_
    .private_segment_fixed_size: 0
    .sgpr_count:     58
    .sgpr_spill_count: 0
    .symbol:         _ZN2at6native32elementwise_kernel_manual_unrollILi128ELi8EZNS0_22gpu_kernel_impl_nocastIZZZNS0_17expm1_kernel_cudaERNS_18TensorIteratorBaseEENKUlvE_clEvENKUlvE4_clEvEUlN3c104HalfEE_EEvS4_RKT_EUlibE_EEviT1_.kd
    .uniform_work_group_size: 1
    .uses_dynamic_stack: false
    .vgpr_count:     56
    .vgpr_spill_count: 0
    .wavefront_size: 32
    .workgroup_processor_mode: 1
  - .args:
      - .offset:         0
        .size:           4
        .value_kind:     by_value
      - .offset:         8
        .size:           32
        .value_kind:     by_value
    .group_segment_fixed_size: 0
    .kernarg_segment_align: 8
    .kernarg_segment_size: 40
    .language:       OpenCL C
    .language_version:
      - 2
      - 0
    .max_flat_workgroup_size: 128
    .name:           _ZN2at6native32elementwise_kernel_manual_unrollILi128ELi4EZNS0_15gpu_kernel_implIZZZNS0_17expm1_kernel_cudaERNS_18TensorIteratorBaseEENKUlvE_clEvENKUlvE4_clEvEUlN3c104HalfEE_EEvS4_RKT_EUlibE_EEviT1_
    .private_segment_fixed_size: 0
    .sgpr_count:     26
    .sgpr_spill_count: 0
    .symbol:         _ZN2at6native32elementwise_kernel_manual_unrollILi128ELi4EZNS0_15gpu_kernel_implIZZZNS0_17expm1_kernel_cudaERNS_18TensorIteratorBaseEENKUlvE_clEvENKUlvE4_clEvEUlN3c104HalfEE_EEvS4_RKT_EUlibE_EEviT1_.kd
    .uniform_work_group_size: 1
    .uses_dynamic_stack: false
    .vgpr_count:     13
    .vgpr_spill_count: 0
    .wavefront_size: 32
    .workgroup_processor_mode: 1
  - .args:
      - .offset:         0
        .size:           4
        .value_kind:     by_value
      - .offset:         8
        .size:           352
        .value_kind:     by_value
    .group_segment_fixed_size: 0
    .kernarg_segment_align: 8
    .kernarg_segment_size: 360
    .language:       OpenCL C
    .language_version:
      - 2
      - 0
    .max_flat_workgroup_size: 128
    .name:           _ZN2at6native32elementwise_kernel_manual_unrollILi128ELi4EZNS0_15gpu_kernel_implIZZZNS0_17expm1_kernel_cudaERNS_18TensorIteratorBaseEENKUlvE_clEvENKUlvE4_clEvEUlN3c104HalfEE_EEvS4_RKT_EUlibE0_EEviT1_
    .private_segment_fixed_size: 0
    .sgpr_count:     70
    .sgpr_spill_count: 0
    .symbol:         _ZN2at6native32elementwise_kernel_manual_unrollILi128ELi4EZNS0_15gpu_kernel_implIZZZNS0_17expm1_kernel_cudaERNS_18TensorIteratorBaseEENKUlvE_clEvENKUlvE4_clEvEUlN3c104HalfEE_EEvS4_RKT_EUlibE0_EEviT1_.kd
    .uniform_work_group_size: 1
    .uses_dynamic_stack: false
    .vgpr_count:     18
    .vgpr_spill_count: 0
    .wavefront_size: 32
    .workgroup_processor_mode: 1
  - .args:
      - .offset:         0
        .size:           4
        .value_kind:     by_value
      - .offset:         4
        .size:           1
        .value_kind:     by_value
      - .offset:         8
        .size:           16
        .value_kind:     by_value
    .group_segment_fixed_size: 0
    .kernarg_segment_align: 8
    .kernarg_segment_size: 24
    .language:       OpenCL C
    .language_version:
      - 2
      - 0
    .max_flat_workgroup_size: 256
    .name:           _ZN2at6native29vectorized_elementwise_kernelILi16EZZZNS0_17rsqrt_kernel_cudaERNS_18TensorIteratorBaseEENKUlvE_clEvENKUlvE_clEvEUlN3c107complexIdEEE_St5arrayIPcLm2EEEEviT0_T1_
    .private_segment_fixed_size: 0
    .sgpr_count:     19
    .sgpr_spill_count: 0
    .symbol:         _ZN2at6native29vectorized_elementwise_kernelILi16EZZZNS0_17rsqrt_kernel_cudaERNS_18TensorIteratorBaseEENKUlvE_clEvENKUlvE_clEvEUlN3c107complexIdEEE_St5arrayIPcLm2EEEEviT0_T1_.kd
    .uniform_work_group_size: 1
    .uses_dynamic_stack: false
    .vgpr_count:     35
    .vgpr_spill_count: 0
    .wavefront_size: 32
    .workgroup_processor_mode: 1
  - .args:
      - .offset:         0
        .size:           4
        .value_kind:     by_value
      - .offset:         4
        .size:           1
        .value_kind:     by_value
      - .offset:         8
        .size:           16
        .value_kind:     by_value
    .group_segment_fixed_size: 0
    .kernarg_segment_align: 8
    .kernarg_segment_size: 24
    .language:       OpenCL C
    .language_version:
      - 2
      - 0
    .max_flat_workgroup_size: 256
    .name:           _ZN2at6native29vectorized_elementwise_kernelILi8EZZZNS0_17rsqrt_kernel_cudaERNS_18TensorIteratorBaseEENKUlvE_clEvENKUlvE_clEvEUlN3c107complexIdEEE_St5arrayIPcLm2EEEEviT0_T1_
    .private_segment_fixed_size: 0
    .sgpr_count:     19
    .sgpr_spill_count: 0
    .symbol:         _ZN2at6native29vectorized_elementwise_kernelILi8EZZZNS0_17rsqrt_kernel_cudaERNS_18TensorIteratorBaseEENKUlvE_clEvENKUlvE_clEvEUlN3c107complexIdEEE_St5arrayIPcLm2EEEEviT0_T1_.kd
    .uniform_work_group_size: 1
    .uses_dynamic_stack: false
    .vgpr_count:     35
    .vgpr_spill_count: 0
    .wavefront_size: 32
    .workgroup_processor_mode: 1
  - .args:
      - .offset:         0
        .size:           4
        .value_kind:     by_value
      - .offset:         4
        .size:           1
        .value_kind:     by_value
      - .offset:         8
        .size:           16
        .value_kind:     by_value
    .group_segment_fixed_size: 0
    .kernarg_segment_align: 8
    .kernarg_segment_size: 24
    .language:       OpenCL C
    .language_version:
      - 2
      - 0
    .max_flat_workgroup_size: 256
    .name:           _ZN2at6native29vectorized_elementwise_kernelILi4EZZZNS0_17rsqrt_kernel_cudaERNS_18TensorIteratorBaseEENKUlvE_clEvENKUlvE_clEvEUlN3c107complexIdEEE_St5arrayIPcLm2EEEEviT0_T1_
    .private_segment_fixed_size: 0
    .sgpr_count:     19
    .sgpr_spill_count: 0
    .symbol:         _ZN2at6native29vectorized_elementwise_kernelILi4EZZZNS0_17rsqrt_kernel_cudaERNS_18TensorIteratorBaseEENKUlvE_clEvENKUlvE_clEvEUlN3c107complexIdEEE_St5arrayIPcLm2EEEEviT0_T1_.kd
    .uniform_work_group_size: 1
    .uses_dynamic_stack: false
    .vgpr_count:     35
    .vgpr_spill_count: 0
    .wavefront_size: 32
    .workgroup_processor_mode: 1
  - .args:
      - .offset:         0
        .size:           4
        .value_kind:     by_value
      - .offset:         4
        .size:           1
        .value_kind:     by_value
      - .offset:         8
        .size:           16
        .value_kind:     by_value
    .group_segment_fixed_size: 0
    .kernarg_segment_align: 8
    .kernarg_segment_size: 24
    .language:       OpenCL C
    .language_version:
      - 2
      - 0
    .max_flat_workgroup_size: 256
    .name:           _ZN2at6native29vectorized_elementwise_kernelILi2EZZZNS0_17rsqrt_kernel_cudaERNS_18TensorIteratorBaseEENKUlvE_clEvENKUlvE_clEvEUlN3c107complexIdEEE_St5arrayIPcLm2EEEEviT0_T1_
    .private_segment_fixed_size: 0
    .sgpr_count:     19
    .sgpr_spill_count: 0
    .symbol:         _ZN2at6native29vectorized_elementwise_kernelILi2EZZZNS0_17rsqrt_kernel_cudaERNS_18TensorIteratorBaseEENKUlvE_clEvENKUlvE_clEvEUlN3c107complexIdEEE_St5arrayIPcLm2EEEEviT0_T1_.kd
    .uniform_work_group_size: 1
    .uses_dynamic_stack: false
    .vgpr_count:     35
    .vgpr_spill_count: 0
    .wavefront_size: 32
    .workgroup_processor_mode: 1
  - .args:
      - .offset:         0
        .size:           4
        .value_kind:     by_value
      - .offset:         4
        .size:           1
        .value_kind:     by_value
      - .offset:         8
        .size:           16
        .value_kind:     by_value
      - .offset:         24
        .size:           1
        .value_kind:     by_value
      - .offset:         25
        .size:           1
        .value_kind:     by_value
      - .offset:         26
        .size:           1
        .value_kind:     by_value
      - .offset:         27
        .size:           1
        .value_kind:     by_value
    .group_segment_fixed_size: 0
    .kernarg_segment_align: 8
    .kernarg_segment_size: 28
    .language:       OpenCL C
    .language_version:
      - 2
      - 0
    .max_flat_workgroup_size: 256
    .name:           _ZN2at6native27unrolled_elementwise_kernelIZZZNS0_17rsqrt_kernel_cudaERNS_18TensorIteratorBaseEENKUlvE_clEvENKUlvE_clEvEUlN3c107complexIdEEE_St5arrayIPcLm2EELi4E23TrivialOffsetCalculatorILi1EjESE_NS0_6memory15LoadWithoutCastENSF_16StoreWithoutCastEEEviT_T0_T2_T3_T4_T5_
    .private_segment_fixed_size: 0
    .sgpr_count:     18
    .sgpr_spill_count: 0
    .symbol:         _ZN2at6native27unrolled_elementwise_kernelIZZZNS0_17rsqrt_kernel_cudaERNS_18TensorIteratorBaseEENKUlvE_clEvENKUlvE_clEvEUlN3c107complexIdEEE_St5arrayIPcLm2EELi4E23TrivialOffsetCalculatorILi1EjESE_NS0_6memory15LoadWithoutCastENSF_16StoreWithoutCastEEEviT_T0_T2_T3_T4_T5_.kd
    .uniform_work_group_size: 1
    .uses_dynamic_stack: false
    .vgpr_count:     35
    .vgpr_spill_count: 0
    .wavefront_size: 32
    .workgroup_processor_mode: 1
  - .args:
      - .offset:         0
        .size:           4
        .value_kind:     by_value
      - .offset:         8
        .size:           352
        .value_kind:     by_value
    .group_segment_fixed_size: 0
    .kernarg_segment_align: 8
    .kernarg_segment_size: 360
    .language:       OpenCL C
    .language_version:
      - 2
      - 0
    .max_flat_workgroup_size: 128
    .name:           _ZN2at6native32elementwise_kernel_manual_unrollILi128ELi4EZNS0_22gpu_kernel_impl_nocastIZZZNS0_17rsqrt_kernel_cudaERNS_18TensorIteratorBaseEENKUlvE_clEvENKUlvE_clEvEUlN3c107complexIdEEE_EEvS4_RKT_EUlibE_EEviT1_
    .private_segment_fixed_size: 0
    .sgpr_count:     58
    .sgpr_spill_count: 0
    .symbol:         _ZN2at6native32elementwise_kernel_manual_unrollILi128ELi4EZNS0_22gpu_kernel_impl_nocastIZZZNS0_17rsqrt_kernel_cudaERNS_18TensorIteratorBaseEENKUlvE_clEvENKUlvE_clEvEUlN3c107complexIdEEE_EEvS4_RKT_EUlibE_EEviT1_.kd
    .uniform_work_group_size: 1
    .uses_dynamic_stack: false
    .vgpr_count:     36
    .vgpr_spill_count: 0
    .wavefront_size: 32
    .workgroup_processor_mode: 1
  - .args:
      - .offset:         0
        .size:           4
        .value_kind:     by_value
      - .offset:         8
        .size:           32
        .value_kind:     by_value
    .group_segment_fixed_size: 0
    .kernarg_segment_align: 8
    .kernarg_segment_size: 40
    .language:       OpenCL C
    .language_version:
      - 2
      - 0
    .max_flat_workgroup_size: 128
    .name:           _ZN2at6native32elementwise_kernel_manual_unrollILi128ELi4EZNS0_15gpu_kernel_implIZZZNS0_17rsqrt_kernel_cudaERNS_18TensorIteratorBaseEENKUlvE_clEvENKUlvE_clEvEUlN3c107complexIdEEE_EEvS4_RKT_EUlibE_EEviT1_
    .private_segment_fixed_size: 0
    .sgpr_count:     29
    .sgpr_spill_count: 0
    .symbol:         _ZN2at6native32elementwise_kernel_manual_unrollILi128ELi4EZNS0_15gpu_kernel_implIZZZNS0_17rsqrt_kernel_cudaERNS_18TensorIteratorBaseEENKUlvE_clEvENKUlvE_clEvEUlN3c107complexIdEEE_EEvS4_RKT_EUlibE_EEviT1_.kd
    .uniform_work_group_size: 1
    .uses_dynamic_stack: false
    .vgpr_count:     34
    .vgpr_spill_count: 0
    .wavefront_size: 32
    .workgroup_processor_mode: 1
  - .args:
      - .offset:         0
        .size:           4
        .value_kind:     by_value
      - .offset:         8
        .size:           352
        .value_kind:     by_value
    .group_segment_fixed_size: 0
    .kernarg_segment_align: 8
    .kernarg_segment_size: 360
    .language:       OpenCL C
    .language_version:
      - 2
      - 0
    .max_flat_workgroup_size: 128
    .name:           _ZN2at6native32elementwise_kernel_manual_unrollILi128ELi4EZNS0_15gpu_kernel_implIZZZNS0_17rsqrt_kernel_cudaERNS_18TensorIteratorBaseEENKUlvE_clEvENKUlvE_clEvEUlN3c107complexIdEEE_EEvS4_RKT_EUlibE0_EEviT1_
    .private_segment_fixed_size: 0
    .sgpr_count:     70
    .sgpr_spill_count: 0
    .symbol:         _ZN2at6native32elementwise_kernel_manual_unrollILi128ELi4EZNS0_15gpu_kernel_implIZZZNS0_17rsqrt_kernel_cudaERNS_18TensorIteratorBaseEENKUlvE_clEvENKUlvE_clEvEUlN3c107complexIdEEE_EEvS4_RKT_EUlibE0_EEviT1_.kd
    .uniform_work_group_size: 1
    .uses_dynamic_stack: false
    .vgpr_count:     36
    .vgpr_spill_count: 0
    .wavefront_size: 32
    .workgroup_processor_mode: 1
  - .args:
      - .offset:         0
        .size:           4
        .value_kind:     by_value
      - .offset:         4
        .size:           1
        .value_kind:     by_value
      - .offset:         8
        .size:           16
        .value_kind:     by_value
    .group_segment_fixed_size: 0
    .kernarg_segment_align: 8
    .kernarg_segment_size: 24
    .language:       OpenCL C
    .language_version:
      - 2
      - 0
    .max_flat_workgroup_size: 256
    .name:           _ZN2at6native29vectorized_elementwise_kernelILi16EZZZNS0_17rsqrt_kernel_cudaERNS_18TensorIteratorBaseEENKUlvE_clEvENKUlvE0_clEvEUlN3c107complexIfEEE_St5arrayIPcLm2EEEEviT0_T1_
    .private_segment_fixed_size: 0
    .sgpr_count:     19
    .sgpr_spill_count: 0
    .symbol:         _ZN2at6native29vectorized_elementwise_kernelILi16EZZZNS0_17rsqrt_kernel_cudaERNS_18TensorIteratorBaseEENKUlvE_clEvENKUlvE0_clEvEUlN3c107complexIfEEE_St5arrayIPcLm2EEEEviT0_T1_.kd
    .uniform_work_group_size: 1
    .uses_dynamic_stack: false
    .vgpr_count:     21
    .vgpr_spill_count: 0
    .wavefront_size: 32
    .workgroup_processor_mode: 1
  - .args:
      - .offset:         0
        .size:           4
        .value_kind:     by_value
      - .offset:         4
        .size:           1
        .value_kind:     by_value
      - .offset:         8
        .size:           16
        .value_kind:     by_value
    .group_segment_fixed_size: 0
    .kernarg_segment_align: 8
    .kernarg_segment_size: 24
    .language:       OpenCL C
    .language_version:
      - 2
      - 0
    .max_flat_workgroup_size: 256
    .name:           _ZN2at6native29vectorized_elementwise_kernelILi8EZZZNS0_17rsqrt_kernel_cudaERNS_18TensorIteratorBaseEENKUlvE_clEvENKUlvE0_clEvEUlN3c107complexIfEEE_St5arrayIPcLm2EEEEviT0_T1_
    .private_segment_fixed_size: 0
    .sgpr_count:     19
    .sgpr_spill_count: 0
    .symbol:         _ZN2at6native29vectorized_elementwise_kernelILi8EZZZNS0_17rsqrt_kernel_cudaERNS_18TensorIteratorBaseEENKUlvE_clEvENKUlvE0_clEvEUlN3c107complexIfEEE_St5arrayIPcLm2EEEEviT0_T1_.kd
    .uniform_work_group_size: 1
    .uses_dynamic_stack: false
    .vgpr_count:     21
    .vgpr_spill_count: 0
    .wavefront_size: 32
    .workgroup_processor_mode: 1
  - .args:
      - .offset:         0
        .size:           4
        .value_kind:     by_value
      - .offset:         4
        .size:           1
        .value_kind:     by_value
      - .offset:         8
        .size:           16
        .value_kind:     by_value
    .group_segment_fixed_size: 0
    .kernarg_segment_align: 8
    .kernarg_segment_size: 24
    .language:       OpenCL C
    .language_version:
      - 2
      - 0
    .max_flat_workgroup_size: 256
    .name:           _ZN2at6native29vectorized_elementwise_kernelILi4EZZZNS0_17rsqrt_kernel_cudaERNS_18TensorIteratorBaseEENKUlvE_clEvENKUlvE0_clEvEUlN3c107complexIfEEE_St5arrayIPcLm2EEEEviT0_T1_
    .private_segment_fixed_size: 0
    .sgpr_count:     19
    .sgpr_spill_count: 0
    .symbol:         _ZN2at6native29vectorized_elementwise_kernelILi4EZZZNS0_17rsqrt_kernel_cudaERNS_18TensorIteratorBaseEENKUlvE_clEvENKUlvE0_clEvEUlN3c107complexIfEEE_St5arrayIPcLm2EEEEviT0_T1_.kd
    .uniform_work_group_size: 1
    .uses_dynamic_stack: false
    .vgpr_count:     21
    .vgpr_spill_count: 0
    .wavefront_size: 32
    .workgroup_processor_mode: 1
  - .args:
      - .offset:         0
        .size:           4
        .value_kind:     by_value
      - .offset:         4
        .size:           1
        .value_kind:     by_value
      - .offset:         8
        .size:           16
        .value_kind:     by_value
    .group_segment_fixed_size: 0
    .kernarg_segment_align: 8
    .kernarg_segment_size: 24
    .language:       OpenCL C
    .language_version:
      - 2
      - 0
    .max_flat_workgroup_size: 256
    .name:           _ZN2at6native29vectorized_elementwise_kernelILi2EZZZNS0_17rsqrt_kernel_cudaERNS_18TensorIteratorBaseEENKUlvE_clEvENKUlvE0_clEvEUlN3c107complexIfEEE_St5arrayIPcLm2EEEEviT0_T1_
    .private_segment_fixed_size: 0
    .sgpr_count:     19
    .sgpr_spill_count: 0
    .symbol:         _ZN2at6native29vectorized_elementwise_kernelILi2EZZZNS0_17rsqrt_kernel_cudaERNS_18TensorIteratorBaseEENKUlvE_clEvENKUlvE0_clEvEUlN3c107complexIfEEE_St5arrayIPcLm2EEEEviT0_T1_.kd
    .uniform_work_group_size: 1
    .uses_dynamic_stack: false
    .vgpr_count:     21
    .vgpr_spill_count: 0
    .wavefront_size: 32
    .workgroup_processor_mode: 1
  - .args:
      - .offset:         0
        .size:           4
        .value_kind:     by_value
      - .offset:         4
        .size:           1
        .value_kind:     by_value
      - .offset:         8
        .size:           16
        .value_kind:     by_value
      - .offset:         24
        .size:           1
        .value_kind:     by_value
      - .offset:         25
        .size:           1
        .value_kind:     by_value
      - .offset:         26
        .size:           1
        .value_kind:     by_value
      - .offset:         27
        .size:           1
        .value_kind:     by_value
    .group_segment_fixed_size: 0
    .kernarg_segment_align: 8
    .kernarg_segment_size: 28
    .language:       OpenCL C
    .language_version:
      - 2
      - 0
    .max_flat_workgroup_size: 256
    .name:           _ZN2at6native27unrolled_elementwise_kernelIZZZNS0_17rsqrt_kernel_cudaERNS_18TensorIteratorBaseEENKUlvE_clEvENKUlvE0_clEvEUlN3c107complexIfEEE_St5arrayIPcLm2EELi4E23TrivialOffsetCalculatorILi1EjESE_NS0_6memory15LoadWithoutCastENSF_16StoreWithoutCastEEEviT_T0_T2_T3_T4_T5_
    .private_segment_fixed_size: 0
    .sgpr_count:     18
    .sgpr_spill_count: 0
    .symbol:         _ZN2at6native27unrolled_elementwise_kernelIZZZNS0_17rsqrt_kernel_cudaERNS_18TensorIteratorBaseEENKUlvE_clEvENKUlvE0_clEvEUlN3c107complexIfEEE_St5arrayIPcLm2EELi4E23TrivialOffsetCalculatorILi1EjESE_NS0_6memory15LoadWithoutCastENSF_16StoreWithoutCastEEEviT_T0_T2_T3_T4_T5_.kd
    .uniform_work_group_size: 1
    .uses_dynamic_stack: false
    .vgpr_count:     21
    .vgpr_spill_count: 0
    .wavefront_size: 32
    .workgroup_processor_mode: 1
  - .args:
      - .offset:         0
        .size:           4
        .value_kind:     by_value
      - .offset:         8
        .size:           352
        .value_kind:     by_value
    .group_segment_fixed_size: 0
    .kernarg_segment_align: 8
    .kernarg_segment_size: 360
    .language:       OpenCL C
    .language_version:
      - 2
      - 0
    .max_flat_workgroup_size: 128
    .name:           _ZN2at6native32elementwise_kernel_manual_unrollILi128ELi4EZNS0_22gpu_kernel_impl_nocastIZZZNS0_17rsqrt_kernel_cudaERNS_18TensorIteratorBaseEENKUlvE_clEvENKUlvE0_clEvEUlN3c107complexIfEEE_EEvS4_RKT_EUlibE_EEviT1_
    .private_segment_fixed_size: 0
    .sgpr_count:     58
    .sgpr_spill_count: 0
    .symbol:         _ZN2at6native32elementwise_kernel_manual_unrollILi128ELi4EZNS0_22gpu_kernel_impl_nocastIZZZNS0_17rsqrt_kernel_cudaERNS_18TensorIteratorBaseEENKUlvE_clEvENKUlvE0_clEvEUlN3c107complexIfEEE_EEvS4_RKT_EUlibE_EEviT1_.kd
    .uniform_work_group_size: 1
    .uses_dynamic_stack: false
    .vgpr_count:     22
    .vgpr_spill_count: 0
    .wavefront_size: 32
    .workgroup_processor_mode: 1
  - .args:
      - .offset:         0
        .size:           4
        .value_kind:     by_value
      - .offset:         8
        .size:           32
        .value_kind:     by_value
    .group_segment_fixed_size: 0
    .kernarg_segment_align: 8
    .kernarg_segment_size: 40
    .language:       OpenCL C
    .language_version:
      - 2
      - 0
    .max_flat_workgroup_size: 128
    .name:           _ZN2at6native32elementwise_kernel_manual_unrollILi128ELi4EZNS0_15gpu_kernel_implIZZZNS0_17rsqrt_kernel_cudaERNS_18TensorIteratorBaseEENKUlvE_clEvENKUlvE0_clEvEUlN3c107complexIfEEE_EEvS4_RKT_EUlibE_EEviT1_
    .private_segment_fixed_size: 0
    .sgpr_count:     28
    .sgpr_spill_count: 0
    .symbol:         _ZN2at6native32elementwise_kernel_manual_unrollILi128ELi4EZNS0_15gpu_kernel_implIZZZNS0_17rsqrt_kernel_cudaERNS_18TensorIteratorBaseEENKUlvE_clEvENKUlvE0_clEvEUlN3c107complexIfEEE_EEvS4_RKT_EUlibE_EEviT1_.kd
    .uniform_work_group_size: 1
    .uses_dynamic_stack: false
    .vgpr_count:     20
    .vgpr_spill_count: 0
    .wavefront_size: 32
    .workgroup_processor_mode: 1
  - .args:
      - .offset:         0
        .size:           4
        .value_kind:     by_value
      - .offset:         8
        .size:           352
        .value_kind:     by_value
    .group_segment_fixed_size: 0
    .kernarg_segment_align: 8
    .kernarg_segment_size: 360
    .language:       OpenCL C
    .language_version:
      - 2
      - 0
    .max_flat_workgroup_size: 128
    .name:           _ZN2at6native32elementwise_kernel_manual_unrollILi128ELi4EZNS0_15gpu_kernel_implIZZZNS0_17rsqrt_kernel_cudaERNS_18TensorIteratorBaseEENKUlvE_clEvENKUlvE0_clEvEUlN3c107complexIfEEE_EEvS4_RKT_EUlibE0_EEviT1_
    .private_segment_fixed_size: 0
    .sgpr_count:     70
    .sgpr_spill_count: 0
    .symbol:         _ZN2at6native32elementwise_kernel_manual_unrollILi128ELi4EZNS0_15gpu_kernel_implIZZZNS0_17rsqrt_kernel_cudaERNS_18TensorIteratorBaseEENKUlvE_clEvENKUlvE0_clEvEUlN3c107complexIfEEE_EEvS4_RKT_EUlibE0_EEviT1_.kd
    .uniform_work_group_size: 1
    .uses_dynamic_stack: false
    .vgpr_count:     22
    .vgpr_spill_count: 0
    .wavefront_size: 32
    .workgroup_processor_mode: 1
  - .args:
      - .offset:         0
        .size:           4
        .value_kind:     by_value
      - .offset:         4
        .size:           1
        .value_kind:     by_value
      - .offset:         8
        .size:           16
        .value_kind:     by_value
    .group_segment_fixed_size: 0
    .kernarg_segment_align: 8
    .kernarg_segment_size: 24
    .language:       OpenCL C
    .language_version:
      - 2
      - 0
    .max_flat_workgroup_size: 256
    .name:           _ZN2at6native29vectorized_elementwise_kernelILi16EZZZNS0_17rsqrt_kernel_cudaERNS_18TensorIteratorBaseEENKUlvE_clEvENKUlvE1_clEvEUlN3c107complexINS6_4HalfEEEE_St5arrayIPcLm2EEEEviT0_T1_
    .private_segment_fixed_size: 0
    .sgpr_count:     19
    .sgpr_spill_count: 0
    .symbol:         _ZN2at6native29vectorized_elementwise_kernelILi16EZZZNS0_17rsqrt_kernel_cudaERNS_18TensorIteratorBaseEENKUlvE_clEvENKUlvE1_clEvEUlN3c107complexINS6_4HalfEEEE_St5arrayIPcLm2EEEEviT0_T1_.kd
    .uniform_work_group_size: 1
    .uses_dynamic_stack: false
    .vgpr_count:     20
    .vgpr_spill_count: 0
    .wavefront_size: 32
    .workgroup_processor_mode: 1
  - .args:
      - .offset:         0
        .size:           4
        .value_kind:     by_value
      - .offset:         4
        .size:           1
        .value_kind:     by_value
      - .offset:         8
        .size:           16
        .value_kind:     by_value
    .group_segment_fixed_size: 0
    .kernarg_segment_align: 8
    .kernarg_segment_size: 24
    .language:       OpenCL C
    .language_version:
      - 2
      - 0
    .max_flat_workgroup_size: 256
    .name:           _ZN2at6native29vectorized_elementwise_kernelILi8EZZZNS0_17rsqrt_kernel_cudaERNS_18TensorIteratorBaseEENKUlvE_clEvENKUlvE1_clEvEUlN3c107complexINS6_4HalfEEEE_St5arrayIPcLm2EEEEviT0_T1_
    .private_segment_fixed_size: 0
    .sgpr_count:     19
    .sgpr_spill_count: 0
    .symbol:         _ZN2at6native29vectorized_elementwise_kernelILi8EZZZNS0_17rsqrt_kernel_cudaERNS_18TensorIteratorBaseEENKUlvE_clEvENKUlvE1_clEvEUlN3c107complexINS6_4HalfEEEE_St5arrayIPcLm2EEEEviT0_T1_.kd
    .uniform_work_group_size: 1
    .uses_dynamic_stack: false
    .vgpr_count:     20
    .vgpr_spill_count: 0
    .wavefront_size: 32
    .workgroup_processor_mode: 1
  - .args:
      - .offset:         0
        .size:           4
        .value_kind:     by_value
      - .offset:         4
        .size:           1
        .value_kind:     by_value
      - .offset:         8
        .size:           16
        .value_kind:     by_value
    .group_segment_fixed_size: 0
    .kernarg_segment_align: 8
    .kernarg_segment_size: 24
    .language:       OpenCL C
    .language_version:
      - 2
      - 0
    .max_flat_workgroup_size: 256
    .name:           _ZN2at6native29vectorized_elementwise_kernelILi4EZZZNS0_17rsqrt_kernel_cudaERNS_18TensorIteratorBaseEENKUlvE_clEvENKUlvE1_clEvEUlN3c107complexINS6_4HalfEEEE_St5arrayIPcLm2EEEEviT0_T1_
    .private_segment_fixed_size: 0
    .sgpr_count:     19
    .sgpr_spill_count: 0
    .symbol:         _ZN2at6native29vectorized_elementwise_kernelILi4EZZZNS0_17rsqrt_kernel_cudaERNS_18TensorIteratorBaseEENKUlvE_clEvENKUlvE1_clEvEUlN3c107complexINS6_4HalfEEEE_St5arrayIPcLm2EEEEviT0_T1_.kd
    .uniform_work_group_size: 1
    .uses_dynamic_stack: false
    .vgpr_count:     20
    .vgpr_spill_count: 0
    .wavefront_size: 32
    .workgroup_processor_mode: 1
  - .args:
      - .offset:         0
        .size:           4
        .value_kind:     by_value
      - .offset:         4
        .size:           1
        .value_kind:     by_value
      - .offset:         8
        .size:           16
        .value_kind:     by_value
    .group_segment_fixed_size: 0
    .kernarg_segment_align: 8
    .kernarg_segment_size: 24
    .language:       OpenCL C
    .language_version:
      - 2
      - 0
    .max_flat_workgroup_size: 256
    .name:           _ZN2at6native29vectorized_elementwise_kernelILi2EZZZNS0_17rsqrt_kernel_cudaERNS_18TensorIteratorBaseEENKUlvE_clEvENKUlvE1_clEvEUlN3c107complexINS6_4HalfEEEE_St5arrayIPcLm2EEEEviT0_T1_
    .private_segment_fixed_size: 0
    .sgpr_count:     19
    .sgpr_spill_count: 0
    .symbol:         _ZN2at6native29vectorized_elementwise_kernelILi2EZZZNS0_17rsqrt_kernel_cudaERNS_18TensorIteratorBaseEENKUlvE_clEvENKUlvE1_clEvEUlN3c107complexINS6_4HalfEEEE_St5arrayIPcLm2EEEEviT0_T1_.kd
    .uniform_work_group_size: 1
    .uses_dynamic_stack: false
    .vgpr_count:     20
    .vgpr_spill_count: 0
    .wavefront_size: 32
    .workgroup_processor_mode: 1
  - .args:
      - .offset:         0
        .size:           4
        .value_kind:     by_value
      - .offset:         4
        .size:           1
        .value_kind:     by_value
      - .offset:         8
        .size:           16
        .value_kind:     by_value
      - .offset:         24
        .size:           1
        .value_kind:     by_value
      - .offset:         25
        .size:           1
        .value_kind:     by_value
      - .offset:         26
        .size:           1
        .value_kind:     by_value
      - .offset:         27
        .size:           1
        .value_kind:     by_value
    .group_segment_fixed_size: 0
    .kernarg_segment_align: 8
    .kernarg_segment_size: 28
    .language:       OpenCL C
    .language_version:
      - 2
      - 0
    .max_flat_workgroup_size: 256
    .name:           _ZN2at6native27unrolled_elementwise_kernelIZZZNS0_17rsqrt_kernel_cudaERNS_18TensorIteratorBaseEENKUlvE_clEvENKUlvE1_clEvEUlN3c107complexINS6_4HalfEEEE_St5arrayIPcLm2EELi4E23TrivialOffsetCalculatorILi1EjESF_NS0_6memory15LoadWithoutCastENSG_16StoreWithoutCastEEEviT_T0_T2_T3_T4_T5_
    .private_segment_fixed_size: 0
    .sgpr_count:     18
    .sgpr_spill_count: 0
    .symbol:         _ZN2at6native27unrolled_elementwise_kernelIZZZNS0_17rsqrt_kernel_cudaERNS_18TensorIteratorBaseEENKUlvE_clEvENKUlvE1_clEvEUlN3c107complexINS6_4HalfEEEE_St5arrayIPcLm2EELi4E23TrivialOffsetCalculatorILi1EjESF_NS0_6memory15LoadWithoutCastENSG_16StoreWithoutCastEEEviT_T0_T2_T3_T4_T5_.kd
    .uniform_work_group_size: 1
    .uses_dynamic_stack: false
    .vgpr_count:     18
    .vgpr_spill_count: 0
    .wavefront_size: 32
    .workgroup_processor_mode: 1
  - .args:
      - .offset:         0
        .size:           4
        .value_kind:     by_value
      - .offset:         8
        .size:           352
        .value_kind:     by_value
    .group_segment_fixed_size: 0
    .kernarg_segment_align: 8
    .kernarg_segment_size: 360
    .language:       OpenCL C
    .language_version:
      - 2
      - 0
    .max_flat_workgroup_size: 128
    .name:           _ZN2at6native32elementwise_kernel_manual_unrollILi128ELi4EZNS0_22gpu_kernel_impl_nocastIZZZNS0_17rsqrt_kernel_cudaERNS_18TensorIteratorBaseEENKUlvE_clEvENKUlvE1_clEvEUlN3c107complexINS7_4HalfEEEE_EEvS4_RKT_EUlibE_EEviT1_
    .private_segment_fixed_size: 0
    .sgpr_count:     58
    .sgpr_spill_count: 0
    .symbol:         _ZN2at6native32elementwise_kernel_manual_unrollILi128ELi4EZNS0_22gpu_kernel_impl_nocastIZZZNS0_17rsqrt_kernel_cudaERNS_18TensorIteratorBaseEENKUlvE_clEvENKUlvE1_clEvEUlN3c107complexINS7_4HalfEEEE_EEvS4_RKT_EUlibE_EEviT1_.kd
    .uniform_work_group_size: 1
    .uses_dynamic_stack: false
    .vgpr_count:     22
    .vgpr_spill_count: 0
    .wavefront_size: 32
    .workgroup_processor_mode: 1
  - .args:
      - .offset:         0
        .size:           4
        .value_kind:     by_value
      - .offset:         8
        .size:           32
        .value_kind:     by_value
    .group_segment_fixed_size: 0
    .kernarg_segment_align: 8
    .kernarg_segment_size: 40
    .language:       OpenCL C
    .language_version:
      - 2
      - 0
    .max_flat_workgroup_size: 128
    .name:           _ZN2at6native32elementwise_kernel_manual_unrollILi128ELi4EZNS0_15gpu_kernel_implIZZZNS0_17rsqrt_kernel_cudaERNS_18TensorIteratorBaseEENKUlvE_clEvENKUlvE1_clEvEUlN3c107complexINS7_4HalfEEEE_EEvS4_RKT_EUlibE_EEviT1_
    .private_segment_fixed_size: 0
    .sgpr_count:     28
    .sgpr_spill_count: 0
    .symbol:         _ZN2at6native32elementwise_kernel_manual_unrollILi128ELi4EZNS0_15gpu_kernel_implIZZZNS0_17rsqrt_kernel_cudaERNS_18TensorIteratorBaseEENKUlvE_clEvENKUlvE1_clEvEUlN3c107complexINS7_4HalfEEEE_EEvS4_RKT_EUlibE_EEviT1_.kd
    .uniform_work_group_size: 1
    .uses_dynamic_stack: false
    .vgpr_count:     20
    .vgpr_spill_count: 0
    .wavefront_size: 32
    .workgroup_processor_mode: 1
  - .args:
      - .offset:         0
        .size:           4
        .value_kind:     by_value
      - .offset:         8
        .size:           352
        .value_kind:     by_value
    .group_segment_fixed_size: 0
    .kernarg_segment_align: 8
    .kernarg_segment_size: 360
    .language:       OpenCL C
    .language_version:
      - 2
      - 0
    .max_flat_workgroup_size: 128
    .name:           _ZN2at6native32elementwise_kernel_manual_unrollILi128ELi4EZNS0_15gpu_kernel_implIZZZNS0_17rsqrt_kernel_cudaERNS_18TensorIteratorBaseEENKUlvE_clEvENKUlvE1_clEvEUlN3c107complexINS7_4HalfEEEE_EEvS4_RKT_EUlibE0_EEviT1_
    .private_segment_fixed_size: 0
    .sgpr_count:     70
    .sgpr_spill_count: 0
    .symbol:         _ZN2at6native32elementwise_kernel_manual_unrollILi128ELi4EZNS0_15gpu_kernel_implIZZZNS0_17rsqrt_kernel_cudaERNS_18TensorIteratorBaseEENKUlvE_clEvENKUlvE1_clEvEUlN3c107complexINS7_4HalfEEEE_EEvS4_RKT_EUlibE0_EEviT1_.kd
    .uniform_work_group_size: 1
    .uses_dynamic_stack: false
    .vgpr_count:     22
    .vgpr_spill_count: 0
    .wavefront_size: 32
    .workgroup_processor_mode: 1
  - .args:
      - .offset:         0
        .size:           4
        .value_kind:     by_value
      - .offset:         4
        .size:           1
        .value_kind:     by_value
      - .offset:         8
        .size:           16
        .value_kind:     by_value
    .group_segment_fixed_size: 0
    .kernarg_segment_align: 8
    .kernarg_segment_size: 24
    .language:       OpenCL C
    .language_version:
      - 2
      - 0
    .max_flat_workgroup_size: 256
    .name:           _ZN2at6native29vectorized_elementwise_kernelILi16EZZZNS0_17rsqrt_kernel_cudaERNS_18TensorIteratorBaseEENKUlvE0_clEvENKUlvE_clEvEUldE_St5arrayIPcLm2EEEEviT0_T1_
    .private_segment_fixed_size: 0
    .sgpr_count:     18
    .sgpr_spill_count: 0
    .symbol:         _ZN2at6native29vectorized_elementwise_kernelILi16EZZZNS0_17rsqrt_kernel_cudaERNS_18TensorIteratorBaseEENKUlvE0_clEvENKUlvE_clEvEUldE_St5arrayIPcLm2EEEEviT0_T1_.kd
    .uniform_work_group_size: 1
    .uses_dynamic_stack: false
    .vgpr_count:     26
    .vgpr_spill_count: 0
    .wavefront_size: 32
    .workgroup_processor_mode: 1
  - .args:
      - .offset:         0
        .size:           4
        .value_kind:     by_value
      - .offset:         4
        .size:           1
        .value_kind:     by_value
      - .offset:         8
        .size:           16
        .value_kind:     by_value
    .group_segment_fixed_size: 0
    .kernarg_segment_align: 8
    .kernarg_segment_size: 24
    .language:       OpenCL C
    .language_version:
      - 2
      - 0
    .max_flat_workgroup_size: 256
    .name:           _ZN2at6native29vectorized_elementwise_kernelILi8EZZZNS0_17rsqrt_kernel_cudaERNS_18TensorIteratorBaseEENKUlvE0_clEvENKUlvE_clEvEUldE_St5arrayIPcLm2EEEEviT0_T1_
    .private_segment_fixed_size: 0
    .sgpr_count:     18
    .sgpr_spill_count: 0
    .symbol:         _ZN2at6native29vectorized_elementwise_kernelILi8EZZZNS0_17rsqrt_kernel_cudaERNS_18TensorIteratorBaseEENKUlvE0_clEvENKUlvE_clEvEUldE_St5arrayIPcLm2EEEEviT0_T1_.kd
    .uniform_work_group_size: 1
    .uses_dynamic_stack: false
    .vgpr_count:     26
    .vgpr_spill_count: 0
    .wavefront_size: 32
    .workgroup_processor_mode: 1
  - .args:
      - .offset:         0
        .size:           4
        .value_kind:     by_value
      - .offset:         4
        .size:           1
        .value_kind:     by_value
      - .offset:         8
        .size:           16
        .value_kind:     by_value
    .group_segment_fixed_size: 0
    .kernarg_segment_align: 8
    .kernarg_segment_size: 24
    .language:       OpenCL C
    .language_version:
      - 2
      - 0
    .max_flat_workgroup_size: 256
    .name:           _ZN2at6native29vectorized_elementwise_kernelILi4EZZZNS0_17rsqrt_kernel_cudaERNS_18TensorIteratorBaseEENKUlvE0_clEvENKUlvE_clEvEUldE_St5arrayIPcLm2EEEEviT0_T1_
    .private_segment_fixed_size: 0
    .sgpr_count:     18
    .sgpr_spill_count: 0
    .symbol:         _ZN2at6native29vectorized_elementwise_kernelILi4EZZZNS0_17rsqrt_kernel_cudaERNS_18TensorIteratorBaseEENKUlvE0_clEvENKUlvE_clEvEUldE_St5arrayIPcLm2EEEEviT0_T1_.kd
    .uniform_work_group_size: 1
    .uses_dynamic_stack: false
    .vgpr_count:     26
    .vgpr_spill_count: 0
    .wavefront_size: 32
    .workgroup_processor_mode: 1
  - .args:
      - .offset:         0
        .size:           4
        .value_kind:     by_value
      - .offset:         4
        .size:           1
        .value_kind:     by_value
      - .offset:         8
        .size:           16
        .value_kind:     by_value
    .group_segment_fixed_size: 0
    .kernarg_segment_align: 8
    .kernarg_segment_size: 24
    .language:       OpenCL C
    .language_version:
      - 2
      - 0
    .max_flat_workgroup_size: 256
    .name:           _ZN2at6native29vectorized_elementwise_kernelILi2EZZZNS0_17rsqrt_kernel_cudaERNS_18TensorIteratorBaseEENKUlvE0_clEvENKUlvE_clEvEUldE_St5arrayIPcLm2EEEEviT0_T1_
    .private_segment_fixed_size: 0
    .sgpr_count:     18
    .sgpr_spill_count: 0
    .symbol:         _ZN2at6native29vectorized_elementwise_kernelILi2EZZZNS0_17rsqrt_kernel_cudaERNS_18TensorIteratorBaseEENKUlvE0_clEvENKUlvE_clEvEUldE_St5arrayIPcLm2EEEEviT0_T1_.kd
    .uniform_work_group_size: 1
    .uses_dynamic_stack: false
    .vgpr_count:     26
    .vgpr_spill_count: 0
    .wavefront_size: 32
    .workgroup_processor_mode: 1
  - .args:
      - .offset:         0
        .size:           4
        .value_kind:     by_value
      - .offset:         4
        .size:           1
        .value_kind:     by_value
      - .offset:         8
        .size:           16
        .value_kind:     by_value
      - .offset:         24
        .size:           1
        .value_kind:     by_value
      - .offset:         25
        .size:           1
        .value_kind:     by_value
      - .offset:         26
        .size:           1
        .value_kind:     by_value
      - .offset:         27
        .size:           1
        .value_kind:     by_value
    .group_segment_fixed_size: 0
    .kernarg_segment_align: 8
    .kernarg_segment_size: 28
    .language:       OpenCL C
    .language_version:
      - 2
      - 0
    .max_flat_workgroup_size: 256
    .name:           _ZN2at6native27unrolled_elementwise_kernelIZZZNS0_17rsqrt_kernel_cudaERNS_18TensorIteratorBaseEENKUlvE0_clEvENKUlvE_clEvEUldE_St5arrayIPcLm2EELi4E23TrivialOffsetCalculatorILi1EjESB_NS0_6memory15LoadWithoutCastENSC_16StoreWithoutCastEEEviT_T0_T2_T3_T4_T5_
    .private_segment_fixed_size: 0
    .sgpr_count:     18
    .sgpr_spill_count: 0
    .symbol:         _ZN2at6native27unrolled_elementwise_kernelIZZZNS0_17rsqrt_kernel_cudaERNS_18TensorIteratorBaseEENKUlvE0_clEvENKUlvE_clEvEUldE_St5arrayIPcLm2EELi4E23TrivialOffsetCalculatorILi1EjESB_NS0_6memory15LoadWithoutCastENSC_16StoreWithoutCastEEEviT_T0_T2_T3_T4_T5_.kd
    .uniform_work_group_size: 1
    .uses_dynamic_stack: false
    .vgpr_count:     20
    .vgpr_spill_count: 0
    .wavefront_size: 32
    .workgroup_processor_mode: 1
  - .args:
      - .offset:         0
        .size:           4
        .value_kind:     by_value
      - .offset:         8
        .size:           352
        .value_kind:     by_value
    .group_segment_fixed_size: 0
    .kernarg_segment_align: 8
    .kernarg_segment_size: 360
    .language:       OpenCL C
    .language_version:
      - 2
      - 0
    .max_flat_workgroup_size: 128
    .name:           _ZN2at6native32elementwise_kernel_manual_unrollILi128ELi4EZNS0_22gpu_kernel_impl_nocastIZZZNS0_17rsqrt_kernel_cudaERNS_18TensorIteratorBaseEENKUlvE0_clEvENKUlvE_clEvEUldE_EEvS4_RKT_EUlibE_EEviT1_
    .private_segment_fixed_size: 0
    .sgpr_count:     58
    .sgpr_spill_count: 0
    .symbol:         _ZN2at6native32elementwise_kernel_manual_unrollILi128ELi4EZNS0_22gpu_kernel_impl_nocastIZZZNS0_17rsqrt_kernel_cudaERNS_18TensorIteratorBaseEENKUlvE0_clEvENKUlvE_clEvEUldE_EEvS4_RKT_EUlibE_EEviT1_.kd
    .uniform_work_group_size: 1
    .uses_dynamic_stack: false
    .vgpr_count:     32
    .vgpr_spill_count: 0
    .wavefront_size: 32
    .workgroup_processor_mode: 1
  - .args:
      - .offset:         0
        .size:           4
        .value_kind:     by_value
      - .offset:         8
        .size:           32
        .value_kind:     by_value
    .group_segment_fixed_size: 0
    .kernarg_segment_align: 8
    .kernarg_segment_size: 40
    .language:       OpenCL C
    .language_version:
      - 2
      - 0
    .max_flat_workgroup_size: 128
    .name:           _ZN2at6native32elementwise_kernel_manual_unrollILi128ELi4EZNS0_15gpu_kernel_implIZZZNS0_17rsqrt_kernel_cudaERNS_18TensorIteratorBaseEENKUlvE0_clEvENKUlvE_clEvEUldE_EEvS4_RKT_EUlibE_EEviT1_
    .private_segment_fixed_size: 0
    .sgpr_count:     27
    .sgpr_spill_count: 0
    .symbol:         _ZN2at6native32elementwise_kernel_manual_unrollILi128ELi4EZNS0_15gpu_kernel_implIZZZNS0_17rsqrt_kernel_cudaERNS_18TensorIteratorBaseEENKUlvE0_clEvENKUlvE_clEvEUldE_EEvS4_RKT_EUlibE_EEviT1_.kd
    .uniform_work_group_size: 1
    .uses_dynamic_stack: false
    .vgpr_count:     16
    .vgpr_spill_count: 0
    .wavefront_size: 32
    .workgroup_processor_mode: 1
  - .args:
      - .offset:         0
        .size:           4
        .value_kind:     by_value
      - .offset:         8
        .size:           352
        .value_kind:     by_value
    .group_segment_fixed_size: 0
    .kernarg_segment_align: 8
    .kernarg_segment_size: 360
    .language:       OpenCL C
    .language_version:
      - 2
      - 0
    .max_flat_workgroup_size: 128
    .name:           _ZN2at6native32elementwise_kernel_manual_unrollILi128ELi4EZNS0_15gpu_kernel_implIZZZNS0_17rsqrt_kernel_cudaERNS_18TensorIteratorBaseEENKUlvE0_clEvENKUlvE_clEvEUldE_EEvS4_RKT_EUlibE0_EEviT1_
    .private_segment_fixed_size: 0
    .sgpr_count:     70
    .sgpr_spill_count: 0
    .symbol:         _ZN2at6native32elementwise_kernel_manual_unrollILi128ELi4EZNS0_15gpu_kernel_implIZZZNS0_17rsqrt_kernel_cudaERNS_18TensorIteratorBaseEENKUlvE0_clEvENKUlvE_clEvEUldE_EEvS4_RKT_EUlibE0_EEviT1_.kd
    .uniform_work_group_size: 1
    .uses_dynamic_stack: false
    .vgpr_count:     18
    .vgpr_spill_count: 0
    .wavefront_size: 32
    .workgroup_processor_mode: 1
  - .args:
      - .offset:         0
        .size:           4
        .value_kind:     by_value
      - .offset:         4
        .size:           1
        .value_kind:     by_value
      - .offset:         8
        .size:           16
        .value_kind:     by_value
    .group_segment_fixed_size: 0
    .kernarg_segment_align: 8
    .kernarg_segment_size: 24
    .language:       OpenCL C
    .language_version:
      - 2
      - 0
    .max_flat_workgroup_size: 256
    .name:           _ZN2at6native29vectorized_elementwise_kernelILi16EZZZNS0_17rsqrt_kernel_cudaERNS_18TensorIteratorBaseEENKUlvE0_clEvENKUlvE0_clEvEUlfE_St5arrayIPcLm2EEEEviT0_T1_
    .private_segment_fixed_size: 0
    .sgpr_count:     18
    .sgpr_spill_count: 0
    .symbol:         _ZN2at6native29vectorized_elementwise_kernelILi16EZZZNS0_17rsqrt_kernel_cudaERNS_18TensorIteratorBaseEENKUlvE0_clEvENKUlvE0_clEvEUlfE_St5arrayIPcLm2EEEEviT0_T1_.kd
    .uniform_work_group_size: 1
    .uses_dynamic_stack: false
    .vgpr_count:     26
    .vgpr_spill_count: 0
    .wavefront_size: 32
    .workgroup_processor_mode: 1
  - .args:
      - .offset:         0
        .size:           4
        .value_kind:     by_value
      - .offset:         4
        .size:           1
        .value_kind:     by_value
      - .offset:         8
        .size:           16
        .value_kind:     by_value
    .group_segment_fixed_size: 0
    .kernarg_segment_align: 8
    .kernarg_segment_size: 24
    .language:       OpenCL C
    .language_version:
      - 2
      - 0
    .max_flat_workgroup_size: 256
    .name:           _ZN2at6native29vectorized_elementwise_kernelILi8EZZZNS0_17rsqrt_kernel_cudaERNS_18TensorIteratorBaseEENKUlvE0_clEvENKUlvE0_clEvEUlfE_St5arrayIPcLm2EEEEviT0_T1_
    .private_segment_fixed_size: 0
    .sgpr_count:     18
    .sgpr_spill_count: 0
    .symbol:         _ZN2at6native29vectorized_elementwise_kernelILi8EZZZNS0_17rsqrt_kernel_cudaERNS_18TensorIteratorBaseEENKUlvE0_clEvENKUlvE0_clEvEUlfE_St5arrayIPcLm2EEEEviT0_T1_.kd
    .uniform_work_group_size: 1
    .uses_dynamic_stack: false
    .vgpr_count:     26
    .vgpr_spill_count: 0
    .wavefront_size: 32
    .workgroup_processor_mode: 1
  - .args:
      - .offset:         0
        .size:           4
        .value_kind:     by_value
      - .offset:         4
        .size:           1
        .value_kind:     by_value
      - .offset:         8
        .size:           16
        .value_kind:     by_value
    .group_segment_fixed_size: 0
    .kernarg_segment_align: 8
    .kernarg_segment_size: 24
    .language:       OpenCL C
    .language_version:
      - 2
      - 0
    .max_flat_workgroup_size: 256
    .name:           _ZN2at6native29vectorized_elementwise_kernelILi4EZZZNS0_17rsqrt_kernel_cudaERNS_18TensorIteratorBaseEENKUlvE0_clEvENKUlvE0_clEvEUlfE_St5arrayIPcLm2EEEEviT0_T1_
    .private_segment_fixed_size: 0
    .sgpr_count:     18
    .sgpr_spill_count: 0
    .symbol:         _ZN2at6native29vectorized_elementwise_kernelILi4EZZZNS0_17rsqrt_kernel_cudaERNS_18TensorIteratorBaseEENKUlvE0_clEvENKUlvE0_clEvEUlfE_St5arrayIPcLm2EEEEviT0_T1_.kd
    .uniform_work_group_size: 1
    .uses_dynamic_stack: false
    .vgpr_count:     26
    .vgpr_spill_count: 0
    .wavefront_size: 32
    .workgroup_processor_mode: 1
  - .args:
      - .offset:         0
        .size:           4
        .value_kind:     by_value
      - .offset:         4
        .size:           1
        .value_kind:     by_value
      - .offset:         8
        .size:           16
        .value_kind:     by_value
    .group_segment_fixed_size: 0
    .kernarg_segment_align: 8
    .kernarg_segment_size: 24
    .language:       OpenCL C
    .language_version:
      - 2
      - 0
    .max_flat_workgroup_size: 256
    .name:           _ZN2at6native29vectorized_elementwise_kernelILi2EZZZNS0_17rsqrt_kernel_cudaERNS_18TensorIteratorBaseEENKUlvE0_clEvENKUlvE0_clEvEUlfE_St5arrayIPcLm2EEEEviT0_T1_
    .private_segment_fixed_size: 0
    .sgpr_count:     18
    .sgpr_spill_count: 0
    .symbol:         _ZN2at6native29vectorized_elementwise_kernelILi2EZZZNS0_17rsqrt_kernel_cudaERNS_18TensorIteratorBaseEENKUlvE0_clEvENKUlvE0_clEvEUlfE_St5arrayIPcLm2EEEEviT0_T1_.kd
    .uniform_work_group_size: 1
    .uses_dynamic_stack: false
    .vgpr_count:     26
    .vgpr_spill_count: 0
    .wavefront_size: 32
    .workgroup_processor_mode: 1
  - .args:
      - .offset:         0
        .size:           4
        .value_kind:     by_value
      - .offset:         4
        .size:           1
        .value_kind:     by_value
      - .offset:         8
        .size:           16
        .value_kind:     by_value
      - .offset:         24
        .size:           1
        .value_kind:     by_value
      - .offset:         25
        .size:           1
        .value_kind:     by_value
      - .offset:         26
        .size:           1
        .value_kind:     by_value
      - .offset:         27
        .size:           1
        .value_kind:     by_value
    .group_segment_fixed_size: 0
    .kernarg_segment_align: 8
    .kernarg_segment_size: 28
    .language:       OpenCL C
    .language_version:
      - 2
      - 0
    .max_flat_workgroup_size: 256
    .name:           _ZN2at6native27unrolled_elementwise_kernelIZZZNS0_17rsqrt_kernel_cudaERNS_18TensorIteratorBaseEENKUlvE0_clEvENKUlvE0_clEvEUlfE_St5arrayIPcLm2EELi4E23TrivialOffsetCalculatorILi1EjESB_NS0_6memory15LoadWithoutCastENSC_16StoreWithoutCastEEEviT_T0_T2_T3_T4_T5_
    .private_segment_fixed_size: 0
    .sgpr_count:     18
    .sgpr_spill_count: 0
    .symbol:         _ZN2at6native27unrolled_elementwise_kernelIZZZNS0_17rsqrt_kernel_cudaERNS_18TensorIteratorBaseEENKUlvE0_clEvENKUlvE0_clEvEUlfE_St5arrayIPcLm2EELi4E23TrivialOffsetCalculatorILi1EjESB_NS0_6memory15LoadWithoutCastENSC_16StoreWithoutCastEEEviT_T0_T2_T3_T4_T5_.kd
    .uniform_work_group_size: 1
    .uses_dynamic_stack: false
    .vgpr_count:     18
    .vgpr_spill_count: 0
    .wavefront_size: 32
    .workgroup_processor_mode: 1
  - .args:
      - .offset:         0
        .size:           4
        .value_kind:     by_value
      - .offset:         8
        .size:           352
        .value_kind:     by_value
    .group_segment_fixed_size: 0
    .kernarg_segment_align: 8
    .kernarg_segment_size: 360
    .language:       OpenCL C
    .language_version:
      - 2
      - 0
    .max_flat_workgroup_size: 128
    .name:           _ZN2at6native32elementwise_kernel_manual_unrollILi128ELi4EZNS0_22gpu_kernel_impl_nocastIZZZNS0_17rsqrt_kernel_cudaERNS_18TensorIteratorBaseEENKUlvE0_clEvENKUlvE0_clEvEUlfE_EEvS4_RKT_EUlibE_EEviT1_
    .private_segment_fixed_size: 0
    .sgpr_count:     58
    .sgpr_spill_count: 0
    .symbol:         _ZN2at6native32elementwise_kernel_manual_unrollILi128ELi4EZNS0_22gpu_kernel_impl_nocastIZZZNS0_17rsqrt_kernel_cudaERNS_18TensorIteratorBaseEENKUlvE0_clEvENKUlvE0_clEvEUlfE_EEvS4_RKT_EUlibE_EEviT1_.kd
    .uniform_work_group_size: 1
    .uses_dynamic_stack: false
    .vgpr_count:     31
    .vgpr_spill_count: 0
    .wavefront_size: 32
    .workgroup_processor_mode: 1
  - .args:
      - .offset:         0
        .size:           4
        .value_kind:     by_value
      - .offset:         8
        .size:           32
        .value_kind:     by_value
    .group_segment_fixed_size: 0
    .kernarg_segment_align: 8
    .kernarg_segment_size: 40
    .language:       OpenCL C
    .language_version:
      - 2
      - 0
    .max_flat_workgroup_size: 128
    .name:           _ZN2at6native32elementwise_kernel_manual_unrollILi128ELi4EZNS0_15gpu_kernel_implIZZZNS0_17rsqrt_kernel_cudaERNS_18TensorIteratorBaseEENKUlvE0_clEvENKUlvE0_clEvEUlfE_EEvS4_RKT_EUlibE_EEviT1_
    .private_segment_fixed_size: 0
    .sgpr_count:     26
    .sgpr_spill_count: 0
    .symbol:         _ZN2at6native32elementwise_kernel_manual_unrollILi128ELi4EZNS0_15gpu_kernel_implIZZZNS0_17rsqrt_kernel_cudaERNS_18TensorIteratorBaseEENKUlvE0_clEvENKUlvE0_clEvEUlfE_EEvS4_RKT_EUlibE_EEviT1_.kd
    .uniform_work_group_size: 1
    .uses_dynamic_stack: false
    .vgpr_count:     15
    .vgpr_spill_count: 0
    .wavefront_size: 32
    .workgroup_processor_mode: 1
  - .args:
      - .offset:         0
        .size:           4
        .value_kind:     by_value
      - .offset:         8
        .size:           352
        .value_kind:     by_value
    .group_segment_fixed_size: 0
    .kernarg_segment_align: 8
    .kernarg_segment_size: 360
    .language:       OpenCL C
    .language_version:
      - 2
      - 0
    .max_flat_workgroup_size: 128
    .name:           _ZN2at6native32elementwise_kernel_manual_unrollILi128ELi4EZNS0_15gpu_kernel_implIZZZNS0_17rsqrt_kernel_cudaERNS_18TensorIteratorBaseEENKUlvE0_clEvENKUlvE0_clEvEUlfE_EEvS4_RKT_EUlibE0_EEviT1_
    .private_segment_fixed_size: 0
    .sgpr_count:     70
    .sgpr_spill_count: 0
    .symbol:         _ZN2at6native32elementwise_kernel_manual_unrollILi128ELi4EZNS0_15gpu_kernel_implIZZZNS0_17rsqrt_kernel_cudaERNS_18TensorIteratorBaseEENKUlvE0_clEvENKUlvE0_clEvEUlfE_EEvS4_RKT_EUlibE0_EEviT1_.kd
    .uniform_work_group_size: 1
    .uses_dynamic_stack: false
    .vgpr_count:     18
    .vgpr_spill_count: 0
    .wavefront_size: 32
    .workgroup_processor_mode: 1
  - .args:
      - .offset:         0
        .size:           4
        .value_kind:     by_value
      - .offset:         4
        .size:           1
        .value_kind:     by_value
      - .offset:         8
        .size:           16
        .value_kind:     by_value
    .group_segment_fixed_size: 0
    .kernarg_segment_align: 8
    .kernarg_segment_size: 24
    .language:       OpenCL C
    .language_version:
      - 2
      - 0
    .max_flat_workgroup_size: 256
    .name:           _ZN2at6native29vectorized_elementwise_kernelILi16EZZZNS0_17rsqrt_kernel_cudaERNS_18TensorIteratorBaseEENKUlvE0_clEvENKUlvE1_clEvEUlN3c108BFloat16EE_St5arrayIPcLm2EEEEviT0_T1_
    .private_segment_fixed_size: 0
    .sgpr_count:     18
    .sgpr_spill_count: 0
    .symbol:         _ZN2at6native29vectorized_elementwise_kernelILi16EZZZNS0_17rsqrt_kernel_cudaERNS_18TensorIteratorBaseEENKUlvE0_clEvENKUlvE1_clEvEUlN3c108BFloat16EE_St5arrayIPcLm2EEEEviT0_T1_.kd
    .uniform_work_group_size: 1
    .uses_dynamic_stack: false
    .vgpr_count:     50
    .vgpr_spill_count: 0
    .wavefront_size: 32
    .workgroup_processor_mode: 1
  - .args:
      - .offset:         0
        .size:           4
        .value_kind:     by_value
      - .offset:         4
        .size:           1
        .value_kind:     by_value
      - .offset:         8
        .size:           16
        .value_kind:     by_value
    .group_segment_fixed_size: 0
    .kernarg_segment_align: 8
    .kernarg_segment_size: 24
    .language:       OpenCL C
    .language_version:
      - 2
      - 0
    .max_flat_workgroup_size: 256
    .name:           _ZN2at6native29vectorized_elementwise_kernelILi8EZZZNS0_17rsqrt_kernel_cudaERNS_18TensorIteratorBaseEENKUlvE0_clEvENKUlvE1_clEvEUlN3c108BFloat16EE_St5arrayIPcLm2EEEEviT0_T1_
    .private_segment_fixed_size: 0
    .sgpr_count:     18
    .sgpr_spill_count: 0
    .symbol:         _ZN2at6native29vectorized_elementwise_kernelILi8EZZZNS0_17rsqrt_kernel_cudaERNS_18TensorIteratorBaseEENKUlvE0_clEvENKUlvE1_clEvEUlN3c108BFloat16EE_St5arrayIPcLm2EEEEviT0_T1_.kd
    .uniform_work_group_size: 1
    .uses_dynamic_stack: false
    .vgpr_count:     50
    .vgpr_spill_count: 0
    .wavefront_size: 32
    .workgroup_processor_mode: 1
  - .args:
      - .offset:         0
        .size:           4
        .value_kind:     by_value
      - .offset:         4
        .size:           1
        .value_kind:     by_value
      - .offset:         8
        .size:           16
        .value_kind:     by_value
    .group_segment_fixed_size: 0
    .kernarg_segment_align: 8
    .kernarg_segment_size: 24
    .language:       OpenCL C
    .language_version:
      - 2
      - 0
    .max_flat_workgroup_size: 256
    .name:           _ZN2at6native29vectorized_elementwise_kernelILi4EZZZNS0_17rsqrt_kernel_cudaERNS_18TensorIteratorBaseEENKUlvE0_clEvENKUlvE1_clEvEUlN3c108BFloat16EE_St5arrayIPcLm2EEEEviT0_T1_
    .private_segment_fixed_size: 0
    .sgpr_count:     18
    .sgpr_spill_count: 0
    .symbol:         _ZN2at6native29vectorized_elementwise_kernelILi4EZZZNS0_17rsqrt_kernel_cudaERNS_18TensorIteratorBaseEENKUlvE0_clEvENKUlvE1_clEvEUlN3c108BFloat16EE_St5arrayIPcLm2EEEEviT0_T1_.kd
    .uniform_work_group_size: 1
    .uses_dynamic_stack: false
    .vgpr_count:     50
    .vgpr_spill_count: 0
    .wavefront_size: 32
    .workgroup_processor_mode: 1
  - .args:
      - .offset:         0
        .size:           4
        .value_kind:     by_value
      - .offset:         4
        .size:           1
        .value_kind:     by_value
      - .offset:         8
        .size:           16
        .value_kind:     by_value
    .group_segment_fixed_size: 0
    .kernarg_segment_align: 8
    .kernarg_segment_size: 24
    .language:       OpenCL C
    .language_version:
      - 2
      - 0
    .max_flat_workgroup_size: 256
    .name:           _ZN2at6native29vectorized_elementwise_kernelILi2EZZZNS0_17rsqrt_kernel_cudaERNS_18TensorIteratorBaseEENKUlvE0_clEvENKUlvE1_clEvEUlN3c108BFloat16EE_St5arrayIPcLm2EEEEviT0_T1_
    .private_segment_fixed_size: 0
    .sgpr_count:     18
    .sgpr_spill_count: 0
    .symbol:         _ZN2at6native29vectorized_elementwise_kernelILi2EZZZNS0_17rsqrt_kernel_cudaERNS_18TensorIteratorBaseEENKUlvE0_clEvENKUlvE1_clEvEUlN3c108BFloat16EE_St5arrayIPcLm2EEEEviT0_T1_.kd
    .uniform_work_group_size: 1
    .uses_dynamic_stack: false
    .vgpr_count:     50
    .vgpr_spill_count: 0
    .wavefront_size: 32
    .workgroup_processor_mode: 1
  - .args:
      - .offset:         0
        .size:           4
        .value_kind:     by_value
      - .offset:         4
        .size:           1
        .value_kind:     by_value
      - .offset:         8
        .size:           16
        .value_kind:     by_value
      - .offset:         24
        .size:           1
        .value_kind:     by_value
      - .offset:         25
        .size:           1
        .value_kind:     by_value
      - .offset:         26
        .size:           1
        .value_kind:     by_value
      - .offset:         27
        .size:           1
        .value_kind:     by_value
    .group_segment_fixed_size: 0
    .kernarg_segment_align: 8
    .kernarg_segment_size: 28
    .language:       OpenCL C
    .language_version:
      - 2
      - 0
    .max_flat_workgroup_size: 256
    .name:           _ZN2at6native27unrolled_elementwise_kernelIZZZNS0_17rsqrt_kernel_cudaERNS_18TensorIteratorBaseEENKUlvE0_clEvENKUlvE1_clEvEUlN3c108BFloat16EE_St5arrayIPcLm2EELi4E23TrivialOffsetCalculatorILi1EjESD_NS0_6memory15LoadWithoutCastENSE_16StoreWithoutCastEEEviT_T0_T2_T3_T4_T5_
    .private_segment_fixed_size: 0
    .sgpr_count:     18
    .sgpr_spill_count: 0
    .symbol:         _ZN2at6native27unrolled_elementwise_kernelIZZZNS0_17rsqrt_kernel_cudaERNS_18TensorIteratorBaseEENKUlvE0_clEvENKUlvE1_clEvEUlN3c108BFloat16EE_St5arrayIPcLm2EELi4E23TrivialOffsetCalculatorILi1EjESD_NS0_6memory15LoadWithoutCastENSE_16StoreWithoutCastEEEviT_T0_T2_T3_T4_T5_.kd
    .uniform_work_group_size: 1
    .uses_dynamic_stack: false
    .vgpr_count:     16
    .vgpr_spill_count: 0
    .wavefront_size: 32
    .workgroup_processor_mode: 1
  - .args:
      - .offset:         0
        .size:           4
        .value_kind:     by_value
      - .offset:         8
        .size:           352
        .value_kind:     by_value
    .group_segment_fixed_size: 0
    .kernarg_segment_align: 8
    .kernarg_segment_size: 360
    .language:       OpenCL C
    .language_version:
      - 2
      - 0
    .max_flat_workgroup_size: 128
    .name:           _ZN2at6native32elementwise_kernel_manual_unrollILi128ELi8EZNS0_22gpu_kernel_impl_nocastIZZZNS0_17rsqrt_kernel_cudaERNS_18TensorIteratorBaseEENKUlvE0_clEvENKUlvE1_clEvEUlN3c108BFloat16EE_EEvS4_RKT_EUlibE_EEviT1_
    .private_segment_fixed_size: 0
    .sgpr_count:     58
    .sgpr_spill_count: 0
    .symbol:         _ZN2at6native32elementwise_kernel_manual_unrollILi128ELi8EZNS0_22gpu_kernel_impl_nocastIZZZNS0_17rsqrt_kernel_cudaERNS_18TensorIteratorBaseEENKUlvE0_clEvENKUlvE1_clEvEUlN3c108BFloat16EE_EEvS4_RKT_EUlibE_EEviT1_.kd
    .uniform_work_group_size: 1
    .uses_dynamic_stack: false
    .vgpr_count:     63
    .vgpr_spill_count: 0
    .wavefront_size: 32
    .workgroup_processor_mode: 1
  - .args:
      - .offset:         0
        .size:           4
        .value_kind:     by_value
      - .offset:         8
        .size:           32
        .value_kind:     by_value
    .group_segment_fixed_size: 0
    .kernarg_segment_align: 8
    .kernarg_segment_size: 40
    .language:       OpenCL C
    .language_version:
      - 2
      - 0
    .max_flat_workgroup_size: 128
    .name:           _ZN2at6native32elementwise_kernel_manual_unrollILi128ELi4EZNS0_15gpu_kernel_implIZZZNS0_17rsqrt_kernel_cudaERNS_18TensorIteratorBaseEENKUlvE0_clEvENKUlvE1_clEvEUlN3c108BFloat16EE_EEvS4_RKT_EUlibE_EEviT1_
    .private_segment_fixed_size: 0
    .sgpr_count:     26
    .sgpr_spill_count: 0
    .symbol:         _ZN2at6native32elementwise_kernel_manual_unrollILi128ELi4EZNS0_15gpu_kernel_implIZZZNS0_17rsqrt_kernel_cudaERNS_18TensorIteratorBaseEENKUlvE0_clEvENKUlvE1_clEvEUlN3c108BFloat16EE_EEvS4_RKT_EUlibE_EEviT1_.kd
    .uniform_work_group_size: 1
    .uses_dynamic_stack: false
    .vgpr_count:     13
    .vgpr_spill_count: 0
    .wavefront_size: 32
    .workgroup_processor_mode: 1
  - .args:
      - .offset:         0
        .size:           4
        .value_kind:     by_value
      - .offset:         8
        .size:           352
        .value_kind:     by_value
    .group_segment_fixed_size: 0
    .kernarg_segment_align: 8
    .kernarg_segment_size: 360
    .language:       OpenCL C
    .language_version:
      - 2
      - 0
    .max_flat_workgroup_size: 128
    .name:           _ZN2at6native32elementwise_kernel_manual_unrollILi128ELi4EZNS0_15gpu_kernel_implIZZZNS0_17rsqrt_kernel_cudaERNS_18TensorIteratorBaseEENKUlvE0_clEvENKUlvE1_clEvEUlN3c108BFloat16EE_EEvS4_RKT_EUlibE0_EEviT1_
    .private_segment_fixed_size: 0
    .sgpr_count:     70
    .sgpr_spill_count: 0
    .symbol:         _ZN2at6native32elementwise_kernel_manual_unrollILi128ELi4EZNS0_15gpu_kernel_implIZZZNS0_17rsqrt_kernel_cudaERNS_18TensorIteratorBaseEENKUlvE0_clEvENKUlvE1_clEvEUlN3c108BFloat16EE_EEvS4_RKT_EUlibE0_EEviT1_.kd
    .uniform_work_group_size: 1
    .uses_dynamic_stack: false
    .vgpr_count:     18
    .vgpr_spill_count: 0
    .wavefront_size: 32
    .workgroup_processor_mode: 1
  - .args:
      - .offset:         0
        .size:           4
        .value_kind:     by_value
      - .offset:         4
        .size:           1
        .value_kind:     by_value
      - .offset:         8
        .size:           16
        .value_kind:     by_value
    .group_segment_fixed_size: 0
    .kernarg_segment_align: 8
    .kernarg_segment_size: 24
    .language:       OpenCL C
    .language_version:
      - 2
      - 0
    .max_flat_workgroup_size: 256
    .name:           _ZN2at6native29vectorized_elementwise_kernelILi16EZZZNS0_17rsqrt_kernel_cudaERNS_18TensorIteratorBaseEENKUlvE0_clEvENKUlvE2_clEvEUlN3c104HalfEE_St5arrayIPcLm2EEEEviT0_T1_
    .private_segment_fixed_size: 0
    .sgpr_count:     18
    .sgpr_spill_count: 0
    .symbol:         _ZN2at6native29vectorized_elementwise_kernelILi16EZZZNS0_17rsqrt_kernel_cudaERNS_18TensorIteratorBaseEENKUlvE0_clEvENKUlvE2_clEvEUlN3c104HalfEE_St5arrayIPcLm2EEEEviT0_T1_.kd
    .uniform_work_group_size: 1
    .uses_dynamic_stack: false
    .vgpr_count:     50
    .vgpr_spill_count: 0
    .wavefront_size: 32
    .workgroup_processor_mode: 1
  - .args:
      - .offset:         0
        .size:           4
        .value_kind:     by_value
      - .offset:         4
        .size:           1
        .value_kind:     by_value
      - .offset:         8
        .size:           16
        .value_kind:     by_value
    .group_segment_fixed_size: 0
    .kernarg_segment_align: 8
    .kernarg_segment_size: 24
    .language:       OpenCL C
    .language_version:
      - 2
      - 0
    .max_flat_workgroup_size: 256
    .name:           _ZN2at6native29vectorized_elementwise_kernelILi8EZZZNS0_17rsqrt_kernel_cudaERNS_18TensorIteratorBaseEENKUlvE0_clEvENKUlvE2_clEvEUlN3c104HalfEE_St5arrayIPcLm2EEEEviT0_T1_
    .private_segment_fixed_size: 0
    .sgpr_count:     18
    .sgpr_spill_count: 0
    .symbol:         _ZN2at6native29vectorized_elementwise_kernelILi8EZZZNS0_17rsqrt_kernel_cudaERNS_18TensorIteratorBaseEENKUlvE0_clEvENKUlvE2_clEvEUlN3c104HalfEE_St5arrayIPcLm2EEEEviT0_T1_.kd
    .uniform_work_group_size: 1
    .uses_dynamic_stack: false
    .vgpr_count:     50
    .vgpr_spill_count: 0
    .wavefront_size: 32
    .workgroup_processor_mode: 1
  - .args:
      - .offset:         0
        .size:           4
        .value_kind:     by_value
      - .offset:         4
        .size:           1
        .value_kind:     by_value
      - .offset:         8
        .size:           16
        .value_kind:     by_value
    .group_segment_fixed_size: 0
    .kernarg_segment_align: 8
    .kernarg_segment_size: 24
    .language:       OpenCL C
    .language_version:
      - 2
      - 0
    .max_flat_workgroup_size: 256
    .name:           _ZN2at6native29vectorized_elementwise_kernelILi4EZZZNS0_17rsqrt_kernel_cudaERNS_18TensorIteratorBaseEENKUlvE0_clEvENKUlvE2_clEvEUlN3c104HalfEE_St5arrayIPcLm2EEEEviT0_T1_
    .private_segment_fixed_size: 0
    .sgpr_count:     18
    .sgpr_spill_count: 0
    .symbol:         _ZN2at6native29vectorized_elementwise_kernelILi4EZZZNS0_17rsqrt_kernel_cudaERNS_18TensorIteratorBaseEENKUlvE0_clEvENKUlvE2_clEvEUlN3c104HalfEE_St5arrayIPcLm2EEEEviT0_T1_.kd
    .uniform_work_group_size: 1
    .uses_dynamic_stack: false
    .vgpr_count:     50
    .vgpr_spill_count: 0
    .wavefront_size: 32
    .workgroup_processor_mode: 1
  - .args:
      - .offset:         0
        .size:           4
        .value_kind:     by_value
      - .offset:         4
        .size:           1
        .value_kind:     by_value
      - .offset:         8
        .size:           16
        .value_kind:     by_value
    .group_segment_fixed_size: 0
    .kernarg_segment_align: 8
    .kernarg_segment_size: 24
    .language:       OpenCL C
    .language_version:
      - 2
      - 0
    .max_flat_workgroup_size: 256
    .name:           _ZN2at6native29vectorized_elementwise_kernelILi2EZZZNS0_17rsqrt_kernel_cudaERNS_18TensorIteratorBaseEENKUlvE0_clEvENKUlvE2_clEvEUlN3c104HalfEE_St5arrayIPcLm2EEEEviT0_T1_
    .private_segment_fixed_size: 0
    .sgpr_count:     18
    .sgpr_spill_count: 0
    .symbol:         _ZN2at6native29vectorized_elementwise_kernelILi2EZZZNS0_17rsqrt_kernel_cudaERNS_18TensorIteratorBaseEENKUlvE0_clEvENKUlvE2_clEvEUlN3c104HalfEE_St5arrayIPcLm2EEEEviT0_T1_.kd
    .uniform_work_group_size: 1
    .uses_dynamic_stack: false
    .vgpr_count:     50
    .vgpr_spill_count: 0
    .wavefront_size: 32
    .workgroup_processor_mode: 1
  - .args:
      - .offset:         0
        .size:           4
        .value_kind:     by_value
      - .offset:         4
        .size:           1
        .value_kind:     by_value
      - .offset:         8
        .size:           16
        .value_kind:     by_value
      - .offset:         24
        .size:           1
        .value_kind:     by_value
      - .offset:         25
        .size:           1
        .value_kind:     by_value
      - .offset:         26
        .size:           1
        .value_kind:     by_value
      - .offset:         27
        .size:           1
        .value_kind:     by_value
    .group_segment_fixed_size: 0
    .kernarg_segment_align: 8
    .kernarg_segment_size: 28
    .language:       OpenCL C
    .language_version:
      - 2
      - 0
    .max_flat_workgroup_size: 256
    .name:           _ZN2at6native27unrolled_elementwise_kernelIZZZNS0_17rsqrt_kernel_cudaERNS_18TensorIteratorBaseEENKUlvE0_clEvENKUlvE2_clEvEUlN3c104HalfEE_St5arrayIPcLm2EELi4E23TrivialOffsetCalculatorILi1EjESD_NS0_6memory15LoadWithoutCastENSE_16StoreWithoutCastEEEviT_T0_T2_T3_T4_T5_
    .private_segment_fixed_size: 0
    .sgpr_count:     18
    .sgpr_spill_count: 0
    .symbol:         _ZN2at6native27unrolled_elementwise_kernelIZZZNS0_17rsqrt_kernel_cudaERNS_18TensorIteratorBaseEENKUlvE0_clEvENKUlvE2_clEvEUlN3c104HalfEE_St5arrayIPcLm2EELi4E23TrivialOffsetCalculatorILi1EjESD_NS0_6memory15LoadWithoutCastENSE_16StoreWithoutCastEEEviT_T0_T2_T3_T4_T5_.kd
    .uniform_work_group_size: 1
    .uses_dynamic_stack: false
    .vgpr_count:     16
    .vgpr_spill_count: 0
    .wavefront_size: 32
    .workgroup_processor_mode: 1
  - .args:
      - .offset:         0
        .size:           4
        .value_kind:     by_value
      - .offset:         8
        .size:           352
        .value_kind:     by_value
    .group_segment_fixed_size: 0
    .kernarg_segment_align: 8
    .kernarg_segment_size: 360
    .language:       OpenCL C
    .language_version:
      - 2
      - 0
    .max_flat_workgroup_size: 128
    .name:           _ZN2at6native32elementwise_kernel_manual_unrollILi128ELi8EZNS0_22gpu_kernel_impl_nocastIZZZNS0_17rsqrt_kernel_cudaERNS_18TensorIteratorBaseEENKUlvE0_clEvENKUlvE2_clEvEUlN3c104HalfEE_EEvS4_RKT_EUlibE_EEviT1_
    .private_segment_fixed_size: 0
    .sgpr_count:     58
    .sgpr_spill_count: 0
    .symbol:         _ZN2at6native32elementwise_kernel_manual_unrollILi128ELi8EZNS0_22gpu_kernel_impl_nocastIZZZNS0_17rsqrt_kernel_cudaERNS_18TensorIteratorBaseEENKUlvE0_clEvENKUlvE2_clEvEUlN3c104HalfEE_EEvS4_RKT_EUlibE_EEviT1_.kd
    .uniform_work_group_size: 1
    .uses_dynamic_stack: false
    .vgpr_count:     63
    .vgpr_spill_count: 0
    .wavefront_size: 32
    .workgroup_processor_mode: 1
  - .args:
      - .offset:         0
        .size:           4
        .value_kind:     by_value
      - .offset:         8
        .size:           32
        .value_kind:     by_value
    .group_segment_fixed_size: 0
    .kernarg_segment_align: 8
    .kernarg_segment_size: 40
    .language:       OpenCL C
    .language_version:
      - 2
      - 0
    .max_flat_workgroup_size: 128
    .name:           _ZN2at6native32elementwise_kernel_manual_unrollILi128ELi4EZNS0_15gpu_kernel_implIZZZNS0_17rsqrt_kernel_cudaERNS_18TensorIteratorBaseEENKUlvE0_clEvENKUlvE2_clEvEUlN3c104HalfEE_EEvS4_RKT_EUlibE_EEviT1_
    .private_segment_fixed_size: 0
    .sgpr_count:     26
    .sgpr_spill_count: 0
    .symbol:         _ZN2at6native32elementwise_kernel_manual_unrollILi128ELi4EZNS0_15gpu_kernel_implIZZZNS0_17rsqrt_kernel_cudaERNS_18TensorIteratorBaseEENKUlvE0_clEvENKUlvE2_clEvEUlN3c104HalfEE_EEvS4_RKT_EUlibE_EEviT1_.kd
    .uniform_work_group_size: 1
    .uses_dynamic_stack: false
    .vgpr_count:     13
    .vgpr_spill_count: 0
    .wavefront_size: 32
    .workgroup_processor_mode: 1
  - .args:
      - .offset:         0
        .size:           4
        .value_kind:     by_value
      - .offset:         8
        .size:           352
        .value_kind:     by_value
    .group_segment_fixed_size: 0
    .kernarg_segment_align: 8
    .kernarg_segment_size: 360
    .language:       OpenCL C
    .language_version:
      - 2
      - 0
    .max_flat_workgroup_size: 128
    .name:           _ZN2at6native32elementwise_kernel_manual_unrollILi128ELi4EZNS0_15gpu_kernel_implIZZZNS0_17rsqrt_kernel_cudaERNS_18TensorIteratorBaseEENKUlvE0_clEvENKUlvE2_clEvEUlN3c104HalfEE_EEvS4_RKT_EUlibE0_EEviT1_
    .private_segment_fixed_size: 0
    .sgpr_count:     70
    .sgpr_spill_count: 0
    .symbol:         _ZN2at6native32elementwise_kernel_manual_unrollILi128ELi4EZNS0_15gpu_kernel_implIZZZNS0_17rsqrt_kernel_cudaERNS_18TensorIteratorBaseEENKUlvE0_clEvENKUlvE2_clEvEUlN3c104HalfEE_EEvS4_RKT_EUlibE0_EEviT1_.kd
    .uniform_work_group_size: 1
    .uses_dynamic_stack: false
    .vgpr_count:     18
    .vgpr_spill_count: 0
    .wavefront_size: 32
    .workgroup_processor_mode: 1
  - .args:
      - .offset:         0
        .size:           4
        .value_kind:     by_value
      - .offset:         4
        .size:           1
        .value_kind:     by_value
      - .offset:         8
        .size:           16
        .value_kind:     by_value
    .group_segment_fixed_size: 0
    .kernarg_segment_align: 8
    .kernarg_segment_size: 24
    .language:       OpenCL C
    .language_version:
      - 2
      - 0
    .max_flat_workgroup_size: 256
    .name:           _ZN2at6native29vectorized_elementwise_kernelILi16EZZZNS0_16sqrt_kernel_cudaERNS_18TensorIteratorBaseEENKUlvE_clEvENKUlvE_clEvEUlN3c107complexIdEEE_St5arrayIPcLm2EEEEviT0_T1_
    .private_segment_fixed_size: 0
    .sgpr_count:     19
    .sgpr_spill_count: 0
    .symbol:         _ZN2at6native29vectorized_elementwise_kernelILi16EZZZNS0_16sqrt_kernel_cudaERNS_18TensorIteratorBaseEENKUlvE_clEvENKUlvE_clEvEUlN3c107complexIdEEE_St5arrayIPcLm2EEEEviT0_T1_.kd
    .uniform_work_group_size: 1
    .uses_dynamic_stack: false
    .vgpr_count:     32
    .vgpr_spill_count: 0
    .wavefront_size: 32
    .workgroup_processor_mode: 1
  - .args:
      - .offset:         0
        .size:           4
        .value_kind:     by_value
      - .offset:         4
        .size:           1
        .value_kind:     by_value
      - .offset:         8
        .size:           16
        .value_kind:     by_value
    .group_segment_fixed_size: 0
    .kernarg_segment_align: 8
    .kernarg_segment_size: 24
    .language:       OpenCL C
    .language_version:
      - 2
      - 0
    .max_flat_workgroup_size: 256
    .name:           _ZN2at6native29vectorized_elementwise_kernelILi8EZZZNS0_16sqrt_kernel_cudaERNS_18TensorIteratorBaseEENKUlvE_clEvENKUlvE_clEvEUlN3c107complexIdEEE_St5arrayIPcLm2EEEEviT0_T1_
    .private_segment_fixed_size: 0
    .sgpr_count:     19
    .sgpr_spill_count: 0
    .symbol:         _ZN2at6native29vectorized_elementwise_kernelILi8EZZZNS0_16sqrt_kernel_cudaERNS_18TensorIteratorBaseEENKUlvE_clEvENKUlvE_clEvEUlN3c107complexIdEEE_St5arrayIPcLm2EEEEviT0_T1_.kd
    .uniform_work_group_size: 1
    .uses_dynamic_stack: false
    .vgpr_count:     32
    .vgpr_spill_count: 0
    .wavefront_size: 32
    .workgroup_processor_mode: 1
  - .args:
      - .offset:         0
        .size:           4
        .value_kind:     by_value
      - .offset:         4
        .size:           1
        .value_kind:     by_value
      - .offset:         8
        .size:           16
        .value_kind:     by_value
    .group_segment_fixed_size: 0
    .kernarg_segment_align: 8
    .kernarg_segment_size: 24
    .language:       OpenCL C
    .language_version:
      - 2
      - 0
    .max_flat_workgroup_size: 256
    .name:           _ZN2at6native29vectorized_elementwise_kernelILi4EZZZNS0_16sqrt_kernel_cudaERNS_18TensorIteratorBaseEENKUlvE_clEvENKUlvE_clEvEUlN3c107complexIdEEE_St5arrayIPcLm2EEEEviT0_T1_
    .private_segment_fixed_size: 0
    .sgpr_count:     19
    .sgpr_spill_count: 0
    .symbol:         _ZN2at6native29vectorized_elementwise_kernelILi4EZZZNS0_16sqrt_kernel_cudaERNS_18TensorIteratorBaseEENKUlvE_clEvENKUlvE_clEvEUlN3c107complexIdEEE_St5arrayIPcLm2EEEEviT0_T1_.kd
    .uniform_work_group_size: 1
    .uses_dynamic_stack: false
    .vgpr_count:     32
    .vgpr_spill_count: 0
    .wavefront_size: 32
    .workgroup_processor_mode: 1
  - .args:
      - .offset:         0
        .size:           4
        .value_kind:     by_value
      - .offset:         4
        .size:           1
        .value_kind:     by_value
      - .offset:         8
        .size:           16
        .value_kind:     by_value
    .group_segment_fixed_size: 0
    .kernarg_segment_align: 8
    .kernarg_segment_size: 24
    .language:       OpenCL C
    .language_version:
      - 2
      - 0
    .max_flat_workgroup_size: 256
    .name:           _ZN2at6native29vectorized_elementwise_kernelILi2EZZZNS0_16sqrt_kernel_cudaERNS_18TensorIteratorBaseEENKUlvE_clEvENKUlvE_clEvEUlN3c107complexIdEEE_St5arrayIPcLm2EEEEviT0_T1_
    .private_segment_fixed_size: 0
    .sgpr_count:     19
    .sgpr_spill_count: 0
    .symbol:         _ZN2at6native29vectorized_elementwise_kernelILi2EZZZNS0_16sqrt_kernel_cudaERNS_18TensorIteratorBaseEENKUlvE_clEvENKUlvE_clEvEUlN3c107complexIdEEE_St5arrayIPcLm2EEEEviT0_T1_.kd
    .uniform_work_group_size: 1
    .uses_dynamic_stack: false
    .vgpr_count:     32
    .vgpr_spill_count: 0
    .wavefront_size: 32
    .workgroup_processor_mode: 1
  - .args:
      - .offset:         0
        .size:           4
        .value_kind:     by_value
      - .offset:         4
        .size:           1
        .value_kind:     by_value
      - .offset:         8
        .size:           16
        .value_kind:     by_value
      - .offset:         24
        .size:           1
        .value_kind:     by_value
      - .offset:         25
        .size:           1
        .value_kind:     by_value
      - .offset:         26
        .size:           1
        .value_kind:     by_value
      - .offset:         27
        .size:           1
        .value_kind:     by_value
    .group_segment_fixed_size: 0
    .kernarg_segment_align: 8
    .kernarg_segment_size: 28
    .language:       OpenCL C
    .language_version:
      - 2
      - 0
    .max_flat_workgroup_size: 256
    .name:           _ZN2at6native27unrolled_elementwise_kernelIZZZNS0_16sqrt_kernel_cudaERNS_18TensorIteratorBaseEENKUlvE_clEvENKUlvE_clEvEUlN3c107complexIdEEE_St5arrayIPcLm2EELi4E23TrivialOffsetCalculatorILi1EjESE_NS0_6memory15LoadWithoutCastENSF_16StoreWithoutCastEEEviT_T0_T2_T3_T4_T5_
    .private_segment_fixed_size: 0
    .sgpr_count:     18
    .sgpr_spill_count: 0
    .symbol:         _ZN2at6native27unrolled_elementwise_kernelIZZZNS0_16sqrt_kernel_cudaERNS_18TensorIteratorBaseEENKUlvE_clEvENKUlvE_clEvEUlN3c107complexIdEEE_St5arrayIPcLm2EELi4E23TrivialOffsetCalculatorILi1EjESE_NS0_6memory15LoadWithoutCastENSF_16StoreWithoutCastEEEviT_T0_T2_T3_T4_T5_.kd
    .uniform_work_group_size: 1
    .uses_dynamic_stack: false
    .vgpr_count:     32
    .vgpr_spill_count: 0
    .wavefront_size: 32
    .workgroup_processor_mode: 1
  - .args:
      - .offset:         0
        .size:           4
        .value_kind:     by_value
      - .offset:         8
        .size:           352
        .value_kind:     by_value
    .group_segment_fixed_size: 0
    .kernarg_segment_align: 8
    .kernarg_segment_size: 360
    .language:       OpenCL C
    .language_version:
      - 2
      - 0
    .max_flat_workgroup_size: 128
    .name:           _ZN2at6native32elementwise_kernel_manual_unrollILi128ELi4EZNS0_22gpu_kernel_impl_nocastIZZZNS0_16sqrt_kernel_cudaERNS_18TensorIteratorBaseEENKUlvE_clEvENKUlvE_clEvEUlN3c107complexIdEEE_EEvS4_RKT_EUlibE_EEviT1_
    .private_segment_fixed_size: 0
    .sgpr_count:     58
    .sgpr_spill_count: 0
    .symbol:         _ZN2at6native32elementwise_kernel_manual_unrollILi128ELi4EZNS0_22gpu_kernel_impl_nocastIZZZNS0_16sqrt_kernel_cudaERNS_18TensorIteratorBaseEENKUlvE_clEvENKUlvE_clEvEUlN3c107complexIdEEE_EEvS4_RKT_EUlibE_EEviT1_.kd
    .uniform_work_group_size: 1
    .uses_dynamic_stack: false
    .vgpr_count:     30
    .vgpr_spill_count: 0
    .wavefront_size: 32
    .workgroup_processor_mode: 1
  - .args:
      - .offset:         0
        .size:           4
        .value_kind:     by_value
      - .offset:         8
        .size:           32
        .value_kind:     by_value
    .group_segment_fixed_size: 0
    .kernarg_segment_align: 8
    .kernarg_segment_size: 40
    .language:       OpenCL C
    .language_version:
      - 2
      - 0
    .max_flat_workgroup_size: 128
    .name:           _ZN2at6native32elementwise_kernel_manual_unrollILi128ELi4EZNS0_15gpu_kernel_implIZZZNS0_16sqrt_kernel_cudaERNS_18TensorIteratorBaseEENKUlvE_clEvENKUlvE_clEvEUlN3c107complexIdEEE_EEvS4_RKT_EUlibE_EEviT1_
    .private_segment_fixed_size: 0
    .sgpr_count:     29
    .sgpr_spill_count: 0
    .symbol:         _ZN2at6native32elementwise_kernel_manual_unrollILi128ELi4EZNS0_15gpu_kernel_implIZZZNS0_16sqrt_kernel_cudaERNS_18TensorIteratorBaseEENKUlvE_clEvENKUlvE_clEvEUlN3c107complexIdEEE_EEvS4_RKT_EUlibE_EEviT1_.kd
    .uniform_work_group_size: 1
    .uses_dynamic_stack: false
    .vgpr_count:     28
    .vgpr_spill_count: 0
    .wavefront_size: 32
    .workgroup_processor_mode: 1
  - .args:
      - .offset:         0
        .size:           4
        .value_kind:     by_value
      - .offset:         8
        .size:           352
        .value_kind:     by_value
    .group_segment_fixed_size: 0
    .kernarg_segment_align: 8
    .kernarg_segment_size: 360
    .language:       OpenCL C
    .language_version:
      - 2
      - 0
    .max_flat_workgroup_size: 128
    .name:           _ZN2at6native32elementwise_kernel_manual_unrollILi128ELi4EZNS0_15gpu_kernel_implIZZZNS0_16sqrt_kernel_cudaERNS_18TensorIteratorBaseEENKUlvE_clEvENKUlvE_clEvEUlN3c107complexIdEEE_EEvS4_RKT_EUlibE0_EEviT1_
    .private_segment_fixed_size: 0
    .sgpr_count:     70
    .sgpr_spill_count: 0
    .symbol:         _ZN2at6native32elementwise_kernel_manual_unrollILi128ELi4EZNS0_15gpu_kernel_implIZZZNS0_16sqrt_kernel_cudaERNS_18TensorIteratorBaseEENKUlvE_clEvENKUlvE_clEvEUlN3c107complexIdEEE_EEvS4_RKT_EUlibE0_EEviT1_.kd
    .uniform_work_group_size: 1
    .uses_dynamic_stack: false
    .vgpr_count:     30
    .vgpr_spill_count: 0
    .wavefront_size: 32
    .workgroup_processor_mode: 1
  - .args:
      - .offset:         0
        .size:           4
        .value_kind:     by_value
      - .offset:         4
        .size:           1
        .value_kind:     by_value
      - .offset:         8
        .size:           16
        .value_kind:     by_value
    .group_segment_fixed_size: 0
    .kernarg_segment_align: 8
    .kernarg_segment_size: 24
    .language:       OpenCL C
    .language_version:
      - 2
      - 0
    .max_flat_workgroup_size: 256
    .name:           _ZN2at6native29vectorized_elementwise_kernelILi16EZZZNS0_16sqrt_kernel_cudaERNS_18TensorIteratorBaseEENKUlvE_clEvENKUlvE0_clEvEUlN3c107complexIfEEE_St5arrayIPcLm2EEEEviT0_T1_
    .private_segment_fixed_size: 0
    .sgpr_count:     19
    .sgpr_spill_count: 0
    .symbol:         _ZN2at6native29vectorized_elementwise_kernelILi16EZZZNS0_16sqrt_kernel_cudaERNS_18TensorIteratorBaseEENKUlvE_clEvENKUlvE0_clEvEUlN3c107complexIfEEE_St5arrayIPcLm2EEEEviT0_T1_.kd
    .uniform_work_group_size: 1
    .uses_dynamic_stack: false
    .vgpr_count:     19
    .vgpr_spill_count: 0
    .wavefront_size: 32
    .workgroup_processor_mode: 1
  - .args:
      - .offset:         0
        .size:           4
        .value_kind:     by_value
      - .offset:         4
        .size:           1
        .value_kind:     by_value
      - .offset:         8
        .size:           16
        .value_kind:     by_value
    .group_segment_fixed_size: 0
    .kernarg_segment_align: 8
    .kernarg_segment_size: 24
    .language:       OpenCL C
    .language_version:
      - 2
      - 0
    .max_flat_workgroup_size: 256
    .name:           _ZN2at6native29vectorized_elementwise_kernelILi8EZZZNS0_16sqrt_kernel_cudaERNS_18TensorIteratorBaseEENKUlvE_clEvENKUlvE0_clEvEUlN3c107complexIfEEE_St5arrayIPcLm2EEEEviT0_T1_
    .private_segment_fixed_size: 0
    .sgpr_count:     19
    .sgpr_spill_count: 0
    .symbol:         _ZN2at6native29vectorized_elementwise_kernelILi8EZZZNS0_16sqrt_kernel_cudaERNS_18TensorIteratorBaseEENKUlvE_clEvENKUlvE0_clEvEUlN3c107complexIfEEE_St5arrayIPcLm2EEEEviT0_T1_.kd
    .uniform_work_group_size: 1
    .uses_dynamic_stack: false
    .vgpr_count:     19
    .vgpr_spill_count: 0
    .wavefront_size: 32
    .workgroup_processor_mode: 1
  - .args:
      - .offset:         0
        .size:           4
        .value_kind:     by_value
      - .offset:         4
        .size:           1
        .value_kind:     by_value
      - .offset:         8
        .size:           16
        .value_kind:     by_value
    .group_segment_fixed_size: 0
    .kernarg_segment_align: 8
    .kernarg_segment_size: 24
    .language:       OpenCL C
    .language_version:
      - 2
      - 0
    .max_flat_workgroup_size: 256
    .name:           _ZN2at6native29vectorized_elementwise_kernelILi4EZZZNS0_16sqrt_kernel_cudaERNS_18TensorIteratorBaseEENKUlvE_clEvENKUlvE0_clEvEUlN3c107complexIfEEE_St5arrayIPcLm2EEEEviT0_T1_
    .private_segment_fixed_size: 0
    .sgpr_count:     19
    .sgpr_spill_count: 0
    .symbol:         _ZN2at6native29vectorized_elementwise_kernelILi4EZZZNS0_16sqrt_kernel_cudaERNS_18TensorIteratorBaseEENKUlvE_clEvENKUlvE0_clEvEUlN3c107complexIfEEE_St5arrayIPcLm2EEEEviT0_T1_.kd
    .uniform_work_group_size: 1
    .uses_dynamic_stack: false
    .vgpr_count:     19
    .vgpr_spill_count: 0
    .wavefront_size: 32
    .workgroup_processor_mode: 1
  - .args:
      - .offset:         0
        .size:           4
        .value_kind:     by_value
      - .offset:         4
        .size:           1
        .value_kind:     by_value
      - .offset:         8
        .size:           16
        .value_kind:     by_value
    .group_segment_fixed_size: 0
    .kernarg_segment_align: 8
    .kernarg_segment_size: 24
    .language:       OpenCL C
    .language_version:
      - 2
      - 0
    .max_flat_workgroup_size: 256
    .name:           _ZN2at6native29vectorized_elementwise_kernelILi2EZZZNS0_16sqrt_kernel_cudaERNS_18TensorIteratorBaseEENKUlvE_clEvENKUlvE0_clEvEUlN3c107complexIfEEE_St5arrayIPcLm2EEEEviT0_T1_
    .private_segment_fixed_size: 0
    .sgpr_count:     19
    .sgpr_spill_count: 0
    .symbol:         _ZN2at6native29vectorized_elementwise_kernelILi2EZZZNS0_16sqrt_kernel_cudaERNS_18TensorIteratorBaseEENKUlvE_clEvENKUlvE0_clEvEUlN3c107complexIfEEE_St5arrayIPcLm2EEEEviT0_T1_.kd
    .uniform_work_group_size: 1
    .uses_dynamic_stack: false
    .vgpr_count:     19
    .vgpr_spill_count: 0
    .wavefront_size: 32
    .workgroup_processor_mode: 1
  - .args:
      - .offset:         0
        .size:           4
        .value_kind:     by_value
      - .offset:         4
        .size:           1
        .value_kind:     by_value
      - .offset:         8
        .size:           16
        .value_kind:     by_value
      - .offset:         24
        .size:           1
        .value_kind:     by_value
      - .offset:         25
        .size:           1
        .value_kind:     by_value
      - .offset:         26
        .size:           1
        .value_kind:     by_value
      - .offset:         27
        .size:           1
        .value_kind:     by_value
    .group_segment_fixed_size: 0
    .kernarg_segment_align: 8
    .kernarg_segment_size: 28
    .language:       OpenCL C
    .language_version:
      - 2
      - 0
    .max_flat_workgroup_size: 256
    .name:           _ZN2at6native27unrolled_elementwise_kernelIZZZNS0_16sqrt_kernel_cudaERNS_18TensorIteratorBaseEENKUlvE_clEvENKUlvE0_clEvEUlN3c107complexIfEEE_St5arrayIPcLm2EELi4E23TrivialOffsetCalculatorILi1EjESE_NS0_6memory15LoadWithoutCastENSF_16StoreWithoutCastEEEviT_T0_T2_T3_T4_T5_
    .private_segment_fixed_size: 0
    .sgpr_count:     18
    .sgpr_spill_count: 0
    .symbol:         _ZN2at6native27unrolled_elementwise_kernelIZZZNS0_16sqrt_kernel_cudaERNS_18TensorIteratorBaseEENKUlvE_clEvENKUlvE0_clEvEUlN3c107complexIfEEE_St5arrayIPcLm2EELi4E23TrivialOffsetCalculatorILi1EjESE_NS0_6memory15LoadWithoutCastENSF_16StoreWithoutCastEEEviT_T0_T2_T3_T4_T5_.kd
    .uniform_work_group_size: 1
    .uses_dynamic_stack: false
    .vgpr_count:     18
    .vgpr_spill_count: 0
    .wavefront_size: 32
    .workgroup_processor_mode: 1
  - .args:
      - .offset:         0
        .size:           4
        .value_kind:     by_value
      - .offset:         8
        .size:           352
        .value_kind:     by_value
    .group_segment_fixed_size: 0
    .kernarg_segment_align: 8
    .kernarg_segment_size: 360
    .language:       OpenCL C
    .language_version:
      - 2
      - 0
    .max_flat_workgroup_size: 128
    .name:           _ZN2at6native32elementwise_kernel_manual_unrollILi128ELi4EZNS0_22gpu_kernel_impl_nocastIZZZNS0_16sqrt_kernel_cudaERNS_18TensorIteratorBaseEENKUlvE_clEvENKUlvE0_clEvEUlN3c107complexIfEEE_EEvS4_RKT_EUlibE_EEviT1_
    .private_segment_fixed_size: 0
    .sgpr_count:     58
    .sgpr_spill_count: 0
    .symbol:         _ZN2at6native32elementwise_kernel_manual_unrollILi128ELi4EZNS0_22gpu_kernel_impl_nocastIZZZNS0_16sqrt_kernel_cudaERNS_18TensorIteratorBaseEENKUlvE_clEvENKUlvE0_clEvEUlN3c107complexIfEEE_EEvS4_RKT_EUlibE_EEviT1_.kd
    .uniform_work_group_size: 1
    .uses_dynamic_stack: false
    .vgpr_count:     18
    .vgpr_spill_count: 0
    .wavefront_size: 32
    .workgroup_processor_mode: 1
  - .args:
      - .offset:         0
        .size:           4
        .value_kind:     by_value
      - .offset:         8
        .size:           32
        .value_kind:     by_value
    .group_segment_fixed_size: 0
    .kernarg_segment_align: 8
    .kernarg_segment_size: 40
    .language:       OpenCL C
    .language_version:
      - 2
      - 0
    .max_flat_workgroup_size: 128
    .name:           _ZN2at6native32elementwise_kernel_manual_unrollILi128ELi4EZNS0_15gpu_kernel_implIZZZNS0_16sqrt_kernel_cudaERNS_18TensorIteratorBaseEENKUlvE_clEvENKUlvE0_clEvEUlN3c107complexIfEEE_EEvS4_RKT_EUlibE_EEviT1_
    .private_segment_fixed_size: 0
    .sgpr_count:     28
    .sgpr_spill_count: 0
    .symbol:         _ZN2at6native32elementwise_kernel_manual_unrollILi128ELi4EZNS0_15gpu_kernel_implIZZZNS0_16sqrt_kernel_cudaERNS_18TensorIteratorBaseEENKUlvE_clEvENKUlvE0_clEvEUlN3c107complexIfEEE_EEvS4_RKT_EUlibE_EEviT1_.kd
    .uniform_work_group_size: 1
    .uses_dynamic_stack: false
    .vgpr_count:     18
    .vgpr_spill_count: 0
    .wavefront_size: 32
    .workgroup_processor_mode: 1
  - .args:
      - .offset:         0
        .size:           4
        .value_kind:     by_value
      - .offset:         8
        .size:           352
        .value_kind:     by_value
    .group_segment_fixed_size: 0
    .kernarg_segment_align: 8
    .kernarg_segment_size: 360
    .language:       OpenCL C
    .language_version:
      - 2
      - 0
    .max_flat_workgroup_size: 128
    .name:           _ZN2at6native32elementwise_kernel_manual_unrollILi128ELi4EZNS0_15gpu_kernel_implIZZZNS0_16sqrt_kernel_cudaERNS_18TensorIteratorBaseEENKUlvE_clEvENKUlvE0_clEvEUlN3c107complexIfEEE_EEvS4_RKT_EUlibE0_EEviT1_
    .private_segment_fixed_size: 0
    .sgpr_count:     70
    .sgpr_spill_count: 0
    .symbol:         _ZN2at6native32elementwise_kernel_manual_unrollILi128ELi4EZNS0_15gpu_kernel_implIZZZNS0_16sqrt_kernel_cudaERNS_18TensorIteratorBaseEENKUlvE_clEvENKUlvE0_clEvEUlN3c107complexIfEEE_EEvS4_RKT_EUlibE0_EEviT1_.kd
    .uniform_work_group_size: 1
    .uses_dynamic_stack: false
    .vgpr_count:     20
    .vgpr_spill_count: 0
    .wavefront_size: 32
    .workgroup_processor_mode: 1
  - .args:
      - .offset:         0
        .size:           4
        .value_kind:     by_value
      - .offset:         4
        .size:           1
        .value_kind:     by_value
      - .offset:         8
        .size:           16
        .value_kind:     by_value
    .group_segment_fixed_size: 0
    .kernarg_segment_align: 8
    .kernarg_segment_size: 24
    .language:       OpenCL C
    .language_version:
      - 2
      - 0
    .max_flat_workgroup_size: 256
    .name:           _ZN2at6native29vectorized_elementwise_kernelILi16EZZZNS0_16sqrt_kernel_cudaERNS_18TensorIteratorBaseEENKUlvE_clEvENKUlvE1_clEvEUlN3c107complexINS6_4HalfEEEE_St5arrayIPcLm2EEEEviT0_T1_
    .private_segment_fixed_size: 0
    .sgpr_count:     19
    .sgpr_spill_count: 0
    .symbol:         _ZN2at6native29vectorized_elementwise_kernelILi16EZZZNS0_16sqrt_kernel_cudaERNS_18TensorIteratorBaseEENKUlvE_clEvENKUlvE1_clEvEUlN3c107complexINS6_4HalfEEEE_St5arrayIPcLm2EEEEviT0_T1_.kd
    .uniform_work_group_size: 1
    .uses_dynamic_stack: false
    .vgpr_count:     17
    .vgpr_spill_count: 0
    .wavefront_size: 32
    .workgroup_processor_mode: 1
  - .args:
      - .offset:         0
        .size:           4
        .value_kind:     by_value
      - .offset:         4
        .size:           1
        .value_kind:     by_value
      - .offset:         8
        .size:           16
        .value_kind:     by_value
    .group_segment_fixed_size: 0
    .kernarg_segment_align: 8
    .kernarg_segment_size: 24
    .language:       OpenCL C
    .language_version:
      - 2
      - 0
    .max_flat_workgroup_size: 256
    .name:           _ZN2at6native29vectorized_elementwise_kernelILi8EZZZNS0_16sqrt_kernel_cudaERNS_18TensorIteratorBaseEENKUlvE_clEvENKUlvE1_clEvEUlN3c107complexINS6_4HalfEEEE_St5arrayIPcLm2EEEEviT0_T1_
    .private_segment_fixed_size: 0
    .sgpr_count:     19
    .sgpr_spill_count: 0
    .symbol:         _ZN2at6native29vectorized_elementwise_kernelILi8EZZZNS0_16sqrt_kernel_cudaERNS_18TensorIteratorBaseEENKUlvE_clEvENKUlvE1_clEvEUlN3c107complexINS6_4HalfEEEE_St5arrayIPcLm2EEEEviT0_T1_.kd
    .uniform_work_group_size: 1
    .uses_dynamic_stack: false
    .vgpr_count:     17
    .vgpr_spill_count: 0
    .wavefront_size: 32
    .workgroup_processor_mode: 1
  - .args:
      - .offset:         0
        .size:           4
        .value_kind:     by_value
      - .offset:         4
        .size:           1
        .value_kind:     by_value
      - .offset:         8
        .size:           16
        .value_kind:     by_value
    .group_segment_fixed_size: 0
    .kernarg_segment_align: 8
    .kernarg_segment_size: 24
    .language:       OpenCL C
    .language_version:
      - 2
      - 0
    .max_flat_workgroup_size: 256
    .name:           _ZN2at6native29vectorized_elementwise_kernelILi4EZZZNS0_16sqrt_kernel_cudaERNS_18TensorIteratorBaseEENKUlvE_clEvENKUlvE1_clEvEUlN3c107complexINS6_4HalfEEEE_St5arrayIPcLm2EEEEviT0_T1_
    .private_segment_fixed_size: 0
    .sgpr_count:     19
    .sgpr_spill_count: 0
    .symbol:         _ZN2at6native29vectorized_elementwise_kernelILi4EZZZNS0_16sqrt_kernel_cudaERNS_18TensorIteratorBaseEENKUlvE_clEvENKUlvE1_clEvEUlN3c107complexINS6_4HalfEEEE_St5arrayIPcLm2EEEEviT0_T1_.kd
    .uniform_work_group_size: 1
    .uses_dynamic_stack: false
    .vgpr_count:     17
    .vgpr_spill_count: 0
    .wavefront_size: 32
    .workgroup_processor_mode: 1
  - .args:
      - .offset:         0
        .size:           4
        .value_kind:     by_value
      - .offset:         4
        .size:           1
        .value_kind:     by_value
      - .offset:         8
        .size:           16
        .value_kind:     by_value
    .group_segment_fixed_size: 0
    .kernarg_segment_align: 8
    .kernarg_segment_size: 24
    .language:       OpenCL C
    .language_version:
      - 2
      - 0
    .max_flat_workgroup_size: 256
    .name:           _ZN2at6native29vectorized_elementwise_kernelILi2EZZZNS0_16sqrt_kernel_cudaERNS_18TensorIteratorBaseEENKUlvE_clEvENKUlvE1_clEvEUlN3c107complexINS6_4HalfEEEE_St5arrayIPcLm2EEEEviT0_T1_
    .private_segment_fixed_size: 0
    .sgpr_count:     19
    .sgpr_spill_count: 0
    .symbol:         _ZN2at6native29vectorized_elementwise_kernelILi2EZZZNS0_16sqrt_kernel_cudaERNS_18TensorIteratorBaseEENKUlvE_clEvENKUlvE1_clEvEUlN3c107complexINS6_4HalfEEEE_St5arrayIPcLm2EEEEviT0_T1_.kd
    .uniform_work_group_size: 1
    .uses_dynamic_stack: false
    .vgpr_count:     17
    .vgpr_spill_count: 0
    .wavefront_size: 32
    .workgroup_processor_mode: 1
  - .args:
      - .offset:         0
        .size:           4
        .value_kind:     by_value
      - .offset:         4
        .size:           1
        .value_kind:     by_value
      - .offset:         8
        .size:           16
        .value_kind:     by_value
      - .offset:         24
        .size:           1
        .value_kind:     by_value
      - .offset:         25
        .size:           1
        .value_kind:     by_value
      - .offset:         26
        .size:           1
        .value_kind:     by_value
      - .offset:         27
        .size:           1
        .value_kind:     by_value
    .group_segment_fixed_size: 0
    .kernarg_segment_align: 8
    .kernarg_segment_size: 28
    .language:       OpenCL C
    .language_version:
      - 2
      - 0
    .max_flat_workgroup_size: 256
    .name:           _ZN2at6native27unrolled_elementwise_kernelIZZZNS0_16sqrt_kernel_cudaERNS_18TensorIteratorBaseEENKUlvE_clEvENKUlvE1_clEvEUlN3c107complexINS6_4HalfEEEE_St5arrayIPcLm2EELi4E23TrivialOffsetCalculatorILi1EjESF_NS0_6memory15LoadWithoutCastENSG_16StoreWithoutCastEEEviT_T0_T2_T3_T4_T5_
    .private_segment_fixed_size: 0
    .sgpr_count:     18
    .sgpr_spill_count: 0
    .symbol:         _ZN2at6native27unrolled_elementwise_kernelIZZZNS0_16sqrt_kernel_cudaERNS_18TensorIteratorBaseEENKUlvE_clEvENKUlvE1_clEvEUlN3c107complexINS6_4HalfEEEE_St5arrayIPcLm2EELi4E23TrivialOffsetCalculatorILi1EjESF_NS0_6memory15LoadWithoutCastENSG_16StoreWithoutCastEEEviT_T0_T2_T3_T4_T5_.kd
    .uniform_work_group_size: 1
    .uses_dynamic_stack: false
    .vgpr_count:     14
    .vgpr_spill_count: 0
    .wavefront_size: 32
    .workgroup_processor_mode: 1
  - .args:
      - .offset:         0
        .size:           4
        .value_kind:     by_value
      - .offset:         8
        .size:           352
        .value_kind:     by_value
    .group_segment_fixed_size: 0
    .kernarg_segment_align: 8
    .kernarg_segment_size: 360
    .language:       OpenCL C
    .language_version:
      - 2
      - 0
    .max_flat_workgroup_size: 128
    .name:           _ZN2at6native32elementwise_kernel_manual_unrollILi128ELi4EZNS0_22gpu_kernel_impl_nocastIZZZNS0_16sqrt_kernel_cudaERNS_18TensorIteratorBaseEENKUlvE_clEvENKUlvE1_clEvEUlN3c107complexINS7_4HalfEEEE_EEvS4_RKT_EUlibE_EEviT1_
    .private_segment_fixed_size: 0
    .sgpr_count:     58
    .sgpr_spill_count: 0
    .symbol:         _ZN2at6native32elementwise_kernel_manual_unrollILi128ELi4EZNS0_22gpu_kernel_impl_nocastIZZZNS0_16sqrt_kernel_cudaERNS_18TensorIteratorBaseEENKUlvE_clEvENKUlvE1_clEvEUlN3c107complexINS7_4HalfEEEE_EEvS4_RKT_EUlibE_EEviT1_.kd
    .uniform_work_group_size: 1
    .uses_dynamic_stack: false
    .vgpr_count:     18
    .vgpr_spill_count: 0
    .wavefront_size: 32
    .workgroup_processor_mode: 1
  - .args:
      - .offset:         0
        .size:           4
        .value_kind:     by_value
      - .offset:         8
        .size:           32
        .value_kind:     by_value
    .group_segment_fixed_size: 0
    .kernarg_segment_align: 8
    .kernarg_segment_size: 40
    .language:       OpenCL C
    .language_version:
      - 2
      - 0
    .max_flat_workgroup_size: 128
    .name:           _ZN2at6native32elementwise_kernel_manual_unrollILi128ELi4EZNS0_15gpu_kernel_implIZZZNS0_16sqrt_kernel_cudaERNS_18TensorIteratorBaseEENKUlvE_clEvENKUlvE1_clEvEUlN3c107complexINS7_4HalfEEEE_EEvS4_RKT_EUlibE_EEviT1_
    .private_segment_fixed_size: 0
    .sgpr_count:     28
    .sgpr_spill_count: 0
    .symbol:         _ZN2at6native32elementwise_kernel_manual_unrollILi128ELi4EZNS0_15gpu_kernel_implIZZZNS0_16sqrt_kernel_cudaERNS_18TensorIteratorBaseEENKUlvE_clEvENKUlvE1_clEvEUlN3c107complexINS7_4HalfEEEE_EEvS4_RKT_EUlibE_EEviT1_.kd
    .uniform_work_group_size: 1
    .uses_dynamic_stack: false
    .vgpr_count:     17
    .vgpr_spill_count: 0
    .wavefront_size: 32
    .workgroup_processor_mode: 1
  - .args:
      - .offset:         0
        .size:           4
        .value_kind:     by_value
      - .offset:         8
        .size:           352
        .value_kind:     by_value
    .group_segment_fixed_size: 0
    .kernarg_segment_align: 8
    .kernarg_segment_size: 360
    .language:       OpenCL C
    .language_version:
      - 2
      - 0
    .max_flat_workgroup_size: 128
    .name:           _ZN2at6native32elementwise_kernel_manual_unrollILi128ELi4EZNS0_15gpu_kernel_implIZZZNS0_16sqrt_kernel_cudaERNS_18TensorIteratorBaseEENKUlvE_clEvENKUlvE1_clEvEUlN3c107complexINS7_4HalfEEEE_EEvS4_RKT_EUlibE0_EEviT1_
    .private_segment_fixed_size: 0
    .sgpr_count:     70
    .sgpr_spill_count: 0
    .symbol:         _ZN2at6native32elementwise_kernel_manual_unrollILi128ELi4EZNS0_15gpu_kernel_implIZZZNS0_16sqrt_kernel_cudaERNS_18TensorIteratorBaseEENKUlvE_clEvENKUlvE1_clEvEUlN3c107complexINS7_4HalfEEEE_EEvS4_RKT_EUlibE0_EEviT1_.kd
    .uniform_work_group_size: 1
    .uses_dynamic_stack: false
    .vgpr_count:     19
    .vgpr_spill_count: 0
    .wavefront_size: 32
    .workgroup_processor_mode: 1
  - .args:
      - .offset:         0
        .size:           4
        .value_kind:     by_value
      - .offset:         4
        .size:           1
        .value_kind:     by_value
      - .offset:         8
        .size:           16
        .value_kind:     by_value
    .group_segment_fixed_size: 0
    .kernarg_segment_align: 8
    .kernarg_segment_size: 24
    .language:       OpenCL C
    .language_version:
      - 2
      - 0
    .max_flat_workgroup_size: 256
    .name:           _ZN2at6native29vectorized_elementwise_kernelILi16EZZZNS0_16sqrt_kernel_cudaERNS_18TensorIteratorBaseEENKUlvE0_clEvENKUlvE_clEvEUldE_St5arrayIPcLm2EEEEviT0_T1_
    .private_segment_fixed_size: 0
    .sgpr_count:     18
    .sgpr_spill_count: 0
    .symbol:         _ZN2at6native29vectorized_elementwise_kernelILi16EZZZNS0_16sqrt_kernel_cudaERNS_18TensorIteratorBaseEENKUlvE0_clEvENKUlvE_clEvEUldE_St5arrayIPcLm2EEEEviT0_T1_.kd
    .uniform_work_group_size: 1
    .uses_dynamic_stack: false
    .vgpr_count:     36
    .vgpr_spill_count: 0
    .wavefront_size: 32
    .workgroup_processor_mode: 1
  - .args:
      - .offset:         0
        .size:           4
        .value_kind:     by_value
      - .offset:         4
        .size:           1
        .value_kind:     by_value
      - .offset:         8
        .size:           16
        .value_kind:     by_value
    .group_segment_fixed_size: 0
    .kernarg_segment_align: 8
    .kernarg_segment_size: 24
    .language:       OpenCL C
    .language_version:
      - 2
      - 0
    .max_flat_workgroup_size: 256
    .name:           _ZN2at6native29vectorized_elementwise_kernelILi8EZZZNS0_16sqrt_kernel_cudaERNS_18TensorIteratorBaseEENKUlvE0_clEvENKUlvE_clEvEUldE_St5arrayIPcLm2EEEEviT0_T1_
    .private_segment_fixed_size: 0
    .sgpr_count:     18
    .sgpr_spill_count: 0
    .symbol:         _ZN2at6native29vectorized_elementwise_kernelILi8EZZZNS0_16sqrt_kernel_cudaERNS_18TensorIteratorBaseEENKUlvE0_clEvENKUlvE_clEvEUldE_St5arrayIPcLm2EEEEviT0_T1_.kd
    .uniform_work_group_size: 1
    .uses_dynamic_stack: false
    .vgpr_count:     36
    .vgpr_spill_count: 0
    .wavefront_size: 32
    .workgroup_processor_mode: 1
  - .args:
      - .offset:         0
        .size:           4
        .value_kind:     by_value
      - .offset:         4
        .size:           1
        .value_kind:     by_value
      - .offset:         8
        .size:           16
        .value_kind:     by_value
    .group_segment_fixed_size: 0
    .kernarg_segment_align: 8
    .kernarg_segment_size: 24
    .language:       OpenCL C
    .language_version:
      - 2
      - 0
    .max_flat_workgroup_size: 256
    .name:           _ZN2at6native29vectorized_elementwise_kernelILi4EZZZNS0_16sqrt_kernel_cudaERNS_18TensorIteratorBaseEENKUlvE0_clEvENKUlvE_clEvEUldE_St5arrayIPcLm2EEEEviT0_T1_
    .private_segment_fixed_size: 0
    .sgpr_count:     18
    .sgpr_spill_count: 0
    .symbol:         _ZN2at6native29vectorized_elementwise_kernelILi4EZZZNS0_16sqrt_kernel_cudaERNS_18TensorIteratorBaseEENKUlvE0_clEvENKUlvE_clEvEUldE_St5arrayIPcLm2EEEEviT0_T1_.kd
    .uniform_work_group_size: 1
    .uses_dynamic_stack: false
    .vgpr_count:     36
    .vgpr_spill_count: 0
    .wavefront_size: 32
    .workgroup_processor_mode: 1
  - .args:
      - .offset:         0
        .size:           4
        .value_kind:     by_value
      - .offset:         4
        .size:           1
        .value_kind:     by_value
      - .offset:         8
        .size:           16
        .value_kind:     by_value
    .group_segment_fixed_size: 0
    .kernarg_segment_align: 8
    .kernarg_segment_size: 24
    .language:       OpenCL C
    .language_version:
      - 2
      - 0
    .max_flat_workgroup_size: 256
    .name:           _ZN2at6native29vectorized_elementwise_kernelILi2EZZZNS0_16sqrt_kernel_cudaERNS_18TensorIteratorBaseEENKUlvE0_clEvENKUlvE_clEvEUldE_St5arrayIPcLm2EEEEviT0_T1_
    .private_segment_fixed_size: 0
    .sgpr_count:     18
    .sgpr_spill_count: 0
    .symbol:         _ZN2at6native29vectorized_elementwise_kernelILi2EZZZNS0_16sqrt_kernel_cudaERNS_18TensorIteratorBaseEENKUlvE0_clEvENKUlvE_clEvEUldE_St5arrayIPcLm2EEEEviT0_T1_.kd
    .uniform_work_group_size: 1
    .uses_dynamic_stack: false
    .vgpr_count:     36
    .vgpr_spill_count: 0
    .wavefront_size: 32
    .workgroup_processor_mode: 1
  - .args:
      - .offset:         0
        .size:           4
        .value_kind:     by_value
      - .offset:         4
        .size:           1
        .value_kind:     by_value
      - .offset:         8
        .size:           16
        .value_kind:     by_value
      - .offset:         24
        .size:           1
        .value_kind:     by_value
      - .offset:         25
        .size:           1
        .value_kind:     by_value
      - .offset:         26
        .size:           1
        .value_kind:     by_value
      - .offset:         27
        .size:           1
        .value_kind:     by_value
    .group_segment_fixed_size: 0
    .kernarg_segment_align: 8
    .kernarg_segment_size: 28
    .language:       OpenCL C
    .language_version:
      - 2
      - 0
    .max_flat_workgroup_size: 256
    .name:           _ZN2at6native27unrolled_elementwise_kernelIZZZNS0_16sqrt_kernel_cudaERNS_18TensorIteratorBaseEENKUlvE0_clEvENKUlvE_clEvEUldE_St5arrayIPcLm2EELi4E23TrivialOffsetCalculatorILi1EjESB_NS0_6memory15LoadWithoutCastENSC_16StoreWithoutCastEEEviT_T0_T2_T3_T4_T5_
    .private_segment_fixed_size: 0
    .sgpr_count:     18
    .sgpr_spill_count: 0
    .symbol:         _ZN2at6native27unrolled_elementwise_kernelIZZZNS0_16sqrt_kernel_cudaERNS_18TensorIteratorBaseEENKUlvE0_clEvENKUlvE_clEvEUldE_St5arrayIPcLm2EELi4E23TrivialOffsetCalculatorILi1EjESB_NS0_6memory15LoadWithoutCastENSC_16StoreWithoutCastEEEviT_T0_T2_T3_T4_T5_.kd
    .uniform_work_group_size: 1
    .uses_dynamic_stack: false
    .vgpr_count:     36
    .vgpr_spill_count: 0
    .wavefront_size: 32
    .workgroup_processor_mode: 1
  - .args:
      - .offset:         0
        .size:           4
        .value_kind:     by_value
      - .offset:         8
        .size:           352
        .value_kind:     by_value
    .group_segment_fixed_size: 0
    .kernarg_segment_align: 8
    .kernarg_segment_size: 360
    .language:       OpenCL C
    .language_version:
      - 2
      - 0
    .max_flat_workgroup_size: 128
    .name:           _ZN2at6native32elementwise_kernel_manual_unrollILi128ELi4EZNS0_22gpu_kernel_impl_nocastIZZZNS0_16sqrt_kernel_cudaERNS_18TensorIteratorBaseEENKUlvE0_clEvENKUlvE_clEvEUldE_EEvS4_RKT_EUlibE_EEviT1_
    .private_segment_fixed_size: 0
    .sgpr_count:     58
    .sgpr_spill_count: 0
    .symbol:         _ZN2at6native32elementwise_kernel_manual_unrollILi128ELi4EZNS0_22gpu_kernel_impl_nocastIZZZNS0_16sqrt_kernel_cudaERNS_18TensorIteratorBaseEENKUlvE0_clEvENKUlvE_clEvEUldE_EEvS4_RKT_EUlibE_EEviT1_.kd
    .uniform_work_group_size: 1
    .uses_dynamic_stack: false
    .vgpr_count:     39
    .vgpr_spill_count: 0
    .wavefront_size: 32
    .workgroup_processor_mode: 1
  - .args:
      - .offset:         0
        .size:           4
        .value_kind:     by_value
      - .offset:         8
        .size:           32
        .value_kind:     by_value
    .group_segment_fixed_size: 0
    .kernarg_segment_align: 8
    .kernarg_segment_size: 40
    .language:       OpenCL C
    .language_version:
      - 2
      - 0
    .max_flat_workgroup_size: 128
    .name:           _ZN2at6native32elementwise_kernel_manual_unrollILi128ELi4EZNS0_15gpu_kernel_implIZZZNS0_16sqrt_kernel_cudaERNS_18TensorIteratorBaseEENKUlvE0_clEvENKUlvE_clEvEUldE_EEvS4_RKT_EUlibE_EEviT1_
    .private_segment_fixed_size: 0
    .sgpr_count:     27
    .sgpr_spill_count: 0
    .symbol:         _ZN2at6native32elementwise_kernel_manual_unrollILi128ELi4EZNS0_15gpu_kernel_implIZZZNS0_16sqrt_kernel_cudaERNS_18TensorIteratorBaseEENKUlvE0_clEvENKUlvE_clEvEUldE_EEvS4_RKT_EUlibE_EEviT1_.kd
    .uniform_work_group_size: 1
    .uses_dynamic_stack: false
    .vgpr_count:     16
    .vgpr_spill_count: 0
    .wavefront_size: 32
    .workgroup_processor_mode: 1
  - .args:
      - .offset:         0
        .size:           4
        .value_kind:     by_value
      - .offset:         8
        .size:           352
        .value_kind:     by_value
    .group_segment_fixed_size: 0
    .kernarg_segment_align: 8
    .kernarg_segment_size: 360
    .language:       OpenCL C
    .language_version:
      - 2
      - 0
    .max_flat_workgroup_size: 128
    .name:           _ZN2at6native32elementwise_kernel_manual_unrollILi128ELi4EZNS0_15gpu_kernel_implIZZZNS0_16sqrt_kernel_cudaERNS_18TensorIteratorBaseEENKUlvE0_clEvENKUlvE_clEvEUldE_EEvS4_RKT_EUlibE0_EEviT1_
    .private_segment_fixed_size: 0
    .sgpr_count:     70
    .sgpr_spill_count: 0
    .symbol:         _ZN2at6native32elementwise_kernel_manual_unrollILi128ELi4EZNS0_15gpu_kernel_implIZZZNS0_16sqrt_kernel_cudaERNS_18TensorIteratorBaseEENKUlvE0_clEvENKUlvE_clEvEUldE_EEvS4_RKT_EUlibE0_EEviT1_.kd
    .uniform_work_group_size: 1
    .uses_dynamic_stack: false
    .vgpr_count:     19
    .vgpr_spill_count: 0
    .wavefront_size: 32
    .workgroup_processor_mode: 1
  - .args:
      - .offset:         0
        .size:           4
        .value_kind:     by_value
      - .offset:         4
        .size:           1
        .value_kind:     by_value
      - .offset:         8
        .size:           16
        .value_kind:     by_value
    .group_segment_fixed_size: 0
    .kernarg_segment_align: 8
    .kernarg_segment_size: 24
    .language:       OpenCL C
    .language_version:
      - 2
      - 0
    .max_flat_workgroup_size: 256
    .name:           _ZN2at6native29vectorized_elementwise_kernelILi16EZZZNS0_16sqrt_kernel_cudaERNS_18TensorIteratorBaseEENKUlvE0_clEvENKUlvE0_clEvEUlfE_St5arrayIPcLm2EEEEviT0_T1_
    .private_segment_fixed_size: 0
    .sgpr_count:     18
    .sgpr_spill_count: 0
    .symbol:         _ZN2at6native29vectorized_elementwise_kernelILi16EZZZNS0_16sqrt_kernel_cudaERNS_18TensorIteratorBaseEENKUlvE0_clEvENKUlvE0_clEvEUlfE_St5arrayIPcLm2EEEEviT0_T1_.kd
    .uniform_work_group_size: 1
    .uses_dynamic_stack: false
    .vgpr_count:     26
    .vgpr_spill_count: 0
    .wavefront_size: 32
    .workgroup_processor_mode: 1
  - .args:
      - .offset:         0
        .size:           4
        .value_kind:     by_value
      - .offset:         4
        .size:           1
        .value_kind:     by_value
      - .offset:         8
        .size:           16
        .value_kind:     by_value
    .group_segment_fixed_size: 0
    .kernarg_segment_align: 8
    .kernarg_segment_size: 24
    .language:       OpenCL C
    .language_version:
      - 2
      - 0
    .max_flat_workgroup_size: 256
    .name:           _ZN2at6native29vectorized_elementwise_kernelILi8EZZZNS0_16sqrt_kernel_cudaERNS_18TensorIteratorBaseEENKUlvE0_clEvENKUlvE0_clEvEUlfE_St5arrayIPcLm2EEEEviT0_T1_
    .private_segment_fixed_size: 0
    .sgpr_count:     18
    .sgpr_spill_count: 0
    .symbol:         _ZN2at6native29vectorized_elementwise_kernelILi8EZZZNS0_16sqrt_kernel_cudaERNS_18TensorIteratorBaseEENKUlvE0_clEvENKUlvE0_clEvEUlfE_St5arrayIPcLm2EEEEviT0_T1_.kd
    .uniform_work_group_size: 1
    .uses_dynamic_stack: false
    .vgpr_count:     26
    .vgpr_spill_count: 0
    .wavefront_size: 32
    .workgroup_processor_mode: 1
  - .args:
      - .offset:         0
        .size:           4
        .value_kind:     by_value
      - .offset:         4
        .size:           1
        .value_kind:     by_value
      - .offset:         8
        .size:           16
        .value_kind:     by_value
    .group_segment_fixed_size: 0
    .kernarg_segment_align: 8
    .kernarg_segment_size: 24
    .language:       OpenCL C
    .language_version:
      - 2
      - 0
    .max_flat_workgroup_size: 256
    .name:           _ZN2at6native29vectorized_elementwise_kernelILi4EZZZNS0_16sqrt_kernel_cudaERNS_18TensorIteratorBaseEENKUlvE0_clEvENKUlvE0_clEvEUlfE_St5arrayIPcLm2EEEEviT0_T1_
    .private_segment_fixed_size: 0
    .sgpr_count:     18
    .sgpr_spill_count: 0
    .symbol:         _ZN2at6native29vectorized_elementwise_kernelILi4EZZZNS0_16sqrt_kernel_cudaERNS_18TensorIteratorBaseEENKUlvE0_clEvENKUlvE0_clEvEUlfE_St5arrayIPcLm2EEEEviT0_T1_.kd
    .uniform_work_group_size: 1
    .uses_dynamic_stack: false
    .vgpr_count:     26
    .vgpr_spill_count: 0
    .wavefront_size: 32
    .workgroup_processor_mode: 1
  - .args:
      - .offset:         0
        .size:           4
        .value_kind:     by_value
      - .offset:         4
        .size:           1
        .value_kind:     by_value
      - .offset:         8
        .size:           16
        .value_kind:     by_value
    .group_segment_fixed_size: 0
    .kernarg_segment_align: 8
    .kernarg_segment_size: 24
    .language:       OpenCL C
    .language_version:
      - 2
      - 0
    .max_flat_workgroup_size: 256
    .name:           _ZN2at6native29vectorized_elementwise_kernelILi2EZZZNS0_16sqrt_kernel_cudaERNS_18TensorIteratorBaseEENKUlvE0_clEvENKUlvE0_clEvEUlfE_St5arrayIPcLm2EEEEviT0_T1_
    .private_segment_fixed_size: 0
    .sgpr_count:     18
    .sgpr_spill_count: 0
    .symbol:         _ZN2at6native29vectorized_elementwise_kernelILi2EZZZNS0_16sqrt_kernel_cudaERNS_18TensorIteratorBaseEENKUlvE0_clEvENKUlvE0_clEvEUlfE_St5arrayIPcLm2EEEEviT0_T1_.kd
    .uniform_work_group_size: 1
    .uses_dynamic_stack: false
    .vgpr_count:     26
    .vgpr_spill_count: 0
    .wavefront_size: 32
    .workgroup_processor_mode: 1
  - .args:
      - .offset:         0
        .size:           4
        .value_kind:     by_value
      - .offset:         4
        .size:           1
        .value_kind:     by_value
      - .offset:         8
        .size:           16
        .value_kind:     by_value
      - .offset:         24
        .size:           1
        .value_kind:     by_value
      - .offset:         25
        .size:           1
        .value_kind:     by_value
      - .offset:         26
        .size:           1
        .value_kind:     by_value
      - .offset:         27
        .size:           1
        .value_kind:     by_value
    .group_segment_fixed_size: 0
    .kernarg_segment_align: 8
    .kernarg_segment_size: 28
    .language:       OpenCL C
    .language_version:
      - 2
      - 0
    .max_flat_workgroup_size: 256
    .name:           _ZN2at6native27unrolled_elementwise_kernelIZZZNS0_16sqrt_kernel_cudaERNS_18TensorIteratorBaseEENKUlvE0_clEvENKUlvE0_clEvEUlfE_St5arrayIPcLm2EELi4E23TrivialOffsetCalculatorILi1EjESB_NS0_6memory15LoadWithoutCastENSC_16StoreWithoutCastEEEviT_T0_T2_T3_T4_T5_
    .private_segment_fixed_size: 0
    .sgpr_count:     18
    .sgpr_spill_count: 0
    .symbol:         _ZN2at6native27unrolled_elementwise_kernelIZZZNS0_16sqrt_kernel_cudaERNS_18TensorIteratorBaseEENKUlvE0_clEvENKUlvE0_clEvEUlfE_St5arrayIPcLm2EELi4E23TrivialOffsetCalculatorILi1EjESB_NS0_6memory15LoadWithoutCastENSC_16StoreWithoutCastEEEviT_T0_T2_T3_T4_T5_.kd
    .uniform_work_group_size: 1
    .uses_dynamic_stack: false
    .vgpr_count:     24
    .vgpr_spill_count: 0
    .wavefront_size: 32
    .workgroup_processor_mode: 1
  - .args:
      - .offset:         0
        .size:           4
        .value_kind:     by_value
      - .offset:         8
        .size:           352
        .value_kind:     by_value
    .group_segment_fixed_size: 0
    .kernarg_segment_align: 8
    .kernarg_segment_size: 360
    .language:       OpenCL C
    .language_version:
      - 2
      - 0
    .max_flat_workgroup_size: 128
    .name:           _ZN2at6native32elementwise_kernel_manual_unrollILi128ELi4EZNS0_22gpu_kernel_impl_nocastIZZZNS0_16sqrt_kernel_cudaERNS_18TensorIteratorBaseEENKUlvE0_clEvENKUlvE0_clEvEUlfE_EEvS4_RKT_EUlibE_EEviT1_
    .private_segment_fixed_size: 0
    .sgpr_count:     58
    .sgpr_spill_count: 0
    .symbol:         _ZN2at6native32elementwise_kernel_manual_unrollILi128ELi4EZNS0_22gpu_kernel_impl_nocastIZZZNS0_16sqrt_kernel_cudaERNS_18TensorIteratorBaseEENKUlvE0_clEvENKUlvE0_clEvEUlfE_EEvS4_RKT_EUlibE_EEviT1_.kd
    .uniform_work_group_size: 1
    .uses_dynamic_stack: false
    .vgpr_count:     28
    .vgpr_spill_count: 0
    .wavefront_size: 32
    .workgroup_processor_mode: 1
  - .args:
      - .offset:         0
        .size:           4
        .value_kind:     by_value
      - .offset:         8
        .size:           32
        .value_kind:     by_value
    .group_segment_fixed_size: 0
    .kernarg_segment_align: 8
    .kernarg_segment_size: 40
    .language:       OpenCL C
    .language_version:
      - 2
      - 0
    .max_flat_workgroup_size: 128
    .name:           _ZN2at6native32elementwise_kernel_manual_unrollILi128ELi4EZNS0_15gpu_kernel_implIZZZNS0_16sqrt_kernel_cudaERNS_18TensorIteratorBaseEENKUlvE0_clEvENKUlvE0_clEvEUlfE_EEvS4_RKT_EUlibE_EEviT1_
    .private_segment_fixed_size: 0
    .sgpr_count:     26
    .sgpr_spill_count: 0
    .symbol:         _ZN2at6native32elementwise_kernel_manual_unrollILi128ELi4EZNS0_15gpu_kernel_implIZZZNS0_16sqrt_kernel_cudaERNS_18TensorIteratorBaseEENKUlvE0_clEvENKUlvE0_clEvEUlfE_EEvS4_RKT_EUlibE_EEviT1_.kd
    .uniform_work_group_size: 1
    .uses_dynamic_stack: false
    .vgpr_count:     15
    .vgpr_spill_count: 0
    .wavefront_size: 32
    .workgroup_processor_mode: 1
  - .args:
      - .offset:         0
        .size:           4
        .value_kind:     by_value
      - .offset:         8
        .size:           352
        .value_kind:     by_value
    .group_segment_fixed_size: 0
    .kernarg_segment_align: 8
    .kernarg_segment_size: 360
    .language:       OpenCL C
    .language_version:
      - 2
      - 0
    .max_flat_workgroup_size: 128
    .name:           _ZN2at6native32elementwise_kernel_manual_unrollILi128ELi4EZNS0_15gpu_kernel_implIZZZNS0_16sqrt_kernel_cudaERNS_18TensorIteratorBaseEENKUlvE0_clEvENKUlvE0_clEvEUlfE_EEvS4_RKT_EUlibE0_EEviT1_
    .private_segment_fixed_size: 0
    .sgpr_count:     70
    .sgpr_spill_count: 0
    .symbol:         _ZN2at6native32elementwise_kernel_manual_unrollILi128ELi4EZNS0_15gpu_kernel_implIZZZNS0_16sqrt_kernel_cudaERNS_18TensorIteratorBaseEENKUlvE0_clEvENKUlvE0_clEvEUlfE_EEvS4_RKT_EUlibE0_EEviT1_.kd
    .uniform_work_group_size: 1
    .uses_dynamic_stack: false
    .vgpr_count:     18
    .vgpr_spill_count: 0
    .wavefront_size: 32
    .workgroup_processor_mode: 1
  - .args:
      - .offset:         0
        .size:           4
        .value_kind:     by_value
      - .offset:         4
        .size:           1
        .value_kind:     by_value
      - .offset:         8
        .size:           16
        .value_kind:     by_value
    .group_segment_fixed_size: 0
    .kernarg_segment_align: 8
    .kernarg_segment_size: 24
    .language:       OpenCL C
    .language_version:
      - 2
      - 0
    .max_flat_workgroup_size: 256
    .name:           _ZN2at6native29vectorized_elementwise_kernelILi16EZZZNS0_16sqrt_kernel_cudaERNS_18TensorIteratorBaseEENKUlvE0_clEvENKUlvE1_clEvEUlN3c104HalfEE_St5arrayIPcLm2EEEEviT0_T1_
    .private_segment_fixed_size: 0
    .sgpr_count:     18
    .sgpr_spill_count: 0
    .symbol:         _ZN2at6native29vectorized_elementwise_kernelILi16EZZZNS0_16sqrt_kernel_cudaERNS_18TensorIteratorBaseEENKUlvE0_clEvENKUlvE1_clEvEUlN3c104HalfEE_St5arrayIPcLm2EEEEviT0_T1_.kd
    .uniform_work_group_size: 1
    .uses_dynamic_stack: false
    .vgpr_count:     31
    .vgpr_spill_count: 0
    .wavefront_size: 32
    .workgroup_processor_mode: 1
  - .args:
      - .offset:         0
        .size:           4
        .value_kind:     by_value
      - .offset:         4
        .size:           1
        .value_kind:     by_value
      - .offset:         8
        .size:           16
        .value_kind:     by_value
    .group_segment_fixed_size: 0
    .kernarg_segment_align: 8
    .kernarg_segment_size: 24
    .language:       OpenCL C
    .language_version:
      - 2
      - 0
    .max_flat_workgroup_size: 256
    .name:           _ZN2at6native29vectorized_elementwise_kernelILi8EZZZNS0_16sqrt_kernel_cudaERNS_18TensorIteratorBaseEENKUlvE0_clEvENKUlvE1_clEvEUlN3c104HalfEE_St5arrayIPcLm2EEEEviT0_T1_
    .private_segment_fixed_size: 0
    .sgpr_count:     18
    .sgpr_spill_count: 0
    .symbol:         _ZN2at6native29vectorized_elementwise_kernelILi8EZZZNS0_16sqrt_kernel_cudaERNS_18TensorIteratorBaseEENKUlvE0_clEvENKUlvE1_clEvEUlN3c104HalfEE_St5arrayIPcLm2EEEEviT0_T1_.kd
    .uniform_work_group_size: 1
    .uses_dynamic_stack: false
    .vgpr_count:     31
    .vgpr_spill_count: 0
    .wavefront_size: 32
    .workgroup_processor_mode: 1
  - .args:
      - .offset:         0
        .size:           4
        .value_kind:     by_value
      - .offset:         4
        .size:           1
        .value_kind:     by_value
      - .offset:         8
        .size:           16
        .value_kind:     by_value
    .group_segment_fixed_size: 0
    .kernarg_segment_align: 8
    .kernarg_segment_size: 24
    .language:       OpenCL C
    .language_version:
      - 2
      - 0
    .max_flat_workgroup_size: 256
    .name:           _ZN2at6native29vectorized_elementwise_kernelILi4EZZZNS0_16sqrt_kernel_cudaERNS_18TensorIteratorBaseEENKUlvE0_clEvENKUlvE1_clEvEUlN3c104HalfEE_St5arrayIPcLm2EEEEviT0_T1_
    .private_segment_fixed_size: 0
    .sgpr_count:     18
    .sgpr_spill_count: 0
    .symbol:         _ZN2at6native29vectorized_elementwise_kernelILi4EZZZNS0_16sqrt_kernel_cudaERNS_18TensorIteratorBaseEENKUlvE0_clEvENKUlvE1_clEvEUlN3c104HalfEE_St5arrayIPcLm2EEEEviT0_T1_.kd
    .uniform_work_group_size: 1
    .uses_dynamic_stack: false
    .vgpr_count:     31
    .vgpr_spill_count: 0
    .wavefront_size: 32
    .workgroup_processor_mode: 1
  - .args:
      - .offset:         0
        .size:           4
        .value_kind:     by_value
      - .offset:         4
        .size:           1
        .value_kind:     by_value
      - .offset:         8
        .size:           16
        .value_kind:     by_value
    .group_segment_fixed_size: 0
    .kernarg_segment_align: 8
    .kernarg_segment_size: 24
    .language:       OpenCL C
    .language_version:
      - 2
      - 0
    .max_flat_workgroup_size: 256
    .name:           _ZN2at6native29vectorized_elementwise_kernelILi2EZZZNS0_16sqrt_kernel_cudaERNS_18TensorIteratorBaseEENKUlvE0_clEvENKUlvE1_clEvEUlN3c104HalfEE_St5arrayIPcLm2EEEEviT0_T1_
    .private_segment_fixed_size: 0
    .sgpr_count:     19
    .sgpr_spill_count: 0
    .symbol:         _ZN2at6native29vectorized_elementwise_kernelILi2EZZZNS0_16sqrt_kernel_cudaERNS_18TensorIteratorBaseEENKUlvE0_clEvENKUlvE1_clEvEUlN3c104HalfEE_St5arrayIPcLm2EEEEviT0_T1_.kd
    .uniform_work_group_size: 1
    .uses_dynamic_stack: false
    .vgpr_count:     31
    .vgpr_spill_count: 0
    .wavefront_size: 32
    .workgroup_processor_mode: 1
  - .args:
      - .offset:         0
        .size:           4
        .value_kind:     by_value
      - .offset:         4
        .size:           1
        .value_kind:     by_value
      - .offset:         8
        .size:           16
        .value_kind:     by_value
      - .offset:         24
        .size:           1
        .value_kind:     by_value
      - .offset:         25
        .size:           1
        .value_kind:     by_value
      - .offset:         26
        .size:           1
        .value_kind:     by_value
      - .offset:         27
        .size:           1
        .value_kind:     by_value
    .group_segment_fixed_size: 0
    .kernarg_segment_align: 8
    .kernarg_segment_size: 28
    .language:       OpenCL C
    .language_version:
      - 2
      - 0
    .max_flat_workgroup_size: 256
    .name:           _ZN2at6native27unrolled_elementwise_kernelIZZZNS0_16sqrt_kernel_cudaERNS_18TensorIteratorBaseEENKUlvE0_clEvENKUlvE1_clEvEUlN3c104HalfEE_St5arrayIPcLm2EELi4E23TrivialOffsetCalculatorILi1EjESD_NS0_6memory15LoadWithoutCastENSE_16StoreWithoutCastEEEviT_T0_T2_T3_T4_T5_
    .private_segment_fixed_size: 0
    .sgpr_count:     18
    .sgpr_spill_count: 0
    .symbol:         _ZN2at6native27unrolled_elementwise_kernelIZZZNS0_16sqrt_kernel_cudaERNS_18TensorIteratorBaseEENKUlvE0_clEvENKUlvE1_clEvEUlN3c104HalfEE_St5arrayIPcLm2EELi4E23TrivialOffsetCalculatorILi1EjESD_NS0_6memory15LoadWithoutCastENSE_16StoreWithoutCastEEEviT_T0_T2_T3_T4_T5_.kd
    .uniform_work_group_size: 1
    .uses_dynamic_stack: false
    .vgpr_count:     11
    .vgpr_spill_count: 0
    .wavefront_size: 32
    .workgroup_processor_mode: 1
  - .args:
      - .offset:         0
        .size:           4
        .value_kind:     by_value
      - .offset:         8
        .size:           352
        .value_kind:     by_value
    .group_segment_fixed_size: 0
    .kernarg_segment_align: 8
    .kernarg_segment_size: 360
    .language:       OpenCL C
    .language_version:
      - 2
      - 0
    .max_flat_workgroup_size: 128
    .name:           _ZN2at6native32elementwise_kernel_manual_unrollILi128ELi8EZNS0_22gpu_kernel_impl_nocastIZZZNS0_16sqrt_kernel_cudaERNS_18TensorIteratorBaseEENKUlvE0_clEvENKUlvE1_clEvEUlN3c104HalfEE_EEvS4_RKT_EUlibE_EEviT1_
    .private_segment_fixed_size: 0
    .sgpr_count:     58
    .sgpr_spill_count: 0
    .symbol:         _ZN2at6native32elementwise_kernel_manual_unrollILi128ELi8EZNS0_22gpu_kernel_impl_nocastIZZZNS0_16sqrt_kernel_cudaERNS_18TensorIteratorBaseEENKUlvE0_clEvENKUlvE1_clEvEUlN3c104HalfEE_EEvS4_RKT_EUlibE_EEviT1_.kd
    .uniform_work_group_size: 1
    .uses_dynamic_stack: false
    .vgpr_count:     40
    .vgpr_spill_count: 0
    .wavefront_size: 32
    .workgroup_processor_mode: 1
  - .args:
      - .offset:         0
        .size:           4
        .value_kind:     by_value
      - .offset:         8
        .size:           32
        .value_kind:     by_value
    .group_segment_fixed_size: 0
    .kernarg_segment_align: 8
    .kernarg_segment_size: 40
    .language:       OpenCL C
    .language_version:
      - 2
      - 0
    .max_flat_workgroup_size: 128
    .name:           _ZN2at6native32elementwise_kernel_manual_unrollILi128ELi4EZNS0_15gpu_kernel_implIZZZNS0_16sqrt_kernel_cudaERNS_18TensorIteratorBaseEENKUlvE0_clEvENKUlvE1_clEvEUlN3c104HalfEE_EEvS4_RKT_EUlibE_EEviT1_
    .private_segment_fixed_size: 0
    .sgpr_count:     26
    .sgpr_spill_count: 0
    .symbol:         _ZN2at6native32elementwise_kernel_manual_unrollILi128ELi4EZNS0_15gpu_kernel_implIZZZNS0_16sqrt_kernel_cudaERNS_18TensorIteratorBaseEENKUlvE0_clEvENKUlvE1_clEvEUlN3c104HalfEE_EEvS4_RKT_EUlibE_EEviT1_.kd
    .uniform_work_group_size: 1
    .uses_dynamic_stack: false
    .vgpr_count:     13
    .vgpr_spill_count: 0
    .wavefront_size: 32
    .workgroup_processor_mode: 1
  - .args:
      - .offset:         0
        .size:           4
        .value_kind:     by_value
      - .offset:         8
        .size:           352
        .value_kind:     by_value
    .group_segment_fixed_size: 0
    .kernarg_segment_align: 8
    .kernarg_segment_size: 360
    .language:       OpenCL C
    .language_version:
      - 2
      - 0
    .max_flat_workgroup_size: 128
    .name:           _ZN2at6native32elementwise_kernel_manual_unrollILi128ELi4EZNS0_15gpu_kernel_implIZZZNS0_16sqrt_kernel_cudaERNS_18TensorIteratorBaseEENKUlvE0_clEvENKUlvE1_clEvEUlN3c104HalfEE_EEvS4_RKT_EUlibE0_EEviT1_
    .private_segment_fixed_size: 0
    .sgpr_count:     70
    .sgpr_spill_count: 0
    .symbol:         _ZN2at6native32elementwise_kernel_manual_unrollILi128ELi4EZNS0_15gpu_kernel_implIZZZNS0_16sqrt_kernel_cudaERNS_18TensorIteratorBaseEENKUlvE0_clEvENKUlvE1_clEvEUlN3c104HalfEE_EEvS4_RKT_EUlibE0_EEviT1_.kd
    .uniform_work_group_size: 1
    .uses_dynamic_stack: false
    .vgpr_count:     18
    .vgpr_spill_count: 0
    .wavefront_size: 32
    .workgroup_processor_mode: 1
  - .args:
      - .offset:         0
        .size:           4
        .value_kind:     by_value
      - .offset:         4
        .size:           1
        .value_kind:     by_value
      - .offset:         8
        .size:           16
        .value_kind:     by_value
    .group_segment_fixed_size: 0
    .kernarg_segment_align: 8
    .kernarg_segment_size: 24
    .language:       OpenCL C
    .language_version:
      - 2
      - 0
    .max_flat_workgroup_size: 256
    .name:           _ZN2at6native29vectorized_elementwise_kernelILi16EZZZNS0_16sqrt_kernel_cudaERNS_18TensorIteratorBaseEENKUlvE0_clEvENKUlvE2_clEvEUlN3c108BFloat16EE_St5arrayIPcLm2EEEEviT0_T1_
    .private_segment_fixed_size: 0
    .sgpr_count:     19
    .sgpr_spill_count: 0
    .symbol:         _ZN2at6native29vectorized_elementwise_kernelILi16EZZZNS0_16sqrt_kernel_cudaERNS_18TensorIteratorBaseEENKUlvE0_clEvENKUlvE2_clEvEUlN3c108BFloat16EE_St5arrayIPcLm2EEEEviT0_T1_.kd
    .uniform_work_group_size: 1
    .uses_dynamic_stack: false
    .vgpr_count:     50
    .vgpr_spill_count: 0
    .wavefront_size: 32
    .workgroup_processor_mode: 1
  - .args:
      - .offset:         0
        .size:           4
        .value_kind:     by_value
      - .offset:         4
        .size:           1
        .value_kind:     by_value
      - .offset:         8
        .size:           16
        .value_kind:     by_value
    .group_segment_fixed_size: 0
    .kernarg_segment_align: 8
    .kernarg_segment_size: 24
    .language:       OpenCL C
    .language_version:
      - 2
      - 0
    .max_flat_workgroup_size: 256
    .name:           _ZN2at6native29vectorized_elementwise_kernelILi8EZZZNS0_16sqrt_kernel_cudaERNS_18TensorIteratorBaseEENKUlvE0_clEvENKUlvE2_clEvEUlN3c108BFloat16EE_St5arrayIPcLm2EEEEviT0_T1_
    .private_segment_fixed_size: 0
    .sgpr_count:     19
    .sgpr_spill_count: 0
    .symbol:         _ZN2at6native29vectorized_elementwise_kernelILi8EZZZNS0_16sqrt_kernel_cudaERNS_18TensorIteratorBaseEENKUlvE0_clEvENKUlvE2_clEvEUlN3c108BFloat16EE_St5arrayIPcLm2EEEEviT0_T1_.kd
    .uniform_work_group_size: 1
    .uses_dynamic_stack: false
    .vgpr_count:     50
    .vgpr_spill_count: 0
    .wavefront_size: 32
    .workgroup_processor_mode: 1
  - .args:
      - .offset:         0
        .size:           4
        .value_kind:     by_value
      - .offset:         4
        .size:           1
        .value_kind:     by_value
      - .offset:         8
        .size:           16
        .value_kind:     by_value
    .group_segment_fixed_size: 0
    .kernarg_segment_align: 8
    .kernarg_segment_size: 24
    .language:       OpenCL C
    .language_version:
      - 2
      - 0
    .max_flat_workgroup_size: 256
    .name:           _ZN2at6native29vectorized_elementwise_kernelILi4EZZZNS0_16sqrt_kernel_cudaERNS_18TensorIteratorBaseEENKUlvE0_clEvENKUlvE2_clEvEUlN3c108BFloat16EE_St5arrayIPcLm2EEEEviT0_T1_
    .private_segment_fixed_size: 0
    .sgpr_count:     19
    .sgpr_spill_count: 0
    .symbol:         _ZN2at6native29vectorized_elementwise_kernelILi4EZZZNS0_16sqrt_kernel_cudaERNS_18TensorIteratorBaseEENKUlvE0_clEvENKUlvE2_clEvEUlN3c108BFloat16EE_St5arrayIPcLm2EEEEviT0_T1_.kd
    .uniform_work_group_size: 1
    .uses_dynamic_stack: false
    .vgpr_count:     50
    .vgpr_spill_count: 0
    .wavefront_size: 32
    .workgroup_processor_mode: 1
  - .args:
      - .offset:         0
        .size:           4
        .value_kind:     by_value
      - .offset:         4
        .size:           1
        .value_kind:     by_value
      - .offset:         8
        .size:           16
        .value_kind:     by_value
    .group_segment_fixed_size: 0
    .kernarg_segment_align: 8
    .kernarg_segment_size: 24
    .language:       OpenCL C
    .language_version:
      - 2
      - 0
    .max_flat_workgroup_size: 256
    .name:           _ZN2at6native29vectorized_elementwise_kernelILi2EZZZNS0_16sqrt_kernel_cudaERNS_18TensorIteratorBaseEENKUlvE0_clEvENKUlvE2_clEvEUlN3c108BFloat16EE_St5arrayIPcLm2EEEEviT0_T1_
    .private_segment_fixed_size: 0
    .sgpr_count:     19
    .sgpr_spill_count: 0
    .symbol:         _ZN2at6native29vectorized_elementwise_kernelILi2EZZZNS0_16sqrt_kernel_cudaERNS_18TensorIteratorBaseEENKUlvE0_clEvENKUlvE2_clEvEUlN3c108BFloat16EE_St5arrayIPcLm2EEEEviT0_T1_.kd
    .uniform_work_group_size: 1
    .uses_dynamic_stack: false
    .vgpr_count:     50
    .vgpr_spill_count: 0
    .wavefront_size: 32
    .workgroup_processor_mode: 1
  - .args:
      - .offset:         0
        .size:           4
        .value_kind:     by_value
      - .offset:         4
        .size:           1
        .value_kind:     by_value
      - .offset:         8
        .size:           16
        .value_kind:     by_value
      - .offset:         24
        .size:           1
        .value_kind:     by_value
      - .offset:         25
        .size:           1
        .value_kind:     by_value
      - .offset:         26
        .size:           1
        .value_kind:     by_value
      - .offset:         27
        .size:           1
        .value_kind:     by_value
    .group_segment_fixed_size: 0
    .kernarg_segment_align: 8
    .kernarg_segment_size: 28
    .language:       OpenCL C
    .language_version:
      - 2
      - 0
    .max_flat_workgroup_size: 256
    .name:           _ZN2at6native27unrolled_elementwise_kernelIZZZNS0_16sqrt_kernel_cudaERNS_18TensorIteratorBaseEENKUlvE0_clEvENKUlvE2_clEvEUlN3c108BFloat16EE_St5arrayIPcLm2EELi4E23TrivialOffsetCalculatorILi1EjESD_NS0_6memory15LoadWithoutCastENSE_16StoreWithoutCastEEEviT_T0_T2_T3_T4_T5_
    .private_segment_fixed_size: 0
    .sgpr_count:     18
    .sgpr_spill_count: 0
    .symbol:         _ZN2at6native27unrolled_elementwise_kernelIZZZNS0_16sqrt_kernel_cudaERNS_18TensorIteratorBaseEENKUlvE0_clEvENKUlvE2_clEvEUlN3c108BFloat16EE_St5arrayIPcLm2EELi4E23TrivialOffsetCalculatorILi1EjESD_NS0_6memory15LoadWithoutCastENSE_16StoreWithoutCastEEEviT_T0_T2_T3_T4_T5_.kd
    .uniform_work_group_size: 1
    .uses_dynamic_stack: false
    .vgpr_count:     12
    .vgpr_spill_count: 0
    .wavefront_size: 32
    .workgroup_processor_mode: 1
  - .args:
      - .offset:         0
        .size:           4
        .value_kind:     by_value
      - .offset:         8
        .size:           352
        .value_kind:     by_value
    .group_segment_fixed_size: 0
    .kernarg_segment_align: 8
    .kernarg_segment_size: 360
    .language:       OpenCL C
    .language_version:
      - 2
      - 0
    .max_flat_workgroup_size: 128
    .name:           _ZN2at6native32elementwise_kernel_manual_unrollILi128ELi8EZNS0_22gpu_kernel_impl_nocastIZZZNS0_16sqrt_kernel_cudaERNS_18TensorIteratorBaseEENKUlvE0_clEvENKUlvE2_clEvEUlN3c108BFloat16EE_EEvS4_RKT_EUlibE_EEviT1_
    .private_segment_fixed_size: 0
    .sgpr_count:     58
    .sgpr_spill_count: 0
    .symbol:         _ZN2at6native32elementwise_kernel_manual_unrollILi128ELi8EZNS0_22gpu_kernel_impl_nocastIZZZNS0_16sqrt_kernel_cudaERNS_18TensorIteratorBaseEENKUlvE0_clEvENKUlvE2_clEvEUlN3c108BFloat16EE_EEvS4_RKT_EUlibE_EEviT1_.kd
    .uniform_work_group_size: 1
    .uses_dynamic_stack: false
    .vgpr_count:     56
    .vgpr_spill_count: 0
    .wavefront_size: 32
    .workgroup_processor_mode: 1
  - .args:
      - .offset:         0
        .size:           4
        .value_kind:     by_value
      - .offset:         8
        .size:           32
        .value_kind:     by_value
    .group_segment_fixed_size: 0
    .kernarg_segment_align: 8
    .kernarg_segment_size: 40
    .language:       OpenCL C
    .language_version:
      - 2
      - 0
    .max_flat_workgroup_size: 128
    .name:           _ZN2at6native32elementwise_kernel_manual_unrollILi128ELi4EZNS0_15gpu_kernel_implIZZZNS0_16sqrt_kernel_cudaERNS_18TensorIteratorBaseEENKUlvE0_clEvENKUlvE2_clEvEUlN3c108BFloat16EE_EEvS4_RKT_EUlibE_EEviT1_
    .private_segment_fixed_size: 0
    .sgpr_count:     26
    .sgpr_spill_count: 0
    .symbol:         _ZN2at6native32elementwise_kernel_manual_unrollILi128ELi4EZNS0_15gpu_kernel_implIZZZNS0_16sqrt_kernel_cudaERNS_18TensorIteratorBaseEENKUlvE0_clEvENKUlvE2_clEvEUlN3c108BFloat16EE_EEvS4_RKT_EUlibE_EEviT1_.kd
    .uniform_work_group_size: 1
    .uses_dynamic_stack: false
    .vgpr_count:     13
    .vgpr_spill_count: 0
    .wavefront_size: 32
    .workgroup_processor_mode: 1
  - .args:
      - .offset:         0
        .size:           4
        .value_kind:     by_value
      - .offset:         8
        .size:           352
        .value_kind:     by_value
    .group_segment_fixed_size: 0
    .kernarg_segment_align: 8
    .kernarg_segment_size: 360
    .language:       OpenCL C
    .language_version:
      - 2
      - 0
    .max_flat_workgroup_size: 128
    .name:           _ZN2at6native32elementwise_kernel_manual_unrollILi128ELi4EZNS0_15gpu_kernel_implIZZZNS0_16sqrt_kernel_cudaERNS_18TensorIteratorBaseEENKUlvE0_clEvENKUlvE2_clEvEUlN3c108BFloat16EE_EEvS4_RKT_EUlibE0_EEviT1_
    .private_segment_fixed_size: 0
    .sgpr_count:     70
    .sgpr_spill_count: 0
    .symbol:         _ZN2at6native32elementwise_kernel_manual_unrollILi128ELi4EZNS0_15gpu_kernel_implIZZZNS0_16sqrt_kernel_cudaERNS_18TensorIteratorBaseEENKUlvE0_clEvENKUlvE2_clEvEUlN3c108BFloat16EE_EEvS4_RKT_EUlibE0_EEviT1_.kd
    .uniform_work_group_size: 1
    .uses_dynamic_stack: false
    .vgpr_count:     18
    .vgpr_spill_count: 0
    .wavefront_size: 32
    .workgroup_processor_mode: 1
  - .args:
      - .offset:         0
        .size:           4
        .value_kind:     by_value
      - .offset:         4
        .size:           2
        .value_kind:     by_value
      - .offset:         8
        .size:           16
        .value_kind:     by_value
    .group_segment_fixed_size: 0
    .kernarg_segment_align: 8
    .kernarg_segment_size: 24
    .language:       OpenCL C
    .language_version:
      - 2
      - 0
    .max_flat_workgroup_size: 256
    .name:           _ZN2at6native29vectorized_elementwise_kernelILi16EZZZNS0_17clamp_kernel_cudaERNS_18TensorIteratorBaseERKN3c106ScalarES7_ENKUlvE_clEvENKUlvE_clEvEUlhE_St5arrayIPcLm2EEEEviT0_T1_
    .private_segment_fixed_size: 0
    .sgpr_count:     18
    .sgpr_spill_count: 0
    .symbol:         _ZN2at6native29vectorized_elementwise_kernelILi16EZZZNS0_17clamp_kernel_cudaERNS_18TensorIteratorBaseERKN3c106ScalarES7_ENKUlvE_clEvENKUlvE_clEvEUlhE_St5arrayIPcLm2EEEEviT0_T1_.kd
    .uniform_work_group_size: 1
    .uses_dynamic_stack: false
    .vgpr_count:     26
    .vgpr_spill_count: 0
    .wavefront_size: 32
    .workgroup_processor_mode: 1
  - .args:
      - .offset:         0
        .size:           4
        .value_kind:     by_value
      - .offset:         4
        .size:           2
        .value_kind:     by_value
      - .offset:         8
        .size:           16
        .value_kind:     by_value
    .group_segment_fixed_size: 0
    .kernarg_segment_align: 8
    .kernarg_segment_size: 24
    .language:       OpenCL C
    .language_version:
      - 2
      - 0
    .max_flat_workgroup_size: 256
    .name:           _ZN2at6native29vectorized_elementwise_kernelILi8EZZZNS0_17clamp_kernel_cudaERNS_18TensorIteratorBaseERKN3c106ScalarES7_ENKUlvE_clEvENKUlvE_clEvEUlhE_St5arrayIPcLm2EEEEviT0_T1_
    .private_segment_fixed_size: 0
    .sgpr_count:     18
    .sgpr_spill_count: 0
    .symbol:         _ZN2at6native29vectorized_elementwise_kernelILi8EZZZNS0_17clamp_kernel_cudaERNS_18TensorIteratorBaseERKN3c106ScalarES7_ENKUlvE_clEvENKUlvE_clEvEUlhE_St5arrayIPcLm2EEEEviT0_T1_.kd
    .uniform_work_group_size: 1
    .uses_dynamic_stack: false
    .vgpr_count:     26
    .vgpr_spill_count: 0
    .wavefront_size: 32
    .workgroup_processor_mode: 1
  - .args:
      - .offset:         0
        .size:           4
        .value_kind:     by_value
      - .offset:         4
        .size:           2
        .value_kind:     by_value
      - .offset:         8
        .size:           16
        .value_kind:     by_value
    .group_segment_fixed_size: 0
    .kernarg_segment_align: 8
    .kernarg_segment_size: 24
    .language:       OpenCL C
    .language_version:
      - 2
      - 0
    .max_flat_workgroup_size: 256
    .name:           _ZN2at6native29vectorized_elementwise_kernelILi4EZZZNS0_17clamp_kernel_cudaERNS_18TensorIteratorBaseERKN3c106ScalarES7_ENKUlvE_clEvENKUlvE_clEvEUlhE_St5arrayIPcLm2EEEEviT0_T1_
    .private_segment_fixed_size: 0
    .sgpr_count:     18
    .sgpr_spill_count: 0
    .symbol:         _ZN2at6native29vectorized_elementwise_kernelILi4EZZZNS0_17clamp_kernel_cudaERNS_18TensorIteratorBaseERKN3c106ScalarES7_ENKUlvE_clEvENKUlvE_clEvEUlhE_St5arrayIPcLm2EEEEviT0_T1_.kd
    .uniform_work_group_size: 1
    .uses_dynamic_stack: false
    .vgpr_count:     26
    .vgpr_spill_count: 0
    .wavefront_size: 32
    .workgroup_processor_mode: 1
  - .args:
      - .offset:         0
        .size:           4
        .value_kind:     by_value
      - .offset:         4
        .size:           2
        .value_kind:     by_value
      - .offset:         8
        .size:           16
        .value_kind:     by_value
    .group_segment_fixed_size: 0
    .kernarg_segment_align: 8
    .kernarg_segment_size: 24
    .language:       OpenCL C
    .language_version:
      - 2
      - 0
    .max_flat_workgroup_size: 256
    .name:           _ZN2at6native29vectorized_elementwise_kernelILi2EZZZNS0_17clamp_kernel_cudaERNS_18TensorIteratorBaseERKN3c106ScalarES7_ENKUlvE_clEvENKUlvE_clEvEUlhE_St5arrayIPcLm2EEEEviT0_T1_
    .private_segment_fixed_size: 0
    .sgpr_count:     18
    .sgpr_spill_count: 0
    .symbol:         _ZN2at6native29vectorized_elementwise_kernelILi2EZZZNS0_17clamp_kernel_cudaERNS_18TensorIteratorBaseERKN3c106ScalarES7_ENKUlvE_clEvENKUlvE_clEvEUlhE_St5arrayIPcLm2EEEEviT0_T1_.kd
    .uniform_work_group_size: 1
    .uses_dynamic_stack: false
    .vgpr_count:     26
    .vgpr_spill_count: 0
    .wavefront_size: 32
    .workgroup_processor_mode: 1
  - .args:
      - .offset:         0
        .size:           4
        .value_kind:     by_value
      - .offset:         4
        .size:           2
        .value_kind:     by_value
      - .offset:         8
        .size:           16
        .value_kind:     by_value
      - .offset:         24
        .size:           1
        .value_kind:     by_value
      - .offset:         25
        .size:           1
        .value_kind:     by_value
      - .offset:         26
        .size:           1
        .value_kind:     by_value
      - .offset:         27
        .size:           1
        .value_kind:     by_value
    .group_segment_fixed_size: 0
    .kernarg_segment_align: 8
    .kernarg_segment_size: 28
    .language:       OpenCL C
    .language_version:
      - 2
      - 0
    .max_flat_workgroup_size: 256
    .name:           _ZN2at6native27unrolled_elementwise_kernelIZZZNS0_17clamp_kernel_cudaERNS_18TensorIteratorBaseERKN3c106ScalarES7_ENKUlvE_clEvENKUlvE_clEvEUlhE_St5arrayIPcLm2EELi4E23TrivialOffsetCalculatorILi1EjESF_NS0_6memory15LoadWithoutCastENSG_16StoreWithoutCastEEEviT_T0_T2_T3_T4_T5_
    .private_segment_fixed_size: 0
    .sgpr_count:     18
    .sgpr_spill_count: 0
    .symbol:         _ZN2at6native27unrolled_elementwise_kernelIZZZNS0_17clamp_kernel_cudaERNS_18TensorIteratorBaseERKN3c106ScalarES7_ENKUlvE_clEvENKUlvE_clEvEUlhE_St5arrayIPcLm2EELi4E23TrivialOffsetCalculatorILi1EjESF_NS0_6memory15LoadWithoutCastENSG_16StoreWithoutCastEEEviT_T0_T2_T3_T4_T5_.kd
    .uniform_work_group_size: 1
    .uses_dynamic_stack: false
    .vgpr_count:     9
    .vgpr_spill_count: 0
    .wavefront_size: 32
    .workgroup_processor_mode: 1
  - .args:
      - .offset:         0
        .size:           4
        .value_kind:     by_value
      - .offset:         8
        .size:           352
        .value_kind:     by_value
    .group_segment_fixed_size: 0
    .kernarg_segment_align: 8
    .kernarg_segment_size: 360
    .language:       OpenCL C
    .language_version:
      - 2
      - 0
    .max_flat_workgroup_size: 128
    .name:           _ZN2at6native32elementwise_kernel_manual_unrollILi128ELi8EZNS0_22gpu_kernel_impl_nocastIZZZNS0_17clamp_kernel_cudaERNS_18TensorIteratorBaseERKN3c106ScalarES8_ENKUlvE_clEvENKUlvE_clEvEUlhE_EEvS4_RKT_EUlibE_EEviT1_
    .private_segment_fixed_size: 0
    .sgpr_count:     62
    .sgpr_spill_count: 0
    .symbol:         _ZN2at6native32elementwise_kernel_manual_unrollILi128ELi8EZNS0_22gpu_kernel_impl_nocastIZZZNS0_17clamp_kernel_cudaERNS_18TensorIteratorBaseERKN3c106ScalarES8_ENKUlvE_clEvENKUlvE_clEvEUlhE_EEvS4_RKT_EUlibE_EEviT1_.kd
    .uniform_work_group_size: 1
    .uses_dynamic_stack: false
    .vgpr_count:     26
    .vgpr_spill_count: 0
    .wavefront_size: 32
    .workgroup_processor_mode: 1
  - .args:
      - .offset:         0
        .size:           4
        .value_kind:     by_value
      - .offset:         8
        .size:           32
        .value_kind:     by_value
    .group_segment_fixed_size: 0
    .kernarg_segment_align: 8
    .kernarg_segment_size: 40
    .language:       OpenCL C
    .language_version:
      - 2
      - 0
    .max_flat_workgroup_size: 128
    .name:           _ZN2at6native32elementwise_kernel_manual_unrollILi128ELi4EZNS0_15gpu_kernel_implIZZZNS0_17clamp_kernel_cudaERNS_18TensorIteratorBaseERKN3c106ScalarES8_ENKUlvE_clEvENKUlvE_clEvEUlhE_EEvS4_RKT_EUlibE_EEviT1_
    .private_segment_fixed_size: 0
    .sgpr_count:     30
    .sgpr_spill_count: 0
    .symbol:         _ZN2at6native32elementwise_kernel_manual_unrollILi128ELi4EZNS0_15gpu_kernel_implIZZZNS0_17clamp_kernel_cudaERNS_18TensorIteratorBaseERKN3c106ScalarES8_ENKUlvE_clEvENKUlvE_clEvEUlhE_EEvS4_RKT_EUlibE_EEviT1_.kd
    .uniform_work_group_size: 1
    .uses_dynamic_stack: false
    .vgpr_count:     15
    .vgpr_spill_count: 0
    .wavefront_size: 32
    .workgroup_processor_mode: 1
  - .args:
      - .offset:         0
        .size:           4
        .value_kind:     by_value
      - .offset:         8
        .size:           352
        .value_kind:     by_value
    .group_segment_fixed_size: 0
    .kernarg_segment_align: 8
    .kernarg_segment_size: 360
    .language:       OpenCL C
    .language_version:
      - 2
      - 0
    .max_flat_workgroup_size: 128
    .name:           _ZN2at6native32elementwise_kernel_manual_unrollILi128ELi4EZNS0_15gpu_kernel_implIZZZNS0_17clamp_kernel_cudaERNS_18TensorIteratorBaseERKN3c106ScalarES8_ENKUlvE_clEvENKUlvE_clEvEUlhE_EEvS4_RKT_EUlibE0_EEviT1_
    .private_segment_fixed_size: 0
    .sgpr_count:     74
    .sgpr_spill_count: 0
    .symbol:         _ZN2at6native32elementwise_kernel_manual_unrollILi128ELi4EZNS0_15gpu_kernel_implIZZZNS0_17clamp_kernel_cudaERNS_18TensorIteratorBaseERKN3c106ScalarES8_ENKUlvE_clEvENKUlvE_clEvEUlhE_EEvS4_RKT_EUlibE0_EEviT1_.kd
    .uniform_work_group_size: 1
    .uses_dynamic_stack: false
    .vgpr_count:     18
    .vgpr_spill_count: 0
    .wavefront_size: 32
    .workgroup_processor_mode: 1
  - .args:
      - .offset:         0
        .size:           4
        .value_kind:     by_value
      - .offset:         4
        .size:           2
        .value_kind:     by_value
      - .offset:         8
        .size:           16
        .value_kind:     by_value
    .group_segment_fixed_size: 0
    .kernarg_segment_align: 8
    .kernarg_segment_size: 24
    .language:       OpenCL C
    .language_version:
      - 2
      - 0
    .max_flat_workgroup_size: 256
    .name:           _ZN2at6native29vectorized_elementwise_kernelILi16EZZZNS0_17clamp_kernel_cudaERNS_18TensorIteratorBaseERKN3c106ScalarES7_ENKUlvE_clEvENKUlvE0_clEvEUlaE_St5arrayIPcLm2EEEEviT0_T1_
    .private_segment_fixed_size: 0
    .sgpr_count:     18
    .sgpr_spill_count: 0
    .symbol:         _ZN2at6native29vectorized_elementwise_kernelILi16EZZZNS0_17clamp_kernel_cudaERNS_18TensorIteratorBaseERKN3c106ScalarES7_ENKUlvE_clEvENKUlvE0_clEvEUlaE_St5arrayIPcLm2EEEEviT0_T1_.kd
    .uniform_work_group_size: 1
    .uses_dynamic_stack: false
    .vgpr_count:     22
    .vgpr_spill_count: 0
    .wavefront_size: 32
    .workgroup_processor_mode: 1
  - .args:
      - .offset:         0
        .size:           4
        .value_kind:     by_value
      - .offset:         4
        .size:           2
        .value_kind:     by_value
      - .offset:         8
        .size:           16
        .value_kind:     by_value
    .group_segment_fixed_size: 0
    .kernarg_segment_align: 8
    .kernarg_segment_size: 24
    .language:       OpenCL C
    .language_version:
      - 2
      - 0
    .max_flat_workgroup_size: 256
    .name:           _ZN2at6native29vectorized_elementwise_kernelILi8EZZZNS0_17clamp_kernel_cudaERNS_18TensorIteratorBaseERKN3c106ScalarES7_ENKUlvE_clEvENKUlvE0_clEvEUlaE_St5arrayIPcLm2EEEEviT0_T1_
    .private_segment_fixed_size: 0
    .sgpr_count:     18
    .sgpr_spill_count: 0
    .symbol:         _ZN2at6native29vectorized_elementwise_kernelILi8EZZZNS0_17clamp_kernel_cudaERNS_18TensorIteratorBaseERKN3c106ScalarES7_ENKUlvE_clEvENKUlvE0_clEvEUlaE_St5arrayIPcLm2EEEEviT0_T1_.kd
    .uniform_work_group_size: 1
    .uses_dynamic_stack: false
    .vgpr_count:     22
    .vgpr_spill_count: 0
    .wavefront_size: 32
    .workgroup_processor_mode: 1
  - .args:
      - .offset:         0
        .size:           4
        .value_kind:     by_value
      - .offset:         4
        .size:           2
        .value_kind:     by_value
      - .offset:         8
        .size:           16
        .value_kind:     by_value
    .group_segment_fixed_size: 0
    .kernarg_segment_align: 8
    .kernarg_segment_size: 24
    .language:       OpenCL C
    .language_version:
      - 2
      - 0
    .max_flat_workgroup_size: 256
    .name:           _ZN2at6native29vectorized_elementwise_kernelILi4EZZZNS0_17clamp_kernel_cudaERNS_18TensorIteratorBaseERKN3c106ScalarES7_ENKUlvE_clEvENKUlvE0_clEvEUlaE_St5arrayIPcLm2EEEEviT0_T1_
    .private_segment_fixed_size: 0
    .sgpr_count:     18
    .sgpr_spill_count: 0
    .symbol:         _ZN2at6native29vectorized_elementwise_kernelILi4EZZZNS0_17clamp_kernel_cudaERNS_18TensorIteratorBaseERKN3c106ScalarES7_ENKUlvE_clEvENKUlvE0_clEvEUlaE_St5arrayIPcLm2EEEEviT0_T1_.kd
    .uniform_work_group_size: 1
    .uses_dynamic_stack: false
    .vgpr_count:     22
    .vgpr_spill_count: 0
    .wavefront_size: 32
    .workgroup_processor_mode: 1
  - .args:
      - .offset:         0
        .size:           4
        .value_kind:     by_value
      - .offset:         4
        .size:           2
        .value_kind:     by_value
      - .offset:         8
        .size:           16
        .value_kind:     by_value
    .group_segment_fixed_size: 0
    .kernarg_segment_align: 8
    .kernarg_segment_size: 24
    .language:       OpenCL C
    .language_version:
      - 2
      - 0
    .max_flat_workgroup_size: 256
    .name:           _ZN2at6native29vectorized_elementwise_kernelILi2EZZZNS0_17clamp_kernel_cudaERNS_18TensorIteratorBaseERKN3c106ScalarES7_ENKUlvE_clEvENKUlvE0_clEvEUlaE_St5arrayIPcLm2EEEEviT0_T1_
    .private_segment_fixed_size: 0
    .sgpr_count:     18
    .sgpr_spill_count: 0
    .symbol:         _ZN2at6native29vectorized_elementwise_kernelILi2EZZZNS0_17clamp_kernel_cudaERNS_18TensorIteratorBaseERKN3c106ScalarES7_ENKUlvE_clEvENKUlvE0_clEvEUlaE_St5arrayIPcLm2EEEEviT0_T1_.kd
    .uniform_work_group_size: 1
    .uses_dynamic_stack: false
    .vgpr_count:     22
    .vgpr_spill_count: 0
    .wavefront_size: 32
    .workgroup_processor_mode: 1
  - .args:
      - .offset:         0
        .size:           4
        .value_kind:     by_value
      - .offset:         4
        .size:           2
        .value_kind:     by_value
      - .offset:         8
        .size:           16
        .value_kind:     by_value
      - .offset:         24
        .size:           1
        .value_kind:     by_value
      - .offset:         25
        .size:           1
        .value_kind:     by_value
      - .offset:         26
        .size:           1
        .value_kind:     by_value
      - .offset:         27
        .size:           1
        .value_kind:     by_value
    .group_segment_fixed_size: 0
    .kernarg_segment_align: 8
    .kernarg_segment_size: 28
    .language:       OpenCL C
    .language_version:
      - 2
      - 0
    .max_flat_workgroup_size: 256
    .name:           _ZN2at6native27unrolled_elementwise_kernelIZZZNS0_17clamp_kernel_cudaERNS_18TensorIteratorBaseERKN3c106ScalarES7_ENKUlvE_clEvENKUlvE0_clEvEUlaE_St5arrayIPcLm2EELi4E23TrivialOffsetCalculatorILi1EjESF_NS0_6memory15LoadWithoutCastENSG_16StoreWithoutCastEEEviT_T0_T2_T3_T4_T5_
    .private_segment_fixed_size: 0
    .sgpr_count:     18
    .sgpr_spill_count: 0
    .symbol:         _ZN2at6native27unrolled_elementwise_kernelIZZZNS0_17clamp_kernel_cudaERNS_18TensorIteratorBaseERKN3c106ScalarES7_ENKUlvE_clEvENKUlvE0_clEvEUlaE_St5arrayIPcLm2EELi4E23TrivialOffsetCalculatorILi1EjESF_NS0_6memory15LoadWithoutCastENSG_16StoreWithoutCastEEEviT_T0_T2_T3_T4_T5_.kd
    .uniform_work_group_size: 1
    .uses_dynamic_stack: false
    .vgpr_count:     9
    .vgpr_spill_count: 0
    .wavefront_size: 32
    .workgroup_processor_mode: 1
  - .args:
      - .offset:         0
        .size:           4
        .value_kind:     by_value
      - .offset:         8
        .size:           352
        .value_kind:     by_value
    .group_segment_fixed_size: 0
    .kernarg_segment_align: 8
    .kernarg_segment_size: 360
    .language:       OpenCL C
    .language_version:
      - 2
      - 0
    .max_flat_workgroup_size: 128
    .name:           _ZN2at6native32elementwise_kernel_manual_unrollILi128ELi8EZNS0_22gpu_kernel_impl_nocastIZZZNS0_17clamp_kernel_cudaERNS_18TensorIteratorBaseERKN3c106ScalarES8_ENKUlvE_clEvENKUlvE0_clEvEUlaE_EEvS4_RKT_EUlibE_EEviT1_
    .private_segment_fixed_size: 0
    .sgpr_count:     62
    .sgpr_spill_count: 0
    .symbol:         _ZN2at6native32elementwise_kernel_manual_unrollILi128ELi8EZNS0_22gpu_kernel_impl_nocastIZZZNS0_17clamp_kernel_cudaERNS_18TensorIteratorBaseERKN3c106ScalarES8_ENKUlvE_clEvENKUlvE0_clEvEUlaE_EEvS4_RKT_EUlibE_EEviT1_.kd
    .uniform_work_group_size: 1
    .uses_dynamic_stack: false
    .vgpr_count:     26
    .vgpr_spill_count: 0
    .wavefront_size: 32
    .workgroup_processor_mode: 1
  - .args:
      - .offset:         0
        .size:           4
        .value_kind:     by_value
      - .offset:         8
        .size:           32
        .value_kind:     by_value
    .group_segment_fixed_size: 0
    .kernarg_segment_align: 8
    .kernarg_segment_size: 40
    .language:       OpenCL C
    .language_version:
      - 2
      - 0
    .max_flat_workgroup_size: 128
    .name:           _ZN2at6native32elementwise_kernel_manual_unrollILi128ELi4EZNS0_15gpu_kernel_implIZZZNS0_17clamp_kernel_cudaERNS_18TensorIteratorBaseERKN3c106ScalarES8_ENKUlvE_clEvENKUlvE0_clEvEUlaE_EEvS4_RKT_EUlibE_EEviT1_
    .private_segment_fixed_size: 0
    .sgpr_count:     30
    .sgpr_spill_count: 0
    .symbol:         _ZN2at6native32elementwise_kernel_manual_unrollILi128ELi4EZNS0_15gpu_kernel_implIZZZNS0_17clamp_kernel_cudaERNS_18TensorIteratorBaseERKN3c106ScalarES8_ENKUlvE_clEvENKUlvE0_clEvEUlaE_EEvS4_RKT_EUlibE_EEviT1_.kd
    .uniform_work_group_size: 1
    .uses_dynamic_stack: false
    .vgpr_count:     13
    .vgpr_spill_count: 0
    .wavefront_size: 32
    .workgroup_processor_mode: 1
  - .args:
      - .offset:         0
        .size:           4
        .value_kind:     by_value
      - .offset:         8
        .size:           352
        .value_kind:     by_value
    .group_segment_fixed_size: 0
    .kernarg_segment_align: 8
    .kernarg_segment_size: 360
    .language:       OpenCL C
    .language_version:
      - 2
      - 0
    .max_flat_workgroup_size: 128
    .name:           _ZN2at6native32elementwise_kernel_manual_unrollILi128ELi4EZNS0_15gpu_kernel_implIZZZNS0_17clamp_kernel_cudaERNS_18TensorIteratorBaseERKN3c106ScalarES8_ENKUlvE_clEvENKUlvE0_clEvEUlaE_EEvS4_RKT_EUlibE0_EEviT1_
    .private_segment_fixed_size: 0
    .sgpr_count:     74
    .sgpr_spill_count: 0
    .symbol:         _ZN2at6native32elementwise_kernel_manual_unrollILi128ELi4EZNS0_15gpu_kernel_implIZZZNS0_17clamp_kernel_cudaERNS_18TensorIteratorBaseERKN3c106ScalarES8_ENKUlvE_clEvENKUlvE0_clEvEUlaE_EEvS4_RKT_EUlibE0_EEviT1_.kd
    .uniform_work_group_size: 1
    .uses_dynamic_stack: false
    .vgpr_count:     18
    .vgpr_spill_count: 0
    .wavefront_size: 32
    .workgroup_processor_mode: 1
  - .args:
      - .offset:         0
        .size:           4
        .value_kind:     by_value
      - .offset:         4
        .size:           8
        .value_kind:     by_value
      - .offset:         16
        .size:           16
        .value_kind:     by_value
    .group_segment_fixed_size: 0
    .kernarg_segment_align: 8
    .kernarg_segment_size: 32
    .language:       OpenCL C
    .language_version:
      - 2
      - 0
    .max_flat_workgroup_size: 256
    .name:           _ZN2at6native29vectorized_elementwise_kernelILi16EZZZNS0_17clamp_kernel_cudaERNS_18TensorIteratorBaseERKN3c106ScalarES7_ENKUlvE_clEvENKUlvE1_clEvEUliE_St5arrayIPcLm2EEEEviT0_T1_
    .private_segment_fixed_size: 0
    .sgpr_count:     18
    .sgpr_spill_count: 0
    .symbol:         _ZN2at6native29vectorized_elementwise_kernelILi16EZZZNS0_17clamp_kernel_cudaERNS_18TensorIteratorBaseERKN3c106ScalarES7_ENKUlvE_clEvENKUlvE1_clEvEUliE_St5arrayIPcLm2EEEEviT0_T1_.kd
    .uniform_work_group_size: 1
    .uses_dynamic_stack: false
    .vgpr_count:     10
    .vgpr_spill_count: 0
    .wavefront_size: 32
    .workgroup_processor_mode: 1
  - .args:
      - .offset:         0
        .size:           4
        .value_kind:     by_value
      - .offset:         4
        .size:           8
        .value_kind:     by_value
      - .offset:         16
        .size:           16
        .value_kind:     by_value
    .group_segment_fixed_size: 0
    .kernarg_segment_align: 8
    .kernarg_segment_size: 32
    .language:       OpenCL C
    .language_version:
      - 2
      - 0
    .max_flat_workgroup_size: 256
    .name:           _ZN2at6native29vectorized_elementwise_kernelILi8EZZZNS0_17clamp_kernel_cudaERNS_18TensorIteratorBaseERKN3c106ScalarES7_ENKUlvE_clEvENKUlvE1_clEvEUliE_St5arrayIPcLm2EEEEviT0_T1_
    .private_segment_fixed_size: 0
    .sgpr_count:     18
    .sgpr_spill_count: 0
    .symbol:         _ZN2at6native29vectorized_elementwise_kernelILi8EZZZNS0_17clamp_kernel_cudaERNS_18TensorIteratorBaseERKN3c106ScalarES7_ENKUlvE_clEvENKUlvE1_clEvEUliE_St5arrayIPcLm2EEEEviT0_T1_.kd
    .uniform_work_group_size: 1
    .uses_dynamic_stack: false
    .vgpr_count:     10
    .vgpr_spill_count: 0
    .wavefront_size: 32
    .workgroup_processor_mode: 1
  - .args:
      - .offset:         0
        .size:           4
        .value_kind:     by_value
      - .offset:         4
        .size:           8
        .value_kind:     by_value
      - .offset:         16
        .size:           16
        .value_kind:     by_value
    .group_segment_fixed_size: 0
    .kernarg_segment_align: 8
    .kernarg_segment_size: 32
    .language:       OpenCL C
    .language_version:
      - 2
      - 0
    .max_flat_workgroup_size: 256
    .name:           _ZN2at6native29vectorized_elementwise_kernelILi4EZZZNS0_17clamp_kernel_cudaERNS_18TensorIteratorBaseERKN3c106ScalarES7_ENKUlvE_clEvENKUlvE1_clEvEUliE_St5arrayIPcLm2EEEEviT0_T1_
    .private_segment_fixed_size: 0
    .sgpr_count:     18
    .sgpr_spill_count: 0
    .symbol:         _ZN2at6native29vectorized_elementwise_kernelILi4EZZZNS0_17clamp_kernel_cudaERNS_18TensorIteratorBaseERKN3c106ScalarES7_ENKUlvE_clEvENKUlvE1_clEvEUliE_St5arrayIPcLm2EEEEviT0_T1_.kd
    .uniform_work_group_size: 1
    .uses_dynamic_stack: false
    .vgpr_count:     10
    .vgpr_spill_count: 0
    .wavefront_size: 32
    .workgroup_processor_mode: 1
  - .args:
      - .offset:         0
        .size:           4
        .value_kind:     by_value
      - .offset:         4
        .size:           8
        .value_kind:     by_value
      - .offset:         16
        .size:           16
        .value_kind:     by_value
    .group_segment_fixed_size: 0
    .kernarg_segment_align: 8
    .kernarg_segment_size: 32
    .language:       OpenCL C
    .language_version:
      - 2
      - 0
    .max_flat_workgroup_size: 256
    .name:           _ZN2at6native29vectorized_elementwise_kernelILi2EZZZNS0_17clamp_kernel_cudaERNS_18TensorIteratorBaseERKN3c106ScalarES7_ENKUlvE_clEvENKUlvE1_clEvEUliE_St5arrayIPcLm2EEEEviT0_T1_
    .private_segment_fixed_size: 0
    .sgpr_count:     18
    .sgpr_spill_count: 0
    .symbol:         _ZN2at6native29vectorized_elementwise_kernelILi2EZZZNS0_17clamp_kernel_cudaERNS_18TensorIteratorBaseERKN3c106ScalarES7_ENKUlvE_clEvENKUlvE1_clEvEUliE_St5arrayIPcLm2EEEEviT0_T1_.kd
    .uniform_work_group_size: 1
    .uses_dynamic_stack: false
    .vgpr_count:     10
    .vgpr_spill_count: 0
    .wavefront_size: 32
    .workgroup_processor_mode: 1
  - .args:
      - .offset:         0
        .size:           4
        .value_kind:     by_value
      - .offset:         4
        .size:           8
        .value_kind:     by_value
      - .offset:         16
        .size:           16
        .value_kind:     by_value
      - .offset:         32
        .size:           1
        .value_kind:     by_value
      - .offset:         33
        .size:           1
        .value_kind:     by_value
      - .offset:         34
        .size:           1
        .value_kind:     by_value
      - .offset:         35
        .size:           1
        .value_kind:     by_value
    .group_segment_fixed_size: 0
    .kernarg_segment_align: 8
    .kernarg_segment_size: 36
    .language:       OpenCL C
    .language_version:
      - 2
      - 0
    .max_flat_workgroup_size: 256
    .name:           _ZN2at6native27unrolled_elementwise_kernelIZZZNS0_17clamp_kernel_cudaERNS_18TensorIteratorBaseERKN3c106ScalarES7_ENKUlvE_clEvENKUlvE1_clEvEUliE_St5arrayIPcLm2EELi4E23TrivialOffsetCalculatorILi1EjESF_NS0_6memory15LoadWithoutCastENSG_16StoreWithoutCastEEEviT_T0_T2_T3_T4_T5_
    .private_segment_fixed_size: 0
    .sgpr_count:     18
    .sgpr_spill_count: 0
    .symbol:         _ZN2at6native27unrolled_elementwise_kernelIZZZNS0_17clamp_kernel_cudaERNS_18TensorIteratorBaseERKN3c106ScalarES7_ENKUlvE_clEvENKUlvE1_clEvEUliE_St5arrayIPcLm2EELi4E23TrivialOffsetCalculatorILi1EjESF_NS0_6memory15LoadWithoutCastENSG_16StoreWithoutCastEEEviT_T0_T2_T3_T4_T5_.kd
    .uniform_work_group_size: 1
    .uses_dynamic_stack: false
    .vgpr_count:     10
    .vgpr_spill_count: 0
    .wavefront_size: 32
    .workgroup_processor_mode: 1
  - .args:
      - .offset:         0
        .size:           4
        .value_kind:     by_value
      - .offset:         8
        .size:           352
        .value_kind:     by_value
    .group_segment_fixed_size: 0
    .kernarg_segment_align: 8
    .kernarg_segment_size: 360
    .language:       OpenCL C
    .language_version:
      - 2
      - 0
    .max_flat_workgroup_size: 128
    .name:           _ZN2at6native32elementwise_kernel_manual_unrollILi128ELi4EZNS0_22gpu_kernel_impl_nocastIZZZNS0_17clamp_kernel_cudaERNS_18TensorIteratorBaseERKN3c106ScalarES8_ENKUlvE_clEvENKUlvE1_clEvEUliE_EEvS4_RKT_EUlibE_EEviT1_
    .private_segment_fixed_size: 0
    .sgpr_count:     62
    .sgpr_spill_count: 0
    .symbol:         _ZN2at6native32elementwise_kernel_manual_unrollILi128ELi4EZNS0_22gpu_kernel_impl_nocastIZZZNS0_17clamp_kernel_cudaERNS_18TensorIteratorBaseERKN3c106ScalarES8_ENKUlvE_clEvENKUlvE1_clEvEUliE_EEvS4_RKT_EUlibE_EEviT1_.kd
    .uniform_work_group_size: 1
    .uses_dynamic_stack: false
    .vgpr_count:     18
    .vgpr_spill_count: 0
    .wavefront_size: 32
    .workgroup_processor_mode: 1
  - .args:
      - .offset:         0
        .size:           4
        .value_kind:     by_value
      - .offset:         8
        .size:           40
        .value_kind:     by_value
    .group_segment_fixed_size: 0
    .kernarg_segment_align: 8
    .kernarg_segment_size: 48
    .language:       OpenCL C
    .language_version:
      - 2
      - 0
    .max_flat_workgroup_size: 128
    .name:           _ZN2at6native32elementwise_kernel_manual_unrollILi128ELi4EZNS0_15gpu_kernel_implIZZZNS0_17clamp_kernel_cudaERNS_18TensorIteratorBaseERKN3c106ScalarES8_ENKUlvE_clEvENKUlvE1_clEvEUliE_EEvS4_RKT_EUlibE_EEviT1_
    .private_segment_fixed_size: 0
    .sgpr_count:     29
    .sgpr_spill_count: 0
    .symbol:         _ZN2at6native32elementwise_kernel_manual_unrollILi128ELi4EZNS0_15gpu_kernel_implIZZZNS0_17clamp_kernel_cudaERNS_18TensorIteratorBaseERKN3c106ScalarES8_ENKUlvE_clEvENKUlvE1_clEvEUliE_EEvS4_RKT_EUlibE_EEviT1_.kd
    .uniform_work_group_size: 1
    .uses_dynamic_stack: false
    .vgpr_count:     14
    .vgpr_spill_count: 0
    .wavefront_size: 32
    .workgroup_processor_mode: 1
  - .args:
      - .offset:         0
        .size:           4
        .value_kind:     by_value
      - .offset:         8
        .size:           360
        .value_kind:     by_value
    .group_segment_fixed_size: 0
    .kernarg_segment_align: 8
    .kernarg_segment_size: 368
    .language:       OpenCL C
    .language_version:
      - 2
      - 0
    .max_flat_workgroup_size: 128
    .name:           _ZN2at6native32elementwise_kernel_manual_unrollILi128ELi4EZNS0_15gpu_kernel_implIZZZNS0_17clamp_kernel_cudaERNS_18TensorIteratorBaseERKN3c106ScalarES8_ENKUlvE_clEvENKUlvE1_clEvEUliE_EEvS4_RKT_EUlibE0_EEviT1_
    .private_segment_fixed_size: 0
    .sgpr_count:     70
    .sgpr_spill_count: 0
    .symbol:         _ZN2at6native32elementwise_kernel_manual_unrollILi128ELi4EZNS0_15gpu_kernel_implIZZZNS0_17clamp_kernel_cudaERNS_18TensorIteratorBaseERKN3c106ScalarES8_ENKUlvE_clEvENKUlvE1_clEvEUliE_EEvS4_RKT_EUlibE0_EEviT1_.kd
    .uniform_work_group_size: 1
    .uses_dynamic_stack: false
    .vgpr_count:     18
    .vgpr_spill_count: 0
    .wavefront_size: 32
    .workgroup_processor_mode: 1
  - .args:
      - .offset:         0
        .size:           4
        .value_kind:     by_value
      - .offset:         8
        .size:           16
        .value_kind:     by_value
      - .offset:         24
        .size:           16
        .value_kind:     by_value
    .group_segment_fixed_size: 0
    .kernarg_segment_align: 8
    .kernarg_segment_size: 40
    .language:       OpenCL C
    .language_version:
      - 2
      - 0
    .max_flat_workgroup_size: 256
    .name:           _ZN2at6native29vectorized_elementwise_kernelILi16EZZZNS0_17clamp_kernel_cudaERNS_18TensorIteratorBaseERKN3c106ScalarES7_ENKUlvE_clEvENKUlvE2_clEvEUllE_St5arrayIPcLm2EEEEviT0_T1_
    .private_segment_fixed_size: 0
    .sgpr_count:     20
    .sgpr_spill_count: 0
    .symbol:         _ZN2at6native29vectorized_elementwise_kernelILi16EZZZNS0_17clamp_kernel_cudaERNS_18TensorIteratorBaseERKN3c106ScalarES7_ENKUlvE_clEvENKUlvE2_clEvEUllE_St5arrayIPcLm2EEEEviT0_T1_.kd
    .uniform_work_group_size: 1
    .uses_dynamic_stack: false
    .vgpr_count:     16
    .vgpr_spill_count: 0
    .wavefront_size: 32
    .workgroup_processor_mode: 1
  - .args:
      - .offset:         0
        .size:           4
        .value_kind:     by_value
      - .offset:         8
        .size:           16
        .value_kind:     by_value
      - .offset:         24
        .size:           16
        .value_kind:     by_value
    .group_segment_fixed_size: 0
    .kernarg_segment_align: 8
    .kernarg_segment_size: 40
    .language:       OpenCL C
    .language_version:
      - 2
      - 0
    .max_flat_workgroup_size: 256
    .name:           _ZN2at6native29vectorized_elementwise_kernelILi8EZZZNS0_17clamp_kernel_cudaERNS_18TensorIteratorBaseERKN3c106ScalarES7_ENKUlvE_clEvENKUlvE2_clEvEUllE_St5arrayIPcLm2EEEEviT0_T1_
    .private_segment_fixed_size: 0
    .sgpr_count:     20
    .sgpr_spill_count: 0
    .symbol:         _ZN2at6native29vectorized_elementwise_kernelILi8EZZZNS0_17clamp_kernel_cudaERNS_18TensorIteratorBaseERKN3c106ScalarES7_ENKUlvE_clEvENKUlvE2_clEvEUllE_St5arrayIPcLm2EEEEviT0_T1_.kd
    .uniform_work_group_size: 1
    .uses_dynamic_stack: false
    .vgpr_count:     16
    .vgpr_spill_count: 0
    .wavefront_size: 32
    .workgroup_processor_mode: 1
  - .args:
      - .offset:         0
        .size:           4
        .value_kind:     by_value
      - .offset:         8
        .size:           16
        .value_kind:     by_value
      - .offset:         24
        .size:           16
        .value_kind:     by_value
    .group_segment_fixed_size: 0
    .kernarg_segment_align: 8
    .kernarg_segment_size: 40
    .language:       OpenCL C
    .language_version:
      - 2
      - 0
    .max_flat_workgroup_size: 256
    .name:           _ZN2at6native29vectorized_elementwise_kernelILi4EZZZNS0_17clamp_kernel_cudaERNS_18TensorIteratorBaseERKN3c106ScalarES7_ENKUlvE_clEvENKUlvE2_clEvEUllE_St5arrayIPcLm2EEEEviT0_T1_
    .private_segment_fixed_size: 0
    .sgpr_count:     20
    .sgpr_spill_count: 0
    .symbol:         _ZN2at6native29vectorized_elementwise_kernelILi4EZZZNS0_17clamp_kernel_cudaERNS_18TensorIteratorBaseERKN3c106ScalarES7_ENKUlvE_clEvENKUlvE2_clEvEUllE_St5arrayIPcLm2EEEEviT0_T1_.kd
    .uniform_work_group_size: 1
    .uses_dynamic_stack: false
    .vgpr_count:     16
    .vgpr_spill_count: 0
    .wavefront_size: 32
    .workgroup_processor_mode: 1
  - .args:
      - .offset:         0
        .size:           4
        .value_kind:     by_value
      - .offset:         8
        .size:           16
        .value_kind:     by_value
      - .offset:         24
        .size:           16
        .value_kind:     by_value
    .group_segment_fixed_size: 0
    .kernarg_segment_align: 8
    .kernarg_segment_size: 40
    .language:       OpenCL C
    .language_version:
      - 2
      - 0
    .max_flat_workgroup_size: 256
    .name:           _ZN2at6native29vectorized_elementwise_kernelILi2EZZZNS0_17clamp_kernel_cudaERNS_18TensorIteratorBaseERKN3c106ScalarES7_ENKUlvE_clEvENKUlvE2_clEvEUllE_St5arrayIPcLm2EEEEviT0_T1_
    .private_segment_fixed_size: 0
    .sgpr_count:     20
    .sgpr_spill_count: 0
    .symbol:         _ZN2at6native29vectorized_elementwise_kernelILi2EZZZNS0_17clamp_kernel_cudaERNS_18TensorIteratorBaseERKN3c106ScalarES7_ENKUlvE_clEvENKUlvE2_clEvEUllE_St5arrayIPcLm2EEEEviT0_T1_.kd
    .uniform_work_group_size: 1
    .uses_dynamic_stack: false
    .vgpr_count:     16
    .vgpr_spill_count: 0
    .wavefront_size: 32
    .workgroup_processor_mode: 1
  - .args:
      - .offset:         0
        .size:           4
        .value_kind:     by_value
      - .offset:         8
        .size:           16
        .value_kind:     by_value
      - .offset:         24
        .size:           16
        .value_kind:     by_value
      - .offset:         40
        .size:           1
        .value_kind:     by_value
      - .offset:         41
        .size:           1
        .value_kind:     by_value
      - .offset:         42
        .size:           1
        .value_kind:     by_value
      - .offset:         43
        .size:           1
        .value_kind:     by_value
    .group_segment_fixed_size: 0
    .kernarg_segment_align: 8
    .kernarg_segment_size: 44
    .language:       OpenCL C
    .language_version:
      - 2
      - 0
    .max_flat_workgroup_size: 256
    .name:           _ZN2at6native27unrolled_elementwise_kernelIZZZNS0_17clamp_kernel_cudaERNS_18TensorIteratorBaseERKN3c106ScalarES7_ENKUlvE_clEvENKUlvE2_clEvEUllE_St5arrayIPcLm2EELi4E23TrivialOffsetCalculatorILi1EjESF_NS0_6memory15LoadWithoutCastENSG_16StoreWithoutCastEEEviT_T0_T2_T3_T4_T5_
    .private_segment_fixed_size: 0
    .sgpr_count:     18
    .sgpr_spill_count: 0
    .symbol:         _ZN2at6native27unrolled_elementwise_kernelIZZZNS0_17clamp_kernel_cudaERNS_18TensorIteratorBaseERKN3c106ScalarES7_ENKUlvE_clEvENKUlvE2_clEvEUllE_St5arrayIPcLm2EELi4E23TrivialOffsetCalculatorILi1EjESF_NS0_6memory15LoadWithoutCastENSG_16StoreWithoutCastEEEviT_T0_T2_T3_T4_T5_.kd
    .uniform_work_group_size: 1
    .uses_dynamic_stack: false
    .vgpr_count:     16
    .vgpr_spill_count: 0
    .wavefront_size: 32
    .workgroup_processor_mode: 1
  - .args:
      - .offset:         0
        .size:           4
        .value_kind:     by_value
      - .offset:         8
        .size:           360
        .value_kind:     by_value
    .group_segment_fixed_size: 0
    .kernarg_segment_align: 8
    .kernarg_segment_size: 368
    .language:       OpenCL C
    .language_version:
      - 2
      - 0
    .max_flat_workgroup_size: 128
    .name:           _ZN2at6native32elementwise_kernel_manual_unrollILi128ELi4EZNS0_22gpu_kernel_impl_nocastIZZZNS0_17clamp_kernel_cudaERNS_18TensorIteratorBaseERKN3c106ScalarES8_ENKUlvE_clEvENKUlvE2_clEvEUllE_EEvS4_RKT_EUlibE_EEviT1_
    .private_segment_fixed_size: 0
    .sgpr_count:     62
    .sgpr_spill_count: 0
    .symbol:         _ZN2at6native32elementwise_kernel_manual_unrollILi128ELi4EZNS0_22gpu_kernel_impl_nocastIZZZNS0_17clamp_kernel_cudaERNS_18TensorIteratorBaseERKN3c106ScalarES8_ENKUlvE_clEvENKUlvE2_clEvEUllE_EEvS4_RKT_EUlibE_EEviT1_.kd
    .uniform_work_group_size: 1
    .uses_dynamic_stack: false
    .vgpr_count:     18
    .vgpr_spill_count: 0
    .wavefront_size: 32
    .workgroup_processor_mode: 1
  - .args:
      - .offset:         0
        .size:           4
        .value_kind:     by_value
      - .offset:         8
        .size:           48
        .value_kind:     by_value
    .group_segment_fixed_size: 0
    .kernarg_segment_align: 8
    .kernarg_segment_size: 56
    .language:       OpenCL C
    .language_version:
      - 2
      - 0
    .max_flat_workgroup_size: 128
    .name:           _ZN2at6native32elementwise_kernel_manual_unrollILi128ELi4EZNS0_15gpu_kernel_implIZZZNS0_17clamp_kernel_cudaERNS_18TensorIteratorBaseERKN3c106ScalarES8_ENKUlvE_clEvENKUlvE2_clEvEUllE_EEvS4_RKT_EUlibE_EEviT1_
    .private_segment_fixed_size: 0
    .sgpr_count:     31
    .sgpr_spill_count: 0
    .symbol:         _ZN2at6native32elementwise_kernel_manual_unrollILi128ELi4EZNS0_15gpu_kernel_implIZZZNS0_17clamp_kernel_cudaERNS_18TensorIteratorBaseERKN3c106ScalarES8_ENKUlvE_clEvENKUlvE2_clEvEUllE_EEvS4_RKT_EUlibE_EEviT1_.kd
    .uniform_work_group_size: 1
    .uses_dynamic_stack: false
    .vgpr_count:     17
    .vgpr_spill_count: 0
    .wavefront_size: 32
    .workgroup_processor_mode: 1
  - .args:
      - .offset:         0
        .size:           4
        .value_kind:     by_value
      - .offset:         8
        .size:           368
        .value_kind:     by_value
    .group_segment_fixed_size: 0
    .kernarg_segment_align: 8
    .kernarg_segment_size: 376
    .language:       OpenCL C
    .language_version:
      - 2
      - 0
    .max_flat_workgroup_size: 128
    .name:           _ZN2at6native32elementwise_kernel_manual_unrollILi128ELi4EZNS0_15gpu_kernel_implIZZZNS0_17clamp_kernel_cudaERNS_18TensorIteratorBaseERKN3c106ScalarES8_ENKUlvE_clEvENKUlvE2_clEvEUllE_EEvS4_RKT_EUlibE0_EEviT1_
    .private_segment_fixed_size: 0
    .sgpr_count:     74
    .sgpr_spill_count: 0
    .symbol:         _ZN2at6native32elementwise_kernel_manual_unrollILi128ELi4EZNS0_15gpu_kernel_implIZZZNS0_17clamp_kernel_cudaERNS_18TensorIteratorBaseERKN3c106ScalarES8_ENKUlvE_clEvENKUlvE2_clEvEUllE_EEvS4_RKT_EUlibE0_EEviT1_.kd
    .uniform_work_group_size: 1
    .uses_dynamic_stack: false
    .vgpr_count:     19
    .vgpr_spill_count: 0
    .wavefront_size: 32
    .workgroup_processor_mode: 1
  - .args:
      - .offset:         0
        .size:           4
        .value_kind:     by_value
      - .offset:         4
        .size:           4
        .value_kind:     by_value
      - .offset:         8
        .size:           16
        .value_kind:     by_value
    .group_segment_fixed_size: 0
    .kernarg_segment_align: 8
    .kernarg_segment_size: 24
    .language:       OpenCL C
    .language_version:
      - 2
      - 0
    .max_flat_workgroup_size: 256
    .name:           _ZN2at6native29vectorized_elementwise_kernelILi16EZZZNS0_17clamp_kernel_cudaERNS_18TensorIteratorBaseERKN3c106ScalarES7_ENKUlvE_clEvENKUlvE3_clEvEUlsE_St5arrayIPcLm2EEEEviT0_T1_
    .private_segment_fixed_size: 0
    .sgpr_count:     18
    .sgpr_spill_count: 0
    .symbol:         _ZN2at6native29vectorized_elementwise_kernelILi16EZZZNS0_17clamp_kernel_cudaERNS_18TensorIteratorBaseERKN3c106ScalarES7_ENKUlvE_clEvENKUlvE3_clEvEUlsE_St5arrayIPcLm2EEEEviT0_T1_.kd
    .uniform_work_group_size: 1
    .uses_dynamic_stack: false
    .vgpr_count:     15
    .vgpr_spill_count: 0
    .wavefront_size: 32
    .workgroup_processor_mode: 1
  - .args:
      - .offset:         0
        .size:           4
        .value_kind:     by_value
      - .offset:         4
        .size:           4
        .value_kind:     by_value
      - .offset:         8
        .size:           16
        .value_kind:     by_value
    .group_segment_fixed_size: 0
    .kernarg_segment_align: 8
    .kernarg_segment_size: 24
    .language:       OpenCL C
    .language_version:
      - 2
      - 0
    .max_flat_workgroup_size: 256
    .name:           _ZN2at6native29vectorized_elementwise_kernelILi8EZZZNS0_17clamp_kernel_cudaERNS_18TensorIteratorBaseERKN3c106ScalarES7_ENKUlvE_clEvENKUlvE3_clEvEUlsE_St5arrayIPcLm2EEEEviT0_T1_
    .private_segment_fixed_size: 0
    .sgpr_count:     18
    .sgpr_spill_count: 0
    .symbol:         _ZN2at6native29vectorized_elementwise_kernelILi8EZZZNS0_17clamp_kernel_cudaERNS_18TensorIteratorBaseERKN3c106ScalarES7_ENKUlvE_clEvENKUlvE3_clEvEUlsE_St5arrayIPcLm2EEEEviT0_T1_.kd
    .uniform_work_group_size: 1
    .uses_dynamic_stack: false
    .vgpr_count:     15
    .vgpr_spill_count: 0
    .wavefront_size: 32
    .workgroup_processor_mode: 1
  - .args:
      - .offset:         0
        .size:           4
        .value_kind:     by_value
      - .offset:         4
        .size:           4
        .value_kind:     by_value
      - .offset:         8
        .size:           16
        .value_kind:     by_value
    .group_segment_fixed_size: 0
    .kernarg_segment_align: 8
    .kernarg_segment_size: 24
    .language:       OpenCL C
    .language_version:
      - 2
      - 0
    .max_flat_workgroup_size: 256
    .name:           _ZN2at6native29vectorized_elementwise_kernelILi4EZZZNS0_17clamp_kernel_cudaERNS_18TensorIteratorBaseERKN3c106ScalarES7_ENKUlvE_clEvENKUlvE3_clEvEUlsE_St5arrayIPcLm2EEEEviT0_T1_
    .private_segment_fixed_size: 0
    .sgpr_count:     18
    .sgpr_spill_count: 0
    .symbol:         _ZN2at6native29vectorized_elementwise_kernelILi4EZZZNS0_17clamp_kernel_cudaERNS_18TensorIteratorBaseERKN3c106ScalarES7_ENKUlvE_clEvENKUlvE3_clEvEUlsE_St5arrayIPcLm2EEEEviT0_T1_.kd
    .uniform_work_group_size: 1
    .uses_dynamic_stack: false
    .vgpr_count:     15
    .vgpr_spill_count: 0
    .wavefront_size: 32
    .workgroup_processor_mode: 1
  - .args:
      - .offset:         0
        .size:           4
        .value_kind:     by_value
      - .offset:         4
        .size:           4
        .value_kind:     by_value
      - .offset:         8
        .size:           16
        .value_kind:     by_value
    .group_segment_fixed_size: 0
    .kernarg_segment_align: 8
    .kernarg_segment_size: 24
    .language:       OpenCL C
    .language_version:
      - 2
      - 0
    .max_flat_workgroup_size: 256
    .name:           _ZN2at6native29vectorized_elementwise_kernelILi2EZZZNS0_17clamp_kernel_cudaERNS_18TensorIteratorBaseERKN3c106ScalarES7_ENKUlvE_clEvENKUlvE3_clEvEUlsE_St5arrayIPcLm2EEEEviT0_T1_
    .private_segment_fixed_size: 0
    .sgpr_count:     18
    .sgpr_spill_count: 0
    .symbol:         _ZN2at6native29vectorized_elementwise_kernelILi2EZZZNS0_17clamp_kernel_cudaERNS_18TensorIteratorBaseERKN3c106ScalarES7_ENKUlvE_clEvENKUlvE3_clEvEUlsE_St5arrayIPcLm2EEEEviT0_T1_.kd
    .uniform_work_group_size: 1
    .uses_dynamic_stack: false
    .vgpr_count:     15
    .vgpr_spill_count: 0
    .wavefront_size: 32
    .workgroup_processor_mode: 1
  - .args:
      - .offset:         0
        .size:           4
        .value_kind:     by_value
      - .offset:         4
        .size:           4
        .value_kind:     by_value
      - .offset:         8
        .size:           16
        .value_kind:     by_value
      - .offset:         24
        .size:           1
        .value_kind:     by_value
      - .offset:         25
        .size:           1
        .value_kind:     by_value
      - .offset:         26
        .size:           1
        .value_kind:     by_value
      - .offset:         27
        .size:           1
        .value_kind:     by_value
    .group_segment_fixed_size: 0
    .kernarg_segment_align: 8
    .kernarg_segment_size: 28
    .language:       OpenCL C
    .language_version:
      - 2
      - 0
    .max_flat_workgroup_size: 256
    .name:           _ZN2at6native27unrolled_elementwise_kernelIZZZNS0_17clamp_kernel_cudaERNS_18TensorIteratorBaseERKN3c106ScalarES7_ENKUlvE_clEvENKUlvE3_clEvEUlsE_St5arrayIPcLm2EELi4E23TrivialOffsetCalculatorILi1EjESF_NS0_6memory15LoadWithoutCastENSG_16StoreWithoutCastEEEviT_T0_T2_T3_T4_T5_
    .private_segment_fixed_size: 0
    .sgpr_count:     18
    .sgpr_spill_count: 0
    .symbol:         _ZN2at6native27unrolled_elementwise_kernelIZZZNS0_17clamp_kernel_cudaERNS_18TensorIteratorBaseERKN3c106ScalarES7_ENKUlvE_clEvENKUlvE3_clEvEUlsE_St5arrayIPcLm2EELi4E23TrivialOffsetCalculatorILi1EjESF_NS0_6memory15LoadWithoutCastENSG_16StoreWithoutCastEEEviT_T0_T2_T3_T4_T5_.kd
    .uniform_work_group_size: 1
    .uses_dynamic_stack: false
    .vgpr_count:     9
    .vgpr_spill_count: 0
    .wavefront_size: 32
    .workgroup_processor_mode: 1
  - .args:
      - .offset:         0
        .size:           4
        .value_kind:     by_value
      - .offset:         8
        .size:           352
        .value_kind:     by_value
    .group_segment_fixed_size: 0
    .kernarg_segment_align: 8
    .kernarg_segment_size: 360
    .language:       OpenCL C
    .language_version:
      - 2
      - 0
    .max_flat_workgroup_size: 128
    .name:           _ZN2at6native32elementwise_kernel_manual_unrollILi128ELi8EZNS0_22gpu_kernel_impl_nocastIZZZNS0_17clamp_kernel_cudaERNS_18TensorIteratorBaseERKN3c106ScalarES8_ENKUlvE_clEvENKUlvE3_clEvEUlsE_EEvS4_RKT_EUlibE_EEviT1_
    .private_segment_fixed_size: 0
    .sgpr_count:     62
    .sgpr_spill_count: 0
    .symbol:         _ZN2at6native32elementwise_kernel_manual_unrollILi128ELi8EZNS0_22gpu_kernel_impl_nocastIZZZNS0_17clamp_kernel_cudaERNS_18TensorIteratorBaseERKN3c106ScalarES8_ENKUlvE_clEvENKUlvE3_clEvEUlsE_EEvS4_RKT_EUlibE_EEviT1_.kd
    .uniform_work_group_size: 1
    .uses_dynamic_stack: false
    .vgpr_count:     26
    .vgpr_spill_count: 0
    .wavefront_size: 32
    .workgroup_processor_mode: 1
  - .args:
      - .offset:         0
        .size:           4
        .value_kind:     by_value
      - .offset:         8
        .size:           32
        .value_kind:     by_value
    .group_segment_fixed_size: 0
    .kernarg_segment_align: 8
    .kernarg_segment_size: 40
    .language:       OpenCL C
    .language_version:
      - 2
      - 0
    .max_flat_workgroup_size: 128
    .name:           _ZN2at6native32elementwise_kernel_manual_unrollILi128ELi4EZNS0_15gpu_kernel_implIZZZNS0_17clamp_kernel_cudaERNS_18TensorIteratorBaseERKN3c106ScalarES8_ENKUlvE_clEvENKUlvE3_clEvEUlsE_EEvS4_RKT_EUlibE_EEviT1_
    .private_segment_fixed_size: 0
    .sgpr_count:     29
    .sgpr_spill_count: 0
    .symbol:         _ZN2at6native32elementwise_kernel_manual_unrollILi128ELi4EZNS0_15gpu_kernel_implIZZZNS0_17clamp_kernel_cudaERNS_18TensorIteratorBaseERKN3c106ScalarES8_ENKUlvE_clEvENKUlvE3_clEvEUlsE_EEvS4_RKT_EUlibE_EEviT1_.kd
    .uniform_work_group_size: 1
    .uses_dynamic_stack: false
    .vgpr_count:     13
    .vgpr_spill_count: 0
    .wavefront_size: 32
    .workgroup_processor_mode: 1
  - .args:
      - .offset:         0
        .size:           4
        .value_kind:     by_value
      - .offset:         8
        .size:           352
        .value_kind:     by_value
    .group_segment_fixed_size: 0
    .kernarg_segment_align: 8
    .kernarg_segment_size: 360
    .language:       OpenCL C
    .language_version:
      - 2
      - 0
    .max_flat_workgroup_size: 128
    .name:           _ZN2at6native32elementwise_kernel_manual_unrollILi128ELi4EZNS0_15gpu_kernel_implIZZZNS0_17clamp_kernel_cudaERNS_18TensorIteratorBaseERKN3c106ScalarES8_ENKUlvE_clEvENKUlvE3_clEvEUlsE_EEvS4_RKT_EUlibE0_EEviT1_
    .private_segment_fixed_size: 0
    .sgpr_count:     70
    .sgpr_spill_count: 0
    .symbol:         _ZN2at6native32elementwise_kernel_manual_unrollILi128ELi4EZNS0_15gpu_kernel_implIZZZNS0_17clamp_kernel_cudaERNS_18TensorIteratorBaseERKN3c106ScalarES8_ENKUlvE_clEvENKUlvE3_clEvEUlsE_EEvS4_RKT_EUlibE0_EEviT1_.kd
    .uniform_work_group_size: 1
    .uses_dynamic_stack: false
    .vgpr_count:     18
    .vgpr_spill_count: 0
    .wavefront_size: 32
    .workgroup_processor_mode: 1
  - .args:
      - .offset:         0
        .size:           4
        .value_kind:     by_value
      - .offset:         8
        .size:           16
        .value_kind:     by_value
      - .offset:         24
        .size:           16
        .value_kind:     by_value
    .group_segment_fixed_size: 0
    .kernarg_segment_align: 8
    .kernarg_segment_size: 40
    .language:       OpenCL C
    .language_version:
      - 2
      - 0
    .max_flat_workgroup_size: 256
    .name:           _ZN2at6native29vectorized_elementwise_kernelILi16EZZZNS0_17clamp_kernel_cudaERNS_18TensorIteratorBaseERKN3c106ScalarES7_ENKUlvE_clEvENKUlvE4_clEvEUldE_St5arrayIPcLm2EEEEviT0_T1_
    .private_segment_fixed_size: 0
    .sgpr_count:     18
    .sgpr_spill_count: 0
    .symbol:         _ZN2at6native29vectorized_elementwise_kernelILi16EZZZNS0_17clamp_kernel_cudaERNS_18TensorIteratorBaseERKN3c106ScalarES7_ENKUlvE_clEvENKUlvE4_clEvEUldE_St5arrayIPcLm2EEEEviT0_T1_.kd
    .uniform_work_group_size: 1
    .uses_dynamic_stack: false
    .vgpr_count:     24
    .vgpr_spill_count: 0
    .wavefront_size: 32
    .workgroup_processor_mode: 1
  - .args:
      - .offset:         0
        .size:           4
        .value_kind:     by_value
      - .offset:         8
        .size:           16
        .value_kind:     by_value
      - .offset:         24
        .size:           16
        .value_kind:     by_value
    .group_segment_fixed_size: 0
    .kernarg_segment_align: 8
    .kernarg_segment_size: 40
    .language:       OpenCL C
    .language_version:
      - 2
      - 0
    .max_flat_workgroup_size: 256
    .name:           _ZN2at6native29vectorized_elementwise_kernelILi8EZZZNS0_17clamp_kernel_cudaERNS_18TensorIteratorBaseERKN3c106ScalarES7_ENKUlvE_clEvENKUlvE4_clEvEUldE_St5arrayIPcLm2EEEEviT0_T1_
    .private_segment_fixed_size: 0
    .sgpr_count:     18
    .sgpr_spill_count: 0
    .symbol:         _ZN2at6native29vectorized_elementwise_kernelILi8EZZZNS0_17clamp_kernel_cudaERNS_18TensorIteratorBaseERKN3c106ScalarES7_ENKUlvE_clEvENKUlvE4_clEvEUldE_St5arrayIPcLm2EEEEviT0_T1_.kd
    .uniform_work_group_size: 1
    .uses_dynamic_stack: false
    .vgpr_count:     24
    .vgpr_spill_count: 0
    .wavefront_size: 32
    .workgroup_processor_mode: 1
  - .args:
      - .offset:         0
        .size:           4
        .value_kind:     by_value
      - .offset:         8
        .size:           16
        .value_kind:     by_value
      - .offset:         24
        .size:           16
        .value_kind:     by_value
    .group_segment_fixed_size: 0
    .kernarg_segment_align: 8
    .kernarg_segment_size: 40
    .language:       OpenCL C
    .language_version:
      - 2
      - 0
    .max_flat_workgroup_size: 256
    .name:           _ZN2at6native29vectorized_elementwise_kernelILi4EZZZNS0_17clamp_kernel_cudaERNS_18TensorIteratorBaseERKN3c106ScalarES7_ENKUlvE_clEvENKUlvE4_clEvEUldE_St5arrayIPcLm2EEEEviT0_T1_
    .private_segment_fixed_size: 0
    .sgpr_count:     18
    .sgpr_spill_count: 0
    .symbol:         _ZN2at6native29vectorized_elementwise_kernelILi4EZZZNS0_17clamp_kernel_cudaERNS_18TensorIteratorBaseERKN3c106ScalarES7_ENKUlvE_clEvENKUlvE4_clEvEUldE_St5arrayIPcLm2EEEEviT0_T1_.kd
    .uniform_work_group_size: 1
    .uses_dynamic_stack: false
    .vgpr_count:     24
    .vgpr_spill_count: 0
    .wavefront_size: 32
    .workgroup_processor_mode: 1
  - .args:
      - .offset:         0
        .size:           4
        .value_kind:     by_value
      - .offset:         8
        .size:           16
        .value_kind:     by_value
      - .offset:         24
        .size:           16
        .value_kind:     by_value
    .group_segment_fixed_size: 0
    .kernarg_segment_align: 8
    .kernarg_segment_size: 40
    .language:       OpenCL C
    .language_version:
      - 2
      - 0
    .max_flat_workgroup_size: 256
    .name:           _ZN2at6native29vectorized_elementwise_kernelILi2EZZZNS0_17clamp_kernel_cudaERNS_18TensorIteratorBaseERKN3c106ScalarES7_ENKUlvE_clEvENKUlvE4_clEvEUldE_St5arrayIPcLm2EEEEviT0_T1_
    .private_segment_fixed_size: 0
    .sgpr_count:     18
    .sgpr_spill_count: 0
    .symbol:         _ZN2at6native29vectorized_elementwise_kernelILi2EZZZNS0_17clamp_kernel_cudaERNS_18TensorIteratorBaseERKN3c106ScalarES7_ENKUlvE_clEvENKUlvE4_clEvEUldE_St5arrayIPcLm2EEEEviT0_T1_.kd
    .uniform_work_group_size: 1
    .uses_dynamic_stack: false
    .vgpr_count:     24
    .vgpr_spill_count: 0
    .wavefront_size: 32
    .workgroup_processor_mode: 1
  - .args:
      - .offset:         0
        .size:           4
        .value_kind:     by_value
      - .offset:         8
        .size:           16
        .value_kind:     by_value
      - .offset:         24
        .size:           16
        .value_kind:     by_value
      - .offset:         40
        .size:           1
        .value_kind:     by_value
      - .offset:         41
        .size:           1
        .value_kind:     by_value
      - .offset:         42
        .size:           1
        .value_kind:     by_value
      - .offset:         43
        .size:           1
        .value_kind:     by_value
    .group_segment_fixed_size: 0
    .kernarg_segment_align: 8
    .kernarg_segment_size: 44
    .language:       OpenCL C
    .language_version:
      - 2
      - 0
    .max_flat_workgroup_size: 256
    .name:           _ZN2at6native27unrolled_elementwise_kernelIZZZNS0_17clamp_kernel_cudaERNS_18TensorIteratorBaseERKN3c106ScalarES7_ENKUlvE_clEvENKUlvE4_clEvEUldE_St5arrayIPcLm2EELi4E23TrivialOffsetCalculatorILi1EjESF_NS0_6memory15LoadWithoutCastENSG_16StoreWithoutCastEEEviT_T0_T2_T3_T4_T5_
    .private_segment_fixed_size: 0
    .sgpr_count:     18
    .sgpr_spill_count: 0
    .symbol:         _ZN2at6native27unrolled_elementwise_kernelIZZZNS0_17clamp_kernel_cudaERNS_18TensorIteratorBaseERKN3c106ScalarES7_ENKUlvE_clEvENKUlvE4_clEvEUldE_St5arrayIPcLm2EELi4E23TrivialOffsetCalculatorILi1EjESF_NS0_6memory15LoadWithoutCastENSG_16StoreWithoutCastEEEviT_T0_T2_T3_T4_T5_.kd
    .uniform_work_group_size: 1
    .uses_dynamic_stack: false
    .vgpr_count:     24
    .vgpr_spill_count: 0
    .wavefront_size: 32
    .workgroup_processor_mode: 1
  - .args:
      - .offset:         0
        .size:           4
        .value_kind:     by_value
      - .offset:         8
        .size:           360
        .value_kind:     by_value
    .group_segment_fixed_size: 0
    .kernarg_segment_align: 8
    .kernarg_segment_size: 368
    .language:       OpenCL C
    .language_version:
      - 2
      - 0
    .max_flat_workgroup_size: 128
    .name:           _ZN2at6native32elementwise_kernel_manual_unrollILi128ELi4EZNS0_22gpu_kernel_impl_nocastIZZZNS0_17clamp_kernel_cudaERNS_18TensorIteratorBaseERKN3c106ScalarES8_ENKUlvE_clEvENKUlvE4_clEvEUldE_EEvS4_RKT_EUlibE_EEviT1_
    .private_segment_fixed_size: 0
    .sgpr_count:     62
    .sgpr_spill_count: 0
    .symbol:         _ZN2at6native32elementwise_kernel_manual_unrollILi128ELi4EZNS0_22gpu_kernel_impl_nocastIZZZNS0_17clamp_kernel_cudaERNS_18TensorIteratorBaseERKN3c106ScalarES8_ENKUlvE_clEvENKUlvE4_clEvEUldE_EEvS4_RKT_EUlibE_EEviT1_.kd
    .uniform_work_group_size: 1
    .uses_dynamic_stack: false
    .vgpr_count:     28
    .vgpr_spill_count: 0
    .wavefront_size: 32
    .workgroup_processor_mode: 1
  - .args:
      - .offset:         0
        .size:           4
        .value_kind:     by_value
      - .offset:         8
        .size:           48
        .value_kind:     by_value
    .group_segment_fixed_size: 0
    .kernarg_segment_align: 8
    .kernarg_segment_size: 56
    .language:       OpenCL C
    .language_version:
      - 2
      - 0
    .max_flat_workgroup_size: 128
    .name:           _ZN2at6native32elementwise_kernel_manual_unrollILi128ELi4EZNS0_15gpu_kernel_implIZZZNS0_17clamp_kernel_cudaERNS_18TensorIteratorBaseERKN3c106ScalarES8_ENKUlvE_clEvENKUlvE4_clEvEUldE_EEvS4_RKT_EUlibE_EEviT1_
    .private_segment_fixed_size: 0
    .sgpr_count:     32
    .sgpr_spill_count: 0
    .symbol:         _ZN2at6native32elementwise_kernel_manual_unrollILi128ELi4EZNS0_15gpu_kernel_implIZZZNS0_17clamp_kernel_cudaERNS_18TensorIteratorBaseERKN3c106ScalarES8_ENKUlvE_clEvENKUlvE4_clEvEUldE_EEvS4_RKT_EUlibE_EEviT1_.kd
    .uniform_work_group_size: 1
    .uses_dynamic_stack: false
    .vgpr_count:     20
    .vgpr_spill_count: 0
    .wavefront_size: 32
    .workgroup_processor_mode: 1
  - .args:
      - .offset:         0
        .size:           4
        .value_kind:     by_value
      - .offset:         8
        .size:           368
        .value_kind:     by_value
    .group_segment_fixed_size: 0
    .kernarg_segment_align: 8
    .kernarg_segment_size: 376
    .language:       OpenCL C
    .language_version:
      - 2
      - 0
    .max_flat_workgroup_size: 128
    .name:           _ZN2at6native32elementwise_kernel_manual_unrollILi128ELi4EZNS0_15gpu_kernel_implIZZZNS0_17clamp_kernel_cudaERNS_18TensorIteratorBaseERKN3c106ScalarES8_ENKUlvE_clEvENKUlvE4_clEvEUldE_EEvS4_RKT_EUlibE0_EEviT1_
    .private_segment_fixed_size: 0
    .sgpr_count:     74
    .sgpr_spill_count: 0
    .symbol:         _ZN2at6native32elementwise_kernel_manual_unrollILi128ELi4EZNS0_15gpu_kernel_implIZZZNS0_17clamp_kernel_cudaERNS_18TensorIteratorBaseERKN3c106ScalarES8_ENKUlvE_clEvENKUlvE4_clEvEUldE_EEvS4_RKT_EUlibE0_EEviT1_.kd
    .uniform_work_group_size: 1
    .uses_dynamic_stack: false
    .vgpr_count:     21
    .vgpr_spill_count: 0
    .wavefront_size: 32
    .workgroup_processor_mode: 1
  - .args:
      - .offset:         0
        .size:           4
        .value_kind:     by_value
      - .offset:         4
        .size:           8
        .value_kind:     by_value
      - .offset:         16
        .size:           16
        .value_kind:     by_value
    .group_segment_fixed_size: 0
    .kernarg_segment_align: 8
    .kernarg_segment_size: 32
    .language:       OpenCL C
    .language_version:
      - 2
      - 0
    .max_flat_workgroup_size: 256
    .name:           _ZN2at6native29vectorized_elementwise_kernelILi16EZZZNS0_17clamp_kernel_cudaERNS_18TensorIteratorBaseERKN3c106ScalarES7_ENKUlvE_clEvENKUlvE5_clEvEUlfE_St5arrayIPcLm2EEEEviT0_T1_
    .private_segment_fixed_size: 0
    .sgpr_count:     18
    .sgpr_spill_count: 0
    .symbol:         _ZN2at6native29vectorized_elementwise_kernelILi16EZZZNS0_17clamp_kernel_cudaERNS_18TensorIteratorBaseERKN3c106ScalarES7_ENKUlvE_clEvENKUlvE5_clEvEUlfE_St5arrayIPcLm2EEEEviT0_T1_.kd
    .uniform_work_group_size: 1
    .uses_dynamic_stack: false
    .vgpr_count:     13
    .vgpr_spill_count: 0
    .wavefront_size: 32
    .workgroup_processor_mode: 1
  - .args:
      - .offset:         0
        .size:           4
        .value_kind:     by_value
      - .offset:         4
        .size:           8
        .value_kind:     by_value
      - .offset:         16
        .size:           16
        .value_kind:     by_value
    .group_segment_fixed_size: 0
    .kernarg_segment_align: 8
    .kernarg_segment_size: 32
    .language:       OpenCL C
    .language_version:
      - 2
      - 0
    .max_flat_workgroup_size: 256
    .name:           _ZN2at6native29vectorized_elementwise_kernelILi8EZZZNS0_17clamp_kernel_cudaERNS_18TensorIteratorBaseERKN3c106ScalarES7_ENKUlvE_clEvENKUlvE5_clEvEUlfE_St5arrayIPcLm2EEEEviT0_T1_
    .private_segment_fixed_size: 0
    .sgpr_count:     18
    .sgpr_spill_count: 0
    .symbol:         _ZN2at6native29vectorized_elementwise_kernelILi8EZZZNS0_17clamp_kernel_cudaERNS_18TensorIteratorBaseERKN3c106ScalarES7_ENKUlvE_clEvENKUlvE5_clEvEUlfE_St5arrayIPcLm2EEEEviT0_T1_.kd
    .uniform_work_group_size: 1
    .uses_dynamic_stack: false
    .vgpr_count:     13
    .vgpr_spill_count: 0
    .wavefront_size: 32
    .workgroup_processor_mode: 1
  - .args:
      - .offset:         0
        .size:           4
        .value_kind:     by_value
      - .offset:         4
        .size:           8
        .value_kind:     by_value
      - .offset:         16
        .size:           16
        .value_kind:     by_value
    .group_segment_fixed_size: 0
    .kernarg_segment_align: 8
    .kernarg_segment_size: 32
    .language:       OpenCL C
    .language_version:
      - 2
      - 0
    .max_flat_workgroup_size: 256
    .name:           _ZN2at6native29vectorized_elementwise_kernelILi4EZZZNS0_17clamp_kernel_cudaERNS_18TensorIteratorBaseERKN3c106ScalarES7_ENKUlvE_clEvENKUlvE5_clEvEUlfE_St5arrayIPcLm2EEEEviT0_T1_
    .private_segment_fixed_size: 0
    .sgpr_count:     18
    .sgpr_spill_count: 0
    .symbol:         _ZN2at6native29vectorized_elementwise_kernelILi4EZZZNS0_17clamp_kernel_cudaERNS_18TensorIteratorBaseERKN3c106ScalarES7_ENKUlvE_clEvENKUlvE5_clEvEUlfE_St5arrayIPcLm2EEEEviT0_T1_.kd
    .uniform_work_group_size: 1
    .uses_dynamic_stack: false
    .vgpr_count:     13
    .vgpr_spill_count: 0
    .wavefront_size: 32
    .workgroup_processor_mode: 1
  - .args:
      - .offset:         0
        .size:           4
        .value_kind:     by_value
      - .offset:         4
        .size:           8
        .value_kind:     by_value
      - .offset:         16
        .size:           16
        .value_kind:     by_value
    .group_segment_fixed_size: 0
    .kernarg_segment_align: 8
    .kernarg_segment_size: 32
    .language:       OpenCL C
    .language_version:
      - 2
      - 0
    .max_flat_workgroup_size: 256
    .name:           _ZN2at6native29vectorized_elementwise_kernelILi2EZZZNS0_17clamp_kernel_cudaERNS_18TensorIteratorBaseERKN3c106ScalarES7_ENKUlvE_clEvENKUlvE5_clEvEUlfE_St5arrayIPcLm2EEEEviT0_T1_
    .private_segment_fixed_size: 0
    .sgpr_count:     18
    .sgpr_spill_count: 0
    .symbol:         _ZN2at6native29vectorized_elementwise_kernelILi2EZZZNS0_17clamp_kernel_cudaERNS_18TensorIteratorBaseERKN3c106ScalarES7_ENKUlvE_clEvENKUlvE5_clEvEUlfE_St5arrayIPcLm2EEEEviT0_T1_.kd
    .uniform_work_group_size: 1
    .uses_dynamic_stack: false
    .vgpr_count:     13
    .vgpr_spill_count: 0
    .wavefront_size: 32
    .workgroup_processor_mode: 1
  - .args:
      - .offset:         0
        .size:           4
        .value_kind:     by_value
      - .offset:         4
        .size:           8
        .value_kind:     by_value
      - .offset:         16
        .size:           16
        .value_kind:     by_value
      - .offset:         32
        .size:           1
        .value_kind:     by_value
      - .offset:         33
        .size:           1
        .value_kind:     by_value
      - .offset:         34
        .size:           1
        .value_kind:     by_value
      - .offset:         35
        .size:           1
        .value_kind:     by_value
    .group_segment_fixed_size: 0
    .kernarg_segment_align: 8
    .kernarg_segment_size: 36
    .language:       OpenCL C
    .language_version:
      - 2
      - 0
    .max_flat_workgroup_size: 256
    .name:           _ZN2at6native27unrolled_elementwise_kernelIZZZNS0_17clamp_kernel_cudaERNS_18TensorIteratorBaseERKN3c106ScalarES7_ENKUlvE_clEvENKUlvE5_clEvEUlfE_St5arrayIPcLm2EELi4E23TrivialOffsetCalculatorILi1EjESF_NS0_6memory15LoadWithoutCastENSG_16StoreWithoutCastEEEviT_T0_T2_T3_T4_T5_
    .private_segment_fixed_size: 0
    .sgpr_count:     18
    .sgpr_spill_count: 0
    .symbol:         _ZN2at6native27unrolled_elementwise_kernelIZZZNS0_17clamp_kernel_cudaERNS_18TensorIteratorBaseERKN3c106ScalarES7_ENKUlvE_clEvENKUlvE5_clEvEUlfE_St5arrayIPcLm2EELi4E23TrivialOffsetCalculatorILi1EjESF_NS0_6memory15LoadWithoutCastENSG_16StoreWithoutCastEEEviT_T0_T2_T3_T4_T5_.kd
    .uniform_work_group_size: 1
    .uses_dynamic_stack: false
    .vgpr_count:     14
    .vgpr_spill_count: 0
    .wavefront_size: 32
    .workgroup_processor_mode: 1
  - .args:
      - .offset:         0
        .size:           4
        .value_kind:     by_value
      - .offset:         8
        .size:           352
        .value_kind:     by_value
    .group_segment_fixed_size: 0
    .kernarg_segment_align: 8
    .kernarg_segment_size: 360
    .language:       OpenCL C
    .language_version:
      - 2
      - 0
    .max_flat_workgroup_size: 128
    .name:           _ZN2at6native32elementwise_kernel_manual_unrollILi128ELi4EZNS0_22gpu_kernel_impl_nocastIZZZNS0_17clamp_kernel_cudaERNS_18TensorIteratorBaseERKN3c106ScalarES8_ENKUlvE_clEvENKUlvE5_clEvEUlfE_EEvS4_RKT_EUlibE_EEviT1_
    .private_segment_fixed_size: 0
    .sgpr_count:     62
    .sgpr_spill_count: 0
    .symbol:         _ZN2at6native32elementwise_kernel_manual_unrollILi128ELi4EZNS0_22gpu_kernel_impl_nocastIZZZNS0_17clamp_kernel_cudaERNS_18TensorIteratorBaseERKN3c106ScalarES8_ENKUlvE_clEvENKUlvE5_clEvEUlfE_EEvS4_RKT_EUlibE_EEviT1_.kd
    .uniform_work_group_size: 1
    .uses_dynamic_stack: false
    .vgpr_count:     18
    .vgpr_spill_count: 0
    .wavefront_size: 32
    .workgroup_processor_mode: 1
  - .args:
      - .offset:         0
        .size:           4
        .value_kind:     by_value
      - .offset:         8
        .size:           40
        .value_kind:     by_value
    .group_segment_fixed_size: 0
    .kernarg_segment_align: 8
    .kernarg_segment_size: 48
    .language:       OpenCL C
    .language_version:
      - 2
      - 0
    .max_flat_workgroup_size: 128
    .name:           _ZN2at6native32elementwise_kernel_manual_unrollILi128ELi4EZNS0_15gpu_kernel_implIZZZNS0_17clamp_kernel_cudaERNS_18TensorIteratorBaseERKN3c106ScalarES8_ENKUlvE_clEvENKUlvE5_clEvEUlfE_EEvS4_RKT_EUlibE_EEviT1_
    .private_segment_fixed_size: 0
    .sgpr_count:     29
    .sgpr_spill_count: 0
    .symbol:         _ZN2at6native32elementwise_kernel_manual_unrollILi128ELi4EZNS0_15gpu_kernel_implIZZZNS0_17clamp_kernel_cudaERNS_18TensorIteratorBaseERKN3c106ScalarES8_ENKUlvE_clEvENKUlvE5_clEvEUlfE_EEvS4_RKT_EUlibE_EEviT1_.kd
    .uniform_work_group_size: 1
    .uses_dynamic_stack: false
    .vgpr_count:     15
    .vgpr_spill_count: 0
    .wavefront_size: 32
    .workgroup_processor_mode: 1
  - .args:
      - .offset:         0
        .size:           4
        .value_kind:     by_value
      - .offset:         8
        .size:           360
        .value_kind:     by_value
    .group_segment_fixed_size: 0
    .kernarg_segment_align: 8
    .kernarg_segment_size: 368
    .language:       OpenCL C
    .language_version:
      - 2
      - 0
    .max_flat_workgroup_size: 128
    .name:           _ZN2at6native32elementwise_kernel_manual_unrollILi128ELi4EZNS0_15gpu_kernel_implIZZZNS0_17clamp_kernel_cudaERNS_18TensorIteratorBaseERKN3c106ScalarES8_ENKUlvE_clEvENKUlvE5_clEvEUlfE_EEvS4_RKT_EUlibE0_EEviT1_
    .private_segment_fixed_size: 0
    .sgpr_count:     70
    .sgpr_spill_count: 0
    .symbol:         _ZN2at6native32elementwise_kernel_manual_unrollILi128ELi4EZNS0_15gpu_kernel_implIZZZNS0_17clamp_kernel_cudaERNS_18TensorIteratorBaseERKN3c106ScalarES8_ENKUlvE_clEvENKUlvE5_clEvEUlfE_EEvS4_RKT_EUlibE0_EEviT1_.kd
    .uniform_work_group_size: 1
    .uses_dynamic_stack: false
    .vgpr_count:     18
    .vgpr_spill_count: 0
    .wavefront_size: 32
    .workgroup_processor_mode: 1
  - .args:
      - .offset:         0
        .size:           4
        .value_kind:     by_value
      - .offset:         4
        .size:           4
        .value_kind:     by_value
      - .offset:         8
        .size:           16
        .value_kind:     by_value
    .group_segment_fixed_size: 0
    .kernarg_segment_align: 8
    .kernarg_segment_size: 24
    .language:       OpenCL C
    .language_version:
      - 2
      - 0
    .max_flat_workgroup_size: 256
    .name:           _ZN2at6native29vectorized_elementwise_kernelILi16EZZZNS0_17clamp_kernel_cudaERNS_18TensorIteratorBaseERKN3c106ScalarES7_ENKUlvE_clEvENKUlvE6_clEvEUlNS4_4HalfEE_St5arrayIPcLm2EEEEviT0_T1_
    .private_segment_fixed_size: 0
    .sgpr_count:     18
    .sgpr_spill_count: 0
    .symbol:         _ZN2at6native29vectorized_elementwise_kernelILi16EZZZNS0_17clamp_kernel_cudaERNS_18TensorIteratorBaseERKN3c106ScalarES7_ENKUlvE_clEvENKUlvE6_clEvEUlNS4_4HalfEE_St5arrayIPcLm2EEEEviT0_T1_.kd
    .uniform_work_group_size: 1
    .uses_dynamic_stack: false
    .vgpr_count:     18
    .vgpr_spill_count: 0
    .wavefront_size: 32
    .workgroup_processor_mode: 1
  - .args:
      - .offset:         0
        .size:           4
        .value_kind:     by_value
      - .offset:         4
        .size:           4
        .value_kind:     by_value
      - .offset:         8
        .size:           16
        .value_kind:     by_value
    .group_segment_fixed_size: 0
    .kernarg_segment_align: 8
    .kernarg_segment_size: 24
    .language:       OpenCL C
    .language_version:
      - 2
      - 0
    .max_flat_workgroup_size: 256
    .name:           _ZN2at6native29vectorized_elementwise_kernelILi8EZZZNS0_17clamp_kernel_cudaERNS_18TensorIteratorBaseERKN3c106ScalarES7_ENKUlvE_clEvENKUlvE6_clEvEUlNS4_4HalfEE_St5arrayIPcLm2EEEEviT0_T1_
    .private_segment_fixed_size: 0
    .sgpr_count:     18
    .sgpr_spill_count: 0
    .symbol:         _ZN2at6native29vectorized_elementwise_kernelILi8EZZZNS0_17clamp_kernel_cudaERNS_18TensorIteratorBaseERKN3c106ScalarES7_ENKUlvE_clEvENKUlvE6_clEvEUlNS4_4HalfEE_St5arrayIPcLm2EEEEviT0_T1_.kd
    .uniform_work_group_size: 1
    .uses_dynamic_stack: false
    .vgpr_count:     18
    .vgpr_spill_count: 0
    .wavefront_size: 32
    .workgroup_processor_mode: 1
  - .args:
      - .offset:         0
        .size:           4
        .value_kind:     by_value
      - .offset:         4
        .size:           4
        .value_kind:     by_value
      - .offset:         8
        .size:           16
        .value_kind:     by_value
    .group_segment_fixed_size: 0
    .kernarg_segment_align: 8
    .kernarg_segment_size: 24
    .language:       OpenCL C
    .language_version:
      - 2
      - 0
    .max_flat_workgroup_size: 256
    .name:           _ZN2at6native29vectorized_elementwise_kernelILi4EZZZNS0_17clamp_kernel_cudaERNS_18TensorIteratorBaseERKN3c106ScalarES7_ENKUlvE_clEvENKUlvE6_clEvEUlNS4_4HalfEE_St5arrayIPcLm2EEEEviT0_T1_
    .private_segment_fixed_size: 0
    .sgpr_count:     18
    .sgpr_spill_count: 0
    .symbol:         _ZN2at6native29vectorized_elementwise_kernelILi4EZZZNS0_17clamp_kernel_cudaERNS_18TensorIteratorBaseERKN3c106ScalarES7_ENKUlvE_clEvENKUlvE6_clEvEUlNS4_4HalfEE_St5arrayIPcLm2EEEEviT0_T1_.kd
    .uniform_work_group_size: 1
    .uses_dynamic_stack: false
    .vgpr_count:     18
    .vgpr_spill_count: 0
    .wavefront_size: 32
    .workgroup_processor_mode: 1
  - .args:
      - .offset:         0
        .size:           4
        .value_kind:     by_value
      - .offset:         4
        .size:           4
        .value_kind:     by_value
      - .offset:         8
        .size:           16
        .value_kind:     by_value
    .group_segment_fixed_size: 0
    .kernarg_segment_align: 8
    .kernarg_segment_size: 24
    .language:       OpenCL C
    .language_version:
      - 2
      - 0
    .max_flat_workgroup_size: 256
    .name:           _ZN2at6native29vectorized_elementwise_kernelILi2EZZZNS0_17clamp_kernel_cudaERNS_18TensorIteratorBaseERKN3c106ScalarES7_ENKUlvE_clEvENKUlvE6_clEvEUlNS4_4HalfEE_St5arrayIPcLm2EEEEviT0_T1_
    .private_segment_fixed_size: 0
    .sgpr_count:     18
    .sgpr_spill_count: 0
    .symbol:         _ZN2at6native29vectorized_elementwise_kernelILi2EZZZNS0_17clamp_kernel_cudaERNS_18TensorIteratorBaseERKN3c106ScalarES7_ENKUlvE_clEvENKUlvE6_clEvEUlNS4_4HalfEE_St5arrayIPcLm2EEEEviT0_T1_.kd
    .uniform_work_group_size: 1
    .uses_dynamic_stack: false
    .vgpr_count:     18
    .vgpr_spill_count: 0
    .wavefront_size: 32
    .workgroup_processor_mode: 1
  - .args:
      - .offset:         0
        .size:           4
        .value_kind:     by_value
      - .offset:         4
        .size:           4
        .value_kind:     by_value
      - .offset:         8
        .size:           16
        .value_kind:     by_value
      - .offset:         24
        .size:           1
        .value_kind:     by_value
      - .offset:         25
        .size:           1
        .value_kind:     by_value
      - .offset:         26
        .size:           1
        .value_kind:     by_value
      - .offset:         27
        .size:           1
        .value_kind:     by_value
    .group_segment_fixed_size: 0
    .kernarg_segment_align: 8
    .kernarg_segment_size: 28
    .language:       OpenCL C
    .language_version:
      - 2
      - 0
    .max_flat_workgroup_size: 256
    .name:           _ZN2at6native27unrolled_elementwise_kernelIZZZNS0_17clamp_kernel_cudaERNS_18TensorIteratorBaseERKN3c106ScalarES7_ENKUlvE_clEvENKUlvE6_clEvEUlNS4_4HalfEE_St5arrayIPcLm2EELi4E23TrivialOffsetCalculatorILi1EjESG_NS0_6memory15LoadWithoutCastENSH_16StoreWithoutCastEEEviT_T0_T2_T3_T4_T5_
    .private_segment_fixed_size: 0
    .sgpr_count:     18
    .sgpr_spill_count: 0
    .symbol:         _ZN2at6native27unrolled_elementwise_kernelIZZZNS0_17clamp_kernel_cudaERNS_18TensorIteratorBaseERKN3c106ScalarES7_ENKUlvE_clEvENKUlvE6_clEvEUlNS4_4HalfEE_St5arrayIPcLm2EELi4E23TrivialOffsetCalculatorILi1EjESG_NS0_6memory15LoadWithoutCastENSH_16StoreWithoutCastEEEviT_T0_T2_T3_T4_T5_.kd
    .uniform_work_group_size: 1
    .uses_dynamic_stack: false
    .vgpr_count:     11
    .vgpr_spill_count: 0
    .wavefront_size: 32
    .workgroup_processor_mode: 1
  - .args:
      - .offset:         0
        .size:           4
        .value_kind:     by_value
      - .offset:         8
        .size:           352
        .value_kind:     by_value
    .group_segment_fixed_size: 0
    .kernarg_segment_align: 8
    .kernarg_segment_size: 360
    .language:       OpenCL C
    .language_version:
      - 2
      - 0
    .max_flat_workgroup_size: 128
    .name:           _ZN2at6native32elementwise_kernel_manual_unrollILi128ELi8EZNS0_22gpu_kernel_impl_nocastIZZZNS0_17clamp_kernel_cudaERNS_18TensorIteratorBaseERKN3c106ScalarES8_ENKUlvE_clEvENKUlvE6_clEvEUlNS5_4HalfEE_EEvS4_RKT_EUlibE_EEviT1_
    .private_segment_fixed_size: 0
    .sgpr_count:     62
    .sgpr_spill_count: 0
    .symbol:         _ZN2at6native32elementwise_kernel_manual_unrollILi128ELi8EZNS0_22gpu_kernel_impl_nocastIZZZNS0_17clamp_kernel_cudaERNS_18TensorIteratorBaseERKN3c106ScalarES8_ENKUlvE_clEvENKUlvE6_clEvEUlNS5_4HalfEE_EEvS4_RKT_EUlibE_EEviT1_.kd
    .uniform_work_group_size: 1
    .uses_dynamic_stack: false
    .vgpr_count:     26
    .vgpr_spill_count: 0
    .wavefront_size: 32
    .workgroup_processor_mode: 1
  - .args:
      - .offset:         0
        .size:           4
        .value_kind:     by_value
      - .offset:         8
        .size:           32
        .value_kind:     by_value
    .group_segment_fixed_size: 0
    .kernarg_segment_align: 8
    .kernarg_segment_size: 40
    .language:       OpenCL C
    .language_version:
      - 2
      - 0
    .max_flat_workgroup_size: 128
    .name:           _ZN2at6native32elementwise_kernel_manual_unrollILi128ELi4EZNS0_15gpu_kernel_implIZZZNS0_17clamp_kernel_cudaERNS_18TensorIteratorBaseERKN3c106ScalarES8_ENKUlvE_clEvENKUlvE6_clEvEUlNS5_4HalfEE_EEvS4_RKT_EUlibE_EEviT1_
    .private_segment_fixed_size: 0
    .sgpr_count:     29
    .sgpr_spill_count: 0
    .symbol:         _ZN2at6native32elementwise_kernel_manual_unrollILi128ELi4EZNS0_15gpu_kernel_implIZZZNS0_17clamp_kernel_cudaERNS_18TensorIteratorBaseERKN3c106ScalarES8_ENKUlvE_clEvENKUlvE6_clEvEUlNS5_4HalfEE_EEvS4_RKT_EUlibE_EEviT1_.kd
    .uniform_work_group_size: 1
    .uses_dynamic_stack: false
    .vgpr_count:     13
    .vgpr_spill_count: 0
    .wavefront_size: 32
    .workgroup_processor_mode: 1
  - .args:
      - .offset:         0
        .size:           4
        .value_kind:     by_value
      - .offset:         8
        .size:           352
        .value_kind:     by_value
    .group_segment_fixed_size: 0
    .kernarg_segment_align: 8
    .kernarg_segment_size: 360
    .language:       OpenCL C
    .language_version:
      - 2
      - 0
    .max_flat_workgroup_size: 128
    .name:           _ZN2at6native32elementwise_kernel_manual_unrollILi128ELi4EZNS0_15gpu_kernel_implIZZZNS0_17clamp_kernel_cudaERNS_18TensorIteratorBaseERKN3c106ScalarES8_ENKUlvE_clEvENKUlvE6_clEvEUlNS5_4HalfEE_EEvS4_RKT_EUlibE0_EEviT1_
    .private_segment_fixed_size: 0
    .sgpr_count:     70
    .sgpr_spill_count: 0
    .symbol:         _ZN2at6native32elementwise_kernel_manual_unrollILi128ELi4EZNS0_15gpu_kernel_implIZZZNS0_17clamp_kernel_cudaERNS_18TensorIteratorBaseERKN3c106ScalarES8_ENKUlvE_clEvENKUlvE6_clEvEUlNS5_4HalfEE_EEvS4_RKT_EUlibE0_EEviT1_.kd
    .uniform_work_group_size: 1
    .uses_dynamic_stack: false
    .vgpr_count:     18
    .vgpr_spill_count: 0
    .wavefront_size: 32
    .workgroup_processor_mode: 1
  - .args:
      - .offset:         0
        .size:           4
        .value_kind:     by_value
      - .offset:         4
        .size:           4
        .value_kind:     by_value
      - .offset:         8
        .size:           16
        .value_kind:     by_value
    .group_segment_fixed_size: 0
    .kernarg_segment_align: 8
    .kernarg_segment_size: 24
    .language:       OpenCL C
    .language_version:
      - 2
      - 0
    .max_flat_workgroup_size: 256
    .name:           _ZN2at6native29vectorized_elementwise_kernelILi16EZZZNS0_17clamp_kernel_cudaERNS_18TensorIteratorBaseERKN3c106ScalarES7_ENKUlvE_clEvENKUlvE7_clEvEUlNS4_8BFloat16EE_St5arrayIPcLm2EEEEviT0_T1_
    .private_segment_fixed_size: 0
    .sgpr_count:     18
    .sgpr_spill_count: 0
    .symbol:         _ZN2at6native29vectorized_elementwise_kernelILi16EZZZNS0_17clamp_kernel_cudaERNS_18TensorIteratorBaseERKN3c106ScalarES7_ENKUlvE_clEvENKUlvE7_clEvEUlNS4_8BFloat16EE_St5arrayIPcLm2EEEEviT0_T1_.kd
    .uniform_work_group_size: 1
    .uses_dynamic_stack: false
    .vgpr_count:     34
    .vgpr_spill_count: 0
    .wavefront_size: 32
    .workgroup_processor_mode: 1
  - .args:
      - .offset:         0
        .size:           4
        .value_kind:     by_value
      - .offset:         4
        .size:           4
        .value_kind:     by_value
      - .offset:         8
        .size:           16
        .value_kind:     by_value
    .group_segment_fixed_size: 0
    .kernarg_segment_align: 8
    .kernarg_segment_size: 24
    .language:       OpenCL C
    .language_version:
      - 2
      - 0
    .max_flat_workgroup_size: 256
    .name:           _ZN2at6native29vectorized_elementwise_kernelILi8EZZZNS0_17clamp_kernel_cudaERNS_18TensorIteratorBaseERKN3c106ScalarES7_ENKUlvE_clEvENKUlvE7_clEvEUlNS4_8BFloat16EE_St5arrayIPcLm2EEEEviT0_T1_
    .private_segment_fixed_size: 0
    .sgpr_count:     18
    .sgpr_spill_count: 0
    .symbol:         _ZN2at6native29vectorized_elementwise_kernelILi8EZZZNS0_17clamp_kernel_cudaERNS_18TensorIteratorBaseERKN3c106ScalarES7_ENKUlvE_clEvENKUlvE7_clEvEUlNS4_8BFloat16EE_St5arrayIPcLm2EEEEviT0_T1_.kd
    .uniform_work_group_size: 1
    .uses_dynamic_stack: false
    .vgpr_count:     34
    .vgpr_spill_count: 0
    .wavefront_size: 32
    .workgroup_processor_mode: 1
  - .args:
      - .offset:         0
        .size:           4
        .value_kind:     by_value
      - .offset:         4
        .size:           4
        .value_kind:     by_value
      - .offset:         8
        .size:           16
        .value_kind:     by_value
    .group_segment_fixed_size: 0
    .kernarg_segment_align: 8
    .kernarg_segment_size: 24
    .language:       OpenCL C
    .language_version:
      - 2
      - 0
    .max_flat_workgroup_size: 256
    .name:           _ZN2at6native29vectorized_elementwise_kernelILi4EZZZNS0_17clamp_kernel_cudaERNS_18TensorIteratorBaseERKN3c106ScalarES7_ENKUlvE_clEvENKUlvE7_clEvEUlNS4_8BFloat16EE_St5arrayIPcLm2EEEEviT0_T1_
    .private_segment_fixed_size: 0
    .sgpr_count:     18
    .sgpr_spill_count: 0
    .symbol:         _ZN2at6native29vectorized_elementwise_kernelILi4EZZZNS0_17clamp_kernel_cudaERNS_18TensorIteratorBaseERKN3c106ScalarES7_ENKUlvE_clEvENKUlvE7_clEvEUlNS4_8BFloat16EE_St5arrayIPcLm2EEEEviT0_T1_.kd
    .uniform_work_group_size: 1
    .uses_dynamic_stack: false
    .vgpr_count:     34
    .vgpr_spill_count: 0
    .wavefront_size: 32
    .workgroup_processor_mode: 1
  - .args:
      - .offset:         0
        .size:           4
        .value_kind:     by_value
      - .offset:         4
        .size:           4
        .value_kind:     by_value
      - .offset:         8
        .size:           16
        .value_kind:     by_value
    .group_segment_fixed_size: 0
    .kernarg_segment_align: 8
    .kernarg_segment_size: 24
    .language:       OpenCL C
    .language_version:
      - 2
      - 0
    .max_flat_workgroup_size: 256
    .name:           _ZN2at6native29vectorized_elementwise_kernelILi2EZZZNS0_17clamp_kernel_cudaERNS_18TensorIteratorBaseERKN3c106ScalarES7_ENKUlvE_clEvENKUlvE7_clEvEUlNS4_8BFloat16EE_St5arrayIPcLm2EEEEviT0_T1_
    .private_segment_fixed_size: 0
    .sgpr_count:     18
    .sgpr_spill_count: 0
    .symbol:         _ZN2at6native29vectorized_elementwise_kernelILi2EZZZNS0_17clamp_kernel_cudaERNS_18TensorIteratorBaseERKN3c106ScalarES7_ENKUlvE_clEvENKUlvE7_clEvEUlNS4_8BFloat16EE_St5arrayIPcLm2EEEEviT0_T1_.kd
    .uniform_work_group_size: 1
    .uses_dynamic_stack: false
    .vgpr_count:     33
    .vgpr_spill_count: 0
    .wavefront_size: 32
    .workgroup_processor_mode: 1
  - .args:
      - .offset:         0
        .size:           4
        .value_kind:     by_value
      - .offset:         4
        .size:           4
        .value_kind:     by_value
      - .offset:         8
        .size:           16
        .value_kind:     by_value
      - .offset:         24
        .size:           1
        .value_kind:     by_value
      - .offset:         25
        .size:           1
        .value_kind:     by_value
      - .offset:         26
        .size:           1
        .value_kind:     by_value
      - .offset:         27
        .size:           1
        .value_kind:     by_value
    .group_segment_fixed_size: 0
    .kernarg_segment_align: 8
    .kernarg_segment_size: 28
    .language:       OpenCL C
    .language_version:
      - 2
      - 0
    .max_flat_workgroup_size: 256
    .name:           _ZN2at6native27unrolled_elementwise_kernelIZZZNS0_17clamp_kernel_cudaERNS_18TensorIteratorBaseERKN3c106ScalarES7_ENKUlvE_clEvENKUlvE7_clEvEUlNS4_8BFloat16EE_St5arrayIPcLm2EELi4E23TrivialOffsetCalculatorILi1EjESG_NS0_6memory15LoadWithoutCastENSH_16StoreWithoutCastEEEviT_T0_T2_T3_T4_T5_
    .private_segment_fixed_size: 0
    .sgpr_count:     18
    .sgpr_spill_count: 0
    .symbol:         _ZN2at6native27unrolled_elementwise_kernelIZZZNS0_17clamp_kernel_cudaERNS_18TensorIteratorBaseERKN3c106ScalarES7_ENKUlvE_clEvENKUlvE7_clEvEUlNS4_8BFloat16EE_St5arrayIPcLm2EELi4E23TrivialOffsetCalculatorILi1EjESG_NS0_6memory15LoadWithoutCastENSH_16StoreWithoutCastEEEviT_T0_T2_T3_T4_T5_.kd
    .uniform_work_group_size: 1
    .uses_dynamic_stack: false
    .vgpr_count:     10
    .vgpr_spill_count: 0
    .wavefront_size: 32
    .workgroup_processor_mode: 1
  - .args:
      - .offset:         0
        .size:           4
        .value_kind:     by_value
      - .offset:         8
        .size:           352
        .value_kind:     by_value
    .group_segment_fixed_size: 0
    .kernarg_segment_align: 8
    .kernarg_segment_size: 360
    .language:       OpenCL C
    .language_version:
      - 2
      - 0
    .max_flat_workgroup_size: 128
    .name:           _ZN2at6native32elementwise_kernel_manual_unrollILi128ELi8EZNS0_22gpu_kernel_impl_nocastIZZZNS0_17clamp_kernel_cudaERNS_18TensorIteratorBaseERKN3c106ScalarES8_ENKUlvE_clEvENKUlvE7_clEvEUlNS5_8BFloat16EE_EEvS4_RKT_EUlibE_EEviT1_
    .private_segment_fixed_size: 0
    .sgpr_count:     62
    .sgpr_spill_count: 0
    .symbol:         _ZN2at6native32elementwise_kernel_manual_unrollILi128ELi8EZNS0_22gpu_kernel_impl_nocastIZZZNS0_17clamp_kernel_cudaERNS_18TensorIteratorBaseERKN3c106ScalarES8_ENKUlvE_clEvENKUlvE7_clEvEUlNS5_8BFloat16EE_EEvS4_RKT_EUlibE_EEviT1_.kd
    .uniform_work_group_size: 1
    .uses_dynamic_stack: false
    .vgpr_count:     26
    .vgpr_spill_count: 0
    .wavefront_size: 32
    .workgroup_processor_mode: 1
  - .args:
      - .offset:         0
        .size:           4
        .value_kind:     by_value
      - .offset:         8
        .size:           32
        .value_kind:     by_value
    .group_segment_fixed_size: 0
    .kernarg_segment_align: 8
    .kernarg_segment_size: 40
    .language:       OpenCL C
    .language_version:
      - 2
      - 0
    .max_flat_workgroup_size: 128
    .name:           _ZN2at6native32elementwise_kernel_manual_unrollILi128ELi4EZNS0_15gpu_kernel_implIZZZNS0_17clamp_kernel_cudaERNS_18TensorIteratorBaseERKN3c106ScalarES8_ENKUlvE_clEvENKUlvE7_clEvEUlNS5_8BFloat16EE_EEvS4_RKT_EUlibE_EEviT1_
    .private_segment_fixed_size: 0
    .sgpr_count:     31
    .sgpr_spill_count: 0
    .symbol:         _ZN2at6native32elementwise_kernel_manual_unrollILi128ELi4EZNS0_15gpu_kernel_implIZZZNS0_17clamp_kernel_cudaERNS_18TensorIteratorBaseERKN3c106ScalarES8_ENKUlvE_clEvENKUlvE7_clEvEUlNS5_8BFloat16EE_EEvS4_RKT_EUlibE_EEviT1_.kd
    .uniform_work_group_size: 1
    .uses_dynamic_stack: false
    .vgpr_count:     13
    .vgpr_spill_count: 0
    .wavefront_size: 32
    .workgroup_processor_mode: 1
  - .args:
      - .offset:         0
        .size:           4
        .value_kind:     by_value
      - .offset:         8
        .size:           352
        .value_kind:     by_value
    .group_segment_fixed_size: 0
    .kernarg_segment_align: 8
    .kernarg_segment_size: 360
    .language:       OpenCL C
    .language_version:
      - 2
      - 0
    .max_flat_workgroup_size: 128
    .name:           _ZN2at6native32elementwise_kernel_manual_unrollILi128ELi4EZNS0_15gpu_kernel_implIZZZNS0_17clamp_kernel_cudaERNS_18TensorIteratorBaseERKN3c106ScalarES8_ENKUlvE_clEvENKUlvE7_clEvEUlNS5_8BFloat16EE_EEvS4_RKT_EUlibE0_EEviT1_
    .private_segment_fixed_size: 0
    .sgpr_count:     74
    .sgpr_spill_count: 0
    .symbol:         _ZN2at6native32elementwise_kernel_manual_unrollILi128ELi4EZNS0_15gpu_kernel_implIZZZNS0_17clamp_kernel_cudaERNS_18TensorIteratorBaseERKN3c106ScalarES8_ENKUlvE_clEvENKUlvE7_clEvEUlNS5_8BFloat16EE_EEvS4_RKT_EUlibE0_EEviT1_.kd
    .uniform_work_group_size: 1
    .uses_dynamic_stack: false
    .vgpr_count:     18
    .vgpr_spill_count: 0
    .wavefront_size: 32
    .workgroup_processor_mode: 1
  - .args:
      - .offset:         0
        .size:           4
        .value_kind:     by_value
      - .offset:         4
        .size:           1
        .value_kind:     by_value
      - .offset:         8
        .size:           16
        .value_kind:     by_value
    .group_segment_fixed_size: 0
    .kernarg_segment_align: 8
    .kernarg_segment_size: 24
    .language:       OpenCL C
    .language_version:
      - 2
      - 0
    .max_flat_workgroup_size: 256
    .name:           _ZN2at6native29vectorized_elementwise_kernelILi16EZZZNS0_21clamp_min_kernel_cudaERNS_18TensorIteratorBaseERKN3c106ScalarEENKUlvE_clEvENKUlvE_clEvEUlhE_St5arrayIPcLm2EEEEviT0_T1_
    .private_segment_fixed_size: 0
    .sgpr_count:     18
    .sgpr_spill_count: 0
    .symbol:         _ZN2at6native29vectorized_elementwise_kernelILi16EZZZNS0_21clamp_min_kernel_cudaERNS_18TensorIteratorBaseERKN3c106ScalarEENKUlvE_clEvENKUlvE_clEvEUlhE_St5arrayIPcLm2EEEEviT0_T1_.kd
    .uniform_work_group_size: 1
    .uses_dynamic_stack: false
    .vgpr_count:     23
    .vgpr_spill_count: 0
    .wavefront_size: 32
    .workgroup_processor_mode: 1
  - .args:
      - .offset:         0
        .size:           4
        .value_kind:     by_value
      - .offset:         4
        .size:           1
        .value_kind:     by_value
      - .offset:         8
        .size:           16
        .value_kind:     by_value
    .group_segment_fixed_size: 0
    .kernarg_segment_align: 8
    .kernarg_segment_size: 24
    .language:       OpenCL C
    .language_version:
      - 2
      - 0
    .max_flat_workgroup_size: 256
    .name:           _ZN2at6native29vectorized_elementwise_kernelILi8EZZZNS0_21clamp_min_kernel_cudaERNS_18TensorIteratorBaseERKN3c106ScalarEENKUlvE_clEvENKUlvE_clEvEUlhE_St5arrayIPcLm2EEEEviT0_T1_
    .private_segment_fixed_size: 0
    .sgpr_count:     18
    .sgpr_spill_count: 0
    .symbol:         _ZN2at6native29vectorized_elementwise_kernelILi8EZZZNS0_21clamp_min_kernel_cudaERNS_18TensorIteratorBaseERKN3c106ScalarEENKUlvE_clEvENKUlvE_clEvEUlhE_St5arrayIPcLm2EEEEviT0_T1_.kd
    .uniform_work_group_size: 1
    .uses_dynamic_stack: false
    .vgpr_count:     23
    .vgpr_spill_count: 0
    .wavefront_size: 32
    .workgroup_processor_mode: 1
  - .args:
      - .offset:         0
        .size:           4
        .value_kind:     by_value
      - .offset:         4
        .size:           1
        .value_kind:     by_value
      - .offset:         8
        .size:           16
        .value_kind:     by_value
    .group_segment_fixed_size: 0
    .kernarg_segment_align: 8
    .kernarg_segment_size: 24
    .language:       OpenCL C
    .language_version:
      - 2
      - 0
    .max_flat_workgroup_size: 256
    .name:           _ZN2at6native29vectorized_elementwise_kernelILi4EZZZNS0_21clamp_min_kernel_cudaERNS_18TensorIteratorBaseERKN3c106ScalarEENKUlvE_clEvENKUlvE_clEvEUlhE_St5arrayIPcLm2EEEEviT0_T1_
    .private_segment_fixed_size: 0
    .sgpr_count:     18
    .sgpr_spill_count: 0
    .symbol:         _ZN2at6native29vectorized_elementwise_kernelILi4EZZZNS0_21clamp_min_kernel_cudaERNS_18TensorIteratorBaseERKN3c106ScalarEENKUlvE_clEvENKUlvE_clEvEUlhE_St5arrayIPcLm2EEEEviT0_T1_.kd
    .uniform_work_group_size: 1
    .uses_dynamic_stack: false
    .vgpr_count:     23
    .vgpr_spill_count: 0
    .wavefront_size: 32
    .workgroup_processor_mode: 1
  - .args:
      - .offset:         0
        .size:           4
        .value_kind:     by_value
      - .offset:         4
        .size:           1
        .value_kind:     by_value
      - .offset:         8
        .size:           16
        .value_kind:     by_value
    .group_segment_fixed_size: 0
    .kernarg_segment_align: 8
    .kernarg_segment_size: 24
    .language:       OpenCL C
    .language_version:
      - 2
      - 0
    .max_flat_workgroup_size: 256
    .name:           _ZN2at6native29vectorized_elementwise_kernelILi2EZZZNS0_21clamp_min_kernel_cudaERNS_18TensorIteratorBaseERKN3c106ScalarEENKUlvE_clEvENKUlvE_clEvEUlhE_St5arrayIPcLm2EEEEviT0_T1_
    .private_segment_fixed_size: 0
    .sgpr_count:     18
    .sgpr_spill_count: 0
    .symbol:         _ZN2at6native29vectorized_elementwise_kernelILi2EZZZNS0_21clamp_min_kernel_cudaERNS_18TensorIteratorBaseERKN3c106ScalarEENKUlvE_clEvENKUlvE_clEvEUlhE_St5arrayIPcLm2EEEEviT0_T1_.kd
    .uniform_work_group_size: 1
    .uses_dynamic_stack: false
    .vgpr_count:     23
    .vgpr_spill_count: 0
    .wavefront_size: 32
    .workgroup_processor_mode: 1
  - .args:
      - .offset:         0
        .size:           4
        .value_kind:     by_value
      - .offset:         4
        .size:           1
        .value_kind:     by_value
      - .offset:         8
        .size:           16
        .value_kind:     by_value
      - .offset:         24
        .size:           1
        .value_kind:     by_value
      - .offset:         25
        .size:           1
        .value_kind:     by_value
      - .offset:         26
        .size:           1
        .value_kind:     by_value
      - .offset:         27
        .size:           1
        .value_kind:     by_value
    .group_segment_fixed_size: 0
    .kernarg_segment_align: 8
    .kernarg_segment_size: 28
    .language:       OpenCL C
    .language_version:
      - 2
      - 0
    .max_flat_workgroup_size: 256
    .name:           _ZN2at6native27unrolled_elementwise_kernelIZZZNS0_21clamp_min_kernel_cudaERNS_18TensorIteratorBaseERKN3c106ScalarEENKUlvE_clEvENKUlvE_clEvEUlhE_St5arrayIPcLm2EELi4E23TrivialOffsetCalculatorILi1EjESF_NS0_6memory15LoadWithoutCastENSG_16StoreWithoutCastEEEviT_T0_T2_T3_T4_T5_
    .private_segment_fixed_size: 0
    .sgpr_count:     18
    .sgpr_spill_count: 0
    .symbol:         _ZN2at6native27unrolled_elementwise_kernelIZZZNS0_21clamp_min_kernel_cudaERNS_18TensorIteratorBaseERKN3c106ScalarEENKUlvE_clEvENKUlvE_clEvEUlhE_St5arrayIPcLm2EELi4E23TrivialOffsetCalculatorILi1EjESF_NS0_6memory15LoadWithoutCastENSG_16StoreWithoutCastEEEviT_T0_T2_T3_T4_T5_.kd
    .uniform_work_group_size: 1
    .uses_dynamic_stack: false
    .vgpr_count:     8
    .vgpr_spill_count: 0
    .wavefront_size: 32
    .workgroup_processor_mode: 1
  - .args:
      - .offset:         0
        .size:           4
        .value_kind:     by_value
      - .offset:         8
        .size:           352
        .value_kind:     by_value
    .group_segment_fixed_size: 0
    .kernarg_segment_align: 8
    .kernarg_segment_size: 360
    .language:       OpenCL C
    .language_version:
      - 2
      - 0
    .max_flat_workgroup_size: 128
    .name:           _ZN2at6native32elementwise_kernel_manual_unrollILi128ELi8EZNS0_22gpu_kernel_impl_nocastIZZZNS0_21clamp_min_kernel_cudaERNS_18TensorIteratorBaseERKN3c106ScalarEENKUlvE_clEvENKUlvE_clEvEUlhE_EEvS4_RKT_EUlibE_EEviT1_
    .private_segment_fixed_size: 0
    .sgpr_count:     62
    .sgpr_spill_count: 0
    .symbol:         _ZN2at6native32elementwise_kernel_manual_unrollILi128ELi8EZNS0_22gpu_kernel_impl_nocastIZZZNS0_21clamp_min_kernel_cudaERNS_18TensorIteratorBaseERKN3c106ScalarEENKUlvE_clEvENKUlvE_clEvEUlhE_EEvS4_RKT_EUlibE_EEviT1_.kd
    .uniform_work_group_size: 1
    .uses_dynamic_stack: false
    .vgpr_count:     26
    .vgpr_spill_count: 0
    .wavefront_size: 32
    .workgroup_processor_mode: 1
  - .args:
      - .offset:         0
        .size:           4
        .value_kind:     by_value
      - .offset:         8
        .size:           32
        .value_kind:     by_value
    .group_segment_fixed_size: 0
    .kernarg_segment_align: 8
    .kernarg_segment_size: 40
    .language:       OpenCL C
    .language_version:
      - 2
      - 0
    .max_flat_workgroup_size: 128
    .name:           _ZN2at6native32elementwise_kernel_manual_unrollILi128ELi4EZNS0_15gpu_kernel_implIZZZNS0_21clamp_min_kernel_cudaERNS_18TensorIteratorBaseERKN3c106ScalarEENKUlvE_clEvENKUlvE_clEvEUlhE_EEvS4_RKT_EUlibE_EEviT1_
    .private_segment_fixed_size: 0
    .sgpr_count:     29
    .sgpr_spill_count: 0
    .symbol:         _ZN2at6native32elementwise_kernel_manual_unrollILi128ELi4EZNS0_15gpu_kernel_implIZZZNS0_21clamp_min_kernel_cudaERNS_18TensorIteratorBaseERKN3c106ScalarEENKUlvE_clEvENKUlvE_clEvEUlhE_EEvS4_RKT_EUlibE_EEviT1_.kd
    .uniform_work_group_size: 1
    .uses_dynamic_stack: false
    .vgpr_count:     14
    .vgpr_spill_count: 0
    .wavefront_size: 32
    .workgroup_processor_mode: 1
  - .args:
      - .offset:         0
        .size:           4
        .value_kind:     by_value
      - .offset:         8
        .size:           352
        .value_kind:     by_value
    .group_segment_fixed_size: 0
    .kernarg_segment_align: 8
    .kernarg_segment_size: 360
    .language:       OpenCL C
    .language_version:
      - 2
      - 0
    .max_flat_workgroup_size: 128
    .name:           _ZN2at6native32elementwise_kernel_manual_unrollILi128ELi4EZNS0_15gpu_kernel_implIZZZNS0_21clamp_min_kernel_cudaERNS_18TensorIteratorBaseERKN3c106ScalarEENKUlvE_clEvENKUlvE_clEvEUlhE_EEvS4_RKT_EUlibE0_EEviT1_
    .private_segment_fixed_size: 0
    .sgpr_count:     70
    .sgpr_spill_count: 0
    .symbol:         _ZN2at6native32elementwise_kernel_manual_unrollILi128ELi4EZNS0_15gpu_kernel_implIZZZNS0_21clamp_min_kernel_cudaERNS_18TensorIteratorBaseERKN3c106ScalarEENKUlvE_clEvENKUlvE_clEvEUlhE_EEvS4_RKT_EUlibE0_EEviT1_.kd
    .uniform_work_group_size: 1
    .uses_dynamic_stack: false
    .vgpr_count:     18
    .vgpr_spill_count: 0
    .wavefront_size: 32
    .workgroup_processor_mode: 1
  - .args:
      - .offset:         0
        .size:           4
        .value_kind:     by_value
      - .offset:         4
        .size:           1
        .value_kind:     by_value
      - .offset:         8
        .size:           16
        .value_kind:     by_value
    .group_segment_fixed_size: 0
    .kernarg_segment_align: 8
    .kernarg_segment_size: 24
    .language:       OpenCL C
    .language_version:
      - 2
      - 0
    .max_flat_workgroup_size: 256
    .name:           _ZN2at6native29vectorized_elementwise_kernelILi16EZZZNS0_21clamp_min_kernel_cudaERNS_18TensorIteratorBaseERKN3c106ScalarEENKUlvE_clEvENKUlvE0_clEvEUlaE_St5arrayIPcLm2EEEEviT0_T1_
    .private_segment_fixed_size: 0
    .sgpr_count:     18
    .sgpr_spill_count: 0
    .symbol:         _ZN2at6native29vectorized_elementwise_kernelILi16EZZZNS0_21clamp_min_kernel_cudaERNS_18TensorIteratorBaseERKN3c106ScalarEENKUlvE_clEvENKUlvE0_clEvEUlaE_St5arrayIPcLm2EEEEviT0_T1_.kd
    .uniform_work_group_size: 1
    .uses_dynamic_stack: false
    .vgpr_count:     22
    .vgpr_spill_count: 0
    .wavefront_size: 32
    .workgroup_processor_mode: 1
  - .args:
      - .offset:         0
        .size:           4
        .value_kind:     by_value
      - .offset:         4
        .size:           1
        .value_kind:     by_value
      - .offset:         8
        .size:           16
        .value_kind:     by_value
    .group_segment_fixed_size: 0
    .kernarg_segment_align: 8
    .kernarg_segment_size: 24
    .language:       OpenCL C
    .language_version:
      - 2
      - 0
    .max_flat_workgroup_size: 256
    .name:           _ZN2at6native29vectorized_elementwise_kernelILi8EZZZNS0_21clamp_min_kernel_cudaERNS_18TensorIteratorBaseERKN3c106ScalarEENKUlvE_clEvENKUlvE0_clEvEUlaE_St5arrayIPcLm2EEEEviT0_T1_
    .private_segment_fixed_size: 0
    .sgpr_count:     18
    .sgpr_spill_count: 0
    .symbol:         _ZN2at6native29vectorized_elementwise_kernelILi8EZZZNS0_21clamp_min_kernel_cudaERNS_18TensorIteratorBaseERKN3c106ScalarEENKUlvE_clEvENKUlvE0_clEvEUlaE_St5arrayIPcLm2EEEEviT0_T1_.kd
    .uniform_work_group_size: 1
    .uses_dynamic_stack: false
    .vgpr_count:     22
    .vgpr_spill_count: 0
    .wavefront_size: 32
    .workgroup_processor_mode: 1
  - .args:
      - .offset:         0
        .size:           4
        .value_kind:     by_value
      - .offset:         4
        .size:           1
        .value_kind:     by_value
      - .offset:         8
        .size:           16
        .value_kind:     by_value
    .group_segment_fixed_size: 0
    .kernarg_segment_align: 8
    .kernarg_segment_size: 24
    .language:       OpenCL C
    .language_version:
      - 2
      - 0
    .max_flat_workgroup_size: 256
    .name:           _ZN2at6native29vectorized_elementwise_kernelILi4EZZZNS0_21clamp_min_kernel_cudaERNS_18TensorIteratorBaseERKN3c106ScalarEENKUlvE_clEvENKUlvE0_clEvEUlaE_St5arrayIPcLm2EEEEviT0_T1_
    .private_segment_fixed_size: 0
    .sgpr_count:     18
    .sgpr_spill_count: 0
    .symbol:         _ZN2at6native29vectorized_elementwise_kernelILi4EZZZNS0_21clamp_min_kernel_cudaERNS_18TensorIteratorBaseERKN3c106ScalarEENKUlvE_clEvENKUlvE0_clEvEUlaE_St5arrayIPcLm2EEEEviT0_T1_.kd
    .uniform_work_group_size: 1
    .uses_dynamic_stack: false
    .vgpr_count:     22
    .vgpr_spill_count: 0
    .wavefront_size: 32
    .workgroup_processor_mode: 1
  - .args:
      - .offset:         0
        .size:           4
        .value_kind:     by_value
      - .offset:         4
        .size:           1
        .value_kind:     by_value
      - .offset:         8
        .size:           16
        .value_kind:     by_value
    .group_segment_fixed_size: 0
    .kernarg_segment_align: 8
    .kernarg_segment_size: 24
    .language:       OpenCL C
    .language_version:
      - 2
      - 0
    .max_flat_workgroup_size: 256
    .name:           _ZN2at6native29vectorized_elementwise_kernelILi2EZZZNS0_21clamp_min_kernel_cudaERNS_18TensorIteratorBaseERKN3c106ScalarEENKUlvE_clEvENKUlvE0_clEvEUlaE_St5arrayIPcLm2EEEEviT0_T1_
    .private_segment_fixed_size: 0
    .sgpr_count:     18
    .sgpr_spill_count: 0
    .symbol:         _ZN2at6native29vectorized_elementwise_kernelILi2EZZZNS0_21clamp_min_kernel_cudaERNS_18TensorIteratorBaseERKN3c106ScalarEENKUlvE_clEvENKUlvE0_clEvEUlaE_St5arrayIPcLm2EEEEviT0_T1_.kd
    .uniform_work_group_size: 1
    .uses_dynamic_stack: false
    .vgpr_count:     22
    .vgpr_spill_count: 0
    .wavefront_size: 32
    .workgroup_processor_mode: 1
  - .args:
      - .offset:         0
        .size:           4
        .value_kind:     by_value
      - .offset:         4
        .size:           1
        .value_kind:     by_value
      - .offset:         8
        .size:           16
        .value_kind:     by_value
      - .offset:         24
        .size:           1
        .value_kind:     by_value
      - .offset:         25
        .size:           1
        .value_kind:     by_value
      - .offset:         26
        .size:           1
        .value_kind:     by_value
      - .offset:         27
        .size:           1
        .value_kind:     by_value
    .group_segment_fixed_size: 0
    .kernarg_segment_align: 8
    .kernarg_segment_size: 28
    .language:       OpenCL C
    .language_version:
      - 2
      - 0
    .max_flat_workgroup_size: 256
    .name:           _ZN2at6native27unrolled_elementwise_kernelIZZZNS0_21clamp_min_kernel_cudaERNS_18TensorIteratorBaseERKN3c106ScalarEENKUlvE_clEvENKUlvE0_clEvEUlaE_St5arrayIPcLm2EELi4E23TrivialOffsetCalculatorILi1EjESF_NS0_6memory15LoadWithoutCastENSG_16StoreWithoutCastEEEviT_T0_T2_T3_T4_T5_
    .private_segment_fixed_size: 0
    .sgpr_count:     18
    .sgpr_spill_count: 0
    .symbol:         _ZN2at6native27unrolled_elementwise_kernelIZZZNS0_21clamp_min_kernel_cudaERNS_18TensorIteratorBaseERKN3c106ScalarEENKUlvE_clEvENKUlvE0_clEvEUlaE_St5arrayIPcLm2EELi4E23TrivialOffsetCalculatorILi1EjESF_NS0_6memory15LoadWithoutCastENSG_16StoreWithoutCastEEEviT_T0_T2_T3_T4_T5_.kd
    .uniform_work_group_size: 1
    .uses_dynamic_stack: false
    .vgpr_count:     8
    .vgpr_spill_count: 0
    .wavefront_size: 32
    .workgroup_processor_mode: 1
  - .args:
      - .offset:         0
        .size:           4
        .value_kind:     by_value
      - .offset:         8
        .size:           352
        .value_kind:     by_value
    .group_segment_fixed_size: 0
    .kernarg_segment_align: 8
    .kernarg_segment_size: 360
    .language:       OpenCL C
    .language_version:
      - 2
      - 0
    .max_flat_workgroup_size: 128
    .name:           _ZN2at6native32elementwise_kernel_manual_unrollILi128ELi8EZNS0_22gpu_kernel_impl_nocastIZZZNS0_21clamp_min_kernel_cudaERNS_18TensorIteratorBaseERKN3c106ScalarEENKUlvE_clEvENKUlvE0_clEvEUlaE_EEvS4_RKT_EUlibE_EEviT1_
    .private_segment_fixed_size: 0
    .sgpr_count:     62
    .sgpr_spill_count: 0
    .symbol:         _ZN2at6native32elementwise_kernel_manual_unrollILi128ELi8EZNS0_22gpu_kernel_impl_nocastIZZZNS0_21clamp_min_kernel_cudaERNS_18TensorIteratorBaseERKN3c106ScalarEENKUlvE_clEvENKUlvE0_clEvEUlaE_EEvS4_RKT_EUlibE_EEviT1_.kd
    .uniform_work_group_size: 1
    .uses_dynamic_stack: false
    .vgpr_count:     26
    .vgpr_spill_count: 0
    .wavefront_size: 32
    .workgroup_processor_mode: 1
  - .args:
      - .offset:         0
        .size:           4
        .value_kind:     by_value
      - .offset:         8
        .size:           32
        .value_kind:     by_value
    .group_segment_fixed_size: 0
    .kernarg_segment_align: 8
    .kernarg_segment_size: 40
    .language:       OpenCL C
    .language_version:
      - 2
      - 0
    .max_flat_workgroup_size: 128
    .name:           _ZN2at6native32elementwise_kernel_manual_unrollILi128ELi4EZNS0_15gpu_kernel_implIZZZNS0_21clamp_min_kernel_cudaERNS_18TensorIteratorBaseERKN3c106ScalarEENKUlvE_clEvENKUlvE0_clEvEUlaE_EEvS4_RKT_EUlibE_EEviT1_
    .private_segment_fixed_size: 0
    .sgpr_count:     29
    .sgpr_spill_count: 0
    .symbol:         _ZN2at6native32elementwise_kernel_manual_unrollILi128ELi4EZNS0_15gpu_kernel_implIZZZNS0_21clamp_min_kernel_cudaERNS_18TensorIteratorBaseERKN3c106ScalarEENKUlvE_clEvENKUlvE0_clEvEUlaE_EEvS4_RKT_EUlibE_EEviT1_.kd
    .uniform_work_group_size: 1
    .uses_dynamic_stack: false
    .vgpr_count:     13
    .vgpr_spill_count: 0
    .wavefront_size: 32
    .workgroup_processor_mode: 1
  - .args:
      - .offset:         0
        .size:           4
        .value_kind:     by_value
      - .offset:         8
        .size:           352
        .value_kind:     by_value
    .group_segment_fixed_size: 0
    .kernarg_segment_align: 8
    .kernarg_segment_size: 360
    .language:       OpenCL C
    .language_version:
      - 2
      - 0
    .max_flat_workgroup_size: 128
    .name:           _ZN2at6native32elementwise_kernel_manual_unrollILi128ELi4EZNS0_15gpu_kernel_implIZZZNS0_21clamp_min_kernel_cudaERNS_18TensorIteratorBaseERKN3c106ScalarEENKUlvE_clEvENKUlvE0_clEvEUlaE_EEvS4_RKT_EUlibE0_EEviT1_
    .private_segment_fixed_size: 0
    .sgpr_count:     70
    .sgpr_spill_count: 0
    .symbol:         _ZN2at6native32elementwise_kernel_manual_unrollILi128ELi4EZNS0_15gpu_kernel_implIZZZNS0_21clamp_min_kernel_cudaERNS_18TensorIteratorBaseERKN3c106ScalarEENKUlvE_clEvENKUlvE0_clEvEUlaE_EEvS4_RKT_EUlibE0_EEviT1_.kd
    .uniform_work_group_size: 1
    .uses_dynamic_stack: false
    .vgpr_count:     18
    .vgpr_spill_count: 0
    .wavefront_size: 32
    .workgroup_processor_mode: 1
  - .args:
      - .offset:         0
        .size:           4
        .value_kind:     by_value
      - .offset:         4
        .size:           4
        .value_kind:     by_value
      - .offset:         8
        .size:           16
        .value_kind:     by_value
    .group_segment_fixed_size: 0
    .kernarg_segment_align: 8
    .kernarg_segment_size: 24
    .language:       OpenCL C
    .language_version:
      - 2
      - 0
    .max_flat_workgroup_size: 256
    .name:           _ZN2at6native29vectorized_elementwise_kernelILi16EZZZNS0_21clamp_min_kernel_cudaERNS_18TensorIteratorBaseERKN3c106ScalarEENKUlvE_clEvENKUlvE1_clEvEUliE_St5arrayIPcLm2EEEEviT0_T1_
    .private_segment_fixed_size: 0
    .sgpr_count:     18
    .sgpr_spill_count: 0
    .symbol:         _ZN2at6native29vectorized_elementwise_kernelILi16EZZZNS0_21clamp_min_kernel_cudaERNS_18TensorIteratorBaseERKN3c106ScalarEENKUlvE_clEvENKUlvE1_clEvEUliE_St5arrayIPcLm2EEEEviT0_T1_.kd
    .uniform_work_group_size: 1
    .uses_dynamic_stack: false
    .vgpr_count:     10
    .vgpr_spill_count: 0
    .wavefront_size: 32
    .workgroup_processor_mode: 1
  - .args:
      - .offset:         0
        .size:           4
        .value_kind:     by_value
      - .offset:         4
        .size:           4
        .value_kind:     by_value
      - .offset:         8
        .size:           16
        .value_kind:     by_value
    .group_segment_fixed_size: 0
    .kernarg_segment_align: 8
    .kernarg_segment_size: 24
    .language:       OpenCL C
    .language_version:
      - 2
      - 0
    .max_flat_workgroup_size: 256
    .name:           _ZN2at6native29vectorized_elementwise_kernelILi8EZZZNS0_21clamp_min_kernel_cudaERNS_18TensorIteratorBaseERKN3c106ScalarEENKUlvE_clEvENKUlvE1_clEvEUliE_St5arrayIPcLm2EEEEviT0_T1_
    .private_segment_fixed_size: 0
    .sgpr_count:     18
    .sgpr_spill_count: 0
    .symbol:         _ZN2at6native29vectorized_elementwise_kernelILi8EZZZNS0_21clamp_min_kernel_cudaERNS_18TensorIteratorBaseERKN3c106ScalarEENKUlvE_clEvENKUlvE1_clEvEUliE_St5arrayIPcLm2EEEEviT0_T1_.kd
    .uniform_work_group_size: 1
    .uses_dynamic_stack: false
    .vgpr_count:     10
    .vgpr_spill_count: 0
    .wavefront_size: 32
    .workgroup_processor_mode: 1
  - .args:
      - .offset:         0
        .size:           4
        .value_kind:     by_value
      - .offset:         4
        .size:           4
        .value_kind:     by_value
      - .offset:         8
        .size:           16
        .value_kind:     by_value
    .group_segment_fixed_size: 0
    .kernarg_segment_align: 8
    .kernarg_segment_size: 24
    .language:       OpenCL C
    .language_version:
      - 2
      - 0
    .max_flat_workgroup_size: 256
    .name:           _ZN2at6native29vectorized_elementwise_kernelILi4EZZZNS0_21clamp_min_kernel_cudaERNS_18TensorIteratorBaseERKN3c106ScalarEENKUlvE_clEvENKUlvE1_clEvEUliE_St5arrayIPcLm2EEEEviT0_T1_
    .private_segment_fixed_size: 0
    .sgpr_count:     18
    .sgpr_spill_count: 0
    .symbol:         _ZN2at6native29vectorized_elementwise_kernelILi4EZZZNS0_21clamp_min_kernel_cudaERNS_18TensorIteratorBaseERKN3c106ScalarEENKUlvE_clEvENKUlvE1_clEvEUliE_St5arrayIPcLm2EEEEviT0_T1_.kd
    .uniform_work_group_size: 1
    .uses_dynamic_stack: false
    .vgpr_count:     10
    .vgpr_spill_count: 0
    .wavefront_size: 32
    .workgroup_processor_mode: 1
  - .args:
      - .offset:         0
        .size:           4
        .value_kind:     by_value
      - .offset:         4
        .size:           4
        .value_kind:     by_value
      - .offset:         8
        .size:           16
        .value_kind:     by_value
    .group_segment_fixed_size: 0
    .kernarg_segment_align: 8
    .kernarg_segment_size: 24
    .language:       OpenCL C
    .language_version:
      - 2
      - 0
    .max_flat_workgroup_size: 256
    .name:           _ZN2at6native29vectorized_elementwise_kernelILi2EZZZNS0_21clamp_min_kernel_cudaERNS_18TensorIteratorBaseERKN3c106ScalarEENKUlvE_clEvENKUlvE1_clEvEUliE_St5arrayIPcLm2EEEEviT0_T1_
    .private_segment_fixed_size: 0
    .sgpr_count:     18
    .sgpr_spill_count: 0
    .symbol:         _ZN2at6native29vectorized_elementwise_kernelILi2EZZZNS0_21clamp_min_kernel_cudaERNS_18TensorIteratorBaseERKN3c106ScalarEENKUlvE_clEvENKUlvE1_clEvEUliE_St5arrayIPcLm2EEEEviT0_T1_.kd
    .uniform_work_group_size: 1
    .uses_dynamic_stack: false
    .vgpr_count:     10
    .vgpr_spill_count: 0
    .wavefront_size: 32
    .workgroup_processor_mode: 1
  - .args:
      - .offset:         0
        .size:           4
        .value_kind:     by_value
      - .offset:         4
        .size:           4
        .value_kind:     by_value
      - .offset:         8
        .size:           16
        .value_kind:     by_value
      - .offset:         24
        .size:           1
        .value_kind:     by_value
      - .offset:         25
        .size:           1
        .value_kind:     by_value
      - .offset:         26
        .size:           1
        .value_kind:     by_value
      - .offset:         27
        .size:           1
        .value_kind:     by_value
    .group_segment_fixed_size: 0
    .kernarg_segment_align: 8
    .kernarg_segment_size: 28
    .language:       OpenCL C
    .language_version:
      - 2
      - 0
    .max_flat_workgroup_size: 256
    .name:           _ZN2at6native27unrolled_elementwise_kernelIZZZNS0_21clamp_min_kernel_cudaERNS_18TensorIteratorBaseERKN3c106ScalarEENKUlvE_clEvENKUlvE1_clEvEUliE_St5arrayIPcLm2EELi4E23TrivialOffsetCalculatorILi1EjESF_NS0_6memory15LoadWithoutCastENSG_16StoreWithoutCastEEEviT_T0_T2_T3_T4_T5_
    .private_segment_fixed_size: 0
    .sgpr_count:     18
    .sgpr_spill_count: 0
    .symbol:         _ZN2at6native27unrolled_elementwise_kernelIZZZNS0_21clamp_min_kernel_cudaERNS_18TensorIteratorBaseERKN3c106ScalarEENKUlvE_clEvENKUlvE1_clEvEUliE_St5arrayIPcLm2EELi4E23TrivialOffsetCalculatorILi1EjESF_NS0_6memory15LoadWithoutCastENSG_16StoreWithoutCastEEEviT_T0_T2_T3_T4_T5_.kd
    .uniform_work_group_size: 1
    .uses_dynamic_stack: false
    .vgpr_count:     10
    .vgpr_spill_count: 0
    .wavefront_size: 32
    .workgroup_processor_mode: 1
  - .args:
      - .offset:         0
        .size:           4
        .value_kind:     by_value
      - .offset:         8
        .size:           352
        .value_kind:     by_value
    .group_segment_fixed_size: 0
    .kernarg_segment_align: 8
    .kernarg_segment_size: 360
    .language:       OpenCL C
    .language_version:
      - 2
      - 0
    .max_flat_workgroup_size: 128
    .name:           _ZN2at6native32elementwise_kernel_manual_unrollILi128ELi4EZNS0_22gpu_kernel_impl_nocastIZZZNS0_21clamp_min_kernel_cudaERNS_18TensorIteratorBaseERKN3c106ScalarEENKUlvE_clEvENKUlvE1_clEvEUliE_EEvS4_RKT_EUlibE_EEviT1_
    .private_segment_fixed_size: 0
    .sgpr_count:     62
    .sgpr_spill_count: 0
    .symbol:         _ZN2at6native32elementwise_kernel_manual_unrollILi128ELi4EZNS0_22gpu_kernel_impl_nocastIZZZNS0_21clamp_min_kernel_cudaERNS_18TensorIteratorBaseERKN3c106ScalarEENKUlvE_clEvENKUlvE1_clEvEUliE_EEvS4_RKT_EUlibE_EEviT1_.kd
    .uniform_work_group_size: 1
    .uses_dynamic_stack: false
    .vgpr_count:     18
    .vgpr_spill_count: 0
    .wavefront_size: 32
    .workgroup_processor_mode: 1
  - .args:
      - .offset:         0
        .size:           4
        .value_kind:     by_value
      - .offset:         8
        .size:           32
        .value_kind:     by_value
    .group_segment_fixed_size: 0
    .kernarg_segment_align: 8
    .kernarg_segment_size: 40
    .language:       OpenCL C
    .language_version:
      - 2
      - 0
    .max_flat_workgroup_size: 128
    .name:           _ZN2at6native32elementwise_kernel_manual_unrollILi128ELi4EZNS0_15gpu_kernel_implIZZZNS0_21clamp_min_kernel_cudaERNS_18TensorIteratorBaseERKN3c106ScalarEENKUlvE_clEvENKUlvE1_clEvEUliE_EEvS4_RKT_EUlibE_EEviT1_
    .private_segment_fixed_size: 0
    .sgpr_count:     28
    .sgpr_spill_count: 0
    .symbol:         _ZN2at6native32elementwise_kernel_manual_unrollILi128ELi4EZNS0_15gpu_kernel_implIZZZNS0_21clamp_min_kernel_cudaERNS_18TensorIteratorBaseERKN3c106ScalarEENKUlvE_clEvENKUlvE1_clEvEUliE_EEvS4_RKT_EUlibE_EEviT1_.kd
    .uniform_work_group_size: 1
    .uses_dynamic_stack: false
    .vgpr_count:     14
    .vgpr_spill_count: 0
    .wavefront_size: 32
    .workgroup_processor_mode: 1
  - .args:
      - .offset:         0
        .size:           4
        .value_kind:     by_value
      - .offset:         8
        .size:           352
        .value_kind:     by_value
    .group_segment_fixed_size: 0
    .kernarg_segment_align: 8
    .kernarg_segment_size: 360
    .language:       OpenCL C
    .language_version:
      - 2
      - 0
    .max_flat_workgroup_size: 128
    .name:           _ZN2at6native32elementwise_kernel_manual_unrollILi128ELi4EZNS0_15gpu_kernel_implIZZZNS0_21clamp_min_kernel_cudaERNS_18TensorIteratorBaseERKN3c106ScalarEENKUlvE_clEvENKUlvE1_clEvEUliE_EEvS4_RKT_EUlibE0_EEviT1_
    .private_segment_fixed_size: 0
    .sgpr_count:     70
    .sgpr_spill_count: 0
    .symbol:         _ZN2at6native32elementwise_kernel_manual_unrollILi128ELi4EZNS0_15gpu_kernel_implIZZZNS0_21clamp_min_kernel_cudaERNS_18TensorIteratorBaseERKN3c106ScalarEENKUlvE_clEvENKUlvE1_clEvEUliE_EEvS4_RKT_EUlibE0_EEviT1_.kd
    .uniform_work_group_size: 1
    .uses_dynamic_stack: false
    .vgpr_count:     18
    .vgpr_spill_count: 0
    .wavefront_size: 32
    .workgroup_processor_mode: 1
  - .args:
      - .offset:         0
        .size:           4
        .value_kind:     by_value
      - .offset:         8
        .size:           8
        .value_kind:     by_value
      - .offset:         16
        .size:           16
        .value_kind:     by_value
    .group_segment_fixed_size: 0
    .kernarg_segment_align: 8
    .kernarg_segment_size: 32
    .language:       OpenCL C
    .language_version:
      - 2
      - 0
    .max_flat_workgroup_size: 256
    .name:           _ZN2at6native29vectorized_elementwise_kernelILi16EZZZNS0_21clamp_min_kernel_cudaERNS_18TensorIteratorBaseERKN3c106ScalarEENKUlvE_clEvENKUlvE2_clEvEUllE_St5arrayIPcLm2EEEEviT0_T1_
    .private_segment_fixed_size: 0
    .sgpr_count:     18
    .sgpr_spill_count: 0
    .symbol:         _ZN2at6native29vectorized_elementwise_kernelILi16EZZZNS0_21clamp_min_kernel_cudaERNS_18TensorIteratorBaseERKN3c106ScalarEENKUlvE_clEvENKUlvE2_clEvEUllE_St5arrayIPcLm2EEEEviT0_T1_.kd
    .uniform_work_group_size: 1
    .uses_dynamic_stack: false
    .vgpr_count:     16
    .vgpr_spill_count: 0
    .wavefront_size: 32
    .workgroup_processor_mode: 1
  - .args:
      - .offset:         0
        .size:           4
        .value_kind:     by_value
      - .offset:         8
        .size:           8
        .value_kind:     by_value
      - .offset:         16
        .size:           16
        .value_kind:     by_value
    .group_segment_fixed_size: 0
    .kernarg_segment_align: 8
    .kernarg_segment_size: 32
    .language:       OpenCL C
    .language_version:
      - 2
      - 0
    .max_flat_workgroup_size: 256
    .name:           _ZN2at6native29vectorized_elementwise_kernelILi8EZZZNS0_21clamp_min_kernel_cudaERNS_18TensorIteratorBaseERKN3c106ScalarEENKUlvE_clEvENKUlvE2_clEvEUllE_St5arrayIPcLm2EEEEviT0_T1_
    .private_segment_fixed_size: 0
    .sgpr_count:     18
    .sgpr_spill_count: 0
    .symbol:         _ZN2at6native29vectorized_elementwise_kernelILi8EZZZNS0_21clamp_min_kernel_cudaERNS_18TensorIteratorBaseERKN3c106ScalarEENKUlvE_clEvENKUlvE2_clEvEUllE_St5arrayIPcLm2EEEEviT0_T1_.kd
    .uniform_work_group_size: 1
    .uses_dynamic_stack: false
    .vgpr_count:     16
    .vgpr_spill_count: 0
    .wavefront_size: 32
    .workgroup_processor_mode: 1
  - .args:
      - .offset:         0
        .size:           4
        .value_kind:     by_value
      - .offset:         8
        .size:           8
        .value_kind:     by_value
      - .offset:         16
        .size:           16
        .value_kind:     by_value
    .group_segment_fixed_size: 0
    .kernarg_segment_align: 8
    .kernarg_segment_size: 32
    .language:       OpenCL C
    .language_version:
      - 2
      - 0
    .max_flat_workgroup_size: 256
    .name:           _ZN2at6native29vectorized_elementwise_kernelILi4EZZZNS0_21clamp_min_kernel_cudaERNS_18TensorIteratorBaseERKN3c106ScalarEENKUlvE_clEvENKUlvE2_clEvEUllE_St5arrayIPcLm2EEEEviT0_T1_
    .private_segment_fixed_size: 0
    .sgpr_count:     18
    .sgpr_spill_count: 0
    .symbol:         _ZN2at6native29vectorized_elementwise_kernelILi4EZZZNS0_21clamp_min_kernel_cudaERNS_18TensorIteratorBaseERKN3c106ScalarEENKUlvE_clEvENKUlvE2_clEvEUllE_St5arrayIPcLm2EEEEviT0_T1_.kd
    .uniform_work_group_size: 1
    .uses_dynamic_stack: false
    .vgpr_count:     16
    .vgpr_spill_count: 0
    .wavefront_size: 32
    .workgroup_processor_mode: 1
  - .args:
      - .offset:         0
        .size:           4
        .value_kind:     by_value
      - .offset:         8
        .size:           8
        .value_kind:     by_value
      - .offset:         16
        .size:           16
        .value_kind:     by_value
    .group_segment_fixed_size: 0
    .kernarg_segment_align: 8
    .kernarg_segment_size: 32
    .language:       OpenCL C
    .language_version:
      - 2
      - 0
    .max_flat_workgroup_size: 256
    .name:           _ZN2at6native29vectorized_elementwise_kernelILi2EZZZNS0_21clamp_min_kernel_cudaERNS_18TensorIteratorBaseERKN3c106ScalarEENKUlvE_clEvENKUlvE2_clEvEUllE_St5arrayIPcLm2EEEEviT0_T1_
    .private_segment_fixed_size: 0
    .sgpr_count:     18
    .sgpr_spill_count: 0
    .symbol:         _ZN2at6native29vectorized_elementwise_kernelILi2EZZZNS0_21clamp_min_kernel_cudaERNS_18TensorIteratorBaseERKN3c106ScalarEENKUlvE_clEvENKUlvE2_clEvEUllE_St5arrayIPcLm2EEEEviT0_T1_.kd
    .uniform_work_group_size: 1
    .uses_dynamic_stack: false
    .vgpr_count:     16
    .vgpr_spill_count: 0
    .wavefront_size: 32
    .workgroup_processor_mode: 1
  - .args:
      - .offset:         0
        .size:           4
        .value_kind:     by_value
      - .offset:         8
        .size:           8
        .value_kind:     by_value
      - .offset:         16
        .size:           16
        .value_kind:     by_value
      - .offset:         32
        .size:           1
        .value_kind:     by_value
      - .offset:         33
        .size:           1
        .value_kind:     by_value
      - .offset:         34
        .size:           1
        .value_kind:     by_value
      - .offset:         35
        .size:           1
        .value_kind:     by_value
    .group_segment_fixed_size: 0
    .kernarg_segment_align: 8
    .kernarg_segment_size: 36
    .language:       OpenCL C
    .language_version:
      - 2
      - 0
    .max_flat_workgroup_size: 256
    .name:           _ZN2at6native27unrolled_elementwise_kernelIZZZNS0_21clamp_min_kernel_cudaERNS_18TensorIteratorBaseERKN3c106ScalarEENKUlvE_clEvENKUlvE2_clEvEUllE_St5arrayIPcLm2EELi4E23TrivialOffsetCalculatorILi1EjESF_NS0_6memory15LoadWithoutCastENSG_16StoreWithoutCastEEEviT_T0_T2_T3_T4_T5_
    .private_segment_fixed_size: 0
    .sgpr_count:     18
    .sgpr_spill_count: 0
    .symbol:         _ZN2at6native27unrolled_elementwise_kernelIZZZNS0_21clamp_min_kernel_cudaERNS_18TensorIteratorBaseERKN3c106ScalarEENKUlvE_clEvENKUlvE2_clEvEUllE_St5arrayIPcLm2EELi4E23TrivialOffsetCalculatorILi1EjESF_NS0_6memory15LoadWithoutCastENSG_16StoreWithoutCastEEEviT_T0_T2_T3_T4_T5_.kd
    .uniform_work_group_size: 1
    .uses_dynamic_stack: false
    .vgpr_count:     16
    .vgpr_spill_count: 0
    .wavefront_size: 32
    .workgroup_processor_mode: 1
  - .args:
      - .offset:         0
        .size:           4
        .value_kind:     by_value
      - .offset:         8
        .size:           352
        .value_kind:     by_value
    .group_segment_fixed_size: 0
    .kernarg_segment_align: 8
    .kernarg_segment_size: 360
    .language:       OpenCL C
    .language_version:
      - 2
      - 0
    .max_flat_workgroup_size: 128
    .name:           _ZN2at6native32elementwise_kernel_manual_unrollILi128ELi4EZNS0_22gpu_kernel_impl_nocastIZZZNS0_21clamp_min_kernel_cudaERNS_18TensorIteratorBaseERKN3c106ScalarEENKUlvE_clEvENKUlvE2_clEvEUllE_EEvS4_RKT_EUlibE_EEviT1_
    .private_segment_fixed_size: 0
    .sgpr_count:     62
    .sgpr_spill_count: 0
    .symbol:         _ZN2at6native32elementwise_kernel_manual_unrollILi128ELi4EZNS0_22gpu_kernel_impl_nocastIZZZNS0_21clamp_min_kernel_cudaERNS_18TensorIteratorBaseERKN3c106ScalarEENKUlvE_clEvENKUlvE2_clEvEUllE_EEvS4_RKT_EUlibE_EEviT1_.kd
    .uniform_work_group_size: 1
    .uses_dynamic_stack: false
    .vgpr_count:     18
    .vgpr_spill_count: 0
    .wavefront_size: 32
    .workgroup_processor_mode: 1
  - .args:
      - .offset:         0
        .size:           4
        .value_kind:     by_value
      - .offset:         8
        .size:           40
        .value_kind:     by_value
    .group_segment_fixed_size: 0
    .kernarg_segment_align: 8
    .kernarg_segment_size: 48
    .language:       OpenCL C
    .language_version:
      - 2
      - 0
    .max_flat_workgroup_size: 128
    .name:           _ZN2at6native32elementwise_kernel_manual_unrollILi128ELi4EZNS0_15gpu_kernel_implIZZZNS0_21clamp_min_kernel_cudaERNS_18TensorIteratorBaseERKN3c106ScalarEENKUlvE_clEvENKUlvE2_clEvEUllE_EEvS4_RKT_EUlibE_EEviT1_
    .private_segment_fixed_size: 0
    .sgpr_count:     29
    .sgpr_spill_count: 0
    .symbol:         _ZN2at6native32elementwise_kernel_manual_unrollILi128ELi4EZNS0_15gpu_kernel_implIZZZNS0_21clamp_min_kernel_cudaERNS_18TensorIteratorBaseERKN3c106ScalarEENKUlvE_clEvENKUlvE2_clEvEUllE_EEvS4_RKT_EUlibE_EEviT1_.kd
    .uniform_work_group_size: 1
    .uses_dynamic_stack: false
    .vgpr_count:     17
    .vgpr_spill_count: 0
    .wavefront_size: 32
    .workgroup_processor_mode: 1
  - .args:
      - .offset:         0
        .size:           4
        .value_kind:     by_value
      - .offset:         8
        .size:           360
        .value_kind:     by_value
    .group_segment_fixed_size: 0
    .kernarg_segment_align: 8
    .kernarg_segment_size: 368
    .language:       OpenCL C
    .language_version:
      - 2
      - 0
    .max_flat_workgroup_size: 128
    .name:           _ZN2at6native32elementwise_kernel_manual_unrollILi128ELi4EZNS0_15gpu_kernel_implIZZZNS0_21clamp_min_kernel_cudaERNS_18TensorIteratorBaseERKN3c106ScalarEENKUlvE_clEvENKUlvE2_clEvEUllE_EEvS4_RKT_EUlibE0_EEviT1_
    .private_segment_fixed_size: 0
    .sgpr_count:     70
    .sgpr_spill_count: 0
    .symbol:         _ZN2at6native32elementwise_kernel_manual_unrollILi128ELi4EZNS0_15gpu_kernel_implIZZZNS0_21clamp_min_kernel_cudaERNS_18TensorIteratorBaseERKN3c106ScalarEENKUlvE_clEvENKUlvE2_clEvEUllE_EEvS4_RKT_EUlibE0_EEviT1_.kd
    .uniform_work_group_size: 1
    .uses_dynamic_stack: false
    .vgpr_count:     19
    .vgpr_spill_count: 0
    .wavefront_size: 32
    .workgroup_processor_mode: 1
  - .args:
      - .offset:         0
        .size:           4
        .value_kind:     by_value
      - .offset:         4
        .size:           2
        .value_kind:     by_value
      - .offset:         8
        .size:           16
        .value_kind:     by_value
    .group_segment_fixed_size: 0
    .kernarg_segment_align: 8
    .kernarg_segment_size: 24
    .language:       OpenCL C
    .language_version:
      - 2
      - 0
    .max_flat_workgroup_size: 256
    .name:           _ZN2at6native29vectorized_elementwise_kernelILi16EZZZNS0_21clamp_min_kernel_cudaERNS_18TensorIteratorBaseERKN3c106ScalarEENKUlvE_clEvENKUlvE3_clEvEUlsE_St5arrayIPcLm2EEEEviT0_T1_
    .private_segment_fixed_size: 0
    .sgpr_count:     18
    .sgpr_spill_count: 0
    .symbol:         _ZN2at6native29vectorized_elementwise_kernelILi16EZZZNS0_21clamp_min_kernel_cudaERNS_18TensorIteratorBaseERKN3c106ScalarEENKUlvE_clEvENKUlvE3_clEvEUlsE_St5arrayIPcLm2EEEEviT0_T1_.kd
    .uniform_work_group_size: 1
    .uses_dynamic_stack: false
    .vgpr_count:     15
    .vgpr_spill_count: 0
    .wavefront_size: 32
    .workgroup_processor_mode: 1
  - .args:
      - .offset:         0
        .size:           4
        .value_kind:     by_value
      - .offset:         4
        .size:           2
        .value_kind:     by_value
      - .offset:         8
        .size:           16
        .value_kind:     by_value
    .group_segment_fixed_size: 0
    .kernarg_segment_align: 8
    .kernarg_segment_size: 24
    .language:       OpenCL C
    .language_version:
      - 2
      - 0
    .max_flat_workgroup_size: 256
    .name:           _ZN2at6native29vectorized_elementwise_kernelILi8EZZZNS0_21clamp_min_kernel_cudaERNS_18TensorIteratorBaseERKN3c106ScalarEENKUlvE_clEvENKUlvE3_clEvEUlsE_St5arrayIPcLm2EEEEviT0_T1_
    .private_segment_fixed_size: 0
    .sgpr_count:     18
    .sgpr_spill_count: 0
    .symbol:         _ZN2at6native29vectorized_elementwise_kernelILi8EZZZNS0_21clamp_min_kernel_cudaERNS_18TensorIteratorBaseERKN3c106ScalarEENKUlvE_clEvENKUlvE3_clEvEUlsE_St5arrayIPcLm2EEEEviT0_T1_.kd
    .uniform_work_group_size: 1
    .uses_dynamic_stack: false
    .vgpr_count:     15
    .vgpr_spill_count: 0
    .wavefront_size: 32
    .workgroup_processor_mode: 1
  - .args:
      - .offset:         0
        .size:           4
        .value_kind:     by_value
      - .offset:         4
        .size:           2
        .value_kind:     by_value
      - .offset:         8
        .size:           16
        .value_kind:     by_value
    .group_segment_fixed_size: 0
    .kernarg_segment_align: 8
    .kernarg_segment_size: 24
    .language:       OpenCL C
    .language_version:
      - 2
      - 0
    .max_flat_workgroup_size: 256
    .name:           _ZN2at6native29vectorized_elementwise_kernelILi4EZZZNS0_21clamp_min_kernel_cudaERNS_18TensorIteratorBaseERKN3c106ScalarEENKUlvE_clEvENKUlvE3_clEvEUlsE_St5arrayIPcLm2EEEEviT0_T1_
    .private_segment_fixed_size: 0
    .sgpr_count:     18
    .sgpr_spill_count: 0
    .symbol:         _ZN2at6native29vectorized_elementwise_kernelILi4EZZZNS0_21clamp_min_kernel_cudaERNS_18TensorIteratorBaseERKN3c106ScalarEENKUlvE_clEvENKUlvE3_clEvEUlsE_St5arrayIPcLm2EEEEviT0_T1_.kd
    .uniform_work_group_size: 1
    .uses_dynamic_stack: false
    .vgpr_count:     15
    .vgpr_spill_count: 0
    .wavefront_size: 32
    .workgroup_processor_mode: 1
  - .args:
      - .offset:         0
        .size:           4
        .value_kind:     by_value
      - .offset:         4
        .size:           2
        .value_kind:     by_value
      - .offset:         8
        .size:           16
        .value_kind:     by_value
    .group_segment_fixed_size: 0
    .kernarg_segment_align: 8
    .kernarg_segment_size: 24
    .language:       OpenCL C
    .language_version:
      - 2
      - 0
    .max_flat_workgroup_size: 256
    .name:           _ZN2at6native29vectorized_elementwise_kernelILi2EZZZNS0_21clamp_min_kernel_cudaERNS_18TensorIteratorBaseERKN3c106ScalarEENKUlvE_clEvENKUlvE3_clEvEUlsE_St5arrayIPcLm2EEEEviT0_T1_
    .private_segment_fixed_size: 0
    .sgpr_count:     18
    .sgpr_spill_count: 0
    .symbol:         _ZN2at6native29vectorized_elementwise_kernelILi2EZZZNS0_21clamp_min_kernel_cudaERNS_18TensorIteratorBaseERKN3c106ScalarEENKUlvE_clEvENKUlvE3_clEvEUlsE_St5arrayIPcLm2EEEEviT0_T1_.kd
    .uniform_work_group_size: 1
    .uses_dynamic_stack: false
    .vgpr_count:     15
    .vgpr_spill_count: 0
    .wavefront_size: 32
    .workgroup_processor_mode: 1
  - .args:
      - .offset:         0
        .size:           4
        .value_kind:     by_value
      - .offset:         4
        .size:           2
        .value_kind:     by_value
      - .offset:         8
        .size:           16
        .value_kind:     by_value
      - .offset:         24
        .size:           1
        .value_kind:     by_value
      - .offset:         25
        .size:           1
        .value_kind:     by_value
      - .offset:         26
        .size:           1
        .value_kind:     by_value
      - .offset:         27
        .size:           1
        .value_kind:     by_value
    .group_segment_fixed_size: 0
    .kernarg_segment_align: 8
    .kernarg_segment_size: 28
    .language:       OpenCL C
    .language_version:
      - 2
      - 0
    .max_flat_workgroup_size: 256
    .name:           _ZN2at6native27unrolled_elementwise_kernelIZZZNS0_21clamp_min_kernel_cudaERNS_18TensorIteratorBaseERKN3c106ScalarEENKUlvE_clEvENKUlvE3_clEvEUlsE_St5arrayIPcLm2EELi4E23TrivialOffsetCalculatorILi1EjESF_NS0_6memory15LoadWithoutCastENSG_16StoreWithoutCastEEEviT_T0_T2_T3_T4_T5_
    .private_segment_fixed_size: 0
    .sgpr_count:     18
    .sgpr_spill_count: 0
    .symbol:         _ZN2at6native27unrolled_elementwise_kernelIZZZNS0_21clamp_min_kernel_cudaERNS_18TensorIteratorBaseERKN3c106ScalarEENKUlvE_clEvENKUlvE3_clEvEUlsE_St5arrayIPcLm2EELi4E23TrivialOffsetCalculatorILi1EjESF_NS0_6memory15LoadWithoutCastENSG_16StoreWithoutCastEEEviT_T0_T2_T3_T4_T5_.kd
    .uniform_work_group_size: 1
    .uses_dynamic_stack: false
    .vgpr_count:     9
    .vgpr_spill_count: 0
    .wavefront_size: 32
    .workgroup_processor_mode: 1
  - .args:
      - .offset:         0
        .size:           4
        .value_kind:     by_value
      - .offset:         8
        .size:           352
        .value_kind:     by_value
    .group_segment_fixed_size: 0
    .kernarg_segment_align: 8
    .kernarg_segment_size: 360
    .language:       OpenCL C
    .language_version:
      - 2
      - 0
    .max_flat_workgroup_size: 128
    .name:           _ZN2at6native32elementwise_kernel_manual_unrollILi128ELi8EZNS0_22gpu_kernel_impl_nocastIZZZNS0_21clamp_min_kernel_cudaERNS_18TensorIteratorBaseERKN3c106ScalarEENKUlvE_clEvENKUlvE3_clEvEUlsE_EEvS4_RKT_EUlibE_EEviT1_
    .private_segment_fixed_size: 0
    .sgpr_count:     62
    .sgpr_spill_count: 0
    .symbol:         _ZN2at6native32elementwise_kernel_manual_unrollILi128ELi8EZNS0_22gpu_kernel_impl_nocastIZZZNS0_21clamp_min_kernel_cudaERNS_18TensorIteratorBaseERKN3c106ScalarEENKUlvE_clEvENKUlvE3_clEvEUlsE_EEvS4_RKT_EUlibE_EEviT1_.kd
    .uniform_work_group_size: 1
    .uses_dynamic_stack: false
    .vgpr_count:     26
    .vgpr_spill_count: 0
    .wavefront_size: 32
    .workgroup_processor_mode: 1
  - .args:
      - .offset:         0
        .size:           4
        .value_kind:     by_value
      - .offset:         8
        .size:           32
        .value_kind:     by_value
    .group_segment_fixed_size: 0
    .kernarg_segment_align: 8
    .kernarg_segment_size: 40
    .language:       OpenCL C
    .language_version:
      - 2
      - 0
    .max_flat_workgroup_size: 128
    .name:           _ZN2at6native32elementwise_kernel_manual_unrollILi128ELi4EZNS0_15gpu_kernel_implIZZZNS0_21clamp_min_kernel_cudaERNS_18TensorIteratorBaseERKN3c106ScalarEENKUlvE_clEvENKUlvE3_clEvEUlsE_EEvS4_RKT_EUlibE_EEviT1_
    .private_segment_fixed_size: 0
    .sgpr_count:     29
    .sgpr_spill_count: 0
    .symbol:         _ZN2at6native32elementwise_kernel_manual_unrollILi128ELi4EZNS0_15gpu_kernel_implIZZZNS0_21clamp_min_kernel_cudaERNS_18TensorIteratorBaseERKN3c106ScalarEENKUlvE_clEvENKUlvE3_clEvEUlsE_EEvS4_RKT_EUlibE_EEviT1_.kd
    .uniform_work_group_size: 1
    .uses_dynamic_stack: false
    .vgpr_count:     13
    .vgpr_spill_count: 0
    .wavefront_size: 32
    .workgroup_processor_mode: 1
  - .args:
      - .offset:         0
        .size:           4
        .value_kind:     by_value
      - .offset:         8
        .size:           352
        .value_kind:     by_value
    .group_segment_fixed_size: 0
    .kernarg_segment_align: 8
    .kernarg_segment_size: 360
    .language:       OpenCL C
    .language_version:
      - 2
      - 0
    .max_flat_workgroup_size: 128
    .name:           _ZN2at6native32elementwise_kernel_manual_unrollILi128ELi4EZNS0_15gpu_kernel_implIZZZNS0_21clamp_min_kernel_cudaERNS_18TensorIteratorBaseERKN3c106ScalarEENKUlvE_clEvENKUlvE3_clEvEUlsE_EEvS4_RKT_EUlibE0_EEviT1_
    .private_segment_fixed_size: 0
    .sgpr_count:     70
    .sgpr_spill_count: 0
    .symbol:         _ZN2at6native32elementwise_kernel_manual_unrollILi128ELi4EZNS0_15gpu_kernel_implIZZZNS0_21clamp_min_kernel_cudaERNS_18TensorIteratorBaseERKN3c106ScalarEENKUlvE_clEvENKUlvE3_clEvEUlsE_EEvS4_RKT_EUlibE0_EEviT1_.kd
    .uniform_work_group_size: 1
    .uses_dynamic_stack: false
    .vgpr_count:     18
    .vgpr_spill_count: 0
    .wavefront_size: 32
    .workgroup_processor_mode: 1
  - .args:
      - .offset:         0
        .size:           4
        .value_kind:     by_value
      - .offset:         8
        .size:           8
        .value_kind:     by_value
      - .offset:         16
        .size:           16
        .value_kind:     by_value
    .group_segment_fixed_size: 0
    .kernarg_segment_align: 8
    .kernarg_segment_size: 32
    .language:       OpenCL C
    .language_version:
      - 2
      - 0
    .max_flat_workgroup_size: 256
    .name:           _ZN2at6native29vectorized_elementwise_kernelILi16EZZZNS0_21clamp_min_kernel_cudaERNS_18TensorIteratorBaseERKN3c106ScalarEENKUlvE_clEvENKUlvE4_clEvEUldE_St5arrayIPcLm2EEEEviT0_T1_
    .private_segment_fixed_size: 0
    .sgpr_count:     18
    .sgpr_spill_count: 0
    .symbol:         _ZN2at6native29vectorized_elementwise_kernelILi16EZZZNS0_21clamp_min_kernel_cudaERNS_18TensorIteratorBaseERKN3c106ScalarEENKUlvE_clEvENKUlvE4_clEvEUldE_St5arrayIPcLm2EEEEviT0_T1_.kd
    .uniform_work_group_size: 1
    .uses_dynamic_stack: false
    .vgpr_count:     22
    .vgpr_spill_count: 0
    .wavefront_size: 32
    .workgroup_processor_mode: 1
  - .args:
      - .offset:         0
        .size:           4
        .value_kind:     by_value
      - .offset:         8
        .size:           8
        .value_kind:     by_value
      - .offset:         16
        .size:           16
        .value_kind:     by_value
    .group_segment_fixed_size: 0
    .kernarg_segment_align: 8
    .kernarg_segment_size: 32
    .language:       OpenCL C
    .language_version:
      - 2
      - 0
    .max_flat_workgroup_size: 256
    .name:           _ZN2at6native29vectorized_elementwise_kernelILi8EZZZNS0_21clamp_min_kernel_cudaERNS_18TensorIteratorBaseERKN3c106ScalarEENKUlvE_clEvENKUlvE4_clEvEUldE_St5arrayIPcLm2EEEEviT0_T1_
    .private_segment_fixed_size: 0
    .sgpr_count:     18
    .sgpr_spill_count: 0
    .symbol:         _ZN2at6native29vectorized_elementwise_kernelILi8EZZZNS0_21clamp_min_kernel_cudaERNS_18TensorIteratorBaseERKN3c106ScalarEENKUlvE_clEvENKUlvE4_clEvEUldE_St5arrayIPcLm2EEEEviT0_T1_.kd
    .uniform_work_group_size: 1
    .uses_dynamic_stack: false
    .vgpr_count:     22
    .vgpr_spill_count: 0
    .wavefront_size: 32
    .workgroup_processor_mode: 1
  - .args:
      - .offset:         0
        .size:           4
        .value_kind:     by_value
      - .offset:         8
        .size:           8
        .value_kind:     by_value
      - .offset:         16
        .size:           16
        .value_kind:     by_value
    .group_segment_fixed_size: 0
    .kernarg_segment_align: 8
    .kernarg_segment_size: 32
    .language:       OpenCL C
    .language_version:
      - 2
      - 0
    .max_flat_workgroup_size: 256
    .name:           _ZN2at6native29vectorized_elementwise_kernelILi4EZZZNS0_21clamp_min_kernel_cudaERNS_18TensorIteratorBaseERKN3c106ScalarEENKUlvE_clEvENKUlvE4_clEvEUldE_St5arrayIPcLm2EEEEviT0_T1_
    .private_segment_fixed_size: 0
    .sgpr_count:     18
    .sgpr_spill_count: 0
    .symbol:         _ZN2at6native29vectorized_elementwise_kernelILi4EZZZNS0_21clamp_min_kernel_cudaERNS_18TensorIteratorBaseERKN3c106ScalarEENKUlvE_clEvENKUlvE4_clEvEUldE_St5arrayIPcLm2EEEEviT0_T1_.kd
    .uniform_work_group_size: 1
    .uses_dynamic_stack: false
    .vgpr_count:     22
    .vgpr_spill_count: 0
    .wavefront_size: 32
    .workgroup_processor_mode: 1
  - .args:
      - .offset:         0
        .size:           4
        .value_kind:     by_value
      - .offset:         8
        .size:           8
        .value_kind:     by_value
      - .offset:         16
        .size:           16
        .value_kind:     by_value
    .group_segment_fixed_size: 0
    .kernarg_segment_align: 8
    .kernarg_segment_size: 32
    .language:       OpenCL C
    .language_version:
      - 2
      - 0
    .max_flat_workgroup_size: 256
    .name:           _ZN2at6native29vectorized_elementwise_kernelILi2EZZZNS0_21clamp_min_kernel_cudaERNS_18TensorIteratorBaseERKN3c106ScalarEENKUlvE_clEvENKUlvE4_clEvEUldE_St5arrayIPcLm2EEEEviT0_T1_
    .private_segment_fixed_size: 0
    .sgpr_count:     18
    .sgpr_spill_count: 0
    .symbol:         _ZN2at6native29vectorized_elementwise_kernelILi2EZZZNS0_21clamp_min_kernel_cudaERNS_18TensorIteratorBaseERKN3c106ScalarEENKUlvE_clEvENKUlvE4_clEvEUldE_St5arrayIPcLm2EEEEviT0_T1_.kd
    .uniform_work_group_size: 1
    .uses_dynamic_stack: false
    .vgpr_count:     22
    .vgpr_spill_count: 0
    .wavefront_size: 32
    .workgroup_processor_mode: 1
  - .args:
      - .offset:         0
        .size:           4
        .value_kind:     by_value
      - .offset:         8
        .size:           8
        .value_kind:     by_value
      - .offset:         16
        .size:           16
        .value_kind:     by_value
      - .offset:         32
        .size:           1
        .value_kind:     by_value
      - .offset:         33
        .size:           1
        .value_kind:     by_value
      - .offset:         34
        .size:           1
        .value_kind:     by_value
      - .offset:         35
        .size:           1
        .value_kind:     by_value
    .group_segment_fixed_size: 0
    .kernarg_segment_align: 8
    .kernarg_segment_size: 36
    .language:       OpenCL C
    .language_version:
      - 2
      - 0
    .max_flat_workgroup_size: 256
    .name:           _ZN2at6native27unrolled_elementwise_kernelIZZZNS0_21clamp_min_kernel_cudaERNS_18TensorIteratorBaseERKN3c106ScalarEENKUlvE_clEvENKUlvE4_clEvEUldE_St5arrayIPcLm2EELi4E23TrivialOffsetCalculatorILi1EjESF_NS0_6memory15LoadWithoutCastENSG_16StoreWithoutCastEEEviT_T0_T2_T3_T4_T5_
    .private_segment_fixed_size: 0
    .sgpr_count:     18
    .sgpr_spill_count: 0
    .symbol:         _ZN2at6native27unrolled_elementwise_kernelIZZZNS0_21clamp_min_kernel_cudaERNS_18TensorIteratorBaseERKN3c106ScalarEENKUlvE_clEvENKUlvE4_clEvEUldE_St5arrayIPcLm2EELi4E23TrivialOffsetCalculatorILi1EjESF_NS0_6memory15LoadWithoutCastENSG_16StoreWithoutCastEEEviT_T0_T2_T3_T4_T5_.kd
    .uniform_work_group_size: 1
    .uses_dynamic_stack: false
    .vgpr_count:     22
    .vgpr_spill_count: 0
    .wavefront_size: 32
    .workgroup_processor_mode: 1
  - .args:
      - .offset:         0
        .size:           4
        .value_kind:     by_value
      - .offset:         8
        .size:           352
        .value_kind:     by_value
    .group_segment_fixed_size: 0
    .kernarg_segment_align: 8
    .kernarg_segment_size: 360
    .language:       OpenCL C
    .language_version:
      - 2
      - 0
    .max_flat_workgroup_size: 128
    .name:           _ZN2at6native32elementwise_kernel_manual_unrollILi128ELi4EZNS0_22gpu_kernel_impl_nocastIZZZNS0_21clamp_min_kernel_cudaERNS_18TensorIteratorBaseERKN3c106ScalarEENKUlvE_clEvENKUlvE4_clEvEUldE_EEvS4_RKT_EUlibE_EEviT1_
    .private_segment_fixed_size: 0
    .sgpr_count:     62
    .sgpr_spill_count: 0
    .symbol:         _ZN2at6native32elementwise_kernel_manual_unrollILi128ELi4EZNS0_22gpu_kernel_impl_nocastIZZZNS0_21clamp_min_kernel_cudaERNS_18TensorIteratorBaseERKN3c106ScalarEENKUlvE_clEvENKUlvE4_clEvEUldE_EEvS4_RKT_EUlibE_EEviT1_.kd
    .uniform_work_group_size: 1
    .uses_dynamic_stack: false
    .vgpr_count:     26
    .vgpr_spill_count: 0
    .wavefront_size: 32
    .workgroup_processor_mode: 1
  - .args:
      - .offset:         0
        .size:           4
        .value_kind:     by_value
      - .offset:         8
        .size:           40
        .value_kind:     by_value
    .group_segment_fixed_size: 0
    .kernarg_segment_align: 8
    .kernarg_segment_size: 48
    .language:       OpenCL C
    .language_version:
      - 2
      - 0
    .max_flat_workgroup_size: 128
    .name:           _ZN2at6native32elementwise_kernel_manual_unrollILi128ELi4EZNS0_15gpu_kernel_implIZZZNS0_21clamp_min_kernel_cudaERNS_18TensorIteratorBaseERKN3c106ScalarEENKUlvE_clEvENKUlvE4_clEvEUldE_EEvS4_RKT_EUlibE_EEviT1_
    .private_segment_fixed_size: 0
    .sgpr_count:     30
    .sgpr_spill_count: 0
    .symbol:         _ZN2at6native32elementwise_kernel_manual_unrollILi128ELi4EZNS0_15gpu_kernel_implIZZZNS0_21clamp_min_kernel_cudaERNS_18TensorIteratorBaseERKN3c106ScalarEENKUlvE_clEvENKUlvE4_clEvEUldE_EEvS4_RKT_EUlibE_EEviT1_.kd
    .uniform_work_group_size: 1
    .uses_dynamic_stack: false
    .vgpr_count:     18
    .vgpr_spill_count: 0
    .wavefront_size: 32
    .workgroup_processor_mode: 1
  - .args:
      - .offset:         0
        .size:           4
        .value_kind:     by_value
      - .offset:         8
        .size:           360
        .value_kind:     by_value
    .group_segment_fixed_size: 0
    .kernarg_segment_align: 8
    .kernarg_segment_size: 368
    .language:       OpenCL C
    .language_version:
      - 2
      - 0
    .max_flat_workgroup_size: 128
    .name:           _ZN2at6native32elementwise_kernel_manual_unrollILi128ELi4EZNS0_15gpu_kernel_implIZZZNS0_21clamp_min_kernel_cudaERNS_18TensorIteratorBaseERKN3c106ScalarEENKUlvE_clEvENKUlvE4_clEvEUldE_EEvS4_RKT_EUlibE0_EEviT1_
    .private_segment_fixed_size: 0
    .sgpr_count:     70
    .sgpr_spill_count: 0
    .symbol:         _ZN2at6native32elementwise_kernel_manual_unrollILi128ELi4EZNS0_15gpu_kernel_implIZZZNS0_21clamp_min_kernel_cudaERNS_18TensorIteratorBaseERKN3c106ScalarEENKUlvE_clEvENKUlvE4_clEvEUldE_EEvS4_RKT_EUlibE0_EEviT1_.kd
    .uniform_work_group_size: 1
    .uses_dynamic_stack: false
    .vgpr_count:     19
    .vgpr_spill_count: 0
    .wavefront_size: 32
    .workgroup_processor_mode: 1
  - .args:
      - .offset:         0
        .size:           4
        .value_kind:     by_value
      - .offset:         4
        .size:           4
        .value_kind:     by_value
      - .offset:         8
        .size:           16
        .value_kind:     by_value
    .group_segment_fixed_size: 0
    .kernarg_segment_align: 8
    .kernarg_segment_size: 24
    .language:       OpenCL C
    .language_version:
      - 2
      - 0
    .max_flat_workgroup_size: 256
    .name:           _ZN2at6native29vectorized_elementwise_kernelILi16EZZZNS0_21clamp_min_kernel_cudaERNS_18TensorIteratorBaseERKN3c106ScalarEENKUlvE_clEvENKUlvE5_clEvEUlfE_St5arrayIPcLm2EEEEviT0_T1_
    .private_segment_fixed_size: 0
    .sgpr_count:     18
    .sgpr_spill_count: 0
    .symbol:         _ZN2at6native29vectorized_elementwise_kernelILi16EZZZNS0_21clamp_min_kernel_cudaERNS_18TensorIteratorBaseERKN3c106ScalarEENKUlvE_clEvENKUlvE5_clEvEUlfE_St5arrayIPcLm2EEEEviT0_T1_.kd
    .uniform_work_group_size: 1
    .uses_dynamic_stack: false
    .vgpr_count:     13
    .vgpr_spill_count: 0
    .wavefront_size: 32
    .workgroup_processor_mode: 1
  - .args:
      - .offset:         0
        .size:           4
        .value_kind:     by_value
      - .offset:         4
        .size:           4
        .value_kind:     by_value
      - .offset:         8
        .size:           16
        .value_kind:     by_value
    .group_segment_fixed_size: 0
    .kernarg_segment_align: 8
    .kernarg_segment_size: 24
    .language:       OpenCL C
    .language_version:
      - 2
      - 0
    .max_flat_workgroup_size: 256
    .name:           _ZN2at6native29vectorized_elementwise_kernelILi8EZZZNS0_21clamp_min_kernel_cudaERNS_18TensorIteratorBaseERKN3c106ScalarEENKUlvE_clEvENKUlvE5_clEvEUlfE_St5arrayIPcLm2EEEEviT0_T1_
    .private_segment_fixed_size: 0
    .sgpr_count:     18
    .sgpr_spill_count: 0
    .symbol:         _ZN2at6native29vectorized_elementwise_kernelILi8EZZZNS0_21clamp_min_kernel_cudaERNS_18TensorIteratorBaseERKN3c106ScalarEENKUlvE_clEvENKUlvE5_clEvEUlfE_St5arrayIPcLm2EEEEviT0_T1_.kd
    .uniform_work_group_size: 1
    .uses_dynamic_stack: false
    .vgpr_count:     13
    .vgpr_spill_count: 0
    .wavefront_size: 32
    .workgroup_processor_mode: 1
  - .args:
      - .offset:         0
        .size:           4
        .value_kind:     by_value
      - .offset:         4
        .size:           4
        .value_kind:     by_value
      - .offset:         8
        .size:           16
        .value_kind:     by_value
    .group_segment_fixed_size: 0
    .kernarg_segment_align: 8
    .kernarg_segment_size: 24
    .language:       OpenCL C
    .language_version:
      - 2
      - 0
    .max_flat_workgroup_size: 256
    .name:           _ZN2at6native29vectorized_elementwise_kernelILi4EZZZNS0_21clamp_min_kernel_cudaERNS_18TensorIteratorBaseERKN3c106ScalarEENKUlvE_clEvENKUlvE5_clEvEUlfE_St5arrayIPcLm2EEEEviT0_T1_
    .private_segment_fixed_size: 0
    .sgpr_count:     18
    .sgpr_spill_count: 0
    .symbol:         _ZN2at6native29vectorized_elementwise_kernelILi4EZZZNS0_21clamp_min_kernel_cudaERNS_18TensorIteratorBaseERKN3c106ScalarEENKUlvE_clEvENKUlvE5_clEvEUlfE_St5arrayIPcLm2EEEEviT0_T1_.kd
    .uniform_work_group_size: 1
    .uses_dynamic_stack: false
    .vgpr_count:     13
    .vgpr_spill_count: 0
    .wavefront_size: 32
    .workgroup_processor_mode: 1
  - .args:
      - .offset:         0
        .size:           4
        .value_kind:     by_value
      - .offset:         4
        .size:           4
        .value_kind:     by_value
      - .offset:         8
        .size:           16
        .value_kind:     by_value
    .group_segment_fixed_size: 0
    .kernarg_segment_align: 8
    .kernarg_segment_size: 24
    .language:       OpenCL C
    .language_version:
      - 2
      - 0
    .max_flat_workgroup_size: 256
    .name:           _ZN2at6native29vectorized_elementwise_kernelILi2EZZZNS0_21clamp_min_kernel_cudaERNS_18TensorIteratorBaseERKN3c106ScalarEENKUlvE_clEvENKUlvE5_clEvEUlfE_St5arrayIPcLm2EEEEviT0_T1_
    .private_segment_fixed_size: 0
    .sgpr_count:     18
    .sgpr_spill_count: 0
    .symbol:         _ZN2at6native29vectorized_elementwise_kernelILi2EZZZNS0_21clamp_min_kernel_cudaERNS_18TensorIteratorBaseERKN3c106ScalarEENKUlvE_clEvENKUlvE5_clEvEUlfE_St5arrayIPcLm2EEEEviT0_T1_.kd
    .uniform_work_group_size: 1
    .uses_dynamic_stack: false
    .vgpr_count:     13
    .vgpr_spill_count: 0
    .wavefront_size: 32
    .workgroup_processor_mode: 1
  - .args:
      - .offset:         0
        .size:           4
        .value_kind:     by_value
      - .offset:         4
        .size:           4
        .value_kind:     by_value
      - .offset:         8
        .size:           16
        .value_kind:     by_value
      - .offset:         24
        .size:           1
        .value_kind:     by_value
      - .offset:         25
        .size:           1
        .value_kind:     by_value
      - .offset:         26
        .size:           1
        .value_kind:     by_value
      - .offset:         27
        .size:           1
        .value_kind:     by_value
    .group_segment_fixed_size: 0
    .kernarg_segment_align: 8
    .kernarg_segment_size: 28
    .language:       OpenCL C
    .language_version:
      - 2
      - 0
    .max_flat_workgroup_size: 256
    .name:           _ZN2at6native27unrolled_elementwise_kernelIZZZNS0_21clamp_min_kernel_cudaERNS_18TensorIteratorBaseERKN3c106ScalarEENKUlvE_clEvENKUlvE5_clEvEUlfE_St5arrayIPcLm2EELi4E23TrivialOffsetCalculatorILi1EjESF_NS0_6memory15LoadWithoutCastENSG_16StoreWithoutCastEEEviT_T0_T2_T3_T4_T5_
    .private_segment_fixed_size: 0
    .sgpr_count:     18
    .sgpr_spill_count: 0
    .symbol:         _ZN2at6native27unrolled_elementwise_kernelIZZZNS0_21clamp_min_kernel_cudaERNS_18TensorIteratorBaseERKN3c106ScalarEENKUlvE_clEvENKUlvE5_clEvEUlfE_St5arrayIPcLm2EELi4E23TrivialOffsetCalculatorILi1EjESF_NS0_6memory15LoadWithoutCastENSG_16StoreWithoutCastEEEviT_T0_T2_T3_T4_T5_.kd
    .uniform_work_group_size: 1
    .uses_dynamic_stack: false
    .vgpr_count:     13
    .vgpr_spill_count: 0
    .wavefront_size: 32
    .workgroup_processor_mode: 1
  - .args:
      - .offset:         0
        .size:           4
        .value_kind:     by_value
      - .offset:         8
        .size:           352
        .value_kind:     by_value
    .group_segment_fixed_size: 0
    .kernarg_segment_align: 8
    .kernarg_segment_size: 360
    .language:       OpenCL C
    .language_version:
      - 2
      - 0
    .max_flat_workgroup_size: 128
    .name:           _ZN2at6native32elementwise_kernel_manual_unrollILi128ELi4EZNS0_22gpu_kernel_impl_nocastIZZZNS0_21clamp_min_kernel_cudaERNS_18TensorIteratorBaseERKN3c106ScalarEENKUlvE_clEvENKUlvE5_clEvEUlfE_EEvS4_RKT_EUlibE_EEviT1_
    .private_segment_fixed_size: 0
    .sgpr_count:     62
    .sgpr_spill_count: 0
    .symbol:         _ZN2at6native32elementwise_kernel_manual_unrollILi128ELi4EZNS0_22gpu_kernel_impl_nocastIZZZNS0_21clamp_min_kernel_cudaERNS_18TensorIteratorBaseERKN3c106ScalarEENKUlvE_clEvENKUlvE5_clEvEUlfE_EEvS4_RKT_EUlibE_EEviT1_.kd
    .uniform_work_group_size: 1
    .uses_dynamic_stack: false
    .vgpr_count:     18
    .vgpr_spill_count: 0
    .wavefront_size: 32
    .workgroup_processor_mode: 1
  - .args:
      - .offset:         0
        .size:           4
        .value_kind:     by_value
      - .offset:         8
        .size:           32
        .value_kind:     by_value
    .group_segment_fixed_size: 0
    .kernarg_segment_align: 8
    .kernarg_segment_size: 40
    .language:       OpenCL C
    .language_version:
      - 2
      - 0
    .max_flat_workgroup_size: 128
    .name:           _ZN2at6native32elementwise_kernel_manual_unrollILi128ELi4EZNS0_15gpu_kernel_implIZZZNS0_21clamp_min_kernel_cudaERNS_18TensorIteratorBaseERKN3c106ScalarEENKUlvE_clEvENKUlvE5_clEvEUlfE_EEvS4_RKT_EUlibE_EEviT1_
    .private_segment_fixed_size: 0
    .sgpr_count:     28
    .sgpr_spill_count: 0
    .symbol:         _ZN2at6native32elementwise_kernel_manual_unrollILi128ELi4EZNS0_15gpu_kernel_implIZZZNS0_21clamp_min_kernel_cudaERNS_18TensorIteratorBaseERKN3c106ScalarEENKUlvE_clEvENKUlvE5_clEvEUlfE_EEvS4_RKT_EUlibE_EEviT1_.kd
    .uniform_work_group_size: 1
    .uses_dynamic_stack: false
    .vgpr_count:     14
    .vgpr_spill_count: 0
    .wavefront_size: 32
    .workgroup_processor_mode: 1
  - .args:
      - .offset:         0
        .size:           4
        .value_kind:     by_value
      - .offset:         8
        .size:           352
        .value_kind:     by_value
    .group_segment_fixed_size: 0
    .kernarg_segment_align: 8
    .kernarg_segment_size: 360
    .language:       OpenCL C
    .language_version:
      - 2
      - 0
    .max_flat_workgroup_size: 128
    .name:           _ZN2at6native32elementwise_kernel_manual_unrollILi128ELi4EZNS0_15gpu_kernel_implIZZZNS0_21clamp_min_kernel_cudaERNS_18TensorIteratorBaseERKN3c106ScalarEENKUlvE_clEvENKUlvE5_clEvEUlfE_EEvS4_RKT_EUlibE0_EEviT1_
    .private_segment_fixed_size: 0
    .sgpr_count:     70
    .sgpr_spill_count: 0
    .symbol:         _ZN2at6native32elementwise_kernel_manual_unrollILi128ELi4EZNS0_15gpu_kernel_implIZZZNS0_21clamp_min_kernel_cudaERNS_18TensorIteratorBaseERKN3c106ScalarEENKUlvE_clEvENKUlvE5_clEvEUlfE_EEvS4_RKT_EUlibE0_EEviT1_.kd
    .uniform_work_group_size: 1
    .uses_dynamic_stack: false
    .vgpr_count:     18
    .vgpr_spill_count: 0
    .wavefront_size: 32
    .workgroup_processor_mode: 1
  - .args:
      - .offset:         0
        .size:           4
        .value_kind:     by_value
      - .offset:         4
        .size:           2
        .value_kind:     by_value
      - .offset:         8
        .size:           16
        .value_kind:     by_value
    .group_segment_fixed_size: 0
    .kernarg_segment_align: 8
    .kernarg_segment_size: 24
    .language:       OpenCL C
    .language_version:
      - 2
      - 0
    .max_flat_workgroup_size: 256
    .name:           _ZN2at6native29vectorized_elementwise_kernelILi16EZZZNS0_21clamp_min_kernel_cudaERNS_18TensorIteratorBaseERKN3c106ScalarEENKUlvE_clEvENKUlvE6_clEvEUlNS4_4HalfEE_St5arrayIPcLm2EEEEviT0_T1_
    .private_segment_fixed_size: 0
    .sgpr_count:     22
    .sgpr_spill_count: 0
    .symbol:         _ZN2at6native29vectorized_elementwise_kernelILi16EZZZNS0_21clamp_min_kernel_cudaERNS_18TensorIteratorBaseERKN3c106ScalarEENKUlvE_clEvENKUlvE6_clEvEUlNS4_4HalfEE_St5arrayIPcLm2EEEEviT0_T1_.kd
    .uniform_work_group_size: 1
    .uses_dynamic_stack: false
    .vgpr_count:     14
    .vgpr_spill_count: 0
    .wavefront_size: 32
    .workgroup_processor_mode: 1
  - .args:
      - .offset:         0
        .size:           4
        .value_kind:     by_value
      - .offset:         4
        .size:           2
        .value_kind:     by_value
      - .offset:         8
        .size:           16
        .value_kind:     by_value
    .group_segment_fixed_size: 0
    .kernarg_segment_align: 8
    .kernarg_segment_size: 24
    .language:       OpenCL C
    .language_version:
      - 2
      - 0
    .max_flat_workgroup_size: 256
    .name:           _ZN2at6native29vectorized_elementwise_kernelILi8EZZZNS0_21clamp_min_kernel_cudaERNS_18TensorIteratorBaseERKN3c106ScalarEENKUlvE_clEvENKUlvE6_clEvEUlNS4_4HalfEE_St5arrayIPcLm2EEEEviT0_T1_
    .private_segment_fixed_size: 0
    .sgpr_count:     22
    .sgpr_spill_count: 0
    .symbol:         _ZN2at6native29vectorized_elementwise_kernelILi8EZZZNS0_21clamp_min_kernel_cudaERNS_18TensorIteratorBaseERKN3c106ScalarEENKUlvE_clEvENKUlvE6_clEvEUlNS4_4HalfEE_St5arrayIPcLm2EEEEviT0_T1_.kd
    .uniform_work_group_size: 1
    .uses_dynamic_stack: false
    .vgpr_count:     14
    .vgpr_spill_count: 0
    .wavefront_size: 32
    .workgroup_processor_mode: 1
  - .args:
      - .offset:         0
        .size:           4
        .value_kind:     by_value
      - .offset:         4
        .size:           2
        .value_kind:     by_value
      - .offset:         8
        .size:           16
        .value_kind:     by_value
    .group_segment_fixed_size: 0
    .kernarg_segment_align: 8
    .kernarg_segment_size: 24
    .language:       OpenCL C
    .language_version:
      - 2
      - 0
    .max_flat_workgroup_size: 256
    .name:           _ZN2at6native29vectorized_elementwise_kernelILi4EZZZNS0_21clamp_min_kernel_cudaERNS_18TensorIteratorBaseERKN3c106ScalarEENKUlvE_clEvENKUlvE6_clEvEUlNS4_4HalfEE_St5arrayIPcLm2EEEEviT0_T1_
    .private_segment_fixed_size: 0
    .sgpr_count:     20
    .sgpr_spill_count: 0
    .symbol:         _ZN2at6native29vectorized_elementwise_kernelILi4EZZZNS0_21clamp_min_kernel_cudaERNS_18TensorIteratorBaseERKN3c106ScalarEENKUlvE_clEvENKUlvE6_clEvEUlNS4_4HalfEE_St5arrayIPcLm2EEEEviT0_T1_.kd
    .uniform_work_group_size: 1
    .uses_dynamic_stack: false
    .vgpr_count:     14
    .vgpr_spill_count: 0
    .wavefront_size: 32
    .workgroup_processor_mode: 1
  - .args:
      - .offset:         0
        .size:           4
        .value_kind:     by_value
      - .offset:         4
        .size:           2
        .value_kind:     by_value
      - .offset:         8
        .size:           16
        .value_kind:     by_value
    .group_segment_fixed_size: 0
    .kernarg_segment_align: 8
    .kernarg_segment_size: 24
    .language:       OpenCL C
    .language_version:
      - 2
      - 0
    .max_flat_workgroup_size: 256
    .name:           _ZN2at6native29vectorized_elementwise_kernelILi2EZZZNS0_21clamp_min_kernel_cudaERNS_18TensorIteratorBaseERKN3c106ScalarEENKUlvE_clEvENKUlvE6_clEvEUlNS4_4HalfEE_St5arrayIPcLm2EEEEviT0_T1_
    .private_segment_fixed_size: 0
    .sgpr_count:     20
    .sgpr_spill_count: 0
    .symbol:         _ZN2at6native29vectorized_elementwise_kernelILi2EZZZNS0_21clamp_min_kernel_cudaERNS_18TensorIteratorBaseERKN3c106ScalarEENKUlvE_clEvENKUlvE6_clEvEUlNS4_4HalfEE_St5arrayIPcLm2EEEEviT0_T1_.kd
    .uniform_work_group_size: 1
    .uses_dynamic_stack: false
    .vgpr_count:     14
    .vgpr_spill_count: 0
    .wavefront_size: 32
    .workgroup_processor_mode: 1
  - .args:
      - .offset:         0
        .size:           4
        .value_kind:     by_value
      - .offset:         4
        .size:           2
        .value_kind:     by_value
      - .offset:         8
        .size:           16
        .value_kind:     by_value
      - .offset:         24
        .size:           1
        .value_kind:     by_value
      - .offset:         25
        .size:           1
        .value_kind:     by_value
      - .offset:         26
        .size:           1
        .value_kind:     by_value
      - .offset:         27
        .size:           1
        .value_kind:     by_value
    .group_segment_fixed_size: 0
    .kernarg_segment_align: 8
    .kernarg_segment_size: 28
    .language:       OpenCL C
    .language_version:
      - 2
      - 0
    .max_flat_workgroup_size: 256
    .name:           _ZN2at6native27unrolled_elementwise_kernelIZZZNS0_21clamp_min_kernel_cudaERNS_18TensorIteratorBaseERKN3c106ScalarEENKUlvE_clEvENKUlvE6_clEvEUlNS4_4HalfEE_St5arrayIPcLm2EELi4E23TrivialOffsetCalculatorILi1EjESG_NS0_6memory15LoadWithoutCastENSH_16StoreWithoutCastEEEviT_T0_T2_T3_T4_T5_
    .private_segment_fixed_size: 0
    .sgpr_count:     18
    .sgpr_spill_count: 0
    .symbol:         _ZN2at6native27unrolled_elementwise_kernelIZZZNS0_21clamp_min_kernel_cudaERNS_18TensorIteratorBaseERKN3c106ScalarEENKUlvE_clEvENKUlvE6_clEvEUlNS4_4HalfEE_St5arrayIPcLm2EELi4E23TrivialOffsetCalculatorILi1EjESG_NS0_6memory15LoadWithoutCastENSH_16StoreWithoutCastEEEviT_T0_T2_T3_T4_T5_.kd
    .uniform_work_group_size: 1
    .uses_dynamic_stack: false
    .vgpr_count:     10
    .vgpr_spill_count: 0
    .wavefront_size: 32
    .workgroup_processor_mode: 1
  - .args:
      - .offset:         0
        .size:           4
        .value_kind:     by_value
      - .offset:         8
        .size:           352
        .value_kind:     by_value
    .group_segment_fixed_size: 0
    .kernarg_segment_align: 8
    .kernarg_segment_size: 360
    .language:       OpenCL C
    .language_version:
      - 2
      - 0
    .max_flat_workgroup_size: 128
    .name:           _ZN2at6native32elementwise_kernel_manual_unrollILi128ELi8EZNS0_22gpu_kernel_impl_nocastIZZZNS0_21clamp_min_kernel_cudaERNS_18TensorIteratorBaseERKN3c106ScalarEENKUlvE_clEvENKUlvE6_clEvEUlNS5_4HalfEE_EEvS4_RKT_EUlibE_EEviT1_
    .private_segment_fixed_size: 0
    .sgpr_count:     62
    .sgpr_spill_count: 0
    .symbol:         _ZN2at6native32elementwise_kernel_manual_unrollILi128ELi8EZNS0_22gpu_kernel_impl_nocastIZZZNS0_21clamp_min_kernel_cudaERNS_18TensorIteratorBaseERKN3c106ScalarEENKUlvE_clEvENKUlvE6_clEvEUlNS5_4HalfEE_EEvS4_RKT_EUlibE_EEviT1_.kd
    .uniform_work_group_size: 1
    .uses_dynamic_stack: false
    .vgpr_count:     26
    .vgpr_spill_count: 0
    .wavefront_size: 32
    .workgroup_processor_mode: 1
  - .args:
      - .offset:         0
        .size:           4
        .value_kind:     by_value
      - .offset:         8
        .size:           32
        .value_kind:     by_value
    .group_segment_fixed_size: 0
    .kernarg_segment_align: 8
    .kernarg_segment_size: 40
    .language:       OpenCL C
    .language_version:
      - 2
      - 0
    .max_flat_workgroup_size: 128
    .name:           _ZN2at6native32elementwise_kernel_manual_unrollILi128ELi4EZNS0_15gpu_kernel_implIZZZNS0_21clamp_min_kernel_cudaERNS_18TensorIteratorBaseERKN3c106ScalarEENKUlvE_clEvENKUlvE6_clEvEUlNS5_4HalfEE_EEvS4_RKT_EUlibE_EEviT1_
    .private_segment_fixed_size: 0
    .sgpr_count:     29
    .sgpr_spill_count: 0
    .symbol:         _ZN2at6native32elementwise_kernel_manual_unrollILi128ELi4EZNS0_15gpu_kernel_implIZZZNS0_21clamp_min_kernel_cudaERNS_18TensorIteratorBaseERKN3c106ScalarEENKUlvE_clEvENKUlvE6_clEvEUlNS5_4HalfEE_EEvS4_RKT_EUlibE_EEviT1_.kd
    .uniform_work_group_size: 1
    .uses_dynamic_stack: false
    .vgpr_count:     12
    .vgpr_spill_count: 0
    .wavefront_size: 32
    .workgroup_processor_mode: 1
  - .args:
      - .offset:         0
        .size:           4
        .value_kind:     by_value
      - .offset:         8
        .size:           352
        .value_kind:     by_value
    .group_segment_fixed_size: 0
    .kernarg_segment_align: 8
    .kernarg_segment_size: 360
    .language:       OpenCL C
    .language_version:
      - 2
      - 0
    .max_flat_workgroup_size: 128
    .name:           _ZN2at6native32elementwise_kernel_manual_unrollILi128ELi4EZNS0_15gpu_kernel_implIZZZNS0_21clamp_min_kernel_cudaERNS_18TensorIteratorBaseERKN3c106ScalarEENKUlvE_clEvENKUlvE6_clEvEUlNS5_4HalfEE_EEvS4_RKT_EUlibE0_EEviT1_
    .private_segment_fixed_size: 0
    .sgpr_count:     70
    .sgpr_spill_count: 0
    .symbol:         _ZN2at6native32elementwise_kernel_manual_unrollILi128ELi4EZNS0_15gpu_kernel_implIZZZNS0_21clamp_min_kernel_cudaERNS_18TensorIteratorBaseERKN3c106ScalarEENKUlvE_clEvENKUlvE6_clEvEUlNS5_4HalfEE_EEvS4_RKT_EUlibE0_EEviT1_.kd
    .uniform_work_group_size: 1
    .uses_dynamic_stack: false
    .vgpr_count:     18
    .vgpr_spill_count: 0
    .wavefront_size: 32
    .workgroup_processor_mode: 1
  - .args:
      - .offset:         0
        .size:           4
        .value_kind:     by_value
      - .offset:         4
        .size:           2
        .value_kind:     by_value
      - .offset:         8
        .size:           16
        .value_kind:     by_value
    .group_segment_fixed_size: 0
    .kernarg_segment_align: 8
    .kernarg_segment_size: 24
    .language:       OpenCL C
    .language_version:
      - 2
      - 0
    .max_flat_workgroup_size: 256
    .name:           _ZN2at6native29vectorized_elementwise_kernelILi16EZZZNS0_21clamp_min_kernel_cudaERNS_18TensorIteratorBaseERKN3c106ScalarEENKUlvE_clEvENKUlvE7_clEvEUlNS4_8BFloat16EE_St5arrayIPcLm2EEEEviT0_T1_
    .private_segment_fixed_size: 0
    .sgpr_count:     28
    .sgpr_spill_count: 0
    .symbol:         _ZN2at6native29vectorized_elementwise_kernelILi16EZZZNS0_21clamp_min_kernel_cudaERNS_18TensorIteratorBaseERKN3c106ScalarEENKUlvE_clEvENKUlvE7_clEvEUlNS4_8BFloat16EE_St5arrayIPcLm2EEEEviT0_T1_.kd
    .uniform_work_group_size: 1
    .uses_dynamic_stack: false
    .vgpr_count:     18
    .vgpr_spill_count: 0
    .wavefront_size: 32
    .workgroup_processor_mode: 1
  - .args:
      - .offset:         0
        .size:           4
        .value_kind:     by_value
      - .offset:         4
        .size:           2
        .value_kind:     by_value
      - .offset:         8
        .size:           16
        .value_kind:     by_value
    .group_segment_fixed_size: 0
    .kernarg_segment_align: 8
    .kernarg_segment_size: 24
    .language:       OpenCL C
    .language_version:
      - 2
      - 0
    .max_flat_workgroup_size: 256
    .name:           _ZN2at6native29vectorized_elementwise_kernelILi8EZZZNS0_21clamp_min_kernel_cudaERNS_18TensorIteratorBaseERKN3c106ScalarEENKUlvE_clEvENKUlvE7_clEvEUlNS4_8BFloat16EE_St5arrayIPcLm2EEEEviT0_T1_
    .private_segment_fixed_size: 0
    .sgpr_count:     28
    .sgpr_spill_count: 0
    .symbol:         _ZN2at6native29vectorized_elementwise_kernelILi8EZZZNS0_21clamp_min_kernel_cudaERNS_18TensorIteratorBaseERKN3c106ScalarEENKUlvE_clEvENKUlvE7_clEvEUlNS4_8BFloat16EE_St5arrayIPcLm2EEEEviT0_T1_.kd
    .uniform_work_group_size: 1
    .uses_dynamic_stack: false
    .vgpr_count:     18
    .vgpr_spill_count: 0
    .wavefront_size: 32
    .workgroup_processor_mode: 1
  - .args:
      - .offset:         0
        .size:           4
        .value_kind:     by_value
      - .offset:         4
        .size:           2
        .value_kind:     by_value
      - .offset:         8
        .size:           16
        .value_kind:     by_value
    .group_segment_fixed_size: 0
    .kernarg_segment_align: 8
    .kernarg_segment_size: 24
    .language:       OpenCL C
    .language_version:
      - 2
      - 0
    .max_flat_workgroup_size: 256
    .name:           _ZN2at6native29vectorized_elementwise_kernelILi4EZZZNS0_21clamp_min_kernel_cudaERNS_18TensorIteratorBaseERKN3c106ScalarEENKUlvE_clEvENKUlvE7_clEvEUlNS4_8BFloat16EE_St5arrayIPcLm2EEEEviT0_T1_
    .private_segment_fixed_size: 0
    .sgpr_count:     28
    .sgpr_spill_count: 0
    .symbol:         _ZN2at6native29vectorized_elementwise_kernelILi4EZZZNS0_21clamp_min_kernel_cudaERNS_18TensorIteratorBaseERKN3c106ScalarEENKUlvE_clEvENKUlvE7_clEvEUlNS4_8BFloat16EE_St5arrayIPcLm2EEEEviT0_T1_.kd
    .uniform_work_group_size: 1
    .uses_dynamic_stack: false
    .vgpr_count:     18
    .vgpr_spill_count: 0
    .wavefront_size: 32
    .workgroup_processor_mode: 1
  - .args:
      - .offset:         0
        .size:           4
        .value_kind:     by_value
      - .offset:         4
        .size:           2
        .value_kind:     by_value
      - .offset:         8
        .size:           16
        .value_kind:     by_value
    .group_segment_fixed_size: 0
    .kernarg_segment_align: 8
    .kernarg_segment_size: 24
    .language:       OpenCL C
    .language_version:
      - 2
      - 0
    .max_flat_workgroup_size: 256
    .name:           _ZN2at6native29vectorized_elementwise_kernelILi2EZZZNS0_21clamp_min_kernel_cudaERNS_18TensorIteratorBaseERKN3c106ScalarEENKUlvE_clEvENKUlvE7_clEvEUlNS4_8BFloat16EE_St5arrayIPcLm2EEEEviT0_T1_
    .private_segment_fixed_size: 0
    .sgpr_count:     28
    .sgpr_spill_count: 0
    .symbol:         _ZN2at6native29vectorized_elementwise_kernelILi2EZZZNS0_21clamp_min_kernel_cudaERNS_18TensorIteratorBaseERKN3c106ScalarEENKUlvE_clEvENKUlvE7_clEvEUlNS4_8BFloat16EE_St5arrayIPcLm2EEEEviT0_T1_.kd
    .uniform_work_group_size: 1
    .uses_dynamic_stack: false
    .vgpr_count:     18
    .vgpr_spill_count: 0
    .wavefront_size: 32
    .workgroup_processor_mode: 1
  - .args:
      - .offset:         0
        .size:           4
        .value_kind:     by_value
      - .offset:         4
        .size:           2
        .value_kind:     by_value
      - .offset:         8
        .size:           16
        .value_kind:     by_value
      - .offset:         24
        .size:           1
        .value_kind:     by_value
      - .offset:         25
        .size:           1
        .value_kind:     by_value
      - .offset:         26
        .size:           1
        .value_kind:     by_value
      - .offset:         27
        .size:           1
        .value_kind:     by_value
    .group_segment_fixed_size: 0
    .kernarg_segment_align: 8
    .kernarg_segment_size: 28
    .language:       OpenCL C
    .language_version:
      - 2
      - 0
    .max_flat_workgroup_size: 256
    .name:           _ZN2at6native27unrolled_elementwise_kernelIZZZNS0_21clamp_min_kernel_cudaERNS_18TensorIteratorBaseERKN3c106ScalarEENKUlvE_clEvENKUlvE7_clEvEUlNS4_8BFloat16EE_St5arrayIPcLm2EELi4E23TrivialOffsetCalculatorILi1EjESG_NS0_6memory15LoadWithoutCastENSH_16StoreWithoutCastEEEviT_T0_T2_T3_T4_T5_
    .private_segment_fixed_size: 0
    .sgpr_count:     18
    .sgpr_spill_count: 0
    .symbol:         _ZN2at6native27unrolled_elementwise_kernelIZZZNS0_21clamp_min_kernel_cudaERNS_18TensorIteratorBaseERKN3c106ScalarEENKUlvE_clEvENKUlvE7_clEvEUlNS4_8BFloat16EE_St5arrayIPcLm2EELi4E23TrivialOffsetCalculatorILi1EjESG_NS0_6memory15LoadWithoutCastENSH_16StoreWithoutCastEEEviT_T0_T2_T3_T4_T5_.kd
    .uniform_work_group_size: 1
    .uses_dynamic_stack: false
    .vgpr_count:     11
    .vgpr_spill_count: 0
    .wavefront_size: 32
    .workgroup_processor_mode: 1
  - .args:
      - .offset:         0
        .size:           4
        .value_kind:     by_value
      - .offset:         8
        .size:           352
        .value_kind:     by_value
    .group_segment_fixed_size: 0
    .kernarg_segment_align: 8
    .kernarg_segment_size: 360
    .language:       OpenCL C
    .language_version:
      - 2
      - 0
    .max_flat_workgroup_size: 128
    .name:           _ZN2at6native32elementwise_kernel_manual_unrollILi128ELi8EZNS0_22gpu_kernel_impl_nocastIZZZNS0_21clamp_min_kernel_cudaERNS_18TensorIteratorBaseERKN3c106ScalarEENKUlvE_clEvENKUlvE7_clEvEUlNS5_8BFloat16EE_EEvS4_RKT_EUlibE_EEviT1_
    .private_segment_fixed_size: 0
    .sgpr_count:     62
    .sgpr_spill_count: 0
    .symbol:         _ZN2at6native32elementwise_kernel_manual_unrollILi128ELi8EZNS0_22gpu_kernel_impl_nocastIZZZNS0_21clamp_min_kernel_cudaERNS_18TensorIteratorBaseERKN3c106ScalarEENKUlvE_clEvENKUlvE7_clEvEUlNS5_8BFloat16EE_EEvS4_RKT_EUlibE_EEviT1_.kd
    .uniform_work_group_size: 1
    .uses_dynamic_stack: false
    .vgpr_count:     26
    .vgpr_spill_count: 0
    .wavefront_size: 32
    .workgroup_processor_mode: 1
  - .args:
      - .offset:         0
        .size:           4
        .value_kind:     by_value
      - .offset:         8
        .size:           32
        .value_kind:     by_value
    .group_segment_fixed_size: 0
    .kernarg_segment_align: 8
    .kernarg_segment_size: 40
    .language:       OpenCL C
    .language_version:
      - 2
      - 0
    .max_flat_workgroup_size: 128
    .name:           _ZN2at6native32elementwise_kernel_manual_unrollILi128ELi4EZNS0_15gpu_kernel_implIZZZNS0_21clamp_min_kernel_cudaERNS_18TensorIteratorBaseERKN3c106ScalarEENKUlvE_clEvENKUlvE7_clEvEUlNS5_8BFloat16EE_EEvS4_RKT_EUlibE_EEviT1_
    .private_segment_fixed_size: 0
    .sgpr_count:     30
    .sgpr_spill_count: 0
    .symbol:         _ZN2at6native32elementwise_kernel_manual_unrollILi128ELi4EZNS0_15gpu_kernel_implIZZZNS0_21clamp_min_kernel_cudaERNS_18TensorIteratorBaseERKN3c106ScalarEENKUlvE_clEvENKUlvE7_clEvEUlNS5_8BFloat16EE_EEvS4_RKT_EUlibE_EEviT1_.kd
    .uniform_work_group_size: 1
    .uses_dynamic_stack: false
    .vgpr_count:     12
    .vgpr_spill_count: 0
    .wavefront_size: 32
    .workgroup_processor_mode: 1
  - .args:
      - .offset:         0
        .size:           4
        .value_kind:     by_value
      - .offset:         8
        .size:           352
        .value_kind:     by_value
    .group_segment_fixed_size: 0
    .kernarg_segment_align: 8
    .kernarg_segment_size: 360
    .language:       OpenCL C
    .language_version:
      - 2
      - 0
    .max_flat_workgroup_size: 128
    .name:           _ZN2at6native32elementwise_kernel_manual_unrollILi128ELi4EZNS0_15gpu_kernel_implIZZZNS0_21clamp_min_kernel_cudaERNS_18TensorIteratorBaseERKN3c106ScalarEENKUlvE_clEvENKUlvE7_clEvEUlNS5_8BFloat16EE_EEvS4_RKT_EUlibE0_EEviT1_
    .private_segment_fixed_size: 0
    .sgpr_count:     74
    .sgpr_spill_count: 0
    .symbol:         _ZN2at6native32elementwise_kernel_manual_unrollILi128ELi4EZNS0_15gpu_kernel_implIZZZNS0_21clamp_min_kernel_cudaERNS_18TensorIteratorBaseERKN3c106ScalarEENKUlvE_clEvENKUlvE7_clEvEUlNS5_8BFloat16EE_EEvS4_RKT_EUlibE0_EEviT1_.kd
    .uniform_work_group_size: 1
    .uses_dynamic_stack: false
    .vgpr_count:     18
    .vgpr_spill_count: 0
    .wavefront_size: 32
    .workgroup_processor_mode: 1
  - .args:
      - .offset:         0
        .size:           4
        .value_kind:     by_value
      - .offset:         4
        .size:           1
        .value_kind:     by_value
      - .offset:         8
        .size:           16
        .value_kind:     by_value
    .group_segment_fixed_size: 0
    .kernarg_segment_align: 8
    .kernarg_segment_size: 24
    .language:       OpenCL C
    .language_version:
      - 2
      - 0
    .max_flat_workgroup_size: 256
    .name:           _ZN2at6native29vectorized_elementwise_kernelILi16EZZZNS0_21clamp_max_kernel_cudaERNS_18TensorIteratorBaseERKN3c106ScalarEENKUlvE_clEvENKUlvE_clEvEUlhE_St5arrayIPcLm2EEEEviT0_T1_
    .private_segment_fixed_size: 0
    .sgpr_count:     18
    .sgpr_spill_count: 0
    .symbol:         _ZN2at6native29vectorized_elementwise_kernelILi16EZZZNS0_21clamp_max_kernel_cudaERNS_18TensorIteratorBaseERKN3c106ScalarEENKUlvE_clEvENKUlvE_clEvEUlhE_St5arrayIPcLm2EEEEviT0_T1_.kd
    .uniform_work_group_size: 1
    .uses_dynamic_stack: false
    .vgpr_count:     23
    .vgpr_spill_count: 0
    .wavefront_size: 32
    .workgroup_processor_mode: 1
  - .args:
      - .offset:         0
        .size:           4
        .value_kind:     by_value
      - .offset:         4
        .size:           1
        .value_kind:     by_value
      - .offset:         8
        .size:           16
        .value_kind:     by_value
    .group_segment_fixed_size: 0
    .kernarg_segment_align: 8
    .kernarg_segment_size: 24
    .language:       OpenCL C
    .language_version:
      - 2
      - 0
    .max_flat_workgroup_size: 256
    .name:           _ZN2at6native29vectorized_elementwise_kernelILi8EZZZNS0_21clamp_max_kernel_cudaERNS_18TensorIteratorBaseERKN3c106ScalarEENKUlvE_clEvENKUlvE_clEvEUlhE_St5arrayIPcLm2EEEEviT0_T1_
    .private_segment_fixed_size: 0
    .sgpr_count:     18
    .sgpr_spill_count: 0
    .symbol:         _ZN2at6native29vectorized_elementwise_kernelILi8EZZZNS0_21clamp_max_kernel_cudaERNS_18TensorIteratorBaseERKN3c106ScalarEENKUlvE_clEvENKUlvE_clEvEUlhE_St5arrayIPcLm2EEEEviT0_T1_.kd
    .uniform_work_group_size: 1
    .uses_dynamic_stack: false
    .vgpr_count:     23
    .vgpr_spill_count: 0
    .wavefront_size: 32
    .workgroup_processor_mode: 1
  - .args:
      - .offset:         0
        .size:           4
        .value_kind:     by_value
      - .offset:         4
        .size:           1
        .value_kind:     by_value
      - .offset:         8
        .size:           16
        .value_kind:     by_value
    .group_segment_fixed_size: 0
    .kernarg_segment_align: 8
    .kernarg_segment_size: 24
    .language:       OpenCL C
    .language_version:
      - 2
      - 0
    .max_flat_workgroup_size: 256
    .name:           _ZN2at6native29vectorized_elementwise_kernelILi4EZZZNS0_21clamp_max_kernel_cudaERNS_18TensorIteratorBaseERKN3c106ScalarEENKUlvE_clEvENKUlvE_clEvEUlhE_St5arrayIPcLm2EEEEviT0_T1_
    .private_segment_fixed_size: 0
    .sgpr_count:     18
    .sgpr_spill_count: 0
    .symbol:         _ZN2at6native29vectorized_elementwise_kernelILi4EZZZNS0_21clamp_max_kernel_cudaERNS_18TensorIteratorBaseERKN3c106ScalarEENKUlvE_clEvENKUlvE_clEvEUlhE_St5arrayIPcLm2EEEEviT0_T1_.kd
    .uniform_work_group_size: 1
    .uses_dynamic_stack: false
    .vgpr_count:     23
    .vgpr_spill_count: 0
    .wavefront_size: 32
    .workgroup_processor_mode: 1
  - .args:
      - .offset:         0
        .size:           4
        .value_kind:     by_value
      - .offset:         4
        .size:           1
        .value_kind:     by_value
      - .offset:         8
        .size:           16
        .value_kind:     by_value
    .group_segment_fixed_size: 0
    .kernarg_segment_align: 8
    .kernarg_segment_size: 24
    .language:       OpenCL C
    .language_version:
      - 2
      - 0
    .max_flat_workgroup_size: 256
    .name:           _ZN2at6native29vectorized_elementwise_kernelILi2EZZZNS0_21clamp_max_kernel_cudaERNS_18TensorIteratorBaseERKN3c106ScalarEENKUlvE_clEvENKUlvE_clEvEUlhE_St5arrayIPcLm2EEEEviT0_T1_
    .private_segment_fixed_size: 0
    .sgpr_count:     18
    .sgpr_spill_count: 0
    .symbol:         _ZN2at6native29vectorized_elementwise_kernelILi2EZZZNS0_21clamp_max_kernel_cudaERNS_18TensorIteratorBaseERKN3c106ScalarEENKUlvE_clEvENKUlvE_clEvEUlhE_St5arrayIPcLm2EEEEviT0_T1_.kd
    .uniform_work_group_size: 1
    .uses_dynamic_stack: false
    .vgpr_count:     23
    .vgpr_spill_count: 0
    .wavefront_size: 32
    .workgroup_processor_mode: 1
  - .args:
      - .offset:         0
        .size:           4
        .value_kind:     by_value
      - .offset:         4
        .size:           1
        .value_kind:     by_value
      - .offset:         8
        .size:           16
        .value_kind:     by_value
      - .offset:         24
        .size:           1
        .value_kind:     by_value
      - .offset:         25
        .size:           1
        .value_kind:     by_value
      - .offset:         26
        .size:           1
        .value_kind:     by_value
      - .offset:         27
        .size:           1
        .value_kind:     by_value
    .group_segment_fixed_size: 0
    .kernarg_segment_align: 8
    .kernarg_segment_size: 28
    .language:       OpenCL C
    .language_version:
      - 2
      - 0
    .max_flat_workgroup_size: 256
    .name:           _ZN2at6native27unrolled_elementwise_kernelIZZZNS0_21clamp_max_kernel_cudaERNS_18TensorIteratorBaseERKN3c106ScalarEENKUlvE_clEvENKUlvE_clEvEUlhE_St5arrayIPcLm2EELi4E23TrivialOffsetCalculatorILi1EjESF_NS0_6memory15LoadWithoutCastENSG_16StoreWithoutCastEEEviT_T0_T2_T3_T4_T5_
    .private_segment_fixed_size: 0
    .sgpr_count:     18
    .sgpr_spill_count: 0
    .symbol:         _ZN2at6native27unrolled_elementwise_kernelIZZZNS0_21clamp_max_kernel_cudaERNS_18TensorIteratorBaseERKN3c106ScalarEENKUlvE_clEvENKUlvE_clEvEUlhE_St5arrayIPcLm2EELi4E23TrivialOffsetCalculatorILi1EjESF_NS0_6memory15LoadWithoutCastENSG_16StoreWithoutCastEEEviT_T0_T2_T3_T4_T5_.kd
    .uniform_work_group_size: 1
    .uses_dynamic_stack: false
    .vgpr_count:     8
    .vgpr_spill_count: 0
    .wavefront_size: 32
    .workgroup_processor_mode: 1
  - .args:
      - .offset:         0
        .size:           4
        .value_kind:     by_value
      - .offset:         8
        .size:           352
        .value_kind:     by_value
    .group_segment_fixed_size: 0
    .kernarg_segment_align: 8
    .kernarg_segment_size: 360
    .language:       OpenCL C
    .language_version:
      - 2
      - 0
    .max_flat_workgroup_size: 128
    .name:           _ZN2at6native32elementwise_kernel_manual_unrollILi128ELi8EZNS0_22gpu_kernel_impl_nocastIZZZNS0_21clamp_max_kernel_cudaERNS_18TensorIteratorBaseERKN3c106ScalarEENKUlvE_clEvENKUlvE_clEvEUlhE_EEvS4_RKT_EUlibE_EEviT1_
    .private_segment_fixed_size: 0
    .sgpr_count:     62
    .sgpr_spill_count: 0
    .symbol:         _ZN2at6native32elementwise_kernel_manual_unrollILi128ELi8EZNS0_22gpu_kernel_impl_nocastIZZZNS0_21clamp_max_kernel_cudaERNS_18TensorIteratorBaseERKN3c106ScalarEENKUlvE_clEvENKUlvE_clEvEUlhE_EEvS4_RKT_EUlibE_EEviT1_.kd
    .uniform_work_group_size: 1
    .uses_dynamic_stack: false
    .vgpr_count:     26
    .vgpr_spill_count: 0
    .wavefront_size: 32
    .workgroup_processor_mode: 1
  - .args:
      - .offset:         0
        .size:           4
        .value_kind:     by_value
      - .offset:         8
        .size:           32
        .value_kind:     by_value
    .group_segment_fixed_size: 0
    .kernarg_segment_align: 8
    .kernarg_segment_size: 40
    .language:       OpenCL C
    .language_version:
      - 2
      - 0
    .max_flat_workgroup_size: 128
    .name:           _ZN2at6native32elementwise_kernel_manual_unrollILi128ELi4EZNS0_15gpu_kernel_implIZZZNS0_21clamp_max_kernel_cudaERNS_18TensorIteratorBaseERKN3c106ScalarEENKUlvE_clEvENKUlvE_clEvEUlhE_EEvS4_RKT_EUlibE_EEviT1_
    .private_segment_fixed_size: 0
    .sgpr_count:     29
    .sgpr_spill_count: 0
    .symbol:         _ZN2at6native32elementwise_kernel_manual_unrollILi128ELi4EZNS0_15gpu_kernel_implIZZZNS0_21clamp_max_kernel_cudaERNS_18TensorIteratorBaseERKN3c106ScalarEENKUlvE_clEvENKUlvE_clEvEUlhE_EEvS4_RKT_EUlibE_EEviT1_.kd
    .uniform_work_group_size: 1
    .uses_dynamic_stack: false
    .vgpr_count:     14
    .vgpr_spill_count: 0
    .wavefront_size: 32
    .workgroup_processor_mode: 1
  - .args:
      - .offset:         0
        .size:           4
        .value_kind:     by_value
      - .offset:         8
        .size:           352
        .value_kind:     by_value
    .group_segment_fixed_size: 0
    .kernarg_segment_align: 8
    .kernarg_segment_size: 360
    .language:       OpenCL C
    .language_version:
      - 2
      - 0
    .max_flat_workgroup_size: 128
    .name:           _ZN2at6native32elementwise_kernel_manual_unrollILi128ELi4EZNS0_15gpu_kernel_implIZZZNS0_21clamp_max_kernel_cudaERNS_18TensorIteratorBaseERKN3c106ScalarEENKUlvE_clEvENKUlvE_clEvEUlhE_EEvS4_RKT_EUlibE0_EEviT1_
    .private_segment_fixed_size: 0
    .sgpr_count:     70
    .sgpr_spill_count: 0
    .symbol:         _ZN2at6native32elementwise_kernel_manual_unrollILi128ELi4EZNS0_15gpu_kernel_implIZZZNS0_21clamp_max_kernel_cudaERNS_18TensorIteratorBaseERKN3c106ScalarEENKUlvE_clEvENKUlvE_clEvEUlhE_EEvS4_RKT_EUlibE0_EEviT1_.kd
    .uniform_work_group_size: 1
    .uses_dynamic_stack: false
    .vgpr_count:     18
    .vgpr_spill_count: 0
    .wavefront_size: 32
    .workgroup_processor_mode: 1
  - .args:
      - .offset:         0
        .size:           4
        .value_kind:     by_value
      - .offset:         4
        .size:           1
        .value_kind:     by_value
      - .offset:         8
        .size:           16
        .value_kind:     by_value
    .group_segment_fixed_size: 0
    .kernarg_segment_align: 8
    .kernarg_segment_size: 24
    .language:       OpenCL C
    .language_version:
      - 2
      - 0
    .max_flat_workgroup_size: 256
    .name:           _ZN2at6native29vectorized_elementwise_kernelILi16EZZZNS0_21clamp_max_kernel_cudaERNS_18TensorIteratorBaseERKN3c106ScalarEENKUlvE_clEvENKUlvE0_clEvEUlaE_St5arrayIPcLm2EEEEviT0_T1_
    .private_segment_fixed_size: 0
    .sgpr_count:     18
    .sgpr_spill_count: 0
    .symbol:         _ZN2at6native29vectorized_elementwise_kernelILi16EZZZNS0_21clamp_max_kernel_cudaERNS_18TensorIteratorBaseERKN3c106ScalarEENKUlvE_clEvENKUlvE0_clEvEUlaE_St5arrayIPcLm2EEEEviT0_T1_.kd
    .uniform_work_group_size: 1
    .uses_dynamic_stack: false
    .vgpr_count:     22
    .vgpr_spill_count: 0
    .wavefront_size: 32
    .workgroup_processor_mode: 1
  - .args:
      - .offset:         0
        .size:           4
        .value_kind:     by_value
      - .offset:         4
        .size:           1
        .value_kind:     by_value
      - .offset:         8
        .size:           16
        .value_kind:     by_value
    .group_segment_fixed_size: 0
    .kernarg_segment_align: 8
    .kernarg_segment_size: 24
    .language:       OpenCL C
    .language_version:
      - 2
      - 0
    .max_flat_workgroup_size: 256
    .name:           _ZN2at6native29vectorized_elementwise_kernelILi8EZZZNS0_21clamp_max_kernel_cudaERNS_18TensorIteratorBaseERKN3c106ScalarEENKUlvE_clEvENKUlvE0_clEvEUlaE_St5arrayIPcLm2EEEEviT0_T1_
    .private_segment_fixed_size: 0
    .sgpr_count:     18
    .sgpr_spill_count: 0
    .symbol:         _ZN2at6native29vectorized_elementwise_kernelILi8EZZZNS0_21clamp_max_kernel_cudaERNS_18TensorIteratorBaseERKN3c106ScalarEENKUlvE_clEvENKUlvE0_clEvEUlaE_St5arrayIPcLm2EEEEviT0_T1_.kd
    .uniform_work_group_size: 1
    .uses_dynamic_stack: false
    .vgpr_count:     22
    .vgpr_spill_count: 0
    .wavefront_size: 32
    .workgroup_processor_mode: 1
  - .args:
      - .offset:         0
        .size:           4
        .value_kind:     by_value
      - .offset:         4
        .size:           1
        .value_kind:     by_value
      - .offset:         8
        .size:           16
        .value_kind:     by_value
    .group_segment_fixed_size: 0
    .kernarg_segment_align: 8
    .kernarg_segment_size: 24
    .language:       OpenCL C
    .language_version:
      - 2
      - 0
    .max_flat_workgroup_size: 256
    .name:           _ZN2at6native29vectorized_elementwise_kernelILi4EZZZNS0_21clamp_max_kernel_cudaERNS_18TensorIteratorBaseERKN3c106ScalarEENKUlvE_clEvENKUlvE0_clEvEUlaE_St5arrayIPcLm2EEEEviT0_T1_
    .private_segment_fixed_size: 0
    .sgpr_count:     18
    .sgpr_spill_count: 0
    .symbol:         _ZN2at6native29vectorized_elementwise_kernelILi4EZZZNS0_21clamp_max_kernel_cudaERNS_18TensorIteratorBaseERKN3c106ScalarEENKUlvE_clEvENKUlvE0_clEvEUlaE_St5arrayIPcLm2EEEEviT0_T1_.kd
    .uniform_work_group_size: 1
    .uses_dynamic_stack: false
    .vgpr_count:     22
    .vgpr_spill_count: 0
    .wavefront_size: 32
    .workgroup_processor_mode: 1
  - .args:
      - .offset:         0
        .size:           4
        .value_kind:     by_value
      - .offset:         4
        .size:           1
        .value_kind:     by_value
      - .offset:         8
        .size:           16
        .value_kind:     by_value
    .group_segment_fixed_size: 0
    .kernarg_segment_align: 8
    .kernarg_segment_size: 24
    .language:       OpenCL C
    .language_version:
      - 2
      - 0
    .max_flat_workgroup_size: 256
    .name:           _ZN2at6native29vectorized_elementwise_kernelILi2EZZZNS0_21clamp_max_kernel_cudaERNS_18TensorIteratorBaseERKN3c106ScalarEENKUlvE_clEvENKUlvE0_clEvEUlaE_St5arrayIPcLm2EEEEviT0_T1_
    .private_segment_fixed_size: 0
    .sgpr_count:     18
    .sgpr_spill_count: 0
    .symbol:         _ZN2at6native29vectorized_elementwise_kernelILi2EZZZNS0_21clamp_max_kernel_cudaERNS_18TensorIteratorBaseERKN3c106ScalarEENKUlvE_clEvENKUlvE0_clEvEUlaE_St5arrayIPcLm2EEEEviT0_T1_.kd
    .uniform_work_group_size: 1
    .uses_dynamic_stack: false
    .vgpr_count:     22
    .vgpr_spill_count: 0
    .wavefront_size: 32
    .workgroup_processor_mode: 1
  - .args:
      - .offset:         0
        .size:           4
        .value_kind:     by_value
      - .offset:         4
        .size:           1
        .value_kind:     by_value
      - .offset:         8
        .size:           16
        .value_kind:     by_value
      - .offset:         24
        .size:           1
        .value_kind:     by_value
      - .offset:         25
        .size:           1
        .value_kind:     by_value
      - .offset:         26
        .size:           1
        .value_kind:     by_value
      - .offset:         27
        .size:           1
        .value_kind:     by_value
    .group_segment_fixed_size: 0
    .kernarg_segment_align: 8
    .kernarg_segment_size: 28
    .language:       OpenCL C
    .language_version:
      - 2
      - 0
    .max_flat_workgroup_size: 256
    .name:           _ZN2at6native27unrolled_elementwise_kernelIZZZNS0_21clamp_max_kernel_cudaERNS_18TensorIteratorBaseERKN3c106ScalarEENKUlvE_clEvENKUlvE0_clEvEUlaE_St5arrayIPcLm2EELi4E23TrivialOffsetCalculatorILi1EjESF_NS0_6memory15LoadWithoutCastENSG_16StoreWithoutCastEEEviT_T0_T2_T3_T4_T5_
    .private_segment_fixed_size: 0
    .sgpr_count:     18
    .sgpr_spill_count: 0
    .symbol:         _ZN2at6native27unrolled_elementwise_kernelIZZZNS0_21clamp_max_kernel_cudaERNS_18TensorIteratorBaseERKN3c106ScalarEENKUlvE_clEvENKUlvE0_clEvEUlaE_St5arrayIPcLm2EELi4E23TrivialOffsetCalculatorILi1EjESF_NS0_6memory15LoadWithoutCastENSG_16StoreWithoutCastEEEviT_T0_T2_T3_T4_T5_.kd
    .uniform_work_group_size: 1
    .uses_dynamic_stack: false
    .vgpr_count:     8
    .vgpr_spill_count: 0
    .wavefront_size: 32
    .workgroup_processor_mode: 1
  - .args:
      - .offset:         0
        .size:           4
        .value_kind:     by_value
      - .offset:         8
        .size:           352
        .value_kind:     by_value
    .group_segment_fixed_size: 0
    .kernarg_segment_align: 8
    .kernarg_segment_size: 360
    .language:       OpenCL C
    .language_version:
      - 2
      - 0
    .max_flat_workgroup_size: 128
    .name:           _ZN2at6native32elementwise_kernel_manual_unrollILi128ELi8EZNS0_22gpu_kernel_impl_nocastIZZZNS0_21clamp_max_kernel_cudaERNS_18TensorIteratorBaseERKN3c106ScalarEENKUlvE_clEvENKUlvE0_clEvEUlaE_EEvS4_RKT_EUlibE_EEviT1_
    .private_segment_fixed_size: 0
    .sgpr_count:     62
    .sgpr_spill_count: 0
    .symbol:         _ZN2at6native32elementwise_kernel_manual_unrollILi128ELi8EZNS0_22gpu_kernel_impl_nocastIZZZNS0_21clamp_max_kernel_cudaERNS_18TensorIteratorBaseERKN3c106ScalarEENKUlvE_clEvENKUlvE0_clEvEUlaE_EEvS4_RKT_EUlibE_EEviT1_.kd
    .uniform_work_group_size: 1
    .uses_dynamic_stack: false
    .vgpr_count:     26
    .vgpr_spill_count: 0
    .wavefront_size: 32
    .workgroup_processor_mode: 1
  - .args:
      - .offset:         0
        .size:           4
        .value_kind:     by_value
      - .offset:         8
        .size:           32
        .value_kind:     by_value
    .group_segment_fixed_size: 0
    .kernarg_segment_align: 8
    .kernarg_segment_size: 40
    .language:       OpenCL C
    .language_version:
      - 2
      - 0
    .max_flat_workgroup_size: 128
    .name:           _ZN2at6native32elementwise_kernel_manual_unrollILi128ELi4EZNS0_15gpu_kernel_implIZZZNS0_21clamp_max_kernel_cudaERNS_18TensorIteratorBaseERKN3c106ScalarEENKUlvE_clEvENKUlvE0_clEvEUlaE_EEvS4_RKT_EUlibE_EEviT1_
    .private_segment_fixed_size: 0
    .sgpr_count:     29
    .sgpr_spill_count: 0
    .symbol:         _ZN2at6native32elementwise_kernel_manual_unrollILi128ELi4EZNS0_15gpu_kernel_implIZZZNS0_21clamp_max_kernel_cudaERNS_18TensorIteratorBaseERKN3c106ScalarEENKUlvE_clEvENKUlvE0_clEvEUlaE_EEvS4_RKT_EUlibE_EEviT1_.kd
    .uniform_work_group_size: 1
    .uses_dynamic_stack: false
    .vgpr_count:     13
    .vgpr_spill_count: 0
    .wavefront_size: 32
    .workgroup_processor_mode: 1
  - .args:
      - .offset:         0
        .size:           4
        .value_kind:     by_value
      - .offset:         8
        .size:           352
        .value_kind:     by_value
    .group_segment_fixed_size: 0
    .kernarg_segment_align: 8
    .kernarg_segment_size: 360
    .language:       OpenCL C
    .language_version:
      - 2
      - 0
    .max_flat_workgroup_size: 128
    .name:           _ZN2at6native32elementwise_kernel_manual_unrollILi128ELi4EZNS0_15gpu_kernel_implIZZZNS0_21clamp_max_kernel_cudaERNS_18TensorIteratorBaseERKN3c106ScalarEENKUlvE_clEvENKUlvE0_clEvEUlaE_EEvS4_RKT_EUlibE0_EEviT1_
    .private_segment_fixed_size: 0
    .sgpr_count:     70
    .sgpr_spill_count: 0
    .symbol:         _ZN2at6native32elementwise_kernel_manual_unrollILi128ELi4EZNS0_15gpu_kernel_implIZZZNS0_21clamp_max_kernel_cudaERNS_18TensorIteratorBaseERKN3c106ScalarEENKUlvE_clEvENKUlvE0_clEvEUlaE_EEvS4_RKT_EUlibE0_EEviT1_.kd
    .uniform_work_group_size: 1
    .uses_dynamic_stack: false
    .vgpr_count:     18
    .vgpr_spill_count: 0
    .wavefront_size: 32
    .workgroup_processor_mode: 1
  - .args:
      - .offset:         0
        .size:           4
        .value_kind:     by_value
      - .offset:         4
        .size:           4
        .value_kind:     by_value
      - .offset:         8
        .size:           16
        .value_kind:     by_value
    .group_segment_fixed_size: 0
    .kernarg_segment_align: 8
    .kernarg_segment_size: 24
    .language:       OpenCL C
    .language_version:
      - 2
      - 0
    .max_flat_workgroup_size: 256
    .name:           _ZN2at6native29vectorized_elementwise_kernelILi16EZZZNS0_21clamp_max_kernel_cudaERNS_18TensorIteratorBaseERKN3c106ScalarEENKUlvE_clEvENKUlvE1_clEvEUliE_St5arrayIPcLm2EEEEviT0_T1_
    .private_segment_fixed_size: 0
    .sgpr_count:     18
    .sgpr_spill_count: 0
    .symbol:         _ZN2at6native29vectorized_elementwise_kernelILi16EZZZNS0_21clamp_max_kernel_cudaERNS_18TensorIteratorBaseERKN3c106ScalarEENKUlvE_clEvENKUlvE1_clEvEUliE_St5arrayIPcLm2EEEEviT0_T1_.kd
    .uniform_work_group_size: 1
    .uses_dynamic_stack: false
    .vgpr_count:     10
    .vgpr_spill_count: 0
    .wavefront_size: 32
    .workgroup_processor_mode: 1
  - .args:
      - .offset:         0
        .size:           4
        .value_kind:     by_value
      - .offset:         4
        .size:           4
        .value_kind:     by_value
      - .offset:         8
        .size:           16
        .value_kind:     by_value
    .group_segment_fixed_size: 0
    .kernarg_segment_align: 8
    .kernarg_segment_size: 24
    .language:       OpenCL C
    .language_version:
      - 2
      - 0
    .max_flat_workgroup_size: 256
    .name:           _ZN2at6native29vectorized_elementwise_kernelILi8EZZZNS0_21clamp_max_kernel_cudaERNS_18TensorIteratorBaseERKN3c106ScalarEENKUlvE_clEvENKUlvE1_clEvEUliE_St5arrayIPcLm2EEEEviT0_T1_
    .private_segment_fixed_size: 0
    .sgpr_count:     18
    .sgpr_spill_count: 0
    .symbol:         _ZN2at6native29vectorized_elementwise_kernelILi8EZZZNS0_21clamp_max_kernel_cudaERNS_18TensorIteratorBaseERKN3c106ScalarEENKUlvE_clEvENKUlvE1_clEvEUliE_St5arrayIPcLm2EEEEviT0_T1_.kd
    .uniform_work_group_size: 1
    .uses_dynamic_stack: false
    .vgpr_count:     10
    .vgpr_spill_count: 0
    .wavefront_size: 32
    .workgroup_processor_mode: 1
  - .args:
      - .offset:         0
        .size:           4
        .value_kind:     by_value
      - .offset:         4
        .size:           4
        .value_kind:     by_value
      - .offset:         8
        .size:           16
        .value_kind:     by_value
    .group_segment_fixed_size: 0
    .kernarg_segment_align: 8
    .kernarg_segment_size: 24
    .language:       OpenCL C
    .language_version:
      - 2
      - 0
    .max_flat_workgroup_size: 256
    .name:           _ZN2at6native29vectorized_elementwise_kernelILi4EZZZNS0_21clamp_max_kernel_cudaERNS_18TensorIteratorBaseERKN3c106ScalarEENKUlvE_clEvENKUlvE1_clEvEUliE_St5arrayIPcLm2EEEEviT0_T1_
    .private_segment_fixed_size: 0
    .sgpr_count:     18
    .sgpr_spill_count: 0
    .symbol:         _ZN2at6native29vectorized_elementwise_kernelILi4EZZZNS0_21clamp_max_kernel_cudaERNS_18TensorIteratorBaseERKN3c106ScalarEENKUlvE_clEvENKUlvE1_clEvEUliE_St5arrayIPcLm2EEEEviT0_T1_.kd
    .uniform_work_group_size: 1
    .uses_dynamic_stack: false
    .vgpr_count:     10
    .vgpr_spill_count: 0
    .wavefront_size: 32
    .workgroup_processor_mode: 1
  - .args:
      - .offset:         0
        .size:           4
        .value_kind:     by_value
      - .offset:         4
        .size:           4
        .value_kind:     by_value
      - .offset:         8
        .size:           16
        .value_kind:     by_value
    .group_segment_fixed_size: 0
    .kernarg_segment_align: 8
    .kernarg_segment_size: 24
    .language:       OpenCL C
    .language_version:
      - 2
      - 0
    .max_flat_workgroup_size: 256
    .name:           _ZN2at6native29vectorized_elementwise_kernelILi2EZZZNS0_21clamp_max_kernel_cudaERNS_18TensorIteratorBaseERKN3c106ScalarEENKUlvE_clEvENKUlvE1_clEvEUliE_St5arrayIPcLm2EEEEviT0_T1_
    .private_segment_fixed_size: 0
    .sgpr_count:     18
    .sgpr_spill_count: 0
    .symbol:         _ZN2at6native29vectorized_elementwise_kernelILi2EZZZNS0_21clamp_max_kernel_cudaERNS_18TensorIteratorBaseERKN3c106ScalarEENKUlvE_clEvENKUlvE1_clEvEUliE_St5arrayIPcLm2EEEEviT0_T1_.kd
    .uniform_work_group_size: 1
    .uses_dynamic_stack: false
    .vgpr_count:     10
    .vgpr_spill_count: 0
    .wavefront_size: 32
    .workgroup_processor_mode: 1
  - .args:
      - .offset:         0
        .size:           4
        .value_kind:     by_value
      - .offset:         4
        .size:           4
        .value_kind:     by_value
      - .offset:         8
        .size:           16
        .value_kind:     by_value
      - .offset:         24
        .size:           1
        .value_kind:     by_value
      - .offset:         25
        .size:           1
        .value_kind:     by_value
      - .offset:         26
        .size:           1
        .value_kind:     by_value
      - .offset:         27
        .size:           1
        .value_kind:     by_value
    .group_segment_fixed_size: 0
    .kernarg_segment_align: 8
    .kernarg_segment_size: 28
    .language:       OpenCL C
    .language_version:
      - 2
      - 0
    .max_flat_workgroup_size: 256
    .name:           _ZN2at6native27unrolled_elementwise_kernelIZZZNS0_21clamp_max_kernel_cudaERNS_18TensorIteratorBaseERKN3c106ScalarEENKUlvE_clEvENKUlvE1_clEvEUliE_St5arrayIPcLm2EELi4E23TrivialOffsetCalculatorILi1EjESF_NS0_6memory15LoadWithoutCastENSG_16StoreWithoutCastEEEviT_T0_T2_T3_T4_T5_
    .private_segment_fixed_size: 0
    .sgpr_count:     18
    .sgpr_spill_count: 0
    .symbol:         _ZN2at6native27unrolled_elementwise_kernelIZZZNS0_21clamp_max_kernel_cudaERNS_18TensorIteratorBaseERKN3c106ScalarEENKUlvE_clEvENKUlvE1_clEvEUliE_St5arrayIPcLm2EELi4E23TrivialOffsetCalculatorILi1EjESF_NS0_6memory15LoadWithoutCastENSG_16StoreWithoutCastEEEviT_T0_T2_T3_T4_T5_.kd
    .uniform_work_group_size: 1
    .uses_dynamic_stack: false
    .vgpr_count:     10
    .vgpr_spill_count: 0
    .wavefront_size: 32
    .workgroup_processor_mode: 1
  - .args:
      - .offset:         0
        .size:           4
        .value_kind:     by_value
      - .offset:         8
        .size:           352
        .value_kind:     by_value
    .group_segment_fixed_size: 0
    .kernarg_segment_align: 8
    .kernarg_segment_size: 360
    .language:       OpenCL C
    .language_version:
      - 2
      - 0
    .max_flat_workgroup_size: 128
    .name:           _ZN2at6native32elementwise_kernel_manual_unrollILi128ELi4EZNS0_22gpu_kernel_impl_nocastIZZZNS0_21clamp_max_kernel_cudaERNS_18TensorIteratorBaseERKN3c106ScalarEENKUlvE_clEvENKUlvE1_clEvEUliE_EEvS4_RKT_EUlibE_EEviT1_
    .private_segment_fixed_size: 0
    .sgpr_count:     62
    .sgpr_spill_count: 0
    .symbol:         _ZN2at6native32elementwise_kernel_manual_unrollILi128ELi4EZNS0_22gpu_kernel_impl_nocastIZZZNS0_21clamp_max_kernel_cudaERNS_18TensorIteratorBaseERKN3c106ScalarEENKUlvE_clEvENKUlvE1_clEvEUliE_EEvS4_RKT_EUlibE_EEviT1_.kd
    .uniform_work_group_size: 1
    .uses_dynamic_stack: false
    .vgpr_count:     18
    .vgpr_spill_count: 0
    .wavefront_size: 32
    .workgroup_processor_mode: 1
  - .args:
      - .offset:         0
        .size:           4
        .value_kind:     by_value
      - .offset:         8
        .size:           32
        .value_kind:     by_value
    .group_segment_fixed_size: 0
    .kernarg_segment_align: 8
    .kernarg_segment_size: 40
    .language:       OpenCL C
    .language_version:
      - 2
      - 0
    .max_flat_workgroup_size: 128
    .name:           _ZN2at6native32elementwise_kernel_manual_unrollILi128ELi4EZNS0_15gpu_kernel_implIZZZNS0_21clamp_max_kernel_cudaERNS_18TensorIteratorBaseERKN3c106ScalarEENKUlvE_clEvENKUlvE1_clEvEUliE_EEvS4_RKT_EUlibE_EEviT1_
    .private_segment_fixed_size: 0
    .sgpr_count:     28
    .sgpr_spill_count: 0
    .symbol:         _ZN2at6native32elementwise_kernel_manual_unrollILi128ELi4EZNS0_15gpu_kernel_implIZZZNS0_21clamp_max_kernel_cudaERNS_18TensorIteratorBaseERKN3c106ScalarEENKUlvE_clEvENKUlvE1_clEvEUliE_EEvS4_RKT_EUlibE_EEviT1_.kd
    .uniform_work_group_size: 1
    .uses_dynamic_stack: false
    .vgpr_count:     14
    .vgpr_spill_count: 0
    .wavefront_size: 32
    .workgroup_processor_mode: 1
  - .args:
      - .offset:         0
        .size:           4
        .value_kind:     by_value
      - .offset:         8
        .size:           352
        .value_kind:     by_value
    .group_segment_fixed_size: 0
    .kernarg_segment_align: 8
    .kernarg_segment_size: 360
    .language:       OpenCL C
    .language_version:
      - 2
      - 0
    .max_flat_workgroup_size: 128
    .name:           _ZN2at6native32elementwise_kernel_manual_unrollILi128ELi4EZNS0_15gpu_kernel_implIZZZNS0_21clamp_max_kernel_cudaERNS_18TensorIteratorBaseERKN3c106ScalarEENKUlvE_clEvENKUlvE1_clEvEUliE_EEvS4_RKT_EUlibE0_EEviT1_
    .private_segment_fixed_size: 0
    .sgpr_count:     70
    .sgpr_spill_count: 0
    .symbol:         _ZN2at6native32elementwise_kernel_manual_unrollILi128ELi4EZNS0_15gpu_kernel_implIZZZNS0_21clamp_max_kernel_cudaERNS_18TensorIteratorBaseERKN3c106ScalarEENKUlvE_clEvENKUlvE1_clEvEUliE_EEvS4_RKT_EUlibE0_EEviT1_.kd
    .uniform_work_group_size: 1
    .uses_dynamic_stack: false
    .vgpr_count:     18
    .vgpr_spill_count: 0
    .wavefront_size: 32
    .workgroup_processor_mode: 1
  - .args:
      - .offset:         0
        .size:           4
        .value_kind:     by_value
      - .offset:         8
        .size:           8
        .value_kind:     by_value
      - .offset:         16
        .size:           16
        .value_kind:     by_value
    .group_segment_fixed_size: 0
    .kernarg_segment_align: 8
    .kernarg_segment_size: 32
    .language:       OpenCL C
    .language_version:
      - 2
      - 0
    .max_flat_workgroup_size: 256
    .name:           _ZN2at6native29vectorized_elementwise_kernelILi16EZZZNS0_21clamp_max_kernel_cudaERNS_18TensorIteratorBaseERKN3c106ScalarEENKUlvE_clEvENKUlvE2_clEvEUllE_St5arrayIPcLm2EEEEviT0_T1_
    .private_segment_fixed_size: 0
    .sgpr_count:     18
    .sgpr_spill_count: 0
    .symbol:         _ZN2at6native29vectorized_elementwise_kernelILi16EZZZNS0_21clamp_max_kernel_cudaERNS_18TensorIteratorBaseERKN3c106ScalarEENKUlvE_clEvENKUlvE2_clEvEUllE_St5arrayIPcLm2EEEEviT0_T1_.kd
    .uniform_work_group_size: 1
    .uses_dynamic_stack: false
    .vgpr_count:     16
    .vgpr_spill_count: 0
    .wavefront_size: 32
    .workgroup_processor_mode: 1
  - .args:
      - .offset:         0
        .size:           4
        .value_kind:     by_value
      - .offset:         8
        .size:           8
        .value_kind:     by_value
      - .offset:         16
        .size:           16
        .value_kind:     by_value
    .group_segment_fixed_size: 0
    .kernarg_segment_align: 8
    .kernarg_segment_size: 32
    .language:       OpenCL C
    .language_version:
      - 2
      - 0
    .max_flat_workgroup_size: 256
    .name:           _ZN2at6native29vectorized_elementwise_kernelILi8EZZZNS0_21clamp_max_kernel_cudaERNS_18TensorIteratorBaseERKN3c106ScalarEENKUlvE_clEvENKUlvE2_clEvEUllE_St5arrayIPcLm2EEEEviT0_T1_
    .private_segment_fixed_size: 0
    .sgpr_count:     18
    .sgpr_spill_count: 0
    .symbol:         _ZN2at6native29vectorized_elementwise_kernelILi8EZZZNS0_21clamp_max_kernel_cudaERNS_18TensorIteratorBaseERKN3c106ScalarEENKUlvE_clEvENKUlvE2_clEvEUllE_St5arrayIPcLm2EEEEviT0_T1_.kd
    .uniform_work_group_size: 1
    .uses_dynamic_stack: false
    .vgpr_count:     16
    .vgpr_spill_count: 0
    .wavefront_size: 32
    .workgroup_processor_mode: 1
  - .args:
      - .offset:         0
        .size:           4
        .value_kind:     by_value
      - .offset:         8
        .size:           8
        .value_kind:     by_value
      - .offset:         16
        .size:           16
        .value_kind:     by_value
    .group_segment_fixed_size: 0
    .kernarg_segment_align: 8
    .kernarg_segment_size: 32
    .language:       OpenCL C
    .language_version:
      - 2
      - 0
    .max_flat_workgroup_size: 256
    .name:           _ZN2at6native29vectorized_elementwise_kernelILi4EZZZNS0_21clamp_max_kernel_cudaERNS_18TensorIteratorBaseERKN3c106ScalarEENKUlvE_clEvENKUlvE2_clEvEUllE_St5arrayIPcLm2EEEEviT0_T1_
    .private_segment_fixed_size: 0
    .sgpr_count:     18
    .sgpr_spill_count: 0
    .symbol:         _ZN2at6native29vectorized_elementwise_kernelILi4EZZZNS0_21clamp_max_kernel_cudaERNS_18TensorIteratorBaseERKN3c106ScalarEENKUlvE_clEvENKUlvE2_clEvEUllE_St5arrayIPcLm2EEEEviT0_T1_.kd
    .uniform_work_group_size: 1
    .uses_dynamic_stack: false
    .vgpr_count:     16
    .vgpr_spill_count: 0
    .wavefront_size: 32
    .workgroup_processor_mode: 1
  - .args:
      - .offset:         0
        .size:           4
        .value_kind:     by_value
      - .offset:         8
        .size:           8
        .value_kind:     by_value
      - .offset:         16
        .size:           16
        .value_kind:     by_value
    .group_segment_fixed_size: 0
    .kernarg_segment_align: 8
    .kernarg_segment_size: 32
    .language:       OpenCL C
    .language_version:
      - 2
      - 0
    .max_flat_workgroup_size: 256
    .name:           _ZN2at6native29vectorized_elementwise_kernelILi2EZZZNS0_21clamp_max_kernel_cudaERNS_18TensorIteratorBaseERKN3c106ScalarEENKUlvE_clEvENKUlvE2_clEvEUllE_St5arrayIPcLm2EEEEviT0_T1_
    .private_segment_fixed_size: 0
    .sgpr_count:     18
    .sgpr_spill_count: 0
    .symbol:         _ZN2at6native29vectorized_elementwise_kernelILi2EZZZNS0_21clamp_max_kernel_cudaERNS_18TensorIteratorBaseERKN3c106ScalarEENKUlvE_clEvENKUlvE2_clEvEUllE_St5arrayIPcLm2EEEEviT0_T1_.kd
    .uniform_work_group_size: 1
    .uses_dynamic_stack: false
    .vgpr_count:     16
    .vgpr_spill_count: 0
    .wavefront_size: 32
    .workgroup_processor_mode: 1
  - .args:
      - .offset:         0
        .size:           4
        .value_kind:     by_value
      - .offset:         8
        .size:           8
        .value_kind:     by_value
      - .offset:         16
        .size:           16
        .value_kind:     by_value
      - .offset:         32
        .size:           1
        .value_kind:     by_value
      - .offset:         33
        .size:           1
        .value_kind:     by_value
      - .offset:         34
        .size:           1
        .value_kind:     by_value
      - .offset:         35
        .size:           1
        .value_kind:     by_value
    .group_segment_fixed_size: 0
    .kernarg_segment_align: 8
    .kernarg_segment_size: 36
    .language:       OpenCL C
    .language_version:
      - 2
      - 0
    .max_flat_workgroup_size: 256
    .name:           _ZN2at6native27unrolled_elementwise_kernelIZZZNS0_21clamp_max_kernel_cudaERNS_18TensorIteratorBaseERKN3c106ScalarEENKUlvE_clEvENKUlvE2_clEvEUllE_St5arrayIPcLm2EELi4E23TrivialOffsetCalculatorILi1EjESF_NS0_6memory15LoadWithoutCastENSG_16StoreWithoutCastEEEviT_T0_T2_T3_T4_T5_
    .private_segment_fixed_size: 0
    .sgpr_count:     18
    .sgpr_spill_count: 0
    .symbol:         _ZN2at6native27unrolled_elementwise_kernelIZZZNS0_21clamp_max_kernel_cudaERNS_18TensorIteratorBaseERKN3c106ScalarEENKUlvE_clEvENKUlvE2_clEvEUllE_St5arrayIPcLm2EELi4E23TrivialOffsetCalculatorILi1EjESF_NS0_6memory15LoadWithoutCastENSG_16StoreWithoutCastEEEviT_T0_T2_T3_T4_T5_.kd
    .uniform_work_group_size: 1
    .uses_dynamic_stack: false
    .vgpr_count:     16
    .vgpr_spill_count: 0
    .wavefront_size: 32
    .workgroup_processor_mode: 1
  - .args:
      - .offset:         0
        .size:           4
        .value_kind:     by_value
      - .offset:         8
        .size:           352
        .value_kind:     by_value
    .group_segment_fixed_size: 0
    .kernarg_segment_align: 8
    .kernarg_segment_size: 360
    .language:       OpenCL C
    .language_version:
      - 2
      - 0
    .max_flat_workgroup_size: 128
    .name:           _ZN2at6native32elementwise_kernel_manual_unrollILi128ELi4EZNS0_22gpu_kernel_impl_nocastIZZZNS0_21clamp_max_kernel_cudaERNS_18TensorIteratorBaseERKN3c106ScalarEENKUlvE_clEvENKUlvE2_clEvEUllE_EEvS4_RKT_EUlibE_EEviT1_
    .private_segment_fixed_size: 0
    .sgpr_count:     62
    .sgpr_spill_count: 0
    .symbol:         _ZN2at6native32elementwise_kernel_manual_unrollILi128ELi4EZNS0_22gpu_kernel_impl_nocastIZZZNS0_21clamp_max_kernel_cudaERNS_18TensorIteratorBaseERKN3c106ScalarEENKUlvE_clEvENKUlvE2_clEvEUllE_EEvS4_RKT_EUlibE_EEviT1_.kd
    .uniform_work_group_size: 1
    .uses_dynamic_stack: false
    .vgpr_count:     18
    .vgpr_spill_count: 0
    .wavefront_size: 32
    .workgroup_processor_mode: 1
  - .args:
      - .offset:         0
        .size:           4
        .value_kind:     by_value
      - .offset:         8
        .size:           40
        .value_kind:     by_value
    .group_segment_fixed_size: 0
    .kernarg_segment_align: 8
    .kernarg_segment_size: 48
    .language:       OpenCL C
    .language_version:
      - 2
      - 0
    .max_flat_workgroup_size: 128
    .name:           _ZN2at6native32elementwise_kernel_manual_unrollILi128ELi4EZNS0_15gpu_kernel_implIZZZNS0_21clamp_max_kernel_cudaERNS_18TensorIteratorBaseERKN3c106ScalarEENKUlvE_clEvENKUlvE2_clEvEUllE_EEvS4_RKT_EUlibE_EEviT1_
    .private_segment_fixed_size: 0
    .sgpr_count:     29
    .sgpr_spill_count: 0
    .symbol:         _ZN2at6native32elementwise_kernel_manual_unrollILi128ELi4EZNS0_15gpu_kernel_implIZZZNS0_21clamp_max_kernel_cudaERNS_18TensorIteratorBaseERKN3c106ScalarEENKUlvE_clEvENKUlvE2_clEvEUllE_EEvS4_RKT_EUlibE_EEviT1_.kd
    .uniform_work_group_size: 1
    .uses_dynamic_stack: false
    .vgpr_count:     17
    .vgpr_spill_count: 0
    .wavefront_size: 32
    .workgroup_processor_mode: 1
  - .args:
      - .offset:         0
        .size:           4
        .value_kind:     by_value
      - .offset:         8
        .size:           360
        .value_kind:     by_value
    .group_segment_fixed_size: 0
    .kernarg_segment_align: 8
    .kernarg_segment_size: 368
    .language:       OpenCL C
    .language_version:
      - 2
      - 0
    .max_flat_workgroup_size: 128
    .name:           _ZN2at6native32elementwise_kernel_manual_unrollILi128ELi4EZNS0_15gpu_kernel_implIZZZNS0_21clamp_max_kernel_cudaERNS_18TensorIteratorBaseERKN3c106ScalarEENKUlvE_clEvENKUlvE2_clEvEUllE_EEvS4_RKT_EUlibE0_EEviT1_
    .private_segment_fixed_size: 0
    .sgpr_count:     70
    .sgpr_spill_count: 0
    .symbol:         _ZN2at6native32elementwise_kernel_manual_unrollILi128ELi4EZNS0_15gpu_kernel_implIZZZNS0_21clamp_max_kernel_cudaERNS_18TensorIteratorBaseERKN3c106ScalarEENKUlvE_clEvENKUlvE2_clEvEUllE_EEvS4_RKT_EUlibE0_EEviT1_.kd
    .uniform_work_group_size: 1
    .uses_dynamic_stack: false
    .vgpr_count:     19
    .vgpr_spill_count: 0
    .wavefront_size: 32
    .workgroup_processor_mode: 1
  - .args:
      - .offset:         0
        .size:           4
        .value_kind:     by_value
      - .offset:         4
        .size:           2
        .value_kind:     by_value
      - .offset:         8
        .size:           16
        .value_kind:     by_value
    .group_segment_fixed_size: 0
    .kernarg_segment_align: 8
    .kernarg_segment_size: 24
    .language:       OpenCL C
    .language_version:
      - 2
      - 0
    .max_flat_workgroup_size: 256
    .name:           _ZN2at6native29vectorized_elementwise_kernelILi16EZZZNS0_21clamp_max_kernel_cudaERNS_18TensorIteratorBaseERKN3c106ScalarEENKUlvE_clEvENKUlvE3_clEvEUlsE_St5arrayIPcLm2EEEEviT0_T1_
    .private_segment_fixed_size: 0
    .sgpr_count:     18
    .sgpr_spill_count: 0
    .symbol:         _ZN2at6native29vectorized_elementwise_kernelILi16EZZZNS0_21clamp_max_kernel_cudaERNS_18TensorIteratorBaseERKN3c106ScalarEENKUlvE_clEvENKUlvE3_clEvEUlsE_St5arrayIPcLm2EEEEviT0_T1_.kd
    .uniform_work_group_size: 1
    .uses_dynamic_stack: false
    .vgpr_count:     15
    .vgpr_spill_count: 0
    .wavefront_size: 32
    .workgroup_processor_mode: 1
  - .args:
      - .offset:         0
        .size:           4
        .value_kind:     by_value
      - .offset:         4
        .size:           2
        .value_kind:     by_value
      - .offset:         8
        .size:           16
        .value_kind:     by_value
    .group_segment_fixed_size: 0
    .kernarg_segment_align: 8
    .kernarg_segment_size: 24
    .language:       OpenCL C
    .language_version:
      - 2
      - 0
    .max_flat_workgroup_size: 256
    .name:           _ZN2at6native29vectorized_elementwise_kernelILi8EZZZNS0_21clamp_max_kernel_cudaERNS_18TensorIteratorBaseERKN3c106ScalarEENKUlvE_clEvENKUlvE3_clEvEUlsE_St5arrayIPcLm2EEEEviT0_T1_
    .private_segment_fixed_size: 0
    .sgpr_count:     18
    .sgpr_spill_count: 0
    .symbol:         _ZN2at6native29vectorized_elementwise_kernelILi8EZZZNS0_21clamp_max_kernel_cudaERNS_18TensorIteratorBaseERKN3c106ScalarEENKUlvE_clEvENKUlvE3_clEvEUlsE_St5arrayIPcLm2EEEEviT0_T1_.kd
    .uniform_work_group_size: 1
    .uses_dynamic_stack: false
    .vgpr_count:     15
    .vgpr_spill_count: 0
    .wavefront_size: 32
    .workgroup_processor_mode: 1
  - .args:
      - .offset:         0
        .size:           4
        .value_kind:     by_value
      - .offset:         4
        .size:           2
        .value_kind:     by_value
      - .offset:         8
        .size:           16
        .value_kind:     by_value
    .group_segment_fixed_size: 0
    .kernarg_segment_align: 8
    .kernarg_segment_size: 24
    .language:       OpenCL C
    .language_version:
      - 2
      - 0
    .max_flat_workgroup_size: 256
    .name:           _ZN2at6native29vectorized_elementwise_kernelILi4EZZZNS0_21clamp_max_kernel_cudaERNS_18TensorIteratorBaseERKN3c106ScalarEENKUlvE_clEvENKUlvE3_clEvEUlsE_St5arrayIPcLm2EEEEviT0_T1_
    .private_segment_fixed_size: 0
    .sgpr_count:     18
    .sgpr_spill_count: 0
    .symbol:         _ZN2at6native29vectorized_elementwise_kernelILi4EZZZNS0_21clamp_max_kernel_cudaERNS_18TensorIteratorBaseERKN3c106ScalarEENKUlvE_clEvENKUlvE3_clEvEUlsE_St5arrayIPcLm2EEEEviT0_T1_.kd
    .uniform_work_group_size: 1
    .uses_dynamic_stack: false
    .vgpr_count:     15
    .vgpr_spill_count: 0
    .wavefront_size: 32
    .workgroup_processor_mode: 1
  - .args:
      - .offset:         0
        .size:           4
        .value_kind:     by_value
      - .offset:         4
        .size:           2
        .value_kind:     by_value
      - .offset:         8
        .size:           16
        .value_kind:     by_value
    .group_segment_fixed_size: 0
    .kernarg_segment_align: 8
    .kernarg_segment_size: 24
    .language:       OpenCL C
    .language_version:
      - 2
      - 0
    .max_flat_workgroup_size: 256
    .name:           _ZN2at6native29vectorized_elementwise_kernelILi2EZZZNS0_21clamp_max_kernel_cudaERNS_18TensorIteratorBaseERKN3c106ScalarEENKUlvE_clEvENKUlvE3_clEvEUlsE_St5arrayIPcLm2EEEEviT0_T1_
    .private_segment_fixed_size: 0
    .sgpr_count:     18
    .sgpr_spill_count: 0
    .symbol:         _ZN2at6native29vectorized_elementwise_kernelILi2EZZZNS0_21clamp_max_kernel_cudaERNS_18TensorIteratorBaseERKN3c106ScalarEENKUlvE_clEvENKUlvE3_clEvEUlsE_St5arrayIPcLm2EEEEviT0_T1_.kd
    .uniform_work_group_size: 1
    .uses_dynamic_stack: false
    .vgpr_count:     15
    .vgpr_spill_count: 0
    .wavefront_size: 32
    .workgroup_processor_mode: 1
  - .args:
      - .offset:         0
        .size:           4
        .value_kind:     by_value
      - .offset:         4
        .size:           2
        .value_kind:     by_value
      - .offset:         8
        .size:           16
        .value_kind:     by_value
      - .offset:         24
        .size:           1
        .value_kind:     by_value
      - .offset:         25
        .size:           1
        .value_kind:     by_value
      - .offset:         26
        .size:           1
        .value_kind:     by_value
      - .offset:         27
        .size:           1
        .value_kind:     by_value
    .group_segment_fixed_size: 0
    .kernarg_segment_align: 8
    .kernarg_segment_size: 28
    .language:       OpenCL C
    .language_version:
      - 2
      - 0
    .max_flat_workgroup_size: 256
    .name:           _ZN2at6native27unrolled_elementwise_kernelIZZZNS0_21clamp_max_kernel_cudaERNS_18TensorIteratorBaseERKN3c106ScalarEENKUlvE_clEvENKUlvE3_clEvEUlsE_St5arrayIPcLm2EELi4E23TrivialOffsetCalculatorILi1EjESF_NS0_6memory15LoadWithoutCastENSG_16StoreWithoutCastEEEviT_T0_T2_T3_T4_T5_
    .private_segment_fixed_size: 0
    .sgpr_count:     18
    .sgpr_spill_count: 0
    .symbol:         _ZN2at6native27unrolled_elementwise_kernelIZZZNS0_21clamp_max_kernel_cudaERNS_18TensorIteratorBaseERKN3c106ScalarEENKUlvE_clEvENKUlvE3_clEvEUlsE_St5arrayIPcLm2EELi4E23TrivialOffsetCalculatorILi1EjESF_NS0_6memory15LoadWithoutCastENSG_16StoreWithoutCastEEEviT_T0_T2_T3_T4_T5_.kd
    .uniform_work_group_size: 1
    .uses_dynamic_stack: false
    .vgpr_count:     9
    .vgpr_spill_count: 0
    .wavefront_size: 32
    .workgroup_processor_mode: 1
  - .args:
      - .offset:         0
        .size:           4
        .value_kind:     by_value
      - .offset:         8
        .size:           352
        .value_kind:     by_value
    .group_segment_fixed_size: 0
    .kernarg_segment_align: 8
    .kernarg_segment_size: 360
    .language:       OpenCL C
    .language_version:
      - 2
      - 0
    .max_flat_workgroup_size: 128
    .name:           _ZN2at6native32elementwise_kernel_manual_unrollILi128ELi8EZNS0_22gpu_kernel_impl_nocastIZZZNS0_21clamp_max_kernel_cudaERNS_18TensorIteratorBaseERKN3c106ScalarEENKUlvE_clEvENKUlvE3_clEvEUlsE_EEvS4_RKT_EUlibE_EEviT1_
    .private_segment_fixed_size: 0
    .sgpr_count:     62
    .sgpr_spill_count: 0
    .symbol:         _ZN2at6native32elementwise_kernel_manual_unrollILi128ELi8EZNS0_22gpu_kernel_impl_nocastIZZZNS0_21clamp_max_kernel_cudaERNS_18TensorIteratorBaseERKN3c106ScalarEENKUlvE_clEvENKUlvE3_clEvEUlsE_EEvS4_RKT_EUlibE_EEviT1_.kd
    .uniform_work_group_size: 1
    .uses_dynamic_stack: false
    .vgpr_count:     26
    .vgpr_spill_count: 0
    .wavefront_size: 32
    .workgroup_processor_mode: 1
  - .args:
      - .offset:         0
        .size:           4
        .value_kind:     by_value
      - .offset:         8
        .size:           32
        .value_kind:     by_value
    .group_segment_fixed_size: 0
    .kernarg_segment_align: 8
    .kernarg_segment_size: 40
    .language:       OpenCL C
    .language_version:
      - 2
      - 0
    .max_flat_workgroup_size: 128
    .name:           _ZN2at6native32elementwise_kernel_manual_unrollILi128ELi4EZNS0_15gpu_kernel_implIZZZNS0_21clamp_max_kernel_cudaERNS_18TensorIteratorBaseERKN3c106ScalarEENKUlvE_clEvENKUlvE3_clEvEUlsE_EEvS4_RKT_EUlibE_EEviT1_
    .private_segment_fixed_size: 0
    .sgpr_count:     29
    .sgpr_spill_count: 0
    .symbol:         _ZN2at6native32elementwise_kernel_manual_unrollILi128ELi4EZNS0_15gpu_kernel_implIZZZNS0_21clamp_max_kernel_cudaERNS_18TensorIteratorBaseERKN3c106ScalarEENKUlvE_clEvENKUlvE3_clEvEUlsE_EEvS4_RKT_EUlibE_EEviT1_.kd
    .uniform_work_group_size: 1
    .uses_dynamic_stack: false
    .vgpr_count:     13
    .vgpr_spill_count: 0
    .wavefront_size: 32
    .workgroup_processor_mode: 1
  - .args:
      - .offset:         0
        .size:           4
        .value_kind:     by_value
      - .offset:         8
        .size:           352
        .value_kind:     by_value
    .group_segment_fixed_size: 0
    .kernarg_segment_align: 8
    .kernarg_segment_size: 360
    .language:       OpenCL C
    .language_version:
      - 2
      - 0
    .max_flat_workgroup_size: 128
    .name:           _ZN2at6native32elementwise_kernel_manual_unrollILi128ELi4EZNS0_15gpu_kernel_implIZZZNS0_21clamp_max_kernel_cudaERNS_18TensorIteratorBaseERKN3c106ScalarEENKUlvE_clEvENKUlvE3_clEvEUlsE_EEvS4_RKT_EUlibE0_EEviT1_
    .private_segment_fixed_size: 0
    .sgpr_count:     70
    .sgpr_spill_count: 0
    .symbol:         _ZN2at6native32elementwise_kernel_manual_unrollILi128ELi4EZNS0_15gpu_kernel_implIZZZNS0_21clamp_max_kernel_cudaERNS_18TensorIteratorBaseERKN3c106ScalarEENKUlvE_clEvENKUlvE3_clEvEUlsE_EEvS4_RKT_EUlibE0_EEviT1_.kd
    .uniform_work_group_size: 1
    .uses_dynamic_stack: false
    .vgpr_count:     18
    .vgpr_spill_count: 0
    .wavefront_size: 32
    .workgroup_processor_mode: 1
  - .args:
      - .offset:         0
        .size:           4
        .value_kind:     by_value
      - .offset:         8
        .size:           8
        .value_kind:     by_value
      - .offset:         16
        .size:           16
        .value_kind:     by_value
    .group_segment_fixed_size: 0
    .kernarg_segment_align: 8
    .kernarg_segment_size: 32
    .language:       OpenCL C
    .language_version:
      - 2
      - 0
    .max_flat_workgroup_size: 256
    .name:           _ZN2at6native29vectorized_elementwise_kernelILi16EZZZNS0_21clamp_max_kernel_cudaERNS_18TensorIteratorBaseERKN3c106ScalarEENKUlvE_clEvENKUlvE4_clEvEUldE_St5arrayIPcLm2EEEEviT0_T1_
    .private_segment_fixed_size: 0
    .sgpr_count:     18
    .sgpr_spill_count: 0
    .symbol:         _ZN2at6native29vectorized_elementwise_kernelILi16EZZZNS0_21clamp_max_kernel_cudaERNS_18TensorIteratorBaseERKN3c106ScalarEENKUlvE_clEvENKUlvE4_clEvEUldE_St5arrayIPcLm2EEEEviT0_T1_.kd
    .uniform_work_group_size: 1
    .uses_dynamic_stack: false
    .vgpr_count:     22
    .vgpr_spill_count: 0
    .wavefront_size: 32
    .workgroup_processor_mode: 1
  - .args:
      - .offset:         0
        .size:           4
        .value_kind:     by_value
      - .offset:         8
        .size:           8
        .value_kind:     by_value
      - .offset:         16
        .size:           16
        .value_kind:     by_value
    .group_segment_fixed_size: 0
    .kernarg_segment_align: 8
    .kernarg_segment_size: 32
    .language:       OpenCL C
    .language_version:
      - 2
      - 0
    .max_flat_workgroup_size: 256
    .name:           _ZN2at6native29vectorized_elementwise_kernelILi8EZZZNS0_21clamp_max_kernel_cudaERNS_18TensorIteratorBaseERKN3c106ScalarEENKUlvE_clEvENKUlvE4_clEvEUldE_St5arrayIPcLm2EEEEviT0_T1_
    .private_segment_fixed_size: 0
    .sgpr_count:     18
    .sgpr_spill_count: 0
    .symbol:         _ZN2at6native29vectorized_elementwise_kernelILi8EZZZNS0_21clamp_max_kernel_cudaERNS_18TensorIteratorBaseERKN3c106ScalarEENKUlvE_clEvENKUlvE4_clEvEUldE_St5arrayIPcLm2EEEEviT0_T1_.kd
    .uniform_work_group_size: 1
    .uses_dynamic_stack: false
    .vgpr_count:     22
    .vgpr_spill_count: 0
    .wavefront_size: 32
    .workgroup_processor_mode: 1
  - .args:
      - .offset:         0
        .size:           4
        .value_kind:     by_value
      - .offset:         8
        .size:           8
        .value_kind:     by_value
      - .offset:         16
        .size:           16
        .value_kind:     by_value
    .group_segment_fixed_size: 0
    .kernarg_segment_align: 8
    .kernarg_segment_size: 32
    .language:       OpenCL C
    .language_version:
      - 2
      - 0
    .max_flat_workgroup_size: 256
    .name:           _ZN2at6native29vectorized_elementwise_kernelILi4EZZZNS0_21clamp_max_kernel_cudaERNS_18TensorIteratorBaseERKN3c106ScalarEENKUlvE_clEvENKUlvE4_clEvEUldE_St5arrayIPcLm2EEEEviT0_T1_
    .private_segment_fixed_size: 0
    .sgpr_count:     18
    .sgpr_spill_count: 0
    .symbol:         _ZN2at6native29vectorized_elementwise_kernelILi4EZZZNS0_21clamp_max_kernel_cudaERNS_18TensorIteratorBaseERKN3c106ScalarEENKUlvE_clEvENKUlvE4_clEvEUldE_St5arrayIPcLm2EEEEviT0_T1_.kd
    .uniform_work_group_size: 1
    .uses_dynamic_stack: false
    .vgpr_count:     22
    .vgpr_spill_count: 0
    .wavefront_size: 32
    .workgroup_processor_mode: 1
  - .args:
      - .offset:         0
        .size:           4
        .value_kind:     by_value
      - .offset:         8
        .size:           8
        .value_kind:     by_value
      - .offset:         16
        .size:           16
        .value_kind:     by_value
    .group_segment_fixed_size: 0
    .kernarg_segment_align: 8
    .kernarg_segment_size: 32
    .language:       OpenCL C
    .language_version:
      - 2
      - 0
    .max_flat_workgroup_size: 256
    .name:           _ZN2at6native29vectorized_elementwise_kernelILi2EZZZNS0_21clamp_max_kernel_cudaERNS_18TensorIteratorBaseERKN3c106ScalarEENKUlvE_clEvENKUlvE4_clEvEUldE_St5arrayIPcLm2EEEEviT0_T1_
    .private_segment_fixed_size: 0
    .sgpr_count:     18
    .sgpr_spill_count: 0
    .symbol:         _ZN2at6native29vectorized_elementwise_kernelILi2EZZZNS0_21clamp_max_kernel_cudaERNS_18TensorIteratorBaseERKN3c106ScalarEENKUlvE_clEvENKUlvE4_clEvEUldE_St5arrayIPcLm2EEEEviT0_T1_.kd
    .uniform_work_group_size: 1
    .uses_dynamic_stack: false
    .vgpr_count:     22
    .vgpr_spill_count: 0
    .wavefront_size: 32
    .workgroup_processor_mode: 1
  - .args:
      - .offset:         0
        .size:           4
        .value_kind:     by_value
      - .offset:         8
        .size:           8
        .value_kind:     by_value
      - .offset:         16
        .size:           16
        .value_kind:     by_value
      - .offset:         32
        .size:           1
        .value_kind:     by_value
      - .offset:         33
        .size:           1
        .value_kind:     by_value
      - .offset:         34
        .size:           1
        .value_kind:     by_value
      - .offset:         35
        .size:           1
        .value_kind:     by_value
    .group_segment_fixed_size: 0
    .kernarg_segment_align: 8
    .kernarg_segment_size: 36
    .language:       OpenCL C
    .language_version:
      - 2
      - 0
    .max_flat_workgroup_size: 256
    .name:           _ZN2at6native27unrolled_elementwise_kernelIZZZNS0_21clamp_max_kernel_cudaERNS_18TensorIteratorBaseERKN3c106ScalarEENKUlvE_clEvENKUlvE4_clEvEUldE_St5arrayIPcLm2EELi4E23TrivialOffsetCalculatorILi1EjESF_NS0_6memory15LoadWithoutCastENSG_16StoreWithoutCastEEEviT_T0_T2_T3_T4_T5_
    .private_segment_fixed_size: 0
    .sgpr_count:     18
    .sgpr_spill_count: 0
    .symbol:         _ZN2at6native27unrolled_elementwise_kernelIZZZNS0_21clamp_max_kernel_cudaERNS_18TensorIteratorBaseERKN3c106ScalarEENKUlvE_clEvENKUlvE4_clEvEUldE_St5arrayIPcLm2EELi4E23TrivialOffsetCalculatorILi1EjESF_NS0_6memory15LoadWithoutCastENSG_16StoreWithoutCastEEEviT_T0_T2_T3_T4_T5_.kd
    .uniform_work_group_size: 1
    .uses_dynamic_stack: false
    .vgpr_count:     22
    .vgpr_spill_count: 0
    .wavefront_size: 32
    .workgroup_processor_mode: 1
  - .args:
      - .offset:         0
        .size:           4
        .value_kind:     by_value
      - .offset:         8
        .size:           352
        .value_kind:     by_value
    .group_segment_fixed_size: 0
    .kernarg_segment_align: 8
    .kernarg_segment_size: 360
    .language:       OpenCL C
    .language_version:
      - 2
      - 0
    .max_flat_workgroup_size: 128
    .name:           _ZN2at6native32elementwise_kernel_manual_unrollILi128ELi4EZNS0_22gpu_kernel_impl_nocastIZZZNS0_21clamp_max_kernel_cudaERNS_18TensorIteratorBaseERKN3c106ScalarEENKUlvE_clEvENKUlvE4_clEvEUldE_EEvS4_RKT_EUlibE_EEviT1_
    .private_segment_fixed_size: 0
    .sgpr_count:     62
    .sgpr_spill_count: 0
    .symbol:         _ZN2at6native32elementwise_kernel_manual_unrollILi128ELi4EZNS0_22gpu_kernel_impl_nocastIZZZNS0_21clamp_max_kernel_cudaERNS_18TensorIteratorBaseERKN3c106ScalarEENKUlvE_clEvENKUlvE4_clEvEUldE_EEvS4_RKT_EUlibE_EEviT1_.kd
    .uniform_work_group_size: 1
    .uses_dynamic_stack: false
    .vgpr_count:     26
    .vgpr_spill_count: 0
    .wavefront_size: 32
    .workgroup_processor_mode: 1
  - .args:
      - .offset:         0
        .size:           4
        .value_kind:     by_value
      - .offset:         8
        .size:           40
        .value_kind:     by_value
    .group_segment_fixed_size: 0
    .kernarg_segment_align: 8
    .kernarg_segment_size: 48
    .language:       OpenCL C
    .language_version:
      - 2
      - 0
    .max_flat_workgroup_size: 128
    .name:           _ZN2at6native32elementwise_kernel_manual_unrollILi128ELi4EZNS0_15gpu_kernel_implIZZZNS0_21clamp_max_kernel_cudaERNS_18TensorIteratorBaseERKN3c106ScalarEENKUlvE_clEvENKUlvE4_clEvEUldE_EEvS4_RKT_EUlibE_EEviT1_
    .private_segment_fixed_size: 0
    .sgpr_count:     30
    .sgpr_spill_count: 0
    .symbol:         _ZN2at6native32elementwise_kernel_manual_unrollILi128ELi4EZNS0_15gpu_kernel_implIZZZNS0_21clamp_max_kernel_cudaERNS_18TensorIteratorBaseERKN3c106ScalarEENKUlvE_clEvENKUlvE4_clEvEUldE_EEvS4_RKT_EUlibE_EEviT1_.kd
    .uniform_work_group_size: 1
    .uses_dynamic_stack: false
    .vgpr_count:     18
    .vgpr_spill_count: 0
    .wavefront_size: 32
    .workgroup_processor_mode: 1
  - .args:
      - .offset:         0
        .size:           4
        .value_kind:     by_value
      - .offset:         8
        .size:           360
        .value_kind:     by_value
    .group_segment_fixed_size: 0
    .kernarg_segment_align: 8
    .kernarg_segment_size: 368
    .language:       OpenCL C
    .language_version:
      - 2
      - 0
    .max_flat_workgroup_size: 128
    .name:           _ZN2at6native32elementwise_kernel_manual_unrollILi128ELi4EZNS0_15gpu_kernel_implIZZZNS0_21clamp_max_kernel_cudaERNS_18TensorIteratorBaseERKN3c106ScalarEENKUlvE_clEvENKUlvE4_clEvEUldE_EEvS4_RKT_EUlibE0_EEviT1_
    .private_segment_fixed_size: 0
    .sgpr_count:     70
    .sgpr_spill_count: 0
    .symbol:         _ZN2at6native32elementwise_kernel_manual_unrollILi128ELi4EZNS0_15gpu_kernel_implIZZZNS0_21clamp_max_kernel_cudaERNS_18TensorIteratorBaseERKN3c106ScalarEENKUlvE_clEvENKUlvE4_clEvEUldE_EEvS4_RKT_EUlibE0_EEviT1_.kd
    .uniform_work_group_size: 1
    .uses_dynamic_stack: false
    .vgpr_count:     19
    .vgpr_spill_count: 0
    .wavefront_size: 32
    .workgroup_processor_mode: 1
  - .args:
      - .offset:         0
        .size:           4
        .value_kind:     by_value
      - .offset:         4
        .size:           4
        .value_kind:     by_value
      - .offset:         8
        .size:           16
        .value_kind:     by_value
    .group_segment_fixed_size: 0
    .kernarg_segment_align: 8
    .kernarg_segment_size: 24
    .language:       OpenCL C
    .language_version:
      - 2
      - 0
    .max_flat_workgroup_size: 256
    .name:           _ZN2at6native29vectorized_elementwise_kernelILi16EZZZNS0_21clamp_max_kernel_cudaERNS_18TensorIteratorBaseERKN3c106ScalarEENKUlvE_clEvENKUlvE5_clEvEUlfE_St5arrayIPcLm2EEEEviT0_T1_
    .private_segment_fixed_size: 0
    .sgpr_count:     18
    .sgpr_spill_count: 0
    .symbol:         _ZN2at6native29vectorized_elementwise_kernelILi16EZZZNS0_21clamp_max_kernel_cudaERNS_18TensorIteratorBaseERKN3c106ScalarEENKUlvE_clEvENKUlvE5_clEvEUlfE_St5arrayIPcLm2EEEEviT0_T1_.kd
    .uniform_work_group_size: 1
    .uses_dynamic_stack: false
    .vgpr_count:     13
    .vgpr_spill_count: 0
    .wavefront_size: 32
    .workgroup_processor_mode: 1
  - .args:
      - .offset:         0
        .size:           4
        .value_kind:     by_value
      - .offset:         4
        .size:           4
        .value_kind:     by_value
      - .offset:         8
        .size:           16
        .value_kind:     by_value
    .group_segment_fixed_size: 0
    .kernarg_segment_align: 8
    .kernarg_segment_size: 24
    .language:       OpenCL C
    .language_version:
      - 2
      - 0
    .max_flat_workgroup_size: 256
    .name:           _ZN2at6native29vectorized_elementwise_kernelILi8EZZZNS0_21clamp_max_kernel_cudaERNS_18TensorIteratorBaseERKN3c106ScalarEENKUlvE_clEvENKUlvE5_clEvEUlfE_St5arrayIPcLm2EEEEviT0_T1_
    .private_segment_fixed_size: 0
    .sgpr_count:     18
    .sgpr_spill_count: 0
    .symbol:         _ZN2at6native29vectorized_elementwise_kernelILi8EZZZNS0_21clamp_max_kernel_cudaERNS_18TensorIteratorBaseERKN3c106ScalarEENKUlvE_clEvENKUlvE5_clEvEUlfE_St5arrayIPcLm2EEEEviT0_T1_.kd
    .uniform_work_group_size: 1
    .uses_dynamic_stack: false
    .vgpr_count:     13
    .vgpr_spill_count: 0
    .wavefront_size: 32
    .workgroup_processor_mode: 1
  - .args:
      - .offset:         0
        .size:           4
        .value_kind:     by_value
      - .offset:         4
        .size:           4
        .value_kind:     by_value
      - .offset:         8
        .size:           16
        .value_kind:     by_value
    .group_segment_fixed_size: 0
    .kernarg_segment_align: 8
    .kernarg_segment_size: 24
    .language:       OpenCL C
    .language_version:
      - 2
      - 0
    .max_flat_workgroup_size: 256
    .name:           _ZN2at6native29vectorized_elementwise_kernelILi4EZZZNS0_21clamp_max_kernel_cudaERNS_18TensorIteratorBaseERKN3c106ScalarEENKUlvE_clEvENKUlvE5_clEvEUlfE_St5arrayIPcLm2EEEEviT0_T1_
    .private_segment_fixed_size: 0
    .sgpr_count:     18
    .sgpr_spill_count: 0
    .symbol:         _ZN2at6native29vectorized_elementwise_kernelILi4EZZZNS0_21clamp_max_kernel_cudaERNS_18TensorIteratorBaseERKN3c106ScalarEENKUlvE_clEvENKUlvE5_clEvEUlfE_St5arrayIPcLm2EEEEviT0_T1_.kd
    .uniform_work_group_size: 1
    .uses_dynamic_stack: false
    .vgpr_count:     13
    .vgpr_spill_count: 0
    .wavefront_size: 32
    .workgroup_processor_mode: 1
  - .args:
      - .offset:         0
        .size:           4
        .value_kind:     by_value
      - .offset:         4
        .size:           4
        .value_kind:     by_value
      - .offset:         8
        .size:           16
        .value_kind:     by_value
    .group_segment_fixed_size: 0
    .kernarg_segment_align: 8
    .kernarg_segment_size: 24
    .language:       OpenCL C
    .language_version:
      - 2
      - 0
    .max_flat_workgroup_size: 256
    .name:           _ZN2at6native29vectorized_elementwise_kernelILi2EZZZNS0_21clamp_max_kernel_cudaERNS_18TensorIteratorBaseERKN3c106ScalarEENKUlvE_clEvENKUlvE5_clEvEUlfE_St5arrayIPcLm2EEEEviT0_T1_
    .private_segment_fixed_size: 0
    .sgpr_count:     18
    .sgpr_spill_count: 0
    .symbol:         _ZN2at6native29vectorized_elementwise_kernelILi2EZZZNS0_21clamp_max_kernel_cudaERNS_18TensorIteratorBaseERKN3c106ScalarEENKUlvE_clEvENKUlvE5_clEvEUlfE_St5arrayIPcLm2EEEEviT0_T1_.kd
    .uniform_work_group_size: 1
    .uses_dynamic_stack: false
    .vgpr_count:     13
    .vgpr_spill_count: 0
    .wavefront_size: 32
    .workgroup_processor_mode: 1
  - .args:
      - .offset:         0
        .size:           4
        .value_kind:     by_value
      - .offset:         4
        .size:           4
        .value_kind:     by_value
      - .offset:         8
        .size:           16
        .value_kind:     by_value
      - .offset:         24
        .size:           1
        .value_kind:     by_value
      - .offset:         25
        .size:           1
        .value_kind:     by_value
      - .offset:         26
        .size:           1
        .value_kind:     by_value
      - .offset:         27
        .size:           1
        .value_kind:     by_value
    .group_segment_fixed_size: 0
    .kernarg_segment_align: 8
    .kernarg_segment_size: 28
    .language:       OpenCL C
    .language_version:
      - 2
      - 0
    .max_flat_workgroup_size: 256
    .name:           _ZN2at6native27unrolled_elementwise_kernelIZZZNS0_21clamp_max_kernel_cudaERNS_18TensorIteratorBaseERKN3c106ScalarEENKUlvE_clEvENKUlvE5_clEvEUlfE_St5arrayIPcLm2EELi4E23TrivialOffsetCalculatorILi1EjESF_NS0_6memory15LoadWithoutCastENSG_16StoreWithoutCastEEEviT_T0_T2_T3_T4_T5_
    .private_segment_fixed_size: 0
    .sgpr_count:     18
    .sgpr_spill_count: 0
    .symbol:         _ZN2at6native27unrolled_elementwise_kernelIZZZNS0_21clamp_max_kernel_cudaERNS_18TensorIteratorBaseERKN3c106ScalarEENKUlvE_clEvENKUlvE5_clEvEUlfE_St5arrayIPcLm2EELi4E23TrivialOffsetCalculatorILi1EjESF_NS0_6memory15LoadWithoutCastENSG_16StoreWithoutCastEEEviT_T0_T2_T3_T4_T5_.kd
    .uniform_work_group_size: 1
    .uses_dynamic_stack: false
    .vgpr_count:     13
    .vgpr_spill_count: 0
    .wavefront_size: 32
    .workgroup_processor_mode: 1
  - .args:
      - .offset:         0
        .size:           4
        .value_kind:     by_value
      - .offset:         8
        .size:           352
        .value_kind:     by_value
    .group_segment_fixed_size: 0
    .kernarg_segment_align: 8
    .kernarg_segment_size: 360
    .language:       OpenCL C
    .language_version:
      - 2
      - 0
    .max_flat_workgroup_size: 128
    .name:           _ZN2at6native32elementwise_kernel_manual_unrollILi128ELi4EZNS0_22gpu_kernel_impl_nocastIZZZNS0_21clamp_max_kernel_cudaERNS_18TensorIteratorBaseERKN3c106ScalarEENKUlvE_clEvENKUlvE5_clEvEUlfE_EEvS4_RKT_EUlibE_EEviT1_
    .private_segment_fixed_size: 0
    .sgpr_count:     62
    .sgpr_spill_count: 0
    .symbol:         _ZN2at6native32elementwise_kernel_manual_unrollILi128ELi4EZNS0_22gpu_kernel_impl_nocastIZZZNS0_21clamp_max_kernel_cudaERNS_18TensorIteratorBaseERKN3c106ScalarEENKUlvE_clEvENKUlvE5_clEvEUlfE_EEvS4_RKT_EUlibE_EEviT1_.kd
    .uniform_work_group_size: 1
    .uses_dynamic_stack: false
    .vgpr_count:     18
    .vgpr_spill_count: 0
    .wavefront_size: 32
    .workgroup_processor_mode: 1
  - .args:
      - .offset:         0
        .size:           4
        .value_kind:     by_value
      - .offset:         8
        .size:           32
        .value_kind:     by_value
    .group_segment_fixed_size: 0
    .kernarg_segment_align: 8
    .kernarg_segment_size: 40
    .language:       OpenCL C
    .language_version:
      - 2
      - 0
    .max_flat_workgroup_size: 128
    .name:           _ZN2at6native32elementwise_kernel_manual_unrollILi128ELi4EZNS0_15gpu_kernel_implIZZZNS0_21clamp_max_kernel_cudaERNS_18TensorIteratorBaseERKN3c106ScalarEENKUlvE_clEvENKUlvE5_clEvEUlfE_EEvS4_RKT_EUlibE_EEviT1_
    .private_segment_fixed_size: 0
    .sgpr_count:     28
    .sgpr_spill_count: 0
    .symbol:         _ZN2at6native32elementwise_kernel_manual_unrollILi128ELi4EZNS0_15gpu_kernel_implIZZZNS0_21clamp_max_kernel_cudaERNS_18TensorIteratorBaseERKN3c106ScalarEENKUlvE_clEvENKUlvE5_clEvEUlfE_EEvS4_RKT_EUlibE_EEviT1_.kd
    .uniform_work_group_size: 1
    .uses_dynamic_stack: false
    .vgpr_count:     14
    .vgpr_spill_count: 0
    .wavefront_size: 32
    .workgroup_processor_mode: 1
  - .args:
      - .offset:         0
        .size:           4
        .value_kind:     by_value
      - .offset:         8
        .size:           352
        .value_kind:     by_value
    .group_segment_fixed_size: 0
    .kernarg_segment_align: 8
    .kernarg_segment_size: 360
    .language:       OpenCL C
    .language_version:
      - 2
      - 0
    .max_flat_workgroup_size: 128
    .name:           _ZN2at6native32elementwise_kernel_manual_unrollILi128ELi4EZNS0_15gpu_kernel_implIZZZNS0_21clamp_max_kernel_cudaERNS_18TensorIteratorBaseERKN3c106ScalarEENKUlvE_clEvENKUlvE5_clEvEUlfE_EEvS4_RKT_EUlibE0_EEviT1_
    .private_segment_fixed_size: 0
    .sgpr_count:     70
    .sgpr_spill_count: 0
    .symbol:         _ZN2at6native32elementwise_kernel_manual_unrollILi128ELi4EZNS0_15gpu_kernel_implIZZZNS0_21clamp_max_kernel_cudaERNS_18TensorIteratorBaseERKN3c106ScalarEENKUlvE_clEvENKUlvE5_clEvEUlfE_EEvS4_RKT_EUlibE0_EEviT1_.kd
    .uniform_work_group_size: 1
    .uses_dynamic_stack: false
    .vgpr_count:     18
    .vgpr_spill_count: 0
    .wavefront_size: 32
    .workgroup_processor_mode: 1
  - .args:
      - .offset:         0
        .size:           4
        .value_kind:     by_value
      - .offset:         4
        .size:           2
        .value_kind:     by_value
      - .offset:         8
        .size:           16
        .value_kind:     by_value
    .group_segment_fixed_size: 0
    .kernarg_segment_align: 8
    .kernarg_segment_size: 24
    .language:       OpenCL C
    .language_version:
      - 2
      - 0
    .max_flat_workgroup_size: 256
    .name:           _ZN2at6native29vectorized_elementwise_kernelILi16EZZZNS0_21clamp_max_kernel_cudaERNS_18TensorIteratorBaseERKN3c106ScalarEENKUlvE_clEvENKUlvE6_clEvEUlNS4_4HalfEE_St5arrayIPcLm2EEEEviT0_T1_
    .private_segment_fixed_size: 0
    .sgpr_count:     22
    .sgpr_spill_count: 0
    .symbol:         _ZN2at6native29vectorized_elementwise_kernelILi16EZZZNS0_21clamp_max_kernel_cudaERNS_18TensorIteratorBaseERKN3c106ScalarEENKUlvE_clEvENKUlvE6_clEvEUlNS4_4HalfEE_St5arrayIPcLm2EEEEviT0_T1_.kd
    .uniform_work_group_size: 1
    .uses_dynamic_stack: false
    .vgpr_count:     14
    .vgpr_spill_count: 0
    .wavefront_size: 32
    .workgroup_processor_mode: 1
  - .args:
      - .offset:         0
        .size:           4
        .value_kind:     by_value
      - .offset:         4
        .size:           2
        .value_kind:     by_value
      - .offset:         8
        .size:           16
        .value_kind:     by_value
    .group_segment_fixed_size: 0
    .kernarg_segment_align: 8
    .kernarg_segment_size: 24
    .language:       OpenCL C
    .language_version:
      - 2
      - 0
    .max_flat_workgroup_size: 256
    .name:           _ZN2at6native29vectorized_elementwise_kernelILi8EZZZNS0_21clamp_max_kernel_cudaERNS_18TensorIteratorBaseERKN3c106ScalarEENKUlvE_clEvENKUlvE6_clEvEUlNS4_4HalfEE_St5arrayIPcLm2EEEEviT0_T1_
    .private_segment_fixed_size: 0
    .sgpr_count:     22
    .sgpr_spill_count: 0
    .symbol:         _ZN2at6native29vectorized_elementwise_kernelILi8EZZZNS0_21clamp_max_kernel_cudaERNS_18TensorIteratorBaseERKN3c106ScalarEENKUlvE_clEvENKUlvE6_clEvEUlNS4_4HalfEE_St5arrayIPcLm2EEEEviT0_T1_.kd
    .uniform_work_group_size: 1
    .uses_dynamic_stack: false
    .vgpr_count:     14
    .vgpr_spill_count: 0
    .wavefront_size: 32
    .workgroup_processor_mode: 1
  - .args:
      - .offset:         0
        .size:           4
        .value_kind:     by_value
      - .offset:         4
        .size:           2
        .value_kind:     by_value
      - .offset:         8
        .size:           16
        .value_kind:     by_value
    .group_segment_fixed_size: 0
    .kernarg_segment_align: 8
    .kernarg_segment_size: 24
    .language:       OpenCL C
    .language_version:
      - 2
      - 0
    .max_flat_workgroup_size: 256
    .name:           _ZN2at6native29vectorized_elementwise_kernelILi4EZZZNS0_21clamp_max_kernel_cudaERNS_18TensorIteratorBaseERKN3c106ScalarEENKUlvE_clEvENKUlvE6_clEvEUlNS4_4HalfEE_St5arrayIPcLm2EEEEviT0_T1_
    .private_segment_fixed_size: 0
    .sgpr_count:     20
    .sgpr_spill_count: 0
    .symbol:         _ZN2at6native29vectorized_elementwise_kernelILi4EZZZNS0_21clamp_max_kernel_cudaERNS_18TensorIteratorBaseERKN3c106ScalarEENKUlvE_clEvENKUlvE6_clEvEUlNS4_4HalfEE_St5arrayIPcLm2EEEEviT0_T1_.kd
    .uniform_work_group_size: 1
    .uses_dynamic_stack: false
    .vgpr_count:     14
    .vgpr_spill_count: 0
    .wavefront_size: 32
    .workgroup_processor_mode: 1
  - .args:
      - .offset:         0
        .size:           4
        .value_kind:     by_value
      - .offset:         4
        .size:           2
        .value_kind:     by_value
      - .offset:         8
        .size:           16
        .value_kind:     by_value
    .group_segment_fixed_size: 0
    .kernarg_segment_align: 8
    .kernarg_segment_size: 24
    .language:       OpenCL C
    .language_version:
      - 2
      - 0
    .max_flat_workgroup_size: 256
    .name:           _ZN2at6native29vectorized_elementwise_kernelILi2EZZZNS0_21clamp_max_kernel_cudaERNS_18TensorIteratorBaseERKN3c106ScalarEENKUlvE_clEvENKUlvE6_clEvEUlNS4_4HalfEE_St5arrayIPcLm2EEEEviT0_T1_
    .private_segment_fixed_size: 0
    .sgpr_count:     20
    .sgpr_spill_count: 0
    .symbol:         _ZN2at6native29vectorized_elementwise_kernelILi2EZZZNS0_21clamp_max_kernel_cudaERNS_18TensorIteratorBaseERKN3c106ScalarEENKUlvE_clEvENKUlvE6_clEvEUlNS4_4HalfEE_St5arrayIPcLm2EEEEviT0_T1_.kd
    .uniform_work_group_size: 1
    .uses_dynamic_stack: false
    .vgpr_count:     14
    .vgpr_spill_count: 0
    .wavefront_size: 32
    .workgroup_processor_mode: 1
  - .args:
      - .offset:         0
        .size:           4
        .value_kind:     by_value
      - .offset:         4
        .size:           2
        .value_kind:     by_value
      - .offset:         8
        .size:           16
        .value_kind:     by_value
      - .offset:         24
        .size:           1
        .value_kind:     by_value
      - .offset:         25
        .size:           1
        .value_kind:     by_value
      - .offset:         26
        .size:           1
        .value_kind:     by_value
      - .offset:         27
        .size:           1
        .value_kind:     by_value
    .group_segment_fixed_size: 0
    .kernarg_segment_align: 8
    .kernarg_segment_size: 28
    .language:       OpenCL C
    .language_version:
      - 2
      - 0
    .max_flat_workgroup_size: 256
    .name:           _ZN2at6native27unrolled_elementwise_kernelIZZZNS0_21clamp_max_kernel_cudaERNS_18TensorIteratorBaseERKN3c106ScalarEENKUlvE_clEvENKUlvE6_clEvEUlNS4_4HalfEE_St5arrayIPcLm2EELi4E23TrivialOffsetCalculatorILi1EjESG_NS0_6memory15LoadWithoutCastENSH_16StoreWithoutCastEEEviT_T0_T2_T3_T4_T5_
    .private_segment_fixed_size: 0
    .sgpr_count:     18
    .sgpr_spill_count: 0
    .symbol:         _ZN2at6native27unrolled_elementwise_kernelIZZZNS0_21clamp_max_kernel_cudaERNS_18TensorIteratorBaseERKN3c106ScalarEENKUlvE_clEvENKUlvE6_clEvEUlNS4_4HalfEE_St5arrayIPcLm2EELi4E23TrivialOffsetCalculatorILi1EjESG_NS0_6memory15LoadWithoutCastENSH_16StoreWithoutCastEEEviT_T0_T2_T3_T4_T5_.kd
    .uniform_work_group_size: 1
    .uses_dynamic_stack: false
    .vgpr_count:     10
    .vgpr_spill_count: 0
    .wavefront_size: 32
    .workgroup_processor_mode: 1
  - .args:
      - .offset:         0
        .size:           4
        .value_kind:     by_value
      - .offset:         8
        .size:           352
        .value_kind:     by_value
    .group_segment_fixed_size: 0
    .kernarg_segment_align: 8
    .kernarg_segment_size: 360
    .language:       OpenCL C
    .language_version:
      - 2
      - 0
    .max_flat_workgroup_size: 128
    .name:           _ZN2at6native32elementwise_kernel_manual_unrollILi128ELi8EZNS0_22gpu_kernel_impl_nocastIZZZNS0_21clamp_max_kernel_cudaERNS_18TensorIteratorBaseERKN3c106ScalarEENKUlvE_clEvENKUlvE6_clEvEUlNS5_4HalfEE_EEvS4_RKT_EUlibE_EEviT1_
    .private_segment_fixed_size: 0
    .sgpr_count:     62
    .sgpr_spill_count: 0
    .symbol:         _ZN2at6native32elementwise_kernel_manual_unrollILi128ELi8EZNS0_22gpu_kernel_impl_nocastIZZZNS0_21clamp_max_kernel_cudaERNS_18TensorIteratorBaseERKN3c106ScalarEENKUlvE_clEvENKUlvE6_clEvEUlNS5_4HalfEE_EEvS4_RKT_EUlibE_EEviT1_.kd
    .uniform_work_group_size: 1
    .uses_dynamic_stack: false
    .vgpr_count:     26
    .vgpr_spill_count: 0
    .wavefront_size: 32
    .workgroup_processor_mode: 1
  - .args:
      - .offset:         0
        .size:           4
        .value_kind:     by_value
      - .offset:         8
        .size:           32
        .value_kind:     by_value
    .group_segment_fixed_size: 0
    .kernarg_segment_align: 8
    .kernarg_segment_size: 40
    .language:       OpenCL C
    .language_version:
      - 2
      - 0
    .max_flat_workgroup_size: 128
    .name:           _ZN2at6native32elementwise_kernel_manual_unrollILi128ELi4EZNS0_15gpu_kernel_implIZZZNS0_21clamp_max_kernel_cudaERNS_18TensorIteratorBaseERKN3c106ScalarEENKUlvE_clEvENKUlvE6_clEvEUlNS5_4HalfEE_EEvS4_RKT_EUlibE_EEviT1_
    .private_segment_fixed_size: 0
    .sgpr_count:     29
    .sgpr_spill_count: 0
    .symbol:         _ZN2at6native32elementwise_kernel_manual_unrollILi128ELi4EZNS0_15gpu_kernel_implIZZZNS0_21clamp_max_kernel_cudaERNS_18TensorIteratorBaseERKN3c106ScalarEENKUlvE_clEvENKUlvE6_clEvEUlNS5_4HalfEE_EEvS4_RKT_EUlibE_EEviT1_.kd
    .uniform_work_group_size: 1
    .uses_dynamic_stack: false
    .vgpr_count:     12
    .vgpr_spill_count: 0
    .wavefront_size: 32
    .workgroup_processor_mode: 1
  - .args:
      - .offset:         0
        .size:           4
        .value_kind:     by_value
      - .offset:         8
        .size:           352
        .value_kind:     by_value
    .group_segment_fixed_size: 0
    .kernarg_segment_align: 8
    .kernarg_segment_size: 360
    .language:       OpenCL C
    .language_version:
      - 2
      - 0
    .max_flat_workgroup_size: 128
    .name:           _ZN2at6native32elementwise_kernel_manual_unrollILi128ELi4EZNS0_15gpu_kernel_implIZZZNS0_21clamp_max_kernel_cudaERNS_18TensorIteratorBaseERKN3c106ScalarEENKUlvE_clEvENKUlvE6_clEvEUlNS5_4HalfEE_EEvS4_RKT_EUlibE0_EEviT1_
    .private_segment_fixed_size: 0
    .sgpr_count:     70
    .sgpr_spill_count: 0
    .symbol:         _ZN2at6native32elementwise_kernel_manual_unrollILi128ELi4EZNS0_15gpu_kernel_implIZZZNS0_21clamp_max_kernel_cudaERNS_18TensorIteratorBaseERKN3c106ScalarEENKUlvE_clEvENKUlvE6_clEvEUlNS5_4HalfEE_EEvS4_RKT_EUlibE0_EEviT1_.kd
    .uniform_work_group_size: 1
    .uses_dynamic_stack: false
    .vgpr_count:     18
    .vgpr_spill_count: 0
    .wavefront_size: 32
    .workgroup_processor_mode: 1
  - .args:
      - .offset:         0
        .size:           4
        .value_kind:     by_value
      - .offset:         4
        .size:           2
        .value_kind:     by_value
      - .offset:         8
        .size:           16
        .value_kind:     by_value
    .group_segment_fixed_size: 0
    .kernarg_segment_align: 8
    .kernarg_segment_size: 24
    .language:       OpenCL C
    .language_version:
      - 2
      - 0
    .max_flat_workgroup_size: 256
    .name:           _ZN2at6native29vectorized_elementwise_kernelILi16EZZZNS0_21clamp_max_kernel_cudaERNS_18TensorIteratorBaseERKN3c106ScalarEENKUlvE_clEvENKUlvE7_clEvEUlNS4_8BFloat16EE_St5arrayIPcLm2EEEEviT0_T1_
    .private_segment_fixed_size: 0
    .sgpr_count:     28
    .sgpr_spill_count: 0
    .symbol:         _ZN2at6native29vectorized_elementwise_kernelILi16EZZZNS0_21clamp_max_kernel_cudaERNS_18TensorIteratorBaseERKN3c106ScalarEENKUlvE_clEvENKUlvE7_clEvEUlNS4_8BFloat16EE_St5arrayIPcLm2EEEEviT0_T1_.kd
    .uniform_work_group_size: 1
    .uses_dynamic_stack: false
    .vgpr_count:     18
    .vgpr_spill_count: 0
    .wavefront_size: 32
    .workgroup_processor_mode: 1
  - .args:
      - .offset:         0
        .size:           4
        .value_kind:     by_value
      - .offset:         4
        .size:           2
        .value_kind:     by_value
      - .offset:         8
        .size:           16
        .value_kind:     by_value
    .group_segment_fixed_size: 0
    .kernarg_segment_align: 8
    .kernarg_segment_size: 24
    .language:       OpenCL C
    .language_version:
      - 2
      - 0
    .max_flat_workgroup_size: 256
    .name:           _ZN2at6native29vectorized_elementwise_kernelILi8EZZZNS0_21clamp_max_kernel_cudaERNS_18TensorIteratorBaseERKN3c106ScalarEENKUlvE_clEvENKUlvE7_clEvEUlNS4_8BFloat16EE_St5arrayIPcLm2EEEEviT0_T1_
    .private_segment_fixed_size: 0
    .sgpr_count:     28
    .sgpr_spill_count: 0
    .symbol:         _ZN2at6native29vectorized_elementwise_kernelILi8EZZZNS0_21clamp_max_kernel_cudaERNS_18TensorIteratorBaseERKN3c106ScalarEENKUlvE_clEvENKUlvE7_clEvEUlNS4_8BFloat16EE_St5arrayIPcLm2EEEEviT0_T1_.kd
    .uniform_work_group_size: 1
    .uses_dynamic_stack: false
    .vgpr_count:     18
    .vgpr_spill_count: 0
    .wavefront_size: 32
    .workgroup_processor_mode: 1
  - .args:
      - .offset:         0
        .size:           4
        .value_kind:     by_value
      - .offset:         4
        .size:           2
        .value_kind:     by_value
      - .offset:         8
        .size:           16
        .value_kind:     by_value
    .group_segment_fixed_size: 0
    .kernarg_segment_align: 8
    .kernarg_segment_size: 24
    .language:       OpenCL C
    .language_version:
      - 2
      - 0
    .max_flat_workgroup_size: 256
    .name:           _ZN2at6native29vectorized_elementwise_kernelILi4EZZZNS0_21clamp_max_kernel_cudaERNS_18TensorIteratorBaseERKN3c106ScalarEENKUlvE_clEvENKUlvE7_clEvEUlNS4_8BFloat16EE_St5arrayIPcLm2EEEEviT0_T1_
    .private_segment_fixed_size: 0
    .sgpr_count:     28
    .sgpr_spill_count: 0
    .symbol:         _ZN2at6native29vectorized_elementwise_kernelILi4EZZZNS0_21clamp_max_kernel_cudaERNS_18TensorIteratorBaseERKN3c106ScalarEENKUlvE_clEvENKUlvE7_clEvEUlNS4_8BFloat16EE_St5arrayIPcLm2EEEEviT0_T1_.kd
    .uniform_work_group_size: 1
    .uses_dynamic_stack: false
    .vgpr_count:     18
    .vgpr_spill_count: 0
    .wavefront_size: 32
    .workgroup_processor_mode: 1
  - .args:
      - .offset:         0
        .size:           4
        .value_kind:     by_value
      - .offset:         4
        .size:           2
        .value_kind:     by_value
      - .offset:         8
        .size:           16
        .value_kind:     by_value
    .group_segment_fixed_size: 0
    .kernarg_segment_align: 8
    .kernarg_segment_size: 24
    .language:       OpenCL C
    .language_version:
      - 2
      - 0
    .max_flat_workgroup_size: 256
    .name:           _ZN2at6native29vectorized_elementwise_kernelILi2EZZZNS0_21clamp_max_kernel_cudaERNS_18TensorIteratorBaseERKN3c106ScalarEENKUlvE_clEvENKUlvE7_clEvEUlNS4_8BFloat16EE_St5arrayIPcLm2EEEEviT0_T1_
    .private_segment_fixed_size: 0
    .sgpr_count:     28
    .sgpr_spill_count: 0
    .symbol:         _ZN2at6native29vectorized_elementwise_kernelILi2EZZZNS0_21clamp_max_kernel_cudaERNS_18TensorIteratorBaseERKN3c106ScalarEENKUlvE_clEvENKUlvE7_clEvEUlNS4_8BFloat16EE_St5arrayIPcLm2EEEEviT0_T1_.kd
    .uniform_work_group_size: 1
    .uses_dynamic_stack: false
    .vgpr_count:     18
    .vgpr_spill_count: 0
    .wavefront_size: 32
    .workgroup_processor_mode: 1
  - .args:
      - .offset:         0
        .size:           4
        .value_kind:     by_value
      - .offset:         4
        .size:           2
        .value_kind:     by_value
      - .offset:         8
        .size:           16
        .value_kind:     by_value
      - .offset:         24
        .size:           1
        .value_kind:     by_value
      - .offset:         25
        .size:           1
        .value_kind:     by_value
      - .offset:         26
        .size:           1
        .value_kind:     by_value
      - .offset:         27
        .size:           1
        .value_kind:     by_value
    .group_segment_fixed_size: 0
    .kernarg_segment_align: 8
    .kernarg_segment_size: 28
    .language:       OpenCL C
    .language_version:
      - 2
      - 0
    .max_flat_workgroup_size: 256
    .name:           _ZN2at6native27unrolled_elementwise_kernelIZZZNS0_21clamp_max_kernel_cudaERNS_18TensorIteratorBaseERKN3c106ScalarEENKUlvE_clEvENKUlvE7_clEvEUlNS4_8BFloat16EE_St5arrayIPcLm2EELi4E23TrivialOffsetCalculatorILi1EjESG_NS0_6memory15LoadWithoutCastENSH_16StoreWithoutCastEEEviT_T0_T2_T3_T4_T5_
    .private_segment_fixed_size: 0
    .sgpr_count:     18
    .sgpr_spill_count: 0
    .symbol:         _ZN2at6native27unrolled_elementwise_kernelIZZZNS0_21clamp_max_kernel_cudaERNS_18TensorIteratorBaseERKN3c106ScalarEENKUlvE_clEvENKUlvE7_clEvEUlNS4_8BFloat16EE_St5arrayIPcLm2EELi4E23TrivialOffsetCalculatorILi1EjESG_NS0_6memory15LoadWithoutCastENSH_16StoreWithoutCastEEEviT_T0_T2_T3_T4_T5_.kd
    .uniform_work_group_size: 1
    .uses_dynamic_stack: false
    .vgpr_count:     11
    .vgpr_spill_count: 0
    .wavefront_size: 32
    .workgroup_processor_mode: 1
  - .args:
      - .offset:         0
        .size:           4
        .value_kind:     by_value
      - .offset:         8
        .size:           352
        .value_kind:     by_value
    .group_segment_fixed_size: 0
    .kernarg_segment_align: 8
    .kernarg_segment_size: 360
    .language:       OpenCL C
    .language_version:
      - 2
      - 0
    .max_flat_workgroup_size: 128
    .name:           _ZN2at6native32elementwise_kernel_manual_unrollILi128ELi8EZNS0_22gpu_kernel_impl_nocastIZZZNS0_21clamp_max_kernel_cudaERNS_18TensorIteratorBaseERKN3c106ScalarEENKUlvE_clEvENKUlvE7_clEvEUlNS5_8BFloat16EE_EEvS4_RKT_EUlibE_EEviT1_
    .private_segment_fixed_size: 0
    .sgpr_count:     62
    .sgpr_spill_count: 0
    .symbol:         _ZN2at6native32elementwise_kernel_manual_unrollILi128ELi8EZNS0_22gpu_kernel_impl_nocastIZZZNS0_21clamp_max_kernel_cudaERNS_18TensorIteratorBaseERKN3c106ScalarEENKUlvE_clEvENKUlvE7_clEvEUlNS5_8BFloat16EE_EEvS4_RKT_EUlibE_EEviT1_.kd
    .uniform_work_group_size: 1
    .uses_dynamic_stack: false
    .vgpr_count:     26
    .vgpr_spill_count: 0
    .wavefront_size: 32
    .workgroup_processor_mode: 1
  - .args:
      - .offset:         0
        .size:           4
        .value_kind:     by_value
      - .offset:         8
        .size:           32
        .value_kind:     by_value
    .group_segment_fixed_size: 0
    .kernarg_segment_align: 8
    .kernarg_segment_size: 40
    .language:       OpenCL C
    .language_version:
      - 2
      - 0
    .max_flat_workgroup_size: 128
    .name:           _ZN2at6native32elementwise_kernel_manual_unrollILi128ELi4EZNS0_15gpu_kernel_implIZZZNS0_21clamp_max_kernel_cudaERNS_18TensorIteratorBaseERKN3c106ScalarEENKUlvE_clEvENKUlvE7_clEvEUlNS5_8BFloat16EE_EEvS4_RKT_EUlibE_EEviT1_
    .private_segment_fixed_size: 0
    .sgpr_count:     30
    .sgpr_spill_count: 0
    .symbol:         _ZN2at6native32elementwise_kernel_manual_unrollILi128ELi4EZNS0_15gpu_kernel_implIZZZNS0_21clamp_max_kernel_cudaERNS_18TensorIteratorBaseERKN3c106ScalarEENKUlvE_clEvENKUlvE7_clEvEUlNS5_8BFloat16EE_EEvS4_RKT_EUlibE_EEviT1_.kd
    .uniform_work_group_size: 1
    .uses_dynamic_stack: false
    .vgpr_count:     12
    .vgpr_spill_count: 0
    .wavefront_size: 32
    .workgroup_processor_mode: 1
  - .args:
      - .offset:         0
        .size:           4
        .value_kind:     by_value
      - .offset:         8
        .size:           352
        .value_kind:     by_value
    .group_segment_fixed_size: 0
    .kernarg_segment_align: 8
    .kernarg_segment_size: 360
    .language:       OpenCL C
    .language_version:
      - 2
      - 0
    .max_flat_workgroup_size: 128
    .name:           _ZN2at6native32elementwise_kernel_manual_unrollILi128ELi4EZNS0_15gpu_kernel_implIZZZNS0_21clamp_max_kernel_cudaERNS_18TensorIteratorBaseERKN3c106ScalarEENKUlvE_clEvENKUlvE7_clEvEUlNS5_8BFloat16EE_EEvS4_RKT_EUlibE0_EEviT1_
    .private_segment_fixed_size: 0
    .sgpr_count:     74
    .sgpr_spill_count: 0
    .symbol:         _ZN2at6native32elementwise_kernel_manual_unrollILi128ELi4EZNS0_15gpu_kernel_implIZZZNS0_21clamp_max_kernel_cudaERNS_18TensorIteratorBaseERKN3c106ScalarEENKUlvE_clEvENKUlvE7_clEvEUlNS5_8BFloat16EE_EEvS4_RKT_EUlibE0_EEviT1_.kd
    .uniform_work_group_size: 1
    .uses_dynamic_stack: false
    .vgpr_count:     18
    .vgpr_spill_count: 0
    .wavefront_size: 32
    .workgroup_processor_mode: 1
  - .args:
      - .offset:         0
        .size:           4
        .value_kind:     by_value
      - .offset:         8
        .size:           24
        .value_kind:     by_value
      - .offset:         32
        .size:           16
        .value_kind:     by_value
    .group_segment_fixed_size: 0
    .kernarg_segment_align: 8
    .kernarg_segment_size: 48
    .language:       OpenCL C
    .language_version:
      - 2
      - 0
    .max_flat_workgroup_size: 256
    .name:           _ZN2at6native29vectorized_elementwise_kernelILi16EZZZNS0_22nan_to_num_kernel_cudaERNS_18TensorIteratorBaseESt8optionalIdES5_S5_ENKUlvE_clEvENKUlvE_clEvEUlN3c107complexIdEEE_St5arrayIPcLm2EEEEviT0_T1_
    .private_segment_fixed_size: 0
    .sgpr_count:     20
    .sgpr_spill_count: 0
    .symbol:         _ZN2at6native29vectorized_elementwise_kernelILi16EZZZNS0_22nan_to_num_kernel_cudaERNS_18TensorIteratorBaseESt8optionalIdES5_S5_ENKUlvE_clEvENKUlvE_clEvEUlN3c107complexIdEEE_St5arrayIPcLm2EEEEviT0_T1_.kd
    .uniform_work_group_size: 1
    .uses_dynamic_stack: false
    .vgpr_count:     24
    .vgpr_spill_count: 0
    .wavefront_size: 32
    .workgroup_processor_mode: 1
  - .args:
      - .offset:         0
        .size:           4
        .value_kind:     by_value
      - .offset:         8
        .size:           24
        .value_kind:     by_value
      - .offset:         32
        .size:           16
        .value_kind:     by_value
    .group_segment_fixed_size: 0
    .kernarg_segment_align: 8
    .kernarg_segment_size: 48
    .language:       OpenCL C
    .language_version:
      - 2
      - 0
    .max_flat_workgroup_size: 256
    .name:           _ZN2at6native29vectorized_elementwise_kernelILi8EZZZNS0_22nan_to_num_kernel_cudaERNS_18TensorIteratorBaseESt8optionalIdES5_S5_ENKUlvE_clEvENKUlvE_clEvEUlN3c107complexIdEEE_St5arrayIPcLm2EEEEviT0_T1_
    .private_segment_fixed_size: 0
    .sgpr_count:     20
    .sgpr_spill_count: 0
    .symbol:         _ZN2at6native29vectorized_elementwise_kernelILi8EZZZNS0_22nan_to_num_kernel_cudaERNS_18TensorIteratorBaseESt8optionalIdES5_S5_ENKUlvE_clEvENKUlvE_clEvEUlN3c107complexIdEEE_St5arrayIPcLm2EEEEviT0_T1_.kd
    .uniform_work_group_size: 1
    .uses_dynamic_stack: false
    .vgpr_count:     24
    .vgpr_spill_count: 0
    .wavefront_size: 32
    .workgroup_processor_mode: 1
  - .args:
      - .offset:         0
        .size:           4
        .value_kind:     by_value
      - .offset:         8
        .size:           24
        .value_kind:     by_value
      - .offset:         32
        .size:           16
        .value_kind:     by_value
    .group_segment_fixed_size: 0
    .kernarg_segment_align: 8
    .kernarg_segment_size: 48
    .language:       OpenCL C
    .language_version:
      - 2
      - 0
    .max_flat_workgroup_size: 256
    .name:           _ZN2at6native29vectorized_elementwise_kernelILi4EZZZNS0_22nan_to_num_kernel_cudaERNS_18TensorIteratorBaseESt8optionalIdES5_S5_ENKUlvE_clEvENKUlvE_clEvEUlN3c107complexIdEEE_St5arrayIPcLm2EEEEviT0_T1_
    .private_segment_fixed_size: 0
    .sgpr_count:     20
    .sgpr_spill_count: 0
    .symbol:         _ZN2at6native29vectorized_elementwise_kernelILi4EZZZNS0_22nan_to_num_kernel_cudaERNS_18TensorIteratorBaseESt8optionalIdES5_S5_ENKUlvE_clEvENKUlvE_clEvEUlN3c107complexIdEEE_St5arrayIPcLm2EEEEviT0_T1_.kd
    .uniform_work_group_size: 1
    .uses_dynamic_stack: false
    .vgpr_count:     24
    .vgpr_spill_count: 0
    .wavefront_size: 32
    .workgroup_processor_mode: 1
  - .args:
      - .offset:         0
        .size:           4
        .value_kind:     by_value
      - .offset:         8
        .size:           24
        .value_kind:     by_value
      - .offset:         32
        .size:           16
        .value_kind:     by_value
    .group_segment_fixed_size: 0
    .kernarg_segment_align: 8
    .kernarg_segment_size: 48
    .language:       OpenCL C
    .language_version:
      - 2
      - 0
    .max_flat_workgroup_size: 256
    .name:           _ZN2at6native29vectorized_elementwise_kernelILi2EZZZNS0_22nan_to_num_kernel_cudaERNS_18TensorIteratorBaseESt8optionalIdES5_S5_ENKUlvE_clEvENKUlvE_clEvEUlN3c107complexIdEEE_St5arrayIPcLm2EEEEviT0_T1_
    .private_segment_fixed_size: 0
    .sgpr_count:     20
    .sgpr_spill_count: 0
    .symbol:         _ZN2at6native29vectorized_elementwise_kernelILi2EZZZNS0_22nan_to_num_kernel_cudaERNS_18TensorIteratorBaseESt8optionalIdES5_S5_ENKUlvE_clEvENKUlvE_clEvEUlN3c107complexIdEEE_St5arrayIPcLm2EEEEviT0_T1_.kd
    .uniform_work_group_size: 1
    .uses_dynamic_stack: false
    .vgpr_count:     24
    .vgpr_spill_count: 0
    .wavefront_size: 32
    .workgroup_processor_mode: 1
  - .args:
      - .offset:         0
        .size:           4
        .value_kind:     by_value
      - .offset:         8
        .size:           24
        .value_kind:     by_value
      - .offset:         32
        .size:           16
        .value_kind:     by_value
      - .offset:         48
        .size:           1
        .value_kind:     by_value
      - .offset:         49
        .size:           1
        .value_kind:     by_value
      - .offset:         50
        .size:           1
        .value_kind:     by_value
      - .offset:         51
        .size:           1
        .value_kind:     by_value
    .group_segment_fixed_size: 0
    .kernarg_segment_align: 8
    .kernarg_segment_size: 52
    .language:       OpenCL C
    .language_version:
      - 2
      - 0
    .max_flat_workgroup_size: 256
    .name:           _ZN2at6native27unrolled_elementwise_kernelIZZZNS0_22nan_to_num_kernel_cudaERNS_18TensorIteratorBaseESt8optionalIdES5_S5_ENKUlvE_clEvENKUlvE_clEvEUlN3c107complexIdEEE_St5arrayIPcLm2EELi4E23TrivialOffsetCalculatorILi1EjESG_NS0_6memory15LoadWithoutCastENSH_16StoreWithoutCastEEEviT_T0_T2_T3_T4_T5_
    .private_segment_fixed_size: 0
    .sgpr_count:     18
    .sgpr_spill_count: 0
    .symbol:         _ZN2at6native27unrolled_elementwise_kernelIZZZNS0_22nan_to_num_kernel_cudaERNS_18TensorIteratorBaseESt8optionalIdES5_S5_ENKUlvE_clEvENKUlvE_clEvEUlN3c107complexIdEEE_St5arrayIPcLm2EELi4E23TrivialOffsetCalculatorILi1EjESG_NS0_6memory15LoadWithoutCastENSH_16StoreWithoutCastEEEviT_T0_T2_T3_T4_T5_.kd
    .uniform_work_group_size: 1
    .uses_dynamic_stack: false
    .vgpr_count:     24
    .vgpr_spill_count: 0
    .wavefront_size: 32
    .workgroup_processor_mode: 1
  - .args:
      - .offset:         0
        .size:           4
        .value_kind:     by_value
      - .offset:         8
        .size:           368
        .value_kind:     by_value
    .group_segment_fixed_size: 0
    .kernarg_segment_align: 8
    .kernarg_segment_size: 376
    .language:       OpenCL C
    .language_version:
      - 2
      - 0
    .max_flat_workgroup_size: 128
    .name:           _ZN2at6native32elementwise_kernel_manual_unrollILi128ELi4EZNS0_22gpu_kernel_impl_nocastIZZZNS0_22nan_to_num_kernel_cudaERNS_18TensorIteratorBaseESt8optionalIdES6_S6_ENKUlvE_clEvENKUlvE_clEvEUlN3c107complexIdEEE_EEvS4_RKT_EUlibE_EEviT1_
    .private_segment_fixed_size: 0
    .sgpr_count:     66
    .sgpr_spill_count: 0
    .symbol:         _ZN2at6native32elementwise_kernel_manual_unrollILi128ELi4EZNS0_22gpu_kernel_impl_nocastIZZZNS0_22nan_to_num_kernel_cudaERNS_18TensorIteratorBaseESt8optionalIdES6_S6_ENKUlvE_clEvENKUlvE_clEvEUlN3c107complexIdEEE_EEvS4_RKT_EUlibE_EEviT1_.kd
    .uniform_work_group_size: 1
    .uses_dynamic_stack: false
    .vgpr_count:     22
    .vgpr_spill_count: 0
    .wavefront_size: 32
    .workgroup_processor_mode: 1
  - .args:
      - .offset:         0
        .size:           4
        .value_kind:     by_value
      - .offset:         8
        .size:           56
        .value_kind:     by_value
    .group_segment_fixed_size: 0
    .kernarg_segment_align: 8
    .kernarg_segment_size: 64
    .language:       OpenCL C
    .language_version:
      - 2
      - 0
    .max_flat_workgroup_size: 128
    .name:           _ZN2at6native32elementwise_kernel_manual_unrollILi128ELi4EZNS0_15gpu_kernel_implIZZZNS0_22nan_to_num_kernel_cudaERNS_18TensorIteratorBaseESt8optionalIdES6_S6_ENKUlvE_clEvENKUlvE_clEvEUlN3c107complexIdEEE_EEvS4_RKT_EUlibE_EEviT1_
    .private_segment_fixed_size: 0
    .sgpr_count:     37
    .sgpr_spill_count: 0
    .symbol:         _ZN2at6native32elementwise_kernel_manual_unrollILi128ELi4EZNS0_15gpu_kernel_implIZZZNS0_22nan_to_num_kernel_cudaERNS_18TensorIteratorBaseESt8optionalIdES6_S6_ENKUlvE_clEvENKUlvE_clEvEUlN3c107complexIdEEE_EEvS4_RKT_EUlibE_EEviT1_.kd
    .uniform_work_group_size: 1
    .uses_dynamic_stack: false
    .vgpr_count:     25
    .vgpr_spill_count: 0
    .wavefront_size: 32
    .workgroup_processor_mode: 1
  - .args:
      - .offset:         0
        .size:           4
        .value_kind:     by_value
      - .offset:         8
        .size:           376
        .value_kind:     by_value
    .group_segment_fixed_size: 0
    .kernarg_segment_align: 8
    .kernarg_segment_size: 384
    .language:       OpenCL C
    .language_version:
      - 2
      - 0
    .max_flat_workgroup_size: 128
    .name:           _ZN2at6native32elementwise_kernel_manual_unrollILi128ELi4EZNS0_15gpu_kernel_implIZZZNS0_22nan_to_num_kernel_cudaERNS_18TensorIteratorBaseESt8optionalIdES6_S6_ENKUlvE_clEvENKUlvE_clEvEUlN3c107complexIdEEE_EEvS4_RKT_EUlibE0_EEviT1_
    .private_segment_fixed_size: 0
    .sgpr_count:     74
    .sgpr_spill_count: 0
    .symbol:         _ZN2at6native32elementwise_kernel_manual_unrollILi128ELi4EZNS0_15gpu_kernel_implIZZZNS0_22nan_to_num_kernel_cudaERNS_18TensorIteratorBaseESt8optionalIdES6_S6_ENKUlvE_clEvENKUlvE_clEvEUlN3c107complexIdEEE_EEvS4_RKT_EUlibE0_EEviT1_.kd
    .uniform_work_group_size: 1
    .uses_dynamic_stack: false
    .vgpr_count:     25
    .vgpr_spill_count: 0
    .wavefront_size: 32
    .workgroup_processor_mode: 1
  - .args:
      - .offset:         0
        .size:           4
        .value_kind:     by_value
      - .offset:         4
        .size:           12
        .value_kind:     by_value
      - .offset:         16
        .size:           16
        .value_kind:     by_value
    .group_segment_fixed_size: 0
    .kernarg_segment_align: 8
    .kernarg_segment_size: 32
    .language:       OpenCL C
    .language_version:
      - 2
      - 0
    .max_flat_workgroup_size: 256
    .name:           _ZN2at6native29vectorized_elementwise_kernelILi16EZZZNS0_22nan_to_num_kernel_cudaERNS_18TensorIteratorBaseESt8optionalIdES5_S5_ENKUlvE_clEvENKUlvE0_clEvEUlN3c107complexIfEEE_St5arrayIPcLm2EEEEviT0_T1_
    .private_segment_fixed_size: 0
    .sgpr_count:     18
    .sgpr_spill_count: 0
    .symbol:         _ZN2at6native29vectorized_elementwise_kernelILi16EZZZNS0_22nan_to_num_kernel_cudaERNS_18TensorIteratorBaseESt8optionalIdES5_S5_ENKUlvE_clEvENKUlvE0_clEvEUlN3c107complexIfEEE_St5arrayIPcLm2EEEEviT0_T1_.kd
    .uniform_work_group_size: 1
    .uses_dynamic_stack: false
    .vgpr_count:     14
    .vgpr_spill_count: 0
    .wavefront_size: 32
    .workgroup_processor_mode: 1
  - .args:
      - .offset:         0
        .size:           4
        .value_kind:     by_value
      - .offset:         4
        .size:           12
        .value_kind:     by_value
      - .offset:         16
        .size:           16
        .value_kind:     by_value
    .group_segment_fixed_size: 0
    .kernarg_segment_align: 8
    .kernarg_segment_size: 32
    .language:       OpenCL C
    .language_version:
      - 2
      - 0
    .max_flat_workgroup_size: 256
    .name:           _ZN2at6native29vectorized_elementwise_kernelILi8EZZZNS0_22nan_to_num_kernel_cudaERNS_18TensorIteratorBaseESt8optionalIdES5_S5_ENKUlvE_clEvENKUlvE0_clEvEUlN3c107complexIfEEE_St5arrayIPcLm2EEEEviT0_T1_
    .private_segment_fixed_size: 0
    .sgpr_count:     18
    .sgpr_spill_count: 0
    .symbol:         _ZN2at6native29vectorized_elementwise_kernelILi8EZZZNS0_22nan_to_num_kernel_cudaERNS_18TensorIteratorBaseESt8optionalIdES5_S5_ENKUlvE_clEvENKUlvE0_clEvEUlN3c107complexIfEEE_St5arrayIPcLm2EEEEviT0_T1_.kd
    .uniform_work_group_size: 1
    .uses_dynamic_stack: false
    .vgpr_count:     14
    .vgpr_spill_count: 0
    .wavefront_size: 32
    .workgroup_processor_mode: 1
  - .args:
      - .offset:         0
        .size:           4
        .value_kind:     by_value
      - .offset:         4
        .size:           12
        .value_kind:     by_value
      - .offset:         16
        .size:           16
        .value_kind:     by_value
    .group_segment_fixed_size: 0
    .kernarg_segment_align: 8
    .kernarg_segment_size: 32
    .language:       OpenCL C
    .language_version:
      - 2
      - 0
    .max_flat_workgroup_size: 256
    .name:           _ZN2at6native29vectorized_elementwise_kernelILi4EZZZNS0_22nan_to_num_kernel_cudaERNS_18TensorIteratorBaseESt8optionalIdES5_S5_ENKUlvE_clEvENKUlvE0_clEvEUlN3c107complexIfEEE_St5arrayIPcLm2EEEEviT0_T1_
    .private_segment_fixed_size: 0
    .sgpr_count:     18
    .sgpr_spill_count: 0
    .symbol:         _ZN2at6native29vectorized_elementwise_kernelILi4EZZZNS0_22nan_to_num_kernel_cudaERNS_18TensorIteratorBaseESt8optionalIdES5_S5_ENKUlvE_clEvENKUlvE0_clEvEUlN3c107complexIfEEE_St5arrayIPcLm2EEEEviT0_T1_.kd
    .uniform_work_group_size: 1
    .uses_dynamic_stack: false
    .vgpr_count:     14
    .vgpr_spill_count: 0
    .wavefront_size: 32
    .workgroup_processor_mode: 1
  - .args:
      - .offset:         0
        .size:           4
        .value_kind:     by_value
      - .offset:         4
        .size:           12
        .value_kind:     by_value
      - .offset:         16
        .size:           16
        .value_kind:     by_value
    .group_segment_fixed_size: 0
    .kernarg_segment_align: 8
    .kernarg_segment_size: 32
    .language:       OpenCL C
    .language_version:
      - 2
      - 0
    .max_flat_workgroup_size: 256
    .name:           _ZN2at6native29vectorized_elementwise_kernelILi2EZZZNS0_22nan_to_num_kernel_cudaERNS_18TensorIteratorBaseESt8optionalIdES5_S5_ENKUlvE_clEvENKUlvE0_clEvEUlN3c107complexIfEEE_St5arrayIPcLm2EEEEviT0_T1_
    .private_segment_fixed_size: 0
    .sgpr_count:     18
    .sgpr_spill_count: 0
    .symbol:         _ZN2at6native29vectorized_elementwise_kernelILi2EZZZNS0_22nan_to_num_kernel_cudaERNS_18TensorIteratorBaseESt8optionalIdES5_S5_ENKUlvE_clEvENKUlvE0_clEvEUlN3c107complexIfEEE_St5arrayIPcLm2EEEEviT0_T1_.kd
    .uniform_work_group_size: 1
    .uses_dynamic_stack: false
    .vgpr_count:     14
    .vgpr_spill_count: 0
    .wavefront_size: 32
    .workgroup_processor_mode: 1
  - .args:
      - .offset:         0
        .size:           4
        .value_kind:     by_value
      - .offset:         4
        .size:           12
        .value_kind:     by_value
      - .offset:         16
        .size:           16
        .value_kind:     by_value
      - .offset:         32
        .size:           1
        .value_kind:     by_value
      - .offset:         33
        .size:           1
        .value_kind:     by_value
      - .offset:         34
        .size:           1
        .value_kind:     by_value
      - .offset:         35
        .size:           1
        .value_kind:     by_value
    .group_segment_fixed_size: 0
    .kernarg_segment_align: 8
    .kernarg_segment_size: 36
    .language:       OpenCL C
    .language_version:
      - 2
      - 0
    .max_flat_workgroup_size: 256
    .name:           _ZN2at6native27unrolled_elementwise_kernelIZZZNS0_22nan_to_num_kernel_cudaERNS_18TensorIteratorBaseESt8optionalIdES5_S5_ENKUlvE_clEvENKUlvE0_clEvEUlN3c107complexIfEEE_St5arrayIPcLm2EELi4E23TrivialOffsetCalculatorILi1EjESG_NS0_6memory15LoadWithoutCastENSH_16StoreWithoutCastEEEviT_T0_T2_T3_T4_T5_
    .private_segment_fixed_size: 0
    .sgpr_count:     18
    .sgpr_spill_count: 0
    .symbol:         _ZN2at6native27unrolled_elementwise_kernelIZZZNS0_22nan_to_num_kernel_cudaERNS_18TensorIteratorBaseESt8optionalIdES5_S5_ENKUlvE_clEvENKUlvE0_clEvEUlN3c107complexIfEEE_St5arrayIPcLm2EELi4E23TrivialOffsetCalculatorILi1EjESG_NS0_6memory15LoadWithoutCastENSH_16StoreWithoutCastEEEviT_T0_T2_T3_T4_T5_.kd
    .uniform_work_group_size: 1
    .uses_dynamic_stack: false
    .vgpr_count:     13
    .vgpr_spill_count: 0
    .wavefront_size: 32
    .workgroup_processor_mode: 1
  - .args:
      - .offset:         0
        .size:           4
        .value_kind:     by_value
      - .offset:         8
        .size:           360
        .value_kind:     by_value
    .group_segment_fixed_size: 0
    .kernarg_segment_align: 8
    .kernarg_segment_size: 368
    .language:       OpenCL C
    .language_version:
      - 2
      - 0
    .max_flat_workgroup_size: 128
    .name:           _ZN2at6native32elementwise_kernel_manual_unrollILi128ELi4EZNS0_22gpu_kernel_impl_nocastIZZZNS0_22nan_to_num_kernel_cudaERNS_18TensorIteratorBaseESt8optionalIdES6_S6_ENKUlvE_clEvENKUlvE0_clEvEUlN3c107complexIfEEE_EEvS4_RKT_EUlibE_EEviT1_
    .private_segment_fixed_size: 0
    .sgpr_count:     62
    .sgpr_spill_count: 0
    .symbol:         _ZN2at6native32elementwise_kernel_manual_unrollILi128ELi4EZNS0_22gpu_kernel_impl_nocastIZZZNS0_22nan_to_num_kernel_cudaERNS_18TensorIteratorBaseESt8optionalIdES6_S6_ENKUlvE_clEvENKUlvE0_clEvEUlN3c107complexIfEEE_EEvS4_RKT_EUlibE_EEviT1_.kd
    .uniform_work_group_size: 1
    .uses_dynamic_stack: false
    .vgpr_count:     18
    .vgpr_spill_count: 0
    .wavefront_size: 32
    .workgroup_processor_mode: 1
  - .args:
      - .offset:         0
        .size:           4
        .value_kind:     by_value
      - .offset:         8
        .size:           40
        .value_kind:     by_value
    .group_segment_fixed_size: 0
    .kernarg_segment_align: 8
    .kernarg_segment_size: 48
    .language:       OpenCL C
    .language_version:
      - 2
      - 0
    .max_flat_workgroup_size: 128
    .name:           _ZN2at6native32elementwise_kernel_manual_unrollILi128ELi4EZNS0_15gpu_kernel_implIZZZNS0_22nan_to_num_kernel_cudaERNS_18TensorIteratorBaseESt8optionalIdES6_S6_ENKUlvE_clEvENKUlvE0_clEvEUlN3c107complexIfEEE_EEvS4_RKT_EUlibE_EEviT1_
    .private_segment_fixed_size: 0
    .sgpr_count:     31
    .sgpr_spill_count: 0
    .symbol:         _ZN2at6native32elementwise_kernel_manual_unrollILi128ELi4EZNS0_15gpu_kernel_implIZZZNS0_22nan_to_num_kernel_cudaERNS_18TensorIteratorBaseESt8optionalIdES6_S6_ENKUlvE_clEvENKUlvE0_clEvEUlN3c107complexIfEEE_EEvS4_RKT_EUlibE_EEviT1_.kd
    .uniform_work_group_size: 1
    .uses_dynamic_stack: false
    .vgpr_count:     17
    .vgpr_spill_count: 0
    .wavefront_size: 32
    .workgroup_processor_mode: 1
  - .args:
      - .offset:         0
        .size:           4
        .value_kind:     by_value
      - .offset:         8
        .size:           360
        .value_kind:     by_value
    .group_segment_fixed_size: 0
    .kernarg_segment_align: 8
    .kernarg_segment_size: 368
    .language:       OpenCL C
    .language_version:
      - 2
      - 0
    .max_flat_workgroup_size: 128
    .name:           _ZN2at6native32elementwise_kernel_manual_unrollILi128ELi4EZNS0_15gpu_kernel_implIZZZNS0_22nan_to_num_kernel_cudaERNS_18TensorIteratorBaseESt8optionalIdES6_S6_ENKUlvE_clEvENKUlvE0_clEvEUlN3c107complexIfEEE_EEvS4_RKT_EUlibE0_EEviT1_
    .private_segment_fixed_size: 0
    .sgpr_count:     74
    .sgpr_spill_count: 0
    .symbol:         _ZN2at6native32elementwise_kernel_manual_unrollILi128ELi4EZNS0_15gpu_kernel_implIZZZNS0_22nan_to_num_kernel_cudaERNS_18TensorIteratorBaseESt8optionalIdES6_S6_ENKUlvE_clEvENKUlvE0_clEvEUlN3c107complexIfEEE_EEvS4_RKT_EUlibE0_EEviT1_.kd
    .uniform_work_group_size: 1
    .uses_dynamic_stack: false
    .vgpr_count:     19
    .vgpr_spill_count: 0
    .wavefront_size: 32
    .workgroup_processor_mode: 1
  - .args:
      - .offset:         0
        .size:           4
        .value_kind:     by_value
      - .offset:         8
        .size:           24
        .value_kind:     by_value
      - .offset:         32
        .size:           16
        .value_kind:     by_value
    .group_segment_fixed_size: 0
    .kernarg_segment_align: 8
    .kernarg_segment_size: 48
    .language:       OpenCL C
    .language_version:
      - 2
      - 0
    .max_flat_workgroup_size: 256
    .name:           _ZN2at6native29vectorized_elementwise_kernelILi16EZZZNS0_22nan_to_num_kernel_cudaERNS_18TensorIteratorBaseESt8optionalIdES5_S5_ENKUlvE0_clEvENKUlvE_clEvEUldE_St5arrayIPcLm2EEEEviT0_T1_
    .private_segment_fixed_size: 0
    .sgpr_count:     20
    .sgpr_spill_count: 0
    .symbol:         _ZN2at6native29vectorized_elementwise_kernelILi16EZZZNS0_22nan_to_num_kernel_cudaERNS_18TensorIteratorBaseESt8optionalIdES5_S5_ENKUlvE0_clEvENKUlvE_clEvEUldE_St5arrayIPcLm2EEEEviT0_T1_.kd
    .uniform_work_group_size: 1
    .uses_dynamic_stack: false
    .vgpr_count:     19
    .vgpr_spill_count: 0
    .wavefront_size: 32
    .workgroup_processor_mode: 1
  - .args:
      - .offset:         0
        .size:           4
        .value_kind:     by_value
      - .offset:         8
        .size:           24
        .value_kind:     by_value
      - .offset:         32
        .size:           16
        .value_kind:     by_value
    .group_segment_fixed_size: 0
    .kernarg_segment_align: 8
    .kernarg_segment_size: 48
    .language:       OpenCL C
    .language_version:
      - 2
      - 0
    .max_flat_workgroup_size: 256
    .name:           _ZN2at6native29vectorized_elementwise_kernelILi8EZZZNS0_22nan_to_num_kernel_cudaERNS_18TensorIteratorBaseESt8optionalIdES5_S5_ENKUlvE0_clEvENKUlvE_clEvEUldE_St5arrayIPcLm2EEEEviT0_T1_
    .private_segment_fixed_size: 0
    .sgpr_count:     20
    .sgpr_spill_count: 0
    .symbol:         _ZN2at6native29vectorized_elementwise_kernelILi8EZZZNS0_22nan_to_num_kernel_cudaERNS_18TensorIteratorBaseESt8optionalIdES5_S5_ENKUlvE0_clEvENKUlvE_clEvEUldE_St5arrayIPcLm2EEEEviT0_T1_.kd
    .uniform_work_group_size: 1
    .uses_dynamic_stack: false
    .vgpr_count:     19
    .vgpr_spill_count: 0
    .wavefront_size: 32
    .workgroup_processor_mode: 1
  - .args:
      - .offset:         0
        .size:           4
        .value_kind:     by_value
      - .offset:         8
        .size:           24
        .value_kind:     by_value
      - .offset:         32
        .size:           16
        .value_kind:     by_value
    .group_segment_fixed_size: 0
    .kernarg_segment_align: 8
    .kernarg_segment_size: 48
    .language:       OpenCL C
    .language_version:
      - 2
      - 0
    .max_flat_workgroup_size: 256
    .name:           _ZN2at6native29vectorized_elementwise_kernelILi4EZZZNS0_22nan_to_num_kernel_cudaERNS_18TensorIteratorBaseESt8optionalIdES5_S5_ENKUlvE0_clEvENKUlvE_clEvEUldE_St5arrayIPcLm2EEEEviT0_T1_
    .private_segment_fixed_size: 0
    .sgpr_count:     20
    .sgpr_spill_count: 0
    .symbol:         _ZN2at6native29vectorized_elementwise_kernelILi4EZZZNS0_22nan_to_num_kernel_cudaERNS_18TensorIteratorBaseESt8optionalIdES5_S5_ENKUlvE0_clEvENKUlvE_clEvEUldE_St5arrayIPcLm2EEEEviT0_T1_.kd
    .uniform_work_group_size: 1
    .uses_dynamic_stack: false
    .vgpr_count:     19
    .vgpr_spill_count: 0
    .wavefront_size: 32
    .workgroup_processor_mode: 1
  - .args:
      - .offset:         0
        .size:           4
        .value_kind:     by_value
      - .offset:         8
        .size:           24
        .value_kind:     by_value
      - .offset:         32
        .size:           16
        .value_kind:     by_value
    .group_segment_fixed_size: 0
    .kernarg_segment_align: 8
    .kernarg_segment_size: 48
    .language:       OpenCL C
    .language_version:
      - 2
      - 0
    .max_flat_workgroup_size: 256
    .name:           _ZN2at6native29vectorized_elementwise_kernelILi2EZZZNS0_22nan_to_num_kernel_cudaERNS_18TensorIteratorBaseESt8optionalIdES5_S5_ENKUlvE0_clEvENKUlvE_clEvEUldE_St5arrayIPcLm2EEEEviT0_T1_
    .private_segment_fixed_size: 0
    .sgpr_count:     20
    .sgpr_spill_count: 0
    .symbol:         _ZN2at6native29vectorized_elementwise_kernelILi2EZZZNS0_22nan_to_num_kernel_cudaERNS_18TensorIteratorBaseESt8optionalIdES5_S5_ENKUlvE0_clEvENKUlvE_clEvEUldE_St5arrayIPcLm2EEEEviT0_T1_.kd
    .uniform_work_group_size: 1
    .uses_dynamic_stack: false
    .vgpr_count:     19
    .vgpr_spill_count: 0
    .wavefront_size: 32
    .workgroup_processor_mode: 1
  - .args:
      - .offset:         0
        .size:           4
        .value_kind:     by_value
      - .offset:         8
        .size:           24
        .value_kind:     by_value
      - .offset:         32
        .size:           16
        .value_kind:     by_value
      - .offset:         48
        .size:           1
        .value_kind:     by_value
      - .offset:         49
        .size:           1
        .value_kind:     by_value
      - .offset:         50
        .size:           1
        .value_kind:     by_value
      - .offset:         51
        .size:           1
        .value_kind:     by_value
    .group_segment_fixed_size: 0
    .kernarg_segment_align: 8
    .kernarg_segment_size: 52
    .language:       OpenCL C
    .language_version:
      - 2
      - 0
    .max_flat_workgroup_size: 256
    .name:           _ZN2at6native27unrolled_elementwise_kernelIZZZNS0_22nan_to_num_kernel_cudaERNS_18TensorIteratorBaseESt8optionalIdES5_S5_ENKUlvE0_clEvENKUlvE_clEvEUldE_St5arrayIPcLm2EELi4E23TrivialOffsetCalculatorILi1EjESD_NS0_6memory15LoadWithoutCastENSE_16StoreWithoutCastEEEviT_T0_T2_T3_T4_T5_
    .private_segment_fixed_size: 0
    .sgpr_count:     18
    .sgpr_spill_count: 0
    .symbol:         _ZN2at6native27unrolled_elementwise_kernelIZZZNS0_22nan_to_num_kernel_cudaERNS_18TensorIteratorBaseESt8optionalIdES5_S5_ENKUlvE0_clEvENKUlvE_clEvEUldE_St5arrayIPcLm2EELi4E23TrivialOffsetCalculatorILi1EjESD_NS0_6memory15LoadWithoutCastENSE_16StoreWithoutCastEEEviT_T0_T2_T3_T4_T5_.kd
    .uniform_work_group_size: 1
    .uses_dynamic_stack: false
    .vgpr_count:     19
    .vgpr_spill_count: 0
    .wavefront_size: 32
    .workgroup_processor_mode: 1
  - .args:
      - .offset:         0
        .size:           4
        .value_kind:     by_value
      - .offset:         8
        .size:           368
        .value_kind:     by_value
    .group_segment_fixed_size: 0
    .kernarg_segment_align: 8
    .kernarg_segment_size: 376
    .language:       OpenCL C
    .language_version:
      - 2
      - 0
    .max_flat_workgroup_size: 128
    .name:           _ZN2at6native32elementwise_kernel_manual_unrollILi128ELi4EZNS0_22gpu_kernel_impl_nocastIZZZNS0_22nan_to_num_kernel_cudaERNS_18TensorIteratorBaseESt8optionalIdES6_S6_ENKUlvE0_clEvENKUlvE_clEvEUldE_EEvS4_RKT_EUlibE_EEviT1_
    .private_segment_fixed_size: 0
    .sgpr_count:     66
    .sgpr_spill_count: 0
    .symbol:         _ZN2at6native32elementwise_kernel_manual_unrollILi128ELi4EZNS0_22gpu_kernel_impl_nocastIZZZNS0_22nan_to_num_kernel_cudaERNS_18TensorIteratorBaseESt8optionalIdES6_S6_ENKUlvE0_clEvENKUlvE_clEvEUldE_EEvS4_RKT_EUlibE_EEviT1_.kd
    .uniform_work_group_size: 1
    .uses_dynamic_stack: false
    .vgpr_count:     18
    .vgpr_spill_count: 0
    .wavefront_size: 32
    .workgroup_processor_mode: 1
  - .args:
      - .offset:         0
        .size:           4
        .value_kind:     by_value
      - .offset:         8
        .size:           56
        .value_kind:     by_value
    .group_segment_fixed_size: 0
    .kernarg_segment_align: 8
    .kernarg_segment_size: 64
    .language:       OpenCL C
    .language_version:
      - 2
      - 0
    .max_flat_workgroup_size: 128
    .name:           _ZN2at6native32elementwise_kernel_manual_unrollILi128ELi4EZNS0_15gpu_kernel_implIZZZNS0_22nan_to_num_kernel_cudaERNS_18TensorIteratorBaseESt8optionalIdES6_S6_ENKUlvE0_clEvENKUlvE_clEvEUldE_EEvS4_RKT_EUlibE_EEviT1_
    .private_segment_fixed_size: 0
    .sgpr_count:     34
    .sgpr_spill_count: 0
    .symbol:         _ZN2at6native32elementwise_kernel_manual_unrollILi128ELi4EZNS0_15gpu_kernel_implIZZZNS0_22nan_to_num_kernel_cudaERNS_18TensorIteratorBaseESt8optionalIdES6_S6_ENKUlvE0_clEvENKUlvE_clEvEUldE_EEvS4_RKT_EUlibE_EEviT1_.kd
    .uniform_work_group_size: 1
    .uses_dynamic_stack: false
    .vgpr_count:     17
    .vgpr_spill_count: 0
    .wavefront_size: 32
    .workgroup_processor_mode: 1
  - .args:
      - .offset:         0
        .size:           4
        .value_kind:     by_value
      - .offset:         8
        .size:           376
        .value_kind:     by_value
    .group_segment_fixed_size: 0
    .kernarg_segment_align: 8
    .kernarg_segment_size: 384
    .language:       OpenCL C
    .language_version:
      - 2
      - 0
    .max_flat_workgroup_size: 128
    .name:           _ZN2at6native32elementwise_kernel_manual_unrollILi128ELi4EZNS0_15gpu_kernel_implIZZZNS0_22nan_to_num_kernel_cudaERNS_18TensorIteratorBaseESt8optionalIdES6_S6_ENKUlvE0_clEvENKUlvE_clEvEUldE_EEvS4_RKT_EUlibE0_EEviT1_
    .private_segment_fixed_size: 0
    .sgpr_count:     74
    .sgpr_spill_count: 0
    .symbol:         _ZN2at6native32elementwise_kernel_manual_unrollILi128ELi4EZNS0_15gpu_kernel_implIZZZNS0_22nan_to_num_kernel_cudaERNS_18TensorIteratorBaseESt8optionalIdES6_S6_ENKUlvE0_clEvENKUlvE_clEvEUldE_EEvS4_RKT_EUlibE0_EEviT1_.kd
    .uniform_work_group_size: 1
    .uses_dynamic_stack: false
    .vgpr_count:     20
    .vgpr_spill_count: 0
    .wavefront_size: 32
    .workgroup_processor_mode: 1
  - .args:
      - .offset:         0
        .size:           4
        .value_kind:     by_value
      - .offset:         4
        .size:           12
        .value_kind:     by_value
      - .offset:         16
        .size:           16
        .value_kind:     by_value
    .group_segment_fixed_size: 0
    .kernarg_segment_align: 8
    .kernarg_segment_size: 32
    .language:       OpenCL C
    .language_version:
      - 2
      - 0
    .max_flat_workgroup_size: 256
    .name:           _ZN2at6native29vectorized_elementwise_kernelILi16EZZZNS0_22nan_to_num_kernel_cudaERNS_18TensorIteratorBaseESt8optionalIdES5_S5_ENKUlvE0_clEvENKUlvE0_clEvEUlfE_St5arrayIPcLm2EEEEviT0_T1_
    .private_segment_fixed_size: 0
    .sgpr_count:     18
    .sgpr_spill_count: 0
    .symbol:         _ZN2at6native29vectorized_elementwise_kernelILi16EZZZNS0_22nan_to_num_kernel_cudaERNS_18TensorIteratorBaseESt8optionalIdES5_S5_ENKUlvE0_clEvENKUlvE0_clEvEUlfE_St5arrayIPcLm2EEEEviT0_T1_.kd
    .uniform_work_group_size: 1
    .uses_dynamic_stack: false
    .vgpr_count:     11
    .vgpr_spill_count: 0
    .wavefront_size: 32
    .workgroup_processor_mode: 1
  - .args:
      - .offset:         0
        .size:           4
        .value_kind:     by_value
      - .offset:         4
        .size:           12
        .value_kind:     by_value
      - .offset:         16
        .size:           16
        .value_kind:     by_value
    .group_segment_fixed_size: 0
    .kernarg_segment_align: 8
    .kernarg_segment_size: 32
    .language:       OpenCL C
    .language_version:
      - 2
      - 0
    .max_flat_workgroup_size: 256
    .name:           _ZN2at6native29vectorized_elementwise_kernelILi8EZZZNS0_22nan_to_num_kernel_cudaERNS_18TensorIteratorBaseESt8optionalIdES5_S5_ENKUlvE0_clEvENKUlvE0_clEvEUlfE_St5arrayIPcLm2EEEEviT0_T1_
    .private_segment_fixed_size: 0
    .sgpr_count:     18
    .sgpr_spill_count: 0
    .symbol:         _ZN2at6native29vectorized_elementwise_kernelILi8EZZZNS0_22nan_to_num_kernel_cudaERNS_18TensorIteratorBaseESt8optionalIdES5_S5_ENKUlvE0_clEvENKUlvE0_clEvEUlfE_St5arrayIPcLm2EEEEviT0_T1_.kd
    .uniform_work_group_size: 1
    .uses_dynamic_stack: false
    .vgpr_count:     11
    .vgpr_spill_count: 0
    .wavefront_size: 32
    .workgroup_processor_mode: 1
  - .args:
      - .offset:         0
        .size:           4
        .value_kind:     by_value
      - .offset:         4
        .size:           12
        .value_kind:     by_value
      - .offset:         16
        .size:           16
        .value_kind:     by_value
    .group_segment_fixed_size: 0
    .kernarg_segment_align: 8
    .kernarg_segment_size: 32
    .language:       OpenCL C
    .language_version:
      - 2
      - 0
    .max_flat_workgroup_size: 256
    .name:           _ZN2at6native29vectorized_elementwise_kernelILi4EZZZNS0_22nan_to_num_kernel_cudaERNS_18TensorIteratorBaseESt8optionalIdES5_S5_ENKUlvE0_clEvENKUlvE0_clEvEUlfE_St5arrayIPcLm2EEEEviT0_T1_
    .private_segment_fixed_size: 0
    .sgpr_count:     18
    .sgpr_spill_count: 0
    .symbol:         _ZN2at6native29vectorized_elementwise_kernelILi4EZZZNS0_22nan_to_num_kernel_cudaERNS_18TensorIteratorBaseESt8optionalIdES5_S5_ENKUlvE0_clEvENKUlvE0_clEvEUlfE_St5arrayIPcLm2EEEEviT0_T1_.kd
    .uniform_work_group_size: 1
    .uses_dynamic_stack: false
    .vgpr_count:     11
    .vgpr_spill_count: 0
    .wavefront_size: 32
    .workgroup_processor_mode: 1
  - .args:
      - .offset:         0
        .size:           4
        .value_kind:     by_value
      - .offset:         4
        .size:           12
        .value_kind:     by_value
      - .offset:         16
        .size:           16
        .value_kind:     by_value
    .group_segment_fixed_size: 0
    .kernarg_segment_align: 8
    .kernarg_segment_size: 32
    .language:       OpenCL C
    .language_version:
      - 2
      - 0
    .max_flat_workgroup_size: 256
    .name:           _ZN2at6native29vectorized_elementwise_kernelILi2EZZZNS0_22nan_to_num_kernel_cudaERNS_18TensorIteratorBaseESt8optionalIdES5_S5_ENKUlvE0_clEvENKUlvE0_clEvEUlfE_St5arrayIPcLm2EEEEviT0_T1_
    .private_segment_fixed_size: 0
    .sgpr_count:     18
    .sgpr_spill_count: 0
    .symbol:         _ZN2at6native29vectorized_elementwise_kernelILi2EZZZNS0_22nan_to_num_kernel_cudaERNS_18TensorIteratorBaseESt8optionalIdES5_S5_ENKUlvE0_clEvENKUlvE0_clEvEUlfE_St5arrayIPcLm2EEEEviT0_T1_.kd
    .uniform_work_group_size: 1
    .uses_dynamic_stack: false
    .vgpr_count:     11
    .vgpr_spill_count: 0
    .wavefront_size: 32
    .workgroup_processor_mode: 1
  - .args:
      - .offset:         0
        .size:           4
        .value_kind:     by_value
      - .offset:         4
        .size:           12
        .value_kind:     by_value
      - .offset:         16
        .size:           16
        .value_kind:     by_value
      - .offset:         32
        .size:           1
        .value_kind:     by_value
      - .offset:         33
        .size:           1
        .value_kind:     by_value
      - .offset:         34
        .size:           1
        .value_kind:     by_value
      - .offset:         35
        .size:           1
        .value_kind:     by_value
    .group_segment_fixed_size: 0
    .kernarg_segment_align: 8
    .kernarg_segment_size: 36
    .language:       OpenCL C
    .language_version:
      - 2
      - 0
    .max_flat_workgroup_size: 256
    .name:           _ZN2at6native27unrolled_elementwise_kernelIZZZNS0_22nan_to_num_kernel_cudaERNS_18TensorIteratorBaseESt8optionalIdES5_S5_ENKUlvE0_clEvENKUlvE0_clEvEUlfE_St5arrayIPcLm2EELi4E23TrivialOffsetCalculatorILi1EjESD_NS0_6memory15LoadWithoutCastENSE_16StoreWithoutCastEEEviT_T0_T2_T3_T4_T5_
    .private_segment_fixed_size: 0
    .sgpr_count:     18
    .sgpr_spill_count: 0
    .symbol:         _ZN2at6native27unrolled_elementwise_kernelIZZZNS0_22nan_to_num_kernel_cudaERNS_18TensorIteratorBaseESt8optionalIdES5_S5_ENKUlvE0_clEvENKUlvE0_clEvEUlfE_St5arrayIPcLm2EELi4E23TrivialOffsetCalculatorILi1EjESD_NS0_6memory15LoadWithoutCastENSE_16StoreWithoutCastEEEviT_T0_T2_T3_T4_T5_.kd
    .uniform_work_group_size: 1
    .uses_dynamic_stack: false
    .vgpr_count:     11
    .vgpr_spill_count: 0
    .wavefront_size: 32
    .workgroup_processor_mode: 1
  - .args:
      - .offset:         0
        .size:           4
        .value_kind:     by_value
      - .offset:         8
        .size:           360
        .value_kind:     by_value
    .group_segment_fixed_size: 0
    .kernarg_segment_align: 8
    .kernarg_segment_size: 368
    .language:       OpenCL C
    .language_version:
      - 2
      - 0
    .max_flat_workgroup_size: 128
    .name:           _ZN2at6native32elementwise_kernel_manual_unrollILi128ELi4EZNS0_22gpu_kernel_impl_nocastIZZZNS0_22nan_to_num_kernel_cudaERNS_18TensorIteratorBaseESt8optionalIdES6_S6_ENKUlvE0_clEvENKUlvE0_clEvEUlfE_EEvS4_RKT_EUlibE_EEviT1_
    .private_segment_fixed_size: 0
    .sgpr_count:     62
    .sgpr_spill_count: 0
    .symbol:         _ZN2at6native32elementwise_kernel_manual_unrollILi128ELi4EZNS0_22gpu_kernel_impl_nocastIZZZNS0_22nan_to_num_kernel_cudaERNS_18TensorIteratorBaseESt8optionalIdES6_S6_ENKUlvE0_clEvENKUlvE0_clEvEUlfE_EEvS4_RKT_EUlibE_EEviT1_.kd
    .uniform_work_group_size: 1
    .uses_dynamic_stack: false
    .vgpr_count:     18
    .vgpr_spill_count: 0
    .wavefront_size: 32
    .workgroup_processor_mode: 1
  - .args:
      - .offset:         0
        .size:           4
        .value_kind:     by_value
      - .offset:         8
        .size:           40
        .value_kind:     by_value
    .group_segment_fixed_size: 0
    .kernarg_segment_align: 8
    .kernarg_segment_size: 48
    .language:       OpenCL C
    .language_version:
      - 2
      - 0
    .max_flat_workgroup_size: 128
    .name:           _ZN2at6native32elementwise_kernel_manual_unrollILi128ELi4EZNS0_15gpu_kernel_implIZZZNS0_22nan_to_num_kernel_cudaERNS_18TensorIteratorBaseESt8optionalIdES6_S6_ENKUlvE0_clEvENKUlvE0_clEvEUlfE_EEvS4_RKT_EUlibE_EEviT1_
    .private_segment_fixed_size: 0
    .sgpr_count:     30
    .sgpr_spill_count: 0
    .symbol:         _ZN2at6native32elementwise_kernel_manual_unrollILi128ELi4EZNS0_15gpu_kernel_implIZZZNS0_22nan_to_num_kernel_cudaERNS_18TensorIteratorBaseESt8optionalIdES6_S6_ENKUlvE0_clEvENKUlvE0_clEvEUlfE_EEvS4_RKT_EUlibE_EEviT1_.kd
    .uniform_work_group_size: 1
    .uses_dynamic_stack: false
    .vgpr_count:     15
    .vgpr_spill_count: 0
    .wavefront_size: 32
    .workgroup_processor_mode: 1
  - .args:
      - .offset:         0
        .size:           4
        .value_kind:     by_value
      - .offset:         8
        .size:           360
        .value_kind:     by_value
    .group_segment_fixed_size: 0
    .kernarg_segment_align: 8
    .kernarg_segment_size: 368
    .language:       OpenCL C
    .language_version:
      - 2
      - 0
    .max_flat_workgroup_size: 128
    .name:           _ZN2at6native32elementwise_kernel_manual_unrollILi128ELi4EZNS0_15gpu_kernel_implIZZZNS0_22nan_to_num_kernel_cudaERNS_18TensorIteratorBaseESt8optionalIdES6_S6_ENKUlvE0_clEvENKUlvE0_clEvEUlfE_EEvS4_RKT_EUlibE0_EEviT1_
    .private_segment_fixed_size: 0
    .sgpr_count:     74
    .sgpr_spill_count: 0
    .symbol:         _ZN2at6native32elementwise_kernel_manual_unrollILi128ELi4EZNS0_15gpu_kernel_implIZZZNS0_22nan_to_num_kernel_cudaERNS_18TensorIteratorBaseESt8optionalIdES6_S6_ENKUlvE0_clEvENKUlvE0_clEvEUlfE_EEvS4_RKT_EUlibE0_EEviT1_.kd
    .uniform_work_group_size: 1
    .uses_dynamic_stack: false
    .vgpr_count:     18
    .vgpr_spill_count: 0
    .wavefront_size: 32
    .workgroup_processor_mode: 1
  - .args:
      - .offset:         0
        .size:           4
        .value_kind:     by_value
      - .offset:         4
        .size:           6
        .value_kind:     by_value
      - .offset:         16
        .size:           16
        .value_kind:     by_value
    .group_segment_fixed_size: 0
    .kernarg_segment_align: 8
    .kernarg_segment_size: 32
    .language:       OpenCL C
    .language_version:
      - 2
      - 0
    .max_flat_workgroup_size: 256
    .name:           _ZN2at6native29vectorized_elementwise_kernelILi16EZZZNS0_22nan_to_num_kernel_cudaERNS_18TensorIteratorBaseESt8optionalIdES5_S5_ENKUlvE0_clEvENKUlvE1_clEvEUlN3c104HalfEE_St5arrayIPcLm2EEEEviT0_T1_
    .private_segment_fixed_size: 0
    .sgpr_count:     18
    .sgpr_spill_count: 0
    .symbol:         _ZN2at6native29vectorized_elementwise_kernelILi16EZZZNS0_22nan_to_num_kernel_cudaERNS_18TensorIteratorBaseESt8optionalIdES5_S5_ENKUlvE0_clEvENKUlvE1_clEvEUlN3c104HalfEE_St5arrayIPcLm2EEEEviT0_T1_.kd
    .uniform_work_group_size: 1
    .uses_dynamic_stack: false
    .vgpr_count:     14
    .vgpr_spill_count: 0
    .wavefront_size: 32
    .workgroup_processor_mode: 1
  - .args:
      - .offset:         0
        .size:           4
        .value_kind:     by_value
      - .offset:         4
        .size:           6
        .value_kind:     by_value
      - .offset:         16
        .size:           16
        .value_kind:     by_value
    .group_segment_fixed_size: 0
    .kernarg_segment_align: 8
    .kernarg_segment_size: 32
    .language:       OpenCL C
    .language_version:
      - 2
      - 0
    .max_flat_workgroup_size: 256
    .name:           _ZN2at6native29vectorized_elementwise_kernelILi8EZZZNS0_22nan_to_num_kernel_cudaERNS_18TensorIteratorBaseESt8optionalIdES5_S5_ENKUlvE0_clEvENKUlvE1_clEvEUlN3c104HalfEE_St5arrayIPcLm2EEEEviT0_T1_
    .private_segment_fixed_size: 0
    .sgpr_count:     18
    .sgpr_spill_count: 0
    .symbol:         _ZN2at6native29vectorized_elementwise_kernelILi8EZZZNS0_22nan_to_num_kernel_cudaERNS_18TensorIteratorBaseESt8optionalIdES5_S5_ENKUlvE0_clEvENKUlvE1_clEvEUlN3c104HalfEE_St5arrayIPcLm2EEEEviT0_T1_.kd
    .uniform_work_group_size: 1
    .uses_dynamic_stack: false
    .vgpr_count:     14
    .vgpr_spill_count: 0
    .wavefront_size: 32
    .workgroup_processor_mode: 1
  - .args:
      - .offset:         0
        .size:           4
        .value_kind:     by_value
      - .offset:         4
        .size:           6
        .value_kind:     by_value
      - .offset:         16
        .size:           16
        .value_kind:     by_value
    .group_segment_fixed_size: 0
    .kernarg_segment_align: 8
    .kernarg_segment_size: 32
    .language:       OpenCL C
    .language_version:
      - 2
      - 0
    .max_flat_workgroup_size: 256
    .name:           _ZN2at6native29vectorized_elementwise_kernelILi4EZZZNS0_22nan_to_num_kernel_cudaERNS_18TensorIteratorBaseESt8optionalIdES5_S5_ENKUlvE0_clEvENKUlvE1_clEvEUlN3c104HalfEE_St5arrayIPcLm2EEEEviT0_T1_
    .private_segment_fixed_size: 0
    .sgpr_count:     18
    .sgpr_spill_count: 0
    .symbol:         _ZN2at6native29vectorized_elementwise_kernelILi4EZZZNS0_22nan_to_num_kernel_cudaERNS_18TensorIteratorBaseESt8optionalIdES5_S5_ENKUlvE0_clEvENKUlvE1_clEvEUlN3c104HalfEE_St5arrayIPcLm2EEEEviT0_T1_.kd
    .uniform_work_group_size: 1
    .uses_dynamic_stack: false
    .vgpr_count:     14
    .vgpr_spill_count: 0
    .wavefront_size: 32
    .workgroup_processor_mode: 1
  - .args:
      - .offset:         0
        .size:           4
        .value_kind:     by_value
      - .offset:         4
        .size:           6
        .value_kind:     by_value
      - .offset:         16
        .size:           16
        .value_kind:     by_value
    .group_segment_fixed_size: 0
    .kernarg_segment_align: 8
    .kernarg_segment_size: 32
    .language:       OpenCL C
    .language_version:
      - 2
      - 0
    .max_flat_workgroup_size: 256
    .name:           _ZN2at6native29vectorized_elementwise_kernelILi2EZZZNS0_22nan_to_num_kernel_cudaERNS_18TensorIteratorBaseESt8optionalIdES5_S5_ENKUlvE0_clEvENKUlvE1_clEvEUlN3c104HalfEE_St5arrayIPcLm2EEEEviT0_T1_
    .private_segment_fixed_size: 0
    .sgpr_count:     18
    .sgpr_spill_count: 0
    .symbol:         _ZN2at6native29vectorized_elementwise_kernelILi2EZZZNS0_22nan_to_num_kernel_cudaERNS_18TensorIteratorBaseESt8optionalIdES5_S5_ENKUlvE0_clEvENKUlvE1_clEvEUlN3c104HalfEE_St5arrayIPcLm2EEEEviT0_T1_.kd
    .uniform_work_group_size: 1
    .uses_dynamic_stack: false
    .vgpr_count:     14
    .vgpr_spill_count: 0
    .wavefront_size: 32
    .workgroup_processor_mode: 1
  - .args:
      - .offset:         0
        .size:           4
        .value_kind:     by_value
      - .offset:         4
        .size:           6
        .value_kind:     by_value
      - .offset:         16
        .size:           16
        .value_kind:     by_value
      - .offset:         32
        .size:           1
        .value_kind:     by_value
      - .offset:         33
        .size:           1
        .value_kind:     by_value
      - .offset:         34
        .size:           1
        .value_kind:     by_value
      - .offset:         35
        .size:           1
        .value_kind:     by_value
    .group_segment_fixed_size: 0
    .kernarg_segment_align: 8
    .kernarg_segment_size: 36
    .language:       OpenCL C
    .language_version:
      - 2
      - 0
    .max_flat_workgroup_size: 256
    .name:           _ZN2at6native27unrolled_elementwise_kernelIZZZNS0_22nan_to_num_kernel_cudaERNS_18TensorIteratorBaseESt8optionalIdES5_S5_ENKUlvE0_clEvENKUlvE1_clEvEUlN3c104HalfEE_St5arrayIPcLm2EELi4E23TrivialOffsetCalculatorILi1EjESF_NS0_6memory15LoadWithoutCastENSG_16StoreWithoutCastEEEviT_T0_T2_T3_T4_T5_
    .private_segment_fixed_size: 0
    .sgpr_count:     18
    .sgpr_spill_count: 0
    .symbol:         _ZN2at6native27unrolled_elementwise_kernelIZZZNS0_22nan_to_num_kernel_cudaERNS_18TensorIteratorBaseESt8optionalIdES5_S5_ENKUlvE0_clEvENKUlvE1_clEvEUlN3c104HalfEE_St5arrayIPcLm2EELi4E23TrivialOffsetCalculatorILi1EjESF_NS0_6memory15LoadWithoutCastENSG_16StoreWithoutCastEEEviT_T0_T2_T3_T4_T5_.kd
    .uniform_work_group_size: 1
    .uses_dynamic_stack: false
    .vgpr_count:     10
    .vgpr_spill_count: 0
    .wavefront_size: 32
    .workgroup_processor_mode: 1
  - .args:
      - .offset:         0
        .size:           4
        .value_kind:     by_value
      - .offset:         8
        .size:           352
        .value_kind:     by_value
    .group_segment_fixed_size: 0
    .kernarg_segment_align: 8
    .kernarg_segment_size: 360
    .language:       OpenCL C
    .language_version:
      - 2
      - 0
    .max_flat_workgroup_size: 128
    .name:           _ZN2at6native32elementwise_kernel_manual_unrollILi128ELi8EZNS0_22gpu_kernel_impl_nocastIZZZNS0_22nan_to_num_kernel_cudaERNS_18TensorIteratorBaseESt8optionalIdES6_S6_ENKUlvE0_clEvENKUlvE1_clEvEUlN3c104HalfEE_EEvS4_RKT_EUlibE_EEviT1_
    .private_segment_fixed_size: 0
    .sgpr_count:     66
    .sgpr_spill_count: 0
    .symbol:         _ZN2at6native32elementwise_kernel_manual_unrollILi128ELi8EZNS0_22gpu_kernel_impl_nocastIZZZNS0_22nan_to_num_kernel_cudaERNS_18TensorIteratorBaseESt8optionalIdES6_S6_ENKUlvE0_clEvENKUlvE1_clEvEUlN3c104HalfEE_EEvS4_RKT_EUlibE_EEviT1_.kd
    .uniform_work_group_size: 1
    .uses_dynamic_stack: false
    .vgpr_count:     26
    .vgpr_spill_count: 0
    .wavefront_size: 32
    .workgroup_processor_mode: 1
  - .args:
      - .offset:         0
        .size:           4
        .value_kind:     by_value
      - .offset:         8
        .size:           32
        .value_kind:     by_value
    .group_segment_fixed_size: 0
    .kernarg_segment_align: 8
    .kernarg_segment_size: 40
    .language:       OpenCL C
    .language_version:
      - 2
      - 0
    .max_flat_workgroup_size: 128
    .name:           _ZN2at6native32elementwise_kernel_manual_unrollILi128ELi4EZNS0_15gpu_kernel_implIZZZNS0_22nan_to_num_kernel_cudaERNS_18TensorIteratorBaseESt8optionalIdES6_S6_ENKUlvE0_clEvENKUlvE1_clEvEUlN3c104HalfEE_EEvS4_RKT_EUlibE_EEviT1_
    .private_segment_fixed_size: 0
    .sgpr_count:     31
    .sgpr_spill_count: 0
    .symbol:         _ZN2at6native32elementwise_kernel_manual_unrollILi128ELi4EZNS0_15gpu_kernel_implIZZZNS0_22nan_to_num_kernel_cudaERNS_18TensorIteratorBaseESt8optionalIdES6_S6_ENKUlvE0_clEvENKUlvE1_clEvEUlN3c104HalfEE_EEvS4_RKT_EUlibE_EEviT1_.kd
    .uniform_work_group_size: 1
    .uses_dynamic_stack: false
    .vgpr_count:     12
    .vgpr_spill_count: 0
    .wavefront_size: 32
    .workgroup_processor_mode: 1
  - .args:
      - .offset:         0
        .size:           4
        .value_kind:     by_value
      - .offset:         8
        .size:           352
        .value_kind:     by_value
    .group_segment_fixed_size: 0
    .kernarg_segment_align: 8
    .kernarg_segment_size: 360
    .language:       OpenCL C
    .language_version:
      - 2
      - 0
    .max_flat_workgroup_size: 128
    .name:           _ZN2at6native32elementwise_kernel_manual_unrollILi128ELi4EZNS0_15gpu_kernel_implIZZZNS0_22nan_to_num_kernel_cudaERNS_18TensorIteratorBaseESt8optionalIdES6_S6_ENKUlvE0_clEvENKUlvE1_clEvEUlN3c104HalfEE_EEvS4_RKT_EUlibE0_EEviT1_
    .private_segment_fixed_size: 0
    .sgpr_count:     74
    .sgpr_spill_count: 0
    .symbol:         _ZN2at6native32elementwise_kernel_manual_unrollILi128ELi4EZNS0_15gpu_kernel_implIZZZNS0_22nan_to_num_kernel_cudaERNS_18TensorIteratorBaseESt8optionalIdES6_S6_ENKUlvE0_clEvENKUlvE1_clEvEUlN3c104HalfEE_EEvS4_RKT_EUlibE0_EEviT1_.kd
    .uniform_work_group_size: 1
    .uses_dynamic_stack: false
    .vgpr_count:     18
    .vgpr_spill_count: 0
    .wavefront_size: 32
    .workgroup_processor_mode: 1
  - .args:
      - .offset:         0
        .size:           4
        .value_kind:     by_value
      - .offset:         4
        .size:           6
        .value_kind:     by_value
      - .offset:         16
        .size:           16
        .value_kind:     by_value
    .group_segment_fixed_size: 0
    .kernarg_segment_align: 8
    .kernarg_segment_size: 32
    .language:       OpenCL C
    .language_version:
      - 2
      - 0
    .max_flat_workgroup_size: 256
    .name:           _ZN2at6native29vectorized_elementwise_kernelILi16EZZZNS0_22nan_to_num_kernel_cudaERNS_18TensorIteratorBaseESt8optionalIdES5_S5_ENKUlvE0_clEvENKUlvE2_clEvEUlN3c108BFloat16EE_St5arrayIPcLm2EEEEviT0_T1_
    .private_segment_fixed_size: 0
    .sgpr_count:     18
    .sgpr_spill_count: 0
    .symbol:         _ZN2at6native29vectorized_elementwise_kernelILi16EZZZNS0_22nan_to_num_kernel_cudaERNS_18TensorIteratorBaseESt8optionalIdES5_S5_ENKUlvE0_clEvENKUlvE2_clEvEUlN3c108BFloat16EE_St5arrayIPcLm2EEEEviT0_T1_.kd
    .uniform_work_group_size: 1
    .uses_dynamic_stack: false
    .vgpr_count:     14
    .vgpr_spill_count: 0
    .wavefront_size: 32
    .workgroup_processor_mode: 1
  - .args:
      - .offset:         0
        .size:           4
        .value_kind:     by_value
      - .offset:         4
        .size:           6
        .value_kind:     by_value
      - .offset:         16
        .size:           16
        .value_kind:     by_value
    .group_segment_fixed_size: 0
    .kernarg_segment_align: 8
    .kernarg_segment_size: 32
    .language:       OpenCL C
    .language_version:
      - 2
      - 0
    .max_flat_workgroup_size: 256
    .name:           _ZN2at6native29vectorized_elementwise_kernelILi8EZZZNS0_22nan_to_num_kernel_cudaERNS_18TensorIteratorBaseESt8optionalIdES5_S5_ENKUlvE0_clEvENKUlvE2_clEvEUlN3c108BFloat16EE_St5arrayIPcLm2EEEEviT0_T1_
    .private_segment_fixed_size: 0
    .sgpr_count:     18
    .sgpr_spill_count: 0
    .symbol:         _ZN2at6native29vectorized_elementwise_kernelILi8EZZZNS0_22nan_to_num_kernel_cudaERNS_18TensorIteratorBaseESt8optionalIdES5_S5_ENKUlvE0_clEvENKUlvE2_clEvEUlN3c108BFloat16EE_St5arrayIPcLm2EEEEviT0_T1_.kd
    .uniform_work_group_size: 1
    .uses_dynamic_stack: false
    .vgpr_count:     14
    .vgpr_spill_count: 0
    .wavefront_size: 32
    .workgroup_processor_mode: 1
  - .args:
      - .offset:         0
        .size:           4
        .value_kind:     by_value
      - .offset:         4
        .size:           6
        .value_kind:     by_value
      - .offset:         16
        .size:           16
        .value_kind:     by_value
    .group_segment_fixed_size: 0
    .kernarg_segment_align: 8
    .kernarg_segment_size: 32
    .language:       OpenCL C
    .language_version:
      - 2
      - 0
    .max_flat_workgroup_size: 256
    .name:           _ZN2at6native29vectorized_elementwise_kernelILi4EZZZNS0_22nan_to_num_kernel_cudaERNS_18TensorIteratorBaseESt8optionalIdES5_S5_ENKUlvE0_clEvENKUlvE2_clEvEUlN3c108BFloat16EE_St5arrayIPcLm2EEEEviT0_T1_
    .private_segment_fixed_size: 0
    .sgpr_count:     18
    .sgpr_spill_count: 0
    .symbol:         _ZN2at6native29vectorized_elementwise_kernelILi4EZZZNS0_22nan_to_num_kernel_cudaERNS_18TensorIteratorBaseESt8optionalIdES5_S5_ENKUlvE0_clEvENKUlvE2_clEvEUlN3c108BFloat16EE_St5arrayIPcLm2EEEEviT0_T1_.kd
    .uniform_work_group_size: 1
    .uses_dynamic_stack: false
    .vgpr_count:     14
    .vgpr_spill_count: 0
    .wavefront_size: 32
    .workgroup_processor_mode: 1
  - .args:
      - .offset:         0
        .size:           4
        .value_kind:     by_value
      - .offset:         4
        .size:           6
        .value_kind:     by_value
      - .offset:         16
        .size:           16
        .value_kind:     by_value
    .group_segment_fixed_size: 0
    .kernarg_segment_align: 8
    .kernarg_segment_size: 32
    .language:       OpenCL C
    .language_version:
      - 2
      - 0
    .max_flat_workgroup_size: 256
    .name:           _ZN2at6native29vectorized_elementwise_kernelILi2EZZZNS0_22nan_to_num_kernel_cudaERNS_18TensorIteratorBaseESt8optionalIdES5_S5_ENKUlvE0_clEvENKUlvE2_clEvEUlN3c108BFloat16EE_St5arrayIPcLm2EEEEviT0_T1_
    .private_segment_fixed_size: 0
    .sgpr_count:     18
    .sgpr_spill_count: 0
    .symbol:         _ZN2at6native29vectorized_elementwise_kernelILi2EZZZNS0_22nan_to_num_kernel_cudaERNS_18TensorIteratorBaseESt8optionalIdES5_S5_ENKUlvE0_clEvENKUlvE2_clEvEUlN3c108BFloat16EE_St5arrayIPcLm2EEEEviT0_T1_.kd
    .uniform_work_group_size: 1
    .uses_dynamic_stack: false
    .vgpr_count:     14
    .vgpr_spill_count: 0
    .wavefront_size: 32
    .workgroup_processor_mode: 1
  - .args:
      - .offset:         0
        .size:           4
        .value_kind:     by_value
      - .offset:         4
        .size:           6
        .value_kind:     by_value
      - .offset:         16
        .size:           16
        .value_kind:     by_value
      - .offset:         32
        .size:           1
        .value_kind:     by_value
      - .offset:         33
        .size:           1
        .value_kind:     by_value
      - .offset:         34
        .size:           1
        .value_kind:     by_value
      - .offset:         35
        .size:           1
        .value_kind:     by_value
    .group_segment_fixed_size: 0
    .kernarg_segment_align: 8
    .kernarg_segment_size: 36
    .language:       OpenCL C
    .language_version:
      - 2
      - 0
    .max_flat_workgroup_size: 256
    .name:           _ZN2at6native27unrolled_elementwise_kernelIZZZNS0_22nan_to_num_kernel_cudaERNS_18TensorIteratorBaseESt8optionalIdES5_S5_ENKUlvE0_clEvENKUlvE2_clEvEUlN3c108BFloat16EE_St5arrayIPcLm2EELi4E23TrivialOffsetCalculatorILi1EjESF_NS0_6memory15LoadWithoutCastENSG_16StoreWithoutCastEEEviT_T0_T2_T3_T4_T5_
    .private_segment_fixed_size: 0
    .sgpr_count:     18
    .sgpr_spill_count: 0
    .symbol:         _ZN2at6native27unrolled_elementwise_kernelIZZZNS0_22nan_to_num_kernel_cudaERNS_18TensorIteratorBaseESt8optionalIdES5_S5_ENKUlvE0_clEvENKUlvE2_clEvEUlN3c108BFloat16EE_St5arrayIPcLm2EELi4E23TrivialOffsetCalculatorILi1EjESF_NS0_6memory15LoadWithoutCastENSG_16StoreWithoutCastEEEviT_T0_T2_T3_T4_T5_.kd
    .uniform_work_group_size: 1
    .uses_dynamic_stack: false
    .vgpr_count:     10
    .vgpr_spill_count: 0
    .wavefront_size: 32
    .workgroup_processor_mode: 1
  - .args:
      - .offset:         0
        .size:           4
        .value_kind:     by_value
      - .offset:         8
        .size:           352
        .value_kind:     by_value
    .group_segment_fixed_size: 0
    .kernarg_segment_align: 8
    .kernarg_segment_size: 360
    .language:       OpenCL C
    .language_version:
      - 2
      - 0
    .max_flat_workgroup_size: 128
    .name:           _ZN2at6native32elementwise_kernel_manual_unrollILi128ELi8EZNS0_22gpu_kernel_impl_nocastIZZZNS0_22nan_to_num_kernel_cudaERNS_18TensorIteratorBaseESt8optionalIdES6_S6_ENKUlvE0_clEvENKUlvE2_clEvEUlN3c108BFloat16EE_EEvS4_RKT_EUlibE_EEviT1_
    .private_segment_fixed_size: 0
    .sgpr_count:     66
    .sgpr_spill_count: 0
    .symbol:         _ZN2at6native32elementwise_kernel_manual_unrollILi128ELi8EZNS0_22gpu_kernel_impl_nocastIZZZNS0_22nan_to_num_kernel_cudaERNS_18TensorIteratorBaseESt8optionalIdES6_S6_ENKUlvE0_clEvENKUlvE2_clEvEUlN3c108BFloat16EE_EEvS4_RKT_EUlibE_EEviT1_.kd
    .uniform_work_group_size: 1
    .uses_dynamic_stack: false
    .vgpr_count:     26
    .vgpr_spill_count: 0
    .wavefront_size: 32
    .workgroup_processor_mode: 1
  - .args:
      - .offset:         0
        .size:           4
        .value_kind:     by_value
      - .offset:         8
        .size:           32
        .value_kind:     by_value
    .group_segment_fixed_size: 0
    .kernarg_segment_align: 8
    .kernarg_segment_size: 40
    .language:       OpenCL C
    .language_version:
      - 2
      - 0
    .max_flat_workgroup_size: 128
    .name:           _ZN2at6native32elementwise_kernel_manual_unrollILi128ELi4EZNS0_15gpu_kernel_implIZZZNS0_22nan_to_num_kernel_cudaERNS_18TensorIteratorBaseESt8optionalIdES6_S6_ENKUlvE0_clEvENKUlvE2_clEvEUlN3c108BFloat16EE_EEvS4_RKT_EUlibE_EEviT1_
    .private_segment_fixed_size: 0
    .sgpr_count:     31
    .sgpr_spill_count: 0
    .symbol:         _ZN2at6native32elementwise_kernel_manual_unrollILi128ELi4EZNS0_15gpu_kernel_implIZZZNS0_22nan_to_num_kernel_cudaERNS_18TensorIteratorBaseESt8optionalIdES6_S6_ENKUlvE0_clEvENKUlvE2_clEvEUlN3c108BFloat16EE_EEvS4_RKT_EUlibE_EEviT1_.kd
    .uniform_work_group_size: 1
    .uses_dynamic_stack: false
    .vgpr_count:     12
    .vgpr_spill_count: 0
    .wavefront_size: 32
    .workgroup_processor_mode: 1
  - .args:
      - .offset:         0
        .size:           4
        .value_kind:     by_value
      - .offset:         8
        .size:           352
        .value_kind:     by_value
    .group_segment_fixed_size: 0
    .kernarg_segment_align: 8
    .kernarg_segment_size: 360
    .language:       OpenCL C
    .language_version:
      - 2
      - 0
    .max_flat_workgroup_size: 128
    .name:           _ZN2at6native32elementwise_kernel_manual_unrollILi128ELi4EZNS0_15gpu_kernel_implIZZZNS0_22nan_to_num_kernel_cudaERNS_18TensorIteratorBaseESt8optionalIdES6_S6_ENKUlvE0_clEvENKUlvE2_clEvEUlN3c108BFloat16EE_EEvS4_RKT_EUlibE0_EEviT1_
    .private_segment_fixed_size: 0
    .sgpr_count:     74
    .sgpr_spill_count: 0
    .symbol:         _ZN2at6native32elementwise_kernel_manual_unrollILi128ELi4EZNS0_15gpu_kernel_implIZZZNS0_22nan_to_num_kernel_cudaERNS_18TensorIteratorBaseESt8optionalIdES6_S6_ENKUlvE0_clEvENKUlvE2_clEvEUlN3c108BFloat16EE_EEvS4_RKT_EUlibE0_EEviT1_.kd
    .uniform_work_group_size: 1
    .uses_dynamic_stack: false
    .vgpr_count:     18
    .vgpr_spill_count: 0
    .wavefront_size: 32
    .workgroup_processor_mode: 1
  - .args:
      - .offset:         0
        .size:           4
        .value_kind:     by_value
      - .offset:         4
        .size:           1
        .value_kind:     by_value
      - .offset:         8
        .size:           24
        .value_kind:     by_value
      - .offset:         32
        .size:           1
        .value_kind:     by_value
      - .offset:         33
        .size:           1
        .value_kind:     by_value
    .group_segment_fixed_size: 16384
    .kernarg_segment_align: 8
    .kernarg_segment_size: 36
    .language:       OpenCL C
    .language_version:
      - 2
      - 0
    .max_flat_workgroup_size: 256
    .name:           _ZN2at6native12_GLOBAL__N_145unrolled_elementwise_kernel_for_multi_outputsILi2EZZZNS0_17frexp_kernel_cudaERNS_18TensorIteratorBaseEENKUlvE_clEvENKUlvE_clEvEUldE_St5arrayIPcLm3EE23TrivialOffsetCalculatorILi1EjESB_ILi2EjEEEviT0_T1_T2_T3_
    .private_segment_fixed_size: 48
    .sgpr_count:     18
    .sgpr_spill_count: 0
    .symbol:         _ZN2at6native12_GLOBAL__N_145unrolled_elementwise_kernel_for_multi_outputsILi2EZZZNS0_17frexp_kernel_cudaERNS_18TensorIteratorBaseEENKUlvE_clEvENKUlvE_clEvEUldE_St5arrayIPcLm3EE23TrivialOffsetCalculatorILi1EjESB_ILi2EjEEEviT0_T1_T2_T3_.kd
    .uniform_work_group_size: 1
    .uses_dynamic_stack: false
    .vgpr_count:     11
    .vgpr_spill_count: 0
    .wavefront_size: 32
    .workgroup_processor_mode: 1
  - .args:
      - .offset:         0
        .size:           4
        .value_kind:     by_value
      - .offset:         4
        .size:           1
        .value_kind:     by_value
      - .offset:         8
        .size:           24
        .value_kind:     by_value
      - .offset:         32
        .size:           260
        .value_kind:     by_value
      - .offset:         292
        .size:           324
        .value_kind:     by_value
    .group_segment_fixed_size: 16384
    .kernarg_segment_align: 8
    .kernarg_segment_size: 616
    .language:       OpenCL C
    .language_version:
      - 2
      - 0
    .max_flat_workgroup_size: 256
    .name:           _ZN2at6native12_GLOBAL__N_145unrolled_elementwise_kernel_for_multi_outputsILi2EZZZNS0_17frexp_kernel_cudaERNS_18TensorIteratorBaseEENKUlvE_clEvENKUlvE_clEvEUldE_St5arrayIPcLm3EE16OffsetCalculatorILi1EjLb0EESB_ILi2EjLb0EEEEviT0_T1_T2_T3_
    .private_segment_fixed_size: 672
    .sgpr_count:     86
    .sgpr_spill_count: 0
    .symbol:         _ZN2at6native12_GLOBAL__N_145unrolled_elementwise_kernel_for_multi_outputsILi2EZZZNS0_17frexp_kernel_cudaERNS_18TensorIteratorBaseEENKUlvE_clEvENKUlvE_clEvEUldE_St5arrayIPcLm3EE16OffsetCalculatorILi1EjLb0EESB_ILi2EjLb0EEEEviT0_T1_T2_T3_.kd
    .uniform_work_group_size: 1
    .uses_dynamic_stack: false
    .vgpr_count:     44
    .vgpr_spill_count: 0
    .wavefront_size: 32
    .workgroup_processor_mode: 1
  - .args:
      - .offset:         0
        .size:           4
        .value_kind:     by_value
      - .offset:         4
        .size:           1
        .value_kind:     by_value
      - .offset:         8
        .size:           24
        .value_kind:     by_value
      - .offset:         32
        .size:           1
        .value_kind:     by_value
      - .offset:         33
        .size:           1
        .value_kind:     by_value
    .group_segment_fixed_size: 12288
    .kernarg_segment_align: 8
    .kernarg_segment_size: 36
    .language:       OpenCL C
    .language_version:
      - 2
      - 0
    .max_flat_workgroup_size: 256
    .name:           _ZN2at6native12_GLOBAL__N_145unrolled_elementwise_kernel_for_multi_outputsILi2EZZZNS0_17frexp_kernel_cudaERNS_18TensorIteratorBaseEENKUlvE_clEvENKUlvE0_clEvEUlfE_St5arrayIPcLm3EE23TrivialOffsetCalculatorILi1EjESB_ILi2EjEEEviT0_T1_T2_T3_
    .private_segment_fixed_size: 0
    .sgpr_count:     18
    .sgpr_spill_count: 0
    .symbol:         _ZN2at6native12_GLOBAL__N_145unrolled_elementwise_kernel_for_multi_outputsILi2EZZZNS0_17frexp_kernel_cudaERNS_18TensorIteratorBaseEENKUlvE_clEvENKUlvE0_clEvEUlfE_St5arrayIPcLm3EE23TrivialOffsetCalculatorILi1EjESB_ILi2EjEEEviT0_T1_T2_T3_.kd
    .uniform_work_group_size: 1
    .uses_dynamic_stack: false
    .vgpr_count:     10
    .vgpr_spill_count: 0
    .wavefront_size: 32
    .workgroup_processor_mode: 1
  - .args:
      - .offset:         0
        .size:           4
        .value_kind:     by_value
      - .offset:         4
        .size:           1
        .value_kind:     by_value
      - .offset:         8
        .size:           24
        .value_kind:     by_value
      - .offset:         32
        .size:           260
        .value_kind:     by_value
      - .offset:         292
        .size:           324
        .value_kind:     by_value
    .group_segment_fixed_size: 12288
    .kernarg_segment_align: 8
    .kernarg_segment_size: 616
    .language:       OpenCL C
    .language_version:
      - 2
      - 0
    .max_flat_workgroup_size: 256
    .name:           _ZN2at6native12_GLOBAL__N_145unrolled_elementwise_kernel_for_multi_outputsILi2EZZZNS0_17frexp_kernel_cudaERNS_18TensorIteratorBaseEENKUlvE_clEvENKUlvE0_clEvEUlfE_St5arrayIPcLm3EE16OffsetCalculatorILi1EjLb0EESB_ILi2EjLb0EEEEviT0_T1_T2_T3_
    .private_segment_fixed_size: 624
    .sgpr_count:     82
    .sgpr_spill_count: 0
    .symbol:         _ZN2at6native12_GLOBAL__N_145unrolled_elementwise_kernel_for_multi_outputsILi2EZZZNS0_17frexp_kernel_cudaERNS_18TensorIteratorBaseEENKUlvE_clEvENKUlvE0_clEvEUlfE_St5arrayIPcLm3EE16OffsetCalculatorILi1EjLb0EESB_ILi2EjLb0EEEEviT0_T1_T2_T3_.kd
    .uniform_work_group_size: 1
    .uses_dynamic_stack: false
    .vgpr_count:     41
    .vgpr_spill_count: 0
    .wavefront_size: 32
    .workgroup_processor_mode: 1
  - .args:
      - .offset:         0
        .size:           4
        .value_kind:     by_value
      - .offset:         4
        .size:           1
        .value_kind:     by_value
      - .offset:         8
        .size:           24
        .value_kind:     by_value
      - .offset:         32
        .size:           1
        .value_kind:     by_value
      - .offset:         33
        .size:           1
        .value_kind:     by_value
    .group_segment_fixed_size: 10240
    .kernarg_segment_align: 8
    .kernarg_segment_size: 36
    .language:       OpenCL C
    .language_version:
      - 2
      - 0
    .max_flat_workgroup_size: 256
    .name:           _ZN2at6native12_GLOBAL__N_145unrolled_elementwise_kernel_for_multi_outputsILi2EZZZNS0_17frexp_kernel_cudaERNS_18TensorIteratorBaseEENKUlvE_clEvENKUlvE1_clEvEUlN3c104HalfEE_St5arrayIPcLm3EE23TrivialOffsetCalculatorILi1EjESD_ILi2EjEEEviT0_T1_T2_T3_
    .private_segment_fixed_size: 0
    .sgpr_count:     18
    .sgpr_spill_count: 0
    .symbol:         _ZN2at6native12_GLOBAL__N_145unrolled_elementwise_kernel_for_multi_outputsILi2EZZZNS0_17frexp_kernel_cudaERNS_18TensorIteratorBaseEENKUlvE_clEvENKUlvE1_clEvEUlN3c104HalfEE_St5arrayIPcLm3EE23TrivialOffsetCalculatorILi1EjESD_ILi2EjEEEviT0_T1_T2_T3_.kd
    .uniform_work_group_size: 1
    .uses_dynamic_stack: false
    .vgpr_count:     10
    .vgpr_spill_count: 0
    .wavefront_size: 32
    .workgroup_processor_mode: 1
  - .args:
      - .offset:         0
        .size:           4
        .value_kind:     by_value
      - .offset:         4
        .size:           1
        .value_kind:     by_value
      - .offset:         8
        .size:           24
        .value_kind:     by_value
      - .offset:         32
        .size:           260
        .value_kind:     by_value
      - .offset:         292
        .size:           324
        .value_kind:     by_value
    .group_segment_fixed_size: 10240
    .kernarg_segment_align: 8
    .kernarg_segment_size: 616
    .language:       OpenCL C
    .language_version:
      - 2
      - 0
    .max_flat_workgroup_size: 256
    .name:           _ZN2at6native12_GLOBAL__N_145unrolled_elementwise_kernel_for_multi_outputsILi2EZZZNS0_17frexp_kernel_cudaERNS_18TensorIteratorBaseEENKUlvE_clEvENKUlvE1_clEvEUlN3c104HalfEE_St5arrayIPcLm3EE16OffsetCalculatorILi1EjLb0EESD_ILi2EjLb0EEEEviT0_T1_T2_T3_
    .private_segment_fixed_size: 624
    .sgpr_count:     82
    .sgpr_spill_count: 0
    .symbol:         _ZN2at6native12_GLOBAL__N_145unrolled_elementwise_kernel_for_multi_outputsILi2EZZZNS0_17frexp_kernel_cudaERNS_18TensorIteratorBaseEENKUlvE_clEvENKUlvE1_clEvEUlN3c104HalfEE_St5arrayIPcLm3EE16OffsetCalculatorILi1EjLb0EESD_ILi2EjLb0EEEEviT0_T1_T2_T3_.kd
    .uniform_work_group_size: 1
    .uses_dynamic_stack: false
    .vgpr_count:     41
    .vgpr_spill_count: 0
    .wavefront_size: 32
    .workgroup_processor_mode: 1
  - .args:
      - .offset:         0
        .size:           4
        .value_kind:     by_value
      - .offset:         4
        .size:           1
        .value_kind:     by_value
      - .offset:         8
        .size:           24
        .value_kind:     by_value
      - .offset:         32
        .size:           1
        .value_kind:     by_value
      - .offset:         33
        .size:           1
        .value_kind:     by_value
    .group_segment_fixed_size: 10240
    .kernarg_segment_align: 8
    .kernarg_segment_size: 36
    .language:       OpenCL C
    .language_version:
      - 2
      - 0
    .max_flat_workgroup_size: 256
    .name:           _ZN2at6native12_GLOBAL__N_145unrolled_elementwise_kernel_for_multi_outputsILi2EZZZNS0_17frexp_kernel_cudaERNS_18TensorIteratorBaseEENKUlvE_clEvENKUlvE2_clEvEUlN3c108BFloat16EE_St5arrayIPcLm3EE23TrivialOffsetCalculatorILi1EjESD_ILi2EjEEEviT0_T1_T2_T3_
    .private_segment_fixed_size: 0
    .sgpr_count:     18
    .sgpr_spill_count: 0
    .symbol:         _ZN2at6native12_GLOBAL__N_145unrolled_elementwise_kernel_for_multi_outputsILi2EZZZNS0_17frexp_kernel_cudaERNS_18TensorIteratorBaseEENKUlvE_clEvENKUlvE2_clEvEUlN3c108BFloat16EE_St5arrayIPcLm3EE23TrivialOffsetCalculatorILi1EjESD_ILi2EjEEEviT0_T1_T2_T3_.kd
    .uniform_work_group_size: 1
    .uses_dynamic_stack: false
    .vgpr_count:     10
    .vgpr_spill_count: 0
    .wavefront_size: 32
    .workgroup_processor_mode: 1
  - .args:
      - .offset:         0
        .size:           4
        .value_kind:     by_value
      - .offset:         4
        .size:           1
        .value_kind:     by_value
      - .offset:         8
        .size:           24
        .value_kind:     by_value
      - .offset:         32
        .size:           260
        .value_kind:     by_value
      - .offset:         292
        .size:           324
        .value_kind:     by_value
    .group_segment_fixed_size: 10240
    .kernarg_segment_align: 8
    .kernarg_segment_size: 616
    .language:       OpenCL C
    .language_version:
      - 2
      - 0
    .max_flat_workgroup_size: 256
    .name:           _ZN2at6native12_GLOBAL__N_145unrolled_elementwise_kernel_for_multi_outputsILi2EZZZNS0_17frexp_kernel_cudaERNS_18TensorIteratorBaseEENKUlvE_clEvENKUlvE2_clEvEUlN3c108BFloat16EE_St5arrayIPcLm3EE16OffsetCalculatorILi1EjLb0EESD_ILi2EjLb0EEEEviT0_T1_T2_T3_
    .private_segment_fixed_size: 624
    .sgpr_count:     82
    .sgpr_spill_count: 0
    .symbol:         _ZN2at6native12_GLOBAL__N_145unrolled_elementwise_kernel_for_multi_outputsILi2EZZZNS0_17frexp_kernel_cudaERNS_18TensorIteratorBaseEENKUlvE_clEvENKUlvE2_clEvEUlN3c108BFloat16EE_St5arrayIPcLm3EE16OffsetCalculatorILi1EjLb0EESD_ILi2EjLb0EEEEviT0_T1_T2_T3_.kd
    .uniform_work_group_size: 1
    .uses_dynamic_stack: false
    .vgpr_count:     41
    .vgpr_spill_count: 0
    .wavefront_size: 32
    .workgroup_processor_mode: 1
amdhsa.target:   amdgcn-amd-amdhsa--gfx1100
amdhsa.version:
  - 1
  - 2
...

	.end_amdgpu_metadata
